;; amdgpu-corpus repo=ROCm/rocThrust kind=compiled arch=gfx90a opt=O3
	.text
	.amdgcn_target "amdgcn-amd-amdhsa--gfx90a"
	.amdhsa_code_object_version 6
	.section	.text._ZN7rocprim17ROCPRIM_400000_NS6detail17trampoline_kernelINS0_13kernel_configILj256ELj4ELj4294967295EEENS1_37radix_sort_block_sort_config_selectorIcNS0_10empty_typeEEEZNS1_21radix_sort_block_sortIS4_Lb0EPcS9_PS6_SA_NS0_19identity_decomposerEEE10hipError_tT1_T2_T3_T4_jRjT5_jjP12ihipStream_tbEUlT_E_NS1_11comp_targetILNS1_3genE0ELNS1_11target_archE4294967295ELNS1_3gpuE0ELNS1_3repE0EEENS1_44radix_sort_block_sort_config_static_selectorELNS0_4arch9wavefront6targetE1EEEvSD_,"axG",@progbits,_ZN7rocprim17ROCPRIM_400000_NS6detail17trampoline_kernelINS0_13kernel_configILj256ELj4ELj4294967295EEENS1_37radix_sort_block_sort_config_selectorIcNS0_10empty_typeEEEZNS1_21radix_sort_block_sortIS4_Lb0EPcS9_PS6_SA_NS0_19identity_decomposerEEE10hipError_tT1_T2_T3_T4_jRjT5_jjP12ihipStream_tbEUlT_E_NS1_11comp_targetILNS1_3genE0ELNS1_11target_archE4294967295ELNS1_3gpuE0ELNS1_3repE0EEENS1_44radix_sort_block_sort_config_static_selectorELNS0_4arch9wavefront6targetE1EEEvSD_,comdat
	.protected	_ZN7rocprim17ROCPRIM_400000_NS6detail17trampoline_kernelINS0_13kernel_configILj256ELj4ELj4294967295EEENS1_37radix_sort_block_sort_config_selectorIcNS0_10empty_typeEEEZNS1_21radix_sort_block_sortIS4_Lb0EPcS9_PS6_SA_NS0_19identity_decomposerEEE10hipError_tT1_T2_T3_T4_jRjT5_jjP12ihipStream_tbEUlT_E_NS1_11comp_targetILNS1_3genE0ELNS1_11target_archE4294967295ELNS1_3gpuE0ELNS1_3repE0EEENS1_44radix_sort_block_sort_config_static_selectorELNS0_4arch9wavefront6targetE1EEEvSD_ ; -- Begin function _ZN7rocprim17ROCPRIM_400000_NS6detail17trampoline_kernelINS0_13kernel_configILj256ELj4ELj4294967295EEENS1_37radix_sort_block_sort_config_selectorIcNS0_10empty_typeEEEZNS1_21radix_sort_block_sortIS4_Lb0EPcS9_PS6_SA_NS0_19identity_decomposerEEE10hipError_tT1_T2_T3_T4_jRjT5_jjP12ihipStream_tbEUlT_E_NS1_11comp_targetILNS1_3genE0ELNS1_11target_archE4294967295ELNS1_3gpuE0ELNS1_3repE0EEENS1_44radix_sort_block_sort_config_static_selectorELNS0_4arch9wavefront6targetE1EEEvSD_
	.globl	_ZN7rocprim17ROCPRIM_400000_NS6detail17trampoline_kernelINS0_13kernel_configILj256ELj4ELj4294967295EEENS1_37radix_sort_block_sort_config_selectorIcNS0_10empty_typeEEEZNS1_21radix_sort_block_sortIS4_Lb0EPcS9_PS6_SA_NS0_19identity_decomposerEEE10hipError_tT1_T2_T3_T4_jRjT5_jjP12ihipStream_tbEUlT_E_NS1_11comp_targetILNS1_3genE0ELNS1_11target_archE4294967295ELNS1_3gpuE0ELNS1_3repE0EEENS1_44radix_sort_block_sort_config_static_selectorELNS0_4arch9wavefront6targetE1EEEvSD_
	.p2align	8
	.type	_ZN7rocprim17ROCPRIM_400000_NS6detail17trampoline_kernelINS0_13kernel_configILj256ELj4ELj4294967295EEENS1_37radix_sort_block_sort_config_selectorIcNS0_10empty_typeEEEZNS1_21radix_sort_block_sortIS4_Lb0EPcS9_PS6_SA_NS0_19identity_decomposerEEE10hipError_tT1_T2_T3_T4_jRjT5_jjP12ihipStream_tbEUlT_E_NS1_11comp_targetILNS1_3genE0ELNS1_11target_archE4294967295ELNS1_3gpuE0ELNS1_3repE0EEENS1_44radix_sort_block_sort_config_static_selectorELNS0_4arch9wavefront6targetE1EEEvSD_,@function
_ZN7rocprim17ROCPRIM_400000_NS6detail17trampoline_kernelINS0_13kernel_configILj256ELj4ELj4294967295EEENS1_37radix_sort_block_sort_config_selectorIcNS0_10empty_typeEEEZNS1_21radix_sort_block_sortIS4_Lb0EPcS9_PS6_SA_NS0_19identity_decomposerEEE10hipError_tT1_T2_T3_T4_jRjT5_jjP12ihipStream_tbEUlT_E_NS1_11comp_targetILNS1_3genE0ELNS1_11target_archE4294967295ELNS1_3gpuE0ELNS1_3repE0EEENS1_44radix_sort_block_sort_config_static_selectorELNS0_4arch9wavefront6targetE1EEEvSD_: ; @_ZN7rocprim17ROCPRIM_400000_NS6detail17trampoline_kernelINS0_13kernel_configILj256ELj4ELj4294967295EEENS1_37radix_sort_block_sort_config_selectorIcNS0_10empty_typeEEEZNS1_21radix_sort_block_sortIS4_Lb0EPcS9_PS6_SA_NS0_19identity_decomposerEEE10hipError_tT1_T2_T3_T4_jRjT5_jjP12ihipStream_tbEUlT_E_NS1_11comp_targetILNS1_3genE0ELNS1_11target_archE4294967295ELNS1_3gpuE0ELNS1_3repE0EEENS1_44radix_sort_block_sort_config_static_selectorELNS0_4arch9wavefront6targetE1EEEvSD_
; %bb.0:
	.section	.rodata,"a",@progbits
	.p2align	6, 0x0
	.amdhsa_kernel _ZN7rocprim17ROCPRIM_400000_NS6detail17trampoline_kernelINS0_13kernel_configILj256ELj4ELj4294967295EEENS1_37radix_sort_block_sort_config_selectorIcNS0_10empty_typeEEEZNS1_21radix_sort_block_sortIS4_Lb0EPcS9_PS6_SA_NS0_19identity_decomposerEEE10hipError_tT1_T2_T3_T4_jRjT5_jjP12ihipStream_tbEUlT_E_NS1_11comp_targetILNS1_3genE0ELNS1_11target_archE4294967295ELNS1_3gpuE0ELNS1_3repE0EEENS1_44radix_sort_block_sort_config_static_selectorELNS0_4arch9wavefront6targetE1EEEvSD_
		.amdhsa_group_segment_fixed_size 0
		.amdhsa_private_segment_fixed_size 0
		.amdhsa_kernarg_size 48
		.amdhsa_user_sgpr_count 6
		.amdhsa_user_sgpr_private_segment_buffer 1
		.amdhsa_user_sgpr_dispatch_ptr 0
		.amdhsa_user_sgpr_queue_ptr 0
		.amdhsa_user_sgpr_kernarg_segment_ptr 1
		.amdhsa_user_sgpr_dispatch_id 0
		.amdhsa_user_sgpr_flat_scratch_init 0
		.amdhsa_user_sgpr_kernarg_preload_length 0
		.amdhsa_user_sgpr_kernarg_preload_offset 0
		.amdhsa_user_sgpr_private_segment_size 0
		.amdhsa_uses_dynamic_stack 0
		.amdhsa_system_sgpr_private_segment_wavefront_offset 0
		.amdhsa_system_sgpr_workgroup_id_x 1
		.amdhsa_system_sgpr_workgroup_id_y 0
		.amdhsa_system_sgpr_workgroup_id_z 0
		.amdhsa_system_sgpr_workgroup_info 0
		.amdhsa_system_vgpr_workitem_id 0
		.amdhsa_next_free_vgpr 1
		.amdhsa_next_free_sgpr 0
		.amdhsa_accum_offset 4
		.amdhsa_reserve_vcc 0
		.amdhsa_reserve_flat_scratch 0
		.amdhsa_float_round_mode_32 0
		.amdhsa_float_round_mode_16_64 0
		.amdhsa_float_denorm_mode_32 3
		.amdhsa_float_denorm_mode_16_64 3
		.amdhsa_dx10_clamp 1
		.amdhsa_ieee_mode 1
		.amdhsa_fp16_overflow 0
		.amdhsa_tg_split 0
		.amdhsa_exception_fp_ieee_invalid_op 0
		.amdhsa_exception_fp_denorm_src 0
		.amdhsa_exception_fp_ieee_div_zero 0
		.amdhsa_exception_fp_ieee_overflow 0
		.amdhsa_exception_fp_ieee_underflow 0
		.amdhsa_exception_fp_ieee_inexact 0
		.amdhsa_exception_int_div_zero 0
	.end_amdhsa_kernel
	.section	.text._ZN7rocprim17ROCPRIM_400000_NS6detail17trampoline_kernelINS0_13kernel_configILj256ELj4ELj4294967295EEENS1_37radix_sort_block_sort_config_selectorIcNS0_10empty_typeEEEZNS1_21radix_sort_block_sortIS4_Lb0EPcS9_PS6_SA_NS0_19identity_decomposerEEE10hipError_tT1_T2_T3_T4_jRjT5_jjP12ihipStream_tbEUlT_E_NS1_11comp_targetILNS1_3genE0ELNS1_11target_archE4294967295ELNS1_3gpuE0ELNS1_3repE0EEENS1_44radix_sort_block_sort_config_static_selectorELNS0_4arch9wavefront6targetE1EEEvSD_,"axG",@progbits,_ZN7rocprim17ROCPRIM_400000_NS6detail17trampoline_kernelINS0_13kernel_configILj256ELj4ELj4294967295EEENS1_37radix_sort_block_sort_config_selectorIcNS0_10empty_typeEEEZNS1_21radix_sort_block_sortIS4_Lb0EPcS9_PS6_SA_NS0_19identity_decomposerEEE10hipError_tT1_T2_T3_T4_jRjT5_jjP12ihipStream_tbEUlT_E_NS1_11comp_targetILNS1_3genE0ELNS1_11target_archE4294967295ELNS1_3gpuE0ELNS1_3repE0EEENS1_44radix_sort_block_sort_config_static_selectorELNS0_4arch9wavefront6targetE1EEEvSD_,comdat
.Lfunc_end0:
	.size	_ZN7rocprim17ROCPRIM_400000_NS6detail17trampoline_kernelINS0_13kernel_configILj256ELj4ELj4294967295EEENS1_37radix_sort_block_sort_config_selectorIcNS0_10empty_typeEEEZNS1_21radix_sort_block_sortIS4_Lb0EPcS9_PS6_SA_NS0_19identity_decomposerEEE10hipError_tT1_T2_T3_T4_jRjT5_jjP12ihipStream_tbEUlT_E_NS1_11comp_targetILNS1_3genE0ELNS1_11target_archE4294967295ELNS1_3gpuE0ELNS1_3repE0EEENS1_44radix_sort_block_sort_config_static_selectorELNS0_4arch9wavefront6targetE1EEEvSD_, .Lfunc_end0-_ZN7rocprim17ROCPRIM_400000_NS6detail17trampoline_kernelINS0_13kernel_configILj256ELj4ELj4294967295EEENS1_37radix_sort_block_sort_config_selectorIcNS0_10empty_typeEEEZNS1_21radix_sort_block_sortIS4_Lb0EPcS9_PS6_SA_NS0_19identity_decomposerEEE10hipError_tT1_T2_T3_T4_jRjT5_jjP12ihipStream_tbEUlT_E_NS1_11comp_targetILNS1_3genE0ELNS1_11target_archE4294967295ELNS1_3gpuE0ELNS1_3repE0EEENS1_44radix_sort_block_sort_config_static_selectorELNS0_4arch9wavefront6targetE1EEEvSD_
                                        ; -- End function
	.section	.AMDGPU.csdata,"",@progbits
; Kernel info:
; codeLenInByte = 0
; NumSgprs: 4
; NumVgprs: 0
; NumAgprs: 0
; TotalNumVgprs: 0
; ScratchSize: 0
; MemoryBound: 0
; FloatMode: 240
; IeeeMode: 1
; LDSByteSize: 0 bytes/workgroup (compile time only)
; SGPRBlocks: 0
; VGPRBlocks: 0
; NumSGPRsForWavesPerEU: 4
; NumVGPRsForWavesPerEU: 1
; AccumOffset: 4
; Occupancy: 8
; WaveLimiterHint : 0
; COMPUTE_PGM_RSRC2:SCRATCH_EN: 0
; COMPUTE_PGM_RSRC2:USER_SGPR: 6
; COMPUTE_PGM_RSRC2:TRAP_HANDLER: 0
; COMPUTE_PGM_RSRC2:TGID_X_EN: 1
; COMPUTE_PGM_RSRC2:TGID_Y_EN: 0
; COMPUTE_PGM_RSRC2:TGID_Z_EN: 0
; COMPUTE_PGM_RSRC2:TIDIG_COMP_CNT: 0
; COMPUTE_PGM_RSRC3_GFX90A:ACCUM_OFFSET: 0
; COMPUTE_PGM_RSRC3_GFX90A:TG_SPLIT: 0
	.section	.text._ZN7rocprim17ROCPRIM_400000_NS6detail17trampoline_kernelINS0_13kernel_configILj256ELj4ELj4294967295EEENS1_37radix_sort_block_sort_config_selectorIcNS0_10empty_typeEEEZNS1_21radix_sort_block_sortIS4_Lb0EPcS9_PS6_SA_NS0_19identity_decomposerEEE10hipError_tT1_T2_T3_T4_jRjT5_jjP12ihipStream_tbEUlT_E_NS1_11comp_targetILNS1_3genE5ELNS1_11target_archE942ELNS1_3gpuE9ELNS1_3repE0EEENS1_44radix_sort_block_sort_config_static_selectorELNS0_4arch9wavefront6targetE1EEEvSD_,"axG",@progbits,_ZN7rocprim17ROCPRIM_400000_NS6detail17trampoline_kernelINS0_13kernel_configILj256ELj4ELj4294967295EEENS1_37radix_sort_block_sort_config_selectorIcNS0_10empty_typeEEEZNS1_21radix_sort_block_sortIS4_Lb0EPcS9_PS6_SA_NS0_19identity_decomposerEEE10hipError_tT1_T2_T3_T4_jRjT5_jjP12ihipStream_tbEUlT_E_NS1_11comp_targetILNS1_3genE5ELNS1_11target_archE942ELNS1_3gpuE9ELNS1_3repE0EEENS1_44radix_sort_block_sort_config_static_selectorELNS0_4arch9wavefront6targetE1EEEvSD_,comdat
	.protected	_ZN7rocprim17ROCPRIM_400000_NS6detail17trampoline_kernelINS0_13kernel_configILj256ELj4ELj4294967295EEENS1_37radix_sort_block_sort_config_selectorIcNS0_10empty_typeEEEZNS1_21radix_sort_block_sortIS4_Lb0EPcS9_PS6_SA_NS0_19identity_decomposerEEE10hipError_tT1_T2_T3_T4_jRjT5_jjP12ihipStream_tbEUlT_E_NS1_11comp_targetILNS1_3genE5ELNS1_11target_archE942ELNS1_3gpuE9ELNS1_3repE0EEENS1_44radix_sort_block_sort_config_static_selectorELNS0_4arch9wavefront6targetE1EEEvSD_ ; -- Begin function _ZN7rocprim17ROCPRIM_400000_NS6detail17trampoline_kernelINS0_13kernel_configILj256ELj4ELj4294967295EEENS1_37radix_sort_block_sort_config_selectorIcNS0_10empty_typeEEEZNS1_21radix_sort_block_sortIS4_Lb0EPcS9_PS6_SA_NS0_19identity_decomposerEEE10hipError_tT1_T2_T3_T4_jRjT5_jjP12ihipStream_tbEUlT_E_NS1_11comp_targetILNS1_3genE5ELNS1_11target_archE942ELNS1_3gpuE9ELNS1_3repE0EEENS1_44radix_sort_block_sort_config_static_selectorELNS0_4arch9wavefront6targetE1EEEvSD_
	.globl	_ZN7rocprim17ROCPRIM_400000_NS6detail17trampoline_kernelINS0_13kernel_configILj256ELj4ELj4294967295EEENS1_37radix_sort_block_sort_config_selectorIcNS0_10empty_typeEEEZNS1_21radix_sort_block_sortIS4_Lb0EPcS9_PS6_SA_NS0_19identity_decomposerEEE10hipError_tT1_T2_T3_T4_jRjT5_jjP12ihipStream_tbEUlT_E_NS1_11comp_targetILNS1_3genE5ELNS1_11target_archE942ELNS1_3gpuE9ELNS1_3repE0EEENS1_44radix_sort_block_sort_config_static_selectorELNS0_4arch9wavefront6targetE1EEEvSD_
	.p2align	8
	.type	_ZN7rocprim17ROCPRIM_400000_NS6detail17trampoline_kernelINS0_13kernel_configILj256ELj4ELj4294967295EEENS1_37radix_sort_block_sort_config_selectorIcNS0_10empty_typeEEEZNS1_21radix_sort_block_sortIS4_Lb0EPcS9_PS6_SA_NS0_19identity_decomposerEEE10hipError_tT1_T2_T3_T4_jRjT5_jjP12ihipStream_tbEUlT_E_NS1_11comp_targetILNS1_3genE5ELNS1_11target_archE942ELNS1_3gpuE9ELNS1_3repE0EEENS1_44radix_sort_block_sort_config_static_selectorELNS0_4arch9wavefront6targetE1EEEvSD_,@function
_ZN7rocprim17ROCPRIM_400000_NS6detail17trampoline_kernelINS0_13kernel_configILj256ELj4ELj4294967295EEENS1_37radix_sort_block_sort_config_selectorIcNS0_10empty_typeEEEZNS1_21radix_sort_block_sortIS4_Lb0EPcS9_PS6_SA_NS0_19identity_decomposerEEE10hipError_tT1_T2_T3_T4_jRjT5_jjP12ihipStream_tbEUlT_E_NS1_11comp_targetILNS1_3genE5ELNS1_11target_archE942ELNS1_3gpuE9ELNS1_3repE0EEENS1_44radix_sort_block_sort_config_static_selectorELNS0_4arch9wavefront6targetE1EEEvSD_: ; @_ZN7rocprim17ROCPRIM_400000_NS6detail17trampoline_kernelINS0_13kernel_configILj256ELj4ELj4294967295EEENS1_37radix_sort_block_sort_config_selectorIcNS0_10empty_typeEEEZNS1_21radix_sort_block_sortIS4_Lb0EPcS9_PS6_SA_NS0_19identity_decomposerEEE10hipError_tT1_T2_T3_T4_jRjT5_jjP12ihipStream_tbEUlT_E_NS1_11comp_targetILNS1_3genE5ELNS1_11target_archE942ELNS1_3gpuE9ELNS1_3repE0EEENS1_44radix_sort_block_sort_config_static_selectorELNS0_4arch9wavefront6targetE1EEEvSD_
; %bb.0:
	.section	.rodata,"a",@progbits
	.p2align	6, 0x0
	.amdhsa_kernel _ZN7rocprim17ROCPRIM_400000_NS6detail17trampoline_kernelINS0_13kernel_configILj256ELj4ELj4294967295EEENS1_37radix_sort_block_sort_config_selectorIcNS0_10empty_typeEEEZNS1_21radix_sort_block_sortIS4_Lb0EPcS9_PS6_SA_NS0_19identity_decomposerEEE10hipError_tT1_T2_T3_T4_jRjT5_jjP12ihipStream_tbEUlT_E_NS1_11comp_targetILNS1_3genE5ELNS1_11target_archE942ELNS1_3gpuE9ELNS1_3repE0EEENS1_44radix_sort_block_sort_config_static_selectorELNS0_4arch9wavefront6targetE1EEEvSD_
		.amdhsa_group_segment_fixed_size 0
		.amdhsa_private_segment_fixed_size 0
		.amdhsa_kernarg_size 48
		.amdhsa_user_sgpr_count 6
		.amdhsa_user_sgpr_private_segment_buffer 1
		.amdhsa_user_sgpr_dispatch_ptr 0
		.amdhsa_user_sgpr_queue_ptr 0
		.amdhsa_user_sgpr_kernarg_segment_ptr 1
		.amdhsa_user_sgpr_dispatch_id 0
		.amdhsa_user_sgpr_flat_scratch_init 0
		.amdhsa_user_sgpr_kernarg_preload_length 0
		.amdhsa_user_sgpr_kernarg_preload_offset 0
		.amdhsa_user_sgpr_private_segment_size 0
		.amdhsa_uses_dynamic_stack 0
		.amdhsa_system_sgpr_private_segment_wavefront_offset 0
		.amdhsa_system_sgpr_workgroup_id_x 1
		.amdhsa_system_sgpr_workgroup_id_y 0
		.amdhsa_system_sgpr_workgroup_id_z 0
		.amdhsa_system_sgpr_workgroup_info 0
		.amdhsa_system_vgpr_workitem_id 0
		.amdhsa_next_free_vgpr 1
		.amdhsa_next_free_sgpr 0
		.amdhsa_accum_offset 4
		.amdhsa_reserve_vcc 0
		.amdhsa_reserve_flat_scratch 0
		.amdhsa_float_round_mode_32 0
		.amdhsa_float_round_mode_16_64 0
		.amdhsa_float_denorm_mode_32 3
		.amdhsa_float_denorm_mode_16_64 3
		.amdhsa_dx10_clamp 1
		.amdhsa_ieee_mode 1
		.amdhsa_fp16_overflow 0
		.amdhsa_tg_split 0
		.amdhsa_exception_fp_ieee_invalid_op 0
		.amdhsa_exception_fp_denorm_src 0
		.amdhsa_exception_fp_ieee_div_zero 0
		.amdhsa_exception_fp_ieee_overflow 0
		.amdhsa_exception_fp_ieee_underflow 0
		.amdhsa_exception_fp_ieee_inexact 0
		.amdhsa_exception_int_div_zero 0
	.end_amdhsa_kernel
	.section	.text._ZN7rocprim17ROCPRIM_400000_NS6detail17trampoline_kernelINS0_13kernel_configILj256ELj4ELj4294967295EEENS1_37radix_sort_block_sort_config_selectorIcNS0_10empty_typeEEEZNS1_21radix_sort_block_sortIS4_Lb0EPcS9_PS6_SA_NS0_19identity_decomposerEEE10hipError_tT1_T2_T3_T4_jRjT5_jjP12ihipStream_tbEUlT_E_NS1_11comp_targetILNS1_3genE5ELNS1_11target_archE942ELNS1_3gpuE9ELNS1_3repE0EEENS1_44radix_sort_block_sort_config_static_selectorELNS0_4arch9wavefront6targetE1EEEvSD_,"axG",@progbits,_ZN7rocprim17ROCPRIM_400000_NS6detail17trampoline_kernelINS0_13kernel_configILj256ELj4ELj4294967295EEENS1_37radix_sort_block_sort_config_selectorIcNS0_10empty_typeEEEZNS1_21radix_sort_block_sortIS4_Lb0EPcS9_PS6_SA_NS0_19identity_decomposerEEE10hipError_tT1_T2_T3_T4_jRjT5_jjP12ihipStream_tbEUlT_E_NS1_11comp_targetILNS1_3genE5ELNS1_11target_archE942ELNS1_3gpuE9ELNS1_3repE0EEENS1_44radix_sort_block_sort_config_static_selectorELNS0_4arch9wavefront6targetE1EEEvSD_,comdat
.Lfunc_end1:
	.size	_ZN7rocprim17ROCPRIM_400000_NS6detail17trampoline_kernelINS0_13kernel_configILj256ELj4ELj4294967295EEENS1_37radix_sort_block_sort_config_selectorIcNS0_10empty_typeEEEZNS1_21radix_sort_block_sortIS4_Lb0EPcS9_PS6_SA_NS0_19identity_decomposerEEE10hipError_tT1_T2_T3_T4_jRjT5_jjP12ihipStream_tbEUlT_E_NS1_11comp_targetILNS1_3genE5ELNS1_11target_archE942ELNS1_3gpuE9ELNS1_3repE0EEENS1_44radix_sort_block_sort_config_static_selectorELNS0_4arch9wavefront6targetE1EEEvSD_, .Lfunc_end1-_ZN7rocprim17ROCPRIM_400000_NS6detail17trampoline_kernelINS0_13kernel_configILj256ELj4ELj4294967295EEENS1_37radix_sort_block_sort_config_selectorIcNS0_10empty_typeEEEZNS1_21radix_sort_block_sortIS4_Lb0EPcS9_PS6_SA_NS0_19identity_decomposerEEE10hipError_tT1_T2_T3_T4_jRjT5_jjP12ihipStream_tbEUlT_E_NS1_11comp_targetILNS1_3genE5ELNS1_11target_archE942ELNS1_3gpuE9ELNS1_3repE0EEENS1_44radix_sort_block_sort_config_static_selectorELNS0_4arch9wavefront6targetE1EEEvSD_
                                        ; -- End function
	.section	.AMDGPU.csdata,"",@progbits
; Kernel info:
; codeLenInByte = 0
; NumSgprs: 4
; NumVgprs: 0
; NumAgprs: 0
; TotalNumVgprs: 0
; ScratchSize: 0
; MemoryBound: 0
; FloatMode: 240
; IeeeMode: 1
; LDSByteSize: 0 bytes/workgroup (compile time only)
; SGPRBlocks: 0
; VGPRBlocks: 0
; NumSGPRsForWavesPerEU: 4
; NumVGPRsForWavesPerEU: 1
; AccumOffset: 4
; Occupancy: 8
; WaveLimiterHint : 0
; COMPUTE_PGM_RSRC2:SCRATCH_EN: 0
; COMPUTE_PGM_RSRC2:USER_SGPR: 6
; COMPUTE_PGM_RSRC2:TRAP_HANDLER: 0
; COMPUTE_PGM_RSRC2:TGID_X_EN: 1
; COMPUTE_PGM_RSRC2:TGID_Y_EN: 0
; COMPUTE_PGM_RSRC2:TGID_Z_EN: 0
; COMPUTE_PGM_RSRC2:TIDIG_COMP_CNT: 0
; COMPUTE_PGM_RSRC3_GFX90A:ACCUM_OFFSET: 0
; COMPUTE_PGM_RSRC3_GFX90A:TG_SPLIT: 0
	.section	.text._ZN7rocprim17ROCPRIM_400000_NS6detail17trampoline_kernelINS0_13kernel_configILj256ELj4ELj4294967295EEENS1_37radix_sort_block_sort_config_selectorIcNS0_10empty_typeEEEZNS1_21radix_sort_block_sortIS4_Lb0EPcS9_PS6_SA_NS0_19identity_decomposerEEE10hipError_tT1_T2_T3_T4_jRjT5_jjP12ihipStream_tbEUlT_E_NS1_11comp_targetILNS1_3genE4ELNS1_11target_archE910ELNS1_3gpuE8ELNS1_3repE0EEENS1_44radix_sort_block_sort_config_static_selectorELNS0_4arch9wavefront6targetE1EEEvSD_,"axG",@progbits,_ZN7rocprim17ROCPRIM_400000_NS6detail17trampoline_kernelINS0_13kernel_configILj256ELj4ELj4294967295EEENS1_37radix_sort_block_sort_config_selectorIcNS0_10empty_typeEEEZNS1_21radix_sort_block_sortIS4_Lb0EPcS9_PS6_SA_NS0_19identity_decomposerEEE10hipError_tT1_T2_T3_T4_jRjT5_jjP12ihipStream_tbEUlT_E_NS1_11comp_targetILNS1_3genE4ELNS1_11target_archE910ELNS1_3gpuE8ELNS1_3repE0EEENS1_44radix_sort_block_sort_config_static_selectorELNS0_4arch9wavefront6targetE1EEEvSD_,comdat
	.protected	_ZN7rocprim17ROCPRIM_400000_NS6detail17trampoline_kernelINS0_13kernel_configILj256ELj4ELj4294967295EEENS1_37radix_sort_block_sort_config_selectorIcNS0_10empty_typeEEEZNS1_21radix_sort_block_sortIS4_Lb0EPcS9_PS6_SA_NS0_19identity_decomposerEEE10hipError_tT1_T2_T3_T4_jRjT5_jjP12ihipStream_tbEUlT_E_NS1_11comp_targetILNS1_3genE4ELNS1_11target_archE910ELNS1_3gpuE8ELNS1_3repE0EEENS1_44radix_sort_block_sort_config_static_selectorELNS0_4arch9wavefront6targetE1EEEvSD_ ; -- Begin function _ZN7rocprim17ROCPRIM_400000_NS6detail17trampoline_kernelINS0_13kernel_configILj256ELj4ELj4294967295EEENS1_37radix_sort_block_sort_config_selectorIcNS0_10empty_typeEEEZNS1_21radix_sort_block_sortIS4_Lb0EPcS9_PS6_SA_NS0_19identity_decomposerEEE10hipError_tT1_T2_T3_T4_jRjT5_jjP12ihipStream_tbEUlT_E_NS1_11comp_targetILNS1_3genE4ELNS1_11target_archE910ELNS1_3gpuE8ELNS1_3repE0EEENS1_44radix_sort_block_sort_config_static_selectorELNS0_4arch9wavefront6targetE1EEEvSD_
	.globl	_ZN7rocprim17ROCPRIM_400000_NS6detail17trampoline_kernelINS0_13kernel_configILj256ELj4ELj4294967295EEENS1_37radix_sort_block_sort_config_selectorIcNS0_10empty_typeEEEZNS1_21radix_sort_block_sortIS4_Lb0EPcS9_PS6_SA_NS0_19identity_decomposerEEE10hipError_tT1_T2_T3_T4_jRjT5_jjP12ihipStream_tbEUlT_E_NS1_11comp_targetILNS1_3genE4ELNS1_11target_archE910ELNS1_3gpuE8ELNS1_3repE0EEENS1_44radix_sort_block_sort_config_static_selectorELNS0_4arch9wavefront6targetE1EEEvSD_
	.p2align	8
	.type	_ZN7rocprim17ROCPRIM_400000_NS6detail17trampoline_kernelINS0_13kernel_configILj256ELj4ELj4294967295EEENS1_37radix_sort_block_sort_config_selectorIcNS0_10empty_typeEEEZNS1_21radix_sort_block_sortIS4_Lb0EPcS9_PS6_SA_NS0_19identity_decomposerEEE10hipError_tT1_T2_T3_T4_jRjT5_jjP12ihipStream_tbEUlT_E_NS1_11comp_targetILNS1_3genE4ELNS1_11target_archE910ELNS1_3gpuE8ELNS1_3repE0EEENS1_44radix_sort_block_sort_config_static_selectorELNS0_4arch9wavefront6targetE1EEEvSD_,@function
_ZN7rocprim17ROCPRIM_400000_NS6detail17trampoline_kernelINS0_13kernel_configILj256ELj4ELj4294967295EEENS1_37radix_sort_block_sort_config_selectorIcNS0_10empty_typeEEEZNS1_21radix_sort_block_sortIS4_Lb0EPcS9_PS6_SA_NS0_19identity_decomposerEEE10hipError_tT1_T2_T3_T4_jRjT5_jjP12ihipStream_tbEUlT_E_NS1_11comp_targetILNS1_3genE4ELNS1_11target_archE910ELNS1_3gpuE8ELNS1_3repE0EEENS1_44radix_sort_block_sort_config_static_selectorELNS0_4arch9wavefront6targetE1EEEvSD_: ; @_ZN7rocprim17ROCPRIM_400000_NS6detail17trampoline_kernelINS0_13kernel_configILj256ELj4ELj4294967295EEENS1_37radix_sort_block_sort_config_selectorIcNS0_10empty_typeEEEZNS1_21radix_sort_block_sortIS4_Lb0EPcS9_PS6_SA_NS0_19identity_decomposerEEE10hipError_tT1_T2_T3_T4_jRjT5_jjP12ihipStream_tbEUlT_E_NS1_11comp_targetILNS1_3genE4ELNS1_11target_archE910ELNS1_3gpuE8ELNS1_3repE0EEENS1_44radix_sort_block_sort_config_static_selectorELNS0_4arch9wavefront6targetE1EEEvSD_
; %bb.0:
	s_load_dword s2, s[4:5], 0x20
	s_load_dwordx4 s[28:31], s[4:5], 0x0
	s_lshl_b32 s36, s6, 10
	v_mbcnt_lo_u32_b32 v1, -1, 0
	v_mbcnt_hi_u32_b32 v1, -1, v1
	s_waitcnt lgkmcnt(0)
	s_lshr_b32 s0, s2, 10
	s_cmp_lg_u32 s6, s0
	s_cselect_b64 s[34:35], -1, 0
	s_add_u32 s1, s28, s36
	v_and_b32_e32 v4, 0x3ff, v0
	s_addc_u32 s3, s29, 0
	v_and_b32_e32 v5, 63, v1
	v_lshlrev_b32_e32 v6, 2, v4
	v_mov_b32_e32 v2, s3
	v_add_co_u32_e32 v3, vcc, s1, v5
	v_and_b32_e32 v12, 0x300, v6
	v_addc_co_u32_e32 v7, vcc, 0, v2, vcc
	v_add_co_u32_e32 v2, vcc, v3, v12
	s_cmp_eq_u32 s6, s0
	v_addc_co_u32_e32 v3, vcc, 0, v7, vcc
	v_or_b32_e32 v11, v5, v12
	s_cbranch_scc1 .LBB2_2
; %bb.1:
	global_load_ubyte v8, v[2:3], off offset:192
	global_load_ubyte v10, v[2:3], off offset:128
	global_load_ubyte v9, v[2:3], off offset:64
	global_load_ubyte v7, v[2:3], off
	v_or_b32_e32 v14, v5, v12
	v_or_b32_e32 v5, 64, v14
	;; [unrolled: 1-line block ×4, first 2 shown]
	s_load_dwordx2 s[28:29], s[4:5], 0x28
	s_sub_i32 s33, s2, s36
	s_cbranch_execz .LBB2_3
	s_branch .LBB2_12
.LBB2_2:
                                        ; implicit-def: $vgpr7
                                        ; implicit-def: $vgpr9
                                        ; implicit-def: $vgpr10
                                        ; implicit-def: $vgpr8
                                        ; implicit-def: $vgpr14
                                        ; implicit-def: $vgpr5
                                        ; implicit-def: $vgpr12
                                        ; implicit-def: $vgpr13
	s_load_dwordx2 s[28:29], s[4:5], 0x28
	s_sub_i32 s33, s2, s36
.LBB2_3:
	v_cmp_gt_u32_e32 vcc, s33, v11
	s_waitcnt vmcnt(0)
	v_mov_b32_e32 v7, 0x7f
	v_mov_b32_e32 v8, 0x7f
	;; [unrolled: 1-line block ×4, first 2 shown]
	s_and_saveexec_b64 s[0:1], vcc
	s_cbranch_execz .LBB2_5
; %bb.4:
	global_load_ubyte v7, v[2:3], off
	v_mov_b32_e32 v9, 0x7f
	v_mov_b32_e32 v10, 0x7f
	;; [unrolled: 1-line block ×3, first 2 shown]
.LBB2_5:
	s_or_b64 exec, exec, s[0:1]
	v_or_b32_e32 v5, 64, v11
	v_cmp_gt_u32_e32 vcc, s33, v5
	s_and_saveexec_b64 s[0:1], vcc
	s_cbranch_execz .LBB2_7
; %bb.6:
	global_load_ubyte v9, v[2:3], off offset:64
.LBB2_7:
	s_or_b64 exec, exec, s[0:1]
	v_or_b32_e32 v12, 0x80, v11
	v_cmp_gt_u32_e32 vcc, s33, v12
	s_and_saveexec_b64 s[0:1], vcc
	s_cbranch_execz .LBB2_9
; %bb.8:
	global_load_ubyte v10, v[2:3], off offset:128
.LBB2_9:
	s_or_b64 exec, exec, s[0:1]
	v_or_b32_e32 v13, 0xc0, v11
	v_cmp_gt_u32_e32 vcc, s33, v13
	s_and_saveexec_b64 s[0:1], vcc
	s_cbranch_execz .LBB2_11
; %bb.10:
	global_load_ubyte v8, v[2:3], off offset:192
.LBB2_11:
	s_or_b64 exec, exec, s[0:1]
	v_mov_b32_e32 v14, v11
.LBB2_12:
	s_load_dword s2, s[4:5], 0x3c
	s_movk_i32 s0, 0x80
	s_waitcnt lgkmcnt(0)
	s_add_i32 s37, s29, s28
	s_waitcnt vmcnt(0)
	v_xor_b32_e32 v2, 0x80, v7
	v_xor_b32_sdwa v3, v9, s0 dst_sel:BYTE_1 dst_unused:UNUSED_PAD src0_sel:DWORD src1_sel:DWORD
	v_xor_b32_e32 v7, 0x80, v10
	v_xor_b32_sdwa v8, v8, s0 dst_sel:BYTE_1 dst_unused:UNUSED_PAD src0_sel:DWORD src1_sel:DWORD
	v_or_b32_sdwa v2, v2, v3 dst_sel:DWORD dst_unused:UNUSED_PAD src0_sel:BYTE_0 src1_sel:DWORD
	v_or_b32_sdwa v3, v7, v8 dst_sel:WORD_1 dst_unused:UNUSED_PAD src0_sel:BYTE_0 src1_sel:DWORD
	s_getpc_b64 s[0:1]
	s_add_u32 s0, s0, _ZN7rocprim17ROCPRIM_400000_NS16block_radix_sortIcLj256ELj4ENS0_10empty_typeELj1ELj1ELj0ELNS0_26block_radix_rank_algorithmE1ELNS0_18block_padding_hintE2ELNS0_4arch9wavefront6targetE1EE19radix_bits_per_passE@rel32@lo+4
	s_addc_u32 s1, s1, _ZN7rocprim17ROCPRIM_400000_NS16block_radix_sortIcLj256ELj4ENS0_10empty_typeELj1ELj1ELj0ELNS0_26block_radix_rank_algorithmE1ELNS0_18block_padding_hintE2ELNS0_4arch9wavefront6targetE1EE19radix_bits_per_passE@rel32@hi+12
	v_or_b32_sdwa v17, v2, v3 dst_sel:DWORD dst_unused:UNUSED_PAD src0_sel:WORD_0 src1_sel:DWORD
	s_load_dword s38, s[0:1], 0x0
	s_lshr_b32 s0, s2, 16
	v_bfe_u32 v2, v0, 10, 10
	v_bfe_u32 v0, v0, 20, 10
	s_and_b32 s1, s2, 0xffff
	v_mad_u32_u24 v0, v0, s0, v2
	v_mad_u64_u32 v[2:3], s[0:1], v0, s1, v[4:5]
	v_and_b32_e32 v0, 15, v1
	v_cmp_eq_u32_e64 s[0:1], 0, v0
	v_cmp_lt_u32_e64 s[2:3], 1, v0
	v_cmp_lt_u32_e64 s[4:5], 3, v0
	;; [unrolled: 1-line block ×3, first 2 shown]
	v_and_b32_e32 v0, 16, v1
	v_cmp_eq_u32_e64 s[8:9], 0, v0
	v_and_b32_e32 v0, 0x3c0, v4
	v_min_u32_e32 v0, 0xc0, v0
	v_or_b32_e32 v0, 63, v0
	v_lshrrev_b32_e32 v16, 6, v2
	v_cmp_eq_u32_e64 s[12:13], v0, v4
	v_add_u32_e32 v0, -1, v1
	v_and_b32_e32 v2, 64, v1
	v_cmp_lt_i32_e32 vcc, v0, v2
	v_cndmask_b32_e32 v0, v0, v1, vcc
	s_mov_b32 s26, 0
	v_lshlrev_b32_e32 v18, 2, v0
	v_lshrrev_b32_e32 v0, 4, v4
	v_lshlrev_b32_e32 v15, 2, v6
	v_cmp_lt_u32_e64 s[10:11], 31, v1
	v_cmp_eq_u32_e64 s[18:19], 0, v1
	v_and_b32_e32 v19, 60, v0
	v_mul_i32_i24_e32 v0, -12, v4
	v_and_b32_e32 v1, 3, v1
	s_mov_b32 s27, s26
	s_mov_b32 s40, s26
	;; [unrolled: 1-line block ×3, first 2 shown]
	v_cmp_gt_u32_e64 s[14:15], 4, v4
	v_cmp_lt_u32_e64 s[16:17], 63, v4
	v_cmp_eq_u32_e64 s[20:21], 0, v4
	v_cmp_eq_u32_e64 s[22:23], 0, v1
	v_cmp_lt_u32_e64 s[24:25], 1, v1
	v_add_u32_e32 v20, -4, v19
	v_pk_mov_b32 v[6:7], s[26:27], s[26:27] op_sel:[0,1]
	v_pk_mov_b32 v[8:9], s[40:41], s[40:41] op_sel:[0,1]
	v_add_u32_e32 v21, v15, v0
	v_mov_b32_e32 v10, 0
	s_branch .LBB2_14
.LBB2_13:                               ;   in Loop: Header=BB2_14 Depth=1
	v_add_u32_e32 v26, v22, v23
	s_barrier
	ds_write_b8 v26, v17
	v_add_u32_e32 v17, v25, v2
	ds_write_b8 v17, v33
	v_add_u32_e32 v17, v24, v1
	;; [unrolled: 2-line block ×3, first 2 shown]
	ds_write_b8 v17, v29
	s_waitcnt lgkmcnt(0)
	s_barrier
	ds_read_u8 v17, v5
	ds_read_u8 v26, v14
	;; [unrolled: 1-line block ×4, first 2 shown]
	s_add_i32 s29, s29, -8
	s_waitcnt lgkmcnt(3)
	v_lshlrev_b16_e32 v17, 8, v17
	s_waitcnt lgkmcnt(2)
	v_or_b32_e32 v17, v26, v17
	s_waitcnt lgkmcnt(1)
	v_lshlrev_b16_e32 v26, 8, v27
	s_waitcnt lgkmcnt(0)
	v_or_b32_sdwa v26, v28, v26 dst_sel:WORD_1 dst_unused:UNUSED_PAD src0_sel:DWORD src1_sel:DWORD
	v_or_b32_sdwa v17, v17, v26 dst_sel:DWORD dst_unused:UNUSED_PAD src0_sel:WORD_0 src1_sel:DWORD
	s_barrier
	s_cbranch_execz .LBB2_30
.LBB2_14:                               ; =>This Inner Loop Header: Depth=1
	s_waitcnt lgkmcnt(0)
	s_min_u32 s26, s38, s29
	s_lshl_b32 s26, -1, s26
	s_not_b32 s39, s26
	v_lshrrev_b32_sdwa v0, s28, v17 dst_sel:DWORD dst_unused:UNUSED_PAD src0_sel:DWORD src1_sel:BYTE_0
	v_and_b32_e32 v0, s39, v0
	v_lshl_add_u32 v1, v0, 2, v16
	v_lshl_add_u32 v22, v1, 2, 16
	v_and_b32_e32 v1, 1, v0
	v_add_co_u32_e32 v2, vcc, -1, v1
	v_addc_co_u32_e64 v3, s[26:27], 0, -1, vcc
	v_cmp_ne_u32_e32 vcc, 0, v1
	v_lshlrev_b32_e32 v11, 30, v0
	v_xor_b32_e32 v1, vcc_hi, v3
	v_not_b32_e32 v3, v11
	v_xor_b32_e32 v2, vcc_lo, v2
	v_cmp_gt_i64_e32 vcc, 0, v[10:11]
	v_ashrrev_i32_e32 v3, 31, v3
	v_and_b32_e32 v1, exec_hi, v1
	v_xor_b32_e32 v11, vcc_hi, v3
	v_and_b32_e32 v2, exec_lo, v2
	v_xor_b32_e32 v3, vcc_lo, v3
	v_and_b32_e32 v1, v1, v11
	v_lshlrev_b32_e32 v11, 29, v0
	v_and_b32_e32 v2, v2, v3
	v_not_b32_e32 v3, v11
	v_cmp_gt_i64_e32 vcc, 0, v[10:11]
	v_ashrrev_i32_e32 v3, 31, v3
	v_xor_b32_e32 v11, vcc_hi, v3
	v_xor_b32_e32 v3, vcc_lo, v3
	v_and_b32_e32 v1, v1, v11
	v_lshlrev_b32_e32 v11, 28, v0
	v_and_b32_e32 v2, v2, v3
	v_not_b32_e32 v3, v11
	v_cmp_gt_i64_e32 vcc, 0, v[10:11]
	v_ashrrev_i32_e32 v3, 31, v3
	v_xor_b32_e32 v11, vcc_hi, v3
	;; [unrolled: 8-line block ×5, first 2 shown]
	v_and_b32_e32 v1, v1, v11
	v_lshlrev_b32_e32 v11, 24, v0
	v_not_b32_e32 v0, v11
	v_xor_b32_e32 v3, vcc_lo, v3
	v_cmp_gt_i64_e32 vcc, 0, v[10:11]
	v_ashrrev_i32_e32 v0, 31, v0
	v_and_b32_e32 v2, v2, v3
	v_xor_b32_e32 v3, vcc_hi, v0
	v_xor_b32_e32 v0, vcc_lo, v0
	v_and_b32_e32 v0, v2, v0
	v_and_b32_e32 v1, v1, v3
	v_mbcnt_lo_u32_b32 v2, v0, 0
	v_mbcnt_hi_u32_b32 v23, v1, v2
	v_cmp_eq_u32_e32 vcc, 0, v23
	v_cmp_ne_u64_e64 s[26:27], 0, v[0:1]
	s_and_b64 s[40:41], s[26:27], vcc
	ds_write2_b64 v15, v[6:7], v[8:9] offset0:2 offset1:3
	s_waitcnt lgkmcnt(0)
	s_barrier
	s_waitcnt lgkmcnt(0)
	; wave barrier
	s_and_saveexec_b64 s[26:27], s[40:41]
	s_cbranch_execz .LBB2_16
; %bb.15:                               ;   in Loop: Header=BB2_14 Depth=1
	v_bcnt_u32_b32 v0, v0, 0
	v_bcnt_u32_b32 v0, v1, v0
	ds_write_b32 v22, v0
.LBB2_16:                               ;   in Loop: Header=BB2_14 Depth=1
	s_or_b64 exec, exec, s[26:27]
	v_lshrrev_b32_sdwa v0, s28, v17 dst_sel:DWORD dst_unused:UNUSED_PAD src0_sel:DWORD src1_sel:BYTE_1
	v_and_b32_e32 v0, s39, v0
	v_lshlrev_b32_e32 v1, 2, v0
	v_add_lshl_u32 v1, v1, v16, 2
	; wave barrier
	v_add_u32_e32 v25, 16, v1
	ds_read_b32 v24, v1 offset:16
	v_and_b32_e32 v1, 1, v0
	v_add_co_u32_e32 v2, vcc, -1, v1
	v_addc_co_u32_e64 v3, s[26:27], 0, -1, vcc
	v_cmp_ne_u32_e32 vcc, 0, v1
	v_lshlrev_b32_e32 v11, 30, v0
	v_xor_b32_e32 v1, vcc_hi, v3
	v_not_b32_e32 v3, v11
	v_xor_b32_e32 v2, vcc_lo, v2
	v_cmp_gt_i64_e32 vcc, 0, v[10:11]
	v_ashrrev_i32_e32 v3, 31, v3
	v_and_b32_e32 v1, exec_hi, v1
	v_xor_b32_e32 v11, vcc_hi, v3
	v_and_b32_e32 v2, exec_lo, v2
	v_xor_b32_e32 v3, vcc_lo, v3
	v_and_b32_e32 v1, v1, v11
	v_lshlrev_b32_e32 v11, 29, v0
	v_and_b32_e32 v2, v2, v3
	v_not_b32_e32 v3, v11
	v_cmp_gt_i64_e32 vcc, 0, v[10:11]
	v_ashrrev_i32_e32 v3, 31, v3
	v_xor_b32_e32 v11, vcc_hi, v3
	v_xor_b32_e32 v3, vcc_lo, v3
	v_and_b32_e32 v1, v1, v11
	v_lshlrev_b32_e32 v11, 28, v0
	v_and_b32_e32 v2, v2, v3
	v_not_b32_e32 v3, v11
	v_cmp_gt_i64_e32 vcc, 0, v[10:11]
	v_ashrrev_i32_e32 v3, 31, v3
	v_xor_b32_e32 v11, vcc_hi, v3
	;; [unrolled: 8-line block ×5, first 2 shown]
	v_and_b32_e32 v1, v1, v11
	v_lshlrev_b32_e32 v11, 24, v0
	v_not_b32_e32 v0, v11
	v_xor_b32_e32 v3, vcc_lo, v3
	v_cmp_gt_i64_e32 vcc, 0, v[10:11]
	v_ashrrev_i32_e32 v0, 31, v0
	v_and_b32_e32 v2, v2, v3
	v_xor_b32_e32 v3, vcc_hi, v0
	v_xor_b32_e32 v0, vcc_lo, v0
	v_and_b32_e32 v0, v2, v0
	v_and_b32_e32 v1, v1, v3
	v_mbcnt_lo_u32_b32 v2, v0, 0
	v_mbcnt_hi_u32_b32 v26, v1, v2
	v_cmp_eq_u32_e32 vcc, 0, v26
	v_cmp_ne_u64_e64 s[26:27], 0, v[0:1]
	s_and_b64 s[40:41], s[26:27], vcc
	; wave barrier
	s_and_saveexec_b64 s[26:27], s[40:41]
	s_cbranch_execz .LBB2_18
; %bb.17:                               ;   in Loop: Header=BB2_14 Depth=1
	v_bcnt_u32_b32 v0, v0, 0
	v_bcnt_u32_b32 v0, v1, v0
	s_waitcnt lgkmcnt(0)
	v_add_u32_e32 v0, v24, v0
	ds_write_b32 v25, v0
.LBB2_18:                               ;   in Loop: Header=BB2_14 Depth=1
	s_or_b64 exec, exec, s[26:27]
	v_lshrrev_b32_sdwa v0, s28, v17 dst_sel:DWORD dst_unused:UNUSED_PAD src0_sel:DWORD src1_sel:BYTE_2
	v_and_b32_e32 v0, s39, v0
	v_lshlrev_b32_e32 v1, 2, v0
	v_add_lshl_u32 v1, v1, v16, 2
	; wave barrier
	v_add_u32_e32 v28, 16, v1
	ds_read_b32 v27, v1 offset:16
	v_and_b32_e32 v1, 1, v0
	v_add_co_u32_e32 v2, vcc, -1, v1
	v_addc_co_u32_e64 v3, s[26:27], 0, -1, vcc
	v_cmp_ne_u32_e32 vcc, 0, v1
	v_lshlrev_b32_e32 v11, 30, v0
	v_xor_b32_e32 v1, vcc_hi, v3
	v_not_b32_e32 v3, v11
	v_xor_b32_e32 v2, vcc_lo, v2
	v_cmp_gt_i64_e32 vcc, 0, v[10:11]
	v_ashrrev_i32_e32 v3, 31, v3
	v_and_b32_e32 v1, exec_hi, v1
	v_xor_b32_e32 v11, vcc_hi, v3
	v_and_b32_e32 v2, exec_lo, v2
	v_xor_b32_e32 v3, vcc_lo, v3
	v_and_b32_e32 v1, v1, v11
	v_lshlrev_b32_e32 v11, 29, v0
	v_and_b32_e32 v2, v2, v3
	v_not_b32_e32 v3, v11
	v_cmp_gt_i64_e32 vcc, 0, v[10:11]
	v_ashrrev_i32_e32 v3, 31, v3
	v_xor_b32_e32 v11, vcc_hi, v3
	v_xor_b32_e32 v3, vcc_lo, v3
	v_and_b32_e32 v1, v1, v11
	v_lshlrev_b32_e32 v11, 28, v0
	v_and_b32_e32 v2, v2, v3
	v_not_b32_e32 v3, v11
	v_cmp_gt_i64_e32 vcc, 0, v[10:11]
	v_ashrrev_i32_e32 v3, 31, v3
	v_xor_b32_e32 v11, vcc_hi, v3
	v_xor_b32_e32 v3, vcc_lo, v3
	v_and_b32_e32 v1, v1, v11
	v_lshlrev_b32_e32 v11, 27, v0
	v_and_b32_e32 v2, v2, v3
	v_not_b32_e32 v3, v11
	v_cmp_gt_i64_e32 vcc, 0, v[10:11]
	v_ashrrev_i32_e32 v3, 31, v3
	v_xor_b32_e32 v11, vcc_hi, v3
	v_xor_b32_e32 v3, vcc_lo, v3
	v_and_b32_e32 v1, v1, v11
	v_lshlrev_b32_e32 v11, 26, v0
	v_and_b32_e32 v2, v2, v3
	v_not_b32_e32 v3, v11
	v_cmp_gt_i64_e32 vcc, 0, v[10:11]
	v_ashrrev_i32_e32 v3, 31, v3
	v_xor_b32_e32 v11, vcc_hi, v3
	v_xor_b32_e32 v3, vcc_lo, v3
	v_and_b32_e32 v1, v1, v11
	v_lshlrev_b32_e32 v11, 25, v0
	v_and_b32_e32 v2, v2, v3
	v_not_b32_e32 v3, v11
	v_cmp_gt_i64_e32 vcc, 0, v[10:11]
	v_ashrrev_i32_e32 v3, 31, v3
	v_xor_b32_e32 v11, vcc_hi, v3
	v_and_b32_e32 v1, v1, v11
	v_lshlrev_b32_e32 v11, 24, v0
	v_not_b32_e32 v0, v11
	v_xor_b32_e32 v3, vcc_lo, v3
	v_cmp_gt_i64_e32 vcc, 0, v[10:11]
	v_ashrrev_i32_e32 v0, 31, v0
	v_and_b32_e32 v2, v2, v3
	v_xor_b32_e32 v3, vcc_hi, v0
	v_xor_b32_e32 v0, vcc_lo, v0
	v_and_b32_e32 v0, v2, v0
	v_and_b32_e32 v1, v1, v3
	v_mbcnt_lo_u32_b32 v2, v0, 0
	v_mbcnt_hi_u32_b32 v30, v1, v2
	v_cmp_eq_u32_e32 vcc, 0, v30
	v_cmp_ne_u64_e64 s[26:27], 0, v[0:1]
	s_and_b64 s[40:41], s[26:27], vcc
	; wave barrier
	s_and_saveexec_b64 s[26:27], s[40:41]
	s_cbranch_execz .LBB2_20
; %bb.19:                               ;   in Loop: Header=BB2_14 Depth=1
	v_bcnt_u32_b32 v0, v0, 0
	v_bcnt_u32_b32 v0, v1, v0
	s_waitcnt lgkmcnt(0)
	v_add_u32_e32 v0, v27, v0
	ds_write_b32 v28, v0
.LBB2_20:                               ;   in Loop: Header=BB2_14 Depth=1
	s_or_b64 exec, exec, s[26:27]
	v_lshrrev_b32_e32 v29, 24, v17
	v_lshrrev_b32_e32 v0, s28, v29
	v_and_b32_e32 v0, s39, v0
	v_lshlrev_b32_e32 v1, 2, v0
	v_add_lshl_u32 v1, v1, v16, 2
	; wave barrier
	v_add_u32_e32 v32, 16, v1
	ds_read_b32 v31, v1 offset:16
	v_and_b32_e32 v1, 1, v0
	v_add_co_u32_e32 v2, vcc, -1, v1
	v_addc_co_u32_e64 v3, s[26:27], 0, -1, vcc
	v_cmp_ne_u32_e32 vcc, 0, v1
	v_lshlrev_b32_e32 v11, 30, v0
	v_xor_b32_e32 v1, vcc_hi, v3
	v_not_b32_e32 v3, v11
	v_xor_b32_e32 v2, vcc_lo, v2
	v_cmp_gt_i64_e32 vcc, 0, v[10:11]
	v_ashrrev_i32_e32 v3, 31, v3
	v_and_b32_e32 v1, exec_hi, v1
	v_xor_b32_e32 v11, vcc_hi, v3
	v_and_b32_e32 v2, exec_lo, v2
	v_xor_b32_e32 v3, vcc_lo, v3
	v_and_b32_e32 v1, v1, v11
	v_lshlrev_b32_e32 v11, 29, v0
	v_and_b32_e32 v2, v2, v3
	v_not_b32_e32 v3, v11
	v_cmp_gt_i64_e32 vcc, 0, v[10:11]
	v_ashrrev_i32_e32 v3, 31, v3
	v_xor_b32_e32 v11, vcc_hi, v3
	v_xor_b32_e32 v3, vcc_lo, v3
	v_and_b32_e32 v1, v1, v11
	v_lshlrev_b32_e32 v11, 28, v0
	v_and_b32_e32 v2, v2, v3
	v_not_b32_e32 v3, v11
	v_cmp_gt_i64_e32 vcc, 0, v[10:11]
	v_ashrrev_i32_e32 v3, 31, v3
	v_xor_b32_e32 v11, vcc_hi, v3
	;; [unrolled: 8-line block ×5, first 2 shown]
	v_and_b32_e32 v1, v1, v11
	v_lshlrev_b32_e32 v11, 24, v0
	v_not_b32_e32 v0, v11
	v_xor_b32_e32 v3, vcc_lo, v3
	v_cmp_gt_i64_e32 vcc, 0, v[10:11]
	v_ashrrev_i32_e32 v0, 31, v0
	v_and_b32_e32 v2, v2, v3
	v_xor_b32_e32 v3, vcc_hi, v0
	v_xor_b32_e32 v0, vcc_lo, v0
	v_and_b32_e32 v0, v2, v0
	v_and_b32_e32 v1, v1, v3
	v_mbcnt_lo_u32_b32 v2, v0, 0
	v_mbcnt_hi_u32_b32 v11, v1, v2
	v_cmp_eq_u32_e32 vcc, 0, v11
	v_cmp_ne_u64_e64 s[26:27], 0, v[0:1]
	s_and_b64 s[40:41], s[26:27], vcc
	; wave barrier
	s_and_saveexec_b64 s[26:27], s[40:41]
	s_cbranch_execz .LBB2_22
; %bb.21:                               ;   in Loop: Header=BB2_14 Depth=1
	v_bcnt_u32_b32 v0, v0, 0
	v_bcnt_u32_b32 v0, v1, v0
	s_waitcnt lgkmcnt(0)
	v_add_u32_e32 v0, v31, v0
	ds_write_b32 v32, v0
.LBB2_22:                               ;   in Loop: Header=BB2_14 Depth=1
	s_or_b64 exec, exec, s[26:27]
	; wave barrier
	s_waitcnt lgkmcnt(0)
	s_barrier
	ds_read2_b64 v[0:3], v15 offset0:2 offset1:3
	s_waitcnt lgkmcnt(0)
	v_add_u32_e32 v33, v1, v0
	v_add3_u32 v3, v33, v2, v3
	s_nop 1
	v_mov_b32_dpp v33, v3 row_shr:1 row_mask:0xf bank_mask:0xf
	v_cndmask_b32_e64 v33, v33, 0, s[0:1]
	v_add_u32_e32 v3, v33, v3
	s_nop 1
	v_mov_b32_dpp v33, v3 row_shr:2 row_mask:0xf bank_mask:0xf
	v_cndmask_b32_e64 v33, 0, v33, s[2:3]
	v_add_u32_e32 v3, v3, v33
	;; [unrolled: 4-line block ×4, first 2 shown]
	s_nop 1
	v_mov_b32_dpp v33, v3 row_bcast:15 row_mask:0xf bank_mask:0xf
	v_cndmask_b32_e64 v33, v33, 0, s[8:9]
	v_add_u32_e32 v3, v3, v33
	s_nop 1
	v_mov_b32_dpp v33, v3 row_bcast:31 row_mask:0xf bank_mask:0xf
	v_cndmask_b32_e64 v33, 0, v33, s[10:11]
	v_add_u32_e32 v3, v3, v33
	s_and_saveexec_b64 s[26:27], s[12:13]
	s_cbranch_execz .LBB2_24
; %bb.23:                               ;   in Loop: Header=BB2_14 Depth=1
	ds_write_b32 v19, v3
.LBB2_24:                               ;   in Loop: Header=BB2_14 Depth=1
	s_or_b64 exec, exec, s[26:27]
	s_waitcnt lgkmcnt(0)
	s_barrier
	s_and_saveexec_b64 s[26:27], s[14:15]
	s_cbranch_execz .LBB2_26
; %bb.25:                               ;   in Loop: Header=BB2_14 Depth=1
	ds_read_b32 v33, v21
	s_waitcnt lgkmcnt(0)
	s_nop 0
	v_mov_b32_dpp v34, v33 row_shr:1 row_mask:0xf bank_mask:0xf
	v_cndmask_b32_e64 v34, v34, 0, s[22:23]
	v_add_u32_e32 v33, v34, v33
	s_nop 1
	v_mov_b32_dpp v34, v33 row_shr:2 row_mask:0xf bank_mask:0xf
	v_cndmask_b32_e64 v34, 0, v34, s[24:25]
	v_add_u32_e32 v33, v33, v34
	ds_write_b32 v21, v33
.LBB2_26:                               ;   in Loop: Header=BB2_14 Depth=1
	s_or_b64 exec, exec, s[26:27]
	v_mov_b32_e32 v35, 0
	s_waitcnt lgkmcnt(0)
	s_barrier
	s_and_saveexec_b64 s[26:27], s[16:17]
	s_cbranch_execz .LBB2_28
; %bb.27:                               ;   in Loop: Header=BB2_14 Depth=1
	ds_read_b32 v35, v20
.LBB2_28:                               ;   in Loop: Header=BB2_14 Depth=1
	s_or_b64 exec, exec, s[26:27]
	s_waitcnt lgkmcnt(0)
	v_add_u32_e32 v3, v35, v3
	ds_bpermute_b32 v36, v18, v3
	s_add_i32 s28, s28, 8
	v_mov_b32_e32 v34, v17
	v_lshrrev_b32_e32 v33, 8, v17
	v_lshrrev_b32_e32 v3, 16, v17
	s_waitcnt lgkmcnt(0)
	v_cndmask_b32_e64 v35, v36, v35, s[18:19]
	v_cndmask_b32_e64 v36, v35, 0, s[20:21]
	v_add_u32_e32 v37, v36, v0
	v_add_u32_e32 v0, v37, v1
	;; [unrolled: 1-line block ×3, first 2 shown]
	ds_write2_b64 v15, v[36:37], v[0:1] offset0:2 offset1:3
	s_waitcnt lgkmcnt(0)
	s_barrier
	ds_read_b32 v22, v22
	ds_read_b32 v2, v25
	;; [unrolled: 1-line block ×4, first 2 shown]
	s_cmp_ge_u32 s28, s37
	v_add_u32_e32 v25, v26, v24
	v_add_u32_e32 v24, v30, v27
	;; [unrolled: 1-line block ×3, first 2 shown]
	s_waitcnt lgkmcnt(0)
	s_cbranch_scc0 .LBB2_13
; %bb.29:
                                        ; implicit-def: $sgpr28
                                        ; implicit-def: $vgpr17
.LBB2_30:
	v_add_u32_e32 v5, v22, v23
	v_add_u32_e32 v2, v25, v2
	;; [unrolled: 1-line block ×4, first 2 shown]
	s_barrier
	ds_write_b8 v5, v34
	ds_write_b8 v2, v33
	;; [unrolled: 1-line block ×4, first 2 shown]
	s_waitcnt lgkmcnt(0)
	s_barrier
	ds_read_u8 v0, v4
	ds_read_u8 v1, v4 offset:256
	ds_read_u8 v3, v4 offset:512
	;; [unrolled: 1-line block ×3, first 2 shown]
	s_add_u32 s0, s30, s36
	s_addc_u32 s1, s31, 0
	s_waitcnt lgkmcnt(3)
	v_xor_b32_e32 v6, 0xffffff80, v0
	s_waitcnt lgkmcnt(2)
	v_xor_b32_e32 v5, 0xffffff80, v1
	v_mov_b32_e32 v1, s1
	v_add_co_u32_e64 v0, s[0:1], s0, v4
	s_waitcnt lgkmcnt(1)
	v_xor_b32_e32 v3, 0xffffff80, v3
	s_andn2_b64 vcc, exec, s[34:35]
	v_addc_co_u32_e64 v1, s[0:1], 0, v1, s[0:1]
	s_cbranch_vccnz .LBB2_32
; %bb.31:
	s_mov_b64 s[0:1], -1
	global_store_byte v[0:1], v6, off
	global_store_byte v[0:1], v5, off offset:256
	global_store_byte v[0:1], v3, off offset:512
	s_cbranch_execz .LBB2_33
	s_branch .LBB2_40
.LBB2_32:
	s_mov_b64 s[0:1], 0
.LBB2_33:
	v_cmp_gt_u32_e32 vcc, s33, v4
	s_and_saveexec_b64 s[0:1], vcc
	s_cbranch_execz .LBB2_35
; %bb.34:
	global_store_byte v[0:1], v6, off
.LBB2_35:
	s_or_b64 exec, exec, s[0:1]
	v_add_u32_e32 v6, 0x100, v4
	v_cmp_gt_u32_e32 vcc, s33, v6
	s_and_saveexec_b64 s[0:1], vcc
	s_cbranch_execz .LBB2_37
; %bb.36:
	global_store_byte v[0:1], v5, off offset:256
.LBB2_37:
	s_or_b64 exec, exec, s[0:1]
	v_add_u32_e32 v5, 0x200, v4
	v_cmp_gt_u32_e32 vcc, s33, v5
	s_and_saveexec_b64 s[0:1], vcc
	s_cbranch_execz .LBB2_39
; %bb.38:
	global_store_byte v[0:1], v3, off offset:512
.LBB2_39:
	s_or_b64 exec, exec, s[0:1]
	v_add_u32_e32 v3, 0x300, v4
	v_cmp_gt_u32_e64 s[0:1], s33, v3
.LBB2_40:
	s_and_saveexec_b64 s[2:3], s[0:1]
	s_cbranch_execnz .LBB2_42
; %bb.41:
	s_endpgm
.LBB2_42:
	s_waitcnt lgkmcnt(0)
	v_xor_b32_e32 v2, 0x80, v2
	global_store_byte v[0:1], v2, off offset:768
	s_endpgm
	.section	.rodata,"a",@progbits
	.p2align	6, 0x0
	.amdhsa_kernel _ZN7rocprim17ROCPRIM_400000_NS6detail17trampoline_kernelINS0_13kernel_configILj256ELj4ELj4294967295EEENS1_37radix_sort_block_sort_config_selectorIcNS0_10empty_typeEEEZNS1_21radix_sort_block_sortIS4_Lb0EPcS9_PS6_SA_NS0_19identity_decomposerEEE10hipError_tT1_T2_T3_T4_jRjT5_jjP12ihipStream_tbEUlT_E_NS1_11comp_targetILNS1_3genE4ELNS1_11target_archE910ELNS1_3gpuE8ELNS1_3repE0EEENS1_44radix_sort_block_sort_config_static_selectorELNS0_4arch9wavefront6targetE1EEEvSD_
		.amdhsa_group_segment_fixed_size 4112
		.amdhsa_private_segment_fixed_size 0
		.amdhsa_kernarg_size 304
		.amdhsa_user_sgpr_count 6
		.amdhsa_user_sgpr_private_segment_buffer 1
		.amdhsa_user_sgpr_dispatch_ptr 0
		.amdhsa_user_sgpr_queue_ptr 0
		.amdhsa_user_sgpr_kernarg_segment_ptr 1
		.amdhsa_user_sgpr_dispatch_id 0
		.amdhsa_user_sgpr_flat_scratch_init 0
		.amdhsa_user_sgpr_kernarg_preload_length 0
		.amdhsa_user_sgpr_kernarg_preload_offset 0
		.amdhsa_user_sgpr_private_segment_size 0
		.amdhsa_uses_dynamic_stack 0
		.amdhsa_system_sgpr_private_segment_wavefront_offset 0
		.amdhsa_system_sgpr_workgroup_id_x 1
		.amdhsa_system_sgpr_workgroup_id_y 0
		.amdhsa_system_sgpr_workgroup_id_z 0
		.amdhsa_system_sgpr_workgroup_info 0
		.amdhsa_system_vgpr_workitem_id 2
		.amdhsa_next_free_vgpr 38
		.amdhsa_next_free_sgpr 42
		.amdhsa_accum_offset 40
		.amdhsa_reserve_vcc 1
		.amdhsa_reserve_flat_scratch 0
		.amdhsa_float_round_mode_32 0
		.amdhsa_float_round_mode_16_64 0
		.amdhsa_float_denorm_mode_32 3
		.amdhsa_float_denorm_mode_16_64 3
		.amdhsa_dx10_clamp 1
		.amdhsa_ieee_mode 1
		.amdhsa_fp16_overflow 0
		.amdhsa_tg_split 0
		.amdhsa_exception_fp_ieee_invalid_op 0
		.amdhsa_exception_fp_denorm_src 0
		.amdhsa_exception_fp_ieee_div_zero 0
		.amdhsa_exception_fp_ieee_overflow 0
		.amdhsa_exception_fp_ieee_underflow 0
		.amdhsa_exception_fp_ieee_inexact 0
		.amdhsa_exception_int_div_zero 0
	.end_amdhsa_kernel
	.section	.text._ZN7rocprim17ROCPRIM_400000_NS6detail17trampoline_kernelINS0_13kernel_configILj256ELj4ELj4294967295EEENS1_37radix_sort_block_sort_config_selectorIcNS0_10empty_typeEEEZNS1_21radix_sort_block_sortIS4_Lb0EPcS9_PS6_SA_NS0_19identity_decomposerEEE10hipError_tT1_T2_T3_T4_jRjT5_jjP12ihipStream_tbEUlT_E_NS1_11comp_targetILNS1_3genE4ELNS1_11target_archE910ELNS1_3gpuE8ELNS1_3repE0EEENS1_44radix_sort_block_sort_config_static_selectorELNS0_4arch9wavefront6targetE1EEEvSD_,"axG",@progbits,_ZN7rocprim17ROCPRIM_400000_NS6detail17trampoline_kernelINS0_13kernel_configILj256ELj4ELj4294967295EEENS1_37radix_sort_block_sort_config_selectorIcNS0_10empty_typeEEEZNS1_21radix_sort_block_sortIS4_Lb0EPcS9_PS6_SA_NS0_19identity_decomposerEEE10hipError_tT1_T2_T3_T4_jRjT5_jjP12ihipStream_tbEUlT_E_NS1_11comp_targetILNS1_3genE4ELNS1_11target_archE910ELNS1_3gpuE8ELNS1_3repE0EEENS1_44radix_sort_block_sort_config_static_selectorELNS0_4arch9wavefront6targetE1EEEvSD_,comdat
.Lfunc_end2:
	.size	_ZN7rocprim17ROCPRIM_400000_NS6detail17trampoline_kernelINS0_13kernel_configILj256ELj4ELj4294967295EEENS1_37radix_sort_block_sort_config_selectorIcNS0_10empty_typeEEEZNS1_21radix_sort_block_sortIS4_Lb0EPcS9_PS6_SA_NS0_19identity_decomposerEEE10hipError_tT1_T2_T3_T4_jRjT5_jjP12ihipStream_tbEUlT_E_NS1_11comp_targetILNS1_3genE4ELNS1_11target_archE910ELNS1_3gpuE8ELNS1_3repE0EEENS1_44radix_sort_block_sort_config_static_selectorELNS0_4arch9wavefront6targetE1EEEvSD_, .Lfunc_end2-_ZN7rocprim17ROCPRIM_400000_NS6detail17trampoline_kernelINS0_13kernel_configILj256ELj4ELj4294967295EEENS1_37radix_sort_block_sort_config_selectorIcNS0_10empty_typeEEEZNS1_21radix_sort_block_sortIS4_Lb0EPcS9_PS6_SA_NS0_19identity_decomposerEEE10hipError_tT1_T2_T3_T4_jRjT5_jjP12ihipStream_tbEUlT_E_NS1_11comp_targetILNS1_3genE4ELNS1_11target_archE910ELNS1_3gpuE8ELNS1_3repE0EEENS1_44radix_sort_block_sort_config_static_selectorELNS0_4arch9wavefront6targetE1EEEvSD_
                                        ; -- End function
	.section	.AMDGPU.csdata,"",@progbits
; Kernel info:
; codeLenInByte = 3212
; NumSgprs: 46
; NumVgprs: 38
; NumAgprs: 0
; TotalNumVgprs: 38
; ScratchSize: 0
; MemoryBound: 0
; FloatMode: 240
; IeeeMode: 1
; LDSByteSize: 4112 bytes/workgroup (compile time only)
; SGPRBlocks: 5
; VGPRBlocks: 4
; NumSGPRsForWavesPerEU: 46
; NumVGPRsForWavesPerEU: 38
; AccumOffset: 40
; Occupancy: 8
; WaveLimiterHint : 1
; COMPUTE_PGM_RSRC2:SCRATCH_EN: 0
; COMPUTE_PGM_RSRC2:USER_SGPR: 6
; COMPUTE_PGM_RSRC2:TRAP_HANDLER: 0
; COMPUTE_PGM_RSRC2:TGID_X_EN: 1
; COMPUTE_PGM_RSRC2:TGID_Y_EN: 0
; COMPUTE_PGM_RSRC2:TGID_Z_EN: 0
; COMPUTE_PGM_RSRC2:TIDIG_COMP_CNT: 2
; COMPUTE_PGM_RSRC3_GFX90A:ACCUM_OFFSET: 9
; COMPUTE_PGM_RSRC3_GFX90A:TG_SPLIT: 0
	.section	.text._ZN7rocprim17ROCPRIM_400000_NS6detail17trampoline_kernelINS0_13kernel_configILj256ELj4ELj4294967295EEENS1_37radix_sort_block_sort_config_selectorIcNS0_10empty_typeEEEZNS1_21radix_sort_block_sortIS4_Lb0EPcS9_PS6_SA_NS0_19identity_decomposerEEE10hipError_tT1_T2_T3_T4_jRjT5_jjP12ihipStream_tbEUlT_E_NS1_11comp_targetILNS1_3genE3ELNS1_11target_archE908ELNS1_3gpuE7ELNS1_3repE0EEENS1_44radix_sort_block_sort_config_static_selectorELNS0_4arch9wavefront6targetE1EEEvSD_,"axG",@progbits,_ZN7rocprim17ROCPRIM_400000_NS6detail17trampoline_kernelINS0_13kernel_configILj256ELj4ELj4294967295EEENS1_37radix_sort_block_sort_config_selectorIcNS0_10empty_typeEEEZNS1_21radix_sort_block_sortIS4_Lb0EPcS9_PS6_SA_NS0_19identity_decomposerEEE10hipError_tT1_T2_T3_T4_jRjT5_jjP12ihipStream_tbEUlT_E_NS1_11comp_targetILNS1_3genE3ELNS1_11target_archE908ELNS1_3gpuE7ELNS1_3repE0EEENS1_44radix_sort_block_sort_config_static_selectorELNS0_4arch9wavefront6targetE1EEEvSD_,comdat
	.protected	_ZN7rocprim17ROCPRIM_400000_NS6detail17trampoline_kernelINS0_13kernel_configILj256ELj4ELj4294967295EEENS1_37radix_sort_block_sort_config_selectorIcNS0_10empty_typeEEEZNS1_21radix_sort_block_sortIS4_Lb0EPcS9_PS6_SA_NS0_19identity_decomposerEEE10hipError_tT1_T2_T3_T4_jRjT5_jjP12ihipStream_tbEUlT_E_NS1_11comp_targetILNS1_3genE3ELNS1_11target_archE908ELNS1_3gpuE7ELNS1_3repE0EEENS1_44radix_sort_block_sort_config_static_selectorELNS0_4arch9wavefront6targetE1EEEvSD_ ; -- Begin function _ZN7rocprim17ROCPRIM_400000_NS6detail17trampoline_kernelINS0_13kernel_configILj256ELj4ELj4294967295EEENS1_37radix_sort_block_sort_config_selectorIcNS0_10empty_typeEEEZNS1_21radix_sort_block_sortIS4_Lb0EPcS9_PS6_SA_NS0_19identity_decomposerEEE10hipError_tT1_T2_T3_T4_jRjT5_jjP12ihipStream_tbEUlT_E_NS1_11comp_targetILNS1_3genE3ELNS1_11target_archE908ELNS1_3gpuE7ELNS1_3repE0EEENS1_44radix_sort_block_sort_config_static_selectorELNS0_4arch9wavefront6targetE1EEEvSD_
	.globl	_ZN7rocprim17ROCPRIM_400000_NS6detail17trampoline_kernelINS0_13kernel_configILj256ELj4ELj4294967295EEENS1_37radix_sort_block_sort_config_selectorIcNS0_10empty_typeEEEZNS1_21radix_sort_block_sortIS4_Lb0EPcS9_PS6_SA_NS0_19identity_decomposerEEE10hipError_tT1_T2_T3_T4_jRjT5_jjP12ihipStream_tbEUlT_E_NS1_11comp_targetILNS1_3genE3ELNS1_11target_archE908ELNS1_3gpuE7ELNS1_3repE0EEENS1_44radix_sort_block_sort_config_static_selectorELNS0_4arch9wavefront6targetE1EEEvSD_
	.p2align	8
	.type	_ZN7rocprim17ROCPRIM_400000_NS6detail17trampoline_kernelINS0_13kernel_configILj256ELj4ELj4294967295EEENS1_37radix_sort_block_sort_config_selectorIcNS0_10empty_typeEEEZNS1_21radix_sort_block_sortIS4_Lb0EPcS9_PS6_SA_NS0_19identity_decomposerEEE10hipError_tT1_T2_T3_T4_jRjT5_jjP12ihipStream_tbEUlT_E_NS1_11comp_targetILNS1_3genE3ELNS1_11target_archE908ELNS1_3gpuE7ELNS1_3repE0EEENS1_44radix_sort_block_sort_config_static_selectorELNS0_4arch9wavefront6targetE1EEEvSD_,@function
_ZN7rocprim17ROCPRIM_400000_NS6detail17trampoline_kernelINS0_13kernel_configILj256ELj4ELj4294967295EEENS1_37radix_sort_block_sort_config_selectorIcNS0_10empty_typeEEEZNS1_21radix_sort_block_sortIS4_Lb0EPcS9_PS6_SA_NS0_19identity_decomposerEEE10hipError_tT1_T2_T3_T4_jRjT5_jjP12ihipStream_tbEUlT_E_NS1_11comp_targetILNS1_3genE3ELNS1_11target_archE908ELNS1_3gpuE7ELNS1_3repE0EEENS1_44radix_sort_block_sort_config_static_selectorELNS0_4arch9wavefront6targetE1EEEvSD_: ; @_ZN7rocprim17ROCPRIM_400000_NS6detail17trampoline_kernelINS0_13kernel_configILj256ELj4ELj4294967295EEENS1_37radix_sort_block_sort_config_selectorIcNS0_10empty_typeEEEZNS1_21radix_sort_block_sortIS4_Lb0EPcS9_PS6_SA_NS0_19identity_decomposerEEE10hipError_tT1_T2_T3_T4_jRjT5_jjP12ihipStream_tbEUlT_E_NS1_11comp_targetILNS1_3genE3ELNS1_11target_archE908ELNS1_3gpuE7ELNS1_3repE0EEENS1_44radix_sort_block_sort_config_static_selectorELNS0_4arch9wavefront6targetE1EEEvSD_
; %bb.0:
	.section	.rodata,"a",@progbits
	.p2align	6, 0x0
	.amdhsa_kernel _ZN7rocprim17ROCPRIM_400000_NS6detail17trampoline_kernelINS0_13kernel_configILj256ELj4ELj4294967295EEENS1_37radix_sort_block_sort_config_selectorIcNS0_10empty_typeEEEZNS1_21radix_sort_block_sortIS4_Lb0EPcS9_PS6_SA_NS0_19identity_decomposerEEE10hipError_tT1_T2_T3_T4_jRjT5_jjP12ihipStream_tbEUlT_E_NS1_11comp_targetILNS1_3genE3ELNS1_11target_archE908ELNS1_3gpuE7ELNS1_3repE0EEENS1_44radix_sort_block_sort_config_static_selectorELNS0_4arch9wavefront6targetE1EEEvSD_
		.amdhsa_group_segment_fixed_size 0
		.amdhsa_private_segment_fixed_size 0
		.amdhsa_kernarg_size 48
		.amdhsa_user_sgpr_count 6
		.amdhsa_user_sgpr_private_segment_buffer 1
		.amdhsa_user_sgpr_dispatch_ptr 0
		.amdhsa_user_sgpr_queue_ptr 0
		.amdhsa_user_sgpr_kernarg_segment_ptr 1
		.amdhsa_user_sgpr_dispatch_id 0
		.amdhsa_user_sgpr_flat_scratch_init 0
		.amdhsa_user_sgpr_kernarg_preload_length 0
		.amdhsa_user_sgpr_kernarg_preload_offset 0
		.amdhsa_user_sgpr_private_segment_size 0
		.amdhsa_uses_dynamic_stack 0
		.amdhsa_system_sgpr_private_segment_wavefront_offset 0
		.amdhsa_system_sgpr_workgroup_id_x 1
		.amdhsa_system_sgpr_workgroup_id_y 0
		.amdhsa_system_sgpr_workgroup_id_z 0
		.amdhsa_system_sgpr_workgroup_info 0
		.amdhsa_system_vgpr_workitem_id 0
		.amdhsa_next_free_vgpr 1
		.amdhsa_next_free_sgpr 0
		.amdhsa_accum_offset 4
		.amdhsa_reserve_vcc 0
		.amdhsa_reserve_flat_scratch 0
		.amdhsa_float_round_mode_32 0
		.amdhsa_float_round_mode_16_64 0
		.amdhsa_float_denorm_mode_32 3
		.amdhsa_float_denorm_mode_16_64 3
		.amdhsa_dx10_clamp 1
		.amdhsa_ieee_mode 1
		.amdhsa_fp16_overflow 0
		.amdhsa_tg_split 0
		.amdhsa_exception_fp_ieee_invalid_op 0
		.amdhsa_exception_fp_denorm_src 0
		.amdhsa_exception_fp_ieee_div_zero 0
		.amdhsa_exception_fp_ieee_overflow 0
		.amdhsa_exception_fp_ieee_underflow 0
		.amdhsa_exception_fp_ieee_inexact 0
		.amdhsa_exception_int_div_zero 0
	.end_amdhsa_kernel
	.section	.text._ZN7rocprim17ROCPRIM_400000_NS6detail17trampoline_kernelINS0_13kernel_configILj256ELj4ELj4294967295EEENS1_37radix_sort_block_sort_config_selectorIcNS0_10empty_typeEEEZNS1_21radix_sort_block_sortIS4_Lb0EPcS9_PS6_SA_NS0_19identity_decomposerEEE10hipError_tT1_T2_T3_T4_jRjT5_jjP12ihipStream_tbEUlT_E_NS1_11comp_targetILNS1_3genE3ELNS1_11target_archE908ELNS1_3gpuE7ELNS1_3repE0EEENS1_44radix_sort_block_sort_config_static_selectorELNS0_4arch9wavefront6targetE1EEEvSD_,"axG",@progbits,_ZN7rocprim17ROCPRIM_400000_NS6detail17trampoline_kernelINS0_13kernel_configILj256ELj4ELj4294967295EEENS1_37radix_sort_block_sort_config_selectorIcNS0_10empty_typeEEEZNS1_21radix_sort_block_sortIS4_Lb0EPcS9_PS6_SA_NS0_19identity_decomposerEEE10hipError_tT1_T2_T3_T4_jRjT5_jjP12ihipStream_tbEUlT_E_NS1_11comp_targetILNS1_3genE3ELNS1_11target_archE908ELNS1_3gpuE7ELNS1_3repE0EEENS1_44radix_sort_block_sort_config_static_selectorELNS0_4arch9wavefront6targetE1EEEvSD_,comdat
.Lfunc_end3:
	.size	_ZN7rocprim17ROCPRIM_400000_NS6detail17trampoline_kernelINS0_13kernel_configILj256ELj4ELj4294967295EEENS1_37radix_sort_block_sort_config_selectorIcNS0_10empty_typeEEEZNS1_21radix_sort_block_sortIS4_Lb0EPcS9_PS6_SA_NS0_19identity_decomposerEEE10hipError_tT1_T2_T3_T4_jRjT5_jjP12ihipStream_tbEUlT_E_NS1_11comp_targetILNS1_3genE3ELNS1_11target_archE908ELNS1_3gpuE7ELNS1_3repE0EEENS1_44radix_sort_block_sort_config_static_selectorELNS0_4arch9wavefront6targetE1EEEvSD_, .Lfunc_end3-_ZN7rocprim17ROCPRIM_400000_NS6detail17trampoline_kernelINS0_13kernel_configILj256ELj4ELj4294967295EEENS1_37radix_sort_block_sort_config_selectorIcNS0_10empty_typeEEEZNS1_21radix_sort_block_sortIS4_Lb0EPcS9_PS6_SA_NS0_19identity_decomposerEEE10hipError_tT1_T2_T3_T4_jRjT5_jjP12ihipStream_tbEUlT_E_NS1_11comp_targetILNS1_3genE3ELNS1_11target_archE908ELNS1_3gpuE7ELNS1_3repE0EEENS1_44radix_sort_block_sort_config_static_selectorELNS0_4arch9wavefront6targetE1EEEvSD_
                                        ; -- End function
	.section	.AMDGPU.csdata,"",@progbits
; Kernel info:
; codeLenInByte = 0
; NumSgprs: 4
; NumVgprs: 0
; NumAgprs: 0
; TotalNumVgprs: 0
; ScratchSize: 0
; MemoryBound: 0
; FloatMode: 240
; IeeeMode: 1
; LDSByteSize: 0 bytes/workgroup (compile time only)
; SGPRBlocks: 0
; VGPRBlocks: 0
; NumSGPRsForWavesPerEU: 4
; NumVGPRsForWavesPerEU: 1
; AccumOffset: 4
; Occupancy: 8
; WaveLimiterHint : 0
; COMPUTE_PGM_RSRC2:SCRATCH_EN: 0
; COMPUTE_PGM_RSRC2:USER_SGPR: 6
; COMPUTE_PGM_RSRC2:TRAP_HANDLER: 0
; COMPUTE_PGM_RSRC2:TGID_X_EN: 1
; COMPUTE_PGM_RSRC2:TGID_Y_EN: 0
; COMPUTE_PGM_RSRC2:TGID_Z_EN: 0
; COMPUTE_PGM_RSRC2:TIDIG_COMP_CNT: 0
; COMPUTE_PGM_RSRC3_GFX90A:ACCUM_OFFSET: 0
; COMPUTE_PGM_RSRC3_GFX90A:TG_SPLIT: 0
	.section	.text._ZN7rocprim17ROCPRIM_400000_NS6detail17trampoline_kernelINS0_13kernel_configILj256ELj4ELj4294967295EEENS1_37radix_sort_block_sort_config_selectorIcNS0_10empty_typeEEEZNS1_21radix_sort_block_sortIS4_Lb0EPcS9_PS6_SA_NS0_19identity_decomposerEEE10hipError_tT1_T2_T3_T4_jRjT5_jjP12ihipStream_tbEUlT_E_NS1_11comp_targetILNS1_3genE2ELNS1_11target_archE906ELNS1_3gpuE6ELNS1_3repE0EEENS1_44radix_sort_block_sort_config_static_selectorELNS0_4arch9wavefront6targetE1EEEvSD_,"axG",@progbits,_ZN7rocprim17ROCPRIM_400000_NS6detail17trampoline_kernelINS0_13kernel_configILj256ELj4ELj4294967295EEENS1_37radix_sort_block_sort_config_selectorIcNS0_10empty_typeEEEZNS1_21radix_sort_block_sortIS4_Lb0EPcS9_PS6_SA_NS0_19identity_decomposerEEE10hipError_tT1_T2_T3_T4_jRjT5_jjP12ihipStream_tbEUlT_E_NS1_11comp_targetILNS1_3genE2ELNS1_11target_archE906ELNS1_3gpuE6ELNS1_3repE0EEENS1_44radix_sort_block_sort_config_static_selectorELNS0_4arch9wavefront6targetE1EEEvSD_,comdat
	.protected	_ZN7rocprim17ROCPRIM_400000_NS6detail17trampoline_kernelINS0_13kernel_configILj256ELj4ELj4294967295EEENS1_37radix_sort_block_sort_config_selectorIcNS0_10empty_typeEEEZNS1_21radix_sort_block_sortIS4_Lb0EPcS9_PS6_SA_NS0_19identity_decomposerEEE10hipError_tT1_T2_T3_T4_jRjT5_jjP12ihipStream_tbEUlT_E_NS1_11comp_targetILNS1_3genE2ELNS1_11target_archE906ELNS1_3gpuE6ELNS1_3repE0EEENS1_44radix_sort_block_sort_config_static_selectorELNS0_4arch9wavefront6targetE1EEEvSD_ ; -- Begin function _ZN7rocprim17ROCPRIM_400000_NS6detail17trampoline_kernelINS0_13kernel_configILj256ELj4ELj4294967295EEENS1_37radix_sort_block_sort_config_selectorIcNS0_10empty_typeEEEZNS1_21radix_sort_block_sortIS4_Lb0EPcS9_PS6_SA_NS0_19identity_decomposerEEE10hipError_tT1_T2_T3_T4_jRjT5_jjP12ihipStream_tbEUlT_E_NS1_11comp_targetILNS1_3genE2ELNS1_11target_archE906ELNS1_3gpuE6ELNS1_3repE0EEENS1_44radix_sort_block_sort_config_static_selectorELNS0_4arch9wavefront6targetE1EEEvSD_
	.globl	_ZN7rocprim17ROCPRIM_400000_NS6detail17trampoline_kernelINS0_13kernel_configILj256ELj4ELj4294967295EEENS1_37radix_sort_block_sort_config_selectorIcNS0_10empty_typeEEEZNS1_21radix_sort_block_sortIS4_Lb0EPcS9_PS6_SA_NS0_19identity_decomposerEEE10hipError_tT1_T2_T3_T4_jRjT5_jjP12ihipStream_tbEUlT_E_NS1_11comp_targetILNS1_3genE2ELNS1_11target_archE906ELNS1_3gpuE6ELNS1_3repE0EEENS1_44radix_sort_block_sort_config_static_selectorELNS0_4arch9wavefront6targetE1EEEvSD_
	.p2align	8
	.type	_ZN7rocprim17ROCPRIM_400000_NS6detail17trampoline_kernelINS0_13kernel_configILj256ELj4ELj4294967295EEENS1_37radix_sort_block_sort_config_selectorIcNS0_10empty_typeEEEZNS1_21radix_sort_block_sortIS4_Lb0EPcS9_PS6_SA_NS0_19identity_decomposerEEE10hipError_tT1_T2_T3_T4_jRjT5_jjP12ihipStream_tbEUlT_E_NS1_11comp_targetILNS1_3genE2ELNS1_11target_archE906ELNS1_3gpuE6ELNS1_3repE0EEENS1_44radix_sort_block_sort_config_static_selectorELNS0_4arch9wavefront6targetE1EEEvSD_,@function
_ZN7rocprim17ROCPRIM_400000_NS6detail17trampoline_kernelINS0_13kernel_configILj256ELj4ELj4294967295EEENS1_37radix_sort_block_sort_config_selectorIcNS0_10empty_typeEEEZNS1_21radix_sort_block_sortIS4_Lb0EPcS9_PS6_SA_NS0_19identity_decomposerEEE10hipError_tT1_T2_T3_T4_jRjT5_jjP12ihipStream_tbEUlT_E_NS1_11comp_targetILNS1_3genE2ELNS1_11target_archE906ELNS1_3gpuE6ELNS1_3repE0EEENS1_44radix_sort_block_sort_config_static_selectorELNS0_4arch9wavefront6targetE1EEEvSD_: ; @_ZN7rocprim17ROCPRIM_400000_NS6detail17trampoline_kernelINS0_13kernel_configILj256ELj4ELj4294967295EEENS1_37radix_sort_block_sort_config_selectorIcNS0_10empty_typeEEEZNS1_21radix_sort_block_sortIS4_Lb0EPcS9_PS6_SA_NS0_19identity_decomposerEEE10hipError_tT1_T2_T3_T4_jRjT5_jjP12ihipStream_tbEUlT_E_NS1_11comp_targetILNS1_3genE2ELNS1_11target_archE906ELNS1_3gpuE6ELNS1_3repE0EEENS1_44radix_sort_block_sort_config_static_selectorELNS0_4arch9wavefront6targetE1EEEvSD_
; %bb.0:
	.section	.rodata,"a",@progbits
	.p2align	6, 0x0
	.amdhsa_kernel _ZN7rocprim17ROCPRIM_400000_NS6detail17trampoline_kernelINS0_13kernel_configILj256ELj4ELj4294967295EEENS1_37radix_sort_block_sort_config_selectorIcNS0_10empty_typeEEEZNS1_21radix_sort_block_sortIS4_Lb0EPcS9_PS6_SA_NS0_19identity_decomposerEEE10hipError_tT1_T2_T3_T4_jRjT5_jjP12ihipStream_tbEUlT_E_NS1_11comp_targetILNS1_3genE2ELNS1_11target_archE906ELNS1_3gpuE6ELNS1_3repE0EEENS1_44radix_sort_block_sort_config_static_selectorELNS0_4arch9wavefront6targetE1EEEvSD_
		.amdhsa_group_segment_fixed_size 0
		.amdhsa_private_segment_fixed_size 0
		.amdhsa_kernarg_size 48
		.amdhsa_user_sgpr_count 6
		.amdhsa_user_sgpr_private_segment_buffer 1
		.amdhsa_user_sgpr_dispatch_ptr 0
		.amdhsa_user_sgpr_queue_ptr 0
		.amdhsa_user_sgpr_kernarg_segment_ptr 1
		.amdhsa_user_sgpr_dispatch_id 0
		.amdhsa_user_sgpr_flat_scratch_init 0
		.amdhsa_user_sgpr_kernarg_preload_length 0
		.amdhsa_user_sgpr_kernarg_preload_offset 0
		.amdhsa_user_sgpr_private_segment_size 0
		.amdhsa_uses_dynamic_stack 0
		.amdhsa_system_sgpr_private_segment_wavefront_offset 0
		.amdhsa_system_sgpr_workgroup_id_x 1
		.amdhsa_system_sgpr_workgroup_id_y 0
		.amdhsa_system_sgpr_workgroup_id_z 0
		.amdhsa_system_sgpr_workgroup_info 0
		.amdhsa_system_vgpr_workitem_id 0
		.amdhsa_next_free_vgpr 1
		.amdhsa_next_free_sgpr 0
		.amdhsa_accum_offset 4
		.amdhsa_reserve_vcc 0
		.amdhsa_reserve_flat_scratch 0
		.amdhsa_float_round_mode_32 0
		.amdhsa_float_round_mode_16_64 0
		.amdhsa_float_denorm_mode_32 3
		.amdhsa_float_denorm_mode_16_64 3
		.amdhsa_dx10_clamp 1
		.amdhsa_ieee_mode 1
		.amdhsa_fp16_overflow 0
		.amdhsa_tg_split 0
		.amdhsa_exception_fp_ieee_invalid_op 0
		.amdhsa_exception_fp_denorm_src 0
		.amdhsa_exception_fp_ieee_div_zero 0
		.amdhsa_exception_fp_ieee_overflow 0
		.amdhsa_exception_fp_ieee_underflow 0
		.amdhsa_exception_fp_ieee_inexact 0
		.amdhsa_exception_int_div_zero 0
	.end_amdhsa_kernel
	.section	.text._ZN7rocprim17ROCPRIM_400000_NS6detail17trampoline_kernelINS0_13kernel_configILj256ELj4ELj4294967295EEENS1_37radix_sort_block_sort_config_selectorIcNS0_10empty_typeEEEZNS1_21radix_sort_block_sortIS4_Lb0EPcS9_PS6_SA_NS0_19identity_decomposerEEE10hipError_tT1_T2_T3_T4_jRjT5_jjP12ihipStream_tbEUlT_E_NS1_11comp_targetILNS1_3genE2ELNS1_11target_archE906ELNS1_3gpuE6ELNS1_3repE0EEENS1_44radix_sort_block_sort_config_static_selectorELNS0_4arch9wavefront6targetE1EEEvSD_,"axG",@progbits,_ZN7rocprim17ROCPRIM_400000_NS6detail17trampoline_kernelINS0_13kernel_configILj256ELj4ELj4294967295EEENS1_37radix_sort_block_sort_config_selectorIcNS0_10empty_typeEEEZNS1_21radix_sort_block_sortIS4_Lb0EPcS9_PS6_SA_NS0_19identity_decomposerEEE10hipError_tT1_T2_T3_T4_jRjT5_jjP12ihipStream_tbEUlT_E_NS1_11comp_targetILNS1_3genE2ELNS1_11target_archE906ELNS1_3gpuE6ELNS1_3repE0EEENS1_44radix_sort_block_sort_config_static_selectorELNS0_4arch9wavefront6targetE1EEEvSD_,comdat
.Lfunc_end4:
	.size	_ZN7rocprim17ROCPRIM_400000_NS6detail17trampoline_kernelINS0_13kernel_configILj256ELj4ELj4294967295EEENS1_37radix_sort_block_sort_config_selectorIcNS0_10empty_typeEEEZNS1_21radix_sort_block_sortIS4_Lb0EPcS9_PS6_SA_NS0_19identity_decomposerEEE10hipError_tT1_T2_T3_T4_jRjT5_jjP12ihipStream_tbEUlT_E_NS1_11comp_targetILNS1_3genE2ELNS1_11target_archE906ELNS1_3gpuE6ELNS1_3repE0EEENS1_44radix_sort_block_sort_config_static_selectorELNS0_4arch9wavefront6targetE1EEEvSD_, .Lfunc_end4-_ZN7rocprim17ROCPRIM_400000_NS6detail17trampoline_kernelINS0_13kernel_configILj256ELj4ELj4294967295EEENS1_37radix_sort_block_sort_config_selectorIcNS0_10empty_typeEEEZNS1_21radix_sort_block_sortIS4_Lb0EPcS9_PS6_SA_NS0_19identity_decomposerEEE10hipError_tT1_T2_T3_T4_jRjT5_jjP12ihipStream_tbEUlT_E_NS1_11comp_targetILNS1_3genE2ELNS1_11target_archE906ELNS1_3gpuE6ELNS1_3repE0EEENS1_44radix_sort_block_sort_config_static_selectorELNS0_4arch9wavefront6targetE1EEEvSD_
                                        ; -- End function
	.section	.AMDGPU.csdata,"",@progbits
; Kernel info:
; codeLenInByte = 0
; NumSgprs: 4
; NumVgprs: 0
; NumAgprs: 0
; TotalNumVgprs: 0
; ScratchSize: 0
; MemoryBound: 0
; FloatMode: 240
; IeeeMode: 1
; LDSByteSize: 0 bytes/workgroup (compile time only)
; SGPRBlocks: 0
; VGPRBlocks: 0
; NumSGPRsForWavesPerEU: 4
; NumVGPRsForWavesPerEU: 1
; AccumOffset: 4
; Occupancy: 8
; WaveLimiterHint : 0
; COMPUTE_PGM_RSRC2:SCRATCH_EN: 0
; COMPUTE_PGM_RSRC2:USER_SGPR: 6
; COMPUTE_PGM_RSRC2:TRAP_HANDLER: 0
; COMPUTE_PGM_RSRC2:TGID_X_EN: 1
; COMPUTE_PGM_RSRC2:TGID_Y_EN: 0
; COMPUTE_PGM_RSRC2:TGID_Z_EN: 0
; COMPUTE_PGM_RSRC2:TIDIG_COMP_CNT: 0
; COMPUTE_PGM_RSRC3_GFX90A:ACCUM_OFFSET: 0
; COMPUTE_PGM_RSRC3_GFX90A:TG_SPLIT: 0
	.section	.text._ZN7rocprim17ROCPRIM_400000_NS6detail17trampoline_kernelINS0_13kernel_configILj256ELj4ELj4294967295EEENS1_37radix_sort_block_sort_config_selectorIcNS0_10empty_typeEEEZNS1_21radix_sort_block_sortIS4_Lb0EPcS9_PS6_SA_NS0_19identity_decomposerEEE10hipError_tT1_T2_T3_T4_jRjT5_jjP12ihipStream_tbEUlT_E_NS1_11comp_targetILNS1_3genE10ELNS1_11target_archE1201ELNS1_3gpuE5ELNS1_3repE0EEENS1_44radix_sort_block_sort_config_static_selectorELNS0_4arch9wavefront6targetE1EEEvSD_,"axG",@progbits,_ZN7rocprim17ROCPRIM_400000_NS6detail17trampoline_kernelINS0_13kernel_configILj256ELj4ELj4294967295EEENS1_37radix_sort_block_sort_config_selectorIcNS0_10empty_typeEEEZNS1_21radix_sort_block_sortIS4_Lb0EPcS9_PS6_SA_NS0_19identity_decomposerEEE10hipError_tT1_T2_T3_T4_jRjT5_jjP12ihipStream_tbEUlT_E_NS1_11comp_targetILNS1_3genE10ELNS1_11target_archE1201ELNS1_3gpuE5ELNS1_3repE0EEENS1_44radix_sort_block_sort_config_static_selectorELNS0_4arch9wavefront6targetE1EEEvSD_,comdat
	.protected	_ZN7rocprim17ROCPRIM_400000_NS6detail17trampoline_kernelINS0_13kernel_configILj256ELj4ELj4294967295EEENS1_37radix_sort_block_sort_config_selectorIcNS0_10empty_typeEEEZNS1_21radix_sort_block_sortIS4_Lb0EPcS9_PS6_SA_NS0_19identity_decomposerEEE10hipError_tT1_T2_T3_T4_jRjT5_jjP12ihipStream_tbEUlT_E_NS1_11comp_targetILNS1_3genE10ELNS1_11target_archE1201ELNS1_3gpuE5ELNS1_3repE0EEENS1_44radix_sort_block_sort_config_static_selectorELNS0_4arch9wavefront6targetE1EEEvSD_ ; -- Begin function _ZN7rocprim17ROCPRIM_400000_NS6detail17trampoline_kernelINS0_13kernel_configILj256ELj4ELj4294967295EEENS1_37radix_sort_block_sort_config_selectorIcNS0_10empty_typeEEEZNS1_21radix_sort_block_sortIS4_Lb0EPcS9_PS6_SA_NS0_19identity_decomposerEEE10hipError_tT1_T2_T3_T4_jRjT5_jjP12ihipStream_tbEUlT_E_NS1_11comp_targetILNS1_3genE10ELNS1_11target_archE1201ELNS1_3gpuE5ELNS1_3repE0EEENS1_44radix_sort_block_sort_config_static_selectorELNS0_4arch9wavefront6targetE1EEEvSD_
	.globl	_ZN7rocprim17ROCPRIM_400000_NS6detail17trampoline_kernelINS0_13kernel_configILj256ELj4ELj4294967295EEENS1_37radix_sort_block_sort_config_selectorIcNS0_10empty_typeEEEZNS1_21radix_sort_block_sortIS4_Lb0EPcS9_PS6_SA_NS0_19identity_decomposerEEE10hipError_tT1_T2_T3_T4_jRjT5_jjP12ihipStream_tbEUlT_E_NS1_11comp_targetILNS1_3genE10ELNS1_11target_archE1201ELNS1_3gpuE5ELNS1_3repE0EEENS1_44radix_sort_block_sort_config_static_selectorELNS0_4arch9wavefront6targetE1EEEvSD_
	.p2align	8
	.type	_ZN7rocprim17ROCPRIM_400000_NS6detail17trampoline_kernelINS0_13kernel_configILj256ELj4ELj4294967295EEENS1_37radix_sort_block_sort_config_selectorIcNS0_10empty_typeEEEZNS1_21radix_sort_block_sortIS4_Lb0EPcS9_PS6_SA_NS0_19identity_decomposerEEE10hipError_tT1_T2_T3_T4_jRjT5_jjP12ihipStream_tbEUlT_E_NS1_11comp_targetILNS1_3genE10ELNS1_11target_archE1201ELNS1_3gpuE5ELNS1_3repE0EEENS1_44radix_sort_block_sort_config_static_selectorELNS0_4arch9wavefront6targetE1EEEvSD_,@function
_ZN7rocprim17ROCPRIM_400000_NS6detail17trampoline_kernelINS0_13kernel_configILj256ELj4ELj4294967295EEENS1_37radix_sort_block_sort_config_selectorIcNS0_10empty_typeEEEZNS1_21radix_sort_block_sortIS4_Lb0EPcS9_PS6_SA_NS0_19identity_decomposerEEE10hipError_tT1_T2_T3_T4_jRjT5_jjP12ihipStream_tbEUlT_E_NS1_11comp_targetILNS1_3genE10ELNS1_11target_archE1201ELNS1_3gpuE5ELNS1_3repE0EEENS1_44radix_sort_block_sort_config_static_selectorELNS0_4arch9wavefront6targetE1EEEvSD_: ; @_ZN7rocprim17ROCPRIM_400000_NS6detail17trampoline_kernelINS0_13kernel_configILj256ELj4ELj4294967295EEENS1_37radix_sort_block_sort_config_selectorIcNS0_10empty_typeEEEZNS1_21radix_sort_block_sortIS4_Lb0EPcS9_PS6_SA_NS0_19identity_decomposerEEE10hipError_tT1_T2_T3_T4_jRjT5_jjP12ihipStream_tbEUlT_E_NS1_11comp_targetILNS1_3genE10ELNS1_11target_archE1201ELNS1_3gpuE5ELNS1_3repE0EEENS1_44radix_sort_block_sort_config_static_selectorELNS0_4arch9wavefront6targetE1EEEvSD_
; %bb.0:
	.section	.rodata,"a",@progbits
	.p2align	6, 0x0
	.amdhsa_kernel _ZN7rocprim17ROCPRIM_400000_NS6detail17trampoline_kernelINS0_13kernel_configILj256ELj4ELj4294967295EEENS1_37radix_sort_block_sort_config_selectorIcNS0_10empty_typeEEEZNS1_21radix_sort_block_sortIS4_Lb0EPcS9_PS6_SA_NS0_19identity_decomposerEEE10hipError_tT1_T2_T3_T4_jRjT5_jjP12ihipStream_tbEUlT_E_NS1_11comp_targetILNS1_3genE10ELNS1_11target_archE1201ELNS1_3gpuE5ELNS1_3repE0EEENS1_44radix_sort_block_sort_config_static_selectorELNS0_4arch9wavefront6targetE1EEEvSD_
		.amdhsa_group_segment_fixed_size 0
		.amdhsa_private_segment_fixed_size 0
		.amdhsa_kernarg_size 48
		.amdhsa_user_sgpr_count 6
		.amdhsa_user_sgpr_private_segment_buffer 1
		.amdhsa_user_sgpr_dispatch_ptr 0
		.amdhsa_user_sgpr_queue_ptr 0
		.amdhsa_user_sgpr_kernarg_segment_ptr 1
		.amdhsa_user_sgpr_dispatch_id 0
		.amdhsa_user_sgpr_flat_scratch_init 0
		.amdhsa_user_sgpr_kernarg_preload_length 0
		.amdhsa_user_sgpr_kernarg_preload_offset 0
		.amdhsa_user_sgpr_private_segment_size 0
		.amdhsa_uses_dynamic_stack 0
		.amdhsa_system_sgpr_private_segment_wavefront_offset 0
		.amdhsa_system_sgpr_workgroup_id_x 1
		.amdhsa_system_sgpr_workgroup_id_y 0
		.amdhsa_system_sgpr_workgroup_id_z 0
		.amdhsa_system_sgpr_workgroup_info 0
		.amdhsa_system_vgpr_workitem_id 0
		.amdhsa_next_free_vgpr 1
		.amdhsa_next_free_sgpr 0
		.amdhsa_accum_offset 4
		.amdhsa_reserve_vcc 0
		.amdhsa_reserve_flat_scratch 0
		.amdhsa_float_round_mode_32 0
		.amdhsa_float_round_mode_16_64 0
		.amdhsa_float_denorm_mode_32 3
		.amdhsa_float_denorm_mode_16_64 3
		.amdhsa_dx10_clamp 1
		.amdhsa_ieee_mode 1
		.amdhsa_fp16_overflow 0
		.amdhsa_tg_split 0
		.amdhsa_exception_fp_ieee_invalid_op 0
		.amdhsa_exception_fp_denorm_src 0
		.amdhsa_exception_fp_ieee_div_zero 0
		.amdhsa_exception_fp_ieee_overflow 0
		.amdhsa_exception_fp_ieee_underflow 0
		.amdhsa_exception_fp_ieee_inexact 0
		.amdhsa_exception_int_div_zero 0
	.end_amdhsa_kernel
	.section	.text._ZN7rocprim17ROCPRIM_400000_NS6detail17trampoline_kernelINS0_13kernel_configILj256ELj4ELj4294967295EEENS1_37radix_sort_block_sort_config_selectorIcNS0_10empty_typeEEEZNS1_21radix_sort_block_sortIS4_Lb0EPcS9_PS6_SA_NS0_19identity_decomposerEEE10hipError_tT1_T2_T3_T4_jRjT5_jjP12ihipStream_tbEUlT_E_NS1_11comp_targetILNS1_3genE10ELNS1_11target_archE1201ELNS1_3gpuE5ELNS1_3repE0EEENS1_44radix_sort_block_sort_config_static_selectorELNS0_4arch9wavefront6targetE1EEEvSD_,"axG",@progbits,_ZN7rocprim17ROCPRIM_400000_NS6detail17trampoline_kernelINS0_13kernel_configILj256ELj4ELj4294967295EEENS1_37radix_sort_block_sort_config_selectorIcNS0_10empty_typeEEEZNS1_21radix_sort_block_sortIS4_Lb0EPcS9_PS6_SA_NS0_19identity_decomposerEEE10hipError_tT1_T2_T3_T4_jRjT5_jjP12ihipStream_tbEUlT_E_NS1_11comp_targetILNS1_3genE10ELNS1_11target_archE1201ELNS1_3gpuE5ELNS1_3repE0EEENS1_44radix_sort_block_sort_config_static_selectorELNS0_4arch9wavefront6targetE1EEEvSD_,comdat
.Lfunc_end5:
	.size	_ZN7rocprim17ROCPRIM_400000_NS6detail17trampoline_kernelINS0_13kernel_configILj256ELj4ELj4294967295EEENS1_37radix_sort_block_sort_config_selectorIcNS0_10empty_typeEEEZNS1_21radix_sort_block_sortIS4_Lb0EPcS9_PS6_SA_NS0_19identity_decomposerEEE10hipError_tT1_T2_T3_T4_jRjT5_jjP12ihipStream_tbEUlT_E_NS1_11comp_targetILNS1_3genE10ELNS1_11target_archE1201ELNS1_3gpuE5ELNS1_3repE0EEENS1_44radix_sort_block_sort_config_static_selectorELNS0_4arch9wavefront6targetE1EEEvSD_, .Lfunc_end5-_ZN7rocprim17ROCPRIM_400000_NS6detail17trampoline_kernelINS0_13kernel_configILj256ELj4ELj4294967295EEENS1_37radix_sort_block_sort_config_selectorIcNS0_10empty_typeEEEZNS1_21radix_sort_block_sortIS4_Lb0EPcS9_PS6_SA_NS0_19identity_decomposerEEE10hipError_tT1_T2_T3_T4_jRjT5_jjP12ihipStream_tbEUlT_E_NS1_11comp_targetILNS1_3genE10ELNS1_11target_archE1201ELNS1_3gpuE5ELNS1_3repE0EEENS1_44radix_sort_block_sort_config_static_selectorELNS0_4arch9wavefront6targetE1EEEvSD_
                                        ; -- End function
	.section	.AMDGPU.csdata,"",@progbits
; Kernel info:
; codeLenInByte = 0
; NumSgprs: 4
; NumVgprs: 0
; NumAgprs: 0
; TotalNumVgprs: 0
; ScratchSize: 0
; MemoryBound: 0
; FloatMode: 240
; IeeeMode: 1
; LDSByteSize: 0 bytes/workgroup (compile time only)
; SGPRBlocks: 0
; VGPRBlocks: 0
; NumSGPRsForWavesPerEU: 4
; NumVGPRsForWavesPerEU: 1
; AccumOffset: 4
; Occupancy: 8
; WaveLimiterHint : 0
; COMPUTE_PGM_RSRC2:SCRATCH_EN: 0
; COMPUTE_PGM_RSRC2:USER_SGPR: 6
; COMPUTE_PGM_RSRC2:TRAP_HANDLER: 0
; COMPUTE_PGM_RSRC2:TGID_X_EN: 1
; COMPUTE_PGM_RSRC2:TGID_Y_EN: 0
; COMPUTE_PGM_RSRC2:TGID_Z_EN: 0
; COMPUTE_PGM_RSRC2:TIDIG_COMP_CNT: 0
; COMPUTE_PGM_RSRC3_GFX90A:ACCUM_OFFSET: 0
; COMPUTE_PGM_RSRC3_GFX90A:TG_SPLIT: 0
	.section	.text._ZN7rocprim17ROCPRIM_400000_NS6detail17trampoline_kernelINS0_13kernel_configILj256ELj4ELj4294967295EEENS1_37radix_sort_block_sort_config_selectorIcNS0_10empty_typeEEEZNS1_21radix_sort_block_sortIS4_Lb0EPcS9_PS6_SA_NS0_19identity_decomposerEEE10hipError_tT1_T2_T3_T4_jRjT5_jjP12ihipStream_tbEUlT_E_NS1_11comp_targetILNS1_3genE10ELNS1_11target_archE1200ELNS1_3gpuE4ELNS1_3repE0EEENS1_44radix_sort_block_sort_config_static_selectorELNS0_4arch9wavefront6targetE1EEEvSD_,"axG",@progbits,_ZN7rocprim17ROCPRIM_400000_NS6detail17trampoline_kernelINS0_13kernel_configILj256ELj4ELj4294967295EEENS1_37radix_sort_block_sort_config_selectorIcNS0_10empty_typeEEEZNS1_21radix_sort_block_sortIS4_Lb0EPcS9_PS6_SA_NS0_19identity_decomposerEEE10hipError_tT1_T2_T3_T4_jRjT5_jjP12ihipStream_tbEUlT_E_NS1_11comp_targetILNS1_3genE10ELNS1_11target_archE1200ELNS1_3gpuE4ELNS1_3repE0EEENS1_44radix_sort_block_sort_config_static_selectorELNS0_4arch9wavefront6targetE1EEEvSD_,comdat
	.protected	_ZN7rocprim17ROCPRIM_400000_NS6detail17trampoline_kernelINS0_13kernel_configILj256ELj4ELj4294967295EEENS1_37radix_sort_block_sort_config_selectorIcNS0_10empty_typeEEEZNS1_21radix_sort_block_sortIS4_Lb0EPcS9_PS6_SA_NS0_19identity_decomposerEEE10hipError_tT1_T2_T3_T4_jRjT5_jjP12ihipStream_tbEUlT_E_NS1_11comp_targetILNS1_3genE10ELNS1_11target_archE1200ELNS1_3gpuE4ELNS1_3repE0EEENS1_44radix_sort_block_sort_config_static_selectorELNS0_4arch9wavefront6targetE1EEEvSD_ ; -- Begin function _ZN7rocprim17ROCPRIM_400000_NS6detail17trampoline_kernelINS0_13kernel_configILj256ELj4ELj4294967295EEENS1_37radix_sort_block_sort_config_selectorIcNS0_10empty_typeEEEZNS1_21radix_sort_block_sortIS4_Lb0EPcS9_PS6_SA_NS0_19identity_decomposerEEE10hipError_tT1_T2_T3_T4_jRjT5_jjP12ihipStream_tbEUlT_E_NS1_11comp_targetILNS1_3genE10ELNS1_11target_archE1200ELNS1_3gpuE4ELNS1_3repE0EEENS1_44radix_sort_block_sort_config_static_selectorELNS0_4arch9wavefront6targetE1EEEvSD_
	.globl	_ZN7rocprim17ROCPRIM_400000_NS6detail17trampoline_kernelINS0_13kernel_configILj256ELj4ELj4294967295EEENS1_37radix_sort_block_sort_config_selectorIcNS0_10empty_typeEEEZNS1_21radix_sort_block_sortIS4_Lb0EPcS9_PS6_SA_NS0_19identity_decomposerEEE10hipError_tT1_T2_T3_T4_jRjT5_jjP12ihipStream_tbEUlT_E_NS1_11comp_targetILNS1_3genE10ELNS1_11target_archE1200ELNS1_3gpuE4ELNS1_3repE0EEENS1_44radix_sort_block_sort_config_static_selectorELNS0_4arch9wavefront6targetE1EEEvSD_
	.p2align	8
	.type	_ZN7rocprim17ROCPRIM_400000_NS6detail17trampoline_kernelINS0_13kernel_configILj256ELj4ELj4294967295EEENS1_37radix_sort_block_sort_config_selectorIcNS0_10empty_typeEEEZNS1_21radix_sort_block_sortIS4_Lb0EPcS9_PS6_SA_NS0_19identity_decomposerEEE10hipError_tT1_T2_T3_T4_jRjT5_jjP12ihipStream_tbEUlT_E_NS1_11comp_targetILNS1_3genE10ELNS1_11target_archE1200ELNS1_3gpuE4ELNS1_3repE0EEENS1_44radix_sort_block_sort_config_static_selectorELNS0_4arch9wavefront6targetE1EEEvSD_,@function
_ZN7rocprim17ROCPRIM_400000_NS6detail17trampoline_kernelINS0_13kernel_configILj256ELj4ELj4294967295EEENS1_37radix_sort_block_sort_config_selectorIcNS0_10empty_typeEEEZNS1_21radix_sort_block_sortIS4_Lb0EPcS9_PS6_SA_NS0_19identity_decomposerEEE10hipError_tT1_T2_T3_T4_jRjT5_jjP12ihipStream_tbEUlT_E_NS1_11comp_targetILNS1_3genE10ELNS1_11target_archE1200ELNS1_3gpuE4ELNS1_3repE0EEENS1_44radix_sort_block_sort_config_static_selectorELNS0_4arch9wavefront6targetE1EEEvSD_: ; @_ZN7rocprim17ROCPRIM_400000_NS6detail17trampoline_kernelINS0_13kernel_configILj256ELj4ELj4294967295EEENS1_37radix_sort_block_sort_config_selectorIcNS0_10empty_typeEEEZNS1_21radix_sort_block_sortIS4_Lb0EPcS9_PS6_SA_NS0_19identity_decomposerEEE10hipError_tT1_T2_T3_T4_jRjT5_jjP12ihipStream_tbEUlT_E_NS1_11comp_targetILNS1_3genE10ELNS1_11target_archE1200ELNS1_3gpuE4ELNS1_3repE0EEENS1_44radix_sort_block_sort_config_static_selectorELNS0_4arch9wavefront6targetE1EEEvSD_
; %bb.0:
	.section	.rodata,"a",@progbits
	.p2align	6, 0x0
	.amdhsa_kernel _ZN7rocprim17ROCPRIM_400000_NS6detail17trampoline_kernelINS0_13kernel_configILj256ELj4ELj4294967295EEENS1_37radix_sort_block_sort_config_selectorIcNS0_10empty_typeEEEZNS1_21radix_sort_block_sortIS4_Lb0EPcS9_PS6_SA_NS0_19identity_decomposerEEE10hipError_tT1_T2_T3_T4_jRjT5_jjP12ihipStream_tbEUlT_E_NS1_11comp_targetILNS1_3genE10ELNS1_11target_archE1200ELNS1_3gpuE4ELNS1_3repE0EEENS1_44radix_sort_block_sort_config_static_selectorELNS0_4arch9wavefront6targetE1EEEvSD_
		.amdhsa_group_segment_fixed_size 0
		.amdhsa_private_segment_fixed_size 0
		.amdhsa_kernarg_size 48
		.amdhsa_user_sgpr_count 6
		.amdhsa_user_sgpr_private_segment_buffer 1
		.amdhsa_user_sgpr_dispatch_ptr 0
		.amdhsa_user_sgpr_queue_ptr 0
		.amdhsa_user_sgpr_kernarg_segment_ptr 1
		.amdhsa_user_sgpr_dispatch_id 0
		.amdhsa_user_sgpr_flat_scratch_init 0
		.amdhsa_user_sgpr_kernarg_preload_length 0
		.amdhsa_user_sgpr_kernarg_preload_offset 0
		.amdhsa_user_sgpr_private_segment_size 0
		.amdhsa_uses_dynamic_stack 0
		.amdhsa_system_sgpr_private_segment_wavefront_offset 0
		.amdhsa_system_sgpr_workgroup_id_x 1
		.amdhsa_system_sgpr_workgroup_id_y 0
		.amdhsa_system_sgpr_workgroup_id_z 0
		.amdhsa_system_sgpr_workgroup_info 0
		.amdhsa_system_vgpr_workitem_id 0
		.amdhsa_next_free_vgpr 1
		.amdhsa_next_free_sgpr 0
		.amdhsa_accum_offset 4
		.amdhsa_reserve_vcc 0
		.amdhsa_reserve_flat_scratch 0
		.amdhsa_float_round_mode_32 0
		.amdhsa_float_round_mode_16_64 0
		.amdhsa_float_denorm_mode_32 3
		.amdhsa_float_denorm_mode_16_64 3
		.amdhsa_dx10_clamp 1
		.amdhsa_ieee_mode 1
		.amdhsa_fp16_overflow 0
		.amdhsa_tg_split 0
		.amdhsa_exception_fp_ieee_invalid_op 0
		.amdhsa_exception_fp_denorm_src 0
		.amdhsa_exception_fp_ieee_div_zero 0
		.amdhsa_exception_fp_ieee_overflow 0
		.amdhsa_exception_fp_ieee_underflow 0
		.amdhsa_exception_fp_ieee_inexact 0
		.amdhsa_exception_int_div_zero 0
	.end_amdhsa_kernel
	.section	.text._ZN7rocprim17ROCPRIM_400000_NS6detail17trampoline_kernelINS0_13kernel_configILj256ELj4ELj4294967295EEENS1_37radix_sort_block_sort_config_selectorIcNS0_10empty_typeEEEZNS1_21radix_sort_block_sortIS4_Lb0EPcS9_PS6_SA_NS0_19identity_decomposerEEE10hipError_tT1_T2_T3_T4_jRjT5_jjP12ihipStream_tbEUlT_E_NS1_11comp_targetILNS1_3genE10ELNS1_11target_archE1200ELNS1_3gpuE4ELNS1_3repE0EEENS1_44radix_sort_block_sort_config_static_selectorELNS0_4arch9wavefront6targetE1EEEvSD_,"axG",@progbits,_ZN7rocprim17ROCPRIM_400000_NS6detail17trampoline_kernelINS0_13kernel_configILj256ELj4ELj4294967295EEENS1_37radix_sort_block_sort_config_selectorIcNS0_10empty_typeEEEZNS1_21radix_sort_block_sortIS4_Lb0EPcS9_PS6_SA_NS0_19identity_decomposerEEE10hipError_tT1_T2_T3_T4_jRjT5_jjP12ihipStream_tbEUlT_E_NS1_11comp_targetILNS1_3genE10ELNS1_11target_archE1200ELNS1_3gpuE4ELNS1_3repE0EEENS1_44radix_sort_block_sort_config_static_selectorELNS0_4arch9wavefront6targetE1EEEvSD_,comdat
.Lfunc_end6:
	.size	_ZN7rocprim17ROCPRIM_400000_NS6detail17trampoline_kernelINS0_13kernel_configILj256ELj4ELj4294967295EEENS1_37radix_sort_block_sort_config_selectorIcNS0_10empty_typeEEEZNS1_21radix_sort_block_sortIS4_Lb0EPcS9_PS6_SA_NS0_19identity_decomposerEEE10hipError_tT1_T2_T3_T4_jRjT5_jjP12ihipStream_tbEUlT_E_NS1_11comp_targetILNS1_3genE10ELNS1_11target_archE1200ELNS1_3gpuE4ELNS1_3repE0EEENS1_44radix_sort_block_sort_config_static_selectorELNS0_4arch9wavefront6targetE1EEEvSD_, .Lfunc_end6-_ZN7rocprim17ROCPRIM_400000_NS6detail17trampoline_kernelINS0_13kernel_configILj256ELj4ELj4294967295EEENS1_37radix_sort_block_sort_config_selectorIcNS0_10empty_typeEEEZNS1_21radix_sort_block_sortIS4_Lb0EPcS9_PS6_SA_NS0_19identity_decomposerEEE10hipError_tT1_T2_T3_T4_jRjT5_jjP12ihipStream_tbEUlT_E_NS1_11comp_targetILNS1_3genE10ELNS1_11target_archE1200ELNS1_3gpuE4ELNS1_3repE0EEENS1_44radix_sort_block_sort_config_static_selectorELNS0_4arch9wavefront6targetE1EEEvSD_
                                        ; -- End function
	.section	.AMDGPU.csdata,"",@progbits
; Kernel info:
; codeLenInByte = 0
; NumSgprs: 4
; NumVgprs: 0
; NumAgprs: 0
; TotalNumVgprs: 0
; ScratchSize: 0
; MemoryBound: 0
; FloatMode: 240
; IeeeMode: 1
; LDSByteSize: 0 bytes/workgroup (compile time only)
; SGPRBlocks: 0
; VGPRBlocks: 0
; NumSGPRsForWavesPerEU: 4
; NumVGPRsForWavesPerEU: 1
; AccumOffset: 4
; Occupancy: 8
; WaveLimiterHint : 0
; COMPUTE_PGM_RSRC2:SCRATCH_EN: 0
; COMPUTE_PGM_RSRC2:USER_SGPR: 6
; COMPUTE_PGM_RSRC2:TRAP_HANDLER: 0
; COMPUTE_PGM_RSRC2:TGID_X_EN: 1
; COMPUTE_PGM_RSRC2:TGID_Y_EN: 0
; COMPUTE_PGM_RSRC2:TGID_Z_EN: 0
; COMPUTE_PGM_RSRC2:TIDIG_COMP_CNT: 0
; COMPUTE_PGM_RSRC3_GFX90A:ACCUM_OFFSET: 0
; COMPUTE_PGM_RSRC3_GFX90A:TG_SPLIT: 0
	.section	.text._ZN7rocprim17ROCPRIM_400000_NS6detail17trampoline_kernelINS0_13kernel_configILj256ELj4ELj4294967295EEENS1_37radix_sort_block_sort_config_selectorIcNS0_10empty_typeEEEZNS1_21radix_sort_block_sortIS4_Lb0EPcS9_PS6_SA_NS0_19identity_decomposerEEE10hipError_tT1_T2_T3_T4_jRjT5_jjP12ihipStream_tbEUlT_E_NS1_11comp_targetILNS1_3genE9ELNS1_11target_archE1100ELNS1_3gpuE3ELNS1_3repE0EEENS1_44radix_sort_block_sort_config_static_selectorELNS0_4arch9wavefront6targetE1EEEvSD_,"axG",@progbits,_ZN7rocprim17ROCPRIM_400000_NS6detail17trampoline_kernelINS0_13kernel_configILj256ELj4ELj4294967295EEENS1_37radix_sort_block_sort_config_selectorIcNS0_10empty_typeEEEZNS1_21radix_sort_block_sortIS4_Lb0EPcS9_PS6_SA_NS0_19identity_decomposerEEE10hipError_tT1_T2_T3_T4_jRjT5_jjP12ihipStream_tbEUlT_E_NS1_11comp_targetILNS1_3genE9ELNS1_11target_archE1100ELNS1_3gpuE3ELNS1_3repE0EEENS1_44radix_sort_block_sort_config_static_selectorELNS0_4arch9wavefront6targetE1EEEvSD_,comdat
	.protected	_ZN7rocprim17ROCPRIM_400000_NS6detail17trampoline_kernelINS0_13kernel_configILj256ELj4ELj4294967295EEENS1_37radix_sort_block_sort_config_selectorIcNS0_10empty_typeEEEZNS1_21radix_sort_block_sortIS4_Lb0EPcS9_PS6_SA_NS0_19identity_decomposerEEE10hipError_tT1_T2_T3_T4_jRjT5_jjP12ihipStream_tbEUlT_E_NS1_11comp_targetILNS1_3genE9ELNS1_11target_archE1100ELNS1_3gpuE3ELNS1_3repE0EEENS1_44radix_sort_block_sort_config_static_selectorELNS0_4arch9wavefront6targetE1EEEvSD_ ; -- Begin function _ZN7rocprim17ROCPRIM_400000_NS6detail17trampoline_kernelINS0_13kernel_configILj256ELj4ELj4294967295EEENS1_37radix_sort_block_sort_config_selectorIcNS0_10empty_typeEEEZNS1_21radix_sort_block_sortIS4_Lb0EPcS9_PS6_SA_NS0_19identity_decomposerEEE10hipError_tT1_T2_T3_T4_jRjT5_jjP12ihipStream_tbEUlT_E_NS1_11comp_targetILNS1_3genE9ELNS1_11target_archE1100ELNS1_3gpuE3ELNS1_3repE0EEENS1_44radix_sort_block_sort_config_static_selectorELNS0_4arch9wavefront6targetE1EEEvSD_
	.globl	_ZN7rocprim17ROCPRIM_400000_NS6detail17trampoline_kernelINS0_13kernel_configILj256ELj4ELj4294967295EEENS1_37radix_sort_block_sort_config_selectorIcNS0_10empty_typeEEEZNS1_21radix_sort_block_sortIS4_Lb0EPcS9_PS6_SA_NS0_19identity_decomposerEEE10hipError_tT1_T2_T3_T4_jRjT5_jjP12ihipStream_tbEUlT_E_NS1_11comp_targetILNS1_3genE9ELNS1_11target_archE1100ELNS1_3gpuE3ELNS1_3repE0EEENS1_44radix_sort_block_sort_config_static_selectorELNS0_4arch9wavefront6targetE1EEEvSD_
	.p2align	8
	.type	_ZN7rocprim17ROCPRIM_400000_NS6detail17trampoline_kernelINS0_13kernel_configILj256ELj4ELj4294967295EEENS1_37radix_sort_block_sort_config_selectorIcNS0_10empty_typeEEEZNS1_21radix_sort_block_sortIS4_Lb0EPcS9_PS6_SA_NS0_19identity_decomposerEEE10hipError_tT1_T2_T3_T4_jRjT5_jjP12ihipStream_tbEUlT_E_NS1_11comp_targetILNS1_3genE9ELNS1_11target_archE1100ELNS1_3gpuE3ELNS1_3repE0EEENS1_44radix_sort_block_sort_config_static_selectorELNS0_4arch9wavefront6targetE1EEEvSD_,@function
_ZN7rocprim17ROCPRIM_400000_NS6detail17trampoline_kernelINS0_13kernel_configILj256ELj4ELj4294967295EEENS1_37radix_sort_block_sort_config_selectorIcNS0_10empty_typeEEEZNS1_21radix_sort_block_sortIS4_Lb0EPcS9_PS6_SA_NS0_19identity_decomposerEEE10hipError_tT1_T2_T3_T4_jRjT5_jjP12ihipStream_tbEUlT_E_NS1_11comp_targetILNS1_3genE9ELNS1_11target_archE1100ELNS1_3gpuE3ELNS1_3repE0EEENS1_44radix_sort_block_sort_config_static_selectorELNS0_4arch9wavefront6targetE1EEEvSD_: ; @_ZN7rocprim17ROCPRIM_400000_NS6detail17trampoline_kernelINS0_13kernel_configILj256ELj4ELj4294967295EEENS1_37radix_sort_block_sort_config_selectorIcNS0_10empty_typeEEEZNS1_21radix_sort_block_sortIS4_Lb0EPcS9_PS6_SA_NS0_19identity_decomposerEEE10hipError_tT1_T2_T3_T4_jRjT5_jjP12ihipStream_tbEUlT_E_NS1_11comp_targetILNS1_3genE9ELNS1_11target_archE1100ELNS1_3gpuE3ELNS1_3repE0EEENS1_44radix_sort_block_sort_config_static_selectorELNS0_4arch9wavefront6targetE1EEEvSD_
; %bb.0:
	.section	.rodata,"a",@progbits
	.p2align	6, 0x0
	.amdhsa_kernel _ZN7rocprim17ROCPRIM_400000_NS6detail17trampoline_kernelINS0_13kernel_configILj256ELj4ELj4294967295EEENS1_37radix_sort_block_sort_config_selectorIcNS0_10empty_typeEEEZNS1_21radix_sort_block_sortIS4_Lb0EPcS9_PS6_SA_NS0_19identity_decomposerEEE10hipError_tT1_T2_T3_T4_jRjT5_jjP12ihipStream_tbEUlT_E_NS1_11comp_targetILNS1_3genE9ELNS1_11target_archE1100ELNS1_3gpuE3ELNS1_3repE0EEENS1_44radix_sort_block_sort_config_static_selectorELNS0_4arch9wavefront6targetE1EEEvSD_
		.amdhsa_group_segment_fixed_size 0
		.amdhsa_private_segment_fixed_size 0
		.amdhsa_kernarg_size 48
		.amdhsa_user_sgpr_count 6
		.amdhsa_user_sgpr_private_segment_buffer 1
		.amdhsa_user_sgpr_dispatch_ptr 0
		.amdhsa_user_sgpr_queue_ptr 0
		.amdhsa_user_sgpr_kernarg_segment_ptr 1
		.amdhsa_user_sgpr_dispatch_id 0
		.amdhsa_user_sgpr_flat_scratch_init 0
		.amdhsa_user_sgpr_kernarg_preload_length 0
		.amdhsa_user_sgpr_kernarg_preload_offset 0
		.amdhsa_user_sgpr_private_segment_size 0
		.amdhsa_uses_dynamic_stack 0
		.amdhsa_system_sgpr_private_segment_wavefront_offset 0
		.amdhsa_system_sgpr_workgroup_id_x 1
		.amdhsa_system_sgpr_workgroup_id_y 0
		.amdhsa_system_sgpr_workgroup_id_z 0
		.amdhsa_system_sgpr_workgroup_info 0
		.amdhsa_system_vgpr_workitem_id 0
		.amdhsa_next_free_vgpr 1
		.amdhsa_next_free_sgpr 0
		.amdhsa_accum_offset 4
		.amdhsa_reserve_vcc 0
		.amdhsa_reserve_flat_scratch 0
		.amdhsa_float_round_mode_32 0
		.amdhsa_float_round_mode_16_64 0
		.amdhsa_float_denorm_mode_32 3
		.amdhsa_float_denorm_mode_16_64 3
		.amdhsa_dx10_clamp 1
		.amdhsa_ieee_mode 1
		.amdhsa_fp16_overflow 0
		.amdhsa_tg_split 0
		.amdhsa_exception_fp_ieee_invalid_op 0
		.amdhsa_exception_fp_denorm_src 0
		.amdhsa_exception_fp_ieee_div_zero 0
		.amdhsa_exception_fp_ieee_overflow 0
		.amdhsa_exception_fp_ieee_underflow 0
		.amdhsa_exception_fp_ieee_inexact 0
		.amdhsa_exception_int_div_zero 0
	.end_amdhsa_kernel
	.section	.text._ZN7rocprim17ROCPRIM_400000_NS6detail17trampoline_kernelINS0_13kernel_configILj256ELj4ELj4294967295EEENS1_37radix_sort_block_sort_config_selectorIcNS0_10empty_typeEEEZNS1_21radix_sort_block_sortIS4_Lb0EPcS9_PS6_SA_NS0_19identity_decomposerEEE10hipError_tT1_T2_T3_T4_jRjT5_jjP12ihipStream_tbEUlT_E_NS1_11comp_targetILNS1_3genE9ELNS1_11target_archE1100ELNS1_3gpuE3ELNS1_3repE0EEENS1_44radix_sort_block_sort_config_static_selectorELNS0_4arch9wavefront6targetE1EEEvSD_,"axG",@progbits,_ZN7rocprim17ROCPRIM_400000_NS6detail17trampoline_kernelINS0_13kernel_configILj256ELj4ELj4294967295EEENS1_37radix_sort_block_sort_config_selectorIcNS0_10empty_typeEEEZNS1_21radix_sort_block_sortIS4_Lb0EPcS9_PS6_SA_NS0_19identity_decomposerEEE10hipError_tT1_T2_T3_T4_jRjT5_jjP12ihipStream_tbEUlT_E_NS1_11comp_targetILNS1_3genE9ELNS1_11target_archE1100ELNS1_3gpuE3ELNS1_3repE0EEENS1_44radix_sort_block_sort_config_static_selectorELNS0_4arch9wavefront6targetE1EEEvSD_,comdat
.Lfunc_end7:
	.size	_ZN7rocprim17ROCPRIM_400000_NS6detail17trampoline_kernelINS0_13kernel_configILj256ELj4ELj4294967295EEENS1_37radix_sort_block_sort_config_selectorIcNS0_10empty_typeEEEZNS1_21radix_sort_block_sortIS4_Lb0EPcS9_PS6_SA_NS0_19identity_decomposerEEE10hipError_tT1_T2_T3_T4_jRjT5_jjP12ihipStream_tbEUlT_E_NS1_11comp_targetILNS1_3genE9ELNS1_11target_archE1100ELNS1_3gpuE3ELNS1_3repE0EEENS1_44radix_sort_block_sort_config_static_selectorELNS0_4arch9wavefront6targetE1EEEvSD_, .Lfunc_end7-_ZN7rocprim17ROCPRIM_400000_NS6detail17trampoline_kernelINS0_13kernel_configILj256ELj4ELj4294967295EEENS1_37radix_sort_block_sort_config_selectorIcNS0_10empty_typeEEEZNS1_21radix_sort_block_sortIS4_Lb0EPcS9_PS6_SA_NS0_19identity_decomposerEEE10hipError_tT1_T2_T3_T4_jRjT5_jjP12ihipStream_tbEUlT_E_NS1_11comp_targetILNS1_3genE9ELNS1_11target_archE1100ELNS1_3gpuE3ELNS1_3repE0EEENS1_44radix_sort_block_sort_config_static_selectorELNS0_4arch9wavefront6targetE1EEEvSD_
                                        ; -- End function
	.section	.AMDGPU.csdata,"",@progbits
; Kernel info:
; codeLenInByte = 0
; NumSgprs: 4
; NumVgprs: 0
; NumAgprs: 0
; TotalNumVgprs: 0
; ScratchSize: 0
; MemoryBound: 0
; FloatMode: 240
; IeeeMode: 1
; LDSByteSize: 0 bytes/workgroup (compile time only)
; SGPRBlocks: 0
; VGPRBlocks: 0
; NumSGPRsForWavesPerEU: 4
; NumVGPRsForWavesPerEU: 1
; AccumOffset: 4
; Occupancy: 8
; WaveLimiterHint : 0
; COMPUTE_PGM_RSRC2:SCRATCH_EN: 0
; COMPUTE_PGM_RSRC2:USER_SGPR: 6
; COMPUTE_PGM_RSRC2:TRAP_HANDLER: 0
; COMPUTE_PGM_RSRC2:TGID_X_EN: 1
; COMPUTE_PGM_RSRC2:TGID_Y_EN: 0
; COMPUTE_PGM_RSRC2:TGID_Z_EN: 0
; COMPUTE_PGM_RSRC2:TIDIG_COMP_CNT: 0
; COMPUTE_PGM_RSRC3_GFX90A:ACCUM_OFFSET: 0
; COMPUTE_PGM_RSRC3_GFX90A:TG_SPLIT: 0
	.section	.text._ZN7rocprim17ROCPRIM_400000_NS6detail17trampoline_kernelINS0_13kernel_configILj256ELj4ELj4294967295EEENS1_37radix_sort_block_sort_config_selectorIcNS0_10empty_typeEEEZNS1_21radix_sort_block_sortIS4_Lb0EPcS9_PS6_SA_NS0_19identity_decomposerEEE10hipError_tT1_T2_T3_T4_jRjT5_jjP12ihipStream_tbEUlT_E_NS1_11comp_targetILNS1_3genE8ELNS1_11target_archE1030ELNS1_3gpuE2ELNS1_3repE0EEENS1_44radix_sort_block_sort_config_static_selectorELNS0_4arch9wavefront6targetE1EEEvSD_,"axG",@progbits,_ZN7rocprim17ROCPRIM_400000_NS6detail17trampoline_kernelINS0_13kernel_configILj256ELj4ELj4294967295EEENS1_37radix_sort_block_sort_config_selectorIcNS0_10empty_typeEEEZNS1_21radix_sort_block_sortIS4_Lb0EPcS9_PS6_SA_NS0_19identity_decomposerEEE10hipError_tT1_T2_T3_T4_jRjT5_jjP12ihipStream_tbEUlT_E_NS1_11comp_targetILNS1_3genE8ELNS1_11target_archE1030ELNS1_3gpuE2ELNS1_3repE0EEENS1_44radix_sort_block_sort_config_static_selectorELNS0_4arch9wavefront6targetE1EEEvSD_,comdat
	.protected	_ZN7rocprim17ROCPRIM_400000_NS6detail17trampoline_kernelINS0_13kernel_configILj256ELj4ELj4294967295EEENS1_37radix_sort_block_sort_config_selectorIcNS0_10empty_typeEEEZNS1_21radix_sort_block_sortIS4_Lb0EPcS9_PS6_SA_NS0_19identity_decomposerEEE10hipError_tT1_T2_T3_T4_jRjT5_jjP12ihipStream_tbEUlT_E_NS1_11comp_targetILNS1_3genE8ELNS1_11target_archE1030ELNS1_3gpuE2ELNS1_3repE0EEENS1_44radix_sort_block_sort_config_static_selectorELNS0_4arch9wavefront6targetE1EEEvSD_ ; -- Begin function _ZN7rocprim17ROCPRIM_400000_NS6detail17trampoline_kernelINS0_13kernel_configILj256ELj4ELj4294967295EEENS1_37radix_sort_block_sort_config_selectorIcNS0_10empty_typeEEEZNS1_21radix_sort_block_sortIS4_Lb0EPcS9_PS6_SA_NS0_19identity_decomposerEEE10hipError_tT1_T2_T3_T4_jRjT5_jjP12ihipStream_tbEUlT_E_NS1_11comp_targetILNS1_3genE8ELNS1_11target_archE1030ELNS1_3gpuE2ELNS1_3repE0EEENS1_44radix_sort_block_sort_config_static_selectorELNS0_4arch9wavefront6targetE1EEEvSD_
	.globl	_ZN7rocprim17ROCPRIM_400000_NS6detail17trampoline_kernelINS0_13kernel_configILj256ELj4ELj4294967295EEENS1_37radix_sort_block_sort_config_selectorIcNS0_10empty_typeEEEZNS1_21radix_sort_block_sortIS4_Lb0EPcS9_PS6_SA_NS0_19identity_decomposerEEE10hipError_tT1_T2_T3_T4_jRjT5_jjP12ihipStream_tbEUlT_E_NS1_11comp_targetILNS1_3genE8ELNS1_11target_archE1030ELNS1_3gpuE2ELNS1_3repE0EEENS1_44radix_sort_block_sort_config_static_selectorELNS0_4arch9wavefront6targetE1EEEvSD_
	.p2align	8
	.type	_ZN7rocprim17ROCPRIM_400000_NS6detail17trampoline_kernelINS0_13kernel_configILj256ELj4ELj4294967295EEENS1_37radix_sort_block_sort_config_selectorIcNS0_10empty_typeEEEZNS1_21radix_sort_block_sortIS4_Lb0EPcS9_PS6_SA_NS0_19identity_decomposerEEE10hipError_tT1_T2_T3_T4_jRjT5_jjP12ihipStream_tbEUlT_E_NS1_11comp_targetILNS1_3genE8ELNS1_11target_archE1030ELNS1_3gpuE2ELNS1_3repE0EEENS1_44radix_sort_block_sort_config_static_selectorELNS0_4arch9wavefront6targetE1EEEvSD_,@function
_ZN7rocprim17ROCPRIM_400000_NS6detail17trampoline_kernelINS0_13kernel_configILj256ELj4ELj4294967295EEENS1_37radix_sort_block_sort_config_selectorIcNS0_10empty_typeEEEZNS1_21radix_sort_block_sortIS4_Lb0EPcS9_PS6_SA_NS0_19identity_decomposerEEE10hipError_tT1_T2_T3_T4_jRjT5_jjP12ihipStream_tbEUlT_E_NS1_11comp_targetILNS1_3genE8ELNS1_11target_archE1030ELNS1_3gpuE2ELNS1_3repE0EEENS1_44radix_sort_block_sort_config_static_selectorELNS0_4arch9wavefront6targetE1EEEvSD_: ; @_ZN7rocprim17ROCPRIM_400000_NS6detail17trampoline_kernelINS0_13kernel_configILj256ELj4ELj4294967295EEENS1_37radix_sort_block_sort_config_selectorIcNS0_10empty_typeEEEZNS1_21radix_sort_block_sortIS4_Lb0EPcS9_PS6_SA_NS0_19identity_decomposerEEE10hipError_tT1_T2_T3_T4_jRjT5_jjP12ihipStream_tbEUlT_E_NS1_11comp_targetILNS1_3genE8ELNS1_11target_archE1030ELNS1_3gpuE2ELNS1_3repE0EEENS1_44radix_sort_block_sort_config_static_selectorELNS0_4arch9wavefront6targetE1EEEvSD_
; %bb.0:
	.section	.rodata,"a",@progbits
	.p2align	6, 0x0
	.amdhsa_kernel _ZN7rocprim17ROCPRIM_400000_NS6detail17trampoline_kernelINS0_13kernel_configILj256ELj4ELj4294967295EEENS1_37radix_sort_block_sort_config_selectorIcNS0_10empty_typeEEEZNS1_21radix_sort_block_sortIS4_Lb0EPcS9_PS6_SA_NS0_19identity_decomposerEEE10hipError_tT1_T2_T3_T4_jRjT5_jjP12ihipStream_tbEUlT_E_NS1_11comp_targetILNS1_3genE8ELNS1_11target_archE1030ELNS1_3gpuE2ELNS1_3repE0EEENS1_44radix_sort_block_sort_config_static_selectorELNS0_4arch9wavefront6targetE1EEEvSD_
		.amdhsa_group_segment_fixed_size 0
		.amdhsa_private_segment_fixed_size 0
		.amdhsa_kernarg_size 48
		.amdhsa_user_sgpr_count 6
		.amdhsa_user_sgpr_private_segment_buffer 1
		.amdhsa_user_sgpr_dispatch_ptr 0
		.amdhsa_user_sgpr_queue_ptr 0
		.amdhsa_user_sgpr_kernarg_segment_ptr 1
		.amdhsa_user_sgpr_dispatch_id 0
		.amdhsa_user_sgpr_flat_scratch_init 0
		.amdhsa_user_sgpr_kernarg_preload_length 0
		.amdhsa_user_sgpr_kernarg_preload_offset 0
		.amdhsa_user_sgpr_private_segment_size 0
		.amdhsa_uses_dynamic_stack 0
		.amdhsa_system_sgpr_private_segment_wavefront_offset 0
		.amdhsa_system_sgpr_workgroup_id_x 1
		.amdhsa_system_sgpr_workgroup_id_y 0
		.amdhsa_system_sgpr_workgroup_id_z 0
		.amdhsa_system_sgpr_workgroup_info 0
		.amdhsa_system_vgpr_workitem_id 0
		.amdhsa_next_free_vgpr 1
		.amdhsa_next_free_sgpr 0
		.amdhsa_accum_offset 4
		.amdhsa_reserve_vcc 0
		.amdhsa_reserve_flat_scratch 0
		.amdhsa_float_round_mode_32 0
		.amdhsa_float_round_mode_16_64 0
		.amdhsa_float_denorm_mode_32 3
		.amdhsa_float_denorm_mode_16_64 3
		.amdhsa_dx10_clamp 1
		.amdhsa_ieee_mode 1
		.amdhsa_fp16_overflow 0
		.amdhsa_tg_split 0
		.amdhsa_exception_fp_ieee_invalid_op 0
		.amdhsa_exception_fp_denorm_src 0
		.amdhsa_exception_fp_ieee_div_zero 0
		.amdhsa_exception_fp_ieee_overflow 0
		.amdhsa_exception_fp_ieee_underflow 0
		.amdhsa_exception_fp_ieee_inexact 0
		.amdhsa_exception_int_div_zero 0
	.end_amdhsa_kernel
	.section	.text._ZN7rocprim17ROCPRIM_400000_NS6detail17trampoline_kernelINS0_13kernel_configILj256ELj4ELj4294967295EEENS1_37radix_sort_block_sort_config_selectorIcNS0_10empty_typeEEEZNS1_21radix_sort_block_sortIS4_Lb0EPcS9_PS6_SA_NS0_19identity_decomposerEEE10hipError_tT1_T2_T3_T4_jRjT5_jjP12ihipStream_tbEUlT_E_NS1_11comp_targetILNS1_3genE8ELNS1_11target_archE1030ELNS1_3gpuE2ELNS1_3repE0EEENS1_44radix_sort_block_sort_config_static_selectorELNS0_4arch9wavefront6targetE1EEEvSD_,"axG",@progbits,_ZN7rocprim17ROCPRIM_400000_NS6detail17trampoline_kernelINS0_13kernel_configILj256ELj4ELj4294967295EEENS1_37radix_sort_block_sort_config_selectorIcNS0_10empty_typeEEEZNS1_21radix_sort_block_sortIS4_Lb0EPcS9_PS6_SA_NS0_19identity_decomposerEEE10hipError_tT1_T2_T3_T4_jRjT5_jjP12ihipStream_tbEUlT_E_NS1_11comp_targetILNS1_3genE8ELNS1_11target_archE1030ELNS1_3gpuE2ELNS1_3repE0EEENS1_44radix_sort_block_sort_config_static_selectorELNS0_4arch9wavefront6targetE1EEEvSD_,comdat
.Lfunc_end8:
	.size	_ZN7rocprim17ROCPRIM_400000_NS6detail17trampoline_kernelINS0_13kernel_configILj256ELj4ELj4294967295EEENS1_37radix_sort_block_sort_config_selectorIcNS0_10empty_typeEEEZNS1_21radix_sort_block_sortIS4_Lb0EPcS9_PS6_SA_NS0_19identity_decomposerEEE10hipError_tT1_T2_T3_T4_jRjT5_jjP12ihipStream_tbEUlT_E_NS1_11comp_targetILNS1_3genE8ELNS1_11target_archE1030ELNS1_3gpuE2ELNS1_3repE0EEENS1_44radix_sort_block_sort_config_static_selectorELNS0_4arch9wavefront6targetE1EEEvSD_, .Lfunc_end8-_ZN7rocprim17ROCPRIM_400000_NS6detail17trampoline_kernelINS0_13kernel_configILj256ELj4ELj4294967295EEENS1_37radix_sort_block_sort_config_selectorIcNS0_10empty_typeEEEZNS1_21radix_sort_block_sortIS4_Lb0EPcS9_PS6_SA_NS0_19identity_decomposerEEE10hipError_tT1_T2_T3_T4_jRjT5_jjP12ihipStream_tbEUlT_E_NS1_11comp_targetILNS1_3genE8ELNS1_11target_archE1030ELNS1_3gpuE2ELNS1_3repE0EEENS1_44radix_sort_block_sort_config_static_selectorELNS0_4arch9wavefront6targetE1EEEvSD_
                                        ; -- End function
	.section	.AMDGPU.csdata,"",@progbits
; Kernel info:
; codeLenInByte = 0
; NumSgprs: 4
; NumVgprs: 0
; NumAgprs: 0
; TotalNumVgprs: 0
; ScratchSize: 0
; MemoryBound: 0
; FloatMode: 240
; IeeeMode: 1
; LDSByteSize: 0 bytes/workgroup (compile time only)
; SGPRBlocks: 0
; VGPRBlocks: 0
; NumSGPRsForWavesPerEU: 4
; NumVGPRsForWavesPerEU: 1
; AccumOffset: 4
; Occupancy: 8
; WaveLimiterHint : 0
; COMPUTE_PGM_RSRC2:SCRATCH_EN: 0
; COMPUTE_PGM_RSRC2:USER_SGPR: 6
; COMPUTE_PGM_RSRC2:TRAP_HANDLER: 0
; COMPUTE_PGM_RSRC2:TGID_X_EN: 1
; COMPUTE_PGM_RSRC2:TGID_Y_EN: 0
; COMPUTE_PGM_RSRC2:TGID_Z_EN: 0
; COMPUTE_PGM_RSRC2:TIDIG_COMP_CNT: 0
; COMPUTE_PGM_RSRC3_GFX90A:ACCUM_OFFSET: 0
; COMPUTE_PGM_RSRC3_GFX90A:TG_SPLIT: 0
	.section	.text._ZN7rocprim17ROCPRIM_400000_NS6detail44device_merge_sort_compile_time_verifier_archINS1_11comp_targetILNS1_3genE0ELNS1_11target_archE4294967295ELNS1_3gpuE0ELNS1_3repE0EEES8_NS1_28merge_sort_block_sort_configILj256ELj4ELNS0_20block_sort_algorithmE0EEENS0_14default_configENS1_37merge_sort_block_sort_config_selectorIcNS0_10empty_typeEEENS1_38merge_sort_block_merge_config_selectorIcSE_EEEEvv,"axG",@progbits,_ZN7rocprim17ROCPRIM_400000_NS6detail44device_merge_sort_compile_time_verifier_archINS1_11comp_targetILNS1_3genE0ELNS1_11target_archE4294967295ELNS1_3gpuE0ELNS1_3repE0EEES8_NS1_28merge_sort_block_sort_configILj256ELj4ELNS0_20block_sort_algorithmE0EEENS0_14default_configENS1_37merge_sort_block_sort_config_selectorIcNS0_10empty_typeEEENS1_38merge_sort_block_merge_config_selectorIcSE_EEEEvv,comdat
	.protected	_ZN7rocprim17ROCPRIM_400000_NS6detail44device_merge_sort_compile_time_verifier_archINS1_11comp_targetILNS1_3genE0ELNS1_11target_archE4294967295ELNS1_3gpuE0ELNS1_3repE0EEES8_NS1_28merge_sort_block_sort_configILj256ELj4ELNS0_20block_sort_algorithmE0EEENS0_14default_configENS1_37merge_sort_block_sort_config_selectorIcNS0_10empty_typeEEENS1_38merge_sort_block_merge_config_selectorIcSE_EEEEvv ; -- Begin function _ZN7rocprim17ROCPRIM_400000_NS6detail44device_merge_sort_compile_time_verifier_archINS1_11comp_targetILNS1_3genE0ELNS1_11target_archE4294967295ELNS1_3gpuE0ELNS1_3repE0EEES8_NS1_28merge_sort_block_sort_configILj256ELj4ELNS0_20block_sort_algorithmE0EEENS0_14default_configENS1_37merge_sort_block_sort_config_selectorIcNS0_10empty_typeEEENS1_38merge_sort_block_merge_config_selectorIcSE_EEEEvv
	.globl	_ZN7rocprim17ROCPRIM_400000_NS6detail44device_merge_sort_compile_time_verifier_archINS1_11comp_targetILNS1_3genE0ELNS1_11target_archE4294967295ELNS1_3gpuE0ELNS1_3repE0EEES8_NS1_28merge_sort_block_sort_configILj256ELj4ELNS0_20block_sort_algorithmE0EEENS0_14default_configENS1_37merge_sort_block_sort_config_selectorIcNS0_10empty_typeEEENS1_38merge_sort_block_merge_config_selectorIcSE_EEEEvv
	.p2align	8
	.type	_ZN7rocprim17ROCPRIM_400000_NS6detail44device_merge_sort_compile_time_verifier_archINS1_11comp_targetILNS1_3genE0ELNS1_11target_archE4294967295ELNS1_3gpuE0ELNS1_3repE0EEES8_NS1_28merge_sort_block_sort_configILj256ELj4ELNS0_20block_sort_algorithmE0EEENS0_14default_configENS1_37merge_sort_block_sort_config_selectorIcNS0_10empty_typeEEENS1_38merge_sort_block_merge_config_selectorIcSE_EEEEvv,@function
_ZN7rocprim17ROCPRIM_400000_NS6detail44device_merge_sort_compile_time_verifier_archINS1_11comp_targetILNS1_3genE0ELNS1_11target_archE4294967295ELNS1_3gpuE0ELNS1_3repE0EEES8_NS1_28merge_sort_block_sort_configILj256ELj4ELNS0_20block_sort_algorithmE0EEENS0_14default_configENS1_37merge_sort_block_sort_config_selectorIcNS0_10empty_typeEEENS1_38merge_sort_block_merge_config_selectorIcSE_EEEEvv: ; @_ZN7rocprim17ROCPRIM_400000_NS6detail44device_merge_sort_compile_time_verifier_archINS1_11comp_targetILNS1_3genE0ELNS1_11target_archE4294967295ELNS1_3gpuE0ELNS1_3repE0EEES8_NS1_28merge_sort_block_sort_configILj256ELj4ELNS0_20block_sort_algorithmE0EEENS0_14default_configENS1_37merge_sort_block_sort_config_selectorIcNS0_10empty_typeEEENS1_38merge_sort_block_merge_config_selectorIcSE_EEEEvv
; %bb.0:
	s_endpgm
	.section	.rodata,"a",@progbits
	.p2align	6, 0x0
	.amdhsa_kernel _ZN7rocprim17ROCPRIM_400000_NS6detail44device_merge_sort_compile_time_verifier_archINS1_11comp_targetILNS1_3genE0ELNS1_11target_archE4294967295ELNS1_3gpuE0ELNS1_3repE0EEES8_NS1_28merge_sort_block_sort_configILj256ELj4ELNS0_20block_sort_algorithmE0EEENS0_14default_configENS1_37merge_sort_block_sort_config_selectorIcNS0_10empty_typeEEENS1_38merge_sort_block_merge_config_selectorIcSE_EEEEvv
		.amdhsa_group_segment_fixed_size 0
		.amdhsa_private_segment_fixed_size 0
		.amdhsa_kernarg_size 0
		.amdhsa_user_sgpr_count 4
		.amdhsa_user_sgpr_private_segment_buffer 1
		.amdhsa_user_sgpr_dispatch_ptr 0
		.amdhsa_user_sgpr_queue_ptr 0
		.amdhsa_user_sgpr_kernarg_segment_ptr 0
		.amdhsa_user_sgpr_dispatch_id 0
		.amdhsa_user_sgpr_flat_scratch_init 0
		.amdhsa_user_sgpr_kernarg_preload_length 0
		.amdhsa_user_sgpr_kernarg_preload_offset 0
		.amdhsa_user_sgpr_private_segment_size 0
		.amdhsa_uses_dynamic_stack 0
		.amdhsa_system_sgpr_private_segment_wavefront_offset 0
		.amdhsa_system_sgpr_workgroup_id_x 1
		.amdhsa_system_sgpr_workgroup_id_y 0
		.amdhsa_system_sgpr_workgroup_id_z 0
		.amdhsa_system_sgpr_workgroup_info 0
		.amdhsa_system_vgpr_workitem_id 0
		.amdhsa_next_free_vgpr 1
		.amdhsa_next_free_sgpr 0
		.amdhsa_accum_offset 4
		.amdhsa_reserve_vcc 0
		.amdhsa_reserve_flat_scratch 0
		.amdhsa_float_round_mode_32 0
		.amdhsa_float_round_mode_16_64 0
		.amdhsa_float_denorm_mode_32 3
		.amdhsa_float_denorm_mode_16_64 3
		.amdhsa_dx10_clamp 1
		.amdhsa_ieee_mode 1
		.amdhsa_fp16_overflow 0
		.amdhsa_tg_split 0
		.amdhsa_exception_fp_ieee_invalid_op 0
		.amdhsa_exception_fp_denorm_src 0
		.amdhsa_exception_fp_ieee_div_zero 0
		.amdhsa_exception_fp_ieee_overflow 0
		.amdhsa_exception_fp_ieee_underflow 0
		.amdhsa_exception_fp_ieee_inexact 0
		.amdhsa_exception_int_div_zero 0
	.end_amdhsa_kernel
	.section	.text._ZN7rocprim17ROCPRIM_400000_NS6detail44device_merge_sort_compile_time_verifier_archINS1_11comp_targetILNS1_3genE0ELNS1_11target_archE4294967295ELNS1_3gpuE0ELNS1_3repE0EEES8_NS1_28merge_sort_block_sort_configILj256ELj4ELNS0_20block_sort_algorithmE0EEENS0_14default_configENS1_37merge_sort_block_sort_config_selectorIcNS0_10empty_typeEEENS1_38merge_sort_block_merge_config_selectorIcSE_EEEEvv,"axG",@progbits,_ZN7rocprim17ROCPRIM_400000_NS6detail44device_merge_sort_compile_time_verifier_archINS1_11comp_targetILNS1_3genE0ELNS1_11target_archE4294967295ELNS1_3gpuE0ELNS1_3repE0EEES8_NS1_28merge_sort_block_sort_configILj256ELj4ELNS0_20block_sort_algorithmE0EEENS0_14default_configENS1_37merge_sort_block_sort_config_selectorIcNS0_10empty_typeEEENS1_38merge_sort_block_merge_config_selectorIcSE_EEEEvv,comdat
.Lfunc_end9:
	.size	_ZN7rocprim17ROCPRIM_400000_NS6detail44device_merge_sort_compile_time_verifier_archINS1_11comp_targetILNS1_3genE0ELNS1_11target_archE4294967295ELNS1_3gpuE0ELNS1_3repE0EEES8_NS1_28merge_sort_block_sort_configILj256ELj4ELNS0_20block_sort_algorithmE0EEENS0_14default_configENS1_37merge_sort_block_sort_config_selectorIcNS0_10empty_typeEEENS1_38merge_sort_block_merge_config_selectorIcSE_EEEEvv, .Lfunc_end9-_ZN7rocprim17ROCPRIM_400000_NS6detail44device_merge_sort_compile_time_verifier_archINS1_11comp_targetILNS1_3genE0ELNS1_11target_archE4294967295ELNS1_3gpuE0ELNS1_3repE0EEES8_NS1_28merge_sort_block_sort_configILj256ELj4ELNS0_20block_sort_algorithmE0EEENS0_14default_configENS1_37merge_sort_block_sort_config_selectorIcNS0_10empty_typeEEENS1_38merge_sort_block_merge_config_selectorIcSE_EEEEvv
                                        ; -- End function
	.section	.AMDGPU.csdata,"",@progbits
; Kernel info:
; codeLenInByte = 4
; NumSgprs: 4
; NumVgprs: 0
; NumAgprs: 0
; TotalNumVgprs: 0
; ScratchSize: 0
; MemoryBound: 0
; FloatMode: 240
; IeeeMode: 1
; LDSByteSize: 0 bytes/workgroup (compile time only)
; SGPRBlocks: 0
; VGPRBlocks: 0
; NumSGPRsForWavesPerEU: 4
; NumVGPRsForWavesPerEU: 1
; AccumOffset: 4
; Occupancy: 8
; WaveLimiterHint : 0
; COMPUTE_PGM_RSRC2:SCRATCH_EN: 0
; COMPUTE_PGM_RSRC2:USER_SGPR: 4
; COMPUTE_PGM_RSRC2:TRAP_HANDLER: 0
; COMPUTE_PGM_RSRC2:TGID_X_EN: 1
; COMPUTE_PGM_RSRC2:TGID_Y_EN: 0
; COMPUTE_PGM_RSRC2:TGID_Z_EN: 0
; COMPUTE_PGM_RSRC2:TIDIG_COMP_CNT: 0
; COMPUTE_PGM_RSRC3_GFX90A:ACCUM_OFFSET: 0
; COMPUTE_PGM_RSRC3_GFX90A:TG_SPLIT: 0
	.section	.text._ZN7rocprim17ROCPRIM_400000_NS6detail44device_merge_sort_compile_time_verifier_archINS1_11comp_targetILNS1_3genE5ELNS1_11target_archE942ELNS1_3gpuE9ELNS1_3repE0EEES8_NS1_28merge_sort_block_sort_configILj256ELj4ELNS0_20block_sort_algorithmE0EEENS0_14default_configENS1_37merge_sort_block_sort_config_selectorIcNS0_10empty_typeEEENS1_38merge_sort_block_merge_config_selectorIcSE_EEEEvv,"axG",@progbits,_ZN7rocprim17ROCPRIM_400000_NS6detail44device_merge_sort_compile_time_verifier_archINS1_11comp_targetILNS1_3genE5ELNS1_11target_archE942ELNS1_3gpuE9ELNS1_3repE0EEES8_NS1_28merge_sort_block_sort_configILj256ELj4ELNS0_20block_sort_algorithmE0EEENS0_14default_configENS1_37merge_sort_block_sort_config_selectorIcNS0_10empty_typeEEENS1_38merge_sort_block_merge_config_selectorIcSE_EEEEvv,comdat
	.protected	_ZN7rocprim17ROCPRIM_400000_NS6detail44device_merge_sort_compile_time_verifier_archINS1_11comp_targetILNS1_3genE5ELNS1_11target_archE942ELNS1_3gpuE9ELNS1_3repE0EEES8_NS1_28merge_sort_block_sort_configILj256ELj4ELNS0_20block_sort_algorithmE0EEENS0_14default_configENS1_37merge_sort_block_sort_config_selectorIcNS0_10empty_typeEEENS1_38merge_sort_block_merge_config_selectorIcSE_EEEEvv ; -- Begin function _ZN7rocprim17ROCPRIM_400000_NS6detail44device_merge_sort_compile_time_verifier_archINS1_11comp_targetILNS1_3genE5ELNS1_11target_archE942ELNS1_3gpuE9ELNS1_3repE0EEES8_NS1_28merge_sort_block_sort_configILj256ELj4ELNS0_20block_sort_algorithmE0EEENS0_14default_configENS1_37merge_sort_block_sort_config_selectorIcNS0_10empty_typeEEENS1_38merge_sort_block_merge_config_selectorIcSE_EEEEvv
	.globl	_ZN7rocprim17ROCPRIM_400000_NS6detail44device_merge_sort_compile_time_verifier_archINS1_11comp_targetILNS1_3genE5ELNS1_11target_archE942ELNS1_3gpuE9ELNS1_3repE0EEES8_NS1_28merge_sort_block_sort_configILj256ELj4ELNS0_20block_sort_algorithmE0EEENS0_14default_configENS1_37merge_sort_block_sort_config_selectorIcNS0_10empty_typeEEENS1_38merge_sort_block_merge_config_selectorIcSE_EEEEvv
	.p2align	8
	.type	_ZN7rocprim17ROCPRIM_400000_NS6detail44device_merge_sort_compile_time_verifier_archINS1_11comp_targetILNS1_3genE5ELNS1_11target_archE942ELNS1_3gpuE9ELNS1_3repE0EEES8_NS1_28merge_sort_block_sort_configILj256ELj4ELNS0_20block_sort_algorithmE0EEENS0_14default_configENS1_37merge_sort_block_sort_config_selectorIcNS0_10empty_typeEEENS1_38merge_sort_block_merge_config_selectorIcSE_EEEEvv,@function
_ZN7rocprim17ROCPRIM_400000_NS6detail44device_merge_sort_compile_time_verifier_archINS1_11comp_targetILNS1_3genE5ELNS1_11target_archE942ELNS1_3gpuE9ELNS1_3repE0EEES8_NS1_28merge_sort_block_sort_configILj256ELj4ELNS0_20block_sort_algorithmE0EEENS0_14default_configENS1_37merge_sort_block_sort_config_selectorIcNS0_10empty_typeEEENS1_38merge_sort_block_merge_config_selectorIcSE_EEEEvv: ; @_ZN7rocprim17ROCPRIM_400000_NS6detail44device_merge_sort_compile_time_verifier_archINS1_11comp_targetILNS1_3genE5ELNS1_11target_archE942ELNS1_3gpuE9ELNS1_3repE0EEES8_NS1_28merge_sort_block_sort_configILj256ELj4ELNS0_20block_sort_algorithmE0EEENS0_14default_configENS1_37merge_sort_block_sort_config_selectorIcNS0_10empty_typeEEENS1_38merge_sort_block_merge_config_selectorIcSE_EEEEvv
; %bb.0:
	s_endpgm
	.section	.rodata,"a",@progbits
	.p2align	6, 0x0
	.amdhsa_kernel _ZN7rocprim17ROCPRIM_400000_NS6detail44device_merge_sort_compile_time_verifier_archINS1_11comp_targetILNS1_3genE5ELNS1_11target_archE942ELNS1_3gpuE9ELNS1_3repE0EEES8_NS1_28merge_sort_block_sort_configILj256ELj4ELNS0_20block_sort_algorithmE0EEENS0_14default_configENS1_37merge_sort_block_sort_config_selectorIcNS0_10empty_typeEEENS1_38merge_sort_block_merge_config_selectorIcSE_EEEEvv
		.amdhsa_group_segment_fixed_size 0
		.amdhsa_private_segment_fixed_size 0
		.amdhsa_kernarg_size 0
		.amdhsa_user_sgpr_count 4
		.amdhsa_user_sgpr_private_segment_buffer 1
		.amdhsa_user_sgpr_dispatch_ptr 0
		.amdhsa_user_sgpr_queue_ptr 0
		.amdhsa_user_sgpr_kernarg_segment_ptr 0
		.amdhsa_user_sgpr_dispatch_id 0
		.amdhsa_user_sgpr_flat_scratch_init 0
		.amdhsa_user_sgpr_kernarg_preload_length 0
		.amdhsa_user_sgpr_kernarg_preload_offset 0
		.amdhsa_user_sgpr_private_segment_size 0
		.amdhsa_uses_dynamic_stack 0
		.amdhsa_system_sgpr_private_segment_wavefront_offset 0
		.amdhsa_system_sgpr_workgroup_id_x 1
		.amdhsa_system_sgpr_workgroup_id_y 0
		.amdhsa_system_sgpr_workgroup_id_z 0
		.amdhsa_system_sgpr_workgroup_info 0
		.amdhsa_system_vgpr_workitem_id 0
		.amdhsa_next_free_vgpr 1
		.amdhsa_next_free_sgpr 0
		.amdhsa_accum_offset 4
		.amdhsa_reserve_vcc 0
		.amdhsa_reserve_flat_scratch 0
		.amdhsa_float_round_mode_32 0
		.amdhsa_float_round_mode_16_64 0
		.amdhsa_float_denorm_mode_32 3
		.amdhsa_float_denorm_mode_16_64 3
		.amdhsa_dx10_clamp 1
		.amdhsa_ieee_mode 1
		.amdhsa_fp16_overflow 0
		.amdhsa_tg_split 0
		.amdhsa_exception_fp_ieee_invalid_op 0
		.amdhsa_exception_fp_denorm_src 0
		.amdhsa_exception_fp_ieee_div_zero 0
		.amdhsa_exception_fp_ieee_overflow 0
		.amdhsa_exception_fp_ieee_underflow 0
		.amdhsa_exception_fp_ieee_inexact 0
		.amdhsa_exception_int_div_zero 0
	.end_amdhsa_kernel
	.section	.text._ZN7rocprim17ROCPRIM_400000_NS6detail44device_merge_sort_compile_time_verifier_archINS1_11comp_targetILNS1_3genE5ELNS1_11target_archE942ELNS1_3gpuE9ELNS1_3repE0EEES8_NS1_28merge_sort_block_sort_configILj256ELj4ELNS0_20block_sort_algorithmE0EEENS0_14default_configENS1_37merge_sort_block_sort_config_selectorIcNS0_10empty_typeEEENS1_38merge_sort_block_merge_config_selectorIcSE_EEEEvv,"axG",@progbits,_ZN7rocprim17ROCPRIM_400000_NS6detail44device_merge_sort_compile_time_verifier_archINS1_11comp_targetILNS1_3genE5ELNS1_11target_archE942ELNS1_3gpuE9ELNS1_3repE0EEES8_NS1_28merge_sort_block_sort_configILj256ELj4ELNS0_20block_sort_algorithmE0EEENS0_14default_configENS1_37merge_sort_block_sort_config_selectorIcNS0_10empty_typeEEENS1_38merge_sort_block_merge_config_selectorIcSE_EEEEvv,comdat
.Lfunc_end10:
	.size	_ZN7rocprim17ROCPRIM_400000_NS6detail44device_merge_sort_compile_time_verifier_archINS1_11comp_targetILNS1_3genE5ELNS1_11target_archE942ELNS1_3gpuE9ELNS1_3repE0EEES8_NS1_28merge_sort_block_sort_configILj256ELj4ELNS0_20block_sort_algorithmE0EEENS0_14default_configENS1_37merge_sort_block_sort_config_selectorIcNS0_10empty_typeEEENS1_38merge_sort_block_merge_config_selectorIcSE_EEEEvv, .Lfunc_end10-_ZN7rocprim17ROCPRIM_400000_NS6detail44device_merge_sort_compile_time_verifier_archINS1_11comp_targetILNS1_3genE5ELNS1_11target_archE942ELNS1_3gpuE9ELNS1_3repE0EEES8_NS1_28merge_sort_block_sort_configILj256ELj4ELNS0_20block_sort_algorithmE0EEENS0_14default_configENS1_37merge_sort_block_sort_config_selectorIcNS0_10empty_typeEEENS1_38merge_sort_block_merge_config_selectorIcSE_EEEEvv
                                        ; -- End function
	.section	.AMDGPU.csdata,"",@progbits
; Kernel info:
; codeLenInByte = 4
; NumSgprs: 4
; NumVgprs: 0
; NumAgprs: 0
; TotalNumVgprs: 0
; ScratchSize: 0
; MemoryBound: 0
; FloatMode: 240
; IeeeMode: 1
; LDSByteSize: 0 bytes/workgroup (compile time only)
; SGPRBlocks: 0
; VGPRBlocks: 0
; NumSGPRsForWavesPerEU: 4
; NumVGPRsForWavesPerEU: 1
; AccumOffset: 4
; Occupancy: 8
; WaveLimiterHint : 0
; COMPUTE_PGM_RSRC2:SCRATCH_EN: 0
; COMPUTE_PGM_RSRC2:USER_SGPR: 4
; COMPUTE_PGM_RSRC2:TRAP_HANDLER: 0
; COMPUTE_PGM_RSRC2:TGID_X_EN: 1
; COMPUTE_PGM_RSRC2:TGID_Y_EN: 0
; COMPUTE_PGM_RSRC2:TGID_Z_EN: 0
; COMPUTE_PGM_RSRC2:TIDIG_COMP_CNT: 0
; COMPUTE_PGM_RSRC3_GFX90A:ACCUM_OFFSET: 0
; COMPUTE_PGM_RSRC3_GFX90A:TG_SPLIT: 0
	.section	.text._ZN7rocprim17ROCPRIM_400000_NS6detail44device_merge_sort_compile_time_verifier_archINS1_11comp_targetILNS1_3genE4ELNS1_11target_archE910ELNS1_3gpuE8ELNS1_3repE0EEES8_NS1_28merge_sort_block_sort_configILj256ELj4ELNS0_20block_sort_algorithmE0EEENS0_14default_configENS1_37merge_sort_block_sort_config_selectorIcNS0_10empty_typeEEENS1_38merge_sort_block_merge_config_selectorIcSE_EEEEvv,"axG",@progbits,_ZN7rocprim17ROCPRIM_400000_NS6detail44device_merge_sort_compile_time_verifier_archINS1_11comp_targetILNS1_3genE4ELNS1_11target_archE910ELNS1_3gpuE8ELNS1_3repE0EEES8_NS1_28merge_sort_block_sort_configILj256ELj4ELNS0_20block_sort_algorithmE0EEENS0_14default_configENS1_37merge_sort_block_sort_config_selectorIcNS0_10empty_typeEEENS1_38merge_sort_block_merge_config_selectorIcSE_EEEEvv,comdat
	.protected	_ZN7rocprim17ROCPRIM_400000_NS6detail44device_merge_sort_compile_time_verifier_archINS1_11comp_targetILNS1_3genE4ELNS1_11target_archE910ELNS1_3gpuE8ELNS1_3repE0EEES8_NS1_28merge_sort_block_sort_configILj256ELj4ELNS0_20block_sort_algorithmE0EEENS0_14default_configENS1_37merge_sort_block_sort_config_selectorIcNS0_10empty_typeEEENS1_38merge_sort_block_merge_config_selectorIcSE_EEEEvv ; -- Begin function _ZN7rocprim17ROCPRIM_400000_NS6detail44device_merge_sort_compile_time_verifier_archINS1_11comp_targetILNS1_3genE4ELNS1_11target_archE910ELNS1_3gpuE8ELNS1_3repE0EEES8_NS1_28merge_sort_block_sort_configILj256ELj4ELNS0_20block_sort_algorithmE0EEENS0_14default_configENS1_37merge_sort_block_sort_config_selectorIcNS0_10empty_typeEEENS1_38merge_sort_block_merge_config_selectorIcSE_EEEEvv
	.globl	_ZN7rocprim17ROCPRIM_400000_NS6detail44device_merge_sort_compile_time_verifier_archINS1_11comp_targetILNS1_3genE4ELNS1_11target_archE910ELNS1_3gpuE8ELNS1_3repE0EEES8_NS1_28merge_sort_block_sort_configILj256ELj4ELNS0_20block_sort_algorithmE0EEENS0_14default_configENS1_37merge_sort_block_sort_config_selectorIcNS0_10empty_typeEEENS1_38merge_sort_block_merge_config_selectorIcSE_EEEEvv
	.p2align	8
	.type	_ZN7rocprim17ROCPRIM_400000_NS6detail44device_merge_sort_compile_time_verifier_archINS1_11comp_targetILNS1_3genE4ELNS1_11target_archE910ELNS1_3gpuE8ELNS1_3repE0EEES8_NS1_28merge_sort_block_sort_configILj256ELj4ELNS0_20block_sort_algorithmE0EEENS0_14default_configENS1_37merge_sort_block_sort_config_selectorIcNS0_10empty_typeEEENS1_38merge_sort_block_merge_config_selectorIcSE_EEEEvv,@function
_ZN7rocprim17ROCPRIM_400000_NS6detail44device_merge_sort_compile_time_verifier_archINS1_11comp_targetILNS1_3genE4ELNS1_11target_archE910ELNS1_3gpuE8ELNS1_3repE0EEES8_NS1_28merge_sort_block_sort_configILj256ELj4ELNS0_20block_sort_algorithmE0EEENS0_14default_configENS1_37merge_sort_block_sort_config_selectorIcNS0_10empty_typeEEENS1_38merge_sort_block_merge_config_selectorIcSE_EEEEvv: ; @_ZN7rocprim17ROCPRIM_400000_NS6detail44device_merge_sort_compile_time_verifier_archINS1_11comp_targetILNS1_3genE4ELNS1_11target_archE910ELNS1_3gpuE8ELNS1_3repE0EEES8_NS1_28merge_sort_block_sort_configILj256ELj4ELNS0_20block_sort_algorithmE0EEENS0_14default_configENS1_37merge_sort_block_sort_config_selectorIcNS0_10empty_typeEEENS1_38merge_sort_block_merge_config_selectorIcSE_EEEEvv
; %bb.0:
	s_endpgm
	.section	.rodata,"a",@progbits
	.p2align	6, 0x0
	.amdhsa_kernel _ZN7rocprim17ROCPRIM_400000_NS6detail44device_merge_sort_compile_time_verifier_archINS1_11comp_targetILNS1_3genE4ELNS1_11target_archE910ELNS1_3gpuE8ELNS1_3repE0EEES8_NS1_28merge_sort_block_sort_configILj256ELj4ELNS0_20block_sort_algorithmE0EEENS0_14default_configENS1_37merge_sort_block_sort_config_selectorIcNS0_10empty_typeEEENS1_38merge_sort_block_merge_config_selectorIcSE_EEEEvv
		.amdhsa_group_segment_fixed_size 0
		.amdhsa_private_segment_fixed_size 0
		.amdhsa_kernarg_size 0
		.amdhsa_user_sgpr_count 4
		.amdhsa_user_sgpr_private_segment_buffer 1
		.amdhsa_user_sgpr_dispatch_ptr 0
		.amdhsa_user_sgpr_queue_ptr 0
		.amdhsa_user_sgpr_kernarg_segment_ptr 0
		.amdhsa_user_sgpr_dispatch_id 0
		.amdhsa_user_sgpr_flat_scratch_init 0
		.amdhsa_user_sgpr_kernarg_preload_length 0
		.amdhsa_user_sgpr_kernarg_preload_offset 0
		.amdhsa_user_sgpr_private_segment_size 0
		.amdhsa_uses_dynamic_stack 0
		.amdhsa_system_sgpr_private_segment_wavefront_offset 0
		.amdhsa_system_sgpr_workgroup_id_x 1
		.amdhsa_system_sgpr_workgroup_id_y 0
		.amdhsa_system_sgpr_workgroup_id_z 0
		.amdhsa_system_sgpr_workgroup_info 0
		.amdhsa_system_vgpr_workitem_id 0
		.amdhsa_next_free_vgpr 1
		.amdhsa_next_free_sgpr 0
		.amdhsa_accum_offset 4
		.amdhsa_reserve_vcc 0
		.amdhsa_reserve_flat_scratch 0
		.amdhsa_float_round_mode_32 0
		.amdhsa_float_round_mode_16_64 0
		.amdhsa_float_denorm_mode_32 3
		.amdhsa_float_denorm_mode_16_64 3
		.amdhsa_dx10_clamp 1
		.amdhsa_ieee_mode 1
		.amdhsa_fp16_overflow 0
		.amdhsa_tg_split 0
		.amdhsa_exception_fp_ieee_invalid_op 0
		.amdhsa_exception_fp_denorm_src 0
		.amdhsa_exception_fp_ieee_div_zero 0
		.amdhsa_exception_fp_ieee_overflow 0
		.amdhsa_exception_fp_ieee_underflow 0
		.amdhsa_exception_fp_ieee_inexact 0
		.amdhsa_exception_int_div_zero 0
	.end_amdhsa_kernel
	.section	.text._ZN7rocprim17ROCPRIM_400000_NS6detail44device_merge_sort_compile_time_verifier_archINS1_11comp_targetILNS1_3genE4ELNS1_11target_archE910ELNS1_3gpuE8ELNS1_3repE0EEES8_NS1_28merge_sort_block_sort_configILj256ELj4ELNS0_20block_sort_algorithmE0EEENS0_14default_configENS1_37merge_sort_block_sort_config_selectorIcNS0_10empty_typeEEENS1_38merge_sort_block_merge_config_selectorIcSE_EEEEvv,"axG",@progbits,_ZN7rocprim17ROCPRIM_400000_NS6detail44device_merge_sort_compile_time_verifier_archINS1_11comp_targetILNS1_3genE4ELNS1_11target_archE910ELNS1_3gpuE8ELNS1_3repE0EEES8_NS1_28merge_sort_block_sort_configILj256ELj4ELNS0_20block_sort_algorithmE0EEENS0_14default_configENS1_37merge_sort_block_sort_config_selectorIcNS0_10empty_typeEEENS1_38merge_sort_block_merge_config_selectorIcSE_EEEEvv,comdat
.Lfunc_end11:
	.size	_ZN7rocprim17ROCPRIM_400000_NS6detail44device_merge_sort_compile_time_verifier_archINS1_11comp_targetILNS1_3genE4ELNS1_11target_archE910ELNS1_3gpuE8ELNS1_3repE0EEES8_NS1_28merge_sort_block_sort_configILj256ELj4ELNS0_20block_sort_algorithmE0EEENS0_14default_configENS1_37merge_sort_block_sort_config_selectorIcNS0_10empty_typeEEENS1_38merge_sort_block_merge_config_selectorIcSE_EEEEvv, .Lfunc_end11-_ZN7rocprim17ROCPRIM_400000_NS6detail44device_merge_sort_compile_time_verifier_archINS1_11comp_targetILNS1_3genE4ELNS1_11target_archE910ELNS1_3gpuE8ELNS1_3repE0EEES8_NS1_28merge_sort_block_sort_configILj256ELj4ELNS0_20block_sort_algorithmE0EEENS0_14default_configENS1_37merge_sort_block_sort_config_selectorIcNS0_10empty_typeEEENS1_38merge_sort_block_merge_config_selectorIcSE_EEEEvv
                                        ; -- End function
	.section	.AMDGPU.csdata,"",@progbits
; Kernel info:
; codeLenInByte = 4
; NumSgprs: 4
; NumVgprs: 0
; NumAgprs: 0
; TotalNumVgprs: 0
; ScratchSize: 0
; MemoryBound: 0
; FloatMode: 240
; IeeeMode: 1
; LDSByteSize: 0 bytes/workgroup (compile time only)
; SGPRBlocks: 0
; VGPRBlocks: 0
; NumSGPRsForWavesPerEU: 4
; NumVGPRsForWavesPerEU: 1
; AccumOffset: 4
; Occupancy: 8
; WaveLimiterHint : 0
; COMPUTE_PGM_RSRC2:SCRATCH_EN: 0
; COMPUTE_PGM_RSRC2:USER_SGPR: 4
; COMPUTE_PGM_RSRC2:TRAP_HANDLER: 0
; COMPUTE_PGM_RSRC2:TGID_X_EN: 1
; COMPUTE_PGM_RSRC2:TGID_Y_EN: 0
; COMPUTE_PGM_RSRC2:TGID_Z_EN: 0
; COMPUTE_PGM_RSRC2:TIDIG_COMP_CNT: 0
; COMPUTE_PGM_RSRC3_GFX90A:ACCUM_OFFSET: 0
; COMPUTE_PGM_RSRC3_GFX90A:TG_SPLIT: 0
	.section	.text._ZN7rocprim17ROCPRIM_400000_NS6detail44device_merge_sort_compile_time_verifier_archINS1_11comp_targetILNS1_3genE3ELNS1_11target_archE908ELNS1_3gpuE7ELNS1_3repE0EEES8_NS1_28merge_sort_block_sort_configILj256ELj4ELNS0_20block_sort_algorithmE0EEENS0_14default_configENS1_37merge_sort_block_sort_config_selectorIcNS0_10empty_typeEEENS1_38merge_sort_block_merge_config_selectorIcSE_EEEEvv,"axG",@progbits,_ZN7rocprim17ROCPRIM_400000_NS6detail44device_merge_sort_compile_time_verifier_archINS1_11comp_targetILNS1_3genE3ELNS1_11target_archE908ELNS1_3gpuE7ELNS1_3repE0EEES8_NS1_28merge_sort_block_sort_configILj256ELj4ELNS0_20block_sort_algorithmE0EEENS0_14default_configENS1_37merge_sort_block_sort_config_selectorIcNS0_10empty_typeEEENS1_38merge_sort_block_merge_config_selectorIcSE_EEEEvv,comdat
	.protected	_ZN7rocprim17ROCPRIM_400000_NS6detail44device_merge_sort_compile_time_verifier_archINS1_11comp_targetILNS1_3genE3ELNS1_11target_archE908ELNS1_3gpuE7ELNS1_3repE0EEES8_NS1_28merge_sort_block_sort_configILj256ELj4ELNS0_20block_sort_algorithmE0EEENS0_14default_configENS1_37merge_sort_block_sort_config_selectorIcNS0_10empty_typeEEENS1_38merge_sort_block_merge_config_selectorIcSE_EEEEvv ; -- Begin function _ZN7rocprim17ROCPRIM_400000_NS6detail44device_merge_sort_compile_time_verifier_archINS1_11comp_targetILNS1_3genE3ELNS1_11target_archE908ELNS1_3gpuE7ELNS1_3repE0EEES8_NS1_28merge_sort_block_sort_configILj256ELj4ELNS0_20block_sort_algorithmE0EEENS0_14default_configENS1_37merge_sort_block_sort_config_selectorIcNS0_10empty_typeEEENS1_38merge_sort_block_merge_config_selectorIcSE_EEEEvv
	.globl	_ZN7rocprim17ROCPRIM_400000_NS6detail44device_merge_sort_compile_time_verifier_archINS1_11comp_targetILNS1_3genE3ELNS1_11target_archE908ELNS1_3gpuE7ELNS1_3repE0EEES8_NS1_28merge_sort_block_sort_configILj256ELj4ELNS0_20block_sort_algorithmE0EEENS0_14default_configENS1_37merge_sort_block_sort_config_selectorIcNS0_10empty_typeEEENS1_38merge_sort_block_merge_config_selectorIcSE_EEEEvv
	.p2align	8
	.type	_ZN7rocprim17ROCPRIM_400000_NS6detail44device_merge_sort_compile_time_verifier_archINS1_11comp_targetILNS1_3genE3ELNS1_11target_archE908ELNS1_3gpuE7ELNS1_3repE0EEES8_NS1_28merge_sort_block_sort_configILj256ELj4ELNS0_20block_sort_algorithmE0EEENS0_14default_configENS1_37merge_sort_block_sort_config_selectorIcNS0_10empty_typeEEENS1_38merge_sort_block_merge_config_selectorIcSE_EEEEvv,@function
_ZN7rocprim17ROCPRIM_400000_NS6detail44device_merge_sort_compile_time_verifier_archINS1_11comp_targetILNS1_3genE3ELNS1_11target_archE908ELNS1_3gpuE7ELNS1_3repE0EEES8_NS1_28merge_sort_block_sort_configILj256ELj4ELNS0_20block_sort_algorithmE0EEENS0_14default_configENS1_37merge_sort_block_sort_config_selectorIcNS0_10empty_typeEEENS1_38merge_sort_block_merge_config_selectorIcSE_EEEEvv: ; @_ZN7rocprim17ROCPRIM_400000_NS6detail44device_merge_sort_compile_time_verifier_archINS1_11comp_targetILNS1_3genE3ELNS1_11target_archE908ELNS1_3gpuE7ELNS1_3repE0EEES8_NS1_28merge_sort_block_sort_configILj256ELj4ELNS0_20block_sort_algorithmE0EEENS0_14default_configENS1_37merge_sort_block_sort_config_selectorIcNS0_10empty_typeEEENS1_38merge_sort_block_merge_config_selectorIcSE_EEEEvv
; %bb.0:
	s_endpgm
	.section	.rodata,"a",@progbits
	.p2align	6, 0x0
	.amdhsa_kernel _ZN7rocprim17ROCPRIM_400000_NS6detail44device_merge_sort_compile_time_verifier_archINS1_11comp_targetILNS1_3genE3ELNS1_11target_archE908ELNS1_3gpuE7ELNS1_3repE0EEES8_NS1_28merge_sort_block_sort_configILj256ELj4ELNS0_20block_sort_algorithmE0EEENS0_14default_configENS1_37merge_sort_block_sort_config_selectorIcNS0_10empty_typeEEENS1_38merge_sort_block_merge_config_selectorIcSE_EEEEvv
		.amdhsa_group_segment_fixed_size 0
		.amdhsa_private_segment_fixed_size 0
		.amdhsa_kernarg_size 0
		.amdhsa_user_sgpr_count 4
		.amdhsa_user_sgpr_private_segment_buffer 1
		.amdhsa_user_sgpr_dispatch_ptr 0
		.amdhsa_user_sgpr_queue_ptr 0
		.amdhsa_user_sgpr_kernarg_segment_ptr 0
		.amdhsa_user_sgpr_dispatch_id 0
		.amdhsa_user_sgpr_flat_scratch_init 0
		.amdhsa_user_sgpr_kernarg_preload_length 0
		.amdhsa_user_sgpr_kernarg_preload_offset 0
		.amdhsa_user_sgpr_private_segment_size 0
		.amdhsa_uses_dynamic_stack 0
		.amdhsa_system_sgpr_private_segment_wavefront_offset 0
		.amdhsa_system_sgpr_workgroup_id_x 1
		.amdhsa_system_sgpr_workgroup_id_y 0
		.amdhsa_system_sgpr_workgroup_id_z 0
		.amdhsa_system_sgpr_workgroup_info 0
		.amdhsa_system_vgpr_workitem_id 0
		.amdhsa_next_free_vgpr 1
		.amdhsa_next_free_sgpr 0
		.amdhsa_accum_offset 4
		.amdhsa_reserve_vcc 0
		.amdhsa_reserve_flat_scratch 0
		.amdhsa_float_round_mode_32 0
		.amdhsa_float_round_mode_16_64 0
		.amdhsa_float_denorm_mode_32 3
		.amdhsa_float_denorm_mode_16_64 3
		.amdhsa_dx10_clamp 1
		.amdhsa_ieee_mode 1
		.amdhsa_fp16_overflow 0
		.amdhsa_tg_split 0
		.amdhsa_exception_fp_ieee_invalid_op 0
		.amdhsa_exception_fp_denorm_src 0
		.amdhsa_exception_fp_ieee_div_zero 0
		.amdhsa_exception_fp_ieee_overflow 0
		.amdhsa_exception_fp_ieee_underflow 0
		.amdhsa_exception_fp_ieee_inexact 0
		.amdhsa_exception_int_div_zero 0
	.end_amdhsa_kernel
	.section	.text._ZN7rocprim17ROCPRIM_400000_NS6detail44device_merge_sort_compile_time_verifier_archINS1_11comp_targetILNS1_3genE3ELNS1_11target_archE908ELNS1_3gpuE7ELNS1_3repE0EEES8_NS1_28merge_sort_block_sort_configILj256ELj4ELNS0_20block_sort_algorithmE0EEENS0_14default_configENS1_37merge_sort_block_sort_config_selectorIcNS0_10empty_typeEEENS1_38merge_sort_block_merge_config_selectorIcSE_EEEEvv,"axG",@progbits,_ZN7rocprim17ROCPRIM_400000_NS6detail44device_merge_sort_compile_time_verifier_archINS1_11comp_targetILNS1_3genE3ELNS1_11target_archE908ELNS1_3gpuE7ELNS1_3repE0EEES8_NS1_28merge_sort_block_sort_configILj256ELj4ELNS0_20block_sort_algorithmE0EEENS0_14default_configENS1_37merge_sort_block_sort_config_selectorIcNS0_10empty_typeEEENS1_38merge_sort_block_merge_config_selectorIcSE_EEEEvv,comdat
.Lfunc_end12:
	.size	_ZN7rocprim17ROCPRIM_400000_NS6detail44device_merge_sort_compile_time_verifier_archINS1_11comp_targetILNS1_3genE3ELNS1_11target_archE908ELNS1_3gpuE7ELNS1_3repE0EEES8_NS1_28merge_sort_block_sort_configILj256ELj4ELNS0_20block_sort_algorithmE0EEENS0_14default_configENS1_37merge_sort_block_sort_config_selectorIcNS0_10empty_typeEEENS1_38merge_sort_block_merge_config_selectorIcSE_EEEEvv, .Lfunc_end12-_ZN7rocprim17ROCPRIM_400000_NS6detail44device_merge_sort_compile_time_verifier_archINS1_11comp_targetILNS1_3genE3ELNS1_11target_archE908ELNS1_3gpuE7ELNS1_3repE0EEES8_NS1_28merge_sort_block_sort_configILj256ELj4ELNS0_20block_sort_algorithmE0EEENS0_14default_configENS1_37merge_sort_block_sort_config_selectorIcNS0_10empty_typeEEENS1_38merge_sort_block_merge_config_selectorIcSE_EEEEvv
                                        ; -- End function
	.section	.AMDGPU.csdata,"",@progbits
; Kernel info:
; codeLenInByte = 4
; NumSgprs: 4
; NumVgprs: 0
; NumAgprs: 0
; TotalNumVgprs: 0
; ScratchSize: 0
; MemoryBound: 0
; FloatMode: 240
; IeeeMode: 1
; LDSByteSize: 0 bytes/workgroup (compile time only)
; SGPRBlocks: 0
; VGPRBlocks: 0
; NumSGPRsForWavesPerEU: 4
; NumVGPRsForWavesPerEU: 1
; AccumOffset: 4
; Occupancy: 8
; WaveLimiterHint : 0
; COMPUTE_PGM_RSRC2:SCRATCH_EN: 0
; COMPUTE_PGM_RSRC2:USER_SGPR: 4
; COMPUTE_PGM_RSRC2:TRAP_HANDLER: 0
; COMPUTE_PGM_RSRC2:TGID_X_EN: 1
; COMPUTE_PGM_RSRC2:TGID_Y_EN: 0
; COMPUTE_PGM_RSRC2:TGID_Z_EN: 0
; COMPUTE_PGM_RSRC2:TIDIG_COMP_CNT: 0
; COMPUTE_PGM_RSRC3_GFX90A:ACCUM_OFFSET: 0
; COMPUTE_PGM_RSRC3_GFX90A:TG_SPLIT: 0
	.section	.text._ZN7rocprim17ROCPRIM_400000_NS6detail44device_merge_sort_compile_time_verifier_archINS1_11comp_targetILNS1_3genE2ELNS1_11target_archE906ELNS1_3gpuE6ELNS1_3repE0EEES8_NS1_28merge_sort_block_sort_configILj256ELj4ELNS0_20block_sort_algorithmE0EEENS0_14default_configENS1_37merge_sort_block_sort_config_selectorIcNS0_10empty_typeEEENS1_38merge_sort_block_merge_config_selectorIcSE_EEEEvv,"axG",@progbits,_ZN7rocprim17ROCPRIM_400000_NS6detail44device_merge_sort_compile_time_verifier_archINS1_11comp_targetILNS1_3genE2ELNS1_11target_archE906ELNS1_3gpuE6ELNS1_3repE0EEES8_NS1_28merge_sort_block_sort_configILj256ELj4ELNS0_20block_sort_algorithmE0EEENS0_14default_configENS1_37merge_sort_block_sort_config_selectorIcNS0_10empty_typeEEENS1_38merge_sort_block_merge_config_selectorIcSE_EEEEvv,comdat
	.protected	_ZN7rocprim17ROCPRIM_400000_NS6detail44device_merge_sort_compile_time_verifier_archINS1_11comp_targetILNS1_3genE2ELNS1_11target_archE906ELNS1_3gpuE6ELNS1_3repE0EEES8_NS1_28merge_sort_block_sort_configILj256ELj4ELNS0_20block_sort_algorithmE0EEENS0_14default_configENS1_37merge_sort_block_sort_config_selectorIcNS0_10empty_typeEEENS1_38merge_sort_block_merge_config_selectorIcSE_EEEEvv ; -- Begin function _ZN7rocprim17ROCPRIM_400000_NS6detail44device_merge_sort_compile_time_verifier_archINS1_11comp_targetILNS1_3genE2ELNS1_11target_archE906ELNS1_3gpuE6ELNS1_3repE0EEES8_NS1_28merge_sort_block_sort_configILj256ELj4ELNS0_20block_sort_algorithmE0EEENS0_14default_configENS1_37merge_sort_block_sort_config_selectorIcNS0_10empty_typeEEENS1_38merge_sort_block_merge_config_selectorIcSE_EEEEvv
	.globl	_ZN7rocprim17ROCPRIM_400000_NS6detail44device_merge_sort_compile_time_verifier_archINS1_11comp_targetILNS1_3genE2ELNS1_11target_archE906ELNS1_3gpuE6ELNS1_3repE0EEES8_NS1_28merge_sort_block_sort_configILj256ELj4ELNS0_20block_sort_algorithmE0EEENS0_14default_configENS1_37merge_sort_block_sort_config_selectorIcNS0_10empty_typeEEENS1_38merge_sort_block_merge_config_selectorIcSE_EEEEvv
	.p2align	8
	.type	_ZN7rocprim17ROCPRIM_400000_NS6detail44device_merge_sort_compile_time_verifier_archINS1_11comp_targetILNS1_3genE2ELNS1_11target_archE906ELNS1_3gpuE6ELNS1_3repE0EEES8_NS1_28merge_sort_block_sort_configILj256ELj4ELNS0_20block_sort_algorithmE0EEENS0_14default_configENS1_37merge_sort_block_sort_config_selectorIcNS0_10empty_typeEEENS1_38merge_sort_block_merge_config_selectorIcSE_EEEEvv,@function
_ZN7rocprim17ROCPRIM_400000_NS6detail44device_merge_sort_compile_time_verifier_archINS1_11comp_targetILNS1_3genE2ELNS1_11target_archE906ELNS1_3gpuE6ELNS1_3repE0EEES8_NS1_28merge_sort_block_sort_configILj256ELj4ELNS0_20block_sort_algorithmE0EEENS0_14default_configENS1_37merge_sort_block_sort_config_selectorIcNS0_10empty_typeEEENS1_38merge_sort_block_merge_config_selectorIcSE_EEEEvv: ; @_ZN7rocprim17ROCPRIM_400000_NS6detail44device_merge_sort_compile_time_verifier_archINS1_11comp_targetILNS1_3genE2ELNS1_11target_archE906ELNS1_3gpuE6ELNS1_3repE0EEES8_NS1_28merge_sort_block_sort_configILj256ELj4ELNS0_20block_sort_algorithmE0EEENS0_14default_configENS1_37merge_sort_block_sort_config_selectorIcNS0_10empty_typeEEENS1_38merge_sort_block_merge_config_selectorIcSE_EEEEvv
; %bb.0:
	s_endpgm
	.section	.rodata,"a",@progbits
	.p2align	6, 0x0
	.amdhsa_kernel _ZN7rocprim17ROCPRIM_400000_NS6detail44device_merge_sort_compile_time_verifier_archINS1_11comp_targetILNS1_3genE2ELNS1_11target_archE906ELNS1_3gpuE6ELNS1_3repE0EEES8_NS1_28merge_sort_block_sort_configILj256ELj4ELNS0_20block_sort_algorithmE0EEENS0_14default_configENS1_37merge_sort_block_sort_config_selectorIcNS0_10empty_typeEEENS1_38merge_sort_block_merge_config_selectorIcSE_EEEEvv
		.amdhsa_group_segment_fixed_size 0
		.amdhsa_private_segment_fixed_size 0
		.amdhsa_kernarg_size 0
		.amdhsa_user_sgpr_count 4
		.amdhsa_user_sgpr_private_segment_buffer 1
		.amdhsa_user_sgpr_dispatch_ptr 0
		.amdhsa_user_sgpr_queue_ptr 0
		.amdhsa_user_sgpr_kernarg_segment_ptr 0
		.amdhsa_user_sgpr_dispatch_id 0
		.amdhsa_user_sgpr_flat_scratch_init 0
		.amdhsa_user_sgpr_kernarg_preload_length 0
		.amdhsa_user_sgpr_kernarg_preload_offset 0
		.amdhsa_user_sgpr_private_segment_size 0
		.amdhsa_uses_dynamic_stack 0
		.amdhsa_system_sgpr_private_segment_wavefront_offset 0
		.amdhsa_system_sgpr_workgroup_id_x 1
		.amdhsa_system_sgpr_workgroup_id_y 0
		.amdhsa_system_sgpr_workgroup_id_z 0
		.amdhsa_system_sgpr_workgroup_info 0
		.amdhsa_system_vgpr_workitem_id 0
		.amdhsa_next_free_vgpr 1
		.amdhsa_next_free_sgpr 0
		.amdhsa_accum_offset 4
		.amdhsa_reserve_vcc 0
		.amdhsa_reserve_flat_scratch 0
		.amdhsa_float_round_mode_32 0
		.amdhsa_float_round_mode_16_64 0
		.amdhsa_float_denorm_mode_32 3
		.amdhsa_float_denorm_mode_16_64 3
		.amdhsa_dx10_clamp 1
		.amdhsa_ieee_mode 1
		.amdhsa_fp16_overflow 0
		.amdhsa_tg_split 0
		.amdhsa_exception_fp_ieee_invalid_op 0
		.amdhsa_exception_fp_denorm_src 0
		.amdhsa_exception_fp_ieee_div_zero 0
		.amdhsa_exception_fp_ieee_overflow 0
		.amdhsa_exception_fp_ieee_underflow 0
		.amdhsa_exception_fp_ieee_inexact 0
		.amdhsa_exception_int_div_zero 0
	.end_amdhsa_kernel
	.section	.text._ZN7rocprim17ROCPRIM_400000_NS6detail44device_merge_sort_compile_time_verifier_archINS1_11comp_targetILNS1_3genE2ELNS1_11target_archE906ELNS1_3gpuE6ELNS1_3repE0EEES8_NS1_28merge_sort_block_sort_configILj256ELj4ELNS0_20block_sort_algorithmE0EEENS0_14default_configENS1_37merge_sort_block_sort_config_selectorIcNS0_10empty_typeEEENS1_38merge_sort_block_merge_config_selectorIcSE_EEEEvv,"axG",@progbits,_ZN7rocprim17ROCPRIM_400000_NS6detail44device_merge_sort_compile_time_verifier_archINS1_11comp_targetILNS1_3genE2ELNS1_11target_archE906ELNS1_3gpuE6ELNS1_3repE0EEES8_NS1_28merge_sort_block_sort_configILj256ELj4ELNS0_20block_sort_algorithmE0EEENS0_14default_configENS1_37merge_sort_block_sort_config_selectorIcNS0_10empty_typeEEENS1_38merge_sort_block_merge_config_selectorIcSE_EEEEvv,comdat
.Lfunc_end13:
	.size	_ZN7rocprim17ROCPRIM_400000_NS6detail44device_merge_sort_compile_time_verifier_archINS1_11comp_targetILNS1_3genE2ELNS1_11target_archE906ELNS1_3gpuE6ELNS1_3repE0EEES8_NS1_28merge_sort_block_sort_configILj256ELj4ELNS0_20block_sort_algorithmE0EEENS0_14default_configENS1_37merge_sort_block_sort_config_selectorIcNS0_10empty_typeEEENS1_38merge_sort_block_merge_config_selectorIcSE_EEEEvv, .Lfunc_end13-_ZN7rocprim17ROCPRIM_400000_NS6detail44device_merge_sort_compile_time_verifier_archINS1_11comp_targetILNS1_3genE2ELNS1_11target_archE906ELNS1_3gpuE6ELNS1_3repE0EEES8_NS1_28merge_sort_block_sort_configILj256ELj4ELNS0_20block_sort_algorithmE0EEENS0_14default_configENS1_37merge_sort_block_sort_config_selectorIcNS0_10empty_typeEEENS1_38merge_sort_block_merge_config_selectorIcSE_EEEEvv
                                        ; -- End function
	.section	.AMDGPU.csdata,"",@progbits
; Kernel info:
; codeLenInByte = 4
; NumSgprs: 4
; NumVgprs: 0
; NumAgprs: 0
; TotalNumVgprs: 0
; ScratchSize: 0
; MemoryBound: 0
; FloatMode: 240
; IeeeMode: 1
; LDSByteSize: 0 bytes/workgroup (compile time only)
; SGPRBlocks: 0
; VGPRBlocks: 0
; NumSGPRsForWavesPerEU: 4
; NumVGPRsForWavesPerEU: 1
; AccumOffset: 4
; Occupancy: 8
; WaveLimiterHint : 0
; COMPUTE_PGM_RSRC2:SCRATCH_EN: 0
; COMPUTE_PGM_RSRC2:USER_SGPR: 4
; COMPUTE_PGM_RSRC2:TRAP_HANDLER: 0
; COMPUTE_PGM_RSRC2:TGID_X_EN: 1
; COMPUTE_PGM_RSRC2:TGID_Y_EN: 0
; COMPUTE_PGM_RSRC2:TGID_Z_EN: 0
; COMPUTE_PGM_RSRC2:TIDIG_COMP_CNT: 0
; COMPUTE_PGM_RSRC3_GFX90A:ACCUM_OFFSET: 0
; COMPUTE_PGM_RSRC3_GFX90A:TG_SPLIT: 0
	.section	.text._ZN7rocprim17ROCPRIM_400000_NS6detail44device_merge_sort_compile_time_verifier_archINS1_11comp_targetILNS1_3genE10ELNS1_11target_archE1201ELNS1_3gpuE5ELNS1_3repE0EEES8_NS1_28merge_sort_block_sort_configILj256ELj4ELNS0_20block_sort_algorithmE0EEENS0_14default_configENS1_37merge_sort_block_sort_config_selectorIcNS0_10empty_typeEEENS1_38merge_sort_block_merge_config_selectorIcSE_EEEEvv,"axG",@progbits,_ZN7rocprim17ROCPRIM_400000_NS6detail44device_merge_sort_compile_time_verifier_archINS1_11comp_targetILNS1_3genE10ELNS1_11target_archE1201ELNS1_3gpuE5ELNS1_3repE0EEES8_NS1_28merge_sort_block_sort_configILj256ELj4ELNS0_20block_sort_algorithmE0EEENS0_14default_configENS1_37merge_sort_block_sort_config_selectorIcNS0_10empty_typeEEENS1_38merge_sort_block_merge_config_selectorIcSE_EEEEvv,comdat
	.protected	_ZN7rocprim17ROCPRIM_400000_NS6detail44device_merge_sort_compile_time_verifier_archINS1_11comp_targetILNS1_3genE10ELNS1_11target_archE1201ELNS1_3gpuE5ELNS1_3repE0EEES8_NS1_28merge_sort_block_sort_configILj256ELj4ELNS0_20block_sort_algorithmE0EEENS0_14default_configENS1_37merge_sort_block_sort_config_selectorIcNS0_10empty_typeEEENS1_38merge_sort_block_merge_config_selectorIcSE_EEEEvv ; -- Begin function _ZN7rocprim17ROCPRIM_400000_NS6detail44device_merge_sort_compile_time_verifier_archINS1_11comp_targetILNS1_3genE10ELNS1_11target_archE1201ELNS1_3gpuE5ELNS1_3repE0EEES8_NS1_28merge_sort_block_sort_configILj256ELj4ELNS0_20block_sort_algorithmE0EEENS0_14default_configENS1_37merge_sort_block_sort_config_selectorIcNS0_10empty_typeEEENS1_38merge_sort_block_merge_config_selectorIcSE_EEEEvv
	.globl	_ZN7rocprim17ROCPRIM_400000_NS6detail44device_merge_sort_compile_time_verifier_archINS1_11comp_targetILNS1_3genE10ELNS1_11target_archE1201ELNS1_3gpuE5ELNS1_3repE0EEES8_NS1_28merge_sort_block_sort_configILj256ELj4ELNS0_20block_sort_algorithmE0EEENS0_14default_configENS1_37merge_sort_block_sort_config_selectorIcNS0_10empty_typeEEENS1_38merge_sort_block_merge_config_selectorIcSE_EEEEvv
	.p2align	8
	.type	_ZN7rocprim17ROCPRIM_400000_NS6detail44device_merge_sort_compile_time_verifier_archINS1_11comp_targetILNS1_3genE10ELNS1_11target_archE1201ELNS1_3gpuE5ELNS1_3repE0EEES8_NS1_28merge_sort_block_sort_configILj256ELj4ELNS0_20block_sort_algorithmE0EEENS0_14default_configENS1_37merge_sort_block_sort_config_selectorIcNS0_10empty_typeEEENS1_38merge_sort_block_merge_config_selectorIcSE_EEEEvv,@function
_ZN7rocprim17ROCPRIM_400000_NS6detail44device_merge_sort_compile_time_verifier_archINS1_11comp_targetILNS1_3genE10ELNS1_11target_archE1201ELNS1_3gpuE5ELNS1_3repE0EEES8_NS1_28merge_sort_block_sort_configILj256ELj4ELNS0_20block_sort_algorithmE0EEENS0_14default_configENS1_37merge_sort_block_sort_config_selectorIcNS0_10empty_typeEEENS1_38merge_sort_block_merge_config_selectorIcSE_EEEEvv: ; @_ZN7rocprim17ROCPRIM_400000_NS6detail44device_merge_sort_compile_time_verifier_archINS1_11comp_targetILNS1_3genE10ELNS1_11target_archE1201ELNS1_3gpuE5ELNS1_3repE0EEES8_NS1_28merge_sort_block_sort_configILj256ELj4ELNS0_20block_sort_algorithmE0EEENS0_14default_configENS1_37merge_sort_block_sort_config_selectorIcNS0_10empty_typeEEENS1_38merge_sort_block_merge_config_selectorIcSE_EEEEvv
; %bb.0:
	s_endpgm
	.section	.rodata,"a",@progbits
	.p2align	6, 0x0
	.amdhsa_kernel _ZN7rocprim17ROCPRIM_400000_NS6detail44device_merge_sort_compile_time_verifier_archINS1_11comp_targetILNS1_3genE10ELNS1_11target_archE1201ELNS1_3gpuE5ELNS1_3repE0EEES8_NS1_28merge_sort_block_sort_configILj256ELj4ELNS0_20block_sort_algorithmE0EEENS0_14default_configENS1_37merge_sort_block_sort_config_selectorIcNS0_10empty_typeEEENS1_38merge_sort_block_merge_config_selectorIcSE_EEEEvv
		.amdhsa_group_segment_fixed_size 0
		.amdhsa_private_segment_fixed_size 0
		.amdhsa_kernarg_size 0
		.amdhsa_user_sgpr_count 4
		.amdhsa_user_sgpr_private_segment_buffer 1
		.amdhsa_user_sgpr_dispatch_ptr 0
		.amdhsa_user_sgpr_queue_ptr 0
		.amdhsa_user_sgpr_kernarg_segment_ptr 0
		.amdhsa_user_sgpr_dispatch_id 0
		.amdhsa_user_sgpr_flat_scratch_init 0
		.amdhsa_user_sgpr_kernarg_preload_length 0
		.amdhsa_user_sgpr_kernarg_preload_offset 0
		.amdhsa_user_sgpr_private_segment_size 0
		.amdhsa_uses_dynamic_stack 0
		.amdhsa_system_sgpr_private_segment_wavefront_offset 0
		.amdhsa_system_sgpr_workgroup_id_x 1
		.amdhsa_system_sgpr_workgroup_id_y 0
		.amdhsa_system_sgpr_workgroup_id_z 0
		.amdhsa_system_sgpr_workgroup_info 0
		.amdhsa_system_vgpr_workitem_id 0
		.amdhsa_next_free_vgpr 1
		.amdhsa_next_free_sgpr 0
		.amdhsa_accum_offset 4
		.amdhsa_reserve_vcc 0
		.amdhsa_reserve_flat_scratch 0
		.amdhsa_float_round_mode_32 0
		.amdhsa_float_round_mode_16_64 0
		.amdhsa_float_denorm_mode_32 3
		.amdhsa_float_denorm_mode_16_64 3
		.amdhsa_dx10_clamp 1
		.amdhsa_ieee_mode 1
		.amdhsa_fp16_overflow 0
		.amdhsa_tg_split 0
		.amdhsa_exception_fp_ieee_invalid_op 0
		.amdhsa_exception_fp_denorm_src 0
		.amdhsa_exception_fp_ieee_div_zero 0
		.amdhsa_exception_fp_ieee_overflow 0
		.amdhsa_exception_fp_ieee_underflow 0
		.amdhsa_exception_fp_ieee_inexact 0
		.amdhsa_exception_int_div_zero 0
	.end_amdhsa_kernel
	.section	.text._ZN7rocprim17ROCPRIM_400000_NS6detail44device_merge_sort_compile_time_verifier_archINS1_11comp_targetILNS1_3genE10ELNS1_11target_archE1201ELNS1_3gpuE5ELNS1_3repE0EEES8_NS1_28merge_sort_block_sort_configILj256ELj4ELNS0_20block_sort_algorithmE0EEENS0_14default_configENS1_37merge_sort_block_sort_config_selectorIcNS0_10empty_typeEEENS1_38merge_sort_block_merge_config_selectorIcSE_EEEEvv,"axG",@progbits,_ZN7rocprim17ROCPRIM_400000_NS6detail44device_merge_sort_compile_time_verifier_archINS1_11comp_targetILNS1_3genE10ELNS1_11target_archE1201ELNS1_3gpuE5ELNS1_3repE0EEES8_NS1_28merge_sort_block_sort_configILj256ELj4ELNS0_20block_sort_algorithmE0EEENS0_14default_configENS1_37merge_sort_block_sort_config_selectorIcNS0_10empty_typeEEENS1_38merge_sort_block_merge_config_selectorIcSE_EEEEvv,comdat
.Lfunc_end14:
	.size	_ZN7rocprim17ROCPRIM_400000_NS6detail44device_merge_sort_compile_time_verifier_archINS1_11comp_targetILNS1_3genE10ELNS1_11target_archE1201ELNS1_3gpuE5ELNS1_3repE0EEES8_NS1_28merge_sort_block_sort_configILj256ELj4ELNS0_20block_sort_algorithmE0EEENS0_14default_configENS1_37merge_sort_block_sort_config_selectorIcNS0_10empty_typeEEENS1_38merge_sort_block_merge_config_selectorIcSE_EEEEvv, .Lfunc_end14-_ZN7rocprim17ROCPRIM_400000_NS6detail44device_merge_sort_compile_time_verifier_archINS1_11comp_targetILNS1_3genE10ELNS1_11target_archE1201ELNS1_3gpuE5ELNS1_3repE0EEES8_NS1_28merge_sort_block_sort_configILj256ELj4ELNS0_20block_sort_algorithmE0EEENS0_14default_configENS1_37merge_sort_block_sort_config_selectorIcNS0_10empty_typeEEENS1_38merge_sort_block_merge_config_selectorIcSE_EEEEvv
                                        ; -- End function
	.section	.AMDGPU.csdata,"",@progbits
; Kernel info:
; codeLenInByte = 4
; NumSgprs: 4
; NumVgprs: 0
; NumAgprs: 0
; TotalNumVgprs: 0
; ScratchSize: 0
; MemoryBound: 0
; FloatMode: 240
; IeeeMode: 1
; LDSByteSize: 0 bytes/workgroup (compile time only)
; SGPRBlocks: 0
; VGPRBlocks: 0
; NumSGPRsForWavesPerEU: 4
; NumVGPRsForWavesPerEU: 1
; AccumOffset: 4
; Occupancy: 8
; WaveLimiterHint : 0
; COMPUTE_PGM_RSRC2:SCRATCH_EN: 0
; COMPUTE_PGM_RSRC2:USER_SGPR: 4
; COMPUTE_PGM_RSRC2:TRAP_HANDLER: 0
; COMPUTE_PGM_RSRC2:TGID_X_EN: 1
; COMPUTE_PGM_RSRC2:TGID_Y_EN: 0
; COMPUTE_PGM_RSRC2:TGID_Z_EN: 0
; COMPUTE_PGM_RSRC2:TIDIG_COMP_CNT: 0
; COMPUTE_PGM_RSRC3_GFX90A:ACCUM_OFFSET: 0
; COMPUTE_PGM_RSRC3_GFX90A:TG_SPLIT: 0
	.section	.text._ZN7rocprim17ROCPRIM_400000_NS6detail44device_merge_sort_compile_time_verifier_archINS1_11comp_targetILNS1_3genE10ELNS1_11target_archE1200ELNS1_3gpuE4ELNS1_3repE0EEENS3_ILS4_10ELS5_1201ELS6_5ELS7_0EEENS1_28merge_sort_block_sort_configILj256ELj4ELNS0_20block_sort_algorithmE0EEENS0_14default_configENS1_37merge_sort_block_sort_config_selectorIcNS0_10empty_typeEEENS1_38merge_sort_block_merge_config_selectorIcSF_EEEEvv,"axG",@progbits,_ZN7rocprim17ROCPRIM_400000_NS6detail44device_merge_sort_compile_time_verifier_archINS1_11comp_targetILNS1_3genE10ELNS1_11target_archE1200ELNS1_3gpuE4ELNS1_3repE0EEENS3_ILS4_10ELS5_1201ELS6_5ELS7_0EEENS1_28merge_sort_block_sort_configILj256ELj4ELNS0_20block_sort_algorithmE0EEENS0_14default_configENS1_37merge_sort_block_sort_config_selectorIcNS0_10empty_typeEEENS1_38merge_sort_block_merge_config_selectorIcSF_EEEEvv,comdat
	.protected	_ZN7rocprim17ROCPRIM_400000_NS6detail44device_merge_sort_compile_time_verifier_archINS1_11comp_targetILNS1_3genE10ELNS1_11target_archE1200ELNS1_3gpuE4ELNS1_3repE0EEENS3_ILS4_10ELS5_1201ELS6_5ELS7_0EEENS1_28merge_sort_block_sort_configILj256ELj4ELNS0_20block_sort_algorithmE0EEENS0_14default_configENS1_37merge_sort_block_sort_config_selectorIcNS0_10empty_typeEEENS1_38merge_sort_block_merge_config_selectorIcSF_EEEEvv ; -- Begin function _ZN7rocprim17ROCPRIM_400000_NS6detail44device_merge_sort_compile_time_verifier_archINS1_11comp_targetILNS1_3genE10ELNS1_11target_archE1200ELNS1_3gpuE4ELNS1_3repE0EEENS3_ILS4_10ELS5_1201ELS6_5ELS7_0EEENS1_28merge_sort_block_sort_configILj256ELj4ELNS0_20block_sort_algorithmE0EEENS0_14default_configENS1_37merge_sort_block_sort_config_selectorIcNS0_10empty_typeEEENS1_38merge_sort_block_merge_config_selectorIcSF_EEEEvv
	.globl	_ZN7rocprim17ROCPRIM_400000_NS6detail44device_merge_sort_compile_time_verifier_archINS1_11comp_targetILNS1_3genE10ELNS1_11target_archE1200ELNS1_3gpuE4ELNS1_3repE0EEENS3_ILS4_10ELS5_1201ELS6_5ELS7_0EEENS1_28merge_sort_block_sort_configILj256ELj4ELNS0_20block_sort_algorithmE0EEENS0_14default_configENS1_37merge_sort_block_sort_config_selectorIcNS0_10empty_typeEEENS1_38merge_sort_block_merge_config_selectorIcSF_EEEEvv
	.p2align	8
	.type	_ZN7rocprim17ROCPRIM_400000_NS6detail44device_merge_sort_compile_time_verifier_archINS1_11comp_targetILNS1_3genE10ELNS1_11target_archE1200ELNS1_3gpuE4ELNS1_3repE0EEENS3_ILS4_10ELS5_1201ELS6_5ELS7_0EEENS1_28merge_sort_block_sort_configILj256ELj4ELNS0_20block_sort_algorithmE0EEENS0_14default_configENS1_37merge_sort_block_sort_config_selectorIcNS0_10empty_typeEEENS1_38merge_sort_block_merge_config_selectorIcSF_EEEEvv,@function
_ZN7rocprim17ROCPRIM_400000_NS6detail44device_merge_sort_compile_time_verifier_archINS1_11comp_targetILNS1_3genE10ELNS1_11target_archE1200ELNS1_3gpuE4ELNS1_3repE0EEENS3_ILS4_10ELS5_1201ELS6_5ELS7_0EEENS1_28merge_sort_block_sort_configILj256ELj4ELNS0_20block_sort_algorithmE0EEENS0_14default_configENS1_37merge_sort_block_sort_config_selectorIcNS0_10empty_typeEEENS1_38merge_sort_block_merge_config_selectorIcSF_EEEEvv: ; @_ZN7rocprim17ROCPRIM_400000_NS6detail44device_merge_sort_compile_time_verifier_archINS1_11comp_targetILNS1_3genE10ELNS1_11target_archE1200ELNS1_3gpuE4ELNS1_3repE0EEENS3_ILS4_10ELS5_1201ELS6_5ELS7_0EEENS1_28merge_sort_block_sort_configILj256ELj4ELNS0_20block_sort_algorithmE0EEENS0_14default_configENS1_37merge_sort_block_sort_config_selectorIcNS0_10empty_typeEEENS1_38merge_sort_block_merge_config_selectorIcSF_EEEEvv
; %bb.0:
	s_endpgm
	.section	.rodata,"a",@progbits
	.p2align	6, 0x0
	.amdhsa_kernel _ZN7rocprim17ROCPRIM_400000_NS6detail44device_merge_sort_compile_time_verifier_archINS1_11comp_targetILNS1_3genE10ELNS1_11target_archE1200ELNS1_3gpuE4ELNS1_3repE0EEENS3_ILS4_10ELS5_1201ELS6_5ELS7_0EEENS1_28merge_sort_block_sort_configILj256ELj4ELNS0_20block_sort_algorithmE0EEENS0_14default_configENS1_37merge_sort_block_sort_config_selectorIcNS0_10empty_typeEEENS1_38merge_sort_block_merge_config_selectorIcSF_EEEEvv
		.amdhsa_group_segment_fixed_size 0
		.amdhsa_private_segment_fixed_size 0
		.amdhsa_kernarg_size 0
		.amdhsa_user_sgpr_count 4
		.amdhsa_user_sgpr_private_segment_buffer 1
		.amdhsa_user_sgpr_dispatch_ptr 0
		.amdhsa_user_sgpr_queue_ptr 0
		.amdhsa_user_sgpr_kernarg_segment_ptr 0
		.amdhsa_user_sgpr_dispatch_id 0
		.amdhsa_user_sgpr_flat_scratch_init 0
		.amdhsa_user_sgpr_kernarg_preload_length 0
		.amdhsa_user_sgpr_kernarg_preload_offset 0
		.amdhsa_user_sgpr_private_segment_size 0
		.amdhsa_uses_dynamic_stack 0
		.amdhsa_system_sgpr_private_segment_wavefront_offset 0
		.amdhsa_system_sgpr_workgroup_id_x 1
		.amdhsa_system_sgpr_workgroup_id_y 0
		.amdhsa_system_sgpr_workgroup_id_z 0
		.amdhsa_system_sgpr_workgroup_info 0
		.amdhsa_system_vgpr_workitem_id 0
		.amdhsa_next_free_vgpr 1
		.amdhsa_next_free_sgpr 0
		.amdhsa_accum_offset 4
		.amdhsa_reserve_vcc 0
		.amdhsa_reserve_flat_scratch 0
		.amdhsa_float_round_mode_32 0
		.amdhsa_float_round_mode_16_64 0
		.amdhsa_float_denorm_mode_32 3
		.amdhsa_float_denorm_mode_16_64 3
		.amdhsa_dx10_clamp 1
		.amdhsa_ieee_mode 1
		.amdhsa_fp16_overflow 0
		.amdhsa_tg_split 0
		.amdhsa_exception_fp_ieee_invalid_op 0
		.amdhsa_exception_fp_denorm_src 0
		.amdhsa_exception_fp_ieee_div_zero 0
		.amdhsa_exception_fp_ieee_overflow 0
		.amdhsa_exception_fp_ieee_underflow 0
		.amdhsa_exception_fp_ieee_inexact 0
		.amdhsa_exception_int_div_zero 0
	.end_amdhsa_kernel
	.section	.text._ZN7rocprim17ROCPRIM_400000_NS6detail44device_merge_sort_compile_time_verifier_archINS1_11comp_targetILNS1_3genE10ELNS1_11target_archE1200ELNS1_3gpuE4ELNS1_3repE0EEENS3_ILS4_10ELS5_1201ELS6_5ELS7_0EEENS1_28merge_sort_block_sort_configILj256ELj4ELNS0_20block_sort_algorithmE0EEENS0_14default_configENS1_37merge_sort_block_sort_config_selectorIcNS0_10empty_typeEEENS1_38merge_sort_block_merge_config_selectorIcSF_EEEEvv,"axG",@progbits,_ZN7rocprim17ROCPRIM_400000_NS6detail44device_merge_sort_compile_time_verifier_archINS1_11comp_targetILNS1_3genE10ELNS1_11target_archE1200ELNS1_3gpuE4ELNS1_3repE0EEENS3_ILS4_10ELS5_1201ELS6_5ELS7_0EEENS1_28merge_sort_block_sort_configILj256ELj4ELNS0_20block_sort_algorithmE0EEENS0_14default_configENS1_37merge_sort_block_sort_config_selectorIcNS0_10empty_typeEEENS1_38merge_sort_block_merge_config_selectorIcSF_EEEEvv,comdat
.Lfunc_end15:
	.size	_ZN7rocprim17ROCPRIM_400000_NS6detail44device_merge_sort_compile_time_verifier_archINS1_11comp_targetILNS1_3genE10ELNS1_11target_archE1200ELNS1_3gpuE4ELNS1_3repE0EEENS3_ILS4_10ELS5_1201ELS6_5ELS7_0EEENS1_28merge_sort_block_sort_configILj256ELj4ELNS0_20block_sort_algorithmE0EEENS0_14default_configENS1_37merge_sort_block_sort_config_selectorIcNS0_10empty_typeEEENS1_38merge_sort_block_merge_config_selectorIcSF_EEEEvv, .Lfunc_end15-_ZN7rocprim17ROCPRIM_400000_NS6detail44device_merge_sort_compile_time_verifier_archINS1_11comp_targetILNS1_3genE10ELNS1_11target_archE1200ELNS1_3gpuE4ELNS1_3repE0EEENS3_ILS4_10ELS5_1201ELS6_5ELS7_0EEENS1_28merge_sort_block_sort_configILj256ELj4ELNS0_20block_sort_algorithmE0EEENS0_14default_configENS1_37merge_sort_block_sort_config_selectorIcNS0_10empty_typeEEENS1_38merge_sort_block_merge_config_selectorIcSF_EEEEvv
                                        ; -- End function
	.section	.AMDGPU.csdata,"",@progbits
; Kernel info:
; codeLenInByte = 4
; NumSgprs: 4
; NumVgprs: 0
; NumAgprs: 0
; TotalNumVgprs: 0
; ScratchSize: 0
; MemoryBound: 0
; FloatMode: 240
; IeeeMode: 1
; LDSByteSize: 0 bytes/workgroup (compile time only)
; SGPRBlocks: 0
; VGPRBlocks: 0
; NumSGPRsForWavesPerEU: 4
; NumVGPRsForWavesPerEU: 1
; AccumOffset: 4
; Occupancy: 8
; WaveLimiterHint : 0
; COMPUTE_PGM_RSRC2:SCRATCH_EN: 0
; COMPUTE_PGM_RSRC2:USER_SGPR: 4
; COMPUTE_PGM_RSRC2:TRAP_HANDLER: 0
; COMPUTE_PGM_RSRC2:TGID_X_EN: 1
; COMPUTE_PGM_RSRC2:TGID_Y_EN: 0
; COMPUTE_PGM_RSRC2:TGID_Z_EN: 0
; COMPUTE_PGM_RSRC2:TIDIG_COMP_CNT: 0
; COMPUTE_PGM_RSRC3_GFX90A:ACCUM_OFFSET: 0
; COMPUTE_PGM_RSRC3_GFX90A:TG_SPLIT: 0
	.section	.text._ZN7rocprim17ROCPRIM_400000_NS6detail44device_merge_sort_compile_time_verifier_archINS1_11comp_targetILNS1_3genE9ELNS1_11target_archE1100ELNS1_3gpuE3ELNS1_3repE0EEES8_NS1_28merge_sort_block_sort_configILj256ELj4ELNS0_20block_sort_algorithmE0EEENS0_14default_configENS1_37merge_sort_block_sort_config_selectorIcNS0_10empty_typeEEENS1_38merge_sort_block_merge_config_selectorIcSE_EEEEvv,"axG",@progbits,_ZN7rocprim17ROCPRIM_400000_NS6detail44device_merge_sort_compile_time_verifier_archINS1_11comp_targetILNS1_3genE9ELNS1_11target_archE1100ELNS1_3gpuE3ELNS1_3repE0EEES8_NS1_28merge_sort_block_sort_configILj256ELj4ELNS0_20block_sort_algorithmE0EEENS0_14default_configENS1_37merge_sort_block_sort_config_selectorIcNS0_10empty_typeEEENS1_38merge_sort_block_merge_config_selectorIcSE_EEEEvv,comdat
	.protected	_ZN7rocprim17ROCPRIM_400000_NS6detail44device_merge_sort_compile_time_verifier_archINS1_11comp_targetILNS1_3genE9ELNS1_11target_archE1100ELNS1_3gpuE3ELNS1_3repE0EEES8_NS1_28merge_sort_block_sort_configILj256ELj4ELNS0_20block_sort_algorithmE0EEENS0_14default_configENS1_37merge_sort_block_sort_config_selectorIcNS0_10empty_typeEEENS1_38merge_sort_block_merge_config_selectorIcSE_EEEEvv ; -- Begin function _ZN7rocprim17ROCPRIM_400000_NS6detail44device_merge_sort_compile_time_verifier_archINS1_11comp_targetILNS1_3genE9ELNS1_11target_archE1100ELNS1_3gpuE3ELNS1_3repE0EEES8_NS1_28merge_sort_block_sort_configILj256ELj4ELNS0_20block_sort_algorithmE0EEENS0_14default_configENS1_37merge_sort_block_sort_config_selectorIcNS0_10empty_typeEEENS1_38merge_sort_block_merge_config_selectorIcSE_EEEEvv
	.globl	_ZN7rocprim17ROCPRIM_400000_NS6detail44device_merge_sort_compile_time_verifier_archINS1_11comp_targetILNS1_3genE9ELNS1_11target_archE1100ELNS1_3gpuE3ELNS1_3repE0EEES8_NS1_28merge_sort_block_sort_configILj256ELj4ELNS0_20block_sort_algorithmE0EEENS0_14default_configENS1_37merge_sort_block_sort_config_selectorIcNS0_10empty_typeEEENS1_38merge_sort_block_merge_config_selectorIcSE_EEEEvv
	.p2align	8
	.type	_ZN7rocprim17ROCPRIM_400000_NS6detail44device_merge_sort_compile_time_verifier_archINS1_11comp_targetILNS1_3genE9ELNS1_11target_archE1100ELNS1_3gpuE3ELNS1_3repE0EEES8_NS1_28merge_sort_block_sort_configILj256ELj4ELNS0_20block_sort_algorithmE0EEENS0_14default_configENS1_37merge_sort_block_sort_config_selectorIcNS0_10empty_typeEEENS1_38merge_sort_block_merge_config_selectorIcSE_EEEEvv,@function
_ZN7rocprim17ROCPRIM_400000_NS6detail44device_merge_sort_compile_time_verifier_archINS1_11comp_targetILNS1_3genE9ELNS1_11target_archE1100ELNS1_3gpuE3ELNS1_3repE0EEES8_NS1_28merge_sort_block_sort_configILj256ELj4ELNS0_20block_sort_algorithmE0EEENS0_14default_configENS1_37merge_sort_block_sort_config_selectorIcNS0_10empty_typeEEENS1_38merge_sort_block_merge_config_selectorIcSE_EEEEvv: ; @_ZN7rocprim17ROCPRIM_400000_NS6detail44device_merge_sort_compile_time_verifier_archINS1_11comp_targetILNS1_3genE9ELNS1_11target_archE1100ELNS1_3gpuE3ELNS1_3repE0EEES8_NS1_28merge_sort_block_sort_configILj256ELj4ELNS0_20block_sort_algorithmE0EEENS0_14default_configENS1_37merge_sort_block_sort_config_selectorIcNS0_10empty_typeEEENS1_38merge_sort_block_merge_config_selectorIcSE_EEEEvv
; %bb.0:
	s_endpgm
	.section	.rodata,"a",@progbits
	.p2align	6, 0x0
	.amdhsa_kernel _ZN7rocprim17ROCPRIM_400000_NS6detail44device_merge_sort_compile_time_verifier_archINS1_11comp_targetILNS1_3genE9ELNS1_11target_archE1100ELNS1_3gpuE3ELNS1_3repE0EEES8_NS1_28merge_sort_block_sort_configILj256ELj4ELNS0_20block_sort_algorithmE0EEENS0_14default_configENS1_37merge_sort_block_sort_config_selectorIcNS0_10empty_typeEEENS1_38merge_sort_block_merge_config_selectorIcSE_EEEEvv
		.amdhsa_group_segment_fixed_size 0
		.amdhsa_private_segment_fixed_size 0
		.amdhsa_kernarg_size 0
		.amdhsa_user_sgpr_count 4
		.amdhsa_user_sgpr_private_segment_buffer 1
		.amdhsa_user_sgpr_dispatch_ptr 0
		.amdhsa_user_sgpr_queue_ptr 0
		.amdhsa_user_sgpr_kernarg_segment_ptr 0
		.amdhsa_user_sgpr_dispatch_id 0
		.amdhsa_user_sgpr_flat_scratch_init 0
		.amdhsa_user_sgpr_kernarg_preload_length 0
		.amdhsa_user_sgpr_kernarg_preload_offset 0
		.amdhsa_user_sgpr_private_segment_size 0
		.amdhsa_uses_dynamic_stack 0
		.amdhsa_system_sgpr_private_segment_wavefront_offset 0
		.amdhsa_system_sgpr_workgroup_id_x 1
		.amdhsa_system_sgpr_workgroup_id_y 0
		.amdhsa_system_sgpr_workgroup_id_z 0
		.amdhsa_system_sgpr_workgroup_info 0
		.amdhsa_system_vgpr_workitem_id 0
		.amdhsa_next_free_vgpr 1
		.amdhsa_next_free_sgpr 0
		.amdhsa_accum_offset 4
		.amdhsa_reserve_vcc 0
		.amdhsa_reserve_flat_scratch 0
		.amdhsa_float_round_mode_32 0
		.amdhsa_float_round_mode_16_64 0
		.amdhsa_float_denorm_mode_32 3
		.amdhsa_float_denorm_mode_16_64 3
		.amdhsa_dx10_clamp 1
		.amdhsa_ieee_mode 1
		.amdhsa_fp16_overflow 0
		.amdhsa_tg_split 0
		.amdhsa_exception_fp_ieee_invalid_op 0
		.amdhsa_exception_fp_denorm_src 0
		.amdhsa_exception_fp_ieee_div_zero 0
		.amdhsa_exception_fp_ieee_overflow 0
		.amdhsa_exception_fp_ieee_underflow 0
		.amdhsa_exception_fp_ieee_inexact 0
		.amdhsa_exception_int_div_zero 0
	.end_amdhsa_kernel
	.section	.text._ZN7rocprim17ROCPRIM_400000_NS6detail44device_merge_sort_compile_time_verifier_archINS1_11comp_targetILNS1_3genE9ELNS1_11target_archE1100ELNS1_3gpuE3ELNS1_3repE0EEES8_NS1_28merge_sort_block_sort_configILj256ELj4ELNS0_20block_sort_algorithmE0EEENS0_14default_configENS1_37merge_sort_block_sort_config_selectorIcNS0_10empty_typeEEENS1_38merge_sort_block_merge_config_selectorIcSE_EEEEvv,"axG",@progbits,_ZN7rocprim17ROCPRIM_400000_NS6detail44device_merge_sort_compile_time_verifier_archINS1_11comp_targetILNS1_3genE9ELNS1_11target_archE1100ELNS1_3gpuE3ELNS1_3repE0EEES8_NS1_28merge_sort_block_sort_configILj256ELj4ELNS0_20block_sort_algorithmE0EEENS0_14default_configENS1_37merge_sort_block_sort_config_selectorIcNS0_10empty_typeEEENS1_38merge_sort_block_merge_config_selectorIcSE_EEEEvv,comdat
.Lfunc_end16:
	.size	_ZN7rocprim17ROCPRIM_400000_NS6detail44device_merge_sort_compile_time_verifier_archINS1_11comp_targetILNS1_3genE9ELNS1_11target_archE1100ELNS1_3gpuE3ELNS1_3repE0EEES8_NS1_28merge_sort_block_sort_configILj256ELj4ELNS0_20block_sort_algorithmE0EEENS0_14default_configENS1_37merge_sort_block_sort_config_selectorIcNS0_10empty_typeEEENS1_38merge_sort_block_merge_config_selectorIcSE_EEEEvv, .Lfunc_end16-_ZN7rocprim17ROCPRIM_400000_NS6detail44device_merge_sort_compile_time_verifier_archINS1_11comp_targetILNS1_3genE9ELNS1_11target_archE1100ELNS1_3gpuE3ELNS1_3repE0EEES8_NS1_28merge_sort_block_sort_configILj256ELj4ELNS0_20block_sort_algorithmE0EEENS0_14default_configENS1_37merge_sort_block_sort_config_selectorIcNS0_10empty_typeEEENS1_38merge_sort_block_merge_config_selectorIcSE_EEEEvv
                                        ; -- End function
	.section	.AMDGPU.csdata,"",@progbits
; Kernel info:
; codeLenInByte = 4
; NumSgprs: 4
; NumVgprs: 0
; NumAgprs: 0
; TotalNumVgprs: 0
; ScratchSize: 0
; MemoryBound: 0
; FloatMode: 240
; IeeeMode: 1
; LDSByteSize: 0 bytes/workgroup (compile time only)
; SGPRBlocks: 0
; VGPRBlocks: 0
; NumSGPRsForWavesPerEU: 4
; NumVGPRsForWavesPerEU: 1
; AccumOffset: 4
; Occupancy: 8
; WaveLimiterHint : 0
; COMPUTE_PGM_RSRC2:SCRATCH_EN: 0
; COMPUTE_PGM_RSRC2:USER_SGPR: 4
; COMPUTE_PGM_RSRC2:TRAP_HANDLER: 0
; COMPUTE_PGM_RSRC2:TGID_X_EN: 1
; COMPUTE_PGM_RSRC2:TGID_Y_EN: 0
; COMPUTE_PGM_RSRC2:TGID_Z_EN: 0
; COMPUTE_PGM_RSRC2:TIDIG_COMP_CNT: 0
; COMPUTE_PGM_RSRC3_GFX90A:ACCUM_OFFSET: 0
; COMPUTE_PGM_RSRC3_GFX90A:TG_SPLIT: 0
	.section	.text._ZN7rocprim17ROCPRIM_400000_NS6detail44device_merge_sort_compile_time_verifier_archINS1_11comp_targetILNS1_3genE8ELNS1_11target_archE1030ELNS1_3gpuE2ELNS1_3repE0EEES8_NS1_28merge_sort_block_sort_configILj256ELj4ELNS0_20block_sort_algorithmE0EEENS0_14default_configENS1_37merge_sort_block_sort_config_selectorIcNS0_10empty_typeEEENS1_38merge_sort_block_merge_config_selectorIcSE_EEEEvv,"axG",@progbits,_ZN7rocprim17ROCPRIM_400000_NS6detail44device_merge_sort_compile_time_verifier_archINS1_11comp_targetILNS1_3genE8ELNS1_11target_archE1030ELNS1_3gpuE2ELNS1_3repE0EEES8_NS1_28merge_sort_block_sort_configILj256ELj4ELNS0_20block_sort_algorithmE0EEENS0_14default_configENS1_37merge_sort_block_sort_config_selectorIcNS0_10empty_typeEEENS1_38merge_sort_block_merge_config_selectorIcSE_EEEEvv,comdat
	.protected	_ZN7rocprim17ROCPRIM_400000_NS6detail44device_merge_sort_compile_time_verifier_archINS1_11comp_targetILNS1_3genE8ELNS1_11target_archE1030ELNS1_3gpuE2ELNS1_3repE0EEES8_NS1_28merge_sort_block_sort_configILj256ELj4ELNS0_20block_sort_algorithmE0EEENS0_14default_configENS1_37merge_sort_block_sort_config_selectorIcNS0_10empty_typeEEENS1_38merge_sort_block_merge_config_selectorIcSE_EEEEvv ; -- Begin function _ZN7rocprim17ROCPRIM_400000_NS6detail44device_merge_sort_compile_time_verifier_archINS1_11comp_targetILNS1_3genE8ELNS1_11target_archE1030ELNS1_3gpuE2ELNS1_3repE0EEES8_NS1_28merge_sort_block_sort_configILj256ELj4ELNS0_20block_sort_algorithmE0EEENS0_14default_configENS1_37merge_sort_block_sort_config_selectorIcNS0_10empty_typeEEENS1_38merge_sort_block_merge_config_selectorIcSE_EEEEvv
	.globl	_ZN7rocprim17ROCPRIM_400000_NS6detail44device_merge_sort_compile_time_verifier_archINS1_11comp_targetILNS1_3genE8ELNS1_11target_archE1030ELNS1_3gpuE2ELNS1_3repE0EEES8_NS1_28merge_sort_block_sort_configILj256ELj4ELNS0_20block_sort_algorithmE0EEENS0_14default_configENS1_37merge_sort_block_sort_config_selectorIcNS0_10empty_typeEEENS1_38merge_sort_block_merge_config_selectorIcSE_EEEEvv
	.p2align	8
	.type	_ZN7rocprim17ROCPRIM_400000_NS6detail44device_merge_sort_compile_time_verifier_archINS1_11comp_targetILNS1_3genE8ELNS1_11target_archE1030ELNS1_3gpuE2ELNS1_3repE0EEES8_NS1_28merge_sort_block_sort_configILj256ELj4ELNS0_20block_sort_algorithmE0EEENS0_14default_configENS1_37merge_sort_block_sort_config_selectorIcNS0_10empty_typeEEENS1_38merge_sort_block_merge_config_selectorIcSE_EEEEvv,@function
_ZN7rocprim17ROCPRIM_400000_NS6detail44device_merge_sort_compile_time_verifier_archINS1_11comp_targetILNS1_3genE8ELNS1_11target_archE1030ELNS1_3gpuE2ELNS1_3repE0EEES8_NS1_28merge_sort_block_sort_configILj256ELj4ELNS0_20block_sort_algorithmE0EEENS0_14default_configENS1_37merge_sort_block_sort_config_selectorIcNS0_10empty_typeEEENS1_38merge_sort_block_merge_config_selectorIcSE_EEEEvv: ; @_ZN7rocprim17ROCPRIM_400000_NS6detail44device_merge_sort_compile_time_verifier_archINS1_11comp_targetILNS1_3genE8ELNS1_11target_archE1030ELNS1_3gpuE2ELNS1_3repE0EEES8_NS1_28merge_sort_block_sort_configILj256ELj4ELNS0_20block_sort_algorithmE0EEENS0_14default_configENS1_37merge_sort_block_sort_config_selectorIcNS0_10empty_typeEEENS1_38merge_sort_block_merge_config_selectorIcSE_EEEEvv
; %bb.0:
	s_endpgm
	.section	.rodata,"a",@progbits
	.p2align	6, 0x0
	.amdhsa_kernel _ZN7rocprim17ROCPRIM_400000_NS6detail44device_merge_sort_compile_time_verifier_archINS1_11comp_targetILNS1_3genE8ELNS1_11target_archE1030ELNS1_3gpuE2ELNS1_3repE0EEES8_NS1_28merge_sort_block_sort_configILj256ELj4ELNS0_20block_sort_algorithmE0EEENS0_14default_configENS1_37merge_sort_block_sort_config_selectorIcNS0_10empty_typeEEENS1_38merge_sort_block_merge_config_selectorIcSE_EEEEvv
		.amdhsa_group_segment_fixed_size 0
		.amdhsa_private_segment_fixed_size 0
		.amdhsa_kernarg_size 0
		.amdhsa_user_sgpr_count 4
		.amdhsa_user_sgpr_private_segment_buffer 1
		.amdhsa_user_sgpr_dispatch_ptr 0
		.amdhsa_user_sgpr_queue_ptr 0
		.amdhsa_user_sgpr_kernarg_segment_ptr 0
		.amdhsa_user_sgpr_dispatch_id 0
		.amdhsa_user_sgpr_flat_scratch_init 0
		.amdhsa_user_sgpr_kernarg_preload_length 0
		.amdhsa_user_sgpr_kernarg_preload_offset 0
		.amdhsa_user_sgpr_private_segment_size 0
		.amdhsa_uses_dynamic_stack 0
		.amdhsa_system_sgpr_private_segment_wavefront_offset 0
		.amdhsa_system_sgpr_workgroup_id_x 1
		.amdhsa_system_sgpr_workgroup_id_y 0
		.amdhsa_system_sgpr_workgroup_id_z 0
		.amdhsa_system_sgpr_workgroup_info 0
		.amdhsa_system_vgpr_workitem_id 0
		.amdhsa_next_free_vgpr 1
		.amdhsa_next_free_sgpr 0
		.amdhsa_accum_offset 4
		.amdhsa_reserve_vcc 0
		.amdhsa_reserve_flat_scratch 0
		.amdhsa_float_round_mode_32 0
		.amdhsa_float_round_mode_16_64 0
		.amdhsa_float_denorm_mode_32 3
		.amdhsa_float_denorm_mode_16_64 3
		.amdhsa_dx10_clamp 1
		.amdhsa_ieee_mode 1
		.amdhsa_fp16_overflow 0
		.amdhsa_tg_split 0
		.amdhsa_exception_fp_ieee_invalid_op 0
		.amdhsa_exception_fp_denorm_src 0
		.amdhsa_exception_fp_ieee_div_zero 0
		.amdhsa_exception_fp_ieee_overflow 0
		.amdhsa_exception_fp_ieee_underflow 0
		.amdhsa_exception_fp_ieee_inexact 0
		.amdhsa_exception_int_div_zero 0
	.end_amdhsa_kernel
	.section	.text._ZN7rocprim17ROCPRIM_400000_NS6detail44device_merge_sort_compile_time_verifier_archINS1_11comp_targetILNS1_3genE8ELNS1_11target_archE1030ELNS1_3gpuE2ELNS1_3repE0EEES8_NS1_28merge_sort_block_sort_configILj256ELj4ELNS0_20block_sort_algorithmE0EEENS0_14default_configENS1_37merge_sort_block_sort_config_selectorIcNS0_10empty_typeEEENS1_38merge_sort_block_merge_config_selectorIcSE_EEEEvv,"axG",@progbits,_ZN7rocprim17ROCPRIM_400000_NS6detail44device_merge_sort_compile_time_verifier_archINS1_11comp_targetILNS1_3genE8ELNS1_11target_archE1030ELNS1_3gpuE2ELNS1_3repE0EEES8_NS1_28merge_sort_block_sort_configILj256ELj4ELNS0_20block_sort_algorithmE0EEENS0_14default_configENS1_37merge_sort_block_sort_config_selectorIcNS0_10empty_typeEEENS1_38merge_sort_block_merge_config_selectorIcSE_EEEEvv,comdat
.Lfunc_end17:
	.size	_ZN7rocprim17ROCPRIM_400000_NS6detail44device_merge_sort_compile_time_verifier_archINS1_11comp_targetILNS1_3genE8ELNS1_11target_archE1030ELNS1_3gpuE2ELNS1_3repE0EEES8_NS1_28merge_sort_block_sort_configILj256ELj4ELNS0_20block_sort_algorithmE0EEENS0_14default_configENS1_37merge_sort_block_sort_config_selectorIcNS0_10empty_typeEEENS1_38merge_sort_block_merge_config_selectorIcSE_EEEEvv, .Lfunc_end17-_ZN7rocprim17ROCPRIM_400000_NS6detail44device_merge_sort_compile_time_verifier_archINS1_11comp_targetILNS1_3genE8ELNS1_11target_archE1030ELNS1_3gpuE2ELNS1_3repE0EEES8_NS1_28merge_sort_block_sort_configILj256ELj4ELNS0_20block_sort_algorithmE0EEENS0_14default_configENS1_37merge_sort_block_sort_config_selectorIcNS0_10empty_typeEEENS1_38merge_sort_block_merge_config_selectorIcSE_EEEEvv
                                        ; -- End function
	.section	.AMDGPU.csdata,"",@progbits
; Kernel info:
; codeLenInByte = 4
; NumSgprs: 4
; NumVgprs: 0
; NumAgprs: 0
; TotalNumVgprs: 0
; ScratchSize: 0
; MemoryBound: 0
; FloatMode: 240
; IeeeMode: 1
; LDSByteSize: 0 bytes/workgroup (compile time only)
; SGPRBlocks: 0
; VGPRBlocks: 0
; NumSGPRsForWavesPerEU: 4
; NumVGPRsForWavesPerEU: 1
; AccumOffset: 4
; Occupancy: 8
; WaveLimiterHint : 0
; COMPUTE_PGM_RSRC2:SCRATCH_EN: 0
; COMPUTE_PGM_RSRC2:USER_SGPR: 4
; COMPUTE_PGM_RSRC2:TRAP_HANDLER: 0
; COMPUTE_PGM_RSRC2:TGID_X_EN: 1
; COMPUTE_PGM_RSRC2:TGID_Y_EN: 0
; COMPUTE_PGM_RSRC2:TGID_Z_EN: 0
; COMPUTE_PGM_RSRC2:TIDIG_COMP_CNT: 0
; COMPUTE_PGM_RSRC3_GFX90A:ACCUM_OFFSET: 0
; COMPUTE_PGM_RSRC3_GFX90A:TG_SPLIT: 0
	.section	.text._ZN7rocprim17ROCPRIM_400000_NS6detail17trampoline_kernelINS0_14default_configENS1_38merge_sort_block_merge_config_selectorIcNS0_10empty_typeEEEZZNS1_27merge_sort_block_merge_implIS3_PcPS5_jNS1_19radix_merge_compareILb0ELb0EcNS0_19identity_decomposerEEEEE10hipError_tT0_T1_T2_jT3_P12ihipStream_tbPNSt15iterator_traitsISE_E10value_typeEPNSK_ISF_E10value_typeEPSG_NS1_7vsmem_tEENKUlT_SE_SF_SG_E_clIS8_S8_S9_S9_EESD_ST_SE_SF_SG_EUlST_E_NS1_11comp_targetILNS1_3genE0ELNS1_11target_archE4294967295ELNS1_3gpuE0ELNS1_3repE0EEENS1_48merge_mergepath_partition_config_static_selectorELNS0_4arch9wavefront6targetE1EEEvSF_,"axG",@progbits,_ZN7rocprim17ROCPRIM_400000_NS6detail17trampoline_kernelINS0_14default_configENS1_38merge_sort_block_merge_config_selectorIcNS0_10empty_typeEEEZZNS1_27merge_sort_block_merge_implIS3_PcPS5_jNS1_19radix_merge_compareILb0ELb0EcNS0_19identity_decomposerEEEEE10hipError_tT0_T1_T2_jT3_P12ihipStream_tbPNSt15iterator_traitsISE_E10value_typeEPNSK_ISF_E10value_typeEPSG_NS1_7vsmem_tEENKUlT_SE_SF_SG_E_clIS8_S8_S9_S9_EESD_ST_SE_SF_SG_EUlST_E_NS1_11comp_targetILNS1_3genE0ELNS1_11target_archE4294967295ELNS1_3gpuE0ELNS1_3repE0EEENS1_48merge_mergepath_partition_config_static_selectorELNS0_4arch9wavefront6targetE1EEEvSF_,comdat
	.protected	_ZN7rocprim17ROCPRIM_400000_NS6detail17trampoline_kernelINS0_14default_configENS1_38merge_sort_block_merge_config_selectorIcNS0_10empty_typeEEEZZNS1_27merge_sort_block_merge_implIS3_PcPS5_jNS1_19radix_merge_compareILb0ELb0EcNS0_19identity_decomposerEEEEE10hipError_tT0_T1_T2_jT3_P12ihipStream_tbPNSt15iterator_traitsISE_E10value_typeEPNSK_ISF_E10value_typeEPSG_NS1_7vsmem_tEENKUlT_SE_SF_SG_E_clIS8_S8_S9_S9_EESD_ST_SE_SF_SG_EUlST_E_NS1_11comp_targetILNS1_3genE0ELNS1_11target_archE4294967295ELNS1_3gpuE0ELNS1_3repE0EEENS1_48merge_mergepath_partition_config_static_selectorELNS0_4arch9wavefront6targetE1EEEvSF_ ; -- Begin function _ZN7rocprim17ROCPRIM_400000_NS6detail17trampoline_kernelINS0_14default_configENS1_38merge_sort_block_merge_config_selectorIcNS0_10empty_typeEEEZZNS1_27merge_sort_block_merge_implIS3_PcPS5_jNS1_19radix_merge_compareILb0ELb0EcNS0_19identity_decomposerEEEEE10hipError_tT0_T1_T2_jT3_P12ihipStream_tbPNSt15iterator_traitsISE_E10value_typeEPNSK_ISF_E10value_typeEPSG_NS1_7vsmem_tEENKUlT_SE_SF_SG_E_clIS8_S8_S9_S9_EESD_ST_SE_SF_SG_EUlST_E_NS1_11comp_targetILNS1_3genE0ELNS1_11target_archE4294967295ELNS1_3gpuE0ELNS1_3repE0EEENS1_48merge_mergepath_partition_config_static_selectorELNS0_4arch9wavefront6targetE1EEEvSF_
	.globl	_ZN7rocprim17ROCPRIM_400000_NS6detail17trampoline_kernelINS0_14default_configENS1_38merge_sort_block_merge_config_selectorIcNS0_10empty_typeEEEZZNS1_27merge_sort_block_merge_implIS3_PcPS5_jNS1_19radix_merge_compareILb0ELb0EcNS0_19identity_decomposerEEEEE10hipError_tT0_T1_T2_jT3_P12ihipStream_tbPNSt15iterator_traitsISE_E10value_typeEPNSK_ISF_E10value_typeEPSG_NS1_7vsmem_tEENKUlT_SE_SF_SG_E_clIS8_S8_S9_S9_EESD_ST_SE_SF_SG_EUlST_E_NS1_11comp_targetILNS1_3genE0ELNS1_11target_archE4294967295ELNS1_3gpuE0ELNS1_3repE0EEENS1_48merge_mergepath_partition_config_static_selectorELNS0_4arch9wavefront6targetE1EEEvSF_
	.p2align	8
	.type	_ZN7rocprim17ROCPRIM_400000_NS6detail17trampoline_kernelINS0_14default_configENS1_38merge_sort_block_merge_config_selectorIcNS0_10empty_typeEEEZZNS1_27merge_sort_block_merge_implIS3_PcPS5_jNS1_19radix_merge_compareILb0ELb0EcNS0_19identity_decomposerEEEEE10hipError_tT0_T1_T2_jT3_P12ihipStream_tbPNSt15iterator_traitsISE_E10value_typeEPNSK_ISF_E10value_typeEPSG_NS1_7vsmem_tEENKUlT_SE_SF_SG_E_clIS8_S8_S9_S9_EESD_ST_SE_SF_SG_EUlST_E_NS1_11comp_targetILNS1_3genE0ELNS1_11target_archE4294967295ELNS1_3gpuE0ELNS1_3repE0EEENS1_48merge_mergepath_partition_config_static_selectorELNS0_4arch9wavefront6targetE1EEEvSF_,@function
_ZN7rocprim17ROCPRIM_400000_NS6detail17trampoline_kernelINS0_14default_configENS1_38merge_sort_block_merge_config_selectorIcNS0_10empty_typeEEEZZNS1_27merge_sort_block_merge_implIS3_PcPS5_jNS1_19radix_merge_compareILb0ELb0EcNS0_19identity_decomposerEEEEE10hipError_tT0_T1_T2_jT3_P12ihipStream_tbPNSt15iterator_traitsISE_E10value_typeEPNSK_ISF_E10value_typeEPSG_NS1_7vsmem_tEENKUlT_SE_SF_SG_E_clIS8_S8_S9_S9_EESD_ST_SE_SF_SG_EUlST_E_NS1_11comp_targetILNS1_3genE0ELNS1_11target_archE4294967295ELNS1_3gpuE0ELNS1_3repE0EEENS1_48merge_mergepath_partition_config_static_selectorELNS0_4arch9wavefront6targetE1EEEvSF_: ; @_ZN7rocprim17ROCPRIM_400000_NS6detail17trampoline_kernelINS0_14default_configENS1_38merge_sort_block_merge_config_selectorIcNS0_10empty_typeEEEZZNS1_27merge_sort_block_merge_implIS3_PcPS5_jNS1_19radix_merge_compareILb0ELb0EcNS0_19identity_decomposerEEEEE10hipError_tT0_T1_T2_jT3_P12ihipStream_tbPNSt15iterator_traitsISE_E10value_typeEPNSK_ISF_E10value_typeEPSG_NS1_7vsmem_tEENKUlT_SE_SF_SG_E_clIS8_S8_S9_S9_EESD_ST_SE_SF_SG_EUlST_E_NS1_11comp_targetILNS1_3genE0ELNS1_11target_archE4294967295ELNS1_3gpuE0ELNS1_3repE0EEENS1_48merge_mergepath_partition_config_static_selectorELNS0_4arch9wavefront6targetE1EEEvSF_
; %bb.0:
	.section	.rodata,"a",@progbits
	.p2align	6, 0x0
	.amdhsa_kernel _ZN7rocprim17ROCPRIM_400000_NS6detail17trampoline_kernelINS0_14default_configENS1_38merge_sort_block_merge_config_selectorIcNS0_10empty_typeEEEZZNS1_27merge_sort_block_merge_implIS3_PcPS5_jNS1_19radix_merge_compareILb0ELb0EcNS0_19identity_decomposerEEEEE10hipError_tT0_T1_T2_jT3_P12ihipStream_tbPNSt15iterator_traitsISE_E10value_typeEPNSK_ISF_E10value_typeEPSG_NS1_7vsmem_tEENKUlT_SE_SF_SG_E_clIS8_S8_S9_S9_EESD_ST_SE_SF_SG_EUlST_E_NS1_11comp_targetILNS1_3genE0ELNS1_11target_archE4294967295ELNS1_3gpuE0ELNS1_3repE0EEENS1_48merge_mergepath_partition_config_static_selectorELNS0_4arch9wavefront6targetE1EEEvSF_
		.amdhsa_group_segment_fixed_size 0
		.amdhsa_private_segment_fixed_size 0
		.amdhsa_kernarg_size 40
		.amdhsa_user_sgpr_count 6
		.amdhsa_user_sgpr_private_segment_buffer 1
		.amdhsa_user_sgpr_dispatch_ptr 0
		.amdhsa_user_sgpr_queue_ptr 0
		.amdhsa_user_sgpr_kernarg_segment_ptr 1
		.amdhsa_user_sgpr_dispatch_id 0
		.amdhsa_user_sgpr_flat_scratch_init 0
		.amdhsa_user_sgpr_kernarg_preload_length 0
		.amdhsa_user_sgpr_kernarg_preload_offset 0
		.amdhsa_user_sgpr_private_segment_size 0
		.amdhsa_uses_dynamic_stack 0
		.amdhsa_system_sgpr_private_segment_wavefront_offset 0
		.amdhsa_system_sgpr_workgroup_id_x 1
		.amdhsa_system_sgpr_workgroup_id_y 0
		.amdhsa_system_sgpr_workgroup_id_z 0
		.amdhsa_system_sgpr_workgroup_info 0
		.amdhsa_system_vgpr_workitem_id 0
		.amdhsa_next_free_vgpr 1
		.amdhsa_next_free_sgpr 0
		.amdhsa_accum_offset 4
		.amdhsa_reserve_vcc 0
		.amdhsa_reserve_flat_scratch 0
		.amdhsa_float_round_mode_32 0
		.amdhsa_float_round_mode_16_64 0
		.amdhsa_float_denorm_mode_32 3
		.amdhsa_float_denorm_mode_16_64 3
		.amdhsa_dx10_clamp 1
		.amdhsa_ieee_mode 1
		.amdhsa_fp16_overflow 0
		.amdhsa_tg_split 0
		.amdhsa_exception_fp_ieee_invalid_op 0
		.amdhsa_exception_fp_denorm_src 0
		.amdhsa_exception_fp_ieee_div_zero 0
		.amdhsa_exception_fp_ieee_overflow 0
		.amdhsa_exception_fp_ieee_underflow 0
		.amdhsa_exception_fp_ieee_inexact 0
		.amdhsa_exception_int_div_zero 0
	.end_amdhsa_kernel
	.section	.text._ZN7rocprim17ROCPRIM_400000_NS6detail17trampoline_kernelINS0_14default_configENS1_38merge_sort_block_merge_config_selectorIcNS0_10empty_typeEEEZZNS1_27merge_sort_block_merge_implIS3_PcPS5_jNS1_19radix_merge_compareILb0ELb0EcNS0_19identity_decomposerEEEEE10hipError_tT0_T1_T2_jT3_P12ihipStream_tbPNSt15iterator_traitsISE_E10value_typeEPNSK_ISF_E10value_typeEPSG_NS1_7vsmem_tEENKUlT_SE_SF_SG_E_clIS8_S8_S9_S9_EESD_ST_SE_SF_SG_EUlST_E_NS1_11comp_targetILNS1_3genE0ELNS1_11target_archE4294967295ELNS1_3gpuE0ELNS1_3repE0EEENS1_48merge_mergepath_partition_config_static_selectorELNS0_4arch9wavefront6targetE1EEEvSF_,"axG",@progbits,_ZN7rocprim17ROCPRIM_400000_NS6detail17trampoline_kernelINS0_14default_configENS1_38merge_sort_block_merge_config_selectorIcNS0_10empty_typeEEEZZNS1_27merge_sort_block_merge_implIS3_PcPS5_jNS1_19radix_merge_compareILb0ELb0EcNS0_19identity_decomposerEEEEE10hipError_tT0_T1_T2_jT3_P12ihipStream_tbPNSt15iterator_traitsISE_E10value_typeEPNSK_ISF_E10value_typeEPSG_NS1_7vsmem_tEENKUlT_SE_SF_SG_E_clIS8_S8_S9_S9_EESD_ST_SE_SF_SG_EUlST_E_NS1_11comp_targetILNS1_3genE0ELNS1_11target_archE4294967295ELNS1_3gpuE0ELNS1_3repE0EEENS1_48merge_mergepath_partition_config_static_selectorELNS0_4arch9wavefront6targetE1EEEvSF_,comdat
.Lfunc_end18:
	.size	_ZN7rocprim17ROCPRIM_400000_NS6detail17trampoline_kernelINS0_14default_configENS1_38merge_sort_block_merge_config_selectorIcNS0_10empty_typeEEEZZNS1_27merge_sort_block_merge_implIS3_PcPS5_jNS1_19radix_merge_compareILb0ELb0EcNS0_19identity_decomposerEEEEE10hipError_tT0_T1_T2_jT3_P12ihipStream_tbPNSt15iterator_traitsISE_E10value_typeEPNSK_ISF_E10value_typeEPSG_NS1_7vsmem_tEENKUlT_SE_SF_SG_E_clIS8_S8_S9_S9_EESD_ST_SE_SF_SG_EUlST_E_NS1_11comp_targetILNS1_3genE0ELNS1_11target_archE4294967295ELNS1_3gpuE0ELNS1_3repE0EEENS1_48merge_mergepath_partition_config_static_selectorELNS0_4arch9wavefront6targetE1EEEvSF_, .Lfunc_end18-_ZN7rocprim17ROCPRIM_400000_NS6detail17trampoline_kernelINS0_14default_configENS1_38merge_sort_block_merge_config_selectorIcNS0_10empty_typeEEEZZNS1_27merge_sort_block_merge_implIS3_PcPS5_jNS1_19radix_merge_compareILb0ELb0EcNS0_19identity_decomposerEEEEE10hipError_tT0_T1_T2_jT3_P12ihipStream_tbPNSt15iterator_traitsISE_E10value_typeEPNSK_ISF_E10value_typeEPSG_NS1_7vsmem_tEENKUlT_SE_SF_SG_E_clIS8_S8_S9_S9_EESD_ST_SE_SF_SG_EUlST_E_NS1_11comp_targetILNS1_3genE0ELNS1_11target_archE4294967295ELNS1_3gpuE0ELNS1_3repE0EEENS1_48merge_mergepath_partition_config_static_selectorELNS0_4arch9wavefront6targetE1EEEvSF_
                                        ; -- End function
	.section	.AMDGPU.csdata,"",@progbits
; Kernel info:
; codeLenInByte = 0
; NumSgprs: 4
; NumVgprs: 0
; NumAgprs: 0
; TotalNumVgprs: 0
; ScratchSize: 0
; MemoryBound: 0
; FloatMode: 240
; IeeeMode: 1
; LDSByteSize: 0 bytes/workgroup (compile time only)
; SGPRBlocks: 0
; VGPRBlocks: 0
; NumSGPRsForWavesPerEU: 4
; NumVGPRsForWavesPerEU: 1
; AccumOffset: 4
; Occupancy: 8
; WaveLimiterHint : 0
; COMPUTE_PGM_RSRC2:SCRATCH_EN: 0
; COMPUTE_PGM_RSRC2:USER_SGPR: 6
; COMPUTE_PGM_RSRC2:TRAP_HANDLER: 0
; COMPUTE_PGM_RSRC2:TGID_X_EN: 1
; COMPUTE_PGM_RSRC2:TGID_Y_EN: 0
; COMPUTE_PGM_RSRC2:TGID_Z_EN: 0
; COMPUTE_PGM_RSRC2:TIDIG_COMP_CNT: 0
; COMPUTE_PGM_RSRC3_GFX90A:ACCUM_OFFSET: 0
; COMPUTE_PGM_RSRC3_GFX90A:TG_SPLIT: 0
	.section	.text._ZN7rocprim17ROCPRIM_400000_NS6detail17trampoline_kernelINS0_14default_configENS1_38merge_sort_block_merge_config_selectorIcNS0_10empty_typeEEEZZNS1_27merge_sort_block_merge_implIS3_PcPS5_jNS1_19radix_merge_compareILb0ELb0EcNS0_19identity_decomposerEEEEE10hipError_tT0_T1_T2_jT3_P12ihipStream_tbPNSt15iterator_traitsISE_E10value_typeEPNSK_ISF_E10value_typeEPSG_NS1_7vsmem_tEENKUlT_SE_SF_SG_E_clIS8_S8_S9_S9_EESD_ST_SE_SF_SG_EUlST_E_NS1_11comp_targetILNS1_3genE10ELNS1_11target_archE1201ELNS1_3gpuE5ELNS1_3repE0EEENS1_48merge_mergepath_partition_config_static_selectorELNS0_4arch9wavefront6targetE1EEEvSF_,"axG",@progbits,_ZN7rocprim17ROCPRIM_400000_NS6detail17trampoline_kernelINS0_14default_configENS1_38merge_sort_block_merge_config_selectorIcNS0_10empty_typeEEEZZNS1_27merge_sort_block_merge_implIS3_PcPS5_jNS1_19radix_merge_compareILb0ELb0EcNS0_19identity_decomposerEEEEE10hipError_tT0_T1_T2_jT3_P12ihipStream_tbPNSt15iterator_traitsISE_E10value_typeEPNSK_ISF_E10value_typeEPSG_NS1_7vsmem_tEENKUlT_SE_SF_SG_E_clIS8_S8_S9_S9_EESD_ST_SE_SF_SG_EUlST_E_NS1_11comp_targetILNS1_3genE10ELNS1_11target_archE1201ELNS1_3gpuE5ELNS1_3repE0EEENS1_48merge_mergepath_partition_config_static_selectorELNS0_4arch9wavefront6targetE1EEEvSF_,comdat
	.protected	_ZN7rocprim17ROCPRIM_400000_NS6detail17trampoline_kernelINS0_14default_configENS1_38merge_sort_block_merge_config_selectorIcNS0_10empty_typeEEEZZNS1_27merge_sort_block_merge_implIS3_PcPS5_jNS1_19radix_merge_compareILb0ELb0EcNS0_19identity_decomposerEEEEE10hipError_tT0_T1_T2_jT3_P12ihipStream_tbPNSt15iterator_traitsISE_E10value_typeEPNSK_ISF_E10value_typeEPSG_NS1_7vsmem_tEENKUlT_SE_SF_SG_E_clIS8_S8_S9_S9_EESD_ST_SE_SF_SG_EUlST_E_NS1_11comp_targetILNS1_3genE10ELNS1_11target_archE1201ELNS1_3gpuE5ELNS1_3repE0EEENS1_48merge_mergepath_partition_config_static_selectorELNS0_4arch9wavefront6targetE1EEEvSF_ ; -- Begin function _ZN7rocprim17ROCPRIM_400000_NS6detail17trampoline_kernelINS0_14default_configENS1_38merge_sort_block_merge_config_selectorIcNS0_10empty_typeEEEZZNS1_27merge_sort_block_merge_implIS3_PcPS5_jNS1_19radix_merge_compareILb0ELb0EcNS0_19identity_decomposerEEEEE10hipError_tT0_T1_T2_jT3_P12ihipStream_tbPNSt15iterator_traitsISE_E10value_typeEPNSK_ISF_E10value_typeEPSG_NS1_7vsmem_tEENKUlT_SE_SF_SG_E_clIS8_S8_S9_S9_EESD_ST_SE_SF_SG_EUlST_E_NS1_11comp_targetILNS1_3genE10ELNS1_11target_archE1201ELNS1_3gpuE5ELNS1_3repE0EEENS1_48merge_mergepath_partition_config_static_selectorELNS0_4arch9wavefront6targetE1EEEvSF_
	.globl	_ZN7rocprim17ROCPRIM_400000_NS6detail17trampoline_kernelINS0_14default_configENS1_38merge_sort_block_merge_config_selectorIcNS0_10empty_typeEEEZZNS1_27merge_sort_block_merge_implIS3_PcPS5_jNS1_19radix_merge_compareILb0ELb0EcNS0_19identity_decomposerEEEEE10hipError_tT0_T1_T2_jT3_P12ihipStream_tbPNSt15iterator_traitsISE_E10value_typeEPNSK_ISF_E10value_typeEPSG_NS1_7vsmem_tEENKUlT_SE_SF_SG_E_clIS8_S8_S9_S9_EESD_ST_SE_SF_SG_EUlST_E_NS1_11comp_targetILNS1_3genE10ELNS1_11target_archE1201ELNS1_3gpuE5ELNS1_3repE0EEENS1_48merge_mergepath_partition_config_static_selectorELNS0_4arch9wavefront6targetE1EEEvSF_
	.p2align	8
	.type	_ZN7rocprim17ROCPRIM_400000_NS6detail17trampoline_kernelINS0_14default_configENS1_38merge_sort_block_merge_config_selectorIcNS0_10empty_typeEEEZZNS1_27merge_sort_block_merge_implIS3_PcPS5_jNS1_19radix_merge_compareILb0ELb0EcNS0_19identity_decomposerEEEEE10hipError_tT0_T1_T2_jT3_P12ihipStream_tbPNSt15iterator_traitsISE_E10value_typeEPNSK_ISF_E10value_typeEPSG_NS1_7vsmem_tEENKUlT_SE_SF_SG_E_clIS8_S8_S9_S9_EESD_ST_SE_SF_SG_EUlST_E_NS1_11comp_targetILNS1_3genE10ELNS1_11target_archE1201ELNS1_3gpuE5ELNS1_3repE0EEENS1_48merge_mergepath_partition_config_static_selectorELNS0_4arch9wavefront6targetE1EEEvSF_,@function
_ZN7rocprim17ROCPRIM_400000_NS6detail17trampoline_kernelINS0_14default_configENS1_38merge_sort_block_merge_config_selectorIcNS0_10empty_typeEEEZZNS1_27merge_sort_block_merge_implIS3_PcPS5_jNS1_19radix_merge_compareILb0ELb0EcNS0_19identity_decomposerEEEEE10hipError_tT0_T1_T2_jT3_P12ihipStream_tbPNSt15iterator_traitsISE_E10value_typeEPNSK_ISF_E10value_typeEPSG_NS1_7vsmem_tEENKUlT_SE_SF_SG_E_clIS8_S8_S9_S9_EESD_ST_SE_SF_SG_EUlST_E_NS1_11comp_targetILNS1_3genE10ELNS1_11target_archE1201ELNS1_3gpuE5ELNS1_3repE0EEENS1_48merge_mergepath_partition_config_static_selectorELNS0_4arch9wavefront6targetE1EEEvSF_: ; @_ZN7rocprim17ROCPRIM_400000_NS6detail17trampoline_kernelINS0_14default_configENS1_38merge_sort_block_merge_config_selectorIcNS0_10empty_typeEEEZZNS1_27merge_sort_block_merge_implIS3_PcPS5_jNS1_19radix_merge_compareILb0ELb0EcNS0_19identity_decomposerEEEEE10hipError_tT0_T1_T2_jT3_P12ihipStream_tbPNSt15iterator_traitsISE_E10value_typeEPNSK_ISF_E10value_typeEPSG_NS1_7vsmem_tEENKUlT_SE_SF_SG_E_clIS8_S8_S9_S9_EESD_ST_SE_SF_SG_EUlST_E_NS1_11comp_targetILNS1_3genE10ELNS1_11target_archE1201ELNS1_3gpuE5ELNS1_3repE0EEENS1_48merge_mergepath_partition_config_static_selectorELNS0_4arch9wavefront6targetE1EEEvSF_
; %bb.0:
	.section	.rodata,"a",@progbits
	.p2align	6, 0x0
	.amdhsa_kernel _ZN7rocprim17ROCPRIM_400000_NS6detail17trampoline_kernelINS0_14default_configENS1_38merge_sort_block_merge_config_selectorIcNS0_10empty_typeEEEZZNS1_27merge_sort_block_merge_implIS3_PcPS5_jNS1_19radix_merge_compareILb0ELb0EcNS0_19identity_decomposerEEEEE10hipError_tT0_T1_T2_jT3_P12ihipStream_tbPNSt15iterator_traitsISE_E10value_typeEPNSK_ISF_E10value_typeEPSG_NS1_7vsmem_tEENKUlT_SE_SF_SG_E_clIS8_S8_S9_S9_EESD_ST_SE_SF_SG_EUlST_E_NS1_11comp_targetILNS1_3genE10ELNS1_11target_archE1201ELNS1_3gpuE5ELNS1_3repE0EEENS1_48merge_mergepath_partition_config_static_selectorELNS0_4arch9wavefront6targetE1EEEvSF_
		.amdhsa_group_segment_fixed_size 0
		.amdhsa_private_segment_fixed_size 0
		.amdhsa_kernarg_size 40
		.amdhsa_user_sgpr_count 6
		.amdhsa_user_sgpr_private_segment_buffer 1
		.amdhsa_user_sgpr_dispatch_ptr 0
		.amdhsa_user_sgpr_queue_ptr 0
		.amdhsa_user_sgpr_kernarg_segment_ptr 1
		.amdhsa_user_sgpr_dispatch_id 0
		.amdhsa_user_sgpr_flat_scratch_init 0
		.amdhsa_user_sgpr_kernarg_preload_length 0
		.amdhsa_user_sgpr_kernarg_preload_offset 0
		.amdhsa_user_sgpr_private_segment_size 0
		.amdhsa_uses_dynamic_stack 0
		.amdhsa_system_sgpr_private_segment_wavefront_offset 0
		.amdhsa_system_sgpr_workgroup_id_x 1
		.amdhsa_system_sgpr_workgroup_id_y 0
		.amdhsa_system_sgpr_workgroup_id_z 0
		.amdhsa_system_sgpr_workgroup_info 0
		.amdhsa_system_vgpr_workitem_id 0
		.amdhsa_next_free_vgpr 1
		.amdhsa_next_free_sgpr 0
		.amdhsa_accum_offset 4
		.amdhsa_reserve_vcc 0
		.amdhsa_reserve_flat_scratch 0
		.amdhsa_float_round_mode_32 0
		.amdhsa_float_round_mode_16_64 0
		.amdhsa_float_denorm_mode_32 3
		.amdhsa_float_denorm_mode_16_64 3
		.amdhsa_dx10_clamp 1
		.amdhsa_ieee_mode 1
		.amdhsa_fp16_overflow 0
		.amdhsa_tg_split 0
		.amdhsa_exception_fp_ieee_invalid_op 0
		.amdhsa_exception_fp_denorm_src 0
		.amdhsa_exception_fp_ieee_div_zero 0
		.amdhsa_exception_fp_ieee_overflow 0
		.amdhsa_exception_fp_ieee_underflow 0
		.amdhsa_exception_fp_ieee_inexact 0
		.amdhsa_exception_int_div_zero 0
	.end_amdhsa_kernel
	.section	.text._ZN7rocprim17ROCPRIM_400000_NS6detail17trampoline_kernelINS0_14default_configENS1_38merge_sort_block_merge_config_selectorIcNS0_10empty_typeEEEZZNS1_27merge_sort_block_merge_implIS3_PcPS5_jNS1_19radix_merge_compareILb0ELb0EcNS0_19identity_decomposerEEEEE10hipError_tT0_T1_T2_jT3_P12ihipStream_tbPNSt15iterator_traitsISE_E10value_typeEPNSK_ISF_E10value_typeEPSG_NS1_7vsmem_tEENKUlT_SE_SF_SG_E_clIS8_S8_S9_S9_EESD_ST_SE_SF_SG_EUlST_E_NS1_11comp_targetILNS1_3genE10ELNS1_11target_archE1201ELNS1_3gpuE5ELNS1_3repE0EEENS1_48merge_mergepath_partition_config_static_selectorELNS0_4arch9wavefront6targetE1EEEvSF_,"axG",@progbits,_ZN7rocprim17ROCPRIM_400000_NS6detail17trampoline_kernelINS0_14default_configENS1_38merge_sort_block_merge_config_selectorIcNS0_10empty_typeEEEZZNS1_27merge_sort_block_merge_implIS3_PcPS5_jNS1_19radix_merge_compareILb0ELb0EcNS0_19identity_decomposerEEEEE10hipError_tT0_T1_T2_jT3_P12ihipStream_tbPNSt15iterator_traitsISE_E10value_typeEPNSK_ISF_E10value_typeEPSG_NS1_7vsmem_tEENKUlT_SE_SF_SG_E_clIS8_S8_S9_S9_EESD_ST_SE_SF_SG_EUlST_E_NS1_11comp_targetILNS1_3genE10ELNS1_11target_archE1201ELNS1_3gpuE5ELNS1_3repE0EEENS1_48merge_mergepath_partition_config_static_selectorELNS0_4arch9wavefront6targetE1EEEvSF_,comdat
.Lfunc_end19:
	.size	_ZN7rocprim17ROCPRIM_400000_NS6detail17trampoline_kernelINS0_14default_configENS1_38merge_sort_block_merge_config_selectorIcNS0_10empty_typeEEEZZNS1_27merge_sort_block_merge_implIS3_PcPS5_jNS1_19radix_merge_compareILb0ELb0EcNS0_19identity_decomposerEEEEE10hipError_tT0_T1_T2_jT3_P12ihipStream_tbPNSt15iterator_traitsISE_E10value_typeEPNSK_ISF_E10value_typeEPSG_NS1_7vsmem_tEENKUlT_SE_SF_SG_E_clIS8_S8_S9_S9_EESD_ST_SE_SF_SG_EUlST_E_NS1_11comp_targetILNS1_3genE10ELNS1_11target_archE1201ELNS1_3gpuE5ELNS1_3repE0EEENS1_48merge_mergepath_partition_config_static_selectorELNS0_4arch9wavefront6targetE1EEEvSF_, .Lfunc_end19-_ZN7rocprim17ROCPRIM_400000_NS6detail17trampoline_kernelINS0_14default_configENS1_38merge_sort_block_merge_config_selectorIcNS0_10empty_typeEEEZZNS1_27merge_sort_block_merge_implIS3_PcPS5_jNS1_19radix_merge_compareILb0ELb0EcNS0_19identity_decomposerEEEEE10hipError_tT0_T1_T2_jT3_P12ihipStream_tbPNSt15iterator_traitsISE_E10value_typeEPNSK_ISF_E10value_typeEPSG_NS1_7vsmem_tEENKUlT_SE_SF_SG_E_clIS8_S8_S9_S9_EESD_ST_SE_SF_SG_EUlST_E_NS1_11comp_targetILNS1_3genE10ELNS1_11target_archE1201ELNS1_3gpuE5ELNS1_3repE0EEENS1_48merge_mergepath_partition_config_static_selectorELNS0_4arch9wavefront6targetE1EEEvSF_
                                        ; -- End function
	.section	.AMDGPU.csdata,"",@progbits
; Kernel info:
; codeLenInByte = 0
; NumSgprs: 4
; NumVgprs: 0
; NumAgprs: 0
; TotalNumVgprs: 0
; ScratchSize: 0
; MemoryBound: 0
; FloatMode: 240
; IeeeMode: 1
; LDSByteSize: 0 bytes/workgroup (compile time only)
; SGPRBlocks: 0
; VGPRBlocks: 0
; NumSGPRsForWavesPerEU: 4
; NumVGPRsForWavesPerEU: 1
; AccumOffset: 4
; Occupancy: 8
; WaveLimiterHint : 0
; COMPUTE_PGM_RSRC2:SCRATCH_EN: 0
; COMPUTE_PGM_RSRC2:USER_SGPR: 6
; COMPUTE_PGM_RSRC2:TRAP_HANDLER: 0
; COMPUTE_PGM_RSRC2:TGID_X_EN: 1
; COMPUTE_PGM_RSRC2:TGID_Y_EN: 0
; COMPUTE_PGM_RSRC2:TGID_Z_EN: 0
; COMPUTE_PGM_RSRC2:TIDIG_COMP_CNT: 0
; COMPUTE_PGM_RSRC3_GFX90A:ACCUM_OFFSET: 0
; COMPUTE_PGM_RSRC3_GFX90A:TG_SPLIT: 0
	.section	.text._ZN7rocprim17ROCPRIM_400000_NS6detail17trampoline_kernelINS0_14default_configENS1_38merge_sort_block_merge_config_selectorIcNS0_10empty_typeEEEZZNS1_27merge_sort_block_merge_implIS3_PcPS5_jNS1_19radix_merge_compareILb0ELb0EcNS0_19identity_decomposerEEEEE10hipError_tT0_T1_T2_jT3_P12ihipStream_tbPNSt15iterator_traitsISE_E10value_typeEPNSK_ISF_E10value_typeEPSG_NS1_7vsmem_tEENKUlT_SE_SF_SG_E_clIS8_S8_S9_S9_EESD_ST_SE_SF_SG_EUlST_E_NS1_11comp_targetILNS1_3genE5ELNS1_11target_archE942ELNS1_3gpuE9ELNS1_3repE0EEENS1_48merge_mergepath_partition_config_static_selectorELNS0_4arch9wavefront6targetE1EEEvSF_,"axG",@progbits,_ZN7rocprim17ROCPRIM_400000_NS6detail17trampoline_kernelINS0_14default_configENS1_38merge_sort_block_merge_config_selectorIcNS0_10empty_typeEEEZZNS1_27merge_sort_block_merge_implIS3_PcPS5_jNS1_19radix_merge_compareILb0ELb0EcNS0_19identity_decomposerEEEEE10hipError_tT0_T1_T2_jT3_P12ihipStream_tbPNSt15iterator_traitsISE_E10value_typeEPNSK_ISF_E10value_typeEPSG_NS1_7vsmem_tEENKUlT_SE_SF_SG_E_clIS8_S8_S9_S9_EESD_ST_SE_SF_SG_EUlST_E_NS1_11comp_targetILNS1_3genE5ELNS1_11target_archE942ELNS1_3gpuE9ELNS1_3repE0EEENS1_48merge_mergepath_partition_config_static_selectorELNS0_4arch9wavefront6targetE1EEEvSF_,comdat
	.protected	_ZN7rocprim17ROCPRIM_400000_NS6detail17trampoline_kernelINS0_14default_configENS1_38merge_sort_block_merge_config_selectorIcNS0_10empty_typeEEEZZNS1_27merge_sort_block_merge_implIS3_PcPS5_jNS1_19radix_merge_compareILb0ELb0EcNS0_19identity_decomposerEEEEE10hipError_tT0_T1_T2_jT3_P12ihipStream_tbPNSt15iterator_traitsISE_E10value_typeEPNSK_ISF_E10value_typeEPSG_NS1_7vsmem_tEENKUlT_SE_SF_SG_E_clIS8_S8_S9_S9_EESD_ST_SE_SF_SG_EUlST_E_NS1_11comp_targetILNS1_3genE5ELNS1_11target_archE942ELNS1_3gpuE9ELNS1_3repE0EEENS1_48merge_mergepath_partition_config_static_selectorELNS0_4arch9wavefront6targetE1EEEvSF_ ; -- Begin function _ZN7rocprim17ROCPRIM_400000_NS6detail17trampoline_kernelINS0_14default_configENS1_38merge_sort_block_merge_config_selectorIcNS0_10empty_typeEEEZZNS1_27merge_sort_block_merge_implIS3_PcPS5_jNS1_19radix_merge_compareILb0ELb0EcNS0_19identity_decomposerEEEEE10hipError_tT0_T1_T2_jT3_P12ihipStream_tbPNSt15iterator_traitsISE_E10value_typeEPNSK_ISF_E10value_typeEPSG_NS1_7vsmem_tEENKUlT_SE_SF_SG_E_clIS8_S8_S9_S9_EESD_ST_SE_SF_SG_EUlST_E_NS1_11comp_targetILNS1_3genE5ELNS1_11target_archE942ELNS1_3gpuE9ELNS1_3repE0EEENS1_48merge_mergepath_partition_config_static_selectorELNS0_4arch9wavefront6targetE1EEEvSF_
	.globl	_ZN7rocprim17ROCPRIM_400000_NS6detail17trampoline_kernelINS0_14default_configENS1_38merge_sort_block_merge_config_selectorIcNS0_10empty_typeEEEZZNS1_27merge_sort_block_merge_implIS3_PcPS5_jNS1_19radix_merge_compareILb0ELb0EcNS0_19identity_decomposerEEEEE10hipError_tT0_T1_T2_jT3_P12ihipStream_tbPNSt15iterator_traitsISE_E10value_typeEPNSK_ISF_E10value_typeEPSG_NS1_7vsmem_tEENKUlT_SE_SF_SG_E_clIS8_S8_S9_S9_EESD_ST_SE_SF_SG_EUlST_E_NS1_11comp_targetILNS1_3genE5ELNS1_11target_archE942ELNS1_3gpuE9ELNS1_3repE0EEENS1_48merge_mergepath_partition_config_static_selectorELNS0_4arch9wavefront6targetE1EEEvSF_
	.p2align	8
	.type	_ZN7rocprim17ROCPRIM_400000_NS6detail17trampoline_kernelINS0_14default_configENS1_38merge_sort_block_merge_config_selectorIcNS0_10empty_typeEEEZZNS1_27merge_sort_block_merge_implIS3_PcPS5_jNS1_19radix_merge_compareILb0ELb0EcNS0_19identity_decomposerEEEEE10hipError_tT0_T1_T2_jT3_P12ihipStream_tbPNSt15iterator_traitsISE_E10value_typeEPNSK_ISF_E10value_typeEPSG_NS1_7vsmem_tEENKUlT_SE_SF_SG_E_clIS8_S8_S9_S9_EESD_ST_SE_SF_SG_EUlST_E_NS1_11comp_targetILNS1_3genE5ELNS1_11target_archE942ELNS1_3gpuE9ELNS1_3repE0EEENS1_48merge_mergepath_partition_config_static_selectorELNS0_4arch9wavefront6targetE1EEEvSF_,@function
_ZN7rocprim17ROCPRIM_400000_NS6detail17trampoline_kernelINS0_14default_configENS1_38merge_sort_block_merge_config_selectorIcNS0_10empty_typeEEEZZNS1_27merge_sort_block_merge_implIS3_PcPS5_jNS1_19radix_merge_compareILb0ELb0EcNS0_19identity_decomposerEEEEE10hipError_tT0_T1_T2_jT3_P12ihipStream_tbPNSt15iterator_traitsISE_E10value_typeEPNSK_ISF_E10value_typeEPSG_NS1_7vsmem_tEENKUlT_SE_SF_SG_E_clIS8_S8_S9_S9_EESD_ST_SE_SF_SG_EUlST_E_NS1_11comp_targetILNS1_3genE5ELNS1_11target_archE942ELNS1_3gpuE9ELNS1_3repE0EEENS1_48merge_mergepath_partition_config_static_selectorELNS0_4arch9wavefront6targetE1EEEvSF_: ; @_ZN7rocprim17ROCPRIM_400000_NS6detail17trampoline_kernelINS0_14default_configENS1_38merge_sort_block_merge_config_selectorIcNS0_10empty_typeEEEZZNS1_27merge_sort_block_merge_implIS3_PcPS5_jNS1_19radix_merge_compareILb0ELb0EcNS0_19identity_decomposerEEEEE10hipError_tT0_T1_T2_jT3_P12ihipStream_tbPNSt15iterator_traitsISE_E10value_typeEPNSK_ISF_E10value_typeEPSG_NS1_7vsmem_tEENKUlT_SE_SF_SG_E_clIS8_S8_S9_S9_EESD_ST_SE_SF_SG_EUlST_E_NS1_11comp_targetILNS1_3genE5ELNS1_11target_archE942ELNS1_3gpuE9ELNS1_3repE0EEENS1_48merge_mergepath_partition_config_static_selectorELNS0_4arch9wavefront6targetE1EEEvSF_
; %bb.0:
	.section	.rodata,"a",@progbits
	.p2align	6, 0x0
	.amdhsa_kernel _ZN7rocprim17ROCPRIM_400000_NS6detail17trampoline_kernelINS0_14default_configENS1_38merge_sort_block_merge_config_selectorIcNS0_10empty_typeEEEZZNS1_27merge_sort_block_merge_implIS3_PcPS5_jNS1_19radix_merge_compareILb0ELb0EcNS0_19identity_decomposerEEEEE10hipError_tT0_T1_T2_jT3_P12ihipStream_tbPNSt15iterator_traitsISE_E10value_typeEPNSK_ISF_E10value_typeEPSG_NS1_7vsmem_tEENKUlT_SE_SF_SG_E_clIS8_S8_S9_S9_EESD_ST_SE_SF_SG_EUlST_E_NS1_11comp_targetILNS1_3genE5ELNS1_11target_archE942ELNS1_3gpuE9ELNS1_3repE0EEENS1_48merge_mergepath_partition_config_static_selectorELNS0_4arch9wavefront6targetE1EEEvSF_
		.amdhsa_group_segment_fixed_size 0
		.amdhsa_private_segment_fixed_size 0
		.amdhsa_kernarg_size 40
		.amdhsa_user_sgpr_count 6
		.amdhsa_user_sgpr_private_segment_buffer 1
		.amdhsa_user_sgpr_dispatch_ptr 0
		.amdhsa_user_sgpr_queue_ptr 0
		.amdhsa_user_sgpr_kernarg_segment_ptr 1
		.amdhsa_user_sgpr_dispatch_id 0
		.amdhsa_user_sgpr_flat_scratch_init 0
		.amdhsa_user_sgpr_kernarg_preload_length 0
		.amdhsa_user_sgpr_kernarg_preload_offset 0
		.amdhsa_user_sgpr_private_segment_size 0
		.amdhsa_uses_dynamic_stack 0
		.amdhsa_system_sgpr_private_segment_wavefront_offset 0
		.amdhsa_system_sgpr_workgroup_id_x 1
		.amdhsa_system_sgpr_workgroup_id_y 0
		.amdhsa_system_sgpr_workgroup_id_z 0
		.amdhsa_system_sgpr_workgroup_info 0
		.amdhsa_system_vgpr_workitem_id 0
		.amdhsa_next_free_vgpr 1
		.amdhsa_next_free_sgpr 0
		.amdhsa_accum_offset 4
		.amdhsa_reserve_vcc 0
		.amdhsa_reserve_flat_scratch 0
		.amdhsa_float_round_mode_32 0
		.amdhsa_float_round_mode_16_64 0
		.amdhsa_float_denorm_mode_32 3
		.amdhsa_float_denorm_mode_16_64 3
		.amdhsa_dx10_clamp 1
		.amdhsa_ieee_mode 1
		.amdhsa_fp16_overflow 0
		.amdhsa_tg_split 0
		.amdhsa_exception_fp_ieee_invalid_op 0
		.amdhsa_exception_fp_denorm_src 0
		.amdhsa_exception_fp_ieee_div_zero 0
		.amdhsa_exception_fp_ieee_overflow 0
		.amdhsa_exception_fp_ieee_underflow 0
		.amdhsa_exception_fp_ieee_inexact 0
		.amdhsa_exception_int_div_zero 0
	.end_amdhsa_kernel
	.section	.text._ZN7rocprim17ROCPRIM_400000_NS6detail17trampoline_kernelINS0_14default_configENS1_38merge_sort_block_merge_config_selectorIcNS0_10empty_typeEEEZZNS1_27merge_sort_block_merge_implIS3_PcPS5_jNS1_19radix_merge_compareILb0ELb0EcNS0_19identity_decomposerEEEEE10hipError_tT0_T1_T2_jT3_P12ihipStream_tbPNSt15iterator_traitsISE_E10value_typeEPNSK_ISF_E10value_typeEPSG_NS1_7vsmem_tEENKUlT_SE_SF_SG_E_clIS8_S8_S9_S9_EESD_ST_SE_SF_SG_EUlST_E_NS1_11comp_targetILNS1_3genE5ELNS1_11target_archE942ELNS1_3gpuE9ELNS1_3repE0EEENS1_48merge_mergepath_partition_config_static_selectorELNS0_4arch9wavefront6targetE1EEEvSF_,"axG",@progbits,_ZN7rocprim17ROCPRIM_400000_NS6detail17trampoline_kernelINS0_14default_configENS1_38merge_sort_block_merge_config_selectorIcNS0_10empty_typeEEEZZNS1_27merge_sort_block_merge_implIS3_PcPS5_jNS1_19radix_merge_compareILb0ELb0EcNS0_19identity_decomposerEEEEE10hipError_tT0_T1_T2_jT3_P12ihipStream_tbPNSt15iterator_traitsISE_E10value_typeEPNSK_ISF_E10value_typeEPSG_NS1_7vsmem_tEENKUlT_SE_SF_SG_E_clIS8_S8_S9_S9_EESD_ST_SE_SF_SG_EUlST_E_NS1_11comp_targetILNS1_3genE5ELNS1_11target_archE942ELNS1_3gpuE9ELNS1_3repE0EEENS1_48merge_mergepath_partition_config_static_selectorELNS0_4arch9wavefront6targetE1EEEvSF_,comdat
.Lfunc_end20:
	.size	_ZN7rocprim17ROCPRIM_400000_NS6detail17trampoline_kernelINS0_14default_configENS1_38merge_sort_block_merge_config_selectorIcNS0_10empty_typeEEEZZNS1_27merge_sort_block_merge_implIS3_PcPS5_jNS1_19radix_merge_compareILb0ELb0EcNS0_19identity_decomposerEEEEE10hipError_tT0_T1_T2_jT3_P12ihipStream_tbPNSt15iterator_traitsISE_E10value_typeEPNSK_ISF_E10value_typeEPSG_NS1_7vsmem_tEENKUlT_SE_SF_SG_E_clIS8_S8_S9_S9_EESD_ST_SE_SF_SG_EUlST_E_NS1_11comp_targetILNS1_3genE5ELNS1_11target_archE942ELNS1_3gpuE9ELNS1_3repE0EEENS1_48merge_mergepath_partition_config_static_selectorELNS0_4arch9wavefront6targetE1EEEvSF_, .Lfunc_end20-_ZN7rocprim17ROCPRIM_400000_NS6detail17trampoline_kernelINS0_14default_configENS1_38merge_sort_block_merge_config_selectorIcNS0_10empty_typeEEEZZNS1_27merge_sort_block_merge_implIS3_PcPS5_jNS1_19radix_merge_compareILb0ELb0EcNS0_19identity_decomposerEEEEE10hipError_tT0_T1_T2_jT3_P12ihipStream_tbPNSt15iterator_traitsISE_E10value_typeEPNSK_ISF_E10value_typeEPSG_NS1_7vsmem_tEENKUlT_SE_SF_SG_E_clIS8_S8_S9_S9_EESD_ST_SE_SF_SG_EUlST_E_NS1_11comp_targetILNS1_3genE5ELNS1_11target_archE942ELNS1_3gpuE9ELNS1_3repE0EEENS1_48merge_mergepath_partition_config_static_selectorELNS0_4arch9wavefront6targetE1EEEvSF_
                                        ; -- End function
	.section	.AMDGPU.csdata,"",@progbits
; Kernel info:
; codeLenInByte = 0
; NumSgprs: 4
; NumVgprs: 0
; NumAgprs: 0
; TotalNumVgprs: 0
; ScratchSize: 0
; MemoryBound: 0
; FloatMode: 240
; IeeeMode: 1
; LDSByteSize: 0 bytes/workgroup (compile time only)
; SGPRBlocks: 0
; VGPRBlocks: 0
; NumSGPRsForWavesPerEU: 4
; NumVGPRsForWavesPerEU: 1
; AccumOffset: 4
; Occupancy: 8
; WaveLimiterHint : 0
; COMPUTE_PGM_RSRC2:SCRATCH_EN: 0
; COMPUTE_PGM_RSRC2:USER_SGPR: 6
; COMPUTE_PGM_RSRC2:TRAP_HANDLER: 0
; COMPUTE_PGM_RSRC2:TGID_X_EN: 1
; COMPUTE_PGM_RSRC2:TGID_Y_EN: 0
; COMPUTE_PGM_RSRC2:TGID_Z_EN: 0
; COMPUTE_PGM_RSRC2:TIDIG_COMP_CNT: 0
; COMPUTE_PGM_RSRC3_GFX90A:ACCUM_OFFSET: 0
; COMPUTE_PGM_RSRC3_GFX90A:TG_SPLIT: 0
	.section	.text._ZN7rocprim17ROCPRIM_400000_NS6detail17trampoline_kernelINS0_14default_configENS1_38merge_sort_block_merge_config_selectorIcNS0_10empty_typeEEEZZNS1_27merge_sort_block_merge_implIS3_PcPS5_jNS1_19radix_merge_compareILb0ELb0EcNS0_19identity_decomposerEEEEE10hipError_tT0_T1_T2_jT3_P12ihipStream_tbPNSt15iterator_traitsISE_E10value_typeEPNSK_ISF_E10value_typeEPSG_NS1_7vsmem_tEENKUlT_SE_SF_SG_E_clIS8_S8_S9_S9_EESD_ST_SE_SF_SG_EUlST_E_NS1_11comp_targetILNS1_3genE4ELNS1_11target_archE910ELNS1_3gpuE8ELNS1_3repE0EEENS1_48merge_mergepath_partition_config_static_selectorELNS0_4arch9wavefront6targetE1EEEvSF_,"axG",@progbits,_ZN7rocprim17ROCPRIM_400000_NS6detail17trampoline_kernelINS0_14default_configENS1_38merge_sort_block_merge_config_selectorIcNS0_10empty_typeEEEZZNS1_27merge_sort_block_merge_implIS3_PcPS5_jNS1_19radix_merge_compareILb0ELb0EcNS0_19identity_decomposerEEEEE10hipError_tT0_T1_T2_jT3_P12ihipStream_tbPNSt15iterator_traitsISE_E10value_typeEPNSK_ISF_E10value_typeEPSG_NS1_7vsmem_tEENKUlT_SE_SF_SG_E_clIS8_S8_S9_S9_EESD_ST_SE_SF_SG_EUlST_E_NS1_11comp_targetILNS1_3genE4ELNS1_11target_archE910ELNS1_3gpuE8ELNS1_3repE0EEENS1_48merge_mergepath_partition_config_static_selectorELNS0_4arch9wavefront6targetE1EEEvSF_,comdat
	.protected	_ZN7rocprim17ROCPRIM_400000_NS6detail17trampoline_kernelINS0_14default_configENS1_38merge_sort_block_merge_config_selectorIcNS0_10empty_typeEEEZZNS1_27merge_sort_block_merge_implIS3_PcPS5_jNS1_19radix_merge_compareILb0ELb0EcNS0_19identity_decomposerEEEEE10hipError_tT0_T1_T2_jT3_P12ihipStream_tbPNSt15iterator_traitsISE_E10value_typeEPNSK_ISF_E10value_typeEPSG_NS1_7vsmem_tEENKUlT_SE_SF_SG_E_clIS8_S8_S9_S9_EESD_ST_SE_SF_SG_EUlST_E_NS1_11comp_targetILNS1_3genE4ELNS1_11target_archE910ELNS1_3gpuE8ELNS1_3repE0EEENS1_48merge_mergepath_partition_config_static_selectorELNS0_4arch9wavefront6targetE1EEEvSF_ ; -- Begin function _ZN7rocprim17ROCPRIM_400000_NS6detail17trampoline_kernelINS0_14default_configENS1_38merge_sort_block_merge_config_selectorIcNS0_10empty_typeEEEZZNS1_27merge_sort_block_merge_implIS3_PcPS5_jNS1_19radix_merge_compareILb0ELb0EcNS0_19identity_decomposerEEEEE10hipError_tT0_T1_T2_jT3_P12ihipStream_tbPNSt15iterator_traitsISE_E10value_typeEPNSK_ISF_E10value_typeEPSG_NS1_7vsmem_tEENKUlT_SE_SF_SG_E_clIS8_S8_S9_S9_EESD_ST_SE_SF_SG_EUlST_E_NS1_11comp_targetILNS1_3genE4ELNS1_11target_archE910ELNS1_3gpuE8ELNS1_3repE0EEENS1_48merge_mergepath_partition_config_static_selectorELNS0_4arch9wavefront6targetE1EEEvSF_
	.globl	_ZN7rocprim17ROCPRIM_400000_NS6detail17trampoline_kernelINS0_14default_configENS1_38merge_sort_block_merge_config_selectorIcNS0_10empty_typeEEEZZNS1_27merge_sort_block_merge_implIS3_PcPS5_jNS1_19radix_merge_compareILb0ELb0EcNS0_19identity_decomposerEEEEE10hipError_tT0_T1_T2_jT3_P12ihipStream_tbPNSt15iterator_traitsISE_E10value_typeEPNSK_ISF_E10value_typeEPSG_NS1_7vsmem_tEENKUlT_SE_SF_SG_E_clIS8_S8_S9_S9_EESD_ST_SE_SF_SG_EUlST_E_NS1_11comp_targetILNS1_3genE4ELNS1_11target_archE910ELNS1_3gpuE8ELNS1_3repE0EEENS1_48merge_mergepath_partition_config_static_selectorELNS0_4arch9wavefront6targetE1EEEvSF_
	.p2align	8
	.type	_ZN7rocprim17ROCPRIM_400000_NS6detail17trampoline_kernelINS0_14default_configENS1_38merge_sort_block_merge_config_selectorIcNS0_10empty_typeEEEZZNS1_27merge_sort_block_merge_implIS3_PcPS5_jNS1_19radix_merge_compareILb0ELb0EcNS0_19identity_decomposerEEEEE10hipError_tT0_T1_T2_jT3_P12ihipStream_tbPNSt15iterator_traitsISE_E10value_typeEPNSK_ISF_E10value_typeEPSG_NS1_7vsmem_tEENKUlT_SE_SF_SG_E_clIS8_S8_S9_S9_EESD_ST_SE_SF_SG_EUlST_E_NS1_11comp_targetILNS1_3genE4ELNS1_11target_archE910ELNS1_3gpuE8ELNS1_3repE0EEENS1_48merge_mergepath_partition_config_static_selectorELNS0_4arch9wavefront6targetE1EEEvSF_,@function
_ZN7rocprim17ROCPRIM_400000_NS6detail17trampoline_kernelINS0_14default_configENS1_38merge_sort_block_merge_config_selectorIcNS0_10empty_typeEEEZZNS1_27merge_sort_block_merge_implIS3_PcPS5_jNS1_19radix_merge_compareILb0ELb0EcNS0_19identity_decomposerEEEEE10hipError_tT0_T1_T2_jT3_P12ihipStream_tbPNSt15iterator_traitsISE_E10value_typeEPNSK_ISF_E10value_typeEPSG_NS1_7vsmem_tEENKUlT_SE_SF_SG_E_clIS8_S8_S9_S9_EESD_ST_SE_SF_SG_EUlST_E_NS1_11comp_targetILNS1_3genE4ELNS1_11target_archE910ELNS1_3gpuE8ELNS1_3repE0EEENS1_48merge_mergepath_partition_config_static_selectorELNS0_4arch9wavefront6targetE1EEEvSF_: ; @_ZN7rocprim17ROCPRIM_400000_NS6detail17trampoline_kernelINS0_14default_configENS1_38merge_sort_block_merge_config_selectorIcNS0_10empty_typeEEEZZNS1_27merge_sort_block_merge_implIS3_PcPS5_jNS1_19radix_merge_compareILb0ELb0EcNS0_19identity_decomposerEEEEE10hipError_tT0_T1_T2_jT3_P12ihipStream_tbPNSt15iterator_traitsISE_E10value_typeEPNSK_ISF_E10value_typeEPSG_NS1_7vsmem_tEENKUlT_SE_SF_SG_E_clIS8_S8_S9_S9_EESD_ST_SE_SF_SG_EUlST_E_NS1_11comp_targetILNS1_3genE4ELNS1_11target_archE910ELNS1_3gpuE8ELNS1_3repE0EEENS1_48merge_mergepath_partition_config_static_selectorELNS0_4arch9wavefront6targetE1EEEvSF_
; %bb.0:
	s_load_dword s0, s[4:5], 0x0
	v_lshl_or_b32 v0, s6, 7, v0
	s_waitcnt lgkmcnt(0)
	v_cmp_gt_u32_e32 vcc, s0, v0
	s_and_saveexec_b64 s[0:1], vcc
	s_cbranch_execz .LBB21_6
; %bb.1:
	s_load_dwordx2 s[2:3], s[4:5], 0x4
	s_load_dwordx2 s[0:1], s[4:5], 0x20
	s_waitcnt lgkmcnt(0)
	s_lshr_b32 s6, s2, 9
	s_and_b32 s6, s6, 0x7ffffe
	s_add_i32 s7, s6, -1
	s_sub_i32 s6, 0, s6
	v_and_b32_e32 v1, s6, v0
	v_lshlrev_b32_e32 v3, 10, v1
	v_min_u32_e32 v1, s3, v3
	v_add_u32_e32 v3, s2, v3
	v_min_u32_e32 v7, s3, v3
	v_add_u32_e32 v3, s2, v7
	v_and_b32_e32 v2, s7, v0
	v_min_u32_e32 v4, s3, v3
	v_sub_u32_e32 v3, v4, v1
	v_lshlrev_b32_e32 v2, 10, v2
	v_min_u32_e32 v3, v3, v2
	v_sub_u32_e32 v5, v7, v1
	v_sub_u32_e32 v2, v4, v7
	v_sub_u32_e64 v2, v3, v2 clamp
	v_min_u32_e32 v4, v3, v5
	v_cmp_lt_u32_e32 vcc, v2, v4
	s_and_saveexec_b64 s[2:3], vcc
	s_cbranch_execz .LBB21_5
; %bb.2:
	s_load_dwordx2 s[4:5], s[4:5], 0x10
	s_waitcnt lgkmcnt(0)
	v_mov_b32_e32 v8, s5
	v_add_co_u32_e32 v5, vcc, s4, v1
	v_addc_co_u32_e32 v6, vcc, 0, v8, vcc
	v_add_co_u32_e32 v7, vcc, s4, v7
	v_addc_co_u32_e32 v8, vcc, 0, v8, vcc
	s_mov_b64 s[4:5], 0
.LBB21_3:                               ; =>This Inner Loop Header: Depth=1
	v_add_u32_e32 v9, v4, v2
	v_lshrrev_b32_e32 v9, 1, v9
	v_add_co_u32_e32 v10, vcc, v5, v9
	v_xad_u32 v12, v9, -1, v3
	v_addc_co_u32_e32 v11, vcc, 0, v6, vcc
	v_add_co_u32_e32 v12, vcc, v7, v12
	v_addc_co_u32_e32 v13, vcc, 0, v8, vcc
	global_load_sbyte v14, v[10:11], off
	global_load_sbyte v15, v[12:13], off
	v_add_u32_e32 v10, 1, v9
	s_waitcnt vmcnt(0)
	v_cmp_gt_i16_e32 vcc, v14, v15
	v_cndmask_b32_e32 v4, v4, v9, vcc
	v_cndmask_b32_e32 v2, v10, v2, vcc
	v_cmp_ge_u32_e32 vcc, v2, v4
	s_or_b64 s[4:5], vcc, s[4:5]
	s_andn2_b64 exec, exec, s[4:5]
	s_cbranch_execnz .LBB21_3
; %bb.4:
	s_or_b64 exec, exec, s[4:5]
.LBB21_5:
	s_or_b64 exec, exec, s[2:3]
	v_add_u32_e32 v2, v2, v1
	v_mov_b32_e32 v1, 0
	v_lshlrev_b64 v[0:1], 2, v[0:1]
	v_mov_b32_e32 v3, s1
	v_add_co_u32_e32 v0, vcc, s0, v0
	v_addc_co_u32_e32 v1, vcc, v3, v1, vcc
	global_store_dword v[0:1], v2, off
.LBB21_6:
	s_endpgm
	.section	.rodata,"a",@progbits
	.p2align	6, 0x0
	.amdhsa_kernel _ZN7rocprim17ROCPRIM_400000_NS6detail17trampoline_kernelINS0_14default_configENS1_38merge_sort_block_merge_config_selectorIcNS0_10empty_typeEEEZZNS1_27merge_sort_block_merge_implIS3_PcPS5_jNS1_19radix_merge_compareILb0ELb0EcNS0_19identity_decomposerEEEEE10hipError_tT0_T1_T2_jT3_P12ihipStream_tbPNSt15iterator_traitsISE_E10value_typeEPNSK_ISF_E10value_typeEPSG_NS1_7vsmem_tEENKUlT_SE_SF_SG_E_clIS8_S8_S9_S9_EESD_ST_SE_SF_SG_EUlST_E_NS1_11comp_targetILNS1_3genE4ELNS1_11target_archE910ELNS1_3gpuE8ELNS1_3repE0EEENS1_48merge_mergepath_partition_config_static_selectorELNS0_4arch9wavefront6targetE1EEEvSF_
		.amdhsa_group_segment_fixed_size 0
		.amdhsa_private_segment_fixed_size 0
		.amdhsa_kernarg_size 40
		.amdhsa_user_sgpr_count 6
		.amdhsa_user_sgpr_private_segment_buffer 1
		.amdhsa_user_sgpr_dispatch_ptr 0
		.amdhsa_user_sgpr_queue_ptr 0
		.amdhsa_user_sgpr_kernarg_segment_ptr 1
		.amdhsa_user_sgpr_dispatch_id 0
		.amdhsa_user_sgpr_flat_scratch_init 0
		.amdhsa_user_sgpr_kernarg_preload_length 0
		.amdhsa_user_sgpr_kernarg_preload_offset 0
		.amdhsa_user_sgpr_private_segment_size 0
		.amdhsa_uses_dynamic_stack 0
		.amdhsa_system_sgpr_private_segment_wavefront_offset 0
		.amdhsa_system_sgpr_workgroup_id_x 1
		.amdhsa_system_sgpr_workgroup_id_y 0
		.amdhsa_system_sgpr_workgroup_id_z 0
		.amdhsa_system_sgpr_workgroup_info 0
		.amdhsa_system_vgpr_workitem_id 0
		.amdhsa_next_free_vgpr 16
		.amdhsa_next_free_sgpr 8
		.amdhsa_accum_offset 16
		.amdhsa_reserve_vcc 1
		.amdhsa_reserve_flat_scratch 0
		.amdhsa_float_round_mode_32 0
		.amdhsa_float_round_mode_16_64 0
		.amdhsa_float_denorm_mode_32 3
		.amdhsa_float_denorm_mode_16_64 3
		.amdhsa_dx10_clamp 1
		.amdhsa_ieee_mode 1
		.amdhsa_fp16_overflow 0
		.amdhsa_tg_split 0
		.amdhsa_exception_fp_ieee_invalid_op 0
		.amdhsa_exception_fp_denorm_src 0
		.amdhsa_exception_fp_ieee_div_zero 0
		.amdhsa_exception_fp_ieee_overflow 0
		.amdhsa_exception_fp_ieee_underflow 0
		.amdhsa_exception_fp_ieee_inexact 0
		.amdhsa_exception_int_div_zero 0
	.end_amdhsa_kernel
	.section	.text._ZN7rocprim17ROCPRIM_400000_NS6detail17trampoline_kernelINS0_14default_configENS1_38merge_sort_block_merge_config_selectorIcNS0_10empty_typeEEEZZNS1_27merge_sort_block_merge_implIS3_PcPS5_jNS1_19radix_merge_compareILb0ELb0EcNS0_19identity_decomposerEEEEE10hipError_tT0_T1_T2_jT3_P12ihipStream_tbPNSt15iterator_traitsISE_E10value_typeEPNSK_ISF_E10value_typeEPSG_NS1_7vsmem_tEENKUlT_SE_SF_SG_E_clIS8_S8_S9_S9_EESD_ST_SE_SF_SG_EUlST_E_NS1_11comp_targetILNS1_3genE4ELNS1_11target_archE910ELNS1_3gpuE8ELNS1_3repE0EEENS1_48merge_mergepath_partition_config_static_selectorELNS0_4arch9wavefront6targetE1EEEvSF_,"axG",@progbits,_ZN7rocprim17ROCPRIM_400000_NS6detail17trampoline_kernelINS0_14default_configENS1_38merge_sort_block_merge_config_selectorIcNS0_10empty_typeEEEZZNS1_27merge_sort_block_merge_implIS3_PcPS5_jNS1_19radix_merge_compareILb0ELb0EcNS0_19identity_decomposerEEEEE10hipError_tT0_T1_T2_jT3_P12ihipStream_tbPNSt15iterator_traitsISE_E10value_typeEPNSK_ISF_E10value_typeEPSG_NS1_7vsmem_tEENKUlT_SE_SF_SG_E_clIS8_S8_S9_S9_EESD_ST_SE_SF_SG_EUlST_E_NS1_11comp_targetILNS1_3genE4ELNS1_11target_archE910ELNS1_3gpuE8ELNS1_3repE0EEENS1_48merge_mergepath_partition_config_static_selectorELNS0_4arch9wavefront6targetE1EEEvSF_,comdat
.Lfunc_end21:
	.size	_ZN7rocprim17ROCPRIM_400000_NS6detail17trampoline_kernelINS0_14default_configENS1_38merge_sort_block_merge_config_selectorIcNS0_10empty_typeEEEZZNS1_27merge_sort_block_merge_implIS3_PcPS5_jNS1_19radix_merge_compareILb0ELb0EcNS0_19identity_decomposerEEEEE10hipError_tT0_T1_T2_jT3_P12ihipStream_tbPNSt15iterator_traitsISE_E10value_typeEPNSK_ISF_E10value_typeEPSG_NS1_7vsmem_tEENKUlT_SE_SF_SG_E_clIS8_S8_S9_S9_EESD_ST_SE_SF_SG_EUlST_E_NS1_11comp_targetILNS1_3genE4ELNS1_11target_archE910ELNS1_3gpuE8ELNS1_3repE0EEENS1_48merge_mergepath_partition_config_static_selectorELNS0_4arch9wavefront6targetE1EEEvSF_, .Lfunc_end21-_ZN7rocprim17ROCPRIM_400000_NS6detail17trampoline_kernelINS0_14default_configENS1_38merge_sort_block_merge_config_selectorIcNS0_10empty_typeEEEZZNS1_27merge_sort_block_merge_implIS3_PcPS5_jNS1_19radix_merge_compareILb0ELb0EcNS0_19identity_decomposerEEEEE10hipError_tT0_T1_T2_jT3_P12ihipStream_tbPNSt15iterator_traitsISE_E10value_typeEPNSK_ISF_E10value_typeEPSG_NS1_7vsmem_tEENKUlT_SE_SF_SG_E_clIS8_S8_S9_S9_EESD_ST_SE_SF_SG_EUlST_E_NS1_11comp_targetILNS1_3genE4ELNS1_11target_archE910ELNS1_3gpuE8ELNS1_3repE0EEENS1_48merge_mergepath_partition_config_static_selectorELNS0_4arch9wavefront6targetE1EEEvSF_
                                        ; -- End function
	.section	.AMDGPU.csdata,"",@progbits
; Kernel info:
; codeLenInByte = 316
; NumSgprs: 12
; NumVgprs: 16
; NumAgprs: 0
; TotalNumVgprs: 16
; ScratchSize: 0
; MemoryBound: 0
; FloatMode: 240
; IeeeMode: 1
; LDSByteSize: 0 bytes/workgroup (compile time only)
; SGPRBlocks: 1
; VGPRBlocks: 1
; NumSGPRsForWavesPerEU: 12
; NumVGPRsForWavesPerEU: 16
; AccumOffset: 16
; Occupancy: 8
; WaveLimiterHint : 0
; COMPUTE_PGM_RSRC2:SCRATCH_EN: 0
; COMPUTE_PGM_RSRC2:USER_SGPR: 6
; COMPUTE_PGM_RSRC2:TRAP_HANDLER: 0
; COMPUTE_PGM_RSRC2:TGID_X_EN: 1
; COMPUTE_PGM_RSRC2:TGID_Y_EN: 0
; COMPUTE_PGM_RSRC2:TGID_Z_EN: 0
; COMPUTE_PGM_RSRC2:TIDIG_COMP_CNT: 0
; COMPUTE_PGM_RSRC3_GFX90A:ACCUM_OFFSET: 3
; COMPUTE_PGM_RSRC3_GFX90A:TG_SPLIT: 0
	.section	.text._ZN7rocprim17ROCPRIM_400000_NS6detail17trampoline_kernelINS0_14default_configENS1_38merge_sort_block_merge_config_selectorIcNS0_10empty_typeEEEZZNS1_27merge_sort_block_merge_implIS3_PcPS5_jNS1_19radix_merge_compareILb0ELb0EcNS0_19identity_decomposerEEEEE10hipError_tT0_T1_T2_jT3_P12ihipStream_tbPNSt15iterator_traitsISE_E10value_typeEPNSK_ISF_E10value_typeEPSG_NS1_7vsmem_tEENKUlT_SE_SF_SG_E_clIS8_S8_S9_S9_EESD_ST_SE_SF_SG_EUlST_E_NS1_11comp_targetILNS1_3genE3ELNS1_11target_archE908ELNS1_3gpuE7ELNS1_3repE0EEENS1_48merge_mergepath_partition_config_static_selectorELNS0_4arch9wavefront6targetE1EEEvSF_,"axG",@progbits,_ZN7rocprim17ROCPRIM_400000_NS6detail17trampoline_kernelINS0_14default_configENS1_38merge_sort_block_merge_config_selectorIcNS0_10empty_typeEEEZZNS1_27merge_sort_block_merge_implIS3_PcPS5_jNS1_19radix_merge_compareILb0ELb0EcNS0_19identity_decomposerEEEEE10hipError_tT0_T1_T2_jT3_P12ihipStream_tbPNSt15iterator_traitsISE_E10value_typeEPNSK_ISF_E10value_typeEPSG_NS1_7vsmem_tEENKUlT_SE_SF_SG_E_clIS8_S8_S9_S9_EESD_ST_SE_SF_SG_EUlST_E_NS1_11comp_targetILNS1_3genE3ELNS1_11target_archE908ELNS1_3gpuE7ELNS1_3repE0EEENS1_48merge_mergepath_partition_config_static_selectorELNS0_4arch9wavefront6targetE1EEEvSF_,comdat
	.protected	_ZN7rocprim17ROCPRIM_400000_NS6detail17trampoline_kernelINS0_14default_configENS1_38merge_sort_block_merge_config_selectorIcNS0_10empty_typeEEEZZNS1_27merge_sort_block_merge_implIS3_PcPS5_jNS1_19radix_merge_compareILb0ELb0EcNS0_19identity_decomposerEEEEE10hipError_tT0_T1_T2_jT3_P12ihipStream_tbPNSt15iterator_traitsISE_E10value_typeEPNSK_ISF_E10value_typeEPSG_NS1_7vsmem_tEENKUlT_SE_SF_SG_E_clIS8_S8_S9_S9_EESD_ST_SE_SF_SG_EUlST_E_NS1_11comp_targetILNS1_3genE3ELNS1_11target_archE908ELNS1_3gpuE7ELNS1_3repE0EEENS1_48merge_mergepath_partition_config_static_selectorELNS0_4arch9wavefront6targetE1EEEvSF_ ; -- Begin function _ZN7rocprim17ROCPRIM_400000_NS6detail17trampoline_kernelINS0_14default_configENS1_38merge_sort_block_merge_config_selectorIcNS0_10empty_typeEEEZZNS1_27merge_sort_block_merge_implIS3_PcPS5_jNS1_19radix_merge_compareILb0ELb0EcNS0_19identity_decomposerEEEEE10hipError_tT0_T1_T2_jT3_P12ihipStream_tbPNSt15iterator_traitsISE_E10value_typeEPNSK_ISF_E10value_typeEPSG_NS1_7vsmem_tEENKUlT_SE_SF_SG_E_clIS8_S8_S9_S9_EESD_ST_SE_SF_SG_EUlST_E_NS1_11comp_targetILNS1_3genE3ELNS1_11target_archE908ELNS1_3gpuE7ELNS1_3repE0EEENS1_48merge_mergepath_partition_config_static_selectorELNS0_4arch9wavefront6targetE1EEEvSF_
	.globl	_ZN7rocprim17ROCPRIM_400000_NS6detail17trampoline_kernelINS0_14default_configENS1_38merge_sort_block_merge_config_selectorIcNS0_10empty_typeEEEZZNS1_27merge_sort_block_merge_implIS3_PcPS5_jNS1_19radix_merge_compareILb0ELb0EcNS0_19identity_decomposerEEEEE10hipError_tT0_T1_T2_jT3_P12ihipStream_tbPNSt15iterator_traitsISE_E10value_typeEPNSK_ISF_E10value_typeEPSG_NS1_7vsmem_tEENKUlT_SE_SF_SG_E_clIS8_S8_S9_S9_EESD_ST_SE_SF_SG_EUlST_E_NS1_11comp_targetILNS1_3genE3ELNS1_11target_archE908ELNS1_3gpuE7ELNS1_3repE0EEENS1_48merge_mergepath_partition_config_static_selectorELNS0_4arch9wavefront6targetE1EEEvSF_
	.p2align	8
	.type	_ZN7rocprim17ROCPRIM_400000_NS6detail17trampoline_kernelINS0_14default_configENS1_38merge_sort_block_merge_config_selectorIcNS0_10empty_typeEEEZZNS1_27merge_sort_block_merge_implIS3_PcPS5_jNS1_19radix_merge_compareILb0ELb0EcNS0_19identity_decomposerEEEEE10hipError_tT0_T1_T2_jT3_P12ihipStream_tbPNSt15iterator_traitsISE_E10value_typeEPNSK_ISF_E10value_typeEPSG_NS1_7vsmem_tEENKUlT_SE_SF_SG_E_clIS8_S8_S9_S9_EESD_ST_SE_SF_SG_EUlST_E_NS1_11comp_targetILNS1_3genE3ELNS1_11target_archE908ELNS1_3gpuE7ELNS1_3repE0EEENS1_48merge_mergepath_partition_config_static_selectorELNS0_4arch9wavefront6targetE1EEEvSF_,@function
_ZN7rocprim17ROCPRIM_400000_NS6detail17trampoline_kernelINS0_14default_configENS1_38merge_sort_block_merge_config_selectorIcNS0_10empty_typeEEEZZNS1_27merge_sort_block_merge_implIS3_PcPS5_jNS1_19radix_merge_compareILb0ELb0EcNS0_19identity_decomposerEEEEE10hipError_tT0_T1_T2_jT3_P12ihipStream_tbPNSt15iterator_traitsISE_E10value_typeEPNSK_ISF_E10value_typeEPSG_NS1_7vsmem_tEENKUlT_SE_SF_SG_E_clIS8_S8_S9_S9_EESD_ST_SE_SF_SG_EUlST_E_NS1_11comp_targetILNS1_3genE3ELNS1_11target_archE908ELNS1_3gpuE7ELNS1_3repE0EEENS1_48merge_mergepath_partition_config_static_selectorELNS0_4arch9wavefront6targetE1EEEvSF_: ; @_ZN7rocprim17ROCPRIM_400000_NS6detail17trampoline_kernelINS0_14default_configENS1_38merge_sort_block_merge_config_selectorIcNS0_10empty_typeEEEZZNS1_27merge_sort_block_merge_implIS3_PcPS5_jNS1_19radix_merge_compareILb0ELb0EcNS0_19identity_decomposerEEEEE10hipError_tT0_T1_T2_jT3_P12ihipStream_tbPNSt15iterator_traitsISE_E10value_typeEPNSK_ISF_E10value_typeEPSG_NS1_7vsmem_tEENKUlT_SE_SF_SG_E_clIS8_S8_S9_S9_EESD_ST_SE_SF_SG_EUlST_E_NS1_11comp_targetILNS1_3genE3ELNS1_11target_archE908ELNS1_3gpuE7ELNS1_3repE0EEENS1_48merge_mergepath_partition_config_static_selectorELNS0_4arch9wavefront6targetE1EEEvSF_
; %bb.0:
	.section	.rodata,"a",@progbits
	.p2align	6, 0x0
	.amdhsa_kernel _ZN7rocprim17ROCPRIM_400000_NS6detail17trampoline_kernelINS0_14default_configENS1_38merge_sort_block_merge_config_selectorIcNS0_10empty_typeEEEZZNS1_27merge_sort_block_merge_implIS3_PcPS5_jNS1_19radix_merge_compareILb0ELb0EcNS0_19identity_decomposerEEEEE10hipError_tT0_T1_T2_jT3_P12ihipStream_tbPNSt15iterator_traitsISE_E10value_typeEPNSK_ISF_E10value_typeEPSG_NS1_7vsmem_tEENKUlT_SE_SF_SG_E_clIS8_S8_S9_S9_EESD_ST_SE_SF_SG_EUlST_E_NS1_11comp_targetILNS1_3genE3ELNS1_11target_archE908ELNS1_3gpuE7ELNS1_3repE0EEENS1_48merge_mergepath_partition_config_static_selectorELNS0_4arch9wavefront6targetE1EEEvSF_
		.amdhsa_group_segment_fixed_size 0
		.amdhsa_private_segment_fixed_size 0
		.amdhsa_kernarg_size 40
		.amdhsa_user_sgpr_count 6
		.amdhsa_user_sgpr_private_segment_buffer 1
		.amdhsa_user_sgpr_dispatch_ptr 0
		.amdhsa_user_sgpr_queue_ptr 0
		.amdhsa_user_sgpr_kernarg_segment_ptr 1
		.amdhsa_user_sgpr_dispatch_id 0
		.amdhsa_user_sgpr_flat_scratch_init 0
		.amdhsa_user_sgpr_kernarg_preload_length 0
		.amdhsa_user_sgpr_kernarg_preload_offset 0
		.amdhsa_user_sgpr_private_segment_size 0
		.amdhsa_uses_dynamic_stack 0
		.amdhsa_system_sgpr_private_segment_wavefront_offset 0
		.amdhsa_system_sgpr_workgroup_id_x 1
		.amdhsa_system_sgpr_workgroup_id_y 0
		.amdhsa_system_sgpr_workgroup_id_z 0
		.amdhsa_system_sgpr_workgroup_info 0
		.amdhsa_system_vgpr_workitem_id 0
		.amdhsa_next_free_vgpr 1
		.amdhsa_next_free_sgpr 0
		.amdhsa_accum_offset 4
		.amdhsa_reserve_vcc 0
		.amdhsa_reserve_flat_scratch 0
		.amdhsa_float_round_mode_32 0
		.amdhsa_float_round_mode_16_64 0
		.amdhsa_float_denorm_mode_32 3
		.amdhsa_float_denorm_mode_16_64 3
		.amdhsa_dx10_clamp 1
		.amdhsa_ieee_mode 1
		.amdhsa_fp16_overflow 0
		.amdhsa_tg_split 0
		.amdhsa_exception_fp_ieee_invalid_op 0
		.amdhsa_exception_fp_denorm_src 0
		.amdhsa_exception_fp_ieee_div_zero 0
		.amdhsa_exception_fp_ieee_overflow 0
		.amdhsa_exception_fp_ieee_underflow 0
		.amdhsa_exception_fp_ieee_inexact 0
		.amdhsa_exception_int_div_zero 0
	.end_amdhsa_kernel
	.section	.text._ZN7rocprim17ROCPRIM_400000_NS6detail17trampoline_kernelINS0_14default_configENS1_38merge_sort_block_merge_config_selectorIcNS0_10empty_typeEEEZZNS1_27merge_sort_block_merge_implIS3_PcPS5_jNS1_19radix_merge_compareILb0ELb0EcNS0_19identity_decomposerEEEEE10hipError_tT0_T1_T2_jT3_P12ihipStream_tbPNSt15iterator_traitsISE_E10value_typeEPNSK_ISF_E10value_typeEPSG_NS1_7vsmem_tEENKUlT_SE_SF_SG_E_clIS8_S8_S9_S9_EESD_ST_SE_SF_SG_EUlST_E_NS1_11comp_targetILNS1_3genE3ELNS1_11target_archE908ELNS1_3gpuE7ELNS1_3repE0EEENS1_48merge_mergepath_partition_config_static_selectorELNS0_4arch9wavefront6targetE1EEEvSF_,"axG",@progbits,_ZN7rocprim17ROCPRIM_400000_NS6detail17trampoline_kernelINS0_14default_configENS1_38merge_sort_block_merge_config_selectorIcNS0_10empty_typeEEEZZNS1_27merge_sort_block_merge_implIS3_PcPS5_jNS1_19radix_merge_compareILb0ELb0EcNS0_19identity_decomposerEEEEE10hipError_tT0_T1_T2_jT3_P12ihipStream_tbPNSt15iterator_traitsISE_E10value_typeEPNSK_ISF_E10value_typeEPSG_NS1_7vsmem_tEENKUlT_SE_SF_SG_E_clIS8_S8_S9_S9_EESD_ST_SE_SF_SG_EUlST_E_NS1_11comp_targetILNS1_3genE3ELNS1_11target_archE908ELNS1_3gpuE7ELNS1_3repE0EEENS1_48merge_mergepath_partition_config_static_selectorELNS0_4arch9wavefront6targetE1EEEvSF_,comdat
.Lfunc_end22:
	.size	_ZN7rocprim17ROCPRIM_400000_NS6detail17trampoline_kernelINS0_14default_configENS1_38merge_sort_block_merge_config_selectorIcNS0_10empty_typeEEEZZNS1_27merge_sort_block_merge_implIS3_PcPS5_jNS1_19radix_merge_compareILb0ELb0EcNS0_19identity_decomposerEEEEE10hipError_tT0_T1_T2_jT3_P12ihipStream_tbPNSt15iterator_traitsISE_E10value_typeEPNSK_ISF_E10value_typeEPSG_NS1_7vsmem_tEENKUlT_SE_SF_SG_E_clIS8_S8_S9_S9_EESD_ST_SE_SF_SG_EUlST_E_NS1_11comp_targetILNS1_3genE3ELNS1_11target_archE908ELNS1_3gpuE7ELNS1_3repE0EEENS1_48merge_mergepath_partition_config_static_selectorELNS0_4arch9wavefront6targetE1EEEvSF_, .Lfunc_end22-_ZN7rocprim17ROCPRIM_400000_NS6detail17trampoline_kernelINS0_14default_configENS1_38merge_sort_block_merge_config_selectorIcNS0_10empty_typeEEEZZNS1_27merge_sort_block_merge_implIS3_PcPS5_jNS1_19radix_merge_compareILb0ELb0EcNS0_19identity_decomposerEEEEE10hipError_tT0_T1_T2_jT3_P12ihipStream_tbPNSt15iterator_traitsISE_E10value_typeEPNSK_ISF_E10value_typeEPSG_NS1_7vsmem_tEENKUlT_SE_SF_SG_E_clIS8_S8_S9_S9_EESD_ST_SE_SF_SG_EUlST_E_NS1_11comp_targetILNS1_3genE3ELNS1_11target_archE908ELNS1_3gpuE7ELNS1_3repE0EEENS1_48merge_mergepath_partition_config_static_selectorELNS0_4arch9wavefront6targetE1EEEvSF_
                                        ; -- End function
	.section	.AMDGPU.csdata,"",@progbits
; Kernel info:
; codeLenInByte = 0
; NumSgprs: 4
; NumVgprs: 0
; NumAgprs: 0
; TotalNumVgprs: 0
; ScratchSize: 0
; MemoryBound: 0
; FloatMode: 240
; IeeeMode: 1
; LDSByteSize: 0 bytes/workgroup (compile time only)
; SGPRBlocks: 0
; VGPRBlocks: 0
; NumSGPRsForWavesPerEU: 4
; NumVGPRsForWavesPerEU: 1
; AccumOffset: 4
; Occupancy: 8
; WaveLimiterHint : 0
; COMPUTE_PGM_RSRC2:SCRATCH_EN: 0
; COMPUTE_PGM_RSRC2:USER_SGPR: 6
; COMPUTE_PGM_RSRC2:TRAP_HANDLER: 0
; COMPUTE_PGM_RSRC2:TGID_X_EN: 1
; COMPUTE_PGM_RSRC2:TGID_Y_EN: 0
; COMPUTE_PGM_RSRC2:TGID_Z_EN: 0
; COMPUTE_PGM_RSRC2:TIDIG_COMP_CNT: 0
; COMPUTE_PGM_RSRC3_GFX90A:ACCUM_OFFSET: 0
; COMPUTE_PGM_RSRC3_GFX90A:TG_SPLIT: 0
	.section	.text._ZN7rocprim17ROCPRIM_400000_NS6detail17trampoline_kernelINS0_14default_configENS1_38merge_sort_block_merge_config_selectorIcNS0_10empty_typeEEEZZNS1_27merge_sort_block_merge_implIS3_PcPS5_jNS1_19radix_merge_compareILb0ELb0EcNS0_19identity_decomposerEEEEE10hipError_tT0_T1_T2_jT3_P12ihipStream_tbPNSt15iterator_traitsISE_E10value_typeEPNSK_ISF_E10value_typeEPSG_NS1_7vsmem_tEENKUlT_SE_SF_SG_E_clIS8_S8_S9_S9_EESD_ST_SE_SF_SG_EUlST_E_NS1_11comp_targetILNS1_3genE2ELNS1_11target_archE906ELNS1_3gpuE6ELNS1_3repE0EEENS1_48merge_mergepath_partition_config_static_selectorELNS0_4arch9wavefront6targetE1EEEvSF_,"axG",@progbits,_ZN7rocprim17ROCPRIM_400000_NS6detail17trampoline_kernelINS0_14default_configENS1_38merge_sort_block_merge_config_selectorIcNS0_10empty_typeEEEZZNS1_27merge_sort_block_merge_implIS3_PcPS5_jNS1_19radix_merge_compareILb0ELb0EcNS0_19identity_decomposerEEEEE10hipError_tT0_T1_T2_jT3_P12ihipStream_tbPNSt15iterator_traitsISE_E10value_typeEPNSK_ISF_E10value_typeEPSG_NS1_7vsmem_tEENKUlT_SE_SF_SG_E_clIS8_S8_S9_S9_EESD_ST_SE_SF_SG_EUlST_E_NS1_11comp_targetILNS1_3genE2ELNS1_11target_archE906ELNS1_3gpuE6ELNS1_3repE0EEENS1_48merge_mergepath_partition_config_static_selectorELNS0_4arch9wavefront6targetE1EEEvSF_,comdat
	.protected	_ZN7rocprim17ROCPRIM_400000_NS6detail17trampoline_kernelINS0_14default_configENS1_38merge_sort_block_merge_config_selectorIcNS0_10empty_typeEEEZZNS1_27merge_sort_block_merge_implIS3_PcPS5_jNS1_19radix_merge_compareILb0ELb0EcNS0_19identity_decomposerEEEEE10hipError_tT0_T1_T2_jT3_P12ihipStream_tbPNSt15iterator_traitsISE_E10value_typeEPNSK_ISF_E10value_typeEPSG_NS1_7vsmem_tEENKUlT_SE_SF_SG_E_clIS8_S8_S9_S9_EESD_ST_SE_SF_SG_EUlST_E_NS1_11comp_targetILNS1_3genE2ELNS1_11target_archE906ELNS1_3gpuE6ELNS1_3repE0EEENS1_48merge_mergepath_partition_config_static_selectorELNS0_4arch9wavefront6targetE1EEEvSF_ ; -- Begin function _ZN7rocprim17ROCPRIM_400000_NS6detail17trampoline_kernelINS0_14default_configENS1_38merge_sort_block_merge_config_selectorIcNS0_10empty_typeEEEZZNS1_27merge_sort_block_merge_implIS3_PcPS5_jNS1_19radix_merge_compareILb0ELb0EcNS0_19identity_decomposerEEEEE10hipError_tT0_T1_T2_jT3_P12ihipStream_tbPNSt15iterator_traitsISE_E10value_typeEPNSK_ISF_E10value_typeEPSG_NS1_7vsmem_tEENKUlT_SE_SF_SG_E_clIS8_S8_S9_S9_EESD_ST_SE_SF_SG_EUlST_E_NS1_11comp_targetILNS1_3genE2ELNS1_11target_archE906ELNS1_3gpuE6ELNS1_3repE0EEENS1_48merge_mergepath_partition_config_static_selectorELNS0_4arch9wavefront6targetE1EEEvSF_
	.globl	_ZN7rocprim17ROCPRIM_400000_NS6detail17trampoline_kernelINS0_14default_configENS1_38merge_sort_block_merge_config_selectorIcNS0_10empty_typeEEEZZNS1_27merge_sort_block_merge_implIS3_PcPS5_jNS1_19radix_merge_compareILb0ELb0EcNS0_19identity_decomposerEEEEE10hipError_tT0_T1_T2_jT3_P12ihipStream_tbPNSt15iterator_traitsISE_E10value_typeEPNSK_ISF_E10value_typeEPSG_NS1_7vsmem_tEENKUlT_SE_SF_SG_E_clIS8_S8_S9_S9_EESD_ST_SE_SF_SG_EUlST_E_NS1_11comp_targetILNS1_3genE2ELNS1_11target_archE906ELNS1_3gpuE6ELNS1_3repE0EEENS1_48merge_mergepath_partition_config_static_selectorELNS0_4arch9wavefront6targetE1EEEvSF_
	.p2align	8
	.type	_ZN7rocprim17ROCPRIM_400000_NS6detail17trampoline_kernelINS0_14default_configENS1_38merge_sort_block_merge_config_selectorIcNS0_10empty_typeEEEZZNS1_27merge_sort_block_merge_implIS3_PcPS5_jNS1_19radix_merge_compareILb0ELb0EcNS0_19identity_decomposerEEEEE10hipError_tT0_T1_T2_jT3_P12ihipStream_tbPNSt15iterator_traitsISE_E10value_typeEPNSK_ISF_E10value_typeEPSG_NS1_7vsmem_tEENKUlT_SE_SF_SG_E_clIS8_S8_S9_S9_EESD_ST_SE_SF_SG_EUlST_E_NS1_11comp_targetILNS1_3genE2ELNS1_11target_archE906ELNS1_3gpuE6ELNS1_3repE0EEENS1_48merge_mergepath_partition_config_static_selectorELNS0_4arch9wavefront6targetE1EEEvSF_,@function
_ZN7rocprim17ROCPRIM_400000_NS6detail17trampoline_kernelINS0_14default_configENS1_38merge_sort_block_merge_config_selectorIcNS0_10empty_typeEEEZZNS1_27merge_sort_block_merge_implIS3_PcPS5_jNS1_19radix_merge_compareILb0ELb0EcNS0_19identity_decomposerEEEEE10hipError_tT0_T1_T2_jT3_P12ihipStream_tbPNSt15iterator_traitsISE_E10value_typeEPNSK_ISF_E10value_typeEPSG_NS1_7vsmem_tEENKUlT_SE_SF_SG_E_clIS8_S8_S9_S9_EESD_ST_SE_SF_SG_EUlST_E_NS1_11comp_targetILNS1_3genE2ELNS1_11target_archE906ELNS1_3gpuE6ELNS1_3repE0EEENS1_48merge_mergepath_partition_config_static_selectorELNS0_4arch9wavefront6targetE1EEEvSF_: ; @_ZN7rocprim17ROCPRIM_400000_NS6detail17trampoline_kernelINS0_14default_configENS1_38merge_sort_block_merge_config_selectorIcNS0_10empty_typeEEEZZNS1_27merge_sort_block_merge_implIS3_PcPS5_jNS1_19radix_merge_compareILb0ELb0EcNS0_19identity_decomposerEEEEE10hipError_tT0_T1_T2_jT3_P12ihipStream_tbPNSt15iterator_traitsISE_E10value_typeEPNSK_ISF_E10value_typeEPSG_NS1_7vsmem_tEENKUlT_SE_SF_SG_E_clIS8_S8_S9_S9_EESD_ST_SE_SF_SG_EUlST_E_NS1_11comp_targetILNS1_3genE2ELNS1_11target_archE906ELNS1_3gpuE6ELNS1_3repE0EEENS1_48merge_mergepath_partition_config_static_selectorELNS0_4arch9wavefront6targetE1EEEvSF_
; %bb.0:
	.section	.rodata,"a",@progbits
	.p2align	6, 0x0
	.amdhsa_kernel _ZN7rocprim17ROCPRIM_400000_NS6detail17trampoline_kernelINS0_14default_configENS1_38merge_sort_block_merge_config_selectorIcNS0_10empty_typeEEEZZNS1_27merge_sort_block_merge_implIS3_PcPS5_jNS1_19radix_merge_compareILb0ELb0EcNS0_19identity_decomposerEEEEE10hipError_tT0_T1_T2_jT3_P12ihipStream_tbPNSt15iterator_traitsISE_E10value_typeEPNSK_ISF_E10value_typeEPSG_NS1_7vsmem_tEENKUlT_SE_SF_SG_E_clIS8_S8_S9_S9_EESD_ST_SE_SF_SG_EUlST_E_NS1_11comp_targetILNS1_3genE2ELNS1_11target_archE906ELNS1_3gpuE6ELNS1_3repE0EEENS1_48merge_mergepath_partition_config_static_selectorELNS0_4arch9wavefront6targetE1EEEvSF_
		.amdhsa_group_segment_fixed_size 0
		.amdhsa_private_segment_fixed_size 0
		.amdhsa_kernarg_size 40
		.amdhsa_user_sgpr_count 6
		.amdhsa_user_sgpr_private_segment_buffer 1
		.amdhsa_user_sgpr_dispatch_ptr 0
		.amdhsa_user_sgpr_queue_ptr 0
		.amdhsa_user_sgpr_kernarg_segment_ptr 1
		.amdhsa_user_sgpr_dispatch_id 0
		.amdhsa_user_sgpr_flat_scratch_init 0
		.amdhsa_user_sgpr_kernarg_preload_length 0
		.amdhsa_user_sgpr_kernarg_preload_offset 0
		.amdhsa_user_sgpr_private_segment_size 0
		.amdhsa_uses_dynamic_stack 0
		.amdhsa_system_sgpr_private_segment_wavefront_offset 0
		.amdhsa_system_sgpr_workgroup_id_x 1
		.amdhsa_system_sgpr_workgroup_id_y 0
		.amdhsa_system_sgpr_workgroup_id_z 0
		.amdhsa_system_sgpr_workgroup_info 0
		.amdhsa_system_vgpr_workitem_id 0
		.amdhsa_next_free_vgpr 1
		.amdhsa_next_free_sgpr 0
		.amdhsa_accum_offset 4
		.amdhsa_reserve_vcc 0
		.amdhsa_reserve_flat_scratch 0
		.amdhsa_float_round_mode_32 0
		.amdhsa_float_round_mode_16_64 0
		.amdhsa_float_denorm_mode_32 3
		.amdhsa_float_denorm_mode_16_64 3
		.amdhsa_dx10_clamp 1
		.amdhsa_ieee_mode 1
		.amdhsa_fp16_overflow 0
		.amdhsa_tg_split 0
		.amdhsa_exception_fp_ieee_invalid_op 0
		.amdhsa_exception_fp_denorm_src 0
		.amdhsa_exception_fp_ieee_div_zero 0
		.amdhsa_exception_fp_ieee_overflow 0
		.amdhsa_exception_fp_ieee_underflow 0
		.amdhsa_exception_fp_ieee_inexact 0
		.amdhsa_exception_int_div_zero 0
	.end_amdhsa_kernel
	.section	.text._ZN7rocprim17ROCPRIM_400000_NS6detail17trampoline_kernelINS0_14default_configENS1_38merge_sort_block_merge_config_selectorIcNS0_10empty_typeEEEZZNS1_27merge_sort_block_merge_implIS3_PcPS5_jNS1_19radix_merge_compareILb0ELb0EcNS0_19identity_decomposerEEEEE10hipError_tT0_T1_T2_jT3_P12ihipStream_tbPNSt15iterator_traitsISE_E10value_typeEPNSK_ISF_E10value_typeEPSG_NS1_7vsmem_tEENKUlT_SE_SF_SG_E_clIS8_S8_S9_S9_EESD_ST_SE_SF_SG_EUlST_E_NS1_11comp_targetILNS1_3genE2ELNS1_11target_archE906ELNS1_3gpuE6ELNS1_3repE0EEENS1_48merge_mergepath_partition_config_static_selectorELNS0_4arch9wavefront6targetE1EEEvSF_,"axG",@progbits,_ZN7rocprim17ROCPRIM_400000_NS6detail17trampoline_kernelINS0_14default_configENS1_38merge_sort_block_merge_config_selectorIcNS0_10empty_typeEEEZZNS1_27merge_sort_block_merge_implIS3_PcPS5_jNS1_19radix_merge_compareILb0ELb0EcNS0_19identity_decomposerEEEEE10hipError_tT0_T1_T2_jT3_P12ihipStream_tbPNSt15iterator_traitsISE_E10value_typeEPNSK_ISF_E10value_typeEPSG_NS1_7vsmem_tEENKUlT_SE_SF_SG_E_clIS8_S8_S9_S9_EESD_ST_SE_SF_SG_EUlST_E_NS1_11comp_targetILNS1_3genE2ELNS1_11target_archE906ELNS1_3gpuE6ELNS1_3repE0EEENS1_48merge_mergepath_partition_config_static_selectorELNS0_4arch9wavefront6targetE1EEEvSF_,comdat
.Lfunc_end23:
	.size	_ZN7rocprim17ROCPRIM_400000_NS6detail17trampoline_kernelINS0_14default_configENS1_38merge_sort_block_merge_config_selectorIcNS0_10empty_typeEEEZZNS1_27merge_sort_block_merge_implIS3_PcPS5_jNS1_19radix_merge_compareILb0ELb0EcNS0_19identity_decomposerEEEEE10hipError_tT0_T1_T2_jT3_P12ihipStream_tbPNSt15iterator_traitsISE_E10value_typeEPNSK_ISF_E10value_typeEPSG_NS1_7vsmem_tEENKUlT_SE_SF_SG_E_clIS8_S8_S9_S9_EESD_ST_SE_SF_SG_EUlST_E_NS1_11comp_targetILNS1_3genE2ELNS1_11target_archE906ELNS1_3gpuE6ELNS1_3repE0EEENS1_48merge_mergepath_partition_config_static_selectorELNS0_4arch9wavefront6targetE1EEEvSF_, .Lfunc_end23-_ZN7rocprim17ROCPRIM_400000_NS6detail17trampoline_kernelINS0_14default_configENS1_38merge_sort_block_merge_config_selectorIcNS0_10empty_typeEEEZZNS1_27merge_sort_block_merge_implIS3_PcPS5_jNS1_19radix_merge_compareILb0ELb0EcNS0_19identity_decomposerEEEEE10hipError_tT0_T1_T2_jT3_P12ihipStream_tbPNSt15iterator_traitsISE_E10value_typeEPNSK_ISF_E10value_typeEPSG_NS1_7vsmem_tEENKUlT_SE_SF_SG_E_clIS8_S8_S9_S9_EESD_ST_SE_SF_SG_EUlST_E_NS1_11comp_targetILNS1_3genE2ELNS1_11target_archE906ELNS1_3gpuE6ELNS1_3repE0EEENS1_48merge_mergepath_partition_config_static_selectorELNS0_4arch9wavefront6targetE1EEEvSF_
                                        ; -- End function
	.section	.AMDGPU.csdata,"",@progbits
; Kernel info:
; codeLenInByte = 0
; NumSgprs: 4
; NumVgprs: 0
; NumAgprs: 0
; TotalNumVgprs: 0
; ScratchSize: 0
; MemoryBound: 0
; FloatMode: 240
; IeeeMode: 1
; LDSByteSize: 0 bytes/workgroup (compile time only)
; SGPRBlocks: 0
; VGPRBlocks: 0
; NumSGPRsForWavesPerEU: 4
; NumVGPRsForWavesPerEU: 1
; AccumOffset: 4
; Occupancy: 8
; WaveLimiterHint : 0
; COMPUTE_PGM_RSRC2:SCRATCH_EN: 0
; COMPUTE_PGM_RSRC2:USER_SGPR: 6
; COMPUTE_PGM_RSRC2:TRAP_HANDLER: 0
; COMPUTE_PGM_RSRC2:TGID_X_EN: 1
; COMPUTE_PGM_RSRC2:TGID_Y_EN: 0
; COMPUTE_PGM_RSRC2:TGID_Z_EN: 0
; COMPUTE_PGM_RSRC2:TIDIG_COMP_CNT: 0
; COMPUTE_PGM_RSRC3_GFX90A:ACCUM_OFFSET: 0
; COMPUTE_PGM_RSRC3_GFX90A:TG_SPLIT: 0
	.section	.text._ZN7rocprim17ROCPRIM_400000_NS6detail17trampoline_kernelINS0_14default_configENS1_38merge_sort_block_merge_config_selectorIcNS0_10empty_typeEEEZZNS1_27merge_sort_block_merge_implIS3_PcPS5_jNS1_19radix_merge_compareILb0ELb0EcNS0_19identity_decomposerEEEEE10hipError_tT0_T1_T2_jT3_P12ihipStream_tbPNSt15iterator_traitsISE_E10value_typeEPNSK_ISF_E10value_typeEPSG_NS1_7vsmem_tEENKUlT_SE_SF_SG_E_clIS8_S8_S9_S9_EESD_ST_SE_SF_SG_EUlST_E_NS1_11comp_targetILNS1_3genE9ELNS1_11target_archE1100ELNS1_3gpuE3ELNS1_3repE0EEENS1_48merge_mergepath_partition_config_static_selectorELNS0_4arch9wavefront6targetE1EEEvSF_,"axG",@progbits,_ZN7rocprim17ROCPRIM_400000_NS6detail17trampoline_kernelINS0_14default_configENS1_38merge_sort_block_merge_config_selectorIcNS0_10empty_typeEEEZZNS1_27merge_sort_block_merge_implIS3_PcPS5_jNS1_19radix_merge_compareILb0ELb0EcNS0_19identity_decomposerEEEEE10hipError_tT0_T1_T2_jT3_P12ihipStream_tbPNSt15iterator_traitsISE_E10value_typeEPNSK_ISF_E10value_typeEPSG_NS1_7vsmem_tEENKUlT_SE_SF_SG_E_clIS8_S8_S9_S9_EESD_ST_SE_SF_SG_EUlST_E_NS1_11comp_targetILNS1_3genE9ELNS1_11target_archE1100ELNS1_3gpuE3ELNS1_3repE0EEENS1_48merge_mergepath_partition_config_static_selectorELNS0_4arch9wavefront6targetE1EEEvSF_,comdat
	.protected	_ZN7rocprim17ROCPRIM_400000_NS6detail17trampoline_kernelINS0_14default_configENS1_38merge_sort_block_merge_config_selectorIcNS0_10empty_typeEEEZZNS1_27merge_sort_block_merge_implIS3_PcPS5_jNS1_19radix_merge_compareILb0ELb0EcNS0_19identity_decomposerEEEEE10hipError_tT0_T1_T2_jT3_P12ihipStream_tbPNSt15iterator_traitsISE_E10value_typeEPNSK_ISF_E10value_typeEPSG_NS1_7vsmem_tEENKUlT_SE_SF_SG_E_clIS8_S8_S9_S9_EESD_ST_SE_SF_SG_EUlST_E_NS1_11comp_targetILNS1_3genE9ELNS1_11target_archE1100ELNS1_3gpuE3ELNS1_3repE0EEENS1_48merge_mergepath_partition_config_static_selectorELNS0_4arch9wavefront6targetE1EEEvSF_ ; -- Begin function _ZN7rocprim17ROCPRIM_400000_NS6detail17trampoline_kernelINS0_14default_configENS1_38merge_sort_block_merge_config_selectorIcNS0_10empty_typeEEEZZNS1_27merge_sort_block_merge_implIS3_PcPS5_jNS1_19radix_merge_compareILb0ELb0EcNS0_19identity_decomposerEEEEE10hipError_tT0_T1_T2_jT3_P12ihipStream_tbPNSt15iterator_traitsISE_E10value_typeEPNSK_ISF_E10value_typeEPSG_NS1_7vsmem_tEENKUlT_SE_SF_SG_E_clIS8_S8_S9_S9_EESD_ST_SE_SF_SG_EUlST_E_NS1_11comp_targetILNS1_3genE9ELNS1_11target_archE1100ELNS1_3gpuE3ELNS1_3repE0EEENS1_48merge_mergepath_partition_config_static_selectorELNS0_4arch9wavefront6targetE1EEEvSF_
	.globl	_ZN7rocprim17ROCPRIM_400000_NS6detail17trampoline_kernelINS0_14default_configENS1_38merge_sort_block_merge_config_selectorIcNS0_10empty_typeEEEZZNS1_27merge_sort_block_merge_implIS3_PcPS5_jNS1_19radix_merge_compareILb0ELb0EcNS0_19identity_decomposerEEEEE10hipError_tT0_T1_T2_jT3_P12ihipStream_tbPNSt15iterator_traitsISE_E10value_typeEPNSK_ISF_E10value_typeEPSG_NS1_7vsmem_tEENKUlT_SE_SF_SG_E_clIS8_S8_S9_S9_EESD_ST_SE_SF_SG_EUlST_E_NS1_11comp_targetILNS1_3genE9ELNS1_11target_archE1100ELNS1_3gpuE3ELNS1_3repE0EEENS1_48merge_mergepath_partition_config_static_selectorELNS0_4arch9wavefront6targetE1EEEvSF_
	.p2align	8
	.type	_ZN7rocprim17ROCPRIM_400000_NS6detail17trampoline_kernelINS0_14default_configENS1_38merge_sort_block_merge_config_selectorIcNS0_10empty_typeEEEZZNS1_27merge_sort_block_merge_implIS3_PcPS5_jNS1_19radix_merge_compareILb0ELb0EcNS0_19identity_decomposerEEEEE10hipError_tT0_T1_T2_jT3_P12ihipStream_tbPNSt15iterator_traitsISE_E10value_typeEPNSK_ISF_E10value_typeEPSG_NS1_7vsmem_tEENKUlT_SE_SF_SG_E_clIS8_S8_S9_S9_EESD_ST_SE_SF_SG_EUlST_E_NS1_11comp_targetILNS1_3genE9ELNS1_11target_archE1100ELNS1_3gpuE3ELNS1_3repE0EEENS1_48merge_mergepath_partition_config_static_selectorELNS0_4arch9wavefront6targetE1EEEvSF_,@function
_ZN7rocprim17ROCPRIM_400000_NS6detail17trampoline_kernelINS0_14default_configENS1_38merge_sort_block_merge_config_selectorIcNS0_10empty_typeEEEZZNS1_27merge_sort_block_merge_implIS3_PcPS5_jNS1_19radix_merge_compareILb0ELb0EcNS0_19identity_decomposerEEEEE10hipError_tT0_T1_T2_jT3_P12ihipStream_tbPNSt15iterator_traitsISE_E10value_typeEPNSK_ISF_E10value_typeEPSG_NS1_7vsmem_tEENKUlT_SE_SF_SG_E_clIS8_S8_S9_S9_EESD_ST_SE_SF_SG_EUlST_E_NS1_11comp_targetILNS1_3genE9ELNS1_11target_archE1100ELNS1_3gpuE3ELNS1_3repE0EEENS1_48merge_mergepath_partition_config_static_selectorELNS0_4arch9wavefront6targetE1EEEvSF_: ; @_ZN7rocprim17ROCPRIM_400000_NS6detail17trampoline_kernelINS0_14default_configENS1_38merge_sort_block_merge_config_selectorIcNS0_10empty_typeEEEZZNS1_27merge_sort_block_merge_implIS3_PcPS5_jNS1_19radix_merge_compareILb0ELb0EcNS0_19identity_decomposerEEEEE10hipError_tT0_T1_T2_jT3_P12ihipStream_tbPNSt15iterator_traitsISE_E10value_typeEPNSK_ISF_E10value_typeEPSG_NS1_7vsmem_tEENKUlT_SE_SF_SG_E_clIS8_S8_S9_S9_EESD_ST_SE_SF_SG_EUlST_E_NS1_11comp_targetILNS1_3genE9ELNS1_11target_archE1100ELNS1_3gpuE3ELNS1_3repE0EEENS1_48merge_mergepath_partition_config_static_selectorELNS0_4arch9wavefront6targetE1EEEvSF_
; %bb.0:
	.section	.rodata,"a",@progbits
	.p2align	6, 0x0
	.amdhsa_kernel _ZN7rocprim17ROCPRIM_400000_NS6detail17trampoline_kernelINS0_14default_configENS1_38merge_sort_block_merge_config_selectorIcNS0_10empty_typeEEEZZNS1_27merge_sort_block_merge_implIS3_PcPS5_jNS1_19radix_merge_compareILb0ELb0EcNS0_19identity_decomposerEEEEE10hipError_tT0_T1_T2_jT3_P12ihipStream_tbPNSt15iterator_traitsISE_E10value_typeEPNSK_ISF_E10value_typeEPSG_NS1_7vsmem_tEENKUlT_SE_SF_SG_E_clIS8_S8_S9_S9_EESD_ST_SE_SF_SG_EUlST_E_NS1_11comp_targetILNS1_3genE9ELNS1_11target_archE1100ELNS1_3gpuE3ELNS1_3repE0EEENS1_48merge_mergepath_partition_config_static_selectorELNS0_4arch9wavefront6targetE1EEEvSF_
		.amdhsa_group_segment_fixed_size 0
		.amdhsa_private_segment_fixed_size 0
		.amdhsa_kernarg_size 40
		.amdhsa_user_sgpr_count 6
		.amdhsa_user_sgpr_private_segment_buffer 1
		.amdhsa_user_sgpr_dispatch_ptr 0
		.amdhsa_user_sgpr_queue_ptr 0
		.amdhsa_user_sgpr_kernarg_segment_ptr 1
		.amdhsa_user_sgpr_dispatch_id 0
		.amdhsa_user_sgpr_flat_scratch_init 0
		.amdhsa_user_sgpr_kernarg_preload_length 0
		.amdhsa_user_sgpr_kernarg_preload_offset 0
		.amdhsa_user_sgpr_private_segment_size 0
		.amdhsa_uses_dynamic_stack 0
		.amdhsa_system_sgpr_private_segment_wavefront_offset 0
		.amdhsa_system_sgpr_workgroup_id_x 1
		.amdhsa_system_sgpr_workgroup_id_y 0
		.amdhsa_system_sgpr_workgroup_id_z 0
		.amdhsa_system_sgpr_workgroup_info 0
		.amdhsa_system_vgpr_workitem_id 0
		.amdhsa_next_free_vgpr 1
		.amdhsa_next_free_sgpr 0
		.amdhsa_accum_offset 4
		.amdhsa_reserve_vcc 0
		.amdhsa_reserve_flat_scratch 0
		.amdhsa_float_round_mode_32 0
		.amdhsa_float_round_mode_16_64 0
		.amdhsa_float_denorm_mode_32 3
		.amdhsa_float_denorm_mode_16_64 3
		.amdhsa_dx10_clamp 1
		.amdhsa_ieee_mode 1
		.amdhsa_fp16_overflow 0
		.amdhsa_tg_split 0
		.amdhsa_exception_fp_ieee_invalid_op 0
		.amdhsa_exception_fp_denorm_src 0
		.amdhsa_exception_fp_ieee_div_zero 0
		.amdhsa_exception_fp_ieee_overflow 0
		.amdhsa_exception_fp_ieee_underflow 0
		.amdhsa_exception_fp_ieee_inexact 0
		.amdhsa_exception_int_div_zero 0
	.end_amdhsa_kernel
	.section	.text._ZN7rocprim17ROCPRIM_400000_NS6detail17trampoline_kernelINS0_14default_configENS1_38merge_sort_block_merge_config_selectorIcNS0_10empty_typeEEEZZNS1_27merge_sort_block_merge_implIS3_PcPS5_jNS1_19radix_merge_compareILb0ELb0EcNS0_19identity_decomposerEEEEE10hipError_tT0_T1_T2_jT3_P12ihipStream_tbPNSt15iterator_traitsISE_E10value_typeEPNSK_ISF_E10value_typeEPSG_NS1_7vsmem_tEENKUlT_SE_SF_SG_E_clIS8_S8_S9_S9_EESD_ST_SE_SF_SG_EUlST_E_NS1_11comp_targetILNS1_3genE9ELNS1_11target_archE1100ELNS1_3gpuE3ELNS1_3repE0EEENS1_48merge_mergepath_partition_config_static_selectorELNS0_4arch9wavefront6targetE1EEEvSF_,"axG",@progbits,_ZN7rocprim17ROCPRIM_400000_NS6detail17trampoline_kernelINS0_14default_configENS1_38merge_sort_block_merge_config_selectorIcNS0_10empty_typeEEEZZNS1_27merge_sort_block_merge_implIS3_PcPS5_jNS1_19radix_merge_compareILb0ELb0EcNS0_19identity_decomposerEEEEE10hipError_tT0_T1_T2_jT3_P12ihipStream_tbPNSt15iterator_traitsISE_E10value_typeEPNSK_ISF_E10value_typeEPSG_NS1_7vsmem_tEENKUlT_SE_SF_SG_E_clIS8_S8_S9_S9_EESD_ST_SE_SF_SG_EUlST_E_NS1_11comp_targetILNS1_3genE9ELNS1_11target_archE1100ELNS1_3gpuE3ELNS1_3repE0EEENS1_48merge_mergepath_partition_config_static_selectorELNS0_4arch9wavefront6targetE1EEEvSF_,comdat
.Lfunc_end24:
	.size	_ZN7rocprim17ROCPRIM_400000_NS6detail17trampoline_kernelINS0_14default_configENS1_38merge_sort_block_merge_config_selectorIcNS0_10empty_typeEEEZZNS1_27merge_sort_block_merge_implIS3_PcPS5_jNS1_19radix_merge_compareILb0ELb0EcNS0_19identity_decomposerEEEEE10hipError_tT0_T1_T2_jT3_P12ihipStream_tbPNSt15iterator_traitsISE_E10value_typeEPNSK_ISF_E10value_typeEPSG_NS1_7vsmem_tEENKUlT_SE_SF_SG_E_clIS8_S8_S9_S9_EESD_ST_SE_SF_SG_EUlST_E_NS1_11comp_targetILNS1_3genE9ELNS1_11target_archE1100ELNS1_3gpuE3ELNS1_3repE0EEENS1_48merge_mergepath_partition_config_static_selectorELNS0_4arch9wavefront6targetE1EEEvSF_, .Lfunc_end24-_ZN7rocprim17ROCPRIM_400000_NS6detail17trampoline_kernelINS0_14default_configENS1_38merge_sort_block_merge_config_selectorIcNS0_10empty_typeEEEZZNS1_27merge_sort_block_merge_implIS3_PcPS5_jNS1_19radix_merge_compareILb0ELb0EcNS0_19identity_decomposerEEEEE10hipError_tT0_T1_T2_jT3_P12ihipStream_tbPNSt15iterator_traitsISE_E10value_typeEPNSK_ISF_E10value_typeEPSG_NS1_7vsmem_tEENKUlT_SE_SF_SG_E_clIS8_S8_S9_S9_EESD_ST_SE_SF_SG_EUlST_E_NS1_11comp_targetILNS1_3genE9ELNS1_11target_archE1100ELNS1_3gpuE3ELNS1_3repE0EEENS1_48merge_mergepath_partition_config_static_selectorELNS0_4arch9wavefront6targetE1EEEvSF_
                                        ; -- End function
	.section	.AMDGPU.csdata,"",@progbits
; Kernel info:
; codeLenInByte = 0
; NumSgprs: 4
; NumVgprs: 0
; NumAgprs: 0
; TotalNumVgprs: 0
; ScratchSize: 0
; MemoryBound: 0
; FloatMode: 240
; IeeeMode: 1
; LDSByteSize: 0 bytes/workgroup (compile time only)
; SGPRBlocks: 0
; VGPRBlocks: 0
; NumSGPRsForWavesPerEU: 4
; NumVGPRsForWavesPerEU: 1
; AccumOffset: 4
; Occupancy: 8
; WaveLimiterHint : 0
; COMPUTE_PGM_RSRC2:SCRATCH_EN: 0
; COMPUTE_PGM_RSRC2:USER_SGPR: 6
; COMPUTE_PGM_RSRC2:TRAP_HANDLER: 0
; COMPUTE_PGM_RSRC2:TGID_X_EN: 1
; COMPUTE_PGM_RSRC2:TGID_Y_EN: 0
; COMPUTE_PGM_RSRC2:TGID_Z_EN: 0
; COMPUTE_PGM_RSRC2:TIDIG_COMP_CNT: 0
; COMPUTE_PGM_RSRC3_GFX90A:ACCUM_OFFSET: 0
; COMPUTE_PGM_RSRC3_GFX90A:TG_SPLIT: 0
	.section	.text._ZN7rocprim17ROCPRIM_400000_NS6detail17trampoline_kernelINS0_14default_configENS1_38merge_sort_block_merge_config_selectorIcNS0_10empty_typeEEEZZNS1_27merge_sort_block_merge_implIS3_PcPS5_jNS1_19radix_merge_compareILb0ELb0EcNS0_19identity_decomposerEEEEE10hipError_tT0_T1_T2_jT3_P12ihipStream_tbPNSt15iterator_traitsISE_E10value_typeEPNSK_ISF_E10value_typeEPSG_NS1_7vsmem_tEENKUlT_SE_SF_SG_E_clIS8_S8_S9_S9_EESD_ST_SE_SF_SG_EUlST_E_NS1_11comp_targetILNS1_3genE8ELNS1_11target_archE1030ELNS1_3gpuE2ELNS1_3repE0EEENS1_48merge_mergepath_partition_config_static_selectorELNS0_4arch9wavefront6targetE1EEEvSF_,"axG",@progbits,_ZN7rocprim17ROCPRIM_400000_NS6detail17trampoline_kernelINS0_14default_configENS1_38merge_sort_block_merge_config_selectorIcNS0_10empty_typeEEEZZNS1_27merge_sort_block_merge_implIS3_PcPS5_jNS1_19radix_merge_compareILb0ELb0EcNS0_19identity_decomposerEEEEE10hipError_tT0_T1_T2_jT3_P12ihipStream_tbPNSt15iterator_traitsISE_E10value_typeEPNSK_ISF_E10value_typeEPSG_NS1_7vsmem_tEENKUlT_SE_SF_SG_E_clIS8_S8_S9_S9_EESD_ST_SE_SF_SG_EUlST_E_NS1_11comp_targetILNS1_3genE8ELNS1_11target_archE1030ELNS1_3gpuE2ELNS1_3repE0EEENS1_48merge_mergepath_partition_config_static_selectorELNS0_4arch9wavefront6targetE1EEEvSF_,comdat
	.protected	_ZN7rocprim17ROCPRIM_400000_NS6detail17trampoline_kernelINS0_14default_configENS1_38merge_sort_block_merge_config_selectorIcNS0_10empty_typeEEEZZNS1_27merge_sort_block_merge_implIS3_PcPS5_jNS1_19radix_merge_compareILb0ELb0EcNS0_19identity_decomposerEEEEE10hipError_tT0_T1_T2_jT3_P12ihipStream_tbPNSt15iterator_traitsISE_E10value_typeEPNSK_ISF_E10value_typeEPSG_NS1_7vsmem_tEENKUlT_SE_SF_SG_E_clIS8_S8_S9_S9_EESD_ST_SE_SF_SG_EUlST_E_NS1_11comp_targetILNS1_3genE8ELNS1_11target_archE1030ELNS1_3gpuE2ELNS1_3repE0EEENS1_48merge_mergepath_partition_config_static_selectorELNS0_4arch9wavefront6targetE1EEEvSF_ ; -- Begin function _ZN7rocprim17ROCPRIM_400000_NS6detail17trampoline_kernelINS0_14default_configENS1_38merge_sort_block_merge_config_selectorIcNS0_10empty_typeEEEZZNS1_27merge_sort_block_merge_implIS3_PcPS5_jNS1_19radix_merge_compareILb0ELb0EcNS0_19identity_decomposerEEEEE10hipError_tT0_T1_T2_jT3_P12ihipStream_tbPNSt15iterator_traitsISE_E10value_typeEPNSK_ISF_E10value_typeEPSG_NS1_7vsmem_tEENKUlT_SE_SF_SG_E_clIS8_S8_S9_S9_EESD_ST_SE_SF_SG_EUlST_E_NS1_11comp_targetILNS1_3genE8ELNS1_11target_archE1030ELNS1_3gpuE2ELNS1_3repE0EEENS1_48merge_mergepath_partition_config_static_selectorELNS0_4arch9wavefront6targetE1EEEvSF_
	.globl	_ZN7rocprim17ROCPRIM_400000_NS6detail17trampoline_kernelINS0_14default_configENS1_38merge_sort_block_merge_config_selectorIcNS0_10empty_typeEEEZZNS1_27merge_sort_block_merge_implIS3_PcPS5_jNS1_19radix_merge_compareILb0ELb0EcNS0_19identity_decomposerEEEEE10hipError_tT0_T1_T2_jT3_P12ihipStream_tbPNSt15iterator_traitsISE_E10value_typeEPNSK_ISF_E10value_typeEPSG_NS1_7vsmem_tEENKUlT_SE_SF_SG_E_clIS8_S8_S9_S9_EESD_ST_SE_SF_SG_EUlST_E_NS1_11comp_targetILNS1_3genE8ELNS1_11target_archE1030ELNS1_3gpuE2ELNS1_3repE0EEENS1_48merge_mergepath_partition_config_static_selectorELNS0_4arch9wavefront6targetE1EEEvSF_
	.p2align	8
	.type	_ZN7rocprim17ROCPRIM_400000_NS6detail17trampoline_kernelINS0_14default_configENS1_38merge_sort_block_merge_config_selectorIcNS0_10empty_typeEEEZZNS1_27merge_sort_block_merge_implIS3_PcPS5_jNS1_19radix_merge_compareILb0ELb0EcNS0_19identity_decomposerEEEEE10hipError_tT0_T1_T2_jT3_P12ihipStream_tbPNSt15iterator_traitsISE_E10value_typeEPNSK_ISF_E10value_typeEPSG_NS1_7vsmem_tEENKUlT_SE_SF_SG_E_clIS8_S8_S9_S9_EESD_ST_SE_SF_SG_EUlST_E_NS1_11comp_targetILNS1_3genE8ELNS1_11target_archE1030ELNS1_3gpuE2ELNS1_3repE0EEENS1_48merge_mergepath_partition_config_static_selectorELNS0_4arch9wavefront6targetE1EEEvSF_,@function
_ZN7rocprim17ROCPRIM_400000_NS6detail17trampoline_kernelINS0_14default_configENS1_38merge_sort_block_merge_config_selectorIcNS0_10empty_typeEEEZZNS1_27merge_sort_block_merge_implIS3_PcPS5_jNS1_19radix_merge_compareILb0ELb0EcNS0_19identity_decomposerEEEEE10hipError_tT0_T1_T2_jT3_P12ihipStream_tbPNSt15iterator_traitsISE_E10value_typeEPNSK_ISF_E10value_typeEPSG_NS1_7vsmem_tEENKUlT_SE_SF_SG_E_clIS8_S8_S9_S9_EESD_ST_SE_SF_SG_EUlST_E_NS1_11comp_targetILNS1_3genE8ELNS1_11target_archE1030ELNS1_3gpuE2ELNS1_3repE0EEENS1_48merge_mergepath_partition_config_static_selectorELNS0_4arch9wavefront6targetE1EEEvSF_: ; @_ZN7rocprim17ROCPRIM_400000_NS6detail17trampoline_kernelINS0_14default_configENS1_38merge_sort_block_merge_config_selectorIcNS0_10empty_typeEEEZZNS1_27merge_sort_block_merge_implIS3_PcPS5_jNS1_19radix_merge_compareILb0ELb0EcNS0_19identity_decomposerEEEEE10hipError_tT0_T1_T2_jT3_P12ihipStream_tbPNSt15iterator_traitsISE_E10value_typeEPNSK_ISF_E10value_typeEPSG_NS1_7vsmem_tEENKUlT_SE_SF_SG_E_clIS8_S8_S9_S9_EESD_ST_SE_SF_SG_EUlST_E_NS1_11comp_targetILNS1_3genE8ELNS1_11target_archE1030ELNS1_3gpuE2ELNS1_3repE0EEENS1_48merge_mergepath_partition_config_static_selectorELNS0_4arch9wavefront6targetE1EEEvSF_
; %bb.0:
	.section	.rodata,"a",@progbits
	.p2align	6, 0x0
	.amdhsa_kernel _ZN7rocprim17ROCPRIM_400000_NS6detail17trampoline_kernelINS0_14default_configENS1_38merge_sort_block_merge_config_selectorIcNS0_10empty_typeEEEZZNS1_27merge_sort_block_merge_implIS3_PcPS5_jNS1_19radix_merge_compareILb0ELb0EcNS0_19identity_decomposerEEEEE10hipError_tT0_T1_T2_jT3_P12ihipStream_tbPNSt15iterator_traitsISE_E10value_typeEPNSK_ISF_E10value_typeEPSG_NS1_7vsmem_tEENKUlT_SE_SF_SG_E_clIS8_S8_S9_S9_EESD_ST_SE_SF_SG_EUlST_E_NS1_11comp_targetILNS1_3genE8ELNS1_11target_archE1030ELNS1_3gpuE2ELNS1_3repE0EEENS1_48merge_mergepath_partition_config_static_selectorELNS0_4arch9wavefront6targetE1EEEvSF_
		.amdhsa_group_segment_fixed_size 0
		.amdhsa_private_segment_fixed_size 0
		.amdhsa_kernarg_size 40
		.amdhsa_user_sgpr_count 6
		.amdhsa_user_sgpr_private_segment_buffer 1
		.amdhsa_user_sgpr_dispatch_ptr 0
		.amdhsa_user_sgpr_queue_ptr 0
		.amdhsa_user_sgpr_kernarg_segment_ptr 1
		.amdhsa_user_sgpr_dispatch_id 0
		.amdhsa_user_sgpr_flat_scratch_init 0
		.amdhsa_user_sgpr_kernarg_preload_length 0
		.amdhsa_user_sgpr_kernarg_preload_offset 0
		.amdhsa_user_sgpr_private_segment_size 0
		.amdhsa_uses_dynamic_stack 0
		.amdhsa_system_sgpr_private_segment_wavefront_offset 0
		.amdhsa_system_sgpr_workgroup_id_x 1
		.amdhsa_system_sgpr_workgroup_id_y 0
		.amdhsa_system_sgpr_workgroup_id_z 0
		.amdhsa_system_sgpr_workgroup_info 0
		.amdhsa_system_vgpr_workitem_id 0
		.amdhsa_next_free_vgpr 1
		.amdhsa_next_free_sgpr 0
		.amdhsa_accum_offset 4
		.amdhsa_reserve_vcc 0
		.amdhsa_reserve_flat_scratch 0
		.amdhsa_float_round_mode_32 0
		.amdhsa_float_round_mode_16_64 0
		.amdhsa_float_denorm_mode_32 3
		.amdhsa_float_denorm_mode_16_64 3
		.amdhsa_dx10_clamp 1
		.amdhsa_ieee_mode 1
		.amdhsa_fp16_overflow 0
		.amdhsa_tg_split 0
		.amdhsa_exception_fp_ieee_invalid_op 0
		.amdhsa_exception_fp_denorm_src 0
		.amdhsa_exception_fp_ieee_div_zero 0
		.amdhsa_exception_fp_ieee_overflow 0
		.amdhsa_exception_fp_ieee_underflow 0
		.amdhsa_exception_fp_ieee_inexact 0
		.amdhsa_exception_int_div_zero 0
	.end_amdhsa_kernel
	.section	.text._ZN7rocprim17ROCPRIM_400000_NS6detail17trampoline_kernelINS0_14default_configENS1_38merge_sort_block_merge_config_selectorIcNS0_10empty_typeEEEZZNS1_27merge_sort_block_merge_implIS3_PcPS5_jNS1_19radix_merge_compareILb0ELb0EcNS0_19identity_decomposerEEEEE10hipError_tT0_T1_T2_jT3_P12ihipStream_tbPNSt15iterator_traitsISE_E10value_typeEPNSK_ISF_E10value_typeEPSG_NS1_7vsmem_tEENKUlT_SE_SF_SG_E_clIS8_S8_S9_S9_EESD_ST_SE_SF_SG_EUlST_E_NS1_11comp_targetILNS1_3genE8ELNS1_11target_archE1030ELNS1_3gpuE2ELNS1_3repE0EEENS1_48merge_mergepath_partition_config_static_selectorELNS0_4arch9wavefront6targetE1EEEvSF_,"axG",@progbits,_ZN7rocprim17ROCPRIM_400000_NS6detail17trampoline_kernelINS0_14default_configENS1_38merge_sort_block_merge_config_selectorIcNS0_10empty_typeEEEZZNS1_27merge_sort_block_merge_implIS3_PcPS5_jNS1_19radix_merge_compareILb0ELb0EcNS0_19identity_decomposerEEEEE10hipError_tT0_T1_T2_jT3_P12ihipStream_tbPNSt15iterator_traitsISE_E10value_typeEPNSK_ISF_E10value_typeEPSG_NS1_7vsmem_tEENKUlT_SE_SF_SG_E_clIS8_S8_S9_S9_EESD_ST_SE_SF_SG_EUlST_E_NS1_11comp_targetILNS1_3genE8ELNS1_11target_archE1030ELNS1_3gpuE2ELNS1_3repE0EEENS1_48merge_mergepath_partition_config_static_selectorELNS0_4arch9wavefront6targetE1EEEvSF_,comdat
.Lfunc_end25:
	.size	_ZN7rocprim17ROCPRIM_400000_NS6detail17trampoline_kernelINS0_14default_configENS1_38merge_sort_block_merge_config_selectorIcNS0_10empty_typeEEEZZNS1_27merge_sort_block_merge_implIS3_PcPS5_jNS1_19radix_merge_compareILb0ELb0EcNS0_19identity_decomposerEEEEE10hipError_tT0_T1_T2_jT3_P12ihipStream_tbPNSt15iterator_traitsISE_E10value_typeEPNSK_ISF_E10value_typeEPSG_NS1_7vsmem_tEENKUlT_SE_SF_SG_E_clIS8_S8_S9_S9_EESD_ST_SE_SF_SG_EUlST_E_NS1_11comp_targetILNS1_3genE8ELNS1_11target_archE1030ELNS1_3gpuE2ELNS1_3repE0EEENS1_48merge_mergepath_partition_config_static_selectorELNS0_4arch9wavefront6targetE1EEEvSF_, .Lfunc_end25-_ZN7rocprim17ROCPRIM_400000_NS6detail17trampoline_kernelINS0_14default_configENS1_38merge_sort_block_merge_config_selectorIcNS0_10empty_typeEEEZZNS1_27merge_sort_block_merge_implIS3_PcPS5_jNS1_19radix_merge_compareILb0ELb0EcNS0_19identity_decomposerEEEEE10hipError_tT0_T1_T2_jT3_P12ihipStream_tbPNSt15iterator_traitsISE_E10value_typeEPNSK_ISF_E10value_typeEPSG_NS1_7vsmem_tEENKUlT_SE_SF_SG_E_clIS8_S8_S9_S9_EESD_ST_SE_SF_SG_EUlST_E_NS1_11comp_targetILNS1_3genE8ELNS1_11target_archE1030ELNS1_3gpuE2ELNS1_3repE0EEENS1_48merge_mergepath_partition_config_static_selectorELNS0_4arch9wavefront6targetE1EEEvSF_
                                        ; -- End function
	.section	.AMDGPU.csdata,"",@progbits
; Kernel info:
; codeLenInByte = 0
; NumSgprs: 4
; NumVgprs: 0
; NumAgprs: 0
; TotalNumVgprs: 0
; ScratchSize: 0
; MemoryBound: 0
; FloatMode: 240
; IeeeMode: 1
; LDSByteSize: 0 bytes/workgroup (compile time only)
; SGPRBlocks: 0
; VGPRBlocks: 0
; NumSGPRsForWavesPerEU: 4
; NumVGPRsForWavesPerEU: 1
; AccumOffset: 4
; Occupancy: 8
; WaveLimiterHint : 0
; COMPUTE_PGM_RSRC2:SCRATCH_EN: 0
; COMPUTE_PGM_RSRC2:USER_SGPR: 6
; COMPUTE_PGM_RSRC2:TRAP_HANDLER: 0
; COMPUTE_PGM_RSRC2:TGID_X_EN: 1
; COMPUTE_PGM_RSRC2:TGID_Y_EN: 0
; COMPUTE_PGM_RSRC2:TGID_Z_EN: 0
; COMPUTE_PGM_RSRC2:TIDIG_COMP_CNT: 0
; COMPUTE_PGM_RSRC3_GFX90A:ACCUM_OFFSET: 0
; COMPUTE_PGM_RSRC3_GFX90A:TG_SPLIT: 0
	.section	.text._ZN7rocprim17ROCPRIM_400000_NS6detail17trampoline_kernelINS0_14default_configENS1_38merge_sort_block_merge_config_selectorIcNS0_10empty_typeEEEZZNS1_27merge_sort_block_merge_implIS3_PcPS5_jNS1_19radix_merge_compareILb0ELb0EcNS0_19identity_decomposerEEEEE10hipError_tT0_T1_T2_jT3_P12ihipStream_tbPNSt15iterator_traitsISE_E10value_typeEPNSK_ISF_E10value_typeEPSG_NS1_7vsmem_tEENKUlT_SE_SF_SG_E_clIS8_S8_S9_S9_EESD_ST_SE_SF_SG_EUlST_E0_NS1_11comp_targetILNS1_3genE0ELNS1_11target_archE4294967295ELNS1_3gpuE0ELNS1_3repE0EEENS1_38merge_mergepath_config_static_selectorELNS0_4arch9wavefront6targetE1EEEvSF_,"axG",@progbits,_ZN7rocprim17ROCPRIM_400000_NS6detail17trampoline_kernelINS0_14default_configENS1_38merge_sort_block_merge_config_selectorIcNS0_10empty_typeEEEZZNS1_27merge_sort_block_merge_implIS3_PcPS5_jNS1_19radix_merge_compareILb0ELb0EcNS0_19identity_decomposerEEEEE10hipError_tT0_T1_T2_jT3_P12ihipStream_tbPNSt15iterator_traitsISE_E10value_typeEPNSK_ISF_E10value_typeEPSG_NS1_7vsmem_tEENKUlT_SE_SF_SG_E_clIS8_S8_S9_S9_EESD_ST_SE_SF_SG_EUlST_E0_NS1_11comp_targetILNS1_3genE0ELNS1_11target_archE4294967295ELNS1_3gpuE0ELNS1_3repE0EEENS1_38merge_mergepath_config_static_selectorELNS0_4arch9wavefront6targetE1EEEvSF_,comdat
	.protected	_ZN7rocprim17ROCPRIM_400000_NS6detail17trampoline_kernelINS0_14default_configENS1_38merge_sort_block_merge_config_selectorIcNS0_10empty_typeEEEZZNS1_27merge_sort_block_merge_implIS3_PcPS5_jNS1_19radix_merge_compareILb0ELb0EcNS0_19identity_decomposerEEEEE10hipError_tT0_T1_T2_jT3_P12ihipStream_tbPNSt15iterator_traitsISE_E10value_typeEPNSK_ISF_E10value_typeEPSG_NS1_7vsmem_tEENKUlT_SE_SF_SG_E_clIS8_S8_S9_S9_EESD_ST_SE_SF_SG_EUlST_E0_NS1_11comp_targetILNS1_3genE0ELNS1_11target_archE4294967295ELNS1_3gpuE0ELNS1_3repE0EEENS1_38merge_mergepath_config_static_selectorELNS0_4arch9wavefront6targetE1EEEvSF_ ; -- Begin function _ZN7rocprim17ROCPRIM_400000_NS6detail17trampoline_kernelINS0_14default_configENS1_38merge_sort_block_merge_config_selectorIcNS0_10empty_typeEEEZZNS1_27merge_sort_block_merge_implIS3_PcPS5_jNS1_19radix_merge_compareILb0ELb0EcNS0_19identity_decomposerEEEEE10hipError_tT0_T1_T2_jT3_P12ihipStream_tbPNSt15iterator_traitsISE_E10value_typeEPNSK_ISF_E10value_typeEPSG_NS1_7vsmem_tEENKUlT_SE_SF_SG_E_clIS8_S8_S9_S9_EESD_ST_SE_SF_SG_EUlST_E0_NS1_11comp_targetILNS1_3genE0ELNS1_11target_archE4294967295ELNS1_3gpuE0ELNS1_3repE0EEENS1_38merge_mergepath_config_static_selectorELNS0_4arch9wavefront6targetE1EEEvSF_
	.globl	_ZN7rocprim17ROCPRIM_400000_NS6detail17trampoline_kernelINS0_14default_configENS1_38merge_sort_block_merge_config_selectorIcNS0_10empty_typeEEEZZNS1_27merge_sort_block_merge_implIS3_PcPS5_jNS1_19radix_merge_compareILb0ELb0EcNS0_19identity_decomposerEEEEE10hipError_tT0_T1_T2_jT3_P12ihipStream_tbPNSt15iterator_traitsISE_E10value_typeEPNSK_ISF_E10value_typeEPSG_NS1_7vsmem_tEENKUlT_SE_SF_SG_E_clIS8_S8_S9_S9_EESD_ST_SE_SF_SG_EUlST_E0_NS1_11comp_targetILNS1_3genE0ELNS1_11target_archE4294967295ELNS1_3gpuE0ELNS1_3repE0EEENS1_38merge_mergepath_config_static_selectorELNS0_4arch9wavefront6targetE1EEEvSF_
	.p2align	8
	.type	_ZN7rocprim17ROCPRIM_400000_NS6detail17trampoline_kernelINS0_14default_configENS1_38merge_sort_block_merge_config_selectorIcNS0_10empty_typeEEEZZNS1_27merge_sort_block_merge_implIS3_PcPS5_jNS1_19radix_merge_compareILb0ELb0EcNS0_19identity_decomposerEEEEE10hipError_tT0_T1_T2_jT3_P12ihipStream_tbPNSt15iterator_traitsISE_E10value_typeEPNSK_ISF_E10value_typeEPSG_NS1_7vsmem_tEENKUlT_SE_SF_SG_E_clIS8_S8_S9_S9_EESD_ST_SE_SF_SG_EUlST_E0_NS1_11comp_targetILNS1_3genE0ELNS1_11target_archE4294967295ELNS1_3gpuE0ELNS1_3repE0EEENS1_38merge_mergepath_config_static_selectorELNS0_4arch9wavefront6targetE1EEEvSF_,@function
_ZN7rocprim17ROCPRIM_400000_NS6detail17trampoline_kernelINS0_14default_configENS1_38merge_sort_block_merge_config_selectorIcNS0_10empty_typeEEEZZNS1_27merge_sort_block_merge_implIS3_PcPS5_jNS1_19radix_merge_compareILb0ELb0EcNS0_19identity_decomposerEEEEE10hipError_tT0_T1_T2_jT3_P12ihipStream_tbPNSt15iterator_traitsISE_E10value_typeEPNSK_ISF_E10value_typeEPSG_NS1_7vsmem_tEENKUlT_SE_SF_SG_E_clIS8_S8_S9_S9_EESD_ST_SE_SF_SG_EUlST_E0_NS1_11comp_targetILNS1_3genE0ELNS1_11target_archE4294967295ELNS1_3gpuE0ELNS1_3repE0EEENS1_38merge_mergepath_config_static_selectorELNS0_4arch9wavefront6targetE1EEEvSF_: ; @_ZN7rocprim17ROCPRIM_400000_NS6detail17trampoline_kernelINS0_14default_configENS1_38merge_sort_block_merge_config_selectorIcNS0_10empty_typeEEEZZNS1_27merge_sort_block_merge_implIS3_PcPS5_jNS1_19radix_merge_compareILb0ELb0EcNS0_19identity_decomposerEEEEE10hipError_tT0_T1_T2_jT3_P12ihipStream_tbPNSt15iterator_traitsISE_E10value_typeEPNSK_ISF_E10value_typeEPSG_NS1_7vsmem_tEENKUlT_SE_SF_SG_E_clIS8_S8_S9_S9_EESD_ST_SE_SF_SG_EUlST_E0_NS1_11comp_targetILNS1_3genE0ELNS1_11target_archE4294967295ELNS1_3gpuE0ELNS1_3repE0EEENS1_38merge_mergepath_config_static_selectorELNS0_4arch9wavefront6targetE1EEEvSF_
; %bb.0:
	.section	.rodata,"a",@progbits
	.p2align	6, 0x0
	.amdhsa_kernel _ZN7rocprim17ROCPRIM_400000_NS6detail17trampoline_kernelINS0_14default_configENS1_38merge_sort_block_merge_config_selectorIcNS0_10empty_typeEEEZZNS1_27merge_sort_block_merge_implIS3_PcPS5_jNS1_19radix_merge_compareILb0ELb0EcNS0_19identity_decomposerEEEEE10hipError_tT0_T1_T2_jT3_P12ihipStream_tbPNSt15iterator_traitsISE_E10value_typeEPNSK_ISF_E10value_typeEPSG_NS1_7vsmem_tEENKUlT_SE_SF_SG_E_clIS8_S8_S9_S9_EESD_ST_SE_SF_SG_EUlST_E0_NS1_11comp_targetILNS1_3genE0ELNS1_11target_archE4294967295ELNS1_3gpuE0ELNS1_3repE0EEENS1_38merge_mergepath_config_static_selectorELNS0_4arch9wavefront6targetE1EEEvSF_
		.amdhsa_group_segment_fixed_size 0
		.amdhsa_private_segment_fixed_size 0
		.amdhsa_kernarg_size 64
		.amdhsa_user_sgpr_count 6
		.amdhsa_user_sgpr_private_segment_buffer 1
		.amdhsa_user_sgpr_dispatch_ptr 0
		.amdhsa_user_sgpr_queue_ptr 0
		.amdhsa_user_sgpr_kernarg_segment_ptr 1
		.amdhsa_user_sgpr_dispatch_id 0
		.amdhsa_user_sgpr_flat_scratch_init 0
		.amdhsa_user_sgpr_kernarg_preload_length 0
		.amdhsa_user_sgpr_kernarg_preload_offset 0
		.amdhsa_user_sgpr_private_segment_size 0
		.amdhsa_uses_dynamic_stack 0
		.amdhsa_system_sgpr_private_segment_wavefront_offset 0
		.amdhsa_system_sgpr_workgroup_id_x 1
		.amdhsa_system_sgpr_workgroup_id_y 0
		.amdhsa_system_sgpr_workgroup_id_z 0
		.amdhsa_system_sgpr_workgroup_info 0
		.amdhsa_system_vgpr_workitem_id 0
		.amdhsa_next_free_vgpr 1
		.amdhsa_next_free_sgpr 0
		.amdhsa_accum_offset 4
		.amdhsa_reserve_vcc 0
		.amdhsa_reserve_flat_scratch 0
		.amdhsa_float_round_mode_32 0
		.amdhsa_float_round_mode_16_64 0
		.amdhsa_float_denorm_mode_32 3
		.amdhsa_float_denorm_mode_16_64 3
		.amdhsa_dx10_clamp 1
		.amdhsa_ieee_mode 1
		.amdhsa_fp16_overflow 0
		.amdhsa_tg_split 0
		.amdhsa_exception_fp_ieee_invalid_op 0
		.amdhsa_exception_fp_denorm_src 0
		.amdhsa_exception_fp_ieee_div_zero 0
		.amdhsa_exception_fp_ieee_overflow 0
		.amdhsa_exception_fp_ieee_underflow 0
		.amdhsa_exception_fp_ieee_inexact 0
		.amdhsa_exception_int_div_zero 0
	.end_amdhsa_kernel
	.section	.text._ZN7rocprim17ROCPRIM_400000_NS6detail17trampoline_kernelINS0_14default_configENS1_38merge_sort_block_merge_config_selectorIcNS0_10empty_typeEEEZZNS1_27merge_sort_block_merge_implIS3_PcPS5_jNS1_19radix_merge_compareILb0ELb0EcNS0_19identity_decomposerEEEEE10hipError_tT0_T1_T2_jT3_P12ihipStream_tbPNSt15iterator_traitsISE_E10value_typeEPNSK_ISF_E10value_typeEPSG_NS1_7vsmem_tEENKUlT_SE_SF_SG_E_clIS8_S8_S9_S9_EESD_ST_SE_SF_SG_EUlST_E0_NS1_11comp_targetILNS1_3genE0ELNS1_11target_archE4294967295ELNS1_3gpuE0ELNS1_3repE0EEENS1_38merge_mergepath_config_static_selectorELNS0_4arch9wavefront6targetE1EEEvSF_,"axG",@progbits,_ZN7rocprim17ROCPRIM_400000_NS6detail17trampoline_kernelINS0_14default_configENS1_38merge_sort_block_merge_config_selectorIcNS0_10empty_typeEEEZZNS1_27merge_sort_block_merge_implIS3_PcPS5_jNS1_19radix_merge_compareILb0ELb0EcNS0_19identity_decomposerEEEEE10hipError_tT0_T1_T2_jT3_P12ihipStream_tbPNSt15iterator_traitsISE_E10value_typeEPNSK_ISF_E10value_typeEPSG_NS1_7vsmem_tEENKUlT_SE_SF_SG_E_clIS8_S8_S9_S9_EESD_ST_SE_SF_SG_EUlST_E0_NS1_11comp_targetILNS1_3genE0ELNS1_11target_archE4294967295ELNS1_3gpuE0ELNS1_3repE0EEENS1_38merge_mergepath_config_static_selectorELNS0_4arch9wavefront6targetE1EEEvSF_,comdat
.Lfunc_end26:
	.size	_ZN7rocprim17ROCPRIM_400000_NS6detail17trampoline_kernelINS0_14default_configENS1_38merge_sort_block_merge_config_selectorIcNS0_10empty_typeEEEZZNS1_27merge_sort_block_merge_implIS3_PcPS5_jNS1_19radix_merge_compareILb0ELb0EcNS0_19identity_decomposerEEEEE10hipError_tT0_T1_T2_jT3_P12ihipStream_tbPNSt15iterator_traitsISE_E10value_typeEPNSK_ISF_E10value_typeEPSG_NS1_7vsmem_tEENKUlT_SE_SF_SG_E_clIS8_S8_S9_S9_EESD_ST_SE_SF_SG_EUlST_E0_NS1_11comp_targetILNS1_3genE0ELNS1_11target_archE4294967295ELNS1_3gpuE0ELNS1_3repE0EEENS1_38merge_mergepath_config_static_selectorELNS0_4arch9wavefront6targetE1EEEvSF_, .Lfunc_end26-_ZN7rocprim17ROCPRIM_400000_NS6detail17trampoline_kernelINS0_14default_configENS1_38merge_sort_block_merge_config_selectorIcNS0_10empty_typeEEEZZNS1_27merge_sort_block_merge_implIS3_PcPS5_jNS1_19radix_merge_compareILb0ELb0EcNS0_19identity_decomposerEEEEE10hipError_tT0_T1_T2_jT3_P12ihipStream_tbPNSt15iterator_traitsISE_E10value_typeEPNSK_ISF_E10value_typeEPSG_NS1_7vsmem_tEENKUlT_SE_SF_SG_E_clIS8_S8_S9_S9_EESD_ST_SE_SF_SG_EUlST_E0_NS1_11comp_targetILNS1_3genE0ELNS1_11target_archE4294967295ELNS1_3gpuE0ELNS1_3repE0EEENS1_38merge_mergepath_config_static_selectorELNS0_4arch9wavefront6targetE1EEEvSF_
                                        ; -- End function
	.section	.AMDGPU.csdata,"",@progbits
; Kernel info:
; codeLenInByte = 0
; NumSgprs: 4
; NumVgprs: 0
; NumAgprs: 0
; TotalNumVgprs: 0
; ScratchSize: 0
; MemoryBound: 0
; FloatMode: 240
; IeeeMode: 1
; LDSByteSize: 0 bytes/workgroup (compile time only)
; SGPRBlocks: 0
; VGPRBlocks: 0
; NumSGPRsForWavesPerEU: 4
; NumVGPRsForWavesPerEU: 1
; AccumOffset: 4
; Occupancy: 8
; WaveLimiterHint : 0
; COMPUTE_PGM_RSRC2:SCRATCH_EN: 0
; COMPUTE_PGM_RSRC2:USER_SGPR: 6
; COMPUTE_PGM_RSRC2:TRAP_HANDLER: 0
; COMPUTE_PGM_RSRC2:TGID_X_EN: 1
; COMPUTE_PGM_RSRC2:TGID_Y_EN: 0
; COMPUTE_PGM_RSRC2:TGID_Z_EN: 0
; COMPUTE_PGM_RSRC2:TIDIG_COMP_CNT: 0
; COMPUTE_PGM_RSRC3_GFX90A:ACCUM_OFFSET: 0
; COMPUTE_PGM_RSRC3_GFX90A:TG_SPLIT: 0
	.section	.text._ZN7rocprim17ROCPRIM_400000_NS6detail17trampoline_kernelINS0_14default_configENS1_38merge_sort_block_merge_config_selectorIcNS0_10empty_typeEEEZZNS1_27merge_sort_block_merge_implIS3_PcPS5_jNS1_19radix_merge_compareILb0ELb0EcNS0_19identity_decomposerEEEEE10hipError_tT0_T1_T2_jT3_P12ihipStream_tbPNSt15iterator_traitsISE_E10value_typeEPNSK_ISF_E10value_typeEPSG_NS1_7vsmem_tEENKUlT_SE_SF_SG_E_clIS8_S8_S9_S9_EESD_ST_SE_SF_SG_EUlST_E0_NS1_11comp_targetILNS1_3genE10ELNS1_11target_archE1201ELNS1_3gpuE5ELNS1_3repE0EEENS1_38merge_mergepath_config_static_selectorELNS0_4arch9wavefront6targetE1EEEvSF_,"axG",@progbits,_ZN7rocprim17ROCPRIM_400000_NS6detail17trampoline_kernelINS0_14default_configENS1_38merge_sort_block_merge_config_selectorIcNS0_10empty_typeEEEZZNS1_27merge_sort_block_merge_implIS3_PcPS5_jNS1_19radix_merge_compareILb0ELb0EcNS0_19identity_decomposerEEEEE10hipError_tT0_T1_T2_jT3_P12ihipStream_tbPNSt15iterator_traitsISE_E10value_typeEPNSK_ISF_E10value_typeEPSG_NS1_7vsmem_tEENKUlT_SE_SF_SG_E_clIS8_S8_S9_S9_EESD_ST_SE_SF_SG_EUlST_E0_NS1_11comp_targetILNS1_3genE10ELNS1_11target_archE1201ELNS1_3gpuE5ELNS1_3repE0EEENS1_38merge_mergepath_config_static_selectorELNS0_4arch9wavefront6targetE1EEEvSF_,comdat
	.protected	_ZN7rocprim17ROCPRIM_400000_NS6detail17trampoline_kernelINS0_14default_configENS1_38merge_sort_block_merge_config_selectorIcNS0_10empty_typeEEEZZNS1_27merge_sort_block_merge_implIS3_PcPS5_jNS1_19radix_merge_compareILb0ELb0EcNS0_19identity_decomposerEEEEE10hipError_tT0_T1_T2_jT3_P12ihipStream_tbPNSt15iterator_traitsISE_E10value_typeEPNSK_ISF_E10value_typeEPSG_NS1_7vsmem_tEENKUlT_SE_SF_SG_E_clIS8_S8_S9_S9_EESD_ST_SE_SF_SG_EUlST_E0_NS1_11comp_targetILNS1_3genE10ELNS1_11target_archE1201ELNS1_3gpuE5ELNS1_3repE0EEENS1_38merge_mergepath_config_static_selectorELNS0_4arch9wavefront6targetE1EEEvSF_ ; -- Begin function _ZN7rocprim17ROCPRIM_400000_NS6detail17trampoline_kernelINS0_14default_configENS1_38merge_sort_block_merge_config_selectorIcNS0_10empty_typeEEEZZNS1_27merge_sort_block_merge_implIS3_PcPS5_jNS1_19radix_merge_compareILb0ELb0EcNS0_19identity_decomposerEEEEE10hipError_tT0_T1_T2_jT3_P12ihipStream_tbPNSt15iterator_traitsISE_E10value_typeEPNSK_ISF_E10value_typeEPSG_NS1_7vsmem_tEENKUlT_SE_SF_SG_E_clIS8_S8_S9_S9_EESD_ST_SE_SF_SG_EUlST_E0_NS1_11comp_targetILNS1_3genE10ELNS1_11target_archE1201ELNS1_3gpuE5ELNS1_3repE0EEENS1_38merge_mergepath_config_static_selectorELNS0_4arch9wavefront6targetE1EEEvSF_
	.globl	_ZN7rocprim17ROCPRIM_400000_NS6detail17trampoline_kernelINS0_14default_configENS1_38merge_sort_block_merge_config_selectorIcNS0_10empty_typeEEEZZNS1_27merge_sort_block_merge_implIS3_PcPS5_jNS1_19radix_merge_compareILb0ELb0EcNS0_19identity_decomposerEEEEE10hipError_tT0_T1_T2_jT3_P12ihipStream_tbPNSt15iterator_traitsISE_E10value_typeEPNSK_ISF_E10value_typeEPSG_NS1_7vsmem_tEENKUlT_SE_SF_SG_E_clIS8_S8_S9_S9_EESD_ST_SE_SF_SG_EUlST_E0_NS1_11comp_targetILNS1_3genE10ELNS1_11target_archE1201ELNS1_3gpuE5ELNS1_3repE0EEENS1_38merge_mergepath_config_static_selectorELNS0_4arch9wavefront6targetE1EEEvSF_
	.p2align	8
	.type	_ZN7rocprim17ROCPRIM_400000_NS6detail17trampoline_kernelINS0_14default_configENS1_38merge_sort_block_merge_config_selectorIcNS0_10empty_typeEEEZZNS1_27merge_sort_block_merge_implIS3_PcPS5_jNS1_19radix_merge_compareILb0ELb0EcNS0_19identity_decomposerEEEEE10hipError_tT0_T1_T2_jT3_P12ihipStream_tbPNSt15iterator_traitsISE_E10value_typeEPNSK_ISF_E10value_typeEPSG_NS1_7vsmem_tEENKUlT_SE_SF_SG_E_clIS8_S8_S9_S9_EESD_ST_SE_SF_SG_EUlST_E0_NS1_11comp_targetILNS1_3genE10ELNS1_11target_archE1201ELNS1_3gpuE5ELNS1_3repE0EEENS1_38merge_mergepath_config_static_selectorELNS0_4arch9wavefront6targetE1EEEvSF_,@function
_ZN7rocprim17ROCPRIM_400000_NS6detail17trampoline_kernelINS0_14default_configENS1_38merge_sort_block_merge_config_selectorIcNS0_10empty_typeEEEZZNS1_27merge_sort_block_merge_implIS3_PcPS5_jNS1_19radix_merge_compareILb0ELb0EcNS0_19identity_decomposerEEEEE10hipError_tT0_T1_T2_jT3_P12ihipStream_tbPNSt15iterator_traitsISE_E10value_typeEPNSK_ISF_E10value_typeEPSG_NS1_7vsmem_tEENKUlT_SE_SF_SG_E_clIS8_S8_S9_S9_EESD_ST_SE_SF_SG_EUlST_E0_NS1_11comp_targetILNS1_3genE10ELNS1_11target_archE1201ELNS1_3gpuE5ELNS1_3repE0EEENS1_38merge_mergepath_config_static_selectorELNS0_4arch9wavefront6targetE1EEEvSF_: ; @_ZN7rocprim17ROCPRIM_400000_NS6detail17trampoline_kernelINS0_14default_configENS1_38merge_sort_block_merge_config_selectorIcNS0_10empty_typeEEEZZNS1_27merge_sort_block_merge_implIS3_PcPS5_jNS1_19radix_merge_compareILb0ELb0EcNS0_19identity_decomposerEEEEE10hipError_tT0_T1_T2_jT3_P12ihipStream_tbPNSt15iterator_traitsISE_E10value_typeEPNSK_ISF_E10value_typeEPSG_NS1_7vsmem_tEENKUlT_SE_SF_SG_E_clIS8_S8_S9_S9_EESD_ST_SE_SF_SG_EUlST_E0_NS1_11comp_targetILNS1_3genE10ELNS1_11target_archE1201ELNS1_3gpuE5ELNS1_3repE0EEENS1_38merge_mergepath_config_static_selectorELNS0_4arch9wavefront6targetE1EEEvSF_
; %bb.0:
	.section	.rodata,"a",@progbits
	.p2align	6, 0x0
	.amdhsa_kernel _ZN7rocprim17ROCPRIM_400000_NS6detail17trampoline_kernelINS0_14default_configENS1_38merge_sort_block_merge_config_selectorIcNS0_10empty_typeEEEZZNS1_27merge_sort_block_merge_implIS3_PcPS5_jNS1_19radix_merge_compareILb0ELb0EcNS0_19identity_decomposerEEEEE10hipError_tT0_T1_T2_jT3_P12ihipStream_tbPNSt15iterator_traitsISE_E10value_typeEPNSK_ISF_E10value_typeEPSG_NS1_7vsmem_tEENKUlT_SE_SF_SG_E_clIS8_S8_S9_S9_EESD_ST_SE_SF_SG_EUlST_E0_NS1_11comp_targetILNS1_3genE10ELNS1_11target_archE1201ELNS1_3gpuE5ELNS1_3repE0EEENS1_38merge_mergepath_config_static_selectorELNS0_4arch9wavefront6targetE1EEEvSF_
		.amdhsa_group_segment_fixed_size 0
		.amdhsa_private_segment_fixed_size 0
		.amdhsa_kernarg_size 64
		.amdhsa_user_sgpr_count 6
		.amdhsa_user_sgpr_private_segment_buffer 1
		.amdhsa_user_sgpr_dispatch_ptr 0
		.amdhsa_user_sgpr_queue_ptr 0
		.amdhsa_user_sgpr_kernarg_segment_ptr 1
		.amdhsa_user_sgpr_dispatch_id 0
		.amdhsa_user_sgpr_flat_scratch_init 0
		.amdhsa_user_sgpr_kernarg_preload_length 0
		.amdhsa_user_sgpr_kernarg_preload_offset 0
		.amdhsa_user_sgpr_private_segment_size 0
		.amdhsa_uses_dynamic_stack 0
		.amdhsa_system_sgpr_private_segment_wavefront_offset 0
		.amdhsa_system_sgpr_workgroup_id_x 1
		.amdhsa_system_sgpr_workgroup_id_y 0
		.amdhsa_system_sgpr_workgroup_id_z 0
		.amdhsa_system_sgpr_workgroup_info 0
		.amdhsa_system_vgpr_workitem_id 0
		.amdhsa_next_free_vgpr 1
		.amdhsa_next_free_sgpr 0
		.amdhsa_accum_offset 4
		.amdhsa_reserve_vcc 0
		.amdhsa_reserve_flat_scratch 0
		.amdhsa_float_round_mode_32 0
		.amdhsa_float_round_mode_16_64 0
		.amdhsa_float_denorm_mode_32 3
		.amdhsa_float_denorm_mode_16_64 3
		.amdhsa_dx10_clamp 1
		.amdhsa_ieee_mode 1
		.amdhsa_fp16_overflow 0
		.amdhsa_tg_split 0
		.amdhsa_exception_fp_ieee_invalid_op 0
		.amdhsa_exception_fp_denorm_src 0
		.amdhsa_exception_fp_ieee_div_zero 0
		.amdhsa_exception_fp_ieee_overflow 0
		.amdhsa_exception_fp_ieee_underflow 0
		.amdhsa_exception_fp_ieee_inexact 0
		.amdhsa_exception_int_div_zero 0
	.end_amdhsa_kernel
	.section	.text._ZN7rocprim17ROCPRIM_400000_NS6detail17trampoline_kernelINS0_14default_configENS1_38merge_sort_block_merge_config_selectorIcNS0_10empty_typeEEEZZNS1_27merge_sort_block_merge_implIS3_PcPS5_jNS1_19radix_merge_compareILb0ELb0EcNS0_19identity_decomposerEEEEE10hipError_tT0_T1_T2_jT3_P12ihipStream_tbPNSt15iterator_traitsISE_E10value_typeEPNSK_ISF_E10value_typeEPSG_NS1_7vsmem_tEENKUlT_SE_SF_SG_E_clIS8_S8_S9_S9_EESD_ST_SE_SF_SG_EUlST_E0_NS1_11comp_targetILNS1_3genE10ELNS1_11target_archE1201ELNS1_3gpuE5ELNS1_3repE0EEENS1_38merge_mergepath_config_static_selectorELNS0_4arch9wavefront6targetE1EEEvSF_,"axG",@progbits,_ZN7rocprim17ROCPRIM_400000_NS6detail17trampoline_kernelINS0_14default_configENS1_38merge_sort_block_merge_config_selectorIcNS0_10empty_typeEEEZZNS1_27merge_sort_block_merge_implIS3_PcPS5_jNS1_19radix_merge_compareILb0ELb0EcNS0_19identity_decomposerEEEEE10hipError_tT0_T1_T2_jT3_P12ihipStream_tbPNSt15iterator_traitsISE_E10value_typeEPNSK_ISF_E10value_typeEPSG_NS1_7vsmem_tEENKUlT_SE_SF_SG_E_clIS8_S8_S9_S9_EESD_ST_SE_SF_SG_EUlST_E0_NS1_11comp_targetILNS1_3genE10ELNS1_11target_archE1201ELNS1_3gpuE5ELNS1_3repE0EEENS1_38merge_mergepath_config_static_selectorELNS0_4arch9wavefront6targetE1EEEvSF_,comdat
.Lfunc_end27:
	.size	_ZN7rocprim17ROCPRIM_400000_NS6detail17trampoline_kernelINS0_14default_configENS1_38merge_sort_block_merge_config_selectorIcNS0_10empty_typeEEEZZNS1_27merge_sort_block_merge_implIS3_PcPS5_jNS1_19radix_merge_compareILb0ELb0EcNS0_19identity_decomposerEEEEE10hipError_tT0_T1_T2_jT3_P12ihipStream_tbPNSt15iterator_traitsISE_E10value_typeEPNSK_ISF_E10value_typeEPSG_NS1_7vsmem_tEENKUlT_SE_SF_SG_E_clIS8_S8_S9_S9_EESD_ST_SE_SF_SG_EUlST_E0_NS1_11comp_targetILNS1_3genE10ELNS1_11target_archE1201ELNS1_3gpuE5ELNS1_3repE0EEENS1_38merge_mergepath_config_static_selectorELNS0_4arch9wavefront6targetE1EEEvSF_, .Lfunc_end27-_ZN7rocprim17ROCPRIM_400000_NS6detail17trampoline_kernelINS0_14default_configENS1_38merge_sort_block_merge_config_selectorIcNS0_10empty_typeEEEZZNS1_27merge_sort_block_merge_implIS3_PcPS5_jNS1_19radix_merge_compareILb0ELb0EcNS0_19identity_decomposerEEEEE10hipError_tT0_T1_T2_jT3_P12ihipStream_tbPNSt15iterator_traitsISE_E10value_typeEPNSK_ISF_E10value_typeEPSG_NS1_7vsmem_tEENKUlT_SE_SF_SG_E_clIS8_S8_S9_S9_EESD_ST_SE_SF_SG_EUlST_E0_NS1_11comp_targetILNS1_3genE10ELNS1_11target_archE1201ELNS1_3gpuE5ELNS1_3repE0EEENS1_38merge_mergepath_config_static_selectorELNS0_4arch9wavefront6targetE1EEEvSF_
                                        ; -- End function
	.section	.AMDGPU.csdata,"",@progbits
; Kernel info:
; codeLenInByte = 0
; NumSgprs: 4
; NumVgprs: 0
; NumAgprs: 0
; TotalNumVgprs: 0
; ScratchSize: 0
; MemoryBound: 0
; FloatMode: 240
; IeeeMode: 1
; LDSByteSize: 0 bytes/workgroup (compile time only)
; SGPRBlocks: 0
; VGPRBlocks: 0
; NumSGPRsForWavesPerEU: 4
; NumVGPRsForWavesPerEU: 1
; AccumOffset: 4
; Occupancy: 8
; WaveLimiterHint : 0
; COMPUTE_PGM_RSRC2:SCRATCH_EN: 0
; COMPUTE_PGM_RSRC2:USER_SGPR: 6
; COMPUTE_PGM_RSRC2:TRAP_HANDLER: 0
; COMPUTE_PGM_RSRC2:TGID_X_EN: 1
; COMPUTE_PGM_RSRC2:TGID_Y_EN: 0
; COMPUTE_PGM_RSRC2:TGID_Z_EN: 0
; COMPUTE_PGM_RSRC2:TIDIG_COMP_CNT: 0
; COMPUTE_PGM_RSRC3_GFX90A:ACCUM_OFFSET: 0
; COMPUTE_PGM_RSRC3_GFX90A:TG_SPLIT: 0
	.section	.text._ZN7rocprim17ROCPRIM_400000_NS6detail17trampoline_kernelINS0_14default_configENS1_38merge_sort_block_merge_config_selectorIcNS0_10empty_typeEEEZZNS1_27merge_sort_block_merge_implIS3_PcPS5_jNS1_19radix_merge_compareILb0ELb0EcNS0_19identity_decomposerEEEEE10hipError_tT0_T1_T2_jT3_P12ihipStream_tbPNSt15iterator_traitsISE_E10value_typeEPNSK_ISF_E10value_typeEPSG_NS1_7vsmem_tEENKUlT_SE_SF_SG_E_clIS8_S8_S9_S9_EESD_ST_SE_SF_SG_EUlST_E0_NS1_11comp_targetILNS1_3genE5ELNS1_11target_archE942ELNS1_3gpuE9ELNS1_3repE0EEENS1_38merge_mergepath_config_static_selectorELNS0_4arch9wavefront6targetE1EEEvSF_,"axG",@progbits,_ZN7rocprim17ROCPRIM_400000_NS6detail17trampoline_kernelINS0_14default_configENS1_38merge_sort_block_merge_config_selectorIcNS0_10empty_typeEEEZZNS1_27merge_sort_block_merge_implIS3_PcPS5_jNS1_19radix_merge_compareILb0ELb0EcNS0_19identity_decomposerEEEEE10hipError_tT0_T1_T2_jT3_P12ihipStream_tbPNSt15iterator_traitsISE_E10value_typeEPNSK_ISF_E10value_typeEPSG_NS1_7vsmem_tEENKUlT_SE_SF_SG_E_clIS8_S8_S9_S9_EESD_ST_SE_SF_SG_EUlST_E0_NS1_11comp_targetILNS1_3genE5ELNS1_11target_archE942ELNS1_3gpuE9ELNS1_3repE0EEENS1_38merge_mergepath_config_static_selectorELNS0_4arch9wavefront6targetE1EEEvSF_,comdat
	.protected	_ZN7rocprim17ROCPRIM_400000_NS6detail17trampoline_kernelINS0_14default_configENS1_38merge_sort_block_merge_config_selectorIcNS0_10empty_typeEEEZZNS1_27merge_sort_block_merge_implIS3_PcPS5_jNS1_19radix_merge_compareILb0ELb0EcNS0_19identity_decomposerEEEEE10hipError_tT0_T1_T2_jT3_P12ihipStream_tbPNSt15iterator_traitsISE_E10value_typeEPNSK_ISF_E10value_typeEPSG_NS1_7vsmem_tEENKUlT_SE_SF_SG_E_clIS8_S8_S9_S9_EESD_ST_SE_SF_SG_EUlST_E0_NS1_11comp_targetILNS1_3genE5ELNS1_11target_archE942ELNS1_3gpuE9ELNS1_3repE0EEENS1_38merge_mergepath_config_static_selectorELNS0_4arch9wavefront6targetE1EEEvSF_ ; -- Begin function _ZN7rocprim17ROCPRIM_400000_NS6detail17trampoline_kernelINS0_14default_configENS1_38merge_sort_block_merge_config_selectorIcNS0_10empty_typeEEEZZNS1_27merge_sort_block_merge_implIS3_PcPS5_jNS1_19radix_merge_compareILb0ELb0EcNS0_19identity_decomposerEEEEE10hipError_tT0_T1_T2_jT3_P12ihipStream_tbPNSt15iterator_traitsISE_E10value_typeEPNSK_ISF_E10value_typeEPSG_NS1_7vsmem_tEENKUlT_SE_SF_SG_E_clIS8_S8_S9_S9_EESD_ST_SE_SF_SG_EUlST_E0_NS1_11comp_targetILNS1_3genE5ELNS1_11target_archE942ELNS1_3gpuE9ELNS1_3repE0EEENS1_38merge_mergepath_config_static_selectorELNS0_4arch9wavefront6targetE1EEEvSF_
	.globl	_ZN7rocprim17ROCPRIM_400000_NS6detail17trampoline_kernelINS0_14default_configENS1_38merge_sort_block_merge_config_selectorIcNS0_10empty_typeEEEZZNS1_27merge_sort_block_merge_implIS3_PcPS5_jNS1_19radix_merge_compareILb0ELb0EcNS0_19identity_decomposerEEEEE10hipError_tT0_T1_T2_jT3_P12ihipStream_tbPNSt15iterator_traitsISE_E10value_typeEPNSK_ISF_E10value_typeEPSG_NS1_7vsmem_tEENKUlT_SE_SF_SG_E_clIS8_S8_S9_S9_EESD_ST_SE_SF_SG_EUlST_E0_NS1_11comp_targetILNS1_3genE5ELNS1_11target_archE942ELNS1_3gpuE9ELNS1_3repE0EEENS1_38merge_mergepath_config_static_selectorELNS0_4arch9wavefront6targetE1EEEvSF_
	.p2align	8
	.type	_ZN7rocprim17ROCPRIM_400000_NS6detail17trampoline_kernelINS0_14default_configENS1_38merge_sort_block_merge_config_selectorIcNS0_10empty_typeEEEZZNS1_27merge_sort_block_merge_implIS3_PcPS5_jNS1_19radix_merge_compareILb0ELb0EcNS0_19identity_decomposerEEEEE10hipError_tT0_T1_T2_jT3_P12ihipStream_tbPNSt15iterator_traitsISE_E10value_typeEPNSK_ISF_E10value_typeEPSG_NS1_7vsmem_tEENKUlT_SE_SF_SG_E_clIS8_S8_S9_S9_EESD_ST_SE_SF_SG_EUlST_E0_NS1_11comp_targetILNS1_3genE5ELNS1_11target_archE942ELNS1_3gpuE9ELNS1_3repE0EEENS1_38merge_mergepath_config_static_selectorELNS0_4arch9wavefront6targetE1EEEvSF_,@function
_ZN7rocprim17ROCPRIM_400000_NS6detail17trampoline_kernelINS0_14default_configENS1_38merge_sort_block_merge_config_selectorIcNS0_10empty_typeEEEZZNS1_27merge_sort_block_merge_implIS3_PcPS5_jNS1_19radix_merge_compareILb0ELb0EcNS0_19identity_decomposerEEEEE10hipError_tT0_T1_T2_jT3_P12ihipStream_tbPNSt15iterator_traitsISE_E10value_typeEPNSK_ISF_E10value_typeEPSG_NS1_7vsmem_tEENKUlT_SE_SF_SG_E_clIS8_S8_S9_S9_EESD_ST_SE_SF_SG_EUlST_E0_NS1_11comp_targetILNS1_3genE5ELNS1_11target_archE942ELNS1_3gpuE9ELNS1_3repE0EEENS1_38merge_mergepath_config_static_selectorELNS0_4arch9wavefront6targetE1EEEvSF_: ; @_ZN7rocprim17ROCPRIM_400000_NS6detail17trampoline_kernelINS0_14default_configENS1_38merge_sort_block_merge_config_selectorIcNS0_10empty_typeEEEZZNS1_27merge_sort_block_merge_implIS3_PcPS5_jNS1_19radix_merge_compareILb0ELb0EcNS0_19identity_decomposerEEEEE10hipError_tT0_T1_T2_jT3_P12ihipStream_tbPNSt15iterator_traitsISE_E10value_typeEPNSK_ISF_E10value_typeEPSG_NS1_7vsmem_tEENKUlT_SE_SF_SG_E_clIS8_S8_S9_S9_EESD_ST_SE_SF_SG_EUlST_E0_NS1_11comp_targetILNS1_3genE5ELNS1_11target_archE942ELNS1_3gpuE9ELNS1_3repE0EEENS1_38merge_mergepath_config_static_selectorELNS0_4arch9wavefront6targetE1EEEvSF_
; %bb.0:
	.section	.rodata,"a",@progbits
	.p2align	6, 0x0
	.amdhsa_kernel _ZN7rocprim17ROCPRIM_400000_NS6detail17trampoline_kernelINS0_14default_configENS1_38merge_sort_block_merge_config_selectorIcNS0_10empty_typeEEEZZNS1_27merge_sort_block_merge_implIS3_PcPS5_jNS1_19radix_merge_compareILb0ELb0EcNS0_19identity_decomposerEEEEE10hipError_tT0_T1_T2_jT3_P12ihipStream_tbPNSt15iterator_traitsISE_E10value_typeEPNSK_ISF_E10value_typeEPSG_NS1_7vsmem_tEENKUlT_SE_SF_SG_E_clIS8_S8_S9_S9_EESD_ST_SE_SF_SG_EUlST_E0_NS1_11comp_targetILNS1_3genE5ELNS1_11target_archE942ELNS1_3gpuE9ELNS1_3repE0EEENS1_38merge_mergepath_config_static_selectorELNS0_4arch9wavefront6targetE1EEEvSF_
		.amdhsa_group_segment_fixed_size 0
		.amdhsa_private_segment_fixed_size 0
		.amdhsa_kernarg_size 64
		.amdhsa_user_sgpr_count 6
		.amdhsa_user_sgpr_private_segment_buffer 1
		.amdhsa_user_sgpr_dispatch_ptr 0
		.amdhsa_user_sgpr_queue_ptr 0
		.amdhsa_user_sgpr_kernarg_segment_ptr 1
		.amdhsa_user_sgpr_dispatch_id 0
		.amdhsa_user_sgpr_flat_scratch_init 0
		.amdhsa_user_sgpr_kernarg_preload_length 0
		.amdhsa_user_sgpr_kernarg_preload_offset 0
		.amdhsa_user_sgpr_private_segment_size 0
		.amdhsa_uses_dynamic_stack 0
		.amdhsa_system_sgpr_private_segment_wavefront_offset 0
		.amdhsa_system_sgpr_workgroup_id_x 1
		.amdhsa_system_sgpr_workgroup_id_y 0
		.amdhsa_system_sgpr_workgroup_id_z 0
		.amdhsa_system_sgpr_workgroup_info 0
		.amdhsa_system_vgpr_workitem_id 0
		.amdhsa_next_free_vgpr 1
		.amdhsa_next_free_sgpr 0
		.amdhsa_accum_offset 4
		.amdhsa_reserve_vcc 0
		.amdhsa_reserve_flat_scratch 0
		.amdhsa_float_round_mode_32 0
		.amdhsa_float_round_mode_16_64 0
		.amdhsa_float_denorm_mode_32 3
		.amdhsa_float_denorm_mode_16_64 3
		.amdhsa_dx10_clamp 1
		.amdhsa_ieee_mode 1
		.amdhsa_fp16_overflow 0
		.amdhsa_tg_split 0
		.amdhsa_exception_fp_ieee_invalid_op 0
		.amdhsa_exception_fp_denorm_src 0
		.amdhsa_exception_fp_ieee_div_zero 0
		.amdhsa_exception_fp_ieee_overflow 0
		.amdhsa_exception_fp_ieee_underflow 0
		.amdhsa_exception_fp_ieee_inexact 0
		.amdhsa_exception_int_div_zero 0
	.end_amdhsa_kernel
	.section	.text._ZN7rocprim17ROCPRIM_400000_NS6detail17trampoline_kernelINS0_14default_configENS1_38merge_sort_block_merge_config_selectorIcNS0_10empty_typeEEEZZNS1_27merge_sort_block_merge_implIS3_PcPS5_jNS1_19radix_merge_compareILb0ELb0EcNS0_19identity_decomposerEEEEE10hipError_tT0_T1_T2_jT3_P12ihipStream_tbPNSt15iterator_traitsISE_E10value_typeEPNSK_ISF_E10value_typeEPSG_NS1_7vsmem_tEENKUlT_SE_SF_SG_E_clIS8_S8_S9_S9_EESD_ST_SE_SF_SG_EUlST_E0_NS1_11comp_targetILNS1_3genE5ELNS1_11target_archE942ELNS1_3gpuE9ELNS1_3repE0EEENS1_38merge_mergepath_config_static_selectorELNS0_4arch9wavefront6targetE1EEEvSF_,"axG",@progbits,_ZN7rocprim17ROCPRIM_400000_NS6detail17trampoline_kernelINS0_14default_configENS1_38merge_sort_block_merge_config_selectorIcNS0_10empty_typeEEEZZNS1_27merge_sort_block_merge_implIS3_PcPS5_jNS1_19radix_merge_compareILb0ELb0EcNS0_19identity_decomposerEEEEE10hipError_tT0_T1_T2_jT3_P12ihipStream_tbPNSt15iterator_traitsISE_E10value_typeEPNSK_ISF_E10value_typeEPSG_NS1_7vsmem_tEENKUlT_SE_SF_SG_E_clIS8_S8_S9_S9_EESD_ST_SE_SF_SG_EUlST_E0_NS1_11comp_targetILNS1_3genE5ELNS1_11target_archE942ELNS1_3gpuE9ELNS1_3repE0EEENS1_38merge_mergepath_config_static_selectorELNS0_4arch9wavefront6targetE1EEEvSF_,comdat
.Lfunc_end28:
	.size	_ZN7rocprim17ROCPRIM_400000_NS6detail17trampoline_kernelINS0_14default_configENS1_38merge_sort_block_merge_config_selectorIcNS0_10empty_typeEEEZZNS1_27merge_sort_block_merge_implIS3_PcPS5_jNS1_19radix_merge_compareILb0ELb0EcNS0_19identity_decomposerEEEEE10hipError_tT0_T1_T2_jT3_P12ihipStream_tbPNSt15iterator_traitsISE_E10value_typeEPNSK_ISF_E10value_typeEPSG_NS1_7vsmem_tEENKUlT_SE_SF_SG_E_clIS8_S8_S9_S9_EESD_ST_SE_SF_SG_EUlST_E0_NS1_11comp_targetILNS1_3genE5ELNS1_11target_archE942ELNS1_3gpuE9ELNS1_3repE0EEENS1_38merge_mergepath_config_static_selectorELNS0_4arch9wavefront6targetE1EEEvSF_, .Lfunc_end28-_ZN7rocprim17ROCPRIM_400000_NS6detail17trampoline_kernelINS0_14default_configENS1_38merge_sort_block_merge_config_selectorIcNS0_10empty_typeEEEZZNS1_27merge_sort_block_merge_implIS3_PcPS5_jNS1_19radix_merge_compareILb0ELb0EcNS0_19identity_decomposerEEEEE10hipError_tT0_T1_T2_jT3_P12ihipStream_tbPNSt15iterator_traitsISE_E10value_typeEPNSK_ISF_E10value_typeEPSG_NS1_7vsmem_tEENKUlT_SE_SF_SG_E_clIS8_S8_S9_S9_EESD_ST_SE_SF_SG_EUlST_E0_NS1_11comp_targetILNS1_3genE5ELNS1_11target_archE942ELNS1_3gpuE9ELNS1_3repE0EEENS1_38merge_mergepath_config_static_selectorELNS0_4arch9wavefront6targetE1EEEvSF_
                                        ; -- End function
	.section	.AMDGPU.csdata,"",@progbits
; Kernel info:
; codeLenInByte = 0
; NumSgprs: 4
; NumVgprs: 0
; NumAgprs: 0
; TotalNumVgprs: 0
; ScratchSize: 0
; MemoryBound: 0
; FloatMode: 240
; IeeeMode: 1
; LDSByteSize: 0 bytes/workgroup (compile time only)
; SGPRBlocks: 0
; VGPRBlocks: 0
; NumSGPRsForWavesPerEU: 4
; NumVGPRsForWavesPerEU: 1
; AccumOffset: 4
; Occupancy: 8
; WaveLimiterHint : 0
; COMPUTE_PGM_RSRC2:SCRATCH_EN: 0
; COMPUTE_PGM_RSRC2:USER_SGPR: 6
; COMPUTE_PGM_RSRC2:TRAP_HANDLER: 0
; COMPUTE_PGM_RSRC2:TGID_X_EN: 1
; COMPUTE_PGM_RSRC2:TGID_Y_EN: 0
; COMPUTE_PGM_RSRC2:TGID_Z_EN: 0
; COMPUTE_PGM_RSRC2:TIDIG_COMP_CNT: 0
; COMPUTE_PGM_RSRC3_GFX90A:ACCUM_OFFSET: 0
; COMPUTE_PGM_RSRC3_GFX90A:TG_SPLIT: 0
	.section	.text._ZN7rocprim17ROCPRIM_400000_NS6detail17trampoline_kernelINS0_14default_configENS1_38merge_sort_block_merge_config_selectorIcNS0_10empty_typeEEEZZNS1_27merge_sort_block_merge_implIS3_PcPS5_jNS1_19radix_merge_compareILb0ELb0EcNS0_19identity_decomposerEEEEE10hipError_tT0_T1_T2_jT3_P12ihipStream_tbPNSt15iterator_traitsISE_E10value_typeEPNSK_ISF_E10value_typeEPSG_NS1_7vsmem_tEENKUlT_SE_SF_SG_E_clIS8_S8_S9_S9_EESD_ST_SE_SF_SG_EUlST_E0_NS1_11comp_targetILNS1_3genE4ELNS1_11target_archE910ELNS1_3gpuE8ELNS1_3repE0EEENS1_38merge_mergepath_config_static_selectorELNS0_4arch9wavefront6targetE1EEEvSF_,"axG",@progbits,_ZN7rocprim17ROCPRIM_400000_NS6detail17trampoline_kernelINS0_14default_configENS1_38merge_sort_block_merge_config_selectorIcNS0_10empty_typeEEEZZNS1_27merge_sort_block_merge_implIS3_PcPS5_jNS1_19radix_merge_compareILb0ELb0EcNS0_19identity_decomposerEEEEE10hipError_tT0_T1_T2_jT3_P12ihipStream_tbPNSt15iterator_traitsISE_E10value_typeEPNSK_ISF_E10value_typeEPSG_NS1_7vsmem_tEENKUlT_SE_SF_SG_E_clIS8_S8_S9_S9_EESD_ST_SE_SF_SG_EUlST_E0_NS1_11comp_targetILNS1_3genE4ELNS1_11target_archE910ELNS1_3gpuE8ELNS1_3repE0EEENS1_38merge_mergepath_config_static_selectorELNS0_4arch9wavefront6targetE1EEEvSF_,comdat
	.protected	_ZN7rocprim17ROCPRIM_400000_NS6detail17trampoline_kernelINS0_14default_configENS1_38merge_sort_block_merge_config_selectorIcNS0_10empty_typeEEEZZNS1_27merge_sort_block_merge_implIS3_PcPS5_jNS1_19radix_merge_compareILb0ELb0EcNS0_19identity_decomposerEEEEE10hipError_tT0_T1_T2_jT3_P12ihipStream_tbPNSt15iterator_traitsISE_E10value_typeEPNSK_ISF_E10value_typeEPSG_NS1_7vsmem_tEENKUlT_SE_SF_SG_E_clIS8_S8_S9_S9_EESD_ST_SE_SF_SG_EUlST_E0_NS1_11comp_targetILNS1_3genE4ELNS1_11target_archE910ELNS1_3gpuE8ELNS1_3repE0EEENS1_38merge_mergepath_config_static_selectorELNS0_4arch9wavefront6targetE1EEEvSF_ ; -- Begin function _ZN7rocprim17ROCPRIM_400000_NS6detail17trampoline_kernelINS0_14default_configENS1_38merge_sort_block_merge_config_selectorIcNS0_10empty_typeEEEZZNS1_27merge_sort_block_merge_implIS3_PcPS5_jNS1_19radix_merge_compareILb0ELb0EcNS0_19identity_decomposerEEEEE10hipError_tT0_T1_T2_jT3_P12ihipStream_tbPNSt15iterator_traitsISE_E10value_typeEPNSK_ISF_E10value_typeEPSG_NS1_7vsmem_tEENKUlT_SE_SF_SG_E_clIS8_S8_S9_S9_EESD_ST_SE_SF_SG_EUlST_E0_NS1_11comp_targetILNS1_3genE4ELNS1_11target_archE910ELNS1_3gpuE8ELNS1_3repE0EEENS1_38merge_mergepath_config_static_selectorELNS0_4arch9wavefront6targetE1EEEvSF_
	.globl	_ZN7rocprim17ROCPRIM_400000_NS6detail17trampoline_kernelINS0_14default_configENS1_38merge_sort_block_merge_config_selectorIcNS0_10empty_typeEEEZZNS1_27merge_sort_block_merge_implIS3_PcPS5_jNS1_19radix_merge_compareILb0ELb0EcNS0_19identity_decomposerEEEEE10hipError_tT0_T1_T2_jT3_P12ihipStream_tbPNSt15iterator_traitsISE_E10value_typeEPNSK_ISF_E10value_typeEPSG_NS1_7vsmem_tEENKUlT_SE_SF_SG_E_clIS8_S8_S9_S9_EESD_ST_SE_SF_SG_EUlST_E0_NS1_11comp_targetILNS1_3genE4ELNS1_11target_archE910ELNS1_3gpuE8ELNS1_3repE0EEENS1_38merge_mergepath_config_static_selectorELNS0_4arch9wavefront6targetE1EEEvSF_
	.p2align	8
	.type	_ZN7rocprim17ROCPRIM_400000_NS6detail17trampoline_kernelINS0_14default_configENS1_38merge_sort_block_merge_config_selectorIcNS0_10empty_typeEEEZZNS1_27merge_sort_block_merge_implIS3_PcPS5_jNS1_19radix_merge_compareILb0ELb0EcNS0_19identity_decomposerEEEEE10hipError_tT0_T1_T2_jT3_P12ihipStream_tbPNSt15iterator_traitsISE_E10value_typeEPNSK_ISF_E10value_typeEPSG_NS1_7vsmem_tEENKUlT_SE_SF_SG_E_clIS8_S8_S9_S9_EESD_ST_SE_SF_SG_EUlST_E0_NS1_11comp_targetILNS1_3genE4ELNS1_11target_archE910ELNS1_3gpuE8ELNS1_3repE0EEENS1_38merge_mergepath_config_static_selectorELNS0_4arch9wavefront6targetE1EEEvSF_,@function
_ZN7rocprim17ROCPRIM_400000_NS6detail17trampoline_kernelINS0_14default_configENS1_38merge_sort_block_merge_config_selectorIcNS0_10empty_typeEEEZZNS1_27merge_sort_block_merge_implIS3_PcPS5_jNS1_19radix_merge_compareILb0ELb0EcNS0_19identity_decomposerEEEEE10hipError_tT0_T1_T2_jT3_P12ihipStream_tbPNSt15iterator_traitsISE_E10value_typeEPNSK_ISF_E10value_typeEPSG_NS1_7vsmem_tEENKUlT_SE_SF_SG_E_clIS8_S8_S9_S9_EESD_ST_SE_SF_SG_EUlST_E0_NS1_11comp_targetILNS1_3genE4ELNS1_11target_archE910ELNS1_3gpuE8ELNS1_3repE0EEENS1_38merge_mergepath_config_static_selectorELNS0_4arch9wavefront6targetE1EEEvSF_: ; @_ZN7rocprim17ROCPRIM_400000_NS6detail17trampoline_kernelINS0_14default_configENS1_38merge_sort_block_merge_config_selectorIcNS0_10empty_typeEEEZZNS1_27merge_sort_block_merge_implIS3_PcPS5_jNS1_19radix_merge_compareILb0ELb0EcNS0_19identity_decomposerEEEEE10hipError_tT0_T1_T2_jT3_P12ihipStream_tbPNSt15iterator_traitsISE_E10value_typeEPNSK_ISF_E10value_typeEPSG_NS1_7vsmem_tEENKUlT_SE_SF_SG_E_clIS8_S8_S9_S9_EESD_ST_SE_SF_SG_EUlST_E0_NS1_11comp_targetILNS1_3genE4ELNS1_11target_archE910ELNS1_3gpuE8ELNS1_3repE0EEENS1_38merge_mergepath_config_static_selectorELNS0_4arch9wavefront6targetE1EEEvSF_
; %bb.0:
	s_load_dwordx2 s[10:11], s[4:5], 0x40
	s_load_dword s1, s[4:5], 0x30
	s_add_u32 s2, s4, 64
	s_addc_u32 s3, s5, 0
	s_waitcnt lgkmcnt(0)
	s_mul_i32 s0, s11, s8
	s_add_i32 s0, s0, s7
	s_mul_i32 s0, s0, s10
	s_add_i32 s0, s0, s6
	s_cmp_ge_u32 s0, s1
	s_cbranch_scc1 .LBB29_51
; %bb.1:
	s_load_dwordx2 s[12:13], s[4:5], 0x28
	s_load_dwordx2 s[8:9], s[4:5], 0x38
	;; [unrolled: 1-line block ×3, first 2 shown]
	s_mov_b32 s1, 0
	v_mov_b32_e32 v1, 0
	s_waitcnt lgkmcnt(0)
	s_lshr_b32 s21, s12, 10
	s_cmp_lg_u32 s0, s21
	s_cselect_b64 s[14:15], -1, 0
	s_lshl_b64 s[18:19], s[0:1], 2
	s_add_u32 s8, s8, s18
	s_addc_u32 s9, s9, s19
	s_lshr_b32 s1, s13, 9
	s_and_b32 s1, s1, 0x7ffffe
	s_load_dwordx2 s[8:9], s[8:9], 0x0
	s_sub_i32 s1, 0, s1
	s_and_b32 s7, s0, s1
	s_lshl_b32 s11, s7, 10
	s_lshl_b32 s20, s0, 10
	;; [unrolled: 1-line block ×3, first 2 shown]
	s_sub_i32 s18, s20, s11
	s_add_i32 s7, s7, s13
	s_add_i32 s18, s7, s18
	s_waitcnt lgkmcnt(0)
	s_sub_i32 s19, s18, s8
	s_sub_i32 s18, s18, s9
	;; [unrolled: 1-line block ×3, first 2 shown]
	s_min_u32 s19, s12, s19
	s_addk_i32 s18, 0x400
	s_or_b32 s1, s0, s1
	s_min_u32 s11, s12, s7
	s_add_i32 s7, s7, s13
	s_cmp_eq_u32 s1, -1
	s_cselect_b32 s1, s7, s18
	s_cselect_b32 s7, s11, s9
	s_min_u32 s1, s1, s12
	s_sub_i32 s13, s7, s8
	s_sub_i32 s7, s1, s19
	s_add_u32 s11, s16, s8
	s_addc_u32 s18, s17, 0
	s_add_u32 s8, s16, s19
	s_addc_u32 s9, s17, 0
	s_cmp_lt_u32 s6, s10
	s_cselect_b32 s1, 12, 18
	global_load_dword v2, v1, s[2:3] offset:14
	s_add_u32 s2, s2, s1
	s_addc_u32 s3, s3, 0
	global_load_ushort v1, v1, s[2:3]
	s_cmp_eq_u32 s0, s21
	s_waitcnt vmcnt(1)
	v_lshrrev_b32_e32 v3, 16, v2
	v_and_b32_e32 v2, 0xffff, v2
	v_mul_lo_u32 v2, v2, v3
	s_waitcnt vmcnt(0)
	v_mul_lo_u32 v4, v2, v1
	v_add_u32_e32 v10, v4, v0
	v_add_u32_e32 v8, v10, v4
	s_cbranch_scc1 .LBB29_3
; %bb.2:
	v_mov_b32_e32 v1, s18
	v_add_co_u32_e32 v2, vcc, s11, v0
	v_addc_co_u32_e32 v1, vcc, 0, v1, vcc
	v_subrev_u32_e32 v3, s13, v0
	v_mov_b32_e32 v5, s9
	v_add_co_u32_e32 v3, vcc, s8, v3
	v_addc_co_u32_e32 v5, vcc, 0, v5, vcc
	v_cmp_gt_u32_e32 vcc, s13, v0
	v_cndmask_b32_e32 v13, v5, v1, vcc
	v_cndmask_b32_e32 v12, v3, v2, vcc
	v_mov_b32_e32 v1, s18
	v_add_co_u32_e32 v2, vcc, s11, v10
	v_addc_co_u32_e32 v1, vcc, 0, v1, vcc
	v_subrev_u32_e32 v3, s13, v10
	v_mov_b32_e32 v5, s9
	v_add_co_u32_e32 v3, vcc, s8, v3
	v_addc_co_u32_e32 v5, vcc, 0, v5, vcc
	v_cmp_gt_u32_e32 vcc, s13, v10
	v_cndmask_b32_e32 v15, v5, v1, vcc
	v_cndmask_b32_e32 v14, v3, v2, vcc
	v_mov_b32_e32 v1, s18
	v_add_co_u32_e32 v2, vcc, s11, v8
	v_addc_co_u32_e32 v1, vcc, 0, v1, vcc
	v_subrev_u32_e32 v3, s13, v8
	v_mov_b32_e32 v5, s9
	v_add_co_u32_e32 v3, vcc, s8, v3
	v_addc_co_u32_e32 v5, vcc, 0, v5, vcc
	v_cmp_gt_u32_e32 vcc, s13, v8
	v_cndmask_b32_e32 v17, v5, v1, vcc
	v_add_u32_e32 v1, v8, v4
	v_cndmask_b32_e32 v16, v3, v2, vcc
	v_mov_b32_e32 v2, s18
	v_add_co_u32_e32 v3, vcc, s11, v1
	v_addc_co_u32_e32 v2, vcc, 0, v2, vcc
	v_subrev_u32_e32 v5, s13, v1
	v_mov_b32_e32 v6, s9
	v_add_co_u32_e32 v5, vcc, s8, v5
	v_addc_co_u32_e32 v6, vcc, 0, v6, vcc
	v_cmp_gt_u32_e32 vcc, s13, v1
	v_add_u32_e32 v1, v1, v4
	v_cndmask_b32_e32 v19, v6, v2, vcc
	v_cndmask_b32_e32 v18, v5, v3, vcc
	v_mov_b32_e32 v2, s18
	v_add_co_u32_e32 v3, vcc, s11, v1
	v_addc_co_u32_e32 v2, vcc, 0, v2, vcc
	v_subrev_u32_e32 v5, s13, v1
	v_mov_b32_e32 v6, s9
	v_add_co_u32_e32 v5, vcc, s8, v5
	v_addc_co_u32_e32 v6, vcc, 0, v6, vcc
	v_cmp_gt_u32_e32 vcc, s13, v1
	v_add_u32_e32 v1, v1, v4
	v_cndmask_b32_e32 v21, v6, v2, vcc
	;; [unrolled: 11-line block ×4, first 2 shown]
	v_cndmask_b32_e32 v24, v5, v3, vcc
	v_mov_b32_e32 v2, s18
	v_add_co_u32_e32 v3, vcc, s11, v1
	v_addc_co_u32_e32 v2, vcc, 0, v2, vcc
	v_subrev_u32_e32 v5, s13, v1
	v_mov_b32_e32 v6, s9
	v_add_co_u32_e32 v5, vcc, s8, v5
	v_addc_co_u32_e32 v6, vcc, 0, v6, vcc
	v_cmp_gt_u32_e32 vcc, s13, v1
	v_cndmask_b32_e32 v27, v6, v2, vcc
	v_cndmask_b32_e32 v26, v5, v3, vcc
	global_load_ubyte v1, v[12:13], off
	global_load_ubyte v2, v[14:15], off
	;; [unrolled: 1-line block ×8, first 2 shown]
	s_add_i32 s21, s7, s13
	s_load_dwordx2 s[16:17], s[4:5], 0x10
	s_cbranch_execz .LBB29_4
	s_branch .LBB29_21
.LBB29_3:
                                        ; implicit-def: $vgpr1
                                        ; implicit-def: $vgpr2
                                        ; implicit-def: $vgpr3
                                        ; implicit-def: $vgpr5
                                        ; implicit-def: $vgpr6
                                        ; implicit-def: $vgpr7
                                        ; implicit-def: $vgpr9
                                        ; implicit-def: $vgpr11
                                        ; implicit-def: $sgpr21
	s_load_dwordx2 s[16:17], s[4:5], 0x10
.LBB29_4:
	s_add_i32 s21, s7, s13
	v_cmp_gt_u32_e32 vcc, s21, v0
                                        ; implicit-def: $vgpr1
	s_and_saveexec_b64 s[0:1], vcc
	s_cbranch_execz .LBB29_6
; %bb.5:
	s_waitcnt vmcnt(7)
	v_mov_b32_e32 v1, s18
	s_waitcnt vmcnt(6)
	v_add_co_u32_e32 v2, vcc, s11, v0
	v_addc_co_u32_e32 v1, vcc, 0, v1, vcc
	s_waitcnt vmcnt(5)
	v_subrev_u32_e32 v3, s13, v0
	s_waitcnt vmcnt(4)
	v_mov_b32_e32 v5, s9
	s_waitcnt vmcnt(3)
	v_add_co_u32_e32 v6, vcc, s8, v3
	v_addc_co_u32_e32 v3, vcc, 0, v5, vcc
	v_cmp_gt_u32_e32 vcc, s13, v0
	v_cndmask_b32_e32 v3, v3, v1, vcc
	v_cndmask_b32_e32 v2, v6, v2, vcc
	global_load_ubyte v1, v[2:3], off
.LBB29_6:
	s_or_b64 exec, exec, s[0:1]
	v_cmp_gt_u32_e32 vcc, s21, v10
                                        ; implicit-def: $vgpr2
	s_and_saveexec_b64 s[0:1], vcc
	s_cbranch_execz .LBB29_8
; %bb.7:
	s_waitcnt vmcnt(6)
	v_mov_b32_e32 v2, s18
	s_waitcnt vmcnt(4)
	v_add_co_u32_e32 v5, vcc, s11, v10
	v_addc_co_u32_e32 v2, vcc, 0, v2, vcc
	v_subrev_u32_e32 v3, s13, v10
	s_waitcnt vmcnt(3)
	v_mov_b32_e32 v6, s9
	s_waitcnt vmcnt(2)
	v_add_co_u32_e32 v7, vcc, s8, v3
	v_addc_co_u32_e32 v3, vcc, 0, v6, vcc
	v_cmp_gt_u32_e32 vcc, s13, v10
	v_cndmask_b32_e32 v3, v3, v2, vcc
	v_cndmask_b32_e32 v2, v7, v5, vcc
	global_load_ubyte v2, v[2:3], off
.LBB29_8:
	s_or_b64 exec, exec, s[0:1]
	v_cmp_gt_u32_e32 vcc, s21, v8
                                        ; implicit-def: $vgpr3
	s_and_saveexec_b64 s[0:1], vcc
	s_cbranch_execz .LBB29_10
; %bb.9:
	s_waitcnt vmcnt(5)
	v_mov_b32_e32 v3, s18
	s_waitcnt vmcnt(4)
	v_add_co_u32_e32 v5, vcc, s11, v8
	v_addc_co_u32_e32 v3, vcc, 0, v3, vcc
	s_waitcnt vmcnt(3)
	v_subrev_u32_e32 v6, s13, v8
	s_waitcnt vmcnt(2)
	v_mov_b32_e32 v7, s9
	v_add_co_u32_e32 v6, vcc, s8, v6
	v_addc_co_u32_e32 v7, vcc, 0, v7, vcc
	v_cmp_gt_u32_e32 vcc, s13, v8
	v_cndmask_b32_e32 v7, v7, v3, vcc
	v_cndmask_b32_e32 v6, v6, v5, vcc
	global_load_ubyte v3, v[6:7], off
.LBB29_10:
	s_or_b64 exec, exec, s[0:1]
	s_waitcnt vmcnt(3)
	v_add_u32_e32 v6, v8, v4
	v_cmp_gt_u32_e32 vcc, s21, v6
                                        ; implicit-def: $vgpr5
	s_and_saveexec_b64 s[0:1], vcc
	s_cbranch_execz .LBB29_12
; %bb.11:
	v_mov_b32_e32 v5, s18
	s_waitcnt vmcnt(2)
	v_add_co_u32_e32 v7, vcc, s11, v6
	v_addc_co_u32_e32 v5, vcc, 0, v5, vcc
	v_subrev_u32_e32 v8, s13, v6
	s_waitcnt vmcnt(1)
	v_mov_b32_e32 v9, s9
	v_add_co_u32_e32 v8, vcc, s8, v8
	v_addc_co_u32_e32 v9, vcc, 0, v9, vcc
	v_cmp_gt_u32_e32 vcc, s13, v6
	v_cndmask_b32_e32 v9, v9, v5, vcc
	v_cndmask_b32_e32 v8, v8, v7, vcc
	global_load_ubyte v5, v[8:9], off
.LBB29_12:
	s_or_b64 exec, exec, s[0:1]
	s_waitcnt vmcnt(2)
	v_add_u32_e32 v7, v6, v4
	v_cmp_gt_u32_e32 vcc, s21, v7
                                        ; implicit-def: $vgpr6
	s_and_saveexec_b64 s[0:1], vcc
	s_cbranch_execz .LBB29_14
; %bb.13:
	v_mov_b32_e32 v6, s18
	v_add_co_u32_e32 v8, vcc, s11, v7
	v_addc_co_u32_e32 v6, vcc, 0, v6, vcc
	s_waitcnt vmcnt(1)
	v_subrev_u32_e32 v9, s13, v7
	v_mov_b32_e32 v10, s9
	s_waitcnt vmcnt(0)
	v_add_co_u32_e32 v11, vcc, s8, v9
	v_addc_co_u32_e32 v9, vcc, 0, v10, vcc
	v_cmp_gt_u32_e32 vcc, s13, v7
	v_cndmask_b32_e32 v9, v9, v6, vcc
	v_cndmask_b32_e32 v8, v11, v8, vcc
	global_load_ubyte v6, v[8:9], off
.LBB29_14:
	s_or_b64 exec, exec, s[0:1]
	v_add_u32_e32 v8, v7, v4
	v_cmp_gt_u32_e32 vcc, s21, v8
                                        ; implicit-def: $vgpr7
	s_and_saveexec_b64 s[0:1], vcc
	s_cbranch_execz .LBB29_16
; %bb.15:
	v_mov_b32_e32 v7, s18
	s_waitcnt vmcnt(1)
	v_add_co_u32_e32 v9, vcc, s11, v8
	v_addc_co_u32_e32 v7, vcc, 0, v7, vcc
	v_subrev_u32_e32 v10, s13, v8
	s_waitcnt vmcnt(0)
	v_mov_b32_e32 v11, s9
	v_add_co_u32_e32 v10, vcc, s8, v10
	v_addc_co_u32_e32 v11, vcc, 0, v11, vcc
	v_cmp_gt_u32_e32 vcc, s13, v8
	v_cndmask_b32_e32 v11, v11, v7, vcc
	v_cndmask_b32_e32 v10, v10, v9, vcc
	global_load_ubyte v7, v[10:11], off
.LBB29_16:
	s_or_b64 exec, exec, s[0:1]
	v_add_u32_e32 v8, v8, v4
	v_cmp_gt_u32_e32 vcc, s21, v8
                                        ; implicit-def: $vgpr9
	s_and_saveexec_b64 s[0:1], vcc
	s_cbranch_execz .LBB29_18
; %bb.17:
	s_waitcnt vmcnt(1)
	v_mov_b32_e32 v9, s18
	v_add_co_u32_e32 v10, vcc, s11, v8
	v_addc_co_u32_e32 v9, vcc, 0, v9, vcc
	s_waitcnt vmcnt(0)
	v_subrev_u32_e32 v11, s13, v8
	v_mov_b32_e32 v12, s9
	v_add_co_u32_e32 v13, vcc, s8, v11
	v_addc_co_u32_e32 v11, vcc, 0, v12, vcc
	v_cmp_gt_u32_e32 vcc, s13, v8
	v_cndmask_b32_e32 v11, v11, v9, vcc
	v_cndmask_b32_e32 v10, v13, v10, vcc
	global_load_ubyte v9, v[10:11], off
.LBB29_18:
	s_or_b64 exec, exec, s[0:1]
	v_add_u32_e32 v4, v8, v4
	v_cmp_gt_u32_e32 vcc, s21, v4
                                        ; implicit-def: $vgpr11
	s_and_saveexec_b64 s[0:1], vcc
	s_cbranch_execz .LBB29_20
; %bb.19:
	v_mov_b32_e32 v8, s18
	v_add_co_u32_e32 v10, vcc, s11, v4
	v_addc_co_u32_e32 v8, vcc, 0, v8, vcc
	s_waitcnt vmcnt(0)
	v_subrev_u32_e32 v11, s13, v4
	v_mov_b32_e32 v12, s9
	v_add_co_u32_e32 v13, vcc, s8, v11
	v_addc_co_u32_e32 v11, vcc, 0, v12, vcc
	v_cmp_gt_u32_e32 vcc, s13, v4
	v_cndmask_b32_e32 v11, v11, v8, vcc
	v_cndmask_b32_e32 v10, v13, v10, vcc
	global_load_ubyte v11, v[10:11], off
.LBB29_20:
	s_or_b64 exec, exec, s[0:1]
.LBB29_21:
	v_lshlrev_b32_e32 v4, 3, v0
	v_min_u32_e32 v10, s21, v4
	v_sub_u32_e64 v8, v10, s7 clamp
	v_min_u32_e32 v12, s13, v10
	v_cmp_lt_u32_e32 vcc, v8, v12
	s_waitcnt vmcnt(0)
	ds_write_b8 v0, v1
	ds_write_b8 v0, v2 offset:128
	ds_write_b8 v0, v3 offset:256
	;; [unrolled: 1-line block ×7, first 2 shown]
	s_waitcnt lgkmcnt(0)
	s_barrier
	s_and_saveexec_b64 s[0:1], vcc
	s_cbranch_execz .LBB29_25
; %bb.22:
	v_add_u32_e32 v13, s13, v10
	s_mov_b64 s[2:3], 0
.LBB29_23:                              ; =>This Inner Loop Header: Depth=1
	v_add_u32_e32 v14, v12, v8
	v_lshrrev_b32_e32 v14, 1, v14
	v_xad_u32 v15, v14, -1, v13
	ds_read_i8 v16, v14
	ds_read_i8 v15, v15
	v_add_u32_e32 v17, 1, v14
	s_waitcnt lgkmcnt(0)
	v_cmp_gt_i16_e32 vcc, v16, v15
	v_cndmask_b32_e32 v12, v12, v14, vcc
	v_cndmask_b32_e32 v8, v17, v8, vcc
	v_cmp_ge_u32_e32 vcc, v8, v12
	s_or_b64 s[2:3], vcc, s[2:3]
	s_andn2_b64 exec, exec, s[2:3]
	s_cbranch_execnz .LBB29_23
; %bb.24:
	s_or_b64 exec, exec, s[2:3]
.LBB29_25:
	s_or_b64 exec, exec, s[0:1]
	v_sub_u32_e32 v10, v10, v8
	v_add_u32_e32 v10, s13, v10
	v_cmp_ge_u32_e32 vcc, s13, v8
	v_cmp_ge_u32_e64 s[0:1], s21, v10
	s_or_b64 s[0:1], vcc, s[0:1]
	s_and_saveexec_b64 s[18:19], s[0:1]
	s_cbranch_execz .LBB29_31
; %bb.26:
	v_cmp_gt_u32_e32 vcc, s13, v8
                                        ; implicit-def: $vgpr1
	s_and_saveexec_b64 s[0:1], vcc
	s_cbranch_execz .LBB29_28
; %bb.27:
	ds_read_u8 v1, v8
.LBB29_28:
	s_or_b64 exec, exec, s[0:1]
	v_cmp_le_u32_e64 s[0:1], s21, v10
	v_cmp_gt_u32_e64 s[2:3], s21, v10
                                        ; implicit-def: $vgpr2
	s_and_saveexec_b64 s[4:5], s[2:3]
	s_cbranch_execz .LBB29_30
; %bb.29:
	ds_read_u8 v2, v10
.LBB29_30:
	s_or_b64 exec, exec, s[4:5]
	s_waitcnt lgkmcnt(0)
	v_cmp_le_i16_sdwa s[2:3], sext(v1), sext(v2) src0_sel:BYTE_0 src1_sel:BYTE_0
	s_and_b64 s[2:3], vcc, s[2:3]
	s_or_b64 vcc, s[0:1], s[2:3]
	v_mov_b32_e32 v5, s21
	v_mov_b32_e32 v6, s13
	v_cndmask_b32_e32 v3, v10, v8, vcc
	v_cndmask_b32_e32 v7, v5, v6, vcc
	v_add_u32_e32 v3, 1, v3
	v_add_u32_e32 v7, -1, v7
	v_min_u32_e32 v7, v3, v7
	ds_read_u8 v7, v7
	v_cndmask_b32_e32 v10, v3, v10, vcc
	v_cndmask_b32_e32 v3, v8, v3, vcc
	v_cmp_gt_u32_e64 s[2:3], s13, v3
	v_cmp_le_u32_e64 s[0:1], s21, v10
	s_waitcnt lgkmcnt(0)
	v_cndmask_b32_e32 v9, v7, v2, vcc
	v_cndmask_b32_e32 v7, v1, v7, vcc
	v_cmp_le_i16_sdwa s[4:5], sext(v7), sext(v9) src0_sel:BYTE_0 src1_sel:BYTE_0
	s_and_b64 s[2:3], s[2:3], s[4:5]
	s_or_b64 s[0:1], s[0:1], s[2:3]
	v_cndmask_b32_e64 v8, v10, v3, s[0:1]
	v_cndmask_b32_e64 v11, v5, v6, s[0:1]
	v_add_u32_e32 v8, 1, v8
	v_add_u32_e32 v11, -1, v11
	v_min_u32_e32 v11, v8, v11
	ds_read_u8 v11, v11
	v_cndmask_b32_e64 v3, v3, v8, s[0:1]
	v_cndmask_b32_e64 v10, v8, v10, s[0:1]
	v_cmp_gt_u32_e64 s[4:5], s13, v3
	v_cmp_le_u32_e64 s[2:3], s21, v10
	s_waitcnt lgkmcnt(0)
	v_cndmask_b32_e64 v12, v11, v9, s[0:1]
	v_cndmask_b32_e64 v11, v7, v11, s[0:1]
	v_cmp_le_i16_sdwa s[6:7], sext(v11), sext(v12) src0_sel:BYTE_0 src1_sel:BYTE_0
	s_and_b64 s[4:5], s[4:5], s[6:7]
	s_or_b64 s[2:3], s[2:3], s[4:5]
	v_cndmask_b32_e64 v8, v10, v3, s[2:3]
	v_cndmask_b32_e64 v13, v5, v6, s[2:3]
	v_add_u32_e32 v8, 1, v8
	v_add_u32_e32 v13, -1, v13
	v_min_u32_e32 v13, v8, v13
	ds_read_u8 v13, v13
	v_cndmask_b32_e64 v3, v3, v8, s[2:3]
	v_cndmask_b32_e64 v10, v8, v10, s[2:3]
	v_cmp_gt_u32_e64 s[6:7], s13, v3
	v_cmp_le_u32_e64 s[4:5], s21, v10
	s_waitcnt lgkmcnt(0)
	v_cndmask_b32_e64 v14, v13, v12, s[2:3]
	v_cndmask_b32_e64 v13, v11, v13, s[2:3]
	v_cmp_le_i16_sdwa s[8:9], sext(v13), sext(v14) src0_sel:BYTE_0 src1_sel:BYTE_0
	s_and_b64 s[6:7], s[6:7], s[8:9]
	s_or_b64 s[4:5], s[4:5], s[6:7]
	v_cndmask_b32_e64 v8, v10, v3, s[4:5]
	v_cndmask_b32_e64 v15, v5, v6, s[4:5]
	v_add_u32_e32 v8, 1, v8
	v_add_u32_e32 v15, -1, v15
	v_min_u32_e32 v15, v8, v15
	ds_read_u8 v15, v15
	v_cndmask_b32_e64 v3, v3, v8, s[4:5]
	v_cndmask_b32_e64 v10, v8, v10, s[4:5]
	v_cmp_gt_u32_e64 s[8:9], s13, v3
	v_cmp_le_u32_e64 s[6:7], s21, v10
	s_waitcnt lgkmcnt(0)
	v_cndmask_b32_e64 v16, v15, v14, s[4:5]
	v_cndmask_b32_e64 v15, v13, v15, s[4:5]
	v_cmp_le_i16_sdwa s[10:11], sext(v15), sext(v16) src0_sel:BYTE_0 src1_sel:BYTE_0
	s_and_b64 s[8:9], s[8:9], s[10:11]
	s_or_b64 s[6:7], s[6:7], s[8:9]
	v_cndmask_b32_e64 v8, v10, v3, s[6:7]
	v_cndmask_b32_e64 v17, v5, v6, s[6:7]
	v_add_u32_e32 v8, 1, v8
	v_add_u32_e32 v17, -1, v17
	v_min_u32_e32 v17, v8, v17
	ds_read_u8 v17, v17
	v_cndmask_b32_e64 v10, v8, v10, s[6:7]
	v_cndmask_b32_e64 v8, v3, v8, s[6:7]
	v_cmp_gt_u32_e64 s[10:11], s13, v8
	v_cmp_le_u32_e64 s[8:9], s21, v10
	s_waitcnt lgkmcnt(0)
	v_cndmask_b32_e64 v18, v17, v16, s[6:7]
	v_cndmask_b32_e64 v17, v15, v17, s[6:7]
	v_cmp_le_i16_sdwa s[22:23], sext(v17), sext(v18) src0_sel:BYTE_0 src1_sel:BYTE_0
	s_and_b64 s[10:11], s[10:11], s[22:23]
	s_or_b64 s[8:9], s[8:9], s[10:11]
	v_cndmask_b32_e64 v3, v10, v8, s[8:9]
	v_cndmask_b32_e64 v19, v5, v6, s[8:9]
	v_add_u32_e32 v20, 1, v3
	v_add_u32_e32 v3, -1, v19
	v_min_u32_e32 v3, v20, v3
	ds_read_u8 v19, v3
	v_cndmask_b32_e64 v3, v12, v11, s[2:3]
	v_cndmask_b32_e64 v8, v8, v20, s[8:9]
	v_cndmask_b32_e32 v1, v2, v1, vcc
	v_cndmask_b32_e64 v2, v9, v7, s[0:1]
	s_waitcnt lgkmcnt(0)
	v_cndmask_b32_e64 v11, v19, v18, s[8:9]
	v_cndmask_b32_e64 v12, v17, v19, s[8:9]
	v_cndmask_b32_e64 v10, v20, v10, s[8:9]
	v_cmp_gt_u32_e64 s[0:1], s13, v8
	v_cmp_le_i16_sdwa s[2:3], sext(v12), sext(v11) src0_sel:BYTE_0 src1_sel:BYTE_0
	v_cmp_le_u32_e32 vcc, s21, v10
	s_and_b64 s[0:1], s[0:1], s[2:3]
	s_or_b64 vcc, vcc, s[0:1]
	v_cndmask_b32_e32 v7, v10, v8, vcc
	v_cndmask_b32_e32 v5, v5, v6, vcc
	v_add_u32_e32 v19, 1, v7
	v_add_u32_e32 v5, -1, v5
	v_min_u32_e32 v5, v19, v5
	ds_read_u8 v20, v5
	v_cndmask_b32_e32 v9, v11, v12, vcc
	v_cndmask_b32_e32 v8, v8, v19, vcc
	;; [unrolled: 1-line block ×3, first 2 shown]
	v_cmp_gt_u32_e64 s[0:1], s13, v8
	s_waitcnt lgkmcnt(0)
	v_cndmask_b32_e32 v11, v20, v11, vcc
	v_cndmask_b32_e32 v12, v12, v20, vcc
	v_cmp_le_i16_sdwa s[2:3], sext(v12), sext(v11) src0_sel:BYTE_0 src1_sel:BYTE_0
	v_cmp_le_u32_e32 vcc, s21, v10
	s_and_b64 s[0:1], s[0:1], s[2:3]
	s_or_b64 vcc, vcc, s[0:1]
	v_cndmask_b32_e64 v5, v14, v13, s[4:5]
	v_cndmask_b32_e64 v6, v16, v15, s[6:7]
	;; [unrolled: 1-line block ×3, first 2 shown]
	v_cndmask_b32_e32 v11, v11, v12, vcc
.LBB29_31:
	s_or_b64 exec, exec, s[18:19]
	v_lshlrev_b16_e32 v7, 8, v7
	v_lshlrev_b16_e32 v2, 8, v2
	v_lshrrev_b32_e32 v8, 2, v0
	v_or_b32_sdwa v6, v6, v7 dst_sel:DWORD dst_unused:UNUSED_PAD src0_sel:BYTE_0 src1_sel:DWORD
	v_lshlrev_b16_e32 v7, 8, v11
	v_or_b32_sdwa v1, v1, v2 dst_sel:DWORD dst_unused:UNUSED_PAD src0_sel:BYTE_0 src1_sel:DWORD
	v_lshlrev_b16_e32 v2, 8, v5
	s_add_u32 s0, s16, s20
	v_and_b32_e32 v8, 28, v8
	v_or_b32_sdwa v7, v9, v7 dst_sel:WORD_1 dst_unused:UNUSED_PAD src0_sel:BYTE_0 src1_sel:DWORD
	v_or_b32_sdwa v2, v3, v2 dst_sel:WORD_1 dst_unused:UNUSED_PAD src0_sel:BYTE_0 src1_sel:DWORD
	s_addc_u32 s1, s17, 0
	v_add_u32_e32 v4, v8, v4
	v_or_b32_sdwa v6, v6, v7 dst_sel:DWORD dst_unused:UNUSED_PAD src0_sel:WORD_0 src1_sel:DWORD
	v_or_b32_sdwa v1, v1, v2 dst_sel:DWORD dst_unused:UNUSED_PAD src0_sel:WORD_0 src1_sel:DWORD
	s_barrier
	s_barrier
	ds_write2_b32 v4, v1, v6 offset1:1
	v_mov_b32_e32 v1, s1
	v_add_co_u32_e32 v2, vcc, s0, v0
	v_addc_co_u32_e32 v3, vcc, 0, v1, vcc
	s_and_b64 vcc, exec, s[14:15]
	v_add_u32_e32 v4, 4, v0
	v_add_u32_e32 v5, 8, v0
	;; [unrolled: 1-line block ×7, first 2 shown]
	s_waitcnt lgkmcnt(0)
	s_cbranch_vccz .LBB29_33
; %bb.32:
	s_barrier
	ds_read_u8 v11, v0
	ds_read_u8 v12, v4 offset:128
	ds_read_u8 v13, v5 offset:256
	;; [unrolled: 1-line block ×7, first 2 shown]
	s_waitcnt lgkmcnt(7)
	global_store_byte v[2:3], v11, off
	s_waitcnt lgkmcnt(6)
	global_store_byte v[2:3], v12, off offset:128
	s_waitcnt lgkmcnt(5)
	global_store_byte v[2:3], v13, off offset:256
	;; [unrolled: 2-line block ×6, first 2 shown]
	s_mov_b64 s[0:1], -1
	s_cbranch_execz .LBB29_34
	s_branch .LBB29_49
.LBB29_33:
	s_mov_b64 s[0:1], 0
                                        ; implicit-def: $vgpr1
.LBB29_34:
	s_barrier
	s_waitcnt lgkmcnt(0)
	ds_read_u8 v13, v4 offset:128
	ds_read_u8 v12, v5 offset:256
	;; [unrolled: 1-line block ×7, first 2 shown]
	s_sub_i32 s2, s12, s20
	v_or_b32_e32 v7, 0x80, v0
	v_cmp_gt_u32_e32 vcc, s2, v0
	s_and_saveexec_b64 s[0:1], vcc
	s_cbranch_execz .LBB29_36
; %bb.35:
	ds_read_u8 v8, v0
	s_waitcnt lgkmcnt(0)
	global_store_byte v[2:3], v8, off
.LBB29_36:
	s_or_b64 exec, exec, s[0:1]
	v_or_b32_e32 v8, 0x100, v0
	v_cmp_gt_u32_e32 vcc, s2, v7
	s_and_saveexec_b64 s[0:1], vcc
	s_cbranch_execz .LBB29_38
; %bb.37:
	s_waitcnt lgkmcnt(6)
	global_store_byte v[2:3], v13, off offset:128
.LBB29_38:
	s_or_b64 exec, exec, s[0:1]
	v_or_b32_e32 v7, 0x180, v0
	v_cmp_gt_u32_e32 vcc, s2, v8
	s_and_saveexec_b64 s[0:1], vcc
	s_cbranch_execz .LBB29_40
; %bb.39:
	s_waitcnt lgkmcnt(5)
	global_store_byte v[2:3], v12, off offset:256
.LBB29_40:
	;; [unrolled: 9-line block ×4, first 2 shown]
	s_or_b64 exec, exec, s[0:1]
	s_waitcnt lgkmcnt(3)
	v_or_b32_e32 v6, 0x300, v0
	v_cmp_gt_u32_e32 vcc, s2, v7
	s_and_saveexec_b64 s[0:1], vcc
	s_cbranch_execz .LBB29_46
; %bb.45:
	s_waitcnt lgkmcnt(2)
	global_store_byte v[2:3], v5, off offset:640
.LBB29_46:
	s_or_b64 exec, exec, s[0:1]
	v_or_b32_e32 v0, 0x380, v0
	v_cmp_gt_u32_e32 vcc, s2, v6
	s_and_saveexec_b64 s[0:1], vcc
	s_cbranch_execz .LBB29_48
; %bb.47:
	s_waitcnt lgkmcnt(1)
	global_store_byte v[2:3], v4, off offset:768
.LBB29_48:
	s_or_b64 exec, exec, s[0:1]
	v_cmp_gt_u32_e64 s[0:1], s2, v0
.LBB29_49:
	s_and_saveexec_b64 s[2:3], s[0:1]
	s_cbranch_execz .LBB29_51
; %bb.50:
	s_waitcnt lgkmcnt(0)
	global_store_byte v[2:3], v1, off offset:896
.LBB29_51:
	s_endpgm
	.section	.rodata,"a",@progbits
	.p2align	6, 0x0
	.amdhsa_kernel _ZN7rocprim17ROCPRIM_400000_NS6detail17trampoline_kernelINS0_14default_configENS1_38merge_sort_block_merge_config_selectorIcNS0_10empty_typeEEEZZNS1_27merge_sort_block_merge_implIS3_PcPS5_jNS1_19radix_merge_compareILb0ELb0EcNS0_19identity_decomposerEEEEE10hipError_tT0_T1_T2_jT3_P12ihipStream_tbPNSt15iterator_traitsISE_E10value_typeEPNSK_ISF_E10value_typeEPSG_NS1_7vsmem_tEENKUlT_SE_SF_SG_E_clIS8_S8_S9_S9_EESD_ST_SE_SF_SG_EUlST_E0_NS1_11comp_targetILNS1_3genE4ELNS1_11target_archE910ELNS1_3gpuE8ELNS1_3repE0EEENS1_38merge_mergepath_config_static_selectorELNS0_4arch9wavefront6targetE1EEEvSF_
		.amdhsa_group_segment_fixed_size 1056
		.amdhsa_private_segment_fixed_size 0
		.amdhsa_kernarg_size 320
		.amdhsa_user_sgpr_count 6
		.amdhsa_user_sgpr_private_segment_buffer 1
		.amdhsa_user_sgpr_dispatch_ptr 0
		.amdhsa_user_sgpr_queue_ptr 0
		.amdhsa_user_sgpr_kernarg_segment_ptr 1
		.amdhsa_user_sgpr_dispatch_id 0
		.amdhsa_user_sgpr_flat_scratch_init 0
		.amdhsa_user_sgpr_kernarg_preload_length 0
		.amdhsa_user_sgpr_kernarg_preload_offset 0
		.amdhsa_user_sgpr_private_segment_size 0
		.amdhsa_uses_dynamic_stack 0
		.amdhsa_system_sgpr_private_segment_wavefront_offset 0
		.amdhsa_system_sgpr_workgroup_id_x 1
		.amdhsa_system_sgpr_workgroup_id_y 1
		.amdhsa_system_sgpr_workgroup_id_z 1
		.amdhsa_system_sgpr_workgroup_info 0
		.amdhsa_system_vgpr_workitem_id 0
		.amdhsa_next_free_vgpr 28
		.amdhsa_next_free_sgpr 24
		.amdhsa_accum_offset 28
		.amdhsa_reserve_vcc 1
		.amdhsa_reserve_flat_scratch 0
		.amdhsa_float_round_mode_32 0
		.amdhsa_float_round_mode_16_64 0
		.amdhsa_float_denorm_mode_32 3
		.amdhsa_float_denorm_mode_16_64 3
		.amdhsa_dx10_clamp 1
		.amdhsa_ieee_mode 1
		.amdhsa_fp16_overflow 0
		.amdhsa_tg_split 0
		.amdhsa_exception_fp_ieee_invalid_op 0
		.amdhsa_exception_fp_denorm_src 0
		.amdhsa_exception_fp_ieee_div_zero 0
		.amdhsa_exception_fp_ieee_overflow 0
		.amdhsa_exception_fp_ieee_underflow 0
		.amdhsa_exception_fp_ieee_inexact 0
		.amdhsa_exception_int_div_zero 0
	.end_amdhsa_kernel
	.section	.text._ZN7rocprim17ROCPRIM_400000_NS6detail17trampoline_kernelINS0_14default_configENS1_38merge_sort_block_merge_config_selectorIcNS0_10empty_typeEEEZZNS1_27merge_sort_block_merge_implIS3_PcPS5_jNS1_19radix_merge_compareILb0ELb0EcNS0_19identity_decomposerEEEEE10hipError_tT0_T1_T2_jT3_P12ihipStream_tbPNSt15iterator_traitsISE_E10value_typeEPNSK_ISF_E10value_typeEPSG_NS1_7vsmem_tEENKUlT_SE_SF_SG_E_clIS8_S8_S9_S9_EESD_ST_SE_SF_SG_EUlST_E0_NS1_11comp_targetILNS1_3genE4ELNS1_11target_archE910ELNS1_3gpuE8ELNS1_3repE0EEENS1_38merge_mergepath_config_static_selectorELNS0_4arch9wavefront6targetE1EEEvSF_,"axG",@progbits,_ZN7rocprim17ROCPRIM_400000_NS6detail17trampoline_kernelINS0_14default_configENS1_38merge_sort_block_merge_config_selectorIcNS0_10empty_typeEEEZZNS1_27merge_sort_block_merge_implIS3_PcPS5_jNS1_19radix_merge_compareILb0ELb0EcNS0_19identity_decomposerEEEEE10hipError_tT0_T1_T2_jT3_P12ihipStream_tbPNSt15iterator_traitsISE_E10value_typeEPNSK_ISF_E10value_typeEPSG_NS1_7vsmem_tEENKUlT_SE_SF_SG_E_clIS8_S8_S9_S9_EESD_ST_SE_SF_SG_EUlST_E0_NS1_11comp_targetILNS1_3genE4ELNS1_11target_archE910ELNS1_3gpuE8ELNS1_3repE0EEENS1_38merge_mergepath_config_static_selectorELNS0_4arch9wavefront6targetE1EEEvSF_,comdat
.Lfunc_end29:
	.size	_ZN7rocprim17ROCPRIM_400000_NS6detail17trampoline_kernelINS0_14default_configENS1_38merge_sort_block_merge_config_selectorIcNS0_10empty_typeEEEZZNS1_27merge_sort_block_merge_implIS3_PcPS5_jNS1_19radix_merge_compareILb0ELb0EcNS0_19identity_decomposerEEEEE10hipError_tT0_T1_T2_jT3_P12ihipStream_tbPNSt15iterator_traitsISE_E10value_typeEPNSK_ISF_E10value_typeEPSG_NS1_7vsmem_tEENKUlT_SE_SF_SG_E_clIS8_S8_S9_S9_EESD_ST_SE_SF_SG_EUlST_E0_NS1_11comp_targetILNS1_3genE4ELNS1_11target_archE910ELNS1_3gpuE8ELNS1_3repE0EEENS1_38merge_mergepath_config_static_selectorELNS0_4arch9wavefront6targetE1EEEvSF_, .Lfunc_end29-_ZN7rocprim17ROCPRIM_400000_NS6detail17trampoline_kernelINS0_14default_configENS1_38merge_sort_block_merge_config_selectorIcNS0_10empty_typeEEEZZNS1_27merge_sort_block_merge_implIS3_PcPS5_jNS1_19radix_merge_compareILb0ELb0EcNS0_19identity_decomposerEEEEE10hipError_tT0_T1_T2_jT3_P12ihipStream_tbPNSt15iterator_traitsISE_E10value_typeEPNSK_ISF_E10value_typeEPSG_NS1_7vsmem_tEENKUlT_SE_SF_SG_E_clIS8_S8_S9_S9_EESD_ST_SE_SF_SG_EUlST_E0_NS1_11comp_targetILNS1_3genE4ELNS1_11target_archE910ELNS1_3gpuE8ELNS1_3repE0EEENS1_38merge_mergepath_config_static_selectorELNS0_4arch9wavefront6targetE1EEEvSF_
                                        ; -- End function
	.section	.AMDGPU.csdata,"",@progbits
; Kernel info:
; codeLenInByte = 3112
; NumSgprs: 28
; NumVgprs: 28
; NumAgprs: 0
; TotalNumVgprs: 28
; ScratchSize: 0
; MemoryBound: 0
; FloatMode: 240
; IeeeMode: 1
; LDSByteSize: 1056 bytes/workgroup (compile time only)
; SGPRBlocks: 3
; VGPRBlocks: 3
; NumSGPRsForWavesPerEU: 28
; NumVGPRsForWavesPerEU: 28
; AccumOffset: 28
; Occupancy: 8
; WaveLimiterHint : 1
; COMPUTE_PGM_RSRC2:SCRATCH_EN: 0
; COMPUTE_PGM_RSRC2:USER_SGPR: 6
; COMPUTE_PGM_RSRC2:TRAP_HANDLER: 0
; COMPUTE_PGM_RSRC2:TGID_X_EN: 1
; COMPUTE_PGM_RSRC2:TGID_Y_EN: 1
; COMPUTE_PGM_RSRC2:TGID_Z_EN: 1
; COMPUTE_PGM_RSRC2:TIDIG_COMP_CNT: 0
; COMPUTE_PGM_RSRC3_GFX90A:ACCUM_OFFSET: 6
; COMPUTE_PGM_RSRC3_GFX90A:TG_SPLIT: 0
	.section	.text._ZN7rocprim17ROCPRIM_400000_NS6detail17trampoline_kernelINS0_14default_configENS1_38merge_sort_block_merge_config_selectorIcNS0_10empty_typeEEEZZNS1_27merge_sort_block_merge_implIS3_PcPS5_jNS1_19radix_merge_compareILb0ELb0EcNS0_19identity_decomposerEEEEE10hipError_tT0_T1_T2_jT3_P12ihipStream_tbPNSt15iterator_traitsISE_E10value_typeEPNSK_ISF_E10value_typeEPSG_NS1_7vsmem_tEENKUlT_SE_SF_SG_E_clIS8_S8_S9_S9_EESD_ST_SE_SF_SG_EUlST_E0_NS1_11comp_targetILNS1_3genE3ELNS1_11target_archE908ELNS1_3gpuE7ELNS1_3repE0EEENS1_38merge_mergepath_config_static_selectorELNS0_4arch9wavefront6targetE1EEEvSF_,"axG",@progbits,_ZN7rocprim17ROCPRIM_400000_NS6detail17trampoline_kernelINS0_14default_configENS1_38merge_sort_block_merge_config_selectorIcNS0_10empty_typeEEEZZNS1_27merge_sort_block_merge_implIS3_PcPS5_jNS1_19radix_merge_compareILb0ELb0EcNS0_19identity_decomposerEEEEE10hipError_tT0_T1_T2_jT3_P12ihipStream_tbPNSt15iterator_traitsISE_E10value_typeEPNSK_ISF_E10value_typeEPSG_NS1_7vsmem_tEENKUlT_SE_SF_SG_E_clIS8_S8_S9_S9_EESD_ST_SE_SF_SG_EUlST_E0_NS1_11comp_targetILNS1_3genE3ELNS1_11target_archE908ELNS1_3gpuE7ELNS1_3repE0EEENS1_38merge_mergepath_config_static_selectorELNS0_4arch9wavefront6targetE1EEEvSF_,comdat
	.protected	_ZN7rocprim17ROCPRIM_400000_NS6detail17trampoline_kernelINS0_14default_configENS1_38merge_sort_block_merge_config_selectorIcNS0_10empty_typeEEEZZNS1_27merge_sort_block_merge_implIS3_PcPS5_jNS1_19radix_merge_compareILb0ELb0EcNS0_19identity_decomposerEEEEE10hipError_tT0_T1_T2_jT3_P12ihipStream_tbPNSt15iterator_traitsISE_E10value_typeEPNSK_ISF_E10value_typeEPSG_NS1_7vsmem_tEENKUlT_SE_SF_SG_E_clIS8_S8_S9_S9_EESD_ST_SE_SF_SG_EUlST_E0_NS1_11comp_targetILNS1_3genE3ELNS1_11target_archE908ELNS1_3gpuE7ELNS1_3repE0EEENS1_38merge_mergepath_config_static_selectorELNS0_4arch9wavefront6targetE1EEEvSF_ ; -- Begin function _ZN7rocprim17ROCPRIM_400000_NS6detail17trampoline_kernelINS0_14default_configENS1_38merge_sort_block_merge_config_selectorIcNS0_10empty_typeEEEZZNS1_27merge_sort_block_merge_implIS3_PcPS5_jNS1_19radix_merge_compareILb0ELb0EcNS0_19identity_decomposerEEEEE10hipError_tT0_T1_T2_jT3_P12ihipStream_tbPNSt15iterator_traitsISE_E10value_typeEPNSK_ISF_E10value_typeEPSG_NS1_7vsmem_tEENKUlT_SE_SF_SG_E_clIS8_S8_S9_S9_EESD_ST_SE_SF_SG_EUlST_E0_NS1_11comp_targetILNS1_3genE3ELNS1_11target_archE908ELNS1_3gpuE7ELNS1_3repE0EEENS1_38merge_mergepath_config_static_selectorELNS0_4arch9wavefront6targetE1EEEvSF_
	.globl	_ZN7rocprim17ROCPRIM_400000_NS6detail17trampoline_kernelINS0_14default_configENS1_38merge_sort_block_merge_config_selectorIcNS0_10empty_typeEEEZZNS1_27merge_sort_block_merge_implIS3_PcPS5_jNS1_19radix_merge_compareILb0ELb0EcNS0_19identity_decomposerEEEEE10hipError_tT0_T1_T2_jT3_P12ihipStream_tbPNSt15iterator_traitsISE_E10value_typeEPNSK_ISF_E10value_typeEPSG_NS1_7vsmem_tEENKUlT_SE_SF_SG_E_clIS8_S8_S9_S9_EESD_ST_SE_SF_SG_EUlST_E0_NS1_11comp_targetILNS1_3genE3ELNS1_11target_archE908ELNS1_3gpuE7ELNS1_3repE0EEENS1_38merge_mergepath_config_static_selectorELNS0_4arch9wavefront6targetE1EEEvSF_
	.p2align	8
	.type	_ZN7rocprim17ROCPRIM_400000_NS6detail17trampoline_kernelINS0_14default_configENS1_38merge_sort_block_merge_config_selectorIcNS0_10empty_typeEEEZZNS1_27merge_sort_block_merge_implIS3_PcPS5_jNS1_19radix_merge_compareILb0ELb0EcNS0_19identity_decomposerEEEEE10hipError_tT0_T1_T2_jT3_P12ihipStream_tbPNSt15iterator_traitsISE_E10value_typeEPNSK_ISF_E10value_typeEPSG_NS1_7vsmem_tEENKUlT_SE_SF_SG_E_clIS8_S8_S9_S9_EESD_ST_SE_SF_SG_EUlST_E0_NS1_11comp_targetILNS1_3genE3ELNS1_11target_archE908ELNS1_3gpuE7ELNS1_3repE0EEENS1_38merge_mergepath_config_static_selectorELNS0_4arch9wavefront6targetE1EEEvSF_,@function
_ZN7rocprim17ROCPRIM_400000_NS6detail17trampoline_kernelINS0_14default_configENS1_38merge_sort_block_merge_config_selectorIcNS0_10empty_typeEEEZZNS1_27merge_sort_block_merge_implIS3_PcPS5_jNS1_19radix_merge_compareILb0ELb0EcNS0_19identity_decomposerEEEEE10hipError_tT0_T1_T2_jT3_P12ihipStream_tbPNSt15iterator_traitsISE_E10value_typeEPNSK_ISF_E10value_typeEPSG_NS1_7vsmem_tEENKUlT_SE_SF_SG_E_clIS8_S8_S9_S9_EESD_ST_SE_SF_SG_EUlST_E0_NS1_11comp_targetILNS1_3genE3ELNS1_11target_archE908ELNS1_3gpuE7ELNS1_3repE0EEENS1_38merge_mergepath_config_static_selectorELNS0_4arch9wavefront6targetE1EEEvSF_: ; @_ZN7rocprim17ROCPRIM_400000_NS6detail17trampoline_kernelINS0_14default_configENS1_38merge_sort_block_merge_config_selectorIcNS0_10empty_typeEEEZZNS1_27merge_sort_block_merge_implIS3_PcPS5_jNS1_19radix_merge_compareILb0ELb0EcNS0_19identity_decomposerEEEEE10hipError_tT0_T1_T2_jT3_P12ihipStream_tbPNSt15iterator_traitsISE_E10value_typeEPNSK_ISF_E10value_typeEPSG_NS1_7vsmem_tEENKUlT_SE_SF_SG_E_clIS8_S8_S9_S9_EESD_ST_SE_SF_SG_EUlST_E0_NS1_11comp_targetILNS1_3genE3ELNS1_11target_archE908ELNS1_3gpuE7ELNS1_3repE0EEENS1_38merge_mergepath_config_static_selectorELNS0_4arch9wavefront6targetE1EEEvSF_
; %bb.0:
	.section	.rodata,"a",@progbits
	.p2align	6, 0x0
	.amdhsa_kernel _ZN7rocprim17ROCPRIM_400000_NS6detail17trampoline_kernelINS0_14default_configENS1_38merge_sort_block_merge_config_selectorIcNS0_10empty_typeEEEZZNS1_27merge_sort_block_merge_implIS3_PcPS5_jNS1_19radix_merge_compareILb0ELb0EcNS0_19identity_decomposerEEEEE10hipError_tT0_T1_T2_jT3_P12ihipStream_tbPNSt15iterator_traitsISE_E10value_typeEPNSK_ISF_E10value_typeEPSG_NS1_7vsmem_tEENKUlT_SE_SF_SG_E_clIS8_S8_S9_S9_EESD_ST_SE_SF_SG_EUlST_E0_NS1_11comp_targetILNS1_3genE3ELNS1_11target_archE908ELNS1_3gpuE7ELNS1_3repE0EEENS1_38merge_mergepath_config_static_selectorELNS0_4arch9wavefront6targetE1EEEvSF_
		.amdhsa_group_segment_fixed_size 0
		.amdhsa_private_segment_fixed_size 0
		.amdhsa_kernarg_size 64
		.amdhsa_user_sgpr_count 6
		.amdhsa_user_sgpr_private_segment_buffer 1
		.amdhsa_user_sgpr_dispatch_ptr 0
		.amdhsa_user_sgpr_queue_ptr 0
		.amdhsa_user_sgpr_kernarg_segment_ptr 1
		.amdhsa_user_sgpr_dispatch_id 0
		.amdhsa_user_sgpr_flat_scratch_init 0
		.amdhsa_user_sgpr_kernarg_preload_length 0
		.amdhsa_user_sgpr_kernarg_preload_offset 0
		.amdhsa_user_sgpr_private_segment_size 0
		.amdhsa_uses_dynamic_stack 0
		.amdhsa_system_sgpr_private_segment_wavefront_offset 0
		.amdhsa_system_sgpr_workgroup_id_x 1
		.amdhsa_system_sgpr_workgroup_id_y 0
		.amdhsa_system_sgpr_workgroup_id_z 0
		.amdhsa_system_sgpr_workgroup_info 0
		.amdhsa_system_vgpr_workitem_id 0
		.amdhsa_next_free_vgpr 1
		.amdhsa_next_free_sgpr 0
		.amdhsa_accum_offset 4
		.amdhsa_reserve_vcc 0
		.amdhsa_reserve_flat_scratch 0
		.amdhsa_float_round_mode_32 0
		.amdhsa_float_round_mode_16_64 0
		.amdhsa_float_denorm_mode_32 3
		.amdhsa_float_denorm_mode_16_64 3
		.amdhsa_dx10_clamp 1
		.amdhsa_ieee_mode 1
		.amdhsa_fp16_overflow 0
		.amdhsa_tg_split 0
		.amdhsa_exception_fp_ieee_invalid_op 0
		.amdhsa_exception_fp_denorm_src 0
		.amdhsa_exception_fp_ieee_div_zero 0
		.amdhsa_exception_fp_ieee_overflow 0
		.amdhsa_exception_fp_ieee_underflow 0
		.amdhsa_exception_fp_ieee_inexact 0
		.amdhsa_exception_int_div_zero 0
	.end_amdhsa_kernel
	.section	.text._ZN7rocprim17ROCPRIM_400000_NS6detail17trampoline_kernelINS0_14default_configENS1_38merge_sort_block_merge_config_selectorIcNS0_10empty_typeEEEZZNS1_27merge_sort_block_merge_implIS3_PcPS5_jNS1_19radix_merge_compareILb0ELb0EcNS0_19identity_decomposerEEEEE10hipError_tT0_T1_T2_jT3_P12ihipStream_tbPNSt15iterator_traitsISE_E10value_typeEPNSK_ISF_E10value_typeEPSG_NS1_7vsmem_tEENKUlT_SE_SF_SG_E_clIS8_S8_S9_S9_EESD_ST_SE_SF_SG_EUlST_E0_NS1_11comp_targetILNS1_3genE3ELNS1_11target_archE908ELNS1_3gpuE7ELNS1_3repE0EEENS1_38merge_mergepath_config_static_selectorELNS0_4arch9wavefront6targetE1EEEvSF_,"axG",@progbits,_ZN7rocprim17ROCPRIM_400000_NS6detail17trampoline_kernelINS0_14default_configENS1_38merge_sort_block_merge_config_selectorIcNS0_10empty_typeEEEZZNS1_27merge_sort_block_merge_implIS3_PcPS5_jNS1_19radix_merge_compareILb0ELb0EcNS0_19identity_decomposerEEEEE10hipError_tT0_T1_T2_jT3_P12ihipStream_tbPNSt15iterator_traitsISE_E10value_typeEPNSK_ISF_E10value_typeEPSG_NS1_7vsmem_tEENKUlT_SE_SF_SG_E_clIS8_S8_S9_S9_EESD_ST_SE_SF_SG_EUlST_E0_NS1_11comp_targetILNS1_3genE3ELNS1_11target_archE908ELNS1_3gpuE7ELNS1_3repE0EEENS1_38merge_mergepath_config_static_selectorELNS0_4arch9wavefront6targetE1EEEvSF_,comdat
.Lfunc_end30:
	.size	_ZN7rocprim17ROCPRIM_400000_NS6detail17trampoline_kernelINS0_14default_configENS1_38merge_sort_block_merge_config_selectorIcNS0_10empty_typeEEEZZNS1_27merge_sort_block_merge_implIS3_PcPS5_jNS1_19radix_merge_compareILb0ELb0EcNS0_19identity_decomposerEEEEE10hipError_tT0_T1_T2_jT3_P12ihipStream_tbPNSt15iterator_traitsISE_E10value_typeEPNSK_ISF_E10value_typeEPSG_NS1_7vsmem_tEENKUlT_SE_SF_SG_E_clIS8_S8_S9_S9_EESD_ST_SE_SF_SG_EUlST_E0_NS1_11comp_targetILNS1_3genE3ELNS1_11target_archE908ELNS1_3gpuE7ELNS1_3repE0EEENS1_38merge_mergepath_config_static_selectorELNS0_4arch9wavefront6targetE1EEEvSF_, .Lfunc_end30-_ZN7rocprim17ROCPRIM_400000_NS6detail17trampoline_kernelINS0_14default_configENS1_38merge_sort_block_merge_config_selectorIcNS0_10empty_typeEEEZZNS1_27merge_sort_block_merge_implIS3_PcPS5_jNS1_19radix_merge_compareILb0ELb0EcNS0_19identity_decomposerEEEEE10hipError_tT0_T1_T2_jT3_P12ihipStream_tbPNSt15iterator_traitsISE_E10value_typeEPNSK_ISF_E10value_typeEPSG_NS1_7vsmem_tEENKUlT_SE_SF_SG_E_clIS8_S8_S9_S9_EESD_ST_SE_SF_SG_EUlST_E0_NS1_11comp_targetILNS1_3genE3ELNS1_11target_archE908ELNS1_3gpuE7ELNS1_3repE0EEENS1_38merge_mergepath_config_static_selectorELNS0_4arch9wavefront6targetE1EEEvSF_
                                        ; -- End function
	.section	.AMDGPU.csdata,"",@progbits
; Kernel info:
; codeLenInByte = 0
; NumSgprs: 4
; NumVgprs: 0
; NumAgprs: 0
; TotalNumVgprs: 0
; ScratchSize: 0
; MemoryBound: 0
; FloatMode: 240
; IeeeMode: 1
; LDSByteSize: 0 bytes/workgroup (compile time only)
; SGPRBlocks: 0
; VGPRBlocks: 0
; NumSGPRsForWavesPerEU: 4
; NumVGPRsForWavesPerEU: 1
; AccumOffset: 4
; Occupancy: 8
; WaveLimiterHint : 0
; COMPUTE_PGM_RSRC2:SCRATCH_EN: 0
; COMPUTE_PGM_RSRC2:USER_SGPR: 6
; COMPUTE_PGM_RSRC2:TRAP_HANDLER: 0
; COMPUTE_PGM_RSRC2:TGID_X_EN: 1
; COMPUTE_PGM_RSRC2:TGID_Y_EN: 0
; COMPUTE_PGM_RSRC2:TGID_Z_EN: 0
; COMPUTE_PGM_RSRC2:TIDIG_COMP_CNT: 0
; COMPUTE_PGM_RSRC3_GFX90A:ACCUM_OFFSET: 0
; COMPUTE_PGM_RSRC3_GFX90A:TG_SPLIT: 0
	.section	.text._ZN7rocprim17ROCPRIM_400000_NS6detail17trampoline_kernelINS0_14default_configENS1_38merge_sort_block_merge_config_selectorIcNS0_10empty_typeEEEZZNS1_27merge_sort_block_merge_implIS3_PcPS5_jNS1_19radix_merge_compareILb0ELb0EcNS0_19identity_decomposerEEEEE10hipError_tT0_T1_T2_jT3_P12ihipStream_tbPNSt15iterator_traitsISE_E10value_typeEPNSK_ISF_E10value_typeEPSG_NS1_7vsmem_tEENKUlT_SE_SF_SG_E_clIS8_S8_S9_S9_EESD_ST_SE_SF_SG_EUlST_E0_NS1_11comp_targetILNS1_3genE2ELNS1_11target_archE906ELNS1_3gpuE6ELNS1_3repE0EEENS1_38merge_mergepath_config_static_selectorELNS0_4arch9wavefront6targetE1EEEvSF_,"axG",@progbits,_ZN7rocprim17ROCPRIM_400000_NS6detail17trampoline_kernelINS0_14default_configENS1_38merge_sort_block_merge_config_selectorIcNS0_10empty_typeEEEZZNS1_27merge_sort_block_merge_implIS3_PcPS5_jNS1_19radix_merge_compareILb0ELb0EcNS0_19identity_decomposerEEEEE10hipError_tT0_T1_T2_jT3_P12ihipStream_tbPNSt15iterator_traitsISE_E10value_typeEPNSK_ISF_E10value_typeEPSG_NS1_7vsmem_tEENKUlT_SE_SF_SG_E_clIS8_S8_S9_S9_EESD_ST_SE_SF_SG_EUlST_E0_NS1_11comp_targetILNS1_3genE2ELNS1_11target_archE906ELNS1_3gpuE6ELNS1_3repE0EEENS1_38merge_mergepath_config_static_selectorELNS0_4arch9wavefront6targetE1EEEvSF_,comdat
	.protected	_ZN7rocprim17ROCPRIM_400000_NS6detail17trampoline_kernelINS0_14default_configENS1_38merge_sort_block_merge_config_selectorIcNS0_10empty_typeEEEZZNS1_27merge_sort_block_merge_implIS3_PcPS5_jNS1_19radix_merge_compareILb0ELb0EcNS0_19identity_decomposerEEEEE10hipError_tT0_T1_T2_jT3_P12ihipStream_tbPNSt15iterator_traitsISE_E10value_typeEPNSK_ISF_E10value_typeEPSG_NS1_7vsmem_tEENKUlT_SE_SF_SG_E_clIS8_S8_S9_S9_EESD_ST_SE_SF_SG_EUlST_E0_NS1_11comp_targetILNS1_3genE2ELNS1_11target_archE906ELNS1_3gpuE6ELNS1_3repE0EEENS1_38merge_mergepath_config_static_selectorELNS0_4arch9wavefront6targetE1EEEvSF_ ; -- Begin function _ZN7rocprim17ROCPRIM_400000_NS6detail17trampoline_kernelINS0_14default_configENS1_38merge_sort_block_merge_config_selectorIcNS0_10empty_typeEEEZZNS1_27merge_sort_block_merge_implIS3_PcPS5_jNS1_19radix_merge_compareILb0ELb0EcNS0_19identity_decomposerEEEEE10hipError_tT0_T1_T2_jT3_P12ihipStream_tbPNSt15iterator_traitsISE_E10value_typeEPNSK_ISF_E10value_typeEPSG_NS1_7vsmem_tEENKUlT_SE_SF_SG_E_clIS8_S8_S9_S9_EESD_ST_SE_SF_SG_EUlST_E0_NS1_11comp_targetILNS1_3genE2ELNS1_11target_archE906ELNS1_3gpuE6ELNS1_3repE0EEENS1_38merge_mergepath_config_static_selectorELNS0_4arch9wavefront6targetE1EEEvSF_
	.globl	_ZN7rocprim17ROCPRIM_400000_NS6detail17trampoline_kernelINS0_14default_configENS1_38merge_sort_block_merge_config_selectorIcNS0_10empty_typeEEEZZNS1_27merge_sort_block_merge_implIS3_PcPS5_jNS1_19radix_merge_compareILb0ELb0EcNS0_19identity_decomposerEEEEE10hipError_tT0_T1_T2_jT3_P12ihipStream_tbPNSt15iterator_traitsISE_E10value_typeEPNSK_ISF_E10value_typeEPSG_NS1_7vsmem_tEENKUlT_SE_SF_SG_E_clIS8_S8_S9_S9_EESD_ST_SE_SF_SG_EUlST_E0_NS1_11comp_targetILNS1_3genE2ELNS1_11target_archE906ELNS1_3gpuE6ELNS1_3repE0EEENS1_38merge_mergepath_config_static_selectorELNS0_4arch9wavefront6targetE1EEEvSF_
	.p2align	8
	.type	_ZN7rocprim17ROCPRIM_400000_NS6detail17trampoline_kernelINS0_14default_configENS1_38merge_sort_block_merge_config_selectorIcNS0_10empty_typeEEEZZNS1_27merge_sort_block_merge_implIS3_PcPS5_jNS1_19radix_merge_compareILb0ELb0EcNS0_19identity_decomposerEEEEE10hipError_tT0_T1_T2_jT3_P12ihipStream_tbPNSt15iterator_traitsISE_E10value_typeEPNSK_ISF_E10value_typeEPSG_NS1_7vsmem_tEENKUlT_SE_SF_SG_E_clIS8_S8_S9_S9_EESD_ST_SE_SF_SG_EUlST_E0_NS1_11comp_targetILNS1_3genE2ELNS1_11target_archE906ELNS1_3gpuE6ELNS1_3repE0EEENS1_38merge_mergepath_config_static_selectorELNS0_4arch9wavefront6targetE1EEEvSF_,@function
_ZN7rocprim17ROCPRIM_400000_NS6detail17trampoline_kernelINS0_14default_configENS1_38merge_sort_block_merge_config_selectorIcNS0_10empty_typeEEEZZNS1_27merge_sort_block_merge_implIS3_PcPS5_jNS1_19radix_merge_compareILb0ELb0EcNS0_19identity_decomposerEEEEE10hipError_tT0_T1_T2_jT3_P12ihipStream_tbPNSt15iterator_traitsISE_E10value_typeEPNSK_ISF_E10value_typeEPSG_NS1_7vsmem_tEENKUlT_SE_SF_SG_E_clIS8_S8_S9_S9_EESD_ST_SE_SF_SG_EUlST_E0_NS1_11comp_targetILNS1_3genE2ELNS1_11target_archE906ELNS1_3gpuE6ELNS1_3repE0EEENS1_38merge_mergepath_config_static_selectorELNS0_4arch9wavefront6targetE1EEEvSF_: ; @_ZN7rocprim17ROCPRIM_400000_NS6detail17trampoline_kernelINS0_14default_configENS1_38merge_sort_block_merge_config_selectorIcNS0_10empty_typeEEEZZNS1_27merge_sort_block_merge_implIS3_PcPS5_jNS1_19radix_merge_compareILb0ELb0EcNS0_19identity_decomposerEEEEE10hipError_tT0_T1_T2_jT3_P12ihipStream_tbPNSt15iterator_traitsISE_E10value_typeEPNSK_ISF_E10value_typeEPSG_NS1_7vsmem_tEENKUlT_SE_SF_SG_E_clIS8_S8_S9_S9_EESD_ST_SE_SF_SG_EUlST_E0_NS1_11comp_targetILNS1_3genE2ELNS1_11target_archE906ELNS1_3gpuE6ELNS1_3repE0EEENS1_38merge_mergepath_config_static_selectorELNS0_4arch9wavefront6targetE1EEEvSF_
; %bb.0:
	.section	.rodata,"a",@progbits
	.p2align	6, 0x0
	.amdhsa_kernel _ZN7rocprim17ROCPRIM_400000_NS6detail17trampoline_kernelINS0_14default_configENS1_38merge_sort_block_merge_config_selectorIcNS0_10empty_typeEEEZZNS1_27merge_sort_block_merge_implIS3_PcPS5_jNS1_19radix_merge_compareILb0ELb0EcNS0_19identity_decomposerEEEEE10hipError_tT0_T1_T2_jT3_P12ihipStream_tbPNSt15iterator_traitsISE_E10value_typeEPNSK_ISF_E10value_typeEPSG_NS1_7vsmem_tEENKUlT_SE_SF_SG_E_clIS8_S8_S9_S9_EESD_ST_SE_SF_SG_EUlST_E0_NS1_11comp_targetILNS1_3genE2ELNS1_11target_archE906ELNS1_3gpuE6ELNS1_3repE0EEENS1_38merge_mergepath_config_static_selectorELNS0_4arch9wavefront6targetE1EEEvSF_
		.amdhsa_group_segment_fixed_size 0
		.amdhsa_private_segment_fixed_size 0
		.amdhsa_kernarg_size 64
		.amdhsa_user_sgpr_count 6
		.amdhsa_user_sgpr_private_segment_buffer 1
		.amdhsa_user_sgpr_dispatch_ptr 0
		.amdhsa_user_sgpr_queue_ptr 0
		.amdhsa_user_sgpr_kernarg_segment_ptr 1
		.amdhsa_user_sgpr_dispatch_id 0
		.amdhsa_user_sgpr_flat_scratch_init 0
		.amdhsa_user_sgpr_kernarg_preload_length 0
		.amdhsa_user_sgpr_kernarg_preload_offset 0
		.amdhsa_user_sgpr_private_segment_size 0
		.amdhsa_uses_dynamic_stack 0
		.amdhsa_system_sgpr_private_segment_wavefront_offset 0
		.amdhsa_system_sgpr_workgroup_id_x 1
		.amdhsa_system_sgpr_workgroup_id_y 0
		.amdhsa_system_sgpr_workgroup_id_z 0
		.amdhsa_system_sgpr_workgroup_info 0
		.amdhsa_system_vgpr_workitem_id 0
		.amdhsa_next_free_vgpr 1
		.amdhsa_next_free_sgpr 0
		.amdhsa_accum_offset 4
		.amdhsa_reserve_vcc 0
		.amdhsa_reserve_flat_scratch 0
		.amdhsa_float_round_mode_32 0
		.amdhsa_float_round_mode_16_64 0
		.amdhsa_float_denorm_mode_32 3
		.amdhsa_float_denorm_mode_16_64 3
		.amdhsa_dx10_clamp 1
		.amdhsa_ieee_mode 1
		.amdhsa_fp16_overflow 0
		.amdhsa_tg_split 0
		.amdhsa_exception_fp_ieee_invalid_op 0
		.amdhsa_exception_fp_denorm_src 0
		.amdhsa_exception_fp_ieee_div_zero 0
		.amdhsa_exception_fp_ieee_overflow 0
		.amdhsa_exception_fp_ieee_underflow 0
		.amdhsa_exception_fp_ieee_inexact 0
		.amdhsa_exception_int_div_zero 0
	.end_amdhsa_kernel
	.section	.text._ZN7rocprim17ROCPRIM_400000_NS6detail17trampoline_kernelINS0_14default_configENS1_38merge_sort_block_merge_config_selectorIcNS0_10empty_typeEEEZZNS1_27merge_sort_block_merge_implIS3_PcPS5_jNS1_19radix_merge_compareILb0ELb0EcNS0_19identity_decomposerEEEEE10hipError_tT0_T1_T2_jT3_P12ihipStream_tbPNSt15iterator_traitsISE_E10value_typeEPNSK_ISF_E10value_typeEPSG_NS1_7vsmem_tEENKUlT_SE_SF_SG_E_clIS8_S8_S9_S9_EESD_ST_SE_SF_SG_EUlST_E0_NS1_11comp_targetILNS1_3genE2ELNS1_11target_archE906ELNS1_3gpuE6ELNS1_3repE0EEENS1_38merge_mergepath_config_static_selectorELNS0_4arch9wavefront6targetE1EEEvSF_,"axG",@progbits,_ZN7rocprim17ROCPRIM_400000_NS6detail17trampoline_kernelINS0_14default_configENS1_38merge_sort_block_merge_config_selectorIcNS0_10empty_typeEEEZZNS1_27merge_sort_block_merge_implIS3_PcPS5_jNS1_19radix_merge_compareILb0ELb0EcNS0_19identity_decomposerEEEEE10hipError_tT0_T1_T2_jT3_P12ihipStream_tbPNSt15iterator_traitsISE_E10value_typeEPNSK_ISF_E10value_typeEPSG_NS1_7vsmem_tEENKUlT_SE_SF_SG_E_clIS8_S8_S9_S9_EESD_ST_SE_SF_SG_EUlST_E0_NS1_11comp_targetILNS1_3genE2ELNS1_11target_archE906ELNS1_3gpuE6ELNS1_3repE0EEENS1_38merge_mergepath_config_static_selectorELNS0_4arch9wavefront6targetE1EEEvSF_,comdat
.Lfunc_end31:
	.size	_ZN7rocprim17ROCPRIM_400000_NS6detail17trampoline_kernelINS0_14default_configENS1_38merge_sort_block_merge_config_selectorIcNS0_10empty_typeEEEZZNS1_27merge_sort_block_merge_implIS3_PcPS5_jNS1_19radix_merge_compareILb0ELb0EcNS0_19identity_decomposerEEEEE10hipError_tT0_T1_T2_jT3_P12ihipStream_tbPNSt15iterator_traitsISE_E10value_typeEPNSK_ISF_E10value_typeEPSG_NS1_7vsmem_tEENKUlT_SE_SF_SG_E_clIS8_S8_S9_S9_EESD_ST_SE_SF_SG_EUlST_E0_NS1_11comp_targetILNS1_3genE2ELNS1_11target_archE906ELNS1_3gpuE6ELNS1_3repE0EEENS1_38merge_mergepath_config_static_selectorELNS0_4arch9wavefront6targetE1EEEvSF_, .Lfunc_end31-_ZN7rocprim17ROCPRIM_400000_NS6detail17trampoline_kernelINS0_14default_configENS1_38merge_sort_block_merge_config_selectorIcNS0_10empty_typeEEEZZNS1_27merge_sort_block_merge_implIS3_PcPS5_jNS1_19radix_merge_compareILb0ELb0EcNS0_19identity_decomposerEEEEE10hipError_tT0_T1_T2_jT3_P12ihipStream_tbPNSt15iterator_traitsISE_E10value_typeEPNSK_ISF_E10value_typeEPSG_NS1_7vsmem_tEENKUlT_SE_SF_SG_E_clIS8_S8_S9_S9_EESD_ST_SE_SF_SG_EUlST_E0_NS1_11comp_targetILNS1_3genE2ELNS1_11target_archE906ELNS1_3gpuE6ELNS1_3repE0EEENS1_38merge_mergepath_config_static_selectorELNS0_4arch9wavefront6targetE1EEEvSF_
                                        ; -- End function
	.section	.AMDGPU.csdata,"",@progbits
; Kernel info:
; codeLenInByte = 0
; NumSgprs: 4
; NumVgprs: 0
; NumAgprs: 0
; TotalNumVgprs: 0
; ScratchSize: 0
; MemoryBound: 0
; FloatMode: 240
; IeeeMode: 1
; LDSByteSize: 0 bytes/workgroup (compile time only)
; SGPRBlocks: 0
; VGPRBlocks: 0
; NumSGPRsForWavesPerEU: 4
; NumVGPRsForWavesPerEU: 1
; AccumOffset: 4
; Occupancy: 8
; WaveLimiterHint : 0
; COMPUTE_PGM_RSRC2:SCRATCH_EN: 0
; COMPUTE_PGM_RSRC2:USER_SGPR: 6
; COMPUTE_PGM_RSRC2:TRAP_HANDLER: 0
; COMPUTE_PGM_RSRC2:TGID_X_EN: 1
; COMPUTE_PGM_RSRC2:TGID_Y_EN: 0
; COMPUTE_PGM_RSRC2:TGID_Z_EN: 0
; COMPUTE_PGM_RSRC2:TIDIG_COMP_CNT: 0
; COMPUTE_PGM_RSRC3_GFX90A:ACCUM_OFFSET: 0
; COMPUTE_PGM_RSRC3_GFX90A:TG_SPLIT: 0
	.section	.text._ZN7rocprim17ROCPRIM_400000_NS6detail17trampoline_kernelINS0_14default_configENS1_38merge_sort_block_merge_config_selectorIcNS0_10empty_typeEEEZZNS1_27merge_sort_block_merge_implIS3_PcPS5_jNS1_19radix_merge_compareILb0ELb0EcNS0_19identity_decomposerEEEEE10hipError_tT0_T1_T2_jT3_P12ihipStream_tbPNSt15iterator_traitsISE_E10value_typeEPNSK_ISF_E10value_typeEPSG_NS1_7vsmem_tEENKUlT_SE_SF_SG_E_clIS8_S8_S9_S9_EESD_ST_SE_SF_SG_EUlST_E0_NS1_11comp_targetILNS1_3genE9ELNS1_11target_archE1100ELNS1_3gpuE3ELNS1_3repE0EEENS1_38merge_mergepath_config_static_selectorELNS0_4arch9wavefront6targetE1EEEvSF_,"axG",@progbits,_ZN7rocprim17ROCPRIM_400000_NS6detail17trampoline_kernelINS0_14default_configENS1_38merge_sort_block_merge_config_selectorIcNS0_10empty_typeEEEZZNS1_27merge_sort_block_merge_implIS3_PcPS5_jNS1_19radix_merge_compareILb0ELb0EcNS0_19identity_decomposerEEEEE10hipError_tT0_T1_T2_jT3_P12ihipStream_tbPNSt15iterator_traitsISE_E10value_typeEPNSK_ISF_E10value_typeEPSG_NS1_7vsmem_tEENKUlT_SE_SF_SG_E_clIS8_S8_S9_S9_EESD_ST_SE_SF_SG_EUlST_E0_NS1_11comp_targetILNS1_3genE9ELNS1_11target_archE1100ELNS1_3gpuE3ELNS1_3repE0EEENS1_38merge_mergepath_config_static_selectorELNS0_4arch9wavefront6targetE1EEEvSF_,comdat
	.protected	_ZN7rocprim17ROCPRIM_400000_NS6detail17trampoline_kernelINS0_14default_configENS1_38merge_sort_block_merge_config_selectorIcNS0_10empty_typeEEEZZNS1_27merge_sort_block_merge_implIS3_PcPS5_jNS1_19radix_merge_compareILb0ELb0EcNS0_19identity_decomposerEEEEE10hipError_tT0_T1_T2_jT3_P12ihipStream_tbPNSt15iterator_traitsISE_E10value_typeEPNSK_ISF_E10value_typeEPSG_NS1_7vsmem_tEENKUlT_SE_SF_SG_E_clIS8_S8_S9_S9_EESD_ST_SE_SF_SG_EUlST_E0_NS1_11comp_targetILNS1_3genE9ELNS1_11target_archE1100ELNS1_3gpuE3ELNS1_3repE0EEENS1_38merge_mergepath_config_static_selectorELNS0_4arch9wavefront6targetE1EEEvSF_ ; -- Begin function _ZN7rocprim17ROCPRIM_400000_NS6detail17trampoline_kernelINS0_14default_configENS1_38merge_sort_block_merge_config_selectorIcNS0_10empty_typeEEEZZNS1_27merge_sort_block_merge_implIS3_PcPS5_jNS1_19radix_merge_compareILb0ELb0EcNS0_19identity_decomposerEEEEE10hipError_tT0_T1_T2_jT3_P12ihipStream_tbPNSt15iterator_traitsISE_E10value_typeEPNSK_ISF_E10value_typeEPSG_NS1_7vsmem_tEENKUlT_SE_SF_SG_E_clIS8_S8_S9_S9_EESD_ST_SE_SF_SG_EUlST_E0_NS1_11comp_targetILNS1_3genE9ELNS1_11target_archE1100ELNS1_3gpuE3ELNS1_3repE0EEENS1_38merge_mergepath_config_static_selectorELNS0_4arch9wavefront6targetE1EEEvSF_
	.globl	_ZN7rocprim17ROCPRIM_400000_NS6detail17trampoline_kernelINS0_14default_configENS1_38merge_sort_block_merge_config_selectorIcNS0_10empty_typeEEEZZNS1_27merge_sort_block_merge_implIS3_PcPS5_jNS1_19radix_merge_compareILb0ELb0EcNS0_19identity_decomposerEEEEE10hipError_tT0_T1_T2_jT3_P12ihipStream_tbPNSt15iterator_traitsISE_E10value_typeEPNSK_ISF_E10value_typeEPSG_NS1_7vsmem_tEENKUlT_SE_SF_SG_E_clIS8_S8_S9_S9_EESD_ST_SE_SF_SG_EUlST_E0_NS1_11comp_targetILNS1_3genE9ELNS1_11target_archE1100ELNS1_3gpuE3ELNS1_3repE0EEENS1_38merge_mergepath_config_static_selectorELNS0_4arch9wavefront6targetE1EEEvSF_
	.p2align	8
	.type	_ZN7rocprim17ROCPRIM_400000_NS6detail17trampoline_kernelINS0_14default_configENS1_38merge_sort_block_merge_config_selectorIcNS0_10empty_typeEEEZZNS1_27merge_sort_block_merge_implIS3_PcPS5_jNS1_19radix_merge_compareILb0ELb0EcNS0_19identity_decomposerEEEEE10hipError_tT0_T1_T2_jT3_P12ihipStream_tbPNSt15iterator_traitsISE_E10value_typeEPNSK_ISF_E10value_typeEPSG_NS1_7vsmem_tEENKUlT_SE_SF_SG_E_clIS8_S8_S9_S9_EESD_ST_SE_SF_SG_EUlST_E0_NS1_11comp_targetILNS1_3genE9ELNS1_11target_archE1100ELNS1_3gpuE3ELNS1_3repE0EEENS1_38merge_mergepath_config_static_selectorELNS0_4arch9wavefront6targetE1EEEvSF_,@function
_ZN7rocprim17ROCPRIM_400000_NS6detail17trampoline_kernelINS0_14default_configENS1_38merge_sort_block_merge_config_selectorIcNS0_10empty_typeEEEZZNS1_27merge_sort_block_merge_implIS3_PcPS5_jNS1_19radix_merge_compareILb0ELb0EcNS0_19identity_decomposerEEEEE10hipError_tT0_T1_T2_jT3_P12ihipStream_tbPNSt15iterator_traitsISE_E10value_typeEPNSK_ISF_E10value_typeEPSG_NS1_7vsmem_tEENKUlT_SE_SF_SG_E_clIS8_S8_S9_S9_EESD_ST_SE_SF_SG_EUlST_E0_NS1_11comp_targetILNS1_3genE9ELNS1_11target_archE1100ELNS1_3gpuE3ELNS1_3repE0EEENS1_38merge_mergepath_config_static_selectorELNS0_4arch9wavefront6targetE1EEEvSF_: ; @_ZN7rocprim17ROCPRIM_400000_NS6detail17trampoline_kernelINS0_14default_configENS1_38merge_sort_block_merge_config_selectorIcNS0_10empty_typeEEEZZNS1_27merge_sort_block_merge_implIS3_PcPS5_jNS1_19radix_merge_compareILb0ELb0EcNS0_19identity_decomposerEEEEE10hipError_tT0_T1_T2_jT3_P12ihipStream_tbPNSt15iterator_traitsISE_E10value_typeEPNSK_ISF_E10value_typeEPSG_NS1_7vsmem_tEENKUlT_SE_SF_SG_E_clIS8_S8_S9_S9_EESD_ST_SE_SF_SG_EUlST_E0_NS1_11comp_targetILNS1_3genE9ELNS1_11target_archE1100ELNS1_3gpuE3ELNS1_3repE0EEENS1_38merge_mergepath_config_static_selectorELNS0_4arch9wavefront6targetE1EEEvSF_
; %bb.0:
	.section	.rodata,"a",@progbits
	.p2align	6, 0x0
	.amdhsa_kernel _ZN7rocprim17ROCPRIM_400000_NS6detail17trampoline_kernelINS0_14default_configENS1_38merge_sort_block_merge_config_selectorIcNS0_10empty_typeEEEZZNS1_27merge_sort_block_merge_implIS3_PcPS5_jNS1_19radix_merge_compareILb0ELb0EcNS0_19identity_decomposerEEEEE10hipError_tT0_T1_T2_jT3_P12ihipStream_tbPNSt15iterator_traitsISE_E10value_typeEPNSK_ISF_E10value_typeEPSG_NS1_7vsmem_tEENKUlT_SE_SF_SG_E_clIS8_S8_S9_S9_EESD_ST_SE_SF_SG_EUlST_E0_NS1_11comp_targetILNS1_3genE9ELNS1_11target_archE1100ELNS1_3gpuE3ELNS1_3repE0EEENS1_38merge_mergepath_config_static_selectorELNS0_4arch9wavefront6targetE1EEEvSF_
		.amdhsa_group_segment_fixed_size 0
		.amdhsa_private_segment_fixed_size 0
		.amdhsa_kernarg_size 64
		.amdhsa_user_sgpr_count 6
		.amdhsa_user_sgpr_private_segment_buffer 1
		.amdhsa_user_sgpr_dispatch_ptr 0
		.amdhsa_user_sgpr_queue_ptr 0
		.amdhsa_user_sgpr_kernarg_segment_ptr 1
		.amdhsa_user_sgpr_dispatch_id 0
		.amdhsa_user_sgpr_flat_scratch_init 0
		.amdhsa_user_sgpr_kernarg_preload_length 0
		.amdhsa_user_sgpr_kernarg_preload_offset 0
		.amdhsa_user_sgpr_private_segment_size 0
		.amdhsa_uses_dynamic_stack 0
		.amdhsa_system_sgpr_private_segment_wavefront_offset 0
		.amdhsa_system_sgpr_workgroup_id_x 1
		.amdhsa_system_sgpr_workgroup_id_y 0
		.amdhsa_system_sgpr_workgroup_id_z 0
		.amdhsa_system_sgpr_workgroup_info 0
		.amdhsa_system_vgpr_workitem_id 0
		.amdhsa_next_free_vgpr 1
		.amdhsa_next_free_sgpr 0
		.amdhsa_accum_offset 4
		.amdhsa_reserve_vcc 0
		.amdhsa_reserve_flat_scratch 0
		.amdhsa_float_round_mode_32 0
		.amdhsa_float_round_mode_16_64 0
		.amdhsa_float_denorm_mode_32 3
		.amdhsa_float_denorm_mode_16_64 3
		.amdhsa_dx10_clamp 1
		.amdhsa_ieee_mode 1
		.amdhsa_fp16_overflow 0
		.amdhsa_tg_split 0
		.amdhsa_exception_fp_ieee_invalid_op 0
		.amdhsa_exception_fp_denorm_src 0
		.amdhsa_exception_fp_ieee_div_zero 0
		.amdhsa_exception_fp_ieee_overflow 0
		.amdhsa_exception_fp_ieee_underflow 0
		.amdhsa_exception_fp_ieee_inexact 0
		.amdhsa_exception_int_div_zero 0
	.end_amdhsa_kernel
	.section	.text._ZN7rocprim17ROCPRIM_400000_NS6detail17trampoline_kernelINS0_14default_configENS1_38merge_sort_block_merge_config_selectorIcNS0_10empty_typeEEEZZNS1_27merge_sort_block_merge_implIS3_PcPS5_jNS1_19radix_merge_compareILb0ELb0EcNS0_19identity_decomposerEEEEE10hipError_tT0_T1_T2_jT3_P12ihipStream_tbPNSt15iterator_traitsISE_E10value_typeEPNSK_ISF_E10value_typeEPSG_NS1_7vsmem_tEENKUlT_SE_SF_SG_E_clIS8_S8_S9_S9_EESD_ST_SE_SF_SG_EUlST_E0_NS1_11comp_targetILNS1_3genE9ELNS1_11target_archE1100ELNS1_3gpuE3ELNS1_3repE0EEENS1_38merge_mergepath_config_static_selectorELNS0_4arch9wavefront6targetE1EEEvSF_,"axG",@progbits,_ZN7rocprim17ROCPRIM_400000_NS6detail17trampoline_kernelINS0_14default_configENS1_38merge_sort_block_merge_config_selectorIcNS0_10empty_typeEEEZZNS1_27merge_sort_block_merge_implIS3_PcPS5_jNS1_19radix_merge_compareILb0ELb0EcNS0_19identity_decomposerEEEEE10hipError_tT0_T1_T2_jT3_P12ihipStream_tbPNSt15iterator_traitsISE_E10value_typeEPNSK_ISF_E10value_typeEPSG_NS1_7vsmem_tEENKUlT_SE_SF_SG_E_clIS8_S8_S9_S9_EESD_ST_SE_SF_SG_EUlST_E0_NS1_11comp_targetILNS1_3genE9ELNS1_11target_archE1100ELNS1_3gpuE3ELNS1_3repE0EEENS1_38merge_mergepath_config_static_selectorELNS0_4arch9wavefront6targetE1EEEvSF_,comdat
.Lfunc_end32:
	.size	_ZN7rocprim17ROCPRIM_400000_NS6detail17trampoline_kernelINS0_14default_configENS1_38merge_sort_block_merge_config_selectorIcNS0_10empty_typeEEEZZNS1_27merge_sort_block_merge_implIS3_PcPS5_jNS1_19radix_merge_compareILb0ELb0EcNS0_19identity_decomposerEEEEE10hipError_tT0_T1_T2_jT3_P12ihipStream_tbPNSt15iterator_traitsISE_E10value_typeEPNSK_ISF_E10value_typeEPSG_NS1_7vsmem_tEENKUlT_SE_SF_SG_E_clIS8_S8_S9_S9_EESD_ST_SE_SF_SG_EUlST_E0_NS1_11comp_targetILNS1_3genE9ELNS1_11target_archE1100ELNS1_3gpuE3ELNS1_3repE0EEENS1_38merge_mergepath_config_static_selectorELNS0_4arch9wavefront6targetE1EEEvSF_, .Lfunc_end32-_ZN7rocprim17ROCPRIM_400000_NS6detail17trampoline_kernelINS0_14default_configENS1_38merge_sort_block_merge_config_selectorIcNS0_10empty_typeEEEZZNS1_27merge_sort_block_merge_implIS3_PcPS5_jNS1_19radix_merge_compareILb0ELb0EcNS0_19identity_decomposerEEEEE10hipError_tT0_T1_T2_jT3_P12ihipStream_tbPNSt15iterator_traitsISE_E10value_typeEPNSK_ISF_E10value_typeEPSG_NS1_7vsmem_tEENKUlT_SE_SF_SG_E_clIS8_S8_S9_S9_EESD_ST_SE_SF_SG_EUlST_E0_NS1_11comp_targetILNS1_3genE9ELNS1_11target_archE1100ELNS1_3gpuE3ELNS1_3repE0EEENS1_38merge_mergepath_config_static_selectorELNS0_4arch9wavefront6targetE1EEEvSF_
                                        ; -- End function
	.section	.AMDGPU.csdata,"",@progbits
; Kernel info:
; codeLenInByte = 0
; NumSgprs: 4
; NumVgprs: 0
; NumAgprs: 0
; TotalNumVgprs: 0
; ScratchSize: 0
; MemoryBound: 0
; FloatMode: 240
; IeeeMode: 1
; LDSByteSize: 0 bytes/workgroup (compile time only)
; SGPRBlocks: 0
; VGPRBlocks: 0
; NumSGPRsForWavesPerEU: 4
; NumVGPRsForWavesPerEU: 1
; AccumOffset: 4
; Occupancy: 8
; WaveLimiterHint : 0
; COMPUTE_PGM_RSRC2:SCRATCH_EN: 0
; COMPUTE_PGM_RSRC2:USER_SGPR: 6
; COMPUTE_PGM_RSRC2:TRAP_HANDLER: 0
; COMPUTE_PGM_RSRC2:TGID_X_EN: 1
; COMPUTE_PGM_RSRC2:TGID_Y_EN: 0
; COMPUTE_PGM_RSRC2:TGID_Z_EN: 0
; COMPUTE_PGM_RSRC2:TIDIG_COMP_CNT: 0
; COMPUTE_PGM_RSRC3_GFX90A:ACCUM_OFFSET: 0
; COMPUTE_PGM_RSRC3_GFX90A:TG_SPLIT: 0
	.section	.text._ZN7rocprim17ROCPRIM_400000_NS6detail17trampoline_kernelINS0_14default_configENS1_38merge_sort_block_merge_config_selectorIcNS0_10empty_typeEEEZZNS1_27merge_sort_block_merge_implIS3_PcPS5_jNS1_19radix_merge_compareILb0ELb0EcNS0_19identity_decomposerEEEEE10hipError_tT0_T1_T2_jT3_P12ihipStream_tbPNSt15iterator_traitsISE_E10value_typeEPNSK_ISF_E10value_typeEPSG_NS1_7vsmem_tEENKUlT_SE_SF_SG_E_clIS8_S8_S9_S9_EESD_ST_SE_SF_SG_EUlST_E0_NS1_11comp_targetILNS1_3genE8ELNS1_11target_archE1030ELNS1_3gpuE2ELNS1_3repE0EEENS1_38merge_mergepath_config_static_selectorELNS0_4arch9wavefront6targetE1EEEvSF_,"axG",@progbits,_ZN7rocprim17ROCPRIM_400000_NS6detail17trampoline_kernelINS0_14default_configENS1_38merge_sort_block_merge_config_selectorIcNS0_10empty_typeEEEZZNS1_27merge_sort_block_merge_implIS3_PcPS5_jNS1_19radix_merge_compareILb0ELb0EcNS0_19identity_decomposerEEEEE10hipError_tT0_T1_T2_jT3_P12ihipStream_tbPNSt15iterator_traitsISE_E10value_typeEPNSK_ISF_E10value_typeEPSG_NS1_7vsmem_tEENKUlT_SE_SF_SG_E_clIS8_S8_S9_S9_EESD_ST_SE_SF_SG_EUlST_E0_NS1_11comp_targetILNS1_3genE8ELNS1_11target_archE1030ELNS1_3gpuE2ELNS1_3repE0EEENS1_38merge_mergepath_config_static_selectorELNS0_4arch9wavefront6targetE1EEEvSF_,comdat
	.protected	_ZN7rocprim17ROCPRIM_400000_NS6detail17trampoline_kernelINS0_14default_configENS1_38merge_sort_block_merge_config_selectorIcNS0_10empty_typeEEEZZNS1_27merge_sort_block_merge_implIS3_PcPS5_jNS1_19radix_merge_compareILb0ELb0EcNS0_19identity_decomposerEEEEE10hipError_tT0_T1_T2_jT3_P12ihipStream_tbPNSt15iterator_traitsISE_E10value_typeEPNSK_ISF_E10value_typeEPSG_NS1_7vsmem_tEENKUlT_SE_SF_SG_E_clIS8_S8_S9_S9_EESD_ST_SE_SF_SG_EUlST_E0_NS1_11comp_targetILNS1_3genE8ELNS1_11target_archE1030ELNS1_3gpuE2ELNS1_3repE0EEENS1_38merge_mergepath_config_static_selectorELNS0_4arch9wavefront6targetE1EEEvSF_ ; -- Begin function _ZN7rocprim17ROCPRIM_400000_NS6detail17trampoline_kernelINS0_14default_configENS1_38merge_sort_block_merge_config_selectorIcNS0_10empty_typeEEEZZNS1_27merge_sort_block_merge_implIS3_PcPS5_jNS1_19radix_merge_compareILb0ELb0EcNS0_19identity_decomposerEEEEE10hipError_tT0_T1_T2_jT3_P12ihipStream_tbPNSt15iterator_traitsISE_E10value_typeEPNSK_ISF_E10value_typeEPSG_NS1_7vsmem_tEENKUlT_SE_SF_SG_E_clIS8_S8_S9_S9_EESD_ST_SE_SF_SG_EUlST_E0_NS1_11comp_targetILNS1_3genE8ELNS1_11target_archE1030ELNS1_3gpuE2ELNS1_3repE0EEENS1_38merge_mergepath_config_static_selectorELNS0_4arch9wavefront6targetE1EEEvSF_
	.globl	_ZN7rocprim17ROCPRIM_400000_NS6detail17trampoline_kernelINS0_14default_configENS1_38merge_sort_block_merge_config_selectorIcNS0_10empty_typeEEEZZNS1_27merge_sort_block_merge_implIS3_PcPS5_jNS1_19radix_merge_compareILb0ELb0EcNS0_19identity_decomposerEEEEE10hipError_tT0_T1_T2_jT3_P12ihipStream_tbPNSt15iterator_traitsISE_E10value_typeEPNSK_ISF_E10value_typeEPSG_NS1_7vsmem_tEENKUlT_SE_SF_SG_E_clIS8_S8_S9_S9_EESD_ST_SE_SF_SG_EUlST_E0_NS1_11comp_targetILNS1_3genE8ELNS1_11target_archE1030ELNS1_3gpuE2ELNS1_3repE0EEENS1_38merge_mergepath_config_static_selectorELNS0_4arch9wavefront6targetE1EEEvSF_
	.p2align	8
	.type	_ZN7rocprim17ROCPRIM_400000_NS6detail17trampoline_kernelINS0_14default_configENS1_38merge_sort_block_merge_config_selectorIcNS0_10empty_typeEEEZZNS1_27merge_sort_block_merge_implIS3_PcPS5_jNS1_19radix_merge_compareILb0ELb0EcNS0_19identity_decomposerEEEEE10hipError_tT0_T1_T2_jT3_P12ihipStream_tbPNSt15iterator_traitsISE_E10value_typeEPNSK_ISF_E10value_typeEPSG_NS1_7vsmem_tEENKUlT_SE_SF_SG_E_clIS8_S8_S9_S9_EESD_ST_SE_SF_SG_EUlST_E0_NS1_11comp_targetILNS1_3genE8ELNS1_11target_archE1030ELNS1_3gpuE2ELNS1_3repE0EEENS1_38merge_mergepath_config_static_selectorELNS0_4arch9wavefront6targetE1EEEvSF_,@function
_ZN7rocprim17ROCPRIM_400000_NS6detail17trampoline_kernelINS0_14default_configENS1_38merge_sort_block_merge_config_selectorIcNS0_10empty_typeEEEZZNS1_27merge_sort_block_merge_implIS3_PcPS5_jNS1_19radix_merge_compareILb0ELb0EcNS0_19identity_decomposerEEEEE10hipError_tT0_T1_T2_jT3_P12ihipStream_tbPNSt15iterator_traitsISE_E10value_typeEPNSK_ISF_E10value_typeEPSG_NS1_7vsmem_tEENKUlT_SE_SF_SG_E_clIS8_S8_S9_S9_EESD_ST_SE_SF_SG_EUlST_E0_NS1_11comp_targetILNS1_3genE8ELNS1_11target_archE1030ELNS1_3gpuE2ELNS1_3repE0EEENS1_38merge_mergepath_config_static_selectorELNS0_4arch9wavefront6targetE1EEEvSF_: ; @_ZN7rocprim17ROCPRIM_400000_NS6detail17trampoline_kernelINS0_14default_configENS1_38merge_sort_block_merge_config_selectorIcNS0_10empty_typeEEEZZNS1_27merge_sort_block_merge_implIS3_PcPS5_jNS1_19radix_merge_compareILb0ELb0EcNS0_19identity_decomposerEEEEE10hipError_tT0_T1_T2_jT3_P12ihipStream_tbPNSt15iterator_traitsISE_E10value_typeEPNSK_ISF_E10value_typeEPSG_NS1_7vsmem_tEENKUlT_SE_SF_SG_E_clIS8_S8_S9_S9_EESD_ST_SE_SF_SG_EUlST_E0_NS1_11comp_targetILNS1_3genE8ELNS1_11target_archE1030ELNS1_3gpuE2ELNS1_3repE0EEENS1_38merge_mergepath_config_static_selectorELNS0_4arch9wavefront6targetE1EEEvSF_
; %bb.0:
	.section	.rodata,"a",@progbits
	.p2align	6, 0x0
	.amdhsa_kernel _ZN7rocprim17ROCPRIM_400000_NS6detail17trampoline_kernelINS0_14default_configENS1_38merge_sort_block_merge_config_selectorIcNS0_10empty_typeEEEZZNS1_27merge_sort_block_merge_implIS3_PcPS5_jNS1_19radix_merge_compareILb0ELb0EcNS0_19identity_decomposerEEEEE10hipError_tT0_T1_T2_jT3_P12ihipStream_tbPNSt15iterator_traitsISE_E10value_typeEPNSK_ISF_E10value_typeEPSG_NS1_7vsmem_tEENKUlT_SE_SF_SG_E_clIS8_S8_S9_S9_EESD_ST_SE_SF_SG_EUlST_E0_NS1_11comp_targetILNS1_3genE8ELNS1_11target_archE1030ELNS1_3gpuE2ELNS1_3repE0EEENS1_38merge_mergepath_config_static_selectorELNS0_4arch9wavefront6targetE1EEEvSF_
		.amdhsa_group_segment_fixed_size 0
		.amdhsa_private_segment_fixed_size 0
		.amdhsa_kernarg_size 64
		.amdhsa_user_sgpr_count 6
		.amdhsa_user_sgpr_private_segment_buffer 1
		.amdhsa_user_sgpr_dispatch_ptr 0
		.amdhsa_user_sgpr_queue_ptr 0
		.amdhsa_user_sgpr_kernarg_segment_ptr 1
		.amdhsa_user_sgpr_dispatch_id 0
		.amdhsa_user_sgpr_flat_scratch_init 0
		.amdhsa_user_sgpr_kernarg_preload_length 0
		.amdhsa_user_sgpr_kernarg_preload_offset 0
		.amdhsa_user_sgpr_private_segment_size 0
		.amdhsa_uses_dynamic_stack 0
		.amdhsa_system_sgpr_private_segment_wavefront_offset 0
		.amdhsa_system_sgpr_workgroup_id_x 1
		.amdhsa_system_sgpr_workgroup_id_y 0
		.amdhsa_system_sgpr_workgroup_id_z 0
		.amdhsa_system_sgpr_workgroup_info 0
		.amdhsa_system_vgpr_workitem_id 0
		.amdhsa_next_free_vgpr 1
		.amdhsa_next_free_sgpr 0
		.amdhsa_accum_offset 4
		.amdhsa_reserve_vcc 0
		.amdhsa_reserve_flat_scratch 0
		.amdhsa_float_round_mode_32 0
		.amdhsa_float_round_mode_16_64 0
		.amdhsa_float_denorm_mode_32 3
		.amdhsa_float_denorm_mode_16_64 3
		.amdhsa_dx10_clamp 1
		.amdhsa_ieee_mode 1
		.amdhsa_fp16_overflow 0
		.amdhsa_tg_split 0
		.amdhsa_exception_fp_ieee_invalid_op 0
		.amdhsa_exception_fp_denorm_src 0
		.amdhsa_exception_fp_ieee_div_zero 0
		.amdhsa_exception_fp_ieee_overflow 0
		.amdhsa_exception_fp_ieee_underflow 0
		.amdhsa_exception_fp_ieee_inexact 0
		.amdhsa_exception_int_div_zero 0
	.end_amdhsa_kernel
	.section	.text._ZN7rocprim17ROCPRIM_400000_NS6detail17trampoline_kernelINS0_14default_configENS1_38merge_sort_block_merge_config_selectorIcNS0_10empty_typeEEEZZNS1_27merge_sort_block_merge_implIS3_PcPS5_jNS1_19radix_merge_compareILb0ELb0EcNS0_19identity_decomposerEEEEE10hipError_tT0_T1_T2_jT3_P12ihipStream_tbPNSt15iterator_traitsISE_E10value_typeEPNSK_ISF_E10value_typeEPSG_NS1_7vsmem_tEENKUlT_SE_SF_SG_E_clIS8_S8_S9_S9_EESD_ST_SE_SF_SG_EUlST_E0_NS1_11comp_targetILNS1_3genE8ELNS1_11target_archE1030ELNS1_3gpuE2ELNS1_3repE0EEENS1_38merge_mergepath_config_static_selectorELNS0_4arch9wavefront6targetE1EEEvSF_,"axG",@progbits,_ZN7rocprim17ROCPRIM_400000_NS6detail17trampoline_kernelINS0_14default_configENS1_38merge_sort_block_merge_config_selectorIcNS0_10empty_typeEEEZZNS1_27merge_sort_block_merge_implIS3_PcPS5_jNS1_19radix_merge_compareILb0ELb0EcNS0_19identity_decomposerEEEEE10hipError_tT0_T1_T2_jT3_P12ihipStream_tbPNSt15iterator_traitsISE_E10value_typeEPNSK_ISF_E10value_typeEPSG_NS1_7vsmem_tEENKUlT_SE_SF_SG_E_clIS8_S8_S9_S9_EESD_ST_SE_SF_SG_EUlST_E0_NS1_11comp_targetILNS1_3genE8ELNS1_11target_archE1030ELNS1_3gpuE2ELNS1_3repE0EEENS1_38merge_mergepath_config_static_selectorELNS0_4arch9wavefront6targetE1EEEvSF_,comdat
.Lfunc_end33:
	.size	_ZN7rocprim17ROCPRIM_400000_NS6detail17trampoline_kernelINS0_14default_configENS1_38merge_sort_block_merge_config_selectorIcNS0_10empty_typeEEEZZNS1_27merge_sort_block_merge_implIS3_PcPS5_jNS1_19radix_merge_compareILb0ELb0EcNS0_19identity_decomposerEEEEE10hipError_tT0_T1_T2_jT3_P12ihipStream_tbPNSt15iterator_traitsISE_E10value_typeEPNSK_ISF_E10value_typeEPSG_NS1_7vsmem_tEENKUlT_SE_SF_SG_E_clIS8_S8_S9_S9_EESD_ST_SE_SF_SG_EUlST_E0_NS1_11comp_targetILNS1_3genE8ELNS1_11target_archE1030ELNS1_3gpuE2ELNS1_3repE0EEENS1_38merge_mergepath_config_static_selectorELNS0_4arch9wavefront6targetE1EEEvSF_, .Lfunc_end33-_ZN7rocprim17ROCPRIM_400000_NS6detail17trampoline_kernelINS0_14default_configENS1_38merge_sort_block_merge_config_selectorIcNS0_10empty_typeEEEZZNS1_27merge_sort_block_merge_implIS3_PcPS5_jNS1_19radix_merge_compareILb0ELb0EcNS0_19identity_decomposerEEEEE10hipError_tT0_T1_T2_jT3_P12ihipStream_tbPNSt15iterator_traitsISE_E10value_typeEPNSK_ISF_E10value_typeEPSG_NS1_7vsmem_tEENKUlT_SE_SF_SG_E_clIS8_S8_S9_S9_EESD_ST_SE_SF_SG_EUlST_E0_NS1_11comp_targetILNS1_3genE8ELNS1_11target_archE1030ELNS1_3gpuE2ELNS1_3repE0EEENS1_38merge_mergepath_config_static_selectorELNS0_4arch9wavefront6targetE1EEEvSF_
                                        ; -- End function
	.section	.AMDGPU.csdata,"",@progbits
; Kernel info:
; codeLenInByte = 0
; NumSgprs: 4
; NumVgprs: 0
; NumAgprs: 0
; TotalNumVgprs: 0
; ScratchSize: 0
; MemoryBound: 0
; FloatMode: 240
; IeeeMode: 1
; LDSByteSize: 0 bytes/workgroup (compile time only)
; SGPRBlocks: 0
; VGPRBlocks: 0
; NumSGPRsForWavesPerEU: 4
; NumVGPRsForWavesPerEU: 1
; AccumOffset: 4
; Occupancy: 8
; WaveLimiterHint : 0
; COMPUTE_PGM_RSRC2:SCRATCH_EN: 0
; COMPUTE_PGM_RSRC2:USER_SGPR: 6
; COMPUTE_PGM_RSRC2:TRAP_HANDLER: 0
; COMPUTE_PGM_RSRC2:TGID_X_EN: 1
; COMPUTE_PGM_RSRC2:TGID_Y_EN: 0
; COMPUTE_PGM_RSRC2:TGID_Z_EN: 0
; COMPUTE_PGM_RSRC2:TIDIG_COMP_CNT: 0
; COMPUTE_PGM_RSRC3_GFX90A:ACCUM_OFFSET: 0
; COMPUTE_PGM_RSRC3_GFX90A:TG_SPLIT: 0
	.section	.text._ZN7rocprim17ROCPRIM_400000_NS6detail17trampoline_kernelINS0_14default_configENS1_38merge_sort_block_merge_config_selectorIcNS0_10empty_typeEEEZZNS1_27merge_sort_block_merge_implIS3_PcPS5_jNS1_19radix_merge_compareILb0ELb0EcNS0_19identity_decomposerEEEEE10hipError_tT0_T1_T2_jT3_P12ihipStream_tbPNSt15iterator_traitsISE_E10value_typeEPNSK_ISF_E10value_typeEPSG_NS1_7vsmem_tEENKUlT_SE_SF_SG_E_clIS8_S8_S9_S9_EESD_ST_SE_SF_SG_EUlST_E1_NS1_11comp_targetILNS1_3genE0ELNS1_11target_archE4294967295ELNS1_3gpuE0ELNS1_3repE0EEENS1_36merge_oddeven_config_static_selectorELNS0_4arch9wavefront6targetE1EEEvSF_,"axG",@progbits,_ZN7rocprim17ROCPRIM_400000_NS6detail17trampoline_kernelINS0_14default_configENS1_38merge_sort_block_merge_config_selectorIcNS0_10empty_typeEEEZZNS1_27merge_sort_block_merge_implIS3_PcPS5_jNS1_19radix_merge_compareILb0ELb0EcNS0_19identity_decomposerEEEEE10hipError_tT0_T1_T2_jT3_P12ihipStream_tbPNSt15iterator_traitsISE_E10value_typeEPNSK_ISF_E10value_typeEPSG_NS1_7vsmem_tEENKUlT_SE_SF_SG_E_clIS8_S8_S9_S9_EESD_ST_SE_SF_SG_EUlST_E1_NS1_11comp_targetILNS1_3genE0ELNS1_11target_archE4294967295ELNS1_3gpuE0ELNS1_3repE0EEENS1_36merge_oddeven_config_static_selectorELNS0_4arch9wavefront6targetE1EEEvSF_,comdat
	.protected	_ZN7rocprim17ROCPRIM_400000_NS6detail17trampoline_kernelINS0_14default_configENS1_38merge_sort_block_merge_config_selectorIcNS0_10empty_typeEEEZZNS1_27merge_sort_block_merge_implIS3_PcPS5_jNS1_19radix_merge_compareILb0ELb0EcNS0_19identity_decomposerEEEEE10hipError_tT0_T1_T2_jT3_P12ihipStream_tbPNSt15iterator_traitsISE_E10value_typeEPNSK_ISF_E10value_typeEPSG_NS1_7vsmem_tEENKUlT_SE_SF_SG_E_clIS8_S8_S9_S9_EESD_ST_SE_SF_SG_EUlST_E1_NS1_11comp_targetILNS1_3genE0ELNS1_11target_archE4294967295ELNS1_3gpuE0ELNS1_3repE0EEENS1_36merge_oddeven_config_static_selectorELNS0_4arch9wavefront6targetE1EEEvSF_ ; -- Begin function _ZN7rocprim17ROCPRIM_400000_NS6detail17trampoline_kernelINS0_14default_configENS1_38merge_sort_block_merge_config_selectorIcNS0_10empty_typeEEEZZNS1_27merge_sort_block_merge_implIS3_PcPS5_jNS1_19radix_merge_compareILb0ELb0EcNS0_19identity_decomposerEEEEE10hipError_tT0_T1_T2_jT3_P12ihipStream_tbPNSt15iterator_traitsISE_E10value_typeEPNSK_ISF_E10value_typeEPSG_NS1_7vsmem_tEENKUlT_SE_SF_SG_E_clIS8_S8_S9_S9_EESD_ST_SE_SF_SG_EUlST_E1_NS1_11comp_targetILNS1_3genE0ELNS1_11target_archE4294967295ELNS1_3gpuE0ELNS1_3repE0EEENS1_36merge_oddeven_config_static_selectorELNS0_4arch9wavefront6targetE1EEEvSF_
	.globl	_ZN7rocprim17ROCPRIM_400000_NS6detail17trampoline_kernelINS0_14default_configENS1_38merge_sort_block_merge_config_selectorIcNS0_10empty_typeEEEZZNS1_27merge_sort_block_merge_implIS3_PcPS5_jNS1_19radix_merge_compareILb0ELb0EcNS0_19identity_decomposerEEEEE10hipError_tT0_T1_T2_jT3_P12ihipStream_tbPNSt15iterator_traitsISE_E10value_typeEPNSK_ISF_E10value_typeEPSG_NS1_7vsmem_tEENKUlT_SE_SF_SG_E_clIS8_S8_S9_S9_EESD_ST_SE_SF_SG_EUlST_E1_NS1_11comp_targetILNS1_3genE0ELNS1_11target_archE4294967295ELNS1_3gpuE0ELNS1_3repE0EEENS1_36merge_oddeven_config_static_selectorELNS0_4arch9wavefront6targetE1EEEvSF_
	.p2align	8
	.type	_ZN7rocprim17ROCPRIM_400000_NS6detail17trampoline_kernelINS0_14default_configENS1_38merge_sort_block_merge_config_selectorIcNS0_10empty_typeEEEZZNS1_27merge_sort_block_merge_implIS3_PcPS5_jNS1_19radix_merge_compareILb0ELb0EcNS0_19identity_decomposerEEEEE10hipError_tT0_T1_T2_jT3_P12ihipStream_tbPNSt15iterator_traitsISE_E10value_typeEPNSK_ISF_E10value_typeEPSG_NS1_7vsmem_tEENKUlT_SE_SF_SG_E_clIS8_S8_S9_S9_EESD_ST_SE_SF_SG_EUlST_E1_NS1_11comp_targetILNS1_3genE0ELNS1_11target_archE4294967295ELNS1_3gpuE0ELNS1_3repE0EEENS1_36merge_oddeven_config_static_selectorELNS0_4arch9wavefront6targetE1EEEvSF_,@function
_ZN7rocprim17ROCPRIM_400000_NS6detail17trampoline_kernelINS0_14default_configENS1_38merge_sort_block_merge_config_selectorIcNS0_10empty_typeEEEZZNS1_27merge_sort_block_merge_implIS3_PcPS5_jNS1_19radix_merge_compareILb0ELb0EcNS0_19identity_decomposerEEEEE10hipError_tT0_T1_T2_jT3_P12ihipStream_tbPNSt15iterator_traitsISE_E10value_typeEPNSK_ISF_E10value_typeEPSG_NS1_7vsmem_tEENKUlT_SE_SF_SG_E_clIS8_S8_S9_S9_EESD_ST_SE_SF_SG_EUlST_E1_NS1_11comp_targetILNS1_3genE0ELNS1_11target_archE4294967295ELNS1_3gpuE0ELNS1_3repE0EEENS1_36merge_oddeven_config_static_selectorELNS0_4arch9wavefront6targetE1EEEvSF_: ; @_ZN7rocprim17ROCPRIM_400000_NS6detail17trampoline_kernelINS0_14default_configENS1_38merge_sort_block_merge_config_selectorIcNS0_10empty_typeEEEZZNS1_27merge_sort_block_merge_implIS3_PcPS5_jNS1_19radix_merge_compareILb0ELb0EcNS0_19identity_decomposerEEEEE10hipError_tT0_T1_T2_jT3_P12ihipStream_tbPNSt15iterator_traitsISE_E10value_typeEPNSK_ISF_E10value_typeEPSG_NS1_7vsmem_tEENKUlT_SE_SF_SG_E_clIS8_S8_S9_S9_EESD_ST_SE_SF_SG_EUlST_E1_NS1_11comp_targetILNS1_3genE0ELNS1_11target_archE4294967295ELNS1_3gpuE0ELNS1_3repE0EEENS1_36merge_oddeven_config_static_selectorELNS0_4arch9wavefront6targetE1EEEvSF_
; %bb.0:
	.section	.rodata,"a",@progbits
	.p2align	6, 0x0
	.amdhsa_kernel _ZN7rocprim17ROCPRIM_400000_NS6detail17trampoline_kernelINS0_14default_configENS1_38merge_sort_block_merge_config_selectorIcNS0_10empty_typeEEEZZNS1_27merge_sort_block_merge_implIS3_PcPS5_jNS1_19radix_merge_compareILb0ELb0EcNS0_19identity_decomposerEEEEE10hipError_tT0_T1_T2_jT3_P12ihipStream_tbPNSt15iterator_traitsISE_E10value_typeEPNSK_ISF_E10value_typeEPSG_NS1_7vsmem_tEENKUlT_SE_SF_SG_E_clIS8_S8_S9_S9_EESD_ST_SE_SF_SG_EUlST_E1_NS1_11comp_targetILNS1_3genE0ELNS1_11target_archE4294967295ELNS1_3gpuE0ELNS1_3repE0EEENS1_36merge_oddeven_config_static_selectorELNS0_4arch9wavefront6targetE1EEEvSF_
		.amdhsa_group_segment_fixed_size 0
		.amdhsa_private_segment_fixed_size 0
		.amdhsa_kernarg_size 48
		.amdhsa_user_sgpr_count 6
		.amdhsa_user_sgpr_private_segment_buffer 1
		.amdhsa_user_sgpr_dispatch_ptr 0
		.amdhsa_user_sgpr_queue_ptr 0
		.amdhsa_user_sgpr_kernarg_segment_ptr 1
		.amdhsa_user_sgpr_dispatch_id 0
		.amdhsa_user_sgpr_flat_scratch_init 0
		.amdhsa_user_sgpr_kernarg_preload_length 0
		.amdhsa_user_sgpr_kernarg_preload_offset 0
		.amdhsa_user_sgpr_private_segment_size 0
		.amdhsa_uses_dynamic_stack 0
		.amdhsa_system_sgpr_private_segment_wavefront_offset 0
		.amdhsa_system_sgpr_workgroup_id_x 1
		.amdhsa_system_sgpr_workgroup_id_y 0
		.amdhsa_system_sgpr_workgroup_id_z 0
		.amdhsa_system_sgpr_workgroup_info 0
		.amdhsa_system_vgpr_workitem_id 0
		.amdhsa_next_free_vgpr 1
		.amdhsa_next_free_sgpr 0
		.amdhsa_accum_offset 4
		.amdhsa_reserve_vcc 0
		.amdhsa_reserve_flat_scratch 0
		.amdhsa_float_round_mode_32 0
		.amdhsa_float_round_mode_16_64 0
		.amdhsa_float_denorm_mode_32 3
		.amdhsa_float_denorm_mode_16_64 3
		.amdhsa_dx10_clamp 1
		.amdhsa_ieee_mode 1
		.amdhsa_fp16_overflow 0
		.amdhsa_tg_split 0
		.amdhsa_exception_fp_ieee_invalid_op 0
		.amdhsa_exception_fp_denorm_src 0
		.amdhsa_exception_fp_ieee_div_zero 0
		.amdhsa_exception_fp_ieee_overflow 0
		.amdhsa_exception_fp_ieee_underflow 0
		.amdhsa_exception_fp_ieee_inexact 0
		.amdhsa_exception_int_div_zero 0
	.end_amdhsa_kernel
	.section	.text._ZN7rocprim17ROCPRIM_400000_NS6detail17trampoline_kernelINS0_14default_configENS1_38merge_sort_block_merge_config_selectorIcNS0_10empty_typeEEEZZNS1_27merge_sort_block_merge_implIS3_PcPS5_jNS1_19radix_merge_compareILb0ELb0EcNS0_19identity_decomposerEEEEE10hipError_tT0_T1_T2_jT3_P12ihipStream_tbPNSt15iterator_traitsISE_E10value_typeEPNSK_ISF_E10value_typeEPSG_NS1_7vsmem_tEENKUlT_SE_SF_SG_E_clIS8_S8_S9_S9_EESD_ST_SE_SF_SG_EUlST_E1_NS1_11comp_targetILNS1_3genE0ELNS1_11target_archE4294967295ELNS1_3gpuE0ELNS1_3repE0EEENS1_36merge_oddeven_config_static_selectorELNS0_4arch9wavefront6targetE1EEEvSF_,"axG",@progbits,_ZN7rocprim17ROCPRIM_400000_NS6detail17trampoline_kernelINS0_14default_configENS1_38merge_sort_block_merge_config_selectorIcNS0_10empty_typeEEEZZNS1_27merge_sort_block_merge_implIS3_PcPS5_jNS1_19radix_merge_compareILb0ELb0EcNS0_19identity_decomposerEEEEE10hipError_tT0_T1_T2_jT3_P12ihipStream_tbPNSt15iterator_traitsISE_E10value_typeEPNSK_ISF_E10value_typeEPSG_NS1_7vsmem_tEENKUlT_SE_SF_SG_E_clIS8_S8_S9_S9_EESD_ST_SE_SF_SG_EUlST_E1_NS1_11comp_targetILNS1_3genE0ELNS1_11target_archE4294967295ELNS1_3gpuE0ELNS1_3repE0EEENS1_36merge_oddeven_config_static_selectorELNS0_4arch9wavefront6targetE1EEEvSF_,comdat
.Lfunc_end34:
	.size	_ZN7rocprim17ROCPRIM_400000_NS6detail17trampoline_kernelINS0_14default_configENS1_38merge_sort_block_merge_config_selectorIcNS0_10empty_typeEEEZZNS1_27merge_sort_block_merge_implIS3_PcPS5_jNS1_19radix_merge_compareILb0ELb0EcNS0_19identity_decomposerEEEEE10hipError_tT0_T1_T2_jT3_P12ihipStream_tbPNSt15iterator_traitsISE_E10value_typeEPNSK_ISF_E10value_typeEPSG_NS1_7vsmem_tEENKUlT_SE_SF_SG_E_clIS8_S8_S9_S9_EESD_ST_SE_SF_SG_EUlST_E1_NS1_11comp_targetILNS1_3genE0ELNS1_11target_archE4294967295ELNS1_3gpuE0ELNS1_3repE0EEENS1_36merge_oddeven_config_static_selectorELNS0_4arch9wavefront6targetE1EEEvSF_, .Lfunc_end34-_ZN7rocprim17ROCPRIM_400000_NS6detail17trampoline_kernelINS0_14default_configENS1_38merge_sort_block_merge_config_selectorIcNS0_10empty_typeEEEZZNS1_27merge_sort_block_merge_implIS3_PcPS5_jNS1_19radix_merge_compareILb0ELb0EcNS0_19identity_decomposerEEEEE10hipError_tT0_T1_T2_jT3_P12ihipStream_tbPNSt15iterator_traitsISE_E10value_typeEPNSK_ISF_E10value_typeEPSG_NS1_7vsmem_tEENKUlT_SE_SF_SG_E_clIS8_S8_S9_S9_EESD_ST_SE_SF_SG_EUlST_E1_NS1_11comp_targetILNS1_3genE0ELNS1_11target_archE4294967295ELNS1_3gpuE0ELNS1_3repE0EEENS1_36merge_oddeven_config_static_selectorELNS0_4arch9wavefront6targetE1EEEvSF_
                                        ; -- End function
	.section	.AMDGPU.csdata,"",@progbits
; Kernel info:
; codeLenInByte = 0
; NumSgprs: 4
; NumVgprs: 0
; NumAgprs: 0
; TotalNumVgprs: 0
; ScratchSize: 0
; MemoryBound: 0
; FloatMode: 240
; IeeeMode: 1
; LDSByteSize: 0 bytes/workgroup (compile time only)
; SGPRBlocks: 0
; VGPRBlocks: 0
; NumSGPRsForWavesPerEU: 4
; NumVGPRsForWavesPerEU: 1
; AccumOffset: 4
; Occupancy: 8
; WaveLimiterHint : 0
; COMPUTE_PGM_RSRC2:SCRATCH_EN: 0
; COMPUTE_PGM_RSRC2:USER_SGPR: 6
; COMPUTE_PGM_RSRC2:TRAP_HANDLER: 0
; COMPUTE_PGM_RSRC2:TGID_X_EN: 1
; COMPUTE_PGM_RSRC2:TGID_Y_EN: 0
; COMPUTE_PGM_RSRC2:TGID_Z_EN: 0
; COMPUTE_PGM_RSRC2:TIDIG_COMP_CNT: 0
; COMPUTE_PGM_RSRC3_GFX90A:ACCUM_OFFSET: 0
; COMPUTE_PGM_RSRC3_GFX90A:TG_SPLIT: 0
	.section	.text._ZN7rocprim17ROCPRIM_400000_NS6detail17trampoline_kernelINS0_14default_configENS1_38merge_sort_block_merge_config_selectorIcNS0_10empty_typeEEEZZNS1_27merge_sort_block_merge_implIS3_PcPS5_jNS1_19radix_merge_compareILb0ELb0EcNS0_19identity_decomposerEEEEE10hipError_tT0_T1_T2_jT3_P12ihipStream_tbPNSt15iterator_traitsISE_E10value_typeEPNSK_ISF_E10value_typeEPSG_NS1_7vsmem_tEENKUlT_SE_SF_SG_E_clIS8_S8_S9_S9_EESD_ST_SE_SF_SG_EUlST_E1_NS1_11comp_targetILNS1_3genE10ELNS1_11target_archE1201ELNS1_3gpuE5ELNS1_3repE0EEENS1_36merge_oddeven_config_static_selectorELNS0_4arch9wavefront6targetE1EEEvSF_,"axG",@progbits,_ZN7rocprim17ROCPRIM_400000_NS6detail17trampoline_kernelINS0_14default_configENS1_38merge_sort_block_merge_config_selectorIcNS0_10empty_typeEEEZZNS1_27merge_sort_block_merge_implIS3_PcPS5_jNS1_19radix_merge_compareILb0ELb0EcNS0_19identity_decomposerEEEEE10hipError_tT0_T1_T2_jT3_P12ihipStream_tbPNSt15iterator_traitsISE_E10value_typeEPNSK_ISF_E10value_typeEPSG_NS1_7vsmem_tEENKUlT_SE_SF_SG_E_clIS8_S8_S9_S9_EESD_ST_SE_SF_SG_EUlST_E1_NS1_11comp_targetILNS1_3genE10ELNS1_11target_archE1201ELNS1_3gpuE5ELNS1_3repE0EEENS1_36merge_oddeven_config_static_selectorELNS0_4arch9wavefront6targetE1EEEvSF_,comdat
	.protected	_ZN7rocprim17ROCPRIM_400000_NS6detail17trampoline_kernelINS0_14default_configENS1_38merge_sort_block_merge_config_selectorIcNS0_10empty_typeEEEZZNS1_27merge_sort_block_merge_implIS3_PcPS5_jNS1_19radix_merge_compareILb0ELb0EcNS0_19identity_decomposerEEEEE10hipError_tT0_T1_T2_jT3_P12ihipStream_tbPNSt15iterator_traitsISE_E10value_typeEPNSK_ISF_E10value_typeEPSG_NS1_7vsmem_tEENKUlT_SE_SF_SG_E_clIS8_S8_S9_S9_EESD_ST_SE_SF_SG_EUlST_E1_NS1_11comp_targetILNS1_3genE10ELNS1_11target_archE1201ELNS1_3gpuE5ELNS1_3repE0EEENS1_36merge_oddeven_config_static_selectorELNS0_4arch9wavefront6targetE1EEEvSF_ ; -- Begin function _ZN7rocprim17ROCPRIM_400000_NS6detail17trampoline_kernelINS0_14default_configENS1_38merge_sort_block_merge_config_selectorIcNS0_10empty_typeEEEZZNS1_27merge_sort_block_merge_implIS3_PcPS5_jNS1_19radix_merge_compareILb0ELb0EcNS0_19identity_decomposerEEEEE10hipError_tT0_T1_T2_jT3_P12ihipStream_tbPNSt15iterator_traitsISE_E10value_typeEPNSK_ISF_E10value_typeEPSG_NS1_7vsmem_tEENKUlT_SE_SF_SG_E_clIS8_S8_S9_S9_EESD_ST_SE_SF_SG_EUlST_E1_NS1_11comp_targetILNS1_3genE10ELNS1_11target_archE1201ELNS1_3gpuE5ELNS1_3repE0EEENS1_36merge_oddeven_config_static_selectorELNS0_4arch9wavefront6targetE1EEEvSF_
	.globl	_ZN7rocprim17ROCPRIM_400000_NS6detail17trampoline_kernelINS0_14default_configENS1_38merge_sort_block_merge_config_selectorIcNS0_10empty_typeEEEZZNS1_27merge_sort_block_merge_implIS3_PcPS5_jNS1_19radix_merge_compareILb0ELb0EcNS0_19identity_decomposerEEEEE10hipError_tT0_T1_T2_jT3_P12ihipStream_tbPNSt15iterator_traitsISE_E10value_typeEPNSK_ISF_E10value_typeEPSG_NS1_7vsmem_tEENKUlT_SE_SF_SG_E_clIS8_S8_S9_S9_EESD_ST_SE_SF_SG_EUlST_E1_NS1_11comp_targetILNS1_3genE10ELNS1_11target_archE1201ELNS1_3gpuE5ELNS1_3repE0EEENS1_36merge_oddeven_config_static_selectorELNS0_4arch9wavefront6targetE1EEEvSF_
	.p2align	8
	.type	_ZN7rocprim17ROCPRIM_400000_NS6detail17trampoline_kernelINS0_14default_configENS1_38merge_sort_block_merge_config_selectorIcNS0_10empty_typeEEEZZNS1_27merge_sort_block_merge_implIS3_PcPS5_jNS1_19radix_merge_compareILb0ELb0EcNS0_19identity_decomposerEEEEE10hipError_tT0_T1_T2_jT3_P12ihipStream_tbPNSt15iterator_traitsISE_E10value_typeEPNSK_ISF_E10value_typeEPSG_NS1_7vsmem_tEENKUlT_SE_SF_SG_E_clIS8_S8_S9_S9_EESD_ST_SE_SF_SG_EUlST_E1_NS1_11comp_targetILNS1_3genE10ELNS1_11target_archE1201ELNS1_3gpuE5ELNS1_3repE0EEENS1_36merge_oddeven_config_static_selectorELNS0_4arch9wavefront6targetE1EEEvSF_,@function
_ZN7rocprim17ROCPRIM_400000_NS6detail17trampoline_kernelINS0_14default_configENS1_38merge_sort_block_merge_config_selectorIcNS0_10empty_typeEEEZZNS1_27merge_sort_block_merge_implIS3_PcPS5_jNS1_19radix_merge_compareILb0ELb0EcNS0_19identity_decomposerEEEEE10hipError_tT0_T1_T2_jT3_P12ihipStream_tbPNSt15iterator_traitsISE_E10value_typeEPNSK_ISF_E10value_typeEPSG_NS1_7vsmem_tEENKUlT_SE_SF_SG_E_clIS8_S8_S9_S9_EESD_ST_SE_SF_SG_EUlST_E1_NS1_11comp_targetILNS1_3genE10ELNS1_11target_archE1201ELNS1_3gpuE5ELNS1_3repE0EEENS1_36merge_oddeven_config_static_selectorELNS0_4arch9wavefront6targetE1EEEvSF_: ; @_ZN7rocprim17ROCPRIM_400000_NS6detail17trampoline_kernelINS0_14default_configENS1_38merge_sort_block_merge_config_selectorIcNS0_10empty_typeEEEZZNS1_27merge_sort_block_merge_implIS3_PcPS5_jNS1_19radix_merge_compareILb0ELb0EcNS0_19identity_decomposerEEEEE10hipError_tT0_T1_T2_jT3_P12ihipStream_tbPNSt15iterator_traitsISE_E10value_typeEPNSK_ISF_E10value_typeEPSG_NS1_7vsmem_tEENKUlT_SE_SF_SG_E_clIS8_S8_S9_S9_EESD_ST_SE_SF_SG_EUlST_E1_NS1_11comp_targetILNS1_3genE10ELNS1_11target_archE1201ELNS1_3gpuE5ELNS1_3repE0EEENS1_36merge_oddeven_config_static_selectorELNS0_4arch9wavefront6targetE1EEEvSF_
; %bb.0:
	.section	.rodata,"a",@progbits
	.p2align	6, 0x0
	.amdhsa_kernel _ZN7rocprim17ROCPRIM_400000_NS6detail17trampoline_kernelINS0_14default_configENS1_38merge_sort_block_merge_config_selectorIcNS0_10empty_typeEEEZZNS1_27merge_sort_block_merge_implIS3_PcPS5_jNS1_19radix_merge_compareILb0ELb0EcNS0_19identity_decomposerEEEEE10hipError_tT0_T1_T2_jT3_P12ihipStream_tbPNSt15iterator_traitsISE_E10value_typeEPNSK_ISF_E10value_typeEPSG_NS1_7vsmem_tEENKUlT_SE_SF_SG_E_clIS8_S8_S9_S9_EESD_ST_SE_SF_SG_EUlST_E1_NS1_11comp_targetILNS1_3genE10ELNS1_11target_archE1201ELNS1_3gpuE5ELNS1_3repE0EEENS1_36merge_oddeven_config_static_selectorELNS0_4arch9wavefront6targetE1EEEvSF_
		.amdhsa_group_segment_fixed_size 0
		.amdhsa_private_segment_fixed_size 0
		.amdhsa_kernarg_size 48
		.amdhsa_user_sgpr_count 6
		.amdhsa_user_sgpr_private_segment_buffer 1
		.amdhsa_user_sgpr_dispatch_ptr 0
		.amdhsa_user_sgpr_queue_ptr 0
		.amdhsa_user_sgpr_kernarg_segment_ptr 1
		.amdhsa_user_sgpr_dispatch_id 0
		.amdhsa_user_sgpr_flat_scratch_init 0
		.amdhsa_user_sgpr_kernarg_preload_length 0
		.amdhsa_user_sgpr_kernarg_preload_offset 0
		.amdhsa_user_sgpr_private_segment_size 0
		.amdhsa_uses_dynamic_stack 0
		.amdhsa_system_sgpr_private_segment_wavefront_offset 0
		.amdhsa_system_sgpr_workgroup_id_x 1
		.amdhsa_system_sgpr_workgroup_id_y 0
		.amdhsa_system_sgpr_workgroup_id_z 0
		.amdhsa_system_sgpr_workgroup_info 0
		.amdhsa_system_vgpr_workitem_id 0
		.amdhsa_next_free_vgpr 1
		.amdhsa_next_free_sgpr 0
		.amdhsa_accum_offset 4
		.amdhsa_reserve_vcc 0
		.amdhsa_reserve_flat_scratch 0
		.amdhsa_float_round_mode_32 0
		.amdhsa_float_round_mode_16_64 0
		.amdhsa_float_denorm_mode_32 3
		.amdhsa_float_denorm_mode_16_64 3
		.amdhsa_dx10_clamp 1
		.amdhsa_ieee_mode 1
		.amdhsa_fp16_overflow 0
		.amdhsa_tg_split 0
		.amdhsa_exception_fp_ieee_invalid_op 0
		.amdhsa_exception_fp_denorm_src 0
		.amdhsa_exception_fp_ieee_div_zero 0
		.amdhsa_exception_fp_ieee_overflow 0
		.amdhsa_exception_fp_ieee_underflow 0
		.amdhsa_exception_fp_ieee_inexact 0
		.amdhsa_exception_int_div_zero 0
	.end_amdhsa_kernel
	.section	.text._ZN7rocprim17ROCPRIM_400000_NS6detail17trampoline_kernelINS0_14default_configENS1_38merge_sort_block_merge_config_selectorIcNS0_10empty_typeEEEZZNS1_27merge_sort_block_merge_implIS3_PcPS5_jNS1_19radix_merge_compareILb0ELb0EcNS0_19identity_decomposerEEEEE10hipError_tT0_T1_T2_jT3_P12ihipStream_tbPNSt15iterator_traitsISE_E10value_typeEPNSK_ISF_E10value_typeEPSG_NS1_7vsmem_tEENKUlT_SE_SF_SG_E_clIS8_S8_S9_S9_EESD_ST_SE_SF_SG_EUlST_E1_NS1_11comp_targetILNS1_3genE10ELNS1_11target_archE1201ELNS1_3gpuE5ELNS1_3repE0EEENS1_36merge_oddeven_config_static_selectorELNS0_4arch9wavefront6targetE1EEEvSF_,"axG",@progbits,_ZN7rocprim17ROCPRIM_400000_NS6detail17trampoline_kernelINS0_14default_configENS1_38merge_sort_block_merge_config_selectorIcNS0_10empty_typeEEEZZNS1_27merge_sort_block_merge_implIS3_PcPS5_jNS1_19radix_merge_compareILb0ELb0EcNS0_19identity_decomposerEEEEE10hipError_tT0_T1_T2_jT3_P12ihipStream_tbPNSt15iterator_traitsISE_E10value_typeEPNSK_ISF_E10value_typeEPSG_NS1_7vsmem_tEENKUlT_SE_SF_SG_E_clIS8_S8_S9_S9_EESD_ST_SE_SF_SG_EUlST_E1_NS1_11comp_targetILNS1_3genE10ELNS1_11target_archE1201ELNS1_3gpuE5ELNS1_3repE0EEENS1_36merge_oddeven_config_static_selectorELNS0_4arch9wavefront6targetE1EEEvSF_,comdat
.Lfunc_end35:
	.size	_ZN7rocprim17ROCPRIM_400000_NS6detail17trampoline_kernelINS0_14default_configENS1_38merge_sort_block_merge_config_selectorIcNS0_10empty_typeEEEZZNS1_27merge_sort_block_merge_implIS3_PcPS5_jNS1_19radix_merge_compareILb0ELb0EcNS0_19identity_decomposerEEEEE10hipError_tT0_T1_T2_jT3_P12ihipStream_tbPNSt15iterator_traitsISE_E10value_typeEPNSK_ISF_E10value_typeEPSG_NS1_7vsmem_tEENKUlT_SE_SF_SG_E_clIS8_S8_S9_S9_EESD_ST_SE_SF_SG_EUlST_E1_NS1_11comp_targetILNS1_3genE10ELNS1_11target_archE1201ELNS1_3gpuE5ELNS1_3repE0EEENS1_36merge_oddeven_config_static_selectorELNS0_4arch9wavefront6targetE1EEEvSF_, .Lfunc_end35-_ZN7rocprim17ROCPRIM_400000_NS6detail17trampoline_kernelINS0_14default_configENS1_38merge_sort_block_merge_config_selectorIcNS0_10empty_typeEEEZZNS1_27merge_sort_block_merge_implIS3_PcPS5_jNS1_19radix_merge_compareILb0ELb0EcNS0_19identity_decomposerEEEEE10hipError_tT0_T1_T2_jT3_P12ihipStream_tbPNSt15iterator_traitsISE_E10value_typeEPNSK_ISF_E10value_typeEPSG_NS1_7vsmem_tEENKUlT_SE_SF_SG_E_clIS8_S8_S9_S9_EESD_ST_SE_SF_SG_EUlST_E1_NS1_11comp_targetILNS1_3genE10ELNS1_11target_archE1201ELNS1_3gpuE5ELNS1_3repE0EEENS1_36merge_oddeven_config_static_selectorELNS0_4arch9wavefront6targetE1EEEvSF_
                                        ; -- End function
	.section	.AMDGPU.csdata,"",@progbits
; Kernel info:
; codeLenInByte = 0
; NumSgprs: 4
; NumVgprs: 0
; NumAgprs: 0
; TotalNumVgprs: 0
; ScratchSize: 0
; MemoryBound: 0
; FloatMode: 240
; IeeeMode: 1
; LDSByteSize: 0 bytes/workgroup (compile time only)
; SGPRBlocks: 0
; VGPRBlocks: 0
; NumSGPRsForWavesPerEU: 4
; NumVGPRsForWavesPerEU: 1
; AccumOffset: 4
; Occupancy: 8
; WaveLimiterHint : 0
; COMPUTE_PGM_RSRC2:SCRATCH_EN: 0
; COMPUTE_PGM_RSRC2:USER_SGPR: 6
; COMPUTE_PGM_RSRC2:TRAP_HANDLER: 0
; COMPUTE_PGM_RSRC2:TGID_X_EN: 1
; COMPUTE_PGM_RSRC2:TGID_Y_EN: 0
; COMPUTE_PGM_RSRC2:TGID_Z_EN: 0
; COMPUTE_PGM_RSRC2:TIDIG_COMP_CNT: 0
; COMPUTE_PGM_RSRC3_GFX90A:ACCUM_OFFSET: 0
; COMPUTE_PGM_RSRC3_GFX90A:TG_SPLIT: 0
	.section	.text._ZN7rocprim17ROCPRIM_400000_NS6detail17trampoline_kernelINS0_14default_configENS1_38merge_sort_block_merge_config_selectorIcNS0_10empty_typeEEEZZNS1_27merge_sort_block_merge_implIS3_PcPS5_jNS1_19radix_merge_compareILb0ELb0EcNS0_19identity_decomposerEEEEE10hipError_tT0_T1_T2_jT3_P12ihipStream_tbPNSt15iterator_traitsISE_E10value_typeEPNSK_ISF_E10value_typeEPSG_NS1_7vsmem_tEENKUlT_SE_SF_SG_E_clIS8_S8_S9_S9_EESD_ST_SE_SF_SG_EUlST_E1_NS1_11comp_targetILNS1_3genE5ELNS1_11target_archE942ELNS1_3gpuE9ELNS1_3repE0EEENS1_36merge_oddeven_config_static_selectorELNS0_4arch9wavefront6targetE1EEEvSF_,"axG",@progbits,_ZN7rocprim17ROCPRIM_400000_NS6detail17trampoline_kernelINS0_14default_configENS1_38merge_sort_block_merge_config_selectorIcNS0_10empty_typeEEEZZNS1_27merge_sort_block_merge_implIS3_PcPS5_jNS1_19radix_merge_compareILb0ELb0EcNS0_19identity_decomposerEEEEE10hipError_tT0_T1_T2_jT3_P12ihipStream_tbPNSt15iterator_traitsISE_E10value_typeEPNSK_ISF_E10value_typeEPSG_NS1_7vsmem_tEENKUlT_SE_SF_SG_E_clIS8_S8_S9_S9_EESD_ST_SE_SF_SG_EUlST_E1_NS1_11comp_targetILNS1_3genE5ELNS1_11target_archE942ELNS1_3gpuE9ELNS1_3repE0EEENS1_36merge_oddeven_config_static_selectorELNS0_4arch9wavefront6targetE1EEEvSF_,comdat
	.protected	_ZN7rocprim17ROCPRIM_400000_NS6detail17trampoline_kernelINS0_14default_configENS1_38merge_sort_block_merge_config_selectorIcNS0_10empty_typeEEEZZNS1_27merge_sort_block_merge_implIS3_PcPS5_jNS1_19radix_merge_compareILb0ELb0EcNS0_19identity_decomposerEEEEE10hipError_tT0_T1_T2_jT3_P12ihipStream_tbPNSt15iterator_traitsISE_E10value_typeEPNSK_ISF_E10value_typeEPSG_NS1_7vsmem_tEENKUlT_SE_SF_SG_E_clIS8_S8_S9_S9_EESD_ST_SE_SF_SG_EUlST_E1_NS1_11comp_targetILNS1_3genE5ELNS1_11target_archE942ELNS1_3gpuE9ELNS1_3repE0EEENS1_36merge_oddeven_config_static_selectorELNS0_4arch9wavefront6targetE1EEEvSF_ ; -- Begin function _ZN7rocprim17ROCPRIM_400000_NS6detail17trampoline_kernelINS0_14default_configENS1_38merge_sort_block_merge_config_selectorIcNS0_10empty_typeEEEZZNS1_27merge_sort_block_merge_implIS3_PcPS5_jNS1_19radix_merge_compareILb0ELb0EcNS0_19identity_decomposerEEEEE10hipError_tT0_T1_T2_jT3_P12ihipStream_tbPNSt15iterator_traitsISE_E10value_typeEPNSK_ISF_E10value_typeEPSG_NS1_7vsmem_tEENKUlT_SE_SF_SG_E_clIS8_S8_S9_S9_EESD_ST_SE_SF_SG_EUlST_E1_NS1_11comp_targetILNS1_3genE5ELNS1_11target_archE942ELNS1_3gpuE9ELNS1_3repE0EEENS1_36merge_oddeven_config_static_selectorELNS0_4arch9wavefront6targetE1EEEvSF_
	.globl	_ZN7rocprim17ROCPRIM_400000_NS6detail17trampoline_kernelINS0_14default_configENS1_38merge_sort_block_merge_config_selectorIcNS0_10empty_typeEEEZZNS1_27merge_sort_block_merge_implIS3_PcPS5_jNS1_19radix_merge_compareILb0ELb0EcNS0_19identity_decomposerEEEEE10hipError_tT0_T1_T2_jT3_P12ihipStream_tbPNSt15iterator_traitsISE_E10value_typeEPNSK_ISF_E10value_typeEPSG_NS1_7vsmem_tEENKUlT_SE_SF_SG_E_clIS8_S8_S9_S9_EESD_ST_SE_SF_SG_EUlST_E1_NS1_11comp_targetILNS1_3genE5ELNS1_11target_archE942ELNS1_3gpuE9ELNS1_3repE0EEENS1_36merge_oddeven_config_static_selectorELNS0_4arch9wavefront6targetE1EEEvSF_
	.p2align	8
	.type	_ZN7rocprim17ROCPRIM_400000_NS6detail17trampoline_kernelINS0_14default_configENS1_38merge_sort_block_merge_config_selectorIcNS0_10empty_typeEEEZZNS1_27merge_sort_block_merge_implIS3_PcPS5_jNS1_19radix_merge_compareILb0ELb0EcNS0_19identity_decomposerEEEEE10hipError_tT0_T1_T2_jT3_P12ihipStream_tbPNSt15iterator_traitsISE_E10value_typeEPNSK_ISF_E10value_typeEPSG_NS1_7vsmem_tEENKUlT_SE_SF_SG_E_clIS8_S8_S9_S9_EESD_ST_SE_SF_SG_EUlST_E1_NS1_11comp_targetILNS1_3genE5ELNS1_11target_archE942ELNS1_3gpuE9ELNS1_3repE0EEENS1_36merge_oddeven_config_static_selectorELNS0_4arch9wavefront6targetE1EEEvSF_,@function
_ZN7rocprim17ROCPRIM_400000_NS6detail17trampoline_kernelINS0_14default_configENS1_38merge_sort_block_merge_config_selectorIcNS0_10empty_typeEEEZZNS1_27merge_sort_block_merge_implIS3_PcPS5_jNS1_19radix_merge_compareILb0ELb0EcNS0_19identity_decomposerEEEEE10hipError_tT0_T1_T2_jT3_P12ihipStream_tbPNSt15iterator_traitsISE_E10value_typeEPNSK_ISF_E10value_typeEPSG_NS1_7vsmem_tEENKUlT_SE_SF_SG_E_clIS8_S8_S9_S9_EESD_ST_SE_SF_SG_EUlST_E1_NS1_11comp_targetILNS1_3genE5ELNS1_11target_archE942ELNS1_3gpuE9ELNS1_3repE0EEENS1_36merge_oddeven_config_static_selectorELNS0_4arch9wavefront6targetE1EEEvSF_: ; @_ZN7rocprim17ROCPRIM_400000_NS6detail17trampoline_kernelINS0_14default_configENS1_38merge_sort_block_merge_config_selectorIcNS0_10empty_typeEEEZZNS1_27merge_sort_block_merge_implIS3_PcPS5_jNS1_19radix_merge_compareILb0ELb0EcNS0_19identity_decomposerEEEEE10hipError_tT0_T1_T2_jT3_P12ihipStream_tbPNSt15iterator_traitsISE_E10value_typeEPNSK_ISF_E10value_typeEPSG_NS1_7vsmem_tEENKUlT_SE_SF_SG_E_clIS8_S8_S9_S9_EESD_ST_SE_SF_SG_EUlST_E1_NS1_11comp_targetILNS1_3genE5ELNS1_11target_archE942ELNS1_3gpuE9ELNS1_3repE0EEENS1_36merge_oddeven_config_static_selectorELNS0_4arch9wavefront6targetE1EEEvSF_
; %bb.0:
	.section	.rodata,"a",@progbits
	.p2align	6, 0x0
	.amdhsa_kernel _ZN7rocprim17ROCPRIM_400000_NS6detail17trampoline_kernelINS0_14default_configENS1_38merge_sort_block_merge_config_selectorIcNS0_10empty_typeEEEZZNS1_27merge_sort_block_merge_implIS3_PcPS5_jNS1_19radix_merge_compareILb0ELb0EcNS0_19identity_decomposerEEEEE10hipError_tT0_T1_T2_jT3_P12ihipStream_tbPNSt15iterator_traitsISE_E10value_typeEPNSK_ISF_E10value_typeEPSG_NS1_7vsmem_tEENKUlT_SE_SF_SG_E_clIS8_S8_S9_S9_EESD_ST_SE_SF_SG_EUlST_E1_NS1_11comp_targetILNS1_3genE5ELNS1_11target_archE942ELNS1_3gpuE9ELNS1_3repE0EEENS1_36merge_oddeven_config_static_selectorELNS0_4arch9wavefront6targetE1EEEvSF_
		.amdhsa_group_segment_fixed_size 0
		.amdhsa_private_segment_fixed_size 0
		.amdhsa_kernarg_size 48
		.amdhsa_user_sgpr_count 6
		.amdhsa_user_sgpr_private_segment_buffer 1
		.amdhsa_user_sgpr_dispatch_ptr 0
		.amdhsa_user_sgpr_queue_ptr 0
		.amdhsa_user_sgpr_kernarg_segment_ptr 1
		.amdhsa_user_sgpr_dispatch_id 0
		.amdhsa_user_sgpr_flat_scratch_init 0
		.amdhsa_user_sgpr_kernarg_preload_length 0
		.amdhsa_user_sgpr_kernarg_preload_offset 0
		.amdhsa_user_sgpr_private_segment_size 0
		.amdhsa_uses_dynamic_stack 0
		.amdhsa_system_sgpr_private_segment_wavefront_offset 0
		.amdhsa_system_sgpr_workgroup_id_x 1
		.amdhsa_system_sgpr_workgroup_id_y 0
		.amdhsa_system_sgpr_workgroup_id_z 0
		.amdhsa_system_sgpr_workgroup_info 0
		.amdhsa_system_vgpr_workitem_id 0
		.amdhsa_next_free_vgpr 1
		.amdhsa_next_free_sgpr 0
		.amdhsa_accum_offset 4
		.amdhsa_reserve_vcc 0
		.amdhsa_reserve_flat_scratch 0
		.amdhsa_float_round_mode_32 0
		.amdhsa_float_round_mode_16_64 0
		.amdhsa_float_denorm_mode_32 3
		.amdhsa_float_denorm_mode_16_64 3
		.amdhsa_dx10_clamp 1
		.amdhsa_ieee_mode 1
		.amdhsa_fp16_overflow 0
		.amdhsa_tg_split 0
		.amdhsa_exception_fp_ieee_invalid_op 0
		.amdhsa_exception_fp_denorm_src 0
		.amdhsa_exception_fp_ieee_div_zero 0
		.amdhsa_exception_fp_ieee_overflow 0
		.amdhsa_exception_fp_ieee_underflow 0
		.amdhsa_exception_fp_ieee_inexact 0
		.amdhsa_exception_int_div_zero 0
	.end_amdhsa_kernel
	.section	.text._ZN7rocprim17ROCPRIM_400000_NS6detail17trampoline_kernelINS0_14default_configENS1_38merge_sort_block_merge_config_selectorIcNS0_10empty_typeEEEZZNS1_27merge_sort_block_merge_implIS3_PcPS5_jNS1_19radix_merge_compareILb0ELb0EcNS0_19identity_decomposerEEEEE10hipError_tT0_T1_T2_jT3_P12ihipStream_tbPNSt15iterator_traitsISE_E10value_typeEPNSK_ISF_E10value_typeEPSG_NS1_7vsmem_tEENKUlT_SE_SF_SG_E_clIS8_S8_S9_S9_EESD_ST_SE_SF_SG_EUlST_E1_NS1_11comp_targetILNS1_3genE5ELNS1_11target_archE942ELNS1_3gpuE9ELNS1_3repE0EEENS1_36merge_oddeven_config_static_selectorELNS0_4arch9wavefront6targetE1EEEvSF_,"axG",@progbits,_ZN7rocprim17ROCPRIM_400000_NS6detail17trampoline_kernelINS0_14default_configENS1_38merge_sort_block_merge_config_selectorIcNS0_10empty_typeEEEZZNS1_27merge_sort_block_merge_implIS3_PcPS5_jNS1_19radix_merge_compareILb0ELb0EcNS0_19identity_decomposerEEEEE10hipError_tT0_T1_T2_jT3_P12ihipStream_tbPNSt15iterator_traitsISE_E10value_typeEPNSK_ISF_E10value_typeEPSG_NS1_7vsmem_tEENKUlT_SE_SF_SG_E_clIS8_S8_S9_S9_EESD_ST_SE_SF_SG_EUlST_E1_NS1_11comp_targetILNS1_3genE5ELNS1_11target_archE942ELNS1_3gpuE9ELNS1_3repE0EEENS1_36merge_oddeven_config_static_selectorELNS0_4arch9wavefront6targetE1EEEvSF_,comdat
.Lfunc_end36:
	.size	_ZN7rocprim17ROCPRIM_400000_NS6detail17trampoline_kernelINS0_14default_configENS1_38merge_sort_block_merge_config_selectorIcNS0_10empty_typeEEEZZNS1_27merge_sort_block_merge_implIS3_PcPS5_jNS1_19radix_merge_compareILb0ELb0EcNS0_19identity_decomposerEEEEE10hipError_tT0_T1_T2_jT3_P12ihipStream_tbPNSt15iterator_traitsISE_E10value_typeEPNSK_ISF_E10value_typeEPSG_NS1_7vsmem_tEENKUlT_SE_SF_SG_E_clIS8_S8_S9_S9_EESD_ST_SE_SF_SG_EUlST_E1_NS1_11comp_targetILNS1_3genE5ELNS1_11target_archE942ELNS1_3gpuE9ELNS1_3repE0EEENS1_36merge_oddeven_config_static_selectorELNS0_4arch9wavefront6targetE1EEEvSF_, .Lfunc_end36-_ZN7rocprim17ROCPRIM_400000_NS6detail17trampoline_kernelINS0_14default_configENS1_38merge_sort_block_merge_config_selectorIcNS0_10empty_typeEEEZZNS1_27merge_sort_block_merge_implIS3_PcPS5_jNS1_19radix_merge_compareILb0ELb0EcNS0_19identity_decomposerEEEEE10hipError_tT0_T1_T2_jT3_P12ihipStream_tbPNSt15iterator_traitsISE_E10value_typeEPNSK_ISF_E10value_typeEPSG_NS1_7vsmem_tEENKUlT_SE_SF_SG_E_clIS8_S8_S9_S9_EESD_ST_SE_SF_SG_EUlST_E1_NS1_11comp_targetILNS1_3genE5ELNS1_11target_archE942ELNS1_3gpuE9ELNS1_3repE0EEENS1_36merge_oddeven_config_static_selectorELNS0_4arch9wavefront6targetE1EEEvSF_
                                        ; -- End function
	.section	.AMDGPU.csdata,"",@progbits
; Kernel info:
; codeLenInByte = 0
; NumSgprs: 4
; NumVgprs: 0
; NumAgprs: 0
; TotalNumVgprs: 0
; ScratchSize: 0
; MemoryBound: 0
; FloatMode: 240
; IeeeMode: 1
; LDSByteSize: 0 bytes/workgroup (compile time only)
; SGPRBlocks: 0
; VGPRBlocks: 0
; NumSGPRsForWavesPerEU: 4
; NumVGPRsForWavesPerEU: 1
; AccumOffset: 4
; Occupancy: 8
; WaveLimiterHint : 0
; COMPUTE_PGM_RSRC2:SCRATCH_EN: 0
; COMPUTE_PGM_RSRC2:USER_SGPR: 6
; COMPUTE_PGM_RSRC2:TRAP_HANDLER: 0
; COMPUTE_PGM_RSRC2:TGID_X_EN: 1
; COMPUTE_PGM_RSRC2:TGID_Y_EN: 0
; COMPUTE_PGM_RSRC2:TGID_Z_EN: 0
; COMPUTE_PGM_RSRC2:TIDIG_COMP_CNT: 0
; COMPUTE_PGM_RSRC3_GFX90A:ACCUM_OFFSET: 0
; COMPUTE_PGM_RSRC3_GFX90A:TG_SPLIT: 0
	.section	.text._ZN7rocprim17ROCPRIM_400000_NS6detail17trampoline_kernelINS0_14default_configENS1_38merge_sort_block_merge_config_selectorIcNS0_10empty_typeEEEZZNS1_27merge_sort_block_merge_implIS3_PcPS5_jNS1_19radix_merge_compareILb0ELb0EcNS0_19identity_decomposerEEEEE10hipError_tT0_T1_T2_jT3_P12ihipStream_tbPNSt15iterator_traitsISE_E10value_typeEPNSK_ISF_E10value_typeEPSG_NS1_7vsmem_tEENKUlT_SE_SF_SG_E_clIS8_S8_S9_S9_EESD_ST_SE_SF_SG_EUlST_E1_NS1_11comp_targetILNS1_3genE4ELNS1_11target_archE910ELNS1_3gpuE8ELNS1_3repE0EEENS1_36merge_oddeven_config_static_selectorELNS0_4arch9wavefront6targetE1EEEvSF_,"axG",@progbits,_ZN7rocprim17ROCPRIM_400000_NS6detail17trampoline_kernelINS0_14default_configENS1_38merge_sort_block_merge_config_selectorIcNS0_10empty_typeEEEZZNS1_27merge_sort_block_merge_implIS3_PcPS5_jNS1_19radix_merge_compareILb0ELb0EcNS0_19identity_decomposerEEEEE10hipError_tT0_T1_T2_jT3_P12ihipStream_tbPNSt15iterator_traitsISE_E10value_typeEPNSK_ISF_E10value_typeEPSG_NS1_7vsmem_tEENKUlT_SE_SF_SG_E_clIS8_S8_S9_S9_EESD_ST_SE_SF_SG_EUlST_E1_NS1_11comp_targetILNS1_3genE4ELNS1_11target_archE910ELNS1_3gpuE8ELNS1_3repE0EEENS1_36merge_oddeven_config_static_selectorELNS0_4arch9wavefront6targetE1EEEvSF_,comdat
	.protected	_ZN7rocprim17ROCPRIM_400000_NS6detail17trampoline_kernelINS0_14default_configENS1_38merge_sort_block_merge_config_selectorIcNS0_10empty_typeEEEZZNS1_27merge_sort_block_merge_implIS3_PcPS5_jNS1_19radix_merge_compareILb0ELb0EcNS0_19identity_decomposerEEEEE10hipError_tT0_T1_T2_jT3_P12ihipStream_tbPNSt15iterator_traitsISE_E10value_typeEPNSK_ISF_E10value_typeEPSG_NS1_7vsmem_tEENKUlT_SE_SF_SG_E_clIS8_S8_S9_S9_EESD_ST_SE_SF_SG_EUlST_E1_NS1_11comp_targetILNS1_3genE4ELNS1_11target_archE910ELNS1_3gpuE8ELNS1_3repE0EEENS1_36merge_oddeven_config_static_selectorELNS0_4arch9wavefront6targetE1EEEvSF_ ; -- Begin function _ZN7rocprim17ROCPRIM_400000_NS6detail17trampoline_kernelINS0_14default_configENS1_38merge_sort_block_merge_config_selectorIcNS0_10empty_typeEEEZZNS1_27merge_sort_block_merge_implIS3_PcPS5_jNS1_19radix_merge_compareILb0ELb0EcNS0_19identity_decomposerEEEEE10hipError_tT0_T1_T2_jT3_P12ihipStream_tbPNSt15iterator_traitsISE_E10value_typeEPNSK_ISF_E10value_typeEPSG_NS1_7vsmem_tEENKUlT_SE_SF_SG_E_clIS8_S8_S9_S9_EESD_ST_SE_SF_SG_EUlST_E1_NS1_11comp_targetILNS1_3genE4ELNS1_11target_archE910ELNS1_3gpuE8ELNS1_3repE0EEENS1_36merge_oddeven_config_static_selectorELNS0_4arch9wavefront6targetE1EEEvSF_
	.globl	_ZN7rocprim17ROCPRIM_400000_NS6detail17trampoline_kernelINS0_14default_configENS1_38merge_sort_block_merge_config_selectorIcNS0_10empty_typeEEEZZNS1_27merge_sort_block_merge_implIS3_PcPS5_jNS1_19radix_merge_compareILb0ELb0EcNS0_19identity_decomposerEEEEE10hipError_tT0_T1_T2_jT3_P12ihipStream_tbPNSt15iterator_traitsISE_E10value_typeEPNSK_ISF_E10value_typeEPSG_NS1_7vsmem_tEENKUlT_SE_SF_SG_E_clIS8_S8_S9_S9_EESD_ST_SE_SF_SG_EUlST_E1_NS1_11comp_targetILNS1_3genE4ELNS1_11target_archE910ELNS1_3gpuE8ELNS1_3repE0EEENS1_36merge_oddeven_config_static_selectorELNS0_4arch9wavefront6targetE1EEEvSF_
	.p2align	8
	.type	_ZN7rocprim17ROCPRIM_400000_NS6detail17trampoline_kernelINS0_14default_configENS1_38merge_sort_block_merge_config_selectorIcNS0_10empty_typeEEEZZNS1_27merge_sort_block_merge_implIS3_PcPS5_jNS1_19radix_merge_compareILb0ELb0EcNS0_19identity_decomposerEEEEE10hipError_tT0_T1_T2_jT3_P12ihipStream_tbPNSt15iterator_traitsISE_E10value_typeEPNSK_ISF_E10value_typeEPSG_NS1_7vsmem_tEENKUlT_SE_SF_SG_E_clIS8_S8_S9_S9_EESD_ST_SE_SF_SG_EUlST_E1_NS1_11comp_targetILNS1_3genE4ELNS1_11target_archE910ELNS1_3gpuE8ELNS1_3repE0EEENS1_36merge_oddeven_config_static_selectorELNS0_4arch9wavefront6targetE1EEEvSF_,@function
_ZN7rocprim17ROCPRIM_400000_NS6detail17trampoline_kernelINS0_14default_configENS1_38merge_sort_block_merge_config_selectorIcNS0_10empty_typeEEEZZNS1_27merge_sort_block_merge_implIS3_PcPS5_jNS1_19radix_merge_compareILb0ELb0EcNS0_19identity_decomposerEEEEE10hipError_tT0_T1_T2_jT3_P12ihipStream_tbPNSt15iterator_traitsISE_E10value_typeEPNSK_ISF_E10value_typeEPSG_NS1_7vsmem_tEENKUlT_SE_SF_SG_E_clIS8_S8_S9_S9_EESD_ST_SE_SF_SG_EUlST_E1_NS1_11comp_targetILNS1_3genE4ELNS1_11target_archE910ELNS1_3gpuE8ELNS1_3repE0EEENS1_36merge_oddeven_config_static_selectorELNS0_4arch9wavefront6targetE1EEEvSF_: ; @_ZN7rocprim17ROCPRIM_400000_NS6detail17trampoline_kernelINS0_14default_configENS1_38merge_sort_block_merge_config_selectorIcNS0_10empty_typeEEEZZNS1_27merge_sort_block_merge_implIS3_PcPS5_jNS1_19radix_merge_compareILb0ELb0EcNS0_19identity_decomposerEEEEE10hipError_tT0_T1_T2_jT3_P12ihipStream_tbPNSt15iterator_traitsISE_E10value_typeEPNSK_ISF_E10value_typeEPSG_NS1_7vsmem_tEENKUlT_SE_SF_SG_E_clIS8_S8_S9_S9_EESD_ST_SE_SF_SG_EUlST_E1_NS1_11comp_targetILNS1_3genE4ELNS1_11target_archE910ELNS1_3gpuE8ELNS1_3repE0EEENS1_36merge_oddeven_config_static_selectorELNS0_4arch9wavefront6targetE1EEEvSF_
; %bb.0:
	s_load_dword s17, s[4:5], 0x20
	s_waitcnt lgkmcnt(0)
	s_lshr_b32 s0, s17, 8
	s_cmp_lg_u32 s6, s0
	s_cselect_b64 s[14:15], -1, 0
	s_cmp_eq_u32 s6, s0
	s_cselect_b64 s[12:13], -1, 0
	s_lshl_b32 s7, s6, 8
	s_sub_i32 s0, s17, s7
	v_cmp_gt_u32_e64 s[2:3], s0, v0
	s_or_b64 s[0:1], s[14:15], s[2:3]
	s_and_saveexec_b64 s[8:9], s[0:1]
	s_cbranch_execz .LBB37_20
; %bb.1:
	s_load_dwordx4 s[8:11], s[4:5], 0x0
	s_load_dword s18, s[4:5], 0x24
	v_add_u32_e32 v2, s7, v0
	s_waitcnt lgkmcnt(0)
	s_add_u32 s0, s8, s7
	s_addc_u32 s1, s9, 0
	global_load_sbyte v1, v0, s[0:1]
	s_lshr_b32 s0, s18, 8
	s_sub_i32 s1, 0, s0
	s_and_b32 s1, s6, s1
	s_and_b32 s0, s1, s0
	s_lshl_b32 s19, s1, 8
	s_sub_i32 s6, 0, s18
	s_cmp_eq_u32 s0, 0
	s_cselect_b64 s[0:1], -1, 0
	s_and_b64 s[4:5], s[0:1], exec
	s_cselect_b32 s16, s18, s6
	s_add_i32 s16, s16, s19
	s_cmp_lt_u32 s16, s17
	s_cbranch_scc1 .LBB37_3
; %bb.2:
	v_cmp_gt_u32_e32 vcc, s17, v2
	s_or_b64 s[4:5], vcc, s[14:15]
	s_and_b64 s[4:5], s[4:5], exec
	s_cbranch_execz .LBB37_4
	s_branch .LBB37_18
.LBB37_3:
	s_mov_b64 s[4:5], 0
.LBB37_4:
	s_min_u32 s14, s16, s17
	s_add_i32 s6, s14, s18
	s_min_u32 s15, s6, s17
	s_min_u32 s6, s19, s14
	s_add_i32 s19, s19, s14
	v_subrev_u32_e32 v0, s19, v2
	v_add_u32_e32 v0, s6, v0
	s_and_b64 vcc, exec, s[12:13]
	s_cbranch_vccz .LBB37_12
; %bb.5:
                                        ; implicit-def: $vgpr2
	s_and_saveexec_b64 s[6:7], s[2:3]
	s_cbranch_execz .LBB37_11
; %bb.6:
	s_cmp_ge_u32 s16, s15
	v_mov_b32_e32 v2, s14
	s_cbranch_scc1 .LBB37_10
; %bb.7:
	s_mov_b64 s[2:3], 0
	v_mov_b32_e32 v3, s15
	v_mov_b32_e32 v2, s14
.LBB37_8:                               ; =>This Inner Loop Header: Depth=1
	v_add_u32_e32 v4, v2, v3
	v_lshrrev_b32_e32 v4, 1, v4
	global_load_sbyte v5, v4, s[8:9]
	v_add_u32_e32 v6, 1, v4
	s_waitcnt vmcnt(0)
	v_cmp_gt_i16_e32 vcc, v1, v5
	v_cndmask_b32_e64 v7, 0, 1, vcc
	v_cmp_le_i16_e32 vcc, v5, v1
	v_cndmask_b32_e64 v5, 0, 1, vcc
	v_cndmask_b32_e64 v5, v5, v7, s[0:1]
	v_and_b32_e32 v5, 1, v5
	v_cmp_eq_u32_e32 vcc, 1, v5
	v_cndmask_b32_e32 v3, v4, v3, vcc
	v_cndmask_b32_e32 v2, v2, v6, vcc
	v_cmp_ge_u32_e32 vcc, v2, v3
	s_or_b64 s[2:3], vcc, s[2:3]
	s_andn2_b64 exec, exec, s[2:3]
	s_cbranch_execnz .LBB37_8
; %bb.9:
	s_or_b64 exec, exec, s[2:3]
.LBB37_10:
	v_add_u32_e32 v2, v2, v0
	s_or_b64 s[4:5], s[4:5], exec
.LBB37_11:
	s_or_b64 exec, exec, s[6:7]
	s_branch .LBB37_18
.LBB37_12:
                                        ; implicit-def: $vgpr2
	s_cbranch_execz .LBB37_18
; %bb.13:
	s_cmp_ge_u32 s16, s15
	v_mov_b32_e32 v2, s14
	s_cbranch_scc1 .LBB37_17
; %bb.14:
	s_mov_b64 s[2:3], 0
	v_mov_b32_e32 v3, s15
	v_mov_b32_e32 v2, s14
.LBB37_15:                              ; =>This Inner Loop Header: Depth=1
	v_add_u32_e32 v4, v2, v3
	v_lshrrev_b32_e32 v4, 1, v4
	global_load_sbyte v5, v4, s[8:9]
	v_add_u32_e32 v6, 1, v4
	s_waitcnt vmcnt(0)
	v_cmp_gt_i16_e32 vcc, v1, v5
	v_cndmask_b32_e64 v7, 0, 1, vcc
	v_cmp_le_i16_e32 vcc, v5, v1
	v_cndmask_b32_e64 v5, 0, 1, vcc
	v_cndmask_b32_e64 v5, v5, v7, s[0:1]
	v_and_b32_e32 v5, 1, v5
	v_cmp_eq_u32_e32 vcc, 1, v5
	v_cndmask_b32_e32 v3, v4, v3, vcc
	v_cndmask_b32_e32 v2, v2, v6, vcc
	v_cmp_ge_u32_e32 vcc, v2, v3
	s_or_b64 s[2:3], vcc, s[2:3]
	s_andn2_b64 exec, exec, s[2:3]
	s_cbranch_execnz .LBB37_15
; %bb.16:
	s_or_b64 exec, exec, s[2:3]
.LBB37_17:
	v_add_u32_e32 v2, v2, v0
	s_mov_b64 s[4:5], -1
.LBB37_18:
	s_and_b64 exec, exec, s[4:5]
	s_cbranch_execz .LBB37_20
; %bb.19:
	s_waitcnt vmcnt(0)
	global_store_byte v2, v1, s[10:11]
.LBB37_20:
	s_endpgm
	.section	.rodata,"a",@progbits
	.p2align	6, 0x0
	.amdhsa_kernel _ZN7rocprim17ROCPRIM_400000_NS6detail17trampoline_kernelINS0_14default_configENS1_38merge_sort_block_merge_config_selectorIcNS0_10empty_typeEEEZZNS1_27merge_sort_block_merge_implIS3_PcPS5_jNS1_19radix_merge_compareILb0ELb0EcNS0_19identity_decomposerEEEEE10hipError_tT0_T1_T2_jT3_P12ihipStream_tbPNSt15iterator_traitsISE_E10value_typeEPNSK_ISF_E10value_typeEPSG_NS1_7vsmem_tEENKUlT_SE_SF_SG_E_clIS8_S8_S9_S9_EESD_ST_SE_SF_SG_EUlST_E1_NS1_11comp_targetILNS1_3genE4ELNS1_11target_archE910ELNS1_3gpuE8ELNS1_3repE0EEENS1_36merge_oddeven_config_static_selectorELNS0_4arch9wavefront6targetE1EEEvSF_
		.amdhsa_group_segment_fixed_size 0
		.amdhsa_private_segment_fixed_size 0
		.amdhsa_kernarg_size 48
		.amdhsa_user_sgpr_count 6
		.amdhsa_user_sgpr_private_segment_buffer 1
		.amdhsa_user_sgpr_dispatch_ptr 0
		.amdhsa_user_sgpr_queue_ptr 0
		.amdhsa_user_sgpr_kernarg_segment_ptr 1
		.amdhsa_user_sgpr_dispatch_id 0
		.amdhsa_user_sgpr_flat_scratch_init 0
		.amdhsa_user_sgpr_kernarg_preload_length 0
		.amdhsa_user_sgpr_kernarg_preload_offset 0
		.amdhsa_user_sgpr_private_segment_size 0
		.amdhsa_uses_dynamic_stack 0
		.amdhsa_system_sgpr_private_segment_wavefront_offset 0
		.amdhsa_system_sgpr_workgroup_id_x 1
		.amdhsa_system_sgpr_workgroup_id_y 0
		.amdhsa_system_sgpr_workgroup_id_z 0
		.amdhsa_system_sgpr_workgroup_info 0
		.amdhsa_system_vgpr_workitem_id 0
		.amdhsa_next_free_vgpr 8
		.amdhsa_next_free_sgpr 20
		.amdhsa_accum_offset 8
		.amdhsa_reserve_vcc 1
		.amdhsa_reserve_flat_scratch 0
		.amdhsa_float_round_mode_32 0
		.amdhsa_float_round_mode_16_64 0
		.amdhsa_float_denorm_mode_32 3
		.amdhsa_float_denorm_mode_16_64 3
		.amdhsa_dx10_clamp 1
		.amdhsa_ieee_mode 1
		.amdhsa_fp16_overflow 0
		.amdhsa_tg_split 0
		.amdhsa_exception_fp_ieee_invalid_op 0
		.amdhsa_exception_fp_denorm_src 0
		.amdhsa_exception_fp_ieee_div_zero 0
		.amdhsa_exception_fp_ieee_overflow 0
		.amdhsa_exception_fp_ieee_underflow 0
		.amdhsa_exception_fp_ieee_inexact 0
		.amdhsa_exception_int_div_zero 0
	.end_amdhsa_kernel
	.section	.text._ZN7rocprim17ROCPRIM_400000_NS6detail17trampoline_kernelINS0_14default_configENS1_38merge_sort_block_merge_config_selectorIcNS0_10empty_typeEEEZZNS1_27merge_sort_block_merge_implIS3_PcPS5_jNS1_19radix_merge_compareILb0ELb0EcNS0_19identity_decomposerEEEEE10hipError_tT0_T1_T2_jT3_P12ihipStream_tbPNSt15iterator_traitsISE_E10value_typeEPNSK_ISF_E10value_typeEPSG_NS1_7vsmem_tEENKUlT_SE_SF_SG_E_clIS8_S8_S9_S9_EESD_ST_SE_SF_SG_EUlST_E1_NS1_11comp_targetILNS1_3genE4ELNS1_11target_archE910ELNS1_3gpuE8ELNS1_3repE0EEENS1_36merge_oddeven_config_static_selectorELNS0_4arch9wavefront6targetE1EEEvSF_,"axG",@progbits,_ZN7rocprim17ROCPRIM_400000_NS6detail17trampoline_kernelINS0_14default_configENS1_38merge_sort_block_merge_config_selectorIcNS0_10empty_typeEEEZZNS1_27merge_sort_block_merge_implIS3_PcPS5_jNS1_19radix_merge_compareILb0ELb0EcNS0_19identity_decomposerEEEEE10hipError_tT0_T1_T2_jT3_P12ihipStream_tbPNSt15iterator_traitsISE_E10value_typeEPNSK_ISF_E10value_typeEPSG_NS1_7vsmem_tEENKUlT_SE_SF_SG_E_clIS8_S8_S9_S9_EESD_ST_SE_SF_SG_EUlST_E1_NS1_11comp_targetILNS1_3genE4ELNS1_11target_archE910ELNS1_3gpuE8ELNS1_3repE0EEENS1_36merge_oddeven_config_static_selectorELNS0_4arch9wavefront6targetE1EEEvSF_,comdat
.Lfunc_end37:
	.size	_ZN7rocprim17ROCPRIM_400000_NS6detail17trampoline_kernelINS0_14default_configENS1_38merge_sort_block_merge_config_selectorIcNS0_10empty_typeEEEZZNS1_27merge_sort_block_merge_implIS3_PcPS5_jNS1_19radix_merge_compareILb0ELb0EcNS0_19identity_decomposerEEEEE10hipError_tT0_T1_T2_jT3_P12ihipStream_tbPNSt15iterator_traitsISE_E10value_typeEPNSK_ISF_E10value_typeEPSG_NS1_7vsmem_tEENKUlT_SE_SF_SG_E_clIS8_S8_S9_S9_EESD_ST_SE_SF_SG_EUlST_E1_NS1_11comp_targetILNS1_3genE4ELNS1_11target_archE910ELNS1_3gpuE8ELNS1_3repE0EEENS1_36merge_oddeven_config_static_selectorELNS0_4arch9wavefront6targetE1EEEvSF_, .Lfunc_end37-_ZN7rocprim17ROCPRIM_400000_NS6detail17trampoline_kernelINS0_14default_configENS1_38merge_sort_block_merge_config_selectorIcNS0_10empty_typeEEEZZNS1_27merge_sort_block_merge_implIS3_PcPS5_jNS1_19radix_merge_compareILb0ELb0EcNS0_19identity_decomposerEEEEE10hipError_tT0_T1_T2_jT3_P12ihipStream_tbPNSt15iterator_traitsISE_E10value_typeEPNSK_ISF_E10value_typeEPSG_NS1_7vsmem_tEENKUlT_SE_SF_SG_E_clIS8_S8_S9_S9_EESD_ST_SE_SF_SG_EUlST_E1_NS1_11comp_targetILNS1_3genE4ELNS1_11target_archE910ELNS1_3gpuE8ELNS1_3repE0EEENS1_36merge_oddeven_config_static_selectorELNS0_4arch9wavefront6targetE1EEEvSF_
                                        ; -- End function
	.section	.AMDGPU.csdata,"",@progbits
; Kernel info:
; codeLenInByte = 504
; NumSgprs: 24
; NumVgprs: 8
; NumAgprs: 0
; TotalNumVgprs: 8
; ScratchSize: 0
; MemoryBound: 0
; FloatMode: 240
; IeeeMode: 1
; LDSByteSize: 0 bytes/workgroup (compile time only)
; SGPRBlocks: 2
; VGPRBlocks: 0
; NumSGPRsForWavesPerEU: 24
; NumVGPRsForWavesPerEU: 8
; AccumOffset: 8
; Occupancy: 8
; WaveLimiterHint : 0
; COMPUTE_PGM_RSRC2:SCRATCH_EN: 0
; COMPUTE_PGM_RSRC2:USER_SGPR: 6
; COMPUTE_PGM_RSRC2:TRAP_HANDLER: 0
; COMPUTE_PGM_RSRC2:TGID_X_EN: 1
; COMPUTE_PGM_RSRC2:TGID_Y_EN: 0
; COMPUTE_PGM_RSRC2:TGID_Z_EN: 0
; COMPUTE_PGM_RSRC2:TIDIG_COMP_CNT: 0
; COMPUTE_PGM_RSRC3_GFX90A:ACCUM_OFFSET: 1
; COMPUTE_PGM_RSRC3_GFX90A:TG_SPLIT: 0
	.section	.text._ZN7rocprim17ROCPRIM_400000_NS6detail17trampoline_kernelINS0_14default_configENS1_38merge_sort_block_merge_config_selectorIcNS0_10empty_typeEEEZZNS1_27merge_sort_block_merge_implIS3_PcPS5_jNS1_19radix_merge_compareILb0ELb0EcNS0_19identity_decomposerEEEEE10hipError_tT0_T1_T2_jT3_P12ihipStream_tbPNSt15iterator_traitsISE_E10value_typeEPNSK_ISF_E10value_typeEPSG_NS1_7vsmem_tEENKUlT_SE_SF_SG_E_clIS8_S8_S9_S9_EESD_ST_SE_SF_SG_EUlST_E1_NS1_11comp_targetILNS1_3genE3ELNS1_11target_archE908ELNS1_3gpuE7ELNS1_3repE0EEENS1_36merge_oddeven_config_static_selectorELNS0_4arch9wavefront6targetE1EEEvSF_,"axG",@progbits,_ZN7rocprim17ROCPRIM_400000_NS6detail17trampoline_kernelINS0_14default_configENS1_38merge_sort_block_merge_config_selectorIcNS0_10empty_typeEEEZZNS1_27merge_sort_block_merge_implIS3_PcPS5_jNS1_19radix_merge_compareILb0ELb0EcNS0_19identity_decomposerEEEEE10hipError_tT0_T1_T2_jT3_P12ihipStream_tbPNSt15iterator_traitsISE_E10value_typeEPNSK_ISF_E10value_typeEPSG_NS1_7vsmem_tEENKUlT_SE_SF_SG_E_clIS8_S8_S9_S9_EESD_ST_SE_SF_SG_EUlST_E1_NS1_11comp_targetILNS1_3genE3ELNS1_11target_archE908ELNS1_3gpuE7ELNS1_3repE0EEENS1_36merge_oddeven_config_static_selectorELNS0_4arch9wavefront6targetE1EEEvSF_,comdat
	.protected	_ZN7rocprim17ROCPRIM_400000_NS6detail17trampoline_kernelINS0_14default_configENS1_38merge_sort_block_merge_config_selectorIcNS0_10empty_typeEEEZZNS1_27merge_sort_block_merge_implIS3_PcPS5_jNS1_19radix_merge_compareILb0ELb0EcNS0_19identity_decomposerEEEEE10hipError_tT0_T1_T2_jT3_P12ihipStream_tbPNSt15iterator_traitsISE_E10value_typeEPNSK_ISF_E10value_typeEPSG_NS1_7vsmem_tEENKUlT_SE_SF_SG_E_clIS8_S8_S9_S9_EESD_ST_SE_SF_SG_EUlST_E1_NS1_11comp_targetILNS1_3genE3ELNS1_11target_archE908ELNS1_3gpuE7ELNS1_3repE0EEENS1_36merge_oddeven_config_static_selectorELNS0_4arch9wavefront6targetE1EEEvSF_ ; -- Begin function _ZN7rocprim17ROCPRIM_400000_NS6detail17trampoline_kernelINS0_14default_configENS1_38merge_sort_block_merge_config_selectorIcNS0_10empty_typeEEEZZNS1_27merge_sort_block_merge_implIS3_PcPS5_jNS1_19radix_merge_compareILb0ELb0EcNS0_19identity_decomposerEEEEE10hipError_tT0_T1_T2_jT3_P12ihipStream_tbPNSt15iterator_traitsISE_E10value_typeEPNSK_ISF_E10value_typeEPSG_NS1_7vsmem_tEENKUlT_SE_SF_SG_E_clIS8_S8_S9_S9_EESD_ST_SE_SF_SG_EUlST_E1_NS1_11comp_targetILNS1_3genE3ELNS1_11target_archE908ELNS1_3gpuE7ELNS1_3repE0EEENS1_36merge_oddeven_config_static_selectorELNS0_4arch9wavefront6targetE1EEEvSF_
	.globl	_ZN7rocprim17ROCPRIM_400000_NS6detail17trampoline_kernelINS0_14default_configENS1_38merge_sort_block_merge_config_selectorIcNS0_10empty_typeEEEZZNS1_27merge_sort_block_merge_implIS3_PcPS5_jNS1_19radix_merge_compareILb0ELb0EcNS0_19identity_decomposerEEEEE10hipError_tT0_T1_T2_jT3_P12ihipStream_tbPNSt15iterator_traitsISE_E10value_typeEPNSK_ISF_E10value_typeEPSG_NS1_7vsmem_tEENKUlT_SE_SF_SG_E_clIS8_S8_S9_S9_EESD_ST_SE_SF_SG_EUlST_E1_NS1_11comp_targetILNS1_3genE3ELNS1_11target_archE908ELNS1_3gpuE7ELNS1_3repE0EEENS1_36merge_oddeven_config_static_selectorELNS0_4arch9wavefront6targetE1EEEvSF_
	.p2align	8
	.type	_ZN7rocprim17ROCPRIM_400000_NS6detail17trampoline_kernelINS0_14default_configENS1_38merge_sort_block_merge_config_selectorIcNS0_10empty_typeEEEZZNS1_27merge_sort_block_merge_implIS3_PcPS5_jNS1_19radix_merge_compareILb0ELb0EcNS0_19identity_decomposerEEEEE10hipError_tT0_T1_T2_jT3_P12ihipStream_tbPNSt15iterator_traitsISE_E10value_typeEPNSK_ISF_E10value_typeEPSG_NS1_7vsmem_tEENKUlT_SE_SF_SG_E_clIS8_S8_S9_S9_EESD_ST_SE_SF_SG_EUlST_E1_NS1_11comp_targetILNS1_3genE3ELNS1_11target_archE908ELNS1_3gpuE7ELNS1_3repE0EEENS1_36merge_oddeven_config_static_selectorELNS0_4arch9wavefront6targetE1EEEvSF_,@function
_ZN7rocprim17ROCPRIM_400000_NS6detail17trampoline_kernelINS0_14default_configENS1_38merge_sort_block_merge_config_selectorIcNS0_10empty_typeEEEZZNS1_27merge_sort_block_merge_implIS3_PcPS5_jNS1_19radix_merge_compareILb0ELb0EcNS0_19identity_decomposerEEEEE10hipError_tT0_T1_T2_jT3_P12ihipStream_tbPNSt15iterator_traitsISE_E10value_typeEPNSK_ISF_E10value_typeEPSG_NS1_7vsmem_tEENKUlT_SE_SF_SG_E_clIS8_S8_S9_S9_EESD_ST_SE_SF_SG_EUlST_E1_NS1_11comp_targetILNS1_3genE3ELNS1_11target_archE908ELNS1_3gpuE7ELNS1_3repE0EEENS1_36merge_oddeven_config_static_selectorELNS0_4arch9wavefront6targetE1EEEvSF_: ; @_ZN7rocprim17ROCPRIM_400000_NS6detail17trampoline_kernelINS0_14default_configENS1_38merge_sort_block_merge_config_selectorIcNS0_10empty_typeEEEZZNS1_27merge_sort_block_merge_implIS3_PcPS5_jNS1_19radix_merge_compareILb0ELb0EcNS0_19identity_decomposerEEEEE10hipError_tT0_T1_T2_jT3_P12ihipStream_tbPNSt15iterator_traitsISE_E10value_typeEPNSK_ISF_E10value_typeEPSG_NS1_7vsmem_tEENKUlT_SE_SF_SG_E_clIS8_S8_S9_S9_EESD_ST_SE_SF_SG_EUlST_E1_NS1_11comp_targetILNS1_3genE3ELNS1_11target_archE908ELNS1_3gpuE7ELNS1_3repE0EEENS1_36merge_oddeven_config_static_selectorELNS0_4arch9wavefront6targetE1EEEvSF_
; %bb.0:
	.section	.rodata,"a",@progbits
	.p2align	6, 0x0
	.amdhsa_kernel _ZN7rocprim17ROCPRIM_400000_NS6detail17trampoline_kernelINS0_14default_configENS1_38merge_sort_block_merge_config_selectorIcNS0_10empty_typeEEEZZNS1_27merge_sort_block_merge_implIS3_PcPS5_jNS1_19radix_merge_compareILb0ELb0EcNS0_19identity_decomposerEEEEE10hipError_tT0_T1_T2_jT3_P12ihipStream_tbPNSt15iterator_traitsISE_E10value_typeEPNSK_ISF_E10value_typeEPSG_NS1_7vsmem_tEENKUlT_SE_SF_SG_E_clIS8_S8_S9_S9_EESD_ST_SE_SF_SG_EUlST_E1_NS1_11comp_targetILNS1_3genE3ELNS1_11target_archE908ELNS1_3gpuE7ELNS1_3repE0EEENS1_36merge_oddeven_config_static_selectorELNS0_4arch9wavefront6targetE1EEEvSF_
		.amdhsa_group_segment_fixed_size 0
		.amdhsa_private_segment_fixed_size 0
		.amdhsa_kernarg_size 48
		.amdhsa_user_sgpr_count 6
		.amdhsa_user_sgpr_private_segment_buffer 1
		.amdhsa_user_sgpr_dispatch_ptr 0
		.amdhsa_user_sgpr_queue_ptr 0
		.amdhsa_user_sgpr_kernarg_segment_ptr 1
		.amdhsa_user_sgpr_dispatch_id 0
		.amdhsa_user_sgpr_flat_scratch_init 0
		.amdhsa_user_sgpr_kernarg_preload_length 0
		.amdhsa_user_sgpr_kernarg_preload_offset 0
		.amdhsa_user_sgpr_private_segment_size 0
		.amdhsa_uses_dynamic_stack 0
		.amdhsa_system_sgpr_private_segment_wavefront_offset 0
		.amdhsa_system_sgpr_workgroup_id_x 1
		.amdhsa_system_sgpr_workgroup_id_y 0
		.amdhsa_system_sgpr_workgroup_id_z 0
		.amdhsa_system_sgpr_workgroup_info 0
		.amdhsa_system_vgpr_workitem_id 0
		.amdhsa_next_free_vgpr 1
		.amdhsa_next_free_sgpr 0
		.amdhsa_accum_offset 4
		.amdhsa_reserve_vcc 0
		.amdhsa_reserve_flat_scratch 0
		.amdhsa_float_round_mode_32 0
		.amdhsa_float_round_mode_16_64 0
		.amdhsa_float_denorm_mode_32 3
		.amdhsa_float_denorm_mode_16_64 3
		.amdhsa_dx10_clamp 1
		.amdhsa_ieee_mode 1
		.amdhsa_fp16_overflow 0
		.amdhsa_tg_split 0
		.amdhsa_exception_fp_ieee_invalid_op 0
		.amdhsa_exception_fp_denorm_src 0
		.amdhsa_exception_fp_ieee_div_zero 0
		.amdhsa_exception_fp_ieee_overflow 0
		.amdhsa_exception_fp_ieee_underflow 0
		.amdhsa_exception_fp_ieee_inexact 0
		.amdhsa_exception_int_div_zero 0
	.end_amdhsa_kernel
	.section	.text._ZN7rocprim17ROCPRIM_400000_NS6detail17trampoline_kernelINS0_14default_configENS1_38merge_sort_block_merge_config_selectorIcNS0_10empty_typeEEEZZNS1_27merge_sort_block_merge_implIS3_PcPS5_jNS1_19radix_merge_compareILb0ELb0EcNS0_19identity_decomposerEEEEE10hipError_tT0_T1_T2_jT3_P12ihipStream_tbPNSt15iterator_traitsISE_E10value_typeEPNSK_ISF_E10value_typeEPSG_NS1_7vsmem_tEENKUlT_SE_SF_SG_E_clIS8_S8_S9_S9_EESD_ST_SE_SF_SG_EUlST_E1_NS1_11comp_targetILNS1_3genE3ELNS1_11target_archE908ELNS1_3gpuE7ELNS1_3repE0EEENS1_36merge_oddeven_config_static_selectorELNS0_4arch9wavefront6targetE1EEEvSF_,"axG",@progbits,_ZN7rocprim17ROCPRIM_400000_NS6detail17trampoline_kernelINS0_14default_configENS1_38merge_sort_block_merge_config_selectorIcNS0_10empty_typeEEEZZNS1_27merge_sort_block_merge_implIS3_PcPS5_jNS1_19radix_merge_compareILb0ELb0EcNS0_19identity_decomposerEEEEE10hipError_tT0_T1_T2_jT3_P12ihipStream_tbPNSt15iterator_traitsISE_E10value_typeEPNSK_ISF_E10value_typeEPSG_NS1_7vsmem_tEENKUlT_SE_SF_SG_E_clIS8_S8_S9_S9_EESD_ST_SE_SF_SG_EUlST_E1_NS1_11comp_targetILNS1_3genE3ELNS1_11target_archE908ELNS1_3gpuE7ELNS1_3repE0EEENS1_36merge_oddeven_config_static_selectorELNS0_4arch9wavefront6targetE1EEEvSF_,comdat
.Lfunc_end38:
	.size	_ZN7rocprim17ROCPRIM_400000_NS6detail17trampoline_kernelINS0_14default_configENS1_38merge_sort_block_merge_config_selectorIcNS0_10empty_typeEEEZZNS1_27merge_sort_block_merge_implIS3_PcPS5_jNS1_19radix_merge_compareILb0ELb0EcNS0_19identity_decomposerEEEEE10hipError_tT0_T1_T2_jT3_P12ihipStream_tbPNSt15iterator_traitsISE_E10value_typeEPNSK_ISF_E10value_typeEPSG_NS1_7vsmem_tEENKUlT_SE_SF_SG_E_clIS8_S8_S9_S9_EESD_ST_SE_SF_SG_EUlST_E1_NS1_11comp_targetILNS1_3genE3ELNS1_11target_archE908ELNS1_3gpuE7ELNS1_3repE0EEENS1_36merge_oddeven_config_static_selectorELNS0_4arch9wavefront6targetE1EEEvSF_, .Lfunc_end38-_ZN7rocprim17ROCPRIM_400000_NS6detail17trampoline_kernelINS0_14default_configENS1_38merge_sort_block_merge_config_selectorIcNS0_10empty_typeEEEZZNS1_27merge_sort_block_merge_implIS3_PcPS5_jNS1_19radix_merge_compareILb0ELb0EcNS0_19identity_decomposerEEEEE10hipError_tT0_T1_T2_jT3_P12ihipStream_tbPNSt15iterator_traitsISE_E10value_typeEPNSK_ISF_E10value_typeEPSG_NS1_7vsmem_tEENKUlT_SE_SF_SG_E_clIS8_S8_S9_S9_EESD_ST_SE_SF_SG_EUlST_E1_NS1_11comp_targetILNS1_3genE3ELNS1_11target_archE908ELNS1_3gpuE7ELNS1_3repE0EEENS1_36merge_oddeven_config_static_selectorELNS0_4arch9wavefront6targetE1EEEvSF_
                                        ; -- End function
	.section	.AMDGPU.csdata,"",@progbits
; Kernel info:
; codeLenInByte = 0
; NumSgprs: 4
; NumVgprs: 0
; NumAgprs: 0
; TotalNumVgprs: 0
; ScratchSize: 0
; MemoryBound: 0
; FloatMode: 240
; IeeeMode: 1
; LDSByteSize: 0 bytes/workgroup (compile time only)
; SGPRBlocks: 0
; VGPRBlocks: 0
; NumSGPRsForWavesPerEU: 4
; NumVGPRsForWavesPerEU: 1
; AccumOffset: 4
; Occupancy: 8
; WaveLimiterHint : 0
; COMPUTE_PGM_RSRC2:SCRATCH_EN: 0
; COMPUTE_PGM_RSRC2:USER_SGPR: 6
; COMPUTE_PGM_RSRC2:TRAP_HANDLER: 0
; COMPUTE_PGM_RSRC2:TGID_X_EN: 1
; COMPUTE_PGM_RSRC2:TGID_Y_EN: 0
; COMPUTE_PGM_RSRC2:TGID_Z_EN: 0
; COMPUTE_PGM_RSRC2:TIDIG_COMP_CNT: 0
; COMPUTE_PGM_RSRC3_GFX90A:ACCUM_OFFSET: 0
; COMPUTE_PGM_RSRC3_GFX90A:TG_SPLIT: 0
	.section	.text._ZN7rocprim17ROCPRIM_400000_NS6detail17trampoline_kernelINS0_14default_configENS1_38merge_sort_block_merge_config_selectorIcNS0_10empty_typeEEEZZNS1_27merge_sort_block_merge_implIS3_PcPS5_jNS1_19radix_merge_compareILb0ELb0EcNS0_19identity_decomposerEEEEE10hipError_tT0_T1_T2_jT3_P12ihipStream_tbPNSt15iterator_traitsISE_E10value_typeEPNSK_ISF_E10value_typeEPSG_NS1_7vsmem_tEENKUlT_SE_SF_SG_E_clIS8_S8_S9_S9_EESD_ST_SE_SF_SG_EUlST_E1_NS1_11comp_targetILNS1_3genE2ELNS1_11target_archE906ELNS1_3gpuE6ELNS1_3repE0EEENS1_36merge_oddeven_config_static_selectorELNS0_4arch9wavefront6targetE1EEEvSF_,"axG",@progbits,_ZN7rocprim17ROCPRIM_400000_NS6detail17trampoline_kernelINS0_14default_configENS1_38merge_sort_block_merge_config_selectorIcNS0_10empty_typeEEEZZNS1_27merge_sort_block_merge_implIS3_PcPS5_jNS1_19radix_merge_compareILb0ELb0EcNS0_19identity_decomposerEEEEE10hipError_tT0_T1_T2_jT3_P12ihipStream_tbPNSt15iterator_traitsISE_E10value_typeEPNSK_ISF_E10value_typeEPSG_NS1_7vsmem_tEENKUlT_SE_SF_SG_E_clIS8_S8_S9_S9_EESD_ST_SE_SF_SG_EUlST_E1_NS1_11comp_targetILNS1_3genE2ELNS1_11target_archE906ELNS1_3gpuE6ELNS1_3repE0EEENS1_36merge_oddeven_config_static_selectorELNS0_4arch9wavefront6targetE1EEEvSF_,comdat
	.protected	_ZN7rocprim17ROCPRIM_400000_NS6detail17trampoline_kernelINS0_14default_configENS1_38merge_sort_block_merge_config_selectorIcNS0_10empty_typeEEEZZNS1_27merge_sort_block_merge_implIS3_PcPS5_jNS1_19radix_merge_compareILb0ELb0EcNS0_19identity_decomposerEEEEE10hipError_tT0_T1_T2_jT3_P12ihipStream_tbPNSt15iterator_traitsISE_E10value_typeEPNSK_ISF_E10value_typeEPSG_NS1_7vsmem_tEENKUlT_SE_SF_SG_E_clIS8_S8_S9_S9_EESD_ST_SE_SF_SG_EUlST_E1_NS1_11comp_targetILNS1_3genE2ELNS1_11target_archE906ELNS1_3gpuE6ELNS1_3repE0EEENS1_36merge_oddeven_config_static_selectorELNS0_4arch9wavefront6targetE1EEEvSF_ ; -- Begin function _ZN7rocprim17ROCPRIM_400000_NS6detail17trampoline_kernelINS0_14default_configENS1_38merge_sort_block_merge_config_selectorIcNS0_10empty_typeEEEZZNS1_27merge_sort_block_merge_implIS3_PcPS5_jNS1_19radix_merge_compareILb0ELb0EcNS0_19identity_decomposerEEEEE10hipError_tT0_T1_T2_jT3_P12ihipStream_tbPNSt15iterator_traitsISE_E10value_typeEPNSK_ISF_E10value_typeEPSG_NS1_7vsmem_tEENKUlT_SE_SF_SG_E_clIS8_S8_S9_S9_EESD_ST_SE_SF_SG_EUlST_E1_NS1_11comp_targetILNS1_3genE2ELNS1_11target_archE906ELNS1_3gpuE6ELNS1_3repE0EEENS1_36merge_oddeven_config_static_selectorELNS0_4arch9wavefront6targetE1EEEvSF_
	.globl	_ZN7rocprim17ROCPRIM_400000_NS6detail17trampoline_kernelINS0_14default_configENS1_38merge_sort_block_merge_config_selectorIcNS0_10empty_typeEEEZZNS1_27merge_sort_block_merge_implIS3_PcPS5_jNS1_19radix_merge_compareILb0ELb0EcNS0_19identity_decomposerEEEEE10hipError_tT0_T1_T2_jT3_P12ihipStream_tbPNSt15iterator_traitsISE_E10value_typeEPNSK_ISF_E10value_typeEPSG_NS1_7vsmem_tEENKUlT_SE_SF_SG_E_clIS8_S8_S9_S9_EESD_ST_SE_SF_SG_EUlST_E1_NS1_11comp_targetILNS1_3genE2ELNS1_11target_archE906ELNS1_3gpuE6ELNS1_3repE0EEENS1_36merge_oddeven_config_static_selectorELNS0_4arch9wavefront6targetE1EEEvSF_
	.p2align	8
	.type	_ZN7rocprim17ROCPRIM_400000_NS6detail17trampoline_kernelINS0_14default_configENS1_38merge_sort_block_merge_config_selectorIcNS0_10empty_typeEEEZZNS1_27merge_sort_block_merge_implIS3_PcPS5_jNS1_19radix_merge_compareILb0ELb0EcNS0_19identity_decomposerEEEEE10hipError_tT0_T1_T2_jT3_P12ihipStream_tbPNSt15iterator_traitsISE_E10value_typeEPNSK_ISF_E10value_typeEPSG_NS1_7vsmem_tEENKUlT_SE_SF_SG_E_clIS8_S8_S9_S9_EESD_ST_SE_SF_SG_EUlST_E1_NS1_11comp_targetILNS1_3genE2ELNS1_11target_archE906ELNS1_3gpuE6ELNS1_3repE0EEENS1_36merge_oddeven_config_static_selectorELNS0_4arch9wavefront6targetE1EEEvSF_,@function
_ZN7rocprim17ROCPRIM_400000_NS6detail17trampoline_kernelINS0_14default_configENS1_38merge_sort_block_merge_config_selectorIcNS0_10empty_typeEEEZZNS1_27merge_sort_block_merge_implIS3_PcPS5_jNS1_19radix_merge_compareILb0ELb0EcNS0_19identity_decomposerEEEEE10hipError_tT0_T1_T2_jT3_P12ihipStream_tbPNSt15iterator_traitsISE_E10value_typeEPNSK_ISF_E10value_typeEPSG_NS1_7vsmem_tEENKUlT_SE_SF_SG_E_clIS8_S8_S9_S9_EESD_ST_SE_SF_SG_EUlST_E1_NS1_11comp_targetILNS1_3genE2ELNS1_11target_archE906ELNS1_3gpuE6ELNS1_3repE0EEENS1_36merge_oddeven_config_static_selectorELNS0_4arch9wavefront6targetE1EEEvSF_: ; @_ZN7rocprim17ROCPRIM_400000_NS6detail17trampoline_kernelINS0_14default_configENS1_38merge_sort_block_merge_config_selectorIcNS0_10empty_typeEEEZZNS1_27merge_sort_block_merge_implIS3_PcPS5_jNS1_19radix_merge_compareILb0ELb0EcNS0_19identity_decomposerEEEEE10hipError_tT0_T1_T2_jT3_P12ihipStream_tbPNSt15iterator_traitsISE_E10value_typeEPNSK_ISF_E10value_typeEPSG_NS1_7vsmem_tEENKUlT_SE_SF_SG_E_clIS8_S8_S9_S9_EESD_ST_SE_SF_SG_EUlST_E1_NS1_11comp_targetILNS1_3genE2ELNS1_11target_archE906ELNS1_3gpuE6ELNS1_3repE0EEENS1_36merge_oddeven_config_static_selectorELNS0_4arch9wavefront6targetE1EEEvSF_
; %bb.0:
	.section	.rodata,"a",@progbits
	.p2align	6, 0x0
	.amdhsa_kernel _ZN7rocprim17ROCPRIM_400000_NS6detail17trampoline_kernelINS0_14default_configENS1_38merge_sort_block_merge_config_selectorIcNS0_10empty_typeEEEZZNS1_27merge_sort_block_merge_implIS3_PcPS5_jNS1_19radix_merge_compareILb0ELb0EcNS0_19identity_decomposerEEEEE10hipError_tT0_T1_T2_jT3_P12ihipStream_tbPNSt15iterator_traitsISE_E10value_typeEPNSK_ISF_E10value_typeEPSG_NS1_7vsmem_tEENKUlT_SE_SF_SG_E_clIS8_S8_S9_S9_EESD_ST_SE_SF_SG_EUlST_E1_NS1_11comp_targetILNS1_3genE2ELNS1_11target_archE906ELNS1_3gpuE6ELNS1_3repE0EEENS1_36merge_oddeven_config_static_selectorELNS0_4arch9wavefront6targetE1EEEvSF_
		.amdhsa_group_segment_fixed_size 0
		.amdhsa_private_segment_fixed_size 0
		.amdhsa_kernarg_size 48
		.amdhsa_user_sgpr_count 6
		.amdhsa_user_sgpr_private_segment_buffer 1
		.amdhsa_user_sgpr_dispatch_ptr 0
		.amdhsa_user_sgpr_queue_ptr 0
		.amdhsa_user_sgpr_kernarg_segment_ptr 1
		.amdhsa_user_sgpr_dispatch_id 0
		.amdhsa_user_sgpr_flat_scratch_init 0
		.amdhsa_user_sgpr_kernarg_preload_length 0
		.amdhsa_user_sgpr_kernarg_preload_offset 0
		.amdhsa_user_sgpr_private_segment_size 0
		.amdhsa_uses_dynamic_stack 0
		.amdhsa_system_sgpr_private_segment_wavefront_offset 0
		.amdhsa_system_sgpr_workgroup_id_x 1
		.amdhsa_system_sgpr_workgroup_id_y 0
		.amdhsa_system_sgpr_workgroup_id_z 0
		.amdhsa_system_sgpr_workgroup_info 0
		.amdhsa_system_vgpr_workitem_id 0
		.amdhsa_next_free_vgpr 1
		.amdhsa_next_free_sgpr 0
		.amdhsa_accum_offset 4
		.amdhsa_reserve_vcc 0
		.amdhsa_reserve_flat_scratch 0
		.amdhsa_float_round_mode_32 0
		.amdhsa_float_round_mode_16_64 0
		.amdhsa_float_denorm_mode_32 3
		.amdhsa_float_denorm_mode_16_64 3
		.amdhsa_dx10_clamp 1
		.amdhsa_ieee_mode 1
		.amdhsa_fp16_overflow 0
		.amdhsa_tg_split 0
		.amdhsa_exception_fp_ieee_invalid_op 0
		.amdhsa_exception_fp_denorm_src 0
		.amdhsa_exception_fp_ieee_div_zero 0
		.amdhsa_exception_fp_ieee_overflow 0
		.amdhsa_exception_fp_ieee_underflow 0
		.amdhsa_exception_fp_ieee_inexact 0
		.amdhsa_exception_int_div_zero 0
	.end_amdhsa_kernel
	.section	.text._ZN7rocprim17ROCPRIM_400000_NS6detail17trampoline_kernelINS0_14default_configENS1_38merge_sort_block_merge_config_selectorIcNS0_10empty_typeEEEZZNS1_27merge_sort_block_merge_implIS3_PcPS5_jNS1_19radix_merge_compareILb0ELb0EcNS0_19identity_decomposerEEEEE10hipError_tT0_T1_T2_jT3_P12ihipStream_tbPNSt15iterator_traitsISE_E10value_typeEPNSK_ISF_E10value_typeEPSG_NS1_7vsmem_tEENKUlT_SE_SF_SG_E_clIS8_S8_S9_S9_EESD_ST_SE_SF_SG_EUlST_E1_NS1_11comp_targetILNS1_3genE2ELNS1_11target_archE906ELNS1_3gpuE6ELNS1_3repE0EEENS1_36merge_oddeven_config_static_selectorELNS0_4arch9wavefront6targetE1EEEvSF_,"axG",@progbits,_ZN7rocprim17ROCPRIM_400000_NS6detail17trampoline_kernelINS0_14default_configENS1_38merge_sort_block_merge_config_selectorIcNS0_10empty_typeEEEZZNS1_27merge_sort_block_merge_implIS3_PcPS5_jNS1_19radix_merge_compareILb0ELb0EcNS0_19identity_decomposerEEEEE10hipError_tT0_T1_T2_jT3_P12ihipStream_tbPNSt15iterator_traitsISE_E10value_typeEPNSK_ISF_E10value_typeEPSG_NS1_7vsmem_tEENKUlT_SE_SF_SG_E_clIS8_S8_S9_S9_EESD_ST_SE_SF_SG_EUlST_E1_NS1_11comp_targetILNS1_3genE2ELNS1_11target_archE906ELNS1_3gpuE6ELNS1_3repE0EEENS1_36merge_oddeven_config_static_selectorELNS0_4arch9wavefront6targetE1EEEvSF_,comdat
.Lfunc_end39:
	.size	_ZN7rocprim17ROCPRIM_400000_NS6detail17trampoline_kernelINS0_14default_configENS1_38merge_sort_block_merge_config_selectorIcNS0_10empty_typeEEEZZNS1_27merge_sort_block_merge_implIS3_PcPS5_jNS1_19radix_merge_compareILb0ELb0EcNS0_19identity_decomposerEEEEE10hipError_tT0_T1_T2_jT3_P12ihipStream_tbPNSt15iterator_traitsISE_E10value_typeEPNSK_ISF_E10value_typeEPSG_NS1_7vsmem_tEENKUlT_SE_SF_SG_E_clIS8_S8_S9_S9_EESD_ST_SE_SF_SG_EUlST_E1_NS1_11comp_targetILNS1_3genE2ELNS1_11target_archE906ELNS1_3gpuE6ELNS1_3repE0EEENS1_36merge_oddeven_config_static_selectorELNS0_4arch9wavefront6targetE1EEEvSF_, .Lfunc_end39-_ZN7rocprim17ROCPRIM_400000_NS6detail17trampoline_kernelINS0_14default_configENS1_38merge_sort_block_merge_config_selectorIcNS0_10empty_typeEEEZZNS1_27merge_sort_block_merge_implIS3_PcPS5_jNS1_19radix_merge_compareILb0ELb0EcNS0_19identity_decomposerEEEEE10hipError_tT0_T1_T2_jT3_P12ihipStream_tbPNSt15iterator_traitsISE_E10value_typeEPNSK_ISF_E10value_typeEPSG_NS1_7vsmem_tEENKUlT_SE_SF_SG_E_clIS8_S8_S9_S9_EESD_ST_SE_SF_SG_EUlST_E1_NS1_11comp_targetILNS1_3genE2ELNS1_11target_archE906ELNS1_3gpuE6ELNS1_3repE0EEENS1_36merge_oddeven_config_static_selectorELNS0_4arch9wavefront6targetE1EEEvSF_
                                        ; -- End function
	.section	.AMDGPU.csdata,"",@progbits
; Kernel info:
; codeLenInByte = 0
; NumSgprs: 4
; NumVgprs: 0
; NumAgprs: 0
; TotalNumVgprs: 0
; ScratchSize: 0
; MemoryBound: 0
; FloatMode: 240
; IeeeMode: 1
; LDSByteSize: 0 bytes/workgroup (compile time only)
; SGPRBlocks: 0
; VGPRBlocks: 0
; NumSGPRsForWavesPerEU: 4
; NumVGPRsForWavesPerEU: 1
; AccumOffset: 4
; Occupancy: 8
; WaveLimiterHint : 0
; COMPUTE_PGM_RSRC2:SCRATCH_EN: 0
; COMPUTE_PGM_RSRC2:USER_SGPR: 6
; COMPUTE_PGM_RSRC2:TRAP_HANDLER: 0
; COMPUTE_PGM_RSRC2:TGID_X_EN: 1
; COMPUTE_PGM_RSRC2:TGID_Y_EN: 0
; COMPUTE_PGM_RSRC2:TGID_Z_EN: 0
; COMPUTE_PGM_RSRC2:TIDIG_COMP_CNT: 0
; COMPUTE_PGM_RSRC3_GFX90A:ACCUM_OFFSET: 0
; COMPUTE_PGM_RSRC3_GFX90A:TG_SPLIT: 0
	.section	.text._ZN7rocprim17ROCPRIM_400000_NS6detail17trampoline_kernelINS0_14default_configENS1_38merge_sort_block_merge_config_selectorIcNS0_10empty_typeEEEZZNS1_27merge_sort_block_merge_implIS3_PcPS5_jNS1_19radix_merge_compareILb0ELb0EcNS0_19identity_decomposerEEEEE10hipError_tT0_T1_T2_jT3_P12ihipStream_tbPNSt15iterator_traitsISE_E10value_typeEPNSK_ISF_E10value_typeEPSG_NS1_7vsmem_tEENKUlT_SE_SF_SG_E_clIS8_S8_S9_S9_EESD_ST_SE_SF_SG_EUlST_E1_NS1_11comp_targetILNS1_3genE9ELNS1_11target_archE1100ELNS1_3gpuE3ELNS1_3repE0EEENS1_36merge_oddeven_config_static_selectorELNS0_4arch9wavefront6targetE1EEEvSF_,"axG",@progbits,_ZN7rocprim17ROCPRIM_400000_NS6detail17trampoline_kernelINS0_14default_configENS1_38merge_sort_block_merge_config_selectorIcNS0_10empty_typeEEEZZNS1_27merge_sort_block_merge_implIS3_PcPS5_jNS1_19radix_merge_compareILb0ELb0EcNS0_19identity_decomposerEEEEE10hipError_tT0_T1_T2_jT3_P12ihipStream_tbPNSt15iterator_traitsISE_E10value_typeEPNSK_ISF_E10value_typeEPSG_NS1_7vsmem_tEENKUlT_SE_SF_SG_E_clIS8_S8_S9_S9_EESD_ST_SE_SF_SG_EUlST_E1_NS1_11comp_targetILNS1_3genE9ELNS1_11target_archE1100ELNS1_3gpuE3ELNS1_3repE0EEENS1_36merge_oddeven_config_static_selectorELNS0_4arch9wavefront6targetE1EEEvSF_,comdat
	.protected	_ZN7rocprim17ROCPRIM_400000_NS6detail17trampoline_kernelINS0_14default_configENS1_38merge_sort_block_merge_config_selectorIcNS0_10empty_typeEEEZZNS1_27merge_sort_block_merge_implIS3_PcPS5_jNS1_19radix_merge_compareILb0ELb0EcNS0_19identity_decomposerEEEEE10hipError_tT0_T1_T2_jT3_P12ihipStream_tbPNSt15iterator_traitsISE_E10value_typeEPNSK_ISF_E10value_typeEPSG_NS1_7vsmem_tEENKUlT_SE_SF_SG_E_clIS8_S8_S9_S9_EESD_ST_SE_SF_SG_EUlST_E1_NS1_11comp_targetILNS1_3genE9ELNS1_11target_archE1100ELNS1_3gpuE3ELNS1_3repE0EEENS1_36merge_oddeven_config_static_selectorELNS0_4arch9wavefront6targetE1EEEvSF_ ; -- Begin function _ZN7rocprim17ROCPRIM_400000_NS6detail17trampoline_kernelINS0_14default_configENS1_38merge_sort_block_merge_config_selectorIcNS0_10empty_typeEEEZZNS1_27merge_sort_block_merge_implIS3_PcPS5_jNS1_19radix_merge_compareILb0ELb0EcNS0_19identity_decomposerEEEEE10hipError_tT0_T1_T2_jT3_P12ihipStream_tbPNSt15iterator_traitsISE_E10value_typeEPNSK_ISF_E10value_typeEPSG_NS1_7vsmem_tEENKUlT_SE_SF_SG_E_clIS8_S8_S9_S9_EESD_ST_SE_SF_SG_EUlST_E1_NS1_11comp_targetILNS1_3genE9ELNS1_11target_archE1100ELNS1_3gpuE3ELNS1_3repE0EEENS1_36merge_oddeven_config_static_selectorELNS0_4arch9wavefront6targetE1EEEvSF_
	.globl	_ZN7rocprim17ROCPRIM_400000_NS6detail17trampoline_kernelINS0_14default_configENS1_38merge_sort_block_merge_config_selectorIcNS0_10empty_typeEEEZZNS1_27merge_sort_block_merge_implIS3_PcPS5_jNS1_19radix_merge_compareILb0ELb0EcNS0_19identity_decomposerEEEEE10hipError_tT0_T1_T2_jT3_P12ihipStream_tbPNSt15iterator_traitsISE_E10value_typeEPNSK_ISF_E10value_typeEPSG_NS1_7vsmem_tEENKUlT_SE_SF_SG_E_clIS8_S8_S9_S9_EESD_ST_SE_SF_SG_EUlST_E1_NS1_11comp_targetILNS1_3genE9ELNS1_11target_archE1100ELNS1_3gpuE3ELNS1_3repE0EEENS1_36merge_oddeven_config_static_selectorELNS0_4arch9wavefront6targetE1EEEvSF_
	.p2align	8
	.type	_ZN7rocprim17ROCPRIM_400000_NS6detail17trampoline_kernelINS0_14default_configENS1_38merge_sort_block_merge_config_selectorIcNS0_10empty_typeEEEZZNS1_27merge_sort_block_merge_implIS3_PcPS5_jNS1_19radix_merge_compareILb0ELb0EcNS0_19identity_decomposerEEEEE10hipError_tT0_T1_T2_jT3_P12ihipStream_tbPNSt15iterator_traitsISE_E10value_typeEPNSK_ISF_E10value_typeEPSG_NS1_7vsmem_tEENKUlT_SE_SF_SG_E_clIS8_S8_S9_S9_EESD_ST_SE_SF_SG_EUlST_E1_NS1_11comp_targetILNS1_3genE9ELNS1_11target_archE1100ELNS1_3gpuE3ELNS1_3repE0EEENS1_36merge_oddeven_config_static_selectorELNS0_4arch9wavefront6targetE1EEEvSF_,@function
_ZN7rocprim17ROCPRIM_400000_NS6detail17trampoline_kernelINS0_14default_configENS1_38merge_sort_block_merge_config_selectorIcNS0_10empty_typeEEEZZNS1_27merge_sort_block_merge_implIS3_PcPS5_jNS1_19radix_merge_compareILb0ELb0EcNS0_19identity_decomposerEEEEE10hipError_tT0_T1_T2_jT3_P12ihipStream_tbPNSt15iterator_traitsISE_E10value_typeEPNSK_ISF_E10value_typeEPSG_NS1_7vsmem_tEENKUlT_SE_SF_SG_E_clIS8_S8_S9_S9_EESD_ST_SE_SF_SG_EUlST_E1_NS1_11comp_targetILNS1_3genE9ELNS1_11target_archE1100ELNS1_3gpuE3ELNS1_3repE0EEENS1_36merge_oddeven_config_static_selectorELNS0_4arch9wavefront6targetE1EEEvSF_: ; @_ZN7rocprim17ROCPRIM_400000_NS6detail17trampoline_kernelINS0_14default_configENS1_38merge_sort_block_merge_config_selectorIcNS0_10empty_typeEEEZZNS1_27merge_sort_block_merge_implIS3_PcPS5_jNS1_19radix_merge_compareILb0ELb0EcNS0_19identity_decomposerEEEEE10hipError_tT0_T1_T2_jT3_P12ihipStream_tbPNSt15iterator_traitsISE_E10value_typeEPNSK_ISF_E10value_typeEPSG_NS1_7vsmem_tEENKUlT_SE_SF_SG_E_clIS8_S8_S9_S9_EESD_ST_SE_SF_SG_EUlST_E1_NS1_11comp_targetILNS1_3genE9ELNS1_11target_archE1100ELNS1_3gpuE3ELNS1_3repE0EEENS1_36merge_oddeven_config_static_selectorELNS0_4arch9wavefront6targetE1EEEvSF_
; %bb.0:
	.section	.rodata,"a",@progbits
	.p2align	6, 0x0
	.amdhsa_kernel _ZN7rocprim17ROCPRIM_400000_NS6detail17trampoline_kernelINS0_14default_configENS1_38merge_sort_block_merge_config_selectorIcNS0_10empty_typeEEEZZNS1_27merge_sort_block_merge_implIS3_PcPS5_jNS1_19radix_merge_compareILb0ELb0EcNS0_19identity_decomposerEEEEE10hipError_tT0_T1_T2_jT3_P12ihipStream_tbPNSt15iterator_traitsISE_E10value_typeEPNSK_ISF_E10value_typeEPSG_NS1_7vsmem_tEENKUlT_SE_SF_SG_E_clIS8_S8_S9_S9_EESD_ST_SE_SF_SG_EUlST_E1_NS1_11comp_targetILNS1_3genE9ELNS1_11target_archE1100ELNS1_3gpuE3ELNS1_3repE0EEENS1_36merge_oddeven_config_static_selectorELNS0_4arch9wavefront6targetE1EEEvSF_
		.amdhsa_group_segment_fixed_size 0
		.amdhsa_private_segment_fixed_size 0
		.amdhsa_kernarg_size 48
		.amdhsa_user_sgpr_count 6
		.amdhsa_user_sgpr_private_segment_buffer 1
		.amdhsa_user_sgpr_dispatch_ptr 0
		.amdhsa_user_sgpr_queue_ptr 0
		.amdhsa_user_sgpr_kernarg_segment_ptr 1
		.amdhsa_user_sgpr_dispatch_id 0
		.amdhsa_user_sgpr_flat_scratch_init 0
		.amdhsa_user_sgpr_kernarg_preload_length 0
		.amdhsa_user_sgpr_kernarg_preload_offset 0
		.amdhsa_user_sgpr_private_segment_size 0
		.amdhsa_uses_dynamic_stack 0
		.amdhsa_system_sgpr_private_segment_wavefront_offset 0
		.amdhsa_system_sgpr_workgroup_id_x 1
		.amdhsa_system_sgpr_workgroup_id_y 0
		.amdhsa_system_sgpr_workgroup_id_z 0
		.amdhsa_system_sgpr_workgroup_info 0
		.amdhsa_system_vgpr_workitem_id 0
		.amdhsa_next_free_vgpr 1
		.amdhsa_next_free_sgpr 0
		.amdhsa_accum_offset 4
		.amdhsa_reserve_vcc 0
		.amdhsa_reserve_flat_scratch 0
		.amdhsa_float_round_mode_32 0
		.amdhsa_float_round_mode_16_64 0
		.amdhsa_float_denorm_mode_32 3
		.amdhsa_float_denorm_mode_16_64 3
		.amdhsa_dx10_clamp 1
		.amdhsa_ieee_mode 1
		.amdhsa_fp16_overflow 0
		.amdhsa_tg_split 0
		.amdhsa_exception_fp_ieee_invalid_op 0
		.amdhsa_exception_fp_denorm_src 0
		.amdhsa_exception_fp_ieee_div_zero 0
		.amdhsa_exception_fp_ieee_overflow 0
		.amdhsa_exception_fp_ieee_underflow 0
		.amdhsa_exception_fp_ieee_inexact 0
		.amdhsa_exception_int_div_zero 0
	.end_amdhsa_kernel
	.section	.text._ZN7rocprim17ROCPRIM_400000_NS6detail17trampoline_kernelINS0_14default_configENS1_38merge_sort_block_merge_config_selectorIcNS0_10empty_typeEEEZZNS1_27merge_sort_block_merge_implIS3_PcPS5_jNS1_19radix_merge_compareILb0ELb0EcNS0_19identity_decomposerEEEEE10hipError_tT0_T1_T2_jT3_P12ihipStream_tbPNSt15iterator_traitsISE_E10value_typeEPNSK_ISF_E10value_typeEPSG_NS1_7vsmem_tEENKUlT_SE_SF_SG_E_clIS8_S8_S9_S9_EESD_ST_SE_SF_SG_EUlST_E1_NS1_11comp_targetILNS1_3genE9ELNS1_11target_archE1100ELNS1_3gpuE3ELNS1_3repE0EEENS1_36merge_oddeven_config_static_selectorELNS0_4arch9wavefront6targetE1EEEvSF_,"axG",@progbits,_ZN7rocprim17ROCPRIM_400000_NS6detail17trampoline_kernelINS0_14default_configENS1_38merge_sort_block_merge_config_selectorIcNS0_10empty_typeEEEZZNS1_27merge_sort_block_merge_implIS3_PcPS5_jNS1_19radix_merge_compareILb0ELb0EcNS0_19identity_decomposerEEEEE10hipError_tT0_T1_T2_jT3_P12ihipStream_tbPNSt15iterator_traitsISE_E10value_typeEPNSK_ISF_E10value_typeEPSG_NS1_7vsmem_tEENKUlT_SE_SF_SG_E_clIS8_S8_S9_S9_EESD_ST_SE_SF_SG_EUlST_E1_NS1_11comp_targetILNS1_3genE9ELNS1_11target_archE1100ELNS1_3gpuE3ELNS1_3repE0EEENS1_36merge_oddeven_config_static_selectorELNS0_4arch9wavefront6targetE1EEEvSF_,comdat
.Lfunc_end40:
	.size	_ZN7rocprim17ROCPRIM_400000_NS6detail17trampoline_kernelINS0_14default_configENS1_38merge_sort_block_merge_config_selectorIcNS0_10empty_typeEEEZZNS1_27merge_sort_block_merge_implIS3_PcPS5_jNS1_19radix_merge_compareILb0ELb0EcNS0_19identity_decomposerEEEEE10hipError_tT0_T1_T2_jT3_P12ihipStream_tbPNSt15iterator_traitsISE_E10value_typeEPNSK_ISF_E10value_typeEPSG_NS1_7vsmem_tEENKUlT_SE_SF_SG_E_clIS8_S8_S9_S9_EESD_ST_SE_SF_SG_EUlST_E1_NS1_11comp_targetILNS1_3genE9ELNS1_11target_archE1100ELNS1_3gpuE3ELNS1_3repE0EEENS1_36merge_oddeven_config_static_selectorELNS0_4arch9wavefront6targetE1EEEvSF_, .Lfunc_end40-_ZN7rocprim17ROCPRIM_400000_NS6detail17trampoline_kernelINS0_14default_configENS1_38merge_sort_block_merge_config_selectorIcNS0_10empty_typeEEEZZNS1_27merge_sort_block_merge_implIS3_PcPS5_jNS1_19radix_merge_compareILb0ELb0EcNS0_19identity_decomposerEEEEE10hipError_tT0_T1_T2_jT3_P12ihipStream_tbPNSt15iterator_traitsISE_E10value_typeEPNSK_ISF_E10value_typeEPSG_NS1_7vsmem_tEENKUlT_SE_SF_SG_E_clIS8_S8_S9_S9_EESD_ST_SE_SF_SG_EUlST_E1_NS1_11comp_targetILNS1_3genE9ELNS1_11target_archE1100ELNS1_3gpuE3ELNS1_3repE0EEENS1_36merge_oddeven_config_static_selectorELNS0_4arch9wavefront6targetE1EEEvSF_
                                        ; -- End function
	.section	.AMDGPU.csdata,"",@progbits
; Kernel info:
; codeLenInByte = 0
; NumSgprs: 4
; NumVgprs: 0
; NumAgprs: 0
; TotalNumVgprs: 0
; ScratchSize: 0
; MemoryBound: 0
; FloatMode: 240
; IeeeMode: 1
; LDSByteSize: 0 bytes/workgroup (compile time only)
; SGPRBlocks: 0
; VGPRBlocks: 0
; NumSGPRsForWavesPerEU: 4
; NumVGPRsForWavesPerEU: 1
; AccumOffset: 4
; Occupancy: 8
; WaveLimiterHint : 0
; COMPUTE_PGM_RSRC2:SCRATCH_EN: 0
; COMPUTE_PGM_RSRC2:USER_SGPR: 6
; COMPUTE_PGM_RSRC2:TRAP_HANDLER: 0
; COMPUTE_PGM_RSRC2:TGID_X_EN: 1
; COMPUTE_PGM_RSRC2:TGID_Y_EN: 0
; COMPUTE_PGM_RSRC2:TGID_Z_EN: 0
; COMPUTE_PGM_RSRC2:TIDIG_COMP_CNT: 0
; COMPUTE_PGM_RSRC3_GFX90A:ACCUM_OFFSET: 0
; COMPUTE_PGM_RSRC3_GFX90A:TG_SPLIT: 0
	.section	.text._ZN7rocprim17ROCPRIM_400000_NS6detail17trampoline_kernelINS0_14default_configENS1_38merge_sort_block_merge_config_selectorIcNS0_10empty_typeEEEZZNS1_27merge_sort_block_merge_implIS3_PcPS5_jNS1_19radix_merge_compareILb0ELb0EcNS0_19identity_decomposerEEEEE10hipError_tT0_T1_T2_jT3_P12ihipStream_tbPNSt15iterator_traitsISE_E10value_typeEPNSK_ISF_E10value_typeEPSG_NS1_7vsmem_tEENKUlT_SE_SF_SG_E_clIS8_S8_S9_S9_EESD_ST_SE_SF_SG_EUlST_E1_NS1_11comp_targetILNS1_3genE8ELNS1_11target_archE1030ELNS1_3gpuE2ELNS1_3repE0EEENS1_36merge_oddeven_config_static_selectorELNS0_4arch9wavefront6targetE1EEEvSF_,"axG",@progbits,_ZN7rocprim17ROCPRIM_400000_NS6detail17trampoline_kernelINS0_14default_configENS1_38merge_sort_block_merge_config_selectorIcNS0_10empty_typeEEEZZNS1_27merge_sort_block_merge_implIS3_PcPS5_jNS1_19radix_merge_compareILb0ELb0EcNS0_19identity_decomposerEEEEE10hipError_tT0_T1_T2_jT3_P12ihipStream_tbPNSt15iterator_traitsISE_E10value_typeEPNSK_ISF_E10value_typeEPSG_NS1_7vsmem_tEENKUlT_SE_SF_SG_E_clIS8_S8_S9_S9_EESD_ST_SE_SF_SG_EUlST_E1_NS1_11comp_targetILNS1_3genE8ELNS1_11target_archE1030ELNS1_3gpuE2ELNS1_3repE0EEENS1_36merge_oddeven_config_static_selectorELNS0_4arch9wavefront6targetE1EEEvSF_,comdat
	.protected	_ZN7rocprim17ROCPRIM_400000_NS6detail17trampoline_kernelINS0_14default_configENS1_38merge_sort_block_merge_config_selectorIcNS0_10empty_typeEEEZZNS1_27merge_sort_block_merge_implIS3_PcPS5_jNS1_19radix_merge_compareILb0ELb0EcNS0_19identity_decomposerEEEEE10hipError_tT0_T1_T2_jT3_P12ihipStream_tbPNSt15iterator_traitsISE_E10value_typeEPNSK_ISF_E10value_typeEPSG_NS1_7vsmem_tEENKUlT_SE_SF_SG_E_clIS8_S8_S9_S9_EESD_ST_SE_SF_SG_EUlST_E1_NS1_11comp_targetILNS1_3genE8ELNS1_11target_archE1030ELNS1_3gpuE2ELNS1_3repE0EEENS1_36merge_oddeven_config_static_selectorELNS0_4arch9wavefront6targetE1EEEvSF_ ; -- Begin function _ZN7rocprim17ROCPRIM_400000_NS6detail17trampoline_kernelINS0_14default_configENS1_38merge_sort_block_merge_config_selectorIcNS0_10empty_typeEEEZZNS1_27merge_sort_block_merge_implIS3_PcPS5_jNS1_19radix_merge_compareILb0ELb0EcNS0_19identity_decomposerEEEEE10hipError_tT0_T1_T2_jT3_P12ihipStream_tbPNSt15iterator_traitsISE_E10value_typeEPNSK_ISF_E10value_typeEPSG_NS1_7vsmem_tEENKUlT_SE_SF_SG_E_clIS8_S8_S9_S9_EESD_ST_SE_SF_SG_EUlST_E1_NS1_11comp_targetILNS1_3genE8ELNS1_11target_archE1030ELNS1_3gpuE2ELNS1_3repE0EEENS1_36merge_oddeven_config_static_selectorELNS0_4arch9wavefront6targetE1EEEvSF_
	.globl	_ZN7rocprim17ROCPRIM_400000_NS6detail17trampoline_kernelINS0_14default_configENS1_38merge_sort_block_merge_config_selectorIcNS0_10empty_typeEEEZZNS1_27merge_sort_block_merge_implIS3_PcPS5_jNS1_19radix_merge_compareILb0ELb0EcNS0_19identity_decomposerEEEEE10hipError_tT0_T1_T2_jT3_P12ihipStream_tbPNSt15iterator_traitsISE_E10value_typeEPNSK_ISF_E10value_typeEPSG_NS1_7vsmem_tEENKUlT_SE_SF_SG_E_clIS8_S8_S9_S9_EESD_ST_SE_SF_SG_EUlST_E1_NS1_11comp_targetILNS1_3genE8ELNS1_11target_archE1030ELNS1_3gpuE2ELNS1_3repE0EEENS1_36merge_oddeven_config_static_selectorELNS0_4arch9wavefront6targetE1EEEvSF_
	.p2align	8
	.type	_ZN7rocprim17ROCPRIM_400000_NS6detail17trampoline_kernelINS0_14default_configENS1_38merge_sort_block_merge_config_selectorIcNS0_10empty_typeEEEZZNS1_27merge_sort_block_merge_implIS3_PcPS5_jNS1_19radix_merge_compareILb0ELb0EcNS0_19identity_decomposerEEEEE10hipError_tT0_T1_T2_jT3_P12ihipStream_tbPNSt15iterator_traitsISE_E10value_typeEPNSK_ISF_E10value_typeEPSG_NS1_7vsmem_tEENKUlT_SE_SF_SG_E_clIS8_S8_S9_S9_EESD_ST_SE_SF_SG_EUlST_E1_NS1_11comp_targetILNS1_3genE8ELNS1_11target_archE1030ELNS1_3gpuE2ELNS1_3repE0EEENS1_36merge_oddeven_config_static_selectorELNS0_4arch9wavefront6targetE1EEEvSF_,@function
_ZN7rocprim17ROCPRIM_400000_NS6detail17trampoline_kernelINS0_14default_configENS1_38merge_sort_block_merge_config_selectorIcNS0_10empty_typeEEEZZNS1_27merge_sort_block_merge_implIS3_PcPS5_jNS1_19radix_merge_compareILb0ELb0EcNS0_19identity_decomposerEEEEE10hipError_tT0_T1_T2_jT3_P12ihipStream_tbPNSt15iterator_traitsISE_E10value_typeEPNSK_ISF_E10value_typeEPSG_NS1_7vsmem_tEENKUlT_SE_SF_SG_E_clIS8_S8_S9_S9_EESD_ST_SE_SF_SG_EUlST_E1_NS1_11comp_targetILNS1_3genE8ELNS1_11target_archE1030ELNS1_3gpuE2ELNS1_3repE0EEENS1_36merge_oddeven_config_static_selectorELNS0_4arch9wavefront6targetE1EEEvSF_: ; @_ZN7rocprim17ROCPRIM_400000_NS6detail17trampoline_kernelINS0_14default_configENS1_38merge_sort_block_merge_config_selectorIcNS0_10empty_typeEEEZZNS1_27merge_sort_block_merge_implIS3_PcPS5_jNS1_19radix_merge_compareILb0ELb0EcNS0_19identity_decomposerEEEEE10hipError_tT0_T1_T2_jT3_P12ihipStream_tbPNSt15iterator_traitsISE_E10value_typeEPNSK_ISF_E10value_typeEPSG_NS1_7vsmem_tEENKUlT_SE_SF_SG_E_clIS8_S8_S9_S9_EESD_ST_SE_SF_SG_EUlST_E1_NS1_11comp_targetILNS1_3genE8ELNS1_11target_archE1030ELNS1_3gpuE2ELNS1_3repE0EEENS1_36merge_oddeven_config_static_selectorELNS0_4arch9wavefront6targetE1EEEvSF_
; %bb.0:
	.section	.rodata,"a",@progbits
	.p2align	6, 0x0
	.amdhsa_kernel _ZN7rocprim17ROCPRIM_400000_NS6detail17trampoline_kernelINS0_14default_configENS1_38merge_sort_block_merge_config_selectorIcNS0_10empty_typeEEEZZNS1_27merge_sort_block_merge_implIS3_PcPS5_jNS1_19radix_merge_compareILb0ELb0EcNS0_19identity_decomposerEEEEE10hipError_tT0_T1_T2_jT3_P12ihipStream_tbPNSt15iterator_traitsISE_E10value_typeEPNSK_ISF_E10value_typeEPSG_NS1_7vsmem_tEENKUlT_SE_SF_SG_E_clIS8_S8_S9_S9_EESD_ST_SE_SF_SG_EUlST_E1_NS1_11comp_targetILNS1_3genE8ELNS1_11target_archE1030ELNS1_3gpuE2ELNS1_3repE0EEENS1_36merge_oddeven_config_static_selectorELNS0_4arch9wavefront6targetE1EEEvSF_
		.amdhsa_group_segment_fixed_size 0
		.amdhsa_private_segment_fixed_size 0
		.amdhsa_kernarg_size 48
		.amdhsa_user_sgpr_count 6
		.amdhsa_user_sgpr_private_segment_buffer 1
		.amdhsa_user_sgpr_dispatch_ptr 0
		.amdhsa_user_sgpr_queue_ptr 0
		.amdhsa_user_sgpr_kernarg_segment_ptr 1
		.amdhsa_user_sgpr_dispatch_id 0
		.amdhsa_user_sgpr_flat_scratch_init 0
		.amdhsa_user_sgpr_kernarg_preload_length 0
		.amdhsa_user_sgpr_kernarg_preload_offset 0
		.amdhsa_user_sgpr_private_segment_size 0
		.amdhsa_uses_dynamic_stack 0
		.amdhsa_system_sgpr_private_segment_wavefront_offset 0
		.amdhsa_system_sgpr_workgroup_id_x 1
		.amdhsa_system_sgpr_workgroup_id_y 0
		.amdhsa_system_sgpr_workgroup_id_z 0
		.amdhsa_system_sgpr_workgroup_info 0
		.amdhsa_system_vgpr_workitem_id 0
		.amdhsa_next_free_vgpr 1
		.amdhsa_next_free_sgpr 0
		.amdhsa_accum_offset 4
		.amdhsa_reserve_vcc 0
		.amdhsa_reserve_flat_scratch 0
		.amdhsa_float_round_mode_32 0
		.amdhsa_float_round_mode_16_64 0
		.amdhsa_float_denorm_mode_32 3
		.amdhsa_float_denorm_mode_16_64 3
		.amdhsa_dx10_clamp 1
		.amdhsa_ieee_mode 1
		.amdhsa_fp16_overflow 0
		.amdhsa_tg_split 0
		.amdhsa_exception_fp_ieee_invalid_op 0
		.amdhsa_exception_fp_denorm_src 0
		.amdhsa_exception_fp_ieee_div_zero 0
		.amdhsa_exception_fp_ieee_overflow 0
		.amdhsa_exception_fp_ieee_underflow 0
		.amdhsa_exception_fp_ieee_inexact 0
		.amdhsa_exception_int_div_zero 0
	.end_amdhsa_kernel
	.section	.text._ZN7rocprim17ROCPRIM_400000_NS6detail17trampoline_kernelINS0_14default_configENS1_38merge_sort_block_merge_config_selectorIcNS0_10empty_typeEEEZZNS1_27merge_sort_block_merge_implIS3_PcPS5_jNS1_19radix_merge_compareILb0ELb0EcNS0_19identity_decomposerEEEEE10hipError_tT0_T1_T2_jT3_P12ihipStream_tbPNSt15iterator_traitsISE_E10value_typeEPNSK_ISF_E10value_typeEPSG_NS1_7vsmem_tEENKUlT_SE_SF_SG_E_clIS8_S8_S9_S9_EESD_ST_SE_SF_SG_EUlST_E1_NS1_11comp_targetILNS1_3genE8ELNS1_11target_archE1030ELNS1_3gpuE2ELNS1_3repE0EEENS1_36merge_oddeven_config_static_selectorELNS0_4arch9wavefront6targetE1EEEvSF_,"axG",@progbits,_ZN7rocprim17ROCPRIM_400000_NS6detail17trampoline_kernelINS0_14default_configENS1_38merge_sort_block_merge_config_selectorIcNS0_10empty_typeEEEZZNS1_27merge_sort_block_merge_implIS3_PcPS5_jNS1_19radix_merge_compareILb0ELb0EcNS0_19identity_decomposerEEEEE10hipError_tT0_T1_T2_jT3_P12ihipStream_tbPNSt15iterator_traitsISE_E10value_typeEPNSK_ISF_E10value_typeEPSG_NS1_7vsmem_tEENKUlT_SE_SF_SG_E_clIS8_S8_S9_S9_EESD_ST_SE_SF_SG_EUlST_E1_NS1_11comp_targetILNS1_3genE8ELNS1_11target_archE1030ELNS1_3gpuE2ELNS1_3repE0EEENS1_36merge_oddeven_config_static_selectorELNS0_4arch9wavefront6targetE1EEEvSF_,comdat
.Lfunc_end41:
	.size	_ZN7rocprim17ROCPRIM_400000_NS6detail17trampoline_kernelINS0_14default_configENS1_38merge_sort_block_merge_config_selectorIcNS0_10empty_typeEEEZZNS1_27merge_sort_block_merge_implIS3_PcPS5_jNS1_19radix_merge_compareILb0ELb0EcNS0_19identity_decomposerEEEEE10hipError_tT0_T1_T2_jT3_P12ihipStream_tbPNSt15iterator_traitsISE_E10value_typeEPNSK_ISF_E10value_typeEPSG_NS1_7vsmem_tEENKUlT_SE_SF_SG_E_clIS8_S8_S9_S9_EESD_ST_SE_SF_SG_EUlST_E1_NS1_11comp_targetILNS1_3genE8ELNS1_11target_archE1030ELNS1_3gpuE2ELNS1_3repE0EEENS1_36merge_oddeven_config_static_selectorELNS0_4arch9wavefront6targetE1EEEvSF_, .Lfunc_end41-_ZN7rocprim17ROCPRIM_400000_NS6detail17trampoline_kernelINS0_14default_configENS1_38merge_sort_block_merge_config_selectorIcNS0_10empty_typeEEEZZNS1_27merge_sort_block_merge_implIS3_PcPS5_jNS1_19radix_merge_compareILb0ELb0EcNS0_19identity_decomposerEEEEE10hipError_tT0_T1_T2_jT3_P12ihipStream_tbPNSt15iterator_traitsISE_E10value_typeEPNSK_ISF_E10value_typeEPSG_NS1_7vsmem_tEENKUlT_SE_SF_SG_E_clIS8_S8_S9_S9_EESD_ST_SE_SF_SG_EUlST_E1_NS1_11comp_targetILNS1_3genE8ELNS1_11target_archE1030ELNS1_3gpuE2ELNS1_3repE0EEENS1_36merge_oddeven_config_static_selectorELNS0_4arch9wavefront6targetE1EEEvSF_
                                        ; -- End function
	.section	.AMDGPU.csdata,"",@progbits
; Kernel info:
; codeLenInByte = 0
; NumSgprs: 4
; NumVgprs: 0
; NumAgprs: 0
; TotalNumVgprs: 0
; ScratchSize: 0
; MemoryBound: 0
; FloatMode: 240
; IeeeMode: 1
; LDSByteSize: 0 bytes/workgroup (compile time only)
; SGPRBlocks: 0
; VGPRBlocks: 0
; NumSGPRsForWavesPerEU: 4
; NumVGPRsForWavesPerEU: 1
; AccumOffset: 4
; Occupancy: 8
; WaveLimiterHint : 0
; COMPUTE_PGM_RSRC2:SCRATCH_EN: 0
; COMPUTE_PGM_RSRC2:USER_SGPR: 6
; COMPUTE_PGM_RSRC2:TRAP_HANDLER: 0
; COMPUTE_PGM_RSRC2:TGID_X_EN: 1
; COMPUTE_PGM_RSRC2:TGID_Y_EN: 0
; COMPUTE_PGM_RSRC2:TGID_Z_EN: 0
; COMPUTE_PGM_RSRC2:TIDIG_COMP_CNT: 0
; COMPUTE_PGM_RSRC3_GFX90A:ACCUM_OFFSET: 0
; COMPUTE_PGM_RSRC3_GFX90A:TG_SPLIT: 0
	.section	.text._ZN7rocprim17ROCPRIM_400000_NS6detail17trampoline_kernelINS0_14default_configENS1_25transform_config_selectorIcLb1EEEZNS1_14transform_implILb1ES3_S5_PcS7_NS0_8identityIcEEEE10hipError_tT2_T3_mT4_P12ihipStream_tbEUlT_E_NS1_11comp_targetILNS1_3genE0ELNS1_11target_archE4294967295ELNS1_3gpuE0ELNS1_3repE0EEENS1_30default_config_static_selectorELNS0_4arch9wavefront6targetE1EEEvT1_,"axG",@progbits,_ZN7rocprim17ROCPRIM_400000_NS6detail17trampoline_kernelINS0_14default_configENS1_25transform_config_selectorIcLb1EEEZNS1_14transform_implILb1ES3_S5_PcS7_NS0_8identityIcEEEE10hipError_tT2_T3_mT4_P12ihipStream_tbEUlT_E_NS1_11comp_targetILNS1_3genE0ELNS1_11target_archE4294967295ELNS1_3gpuE0ELNS1_3repE0EEENS1_30default_config_static_selectorELNS0_4arch9wavefront6targetE1EEEvT1_,comdat
	.protected	_ZN7rocprim17ROCPRIM_400000_NS6detail17trampoline_kernelINS0_14default_configENS1_25transform_config_selectorIcLb1EEEZNS1_14transform_implILb1ES3_S5_PcS7_NS0_8identityIcEEEE10hipError_tT2_T3_mT4_P12ihipStream_tbEUlT_E_NS1_11comp_targetILNS1_3genE0ELNS1_11target_archE4294967295ELNS1_3gpuE0ELNS1_3repE0EEENS1_30default_config_static_selectorELNS0_4arch9wavefront6targetE1EEEvT1_ ; -- Begin function _ZN7rocprim17ROCPRIM_400000_NS6detail17trampoline_kernelINS0_14default_configENS1_25transform_config_selectorIcLb1EEEZNS1_14transform_implILb1ES3_S5_PcS7_NS0_8identityIcEEEE10hipError_tT2_T3_mT4_P12ihipStream_tbEUlT_E_NS1_11comp_targetILNS1_3genE0ELNS1_11target_archE4294967295ELNS1_3gpuE0ELNS1_3repE0EEENS1_30default_config_static_selectorELNS0_4arch9wavefront6targetE1EEEvT1_
	.globl	_ZN7rocprim17ROCPRIM_400000_NS6detail17trampoline_kernelINS0_14default_configENS1_25transform_config_selectorIcLb1EEEZNS1_14transform_implILb1ES3_S5_PcS7_NS0_8identityIcEEEE10hipError_tT2_T3_mT4_P12ihipStream_tbEUlT_E_NS1_11comp_targetILNS1_3genE0ELNS1_11target_archE4294967295ELNS1_3gpuE0ELNS1_3repE0EEENS1_30default_config_static_selectorELNS0_4arch9wavefront6targetE1EEEvT1_
	.p2align	8
	.type	_ZN7rocprim17ROCPRIM_400000_NS6detail17trampoline_kernelINS0_14default_configENS1_25transform_config_selectorIcLb1EEEZNS1_14transform_implILb1ES3_S5_PcS7_NS0_8identityIcEEEE10hipError_tT2_T3_mT4_P12ihipStream_tbEUlT_E_NS1_11comp_targetILNS1_3genE0ELNS1_11target_archE4294967295ELNS1_3gpuE0ELNS1_3repE0EEENS1_30default_config_static_selectorELNS0_4arch9wavefront6targetE1EEEvT1_,@function
_ZN7rocprim17ROCPRIM_400000_NS6detail17trampoline_kernelINS0_14default_configENS1_25transform_config_selectorIcLb1EEEZNS1_14transform_implILb1ES3_S5_PcS7_NS0_8identityIcEEEE10hipError_tT2_T3_mT4_P12ihipStream_tbEUlT_E_NS1_11comp_targetILNS1_3genE0ELNS1_11target_archE4294967295ELNS1_3gpuE0ELNS1_3repE0EEENS1_30default_config_static_selectorELNS0_4arch9wavefront6targetE1EEEvT1_: ; @_ZN7rocprim17ROCPRIM_400000_NS6detail17trampoline_kernelINS0_14default_configENS1_25transform_config_selectorIcLb1EEEZNS1_14transform_implILb1ES3_S5_PcS7_NS0_8identityIcEEEE10hipError_tT2_T3_mT4_P12ihipStream_tbEUlT_E_NS1_11comp_targetILNS1_3genE0ELNS1_11target_archE4294967295ELNS1_3gpuE0ELNS1_3repE0EEENS1_30default_config_static_selectorELNS0_4arch9wavefront6targetE1EEEvT1_
; %bb.0:
	.section	.rodata,"a",@progbits
	.p2align	6, 0x0
	.amdhsa_kernel _ZN7rocprim17ROCPRIM_400000_NS6detail17trampoline_kernelINS0_14default_configENS1_25transform_config_selectorIcLb1EEEZNS1_14transform_implILb1ES3_S5_PcS7_NS0_8identityIcEEEE10hipError_tT2_T3_mT4_P12ihipStream_tbEUlT_E_NS1_11comp_targetILNS1_3genE0ELNS1_11target_archE4294967295ELNS1_3gpuE0ELNS1_3repE0EEENS1_30default_config_static_selectorELNS0_4arch9wavefront6targetE1EEEvT1_
		.amdhsa_group_segment_fixed_size 0
		.amdhsa_private_segment_fixed_size 0
		.amdhsa_kernarg_size 40
		.amdhsa_user_sgpr_count 6
		.amdhsa_user_sgpr_private_segment_buffer 1
		.amdhsa_user_sgpr_dispatch_ptr 0
		.amdhsa_user_sgpr_queue_ptr 0
		.amdhsa_user_sgpr_kernarg_segment_ptr 1
		.amdhsa_user_sgpr_dispatch_id 0
		.amdhsa_user_sgpr_flat_scratch_init 0
		.amdhsa_user_sgpr_kernarg_preload_length 0
		.amdhsa_user_sgpr_kernarg_preload_offset 0
		.amdhsa_user_sgpr_private_segment_size 0
		.amdhsa_uses_dynamic_stack 0
		.amdhsa_system_sgpr_private_segment_wavefront_offset 0
		.amdhsa_system_sgpr_workgroup_id_x 1
		.amdhsa_system_sgpr_workgroup_id_y 0
		.amdhsa_system_sgpr_workgroup_id_z 0
		.amdhsa_system_sgpr_workgroup_info 0
		.amdhsa_system_vgpr_workitem_id 0
		.amdhsa_next_free_vgpr 1
		.amdhsa_next_free_sgpr 0
		.amdhsa_accum_offset 4
		.amdhsa_reserve_vcc 0
		.amdhsa_reserve_flat_scratch 0
		.amdhsa_float_round_mode_32 0
		.amdhsa_float_round_mode_16_64 0
		.amdhsa_float_denorm_mode_32 3
		.amdhsa_float_denorm_mode_16_64 3
		.amdhsa_dx10_clamp 1
		.amdhsa_ieee_mode 1
		.amdhsa_fp16_overflow 0
		.amdhsa_tg_split 0
		.amdhsa_exception_fp_ieee_invalid_op 0
		.amdhsa_exception_fp_denorm_src 0
		.amdhsa_exception_fp_ieee_div_zero 0
		.amdhsa_exception_fp_ieee_overflow 0
		.amdhsa_exception_fp_ieee_underflow 0
		.amdhsa_exception_fp_ieee_inexact 0
		.amdhsa_exception_int_div_zero 0
	.end_amdhsa_kernel
	.section	.text._ZN7rocprim17ROCPRIM_400000_NS6detail17trampoline_kernelINS0_14default_configENS1_25transform_config_selectorIcLb1EEEZNS1_14transform_implILb1ES3_S5_PcS7_NS0_8identityIcEEEE10hipError_tT2_T3_mT4_P12ihipStream_tbEUlT_E_NS1_11comp_targetILNS1_3genE0ELNS1_11target_archE4294967295ELNS1_3gpuE0ELNS1_3repE0EEENS1_30default_config_static_selectorELNS0_4arch9wavefront6targetE1EEEvT1_,"axG",@progbits,_ZN7rocprim17ROCPRIM_400000_NS6detail17trampoline_kernelINS0_14default_configENS1_25transform_config_selectorIcLb1EEEZNS1_14transform_implILb1ES3_S5_PcS7_NS0_8identityIcEEEE10hipError_tT2_T3_mT4_P12ihipStream_tbEUlT_E_NS1_11comp_targetILNS1_3genE0ELNS1_11target_archE4294967295ELNS1_3gpuE0ELNS1_3repE0EEENS1_30default_config_static_selectorELNS0_4arch9wavefront6targetE1EEEvT1_,comdat
.Lfunc_end42:
	.size	_ZN7rocprim17ROCPRIM_400000_NS6detail17trampoline_kernelINS0_14default_configENS1_25transform_config_selectorIcLb1EEEZNS1_14transform_implILb1ES3_S5_PcS7_NS0_8identityIcEEEE10hipError_tT2_T3_mT4_P12ihipStream_tbEUlT_E_NS1_11comp_targetILNS1_3genE0ELNS1_11target_archE4294967295ELNS1_3gpuE0ELNS1_3repE0EEENS1_30default_config_static_selectorELNS0_4arch9wavefront6targetE1EEEvT1_, .Lfunc_end42-_ZN7rocprim17ROCPRIM_400000_NS6detail17trampoline_kernelINS0_14default_configENS1_25transform_config_selectorIcLb1EEEZNS1_14transform_implILb1ES3_S5_PcS7_NS0_8identityIcEEEE10hipError_tT2_T3_mT4_P12ihipStream_tbEUlT_E_NS1_11comp_targetILNS1_3genE0ELNS1_11target_archE4294967295ELNS1_3gpuE0ELNS1_3repE0EEENS1_30default_config_static_selectorELNS0_4arch9wavefront6targetE1EEEvT1_
                                        ; -- End function
	.section	.AMDGPU.csdata,"",@progbits
; Kernel info:
; codeLenInByte = 0
; NumSgprs: 4
; NumVgprs: 0
; NumAgprs: 0
; TotalNumVgprs: 0
; ScratchSize: 0
; MemoryBound: 0
; FloatMode: 240
; IeeeMode: 1
; LDSByteSize: 0 bytes/workgroup (compile time only)
; SGPRBlocks: 0
; VGPRBlocks: 0
; NumSGPRsForWavesPerEU: 4
; NumVGPRsForWavesPerEU: 1
; AccumOffset: 4
; Occupancy: 8
; WaveLimiterHint : 0
; COMPUTE_PGM_RSRC2:SCRATCH_EN: 0
; COMPUTE_PGM_RSRC2:USER_SGPR: 6
; COMPUTE_PGM_RSRC2:TRAP_HANDLER: 0
; COMPUTE_PGM_RSRC2:TGID_X_EN: 1
; COMPUTE_PGM_RSRC2:TGID_Y_EN: 0
; COMPUTE_PGM_RSRC2:TGID_Z_EN: 0
; COMPUTE_PGM_RSRC2:TIDIG_COMP_CNT: 0
; COMPUTE_PGM_RSRC3_GFX90A:ACCUM_OFFSET: 0
; COMPUTE_PGM_RSRC3_GFX90A:TG_SPLIT: 0
	.section	.text._ZN7rocprim17ROCPRIM_400000_NS6detail17trampoline_kernelINS0_14default_configENS1_25transform_config_selectorIcLb1EEEZNS1_14transform_implILb1ES3_S5_PcS7_NS0_8identityIcEEEE10hipError_tT2_T3_mT4_P12ihipStream_tbEUlT_E_NS1_11comp_targetILNS1_3genE10ELNS1_11target_archE1201ELNS1_3gpuE5ELNS1_3repE0EEENS1_30default_config_static_selectorELNS0_4arch9wavefront6targetE1EEEvT1_,"axG",@progbits,_ZN7rocprim17ROCPRIM_400000_NS6detail17trampoline_kernelINS0_14default_configENS1_25transform_config_selectorIcLb1EEEZNS1_14transform_implILb1ES3_S5_PcS7_NS0_8identityIcEEEE10hipError_tT2_T3_mT4_P12ihipStream_tbEUlT_E_NS1_11comp_targetILNS1_3genE10ELNS1_11target_archE1201ELNS1_3gpuE5ELNS1_3repE0EEENS1_30default_config_static_selectorELNS0_4arch9wavefront6targetE1EEEvT1_,comdat
	.protected	_ZN7rocprim17ROCPRIM_400000_NS6detail17trampoline_kernelINS0_14default_configENS1_25transform_config_selectorIcLb1EEEZNS1_14transform_implILb1ES3_S5_PcS7_NS0_8identityIcEEEE10hipError_tT2_T3_mT4_P12ihipStream_tbEUlT_E_NS1_11comp_targetILNS1_3genE10ELNS1_11target_archE1201ELNS1_3gpuE5ELNS1_3repE0EEENS1_30default_config_static_selectorELNS0_4arch9wavefront6targetE1EEEvT1_ ; -- Begin function _ZN7rocprim17ROCPRIM_400000_NS6detail17trampoline_kernelINS0_14default_configENS1_25transform_config_selectorIcLb1EEEZNS1_14transform_implILb1ES3_S5_PcS7_NS0_8identityIcEEEE10hipError_tT2_T3_mT4_P12ihipStream_tbEUlT_E_NS1_11comp_targetILNS1_3genE10ELNS1_11target_archE1201ELNS1_3gpuE5ELNS1_3repE0EEENS1_30default_config_static_selectorELNS0_4arch9wavefront6targetE1EEEvT1_
	.globl	_ZN7rocprim17ROCPRIM_400000_NS6detail17trampoline_kernelINS0_14default_configENS1_25transform_config_selectorIcLb1EEEZNS1_14transform_implILb1ES3_S5_PcS7_NS0_8identityIcEEEE10hipError_tT2_T3_mT4_P12ihipStream_tbEUlT_E_NS1_11comp_targetILNS1_3genE10ELNS1_11target_archE1201ELNS1_3gpuE5ELNS1_3repE0EEENS1_30default_config_static_selectorELNS0_4arch9wavefront6targetE1EEEvT1_
	.p2align	8
	.type	_ZN7rocprim17ROCPRIM_400000_NS6detail17trampoline_kernelINS0_14default_configENS1_25transform_config_selectorIcLb1EEEZNS1_14transform_implILb1ES3_S5_PcS7_NS0_8identityIcEEEE10hipError_tT2_T3_mT4_P12ihipStream_tbEUlT_E_NS1_11comp_targetILNS1_3genE10ELNS1_11target_archE1201ELNS1_3gpuE5ELNS1_3repE0EEENS1_30default_config_static_selectorELNS0_4arch9wavefront6targetE1EEEvT1_,@function
_ZN7rocprim17ROCPRIM_400000_NS6detail17trampoline_kernelINS0_14default_configENS1_25transform_config_selectorIcLb1EEEZNS1_14transform_implILb1ES3_S5_PcS7_NS0_8identityIcEEEE10hipError_tT2_T3_mT4_P12ihipStream_tbEUlT_E_NS1_11comp_targetILNS1_3genE10ELNS1_11target_archE1201ELNS1_3gpuE5ELNS1_3repE0EEENS1_30default_config_static_selectorELNS0_4arch9wavefront6targetE1EEEvT1_: ; @_ZN7rocprim17ROCPRIM_400000_NS6detail17trampoline_kernelINS0_14default_configENS1_25transform_config_selectorIcLb1EEEZNS1_14transform_implILb1ES3_S5_PcS7_NS0_8identityIcEEEE10hipError_tT2_T3_mT4_P12ihipStream_tbEUlT_E_NS1_11comp_targetILNS1_3genE10ELNS1_11target_archE1201ELNS1_3gpuE5ELNS1_3repE0EEENS1_30default_config_static_selectorELNS0_4arch9wavefront6targetE1EEEvT1_
; %bb.0:
	.section	.rodata,"a",@progbits
	.p2align	6, 0x0
	.amdhsa_kernel _ZN7rocprim17ROCPRIM_400000_NS6detail17trampoline_kernelINS0_14default_configENS1_25transform_config_selectorIcLb1EEEZNS1_14transform_implILb1ES3_S5_PcS7_NS0_8identityIcEEEE10hipError_tT2_T3_mT4_P12ihipStream_tbEUlT_E_NS1_11comp_targetILNS1_3genE10ELNS1_11target_archE1201ELNS1_3gpuE5ELNS1_3repE0EEENS1_30default_config_static_selectorELNS0_4arch9wavefront6targetE1EEEvT1_
		.amdhsa_group_segment_fixed_size 0
		.amdhsa_private_segment_fixed_size 0
		.amdhsa_kernarg_size 40
		.amdhsa_user_sgpr_count 6
		.amdhsa_user_sgpr_private_segment_buffer 1
		.amdhsa_user_sgpr_dispatch_ptr 0
		.amdhsa_user_sgpr_queue_ptr 0
		.amdhsa_user_sgpr_kernarg_segment_ptr 1
		.amdhsa_user_sgpr_dispatch_id 0
		.amdhsa_user_sgpr_flat_scratch_init 0
		.amdhsa_user_sgpr_kernarg_preload_length 0
		.amdhsa_user_sgpr_kernarg_preload_offset 0
		.amdhsa_user_sgpr_private_segment_size 0
		.amdhsa_uses_dynamic_stack 0
		.amdhsa_system_sgpr_private_segment_wavefront_offset 0
		.amdhsa_system_sgpr_workgroup_id_x 1
		.amdhsa_system_sgpr_workgroup_id_y 0
		.amdhsa_system_sgpr_workgroup_id_z 0
		.amdhsa_system_sgpr_workgroup_info 0
		.amdhsa_system_vgpr_workitem_id 0
		.amdhsa_next_free_vgpr 1
		.amdhsa_next_free_sgpr 0
		.amdhsa_accum_offset 4
		.amdhsa_reserve_vcc 0
		.amdhsa_reserve_flat_scratch 0
		.amdhsa_float_round_mode_32 0
		.amdhsa_float_round_mode_16_64 0
		.amdhsa_float_denorm_mode_32 3
		.amdhsa_float_denorm_mode_16_64 3
		.amdhsa_dx10_clamp 1
		.amdhsa_ieee_mode 1
		.amdhsa_fp16_overflow 0
		.amdhsa_tg_split 0
		.amdhsa_exception_fp_ieee_invalid_op 0
		.amdhsa_exception_fp_denorm_src 0
		.amdhsa_exception_fp_ieee_div_zero 0
		.amdhsa_exception_fp_ieee_overflow 0
		.amdhsa_exception_fp_ieee_underflow 0
		.amdhsa_exception_fp_ieee_inexact 0
		.amdhsa_exception_int_div_zero 0
	.end_amdhsa_kernel
	.section	.text._ZN7rocprim17ROCPRIM_400000_NS6detail17trampoline_kernelINS0_14default_configENS1_25transform_config_selectorIcLb1EEEZNS1_14transform_implILb1ES3_S5_PcS7_NS0_8identityIcEEEE10hipError_tT2_T3_mT4_P12ihipStream_tbEUlT_E_NS1_11comp_targetILNS1_3genE10ELNS1_11target_archE1201ELNS1_3gpuE5ELNS1_3repE0EEENS1_30default_config_static_selectorELNS0_4arch9wavefront6targetE1EEEvT1_,"axG",@progbits,_ZN7rocprim17ROCPRIM_400000_NS6detail17trampoline_kernelINS0_14default_configENS1_25transform_config_selectorIcLb1EEEZNS1_14transform_implILb1ES3_S5_PcS7_NS0_8identityIcEEEE10hipError_tT2_T3_mT4_P12ihipStream_tbEUlT_E_NS1_11comp_targetILNS1_3genE10ELNS1_11target_archE1201ELNS1_3gpuE5ELNS1_3repE0EEENS1_30default_config_static_selectorELNS0_4arch9wavefront6targetE1EEEvT1_,comdat
.Lfunc_end43:
	.size	_ZN7rocprim17ROCPRIM_400000_NS6detail17trampoline_kernelINS0_14default_configENS1_25transform_config_selectorIcLb1EEEZNS1_14transform_implILb1ES3_S5_PcS7_NS0_8identityIcEEEE10hipError_tT2_T3_mT4_P12ihipStream_tbEUlT_E_NS1_11comp_targetILNS1_3genE10ELNS1_11target_archE1201ELNS1_3gpuE5ELNS1_3repE0EEENS1_30default_config_static_selectorELNS0_4arch9wavefront6targetE1EEEvT1_, .Lfunc_end43-_ZN7rocprim17ROCPRIM_400000_NS6detail17trampoline_kernelINS0_14default_configENS1_25transform_config_selectorIcLb1EEEZNS1_14transform_implILb1ES3_S5_PcS7_NS0_8identityIcEEEE10hipError_tT2_T3_mT4_P12ihipStream_tbEUlT_E_NS1_11comp_targetILNS1_3genE10ELNS1_11target_archE1201ELNS1_3gpuE5ELNS1_3repE0EEENS1_30default_config_static_selectorELNS0_4arch9wavefront6targetE1EEEvT1_
                                        ; -- End function
	.section	.AMDGPU.csdata,"",@progbits
; Kernel info:
; codeLenInByte = 0
; NumSgprs: 4
; NumVgprs: 0
; NumAgprs: 0
; TotalNumVgprs: 0
; ScratchSize: 0
; MemoryBound: 0
; FloatMode: 240
; IeeeMode: 1
; LDSByteSize: 0 bytes/workgroup (compile time only)
; SGPRBlocks: 0
; VGPRBlocks: 0
; NumSGPRsForWavesPerEU: 4
; NumVGPRsForWavesPerEU: 1
; AccumOffset: 4
; Occupancy: 8
; WaveLimiterHint : 0
; COMPUTE_PGM_RSRC2:SCRATCH_EN: 0
; COMPUTE_PGM_RSRC2:USER_SGPR: 6
; COMPUTE_PGM_RSRC2:TRAP_HANDLER: 0
; COMPUTE_PGM_RSRC2:TGID_X_EN: 1
; COMPUTE_PGM_RSRC2:TGID_Y_EN: 0
; COMPUTE_PGM_RSRC2:TGID_Z_EN: 0
; COMPUTE_PGM_RSRC2:TIDIG_COMP_CNT: 0
; COMPUTE_PGM_RSRC3_GFX90A:ACCUM_OFFSET: 0
; COMPUTE_PGM_RSRC3_GFX90A:TG_SPLIT: 0
	.section	.text._ZN7rocprim17ROCPRIM_400000_NS6detail17trampoline_kernelINS0_14default_configENS1_25transform_config_selectorIcLb1EEEZNS1_14transform_implILb1ES3_S5_PcS7_NS0_8identityIcEEEE10hipError_tT2_T3_mT4_P12ihipStream_tbEUlT_E_NS1_11comp_targetILNS1_3genE5ELNS1_11target_archE942ELNS1_3gpuE9ELNS1_3repE0EEENS1_30default_config_static_selectorELNS0_4arch9wavefront6targetE1EEEvT1_,"axG",@progbits,_ZN7rocprim17ROCPRIM_400000_NS6detail17trampoline_kernelINS0_14default_configENS1_25transform_config_selectorIcLb1EEEZNS1_14transform_implILb1ES3_S5_PcS7_NS0_8identityIcEEEE10hipError_tT2_T3_mT4_P12ihipStream_tbEUlT_E_NS1_11comp_targetILNS1_3genE5ELNS1_11target_archE942ELNS1_3gpuE9ELNS1_3repE0EEENS1_30default_config_static_selectorELNS0_4arch9wavefront6targetE1EEEvT1_,comdat
	.protected	_ZN7rocprim17ROCPRIM_400000_NS6detail17trampoline_kernelINS0_14default_configENS1_25transform_config_selectorIcLb1EEEZNS1_14transform_implILb1ES3_S5_PcS7_NS0_8identityIcEEEE10hipError_tT2_T3_mT4_P12ihipStream_tbEUlT_E_NS1_11comp_targetILNS1_3genE5ELNS1_11target_archE942ELNS1_3gpuE9ELNS1_3repE0EEENS1_30default_config_static_selectorELNS0_4arch9wavefront6targetE1EEEvT1_ ; -- Begin function _ZN7rocprim17ROCPRIM_400000_NS6detail17trampoline_kernelINS0_14default_configENS1_25transform_config_selectorIcLb1EEEZNS1_14transform_implILb1ES3_S5_PcS7_NS0_8identityIcEEEE10hipError_tT2_T3_mT4_P12ihipStream_tbEUlT_E_NS1_11comp_targetILNS1_3genE5ELNS1_11target_archE942ELNS1_3gpuE9ELNS1_3repE0EEENS1_30default_config_static_selectorELNS0_4arch9wavefront6targetE1EEEvT1_
	.globl	_ZN7rocprim17ROCPRIM_400000_NS6detail17trampoline_kernelINS0_14default_configENS1_25transform_config_selectorIcLb1EEEZNS1_14transform_implILb1ES3_S5_PcS7_NS0_8identityIcEEEE10hipError_tT2_T3_mT4_P12ihipStream_tbEUlT_E_NS1_11comp_targetILNS1_3genE5ELNS1_11target_archE942ELNS1_3gpuE9ELNS1_3repE0EEENS1_30default_config_static_selectorELNS0_4arch9wavefront6targetE1EEEvT1_
	.p2align	8
	.type	_ZN7rocprim17ROCPRIM_400000_NS6detail17trampoline_kernelINS0_14default_configENS1_25transform_config_selectorIcLb1EEEZNS1_14transform_implILb1ES3_S5_PcS7_NS0_8identityIcEEEE10hipError_tT2_T3_mT4_P12ihipStream_tbEUlT_E_NS1_11comp_targetILNS1_3genE5ELNS1_11target_archE942ELNS1_3gpuE9ELNS1_3repE0EEENS1_30default_config_static_selectorELNS0_4arch9wavefront6targetE1EEEvT1_,@function
_ZN7rocprim17ROCPRIM_400000_NS6detail17trampoline_kernelINS0_14default_configENS1_25transform_config_selectorIcLb1EEEZNS1_14transform_implILb1ES3_S5_PcS7_NS0_8identityIcEEEE10hipError_tT2_T3_mT4_P12ihipStream_tbEUlT_E_NS1_11comp_targetILNS1_3genE5ELNS1_11target_archE942ELNS1_3gpuE9ELNS1_3repE0EEENS1_30default_config_static_selectorELNS0_4arch9wavefront6targetE1EEEvT1_: ; @_ZN7rocprim17ROCPRIM_400000_NS6detail17trampoline_kernelINS0_14default_configENS1_25transform_config_selectorIcLb1EEEZNS1_14transform_implILb1ES3_S5_PcS7_NS0_8identityIcEEEE10hipError_tT2_T3_mT4_P12ihipStream_tbEUlT_E_NS1_11comp_targetILNS1_3genE5ELNS1_11target_archE942ELNS1_3gpuE9ELNS1_3repE0EEENS1_30default_config_static_selectorELNS0_4arch9wavefront6targetE1EEEvT1_
; %bb.0:
	.section	.rodata,"a",@progbits
	.p2align	6, 0x0
	.amdhsa_kernel _ZN7rocprim17ROCPRIM_400000_NS6detail17trampoline_kernelINS0_14default_configENS1_25transform_config_selectorIcLb1EEEZNS1_14transform_implILb1ES3_S5_PcS7_NS0_8identityIcEEEE10hipError_tT2_T3_mT4_P12ihipStream_tbEUlT_E_NS1_11comp_targetILNS1_3genE5ELNS1_11target_archE942ELNS1_3gpuE9ELNS1_3repE0EEENS1_30default_config_static_selectorELNS0_4arch9wavefront6targetE1EEEvT1_
		.amdhsa_group_segment_fixed_size 0
		.amdhsa_private_segment_fixed_size 0
		.amdhsa_kernarg_size 40
		.amdhsa_user_sgpr_count 6
		.amdhsa_user_sgpr_private_segment_buffer 1
		.amdhsa_user_sgpr_dispatch_ptr 0
		.amdhsa_user_sgpr_queue_ptr 0
		.amdhsa_user_sgpr_kernarg_segment_ptr 1
		.amdhsa_user_sgpr_dispatch_id 0
		.amdhsa_user_sgpr_flat_scratch_init 0
		.amdhsa_user_sgpr_kernarg_preload_length 0
		.amdhsa_user_sgpr_kernarg_preload_offset 0
		.amdhsa_user_sgpr_private_segment_size 0
		.amdhsa_uses_dynamic_stack 0
		.amdhsa_system_sgpr_private_segment_wavefront_offset 0
		.amdhsa_system_sgpr_workgroup_id_x 1
		.amdhsa_system_sgpr_workgroup_id_y 0
		.amdhsa_system_sgpr_workgroup_id_z 0
		.amdhsa_system_sgpr_workgroup_info 0
		.amdhsa_system_vgpr_workitem_id 0
		.amdhsa_next_free_vgpr 1
		.amdhsa_next_free_sgpr 0
		.amdhsa_accum_offset 4
		.amdhsa_reserve_vcc 0
		.amdhsa_reserve_flat_scratch 0
		.amdhsa_float_round_mode_32 0
		.amdhsa_float_round_mode_16_64 0
		.amdhsa_float_denorm_mode_32 3
		.amdhsa_float_denorm_mode_16_64 3
		.amdhsa_dx10_clamp 1
		.amdhsa_ieee_mode 1
		.amdhsa_fp16_overflow 0
		.amdhsa_tg_split 0
		.amdhsa_exception_fp_ieee_invalid_op 0
		.amdhsa_exception_fp_denorm_src 0
		.amdhsa_exception_fp_ieee_div_zero 0
		.amdhsa_exception_fp_ieee_overflow 0
		.amdhsa_exception_fp_ieee_underflow 0
		.amdhsa_exception_fp_ieee_inexact 0
		.amdhsa_exception_int_div_zero 0
	.end_amdhsa_kernel
	.section	.text._ZN7rocprim17ROCPRIM_400000_NS6detail17trampoline_kernelINS0_14default_configENS1_25transform_config_selectorIcLb1EEEZNS1_14transform_implILb1ES3_S5_PcS7_NS0_8identityIcEEEE10hipError_tT2_T3_mT4_P12ihipStream_tbEUlT_E_NS1_11comp_targetILNS1_3genE5ELNS1_11target_archE942ELNS1_3gpuE9ELNS1_3repE0EEENS1_30default_config_static_selectorELNS0_4arch9wavefront6targetE1EEEvT1_,"axG",@progbits,_ZN7rocprim17ROCPRIM_400000_NS6detail17trampoline_kernelINS0_14default_configENS1_25transform_config_selectorIcLb1EEEZNS1_14transform_implILb1ES3_S5_PcS7_NS0_8identityIcEEEE10hipError_tT2_T3_mT4_P12ihipStream_tbEUlT_E_NS1_11comp_targetILNS1_3genE5ELNS1_11target_archE942ELNS1_3gpuE9ELNS1_3repE0EEENS1_30default_config_static_selectorELNS0_4arch9wavefront6targetE1EEEvT1_,comdat
.Lfunc_end44:
	.size	_ZN7rocprim17ROCPRIM_400000_NS6detail17trampoline_kernelINS0_14default_configENS1_25transform_config_selectorIcLb1EEEZNS1_14transform_implILb1ES3_S5_PcS7_NS0_8identityIcEEEE10hipError_tT2_T3_mT4_P12ihipStream_tbEUlT_E_NS1_11comp_targetILNS1_3genE5ELNS1_11target_archE942ELNS1_3gpuE9ELNS1_3repE0EEENS1_30default_config_static_selectorELNS0_4arch9wavefront6targetE1EEEvT1_, .Lfunc_end44-_ZN7rocprim17ROCPRIM_400000_NS6detail17trampoline_kernelINS0_14default_configENS1_25transform_config_selectorIcLb1EEEZNS1_14transform_implILb1ES3_S5_PcS7_NS0_8identityIcEEEE10hipError_tT2_T3_mT4_P12ihipStream_tbEUlT_E_NS1_11comp_targetILNS1_3genE5ELNS1_11target_archE942ELNS1_3gpuE9ELNS1_3repE0EEENS1_30default_config_static_selectorELNS0_4arch9wavefront6targetE1EEEvT1_
                                        ; -- End function
	.section	.AMDGPU.csdata,"",@progbits
; Kernel info:
; codeLenInByte = 0
; NumSgprs: 4
; NumVgprs: 0
; NumAgprs: 0
; TotalNumVgprs: 0
; ScratchSize: 0
; MemoryBound: 0
; FloatMode: 240
; IeeeMode: 1
; LDSByteSize: 0 bytes/workgroup (compile time only)
; SGPRBlocks: 0
; VGPRBlocks: 0
; NumSGPRsForWavesPerEU: 4
; NumVGPRsForWavesPerEU: 1
; AccumOffset: 4
; Occupancy: 8
; WaveLimiterHint : 0
; COMPUTE_PGM_RSRC2:SCRATCH_EN: 0
; COMPUTE_PGM_RSRC2:USER_SGPR: 6
; COMPUTE_PGM_RSRC2:TRAP_HANDLER: 0
; COMPUTE_PGM_RSRC2:TGID_X_EN: 1
; COMPUTE_PGM_RSRC2:TGID_Y_EN: 0
; COMPUTE_PGM_RSRC2:TGID_Z_EN: 0
; COMPUTE_PGM_RSRC2:TIDIG_COMP_CNT: 0
; COMPUTE_PGM_RSRC3_GFX90A:ACCUM_OFFSET: 0
; COMPUTE_PGM_RSRC3_GFX90A:TG_SPLIT: 0
	.section	.text._ZN7rocprim17ROCPRIM_400000_NS6detail17trampoline_kernelINS0_14default_configENS1_25transform_config_selectorIcLb1EEEZNS1_14transform_implILb1ES3_S5_PcS7_NS0_8identityIcEEEE10hipError_tT2_T3_mT4_P12ihipStream_tbEUlT_E_NS1_11comp_targetILNS1_3genE4ELNS1_11target_archE910ELNS1_3gpuE8ELNS1_3repE0EEENS1_30default_config_static_selectorELNS0_4arch9wavefront6targetE1EEEvT1_,"axG",@progbits,_ZN7rocprim17ROCPRIM_400000_NS6detail17trampoline_kernelINS0_14default_configENS1_25transform_config_selectorIcLb1EEEZNS1_14transform_implILb1ES3_S5_PcS7_NS0_8identityIcEEEE10hipError_tT2_T3_mT4_P12ihipStream_tbEUlT_E_NS1_11comp_targetILNS1_3genE4ELNS1_11target_archE910ELNS1_3gpuE8ELNS1_3repE0EEENS1_30default_config_static_selectorELNS0_4arch9wavefront6targetE1EEEvT1_,comdat
	.protected	_ZN7rocprim17ROCPRIM_400000_NS6detail17trampoline_kernelINS0_14default_configENS1_25transform_config_selectorIcLb1EEEZNS1_14transform_implILb1ES3_S5_PcS7_NS0_8identityIcEEEE10hipError_tT2_T3_mT4_P12ihipStream_tbEUlT_E_NS1_11comp_targetILNS1_3genE4ELNS1_11target_archE910ELNS1_3gpuE8ELNS1_3repE0EEENS1_30default_config_static_selectorELNS0_4arch9wavefront6targetE1EEEvT1_ ; -- Begin function _ZN7rocprim17ROCPRIM_400000_NS6detail17trampoline_kernelINS0_14default_configENS1_25transform_config_selectorIcLb1EEEZNS1_14transform_implILb1ES3_S5_PcS7_NS0_8identityIcEEEE10hipError_tT2_T3_mT4_P12ihipStream_tbEUlT_E_NS1_11comp_targetILNS1_3genE4ELNS1_11target_archE910ELNS1_3gpuE8ELNS1_3repE0EEENS1_30default_config_static_selectorELNS0_4arch9wavefront6targetE1EEEvT1_
	.globl	_ZN7rocprim17ROCPRIM_400000_NS6detail17trampoline_kernelINS0_14default_configENS1_25transform_config_selectorIcLb1EEEZNS1_14transform_implILb1ES3_S5_PcS7_NS0_8identityIcEEEE10hipError_tT2_T3_mT4_P12ihipStream_tbEUlT_E_NS1_11comp_targetILNS1_3genE4ELNS1_11target_archE910ELNS1_3gpuE8ELNS1_3repE0EEENS1_30default_config_static_selectorELNS0_4arch9wavefront6targetE1EEEvT1_
	.p2align	8
	.type	_ZN7rocprim17ROCPRIM_400000_NS6detail17trampoline_kernelINS0_14default_configENS1_25transform_config_selectorIcLb1EEEZNS1_14transform_implILb1ES3_S5_PcS7_NS0_8identityIcEEEE10hipError_tT2_T3_mT4_P12ihipStream_tbEUlT_E_NS1_11comp_targetILNS1_3genE4ELNS1_11target_archE910ELNS1_3gpuE8ELNS1_3repE0EEENS1_30default_config_static_selectorELNS0_4arch9wavefront6targetE1EEEvT1_,@function
_ZN7rocprim17ROCPRIM_400000_NS6detail17trampoline_kernelINS0_14default_configENS1_25transform_config_selectorIcLb1EEEZNS1_14transform_implILb1ES3_S5_PcS7_NS0_8identityIcEEEE10hipError_tT2_T3_mT4_P12ihipStream_tbEUlT_E_NS1_11comp_targetILNS1_3genE4ELNS1_11target_archE910ELNS1_3gpuE8ELNS1_3repE0EEENS1_30default_config_static_selectorELNS0_4arch9wavefront6targetE1EEEvT1_: ; @_ZN7rocprim17ROCPRIM_400000_NS6detail17trampoline_kernelINS0_14default_configENS1_25transform_config_selectorIcLb1EEEZNS1_14transform_implILb1ES3_S5_PcS7_NS0_8identityIcEEEE10hipError_tT2_T3_mT4_P12ihipStream_tbEUlT_E_NS1_11comp_targetILNS1_3genE4ELNS1_11target_archE910ELNS1_3gpuE8ELNS1_3repE0EEENS1_30default_config_static_selectorELNS0_4arch9wavefront6targetE1EEEvT1_
; %bb.0:
	s_load_dwordx8 s[8:15], s[4:5], 0x0
	s_load_dword s0, s[4:5], 0x28
	s_waitcnt lgkmcnt(0)
	s_add_u32 s1, s8, s10
	s_addc_u32 s2, s9, s11
	s_add_u32 s33, s14, s10
	s_addc_u32 s36, s15, s11
	s_lshl_b32 s37, s6, 14
	s_add_i32 s0, s0, -1
	s_add_u32 s30, s1, s37
	s_addc_u32 s31, s2, 0
	s_cmp_lg_u32 s6, s0
	s_mov_b64 s[0:1], -1
	s_cbranch_scc0 .LBB45_2
; %bb.1:
	v_lshlrev_b32_e32 v1, 4, v0
	global_load_dwordx4 v[2:5], v1, s[30:31]
	s_add_u32 s0, s33, s37
	s_addc_u32 s1, s36, 0
	s_waitcnt vmcnt(0)
	global_store_dwordx4 v1, v[2:5], s[0:1]
	s_mov_b64 s[0:1], 0
.LBB45_2:
	s_andn2_b64 vcc, exec, s[0:1]
	s_cbranch_vccnz .LBB45_67
; %bb.3:
	s_sub_i32 s34, s12, s37
	v_cmp_gt_u32_e32 vcc, s34, v0
                                        ; implicit-def: $vgpr1
	s_and_saveexec_b64 s[0:1], vcc
	s_cbranch_execz .LBB45_5
; %bb.4:
	global_load_ubyte v1, v0, s[30:31]
.LBB45_5:
	s_or_b64 exec, exec, s[0:1]
	v_or_b32_e32 v2, 0x400, v0
	v_cmp_gt_u32_e64 s[0:1], s34, v2
                                        ; implicit-def: $vgpr2
	s_and_saveexec_b64 s[2:3], s[0:1]
	s_cbranch_execz .LBB45_7
; %bb.6:
	global_load_ubyte v2, v0, s[30:31] offset:1024
.LBB45_7:
	s_or_b64 exec, exec, s[2:3]
	v_or_b32_e32 v3, 0x800, v0
	v_cmp_gt_u32_e64 s[2:3], s34, v3
                                        ; implicit-def: $vgpr3
	s_and_saveexec_b64 s[4:5], s[2:3]
	s_cbranch_execz .LBB45_9
; %bb.8:
	global_load_ubyte v3, v0, s[30:31] offset:2048
.LBB45_9:
	s_or_b64 exec, exec, s[4:5]
	v_or_b32_e32 v4, 0xc00, v0
	v_cmp_gt_u32_e64 s[4:5], s34, v4
                                        ; implicit-def: $vgpr4
	s_and_saveexec_b64 s[6:7], s[4:5]
	s_cbranch_execz .LBB45_11
; %bb.10:
	global_load_ubyte v4, v0, s[30:31] offset:3072
.LBB45_11:
	s_or_b64 exec, exec, s[6:7]
	v_or_b32_e32 v6, 0x1000, v0
	v_cmp_gt_u32_e64 s[6:7], s34, v6
                                        ; implicit-def: $vgpr5
	s_and_saveexec_b64 s[8:9], s[6:7]
	s_cbranch_execz .LBB45_13
; %bb.12:
	global_load_ubyte v5, v6, s[30:31]
.LBB45_13:
	s_or_b64 exec, exec, s[8:9]
	v_or_b32_e32 v7, 0x1400, v0
	v_cmp_gt_u32_e64 s[8:9], s34, v7
                                        ; implicit-def: $vgpr6
	s_and_saveexec_b64 s[10:11], s[8:9]
	s_cbranch_execz .LBB45_15
; %bb.14:
	global_load_ubyte v6, v7, s[30:31]
.LBB45_15:
	s_or_b64 exec, exec, s[10:11]
	v_or_b32_e32 v8, 0x1800, v0
	v_cmp_gt_u32_e64 s[10:11], s34, v8
                                        ; implicit-def: $vgpr7
	s_and_saveexec_b64 s[12:13], s[10:11]
	s_cbranch_execz .LBB45_17
; %bb.16:
	global_load_ubyte v7, v8, s[30:31]
.LBB45_17:
	s_or_b64 exec, exec, s[12:13]
	v_or_b32_e32 v9, 0x1c00, v0
	v_cmp_gt_u32_e64 s[12:13], s34, v9
                                        ; implicit-def: $vgpr8
	s_and_saveexec_b64 s[14:15], s[12:13]
	s_cbranch_execz .LBB45_19
; %bb.18:
	global_load_ubyte v8, v9, s[30:31]
.LBB45_19:
	s_or_b64 exec, exec, s[14:15]
	v_or_b32_e32 v10, 0x2000, v0
	v_cmp_gt_u32_e64 s[14:15], s34, v10
                                        ; implicit-def: $vgpr9
	s_and_saveexec_b64 s[16:17], s[14:15]
	s_cbranch_execz .LBB45_21
; %bb.20:
	global_load_ubyte v9, v10, s[30:31]
.LBB45_21:
	s_or_b64 exec, exec, s[16:17]
	v_or_b32_e32 v11, 0x2400, v0
	v_cmp_gt_u32_e64 s[16:17], s34, v11
                                        ; implicit-def: $vgpr10
	s_and_saveexec_b64 s[18:19], s[16:17]
	s_cbranch_execz .LBB45_23
; %bb.22:
	global_load_ubyte v10, v11, s[30:31]
.LBB45_23:
	s_or_b64 exec, exec, s[18:19]
	v_or_b32_e32 v12, 0x2800, v0
	v_cmp_gt_u32_e64 s[18:19], s34, v12
                                        ; implicit-def: $vgpr11
	s_and_saveexec_b64 s[20:21], s[18:19]
	s_cbranch_execz .LBB45_25
; %bb.24:
	global_load_ubyte v11, v12, s[30:31]
.LBB45_25:
	s_or_b64 exec, exec, s[20:21]
	v_or_b32_e32 v13, 0x2c00, v0
	v_cmp_gt_u32_e64 s[20:21], s34, v13
                                        ; implicit-def: $vgpr12
	s_and_saveexec_b64 s[22:23], s[20:21]
	s_cbranch_execz .LBB45_27
; %bb.26:
	global_load_ubyte v12, v13, s[30:31]
.LBB45_27:
	s_or_b64 exec, exec, s[22:23]
	v_or_b32_e32 v14, 0x3000, v0
	v_cmp_gt_u32_e64 s[22:23], s34, v14
                                        ; implicit-def: $vgpr13
	s_and_saveexec_b64 s[24:25], s[22:23]
	s_cbranch_execz .LBB45_29
; %bb.28:
	global_load_ubyte v13, v14, s[30:31]
.LBB45_29:
	s_or_b64 exec, exec, s[24:25]
	v_or_b32_e32 v15, 0x3400, v0
	v_cmp_gt_u32_e64 s[24:25], s34, v15
                                        ; implicit-def: $vgpr14
	s_and_saveexec_b64 s[26:27], s[24:25]
	s_cbranch_execz .LBB45_31
; %bb.30:
	global_load_ubyte v14, v15, s[30:31]
.LBB45_31:
	s_or_b64 exec, exec, s[26:27]
	v_or_b32_e32 v16, 0x3800, v0
	v_cmp_gt_u32_e64 s[26:27], s34, v16
                                        ; implicit-def: $vgpr15
	s_and_saveexec_b64 s[28:29], s[26:27]
	s_cbranch_execz .LBB45_33
; %bb.32:
	global_load_ubyte v15, v16, s[30:31]
.LBB45_33:
	s_or_b64 exec, exec, s[28:29]
	v_or_b32_e32 v17, 0x3c00, v0
	v_cmp_gt_u32_e64 s[28:29], s34, v17
                                        ; implicit-def: $vgpr16
	s_and_saveexec_b64 s[34:35], s[28:29]
	s_cbranch_execz .LBB45_35
; %bb.34:
	global_load_ubyte v16, v17, s[30:31]
.LBB45_35:
	s_or_b64 exec, exec, s[34:35]
	s_waitcnt vmcnt(0)
	v_lshlrev_b16_e32 v2, 8, v2
	v_or_b32_sdwa v1, v1, v2 dst_sel:DWORD dst_unused:UNUSED_PAD src0_sel:BYTE_0 src1_sel:DWORD
	v_lshlrev_b16_e32 v2, 8, v4
	v_or_b32_sdwa v2, v3, v2 dst_sel:WORD_1 dst_unused:UNUSED_PAD src0_sel:BYTE_0 src1_sel:DWORD
	v_or_b32_sdwa v17, v1, v2 dst_sel:DWORD dst_unused:UNUSED_PAD src0_sel:WORD_0 src1_sel:DWORD
	v_lshlrev_b16_e32 v1, 8, v6
	v_lshlrev_b16_e32 v2, 8, v8
	v_or_b32_sdwa v1, v5, v1 dst_sel:DWORD dst_unused:UNUSED_PAD src0_sel:BYTE_0 src1_sel:DWORD
	v_or_b32_sdwa v2, v7, v2 dst_sel:WORD_1 dst_unused:UNUSED_PAD src0_sel:BYTE_0 src1_sel:DWORD
	v_or_b32_sdwa v4, v1, v2 dst_sel:DWORD dst_unused:UNUSED_PAD src0_sel:WORD_0 src1_sel:DWORD
	v_lshlrev_b16_e32 v1, 8, v10
	v_lshlrev_b16_e32 v2, 8, v12
	v_or_b32_sdwa v1, v9, v1 dst_sel:DWORD dst_unused:UNUSED_PAD src0_sel:BYTE_0 src1_sel:DWORD
	v_or_b32_sdwa v2, v11, v2 dst_sel:WORD_1 dst_unused:UNUSED_PAD src0_sel:BYTE_0 src1_sel:DWORD
	v_or_b32_sdwa v3, v1, v2 dst_sel:DWORD dst_unused:UNUSED_PAD src0_sel:WORD_0 src1_sel:DWORD
	v_lshlrev_b16_e32 v1, 8, v14
	v_lshlrev_b16_e32 v2, 8, v16
	s_add_u32 s30, s33, s37
	v_or_b32_sdwa v1, v13, v1 dst_sel:DWORD dst_unused:UNUSED_PAD src0_sel:BYTE_0 src1_sel:DWORD
	v_or_b32_sdwa v2, v15, v2 dst_sel:WORD_1 dst_unused:UNUSED_PAD src0_sel:BYTE_0 src1_sel:DWORD
	s_addc_u32 s31, s36, 0
	v_or_b32_sdwa v2, v1, v2 dst_sel:DWORD dst_unused:UNUSED_PAD src0_sel:WORD_0 src1_sel:DWORD
	v_mov_b32_e32 v1, s31
	v_add_co_u32_e64 v0, s[30:31], s30, v0
	v_addc_co_u32_e64 v1, s[30:31], 0, v1, s[30:31]
	s_and_saveexec_b64 s[30:31], vcc
	s_cbranch_execz .LBB45_37
; %bb.36:
	global_store_byte v[0:1], v17, off
.LBB45_37:
	s_or_b64 exec, exec, s[30:31]
	s_and_saveexec_b64 s[30:31], s[0:1]
	s_cbranch_execz .LBB45_39
; %bb.38:
	v_lshrrev_b32_e32 v5, 8, v17
	global_store_byte v[0:1], v5, off offset:1024
.LBB45_39:
	s_or_b64 exec, exec, s[30:31]
	s_mov_b32 s0, 0x7060104
	v_perm_b32 v5, v17, v17, s0
	v_cndmask_b32_e64 v6, v5, v17, s[2:3]
	s_and_saveexec_b64 s[0:1], s[2:3]
	s_cbranch_execz .LBB45_41
; %bb.40:
	global_store_byte_d16_hi v[0:1], v6, off offset:2048
.LBB45_41:
	s_or_b64 exec, exec, s[0:1]
	s_mov_b32 s0, 0x7020504
	v_perm_b32 v5, v5, v6, s0
	v_cndmask_b32_e64 v5, v5, v17, s[4:5]
	s_and_saveexec_b64 s[0:1], s[4:5]
	s_cbranch_execz .LBB45_43
; %bb.42:
	v_lshrrev_b32_e32 v5, 24, v5
	global_store_byte v[0:1], v5, off offset:3072
.LBB45_43:
	s_or_b64 exec, exec, s[0:1]
	s_and_saveexec_b64 s[0:1], s[6:7]
	s_cbranch_execz .LBB45_45
; %bb.44:
	v_add_co_u32_e32 v6, vcc, 0x1000, v0
	v_addc_co_u32_e32 v7, vcc, 0, v1, vcc
	global_store_byte v[6:7], v4, off
.LBB45_45:
	s_or_b64 exec, exec, s[0:1]
	s_mov_b32 s0, 0x3020104
	v_perm_b32 v5, v4, v4, s0
	v_cndmask_b32_e64 v6, v5, v4, s[8:9]
	s_and_saveexec_b64 s[0:1], s[8:9]
	s_cbranch_execz .LBB45_47
; %bb.46:
	v_add_co_u32_e32 v8, vcc, 0x1000, v0
	v_lshrrev_b32_e32 v7, 8, v6
	v_addc_co_u32_e32 v9, vcc, 0, v1, vcc
	global_store_byte v[8:9], v7, off offset:1024
.LBB45_47:
	s_or_b64 exec, exec, s[0:1]
	s_mov_b32 s0, 0x7060104
	v_perm_b32 v5, v5, v6, s0
	v_cndmask_b32_e64 v6, v5, v4, s[10:11]
	s_and_saveexec_b64 s[0:1], s[10:11]
	s_cbranch_execz .LBB45_49
; %bb.48:
	v_add_co_u32_e32 v8, vcc, 0x1000, v0
	v_addc_co_u32_e32 v9, vcc, 0, v1, vcc
	global_store_byte_d16_hi v[8:9], v6, off offset:2048
.LBB45_49:
	s_or_b64 exec, exec, s[0:1]
	s_mov_b32 s0, 0x7020504
	v_perm_b32 v5, v5, v6, s0
	v_cndmask_b32_e64 v4, v5, v4, s[12:13]
	s_and_saveexec_b64 s[0:1], s[12:13]
	s_cbranch_execz .LBB45_51
; %bb.50:
	v_lshrrev_b32_e32 v6, 24, v4
	v_add_co_u32_e32 v4, vcc, 0x1000, v0
	v_addc_co_u32_e32 v5, vcc, 0, v1, vcc
	global_store_byte v[4:5], v6, off offset:3072
.LBB45_51:
	s_or_b64 exec, exec, s[0:1]
	s_and_saveexec_b64 s[0:1], s[14:15]
	s_cbranch_execz .LBB45_53
; %bb.52:
	v_add_co_u32_e32 v4, vcc, 0x2000, v0
	v_addc_co_u32_e32 v5, vcc, 0, v1, vcc
	global_store_byte v[4:5], v3, off
.LBB45_53:
	s_or_b64 exec, exec, s[0:1]
	s_mov_b32 s0, 0x3020104
	v_perm_b32 v4, v3, v3, s0
	v_cndmask_b32_e64 v5, v4, v3, s[16:17]
	s_and_saveexec_b64 s[0:1], s[16:17]
	s_cbranch_execz .LBB45_55
; %bb.54:
	v_add_co_u32_e32 v6, vcc, 0x2000, v0
	v_lshrrev_b32_e32 v8, 8, v5
	v_addc_co_u32_e32 v7, vcc, 0, v1, vcc
	global_store_byte v[6:7], v8, off offset:1024
.LBB45_55:
	s_or_b64 exec, exec, s[0:1]
	s_mov_b32 s0, 0x7060104
	v_perm_b32 v4, v4, v5, s0
	v_cndmask_b32_e64 v5, v4, v3, s[18:19]
	s_and_saveexec_b64 s[0:1], s[18:19]
	s_cbranch_execz .LBB45_57
; %bb.56:
	v_add_co_u32_e32 v6, vcc, 0x2000, v0
	v_addc_co_u32_e32 v7, vcc, 0, v1, vcc
	global_store_byte_d16_hi v[6:7], v5, off offset:2048
.LBB45_57:
	s_or_b64 exec, exec, s[0:1]
	s_mov_b32 s0, 0x7020504
	v_perm_b32 v4, v4, v5, s0
	v_cndmask_b32_e64 v3, v4, v3, s[20:21]
	s_and_saveexec_b64 s[0:1], s[20:21]
	s_cbranch_execz .LBB45_59
; %bb.58:
	v_add_co_u32_e32 v4, vcc, 0x2000, v0
	v_lshrrev_b32_e32 v3, 24, v3
	v_addc_co_u32_e32 v5, vcc, 0, v1, vcc
	global_store_byte v[4:5], v3, off offset:3072
.LBB45_59:
	s_or_b64 exec, exec, s[0:1]
	s_and_saveexec_b64 s[0:1], s[22:23]
	s_cbranch_execz .LBB45_61
; %bb.60:
	v_add_co_u32_e32 v4, vcc, 0x3000, v0
	v_addc_co_u32_e32 v5, vcc, 0, v1, vcc
	global_store_byte v[4:5], v2, off
.LBB45_61:
	s_or_b64 exec, exec, s[0:1]
	s_mov_b32 s0, 0x3020104
	v_perm_b32 v3, v2, v2, s0
	v_cndmask_b32_e64 v4, v3, v2, s[24:25]
	s_and_saveexec_b64 s[0:1], s[24:25]
	s_cbranch_execz .LBB45_63
; %bb.62:
	v_add_co_u32_e32 v6, vcc, 0x3000, v0
	v_lshrrev_b32_e32 v5, 8, v4
	v_addc_co_u32_e32 v7, vcc, 0, v1, vcc
	global_store_byte v[6:7], v5, off offset:1024
.LBB45_63:
	s_or_b64 exec, exec, s[0:1]
	s_mov_b32 s0, 0x7060104
	v_perm_b32 v3, v3, v4, s0
	s_and_saveexec_b64 s[0:1], s[26:27]
	s_cbranch_execz .LBB45_65
; %bb.64:
	v_add_co_u32_e32 v4, vcc, 0x3000, v0
	v_cndmask_b32_e64 v6, v3, v2, s[26:27]
	v_addc_co_u32_e32 v5, vcc, 0, v1, vcc
	global_store_byte_d16_hi v[4:5], v6, off offset:2048
.LBB45_65:
	s_or_b64 exec, exec, s[0:1]
	s_and_saveexec_b64 s[0:1], s[28:29]
	s_cbranch_execz .LBB45_67
; %bb.66:
	v_cndmask_b32_e64 v2, v3, v2, s[28:29]
	v_add_co_u32_e32 v0, vcc, 0x3000, v0
	v_lshrrev_b32_e32 v2, 24, v2
	v_addc_co_u32_e32 v1, vcc, 0, v1, vcc
	global_store_byte v[0:1], v2, off offset:3072
.LBB45_67:
	s_endpgm
	.section	.rodata,"a",@progbits
	.p2align	6, 0x0
	.amdhsa_kernel _ZN7rocprim17ROCPRIM_400000_NS6detail17trampoline_kernelINS0_14default_configENS1_25transform_config_selectorIcLb1EEEZNS1_14transform_implILb1ES3_S5_PcS7_NS0_8identityIcEEEE10hipError_tT2_T3_mT4_P12ihipStream_tbEUlT_E_NS1_11comp_targetILNS1_3genE4ELNS1_11target_archE910ELNS1_3gpuE8ELNS1_3repE0EEENS1_30default_config_static_selectorELNS0_4arch9wavefront6targetE1EEEvT1_
		.amdhsa_group_segment_fixed_size 0
		.amdhsa_private_segment_fixed_size 0
		.amdhsa_kernarg_size 296
		.amdhsa_user_sgpr_count 6
		.amdhsa_user_sgpr_private_segment_buffer 1
		.amdhsa_user_sgpr_dispatch_ptr 0
		.amdhsa_user_sgpr_queue_ptr 0
		.amdhsa_user_sgpr_kernarg_segment_ptr 1
		.amdhsa_user_sgpr_dispatch_id 0
		.amdhsa_user_sgpr_flat_scratch_init 0
		.amdhsa_user_sgpr_kernarg_preload_length 0
		.amdhsa_user_sgpr_kernarg_preload_offset 0
		.amdhsa_user_sgpr_private_segment_size 0
		.amdhsa_uses_dynamic_stack 0
		.amdhsa_system_sgpr_private_segment_wavefront_offset 0
		.amdhsa_system_sgpr_workgroup_id_x 1
		.amdhsa_system_sgpr_workgroup_id_y 0
		.amdhsa_system_sgpr_workgroup_id_z 0
		.amdhsa_system_sgpr_workgroup_info 0
		.amdhsa_system_vgpr_workitem_id 0
		.amdhsa_next_free_vgpr 18
		.amdhsa_next_free_sgpr 38
		.amdhsa_accum_offset 20
		.amdhsa_reserve_vcc 1
		.amdhsa_reserve_flat_scratch 0
		.amdhsa_float_round_mode_32 0
		.amdhsa_float_round_mode_16_64 0
		.amdhsa_float_denorm_mode_32 3
		.amdhsa_float_denorm_mode_16_64 3
		.amdhsa_dx10_clamp 1
		.amdhsa_ieee_mode 1
		.amdhsa_fp16_overflow 0
		.amdhsa_tg_split 0
		.amdhsa_exception_fp_ieee_invalid_op 0
		.amdhsa_exception_fp_denorm_src 0
		.amdhsa_exception_fp_ieee_div_zero 0
		.amdhsa_exception_fp_ieee_overflow 0
		.amdhsa_exception_fp_ieee_underflow 0
		.amdhsa_exception_fp_ieee_inexact 0
		.amdhsa_exception_int_div_zero 0
	.end_amdhsa_kernel
	.section	.text._ZN7rocprim17ROCPRIM_400000_NS6detail17trampoline_kernelINS0_14default_configENS1_25transform_config_selectorIcLb1EEEZNS1_14transform_implILb1ES3_S5_PcS7_NS0_8identityIcEEEE10hipError_tT2_T3_mT4_P12ihipStream_tbEUlT_E_NS1_11comp_targetILNS1_3genE4ELNS1_11target_archE910ELNS1_3gpuE8ELNS1_3repE0EEENS1_30default_config_static_selectorELNS0_4arch9wavefront6targetE1EEEvT1_,"axG",@progbits,_ZN7rocprim17ROCPRIM_400000_NS6detail17trampoline_kernelINS0_14default_configENS1_25transform_config_selectorIcLb1EEEZNS1_14transform_implILb1ES3_S5_PcS7_NS0_8identityIcEEEE10hipError_tT2_T3_mT4_P12ihipStream_tbEUlT_E_NS1_11comp_targetILNS1_3genE4ELNS1_11target_archE910ELNS1_3gpuE8ELNS1_3repE0EEENS1_30default_config_static_selectorELNS0_4arch9wavefront6targetE1EEEvT1_,comdat
.Lfunc_end45:
	.size	_ZN7rocprim17ROCPRIM_400000_NS6detail17trampoline_kernelINS0_14default_configENS1_25transform_config_selectorIcLb1EEEZNS1_14transform_implILb1ES3_S5_PcS7_NS0_8identityIcEEEE10hipError_tT2_T3_mT4_P12ihipStream_tbEUlT_E_NS1_11comp_targetILNS1_3genE4ELNS1_11target_archE910ELNS1_3gpuE8ELNS1_3repE0EEENS1_30default_config_static_selectorELNS0_4arch9wavefront6targetE1EEEvT1_, .Lfunc_end45-_ZN7rocprim17ROCPRIM_400000_NS6detail17trampoline_kernelINS0_14default_configENS1_25transform_config_selectorIcLb1EEEZNS1_14transform_implILb1ES3_S5_PcS7_NS0_8identityIcEEEE10hipError_tT2_T3_mT4_P12ihipStream_tbEUlT_E_NS1_11comp_targetILNS1_3genE4ELNS1_11target_archE910ELNS1_3gpuE8ELNS1_3repE0EEENS1_30default_config_static_selectorELNS0_4arch9wavefront6targetE1EEEvT1_
                                        ; -- End function
	.section	.AMDGPU.csdata,"",@progbits
; Kernel info:
; codeLenInByte = 1580
; NumSgprs: 42
; NumVgprs: 18
; NumAgprs: 0
; TotalNumVgprs: 18
; ScratchSize: 0
; MemoryBound: 1
; FloatMode: 240
; IeeeMode: 1
; LDSByteSize: 0 bytes/workgroup (compile time only)
; SGPRBlocks: 5
; VGPRBlocks: 2
; NumSGPRsForWavesPerEU: 42
; NumVGPRsForWavesPerEU: 18
; AccumOffset: 20
; Occupancy: 8
; WaveLimiterHint : 0
; COMPUTE_PGM_RSRC2:SCRATCH_EN: 0
; COMPUTE_PGM_RSRC2:USER_SGPR: 6
; COMPUTE_PGM_RSRC2:TRAP_HANDLER: 0
; COMPUTE_PGM_RSRC2:TGID_X_EN: 1
; COMPUTE_PGM_RSRC2:TGID_Y_EN: 0
; COMPUTE_PGM_RSRC2:TGID_Z_EN: 0
; COMPUTE_PGM_RSRC2:TIDIG_COMP_CNT: 0
; COMPUTE_PGM_RSRC3_GFX90A:ACCUM_OFFSET: 4
; COMPUTE_PGM_RSRC3_GFX90A:TG_SPLIT: 0
	.section	.text._ZN7rocprim17ROCPRIM_400000_NS6detail17trampoline_kernelINS0_14default_configENS1_25transform_config_selectorIcLb1EEEZNS1_14transform_implILb1ES3_S5_PcS7_NS0_8identityIcEEEE10hipError_tT2_T3_mT4_P12ihipStream_tbEUlT_E_NS1_11comp_targetILNS1_3genE3ELNS1_11target_archE908ELNS1_3gpuE7ELNS1_3repE0EEENS1_30default_config_static_selectorELNS0_4arch9wavefront6targetE1EEEvT1_,"axG",@progbits,_ZN7rocprim17ROCPRIM_400000_NS6detail17trampoline_kernelINS0_14default_configENS1_25transform_config_selectorIcLb1EEEZNS1_14transform_implILb1ES3_S5_PcS7_NS0_8identityIcEEEE10hipError_tT2_T3_mT4_P12ihipStream_tbEUlT_E_NS1_11comp_targetILNS1_3genE3ELNS1_11target_archE908ELNS1_3gpuE7ELNS1_3repE0EEENS1_30default_config_static_selectorELNS0_4arch9wavefront6targetE1EEEvT1_,comdat
	.protected	_ZN7rocprim17ROCPRIM_400000_NS6detail17trampoline_kernelINS0_14default_configENS1_25transform_config_selectorIcLb1EEEZNS1_14transform_implILb1ES3_S5_PcS7_NS0_8identityIcEEEE10hipError_tT2_T3_mT4_P12ihipStream_tbEUlT_E_NS1_11comp_targetILNS1_3genE3ELNS1_11target_archE908ELNS1_3gpuE7ELNS1_3repE0EEENS1_30default_config_static_selectorELNS0_4arch9wavefront6targetE1EEEvT1_ ; -- Begin function _ZN7rocprim17ROCPRIM_400000_NS6detail17trampoline_kernelINS0_14default_configENS1_25transform_config_selectorIcLb1EEEZNS1_14transform_implILb1ES3_S5_PcS7_NS0_8identityIcEEEE10hipError_tT2_T3_mT4_P12ihipStream_tbEUlT_E_NS1_11comp_targetILNS1_3genE3ELNS1_11target_archE908ELNS1_3gpuE7ELNS1_3repE0EEENS1_30default_config_static_selectorELNS0_4arch9wavefront6targetE1EEEvT1_
	.globl	_ZN7rocprim17ROCPRIM_400000_NS6detail17trampoline_kernelINS0_14default_configENS1_25transform_config_selectorIcLb1EEEZNS1_14transform_implILb1ES3_S5_PcS7_NS0_8identityIcEEEE10hipError_tT2_T3_mT4_P12ihipStream_tbEUlT_E_NS1_11comp_targetILNS1_3genE3ELNS1_11target_archE908ELNS1_3gpuE7ELNS1_3repE0EEENS1_30default_config_static_selectorELNS0_4arch9wavefront6targetE1EEEvT1_
	.p2align	8
	.type	_ZN7rocprim17ROCPRIM_400000_NS6detail17trampoline_kernelINS0_14default_configENS1_25transform_config_selectorIcLb1EEEZNS1_14transform_implILb1ES3_S5_PcS7_NS0_8identityIcEEEE10hipError_tT2_T3_mT4_P12ihipStream_tbEUlT_E_NS1_11comp_targetILNS1_3genE3ELNS1_11target_archE908ELNS1_3gpuE7ELNS1_3repE0EEENS1_30default_config_static_selectorELNS0_4arch9wavefront6targetE1EEEvT1_,@function
_ZN7rocprim17ROCPRIM_400000_NS6detail17trampoline_kernelINS0_14default_configENS1_25transform_config_selectorIcLb1EEEZNS1_14transform_implILb1ES3_S5_PcS7_NS0_8identityIcEEEE10hipError_tT2_T3_mT4_P12ihipStream_tbEUlT_E_NS1_11comp_targetILNS1_3genE3ELNS1_11target_archE908ELNS1_3gpuE7ELNS1_3repE0EEENS1_30default_config_static_selectorELNS0_4arch9wavefront6targetE1EEEvT1_: ; @_ZN7rocprim17ROCPRIM_400000_NS6detail17trampoline_kernelINS0_14default_configENS1_25transform_config_selectorIcLb1EEEZNS1_14transform_implILb1ES3_S5_PcS7_NS0_8identityIcEEEE10hipError_tT2_T3_mT4_P12ihipStream_tbEUlT_E_NS1_11comp_targetILNS1_3genE3ELNS1_11target_archE908ELNS1_3gpuE7ELNS1_3repE0EEENS1_30default_config_static_selectorELNS0_4arch9wavefront6targetE1EEEvT1_
; %bb.0:
	.section	.rodata,"a",@progbits
	.p2align	6, 0x0
	.amdhsa_kernel _ZN7rocprim17ROCPRIM_400000_NS6detail17trampoline_kernelINS0_14default_configENS1_25transform_config_selectorIcLb1EEEZNS1_14transform_implILb1ES3_S5_PcS7_NS0_8identityIcEEEE10hipError_tT2_T3_mT4_P12ihipStream_tbEUlT_E_NS1_11comp_targetILNS1_3genE3ELNS1_11target_archE908ELNS1_3gpuE7ELNS1_3repE0EEENS1_30default_config_static_selectorELNS0_4arch9wavefront6targetE1EEEvT1_
		.amdhsa_group_segment_fixed_size 0
		.amdhsa_private_segment_fixed_size 0
		.amdhsa_kernarg_size 40
		.amdhsa_user_sgpr_count 6
		.amdhsa_user_sgpr_private_segment_buffer 1
		.amdhsa_user_sgpr_dispatch_ptr 0
		.amdhsa_user_sgpr_queue_ptr 0
		.amdhsa_user_sgpr_kernarg_segment_ptr 1
		.amdhsa_user_sgpr_dispatch_id 0
		.amdhsa_user_sgpr_flat_scratch_init 0
		.amdhsa_user_sgpr_kernarg_preload_length 0
		.amdhsa_user_sgpr_kernarg_preload_offset 0
		.amdhsa_user_sgpr_private_segment_size 0
		.amdhsa_uses_dynamic_stack 0
		.amdhsa_system_sgpr_private_segment_wavefront_offset 0
		.amdhsa_system_sgpr_workgroup_id_x 1
		.amdhsa_system_sgpr_workgroup_id_y 0
		.amdhsa_system_sgpr_workgroup_id_z 0
		.amdhsa_system_sgpr_workgroup_info 0
		.amdhsa_system_vgpr_workitem_id 0
		.amdhsa_next_free_vgpr 1
		.amdhsa_next_free_sgpr 0
		.amdhsa_accum_offset 4
		.amdhsa_reserve_vcc 0
		.amdhsa_reserve_flat_scratch 0
		.amdhsa_float_round_mode_32 0
		.amdhsa_float_round_mode_16_64 0
		.amdhsa_float_denorm_mode_32 3
		.amdhsa_float_denorm_mode_16_64 3
		.amdhsa_dx10_clamp 1
		.amdhsa_ieee_mode 1
		.amdhsa_fp16_overflow 0
		.amdhsa_tg_split 0
		.amdhsa_exception_fp_ieee_invalid_op 0
		.amdhsa_exception_fp_denorm_src 0
		.amdhsa_exception_fp_ieee_div_zero 0
		.amdhsa_exception_fp_ieee_overflow 0
		.amdhsa_exception_fp_ieee_underflow 0
		.amdhsa_exception_fp_ieee_inexact 0
		.amdhsa_exception_int_div_zero 0
	.end_amdhsa_kernel
	.section	.text._ZN7rocprim17ROCPRIM_400000_NS6detail17trampoline_kernelINS0_14default_configENS1_25transform_config_selectorIcLb1EEEZNS1_14transform_implILb1ES3_S5_PcS7_NS0_8identityIcEEEE10hipError_tT2_T3_mT4_P12ihipStream_tbEUlT_E_NS1_11comp_targetILNS1_3genE3ELNS1_11target_archE908ELNS1_3gpuE7ELNS1_3repE0EEENS1_30default_config_static_selectorELNS0_4arch9wavefront6targetE1EEEvT1_,"axG",@progbits,_ZN7rocprim17ROCPRIM_400000_NS6detail17trampoline_kernelINS0_14default_configENS1_25transform_config_selectorIcLb1EEEZNS1_14transform_implILb1ES3_S5_PcS7_NS0_8identityIcEEEE10hipError_tT2_T3_mT4_P12ihipStream_tbEUlT_E_NS1_11comp_targetILNS1_3genE3ELNS1_11target_archE908ELNS1_3gpuE7ELNS1_3repE0EEENS1_30default_config_static_selectorELNS0_4arch9wavefront6targetE1EEEvT1_,comdat
.Lfunc_end46:
	.size	_ZN7rocprim17ROCPRIM_400000_NS6detail17trampoline_kernelINS0_14default_configENS1_25transform_config_selectorIcLb1EEEZNS1_14transform_implILb1ES3_S5_PcS7_NS0_8identityIcEEEE10hipError_tT2_T3_mT4_P12ihipStream_tbEUlT_E_NS1_11comp_targetILNS1_3genE3ELNS1_11target_archE908ELNS1_3gpuE7ELNS1_3repE0EEENS1_30default_config_static_selectorELNS0_4arch9wavefront6targetE1EEEvT1_, .Lfunc_end46-_ZN7rocprim17ROCPRIM_400000_NS6detail17trampoline_kernelINS0_14default_configENS1_25transform_config_selectorIcLb1EEEZNS1_14transform_implILb1ES3_S5_PcS7_NS0_8identityIcEEEE10hipError_tT2_T3_mT4_P12ihipStream_tbEUlT_E_NS1_11comp_targetILNS1_3genE3ELNS1_11target_archE908ELNS1_3gpuE7ELNS1_3repE0EEENS1_30default_config_static_selectorELNS0_4arch9wavefront6targetE1EEEvT1_
                                        ; -- End function
	.section	.AMDGPU.csdata,"",@progbits
; Kernel info:
; codeLenInByte = 0
; NumSgprs: 4
; NumVgprs: 0
; NumAgprs: 0
; TotalNumVgprs: 0
; ScratchSize: 0
; MemoryBound: 0
; FloatMode: 240
; IeeeMode: 1
; LDSByteSize: 0 bytes/workgroup (compile time only)
; SGPRBlocks: 0
; VGPRBlocks: 0
; NumSGPRsForWavesPerEU: 4
; NumVGPRsForWavesPerEU: 1
; AccumOffset: 4
; Occupancy: 8
; WaveLimiterHint : 0
; COMPUTE_PGM_RSRC2:SCRATCH_EN: 0
; COMPUTE_PGM_RSRC2:USER_SGPR: 6
; COMPUTE_PGM_RSRC2:TRAP_HANDLER: 0
; COMPUTE_PGM_RSRC2:TGID_X_EN: 1
; COMPUTE_PGM_RSRC2:TGID_Y_EN: 0
; COMPUTE_PGM_RSRC2:TGID_Z_EN: 0
; COMPUTE_PGM_RSRC2:TIDIG_COMP_CNT: 0
; COMPUTE_PGM_RSRC3_GFX90A:ACCUM_OFFSET: 0
; COMPUTE_PGM_RSRC3_GFX90A:TG_SPLIT: 0
	.section	.text._ZN7rocprim17ROCPRIM_400000_NS6detail17trampoline_kernelINS0_14default_configENS1_25transform_config_selectorIcLb1EEEZNS1_14transform_implILb1ES3_S5_PcS7_NS0_8identityIcEEEE10hipError_tT2_T3_mT4_P12ihipStream_tbEUlT_E_NS1_11comp_targetILNS1_3genE2ELNS1_11target_archE906ELNS1_3gpuE6ELNS1_3repE0EEENS1_30default_config_static_selectorELNS0_4arch9wavefront6targetE1EEEvT1_,"axG",@progbits,_ZN7rocprim17ROCPRIM_400000_NS6detail17trampoline_kernelINS0_14default_configENS1_25transform_config_selectorIcLb1EEEZNS1_14transform_implILb1ES3_S5_PcS7_NS0_8identityIcEEEE10hipError_tT2_T3_mT4_P12ihipStream_tbEUlT_E_NS1_11comp_targetILNS1_3genE2ELNS1_11target_archE906ELNS1_3gpuE6ELNS1_3repE0EEENS1_30default_config_static_selectorELNS0_4arch9wavefront6targetE1EEEvT1_,comdat
	.protected	_ZN7rocprim17ROCPRIM_400000_NS6detail17trampoline_kernelINS0_14default_configENS1_25transform_config_selectorIcLb1EEEZNS1_14transform_implILb1ES3_S5_PcS7_NS0_8identityIcEEEE10hipError_tT2_T3_mT4_P12ihipStream_tbEUlT_E_NS1_11comp_targetILNS1_3genE2ELNS1_11target_archE906ELNS1_3gpuE6ELNS1_3repE0EEENS1_30default_config_static_selectorELNS0_4arch9wavefront6targetE1EEEvT1_ ; -- Begin function _ZN7rocprim17ROCPRIM_400000_NS6detail17trampoline_kernelINS0_14default_configENS1_25transform_config_selectorIcLb1EEEZNS1_14transform_implILb1ES3_S5_PcS7_NS0_8identityIcEEEE10hipError_tT2_T3_mT4_P12ihipStream_tbEUlT_E_NS1_11comp_targetILNS1_3genE2ELNS1_11target_archE906ELNS1_3gpuE6ELNS1_3repE0EEENS1_30default_config_static_selectorELNS0_4arch9wavefront6targetE1EEEvT1_
	.globl	_ZN7rocprim17ROCPRIM_400000_NS6detail17trampoline_kernelINS0_14default_configENS1_25transform_config_selectorIcLb1EEEZNS1_14transform_implILb1ES3_S5_PcS7_NS0_8identityIcEEEE10hipError_tT2_T3_mT4_P12ihipStream_tbEUlT_E_NS1_11comp_targetILNS1_3genE2ELNS1_11target_archE906ELNS1_3gpuE6ELNS1_3repE0EEENS1_30default_config_static_selectorELNS0_4arch9wavefront6targetE1EEEvT1_
	.p2align	8
	.type	_ZN7rocprim17ROCPRIM_400000_NS6detail17trampoline_kernelINS0_14default_configENS1_25transform_config_selectorIcLb1EEEZNS1_14transform_implILb1ES3_S5_PcS7_NS0_8identityIcEEEE10hipError_tT2_T3_mT4_P12ihipStream_tbEUlT_E_NS1_11comp_targetILNS1_3genE2ELNS1_11target_archE906ELNS1_3gpuE6ELNS1_3repE0EEENS1_30default_config_static_selectorELNS0_4arch9wavefront6targetE1EEEvT1_,@function
_ZN7rocprim17ROCPRIM_400000_NS6detail17trampoline_kernelINS0_14default_configENS1_25transform_config_selectorIcLb1EEEZNS1_14transform_implILb1ES3_S5_PcS7_NS0_8identityIcEEEE10hipError_tT2_T3_mT4_P12ihipStream_tbEUlT_E_NS1_11comp_targetILNS1_3genE2ELNS1_11target_archE906ELNS1_3gpuE6ELNS1_3repE0EEENS1_30default_config_static_selectorELNS0_4arch9wavefront6targetE1EEEvT1_: ; @_ZN7rocprim17ROCPRIM_400000_NS6detail17trampoline_kernelINS0_14default_configENS1_25transform_config_selectorIcLb1EEEZNS1_14transform_implILb1ES3_S5_PcS7_NS0_8identityIcEEEE10hipError_tT2_T3_mT4_P12ihipStream_tbEUlT_E_NS1_11comp_targetILNS1_3genE2ELNS1_11target_archE906ELNS1_3gpuE6ELNS1_3repE0EEENS1_30default_config_static_selectorELNS0_4arch9wavefront6targetE1EEEvT1_
; %bb.0:
	.section	.rodata,"a",@progbits
	.p2align	6, 0x0
	.amdhsa_kernel _ZN7rocprim17ROCPRIM_400000_NS6detail17trampoline_kernelINS0_14default_configENS1_25transform_config_selectorIcLb1EEEZNS1_14transform_implILb1ES3_S5_PcS7_NS0_8identityIcEEEE10hipError_tT2_T3_mT4_P12ihipStream_tbEUlT_E_NS1_11comp_targetILNS1_3genE2ELNS1_11target_archE906ELNS1_3gpuE6ELNS1_3repE0EEENS1_30default_config_static_selectorELNS0_4arch9wavefront6targetE1EEEvT1_
		.amdhsa_group_segment_fixed_size 0
		.amdhsa_private_segment_fixed_size 0
		.amdhsa_kernarg_size 40
		.amdhsa_user_sgpr_count 6
		.amdhsa_user_sgpr_private_segment_buffer 1
		.amdhsa_user_sgpr_dispatch_ptr 0
		.amdhsa_user_sgpr_queue_ptr 0
		.amdhsa_user_sgpr_kernarg_segment_ptr 1
		.amdhsa_user_sgpr_dispatch_id 0
		.amdhsa_user_sgpr_flat_scratch_init 0
		.amdhsa_user_sgpr_kernarg_preload_length 0
		.amdhsa_user_sgpr_kernarg_preload_offset 0
		.amdhsa_user_sgpr_private_segment_size 0
		.amdhsa_uses_dynamic_stack 0
		.amdhsa_system_sgpr_private_segment_wavefront_offset 0
		.amdhsa_system_sgpr_workgroup_id_x 1
		.amdhsa_system_sgpr_workgroup_id_y 0
		.amdhsa_system_sgpr_workgroup_id_z 0
		.amdhsa_system_sgpr_workgroup_info 0
		.amdhsa_system_vgpr_workitem_id 0
		.amdhsa_next_free_vgpr 1
		.amdhsa_next_free_sgpr 0
		.amdhsa_accum_offset 4
		.amdhsa_reserve_vcc 0
		.amdhsa_reserve_flat_scratch 0
		.amdhsa_float_round_mode_32 0
		.amdhsa_float_round_mode_16_64 0
		.amdhsa_float_denorm_mode_32 3
		.amdhsa_float_denorm_mode_16_64 3
		.amdhsa_dx10_clamp 1
		.amdhsa_ieee_mode 1
		.amdhsa_fp16_overflow 0
		.amdhsa_tg_split 0
		.amdhsa_exception_fp_ieee_invalid_op 0
		.amdhsa_exception_fp_denorm_src 0
		.amdhsa_exception_fp_ieee_div_zero 0
		.amdhsa_exception_fp_ieee_overflow 0
		.amdhsa_exception_fp_ieee_underflow 0
		.amdhsa_exception_fp_ieee_inexact 0
		.amdhsa_exception_int_div_zero 0
	.end_amdhsa_kernel
	.section	.text._ZN7rocprim17ROCPRIM_400000_NS6detail17trampoline_kernelINS0_14default_configENS1_25transform_config_selectorIcLb1EEEZNS1_14transform_implILb1ES3_S5_PcS7_NS0_8identityIcEEEE10hipError_tT2_T3_mT4_P12ihipStream_tbEUlT_E_NS1_11comp_targetILNS1_3genE2ELNS1_11target_archE906ELNS1_3gpuE6ELNS1_3repE0EEENS1_30default_config_static_selectorELNS0_4arch9wavefront6targetE1EEEvT1_,"axG",@progbits,_ZN7rocprim17ROCPRIM_400000_NS6detail17trampoline_kernelINS0_14default_configENS1_25transform_config_selectorIcLb1EEEZNS1_14transform_implILb1ES3_S5_PcS7_NS0_8identityIcEEEE10hipError_tT2_T3_mT4_P12ihipStream_tbEUlT_E_NS1_11comp_targetILNS1_3genE2ELNS1_11target_archE906ELNS1_3gpuE6ELNS1_3repE0EEENS1_30default_config_static_selectorELNS0_4arch9wavefront6targetE1EEEvT1_,comdat
.Lfunc_end47:
	.size	_ZN7rocprim17ROCPRIM_400000_NS6detail17trampoline_kernelINS0_14default_configENS1_25transform_config_selectorIcLb1EEEZNS1_14transform_implILb1ES3_S5_PcS7_NS0_8identityIcEEEE10hipError_tT2_T3_mT4_P12ihipStream_tbEUlT_E_NS1_11comp_targetILNS1_3genE2ELNS1_11target_archE906ELNS1_3gpuE6ELNS1_3repE0EEENS1_30default_config_static_selectorELNS0_4arch9wavefront6targetE1EEEvT1_, .Lfunc_end47-_ZN7rocprim17ROCPRIM_400000_NS6detail17trampoline_kernelINS0_14default_configENS1_25transform_config_selectorIcLb1EEEZNS1_14transform_implILb1ES3_S5_PcS7_NS0_8identityIcEEEE10hipError_tT2_T3_mT4_P12ihipStream_tbEUlT_E_NS1_11comp_targetILNS1_3genE2ELNS1_11target_archE906ELNS1_3gpuE6ELNS1_3repE0EEENS1_30default_config_static_selectorELNS0_4arch9wavefront6targetE1EEEvT1_
                                        ; -- End function
	.section	.AMDGPU.csdata,"",@progbits
; Kernel info:
; codeLenInByte = 0
; NumSgprs: 4
; NumVgprs: 0
; NumAgprs: 0
; TotalNumVgprs: 0
; ScratchSize: 0
; MemoryBound: 0
; FloatMode: 240
; IeeeMode: 1
; LDSByteSize: 0 bytes/workgroup (compile time only)
; SGPRBlocks: 0
; VGPRBlocks: 0
; NumSGPRsForWavesPerEU: 4
; NumVGPRsForWavesPerEU: 1
; AccumOffset: 4
; Occupancy: 8
; WaveLimiterHint : 0
; COMPUTE_PGM_RSRC2:SCRATCH_EN: 0
; COMPUTE_PGM_RSRC2:USER_SGPR: 6
; COMPUTE_PGM_RSRC2:TRAP_HANDLER: 0
; COMPUTE_PGM_RSRC2:TGID_X_EN: 1
; COMPUTE_PGM_RSRC2:TGID_Y_EN: 0
; COMPUTE_PGM_RSRC2:TGID_Z_EN: 0
; COMPUTE_PGM_RSRC2:TIDIG_COMP_CNT: 0
; COMPUTE_PGM_RSRC3_GFX90A:ACCUM_OFFSET: 0
; COMPUTE_PGM_RSRC3_GFX90A:TG_SPLIT: 0
	.section	.text._ZN7rocprim17ROCPRIM_400000_NS6detail17trampoline_kernelINS0_14default_configENS1_25transform_config_selectorIcLb1EEEZNS1_14transform_implILb1ES3_S5_PcS7_NS0_8identityIcEEEE10hipError_tT2_T3_mT4_P12ihipStream_tbEUlT_E_NS1_11comp_targetILNS1_3genE9ELNS1_11target_archE1100ELNS1_3gpuE3ELNS1_3repE0EEENS1_30default_config_static_selectorELNS0_4arch9wavefront6targetE1EEEvT1_,"axG",@progbits,_ZN7rocprim17ROCPRIM_400000_NS6detail17trampoline_kernelINS0_14default_configENS1_25transform_config_selectorIcLb1EEEZNS1_14transform_implILb1ES3_S5_PcS7_NS0_8identityIcEEEE10hipError_tT2_T3_mT4_P12ihipStream_tbEUlT_E_NS1_11comp_targetILNS1_3genE9ELNS1_11target_archE1100ELNS1_3gpuE3ELNS1_3repE0EEENS1_30default_config_static_selectorELNS0_4arch9wavefront6targetE1EEEvT1_,comdat
	.protected	_ZN7rocprim17ROCPRIM_400000_NS6detail17trampoline_kernelINS0_14default_configENS1_25transform_config_selectorIcLb1EEEZNS1_14transform_implILb1ES3_S5_PcS7_NS0_8identityIcEEEE10hipError_tT2_T3_mT4_P12ihipStream_tbEUlT_E_NS1_11comp_targetILNS1_3genE9ELNS1_11target_archE1100ELNS1_3gpuE3ELNS1_3repE0EEENS1_30default_config_static_selectorELNS0_4arch9wavefront6targetE1EEEvT1_ ; -- Begin function _ZN7rocprim17ROCPRIM_400000_NS6detail17trampoline_kernelINS0_14default_configENS1_25transform_config_selectorIcLb1EEEZNS1_14transform_implILb1ES3_S5_PcS7_NS0_8identityIcEEEE10hipError_tT2_T3_mT4_P12ihipStream_tbEUlT_E_NS1_11comp_targetILNS1_3genE9ELNS1_11target_archE1100ELNS1_3gpuE3ELNS1_3repE0EEENS1_30default_config_static_selectorELNS0_4arch9wavefront6targetE1EEEvT1_
	.globl	_ZN7rocprim17ROCPRIM_400000_NS6detail17trampoline_kernelINS0_14default_configENS1_25transform_config_selectorIcLb1EEEZNS1_14transform_implILb1ES3_S5_PcS7_NS0_8identityIcEEEE10hipError_tT2_T3_mT4_P12ihipStream_tbEUlT_E_NS1_11comp_targetILNS1_3genE9ELNS1_11target_archE1100ELNS1_3gpuE3ELNS1_3repE0EEENS1_30default_config_static_selectorELNS0_4arch9wavefront6targetE1EEEvT1_
	.p2align	8
	.type	_ZN7rocprim17ROCPRIM_400000_NS6detail17trampoline_kernelINS0_14default_configENS1_25transform_config_selectorIcLb1EEEZNS1_14transform_implILb1ES3_S5_PcS7_NS0_8identityIcEEEE10hipError_tT2_T3_mT4_P12ihipStream_tbEUlT_E_NS1_11comp_targetILNS1_3genE9ELNS1_11target_archE1100ELNS1_3gpuE3ELNS1_3repE0EEENS1_30default_config_static_selectorELNS0_4arch9wavefront6targetE1EEEvT1_,@function
_ZN7rocprim17ROCPRIM_400000_NS6detail17trampoline_kernelINS0_14default_configENS1_25transform_config_selectorIcLb1EEEZNS1_14transform_implILb1ES3_S5_PcS7_NS0_8identityIcEEEE10hipError_tT2_T3_mT4_P12ihipStream_tbEUlT_E_NS1_11comp_targetILNS1_3genE9ELNS1_11target_archE1100ELNS1_3gpuE3ELNS1_3repE0EEENS1_30default_config_static_selectorELNS0_4arch9wavefront6targetE1EEEvT1_: ; @_ZN7rocprim17ROCPRIM_400000_NS6detail17trampoline_kernelINS0_14default_configENS1_25transform_config_selectorIcLb1EEEZNS1_14transform_implILb1ES3_S5_PcS7_NS0_8identityIcEEEE10hipError_tT2_T3_mT4_P12ihipStream_tbEUlT_E_NS1_11comp_targetILNS1_3genE9ELNS1_11target_archE1100ELNS1_3gpuE3ELNS1_3repE0EEENS1_30default_config_static_selectorELNS0_4arch9wavefront6targetE1EEEvT1_
; %bb.0:
	.section	.rodata,"a",@progbits
	.p2align	6, 0x0
	.amdhsa_kernel _ZN7rocprim17ROCPRIM_400000_NS6detail17trampoline_kernelINS0_14default_configENS1_25transform_config_selectorIcLb1EEEZNS1_14transform_implILb1ES3_S5_PcS7_NS0_8identityIcEEEE10hipError_tT2_T3_mT4_P12ihipStream_tbEUlT_E_NS1_11comp_targetILNS1_3genE9ELNS1_11target_archE1100ELNS1_3gpuE3ELNS1_3repE0EEENS1_30default_config_static_selectorELNS0_4arch9wavefront6targetE1EEEvT1_
		.amdhsa_group_segment_fixed_size 0
		.amdhsa_private_segment_fixed_size 0
		.amdhsa_kernarg_size 40
		.amdhsa_user_sgpr_count 6
		.amdhsa_user_sgpr_private_segment_buffer 1
		.amdhsa_user_sgpr_dispatch_ptr 0
		.amdhsa_user_sgpr_queue_ptr 0
		.amdhsa_user_sgpr_kernarg_segment_ptr 1
		.amdhsa_user_sgpr_dispatch_id 0
		.amdhsa_user_sgpr_flat_scratch_init 0
		.amdhsa_user_sgpr_kernarg_preload_length 0
		.amdhsa_user_sgpr_kernarg_preload_offset 0
		.amdhsa_user_sgpr_private_segment_size 0
		.amdhsa_uses_dynamic_stack 0
		.amdhsa_system_sgpr_private_segment_wavefront_offset 0
		.amdhsa_system_sgpr_workgroup_id_x 1
		.amdhsa_system_sgpr_workgroup_id_y 0
		.amdhsa_system_sgpr_workgroup_id_z 0
		.amdhsa_system_sgpr_workgroup_info 0
		.amdhsa_system_vgpr_workitem_id 0
		.amdhsa_next_free_vgpr 1
		.amdhsa_next_free_sgpr 0
		.amdhsa_accum_offset 4
		.amdhsa_reserve_vcc 0
		.amdhsa_reserve_flat_scratch 0
		.amdhsa_float_round_mode_32 0
		.amdhsa_float_round_mode_16_64 0
		.amdhsa_float_denorm_mode_32 3
		.amdhsa_float_denorm_mode_16_64 3
		.amdhsa_dx10_clamp 1
		.amdhsa_ieee_mode 1
		.amdhsa_fp16_overflow 0
		.amdhsa_tg_split 0
		.amdhsa_exception_fp_ieee_invalid_op 0
		.amdhsa_exception_fp_denorm_src 0
		.amdhsa_exception_fp_ieee_div_zero 0
		.amdhsa_exception_fp_ieee_overflow 0
		.amdhsa_exception_fp_ieee_underflow 0
		.amdhsa_exception_fp_ieee_inexact 0
		.amdhsa_exception_int_div_zero 0
	.end_amdhsa_kernel
	.section	.text._ZN7rocprim17ROCPRIM_400000_NS6detail17trampoline_kernelINS0_14default_configENS1_25transform_config_selectorIcLb1EEEZNS1_14transform_implILb1ES3_S5_PcS7_NS0_8identityIcEEEE10hipError_tT2_T3_mT4_P12ihipStream_tbEUlT_E_NS1_11comp_targetILNS1_3genE9ELNS1_11target_archE1100ELNS1_3gpuE3ELNS1_3repE0EEENS1_30default_config_static_selectorELNS0_4arch9wavefront6targetE1EEEvT1_,"axG",@progbits,_ZN7rocprim17ROCPRIM_400000_NS6detail17trampoline_kernelINS0_14default_configENS1_25transform_config_selectorIcLb1EEEZNS1_14transform_implILb1ES3_S5_PcS7_NS0_8identityIcEEEE10hipError_tT2_T3_mT4_P12ihipStream_tbEUlT_E_NS1_11comp_targetILNS1_3genE9ELNS1_11target_archE1100ELNS1_3gpuE3ELNS1_3repE0EEENS1_30default_config_static_selectorELNS0_4arch9wavefront6targetE1EEEvT1_,comdat
.Lfunc_end48:
	.size	_ZN7rocprim17ROCPRIM_400000_NS6detail17trampoline_kernelINS0_14default_configENS1_25transform_config_selectorIcLb1EEEZNS1_14transform_implILb1ES3_S5_PcS7_NS0_8identityIcEEEE10hipError_tT2_T3_mT4_P12ihipStream_tbEUlT_E_NS1_11comp_targetILNS1_3genE9ELNS1_11target_archE1100ELNS1_3gpuE3ELNS1_3repE0EEENS1_30default_config_static_selectorELNS0_4arch9wavefront6targetE1EEEvT1_, .Lfunc_end48-_ZN7rocprim17ROCPRIM_400000_NS6detail17trampoline_kernelINS0_14default_configENS1_25transform_config_selectorIcLb1EEEZNS1_14transform_implILb1ES3_S5_PcS7_NS0_8identityIcEEEE10hipError_tT2_T3_mT4_P12ihipStream_tbEUlT_E_NS1_11comp_targetILNS1_3genE9ELNS1_11target_archE1100ELNS1_3gpuE3ELNS1_3repE0EEENS1_30default_config_static_selectorELNS0_4arch9wavefront6targetE1EEEvT1_
                                        ; -- End function
	.section	.AMDGPU.csdata,"",@progbits
; Kernel info:
; codeLenInByte = 0
; NumSgprs: 4
; NumVgprs: 0
; NumAgprs: 0
; TotalNumVgprs: 0
; ScratchSize: 0
; MemoryBound: 0
; FloatMode: 240
; IeeeMode: 1
; LDSByteSize: 0 bytes/workgroup (compile time only)
; SGPRBlocks: 0
; VGPRBlocks: 0
; NumSGPRsForWavesPerEU: 4
; NumVGPRsForWavesPerEU: 1
; AccumOffset: 4
; Occupancy: 8
; WaveLimiterHint : 0
; COMPUTE_PGM_RSRC2:SCRATCH_EN: 0
; COMPUTE_PGM_RSRC2:USER_SGPR: 6
; COMPUTE_PGM_RSRC2:TRAP_HANDLER: 0
; COMPUTE_PGM_RSRC2:TGID_X_EN: 1
; COMPUTE_PGM_RSRC2:TGID_Y_EN: 0
; COMPUTE_PGM_RSRC2:TGID_Z_EN: 0
; COMPUTE_PGM_RSRC2:TIDIG_COMP_CNT: 0
; COMPUTE_PGM_RSRC3_GFX90A:ACCUM_OFFSET: 0
; COMPUTE_PGM_RSRC3_GFX90A:TG_SPLIT: 0
	.section	.text._ZN7rocprim17ROCPRIM_400000_NS6detail17trampoline_kernelINS0_14default_configENS1_25transform_config_selectorIcLb1EEEZNS1_14transform_implILb1ES3_S5_PcS7_NS0_8identityIcEEEE10hipError_tT2_T3_mT4_P12ihipStream_tbEUlT_E_NS1_11comp_targetILNS1_3genE8ELNS1_11target_archE1030ELNS1_3gpuE2ELNS1_3repE0EEENS1_30default_config_static_selectorELNS0_4arch9wavefront6targetE1EEEvT1_,"axG",@progbits,_ZN7rocprim17ROCPRIM_400000_NS6detail17trampoline_kernelINS0_14default_configENS1_25transform_config_selectorIcLb1EEEZNS1_14transform_implILb1ES3_S5_PcS7_NS0_8identityIcEEEE10hipError_tT2_T3_mT4_P12ihipStream_tbEUlT_E_NS1_11comp_targetILNS1_3genE8ELNS1_11target_archE1030ELNS1_3gpuE2ELNS1_3repE0EEENS1_30default_config_static_selectorELNS0_4arch9wavefront6targetE1EEEvT1_,comdat
	.protected	_ZN7rocprim17ROCPRIM_400000_NS6detail17trampoline_kernelINS0_14default_configENS1_25transform_config_selectorIcLb1EEEZNS1_14transform_implILb1ES3_S5_PcS7_NS0_8identityIcEEEE10hipError_tT2_T3_mT4_P12ihipStream_tbEUlT_E_NS1_11comp_targetILNS1_3genE8ELNS1_11target_archE1030ELNS1_3gpuE2ELNS1_3repE0EEENS1_30default_config_static_selectorELNS0_4arch9wavefront6targetE1EEEvT1_ ; -- Begin function _ZN7rocprim17ROCPRIM_400000_NS6detail17trampoline_kernelINS0_14default_configENS1_25transform_config_selectorIcLb1EEEZNS1_14transform_implILb1ES3_S5_PcS7_NS0_8identityIcEEEE10hipError_tT2_T3_mT4_P12ihipStream_tbEUlT_E_NS1_11comp_targetILNS1_3genE8ELNS1_11target_archE1030ELNS1_3gpuE2ELNS1_3repE0EEENS1_30default_config_static_selectorELNS0_4arch9wavefront6targetE1EEEvT1_
	.globl	_ZN7rocprim17ROCPRIM_400000_NS6detail17trampoline_kernelINS0_14default_configENS1_25transform_config_selectorIcLb1EEEZNS1_14transform_implILb1ES3_S5_PcS7_NS0_8identityIcEEEE10hipError_tT2_T3_mT4_P12ihipStream_tbEUlT_E_NS1_11comp_targetILNS1_3genE8ELNS1_11target_archE1030ELNS1_3gpuE2ELNS1_3repE0EEENS1_30default_config_static_selectorELNS0_4arch9wavefront6targetE1EEEvT1_
	.p2align	8
	.type	_ZN7rocprim17ROCPRIM_400000_NS6detail17trampoline_kernelINS0_14default_configENS1_25transform_config_selectorIcLb1EEEZNS1_14transform_implILb1ES3_S5_PcS7_NS0_8identityIcEEEE10hipError_tT2_T3_mT4_P12ihipStream_tbEUlT_E_NS1_11comp_targetILNS1_3genE8ELNS1_11target_archE1030ELNS1_3gpuE2ELNS1_3repE0EEENS1_30default_config_static_selectorELNS0_4arch9wavefront6targetE1EEEvT1_,@function
_ZN7rocprim17ROCPRIM_400000_NS6detail17trampoline_kernelINS0_14default_configENS1_25transform_config_selectorIcLb1EEEZNS1_14transform_implILb1ES3_S5_PcS7_NS0_8identityIcEEEE10hipError_tT2_T3_mT4_P12ihipStream_tbEUlT_E_NS1_11comp_targetILNS1_3genE8ELNS1_11target_archE1030ELNS1_3gpuE2ELNS1_3repE0EEENS1_30default_config_static_selectorELNS0_4arch9wavefront6targetE1EEEvT1_: ; @_ZN7rocprim17ROCPRIM_400000_NS6detail17trampoline_kernelINS0_14default_configENS1_25transform_config_selectorIcLb1EEEZNS1_14transform_implILb1ES3_S5_PcS7_NS0_8identityIcEEEE10hipError_tT2_T3_mT4_P12ihipStream_tbEUlT_E_NS1_11comp_targetILNS1_3genE8ELNS1_11target_archE1030ELNS1_3gpuE2ELNS1_3repE0EEENS1_30default_config_static_selectorELNS0_4arch9wavefront6targetE1EEEvT1_
; %bb.0:
	.section	.rodata,"a",@progbits
	.p2align	6, 0x0
	.amdhsa_kernel _ZN7rocprim17ROCPRIM_400000_NS6detail17trampoline_kernelINS0_14default_configENS1_25transform_config_selectorIcLb1EEEZNS1_14transform_implILb1ES3_S5_PcS7_NS0_8identityIcEEEE10hipError_tT2_T3_mT4_P12ihipStream_tbEUlT_E_NS1_11comp_targetILNS1_3genE8ELNS1_11target_archE1030ELNS1_3gpuE2ELNS1_3repE0EEENS1_30default_config_static_selectorELNS0_4arch9wavefront6targetE1EEEvT1_
		.amdhsa_group_segment_fixed_size 0
		.amdhsa_private_segment_fixed_size 0
		.amdhsa_kernarg_size 40
		.amdhsa_user_sgpr_count 6
		.amdhsa_user_sgpr_private_segment_buffer 1
		.amdhsa_user_sgpr_dispatch_ptr 0
		.amdhsa_user_sgpr_queue_ptr 0
		.amdhsa_user_sgpr_kernarg_segment_ptr 1
		.amdhsa_user_sgpr_dispatch_id 0
		.amdhsa_user_sgpr_flat_scratch_init 0
		.amdhsa_user_sgpr_kernarg_preload_length 0
		.amdhsa_user_sgpr_kernarg_preload_offset 0
		.amdhsa_user_sgpr_private_segment_size 0
		.amdhsa_uses_dynamic_stack 0
		.amdhsa_system_sgpr_private_segment_wavefront_offset 0
		.amdhsa_system_sgpr_workgroup_id_x 1
		.amdhsa_system_sgpr_workgroup_id_y 0
		.amdhsa_system_sgpr_workgroup_id_z 0
		.amdhsa_system_sgpr_workgroup_info 0
		.amdhsa_system_vgpr_workitem_id 0
		.amdhsa_next_free_vgpr 1
		.amdhsa_next_free_sgpr 0
		.amdhsa_accum_offset 4
		.amdhsa_reserve_vcc 0
		.amdhsa_reserve_flat_scratch 0
		.amdhsa_float_round_mode_32 0
		.amdhsa_float_round_mode_16_64 0
		.amdhsa_float_denorm_mode_32 3
		.amdhsa_float_denorm_mode_16_64 3
		.amdhsa_dx10_clamp 1
		.amdhsa_ieee_mode 1
		.amdhsa_fp16_overflow 0
		.amdhsa_tg_split 0
		.amdhsa_exception_fp_ieee_invalid_op 0
		.amdhsa_exception_fp_denorm_src 0
		.amdhsa_exception_fp_ieee_div_zero 0
		.amdhsa_exception_fp_ieee_overflow 0
		.amdhsa_exception_fp_ieee_underflow 0
		.amdhsa_exception_fp_ieee_inexact 0
		.amdhsa_exception_int_div_zero 0
	.end_amdhsa_kernel
	.section	.text._ZN7rocprim17ROCPRIM_400000_NS6detail17trampoline_kernelINS0_14default_configENS1_25transform_config_selectorIcLb1EEEZNS1_14transform_implILb1ES3_S5_PcS7_NS0_8identityIcEEEE10hipError_tT2_T3_mT4_P12ihipStream_tbEUlT_E_NS1_11comp_targetILNS1_3genE8ELNS1_11target_archE1030ELNS1_3gpuE2ELNS1_3repE0EEENS1_30default_config_static_selectorELNS0_4arch9wavefront6targetE1EEEvT1_,"axG",@progbits,_ZN7rocprim17ROCPRIM_400000_NS6detail17trampoline_kernelINS0_14default_configENS1_25transform_config_selectorIcLb1EEEZNS1_14transform_implILb1ES3_S5_PcS7_NS0_8identityIcEEEE10hipError_tT2_T3_mT4_P12ihipStream_tbEUlT_E_NS1_11comp_targetILNS1_3genE8ELNS1_11target_archE1030ELNS1_3gpuE2ELNS1_3repE0EEENS1_30default_config_static_selectorELNS0_4arch9wavefront6targetE1EEEvT1_,comdat
.Lfunc_end49:
	.size	_ZN7rocprim17ROCPRIM_400000_NS6detail17trampoline_kernelINS0_14default_configENS1_25transform_config_selectorIcLb1EEEZNS1_14transform_implILb1ES3_S5_PcS7_NS0_8identityIcEEEE10hipError_tT2_T3_mT4_P12ihipStream_tbEUlT_E_NS1_11comp_targetILNS1_3genE8ELNS1_11target_archE1030ELNS1_3gpuE2ELNS1_3repE0EEENS1_30default_config_static_selectorELNS0_4arch9wavefront6targetE1EEEvT1_, .Lfunc_end49-_ZN7rocprim17ROCPRIM_400000_NS6detail17trampoline_kernelINS0_14default_configENS1_25transform_config_selectorIcLb1EEEZNS1_14transform_implILb1ES3_S5_PcS7_NS0_8identityIcEEEE10hipError_tT2_T3_mT4_P12ihipStream_tbEUlT_E_NS1_11comp_targetILNS1_3genE8ELNS1_11target_archE1030ELNS1_3gpuE2ELNS1_3repE0EEENS1_30default_config_static_selectorELNS0_4arch9wavefront6targetE1EEEvT1_
                                        ; -- End function
	.section	.AMDGPU.csdata,"",@progbits
; Kernel info:
; codeLenInByte = 0
; NumSgprs: 4
; NumVgprs: 0
; NumAgprs: 0
; TotalNumVgprs: 0
; ScratchSize: 0
; MemoryBound: 0
; FloatMode: 240
; IeeeMode: 1
; LDSByteSize: 0 bytes/workgroup (compile time only)
; SGPRBlocks: 0
; VGPRBlocks: 0
; NumSGPRsForWavesPerEU: 4
; NumVGPRsForWavesPerEU: 1
; AccumOffset: 4
; Occupancy: 8
; WaveLimiterHint : 0
; COMPUTE_PGM_RSRC2:SCRATCH_EN: 0
; COMPUTE_PGM_RSRC2:USER_SGPR: 6
; COMPUTE_PGM_RSRC2:TRAP_HANDLER: 0
; COMPUTE_PGM_RSRC2:TGID_X_EN: 1
; COMPUTE_PGM_RSRC2:TGID_Y_EN: 0
; COMPUTE_PGM_RSRC2:TGID_Z_EN: 0
; COMPUTE_PGM_RSRC2:TIDIG_COMP_CNT: 0
; COMPUTE_PGM_RSRC3_GFX90A:ACCUM_OFFSET: 0
; COMPUTE_PGM_RSRC3_GFX90A:TG_SPLIT: 0
	.section	.text._ZN7rocprim17ROCPRIM_400000_NS6detail17trampoline_kernelINS0_14default_configENS1_25transform_config_selectorINS0_10empty_typeELb1EEEZNS1_14transform_implILb1ES3_S6_PS5_S8_NS0_8identityIS5_EEEE10hipError_tT2_T3_mT4_P12ihipStream_tbEUlT_E_NS1_11comp_targetILNS1_3genE0ELNS1_11target_archE4294967295ELNS1_3gpuE0ELNS1_3repE0EEENS1_30default_config_static_selectorELNS0_4arch9wavefront6targetE1EEEvT1_,"axG",@progbits,_ZN7rocprim17ROCPRIM_400000_NS6detail17trampoline_kernelINS0_14default_configENS1_25transform_config_selectorINS0_10empty_typeELb1EEEZNS1_14transform_implILb1ES3_S6_PS5_S8_NS0_8identityIS5_EEEE10hipError_tT2_T3_mT4_P12ihipStream_tbEUlT_E_NS1_11comp_targetILNS1_3genE0ELNS1_11target_archE4294967295ELNS1_3gpuE0ELNS1_3repE0EEENS1_30default_config_static_selectorELNS0_4arch9wavefront6targetE1EEEvT1_,comdat
	.protected	_ZN7rocprim17ROCPRIM_400000_NS6detail17trampoline_kernelINS0_14default_configENS1_25transform_config_selectorINS0_10empty_typeELb1EEEZNS1_14transform_implILb1ES3_S6_PS5_S8_NS0_8identityIS5_EEEE10hipError_tT2_T3_mT4_P12ihipStream_tbEUlT_E_NS1_11comp_targetILNS1_3genE0ELNS1_11target_archE4294967295ELNS1_3gpuE0ELNS1_3repE0EEENS1_30default_config_static_selectorELNS0_4arch9wavefront6targetE1EEEvT1_ ; -- Begin function _ZN7rocprim17ROCPRIM_400000_NS6detail17trampoline_kernelINS0_14default_configENS1_25transform_config_selectorINS0_10empty_typeELb1EEEZNS1_14transform_implILb1ES3_S6_PS5_S8_NS0_8identityIS5_EEEE10hipError_tT2_T3_mT4_P12ihipStream_tbEUlT_E_NS1_11comp_targetILNS1_3genE0ELNS1_11target_archE4294967295ELNS1_3gpuE0ELNS1_3repE0EEENS1_30default_config_static_selectorELNS0_4arch9wavefront6targetE1EEEvT1_
	.globl	_ZN7rocprim17ROCPRIM_400000_NS6detail17trampoline_kernelINS0_14default_configENS1_25transform_config_selectorINS0_10empty_typeELb1EEEZNS1_14transform_implILb1ES3_S6_PS5_S8_NS0_8identityIS5_EEEE10hipError_tT2_T3_mT4_P12ihipStream_tbEUlT_E_NS1_11comp_targetILNS1_3genE0ELNS1_11target_archE4294967295ELNS1_3gpuE0ELNS1_3repE0EEENS1_30default_config_static_selectorELNS0_4arch9wavefront6targetE1EEEvT1_
	.p2align	8
	.type	_ZN7rocprim17ROCPRIM_400000_NS6detail17trampoline_kernelINS0_14default_configENS1_25transform_config_selectorINS0_10empty_typeELb1EEEZNS1_14transform_implILb1ES3_S6_PS5_S8_NS0_8identityIS5_EEEE10hipError_tT2_T3_mT4_P12ihipStream_tbEUlT_E_NS1_11comp_targetILNS1_3genE0ELNS1_11target_archE4294967295ELNS1_3gpuE0ELNS1_3repE0EEENS1_30default_config_static_selectorELNS0_4arch9wavefront6targetE1EEEvT1_,@function
_ZN7rocprim17ROCPRIM_400000_NS6detail17trampoline_kernelINS0_14default_configENS1_25transform_config_selectorINS0_10empty_typeELb1EEEZNS1_14transform_implILb1ES3_S6_PS5_S8_NS0_8identityIS5_EEEE10hipError_tT2_T3_mT4_P12ihipStream_tbEUlT_E_NS1_11comp_targetILNS1_3genE0ELNS1_11target_archE4294967295ELNS1_3gpuE0ELNS1_3repE0EEENS1_30default_config_static_selectorELNS0_4arch9wavefront6targetE1EEEvT1_: ; @_ZN7rocprim17ROCPRIM_400000_NS6detail17trampoline_kernelINS0_14default_configENS1_25transform_config_selectorINS0_10empty_typeELb1EEEZNS1_14transform_implILb1ES3_S6_PS5_S8_NS0_8identityIS5_EEEE10hipError_tT2_T3_mT4_P12ihipStream_tbEUlT_E_NS1_11comp_targetILNS1_3genE0ELNS1_11target_archE4294967295ELNS1_3gpuE0ELNS1_3repE0EEENS1_30default_config_static_selectorELNS0_4arch9wavefront6targetE1EEEvT1_
; %bb.0:
	.section	.rodata,"a",@progbits
	.p2align	6, 0x0
	.amdhsa_kernel _ZN7rocprim17ROCPRIM_400000_NS6detail17trampoline_kernelINS0_14default_configENS1_25transform_config_selectorINS0_10empty_typeELb1EEEZNS1_14transform_implILb1ES3_S6_PS5_S8_NS0_8identityIS5_EEEE10hipError_tT2_T3_mT4_P12ihipStream_tbEUlT_E_NS1_11comp_targetILNS1_3genE0ELNS1_11target_archE4294967295ELNS1_3gpuE0ELNS1_3repE0EEENS1_30default_config_static_selectorELNS0_4arch9wavefront6targetE1EEEvT1_
		.amdhsa_group_segment_fixed_size 0
		.amdhsa_private_segment_fixed_size 0
		.amdhsa_kernarg_size 40
		.amdhsa_user_sgpr_count 6
		.amdhsa_user_sgpr_private_segment_buffer 1
		.amdhsa_user_sgpr_dispatch_ptr 0
		.amdhsa_user_sgpr_queue_ptr 0
		.amdhsa_user_sgpr_kernarg_segment_ptr 1
		.amdhsa_user_sgpr_dispatch_id 0
		.amdhsa_user_sgpr_flat_scratch_init 0
		.amdhsa_user_sgpr_kernarg_preload_length 0
		.amdhsa_user_sgpr_kernarg_preload_offset 0
		.amdhsa_user_sgpr_private_segment_size 0
		.amdhsa_uses_dynamic_stack 0
		.amdhsa_system_sgpr_private_segment_wavefront_offset 0
		.amdhsa_system_sgpr_workgroup_id_x 1
		.amdhsa_system_sgpr_workgroup_id_y 0
		.amdhsa_system_sgpr_workgroup_id_z 0
		.amdhsa_system_sgpr_workgroup_info 0
		.amdhsa_system_vgpr_workitem_id 0
		.amdhsa_next_free_vgpr 1
		.amdhsa_next_free_sgpr 0
		.amdhsa_accum_offset 4
		.amdhsa_reserve_vcc 0
		.amdhsa_reserve_flat_scratch 0
		.amdhsa_float_round_mode_32 0
		.amdhsa_float_round_mode_16_64 0
		.amdhsa_float_denorm_mode_32 3
		.amdhsa_float_denorm_mode_16_64 3
		.amdhsa_dx10_clamp 1
		.amdhsa_ieee_mode 1
		.amdhsa_fp16_overflow 0
		.amdhsa_tg_split 0
		.amdhsa_exception_fp_ieee_invalid_op 0
		.amdhsa_exception_fp_denorm_src 0
		.amdhsa_exception_fp_ieee_div_zero 0
		.amdhsa_exception_fp_ieee_overflow 0
		.amdhsa_exception_fp_ieee_underflow 0
		.amdhsa_exception_fp_ieee_inexact 0
		.amdhsa_exception_int_div_zero 0
	.end_amdhsa_kernel
	.section	.text._ZN7rocprim17ROCPRIM_400000_NS6detail17trampoline_kernelINS0_14default_configENS1_25transform_config_selectorINS0_10empty_typeELb1EEEZNS1_14transform_implILb1ES3_S6_PS5_S8_NS0_8identityIS5_EEEE10hipError_tT2_T3_mT4_P12ihipStream_tbEUlT_E_NS1_11comp_targetILNS1_3genE0ELNS1_11target_archE4294967295ELNS1_3gpuE0ELNS1_3repE0EEENS1_30default_config_static_selectorELNS0_4arch9wavefront6targetE1EEEvT1_,"axG",@progbits,_ZN7rocprim17ROCPRIM_400000_NS6detail17trampoline_kernelINS0_14default_configENS1_25transform_config_selectorINS0_10empty_typeELb1EEEZNS1_14transform_implILb1ES3_S6_PS5_S8_NS0_8identityIS5_EEEE10hipError_tT2_T3_mT4_P12ihipStream_tbEUlT_E_NS1_11comp_targetILNS1_3genE0ELNS1_11target_archE4294967295ELNS1_3gpuE0ELNS1_3repE0EEENS1_30default_config_static_selectorELNS0_4arch9wavefront6targetE1EEEvT1_,comdat
.Lfunc_end50:
	.size	_ZN7rocprim17ROCPRIM_400000_NS6detail17trampoline_kernelINS0_14default_configENS1_25transform_config_selectorINS0_10empty_typeELb1EEEZNS1_14transform_implILb1ES3_S6_PS5_S8_NS0_8identityIS5_EEEE10hipError_tT2_T3_mT4_P12ihipStream_tbEUlT_E_NS1_11comp_targetILNS1_3genE0ELNS1_11target_archE4294967295ELNS1_3gpuE0ELNS1_3repE0EEENS1_30default_config_static_selectorELNS0_4arch9wavefront6targetE1EEEvT1_, .Lfunc_end50-_ZN7rocprim17ROCPRIM_400000_NS6detail17trampoline_kernelINS0_14default_configENS1_25transform_config_selectorINS0_10empty_typeELb1EEEZNS1_14transform_implILb1ES3_S6_PS5_S8_NS0_8identityIS5_EEEE10hipError_tT2_T3_mT4_P12ihipStream_tbEUlT_E_NS1_11comp_targetILNS1_3genE0ELNS1_11target_archE4294967295ELNS1_3gpuE0ELNS1_3repE0EEENS1_30default_config_static_selectorELNS0_4arch9wavefront6targetE1EEEvT1_
                                        ; -- End function
	.section	.AMDGPU.csdata,"",@progbits
; Kernel info:
; codeLenInByte = 0
; NumSgprs: 4
; NumVgprs: 0
; NumAgprs: 0
; TotalNumVgprs: 0
; ScratchSize: 0
; MemoryBound: 0
; FloatMode: 240
; IeeeMode: 1
; LDSByteSize: 0 bytes/workgroup (compile time only)
; SGPRBlocks: 0
; VGPRBlocks: 0
; NumSGPRsForWavesPerEU: 4
; NumVGPRsForWavesPerEU: 1
; AccumOffset: 4
; Occupancy: 8
; WaveLimiterHint : 0
; COMPUTE_PGM_RSRC2:SCRATCH_EN: 0
; COMPUTE_PGM_RSRC2:USER_SGPR: 6
; COMPUTE_PGM_RSRC2:TRAP_HANDLER: 0
; COMPUTE_PGM_RSRC2:TGID_X_EN: 1
; COMPUTE_PGM_RSRC2:TGID_Y_EN: 0
; COMPUTE_PGM_RSRC2:TGID_Z_EN: 0
; COMPUTE_PGM_RSRC2:TIDIG_COMP_CNT: 0
; COMPUTE_PGM_RSRC3_GFX90A:ACCUM_OFFSET: 0
; COMPUTE_PGM_RSRC3_GFX90A:TG_SPLIT: 0
	.section	.text._ZN7rocprim17ROCPRIM_400000_NS6detail17trampoline_kernelINS0_14default_configENS1_25transform_config_selectorINS0_10empty_typeELb1EEEZNS1_14transform_implILb1ES3_S6_PS5_S8_NS0_8identityIS5_EEEE10hipError_tT2_T3_mT4_P12ihipStream_tbEUlT_E_NS1_11comp_targetILNS1_3genE10ELNS1_11target_archE1201ELNS1_3gpuE5ELNS1_3repE0EEENS1_30default_config_static_selectorELNS0_4arch9wavefront6targetE1EEEvT1_,"axG",@progbits,_ZN7rocprim17ROCPRIM_400000_NS6detail17trampoline_kernelINS0_14default_configENS1_25transform_config_selectorINS0_10empty_typeELb1EEEZNS1_14transform_implILb1ES3_S6_PS5_S8_NS0_8identityIS5_EEEE10hipError_tT2_T3_mT4_P12ihipStream_tbEUlT_E_NS1_11comp_targetILNS1_3genE10ELNS1_11target_archE1201ELNS1_3gpuE5ELNS1_3repE0EEENS1_30default_config_static_selectorELNS0_4arch9wavefront6targetE1EEEvT1_,comdat
	.protected	_ZN7rocprim17ROCPRIM_400000_NS6detail17trampoline_kernelINS0_14default_configENS1_25transform_config_selectorINS0_10empty_typeELb1EEEZNS1_14transform_implILb1ES3_S6_PS5_S8_NS0_8identityIS5_EEEE10hipError_tT2_T3_mT4_P12ihipStream_tbEUlT_E_NS1_11comp_targetILNS1_3genE10ELNS1_11target_archE1201ELNS1_3gpuE5ELNS1_3repE0EEENS1_30default_config_static_selectorELNS0_4arch9wavefront6targetE1EEEvT1_ ; -- Begin function _ZN7rocprim17ROCPRIM_400000_NS6detail17trampoline_kernelINS0_14default_configENS1_25transform_config_selectorINS0_10empty_typeELb1EEEZNS1_14transform_implILb1ES3_S6_PS5_S8_NS0_8identityIS5_EEEE10hipError_tT2_T3_mT4_P12ihipStream_tbEUlT_E_NS1_11comp_targetILNS1_3genE10ELNS1_11target_archE1201ELNS1_3gpuE5ELNS1_3repE0EEENS1_30default_config_static_selectorELNS0_4arch9wavefront6targetE1EEEvT1_
	.globl	_ZN7rocprim17ROCPRIM_400000_NS6detail17trampoline_kernelINS0_14default_configENS1_25transform_config_selectorINS0_10empty_typeELb1EEEZNS1_14transform_implILb1ES3_S6_PS5_S8_NS0_8identityIS5_EEEE10hipError_tT2_T3_mT4_P12ihipStream_tbEUlT_E_NS1_11comp_targetILNS1_3genE10ELNS1_11target_archE1201ELNS1_3gpuE5ELNS1_3repE0EEENS1_30default_config_static_selectorELNS0_4arch9wavefront6targetE1EEEvT1_
	.p2align	8
	.type	_ZN7rocprim17ROCPRIM_400000_NS6detail17trampoline_kernelINS0_14default_configENS1_25transform_config_selectorINS0_10empty_typeELb1EEEZNS1_14transform_implILb1ES3_S6_PS5_S8_NS0_8identityIS5_EEEE10hipError_tT2_T3_mT4_P12ihipStream_tbEUlT_E_NS1_11comp_targetILNS1_3genE10ELNS1_11target_archE1201ELNS1_3gpuE5ELNS1_3repE0EEENS1_30default_config_static_selectorELNS0_4arch9wavefront6targetE1EEEvT1_,@function
_ZN7rocprim17ROCPRIM_400000_NS6detail17trampoline_kernelINS0_14default_configENS1_25transform_config_selectorINS0_10empty_typeELb1EEEZNS1_14transform_implILb1ES3_S6_PS5_S8_NS0_8identityIS5_EEEE10hipError_tT2_T3_mT4_P12ihipStream_tbEUlT_E_NS1_11comp_targetILNS1_3genE10ELNS1_11target_archE1201ELNS1_3gpuE5ELNS1_3repE0EEENS1_30default_config_static_selectorELNS0_4arch9wavefront6targetE1EEEvT1_: ; @_ZN7rocprim17ROCPRIM_400000_NS6detail17trampoline_kernelINS0_14default_configENS1_25transform_config_selectorINS0_10empty_typeELb1EEEZNS1_14transform_implILb1ES3_S6_PS5_S8_NS0_8identityIS5_EEEE10hipError_tT2_T3_mT4_P12ihipStream_tbEUlT_E_NS1_11comp_targetILNS1_3genE10ELNS1_11target_archE1201ELNS1_3gpuE5ELNS1_3repE0EEENS1_30default_config_static_selectorELNS0_4arch9wavefront6targetE1EEEvT1_
; %bb.0:
	.section	.rodata,"a",@progbits
	.p2align	6, 0x0
	.amdhsa_kernel _ZN7rocprim17ROCPRIM_400000_NS6detail17trampoline_kernelINS0_14default_configENS1_25transform_config_selectorINS0_10empty_typeELb1EEEZNS1_14transform_implILb1ES3_S6_PS5_S8_NS0_8identityIS5_EEEE10hipError_tT2_T3_mT4_P12ihipStream_tbEUlT_E_NS1_11comp_targetILNS1_3genE10ELNS1_11target_archE1201ELNS1_3gpuE5ELNS1_3repE0EEENS1_30default_config_static_selectorELNS0_4arch9wavefront6targetE1EEEvT1_
		.amdhsa_group_segment_fixed_size 0
		.amdhsa_private_segment_fixed_size 0
		.amdhsa_kernarg_size 40
		.amdhsa_user_sgpr_count 6
		.amdhsa_user_sgpr_private_segment_buffer 1
		.amdhsa_user_sgpr_dispatch_ptr 0
		.amdhsa_user_sgpr_queue_ptr 0
		.amdhsa_user_sgpr_kernarg_segment_ptr 1
		.amdhsa_user_sgpr_dispatch_id 0
		.amdhsa_user_sgpr_flat_scratch_init 0
		.amdhsa_user_sgpr_kernarg_preload_length 0
		.amdhsa_user_sgpr_kernarg_preload_offset 0
		.amdhsa_user_sgpr_private_segment_size 0
		.amdhsa_uses_dynamic_stack 0
		.amdhsa_system_sgpr_private_segment_wavefront_offset 0
		.amdhsa_system_sgpr_workgroup_id_x 1
		.amdhsa_system_sgpr_workgroup_id_y 0
		.amdhsa_system_sgpr_workgroup_id_z 0
		.amdhsa_system_sgpr_workgroup_info 0
		.amdhsa_system_vgpr_workitem_id 0
		.amdhsa_next_free_vgpr 1
		.amdhsa_next_free_sgpr 0
		.amdhsa_accum_offset 4
		.amdhsa_reserve_vcc 0
		.amdhsa_reserve_flat_scratch 0
		.amdhsa_float_round_mode_32 0
		.amdhsa_float_round_mode_16_64 0
		.amdhsa_float_denorm_mode_32 3
		.amdhsa_float_denorm_mode_16_64 3
		.amdhsa_dx10_clamp 1
		.amdhsa_ieee_mode 1
		.amdhsa_fp16_overflow 0
		.amdhsa_tg_split 0
		.amdhsa_exception_fp_ieee_invalid_op 0
		.amdhsa_exception_fp_denorm_src 0
		.amdhsa_exception_fp_ieee_div_zero 0
		.amdhsa_exception_fp_ieee_overflow 0
		.amdhsa_exception_fp_ieee_underflow 0
		.amdhsa_exception_fp_ieee_inexact 0
		.amdhsa_exception_int_div_zero 0
	.end_amdhsa_kernel
	.section	.text._ZN7rocprim17ROCPRIM_400000_NS6detail17trampoline_kernelINS0_14default_configENS1_25transform_config_selectorINS0_10empty_typeELb1EEEZNS1_14transform_implILb1ES3_S6_PS5_S8_NS0_8identityIS5_EEEE10hipError_tT2_T3_mT4_P12ihipStream_tbEUlT_E_NS1_11comp_targetILNS1_3genE10ELNS1_11target_archE1201ELNS1_3gpuE5ELNS1_3repE0EEENS1_30default_config_static_selectorELNS0_4arch9wavefront6targetE1EEEvT1_,"axG",@progbits,_ZN7rocprim17ROCPRIM_400000_NS6detail17trampoline_kernelINS0_14default_configENS1_25transform_config_selectorINS0_10empty_typeELb1EEEZNS1_14transform_implILb1ES3_S6_PS5_S8_NS0_8identityIS5_EEEE10hipError_tT2_T3_mT4_P12ihipStream_tbEUlT_E_NS1_11comp_targetILNS1_3genE10ELNS1_11target_archE1201ELNS1_3gpuE5ELNS1_3repE0EEENS1_30default_config_static_selectorELNS0_4arch9wavefront6targetE1EEEvT1_,comdat
.Lfunc_end51:
	.size	_ZN7rocprim17ROCPRIM_400000_NS6detail17trampoline_kernelINS0_14default_configENS1_25transform_config_selectorINS0_10empty_typeELb1EEEZNS1_14transform_implILb1ES3_S6_PS5_S8_NS0_8identityIS5_EEEE10hipError_tT2_T3_mT4_P12ihipStream_tbEUlT_E_NS1_11comp_targetILNS1_3genE10ELNS1_11target_archE1201ELNS1_3gpuE5ELNS1_3repE0EEENS1_30default_config_static_selectorELNS0_4arch9wavefront6targetE1EEEvT1_, .Lfunc_end51-_ZN7rocprim17ROCPRIM_400000_NS6detail17trampoline_kernelINS0_14default_configENS1_25transform_config_selectorINS0_10empty_typeELb1EEEZNS1_14transform_implILb1ES3_S6_PS5_S8_NS0_8identityIS5_EEEE10hipError_tT2_T3_mT4_P12ihipStream_tbEUlT_E_NS1_11comp_targetILNS1_3genE10ELNS1_11target_archE1201ELNS1_3gpuE5ELNS1_3repE0EEENS1_30default_config_static_selectorELNS0_4arch9wavefront6targetE1EEEvT1_
                                        ; -- End function
	.section	.AMDGPU.csdata,"",@progbits
; Kernel info:
; codeLenInByte = 0
; NumSgprs: 4
; NumVgprs: 0
; NumAgprs: 0
; TotalNumVgprs: 0
; ScratchSize: 0
; MemoryBound: 0
; FloatMode: 240
; IeeeMode: 1
; LDSByteSize: 0 bytes/workgroup (compile time only)
; SGPRBlocks: 0
; VGPRBlocks: 0
; NumSGPRsForWavesPerEU: 4
; NumVGPRsForWavesPerEU: 1
; AccumOffset: 4
; Occupancy: 8
; WaveLimiterHint : 0
; COMPUTE_PGM_RSRC2:SCRATCH_EN: 0
; COMPUTE_PGM_RSRC2:USER_SGPR: 6
; COMPUTE_PGM_RSRC2:TRAP_HANDLER: 0
; COMPUTE_PGM_RSRC2:TGID_X_EN: 1
; COMPUTE_PGM_RSRC2:TGID_Y_EN: 0
; COMPUTE_PGM_RSRC2:TGID_Z_EN: 0
; COMPUTE_PGM_RSRC2:TIDIG_COMP_CNT: 0
; COMPUTE_PGM_RSRC3_GFX90A:ACCUM_OFFSET: 0
; COMPUTE_PGM_RSRC3_GFX90A:TG_SPLIT: 0
	.section	.text._ZN7rocprim17ROCPRIM_400000_NS6detail17trampoline_kernelINS0_14default_configENS1_25transform_config_selectorINS0_10empty_typeELb1EEEZNS1_14transform_implILb1ES3_S6_PS5_S8_NS0_8identityIS5_EEEE10hipError_tT2_T3_mT4_P12ihipStream_tbEUlT_E_NS1_11comp_targetILNS1_3genE5ELNS1_11target_archE942ELNS1_3gpuE9ELNS1_3repE0EEENS1_30default_config_static_selectorELNS0_4arch9wavefront6targetE1EEEvT1_,"axG",@progbits,_ZN7rocprim17ROCPRIM_400000_NS6detail17trampoline_kernelINS0_14default_configENS1_25transform_config_selectorINS0_10empty_typeELb1EEEZNS1_14transform_implILb1ES3_S6_PS5_S8_NS0_8identityIS5_EEEE10hipError_tT2_T3_mT4_P12ihipStream_tbEUlT_E_NS1_11comp_targetILNS1_3genE5ELNS1_11target_archE942ELNS1_3gpuE9ELNS1_3repE0EEENS1_30default_config_static_selectorELNS0_4arch9wavefront6targetE1EEEvT1_,comdat
	.protected	_ZN7rocprim17ROCPRIM_400000_NS6detail17trampoline_kernelINS0_14default_configENS1_25transform_config_selectorINS0_10empty_typeELb1EEEZNS1_14transform_implILb1ES3_S6_PS5_S8_NS0_8identityIS5_EEEE10hipError_tT2_T3_mT4_P12ihipStream_tbEUlT_E_NS1_11comp_targetILNS1_3genE5ELNS1_11target_archE942ELNS1_3gpuE9ELNS1_3repE0EEENS1_30default_config_static_selectorELNS0_4arch9wavefront6targetE1EEEvT1_ ; -- Begin function _ZN7rocprim17ROCPRIM_400000_NS6detail17trampoline_kernelINS0_14default_configENS1_25transform_config_selectorINS0_10empty_typeELb1EEEZNS1_14transform_implILb1ES3_S6_PS5_S8_NS0_8identityIS5_EEEE10hipError_tT2_T3_mT4_P12ihipStream_tbEUlT_E_NS1_11comp_targetILNS1_3genE5ELNS1_11target_archE942ELNS1_3gpuE9ELNS1_3repE0EEENS1_30default_config_static_selectorELNS0_4arch9wavefront6targetE1EEEvT1_
	.globl	_ZN7rocprim17ROCPRIM_400000_NS6detail17trampoline_kernelINS0_14default_configENS1_25transform_config_selectorINS0_10empty_typeELb1EEEZNS1_14transform_implILb1ES3_S6_PS5_S8_NS0_8identityIS5_EEEE10hipError_tT2_T3_mT4_P12ihipStream_tbEUlT_E_NS1_11comp_targetILNS1_3genE5ELNS1_11target_archE942ELNS1_3gpuE9ELNS1_3repE0EEENS1_30default_config_static_selectorELNS0_4arch9wavefront6targetE1EEEvT1_
	.p2align	8
	.type	_ZN7rocprim17ROCPRIM_400000_NS6detail17trampoline_kernelINS0_14default_configENS1_25transform_config_selectorINS0_10empty_typeELb1EEEZNS1_14transform_implILb1ES3_S6_PS5_S8_NS0_8identityIS5_EEEE10hipError_tT2_T3_mT4_P12ihipStream_tbEUlT_E_NS1_11comp_targetILNS1_3genE5ELNS1_11target_archE942ELNS1_3gpuE9ELNS1_3repE0EEENS1_30default_config_static_selectorELNS0_4arch9wavefront6targetE1EEEvT1_,@function
_ZN7rocprim17ROCPRIM_400000_NS6detail17trampoline_kernelINS0_14default_configENS1_25transform_config_selectorINS0_10empty_typeELb1EEEZNS1_14transform_implILb1ES3_S6_PS5_S8_NS0_8identityIS5_EEEE10hipError_tT2_T3_mT4_P12ihipStream_tbEUlT_E_NS1_11comp_targetILNS1_3genE5ELNS1_11target_archE942ELNS1_3gpuE9ELNS1_3repE0EEENS1_30default_config_static_selectorELNS0_4arch9wavefront6targetE1EEEvT1_: ; @_ZN7rocprim17ROCPRIM_400000_NS6detail17trampoline_kernelINS0_14default_configENS1_25transform_config_selectorINS0_10empty_typeELb1EEEZNS1_14transform_implILb1ES3_S6_PS5_S8_NS0_8identityIS5_EEEE10hipError_tT2_T3_mT4_P12ihipStream_tbEUlT_E_NS1_11comp_targetILNS1_3genE5ELNS1_11target_archE942ELNS1_3gpuE9ELNS1_3repE0EEENS1_30default_config_static_selectorELNS0_4arch9wavefront6targetE1EEEvT1_
; %bb.0:
	.section	.rodata,"a",@progbits
	.p2align	6, 0x0
	.amdhsa_kernel _ZN7rocprim17ROCPRIM_400000_NS6detail17trampoline_kernelINS0_14default_configENS1_25transform_config_selectorINS0_10empty_typeELb1EEEZNS1_14transform_implILb1ES3_S6_PS5_S8_NS0_8identityIS5_EEEE10hipError_tT2_T3_mT4_P12ihipStream_tbEUlT_E_NS1_11comp_targetILNS1_3genE5ELNS1_11target_archE942ELNS1_3gpuE9ELNS1_3repE0EEENS1_30default_config_static_selectorELNS0_4arch9wavefront6targetE1EEEvT1_
		.amdhsa_group_segment_fixed_size 0
		.amdhsa_private_segment_fixed_size 0
		.amdhsa_kernarg_size 40
		.amdhsa_user_sgpr_count 6
		.amdhsa_user_sgpr_private_segment_buffer 1
		.amdhsa_user_sgpr_dispatch_ptr 0
		.amdhsa_user_sgpr_queue_ptr 0
		.amdhsa_user_sgpr_kernarg_segment_ptr 1
		.amdhsa_user_sgpr_dispatch_id 0
		.amdhsa_user_sgpr_flat_scratch_init 0
		.amdhsa_user_sgpr_kernarg_preload_length 0
		.amdhsa_user_sgpr_kernarg_preload_offset 0
		.amdhsa_user_sgpr_private_segment_size 0
		.amdhsa_uses_dynamic_stack 0
		.amdhsa_system_sgpr_private_segment_wavefront_offset 0
		.amdhsa_system_sgpr_workgroup_id_x 1
		.amdhsa_system_sgpr_workgroup_id_y 0
		.amdhsa_system_sgpr_workgroup_id_z 0
		.amdhsa_system_sgpr_workgroup_info 0
		.amdhsa_system_vgpr_workitem_id 0
		.amdhsa_next_free_vgpr 1
		.amdhsa_next_free_sgpr 0
		.amdhsa_accum_offset 4
		.amdhsa_reserve_vcc 0
		.amdhsa_reserve_flat_scratch 0
		.amdhsa_float_round_mode_32 0
		.amdhsa_float_round_mode_16_64 0
		.amdhsa_float_denorm_mode_32 3
		.amdhsa_float_denorm_mode_16_64 3
		.amdhsa_dx10_clamp 1
		.amdhsa_ieee_mode 1
		.amdhsa_fp16_overflow 0
		.amdhsa_tg_split 0
		.amdhsa_exception_fp_ieee_invalid_op 0
		.amdhsa_exception_fp_denorm_src 0
		.amdhsa_exception_fp_ieee_div_zero 0
		.amdhsa_exception_fp_ieee_overflow 0
		.amdhsa_exception_fp_ieee_underflow 0
		.amdhsa_exception_fp_ieee_inexact 0
		.amdhsa_exception_int_div_zero 0
	.end_amdhsa_kernel
	.section	.text._ZN7rocprim17ROCPRIM_400000_NS6detail17trampoline_kernelINS0_14default_configENS1_25transform_config_selectorINS0_10empty_typeELb1EEEZNS1_14transform_implILb1ES3_S6_PS5_S8_NS0_8identityIS5_EEEE10hipError_tT2_T3_mT4_P12ihipStream_tbEUlT_E_NS1_11comp_targetILNS1_3genE5ELNS1_11target_archE942ELNS1_3gpuE9ELNS1_3repE0EEENS1_30default_config_static_selectorELNS0_4arch9wavefront6targetE1EEEvT1_,"axG",@progbits,_ZN7rocprim17ROCPRIM_400000_NS6detail17trampoline_kernelINS0_14default_configENS1_25transform_config_selectorINS0_10empty_typeELb1EEEZNS1_14transform_implILb1ES3_S6_PS5_S8_NS0_8identityIS5_EEEE10hipError_tT2_T3_mT4_P12ihipStream_tbEUlT_E_NS1_11comp_targetILNS1_3genE5ELNS1_11target_archE942ELNS1_3gpuE9ELNS1_3repE0EEENS1_30default_config_static_selectorELNS0_4arch9wavefront6targetE1EEEvT1_,comdat
.Lfunc_end52:
	.size	_ZN7rocprim17ROCPRIM_400000_NS6detail17trampoline_kernelINS0_14default_configENS1_25transform_config_selectorINS0_10empty_typeELb1EEEZNS1_14transform_implILb1ES3_S6_PS5_S8_NS0_8identityIS5_EEEE10hipError_tT2_T3_mT4_P12ihipStream_tbEUlT_E_NS1_11comp_targetILNS1_3genE5ELNS1_11target_archE942ELNS1_3gpuE9ELNS1_3repE0EEENS1_30default_config_static_selectorELNS0_4arch9wavefront6targetE1EEEvT1_, .Lfunc_end52-_ZN7rocprim17ROCPRIM_400000_NS6detail17trampoline_kernelINS0_14default_configENS1_25transform_config_selectorINS0_10empty_typeELb1EEEZNS1_14transform_implILb1ES3_S6_PS5_S8_NS0_8identityIS5_EEEE10hipError_tT2_T3_mT4_P12ihipStream_tbEUlT_E_NS1_11comp_targetILNS1_3genE5ELNS1_11target_archE942ELNS1_3gpuE9ELNS1_3repE0EEENS1_30default_config_static_selectorELNS0_4arch9wavefront6targetE1EEEvT1_
                                        ; -- End function
	.section	.AMDGPU.csdata,"",@progbits
; Kernel info:
; codeLenInByte = 0
; NumSgprs: 4
; NumVgprs: 0
; NumAgprs: 0
; TotalNumVgprs: 0
; ScratchSize: 0
; MemoryBound: 0
; FloatMode: 240
; IeeeMode: 1
; LDSByteSize: 0 bytes/workgroup (compile time only)
; SGPRBlocks: 0
; VGPRBlocks: 0
; NumSGPRsForWavesPerEU: 4
; NumVGPRsForWavesPerEU: 1
; AccumOffset: 4
; Occupancy: 8
; WaveLimiterHint : 0
; COMPUTE_PGM_RSRC2:SCRATCH_EN: 0
; COMPUTE_PGM_RSRC2:USER_SGPR: 6
; COMPUTE_PGM_RSRC2:TRAP_HANDLER: 0
; COMPUTE_PGM_RSRC2:TGID_X_EN: 1
; COMPUTE_PGM_RSRC2:TGID_Y_EN: 0
; COMPUTE_PGM_RSRC2:TGID_Z_EN: 0
; COMPUTE_PGM_RSRC2:TIDIG_COMP_CNT: 0
; COMPUTE_PGM_RSRC3_GFX90A:ACCUM_OFFSET: 0
; COMPUTE_PGM_RSRC3_GFX90A:TG_SPLIT: 0
	.section	.text._ZN7rocprim17ROCPRIM_400000_NS6detail17trampoline_kernelINS0_14default_configENS1_25transform_config_selectorINS0_10empty_typeELb1EEEZNS1_14transform_implILb1ES3_S6_PS5_S8_NS0_8identityIS5_EEEE10hipError_tT2_T3_mT4_P12ihipStream_tbEUlT_E_NS1_11comp_targetILNS1_3genE4ELNS1_11target_archE910ELNS1_3gpuE8ELNS1_3repE0EEENS1_30default_config_static_selectorELNS0_4arch9wavefront6targetE1EEEvT1_,"axG",@progbits,_ZN7rocprim17ROCPRIM_400000_NS6detail17trampoline_kernelINS0_14default_configENS1_25transform_config_selectorINS0_10empty_typeELb1EEEZNS1_14transform_implILb1ES3_S6_PS5_S8_NS0_8identityIS5_EEEE10hipError_tT2_T3_mT4_P12ihipStream_tbEUlT_E_NS1_11comp_targetILNS1_3genE4ELNS1_11target_archE910ELNS1_3gpuE8ELNS1_3repE0EEENS1_30default_config_static_selectorELNS0_4arch9wavefront6targetE1EEEvT1_,comdat
	.protected	_ZN7rocprim17ROCPRIM_400000_NS6detail17trampoline_kernelINS0_14default_configENS1_25transform_config_selectorINS0_10empty_typeELb1EEEZNS1_14transform_implILb1ES3_S6_PS5_S8_NS0_8identityIS5_EEEE10hipError_tT2_T3_mT4_P12ihipStream_tbEUlT_E_NS1_11comp_targetILNS1_3genE4ELNS1_11target_archE910ELNS1_3gpuE8ELNS1_3repE0EEENS1_30default_config_static_selectorELNS0_4arch9wavefront6targetE1EEEvT1_ ; -- Begin function _ZN7rocprim17ROCPRIM_400000_NS6detail17trampoline_kernelINS0_14default_configENS1_25transform_config_selectorINS0_10empty_typeELb1EEEZNS1_14transform_implILb1ES3_S6_PS5_S8_NS0_8identityIS5_EEEE10hipError_tT2_T3_mT4_P12ihipStream_tbEUlT_E_NS1_11comp_targetILNS1_3genE4ELNS1_11target_archE910ELNS1_3gpuE8ELNS1_3repE0EEENS1_30default_config_static_selectorELNS0_4arch9wavefront6targetE1EEEvT1_
	.globl	_ZN7rocprim17ROCPRIM_400000_NS6detail17trampoline_kernelINS0_14default_configENS1_25transform_config_selectorINS0_10empty_typeELb1EEEZNS1_14transform_implILb1ES3_S6_PS5_S8_NS0_8identityIS5_EEEE10hipError_tT2_T3_mT4_P12ihipStream_tbEUlT_E_NS1_11comp_targetILNS1_3genE4ELNS1_11target_archE910ELNS1_3gpuE8ELNS1_3repE0EEENS1_30default_config_static_selectorELNS0_4arch9wavefront6targetE1EEEvT1_
	.p2align	8
	.type	_ZN7rocprim17ROCPRIM_400000_NS6detail17trampoline_kernelINS0_14default_configENS1_25transform_config_selectorINS0_10empty_typeELb1EEEZNS1_14transform_implILb1ES3_S6_PS5_S8_NS0_8identityIS5_EEEE10hipError_tT2_T3_mT4_P12ihipStream_tbEUlT_E_NS1_11comp_targetILNS1_3genE4ELNS1_11target_archE910ELNS1_3gpuE8ELNS1_3repE0EEENS1_30default_config_static_selectorELNS0_4arch9wavefront6targetE1EEEvT1_,@function
_ZN7rocprim17ROCPRIM_400000_NS6detail17trampoline_kernelINS0_14default_configENS1_25transform_config_selectorINS0_10empty_typeELb1EEEZNS1_14transform_implILb1ES3_S6_PS5_S8_NS0_8identityIS5_EEEE10hipError_tT2_T3_mT4_P12ihipStream_tbEUlT_E_NS1_11comp_targetILNS1_3genE4ELNS1_11target_archE910ELNS1_3gpuE8ELNS1_3repE0EEENS1_30default_config_static_selectorELNS0_4arch9wavefront6targetE1EEEvT1_: ; @_ZN7rocprim17ROCPRIM_400000_NS6detail17trampoline_kernelINS0_14default_configENS1_25transform_config_selectorINS0_10empty_typeELb1EEEZNS1_14transform_implILb1ES3_S6_PS5_S8_NS0_8identityIS5_EEEE10hipError_tT2_T3_mT4_P12ihipStream_tbEUlT_E_NS1_11comp_targetILNS1_3genE4ELNS1_11target_archE910ELNS1_3gpuE8ELNS1_3repE0EEENS1_30default_config_static_selectorELNS0_4arch9wavefront6targetE1EEEvT1_
; %bb.0:
	s_endpgm
	.section	.rodata,"a",@progbits
	.p2align	6, 0x0
	.amdhsa_kernel _ZN7rocprim17ROCPRIM_400000_NS6detail17trampoline_kernelINS0_14default_configENS1_25transform_config_selectorINS0_10empty_typeELb1EEEZNS1_14transform_implILb1ES3_S6_PS5_S8_NS0_8identityIS5_EEEE10hipError_tT2_T3_mT4_P12ihipStream_tbEUlT_E_NS1_11comp_targetILNS1_3genE4ELNS1_11target_archE910ELNS1_3gpuE8ELNS1_3repE0EEENS1_30default_config_static_selectorELNS0_4arch9wavefront6targetE1EEEvT1_
		.amdhsa_group_segment_fixed_size 0
		.amdhsa_private_segment_fixed_size 0
		.amdhsa_kernarg_size 40
		.amdhsa_user_sgpr_count 6
		.amdhsa_user_sgpr_private_segment_buffer 1
		.amdhsa_user_sgpr_dispatch_ptr 0
		.amdhsa_user_sgpr_queue_ptr 0
		.amdhsa_user_sgpr_kernarg_segment_ptr 1
		.amdhsa_user_sgpr_dispatch_id 0
		.amdhsa_user_sgpr_flat_scratch_init 0
		.amdhsa_user_sgpr_kernarg_preload_length 0
		.amdhsa_user_sgpr_kernarg_preload_offset 0
		.amdhsa_user_sgpr_private_segment_size 0
		.amdhsa_uses_dynamic_stack 0
		.amdhsa_system_sgpr_private_segment_wavefront_offset 0
		.amdhsa_system_sgpr_workgroup_id_x 1
		.amdhsa_system_sgpr_workgroup_id_y 0
		.amdhsa_system_sgpr_workgroup_id_z 0
		.amdhsa_system_sgpr_workgroup_info 0
		.amdhsa_system_vgpr_workitem_id 0
		.amdhsa_next_free_vgpr 1
		.amdhsa_next_free_sgpr 0
		.amdhsa_accum_offset 4
		.amdhsa_reserve_vcc 0
		.amdhsa_reserve_flat_scratch 0
		.amdhsa_float_round_mode_32 0
		.amdhsa_float_round_mode_16_64 0
		.amdhsa_float_denorm_mode_32 3
		.amdhsa_float_denorm_mode_16_64 3
		.amdhsa_dx10_clamp 1
		.amdhsa_ieee_mode 1
		.amdhsa_fp16_overflow 0
		.amdhsa_tg_split 0
		.amdhsa_exception_fp_ieee_invalid_op 0
		.amdhsa_exception_fp_denorm_src 0
		.amdhsa_exception_fp_ieee_div_zero 0
		.amdhsa_exception_fp_ieee_overflow 0
		.amdhsa_exception_fp_ieee_underflow 0
		.amdhsa_exception_fp_ieee_inexact 0
		.amdhsa_exception_int_div_zero 0
	.end_amdhsa_kernel
	.section	.text._ZN7rocprim17ROCPRIM_400000_NS6detail17trampoline_kernelINS0_14default_configENS1_25transform_config_selectorINS0_10empty_typeELb1EEEZNS1_14transform_implILb1ES3_S6_PS5_S8_NS0_8identityIS5_EEEE10hipError_tT2_T3_mT4_P12ihipStream_tbEUlT_E_NS1_11comp_targetILNS1_3genE4ELNS1_11target_archE910ELNS1_3gpuE8ELNS1_3repE0EEENS1_30default_config_static_selectorELNS0_4arch9wavefront6targetE1EEEvT1_,"axG",@progbits,_ZN7rocprim17ROCPRIM_400000_NS6detail17trampoline_kernelINS0_14default_configENS1_25transform_config_selectorINS0_10empty_typeELb1EEEZNS1_14transform_implILb1ES3_S6_PS5_S8_NS0_8identityIS5_EEEE10hipError_tT2_T3_mT4_P12ihipStream_tbEUlT_E_NS1_11comp_targetILNS1_3genE4ELNS1_11target_archE910ELNS1_3gpuE8ELNS1_3repE0EEENS1_30default_config_static_selectorELNS0_4arch9wavefront6targetE1EEEvT1_,comdat
.Lfunc_end53:
	.size	_ZN7rocprim17ROCPRIM_400000_NS6detail17trampoline_kernelINS0_14default_configENS1_25transform_config_selectorINS0_10empty_typeELb1EEEZNS1_14transform_implILb1ES3_S6_PS5_S8_NS0_8identityIS5_EEEE10hipError_tT2_T3_mT4_P12ihipStream_tbEUlT_E_NS1_11comp_targetILNS1_3genE4ELNS1_11target_archE910ELNS1_3gpuE8ELNS1_3repE0EEENS1_30default_config_static_selectorELNS0_4arch9wavefront6targetE1EEEvT1_, .Lfunc_end53-_ZN7rocprim17ROCPRIM_400000_NS6detail17trampoline_kernelINS0_14default_configENS1_25transform_config_selectorINS0_10empty_typeELb1EEEZNS1_14transform_implILb1ES3_S6_PS5_S8_NS0_8identityIS5_EEEE10hipError_tT2_T3_mT4_P12ihipStream_tbEUlT_E_NS1_11comp_targetILNS1_3genE4ELNS1_11target_archE910ELNS1_3gpuE8ELNS1_3repE0EEENS1_30default_config_static_selectorELNS0_4arch9wavefront6targetE1EEEvT1_
                                        ; -- End function
	.section	.AMDGPU.csdata,"",@progbits
; Kernel info:
; codeLenInByte = 4
; NumSgprs: 4
; NumVgprs: 0
; NumAgprs: 0
; TotalNumVgprs: 0
; ScratchSize: 0
; MemoryBound: 0
; FloatMode: 240
; IeeeMode: 1
; LDSByteSize: 0 bytes/workgroup (compile time only)
; SGPRBlocks: 0
; VGPRBlocks: 0
; NumSGPRsForWavesPerEU: 4
; NumVGPRsForWavesPerEU: 1
; AccumOffset: 4
; Occupancy: 8
; WaveLimiterHint : 0
; COMPUTE_PGM_RSRC2:SCRATCH_EN: 0
; COMPUTE_PGM_RSRC2:USER_SGPR: 6
; COMPUTE_PGM_RSRC2:TRAP_HANDLER: 0
; COMPUTE_PGM_RSRC2:TGID_X_EN: 1
; COMPUTE_PGM_RSRC2:TGID_Y_EN: 0
; COMPUTE_PGM_RSRC2:TGID_Z_EN: 0
; COMPUTE_PGM_RSRC2:TIDIG_COMP_CNT: 0
; COMPUTE_PGM_RSRC3_GFX90A:ACCUM_OFFSET: 0
; COMPUTE_PGM_RSRC3_GFX90A:TG_SPLIT: 0
	.section	.text._ZN7rocprim17ROCPRIM_400000_NS6detail17trampoline_kernelINS0_14default_configENS1_25transform_config_selectorINS0_10empty_typeELb1EEEZNS1_14transform_implILb1ES3_S6_PS5_S8_NS0_8identityIS5_EEEE10hipError_tT2_T3_mT4_P12ihipStream_tbEUlT_E_NS1_11comp_targetILNS1_3genE3ELNS1_11target_archE908ELNS1_3gpuE7ELNS1_3repE0EEENS1_30default_config_static_selectorELNS0_4arch9wavefront6targetE1EEEvT1_,"axG",@progbits,_ZN7rocprim17ROCPRIM_400000_NS6detail17trampoline_kernelINS0_14default_configENS1_25transform_config_selectorINS0_10empty_typeELb1EEEZNS1_14transform_implILb1ES3_S6_PS5_S8_NS0_8identityIS5_EEEE10hipError_tT2_T3_mT4_P12ihipStream_tbEUlT_E_NS1_11comp_targetILNS1_3genE3ELNS1_11target_archE908ELNS1_3gpuE7ELNS1_3repE0EEENS1_30default_config_static_selectorELNS0_4arch9wavefront6targetE1EEEvT1_,comdat
	.protected	_ZN7rocprim17ROCPRIM_400000_NS6detail17trampoline_kernelINS0_14default_configENS1_25transform_config_selectorINS0_10empty_typeELb1EEEZNS1_14transform_implILb1ES3_S6_PS5_S8_NS0_8identityIS5_EEEE10hipError_tT2_T3_mT4_P12ihipStream_tbEUlT_E_NS1_11comp_targetILNS1_3genE3ELNS1_11target_archE908ELNS1_3gpuE7ELNS1_3repE0EEENS1_30default_config_static_selectorELNS0_4arch9wavefront6targetE1EEEvT1_ ; -- Begin function _ZN7rocprim17ROCPRIM_400000_NS6detail17trampoline_kernelINS0_14default_configENS1_25transform_config_selectorINS0_10empty_typeELb1EEEZNS1_14transform_implILb1ES3_S6_PS5_S8_NS0_8identityIS5_EEEE10hipError_tT2_T3_mT4_P12ihipStream_tbEUlT_E_NS1_11comp_targetILNS1_3genE3ELNS1_11target_archE908ELNS1_3gpuE7ELNS1_3repE0EEENS1_30default_config_static_selectorELNS0_4arch9wavefront6targetE1EEEvT1_
	.globl	_ZN7rocprim17ROCPRIM_400000_NS6detail17trampoline_kernelINS0_14default_configENS1_25transform_config_selectorINS0_10empty_typeELb1EEEZNS1_14transform_implILb1ES3_S6_PS5_S8_NS0_8identityIS5_EEEE10hipError_tT2_T3_mT4_P12ihipStream_tbEUlT_E_NS1_11comp_targetILNS1_3genE3ELNS1_11target_archE908ELNS1_3gpuE7ELNS1_3repE0EEENS1_30default_config_static_selectorELNS0_4arch9wavefront6targetE1EEEvT1_
	.p2align	8
	.type	_ZN7rocprim17ROCPRIM_400000_NS6detail17trampoline_kernelINS0_14default_configENS1_25transform_config_selectorINS0_10empty_typeELb1EEEZNS1_14transform_implILb1ES3_S6_PS5_S8_NS0_8identityIS5_EEEE10hipError_tT2_T3_mT4_P12ihipStream_tbEUlT_E_NS1_11comp_targetILNS1_3genE3ELNS1_11target_archE908ELNS1_3gpuE7ELNS1_3repE0EEENS1_30default_config_static_selectorELNS0_4arch9wavefront6targetE1EEEvT1_,@function
_ZN7rocprim17ROCPRIM_400000_NS6detail17trampoline_kernelINS0_14default_configENS1_25transform_config_selectorINS0_10empty_typeELb1EEEZNS1_14transform_implILb1ES3_S6_PS5_S8_NS0_8identityIS5_EEEE10hipError_tT2_T3_mT4_P12ihipStream_tbEUlT_E_NS1_11comp_targetILNS1_3genE3ELNS1_11target_archE908ELNS1_3gpuE7ELNS1_3repE0EEENS1_30default_config_static_selectorELNS0_4arch9wavefront6targetE1EEEvT1_: ; @_ZN7rocprim17ROCPRIM_400000_NS6detail17trampoline_kernelINS0_14default_configENS1_25transform_config_selectorINS0_10empty_typeELb1EEEZNS1_14transform_implILb1ES3_S6_PS5_S8_NS0_8identityIS5_EEEE10hipError_tT2_T3_mT4_P12ihipStream_tbEUlT_E_NS1_11comp_targetILNS1_3genE3ELNS1_11target_archE908ELNS1_3gpuE7ELNS1_3repE0EEENS1_30default_config_static_selectorELNS0_4arch9wavefront6targetE1EEEvT1_
; %bb.0:
	.section	.rodata,"a",@progbits
	.p2align	6, 0x0
	.amdhsa_kernel _ZN7rocprim17ROCPRIM_400000_NS6detail17trampoline_kernelINS0_14default_configENS1_25transform_config_selectorINS0_10empty_typeELb1EEEZNS1_14transform_implILb1ES3_S6_PS5_S8_NS0_8identityIS5_EEEE10hipError_tT2_T3_mT4_P12ihipStream_tbEUlT_E_NS1_11comp_targetILNS1_3genE3ELNS1_11target_archE908ELNS1_3gpuE7ELNS1_3repE0EEENS1_30default_config_static_selectorELNS0_4arch9wavefront6targetE1EEEvT1_
		.amdhsa_group_segment_fixed_size 0
		.amdhsa_private_segment_fixed_size 0
		.amdhsa_kernarg_size 40
		.amdhsa_user_sgpr_count 6
		.amdhsa_user_sgpr_private_segment_buffer 1
		.amdhsa_user_sgpr_dispatch_ptr 0
		.amdhsa_user_sgpr_queue_ptr 0
		.amdhsa_user_sgpr_kernarg_segment_ptr 1
		.amdhsa_user_sgpr_dispatch_id 0
		.amdhsa_user_sgpr_flat_scratch_init 0
		.amdhsa_user_sgpr_kernarg_preload_length 0
		.amdhsa_user_sgpr_kernarg_preload_offset 0
		.amdhsa_user_sgpr_private_segment_size 0
		.amdhsa_uses_dynamic_stack 0
		.amdhsa_system_sgpr_private_segment_wavefront_offset 0
		.amdhsa_system_sgpr_workgroup_id_x 1
		.amdhsa_system_sgpr_workgroup_id_y 0
		.amdhsa_system_sgpr_workgroup_id_z 0
		.amdhsa_system_sgpr_workgroup_info 0
		.amdhsa_system_vgpr_workitem_id 0
		.amdhsa_next_free_vgpr 1
		.amdhsa_next_free_sgpr 0
		.amdhsa_accum_offset 4
		.amdhsa_reserve_vcc 0
		.amdhsa_reserve_flat_scratch 0
		.amdhsa_float_round_mode_32 0
		.amdhsa_float_round_mode_16_64 0
		.amdhsa_float_denorm_mode_32 3
		.amdhsa_float_denorm_mode_16_64 3
		.amdhsa_dx10_clamp 1
		.amdhsa_ieee_mode 1
		.amdhsa_fp16_overflow 0
		.amdhsa_tg_split 0
		.amdhsa_exception_fp_ieee_invalid_op 0
		.amdhsa_exception_fp_denorm_src 0
		.amdhsa_exception_fp_ieee_div_zero 0
		.amdhsa_exception_fp_ieee_overflow 0
		.amdhsa_exception_fp_ieee_underflow 0
		.amdhsa_exception_fp_ieee_inexact 0
		.amdhsa_exception_int_div_zero 0
	.end_amdhsa_kernel
	.section	.text._ZN7rocprim17ROCPRIM_400000_NS6detail17trampoline_kernelINS0_14default_configENS1_25transform_config_selectorINS0_10empty_typeELb1EEEZNS1_14transform_implILb1ES3_S6_PS5_S8_NS0_8identityIS5_EEEE10hipError_tT2_T3_mT4_P12ihipStream_tbEUlT_E_NS1_11comp_targetILNS1_3genE3ELNS1_11target_archE908ELNS1_3gpuE7ELNS1_3repE0EEENS1_30default_config_static_selectorELNS0_4arch9wavefront6targetE1EEEvT1_,"axG",@progbits,_ZN7rocprim17ROCPRIM_400000_NS6detail17trampoline_kernelINS0_14default_configENS1_25transform_config_selectorINS0_10empty_typeELb1EEEZNS1_14transform_implILb1ES3_S6_PS5_S8_NS0_8identityIS5_EEEE10hipError_tT2_T3_mT4_P12ihipStream_tbEUlT_E_NS1_11comp_targetILNS1_3genE3ELNS1_11target_archE908ELNS1_3gpuE7ELNS1_3repE0EEENS1_30default_config_static_selectorELNS0_4arch9wavefront6targetE1EEEvT1_,comdat
.Lfunc_end54:
	.size	_ZN7rocprim17ROCPRIM_400000_NS6detail17trampoline_kernelINS0_14default_configENS1_25transform_config_selectorINS0_10empty_typeELb1EEEZNS1_14transform_implILb1ES3_S6_PS5_S8_NS0_8identityIS5_EEEE10hipError_tT2_T3_mT4_P12ihipStream_tbEUlT_E_NS1_11comp_targetILNS1_3genE3ELNS1_11target_archE908ELNS1_3gpuE7ELNS1_3repE0EEENS1_30default_config_static_selectorELNS0_4arch9wavefront6targetE1EEEvT1_, .Lfunc_end54-_ZN7rocprim17ROCPRIM_400000_NS6detail17trampoline_kernelINS0_14default_configENS1_25transform_config_selectorINS0_10empty_typeELb1EEEZNS1_14transform_implILb1ES3_S6_PS5_S8_NS0_8identityIS5_EEEE10hipError_tT2_T3_mT4_P12ihipStream_tbEUlT_E_NS1_11comp_targetILNS1_3genE3ELNS1_11target_archE908ELNS1_3gpuE7ELNS1_3repE0EEENS1_30default_config_static_selectorELNS0_4arch9wavefront6targetE1EEEvT1_
                                        ; -- End function
	.section	.AMDGPU.csdata,"",@progbits
; Kernel info:
; codeLenInByte = 0
; NumSgprs: 4
; NumVgprs: 0
; NumAgprs: 0
; TotalNumVgprs: 0
; ScratchSize: 0
; MemoryBound: 0
; FloatMode: 240
; IeeeMode: 1
; LDSByteSize: 0 bytes/workgroup (compile time only)
; SGPRBlocks: 0
; VGPRBlocks: 0
; NumSGPRsForWavesPerEU: 4
; NumVGPRsForWavesPerEU: 1
; AccumOffset: 4
; Occupancy: 8
; WaveLimiterHint : 0
; COMPUTE_PGM_RSRC2:SCRATCH_EN: 0
; COMPUTE_PGM_RSRC2:USER_SGPR: 6
; COMPUTE_PGM_RSRC2:TRAP_HANDLER: 0
; COMPUTE_PGM_RSRC2:TGID_X_EN: 1
; COMPUTE_PGM_RSRC2:TGID_Y_EN: 0
; COMPUTE_PGM_RSRC2:TGID_Z_EN: 0
; COMPUTE_PGM_RSRC2:TIDIG_COMP_CNT: 0
; COMPUTE_PGM_RSRC3_GFX90A:ACCUM_OFFSET: 0
; COMPUTE_PGM_RSRC3_GFX90A:TG_SPLIT: 0
	.section	.text._ZN7rocprim17ROCPRIM_400000_NS6detail17trampoline_kernelINS0_14default_configENS1_25transform_config_selectorINS0_10empty_typeELb1EEEZNS1_14transform_implILb1ES3_S6_PS5_S8_NS0_8identityIS5_EEEE10hipError_tT2_T3_mT4_P12ihipStream_tbEUlT_E_NS1_11comp_targetILNS1_3genE2ELNS1_11target_archE906ELNS1_3gpuE6ELNS1_3repE0EEENS1_30default_config_static_selectorELNS0_4arch9wavefront6targetE1EEEvT1_,"axG",@progbits,_ZN7rocprim17ROCPRIM_400000_NS6detail17trampoline_kernelINS0_14default_configENS1_25transform_config_selectorINS0_10empty_typeELb1EEEZNS1_14transform_implILb1ES3_S6_PS5_S8_NS0_8identityIS5_EEEE10hipError_tT2_T3_mT4_P12ihipStream_tbEUlT_E_NS1_11comp_targetILNS1_3genE2ELNS1_11target_archE906ELNS1_3gpuE6ELNS1_3repE0EEENS1_30default_config_static_selectorELNS0_4arch9wavefront6targetE1EEEvT1_,comdat
	.protected	_ZN7rocprim17ROCPRIM_400000_NS6detail17trampoline_kernelINS0_14default_configENS1_25transform_config_selectorINS0_10empty_typeELb1EEEZNS1_14transform_implILb1ES3_S6_PS5_S8_NS0_8identityIS5_EEEE10hipError_tT2_T3_mT4_P12ihipStream_tbEUlT_E_NS1_11comp_targetILNS1_3genE2ELNS1_11target_archE906ELNS1_3gpuE6ELNS1_3repE0EEENS1_30default_config_static_selectorELNS0_4arch9wavefront6targetE1EEEvT1_ ; -- Begin function _ZN7rocprim17ROCPRIM_400000_NS6detail17trampoline_kernelINS0_14default_configENS1_25transform_config_selectorINS0_10empty_typeELb1EEEZNS1_14transform_implILb1ES3_S6_PS5_S8_NS0_8identityIS5_EEEE10hipError_tT2_T3_mT4_P12ihipStream_tbEUlT_E_NS1_11comp_targetILNS1_3genE2ELNS1_11target_archE906ELNS1_3gpuE6ELNS1_3repE0EEENS1_30default_config_static_selectorELNS0_4arch9wavefront6targetE1EEEvT1_
	.globl	_ZN7rocprim17ROCPRIM_400000_NS6detail17trampoline_kernelINS0_14default_configENS1_25transform_config_selectorINS0_10empty_typeELb1EEEZNS1_14transform_implILb1ES3_S6_PS5_S8_NS0_8identityIS5_EEEE10hipError_tT2_T3_mT4_P12ihipStream_tbEUlT_E_NS1_11comp_targetILNS1_3genE2ELNS1_11target_archE906ELNS1_3gpuE6ELNS1_3repE0EEENS1_30default_config_static_selectorELNS0_4arch9wavefront6targetE1EEEvT1_
	.p2align	8
	.type	_ZN7rocprim17ROCPRIM_400000_NS6detail17trampoline_kernelINS0_14default_configENS1_25transform_config_selectorINS0_10empty_typeELb1EEEZNS1_14transform_implILb1ES3_S6_PS5_S8_NS0_8identityIS5_EEEE10hipError_tT2_T3_mT4_P12ihipStream_tbEUlT_E_NS1_11comp_targetILNS1_3genE2ELNS1_11target_archE906ELNS1_3gpuE6ELNS1_3repE0EEENS1_30default_config_static_selectorELNS0_4arch9wavefront6targetE1EEEvT1_,@function
_ZN7rocprim17ROCPRIM_400000_NS6detail17trampoline_kernelINS0_14default_configENS1_25transform_config_selectorINS0_10empty_typeELb1EEEZNS1_14transform_implILb1ES3_S6_PS5_S8_NS0_8identityIS5_EEEE10hipError_tT2_T3_mT4_P12ihipStream_tbEUlT_E_NS1_11comp_targetILNS1_3genE2ELNS1_11target_archE906ELNS1_3gpuE6ELNS1_3repE0EEENS1_30default_config_static_selectorELNS0_4arch9wavefront6targetE1EEEvT1_: ; @_ZN7rocprim17ROCPRIM_400000_NS6detail17trampoline_kernelINS0_14default_configENS1_25transform_config_selectorINS0_10empty_typeELb1EEEZNS1_14transform_implILb1ES3_S6_PS5_S8_NS0_8identityIS5_EEEE10hipError_tT2_T3_mT4_P12ihipStream_tbEUlT_E_NS1_11comp_targetILNS1_3genE2ELNS1_11target_archE906ELNS1_3gpuE6ELNS1_3repE0EEENS1_30default_config_static_selectorELNS0_4arch9wavefront6targetE1EEEvT1_
; %bb.0:
	.section	.rodata,"a",@progbits
	.p2align	6, 0x0
	.amdhsa_kernel _ZN7rocprim17ROCPRIM_400000_NS6detail17trampoline_kernelINS0_14default_configENS1_25transform_config_selectorINS0_10empty_typeELb1EEEZNS1_14transform_implILb1ES3_S6_PS5_S8_NS0_8identityIS5_EEEE10hipError_tT2_T3_mT4_P12ihipStream_tbEUlT_E_NS1_11comp_targetILNS1_3genE2ELNS1_11target_archE906ELNS1_3gpuE6ELNS1_3repE0EEENS1_30default_config_static_selectorELNS0_4arch9wavefront6targetE1EEEvT1_
		.amdhsa_group_segment_fixed_size 0
		.amdhsa_private_segment_fixed_size 0
		.amdhsa_kernarg_size 40
		.amdhsa_user_sgpr_count 6
		.amdhsa_user_sgpr_private_segment_buffer 1
		.amdhsa_user_sgpr_dispatch_ptr 0
		.amdhsa_user_sgpr_queue_ptr 0
		.amdhsa_user_sgpr_kernarg_segment_ptr 1
		.amdhsa_user_sgpr_dispatch_id 0
		.amdhsa_user_sgpr_flat_scratch_init 0
		.amdhsa_user_sgpr_kernarg_preload_length 0
		.amdhsa_user_sgpr_kernarg_preload_offset 0
		.amdhsa_user_sgpr_private_segment_size 0
		.amdhsa_uses_dynamic_stack 0
		.amdhsa_system_sgpr_private_segment_wavefront_offset 0
		.amdhsa_system_sgpr_workgroup_id_x 1
		.amdhsa_system_sgpr_workgroup_id_y 0
		.amdhsa_system_sgpr_workgroup_id_z 0
		.amdhsa_system_sgpr_workgroup_info 0
		.amdhsa_system_vgpr_workitem_id 0
		.amdhsa_next_free_vgpr 1
		.amdhsa_next_free_sgpr 0
		.amdhsa_accum_offset 4
		.amdhsa_reserve_vcc 0
		.amdhsa_reserve_flat_scratch 0
		.amdhsa_float_round_mode_32 0
		.amdhsa_float_round_mode_16_64 0
		.amdhsa_float_denorm_mode_32 3
		.amdhsa_float_denorm_mode_16_64 3
		.amdhsa_dx10_clamp 1
		.amdhsa_ieee_mode 1
		.amdhsa_fp16_overflow 0
		.amdhsa_tg_split 0
		.amdhsa_exception_fp_ieee_invalid_op 0
		.amdhsa_exception_fp_denorm_src 0
		.amdhsa_exception_fp_ieee_div_zero 0
		.amdhsa_exception_fp_ieee_overflow 0
		.amdhsa_exception_fp_ieee_underflow 0
		.amdhsa_exception_fp_ieee_inexact 0
		.amdhsa_exception_int_div_zero 0
	.end_amdhsa_kernel
	.section	.text._ZN7rocprim17ROCPRIM_400000_NS6detail17trampoline_kernelINS0_14default_configENS1_25transform_config_selectorINS0_10empty_typeELb1EEEZNS1_14transform_implILb1ES3_S6_PS5_S8_NS0_8identityIS5_EEEE10hipError_tT2_T3_mT4_P12ihipStream_tbEUlT_E_NS1_11comp_targetILNS1_3genE2ELNS1_11target_archE906ELNS1_3gpuE6ELNS1_3repE0EEENS1_30default_config_static_selectorELNS0_4arch9wavefront6targetE1EEEvT1_,"axG",@progbits,_ZN7rocprim17ROCPRIM_400000_NS6detail17trampoline_kernelINS0_14default_configENS1_25transform_config_selectorINS0_10empty_typeELb1EEEZNS1_14transform_implILb1ES3_S6_PS5_S8_NS0_8identityIS5_EEEE10hipError_tT2_T3_mT4_P12ihipStream_tbEUlT_E_NS1_11comp_targetILNS1_3genE2ELNS1_11target_archE906ELNS1_3gpuE6ELNS1_3repE0EEENS1_30default_config_static_selectorELNS0_4arch9wavefront6targetE1EEEvT1_,comdat
.Lfunc_end55:
	.size	_ZN7rocprim17ROCPRIM_400000_NS6detail17trampoline_kernelINS0_14default_configENS1_25transform_config_selectorINS0_10empty_typeELb1EEEZNS1_14transform_implILb1ES3_S6_PS5_S8_NS0_8identityIS5_EEEE10hipError_tT2_T3_mT4_P12ihipStream_tbEUlT_E_NS1_11comp_targetILNS1_3genE2ELNS1_11target_archE906ELNS1_3gpuE6ELNS1_3repE0EEENS1_30default_config_static_selectorELNS0_4arch9wavefront6targetE1EEEvT1_, .Lfunc_end55-_ZN7rocprim17ROCPRIM_400000_NS6detail17trampoline_kernelINS0_14default_configENS1_25transform_config_selectorINS0_10empty_typeELb1EEEZNS1_14transform_implILb1ES3_S6_PS5_S8_NS0_8identityIS5_EEEE10hipError_tT2_T3_mT4_P12ihipStream_tbEUlT_E_NS1_11comp_targetILNS1_3genE2ELNS1_11target_archE906ELNS1_3gpuE6ELNS1_3repE0EEENS1_30default_config_static_selectorELNS0_4arch9wavefront6targetE1EEEvT1_
                                        ; -- End function
	.section	.AMDGPU.csdata,"",@progbits
; Kernel info:
; codeLenInByte = 0
; NumSgprs: 4
; NumVgprs: 0
; NumAgprs: 0
; TotalNumVgprs: 0
; ScratchSize: 0
; MemoryBound: 0
; FloatMode: 240
; IeeeMode: 1
; LDSByteSize: 0 bytes/workgroup (compile time only)
; SGPRBlocks: 0
; VGPRBlocks: 0
; NumSGPRsForWavesPerEU: 4
; NumVGPRsForWavesPerEU: 1
; AccumOffset: 4
; Occupancy: 8
; WaveLimiterHint : 0
; COMPUTE_PGM_RSRC2:SCRATCH_EN: 0
; COMPUTE_PGM_RSRC2:USER_SGPR: 6
; COMPUTE_PGM_RSRC2:TRAP_HANDLER: 0
; COMPUTE_PGM_RSRC2:TGID_X_EN: 1
; COMPUTE_PGM_RSRC2:TGID_Y_EN: 0
; COMPUTE_PGM_RSRC2:TGID_Z_EN: 0
; COMPUTE_PGM_RSRC2:TIDIG_COMP_CNT: 0
; COMPUTE_PGM_RSRC3_GFX90A:ACCUM_OFFSET: 0
; COMPUTE_PGM_RSRC3_GFX90A:TG_SPLIT: 0
	.section	.text._ZN7rocprim17ROCPRIM_400000_NS6detail17trampoline_kernelINS0_14default_configENS1_25transform_config_selectorINS0_10empty_typeELb1EEEZNS1_14transform_implILb1ES3_S6_PS5_S8_NS0_8identityIS5_EEEE10hipError_tT2_T3_mT4_P12ihipStream_tbEUlT_E_NS1_11comp_targetILNS1_3genE9ELNS1_11target_archE1100ELNS1_3gpuE3ELNS1_3repE0EEENS1_30default_config_static_selectorELNS0_4arch9wavefront6targetE1EEEvT1_,"axG",@progbits,_ZN7rocprim17ROCPRIM_400000_NS6detail17trampoline_kernelINS0_14default_configENS1_25transform_config_selectorINS0_10empty_typeELb1EEEZNS1_14transform_implILb1ES3_S6_PS5_S8_NS0_8identityIS5_EEEE10hipError_tT2_T3_mT4_P12ihipStream_tbEUlT_E_NS1_11comp_targetILNS1_3genE9ELNS1_11target_archE1100ELNS1_3gpuE3ELNS1_3repE0EEENS1_30default_config_static_selectorELNS0_4arch9wavefront6targetE1EEEvT1_,comdat
	.protected	_ZN7rocprim17ROCPRIM_400000_NS6detail17trampoline_kernelINS0_14default_configENS1_25transform_config_selectorINS0_10empty_typeELb1EEEZNS1_14transform_implILb1ES3_S6_PS5_S8_NS0_8identityIS5_EEEE10hipError_tT2_T3_mT4_P12ihipStream_tbEUlT_E_NS1_11comp_targetILNS1_3genE9ELNS1_11target_archE1100ELNS1_3gpuE3ELNS1_3repE0EEENS1_30default_config_static_selectorELNS0_4arch9wavefront6targetE1EEEvT1_ ; -- Begin function _ZN7rocprim17ROCPRIM_400000_NS6detail17trampoline_kernelINS0_14default_configENS1_25transform_config_selectorINS0_10empty_typeELb1EEEZNS1_14transform_implILb1ES3_S6_PS5_S8_NS0_8identityIS5_EEEE10hipError_tT2_T3_mT4_P12ihipStream_tbEUlT_E_NS1_11comp_targetILNS1_3genE9ELNS1_11target_archE1100ELNS1_3gpuE3ELNS1_3repE0EEENS1_30default_config_static_selectorELNS0_4arch9wavefront6targetE1EEEvT1_
	.globl	_ZN7rocprim17ROCPRIM_400000_NS6detail17trampoline_kernelINS0_14default_configENS1_25transform_config_selectorINS0_10empty_typeELb1EEEZNS1_14transform_implILb1ES3_S6_PS5_S8_NS0_8identityIS5_EEEE10hipError_tT2_T3_mT4_P12ihipStream_tbEUlT_E_NS1_11comp_targetILNS1_3genE9ELNS1_11target_archE1100ELNS1_3gpuE3ELNS1_3repE0EEENS1_30default_config_static_selectorELNS0_4arch9wavefront6targetE1EEEvT1_
	.p2align	8
	.type	_ZN7rocprim17ROCPRIM_400000_NS6detail17trampoline_kernelINS0_14default_configENS1_25transform_config_selectorINS0_10empty_typeELb1EEEZNS1_14transform_implILb1ES3_S6_PS5_S8_NS0_8identityIS5_EEEE10hipError_tT2_T3_mT4_P12ihipStream_tbEUlT_E_NS1_11comp_targetILNS1_3genE9ELNS1_11target_archE1100ELNS1_3gpuE3ELNS1_3repE0EEENS1_30default_config_static_selectorELNS0_4arch9wavefront6targetE1EEEvT1_,@function
_ZN7rocprim17ROCPRIM_400000_NS6detail17trampoline_kernelINS0_14default_configENS1_25transform_config_selectorINS0_10empty_typeELb1EEEZNS1_14transform_implILb1ES3_S6_PS5_S8_NS0_8identityIS5_EEEE10hipError_tT2_T3_mT4_P12ihipStream_tbEUlT_E_NS1_11comp_targetILNS1_3genE9ELNS1_11target_archE1100ELNS1_3gpuE3ELNS1_3repE0EEENS1_30default_config_static_selectorELNS0_4arch9wavefront6targetE1EEEvT1_: ; @_ZN7rocprim17ROCPRIM_400000_NS6detail17trampoline_kernelINS0_14default_configENS1_25transform_config_selectorINS0_10empty_typeELb1EEEZNS1_14transform_implILb1ES3_S6_PS5_S8_NS0_8identityIS5_EEEE10hipError_tT2_T3_mT4_P12ihipStream_tbEUlT_E_NS1_11comp_targetILNS1_3genE9ELNS1_11target_archE1100ELNS1_3gpuE3ELNS1_3repE0EEENS1_30default_config_static_selectorELNS0_4arch9wavefront6targetE1EEEvT1_
; %bb.0:
	.section	.rodata,"a",@progbits
	.p2align	6, 0x0
	.amdhsa_kernel _ZN7rocprim17ROCPRIM_400000_NS6detail17trampoline_kernelINS0_14default_configENS1_25transform_config_selectorINS0_10empty_typeELb1EEEZNS1_14transform_implILb1ES3_S6_PS5_S8_NS0_8identityIS5_EEEE10hipError_tT2_T3_mT4_P12ihipStream_tbEUlT_E_NS1_11comp_targetILNS1_3genE9ELNS1_11target_archE1100ELNS1_3gpuE3ELNS1_3repE0EEENS1_30default_config_static_selectorELNS0_4arch9wavefront6targetE1EEEvT1_
		.amdhsa_group_segment_fixed_size 0
		.amdhsa_private_segment_fixed_size 0
		.amdhsa_kernarg_size 40
		.amdhsa_user_sgpr_count 6
		.amdhsa_user_sgpr_private_segment_buffer 1
		.amdhsa_user_sgpr_dispatch_ptr 0
		.amdhsa_user_sgpr_queue_ptr 0
		.amdhsa_user_sgpr_kernarg_segment_ptr 1
		.amdhsa_user_sgpr_dispatch_id 0
		.amdhsa_user_sgpr_flat_scratch_init 0
		.amdhsa_user_sgpr_kernarg_preload_length 0
		.amdhsa_user_sgpr_kernarg_preload_offset 0
		.amdhsa_user_sgpr_private_segment_size 0
		.amdhsa_uses_dynamic_stack 0
		.amdhsa_system_sgpr_private_segment_wavefront_offset 0
		.amdhsa_system_sgpr_workgroup_id_x 1
		.amdhsa_system_sgpr_workgroup_id_y 0
		.amdhsa_system_sgpr_workgroup_id_z 0
		.amdhsa_system_sgpr_workgroup_info 0
		.amdhsa_system_vgpr_workitem_id 0
		.amdhsa_next_free_vgpr 1
		.amdhsa_next_free_sgpr 0
		.amdhsa_accum_offset 4
		.amdhsa_reserve_vcc 0
		.amdhsa_reserve_flat_scratch 0
		.amdhsa_float_round_mode_32 0
		.amdhsa_float_round_mode_16_64 0
		.amdhsa_float_denorm_mode_32 3
		.amdhsa_float_denorm_mode_16_64 3
		.amdhsa_dx10_clamp 1
		.amdhsa_ieee_mode 1
		.amdhsa_fp16_overflow 0
		.amdhsa_tg_split 0
		.amdhsa_exception_fp_ieee_invalid_op 0
		.amdhsa_exception_fp_denorm_src 0
		.amdhsa_exception_fp_ieee_div_zero 0
		.amdhsa_exception_fp_ieee_overflow 0
		.amdhsa_exception_fp_ieee_underflow 0
		.amdhsa_exception_fp_ieee_inexact 0
		.amdhsa_exception_int_div_zero 0
	.end_amdhsa_kernel
	.section	.text._ZN7rocprim17ROCPRIM_400000_NS6detail17trampoline_kernelINS0_14default_configENS1_25transform_config_selectorINS0_10empty_typeELb1EEEZNS1_14transform_implILb1ES3_S6_PS5_S8_NS0_8identityIS5_EEEE10hipError_tT2_T3_mT4_P12ihipStream_tbEUlT_E_NS1_11comp_targetILNS1_3genE9ELNS1_11target_archE1100ELNS1_3gpuE3ELNS1_3repE0EEENS1_30default_config_static_selectorELNS0_4arch9wavefront6targetE1EEEvT1_,"axG",@progbits,_ZN7rocprim17ROCPRIM_400000_NS6detail17trampoline_kernelINS0_14default_configENS1_25transform_config_selectorINS0_10empty_typeELb1EEEZNS1_14transform_implILb1ES3_S6_PS5_S8_NS0_8identityIS5_EEEE10hipError_tT2_T3_mT4_P12ihipStream_tbEUlT_E_NS1_11comp_targetILNS1_3genE9ELNS1_11target_archE1100ELNS1_3gpuE3ELNS1_3repE0EEENS1_30default_config_static_selectorELNS0_4arch9wavefront6targetE1EEEvT1_,comdat
.Lfunc_end56:
	.size	_ZN7rocprim17ROCPRIM_400000_NS6detail17trampoline_kernelINS0_14default_configENS1_25transform_config_selectorINS0_10empty_typeELb1EEEZNS1_14transform_implILb1ES3_S6_PS5_S8_NS0_8identityIS5_EEEE10hipError_tT2_T3_mT4_P12ihipStream_tbEUlT_E_NS1_11comp_targetILNS1_3genE9ELNS1_11target_archE1100ELNS1_3gpuE3ELNS1_3repE0EEENS1_30default_config_static_selectorELNS0_4arch9wavefront6targetE1EEEvT1_, .Lfunc_end56-_ZN7rocprim17ROCPRIM_400000_NS6detail17trampoline_kernelINS0_14default_configENS1_25transform_config_selectorINS0_10empty_typeELb1EEEZNS1_14transform_implILb1ES3_S6_PS5_S8_NS0_8identityIS5_EEEE10hipError_tT2_T3_mT4_P12ihipStream_tbEUlT_E_NS1_11comp_targetILNS1_3genE9ELNS1_11target_archE1100ELNS1_3gpuE3ELNS1_3repE0EEENS1_30default_config_static_selectorELNS0_4arch9wavefront6targetE1EEEvT1_
                                        ; -- End function
	.section	.AMDGPU.csdata,"",@progbits
; Kernel info:
; codeLenInByte = 0
; NumSgprs: 4
; NumVgprs: 0
; NumAgprs: 0
; TotalNumVgprs: 0
; ScratchSize: 0
; MemoryBound: 0
; FloatMode: 240
; IeeeMode: 1
; LDSByteSize: 0 bytes/workgroup (compile time only)
; SGPRBlocks: 0
; VGPRBlocks: 0
; NumSGPRsForWavesPerEU: 4
; NumVGPRsForWavesPerEU: 1
; AccumOffset: 4
; Occupancy: 8
; WaveLimiterHint : 0
; COMPUTE_PGM_RSRC2:SCRATCH_EN: 0
; COMPUTE_PGM_RSRC2:USER_SGPR: 6
; COMPUTE_PGM_RSRC2:TRAP_HANDLER: 0
; COMPUTE_PGM_RSRC2:TGID_X_EN: 1
; COMPUTE_PGM_RSRC2:TGID_Y_EN: 0
; COMPUTE_PGM_RSRC2:TGID_Z_EN: 0
; COMPUTE_PGM_RSRC2:TIDIG_COMP_CNT: 0
; COMPUTE_PGM_RSRC3_GFX90A:ACCUM_OFFSET: 0
; COMPUTE_PGM_RSRC3_GFX90A:TG_SPLIT: 0
	.section	.text._ZN7rocprim17ROCPRIM_400000_NS6detail17trampoline_kernelINS0_14default_configENS1_25transform_config_selectorINS0_10empty_typeELb1EEEZNS1_14transform_implILb1ES3_S6_PS5_S8_NS0_8identityIS5_EEEE10hipError_tT2_T3_mT4_P12ihipStream_tbEUlT_E_NS1_11comp_targetILNS1_3genE8ELNS1_11target_archE1030ELNS1_3gpuE2ELNS1_3repE0EEENS1_30default_config_static_selectorELNS0_4arch9wavefront6targetE1EEEvT1_,"axG",@progbits,_ZN7rocprim17ROCPRIM_400000_NS6detail17trampoline_kernelINS0_14default_configENS1_25transform_config_selectorINS0_10empty_typeELb1EEEZNS1_14transform_implILb1ES3_S6_PS5_S8_NS0_8identityIS5_EEEE10hipError_tT2_T3_mT4_P12ihipStream_tbEUlT_E_NS1_11comp_targetILNS1_3genE8ELNS1_11target_archE1030ELNS1_3gpuE2ELNS1_3repE0EEENS1_30default_config_static_selectorELNS0_4arch9wavefront6targetE1EEEvT1_,comdat
	.protected	_ZN7rocprim17ROCPRIM_400000_NS6detail17trampoline_kernelINS0_14default_configENS1_25transform_config_selectorINS0_10empty_typeELb1EEEZNS1_14transform_implILb1ES3_S6_PS5_S8_NS0_8identityIS5_EEEE10hipError_tT2_T3_mT4_P12ihipStream_tbEUlT_E_NS1_11comp_targetILNS1_3genE8ELNS1_11target_archE1030ELNS1_3gpuE2ELNS1_3repE0EEENS1_30default_config_static_selectorELNS0_4arch9wavefront6targetE1EEEvT1_ ; -- Begin function _ZN7rocprim17ROCPRIM_400000_NS6detail17trampoline_kernelINS0_14default_configENS1_25transform_config_selectorINS0_10empty_typeELb1EEEZNS1_14transform_implILb1ES3_S6_PS5_S8_NS0_8identityIS5_EEEE10hipError_tT2_T3_mT4_P12ihipStream_tbEUlT_E_NS1_11comp_targetILNS1_3genE8ELNS1_11target_archE1030ELNS1_3gpuE2ELNS1_3repE0EEENS1_30default_config_static_selectorELNS0_4arch9wavefront6targetE1EEEvT1_
	.globl	_ZN7rocprim17ROCPRIM_400000_NS6detail17trampoline_kernelINS0_14default_configENS1_25transform_config_selectorINS0_10empty_typeELb1EEEZNS1_14transform_implILb1ES3_S6_PS5_S8_NS0_8identityIS5_EEEE10hipError_tT2_T3_mT4_P12ihipStream_tbEUlT_E_NS1_11comp_targetILNS1_3genE8ELNS1_11target_archE1030ELNS1_3gpuE2ELNS1_3repE0EEENS1_30default_config_static_selectorELNS0_4arch9wavefront6targetE1EEEvT1_
	.p2align	8
	.type	_ZN7rocprim17ROCPRIM_400000_NS6detail17trampoline_kernelINS0_14default_configENS1_25transform_config_selectorINS0_10empty_typeELb1EEEZNS1_14transform_implILb1ES3_S6_PS5_S8_NS0_8identityIS5_EEEE10hipError_tT2_T3_mT4_P12ihipStream_tbEUlT_E_NS1_11comp_targetILNS1_3genE8ELNS1_11target_archE1030ELNS1_3gpuE2ELNS1_3repE0EEENS1_30default_config_static_selectorELNS0_4arch9wavefront6targetE1EEEvT1_,@function
_ZN7rocprim17ROCPRIM_400000_NS6detail17trampoline_kernelINS0_14default_configENS1_25transform_config_selectorINS0_10empty_typeELb1EEEZNS1_14transform_implILb1ES3_S6_PS5_S8_NS0_8identityIS5_EEEE10hipError_tT2_T3_mT4_P12ihipStream_tbEUlT_E_NS1_11comp_targetILNS1_3genE8ELNS1_11target_archE1030ELNS1_3gpuE2ELNS1_3repE0EEENS1_30default_config_static_selectorELNS0_4arch9wavefront6targetE1EEEvT1_: ; @_ZN7rocprim17ROCPRIM_400000_NS6detail17trampoline_kernelINS0_14default_configENS1_25transform_config_selectorINS0_10empty_typeELb1EEEZNS1_14transform_implILb1ES3_S6_PS5_S8_NS0_8identityIS5_EEEE10hipError_tT2_T3_mT4_P12ihipStream_tbEUlT_E_NS1_11comp_targetILNS1_3genE8ELNS1_11target_archE1030ELNS1_3gpuE2ELNS1_3repE0EEENS1_30default_config_static_selectorELNS0_4arch9wavefront6targetE1EEEvT1_
; %bb.0:
	.section	.rodata,"a",@progbits
	.p2align	6, 0x0
	.amdhsa_kernel _ZN7rocprim17ROCPRIM_400000_NS6detail17trampoline_kernelINS0_14default_configENS1_25transform_config_selectorINS0_10empty_typeELb1EEEZNS1_14transform_implILb1ES3_S6_PS5_S8_NS0_8identityIS5_EEEE10hipError_tT2_T3_mT4_P12ihipStream_tbEUlT_E_NS1_11comp_targetILNS1_3genE8ELNS1_11target_archE1030ELNS1_3gpuE2ELNS1_3repE0EEENS1_30default_config_static_selectorELNS0_4arch9wavefront6targetE1EEEvT1_
		.amdhsa_group_segment_fixed_size 0
		.amdhsa_private_segment_fixed_size 0
		.amdhsa_kernarg_size 40
		.amdhsa_user_sgpr_count 6
		.amdhsa_user_sgpr_private_segment_buffer 1
		.amdhsa_user_sgpr_dispatch_ptr 0
		.amdhsa_user_sgpr_queue_ptr 0
		.amdhsa_user_sgpr_kernarg_segment_ptr 1
		.amdhsa_user_sgpr_dispatch_id 0
		.amdhsa_user_sgpr_flat_scratch_init 0
		.amdhsa_user_sgpr_kernarg_preload_length 0
		.amdhsa_user_sgpr_kernarg_preload_offset 0
		.amdhsa_user_sgpr_private_segment_size 0
		.amdhsa_uses_dynamic_stack 0
		.amdhsa_system_sgpr_private_segment_wavefront_offset 0
		.amdhsa_system_sgpr_workgroup_id_x 1
		.amdhsa_system_sgpr_workgroup_id_y 0
		.amdhsa_system_sgpr_workgroup_id_z 0
		.amdhsa_system_sgpr_workgroup_info 0
		.amdhsa_system_vgpr_workitem_id 0
		.amdhsa_next_free_vgpr 1
		.amdhsa_next_free_sgpr 0
		.amdhsa_accum_offset 4
		.amdhsa_reserve_vcc 0
		.amdhsa_reserve_flat_scratch 0
		.amdhsa_float_round_mode_32 0
		.amdhsa_float_round_mode_16_64 0
		.amdhsa_float_denorm_mode_32 3
		.amdhsa_float_denorm_mode_16_64 3
		.amdhsa_dx10_clamp 1
		.amdhsa_ieee_mode 1
		.amdhsa_fp16_overflow 0
		.amdhsa_tg_split 0
		.amdhsa_exception_fp_ieee_invalid_op 0
		.amdhsa_exception_fp_denorm_src 0
		.amdhsa_exception_fp_ieee_div_zero 0
		.amdhsa_exception_fp_ieee_overflow 0
		.amdhsa_exception_fp_ieee_underflow 0
		.amdhsa_exception_fp_ieee_inexact 0
		.amdhsa_exception_int_div_zero 0
	.end_amdhsa_kernel
	.section	.text._ZN7rocprim17ROCPRIM_400000_NS6detail17trampoline_kernelINS0_14default_configENS1_25transform_config_selectorINS0_10empty_typeELb1EEEZNS1_14transform_implILb1ES3_S6_PS5_S8_NS0_8identityIS5_EEEE10hipError_tT2_T3_mT4_P12ihipStream_tbEUlT_E_NS1_11comp_targetILNS1_3genE8ELNS1_11target_archE1030ELNS1_3gpuE2ELNS1_3repE0EEENS1_30default_config_static_selectorELNS0_4arch9wavefront6targetE1EEEvT1_,"axG",@progbits,_ZN7rocprim17ROCPRIM_400000_NS6detail17trampoline_kernelINS0_14default_configENS1_25transform_config_selectorINS0_10empty_typeELb1EEEZNS1_14transform_implILb1ES3_S6_PS5_S8_NS0_8identityIS5_EEEE10hipError_tT2_T3_mT4_P12ihipStream_tbEUlT_E_NS1_11comp_targetILNS1_3genE8ELNS1_11target_archE1030ELNS1_3gpuE2ELNS1_3repE0EEENS1_30default_config_static_selectorELNS0_4arch9wavefront6targetE1EEEvT1_,comdat
.Lfunc_end57:
	.size	_ZN7rocprim17ROCPRIM_400000_NS6detail17trampoline_kernelINS0_14default_configENS1_25transform_config_selectorINS0_10empty_typeELb1EEEZNS1_14transform_implILb1ES3_S6_PS5_S8_NS0_8identityIS5_EEEE10hipError_tT2_T3_mT4_P12ihipStream_tbEUlT_E_NS1_11comp_targetILNS1_3genE8ELNS1_11target_archE1030ELNS1_3gpuE2ELNS1_3repE0EEENS1_30default_config_static_selectorELNS0_4arch9wavefront6targetE1EEEvT1_, .Lfunc_end57-_ZN7rocprim17ROCPRIM_400000_NS6detail17trampoline_kernelINS0_14default_configENS1_25transform_config_selectorINS0_10empty_typeELb1EEEZNS1_14transform_implILb1ES3_S6_PS5_S8_NS0_8identityIS5_EEEE10hipError_tT2_T3_mT4_P12ihipStream_tbEUlT_E_NS1_11comp_targetILNS1_3genE8ELNS1_11target_archE1030ELNS1_3gpuE2ELNS1_3repE0EEENS1_30default_config_static_selectorELNS0_4arch9wavefront6targetE1EEEvT1_
                                        ; -- End function
	.section	.AMDGPU.csdata,"",@progbits
; Kernel info:
; codeLenInByte = 0
; NumSgprs: 4
; NumVgprs: 0
; NumAgprs: 0
; TotalNumVgprs: 0
; ScratchSize: 0
; MemoryBound: 0
; FloatMode: 240
; IeeeMode: 1
; LDSByteSize: 0 bytes/workgroup (compile time only)
; SGPRBlocks: 0
; VGPRBlocks: 0
; NumSGPRsForWavesPerEU: 4
; NumVGPRsForWavesPerEU: 1
; AccumOffset: 4
; Occupancy: 8
; WaveLimiterHint : 0
; COMPUTE_PGM_RSRC2:SCRATCH_EN: 0
; COMPUTE_PGM_RSRC2:USER_SGPR: 6
; COMPUTE_PGM_RSRC2:TRAP_HANDLER: 0
; COMPUTE_PGM_RSRC2:TGID_X_EN: 1
; COMPUTE_PGM_RSRC2:TGID_Y_EN: 0
; COMPUTE_PGM_RSRC2:TGID_Z_EN: 0
; COMPUTE_PGM_RSRC2:TIDIG_COMP_CNT: 0
; COMPUTE_PGM_RSRC3_GFX90A:ACCUM_OFFSET: 0
; COMPUTE_PGM_RSRC3_GFX90A:TG_SPLIT: 0
	.section	.text._ZN7rocprim17ROCPRIM_400000_NS6detail17trampoline_kernelINS0_14default_configENS1_38merge_sort_block_merge_config_selectorIcNS0_10empty_typeEEEZZNS1_27merge_sort_block_merge_implIS3_PcPS5_jNS1_19radix_merge_compareILb0ELb1EcNS0_19identity_decomposerEEEEE10hipError_tT0_T1_T2_jT3_P12ihipStream_tbPNSt15iterator_traitsISE_E10value_typeEPNSK_ISF_E10value_typeEPSG_NS1_7vsmem_tEENKUlT_SE_SF_SG_E_clIS8_S8_S9_S9_EESD_ST_SE_SF_SG_EUlST_E_NS1_11comp_targetILNS1_3genE0ELNS1_11target_archE4294967295ELNS1_3gpuE0ELNS1_3repE0EEENS1_48merge_mergepath_partition_config_static_selectorELNS0_4arch9wavefront6targetE1EEEvSF_,"axG",@progbits,_ZN7rocprim17ROCPRIM_400000_NS6detail17trampoline_kernelINS0_14default_configENS1_38merge_sort_block_merge_config_selectorIcNS0_10empty_typeEEEZZNS1_27merge_sort_block_merge_implIS3_PcPS5_jNS1_19radix_merge_compareILb0ELb1EcNS0_19identity_decomposerEEEEE10hipError_tT0_T1_T2_jT3_P12ihipStream_tbPNSt15iterator_traitsISE_E10value_typeEPNSK_ISF_E10value_typeEPSG_NS1_7vsmem_tEENKUlT_SE_SF_SG_E_clIS8_S8_S9_S9_EESD_ST_SE_SF_SG_EUlST_E_NS1_11comp_targetILNS1_3genE0ELNS1_11target_archE4294967295ELNS1_3gpuE0ELNS1_3repE0EEENS1_48merge_mergepath_partition_config_static_selectorELNS0_4arch9wavefront6targetE1EEEvSF_,comdat
	.protected	_ZN7rocprim17ROCPRIM_400000_NS6detail17trampoline_kernelINS0_14default_configENS1_38merge_sort_block_merge_config_selectorIcNS0_10empty_typeEEEZZNS1_27merge_sort_block_merge_implIS3_PcPS5_jNS1_19radix_merge_compareILb0ELb1EcNS0_19identity_decomposerEEEEE10hipError_tT0_T1_T2_jT3_P12ihipStream_tbPNSt15iterator_traitsISE_E10value_typeEPNSK_ISF_E10value_typeEPSG_NS1_7vsmem_tEENKUlT_SE_SF_SG_E_clIS8_S8_S9_S9_EESD_ST_SE_SF_SG_EUlST_E_NS1_11comp_targetILNS1_3genE0ELNS1_11target_archE4294967295ELNS1_3gpuE0ELNS1_3repE0EEENS1_48merge_mergepath_partition_config_static_selectorELNS0_4arch9wavefront6targetE1EEEvSF_ ; -- Begin function _ZN7rocprim17ROCPRIM_400000_NS6detail17trampoline_kernelINS0_14default_configENS1_38merge_sort_block_merge_config_selectorIcNS0_10empty_typeEEEZZNS1_27merge_sort_block_merge_implIS3_PcPS5_jNS1_19radix_merge_compareILb0ELb1EcNS0_19identity_decomposerEEEEE10hipError_tT0_T1_T2_jT3_P12ihipStream_tbPNSt15iterator_traitsISE_E10value_typeEPNSK_ISF_E10value_typeEPSG_NS1_7vsmem_tEENKUlT_SE_SF_SG_E_clIS8_S8_S9_S9_EESD_ST_SE_SF_SG_EUlST_E_NS1_11comp_targetILNS1_3genE0ELNS1_11target_archE4294967295ELNS1_3gpuE0ELNS1_3repE0EEENS1_48merge_mergepath_partition_config_static_selectorELNS0_4arch9wavefront6targetE1EEEvSF_
	.globl	_ZN7rocprim17ROCPRIM_400000_NS6detail17trampoline_kernelINS0_14default_configENS1_38merge_sort_block_merge_config_selectorIcNS0_10empty_typeEEEZZNS1_27merge_sort_block_merge_implIS3_PcPS5_jNS1_19radix_merge_compareILb0ELb1EcNS0_19identity_decomposerEEEEE10hipError_tT0_T1_T2_jT3_P12ihipStream_tbPNSt15iterator_traitsISE_E10value_typeEPNSK_ISF_E10value_typeEPSG_NS1_7vsmem_tEENKUlT_SE_SF_SG_E_clIS8_S8_S9_S9_EESD_ST_SE_SF_SG_EUlST_E_NS1_11comp_targetILNS1_3genE0ELNS1_11target_archE4294967295ELNS1_3gpuE0ELNS1_3repE0EEENS1_48merge_mergepath_partition_config_static_selectorELNS0_4arch9wavefront6targetE1EEEvSF_
	.p2align	8
	.type	_ZN7rocprim17ROCPRIM_400000_NS6detail17trampoline_kernelINS0_14default_configENS1_38merge_sort_block_merge_config_selectorIcNS0_10empty_typeEEEZZNS1_27merge_sort_block_merge_implIS3_PcPS5_jNS1_19radix_merge_compareILb0ELb1EcNS0_19identity_decomposerEEEEE10hipError_tT0_T1_T2_jT3_P12ihipStream_tbPNSt15iterator_traitsISE_E10value_typeEPNSK_ISF_E10value_typeEPSG_NS1_7vsmem_tEENKUlT_SE_SF_SG_E_clIS8_S8_S9_S9_EESD_ST_SE_SF_SG_EUlST_E_NS1_11comp_targetILNS1_3genE0ELNS1_11target_archE4294967295ELNS1_3gpuE0ELNS1_3repE0EEENS1_48merge_mergepath_partition_config_static_selectorELNS0_4arch9wavefront6targetE1EEEvSF_,@function
_ZN7rocprim17ROCPRIM_400000_NS6detail17trampoline_kernelINS0_14default_configENS1_38merge_sort_block_merge_config_selectorIcNS0_10empty_typeEEEZZNS1_27merge_sort_block_merge_implIS3_PcPS5_jNS1_19radix_merge_compareILb0ELb1EcNS0_19identity_decomposerEEEEE10hipError_tT0_T1_T2_jT3_P12ihipStream_tbPNSt15iterator_traitsISE_E10value_typeEPNSK_ISF_E10value_typeEPSG_NS1_7vsmem_tEENKUlT_SE_SF_SG_E_clIS8_S8_S9_S9_EESD_ST_SE_SF_SG_EUlST_E_NS1_11comp_targetILNS1_3genE0ELNS1_11target_archE4294967295ELNS1_3gpuE0ELNS1_3repE0EEENS1_48merge_mergepath_partition_config_static_selectorELNS0_4arch9wavefront6targetE1EEEvSF_: ; @_ZN7rocprim17ROCPRIM_400000_NS6detail17trampoline_kernelINS0_14default_configENS1_38merge_sort_block_merge_config_selectorIcNS0_10empty_typeEEEZZNS1_27merge_sort_block_merge_implIS3_PcPS5_jNS1_19radix_merge_compareILb0ELb1EcNS0_19identity_decomposerEEEEE10hipError_tT0_T1_T2_jT3_P12ihipStream_tbPNSt15iterator_traitsISE_E10value_typeEPNSK_ISF_E10value_typeEPSG_NS1_7vsmem_tEENKUlT_SE_SF_SG_E_clIS8_S8_S9_S9_EESD_ST_SE_SF_SG_EUlST_E_NS1_11comp_targetILNS1_3genE0ELNS1_11target_archE4294967295ELNS1_3gpuE0ELNS1_3repE0EEENS1_48merge_mergepath_partition_config_static_selectorELNS0_4arch9wavefront6targetE1EEEvSF_
; %bb.0:
	.section	.rodata,"a",@progbits
	.p2align	6, 0x0
	.amdhsa_kernel _ZN7rocprim17ROCPRIM_400000_NS6detail17trampoline_kernelINS0_14default_configENS1_38merge_sort_block_merge_config_selectorIcNS0_10empty_typeEEEZZNS1_27merge_sort_block_merge_implIS3_PcPS5_jNS1_19radix_merge_compareILb0ELb1EcNS0_19identity_decomposerEEEEE10hipError_tT0_T1_T2_jT3_P12ihipStream_tbPNSt15iterator_traitsISE_E10value_typeEPNSK_ISF_E10value_typeEPSG_NS1_7vsmem_tEENKUlT_SE_SF_SG_E_clIS8_S8_S9_S9_EESD_ST_SE_SF_SG_EUlST_E_NS1_11comp_targetILNS1_3genE0ELNS1_11target_archE4294967295ELNS1_3gpuE0ELNS1_3repE0EEENS1_48merge_mergepath_partition_config_static_selectorELNS0_4arch9wavefront6targetE1EEEvSF_
		.amdhsa_group_segment_fixed_size 0
		.amdhsa_private_segment_fixed_size 0
		.amdhsa_kernarg_size 40
		.amdhsa_user_sgpr_count 6
		.amdhsa_user_sgpr_private_segment_buffer 1
		.amdhsa_user_sgpr_dispatch_ptr 0
		.amdhsa_user_sgpr_queue_ptr 0
		.amdhsa_user_sgpr_kernarg_segment_ptr 1
		.amdhsa_user_sgpr_dispatch_id 0
		.amdhsa_user_sgpr_flat_scratch_init 0
		.amdhsa_user_sgpr_kernarg_preload_length 0
		.amdhsa_user_sgpr_kernarg_preload_offset 0
		.amdhsa_user_sgpr_private_segment_size 0
		.amdhsa_uses_dynamic_stack 0
		.amdhsa_system_sgpr_private_segment_wavefront_offset 0
		.amdhsa_system_sgpr_workgroup_id_x 1
		.amdhsa_system_sgpr_workgroup_id_y 0
		.amdhsa_system_sgpr_workgroup_id_z 0
		.amdhsa_system_sgpr_workgroup_info 0
		.amdhsa_system_vgpr_workitem_id 0
		.amdhsa_next_free_vgpr 1
		.amdhsa_next_free_sgpr 0
		.amdhsa_accum_offset 4
		.amdhsa_reserve_vcc 0
		.amdhsa_reserve_flat_scratch 0
		.amdhsa_float_round_mode_32 0
		.amdhsa_float_round_mode_16_64 0
		.amdhsa_float_denorm_mode_32 3
		.amdhsa_float_denorm_mode_16_64 3
		.amdhsa_dx10_clamp 1
		.amdhsa_ieee_mode 1
		.amdhsa_fp16_overflow 0
		.amdhsa_tg_split 0
		.amdhsa_exception_fp_ieee_invalid_op 0
		.amdhsa_exception_fp_denorm_src 0
		.amdhsa_exception_fp_ieee_div_zero 0
		.amdhsa_exception_fp_ieee_overflow 0
		.amdhsa_exception_fp_ieee_underflow 0
		.amdhsa_exception_fp_ieee_inexact 0
		.amdhsa_exception_int_div_zero 0
	.end_amdhsa_kernel
	.section	.text._ZN7rocprim17ROCPRIM_400000_NS6detail17trampoline_kernelINS0_14default_configENS1_38merge_sort_block_merge_config_selectorIcNS0_10empty_typeEEEZZNS1_27merge_sort_block_merge_implIS3_PcPS5_jNS1_19radix_merge_compareILb0ELb1EcNS0_19identity_decomposerEEEEE10hipError_tT0_T1_T2_jT3_P12ihipStream_tbPNSt15iterator_traitsISE_E10value_typeEPNSK_ISF_E10value_typeEPSG_NS1_7vsmem_tEENKUlT_SE_SF_SG_E_clIS8_S8_S9_S9_EESD_ST_SE_SF_SG_EUlST_E_NS1_11comp_targetILNS1_3genE0ELNS1_11target_archE4294967295ELNS1_3gpuE0ELNS1_3repE0EEENS1_48merge_mergepath_partition_config_static_selectorELNS0_4arch9wavefront6targetE1EEEvSF_,"axG",@progbits,_ZN7rocprim17ROCPRIM_400000_NS6detail17trampoline_kernelINS0_14default_configENS1_38merge_sort_block_merge_config_selectorIcNS0_10empty_typeEEEZZNS1_27merge_sort_block_merge_implIS3_PcPS5_jNS1_19radix_merge_compareILb0ELb1EcNS0_19identity_decomposerEEEEE10hipError_tT0_T1_T2_jT3_P12ihipStream_tbPNSt15iterator_traitsISE_E10value_typeEPNSK_ISF_E10value_typeEPSG_NS1_7vsmem_tEENKUlT_SE_SF_SG_E_clIS8_S8_S9_S9_EESD_ST_SE_SF_SG_EUlST_E_NS1_11comp_targetILNS1_3genE0ELNS1_11target_archE4294967295ELNS1_3gpuE0ELNS1_3repE0EEENS1_48merge_mergepath_partition_config_static_selectorELNS0_4arch9wavefront6targetE1EEEvSF_,comdat
.Lfunc_end58:
	.size	_ZN7rocprim17ROCPRIM_400000_NS6detail17trampoline_kernelINS0_14default_configENS1_38merge_sort_block_merge_config_selectorIcNS0_10empty_typeEEEZZNS1_27merge_sort_block_merge_implIS3_PcPS5_jNS1_19radix_merge_compareILb0ELb1EcNS0_19identity_decomposerEEEEE10hipError_tT0_T1_T2_jT3_P12ihipStream_tbPNSt15iterator_traitsISE_E10value_typeEPNSK_ISF_E10value_typeEPSG_NS1_7vsmem_tEENKUlT_SE_SF_SG_E_clIS8_S8_S9_S9_EESD_ST_SE_SF_SG_EUlST_E_NS1_11comp_targetILNS1_3genE0ELNS1_11target_archE4294967295ELNS1_3gpuE0ELNS1_3repE0EEENS1_48merge_mergepath_partition_config_static_selectorELNS0_4arch9wavefront6targetE1EEEvSF_, .Lfunc_end58-_ZN7rocprim17ROCPRIM_400000_NS6detail17trampoline_kernelINS0_14default_configENS1_38merge_sort_block_merge_config_selectorIcNS0_10empty_typeEEEZZNS1_27merge_sort_block_merge_implIS3_PcPS5_jNS1_19radix_merge_compareILb0ELb1EcNS0_19identity_decomposerEEEEE10hipError_tT0_T1_T2_jT3_P12ihipStream_tbPNSt15iterator_traitsISE_E10value_typeEPNSK_ISF_E10value_typeEPSG_NS1_7vsmem_tEENKUlT_SE_SF_SG_E_clIS8_S8_S9_S9_EESD_ST_SE_SF_SG_EUlST_E_NS1_11comp_targetILNS1_3genE0ELNS1_11target_archE4294967295ELNS1_3gpuE0ELNS1_3repE0EEENS1_48merge_mergepath_partition_config_static_selectorELNS0_4arch9wavefront6targetE1EEEvSF_
                                        ; -- End function
	.section	.AMDGPU.csdata,"",@progbits
; Kernel info:
; codeLenInByte = 0
; NumSgprs: 4
; NumVgprs: 0
; NumAgprs: 0
; TotalNumVgprs: 0
; ScratchSize: 0
; MemoryBound: 0
; FloatMode: 240
; IeeeMode: 1
; LDSByteSize: 0 bytes/workgroup (compile time only)
; SGPRBlocks: 0
; VGPRBlocks: 0
; NumSGPRsForWavesPerEU: 4
; NumVGPRsForWavesPerEU: 1
; AccumOffset: 4
; Occupancy: 8
; WaveLimiterHint : 0
; COMPUTE_PGM_RSRC2:SCRATCH_EN: 0
; COMPUTE_PGM_RSRC2:USER_SGPR: 6
; COMPUTE_PGM_RSRC2:TRAP_HANDLER: 0
; COMPUTE_PGM_RSRC2:TGID_X_EN: 1
; COMPUTE_PGM_RSRC2:TGID_Y_EN: 0
; COMPUTE_PGM_RSRC2:TGID_Z_EN: 0
; COMPUTE_PGM_RSRC2:TIDIG_COMP_CNT: 0
; COMPUTE_PGM_RSRC3_GFX90A:ACCUM_OFFSET: 0
; COMPUTE_PGM_RSRC3_GFX90A:TG_SPLIT: 0
	.section	.text._ZN7rocprim17ROCPRIM_400000_NS6detail17trampoline_kernelINS0_14default_configENS1_38merge_sort_block_merge_config_selectorIcNS0_10empty_typeEEEZZNS1_27merge_sort_block_merge_implIS3_PcPS5_jNS1_19radix_merge_compareILb0ELb1EcNS0_19identity_decomposerEEEEE10hipError_tT0_T1_T2_jT3_P12ihipStream_tbPNSt15iterator_traitsISE_E10value_typeEPNSK_ISF_E10value_typeEPSG_NS1_7vsmem_tEENKUlT_SE_SF_SG_E_clIS8_S8_S9_S9_EESD_ST_SE_SF_SG_EUlST_E_NS1_11comp_targetILNS1_3genE10ELNS1_11target_archE1201ELNS1_3gpuE5ELNS1_3repE0EEENS1_48merge_mergepath_partition_config_static_selectorELNS0_4arch9wavefront6targetE1EEEvSF_,"axG",@progbits,_ZN7rocprim17ROCPRIM_400000_NS6detail17trampoline_kernelINS0_14default_configENS1_38merge_sort_block_merge_config_selectorIcNS0_10empty_typeEEEZZNS1_27merge_sort_block_merge_implIS3_PcPS5_jNS1_19radix_merge_compareILb0ELb1EcNS0_19identity_decomposerEEEEE10hipError_tT0_T1_T2_jT3_P12ihipStream_tbPNSt15iterator_traitsISE_E10value_typeEPNSK_ISF_E10value_typeEPSG_NS1_7vsmem_tEENKUlT_SE_SF_SG_E_clIS8_S8_S9_S9_EESD_ST_SE_SF_SG_EUlST_E_NS1_11comp_targetILNS1_3genE10ELNS1_11target_archE1201ELNS1_3gpuE5ELNS1_3repE0EEENS1_48merge_mergepath_partition_config_static_selectorELNS0_4arch9wavefront6targetE1EEEvSF_,comdat
	.protected	_ZN7rocprim17ROCPRIM_400000_NS6detail17trampoline_kernelINS0_14default_configENS1_38merge_sort_block_merge_config_selectorIcNS0_10empty_typeEEEZZNS1_27merge_sort_block_merge_implIS3_PcPS5_jNS1_19radix_merge_compareILb0ELb1EcNS0_19identity_decomposerEEEEE10hipError_tT0_T1_T2_jT3_P12ihipStream_tbPNSt15iterator_traitsISE_E10value_typeEPNSK_ISF_E10value_typeEPSG_NS1_7vsmem_tEENKUlT_SE_SF_SG_E_clIS8_S8_S9_S9_EESD_ST_SE_SF_SG_EUlST_E_NS1_11comp_targetILNS1_3genE10ELNS1_11target_archE1201ELNS1_3gpuE5ELNS1_3repE0EEENS1_48merge_mergepath_partition_config_static_selectorELNS0_4arch9wavefront6targetE1EEEvSF_ ; -- Begin function _ZN7rocprim17ROCPRIM_400000_NS6detail17trampoline_kernelINS0_14default_configENS1_38merge_sort_block_merge_config_selectorIcNS0_10empty_typeEEEZZNS1_27merge_sort_block_merge_implIS3_PcPS5_jNS1_19radix_merge_compareILb0ELb1EcNS0_19identity_decomposerEEEEE10hipError_tT0_T1_T2_jT3_P12ihipStream_tbPNSt15iterator_traitsISE_E10value_typeEPNSK_ISF_E10value_typeEPSG_NS1_7vsmem_tEENKUlT_SE_SF_SG_E_clIS8_S8_S9_S9_EESD_ST_SE_SF_SG_EUlST_E_NS1_11comp_targetILNS1_3genE10ELNS1_11target_archE1201ELNS1_3gpuE5ELNS1_3repE0EEENS1_48merge_mergepath_partition_config_static_selectorELNS0_4arch9wavefront6targetE1EEEvSF_
	.globl	_ZN7rocprim17ROCPRIM_400000_NS6detail17trampoline_kernelINS0_14default_configENS1_38merge_sort_block_merge_config_selectorIcNS0_10empty_typeEEEZZNS1_27merge_sort_block_merge_implIS3_PcPS5_jNS1_19radix_merge_compareILb0ELb1EcNS0_19identity_decomposerEEEEE10hipError_tT0_T1_T2_jT3_P12ihipStream_tbPNSt15iterator_traitsISE_E10value_typeEPNSK_ISF_E10value_typeEPSG_NS1_7vsmem_tEENKUlT_SE_SF_SG_E_clIS8_S8_S9_S9_EESD_ST_SE_SF_SG_EUlST_E_NS1_11comp_targetILNS1_3genE10ELNS1_11target_archE1201ELNS1_3gpuE5ELNS1_3repE0EEENS1_48merge_mergepath_partition_config_static_selectorELNS0_4arch9wavefront6targetE1EEEvSF_
	.p2align	8
	.type	_ZN7rocprim17ROCPRIM_400000_NS6detail17trampoline_kernelINS0_14default_configENS1_38merge_sort_block_merge_config_selectorIcNS0_10empty_typeEEEZZNS1_27merge_sort_block_merge_implIS3_PcPS5_jNS1_19radix_merge_compareILb0ELb1EcNS0_19identity_decomposerEEEEE10hipError_tT0_T1_T2_jT3_P12ihipStream_tbPNSt15iterator_traitsISE_E10value_typeEPNSK_ISF_E10value_typeEPSG_NS1_7vsmem_tEENKUlT_SE_SF_SG_E_clIS8_S8_S9_S9_EESD_ST_SE_SF_SG_EUlST_E_NS1_11comp_targetILNS1_3genE10ELNS1_11target_archE1201ELNS1_3gpuE5ELNS1_3repE0EEENS1_48merge_mergepath_partition_config_static_selectorELNS0_4arch9wavefront6targetE1EEEvSF_,@function
_ZN7rocprim17ROCPRIM_400000_NS6detail17trampoline_kernelINS0_14default_configENS1_38merge_sort_block_merge_config_selectorIcNS0_10empty_typeEEEZZNS1_27merge_sort_block_merge_implIS3_PcPS5_jNS1_19radix_merge_compareILb0ELb1EcNS0_19identity_decomposerEEEEE10hipError_tT0_T1_T2_jT3_P12ihipStream_tbPNSt15iterator_traitsISE_E10value_typeEPNSK_ISF_E10value_typeEPSG_NS1_7vsmem_tEENKUlT_SE_SF_SG_E_clIS8_S8_S9_S9_EESD_ST_SE_SF_SG_EUlST_E_NS1_11comp_targetILNS1_3genE10ELNS1_11target_archE1201ELNS1_3gpuE5ELNS1_3repE0EEENS1_48merge_mergepath_partition_config_static_selectorELNS0_4arch9wavefront6targetE1EEEvSF_: ; @_ZN7rocprim17ROCPRIM_400000_NS6detail17trampoline_kernelINS0_14default_configENS1_38merge_sort_block_merge_config_selectorIcNS0_10empty_typeEEEZZNS1_27merge_sort_block_merge_implIS3_PcPS5_jNS1_19radix_merge_compareILb0ELb1EcNS0_19identity_decomposerEEEEE10hipError_tT0_T1_T2_jT3_P12ihipStream_tbPNSt15iterator_traitsISE_E10value_typeEPNSK_ISF_E10value_typeEPSG_NS1_7vsmem_tEENKUlT_SE_SF_SG_E_clIS8_S8_S9_S9_EESD_ST_SE_SF_SG_EUlST_E_NS1_11comp_targetILNS1_3genE10ELNS1_11target_archE1201ELNS1_3gpuE5ELNS1_3repE0EEENS1_48merge_mergepath_partition_config_static_selectorELNS0_4arch9wavefront6targetE1EEEvSF_
; %bb.0:
	.section	.rodata,"a",@progbits
	.p2align	6, 0x0
	.amdhsa_kernel _ZN7rocprim17ROCPRIM_400000_NS6detail17trampoline_kernelINS0_14default_configENS1_38merge_sort_block_merge_config_selectorIcNS0_10empty_typeEEEZZNS1_27merge_sort_block_merge_implIS3_PcPS5_jNS1_19radix_merge_compareILb0ELb1EcNS0_19identity_decomposerEEEEE10hipError_tT0_T1_T2_jT3_P12ihipStream_tbPNSt15iterator_traitsISE_E10value_typeEPNSK_ISF_E10value_typeEPSG_NS1_7vsmem_tEENKUlT_SE_SF_SG_E_clIS8_S8_S9_S9_EESD_ST_SE_SF_SG_EUlST_E_NS1_11comp_targetILNS1_3genE10ELNS1_11target_archE1201ELNS1_3gpuE5ELNS1_3repE0EEENS1_48merge_mergepath_partition_config_static_selectorELNS0_4arch9wavefront6targetE1EEEvSF_
		.amdhsa_group_segment_fixed_size 0
		.amdhsa_private_segment_fixed_size 0
		.amdhsa_kernarg_size 40
		.amdhsa_user_sgpr_count 6
		.amdhsa_user_sgpr_private_segment_buffer 1
		.amdhsa_user_sgpr_dispatch_ptr 0
		.amdhsa_user_sgpr_queue_ptr 0
		.amdhsa_user_sgpr_kernarg_segment_ptr 1
		.amdhsa_user_sgpr_dispatch_id 0
		.amdhsa_user_sgpr_flat_scratch_init 0
		.amdhsa_user_sgpr_kernarg_preload_length 0
		.amdhsa_user_sgpr_kernarg_preload_offset 0
		.amdhsa_user_sgpr_private_segment_size 0
		.amdhsa_uses_dynamic_stack 0
		.amdhsa_system_sgpr_private_segment_wavefront_offset 0
		.amdhsa_system_sgpr_workgroup_id_x 1
		.amdhsa_system_sgpr_workgroup_id_y 0
		.amdhsa_system_sgpr_workgroup_id_z 0
		.amdhsa_system_sgpr_workgroup_info 0
		.amdhsa_system_vgpr_workitem_id 0
		.amdhsa_next_free_vgpr 1
		.amdhsa_next_free_sgpr 0
		.amdhsa_accum_offset 4
		.amdhsa_reserve_vcc 0
		.amdhsa_reserve_flat_scratch 0
		.amdhsa_float_round_mode_32 0
		.amdhsa_float_round_mode_16_64 0
		.amdhsa_float_denorm_mode_32 3
		.amdhsa_float_denorm_mode_16_64 3
		.amdhsa_dx10_clamp 1
		.amdhsa_ieee_mode 1
		.amdhsa_fp16_overflow 0
		.amdhsa_tg_split 0
		.amdhsa_exception_fp_ieee_invalid_op 0
		.amdhsa_exception_fp_denorm_src 0
		.amdhsa_exception_fp_ieee_div_zero 0
		.amdhsa_exception_fp_ieee_overflow 0
		.amdhsa_exception_fp_ieee_underflow 0
		.amdhsa_exception_fp_ieee_inexact 0
		.amdhsa_exception_int_div_zero 0
	.end_amdhsa_kernel
	.section	.text._ZN7rocprim17ROCPRIM_400000_NS6detail17trampoline_kernelINS0_14default_configENS1_38merge_sort_block_merge_config_selectorIcNS0_10empty_typeEEEZZNS1_27merge_sort_block_merge_implIS3_PcPS5_jNS1_19radix_merge_compareILb0ELb1EcNS0_19identity_decomposerEEEEE10hipError_tT0_T1_T2_jT3_P12ihipStream_tbPNSt15iterator_traitsISE_E10value_typeEPNSK_ISF_E10value_typeEPSG_NS1_7vsmem_tEENKUlT_SE_SF_SG_E_clIS8_S8_S9_S9_EESD_ST_SE_SF_SG_EUlST_E_NS1_11comp_targetILNS1_3genE10ELNS1_11target_archE1201ELNS1_3gpuE5ELNS1_3repE0EEENS1_48merge_mergepath_partition_config_static_selectorELNS0_4arch9wavefront6targetE1EEEvSF_,"axG",@progbits,_ZN7rocprim17ROCPRIM_400000_NS6detail17trampoline_kernelINS0_14default_configENS1_38merge_sort_block_merge_config_selectorIcNS0_10empty_typeEEEZZNS1_27merge_sort_block_merge_implIS3_PcPS5_jNS1_19radix_merge_compareILb0ELb1EcNS0_19identity_decomposerEEEEE10hipError_tT0_T1_T2_jT3_P12ihipStream_tbPNSt15iterator_traitsISE_E10value_typeEPNSK_ISF_E10value_typeEPSG_NS1_7vsmem_tEENKUlT_SE_SF_SG_E_clIS8_S8_S9_S9_EESD_ST_SE_SF_SG_EUlST_E_NS1_11comp_targetILNS1_3genE10ELNS1_11target_archE1201ELNS1_3gpuE5ELNS1_3repE0EEENS1_48merge_mergepath_partition_config_static_selectorELNS0_4arch9wavefront6targetE1EEEvSF_,comdat
.Lfunc_end59:
	.size	_ZN7rocprim17ROCPRIM_400000_NS6detail17trampoline_kernelINS0_14default_configENS1_38merge_sort_block_merge_config_selectorIcNS0_10empty_typeEEEZZNS1_27merge_sort_block_merge_implIS3_PcPS5_jNS1_19radix_merge_compareILb0ELb1EcNS0_19identity_decomposerEEEEE10hipError_tT0_T1_T2_jT3_P12ihipStream_tbPNSt15iterator_traitsISE_E10value_typeEPNSK_ISF_E10value_typeEPSG_NS1_7vsmem_tEENKUlT_SE_SF_SG_E_clIS8_S8_S9_S9_EESD_ST_SE_SF_SG_EUlST_E_NS1_11comp_targetILNS1_3genE10ELNS1_11target_archE1201ELNS1_3gpuE5ELNS1_3repE0EEENS1_48merge_mergepath_partition_config_static_selectorELNS0_4arch9wavefront6targetE1EEEvSF_, .Lfunc_end59-_ZN7rocprim17ROCPRIM_400000_NS6detail17trampoline_kernelINS0_14default_configENS1_38merge_sort_block_merge_config_selectorIcNS0_10empty_typeEEEZZNS1_27merge_sort_block_merge_implIS3_PcPS5_jNS1_19radix_merge_compareILb0ELb1EcNS0_19identity_decomposerEEEEE10hipError_tT0_T1_T2_jT3_P12ihipStream_tbPNSt15iterator_traitsISE_E10value_typeEPNSK_ISF_E10value_typeEPSG_NS1_7vsmem_tEENKUlT_SE_SF_SG_E_clIS8_S8_S9_S9_EESD_ST_SE_SF_SG_EUlST_E_NS1_11comp_targetILNS1_3genE10ELNS1_11target_archE1201ELNS1_3gpuE5ELNS1_3repE0EEENS1_48merge_mergepath_partition_config_static_selectorELNS0_4arch9wavefront6targetE1EEEvSF_
                                        ; -- End function
	.section	.AMDGPU.csdata,"",@progbits
; Kernel info:
; codeLenInByte = 0
; NumSgprs: 4
; NumVgprs: 0
; NumAgprs: 0
; TotalNumVgprs: 0
; ScratchSize: 0
; MemoryBound: 0
; FloatMode: 240
; IeeeMode: 1
; LDSByteSize: 0 bytes/workgroup (compile time only)
; SGPRBlocks: 0
; VGPRBlocks: 0
; NumSGPRsForWavesPerEU: 4
; NumVGPRsForWavesPerEU: 1
; AccumOffset: 4
; Occupancy: 8
; WaveLimiterHint : 0
; COMPUTE_PGM_RSRC2:SCRATCH_EN: 0
; COMPUTE_PGM_RSRC2:USER_SGPR: 6
; COMPUTE_PGM_RSRC2:TRAP_HANDLER: 0
; COMPUTE_PGM_RSRC2:TGID_X_EN: 1
; COMPUTE_PGM_RSRC2:TGID_Y_EN: 0
; COMPUTE_PGM_RSRC2:TGID_Z_EN: 0
; COMPUTE_PGM_RSRC2:TIDIG_COMP_CNT: 0
; COMPUTE_PGM_RSRC3_GFX90A:ACCUM_OFFSET: 0
; COMPUTE_PGM_RSRC3_GFX90A:TG_SPLIT: 0
	.section	.text._ZN7rocprim17ROCPRIM_400000_NS6detail17trampoline_kernelINS0_14default_configENS1_38merge_sort_block_merge_config_selectorIcNS0_10empty_typeEEEZZNS1_27merge_sort_block_merge_implIS3_PcPS5_jNS1_19radix_merge_compareILb0ELb1EcNS0_19identity_decomposerEEEEE10hipError_tT0_T1_T2_jT3_P12ihipStream_tbPNSt15iterator_traitsISE_E10value_typeEPNSK_ISF_E10value_typeEPSG_NS1_7vsmem_tEENKUlT_SE_SF_SG_E_clIS8_S8_S9_S9_EESD_ST_SE_SF_SG_EUlST_E_NS1_11comp_targetILNS1_3genE5ELNS1_11target_archE942ELNS1_3gpuE9ELNS1_3repE0EEENS1_48merge_mergepath_partition_config_static_selectorELNS0_4arch9wavefront6targetE1EEEvSF_,"axG",@progbits,_ZN7rocprim17ROCPRIM_400000_NS6detail17trampoline_kernelINS0_14default_configENS1_38merge_sort_block_merge_config_selectorIcNS0_10empty_typeEEEZZNS1_27merge_sort_block_merge_implIS3_PcPS5_jNS1_19radix_merge_compareILb0ELb1EcNS0_19identity_decomposerEEEEE10hipError_tT0_T1_T2_jT3_P12ihipStream_tbPNSt15iterator_traitsISE_E10value_typeEPNSK_ISF_E10value_typeEPSG_NS1_7vsmem_tEENKUlT_SE_SF_SG_E_clIS8_S8_S9_S9_EESD_ST_SE_SF_SG_EUlST_E_NS1_11comp_targetILNS1_3genE5ELNS1_11target_archE942ELNS1_3gpuE9ELNS1_3repE0EEENS1_48merge_mergepath_partition_config_static_selectorELNS0_4arch9wavefront6targetE1EEEvSF_,comdat
	.protected	_ZN7rocprim17ROCPRIM_400000_NS6detail17trampoline_kernelINS0_14default_configENS1_38merge_sort_block_merge_config_selectorIcNS0_10empty_typeEEEZZNS1_27merge_sort_block_merge_implIS3_PcPS5_jNS1_19radix_merge_compareILb0ELb1EcNS0_19identity_decomposerEEEEE10hipError_tT0_T1_T2_jT3_P12ihipStream_tbPNSt15iterator_traitsISE_E10value_typeEPNSK_ISF_E10value_typeEPSG_NS1_7vsmem_tEENKUlT_SE_SF_SG_E_clIS8_S8_S9_S9_EESD_ST_SE_SF_SG_EUlST_E_NS1_11comp_targetILNS1_3genE5ELNS1_11target_archE942ELNS1_3gpuE9ELNS1_3repE0EEENS1_48merge_mergepath_partition_config_static_selectorELNS0_4arch9wavefront6targetE1EEEvSF_ ; -- Begin function _ZN7rocprim17ROCPRIM_400000_NS6detail17trampoline_kernelINS0_14default_configENS1_38merge_sort_block_merge_config_selectorIcNS0_10empty_typeEEEZZNS1_27merge_sort_block_merge_implIS3_PcPS5_jNS1_19radix_merge_compareILb0ELb1EcNS0_19identity_decomposerEEEEE10hipError_tT0_T1_T2_jT3_P12ihipStream_tbPNSt15iterator_traitsISE_E10value_typeEPNSK_ISF_E10value_typeEPSG_NS1_7vsmem_tEENKUlT_SE_SF_SG_E_clIS8_S8_S9_S9_EESD_ST_SE_SF_SG_EUlST_E_NS1_11comp_targetILNS1_3genE5ELNS1_11target_archE942ELNS1_3gpuE9ELNS1_3repE0EEENS1_48merge_mergepath_partition_config_static_selectorELNS0_4arch9wavefront6targetE1EEEvSF_
	.globl	_ZN7rocprim17ROCPRIM_400000_NS6detail17trampoline_kernelINS0_14default_configENS1_38merge_sort_block_merge_config_selectorIcNS0_10empty_typeEEEZZNS1_27merge_sort_block_merge_implIS3_PcPS5_jNS1_19radix_merge_compareILb0ELb1EcNS0_19identity_decomposerEEEEE10hipError_tT0_T1_T2_jT3_P12ihipStream_tbPNSt15iterator_traitsISE_E10value_typeEPNSK_ISF_E10value_typeEPSG_NS1_7vsmem_tEENKUlT_SE_SF_SG_E_clIS8_S8_S9_S9_EESD_ST_SE_SF_SG_EUlST_E_NS1_11comp_targetILNS1_3genE5ELNS1_11target_archE942ELNS1_3gpuE9ELNS1_3repE0EEENS1_48merge_mergepath_partition_config_static_selectorELNS0_4arch9wavefront6targetE1EEEvSF_
	.p2align	8
	.type	_ZN7rocprim17ROCPRIM_400000_NS6detail17trampoline_kernelINS0_14default_configENS1_38merge_sort_block_merge_config_selectorIcNS0_10empty_typeEEEZZNS1_27merge_sort_block_merge_implIS3_PcPS5_jNS1_19radix_merge_compareILb0ELb1EcNS0_19identity_decomposerEEEEE10hipError_tT0_T1_T2_jT3_P12ihipStream_tbPNSt15iterator_traitsISE_E10value_typeEPNSK_ISF_E10value_typeEPSG_NS1_7vsmem_tEENKUlT_SE_SF_SG_E_clIS8_S8_S9_S9_EESD_ST_SE_SF_SG_EUlST_E_NS1_11comp_targetILNS1_3genE5ELNS1_11target_archE942ELNS1_3gpuE9ELNS1_3repE0EEENS1_48merge_mergepath_partition_config_static_selectorELNS0_4arch9wavefront6targetE1EEEvSF_,@function
_ZN7rocprim17ROCPRIM_400000_NS6detail17trampoline_kernelINS0_14default_configENS1_38merge_sort_block_merge_config_selectorIcNS0_10empty_typeEEEZZNS1_27merge_sort_block_merge_implIS3_PcPS5_jNS1_19radix_merge_compareILb0ELb1EcNS0_19identity_decomposerEEEEE10hipError_tT0_T1_T2_jT3_P12ihipStream_tbPNSt15iterator_traitsISE_E10value_typeEPNSK_ISF_E10value_typeEPSG_NS1_7vsmem_tEENKUlT_SE_SF_SG_E_clIS8_S8_S9_S9_EESD_ST_SE_SF_SG_EUlST_E_NS1_11comp_targetILNS1_3genE5ELNS1_11target_archE942ELNS1_3gpuE9ELNS1_3repE0EEENS1_48merge_mergepath_partition_config_static_selectorELNS0_4arch9wavefront6targetE1EEEvSF_: ; @_ZN7rocprim17ROCPRIM_400000_NS6detail17trampoline_kernelINS0_14default_configENS1_38merge_sort_block_merge_config_selectorIcNS0_10empty_typeEEEZZNS1_27merge_sort_block_merge_implIS3_PcPS5_jNS1_19radix_merge_compareILb0ELb1EcNS0_19identity_decomposerEEEEE10hipError_tT0_T1_T2_jT3_P12ihipStream_tbPNSt15iterator_traitsISE_E10value_typeEPNSK_ISF_E10value_typeEPSG_NS1_7vsmem_tEENKUlT_SE_SF_SG_E_clIS8_S8_S9_S9_EESD_ST_SE_SF_SG_EUlST_E_NS1_11comp_targetILNS1_3genE5ELNS1_11target_archE942ELNS1_3gpuE9ELNS1_3repE0EEENS1_48merge_mergepath_partition_config_static_selectorELNS0_4arch9wavefront6targetE1EEEvSF_
; %bb.0:
	.section	.rodata,"a",@progbits
	.p2align	6, 0x0
	.amdhsa_kernel _ZN7rocprim17ROCPRIM_400000_NS6detail17trampoline_kernelINS0_14default_configENS1_38merge_sort_block_merge_config_selectorIcNS0_10empty_typeEEEZZNS1_27merge_sort_block_merge_implIS3_PcPS5_jNS1_19radix_merge_compareILb0ELb1EcNS0_19identity_decomposerEEEEE10hipError_tT0_T1_T2_jT3_P12ihipStream_tbPNSt15iterator_traitsISE_E10value_typeEPNSK_ISF_E10value_typeEPSG_NS1_7vsmem_tEENKUlT_SE_SF_SG_E_clIS8_S8_S9_S9_EESD_ST_SE_SF_SG_EUlST_E_NS1_11comp_targetILNS1_3genE5ELNS1_11target_archE942ELNS1_3gpuE9ELNS1_3repE0EEENS1_48merge_mergepath_partition_config_static_selectorELNS0_4arch9wavefront6targetE1EEEvSF_
		.amdhsa_group_segment_fixed_size 0
		.amdhsa_private_segment_fixed_size 0
		.amdhsa_kernarg_size 40
		.amdhsa_user_sgpr_count 6
		.amdhsa_user_sgpr_private_segment_buffer 1
		.amdhsa_user_sgpr_dispatch_ptr 0
		.amdhsa_user_sgpr_queue_ptr 0
		.amdhsa_user_sgpr_kernarg_segment_ptr 1
		.amdhsa_user_sgpr_dispatch_id 0
		.amdhsa_user_sgpr_flat_scratch_init 0
		.amdhsa_user_sgpr_kernarg_preload_length 0
		.amdhsa_user_sgpr_kernarg_preload_offset 0
		.amdhsa_user_sgpr_private_segment_size 0
		.amdhsa_uses_dynamic_stack 0
		.amdhsa_system_sgpr_private_segment_wavefront_offset 0
		.amdhsa_system_sgpr_workgroup_id_x 1
		.amdhsa_system_sgpr_workgroup_id_y 0
		.amdhsa_system_sgpr_workgroup_id_z 0
		.amdhsa_system_sgpr_workgroup_info 0
		.amdhsa_system_vgpr_workitem_id 0
		.amdhsa_next_free_vgpr 1
		.amdhsa_next_free_sgpr 0
		.amdhsa_accum_offset 4
		.amdhsa_reserve_vcc 0
		.amdhsa_reserve_flat_scratch 0
		.amdhsa_float_round_mode_32 0
		.amdhsa_float_round_mode_16_64 0
		.amdhsa_float_denorm_mode_32 3
		.amdhsa_float_denorm_mode_16_64 3
		.amdhsa_dx10_clamp 1
		.amdhsa_ieee_mode 1
		.amdhsa_fp16_overflow 0
		.amdhsa_tg_split 0
		.amdhsa_exception_fp_ieee_invalid_op 0
		.amdhsa_exception_fp_denorm_src 0
		.amdhsa_exception_fp_ieee_div_zero 0
		.amdhsa_exception_fp_ieee_overflow 0
		.amdhsa_exception_fp_ieee_underflow 0
		.amdhsa_exception_fp_ieee_inexact 0
		.amdhsa_exception_int_div_zero 0
	.end_amdhsa_kernel
	.section	.text._ZN7rocprim17ROCPRIM_400000_NS6detail17trampoline_kernelINS0_14default_configENS1_38merge_sort_block_merge_config_selectorIcNS0_10empty_typeEEEZZNS1_27merge_sort_block_merge_implIS3_PcPS5_jNS1_19radix_merge_compareILb0ELb1EcNS0_19identity_decomposerEEEEE10hipError_tT0_T1_T2_jT3_P12ihipStream_tbPNSt15iterator_traitsISE_E10value_typeEPNSK_ISF_E10value_typeEPSG_NS1_7vsmem_tEENKUlT_SE_SF_SG_E_clIS8_S8_S9_S9_EESD_ST_SE_SF_SG_EUlST_E_NS1_11comp_targetILNS1_3genE5ELNS1_11target_archE942ELNS1_3gpuE9ELNS1_3repE0EEENS1_48merge_mergepath_partition_config_static_selectorELNS0_4arch9wavefront6targetE1EEEvSF_,"axG",@progbits,_ZN7rocprim17ROCPRIM_400000_NS6detail17trampoline_kernelINS0_14default_configENS1_38merge_sort_block_merge_config_selectorIcNS0_10empty_typeEEEZZNS1_27merge_sort_block_merge_implIS3_PcPS5_jNS1_19radix_merge_compareILb0ELb1EcNS0_19identity_decomposerEEEEE10hipError_tT0_T1_T2_jT3_P12ihipStream_tbPNSt15iterator_traitsISE_E10value_typeEPNSK_ISF_E10value_typeEPSG_NS1_7vsmem_tEENKUlT_SE_SF_SG_E_clIS8_S8_S9_S9_EESD_ST_SE_SF_SG_EUlST_E_NS1_11comp_targetILNS1_3genE5ELNS1_11target_archE942ELNS1_3gpuE9ELNS1_3repE0EEENS1_48merge_mergepath_partition_config_static_selectorELNS0_4arch9wavefront6targetE1EEEvSF_,comdat
.Lfunc_end60:
	.size	_ZN7rocprim17ROCPRIM_400000_NS6detail17trampoline_kernelINS0_14default_configENS1_38merge_sort_block_merge_config_selectorIcNS0_10empty_typeEEEZZNS1_27merge_sort_block_merge_implIS3_PcPS5_jNS1_19radix_merge_compareILb0ELb1EcNS0_19identity_decomposerEEEEE10hipError_tT0_T1_T2_jT3_P12ihipStream_tbPNSt15iterator_traitsISE_E10value_typeEPNSK_ISF_E10value_typeEPSG_NS1_7vsmem_tEENKUlT_SE_SF_SG_E_clIS8_S8_S9_S9_EESD_ST_SE_SF_SG_EUlST_E_NS1_11comp_targetILNS1_3genE5ELNS1_11target_archE942ELNS1_3gpuE9ELNS1_3repE0EEENS1_48merge_mergepath_partition_config_static_selectorELNS0_4arch9wavefront6targetE1EEEvSF_, .Lfunc_end60-_ZN7rocprim17ROCPRIM_400000_NS6detail17trampoline_kernelINS0_14default_configENS1_38merge_sort_block_merge_config_selectorIcNS0_10empty_typeEEEZZNS1_27merge_sort_block_merge_implIS3_PcPS5_jNS1_19radix_merge_compareILb0ELb1EcNS0_19identity_decomposerEEEEE10hipError_tT0_T1_T2_jT3_P12ihipStream_tbPNSt15iterator_traitsISE_E10value_typeEPNSK_ISF_E10value_typeEPSG_NS1_7vsmem_tEENKUlT_SE_SF_SG_E_clIS8_S8_S9_S9_EESD_ST_SE_SF_SG_EUlST_E_NS1_11comp_targetILNS1_3genE5ELNS1_11target_archE942ELNS1_3gpuE9ELNS1_3repE0EEENS1_48merge_mergepath_partition_config_static_selectorELNS0_4arch9wavefront6targetE1EEEvSF_
                                        ; -- End function
	.section	.AMDGPU.csdata,"",@progbits
; Kernel info:
; codeLenInByte = 0
; NumSgprs: 4
; NumVgprs: 0
; NumAgprs: 0
; TotalNumVgprs: 0
; ScratchSize: 0
; MemoryBound: 0
; FloatMode: 240
; IeeeMode: 1
; LDSByteSize: 0 bytes/workgroup (compile time only)
; SGPRBlocks: 0
; VGPRBlocks: 0
; NumSGPRsForWavesPerEU: 4
; NumVGPRsForWavesPerEU: 1
; AccumOffset: 4
; Occupancy: 8
; WaveLimiterHint : 0
; COMPUTE_PGM_RSRC2:SCRATCH_EN: 0
; COMPUTE_PGM_RSRC2:USER_SGPR: 6
; COMPUTE_PGM_RSRC2:TRAP_HANDLER: 0
; COMPUTE_PGM_RSRC2:TGID_X_EN: 1
; COMPUTE_PGM_RSRC2:TGID_Y_EN: 0
; COMPUTE_PGM_RSRC2:TGID_Z_EN: 0
; COMPUTE_PGM_RSRC2:TIDIG_COMP_CNT: 0
; COMPUTE_PGM_RSRC3_GFX90A:ACCUM_OFFSET: 0
; COMPUTE_PGM_RSRC3_GFX90A:TG_SPLIT: 0
	.section	.text._ZN7rocprim17ROCPRIM_400000_NS6detail17trampoline_kernelINS0_14default_configENS1_38merge_sort_block_merge_config_selectorIcNS0_10empty_typeEEEZZNS1_27merge_sort_block_merge_implIS3_PcPS5_jNS1_19radix_merge_compareILb0ELb1EcNS0_19identity_decomposerEEEEE10hipError_tT0_T1_T2_jT3_P12ihipStream_tbPNSt15iterator_traitsISE_E10value_typeEPNSK_ISF_E10value_typeEPSG_NS1_7vsmem_tEENKUlT_SE_SF_SG_E_clIS8_S8_S9_S9_EESD_ST_SE_SF_SG_EUlST_E_NS1_11comp_targetILNS1_3genE4ELNS1_11target_archE910ELNS1_3gpuE8ELNS1_3repE0EEENS1_48merge_mergepath_partition_config_static_selectorELNS0_4arch9wavefront6targetE1EEEvSF_,"axG",@progbits,_ZN7rocprim17ROCPRIM_400000_NS6detail17trampoline_kernelINS0_14default_configENS1_38merge_sort_block_merge_config_selectorIcNS0_10empty_typeEEEZZNS1_27merge_sort_block_merge_implIS3_PcPS5_jNS1_19radix_merge_compareILb0ELb1EcNS0_19identity_decomposerEEEEE10hipError_tT0_T1_T2_jT3_P12ihipStream_tbPNSt15iterator_traitsISE_E10value_typeEPNSK_ISF_E10value_typeEPSG_NS1_7vsmem_tEENKUlT_SE_SF_SG_E_clIS8_S8_S9_S9_EESD_ST_SE_SF_SG_EUlST_E_NS1_11comp_targetILNS1_3genE4ELNS1_11target_archE910ELNS1_3gpuE8ELNS1_3repE0EEENS1_48merge_mergepath_partition_config_static_selectorELNS0_4arch9wavefront6targetE1EEEvSF_,comdat
	.protected	_ZN7rocprim17ROCPRIM_400000_NS6detail17trampoline_kernelINS0_14default_configENS1_38merge_sort_block_merge_config_selectorIcNS0_10empty_typeEEEZZNS1_27merge_sort_block_merge_implIS3_PcPS5_jNS1_19radix_merge_compareILb0ELb1EcNS0_19identity_decomposerEEEEE10hipError_tT0_T1_T2_jT3_P12ihipStream_tbPNSt15iterator_traitsISE_E10value_typeEPNSK_ISF_E10value_typeEPSG_NS1_7vsmem_tEENKUlT_SE_SF_SG_E_clIS8_S8_S9_S9_EESD_ST_SE_SF_SG_EUlST_E_NS1_11comp_targetILNS1_3genE4ELNS1_11target_archE910ELNS1_3gpuE8ELNS1_3repE0EEENS1_48merge_mergepath_partition_config_static_selectorELNS0_4arch9wavefront6targetE1EEEvSF_ ; -- Begin function _ZN7rocprim17ROCPRIM_400000_NS6detail17trampoline_kernelINS0_14default_configENS1_38merge_sort_block_merge_config_selectorIcNS0_10empty_typeEEEZZNS1_27merge_sort_block_merge_implIS3_PcPS5_jNS1_19radix_merge_compareILb0ELb1EcNS0_19identity_decomposerEEEEE10hipError_tT0_T1_T2_jT3_P12ihipStream_tbPNSt15iterator_traitsISE_E10value_typeEPNSK_ISF_E10value_typeEPSG_NS1_7vsmem_tEENKUlT_SE_SF_SG_E_clIS8_S8_S9_S9_EESD_ST_SE_SF_SG_EUlST_E_NS1_11comp_targetILNS1_3genE4ELNS1_11target_archE910ELNS1_3gpuE8ELNS1_3repE0EEENS1_48merge_mergepath_partition_config_static_selectorELNS0_4arch9wavefront6targetE1EEEvSF_
	.globl	_ZN7rocprim17ROCPRIM_400000_NS6detail17trampoline_kernelINS0_14default_configENS1_38merge_sort_block_merge_config_selectorIcNS0_10empty_typeEEEZZNS1_27merge_sort_block_merge_implIS3_PcPS5_jNS1_19radix_merge_compareILb0ELb1EcNS0_19identity_decomposerEEEEE10hipError_tT0_T1_T2_jT3_P12ihipStream_tbPNSt15iterator_traitsISE_E10value_typeEPNSK_ISF_E10value_typeEPSG_NS1_7vsmem_tEENKUlT_SE_SF_SG_E_clIS8_S8_S9_S9_EESD_ST_SE_SF_SG_EUlST_E_NS1_11comp_targetILNS1_3genE4ELNS1_11target_archE910ELNS1_3gpuE8ELNS1_3repE0EEENS1_48merge_mergepath_partition_config_static_selectorELNS0_4arch9wavefront6targetE1EEEvSF_
	.p2align	8
	.type	_ZN7rocprim17ROCPRIM_400000_NS6detail17trampoline_kernelINS0_14default_configENS1_38merge_sort_block_merge_config_selectorIcNS0_10empty_typeEEEZZNS1_27merge_sort_block_merge_implIS3_PcPS5_jNS1_19radix_merge_compareILb0ELb1EcNS0_19identity_decomposerEEEEE10hipError_tT0_T1_T2_jT3_P12ihipStream_tbPNSt15iterator_traitsISE_E10value_typeEPNSK_ISF_E10value_typeEPSG_NS1_7vsmem_tEENKUlT_SE_SF_SG_E_clIS8_S8_S9_S9_EESD_ST_SE_SF_SG_EUlST_E_NS1_11comp_targetILNS1_3genE4ELNS1_11target_archE910ELNS1_3gpuE8ELNS1_3repE0EEENS1_48merge_mergepath_partition_config_static_selectorELNS0_4arch9wavefront6targetE1EEEvSF_,@function
_ZN7rocprim17ROCPRIM_400000_NS6detail17trampoline_kernelINS0_14default_configENS1_38merge_sort_block_merge_config_selectorIcNS0_10empty_typeEEEZZNS1_27merge_sort_block_merge_implIS3_PcPS5_jNS1_19radix_merge_compareILb0ELb1EcNS0_19identity_decomposerEEEEE10hipError_tT0_T1_T2_jT3_P12ihipStream_tbPNSt15iterator_traitsISE_E10value_typeEPNSK_ISF_E10value_typeEPSG_NS1_7vsmem_tEENKUlT_SE_SF_SG_E_clIS8_S8_S9_S9_EESD_ST_SE_SF_SG_EUlST_E_NS1_11comp_targetILNS1_3genE4ELNS1_11target_archE910ELNS1_3gpuE8ELNS1_3repE0EEENS1_48merge_mergepath_partition_config_static_selectorELNS0_4arch9wavefront6targetE1EEEvSF_: ; @_ZN7rocprim17ROCPRIM_400000_NS6detail17trampoline_kernelINS0_14default_configENS1_38merge_sort_block_merge_config_selectorIcNS0_10empty_typeEEEZZNS1_27merge_sort_block_merge_implIS3_PcPS5_jNS1_19radix_merge_compareILb0ELb1EcNS0_19identity_decomposerEEEEE10hipError_tT0_T1_T2_jT3_P12ihipStream_tbPNSt15iterator_traitsISE_E10value_typeEPNSK_ISF_E10value_typeEPSG_NS1_7vsmem_tEENKUlT_SE_SF_SG_E_clIS8_S8_S9_S9_EESD_ST_SE_SF_SG_EUlST_E_NS1_11comp_targetILNS1_3genE4ELNS1_11target_archE910ELNS1_3gpuE8ELNS1_3repE0EEENS1_48merge_mergepath_partition_config_static_selectorELNS0_4arch9wavefront6targetE1EEEvSF_
; %bb.0:
	s_load_dword s0, s[4:5], 0x0
	v_lshl_or_b32 v0, s6, 7, v0
	s_waitcnt lgkmcnt(0)
	v_cmp_gt_u32_e32 vcc, s0, v0
	s_and_saveexec_b64 s[0:1], vcc
	s_cbranch_execz .LBB61_6
; %bb.1:
	s_load_dwordx2 s[2:3], s[4:5], 0x4
	s_load_dwordx2 s[0:1], s[4:5], 0x20
	s_waitcnt lgkmcnt(0)
	s_lshr_b32 s6, s2, 9
	s_and_b32 s6, s6, 0x7ffffe
	s_add_i32 s7, s6, -1
	s_sub_i32 s6, 0, s6
	v_and_b32_e32 v1, s6, v0
	v_lshlrev_b32_e32 v3, 10, v1
	v_min_u32_e32 v1, s3, v3
	v_add_u32_e32 v3, s2, v3
	v_min_u32_e32 v7, s3, v3
	v_add_u32_e32 v3, s2, v7
	v_and_b32_e32 v2, s7, v0
	v_min_u32_e32 v4, s3, v3
	v_sub_u32_e32 v3, v4, v1
	v_lshlrev_b32_e32 v2, 10, v2
	v_min_u32_e32 v3, v3, v2
	v_sub_u32_e32 v5, v7, v1
	v_sub_u32_e32 v2, v4, v7
	v_sub_u32_e64 v2, v3, v2 clamp
	v_min_u32_e32 v4, v3, v5
	v_cmp_lt_u32_e32 vcc, v2, v4
	s_and_saveexec_b64 s[2:3], vcc
	s_cbranch_execz .LBB61_5
; %bb.2:
	s_load_dwordx2 s[8:9], s[4:5], 0x10
	s_load_dword s6, s[4:5], 0x18
	s_mov_b64 s[4:5], 0
	s_waitcnt lgkmcnt(0)
	v_mov_b32_e32 v8, s9
	v_add_co_u32_e32 v5, vcc, s8, v1
	v_addc_co_u32_e32 v6, vcc, 0, v8, vcc
	v_add_co_u32_e32 v7, vcc, s8, v7
	v_addc_co_u32_e32 v8, vcc, 0, v8, vcc
.LBB61_3:                               ; =>This Inner Loop Header: Depth=1
	v_add_u32_e32 v9, v4, v2
	v_lshrrev_b32_e32 v9, 1, v9
	v_add_co_u32_e32 v10, vcc, v5, v9
	v_xad_u32 v12, v9, -1, v3
	v_addc_co_u32_e32 v11, vcc, 0, v6, vcc
	v_add_co_u32_e32 v12, vcc, v7, v12
	v_addc_co_u32_e32 v13, vcc, 0, v8, vcc
	global_load_ubyte v14, v[10:11], off
	global_load_ubyte v15, v[12:13], off
	v_add_u32_e32 v10, 1, v9
	s_waitcnt vmcnt(1)
	v_and_b32_e32 v11, s6, v14
	s_waitcnt vmcnt(0)
	v_and_b32_e32 v12, s6, v15
	v_cmp_gt_i16_sdwa vcc, sext(v11), sext(v12) src0_sel:BYTE_0 src1_sel:BYTE_0
	v_cndmask_b32_e32 v4, v4, v9, vcc
	v_cndmask_b32_e32 v2, v10, v2, vcc
	v_cmp_ge_u32_e32 vcc, v2, v4
	s_or_b64 s[4:5], vcc, s[4:5]
	s_andn2_b64 exec, exec, s[4:5]
	s_cbranch_execnz .LBB61_3
; %bb.4:
	s_or_b64 exec, exec, s[4:5]
.LBB61_5:
	s_or_b64 exec, exec, s[2:3]
	v_add_u32_e32 v2, v2, v1
	v_mov_b32_e32 v1, 0
	v_lshlrev_b64 v[0:1], 2, v[0:1]
	v_mov_b32_e32 v3, s1
	v_add_co_u32_e32 v0, vcc, s0, v0
	v_addc_co_u32_e32 v1, vcc, v3, v1, vcc
	global_store_dword v[0:1], v2, off
.LBB61_6:
	s_endpgm
	.section	.rodata,"a",@progbits
	.p2align	6, 0x0
	.amdhsa_kernel _ZN7rocprim17ROCPRIM_400000_NS6detail17trampoline_kernelINS0_14default_configENS1_38merge_sort_block_merge_config_selectorIcNS0_10empty_typeEEEZZNS1_27merge_sort_block_merge_implIS3_PcPS5_jNS1_19radix_merge_compareILb0ELb1EcNS0_19identity_decomposerEEEEE10hipError_tT0_T1_T2_jT3_P12ihipStream_tbPNSt15iterator_traitsISE_E10value_typeEPNSK_ISF_E10value_typeEPSG_NS1_7vsmem_tEENKUlT_SE_SF_SG_E_clIS8_S8_S9_S9_EESD_ST_SE_SF_SG_EUlST_E_NS1_11comp_targetILNS1_3genE4ELNS1_11target_archE910ELNS1_3gpuE8ELNS1_3repE0EEENS1_48merge_mergepath_partition_config_static_selectorELNS0_4arch9wavefront6targetE1EEEvSF_
		.amdhsa_group_segment_fixed_size 0
		.amdhsa_private_segment_fixed_size 0
		.amdhsa_kernarg_size 40
		.amdhsa_user_sgpr_count 6
		.amdhsa_user_sgpr_private_segment_buffer 1
		.amdhsa_user_sgpr_dispatch_ptr 0
		.amdhsa_user_sgpr_queue_ptr 0
		.amdhsa_user_sgpr_kernarg_segment_ptr 1
		.amdhsa_user_sgpr_dispatch_id 0
		.amdhsa_user_sgpr_flat_scratch_init 0
		.amdhsa_user_sgpr_kernarg_preload_length 0
		.amdhsa_user_sgpr_kernarg_preload_offset 0
		.amdhsa_user_sgpr_private_segment_size 0
		.amdhsa_uses_dynamic_stack 0
		.amdhsa_system_sgpr_private_segment_wavefront_offset 0
		.amdhsa_system_sgpr_workgroup_id_x 1
		.amdhsa_system_sgpr_workgroup_id_y 0
		.amdhsa_system_sgpr_workgroup_id_z 0
		.amdhsa_system_sgpr_workgroup_info 0
		.amdhsa_system_vgpr_workitem_id 0
		.amdhsa_next_free_vgpr 16
		.amdhsa_next_free_sgpr 10
		.amdhsa_accum_offset 16
		.amdhsa_reserve_vcc 1
		.amdhsa_reserve_flat_scratch 0
		.amdhsa_float_round_mode_32 0
		.amdhsa_float_round_mode_16_64 0
		.amdhsa_float_denorm_mode_32 3
		.amdhsa_float_denorm_mode_16_64 3
		.amdhsa_dx10_clamp 1
		.amdhsa_ieee_mode 1
		.amdhsa_fp16_overflow 0
		.amdhsa_tg_split 0
		.amdhsa_exception_fp_ieee_invalid_op 0
		.amdhsa_exception_fp_denorm_src 0
		.amdhsa_exception_fp_ieee_div_zero 0
		.amdhsa_exception_fp_ieee_overflow 0
		.amdhsa_exception_fp_ieee_underflow 0
		.amdhsa_exception_fp_ieee_inexact 0
		.amdhsa_exception_int_div_zero 0
	.end_amdhsa_kernel
	.section	.text._ZN7rocprim17ROCPRIM_400000_NS6detail17trampoline_kernelINS0_14default_configENS1_38merge_sort_block_merge_config_selectorIcNS0_10empty_typeEEEZZNS1_27merge_sort_block_merge_implIS3_PcPS5_jNS1_19radix_merge_compareILb0ELb1EcNS0_19identity_decomposerEEEEE10hipError_tT0_T1_T2_jT3_P12ihipStream_tbPNSt15iterator_traitsISE_E10value_typeEPNSK_ISF_E10value_typeEPSG_NS1_7vsmem_tEENKUlT_SE_SF_SG_E_clIS8_S8_S9_S9_EESD_ST_SE_SF_SG_EUlST_E_NS1_11comp_targetILNS1_3genE4ELNS1_11target_archE910ELNS1_3gpuE8ELNS1_3repE0EEENS1_48merge_mergepath_partition_config_static_selectorELNS0_4arch9wavefront6targetE1EEEvSF_,"axG",@progbits,_ZN7rocprim17ROCPRIM_400000_NS6detail17trampoline_kernelINS0_14default_configENS1_38merge_sort_block_merge_config_selectorIcNS0_10empty_typeEEEZZNS1_27merge_sort_block_merge_implIS3_PcPS5_jNS1_19radix_merge_compareILb0ELb1EcNS0_19identity_decomposerEEEEE10hipError_tT0_T1_T2_jT3_P12ihipStream_tbPNSt15iterator_traitsISE_E10value_typeEPNSK_ISF_E10value_typeEPSG_NS1_7vsmem_tEENKUlT_SE_SF_SG_E_clIS8_S8_S9_S9_EESD_ST_SE_SF_SG_EUlST_E_NS1_11comp_targetILNS1_3genE4ELNS1_11target_archE910ELNS1_3gpuE8ELNS1_3repE0EEENS1_48merge_mergepath_partition_config_static_selectorELNS0_4arch9wavefront6targetE1EEEvSF_,comdat
.Lfunc_end61:
	.size	_ZN7rocprim17ROCPRIM_400000_NS6detail17trampoline_kernelINS0_14default_configENS1_38merge_sort_block_merge_config_selectorIcNS0_10empty_typeEEEZZNS1_27merge_sort_block_merge_implIS3_PcPS5_jNS1_19radix_merge_compareILb0ELb1EcNS0_19identity_decomposerEEEEE10hipError_tT0_T1_T2_jT3_P12ihipStream_tbPNSt15iterator_traitsISE_E10value_typeEPNSK_ISF_E10value_typeEPSG_NS1_7vsmem_tEENKUlT_SE_SF_SG_E_clIS8_S8_S9_S9_EESD_ST_SE_SF_SG_EUlST_E_NS1_11comp_targetILNS1_3genE4ELNS1_11target_archE910ELNS1_3gpuE8ELNS1_3repE0EEENS1_48merge_mergepath_partition_config_static_selectorELNS0_4arch9wavefront6targetE1EEEvSF_, .Lfunc_end61-_ZN7rocprim17ROCPRIM_400000_NS6detail17trampoline_kernelINS0_14default_configENS1_38merge_sort_block_merge_config_selectorIcNS0_10empty_typeEEEZZNS1_27merge_sort_block_merge_implIS3_PcPS5_jNS1_19radix_merge_compareILb0ELb1EcNS0_19identity_decomposerEEEEE10hipError_tT0_T1_T2_jT3_P12ihipStream_tbPNSt15iterator_traitsISE_E10value_typeEPNSK_ISF_E10value_typeEPSG_NS1_7vsmem_tEENKUlT_SE_SF_SG_E_clIS8_S8_S9_S9_EESD_ST_SE_SF_SG_EUlST_E_NS1_11comp_targetILNS1_3genE4ELNS1_11target_archE910ELNS1_3gpuE8ELNS1_3repE0EEENS1_48merge_mergepath_partition_config_static_selectorELNS0_4arch9wavefront6targetE1EEEvSF_
                                        ; -- End function
	.section	.AMDGPU.csdata,"",@progbits
; Kernel info:
; codeLenInByte = 340
; NumSgprs: 14
; NumVgprs: 16
; NumAgprs: 0
; TotalNumVgprs: 16
; ScratchSize: 0
; MemoryBound: 0
; FloatMode: 240
; IeeeMode: 1
; LDSByteSize: 0 bytes/workgroup (compile time only)
; SGPRBlocks: 1
; VGPRBlocks: 1
; NumSGPRsForWavesPerEU: 14
; NumVGPRsForWavesPerEU: 16
; AccumOffset: 16
; Occupancy: 8
; WaveLimiterHint : 0
; COMPUTE_PGM_RSRC2:SCRATCH_EN: 0
; COMPUTE_PGM_RSRC2:USER_SGPR: 6
; COMPUTE_PGM_RSRC2:TRAP_HANDLER: 0
; COMPUTE_PGM_RSRC2:TGID_X_EN: 1
; COMPUTE_PGM_RSRC2:TGID_Y_EN: 0
; COMPUTE_PGM_RSRC2:TGID_Z_EN: 0
; COMPUTE_PGM_RSRC2:TIDIG_COMP_CNT: 0
; COMPUTE_PGM_RSRC3_GFX90A:ACCUM_OFFSET: 3
; COMPUTE_PGM_RSRC3_GFX90A:TG_SPLIT: 0
	.section	.text._ZN7rocprim17ROCPRIM_400000_NS6detail17trampoline_kernelINS0_14default_configENS1_38merge_sort_block_merge_config_selectorIcNS0_10empty_typeEEEZZNS1_27merge_sort_block_merge_implIS3_PcPS5_jNS1_19radix_merge_compareILb0ELb1EcNS0_19identity_decomposerEEEEE10hipError_tT0_T1_T2_jT3_P12ihipStream_tbPNSt15iterator_traitsISE_E10value_typeEPNSK_ISF_E10value_typeEPSG_NS1_7vsmem_tEENKUlT_SE_SF_SG_E_clIS8_S8_S9_S9_EESD_ST_SE_SF_SG_EUlST_E_NS1_11comp_targetILNS1_3genE3ELNS1_11target_archE908ELNS1_3gpuE7ELNS1_3repE0EEENS1_48merge_mergepath_partition_config_static_selectorELNS0_4arch9wavefront6targetE1EEEvSF_,"axG",@progbits,_ZN7rocprim17ROCPRIM_400000_NS6detail17trampoline_kernelINS0_14default_configENS1_38merge_sort_block_merge_config_selectorIcNS0_10empty_typeEEEZZNS1_27merge_sort_block_merge_implIS3_PcPS5_jNS1_19radix_merge_compareILb0ELb1EcNS0_19identity_decomposerEEEEE10hipError_tT0_T1_T2_jT3_P12ihipStream_tbPNSt15iterator_traitsISE_E10value_typeEPNSK_ISF_E10value_typeEPSG_NS1_7vsmem_tEENKUlT_SE_SF_SG_E_clIS8_S8_S9_S9_EESD_ST_SE_SF_SG_EUlST_E_NS1_11comp_targetILNS1_3genE3ELNS1_11target_archE908ELNS1_3gpuE7ELNS1_3repE0EEENS1_48merge_mergepath_partition_config_static_selectorELNS0_4arch9wavefront6targetE1EEEvSF_,comdat
	.protected	_ZN7rocprim17ROCPRIM_400000_NS6detail17trampoline_kernelINS0_14default_configENS1_38merge_sort_block_merge_config_selectorIcNS0_10empty_typeEEEZZNS1_27merge_sort_block_merge_implIS3_PcPS5_jNS1_19radix_merge_compareILb0ELb1EcNS0_19identity_decomposerEEEEE10hipError_tT0_T1_T2_jT3_P12ihipStream_tbPNSt15iterator_traitsISE_E10value_typeEPNSK_ISF_E10value_typeEPSG_NS1_7vsmem_tEENKUlT_SE_SF_SG_E_clIS8_S8_S9_S9_EESD_ST_SE_SF_SG_EUlST_E_NS1_11comp_targetILNS1_3genE3ELNS1_11target_archE908ELNS1_3gpuE7ELNS1_3repE0EEENS1_48merge_mergepath_partition_config_static_selectorELNS0_4arch9wavefront6targetE1EEEvSF_ ; -- Begin function _ZN7rocprim17ROCPRIM_400000_NS6detail17trampoline_kernelINS0_14default_configENS1_38merge_sort_block_merge_config_selectorIcNS0_10empty_typeEEEZZNS1_27merge_sort_block_merge_implIS3_PcPS5_jNS1_19radix_merge_compareILb0ELb1EcNS0_19identity_decomposerEEEEE10hipError_tT0_T1_T2_jT3_P12ihipStream_tbPNSt15iterator_traitsISE_E10value_typeEPNSK_ISF_E10value_typeEPSG_NS1_7vsmem_tEENKUlT_SE_SF_SG_E_clIS8_S8_S9_S9_EESD_ST_SE_SF_SG_EUlST_E_NS1_11comp_targetILNS1_3genE3ELNS1_11target_archE908ELNS1_3gpuE7ELNS1_3repE0EEENS1_48merge_mergepath_partition_config_static_selectorELNS0_4arch9wavefront6targetE1EEEvSF_
	.globl	_ZN7rocprim17ROCPRIM_400000_NS6detail17trampoline_kernelINS0_14default_configENS1_38merge_sort_block_merge_config_selectorIcNS0_10empty_typeEEEZZNS1_27merge_sort_block_merge_implIS3_PcPS5_jNS1_19radix_merge_compareILb0ELb1EcNS0_19identity_decomposerEEEEE10hipError_tT0_T1_T2_jT3_P12ihipStream_tbPNSt15iterator_traitsISE_E10value_typeEPNSK_ISF_E10value_typeEPSG_NS1_7vsmem_tEENKUlT_SE_SF_SG_E_clIS8_S8_S9_S9_EESD_ST_SE_SF_SG_EUlST_E_NS1_11comp_targetILNS1_3genE3ELNS1_11target_archE908ELNS1_3gpuE7ELNS1_3repE0EEENS1_48merge_mergepath_partition_config_static_selectorELNS0_4arch9wavefront6targetE1EEEvSF_
	.p2align	8
	.type	_ZN7rocprim17ROCPRIM_400000_NS6detail17trampoline_kernelINS0_14default_configENS1_38merge_sort_block_merge_config_selectorIcNS0_10empty_typeEEEZZNS1_27merge_sort_block_merge_implIS3_PcPS5_jNS1_19radix_merge_compareILb0ELb1EcNS0_19identity_decomposerEEEEE10hipError_tT0_T1_T2_jT3_P12ihipStream_tbPNSt15iterator_traitsISE_E10value_typeEPNSK_ISF_E10value_typeEPSG_NS1_7vsmem_tEENKUlT_SE_SF_SG_E_clIS8_S8_S9_S9_EESD_ST_SE_SF_SG_EUlST_E_NS1_11comp_targetILNS1_3genE3ELNS1_11target_archE908ELNS1_3gpuE7ELNS1_3repE0EEENS1_48merge_mergepath_partition_config_static_selectorELNS0_4arch9wavefront6targetE1EEEvSF_,@function
_ZN7rocprim17ROCPRIM_400000_NS6detail17trampoline_kernelINS0_14default_configENS1_38merge_sort_block_merge_config_selectorIcNS0_10empty_typeEEEZZNS1_27merge_sort_block_merge_implIS3_PcPS5_jNS1_19radix_merge_compareILb0ELb1EcNS0_19identity_decomposerEEEEE10hipError_tT0_T1_T2_jT3_P12ihipStream_tbPNSt15iterator_traitsISE_E10value_typeEPNSK_ISF_E10value_typeEPSG_NS1_7vsmem_tEENKUlT_SE_SF_SG_E_clIS8_S8_S9_S9_EESD_ST_SE_SF_SG_EUlST_E_NS1_11comp_targetILNS1_3genE3ELNS1_11target_archE908ELNS1_3gpuE7ELNS1_3repE0EEENS1_48merge_mergepath_partition_config_static_selectorELNS0_4arch9wavefront6targetE1EEEvSF_: ; @_ZN7rocprim17ROCPRIM_400000_NS6detail17trampoline_kernelINS0_14default_configENS1_38merge_sort_block_merge_config_selectorIcNS0_10empty_typeEEEZZNS1_27merge_sort_block_merge_implIS3_PcPS5_jNS1_19radix_merge_compareILb0ELb1EcNS0_19identity_decomposerEEEEE10hipError_tT0_T1_T2_jT3_P12ihipStream_tbPNSt15iterator_traitsISE_E10value_typeEPNSK_ISF_E10value_typeEPSG_NS1_7vsmem_tEENKUlT_SE_SF_SG_E_clIS8_S8_S9_S9_EESD_ST_SE_SF_SG_EUlST_E_NS1_11comp_targetILNS1_3genE3ELNS1_11target_archE908ELNS1_3gpuE7ELNS1_3repE0EEENS1_48merge_mergepath_partition_config_static_selectorELNS0_4arch9wavefront6targetE1EEEvSF_
; %bb.0:
	.section	.rodata,"a",@progbits
	.p2align	6, 0x0
	.amdhsa_kernel _ZN7rocprim17ROCPRIM_400000_NS6detail17trampoline_kernelINS0_14default_configENS1_38merge_sort_block_merge_config_selectorIcNS0_10empty_typeEEEZZNS1_27merge_sort_block_merge_implIS3_PcPS5_jNS1_19radix_merge_compareILb0ELb1EcNS0_19identity_decomposerEEEEE10hipError_tT0_T1_T2_jT3_P12ihipStream_tbPNSt15iterator_traitsISE_E10value_typeEPNSK_ISF_E10value_typeEPSG_NS1_7vsmem_tEENKUlT_SE_SF_SG_E_clIS8_S8_S9_S9_EESD_ST_SE_SF_SG_EUlST_E_NS1_11comp_targetILNS1_3genE3ELNS1_11target_archE908ELNS1_3gpuE7ELNS1_3repE0EEENS1_48merge_mergepath_partition_config_static_selectorELNS0_4arch9wavefront6targetE1EEEvSF_
		.amdhsa_group_segment_fixed_size 0
		.amdhsa_private_segment_fixed_size 0
		.amdhsa_kernarg_size 40
		.amdhsa_user_sgpr_count 6
		.amdhsa_user_sgpr_private_segment_buffer 1
		.amdhsa_user_sgpr_dispatch_ptr 0
		.amdhsa_user_sgpr_queue_ptr 0
		.amdhsa_user_sgpr_kernarg_segment_ptr 1
		.amdhsa_user_sgpr_dispatch_id 0
		.amdhsa_user_sgpr_flat_scratch_init 0
		.amdhsa_user_sgpr_kernarg_preload_length 0
		.amdhsa_user_sgpr_kernarg_preload_offset 0
		.amdhsa_user_sgpr_private_segment_size 0
		.amdhsa_uses_dynamic_stack 0
		.amdhsa_system_sgpr_private_segment_wavefront_offset 0
		.amdhsa_system_sgpr_workgroup_id_x 1
		.amdhsa_system_sgpr_workgroup_id_y 0
		.amdhsa_system_sgpr_workgroup_id_z 0
		.amdhsa_system_sgpr_workgroup_info 0
		.amdhsa_system_vgpr_workitem_id 0
		.amdhsa_next_free_vgpr 1
		.amdhsa_next_free_sgpr 0
		.amdhsa_accum_offset 4
		.amdhsa_reserve_vcc 0
		.amdhsa_reserve_flat_scratch 0
		.amdhsa_float_round_mode_32 0
		.amdhsa_float_round_mode_16_64 0
		.amdhsa_float_denorm_mode_32 3
		.amdhsa_float_denorm_mode_16_64 3
		.amdhsa_dx10_clamp 1
		.amdhsa_ieee_mode 1
		.amdhsa_fp16_overflow 0
		.amdhsa_tg_split 0
		.amdhsa_exception_fp_ieee_invalid_op 0
		.amdhsa_exception_fp_denorm_src 0
		.amdhsa_exception_fp_ieee_div_zero 0
		.amdhsa_exception_fp_ieee_overflow 0
		.amdhsa_exception_fp_ieee_underflow 0
		.amdhsa_exception_fp_ieee_inexact 0
		.amdhsa_exception_int_div_zero 0
	.end_amdhsa_kernel
	.section	.text._ZN7rocprim17ROCPRIM_400000_NS6detail17trampoline_kernelINS0_14default_configENS1_38merge_sort_block_merge_config_selectorIcNS0_10empty_typeEEEZZNS1_27merge_sort_block_merge_implIS3_PcPS5_jNS1_19radix_merge_compareILb0ELb1EcNS0_19identity_decomposerEEEEE10hipError_tT0_T1_T2_jT3_P12ihipStream_tbPNSt15iterator_traitsISE_E10value_typeEPNSK_ISF_E10value_typeEPSG_NS1_7vsmem_tEENKUlT_SE_SF_SG_E_clIS8_S8_S9_S9_EESD_ST_SE_SF_SG_EUlST_E_NS1_11comp_targetILNS1_3genE3ELNS1_11target_archE908ELNS1_3gpuE7ELNS1_3repE0EEENS1_48merge_mergepath_partition_config_static_selectorELNS0_4arch9wavefront6targetE1EEEvSF_,"axG",@progbits,_ZN7rocprim17ROCPRIM_400000_NS6detail17trampoline_kernelINS0_14default_configENS1_38merge_sort_block_merge_config_selectorIcNS0_10empty_typeEEEZZNS1_27merge_sort_block_merge_implIS3_PcPS5_jNS1_19radix_merge_compareILb0ELb1EcNS0_19identity_decomposerEEEEE10hipError_tT0_T1_T2_jT3_P12ihipStream_tbPNSt15iterator_traitsISE_E10value_typeEPNSK_ISF_E10value_typeEPSG_NS1_7vsmem_tEENKUlT_SE_SF_SG_E_clIS8_S8_S9_S9_EESD_ST_SE_SF_SG_EUlST_E_NS1_11comp_targetILNS1_3genE3ELNS1_11target_archE908ELNS1_3gpuE7ELNS1_3repE0EEENS1_48merge_mergepath_partition_config_static_selectorELNS0_4arch9wavefront6targetE1EEEvSF_,comdat
.Lfunc_end62:
	.size	_ZN7rocprim17ROCPRIM_400000_NS6detail17trampoline_kernelINS0_14default_configENS1_38merge_sort_block_merge_config_selectorIcNS0_10empty_typeEEEZZNS1_27merge_sort_block_merge_implIS3_PcPS5_jNS1_19radix_merge_compareILb0ELb1EcNS0_19identity_decomposerEEEEE10hipError_tT0_T1_T2_jT3_P12ihipStream_tbPNSt15iterator_traitsISE_E10value_typeEPNSK_ISF_E10value_typeEPSG_NS1_7vsmem_tEENKUlT_SE_SF_SG_E_clIS8_S8_S9_S9_EESD_ST_SE_SF_SG_EUlST_E_NS1_11comp_targetILNS1_3genE3ELNS1_11target_archE908ELNS1_3gpuE7ELNS1_3repE0EEENS1_48merge_mergepath_partition_config_static_selectorELNS0_4arch9wavefront6targetE1EEEvSF_, .Lfunc_end62-_ZN7rocprim17ROCPRIM_400000_NS6detail17trampoline_kernelINS0_14default_configENS1_38merge_sort_block_merge_config_selectorIcNS0_10empty_typeEEEZZNS1_27merge_sort_block_merge_implIS3_PcPS5_jNS1_19radix_merge_compareILb0ELb1EcNS0_19identity_decomposerEEEEE10hipError_tT0_T1_T2_jT3_P12ihipStream_tbPNSt15iterator_traitsISE_E10value_typeEPNSK_ISF_E10value_typeEPSG_NS1_7vsmem_tEENKUlT_SE_SF_SG_E_clIS8_S8_S9_S9_EESD_ST_SE_SF_SG_EUlST_E_NS1_11comp_targetILNS1_3genE3ELNS1_11target_archE908ELNS1_3gpuE7ELNS1_3repE0EEENS1_48merge_mergepath_partition_config_static_selectorELNS0_4arch9wavefront6targetE1EEEvSF_
                                        ; -- End function
	.section	.AMDGPU.csdata,"",@progbits
; Kernel info:
; codeLenInByte = 0
; NumSgprs: 4
; NumVgprs: 0
; NumAgprs: 0
; TotalNumVgprs: 0
; ScratchSize: 0
; MemoryBound: 0
; FloatMode: 240
; IeeeMode: 1
; LDSByteSize: 0 bytes/workgroup (compile time only)
; SGPRBlocks: 0
; VGPRBlocks: 0
; NumSGPRsForWavesPerEU: 4
; NumVGPRsForWavesPerEU: 1
; AccumOffset: 4
; Occupancy: 8
; WaveLimiterHint : 0
; COMPUTE_PGM_RSRC2:SCRATCH_EN: 0
; COMPUTE_PGM_RSRC2:USER_SGPR: 6
; COMPUTE_PGM_RSRC2:TRAP_HANDLER: 0
; COMPUTE_PGM_RSRC2:TGID_X_EN: 1
; COMPUTE_PGM_RSRC2:TGID_Y_EN: 0
; COMPUTE_PGM_RSRC2:TGID_Z_EN: 0
; COMPUTE_PGM_RSRC2:TIDIG_COMP_CNT: 0
; COMPUTE_PGM_RSRC3_GFX90A:ACCUM_OFFSET: 0
; COMPUTE_PGM_RSRC3_GFX90A:TG_SPLIT: 0
	.section	.text._ZN7rocprim17ROCPRIM_400000_NS6detail17trampoline_kernelINS0_14default_configENS1_38merge_sort_block_merge_config_selectorIcNS0_10empty_typeEEEZZNS1_27merge_sort_block_merge_implIS3_PcPS5_jNS1_19radix_merge_compareILb0ELb1EcNS0_19identity_decomposerEEEEE10hipError_tT0_T1_T2_jT3_P12ihipStream_tbPNSt15iterator_traitsISE_E10value_typeEPNSK_ISF_E10value_typeEPSG_NS1_7vsmem_tEENKUlT_SE_SF_SG_E_clIS8_S8_S9_S9_EESD_ST_SE_SF_SG_EUlST_E_NS1_11comp_targetILNS1_3genE2ELNS1_11target_archE906ELNS1_3gpuE6ELNS1_3repE0EEENS1_48merge_mergepath_partition_config_static_selectorELNS0_4arch9wavefront6targetE1EEEvSF_,"axG",@progbits,_ZN7rocprim17ROCPRIM_400000_NS6detail17trampoline_kernelINS0_14default_configENS1_38merge_sort_block_merge_config_selectorIcNS0_10empty_typeEEEZZNS1_27merge_sort_block_merge_implIS3_PcPS5_jNS1_19radix_merge_compareILb0ELb1EcNS0_19identity_decomposerEEEEE10hipError_tT0_T1_T2_jT3_P12ihipStream_tbPNSt15iterator_traitsISE_E10value_typeEPNSK_ISF_E10value_typeEPSG_NS1_7vsmem_tEENKUlT_SE_SF_SG_E_clIS8_S8_S9_S9_EESD_ST_SE_SF_SG_EUlST_E_NS1_11comp_targetILNS1_3genE2ELNS1_11target_archE906ELNS1_3gpuE6ELNS1_3repE0EEENS1_48merge_mergepath_partition_config_static_selectorELNS0_4arch9wavefront6targetE1EEEvSF_,comdat
	.protected	_ZN7rocprim17ROCPRIM_400000_NS6detail17trampoline_kernelINS0_14default_configENS1_38merge_sort_block_merge_config_selectorIcNS0_10empty_typeEEEZZNS1_27merge_sort_block_merge_implIS3_PcPS5_jNS1_19radix_merge_compareILb0ELb1EcNS0_19identity_decomposerEEEEE10hipError_tT0_T1_T2_jT3_P12ihipStream_tbPNSt15iterator_traitsISE_E10value_typeEPNSK_ISF_E10value_typeEPSG_NS1_7vsmem_tEENKUlT_SE_SF_SG_E_clIS8_S8_S9_S9_EESD_ST_SE_SF_SG_EUlST_E_NS1_11comp_targetILNS1_3genE2ELNS1_11target_archE906ELNS1_3gpuE6ELNS1_3repE0EEENS1_48merge_mergepath_partition_config_static_selectorELNS0_4arch9wavefront6targetE1EEEvSF_ ; -- Begin function _ZN7rocprim17ROCPRIM_400000_NS6detail17trampoline_kernelINS0_14default_configENS1_38merge_sort_block_merge_config_selectorIcNS0_10empty_typeEEEZZNS1_27merge_sort_block_merge_implIS3_PcPS5_jNS1_19radix_merge_compareILb0ELb1EcNS0_19identity_decomposerEEEEE10hipError_tT0_T1_T2_jT3_P12ihipStream_tbPNSt15iterator_traitsISE_E10value_typeEPNSK_ISF_E10value_typeEPSG_NS1_7vsmem_tEENKUlT_SE_SF_SG_E_clIS8_S8_S9_S9_EESD_ST_SE_SF_SG_EUlST_E_NS1_11comp_targetILNS1_3genE2ELNS1_11target_archE906ELNS1_3gpuE6ELNS1_3repE0EEENS1_48merge_mergepath_partition_config_static_selectorELNS0_4arch9wavefront6targetE1EEEvSF_
	.globl	_ZN7rocprim17ROCPRIM_400000_NS6detail17trampoline_kernelINS0_14default_configENS1_38merge_sort_block_merge_config_selectorIcNS0_10empty_typeEEEZZNS1_27merge_sort_block_merge_implIS3_PcPS5_jNS1_19radix_merge_compareILb0ELb1EcNS0_19identity_decomposerEEEEE10hipError_tT0_T1_T2_jT3_P12ihipStream_tbPNSt15iterator_traitsISE_E10value_typeEPNSK_ISF_E10value_typeEPSG_NS1_7vsmem_tEENKUlT_SE_SF_SG_E_clIS8_S8_S9_S9_EESD_ST_SE_SF_SG_EUlST_E_NS1_11comp_targetILNS1_3genE2ELNS1_11target_archE906ELNS1_3gpuE6ELNS1_3repE0EEENS1_48merge_mergepath_partition_config_static_selectorELNS0_4arch9wavefront6targetE1EEEvSF_
	.p2align	8
	.type	_ZN7rocprim17ROCPRIM_400000_NS6detail17trampoline_kernelINS0_14default_configENS1_38merge_sort_block_merge_config_selectorIcNS0_10empty_typeEEEZZNS1_27merge_sort_block_merge_implIS3_PcPS5_jNS1_19radix_merge_compareILb0ELb1EcNS0_19identity_decomposerEEEEE10hipError_tT0_T1_T2_jT3_P12ihipStream_tbPNSt15iterator_traitsISE_E10value_typeEPNSK_ISF_E10value_typeEPSG_NS1_7vsmem_tEENKUlT_SE_SF_SG_E_clIS8_S8_S9_S9_EESD_ST_SE_SF_SG_EUlST_E_NS1_11comp_targetILNS1_3genE2ELNS1_11target_archE906ELNS1_3gpuE6ELNS1_3repE0EEENS1_48merge_mergepath_partition_config_static_selectorELNS0_4arch9wavefront6targetE1EEEvSF_,@function
_ZN7rocprim17ROCPRIM_400000_NS6detail17trampoline_kernelINS0_14default_configENS1_38merge_sort_block_merge_config_selectorIcNS0_10empty_typeEEEZZNS1_27merge_sort_block_merge_implIS3_PcPS5_jNS1_19radix_merge_compareILb0ELb1EcNS0_19identity_decomposerEEEEE10hipError_tT0_T1_T2_jT3_P12ihipStream_tbPNSt15iterator_traitsISE_E10value_typeEPNSK_ISF_E10value_typeEPSG_NS1_7vsmem_tEENKUlT_SE_SF_SG_E_clIS8_S8_S9_S9_EESD_ST_SE_SF_SG_EUlST_E_NS1_11comp_targetILNS1_3genE2ELNS1_11target_archE906ELNS1_3gpuE6ELNS1_3repE0EEENS1_48merge_mergepath_partition_config_static_selectorELNS0_4arch9wavefront6targetE1EEEvSF_: ; @_ZN7rocprim17ROCPRIM_400000_NS6detail17trampoline_kernelINS0_14default_configENS1_38merge_sort_block_merge_config_selectorIcNS0_10empty_typeEEEZZNS1_27merge_sort_block_merge_implIS3_PcPS5_jNS1_19radix_merge_compareILb0ELb1EcNS0_19identity_decomposerEEEEE10hipError_tT0_T1_T2_jT3_P12ihipStream_tbPNSt15iterator_traitsISE_E10value_typeEPNSK_ISF_E10value_typeEPSG_NS1_7vsmem_tEENKUlT_SE_SF_SG_E_clIS8_S8_S9_S9_EESD_ST_SE_SF_SG_EUlST_E_NS1_11comp_targetILNS1_3genE2ELNS1_11target_archE906ELNS1_3gpuE6ELNS1_3repE0EEENS1_48merge_mergepath_partition_config_static_selectorELNS0_4arch9wavefront6targetE1EEEvSF_
; %bb.0:
	.section	.rodata,"a",@progbits
	.p2align	6, 0x0
	.amdhsa_kernel _ZN7rocprim17ROCPRIM_400000_NS6detail17trampoline_kernelINS0_14default_configENS1_38merge_sort_block_merge_config_selectorIcNS0_10empty_typeEEEZZNS1_27merge_sort_block_merge_implIS3_PcPS5_jNS1_19radix_merge_compareILb0ELb1EcNS0_19identity_decomposerEEEEE10hipError_tT0_T1_T2_jT3_P12ihipStream_tbPNSt15iterator_traitsISE_E10value_typeEPNSK_ISF_E10value_typeEPSG_NS1_7vsmem_tEENKUlT_SE_SF_SG_E_clIS8_S8_S9_S9_EESD_ST_SE_SF_SG_EUlST_E_NS1_11comp_targetILNS1_3genE2ELNS1_11target_archE906ELNS1_3gpuE6ELNS1_3repE0EEENS1_48merge_mergepath_partition_config_static_selectorELNS0_4arch9wavefront6targetE1EEEvSF_
		.amdhsa_group_segment_fixed_size 0
		.amdhsa_private_segment_fixed_size 0
		.amdhsa_kernarg_size 40
		.amdhsa_user_sgpr_count 6
		.amdhsa_user_sgpr_private_segment_buffer 1
		.amdhsa_user_sgpr_dispatch_ptr 0
		.amdhsa_user_sgpr_queue_ptr 0
		.amdhsa_user_sgpr_kernarg_segment_ptr 1
		.amdhsa_user_sgpr_dispatch_id 0
		.amdhsa_user_sgpr_flat_scratch_init 0
		.amdhsa_user_sgpr_kernarg_preload_length 0
		.amdhsa_user_sgpr_kernarg_preload_offset 0
		.amdhsa_user_sgpr_private_segment_size 0
		.amdhsa_uses_dynamic_stack 0
		.amdhsa_system_sgpr_private_segment_wavefront_offset 0
		.amdhsa_system_sgpr_workgroup_id_x 1
		.amdhsa_system_sgpr_workgroup_id_y 0
		.amdhsa_system_sgpr_workgroup_id_z 0
		.amdhsa_system_sgpr_workgroup_info 0
		.amdhsa_system_vgpr_workitem_id 0
		.amdhsa_next_free_vgpr 1
		.amdhsa_next_free_sgpr 0
		.amdhsa_accum_offset 4
		.amdhsa_reserve_vcc 0
		.amdhsa_reserve_flat_scratch 0
		.amdhsa_float_round_mode_32 0
		.amdhsa_float_round_mode_16_64 0
		.amdhsa_float_denorm_mode_32 3
		.amdhsa_float_denorm_mode_16_64 3
		.amdhsa_dx10_clamp 1
		.amdhsa_ieee_mode 1
		.amdhsa_fp16_overflow 0
		.amdhsa_tg_split 0
		.amdhsa_exception_fp_ieee_invalid_op 0
		.amdhsa_exception_fp_denorm_src 0
		.amdhsa_exception_fp_ieee_div_zero 0
		.amdhsa_exception_fp_ieee_overflow 0
		.amdhsa_exception_fp_ieee_underflow 0
		.amdhsa_exception_fp_ieee_inexact 0
		.amdhsa_exception_int_div_zero 0
	.end_amdhsa_kernel
	.section	.text._ZN7rocprim17ROCPRIM_400000_NS6detail17trampoline_kernelINS0_14default_configENS1_38merge_sort_block_merge_config_selectorIcNS0_10empty_typeEEEZZNS1_27merge_sort_block_merge_implIS3_PcPS5_jNS1_19radix_merge_compareILb0ELb1EcNS0_19identity_decomposerEEEEE10hipError_tT0_T1_T2_jT3_P12ihipStream_tbPNSt15iterator_traitsISE_E10value_typeEPNSK_ISF_E10value_typeEPSG_NS1_7vsmem_tEENKUlT_SE_SF_SG_E_clIS8_S8_S9_S9_EESD_ST_SE_SF_SG_EUlST_E_NS1_11comp_targetILNS1_3genE2ELNS1_11target_archE906ELNS1_3gpuE6ELNS1_3repE0EEENS1_48merge_mergepath_partition_config_static_selectorELNS0_4arch9wavefront6targetE1EEEvSF_,"axG",@progbits,_ZN7rocprim17ROCPRIM_400000_NS6detail17trampoline_kernelINS0_14default_configENS1_38merge_sort_block_merge_config_selectorIcNS0_10empty_typeEEEZZNS1_27merge_sort_block_merge_implIS3_PcPS5_jNS1_19radix_merge_compareILb0ELb1EcNS0_19identity_decomposerEEEEE10hipError_tT0_T1_T2_jT3_P12ihipStream_tbPNSt15iterator_traitsISE_E10value_typeEPNSK_ISF_E10value_typeEPSG_NS1_7vsmem_tEENKUlT_SE_SF_SG_E_clIS8_S8_S9_S9_EESD_ST_SE_SF_SG_EUlST_E_NS1_11comp_targetILNS1_3genE2ELNS1_11target_archE906ELNS1_3gpuE6ELNS1_3repE0EEENS1_48merge_mergepath_partition_config_static_selectorELNS0_4arch9wavefront6targetE1EEEvSF_,comdat
.Lfunc_end63:
	.size	_ZN7rocprim17ROCPRIM_400000_NS6detail17trampoline_kernelINS0_14default_configENS1_38merge_sort_block_merge_config_selectorIcNS0_10empty_typeEEEZZNS1_27merge_sort_block_merge_implIS3_PcPS5_jNS1_19radix_merge_compareILb0ELb1EcNS0_19identity_decomposerEEEEE10hipError_tT0_T1_T2_jT3_P12ihipStream_tbPNSt15iterator_traitsISE_E10value_typeEPNSK_ISF_E10value_typeEPSG_NS1_7vsmem_tEENKUlT_SE_SF_SG_E_clIS8_S8_S9_S9_EESD_ST_SE_SF_SG_EUlST_E_NS1_11comp_targetILNS1_3genE2ELNS1_11target_archE906ELNS1_3gpuE6ELNS1_3repE0EEENS1_48merge_mergepath_partition_config_static_selectorELNS0_4arch9wavefront6targetE1EEEvSF_, .Lfunc_end63-_ZN7rocprim17ROCPRIM_400000_NS6detail17trampoline_kernelINS0_14default_configENS1_38merge_sort_block_merge_config_selectorIcNS0_10empty_typeEEEZZNS1_27merge_sort_block_merge_implIS3_PcPS5_jNS1_19radix_merge_compareILb0ELb1EcNS0_19identity_decomposerEEEEE10hipError_tT0_T1_T2_jT3_P12ihipStream_tbPNSt15iterator_traitsISE_E10value_typeEPNSK_ISF_E10value_typeEPSG_NS1_7vsmem_tEENKUlT_SE_SF_SG_E_clIS8_S8_S9_S9_EESD_ST_SE_SF_SG_EUlST_E_NS1_11comp_targetILNS1_3genE2ELNS1_11target_archE906ELNS1_3gpuE6ELNS1_3repE0EEENS1_48merge_mergepath_partition_config_static_selectorELNS0_4arch9wavefront6targetE1EEEvSF_
                                        ; -- End function
	.section	.AMDGPU.csdata,"",@progbits
; Kernel info:
; codeLenInByte = 0
; NumSgprs: 4
; NumVgprs: 0
; NumAgprs: 0
; TotalNumVgprs: 0
; ScratchSize: 0
; MemoryBound: 0
; FloatMode: 240
; IeeeMode: 1
; LDSByteSize: 0 bytes/workgroup (compile time only)
; SGPRBlocks: 0
; VGPRBlocks: 0
; NumSGPRsForWavesPerEU: 4
; NumVGPRsForWavesPerEU: 1
; AccumOffset: 4
; Occupancy: 8
; WaveLimiterHint : 0
; COMPUTE_PGM_RSRC2:SCRATCH_EN: 0
; COMPUTE_PGM_RSRC2:USER_SGPR: 6
; COMPUTE_PGM_RSRC2:TRAP_HANDLER: 0
; COMPUTE_PGM_RSRC2:TGID_X_EN: 1
; COMPUTE_PGM_RSRC2:TGID_Y_EN: 0
; COMPUTE_PGM_RSRC2:TGID_Z_EN: 0
; COMPUTE_PGM_RSRC2:TIDIG_COMP_CNT: 0
; COMPUTE_PGM_RSRC3_GFX90A:ACCUM_OFFSET: 0
; COMPUTE_PGM_RSRC3_GFX90A:TG_SPLIT: 0
	.section	.text._ZN7rocprim17ROCPRIM_400000_NS6detail17trampoline_kernelINS0_14default_configENS1_38merge_sort_block_merge_config_selectorIcNS0_10empty_typeEEEZZNS1_27merge_sort_block_merge_implIS3_PcPS5_jNS1_19radix_merge_compareILb0ELb1EcNS0_19identity_decomposerEEEEE10hipError_tT0_T1_T2_jT3_P12ihipStream_tbPNSt15iterator_traitsISE_E10value_typeEPNSK_ISF_E10value_typeEPSG_NS1_7vsmem_tEENKUlT_SE_SF_SG_E_clIS8_S8_S9_S9_EESD_ST_SE_SF_SG_EUlST_E_NS1_11comp_targetILNS1_3genE9ELNS1_11target_archE1100ELNS1_3gpuE3ELNS1_3repE0EEENS1_48merge_mergepath_partition_config_static_selectorELNS0_4arch9wavefront6targetE1EEEvSF_,"axG",@progbits,_ZN7rocprim17ROCPRIM_400000_NS6detail17trampoline_kernelINS0_14default_configENS1_38merge_sort_block_merge_config_selectorIcNS0_10empty_typeEEEZZNS1_27merge_sort_block_merge_implIS3_PcPS5_jNS1_19radix_merge_compareILb0ELb1EcNS0_19identity_decomposerEEEEE10hipError_tT0_T1_T2_jT3_P12ihipStream_tbPNSt15iterator_traitsISE_E10value_typeEPNSK_ISF_E10value_typeEPSG_NS1_7vsmem_tEENKUlT_SE_SF_SG_E_clIS8_S8_S9_S9_EESD_ST_SE_SF_SG_EUlST_E_NS1_11comp_targetILNS1_3genE9ELNS1_11target_archE1100ELNS1_3gpuE3ELNS1_3repE0EEENS1_48merge_mergepath_partition_config_static_selectorELNS0_4arch9wavefront6targetE1EEEvSF_,comdat
	.protected	_ZN7rocprim17ROCPRIM_400000_NS6detail17trampoline_kernelINS0_14default_configENS1_38merge_sort_block_merge_config_selectorIcNS0_10empty_typeEEEZZNS1_27merge_sort_block_merge_implIS3_PcPS5_jNS1_19radix_merge_compareILb0ELb1EcNS0_19identity_decomposerEEEEE10hipError_tT0_T1_T2_jT3_P12ihipStream_tbPNSt15iterator_traitsISE_E10value_typeEPNSK_ISF_E10value_typeEPSG_NS1_7vsmem_tEENKUlT_SE_SF_SG_E_clIS8_S8_S9_S9_EESD_ST_SE_SF_SG_EUlST_E_NS1_11comp_targetILNS1_3genE9ELNS1_11target_archE1100ELNS1_3gpuE3ELNS1_3repE0EEENS1_48merge_mergepath_partition_config_static_selectorELNS0_4arch9wavefront6targetE1EEEvSF_ ; -- Begin function _ZN7rocprim17ROCPRIM_400000_NS6detail17trampoline_kernelINS0_14default_configENS1_38merge_sort_block_merge_config_selectorIcNS0_10empty_typeEEEZZNS1_27merge_sort_block_merge_implIS3_PcPS5_jNS1_19radix_merge_compareILb0ELb1EcNS0_19identity_decomposerEEEEE10hipError_tT0_T1_T2_jT3_P12ihipStream_tbPNSt15iterator_traitsISE_E10value_typeEPNSK_ISF_E10value_typeEPSG_NS1_7vsmem_tEENKUlT_SE_SF_SG_E_clIS8_S8_S9_S9_EESD_ST_SE_SF_SG_EUlST_E_NS1_11comp_targetILNS1_3genE9ELNS1_11target_archE1100ELNS1_3gpuE3ELNS1_3repE0EEENS1_48merge_mergepath_partition_config_static_selectorELNS0_4arch9wavefront6targetE1EEEvSF_
	.globl	_ZN7rocprim17ROCPRIM_400000_NS6detail17trampoline_kernelINS0_14default_configENS1_38merge_sort_block_merge_config_selectorIcNS0_10empty_typeEEEZZNS1_27merge_sort_block_merge_implIS3_PcPS5_jNS1_19radix_merge_compareILb0ELb1EcNS0_19identity_decomposerEEEEE10hipError_tT0_T1_T2_jT3_P12ihipStream_tbPNSt15iterator_traitsISE_E10value_typeEPNSK_ISF_E10value_typeEPSG_NS1_7vsmem_tEENKUlT_SE_SF_SG_E_clIS8_S8_S9_S9_EESD_ST_SE_SF_SG_EUlST_E_NS1_11comp_targetILNS1_3genE9ELNS1_11target_archE1100ELNS1_3gpuE3ELNS1_3repE0EEENS1_48merge_mergepath_partition_config_static_selectorELNS0_4arch9wavefront6targetE1EEEvSF_
	.p2align	8
	.type	_ZN7rocprim17ROCPRIM_400000_NS6detail17trampoline_kernelINS0_14default_configENS1_38merge_sort_block_merge_config_selectorIcNS0_10empty_typeEEEZZNS1_27merge_sort_block_merge_implIS3_PcPS5_jNS1_19radix_merge_compareILb0ELb1EcNS0_19identity_decomposerEEEEE10hipError_tT0_T1_T2_jT3_P12ihipStream_tbPNSt15iterator_traitsISE_E10value_typeEPNSK_ISF_E10value_typeEPSG_NS1_7vsmem_tEENKUlT_SE_SF_SG_E_clIS8_S8_S9_S9_EESD_ST_SE_SF_SG_EUlST_E_NS1_11comp_targetILNS1_3genE9ELNS1_11target_archE1100ELNS1_3gpuE3ELNS1_3repE0EEENS1_48merge_mergepath_partition_config_static_selectorELNS0_4arch9wavefront6targetE1EEEvSF_,@function
_ZN7rocprim17ROCPRIM_400000_NS6detail17trampoline_kernelINS0_14default_configENS1_38merge_sort_block_merge_config_selectorIcNS0_10empty_typeEEEZZNS1_27merge_sort_block_merge_implIS3_PcPS5_jNS1_19radix_merge_compareILb0ELb1EcNS0_19identity_decomposerEEEEE10hipError_tT0_T1_T2_jT3_P12ihipStream_tbPNSt15iterator_traitsISE_E10value_typeEPNSK_ISF_E10value_typeEPSG_NS1_7vsmem_tEENKUlT_SE_SF_SG_E_clIS8_S8_S9_S9_EESD_ST_SE_SF_SG_EUlST_E_NS1_11comp_targetILNS1_3genE9ELNS1_11target_archE1100ELNS1_3gpuE3ELNS1_3repE0EEENS1_48merge_mergepath_partition_config_static_selectorELNS0_4arch9wavefront6targetE1EEEvSF_: ; @_ZN7rocprim17ROCPRIM_400000_NS6detail17trampoline_kernelINS0_14default_configENS1_38merge_sort_block_merge_config_selectorIcNS0_10empty_typeEEEZZNS1_27merge_sort_block_merge_implIS3_PcPS5_jNS1_19radix_merge_compareILb0ELb1EcNS0_19identity_decomposerEEEEE10hipError_tT0_T1_T2_jT3_P12ihipStream_tbPNSt15iterator_traitsISE_E10value_typeEPNSK_ISF_E10value_typeEPSG_NS1_7vsmem_tEENKUlT_SE_SF_SG_E_clIS8_S8_S9_S9_EESD_ST_SE_SF_SG_EUlST_E_NS1_11comp_targetILNS1_3genE9ELNS1_11target_archE1100ELNS1_3gpuE3ELNS1_3repE0EEENS1_48merge_mergepath_partition_config_static_selectorELNS0_4arch9wavefront6targetE1EEEvSF_
; %bb.0:
	.section	.rodata,"a",@progbits
	.p2align	6, 0x0
	.amdhsa_kernel _ZN7rocprim17ROCPRIM_400000_NS6detail17trampoline_kernelINS0_14default_configENS1_38merge_sort_block_merge_config_selectorIcNS0_10empty_typeEEEZZNS1_27merge_sort_block_merge_implIS3_PcPS5_jNS1_19radix_merge_compareILb0ELb1EcNS0_19identity_decomposerEEEEE10hipError_tT0_T1_T2_jT3_P12ihipStream_tbPNSt15iterator_traitsISE_E10value_typeEPNSK_ISF_E10value_typeEPSG_NS1_7vsmem_tEENKUlT_SE_SF_SG_E_clIS8_S8_S9_S9_EESD_ST_SE_SF_SG_EUlST_E_NS1_11comp_targetILNS1_3genE9ELNS1_11target_archE1100ELNS1_3gpuE3ELNS1_3repE0EEENS1_48merge_mergepath_partition_config_static_selectorELNS0_4arch9wavefront6targetE1EEEvSF_
		.amdhsa_group_segment_fixed_size 0
		.amdhsa_private_segment_fixed_size 0
		.amdhsa_kernarg_size 40
		.amdhsa_user_sgpr_count 6
		.amdhsa_user_sgpr_private_segment_buffer 1
		.amdhsa_user_sgpr_dispatch_ptr 0
		.amdhsa_user_sgpr_queue_ptr 0
		.amdhsa_user_sgpr_kernarg_segment_ptr 1
		.amdhsa_user_sgpr_dispatch_id 0
		.amdhsa_user_sgpr_flat_scratch_init 0
		.amdhsa_user_sgpr_kernarg_preload_length 0
		.amdhsa_user_sgpr_kernarg_preload_offset 0
		.amdhsa_user_sgpr_private_segment_size 0
		.amdhsa_uses_dynamic_stack 0
		.amdhsa_system_sgpr_private_segment_wavefront_offset 0
		.amdhsa_system_sgpr_workgroup_id_x 1
		.amdhsa_system_sgpr_workgroup_id_y 0
		.amdhsa_system_sgpr_workgroup_id_z 0
		.amdhsa_system_sgpr_workgroup_info 0
		.amdhsa_system_vgpr_workitem_id 0
		.amdhsa_next_free_vgpr 1
		.amdhsa_next_free_sgpr 0
		.amdhsa_accum_offset 4
		.amdhsa_reserve_vcc 0
		.amdhsa_reserve_flat_scratch 0
		.amdhsa_float_round_mode_32 0
		.amdhsa_float_round_mode_16_64 0
		.amdhsa_float_denorm_mode_32 3
		.amdhsa_float_denorm_mode_16_64 3
		.amdhsa_dx10_clamp 1
		.amdhsa_ieee_mode 1
		.amdhsa_fp16_overflow 0
		.amdhsa_tg_split 0
		.amdhsa_exception_fp_ieee_invalid_op 0
		.amdhsa_exception_fp_denorm_src 0
		.amdhsa_exception_fp_ieee_div_zero 0
		.amdhsa_exception_fp_ieee_overflow 0
		.amdhsa_exception_fp_ieee_underflow 0
		.amdhsa_exception_fp_ieee_inexact 0
		.amdhsa_exception_int_div_zero 0
	.end_amdhsa_kernel
	.section	.text._ZN7rocprim17ROCPRIM_400000_NS6detail17trampoline_kernelINS0_14default_configENS1_38merge_sort_block_merge_config_selectorIcNS0_10empty_typeEEEZZNS1_27merge_sort_block_merge_implIS3_PcPS5_jNS1_19radix_merge_compareILb0ELb1EcNS0_19identity_decomposerEEEEE10hipError_tT0_T1_T2_jT3_P12ihipStream_tbPNSt15iterator_traitsISE_E10value_typeEPNSK_ISF_E10value_typeEPSG_NS1_7vsmem_tEENKUlT_SE_SF_SG_E_clIS8_S8_S9_S9_EESD_ST_SE_SF_SG_EUlST_E_NS1_11comp_targetILNS1_3genE9ELNS1_11target_archE1100ELNS1_3gpuE3ELNS1_3repE0EEENS1_48merge_mergepath_partition_config_static_selectorELNS0_4arch9wavefront6targetE1EEEvSF_,"axG",@progbits,_ZN7rocprim17ROCPRIM_400000_NS6detail17trampoline_kernelINS0_14default_configENS1_38merge_sort_block_merge_config_selectorIcNS0_10empty_typeEEEZZNS1_27merge_sort_block_merge_implIS3_PcPS5_jNS1_19radix_merge_compareILb0ELb1EcNS0_19identity_decomposerEEEEE10hipError_tT0_T1_T2_jT3_P12ihipStream_tbPNSt15iterator_traitsISE_E10value_typeEPNSK_ISF_E10value_typeEPSG_NS1_7vsmem_tEENKUlT_SE_SF_SG_E_clIS8_S8_S9_S9_EESD_ST_SE_SF_SG_EUlST_E_NS1_11comp_targetILNS1_3genE9ELNS1_11target_archE1100ELNS1_3gpuE3ELNS1_3repE0EEENS1_48merge_mergepath_partition_config_static_selectorELNS0_4arch9wavefront6targetE1EEEvSF_,comdat
.Lfunc_end64:
	.size	_ZN7rocprim17ROCPRIM_400000_NS6detail17trampoline_kernelINS0_14default_configENS1_38merge_sort_block_merge_config_selectorIcNS0_10empty_typeEEEZZNS1_27merge_sort_block_merge_implIS3_PcPS5_jNS1_19radix_merge_compareILb0ELb1EcNS0_19identity_decomposerEEEEE10hipError_tT0_T1_T2_jT3_P12ihipStream_tbPNSt15iterator_traitsISE_E10value_typeEPNSK_ISF_E10value_typeEPSG_NS1_7vsmem_tEENKUlT_SE_SF_SG_E_clIS8_S8_S9_S9_EESD_ST_SE_SF_SG_EUlST_E_NS1_11comp_targetILNS1_3genE9ELNS1_11target_archE1100ELNS1_3gpuE3ELNS1_3repE0EEENS1_48merge_mergepath_partition_config_static_selectorELNS0_4arch9wavefront6targetE1EEEvSF_, .Lfunc_end64-_ZN7rocprim17ROCPRIM_400000_NS6detail17trampoline_kernelINS0_14default_configENS1_38merge_sort_block_merge_config_selectorIcNS0_10empty_typeEEEZZNS1_27merge_sort_block_merge_implIS3_PcPS5_jNS1_19radix_merge_compareILb0ELb1EcNS0_19identity_decomposerEEEEE10hipError_tT0_T1_T2_jT3_P12ihipStream_tbPNSt15iterator_traitsISE_E10value_typeEPNSK_ISF_E10value_typeEPSG_NS1_7vsmem_tEENKUlT_SE_SF_SG_E_clIS8_S8_S9_S9_EESD_ST_SE_SF_SG_EUlST_E_NS1_11comp_targetILNS1_3genE9ELNS1_11target_archE1100ELNS1_3gpuE3ELNS1_3repE0EEENS1_48merge_mergepath_partition_config_static_selectorELNS0_4arch9wavefront6targetE1EEEvSF_
                                        ; -- End function
	.section	.AMDGPU.csdata,"",@progbits
; Kernel info:
; codeLenInByte = 0
; NumSgprs: 4
; NumVgprs: 0
; NumAgprs: 0
; TotalNumVgprs: 0
; ScratchSize: 0
; MemoryBound: 0
; FloatMode: 240
; IeeeMode: 1
; LDSByteSize: 0 bytes/workgroup (compile time only)
; SGPRBlocks: 0
; VGPRBlocks: 0
; NumSGPRsForWavesPerEU: 4
; NumVGPRsForWavesPerEU: 1
; AccumOffset: 4
; Occupancy: 8
; WaveLimiterHint : 0
; COMPUTE_PGM_RSRC2:SCRATCH_EN: 0
; COMPUTE_PGM_RSRC2:USER_SGPR: 6
; COMPUTE_PGM_RSRC2:TRAP_HANDLER: 0
; COMPUTE_PGM_RSRC2:TGID_X_EN: 1
; COMPUTE_PGM_RSRC2:TGID_Y_EN: 0
; COMPUTE_PGM_RSRC2:TGID_Z_EN: 0
; COMPUTE_PGM_RSRC2:TIDIG_COMP_CNT: 0
; COMPUTE_PGM_RSRC3_GFX90A:ACCUM_OFFSET: 0
; COMPUTE_PGM_RSRC3_GFX90A:TG_SPLIT: 0
	.section	.text._ZN7rocprim17ROCPRIM_400000_NS6detail17trampoline_kernelINS0_14default_configENS1_38merge_sort_block_merge_config_selectorIcNS0_10empty_typeEEEZZNS1_27merge_sort_block_merge_implIS3_PcPS5_jNS1_19radix_merge_compareILb0ELb1EcNS0_19identity_decomposerEEEEE10hipError_tT0_T1_T2_jT3_P12ihipStream_tbPNSt15iterator_traitsISE_E10value_typeEPNSK_ISF_E10value_typeEPSG_NS1_7vsmem_tEENKUlT_SE_SF_SG_E_clIS8_S8_S9_S9_EESD_ST_SE_SF_SG_EUlST_E_NS1_11comp_targetILNS1_3genE8ELNS1_11target_archE1030ELNS1_3gpuE2ELNS1_3repE0EEENS1_48merge_mergepath_partition_config_static_selectorELNS0_4arch9wavefront6targetE1EEEvSF_,"axG",@progbits,_ZN7rocprim17ROCPRIM_400000_NS6detail17trampoline_kernelINS0_14default_configENS1_38merge_sort_block_merge_config_selectorIcNS0_10empty_typeEEEZZNS1_27merge_sort_block_merge_implIS3_PcPS5_jNS1_19radix_merge_compareILb0ELb1EcNS0_19identity_decomposerEEEEE10hipError_tT0_T1_T2_jT3_P12ihipStream_tbPNSt15iterator_traitsISE_E10value_typeEPNSK_ISF_E10value_typeEPSG_NS1_7vsmem_tEENKUlT_SE_SF_SG_E_clIS8_S8_S9_S9_EESD_ST_SE_SF_SG_EUlST_E_NS1_11comp_targetILNS1_3genE8ELNS1_11target_archE1030ELNS1_3gpuE2ELNS1_3repE0EEENS1_48merge_mergepath_partition_config_static_selectorELNS0_4arch9wavefront6targetE1EEEvSF_,comdat
	.protected	_ZN7rocprim17ROCPRIM_400000_NS6detail17trampoline_kernelINS0_14default_configENS1_38merge_sort_block_merge_config_selectorIcNS0_10empty_typeEEEZZNS1_27merge_sort_block_merge_implIS3_PcPS5_jNS1_19radix_merge_compareILb0ELb1EcNS0_19identity_decomposerEEEEE10hipError_tT0_T1_T2_jT3_P12ihipStream_tbPNSt15iterator_traitsISE_E10value_typeEPNSK_ISF_E10value_typeEPSG_NS1_7vsmem_tEENKUlT_SE_SF_SG_E_clIS8_S8_S9_S9_EESD_ST_SE_SF_SG_EUlST_E_NS1_11comp_targetILNS1_3genE8ELNS1_11target_archE1030ELNS1_3gpuE2ELNS1_3repE0EEENS1_48merge_mergepath_partition_config_static_selectorELNS0_4arch9wavefront6targetE1EEEvSF_ ; -- Begin function _ZN7rocprim17ROCPRIM_400000_NS6detail17trampoline_kernelINS0_14default_configENS1_38merge_sort_block_merge_config_selectorIcNS0_10empty_typeEEEZZNS1_27merge_sort_block_merge_implIS3_PcPS5_jNS1_19radix_merge_compareILb0ELb1EcNS0_19identity_decomposerEEEEE10hipError_tT0_T1_T2_jT3_P12ihipStream_tbPNSt15iterator_traitsISE_E10value_typeEPNSK_ISF_E10value_typeEPSG_NS1_7vsmem_tEENKUlT_SE_SF_SG_E_clIS8_S8_S9_S9_EESD_ST_SE_SF_SG_EUlST_E_NS1_11comp_targetILNS1_3genE8ELNS1_11target_archE1030ELNS1_3gpuE2ELNS1_3repE0EEENS1_48merge_mergepath_partition_config_static_selectorELNS0_4arch9wavefront6targetE1EEEvSF_
	.globl	_ZN7rocprim17ROCPRIM_400000_NS6detail17trampoline_kernelINS0_14default_configENS1_38merge_sort_block_merge_config_selectorIcNS0_10empty_typeEEEZZNS1_27merge_sort_block_merge_implIS3_PcPS5_jNS1_19radix_merge_compareILb0ELb1EcNS0_19identity_decomposerEEEEE10hipError_tT0_T1_T2_jT3_P12ihipStream_tbPNSt15iterator_traitsISE_E10value_typeEPNSK_ISF_E10value_typeEPSG_NS1_7vsmem_tEENKUlT_SE_SF_SG_E_clIS8_S8_S9_S9_EESD_ST_SE_SF_SG_EUlST_E_NS1_11comp_targetILNS1_3genE8ELNS1_11target_archE1030ELNS1_3gpuE2ELNS1_3repE0EEENS1_48merge_mergepath_partition_config_static_selectorELNS0_4arch9wavefront6targetE1EEEvSF_
	.p2align	8
	.type	_ZN7rocprim17ROCPRIM_400000_NS6detail17trampoline_kernelINS0_14default_configENS1_38merge_sort_block_merge_config_selectorIcNS0_10empty_typeEEEZZNS1_27merge_sort_block_merge_implIS3_PcPS5_jNS1_19radix_merge_compareILb0ELb1EcNS0_19identity_decomposerEEEEE10hipError_tT0_T1_T2_jT3_P12ihipStream_tbPNSt15iterator_traitsISE_E10value_typeEPNSK_ISF_E10value_typeEPSG_NS1_7vsmem_tEENKUlT_SE_SF_SG_E_clIS8_S8_S9_S9_EESD_ST_SE_SF_SG_EUlST_E_NS1_11comp_targetILNS1_3genE8ELNS1_11target_archE1030ELNS1_3gpuE2ELNS1_3repE0EEENS1_48merge_mergepath_partition_config_static_selectorELNS0_4arch9wavefront6targetE1EEEvSF_,@function
_ZN7rocprim17ROCPRIM_400000_NS6detail17trampoline_kernelINS0_14default_configENS1_38merge_sort_block_merge_config_selectorIcNS0_10empty_typeEEEZZNS1_27merge_sort_block_merge_implIS3_PcPS5_jNS1_19radix_merge_compareILb0ELb1EcNS0_19identity_decomposerEEEEE10hipError_tT0_T1_T2_jT3_P12ihipStream_tbPNSt15iterator_traitsISE_E10value_typeEPNSK_ISF_E10value_typeEPSG_NS1_7vsmem_tEENKUlT_SE_SF_SG_E_clIS8_S8_S9_S9_EESD_ST_SE_SF_SG_EUlST_E_NS1_11comp_targetILNS1_3genE8ELNS1_11target_archE1030ELNS1_3gpuE2ELNS1_3repE0EEENS1_48merge_mergepath_partition_config_static_selectorELNS0_4arch9wavefront6targetE1EEEvSF_: ; @_ZN7rocprim17ROCPRIM_400000_NS6detail17trampoline_kernelINS0_14default_configENS1_38merge_sort_block_merge_config_selectorIcNS0_10empty_typeEEEZZNS1_27merge_sort_block_merge_implIS3_PcPS5_jNS1_19radix_merge_compareILb0ELb1EcNS0_19identity_decomposerEEEEE10hipError_tT0_T1_T2_jT3_P12ihipStream_tbPNSt15iterator_traitsISE_E10value_typeEPNSK_ISF_E10value_typeEPSG_NS1_7vsmem_tEENKUlT_SE_SF_SG_E_clIS8_S8_S9_S9_EESD_ST_SE_SF_SG_EUlST_E_NS1_11comp_targetILNS1_3genE8ELNS1_11target_archE1030ELNS1_3gpuE2ELNS1_3repE0EEENS1_48merge_mergepath_partition_config_static_selectorELNS0_4arch9wavefront6targetE1EEEvSF_
; %bb.0:
	.section	.rodata,"a",@progbits
	.p2align	6, 0x0
	.amdhsa_kernel _ZN7rocprim17ROCPRIM_400000_NS6detail17trampoline_kernelINS0_14default_configENS1_38merge_sort_block_merge_config_selectorIcNS0_10empty_typeEEEZZNS1_27merge_sort_block_merge_implIS3_PcPS5_jNS1_19radix_merge_compareILb0ELb1EcNS0_19identity_decomposerEEEEE10hipError_tT0_T1_T2_jT3_P12ihipStream_tbPNSt15iterator_traitsISE_E10value_typeEPNSK_ISF_E10value_typeEPSG_NS1_7vsmem_tEENKUlT_SE_SF_SG_E_clIS8_S8_S9_S9_EESD_ST_SE_SF_SG_EUlST_E_NS1_11comp_targetILNS1_3genE8ELNS1_11target_archE1030ELNS1_3gpuE2ELNS1_3repE0EEENS1_48merge_mergepath_partition_config_static_selectorELNS0_4arch9wavefront6targetE1EEEvSF_
		.amdhsa_group_segment_fixed_size 0
		.amdhsa_private_segment_fixed_size 0
		.amdhsa_kernarg_size 40
		.amdhsa_user_sgpr_count 6
		.amdhsa_user_sgpr_private_segment_buffer 1
		.amdhsa_user_sgpr_dispatch_ptr 0
		.amdhsa_user_sgpr_queue_ptr 0
		.amdhsa_user_sgpr_kernarg_segment_ptr 1
		.amdhsa_user_sgpr_dispatch_id 0
		.amdhsa_user_sgpr_flat_scratch_init 0
		.amdhsa_user_sgpr_kernarg_preload_length 0
		.amdhsa_user_sgpr_kernarg_preload_offset 0
		.amdhsa_user_sgpr_private_segment_size 0
		.amdhsa_uses_dynamic_stack 0
		.amdhsa_system_sgpr_private_segment_wavefront_offset 0
		.amdhsa_system_sgpr_workgroup_id_x 1
		.amdhsa_system_sgpr_workgroup_id_y 0
		.amdhsa_system_sgpr_workgroup_id_z 0
		.amdhsa_system_sgpr_workgroup_info 0
		.amdhsa_system_vgpr_workitem_id 0
		.amdhsa_next_free_vgpr 1
		.amdhsa_next_free_sgpr 0
		.amdhsa_accum_offset 4
		.amdhsa_reserve_vcc 0
		.amdhsa_reserve_flat_scratch 0
		.amdhsa_float_round_mode_32 0
		.amdhsa_float_round_mode_16_64 0
		.amdhsa_float_denorm_mode_32 3
		.amdhsa_float_denorm_mode_16_64 3
		.amdhsa_dx10_clamp 1
		.amdhsa_ieee_mode 1
		.amdhsa_fp16_overflow 0
		.amdhsa_tg_split 0
		.amdhsa_exception_fp_ieee_invalid_op 0
		.amdhsa_exception_fp_denorm_src 0
		.amdhsa_exception_fp_ieee_div_zero 0
		.amdhsa_exception_fp_ieee_overflow 0
		.amdhsa_exception_fp_ieee_underflow 0
		.amdhsa_exception_fp_ieee_inexact 0
		.amdhsa_exception_int_div_zero 0
	.end_amdhsa_kernel
	.section	.text._ZN7rocprim17ROCPRIM_400000_NS6detail17trampoline_kernelINS0_14default_configENS1_38merge_sort_block_merge_config_selectorIcNS0_10empty_typeEEEZZNS1_27merge_sort_block_merge_implIS3_PcPS5_jNS1_19radix_merge_compareILb0ELb1EcNS0_19identity_decomposerEEEEE10hipError_tT0_T1_T2_jT3_P12ihipStream_tbPNSt15iterator_traitsISE_E10value_typeEPNSK_ISF_E10value_typeEPSG_NS1_7vsmem_tEENKUlT_SE_SF_SG_E_clIS8_S8_S9_S9_EESD_ST_SE_SF_SG_EUlST_E_NS1_11comp_targetILNS1_3genE8ELNS1_11target_archE1030ELNS1_3gpuE2ELNS1_3repE0EEENS1_48merge_mergepath_partition_config_static_selectorELNS0_4arch9wavefront6targetE1EEEvSF_,"axG",@progbits,_ZN7rocprim17ROCPRIM_400000_NS6detail17trampoline_kernelINS0_14default_configENS1_38merge_sort_block_merge_config_selectorIcNS0_10empty_typeEEEZZNS1_27merge_sort_block_merge_implIS3_PcPS5_jNS1_19radix_merge_compareILb0ELb1EcNS0_19identity_decomposerEEEEE10hipError_tT0_T1_T2_jT3_P12ihipStream_tbPNSt15iterator_traitsISE_E10value_typeEPNSK_ISF_E10value_typeEPSG_NS1_7vsmem_tEENKUlT_SE_SF_SG_E_clIS8_S8_S9_S9_EESD_ST_SE_SF_SG_EUlST_E_NS1_11comp_targetILNS1_3genE8ELNS1_11target_archE1030ELNS1_3gpuE2ELNS1_3repE0EEENS1_48merge_mergepath_partition_config_static_selectorELNS0_4arch9wavefront6targetE1EEEvSF_,comdat
.Lfunc_end65:
	.size	_ZN7rocprim17ROCPRIM_400000_NS6detail17trampoline_kernelINS0_14default_configENS1_38merge_sort_block_merge_config_selectorIcNS0_10empty_typeEEEZZNS1_27merge_sort_block_merge_implIS3_PcPS5_jNS1_19radix_merge_compareILb0ELb1EcNS0_19identity_decomposerEEEEE10hipError_tT0_T1_T2_jT3_P12ihipStream_tbPNSt15iterator_traitsISE_E10value_typeEPNSK_ISF_E10value_typeEPSG_NS1_7vsmem_tEENKUlT_SE_SF_SG_E_clIS8_S8_S9_S9_EESD_ST_SE_SF_SG_EUlST_E_NS1_11comp_targetILNS1_3genE8ELNS1_11target_archE1030ELNS1_3gpuE2ELNS1_3repE0EEENS1_48merge_mergepath_partition_config_static_selectorELNS0_4arch9wavefront6targetE1EEEvSF_, .Lfunc_end65-_ZN7rocprim17ROCPRIM_400000_NS6detail17trampoline_kernelINS0_14default_configENS1_38merge_sort_block_merge_config_selectorIcNS0_10empty_typeEEEZZNS1_27merge_sort_block_merge_implIS3_PcPS5_jNS1_19radix_merge_compareILb0ELb1EcNS0_19identity_decomposerEEEEE10hipError_tT0_T1_T2_jT3_P12ihipStream_tbPNSt15iterator_traitsISE_E10value_typeEPNSK_ISF_E10value_typeEPSG_NS1_7vsmem_tEENKUlT_SE_SF_SG_E_clIS8_S8_S9_S9_EESD_ST_SE_SF_SG_EUlST_E_NS1_11comp_targetILNS1_3genE8ELNS1_11target_archE1030ELNS1_3gpuE2ELNS1_3repE0EEENS1_48merge_mergepath_partition_config_static_selectorELNS0_4arch9wavefront6targetE1EEEvSF_
                                        ; -- End function
	.section	.AMDGPU.csdata,"",@progbits
; Kernel info:
; codeLenInByte = 0
; NumSgprs: 4
; NumVgprs: 0
; NumAgprs: 0
; TotalNumVgprs: 0
; ScratchSize: 0
; MemoryBound: 0
; FloatMode: 240
; IeeeMode: 1
; LDSByteSize: 0 bytes/workgroup (compile time only)
; SGPRBlocks: 0
; VGPRBlocks: 0
; NumSGPRsForWavesPerEU: 4
; NumVGPRsForWavesPerEU: 1
; AccumOffset: 4
; Occupancy: 8
; WaveLimiterHint : 0
; COMPUTE_PGM_RSRC2:SCRATCH_EN: 0
; COMPUTE_PGM_RSRC2:USER_SGPR: 6
; COMPUTE_PGM_RSRC2:TRAP_HANDLER: 0
; COMPUTE_PGM_RSRC2:TGID_X_EN: 1
; COMPUTE_PGM_RSRC2:TGID_Y_EN: 0
; COMPUTE_PGM_RSRC2:TGID_Z_EN: 0
; COMPUTE_PGM_RSRC2:TIDIG_COMP_CNT: 0
; COMPUTE_PGM_RSRC3_GFX90A:ACCUM_OFFSET: 0
; COMPUTE_PGM_RSRC3_GFX90A:TG_SPLIT: 0
	.section	.text._ZN7rocprim17ROCPRIM_400000_NS6detail17trampoline_kernelINS0_14default_configENS1_38merge_sort_block_merge_config_selectorIcNS0_10empty_typeEEEZZNS1_27merge_sort_block_merge_implIS3_PcPS5_jNS1_19radix_merge_compareILb0ELb1EcNS0_19identity_decomposerEEEEE10hipError_tT0_T1_T2_jT3_P12ihipStream_tbPNSt15iterator_traitsISE_E10value_typeEPNSK_ISF_E10value_typeEPSG_NS1_7vsmem_tEENKUlT_SE_SF_SG_E_clIS8_S8_S9_S9_EESD_ST_SE_SF_SG_EUlST_E0_NS1_11comp_targetILNS1_3genE0ELNS1_11target_archE4294967295ELNS1_3gpuE0ELNS1_3repE0EEENS1_38merge_mergepath_config_static_selectorELNS0_4arch9wavefront6targetE1EEEvSF_,"axG",@progbits,_ZN7rocprim17ROCPRIM_400000_NS6detail17trampoline_kernelINS0_14default_configENS1_38merge_sort_block_merge_config_selectorIcNS0_10empty_typeEEEZZNS1_27merge_sort_block_merge_implIS3_PcPS5_jNS1_19radix_merge_compareILb0ELb1EcNS0_19identity_decomposerEEEEE10hipError_tT0_T1_T2_jT3_P12ihipStream_tbPNSt15iterator_traitsISE_E10value_typeEPNSK_ISF_E10value_typeEPSG_NS1_7vsmem_tEENKUlT_SE_SF_SG_E_clIS8_S8_S9_S9_EESD_ST_SE_SF_SG_EUlST_E0_NS1_11comp_targetILNS1_3genE0ELNS1_11target_archE4294967295ELNS1_3gpuE0ELNS1_3repE0EEENS1_38merge_mergepath_config_static_selectorELNS0_4arch9wavefront6targetE1EEEvSF_,comdat
	.protected	_ZN7rocprim17ROCPRIM_400000_NS6detail17trampoline_kernelINS0_14default_configENS1_38merge_sort_block_merge_config_selectorIcNS0_10empty_typeEEEZZNS1_27merge_sort_block_merge_implIS3_PcPS5_jNS1_19radix_merge_compareILb0ELb1EcNS0_19identity_decomposerEEEEE10hipError_tT0_T1_T2_jT3_P12ihipStream_tbPNSt15iterator_traitsISE_E10value_typeEPNSK_ISF_E10value_typeEPSG_NS1_7vsmem_tEENKUlT_SE_SF_SG_E_clIS8_S8_S9_S9_EESD_ST_SE_SF_SG_EUlST_E0_NS1_11comp_targetILNS1_3genE0ELNS1_11target_archE4294967295ELNS1_3gpuE0ELNS1_3repE0EEENS1_38merge_mergepath_config_static_selectorELNS0_4arch9wavefront6targetE1EEEvSF_ ; -- Begin function _ZN7rocprim17ROCPRIM_400000_NS6detail17trampoline_kernelINS0_14default_configENS1_38merge_sort_block_merge_config_selectorIcNS0_10empty_typeEEEZZNS1_27merge_sort_block_merge_implIS3_PcPS5_jNS1_19radix_merge_compareILb0ELb1EcNS0_19identity_decomposerEEEEE10hipError_tT0_T1_T2_jT3_P12ihipStream_tbPNSt15iterator_traitsISE_E10value_typeEPNSK_ISF_E10value_typeEPSG_NS1_7vsmem_tEENKUlT_SE_SF_SG_E_clIS8_S8_S9_S9_EESD_ST_SE_SF_SG_EUlST_E0_NS1_11comp_targetILNS1_3genE0ELNS1_11target_archE4294967295ELNS1_3gpuE0ELNS1_3repE0EEENS1_38merge_mergepath_config_static_selectorELNS0_4arch9wavefront6targetE1EEEvSF_
	.globl	_ZN7rocprim17ROCPRIM_400000_NS6detail17trampoline_kernelINS0_14default_configENS1_38merge_sort_block_merge_config_selectorIcNS0_10empty_typeEEEZZNS1_27merge_sort_block_merge_implIS3_PcPS5_jNS1_19radix_merge_compareILb0ELb1EcNS0_19identity_decomposerEEEEE10hipError_tT0_T1_T2_jT3_P12ihipStream_tbPNSt15iterator_traitsISE_E10value_typeEPNSK_ISF_E10value_typeEPSG_NS1_7vsmem_tEENKUlT_SE_SF_SG_E_clIS8_S8_S9_S9_EESD_ST_SE_SF_SG_EUlST_E0_NS1_11comp_targetILNS1_3genE0ELNS1_11target_archE4294967295ELNS1_3gpuE0ELNS1_3repE0EEENS1_38merge_mergepath_config_static_selectorELNS0_4arch9wavefront6targetE1EEEvSF_
	.p2align	8
	.type	_ZN7rocprim17ROCPRIM_400000_NS6detail17trampoline_kernelINS0_14default_configENS1_38merge_sort_block_merge_config_selectorIcNS0_10empty_typeEEEZZNS1_27merge_sort_block_merge_implIS3_PcPS5_jNS1_19radix_merge_compareILb0ELb1EcNS0_19identity_decomposerEEEEE10hipError_tT0_T1_T2_jT3_P12ihipStream_tbPNSt15iterator_traitsISE_E10value_typeEPNSK_ISF_E10value_typeEPSG_NS1_7vsmem_tEENKUlT_SE_SF_SG_E_clIS8_S8_S9_S9_EESD_ST_SE_SF_SG_EUlST_E0_NS1_11comp_targetILNS1_3genE0ELNS1_11target_archE4294967295ELNS1_3gpuE0ELNS1_3repE0EEENS1_38merge_mergepath_config_static_selectorELNS0_4arch9wavefront6targetE1EEEvSF_,@function
_ZN7rocprim17ROCPRIM_400000_NS6detail17trampoline_kernelINS0_14default_configENS1_38merge_sort_block_merge_config_selectorIcNS0_10empty_typeEEEZZNS1_27merge_sort_block_merge_implIS3_PcPS5_jNS1_19radix_merge_compareILb0ELb1EcNS0_19identity_decomposerEEEEE10hipError_tT0_T1_T2_jT3_P12ihipStream_tbPNSt15iterator_traitsISE_E10value_typeEPNSK_ISF_E10value_typeEPSG_NS1_7vsmem_tEENKUlT_SE_SF_SG_E_clIS8_S8_S9_S9_EESD_ST_SE_SF_SG_EUlST_E0_NS1_11comp_targetILNS1_3genE0ELNS1_11target_archE4294967295ELNS1_3gpuE0ELNS1_3repE0EEENS1_38merge_mergepath_config_static_selectorELNS0_4arch9wavefront6targetE1EEEvSF_: ; @_ZN7rocprim17ROCPRIM_400000_NS6detail17trampoline_kernelINS0_14default_configENS1_38merge_sort_block_merge_config_selectorIcNS0_10empty_typeEEEZZNS1_27merge_sort_block_merge_implIS3_PcPS5_jNS1_19radix_merge_compareILb0ELb1EcNS0_19identity_decomposerEEEEE10hipError_tT0_T1_T2_jT3_P12ihipStream_tbPNSt15iterator_traitsISE_E10value_typeEPNSK_ISF_E10value_typeEPSG_NS1_7vsmem_tEENKUlT_SE_SF_SG_E_clIS8_S8_S9_S9_EESD_ST_SE_SF_SG_EUlST_E0_NS1_11comp_targetILNS1_3genE0ELNS1_11target_archE4294967295ELNS1_3gpuE0ELNS1_3repE0EEENS1_38merge_mergepath_config_static_selectorELNS0_4arch9wavefront6targetE1EEEvSF_
; %bb.0:
	.section	.rodata,"a",@progbits
	.p2align	6, 0x0
	.amdhsa_kernel _ZN7rocprim17ROCPRIM_400000_NS6detail17trampoline_kernelINS0_14default_configENS1_38merge_sort_block_merge_config_selectorIcNS0_10empty_typeEEEZZNS1_27merge_sort_block_merge_implIS3_PcPS5_jNS1_19radix_merge_compareILb0ELb1EcNS0_19identity_decomposerEEEEE10hipError_tT0_T1_T2_jT3_P12ihipStream_tbPNSt15iterator_traitsISE_E10value_typeEPNSK_ISF_E10value_typeEPSG_NS1_7vsmem_tEENKUlT_SE_SF_SG_E_clIS8_S8_S9_S9_EESD_ST_SE_SF_SG_EUlST_E0_NS1_11comp_targetILNS1_3genE0ELNS1_11target_archE4294967295ELNS1_3gpuE0ELNS1_3repE0EEENS1_38merge_mergepath_config_static_selectorELNS0_4arch9wavefront6targetE1EEEvSF_
		.amdhsa_group_segment_fixed_size 0
		.amdhsa_private_segment_fixed_size 0
		.amdhsa_kernarg_size 64
		.amdhsa_user_sgpr_count 6
		.amdhsa_user_sgpr_private_segment_buffer 1
		.amdhsa_user_sgpr_dispatch_ptr 0
		.amdhsa_user_sgpr_queue_ptr 0
		.amdhsa_user_sgpr_kernarg_segment_ptr 1
		.amdhsa_user_sgpr_dispatch_id 0
		.amdhsa_user_sgpr_flat_scratch_init 0
		.amdhsa_user_sgpr_kernarg_preload_length 0
		.amdhsa_user_sgpr_kernarg_preload_offset 0
		.amdhsa_user_sgpr_private_segment_size 0
		.amdhsa_uses_dynamic_stack 0
		.amdhsa_system_sgpr_private_segment_wavefront_offset 0
		.amdhsa_system_sgpr_workgroup_id_x 1
		.amdhsa_system_sgpr_workgroup_id_y 0
		.amdhsa_system_sgpr_workgroup_id_z 0
		.amdhsa_system_sgpr_workgroup_info 0
		.amdhsa_system_vgpr_workitem_id 0
		.amdhsa_next_free_vgpr 1
		.amdhsa_next_free_sgpr 0
		.amdhsa_accum_offset 4
		.amdhsa_reserve_vcc 0
		.amdhsa_reserve_flat_scratch 0
		.amdhsa_float_round_mode_32 0
		.amdhsa_float_round_mode_16_64 0
		.amdhsa_float_denorm_mode_32 3
		.amdhsa_float_denorm_mode_16_64 3
		.amdhsa_dx10_clamp 1
		.amdhsa_ieee_mode 1
		.amdhsa_fp16_overflow 0
		.amdhsa_tg_split 0
		.amdhsa_exception_fp_ieee_invalid_op 0
		.amdhsa_exception_fp_denorm_src 0
		.amdhsa_exception_fp_ieee_div_zero 0
		.amdhsa_exception_fp_ieee_overflow 0
		.amdhsa_exception_fp_ieee_underflow 0
		.amdhsa_exception_fp_ieee_inexact 0
		.amdhsa_exception_int_div_zero 0
	.end_amdhsa_kernel
	.section	.text._ZN7rocprim17ROCPRIM_400000_NS6detail17trampoline_kernelINS0_14default_configENS1_38merge_sort_block_merge_config_selectorIcNS0_10empty_typeEEEZZNS1_27merge_sort_block_merge_implIS3_PcPS5_jNS1_19radix_merge_compareILb0ELb1EcNS0_19identity_decomposerEEEEE10hipError_tT0_T1_T2_jT3_P12ihipStream_tbPNSt15iterator_traitsISE_E10value_typeEPNSK_ISF_E10value_typeEPSG_NS1_7vsmem_tEENKUlT_SE_SF_SG_E_clIS8_S8_S9_S9_EESD_ST_SE_SF_SG_EUlST_E0_NS1_11comp_targetILNS1_3genE0ELNS1_11target_archE4294967295ELNS1_3gpuE0ELNS1_3repE0EEENS1_38merge_mergepath_config_static_selectorELNS0_4arch9wavefront6targetE1EEEvSF_,"axG",@progbits,_ZN7rocprim17ROCPRIM_400000_NS6detail17trampoline_kernelINS0_14default_configENS1_38merge_sort_block_merge_config_selectorIcNS0_10empty_typeEEEZZNS1_27merge_sort_block_merge_implIS3_PcPS5_jNS1_19radix_merge_compareILb0ELb1EcNS0_19identity_decomposerEEEEE10hipError_tT0_T1_T2_jT3_P12ihipStream_tbPNSt15iterator_traitsISE_E10value_typeEPNSK_ISF_E10value_typeEPSG_NS1_7vsmem_tEENKUlT_SE_SF_SG_E_clIS8_S8_S9_S9_EESD_ST_SE_SF_SG_EUlST_E0_NS1_11comp_targetILNS1_3genE0ELNS1_11target_archE4294967295ELNS1_3gpuE0ELNS1_3repE0EEENS1_38merge_mergepath_config_static_selectorELNS0_4arch9wavefront6targetE1EEEvSF_,comdat
.Lfunc_end66:
	.size	_ZN7rocprim17ROCPRIM_400000_NS6detail17trampoline_kernelINS0_14default_configENS1_38merge_sort_block_merge_config_selectorIcNS0_10empty_typeEEEZZNS1_27merge_sort_block_merge_implIS3_PcPS5_jNS1_19radix_merge_compareILb0ELb1EcNS0_19identity_decomposerEEEEE10hipError_tT0_T1_T2_jT3_P12ihipStream_tbPNSt15iterator_traitsISE_E10value_typeEPNSK_ISF_E10value_typeEPSG_NS1_7vsmem_tEENKUlT_SE_SF_SG_E_clIS8_S8_S9_S9_EESD_ST_SE_SF_SG_EUlST_E0_NS1_11comp_targetILNS1_3genE0ELNS1_11target_archE4294967295ELNS1_3gpuE0ELNS1_3repE0EEENS1_38merge_mergepath_config_static_selectorELNS0_4arch9wavefront6targetE1EEEvSF_, .Lfunc_end66-_ZN7rocprim17ROCPRIM_400000_NS6detail17trampoline_kernelINS0_14default_configENS1_38merge_sort_block_merge_config_selectorIcNS0_10empty_typeEEEZZNS1_27merge_sort_block_merge_implIS3_PcPS5_jNS1_19radix_merge_compareILb0ELb1EcNS0_19identity_decomposerEEEEE10hipError_tT0_T1_T2_jT3_P12ihipStream_tbPNSt15iterator_traitsISE_E10value_typeEPNSK_ISF_E10value_typeEPSG_NS1_7vsmem_tEENKUlT_SE_SF_SG_E_clIS8_S8_S9_S9_EESD_ST_SE_SF_SG_EUlST_E0_NS1_11comp_targetILNS1_3genE0ELNS1_11target_archE4294967295ELNS1_3gpuE0ELNS1_3repE0EEENS1_38merge_mergepath_config_static_selectorELNS0_4arch9wavefront6targetE1EEEvSF_
                                        ; -- End function
	.section	.AMDGPU.csdata,"",@progbits
; Kernel info:
; codeLenInByte = 0
; NumSgprs: 4
; NumVgprs: 0
; NumAgprs: 0
; TotalNumVgprs: 0
; ScratchSize: 0
; MemoryBound: 0
; FloatMode: 240
; IeeeMode: 1
; LDSByteSize: 0 bytes/workgroup (compile time only)
; SGPRBlocks: 0
; VGPRBlocks: 0
; NumSGPRsForWavesPerEU: 4
; NumVGPRsForWavesPerEU: 1
; AccumOffset: 4
; Occupancy: 8
; WaveLimiterHint : 0
; COMPUTE_PGM_RSRC2:SCRATCH_EN: 0
; COMPUTE_PGM_RSRC2:USER_SGPR: 6
; COMPUTE_PGM_RSRC2:TRAP_HANDLER: 0
; COMPUTE_PGM_RSRC2:TGID_X_EN: 1
; COMPUTE_PGM_RSRC2:TGID_Y_EN: 0
; COMPUTE_PGM_RSRC2:TGID_Z_EN: 0
; COMPUTE_PGM_RSRC2:TIDIG_COMP_CNT: 0
; COMPUTE_PGM_RSRC3_GFX90A:ACCUM_OFFSET: 0
; COMPUTE_PGM_RSRC3_GFX90A:TG_SPLIT: 0
	.section	.text._ZN7rocprim17ROCPRIM_400000_NS6detail17trampoline_kernelINS0_14default_configENS1_38merge_sort_block_merge_config_selectorIcNS0_10empty_typeEEEZZNS1_27merge_sort_block_merge_implIS3_PcPS5_jNS1_19radix_merge_compareILb0ELb1EcNS0_19identity_decomposerEEEEE10hipError_tT0_T1_T2_jT3_P12ihipStream_tbPNSt15iterator_traitsISE_E10value_typeEPNSK_ISF_E10value_typeEPSG_NS1_7vsmem_tEENKUlT_SE_SF_SG_E_clIS8_S8_S9_S9_EESD_ST_SE_SF_SG_EUlST_E0_NS1_11comp_targetILNS1_3genE10ELNS1_11target_archE1201ELNS1_3gpuE5ELNS1_3repE0EEENS1_38merge_mergepath_config_static_selectorELNS0_4arch9wavefront6targetE1EEEvSF_,"axG",@progbits,_ZN7rocprim17ROCPRIM_400000_NS6detail17trampoline_kernelINS0_14default_configENS1_38merge_sort_block_merge_config_selectorIcNS0_10empty_typeEEEZZNS1_27merge_sort_block_merge_implIS3_PcPS5_jNS1_19radix_merge_compareILb0ELb1EcNS0_19identity_decomposerEEEEE10hipError_tT0_T1_T2_jT3_P12ihipStream_tbPNSt15iterator_traitsISE_E10value_typeEPNSK_ISF_E10value_typeEPSG_NS1_7vsmem_tEENKUlT_SE_SF_SG_E_clIS8_S8_S9_S9_EESD_ST_SE_SF_SG_EUlST_E0_NS1_11comp_targetILNS1_3genE10ELNS1_11target_archE1201ELNS1_3gpuE5ELNS1_3repE0EEENS1_38merge_mergepath_config_static_selectorELNS0_4arch9wavefront6targetE1EEEvSF_,comdat
	.protected	_ZN7rocprim17ROCPRIM_400000_NS6detail17trampoline_kernelINS0_14default_configENS1_38merge_sort_block_merge_config_selectorIcNS0_10empty_typeEEEZZNS1_27merge_sort_block_merge_implIS3_PcPS5_jNS1_19radix_merge_compareILb0ELb1EcNS0_19identity_decomposerEEEEE10hipError_tT0_T1_T2_jT3_P12ihipStream_tbPNSt15iterator_traitsISE_E10value_typeEPNSK_ISF_E10value_typeEPSG_NS1_7vsmem_tEENKUlT_SE_SF_SG_E_clIS8_S8_S9_S9_EESD_ST_SE_SF_SG_EUlST_E0_NS1_11comp_targetILNS1_3genE10ELNS1_11target_archE1201ELNS1_3gpuE5ELNS1_3repE0EEENS1_38merge_mergepath_config_static_selectorELNS0_4arch9wavefront6targetE1EEEvSF_ ; -- Begin function _ZN7rocprim17ROCPRIM_400000_NS6detail17trampoline_kernelINS0_14default_configENS1_38merge_sort_block_merge_config_selectorIcNS0_10empty_typeEEEZZNS1_27merge_sort_block_merge_implIS3_PcPS5_jNS1_19radix_merge_compareILb0ELb1EcNS0_19identity_decomposerEEEEE10hipError_tT0_T1_T2_jT3_P12ihipStream_tbPNSt15iterator_traitsISE_E10value_typeEPNSK_ISF_E10value_typeEPSG_NS1_7vsmem_tEENKUlT_SE_SF_SG_E_clIS8_S8_S9_S9_EESD_ST_SE_SF_SG_EUlST_E0_NS1_11comp_targetILNS1_3genE10ELNS1_11target_archE1201ELNS1_3gpuE5ELNS1_3repE0EEENS1_38merge_mergepath_config_static_selectorELNS0_4arch9wavefront6targetE1EEEvSF_
	.globl	_ZN7rocprim17ROCPRIM_400000_NS6detail17trampoline_kernelINS0_14default_configENS1_38merge_sort_block_merge_config_selectorIcNS0_10empty_typeEEEZZNS1_27merge_sort_block_merge_implIS3_PcPS5_jNS1_19radix_merge_compareILb0ELb1EcNS0_19identity_decomposerEEEEE10hipError_tT0_T1_T2_jT3_P12ihipStream_tbPNSt15iterator_traitsISE_E10value_typeEPNSK_ISF_E10value_typeEPSG_NS1_7vsmem_tEENKUlT_SE_SF_SG_E_clIS8_S8_S9_S9_EESD_ST_SE_SF_SG_EUlST_E0_NS1_11comp_targetILNS1_3genE10ELNS1_11target_archE1201ELNS1_3gpuE5ELNS1_3repE0EEENS1_38merge_mergepath_config_static_selectorELNS0_4arch9wavefront6targetE1EEEvSF_
	.p2align	8
	.type	_ZN7rocprim17ROCPRIM_400000_NS6detail17trampoline_kernelINS0_14default_configENS1_38merge_sort_block_merge_config_selectorIcNS0_10empty_typeEEEZZNS1_27merge_sort_block_merge_implIS3_PcPS5_jNS1_19radix_merge_compareILb0ELb1EcNS0_19identity_decomposerEEEEE10hipError_tT0_T1_T2_jT3_P12ihipStream_tbPNSt15iterator_traitsISE_E10value_typeEPNSK_ISF_E10value_typeEPSG_NS1_7vsmem_tEENKUlT_SE_SF_SG_E_clIS8_S8_S9_S9_EESD_ST_SE_SF_SG_EUlST_E0_NS1_11comp_targetILNS1_3genE10ELNS1_11target_archE1201ELNS1_3gpuE5ELNS1_3repE0EEENS1_38merge_mergepath_config_static_selectorELNS0_4arch9wavefront6targetE1EEEvSF_,@function
_ZN7rocprim17ROCPRIM_400000_NS6detail17trampoline_kernelINS0_14default_configENS1_38merge_sort_block_merge_config_selectorIcNS0_10empty_typeEEEZZNS1_27merge_sort_block_merge_implIS3_PcPS5_jNS1_19radix_merge_compareILb0ELb1EcNS0_19identity_decomposerEEEEE10hipError_tT0_T1_T2_jT3_P12ihipStream_tbPNSt15iterator_traitsISE_E10value_typeEPNSK_ISF_E10value_typeEPSG_NS1_7vsmem_tEENKUlT_SE_SF_SG_E_clIS8_S8_S9_S9_EESD_ST_SE_SF_SG_EUlST_E0_NS1_11comp_targetILNS1_3genE10ELNS1_11target_archE1201ELNS1_3gpuE5ELNS1_3repE0EEENS1_38merge_mergepath_config_static_selectorELNS0_4arch9wavefront6targetE1EEEvSF_: ; @_ZN7rocprim17ROCPRIM_400000_NS6detail17trampoline_kernelINS0_14default_configENS1_38merge_sort_block_merge_config_selectorIcNS0_10empty_typeEEEZZNS1_27merge_sort_block_merge_implIS3_PcPS5_jNS1_19radix_merge_compareILb0ELb1EcNS0_19identity_decomposerEEEEE10hipError_tT0_T1_T2_jT3_P12ihipStream_tbPNSt15iterator_traitsISE_E10value_typeEPNSK_ISF_E10value_typeEPSG_NS1_7vsmem_tEENKUlT_SE_SF_SG_E_clIS8_S8_S9_S9_EESD_ST_SE_SF_SG_EUlST_E0_NS1_11comp_targetILNS1_3genE10ELNS1_11target_archE1201ELNS1_3gpuE5ELNS1_3repE0EEENS1_38merge_mergepath_config_static_selectorELNS0_4arch9wavefront6targetE1EEEvSF_
; %bb.0:
	.section	.rodata,"a",@progbits
	.p2align	6, 0x0
	.amdhsa_kernel _ZN7rocprim17ROCPRIM_400000_NS6detail17trampoline_kernelINS0_14default_configENS1_38merge_sort_block_merge_config_selectorIcNS0_10empty_typeEEEZZNS1_27merge_sort_block_merge_implIS3_PcPS5_jNS1_19radix_merge_compareILb0ELb1EcNS0_19identity_decomposerEEEEE10hipError_tT0_T1_T2_jT3_P12ihipStream_tbPNSt15iterator_traitsISE_E10value_typeEPNSK_ISF_E10value_typeEPSG_NS1_7vsmem_tEENKUlT_SE_SF_SG_E_clIS8_S8_S9_S9_EESD_ST_SE_SF_SG_EUlST_E0_NS1_11comp_targetILNS1_3genE10ELNS1_11target_archE1201ELNS1_3gpuE5ELNS1_3repE0EEENS1_38merge_mergepath_config_static_selectorELNS0_4arch9wavefront6targetE1EEEvSF_
		.amdhsa_group_segment_fixed_size 0
		.amdhsa_private_segment_fixed_size 0
		.amdhsa_kernarg_size 64
		.amdhsa_user_sgpr_count 6
		.amdhsa_user_sgpr_private_segment_buffer 1
		.amdhsa_user_sgpr_dispatch_ptr 0
		.amdhsa_user_sgpr_queue_ptr 0
		.amdhsa_user_sgpr_kernarg_segment_ptr 1
		.amdhsa_user_sgpr_dispatch_id 0
		.amdhsa_user_sgpr_flat_scratch_init 0
		.amdhsa_user_sgpr_kernarg_preload_length 0
		.amdhsa_user_sgpr_kernarg_preload_offset 0
		.amdhsa_user_sgpr_private_segment_size 0
		.amdhsa_uses_dynamic_stack 0
		.amdhsa_system_sgpr_private_segment_wavefront_offset 0
		.amdhsa_system_sgpr_workgroup_id_x 1
		.amdhsa_system_sgpr_workgroup_id_y 0
		.amdhsa_system_sgpr_workgroup_id_z 0
		.amdhsa_system_sgpr_workgroup_info 0
		.amdhsa_system_vgpr_workitem_id 0
		.amdhsa_next_free_vgpr 1
		.amdhsa_next_free_sgpr 0
		.amdhsa_accum_offset 4
		.amdhsa_reserve_vcc 0
		.amdhsa_reserve_flat_scratch 0
		.amdhsa_float_round_mode_32 0
		.amdhsa_float_round_mode_16_64 0
		.amdhsa_float_denorm_mode_32 3
		.amdhsa_float_denorm_mode_16_64 3
		.amdhsa_dx10_clamp 1
		.amdhsa_ieee_mode 1
		.amdhsa_fp16_overflow 0
		.amdhsa_tg_split 0
		.amdhsa_exception_fp_ieee_invalid_op 0
		.amdhsa_exception_fp_denorm_src 0
		.amdhsa_exception_fp_ieee_div_zero 0
		.amdhsa_exception_fp_ieee_overflow 0
		.amdhsa_exception_fp_ieee_underflow 0
		.amdhsa_exception_fp_ieee_inexact 0
		.amdhsa_exception_int_div_zero 0
	.end_amdhsa_kernel
	.section	.text._ZN7rocprim17ROCPRIM_400000_NS6detail17trampoline_kernelINS0_14default_configENS1_38merge_sort_block_merge_config_selectorIcNS0_10empty_typeEEEZZNS1_27merge_sort_block_merge_implIS3_PcPS5_jNS1_19radix_merge_compareILb0ELb1EcNS0_19identity_decomposerEEEEE10hipError_tT0_T1_T2_jT3_P12ihipStream_tbPNSt15iterator_traitsISE_E10value_typeEPNSK_ISF_E10value_typeEPSG_NS1_7vsmem_tEENKUlT_SE_SF_SG_E_clIS8_S8_S9_S9_EESD_ST_SE_SF_SG_EUlST_E0_NS1_11comp_targetILNS1_3genE10ELNS1_11target_archE1201ELNS1_3gpuE5ELNS1_3repE0EEENS1_38merge_mergepath_config_static_selectorELNS0_4arch9wavefront6targetE1EEEvSF_,"axG",@progbits,_ZN7rocprim17ROCPRIM_400000_NS6detail17trampoline_kernelINS0_14default_configENS1_38merge_sort_block_merge_config_selectorIcNS0_10empty_typeEEEZZNS1_27merge_sort_block_merge_implIS3_PcPS5_jNS1_19radix_merge_compareILb0ELb1EcNS0_19identity_decomposerEEEEE10hipError_tT0_T1_T2_jT3_P12ihipStream_tbPNSt15iterator_traitsISE_E10value_typeEPNSK_ISF_E10value_typeEPSG_NS1_7vsmem_tEENKUlT_SE_SF_SG_E_clIS8_S8_S9_S9_EESD_ST_SE_SF_SG_EUlST_E0_NS1_11comp_targetILNS1_3genE10ELNS1_11target_archE1201ELNS1_3gpuE5ELNS1_3repE0EEENS1_38merge_mergepath_config_static_selectorELNS0_4arch9wavefront6targetE1EEEvSF_,comdat
.Lfunc_end67:
	.size	_ZN7rocprim17ROCPRIM_400000_NS6detail17trampoline_kernelINS0_14default_configENS1_38merge_sort_block_merge_config_selectorIcNS0_10empty_typeEEEZZNS1_27merge_sort_block_merge_implIS3_PcPS5_jNS1_19radix_merge_compareILb0ELb1EcNS0_19identity_decomposerEEEEE10hipError_tT0_T1_T2_jT3_P12ihipStream_tbPNSt15iterator_traitsISE_E10value_typeEPNSK_ISF_E10value_typeEPSG_NS1_7vsmem_tEENKUlT_SE_SF_SG_E_clIS8_S8_S9_S9_EESD_ST_SE_SF_SG_EUlST_E0_NS1_11comp_targetILNS1_3genE10ELNS1_11target_archE1201ELNS1_3gpuE5ELNS1_3repE0EEENS1_38merge_mergepath_config_static_selectorELNS0_4arch9wavefront6targetE1EEEvSF_, .Lfunc_end67-_ZN7rocprim17ROCPRIM_400000_NS6detail17trampoline_kernelINS0_14default_configENS1_38merge_sort_block_merge_config_selectorIcNS0_10empty_typeEEEZZNS1_27merge_sort_block_merge_implIS3_PcPS5_jNS1_19radix_merge_compareILb0ELb1EcNS0_19identity_decomposerEEEEE10hipError_tT0_T1_T2_jT3_P12ihipStream_tbPNSt15iterator_traitsISE_E10value_typeEPNSK_ISF_E10value_typeEPSG_NS1_7vsmem_tEENKUlT_SE_SF_SG_E_clIS8_S8_S9_S9_EESD_ST_SE_SF_SG_EUlST_E0_NS1_11comp_targetILNS1_3genE10ELNS1_11target_archE1201ELNS1_3gpuE5ELNS1_3repE0EEENS1_38merge_mergepath_config_static_selectorELNS0_4arch9wavefront6targetE1EEEvSF_
                                        ; -- End function
	.section	.AMDGPU.csdata,"",@progbits
; Kernel info:
; codeLenInByte = 0
; NumSgprs: 4
; NumVgprs: 0
; NumAgprs: 0
; TotalNumVgprs: 0
; ScratchSize: 0
; MemoryBound: 0
; FloatMode: 240
; IeeeMode: 1
; LDSByteSize: 0 bytes/workgroup (compile time only)
; SGPRBlocks: 0
; VGPRBlocks: 0
; NumSGPRsForWavesPerEU: 4
; NumVGPRsForWavesPerEU: 1
; AccumOffset: 4
; Occupancy: 8
; WaveLimiterHint : 0
; COMPUTE_PGM_RSRC2:SCRATCH_EN: 0
; COMPUTE_PGM_RSRC2:USER_SGPR: 6
; COMPUTE_PGM_RSRC2:TRAP_HANDLER: 0
; COMPUTE_PGM_RSRC2:TGID_X_EN: 1
; COMPUTE_PGM_RSRC2:TGID_Y_EN: 0
; COMPUTE_PGM_RSRC2:TGID_Z_EN: 0
; COMPUTE_PGM_RSRC2:TIDIG_COMP_CNT: 0
; COMPUTE_PGM_RSRC3_GFX90A:ACCUM_OFFSET: 0
; COMPUTE_PGM_RSRC3_GFX90A:TG_SPLIT: 0
	.section	.text._ZN7rocprim17ROCPRIM_400000_NS6detail17trampoline_kernelINS0_14default_configENS1_38merge_sort_block_merge_config_selectorIcNS0_10empty_typeEEEZZNS1_27merge_sort_block_merge_implIS3_PcPS5_jNS1_19radix_merge_compareILb0ELb1EcNS0_19identity_decomposerEEEEE10hipError_tT0_T1_T2_jT3_P12ihipStream_tbPNSt15iterator_traitsISE_E10value_typeEPNSK_ISF_E10value_typeEPSG_NS1_7vsmem_tEENKUlT_SE_SF_SG_E_clIS8_S8_S9_S9_EESD_ST_SE_SF_SG_EUlST_E0_NS1_11comp_targetILNS1_3genE5ELNS1_11target_archE942ELNS1_3gpuE9ELNS1_3repE0EEENS1_38merge_mergepath_config_static_selectorELNS0_4arch9wavefront6targetE1EEEvSF_,"axG",@progbits,_ZN7rocprim17ROCPRIM_400000_NS6detail17trampoline_kernelINS0_14default_configENS1_38merge_sort_block_merge_config_selectorIcNS0_10empty_typeEEEZZNS1_27merge_sort_block_merge_implIS3_PcPS5_jNS1_19radix_merge_compareILb0ELb1EcNS0_19identity_decomposerEEEEE10hipError_tT0_T1_T2_jT3_P12ihipStream_tbPNSt15iterator_traitsISE_E10value_typeEPNSK_ISF_E10value_typeEPSG_NS1_7vsmem_tEENKUlT_SE_SF_SG_E_clIS8_S8_S9_S9_EESD_ST_SE_SF_SG_EUlST_E0_NS1_11comp_targetILNS1_3genE5ELNS1_11target_archE942ELNS1_3gpuE9ELNS1_3repE0EEENS1_38merge_mergepath_config_static_selectorELNS0_4arch9wavefront6targetE1EEEvSF_,comdat
	.protected	_ZN7rocprim17ROCPRIM_400000_NS6detail17trampoline_kernelINS0_14default_configENS1_38merge_sort_block_merge_config_selectorIcNS0_10empty_typeEEEZZNS1_27merge_sort_block_merge_implIS3_PcPS5_jNS1_19radix_merge_compareILb0ELb1EcNS0_19identity_decomposerEEEEE10hipError_tT0_T1_T2_jT3_P12ihipStream_tbPNSt15iterator_traitsISE_E10value_typeEPNSK_ISF_E10value_typeEPSG_NS1_7vsmem_tEENKUlT_SE_SF_SG_E_clIS8_S8_S9_S9_EESD_ST_SE_SF_SG_EUlST_E0_NS1_11comp_targetILNS1_3genE5ELNS1_11target_archE942ELNS1_3gpuE9ELNS1_3repE0EEENS1_38merge_mergepath_config_static_selectorELNS0_4arch9wavefront6targetE1EEEvSF_ ; -- Begin function _ZN7rocprim17ROCPRIM_400000_NS6detail17trampoline_kernelINS0_14default_configENS1_38merge_sort_block_merge_config_selectorIcNS0_10empty_typeEEEZZNS1_27merge_sort_block_merge_implIS3_PcPS5_jNS1_19radix_merge_compareILb0ELb1EcNS0_19identity_decomposerEEEEE10hipError_tT0_T1_T2_jT3_P12ihipStream_tbPNSt15iterator_traitsISE_E10value_typeEPNSK_ISF_E10value_typeEPSG_NS1_7vsmem_tEENKUlT_SE_SF_SG_E_clIS8_S8_S9_S9_EESD_ST_SE_SF_SG_EUlST_E0_NS1_11comp_targetILNS1_3genE5ELNS1_11target_archE942ELNS1_3gpuE9ELNS1_3repE0EEENS1_38merge_mergepath_config_static_selectorELNS0_4arch9wavefront6targetE1EEEvSF_
	.globl	_ZN7rocprim17ROCPRIM_400000_NS6detail17trampoline_kernelINS0_14default_configENS1_38merge_sort_block_merge_config_selectorIcNS0_10empty_typeEEEZZNS1_27merge_sort_block_merge_implIS3_PcPS5_jNS1_19radix_merge_compareILb0ELb1EcNS0_19identity_decomposerEEEEE10hipError_tT0_T1_T2_jT3_P12ihipStream_tbPNSt15iterator_traitsISE_E10value_typeEPNSK_ISF_E10value_typeEPSG_NS1_7vsmem_tEENKUlT_SE_SF_SG_E_clIS8_S8_S9_S9_EESD_ST_SE_SF_SG_EUlST_E0_NS1_11comp_targetILNS1_3genE5ELNS1_11target_archE942ELNS1_3gpuE9ELNS1_3repE0EEENS1_38merge_mergepath_config_static_selectorELNS0_4arch9wavefront6targetE1EEEvSF_
	.p2align	8
	.type	_ZN7rocprim17ROCPRIM_400000_NS6detail17trampoline_kernelINS0_14default_configENS1_38merge_sort_block_merge_config_selectorIcNS0_10empty_typeEEEZZNS1_27merge_sort_block_merge_implIS3_PcPS5_jNS1_19radix_merge_compareILb0ELb1EcNS0_19identity_decomposerEEEEE10hipError_tT0_T1_T2_jT3_P12ihipStream_tbPNSt15iterator_traitsISE_E10value_typeEPNSK_ISF_E10value_typeEPSG_NS1_7vsmem_tEENKUlT_SE_SF_SG_E_clIS8_S8_S9_S9_EESD_ST_SE_SF_SG_EUlST_E0_NS1_11comp_targetILNS1_3genE5ELNS1_11target_archE942ELNS1_3gpuE9ELNS1_3repE0EEENS1_38merge_mergepath_config_static_selectorELNS0_4arch9wavefront6targetE1EEEvSF_,@function
_ZN7rocprim17ROCPRIM_400000_NS6detail17trampoline_kernelINS0_14default_configENS1_38merge_sort_block_merge_config_selectorIcNS0_10empty_typeEEEZZNS1_27merge_sort_block_merge_implIS3_PcPS5_jNS1_19radix_merge_compareILb0ELb1EcNS0_19identity_decomposerEEEEE10hipError_tT0_T1_T2_jT3_P12ihipStream_tbPNSt15iterator_traitsISE_E10value_typeEPNSK_ISF_E10value_typeEPSG_NS1_7vsmem_tEENKUlT_SE_SF_SG_E_clIS8_S8_S9_S9_EESD_ST_SE_SF_SG_EUlST_E0_NS1_11comp_targetILNS1_3genE5ELNS1_11target_archE942ELNS1_3gpuE9ELNS1_3repE0EEENS1_38merge_mergepath_config_static_selectorELNS0_4arch9wavefront6targetE1EEEvSF_: ; @_ZN7rocprim17ROCPRIM_400000_NS6detail17trampoline_kernelINS0_14default_configENS1_38merge_sort_block_merge_config_selectorIcNS0_10empty_typeEEEZZNS1_27merge_sort_block_merge_implIS3_PcPS5_jNS1_19radix_merge_compareILb0ELb1EcNS0_19identity_decomposerEEEEE10hipError_tT0_T1_T2_jT3_P12ihipStream_tbPNSt15iterator_traitsISE_E10value_typeEPNSK_ISF_E10value_typeEPSG_NS1_7vsmem_tEENKUlT_SE_SF_SG_E_clIS8_S8_S9_S9_EESD_ST_SE_SF_SG_EUlST_E0_NS1_11comp_targetILNS1_3genE5ELNS1_11target_archE942ELNS1_3gpuE9ELNS1_3repE0EEENS1_38merge_mergepath_config_static_selectorELNS0_4arch9wavefront6targetE1EEEvSF_
; %bb.0:
	.section	.rodata,"a",@progbits
	.p2align	6, 0x0
	.amdhsa_kernel _ZN7rocprim17ROCPRIM_400000_NS6detail17trampoline_kernelINS0_14default_configENS1_38merge_sort_block_merge_config_selectorIcNS0_10empty_typeEEEZZNS1_27merge_sort_block_merge_implIS3_PcPS5_jNS1_19radix_merge_compareILb0ELb1EcNS0_19identity_decomposerEEEEE10hipError_tT0_T1_T2_jT3_P12ihipStream_tbPNSt15iterator_traitsISE_E10value_typeEPNSK_ISF_E10value_typeEPSG_NS1_7vsmem_tEENKUlT_SE_SF_SG_E_clIS8_S8_S9_S9_EESD_ST_SE_SF_SG_EUlST_E0_NS1_11comp_targetILNS1_3genE5ELNS1_11target_archE942ELNS1_3gpuE9ELNS1_3repE0EEENS1_38merge_mergepath_config_static_selectorELNS0_4arch9wavefront6targetE1EEEvSF_
		.amdhsa_group_segment_fixed_size 0
		.amdhsa_private_segment_fixed_size 0
		.amdhsa_kernarg_size 64
		.amdhsa_user_sgpr_count 6
		.amdhsa_user_sgpr_private_segment_buffer 1
		.amdhsa_user_sgpr_dispatch_ptr 0
		.amdhsa_user_sgpr_queue_ptr 0
		.amdhsa_user_sgpr_kernarg_segment_ptr 1
		.amdhsa_user_sgpr_dispatch_id 0
		.amdhsa_user_sgpr_flat_scratch_init 0
		.amdhsa_user_sgpr_kernarg_preload_length 0
		.amdhsa_user_sgpr_kernarg_preload_offset 0
		.amdhsa_user_sgpr_private_segment_size 0
		.amdhsa_uses_dynamic_stack 0
		.amdhsa_system_sgpr_private_segment_wavefront_offset 0
		.amdhsa_system_sgpr_workgroup_id_x 1
		.amdhsa_system_sgpr_workgroup_id_y 0
		.amdhsa_system_sgpr_workgroup_id_z 0
		.amdhsa_system_sgpr_workgroup_info 0
		.amdhsa_system_vgpr_workitem_id 0
		.amdhsa_next_free_vgpr 1
		.amdhsa_next_free_sgpr 0
		.amdhsa_accum_offset 4
		.amdhsa_reserve_vcc 0
		.amdhsa_reserve_flat_scratch 0
		.amdhsa_float_round_mode_32 0
		.amdhsa_float_round_mode_16_64 0
		.amdhsa_float_denorm_mode_32 3
		.amdhsa_float_denorm_mode_16_64 3
		.amdhsa_dx10_clamp 1
		.amdhsa_ieee_mode 1
		.amdhsa_fp16_overflow 0
		.amdhsa_tg_split 0
		.amdhsa_exception_fp_ieee_invalid_op 0
		.amdhsa_exception_fp_denorm_src 0
		.amdhsa_exception_fp_ieee_div_zero 0
		.amdhsa_exception_fp_ieee_overflow 0
		.amdhsa_exception_fp_ieee_underflow 0
		.amdhsa_exception_fp_ieee_inexact 0
		.amdhsa_exception_int_div_zero 0
	.end_amdhsa_kernel
	.section	.text._ZN7rocprim17ROCPRIM_400000_NS6detail17trampoline_kernelINS0_14default_configENS1_38merge_sort_block_merge_config_selectorIcNS0_10empty_typeEEEZZNS1_27merge_sort_block_merge_implIS3_PcPS5_jNS1_19radix_merge_compareILb0ELb1EcNS0_19identity_decomposerEEEEE10hipError_tT0_T1_T2_jT3_P12ihipStream_tbPNSt15iterator_traitsISE_E10value_typeEPNSK_ISF_E10value_typeEPSG_NS1_7vsmem_tEENKUlT_SE_SF_SG_E_clIS8_S8_S9_S9_EESD_ST_SE_SF_SG_EUlST_E0_NS1_11comp_targetILNS1_3genE5ELNS1_11target_archE942ELNS1_3gpuE9ELNS1_3repE0EEENS1_38merge_mergepath_config_static_selectorELNS0_4arch9wavefront6targetE1EEEvSF_,"axG",@progbits,_ZN7rocprim17ROCPRIM_400000_NS6detail17trampoline_kernelINS0_14default_configENS1_38merge_sort_block_merge_config_selectorIcNS0_10empty_typeEEEZZNS1_27merge_sort_block_merge_implIS3_PcPS5_jNS1_19radix_merge_compareILb0ELb1EcNS0_19identity_decomposerEEEEE10hipError_tT0_T1_T2_jT3_P12ihipStream_tbPNSt15iterator_traitsISE_E10value_typeEPNSK_ISF_E10value_typeEPSG_NS1_7vsmem_tEENKUlT_SE_SF_SG_E_clIS8_S8_S9_S9_EESD_ST_SE_SF_SG_EUlST_E0_NS1_11comp_targetILNS1_3genE5ELNS1_11target_archE942ELNS1_3gpuE9ELNS1_3repE0EEENS1_38merge_mergepath_config_static_selectorELNS0_4arch9wavefront6targetE1EEEvSF_,comdat
.Lfunc_end68:
	.size	_ZN7rocprim17ROCPRIM_400000_NS6detail17trampoline_kernelINS0_14default_configENS1_38merge_sort_block_merge_config_selectorIcNS0_10empty_typeEEEZZNS1_27merge_sort_block_merge_implIS3_PcPS5_jNS1_19radix_merge_compareILb0ELb1EcNS0_19identity_decomposerEEEEE10hipError_tT0_T1_T2_jT3_P12ihipStream_tbPNSt15iterator_traitsISE_E10value_typeEPNSK_ISF_E10value_typeEPSG_NS1_7vsmem_tEENKUlT_SE_SF_SG_E_clIS8_S8_S9_S9_EESD_ST_SE_SF_SG_EUlST_E0_NS1_11comp_targetILNS1_3genE5ELNS1_11target_archE942ELNS1_3gpuE9ELNS1_3repE0EEENS1_38merge_mergepath_config_static_selectorELNS0_4arch9wavefront6targetE1EEEvSF_, .Lfunc_end68-_ZN7rocprim17ROCPRIM_400000_NS6detail17trampoline_kernelINS0_14default_configENS1_38merge_sort_block_merge_config_selectorIcNS0_10empty_typeEEEZZNS1_27merge_sort_block_merge_implIS3_PcPS5_jNS1_19radix_merge_compareILb0ELb1EcNS0_19identity_decomposerEEEEE10hipError_tT0_T1_T2_jT3_P12ihipStream_tbPNSt15iterator_traitsISE_E10value_typeEPNSK_ISF_E10value_typeEPSG_NS1_7vsmem_tEENKUlT_SE_SF_SG_E_clIS8_S8_S9_S9_EESD_ST_SE_SF_SG_EUlST_E0_NS1_11comp_targetILNS1_3genE5ELNS1_11target_archE942ELNS1_3gpuE9ELNS1_3repE0EEENS1_38merge_mergepath_config_static_selectorELNS0_4arch9wavefront6targetE1EEEvSF_
                                        ; -- End function
	.section	.AMDGPU.csdata,"",@progbits
; Kernel info:
; codeLenInByte = 0
; NumSgprs: 4
; NumVgprs: 0
; NumAgprs: 0
; TotalNumVgprs: 0
; ScratchSize: 0
; MemoryBound: 0
; FloatMode: 240
; IeeeMode: 1
; LDSByteSize: 0 bytes/workgroup (compile time only)
; SGPRBlocks: 0
; VGPRBlocks: 0
; NumSGPRsForWavesPerEU: 4
; NumVGPRsForWavesPerEU: 1
; AccumOffset: 4
; Occupancy: 8
; WaveLimiterHint : 0
; COMPUTE_PGM_RSRC2:SCRATCH_EN: 0
; COMPUTE_PGM_RSRC2:USER_SGPR: 6
; COMPUTE_PGM_RSRC2:TRAP_HANDLER: 0
; COMPUTE_PGM_RSRC2:TGID_X_EN: 1
; COMPUTE_PGM_RSRC2:TGID_Y_EN: 0
; COMPUTE_PGM_RSRC2:TGID_Z_EN: 0
; COMPUTE_PGM_RSRC2:TIDIG_COMP_CNT: 0
; COMPUTE_PGM_RSRC3_GFX90A:ACCUM_OFFSET: 0
; COMPUTE_PGM_RSRC3_GFX90A:TG_SPLIT: 0
	.section	.text._ZN7rocprim17ROCPRIM_400000_NS6detail17trampoline_kernelINS0_14default_configENS1_38merge_sort_block_merge_config_selectorIcNS0_10empty_typeEEEZZNS1_27merge_sort_block_merge_implIS3_PcPS5_jNS1_19radix_merge_compareILb0ELb1EcNS0_19identity_decomposerEEEEE10hipError_tT0_T1_T2_jT3_P12ihipStream_tbPNSt15iterator_traitsISE_E10value_typeEPNSK_ISF_E10value_typeEPSG_NS1_7vsmem_tEENKUlT_SE_SF_SG_E_clIS8_S8_S9_S9_EESD_ST_SE_SF_SG_EUlST_E0_NS1_11comp_targetILNS1_3genE4ELNS1_11target_archE910ELNS1_3gpuE8ELNS1_3repE0EEENS1_38merge_mergepath_config_static_selectorELNS0_4arch9wavefront6targetE1EEEvSF_,"axG",@progbits,_ZN7rocprim17ROCPRIM_400000_NS6detail17trampoline_kernelINS0_14default_configENS1_38merge_sort_block_merge_config_selectorIcNS0_10empty_typeEEEZZNS1_27merge_sort_block_merge_implIS3_PcPS5_jNS1_19radix_merge_compareILb0ELb1EcNS0_19identity_decomposerEEEEE10hipError_tT0_T1_T2_jT3_P12ihipStream_tbPNSt15iterator_traitsISE_E10value_typeEPNSK_ISF_E10value_typeEPSG_NS1_7vsmem_tEENKUlT_SE_SF_SG_E_clIS8_S8_S9_S9_EESD_ST_SE_SF_SG_EUlST_E0_NS1_11comp_targetILNS1_3genE4ELNS1_11target_archE910ELNS1_3gpuE8ELNS1_3repE0EEENS1_38merge_mergepath_config_static_selectorELNS0_4arch9wavefront6targetE1EEEvSF_,comdat
	.protected	_ZN7rocprim17ROCPRIM_400000_NS6detail17trampoline_kernelINS0_14default_configENS1_38merge_sort_block_merge_config_selectorIcNS0_10empty_typeEEEZZNS1_27merge_sort_block_merge_implIS3_PcPS5_jNS1_19radix_merge_compareILb0ELb1EcNS0_19identity_decomposerEEEEE10hipError_tT0_T1_T2_jT3_P12ihipStream_tbPNSt15iterator_traitsISE_E10value_typeEPNSK_ISF_E10value_typeEPSG_NS1_7vsmem_tEENKUlT_SE_SF_SG_E_clIS8_S8_S9_S9_EESD_ST_SE_SF_SG_EUlST_E0_NS1_11comp_targetILNS1_3genE4ELNS1_11target_archE910ELNS1_3gpuE8ELNS1_3repE0EEENS1_38merge_mergepath_config_static_selectorELNS0_4arch9wavefront6targetE1EEEvSF_ ; -- Begin function _ZN7rocprim17ROCPRIM_400000_NS6detail17trampoline_kernelINS0_14default_configENS1_38merge_sort_block_merge_config_selectorIcNS0_10empty_typeEEEZZNS1_27merge_sort_block_merge_implIS3_PcPS5_jNS1_19radix_merge_compareILb0ELb1EcNS0_19identity_decomposerEEEEE10hipError_tT0_T1_T2_jT3_P12ihipStream_tbPNSt15iterator_traitsISE_E10value_typeEPNSK_ISF_E10value_typeEPSG_NS1_7vsmem_tEENKUlT_SE_SF_SG_E_clIS8_S8_S9_S9_EESD_ST_SE_SF_SG_EUlST_E0_NS1_11comp_targetILNS1_3genE4ELNS1_11target_archE910ELNS1_3gpuE8ELNS1_3repE0EEENS1_38merge_mergepath_config_static_selectorELNS0_4arch9wavefront6targetE1EEEvSF_
	.globl	_ZN7rocprim17ROCPRIM_400000_NS6detail17trampoline_kernelINS0_14default_configENS1_38merge_sort_block_merge_config_selectorIcNS0_10empty_typeEEEZZNS1_27merge_sort_block_merge_implIS3_PcPS5_jNS1_19radix_merge_compareILb0ELb1EcNS0_19identity_decomposerEEEEE10hipError_tT0_T1_T2_jT3_P12ihipStream_tbPNSt15iterator_traitsISE_E10value_typeEPNSK_ISF_E10value_typeEPSG_NS1_7vsmem_tEENKUlT_SE_SF_SG_E_clIS8_S8_S9_S9_EESD_ST_SE_SF_SG_EUlST_E0_NS1_11comp_targetILNS1_3genE4ELNS1_11target_archE910ELNS1_3gpuE8ELNS1_3repE0EEENS1_38merge_mergepath_config_static_selectorELNS0_4arch9wavefront6targetE1EEEvSF_
	.p2align	8
	.type	_ZN7rocprim17ROCPRIM_400000_NS6detail17trampoline_kernelINS0_14default_configENS1_38merge_sort_block_merge_config_selectorIcNS0_10empty_typeEEEZZNS1_27merge_sort_block_merge_implIS3_PcPS5_jNS1_19radix_merge_compareILb0ELb1EcNS0_19identity_decomposerEEEEE10hipError_tT0_T1_T2_jT3_P12ihipStream_tbPNSt15iterator_traitsISE_E10value_typeEPNSK_ISF_E10value_typeEPSG_NS1_7vsmem_tEENKUlT_SE_SF_SG_E_clIS8_S8_S9_S9_EESD_ST_SE_SF_SG_EUlST_E0_NS1_11comp_targetILNS1_3genE4ELNS1_11target_archE910ELNS1_3gpuE8ELNS1_3repE0EEENS1_38merge_mergepath_config_static_selectorELNS0_4arch9wavefront6targetE1EEEvSF_,@function
_ZN7rocprim17ROCPRIM_400000_NS6detail17trampoline_kernelINS0_14default_configENS1_38merge_sort_block_merge_config_selectorIcNS0_10empty_typeEEEZZNS1_27merge_sort_block_merge_implIS3_PcPS5_jNS1_19radix_merge_compareILb0ELb1EcNS0_19identity_decomposerEEEEE10hipError_tT0_T1_T2_jT3_P12ihipStream_tbPNSt15iterator_traitsISE_E10value_typeEPNSK_ISF_E10value_typeEPSG_NS1_7vsmem_tEENKUlT_SE_SF_SG_E_clIS8_S8_S9_S9_EESD_ST_SE_SF_SG_EUlST_E0_NS1_11comp_targetILNS1_3genE4ELNS1_11target_archE910ELNS1_3gpuE8ELNS1_3repE0EEENS1_38merge_mergepath_config_static_selectorELNS0_4arch9wavefront6targetE1EEEvSF_: ; @_ZN7rocprim17ROCPRIM_400000_NS6detail17trampoline_kernelINS0_14default_configENS1_38merge_sort_block_merge_config_selectorIcNS0_10empty_typeEEEZZNS1_27merge_sort_block_merge_implIS3_PcPS5_jNS1_19radix_merge_compareILb0ELb1EcNS0_19identity_decomposerEEEEE10hipError_tT0_T1_T2_jT3_P12ihipStream_tbPNSt15iterator_traitsISE_E10value_typeEPNSK_ISF_E10value_typeEPSG_NS1_7vsmem_tEENKUlT_SE_SF_SG_E_clIS8_S8_S9_S9_EESD_ST_SE_SF_SG_EUlST_E0_NS1_11comp_targetILNS1_3genE4ELNS1_11target_archE910ELNS1_3gpuE8ELNS1_3repE0EEENS1_38merge_mergepath_config_static_selectorELNS0_4arch9wavefront6targetE1EEEvSF_
; %bb.0:
	s_load_dwordx2 s[10:11], s[4:5], 0x40
	s_load_dword s1, s[4:5], 0x30
	s_add_u32 s2, s4, 64
	s_addc_u32 s3, s5, 0
	s_waitcnt lgkmcnt(0)
	s_mul_i32 s0, s11, s8
	s_add_i32 s0, s0, s7
	s_mul_i32 s0, s0, s10
	s_add_i32 s0, s0, s6
	s_cmp_ge_u32 s0, s1
	s_cbranch_scc1 .LBB69_51
; %bb.1:
	s_load_dwordx2 s[12:13], s[4:5], 0x28
	s_load_dwordx2 s[8:9], s[4:5], 0x38
	;; [unrolled: 1-line block ×3, first 2 shown]
	s_mov_b32 s1, 0
	v_mov_b32_e32 v1, 0
	s_waitcnt lgkmcnt(0)
	s_lshr_b32 s21, s12, 10
	s_cmp_lg_u32 s0, s21
	s_cselect_b64 s[14:15], -1, 0
	s_lshl_b64 s[18:19], s[0:1], 2
	s_add_u32 s8, s8, s18
	s_addc_u32 s9, s9, s19
	s_lshr_b32 s1, s13, 9
	s_and_b32 s1, s1, 0x7ffffe
	s_load_dwordx2 s[8:9], s[8:9], 0x0
	s_sub_i32 s1, 0, s1
	s_and_b32 s7, s0, s1
	s_lshl_b32 s11, s7, 10
	s_lshl_b32 s20, s0, 10
	;; [unrolled: 1-line block ×3, first 2 shown]
	s_sub_i32 s18, s20, s11
	s_add_i32 s7, s7, s13
	s_add_i32 s18, s7, s18
	s_waitcnt lgkmcnt(0)
	s_sub_i32 s19, s18, s8
	s_sub_i32 s18, s18, s9
	;; [unrolled: 1-line block ×3, first 2 shown]
	s_min_u32 s19, s12, s19
	s_addk_i32 s18, 0x400
	s_or_b32 s1, s0, s1
	s_min_u32 s11, s12, s7
	s_add_i32 s7, s7, s13
	s_cmp_eq_u32 s1, -1
	s_cselect_b32 s1, s7, s18
	s_cselect_b32 s7, s11, s9
	s_min_u32 s1, s1, s12
	s_sub_i32 s13, s7, s8
	s_sub_i32 s7, s1, s19
	s_add_u32 s11, s16, s8
	s_addc_u32 s18, s17, 0
	s_add_u32 s8, s16, s19
	s_addc_u32 s9, s17, 0
	s_cmp_lt_u32 s6, s10
	s_cselect_b32 s1, 12, 18
	global_load_dword v2, v1, s[2:3] offset:14
	s_add_u32 s2, s2, s1
	s_addc_u32 s3, s3, 0
	global_load_ushort v1, v1, s[2:3]
	s_cmp_eq_u32 s0, s21
	s_waitcnt vmcnt(1)
	v_lshrrev_b32_e32 v3, 16, v2
	v_and_b32_e32 v2, 0xffff, v2
	v_mul_lo_u32 v2, v2, v3
	s_waitcnt vmcnt(0)
	v_mul_lo_u32 v4, v2, v1
	v_add_u32_e32 v10, v4, v0
	v_add_u32_e32 v9, v10, v4
	s_cbranch_scc1 .LBB69_3
; %bb.2:
	v_mov_b32_e32 v1, s18
	v_add_co_u32_e32 v2, vcc, s11, v0
	v_addc_co_u32_e32 v1, vcc, 0, v1, vcc
	v_subrev_u32_e32 v3, s13, v0
	v_mov_b32_e32 v5, s9
	v_add_co_u32_e32 v3, vcc, s8, v3
	v_addc_co_u32_e32 v5, vcc, 0, v5, vcc
	v_cmp_gt_u32_e32 vcc, s13, v0
	v_cndmask_b32_e32 v13, v5, v1, vcc
	v_cndmask_b32_e32 v12, v3, v2, vcc
	v_mov_b32_e32 v1, s18
	v_add_co_u32_e32 v2, vcc, s11, v10
	v_addc_co_u32_e32 v1, vcc, 0, v1, vcc
	v_subrev_u32_e32 v3, s13, v10
	v_mov_b32_e32 v5, s9
	v_add_co_u32_e32 v3, vcc, s8, v3
	v_addc_co_u32_e32 v5, vcc, 0, v5, vcc
	v_cmp_gt_u32_e32 vcc, s13, v10
	v_cndmask_b32_e32 v15, v5, v1, vcc
	v_cndmask_b32_e32 v14, v3, v2, vcc
	v_mov_b32_e32 v1, s18
	v_add_co_u32_e32 v2, vcc, s11, v9
	v_addc_co_u32_e32 v1, vcc, 0, v1, vcc
	v_subrev_u32_e32 v3, s13, v9
	v_mov_b32_e32 v5, s9
	v_add_co_u32_e32 v3, vcc, s8, v3
	v_addc_co_u32_e32 v5, vcc, 0, v5, vcc
	v_cmp_gt_u32_e32 vcc, s13, v9
	v_cndmask_b32_e32 v17, v5, v1, vcc
	v_add_u32_e32 v1, v9, v4
	v_cndmask_b32_e32 v16, v3, v2, vcc
	v_mov_b32_e32 v2, s18
	v_add_co_u32_e32 v3, vcc, s11, v1
	v_addc_co_u32_e32 v2, vcc, 0, v2, vcc
	v_subrev_u32_e32 v5, s13, v1
	v_mov_b32_e32 v6, s9
	v_add_co_u32_e32 v5, vcc, s8, v5
	v_addc_co_u32_e32 v6, vcc, 0, v6, vcc
	v_cmp_gt_u32_e32 vcc, s13, v1
	v_add_u32_e32 v1, v1, v4
	v_cndmask_b32_e32 v19, v6, v2, vcc
	v_cndmask_b32_e32 v18, v5, v3, vcc
	v_mov_b32_e32 v2, s18
	v_add_co_u32_e32 v3, vcc, s11, v1
	v_addc_co_u32_e32 v2, vcc, 0, v2, vcc
	v_subrev_u32_e32 v5, s13, v1
	v_mov_b32_e32 v6, s9
	v_add_co_u32_e32 v5, vcc, s8, v5
	v_addc_co_u32_e32 v6, vcc, 0, v6, vcc
	v_cmp_gt_u32_e32 vcc, s13, v1
	v_add_u32_e32 v1, v1, v4
	v_cndmask_b32_e32 v21, v6, v2, vcc
	;; [unrolled: 11-line block ×4, first 2 shown]
	v_cndmask_b32_e32 v24, v5, v3, vcc
	v_mov_b32_e32 v2, s18
	v_add_co_u32_e32 v3, vcc, s11, v1
	v_addc_co_u32_e32 v2, vcc, 0, v2, vcc
	v_subrev_u32_e32 v5, s13, v1
	v_mov_b32_e32 v6, s9
	v_add_co_u32_e32 v5, vcc, s8, v5
	v_addc_co_u32_e32 v6, vcc, 0, v6, vcc
	v_cmp_gt_u32_e32 vcc, s13, v1
	v_cndmask_b32_e32 v27, v6, v2, vcc
	v_cndmask_b32_e32 v26, v5, v3, vcc
	global_load_ubyte v1, v[12:13], off
	global_load_ubyte v2, v[14:15], off
	global_load_ubyte v3, v[16:17], off
	global_load_ubyte v5, v[18:19], off
	global_load_ubyte v6, v[20:21], off
	global_load_ubyte v7, v[22:23], off
	global_load_ubyte v8, v[24:25], off
	global_load_ubyte v11, v[26:27], off
	s_add_i32 s21, s7, s13
	s_load_dwordx2 s[16:17], s[4:5], 0x10
	s_cbranch_execz .LBB69_4
	s_branch .LBB69_21
.LBB69_3:
                                        ; implicit-def: $vgpr1
                                        ; implicit-def: $vgpr2
                                        ; implicit-def: $vgpr3
                                        ; implicit-def: $vgpr5
                                        ; implicit-def: $vgpr6
                                        ; implicit-def: $vgpr7
                                        ; implicit-def: $vgpr8
                                        ; implicit-def: $vgpr11
                                        ; implicit-def: $sgpr21
	s_load_dwordx2 s[16:17], s[4:5], 0x10
.LBB69_4:
	s_add_i32 s21, s7, s13
	v_cmp_gt_u32_e32 vcc, s21, v0
                                        ; implicit-def: $vgpr1
	s_and_saveexec_b64 s[0:1], vcc
	s_cbranch_execz .LBB69_6
; %bb.5:
	s_waitcnt vmcnt(7)
	v_mov_b32_e32 v1, s18
	s_waitcnt vmcnt(6)
	v_add_co_u32_e32 v2, vcc, s11, v0
	v_addc_co_u32_e32 v1, vcc, 0, v1, vcc
	s_waitcnt vmcnt(5)
	v_subrev_u32_e32 v3, s13, v0
	s_waitcnt vmcnt(4)
	v_mov_b32_e32 v5, s9
	s_waitcnt vmcnt(3)
	v_add_co_u32_e32 v6, vcc, s8, v3
	v_addc_co_u32_e32 v3, vcc, 0, v5, vcc
	v_cmp_gt_u32_e32 vcc, s13, v0
	v_cndmask_b32_e32 v3, v3, v1, vcc
	v_cndmask_b32_e32 v2, v6, v2, vcc
	global_load_ubyte v1, v[2:3], off
.LBB69_6:
	s_or_b64 exec, exec, s[0:1]
	v_cmp_gt_u32_e32 vcc, s21, v10
                                        ; implicit-def: $vgpr2
	s_and_saveexec_b64 s[0:1], vcc
	s_cbranch_execz .LBB69_8
; %bb.7:
	s_waitcnt vmcnt(6)
	v_mov_b32_e32 v2, s18
	s_waitcnt vmcnt(4)
	v_add_co_u32_e32 v5, vcc, s11, v10
	v_addc_co_u32_e32 v2, vcc, 0, v2, vcc
	v_subrev_u32_e32 v3, s13, v10
	s_waitcnt vmcnt(3)
	v_mov_b32_e32 v6, s9
	s_waitcnt vmcnt(2)
	v_add_co_u32_e32 v7, vcc, s8, v3
	v_addc_co_u32_e32 v3, vcc, 0, v6, vcc
	v_cmp_gt_u32_e32 vcc, s13, v10
	v_cndmask_b32_e32 v3, v3, v2, vcc
	v_cndmask_b32_e32 v2, v7, v5, vcc
	global_load_ubyte v2, v[2:3], off
.LBB69_8:
	s_or_b64 exec, exec, s[0:1]
	v_cmp_gt_u32_e32 vcc, s21, v9
                                        ; implicit-def: $vgpr3
	s_and_saveexec_b64 s[0:1], vcc
	s_cbranch_execz .LBB69_10
; %bb.9:
	s_waitcnt vmcnt(5)
	v_mov_b32_e32 v3, s18
	s_waitcnt vmcnt(4)
	v_add_co_u32_e32 v5, vcc, s11, v9
	v_addc_co_u32_e32 v3, vcc, 0, v3, vcc
	s_waitcnt vmcnt(3)
	v_subrev_u32_e32 v6, s13, v9
	s_waitcnt vmcnt(2)
	v_mov_b32_e32 v7, s9
	v_add_co_u32_e32 v6, vcc, s8, v6
	v_addc_co_u32_e32 v7, vcc, 0, v7, vcc
	v_cmp_gt_u32_e32 vcc, s13, v9
	v_cndmask_b32_e32 v7, v7, v3, vcc
	v_cndmask_b32_e32 v6, v6, v5, vcc
	global_load_ubyte v3, v[6:7], off
.LBB69_10:
	s_or_b64 exec, exec, s[0:1]
	s_waitcnt vmcnt(3)
	v_add_u32_e32 v6, v9, v4
	v_cmp_gt_u32_e32 vcc, s21, v6
                                        ; implicit-def: $vgpr5
	s_and_saveexec_b64 s[0:1], vcc
	s_cbranch_execz .LBB69_12
; %bb.11:
	v_mov_b32_e32 v5, s18
	s_waitcnt vmcnt(2)
	v_add_co_u32_e32 v7, vcc, s11, v6
	v_addc_co_u32_e32 v5, vcc, 0, v5, vcc
	s_waitcnt vmcnt(1)
	v_subrev_u32_e32 v8, s13, v6
	v_mov_b32_e32 v9, s9
	v_add_co_u32_e32 v8, vcc, s8, v8
	v_addc_co_u32_e32 v9, vcc, 0, v9, vcc
	v_cmp_gt_u32_e32 vcc, s13, v6
	v_cndmask_b32_e32 v9, v9, v5, vcc
	v_cndmask_b32_e32 v8, v8, v7, vcc
	global_load_ubyte v5, v[8:9], off
.LBB69_12:
	s_or_b64 exec, exec, s[0:1]
	s_waitcnt vmcnt(2)
	v_add_u32_e32 v7, v6, v4
	v_cmp_gt_u32_e32 vcc, s21, v7
                                        ; implicit-def: $vgpr6
	s_and_saveexec_b64 s[0:1], vcc
	s_cbranch_execz .LBB69_14
; %bb.13:
	v_mov_b32_e32 v6, s18
	s_waitcnt vmcnt(1)
	v_add_co_u32_e32 v8, vcc, s11, v7
	v_addc_co_u32_e32 v6, vcc, 0, v6, vcc
	v_subrev_u32_e32 v9, s13, v7
	v_mov_b32_e32 v10, s9
	s_waitcnt vmcnt(0)
	v_add_co_u32_e32 v11, vcc, s8, v9
	v_addc_co_u32_e32 v9, vcc, 0, v10, vcc
	v_cmp_gt_u32_e32 vcc, s13, v7
	v_cndmask_b32_e32 v9, v9, v6, vcc
	v_cndmask_b32_e32 v8, v11, v8, vcc
	global_load_ubyte v6, v[8:9], off
.LBB69_14:
	s_or_b64 exec, exec, s[0:1]
	s_waitcnt vmcnt(1)
	v_add_u32_e32 v8, v7, v4
	v_cmp_gt_u32_e32 vcc, s21, v8
                                        ; implicit-def: $vgpr7
	s_and_saveexec_b64 s[0:1], vcc
	s_cbranch_execz .LBB69_16
; %bb.15:
	v_mov_b32_e32 v7, s18
	v_add_co_u32_e32 v9, vcc, s11, v8
	v_addc_co_u32_e32 v7, vcc, 0, v7, vcc
	v_subrev_u32_e32 v10, s13, v8
	s_waitcnt vmcnt(0)
	v_mov_b32_e32 v11, s9
	v_add_co_u32_e32 v10, vcc, s8, v10
	v_addc_co_u32_e32 v11, vcc, 0, v11, vcc
	v_cmp_gt_u32_e32 vcc, s13, v8
	v_cndmask_b32_e32 v11, v11, v7, vcc
	v_cndmask_b32_e32 v10, v10, v9, vcc
	global_load_ubyte v7, v[10:11], off
.LBB69_16:
	s_or_b64 exec, exec, s[0:1]
	v_add_u32_e32 v9, v8, v4
	v_cmp_gt_u32_e32 vcc, s21, v9
                                        ; implicit-def: $vgpr8
	s_and_saveexec_b64 s[0:1], vcc
	s_cbranch_execz .LBB69_18
; %bb.17:
	v_mov_b32_e32 v8, s18
	v_add_co_u32_e32 v10, vcc, s11, v9
	v_addc_co_u32_e32 v8, vcc, 0, v8, vcc
	s_waitcnt vmcnt(0)
	v_subrev_u32_e32 v11, s13, v9
	v_mov_b32_e32 v12, s9
	v_add_co_u32_e32 v13, vcc, s8, v11
	v_addc_co_u32_e32 v11, vcc, 0, v12, vcc
	v_cmp_gt_u32_e32 vcc, s13, v9
	v_cndmask_b32_e32 v11, v11, v8, vcc
	v_cndmask_b32_e32 v10, v13, v10, vcc
	global_load_ubyte v8, v[10:11], off
.LBB69_18:
	s_or_b64 exec, exec, s[0:1]
	v_add_u32_e32 v4, v9, v4
	v_cmp_gt_u32_e32 vcc, s21, v4
                                        ; implicit-def: $vgpr11
	s_and_saveexec_b64 s[0:1], vcc
	s_cbranch_execz .LBB69_20
; %bb.19:
	v_mov_b32_e32 v9, s18
	v_add_co_u32_e32 v10, vcc, s11, v4
	v_addc_co_u32_e32 v9, vcc, 0, v9, vcc
	s_waitcnt vmcnt(0)
	v_subrev_u32_e32 v11, s13, v4
	v_mov_b32_e32 v12, s9
	v_add_co_u32_e32 v13, vcc, s8, v11
	v_addc_co_u32_e32 v11, vcc, 0, v12, vcc
	v_cmp_gt_u32_e32 vcc, s13, v4
	v_cndmask_b32_e32 v11, v11, v9, vcc
	v_cndmask_b32_e32 v10, v13, v10, vcc
	global_load_ubyte v11, v[10:11], off
.LBB69_20:
	s_or_b64 exec, exec, s[0:1]
.LBB69_21:
	s_load_dword s22, s[4:5], 0x34
	v_lshlrev_b32_e32 v4, 3, v0
	v_min_u32_e32 v10, s21, v4
	v_sub_u32_e64 v9, v10, s7 clamp
	v_min_u32_e32 v12, s13, v10
	v_cmp_lt_u32_e32 vcc, v9, v12
	s_waitcnt vmcnt(0)
	ds_write_b8 v0, v1
	ds_write_b8 v0, v2 offset:128
	ds_write_b8 v0, v3 offset:256
	;; [unrolled: 1-line block ×7, first 2 shown]
	s_waitcnt lgkmcnt(0)
	s_barrier
	s_and_saveexec_b64 s[0:1], vcc
	s_cbranch_execz .LBB69_25
; %bb.22:
	v_add_u32_e32 v13, s13, v10
	s_mov_b64 s[2:3], 0
.LBB69_23:                              ; =>This Inner Loop Header: Depth=1
	v_add_u32_e32 v14, v12, v9
	v_lshrrev_b32_e32 v14, 1, v14
	v_xad_u32 v15, v14, -1, v13
	ds_read_u8 v16, v14
	ds_read_u8 v15, v15
	v_add_u32_e32 v17, 1, v14
	s_waitcnt lgkmcnt(1)
	v_and_b32_e32 v16, s22, v16
	s_waitcnt lgkmcnt(0)
	v_and_b32_e32 v15, s22, v15
	v_cmp_gt_i16_sdwa vcc, sext(v16), sext(v15) src0_sel:BYTE_0 src1_sel:BYTE_0
	v_cndmask_b32_e32 v12, v12, v14, vcc
	v_cndmask_b32_e32 v9, v17, v9, vcc
	v_cmp_ge_u32_e32 vcc, v9, v12
	s_or_b64 s[2:3], vcc, s[2:3]
	s_andn2_b64 exec, exec, s[2:3]
	s_cbranch_execnz .LBB69_23
; %bb.24:
	s_or_b64 exec, exec, s[2:3]
.LBB69_25:
	s_or_b64 exec, exec, s[0:1]
	v_sub_u32_e32 v10, v10, v9
	v_add_u32_e32 v10, s13, v10
	v_cmp_ge_u32_e32 vcc, s13, v9
	v_cmp_ge_u32_e64 s[0:1], s21, v10
	s_or_b64 s[0:1], vcc, s[0:1]
	s_and_saveexec_b64 s[18:19], s[0:1]
	s_cbranch_execz .LBB69_31
; %bb.26:
	v_cmp_gt_u32_e32 vcc, s13, v9
                                        ; implicit-def: $vgpr1
	s_and_saveexec_b64 s[0:1], vcc
	s_cbranch_execz .LBB69_28
; %bb.27:
	ds_read_u8 v1, v9
.LBB69_28:
	s_or_b64 exec, exec, s[0:1]
	v_cmp_le_u32_e64 s[0:1], s21, v10
	v_cmp_gt_u32_e64 s[2:3], s21, v10
                                        ; implicit-def: $vgpr2
	s_and_saveexec_b64 s[4:5], s[2:3]
	s_cbranch_execz .LBB69_30
; %bb.29:
	ds_read_u8 v2, v10
.LBB69_30:
	s_or_b64 exec, exec, s[4:5]
	s_waitcnt lgkmcnt(0)
	v_and_b32_e32 v3, s22, v2
	v_and_b32_e32 v5, s22, v1
	v_cmp_le_i16_sdwa s[2:3], sext(v5), sext(v3) src0_sel:BYTE_0 src1_sel:BYTE_0
	s_and_b64 s[2:3], vcc, s[2:3]
	s_or_b64 vcc, s[0:1], s[2:3]
	v_mov_b32_e32 v5, s21
	v_mov_b32_e32 v6, s13
	v_cndmask_b32_e32 v3, v10, v9, vcc
	v_cndmask_b32_e32 v7, v5, v6, vcc
	v_add_u32_e32 v3, 1, v3
	v_add_u32_e32 v7, -1, v7
	v_min_u32_e32 v7, v3, v7
	ds_read_u8 v7, v7
	v_cndmask_b32_e32 v10, v3, v10, vcc
	v_cndmask_b32_e32 v3, v9, v3, vcc
	v_cmp_gt_u32_e64 s[2:3], s13, v3
	v_cmp_le_u32_e64 s[0:1], s21, v10
	s_waitcnt lgkmcnt(0)
	v_cndmask_b32_e32 v8, v7, v2, vcc
	v_cndmask_b32_e32 v7, v1, v7, vcc
	v_and_b32_e32 v9, s22, v8
	v_and_b32_e32 v11, s22, v7
	v_cmp_le_i16_sdwa s[4:5], sext(v11), sext(v9) src0_sel:BYTE_0 src1_sel:BYTE_0
	s_and_b64 s[2:3], s[2:3], s[4:5]
	s_or_b64 s[0:1], s[0:1], s[2:3]
	v_cndmask_b32_e64 v9, v10, v3, s[0:1]
	v_cndmask_b32_e64 v11, v5, v6, s[0:1]
	v_add_u32_e32 v9, 1, v9
	v_add_u32_e32 v11, -1, v11
	v_min_u32_e32 v11, v9, v11
	ds_read_u8 v11, v11
	v_cndmask_b32_e64 v10, v9, v10, s[0:1]
	v_cndmask_b32_e64 v3, v3, v9, s[0:1]
	v_cmp_gt_u32_e64 s[4:5], s13, v3
	v_cmp_le_u32_e64 s[2:3], s21, v10
	s_waitcnt lgkmcnt(0)
	v_cndmask_b32_e64 v12, v11, v8, s[0:1]
	v_cndmask_b32_e64 v11, v7, v11, s[0:1]
	v_and_b32_e32 v9, s22, v12
	v_and_b32_e32 v13, s22, v11
	v_cmp_le_i16_sdwa s[6:7], sext(v13), sext(v9) src0_sel:BYTE_0 src1_sel:BYTE_0
	s_and_b64 s[4:5], s[4:5], s[6:7]
	s_or_b64 s[2:3], s[2:3], s[4:5]
	v_cndmask_b32_e64 v9, v10, v3, s[2:3]
	v_cndmask_b32_e64 v13, v5, v6, s[2:3]
	v_add_u32_e32 v9, 1, v9
	v_add_u32_e32 v13, -1, v13
	v_min_u32_e32 v13, v9, v13
	ds_read_u8 v13, v13
	v_cndmask_b32_e64 v10, v9, v10, s[2:3]
	v_cndmask_b32_e64 v3, v3, v9, s[2:3]
	v_cmp_gt_u32_e64 s[6:7], s13, v3
	v_cmp_le_u32_e64 s[4:5], s21, v10
	s_waitcnt lgkmcnt(0)
	v_cndmask_b32_e64 v14, v13, v12, s[2:3]
	v_cndmask_b32_e64 v13, v11, v13, s[2:3]
	;; [unrolled: 18-line block ×4, first 2 shown]
	v_and_b32_e32 v3, s22, v18
	v_and_b32_e32 v19, s22, v17
	v_cmp_le_i16_sdwa s[24:25], sext(v19), sext(v3) src0_sel:BYTE_0 src1_sel:BYTE_0
	s_and_b64 s[10:11], s[10:11], s[24:25]
	s_or_b64 s[8:9], s[8:9], s[10:11]
	v_cndmask_b32_e64 v3, v10, v9, s[8:9]
	v_cndmask_b32_e64 v19, v5, v6, s[8:9]
	v_add_u32_e32 v20, 1, v3
	v_add_u32_e32 v3, -1, v19
	v_min_u32_e32 v3, v20, v3
	ds_read_u8 v19, v3
	v_cndmask_b32_e64 v3, v12, v11, s[2:3]
	v_cndmask_b32_e32 v1, v2, v1, vcc
	v_cndmask_b32_e64 v2, v8, v7, s[0:1]
	v_cndmask_b32_e64 v9, v9, v20, s[8:9]
	s_waitcnt lgkmcnt(0)
	v_cndmask_b32_e64 v11, v19, v18, s[8:9]
	v_cndmask_b32_e64 v12, v17, v19, s[8:9]
	v_and_b32_e32 v7, s22, v11
	v_and_b32_e32 v8, s22, v12
	v_cndmask_b32_e64 v10, v20, v10, s[8:9]
	v_cmp_gt_u32_e64 s[0:1], s13, v9
	v_cmp_le_i16_sdwa s[2:3], sext(v8), sext(v7) src0_sel:BYTE_0 src1_sel:BYTE_0
	v_cmp_le_u32_e32 vcc, s21, v10
	s_and_b64 s[0:1], s[0:1], s[2:3]
	s_or_b64 vcc, vcc, s[0:1]
	v_cndmask_b32_e32 v7, v10, v9, vcc
	v_cndmask_b32_e32 v5, v5, v6, vcc
	v_add_u32_e32 v19, 1, v7
	v_add_u32_e32 v5, -1, v5
	v_min_u32_e32 v5, v19, v5
	ds_read_u8 v20, v5
	v_cndmask_b32_e32 v8, v11, v12, vcc
	v_cndmask_b32_e32 v10, v19, v10, vcc
	;; [unrolled: 1-line block ×3, first 2 shown]
	v_cmp_gt_u32_e64 s[0:1], s13, v9
	s_waitcnt lgkmcnt(0)
	v_cndmask_b32_e32 v11, v20, v11, vcc
	v_cndmask_b32_e32 v12, v12, v20, vcc
	v_cmp_le_u32_e32 vcc, s21, v10
	v_and_b32_e32 v9, s22, v11
	v_and_b32_e32 v10, s22, v12
	v_cmp_le_i16_sdwa s[2:3], sext(v10), sext(v9) src0_sel:BYTE_0 src1_sel:BYTE_0
	s_and_b64 s[0:1], s[0:1], s[2:3]
	s_or_b64 vcc, vcc, s[0:1]
	v_cndmask_b32_e64 v5, v14, v13, s[4:5]
	v_cndmask_b32_e64 v6, v16, v15, s[6:7]
	;; [unrolled: 1-line block ×3, first 2 shown]
	v_cndmask_b32_e32 v11, v11, v12, vcc
.LBB69_31:
	s_or_b64 exec, exec, s[18:19]
	v_lshlrev_b16_e32 v7, 8, v7
	v_lshlrev_b16_e32 v2, 8, v2
	v_lshrrev_b32_e32 v9, 2, v0
	v_or_b32_sdwa v6, v6, v7 dst_sel:DWORD dst_unused:UNUSED_PAD src0_sel:BYTE_0 src1_sel:DWORD
	v_lshlrev_b16_e32 v7, 8, v11
	v_or_b32_sdwa v1, v1, v2 dst_sel:DWORD dst_unused:UNUSED_PAD src0_sel:BYTE_0 src1_sel:DWORD
	v_lshlrev_b16_e32 v2, 8, v5
	s_add_u32 s0, s16, s20
	v_and_b32_e32 v9, 28, v9
	v_or_b32_sdwa v7, v8, v7 dst_sel:WORD_1 dst_unused:UNUSED_PAD src0_sel:BYTE_0 src1_sel:DWORD
	v_or_b32_sdwa v2, v3, v2 dst_sel:WORD_1 dst_unused:UNUSED_PAD src0_sel:BYTE_0 src1_sel:DWORD
	s_addc_u32 s1, s17, 0
	v_add_u32_e32 v4, v9, v4
	v_or_b32_sdwa v6, v6, v7 dst_sel:DWORD dst_unused:UNUSED_PAD src0_sel:WORD_0 src1_sel:DWORD
	v_or_b32_sdwa v1, v1, v2 dst_sel:DWORD dst_unused:UNUSED_PAD src0_sel:WORD_0 src1_sel:DWORD
	s_barrier
	s_barrier
	ds_write2_b32 v4, v1, v6 offset1:1
	v_mov_b32_e32 v1, s1
	v_add_co_u32_e32 v2, vcc, s0, v0
	v_addc_co_u32_e32 v3, vcc, 0, v1, vcc
	s_and_b64 vcc, exec, s[14:15]
	v_add_u32_e32 v4, 4, v0
	v_add_u32_e32 v5, 8, v0
	;; [unrolled: 1-line block ×7, first 2 shown]
	s_waitcnt lgkmcnt(0)
	s_cbranch_vccz .LBB69_33
; %bb.32:
	s_barrier
	ds_read_u8 v11, v0
	ds_read_u8 v12, v4 offset:128
	ds_read_u8 v13, v5 offset:256
	;; [unrolled: 1-line block ×7, first 2 shown]
	s_waitcnt lgkmcnt(7)
	global_store_byte v[2:3], v11, off
	s_waitcnt lgkmcnt(6)
	global_store_byte v[2:3], v12, off offset:128
	s_waitcnt lgkmcnt(5)
	global_store_byte v[2:3], v13, off offset:256
	;; [unrolled: 2-line block ×6, first 2 shown]
	s_mov_b64 s[0:1], -1
	s_cbranch_execz .LBB69_34
	s_branch .LBB69_49
.LBB69_33:
	s_mov_b64 s[0:1], 0
                                        ; implicit-def: $vgpr1
.LBB69_34:
	s_barrier
	s_waitcnt lgkmcnt(0)
	ds_read_u8 v13, v4 offset:128
	ds_read_u8 v12, v5 offset:256
	;; [unrolled: 1-line block ×7, first 2 shown]
	s_sub_i32 s2, s12, s20
	v_or_b32_e32 v7, 0x80, v0
	v_cmp_gt_u32_e32 vcc, s2, v0
	s_and_saveexec_b64 s[0:1], vcc
	s_cbranch_execz .LBB69_36
; %bb.35:
	ds_read_u8 v8, v0
	s_waitcnt lgkmcnt(0)
	global_store_byte v[2:3], v8, off
.LBB69_36:
	s_or_b64 exec, exec, s[0:1]
	v_or_b32_e32 v8, 0x100, v0
	v_cmp_gt_u32_e32 vcc, s2, v7
	s_and_saveexec_b64 s[0:1], vcc
	s_cbranch_execz .LBB69_38
; %bb.37:
	s_waitcnt lgkmcnt(6)
	global_store_byte v[2:3], v13, off offset:128
.LBB69_38:
	s_or_b64 exec, exec, s[0:1]
	v_or_b32_e32 v7, 0x180, v0
	v_cmp_gt_u32_e32 vcc, s2, v8
	s_and_saveexec_b64 s[0:1], vcc
	s_cbranch_execz .LBB69_40
; %bb.39:
	s_waitcnt lgkmcnt(5)
	global_store_byte v[2:3], v12, off offset:256
.LBB69_40:
	;; [unrolled: 9-line block ×4, first 2 shown]
	s_or_b64 exec, exec, s[0:1]
	s_waitcnt lgkmcnt(3)
	v_or_b32_e32 v6, 0x300, v0
	v_cmp_gt_u32_e32 vcc, s2, v7
	s_and_saveexec_b64 s[0:1], vcc
	s_cbranch_execz .LBB69_46
; %bb.45:
	s_waitcnt lgkmcnt(2)
	global_store_byte v[2:3], v5, off offset:640
.LBB69_46:
	s_or_b64 exec, exec, s[0:1]
	v_or_b32_e32 v0, 0x380, v0
	v_cmp_gt_u32_e32 vcc, s2, v6
	s_and_saveexec_b64 s[0:1], vcc
	s_cbranch_execz .LBB69_48
; %bb.47:
	s_waitcnt lgkmcnt(1)
	global_store_byte v[2:3], v4, off offset:768
.LBB69_48:
	s_or_b64 exec, exec, s[0:1]
	v_cmp_gt_u32_e64 s[0:1], s2, v0
.LBB69_49:
	s_and_saveexec_b64 s[2:3], s[0:1]
	s_cbranch_execz .LBB69_51
; %bb.50:
	s_waitcnt lgkmcnt(0)
	global_store_byte v[2:3], v1, off offset:896
.LBB69_51:
	s_endpgm
	.section	.rodata,"a",@progbits
	.p2align	6, 0x0
	.amdhsa_kernel _ZN7rocprim17ROCPRIM_400000_NS6detail17trampoline_kernelINS0_14default_configENS1_38merge_sort_block_merge_config_selectorIcNS0_10empty_typeEEEZZNS1_27merge_sort_block_merge_implIS3_PcPS5_jNS1_19radix_merge_compareILb0ELb1EcNS0_19identity_decomposerEEEEE10hipError_tT0_T1_T2_jT3_P12ihipStream_tbPNSt15iterator_traitsISE_E10value_typeEPNSK_ISF_E10value_typeEPSG_NS1_7vsmem_tEENKUlT_SE_SF_SG_E_clIS8_S8_S9_S9_EESD_ST_SE_SF_SG_EUlST_E0_NS1_11comp_targetILNS1_3genE4ELNS1_11target_archE910ELNS1_3gpuE8ELNS1_3repE0EEENS1_38merge_mergepath_config_static_selectorELNS0_4arch9wavefront6targetE1EEEvSF_
		.amdhsa_group_segment_fixed_size 1056
		.amdhsa_private_segment_fixed_size 0
		.amdhsa_kernarg_size 320
		.amdhsa_user_sgpr_count 6
		.amdhsa_user_sgpr_private_segment_buffer 1
		.amdhsa_user_sgpr_dispatch_ptr 0
		.amdhsa_user_sgpr_queue_ptr 0
		.amdhsa_user_sgpr_kernarg_segment_ptr 1
		.amdhsa_user_sgpr_dispatch_id 0
		.amdhsa_user_sgpr_flat_scratch_init 0
		.amdhsa_user_sgpr_kernarg_preload_length 0
		.amdhsa_user_sgpr_kernarg_preload_offset 0
		.amdhsa_user_sgpr_private_segment_size 0
		.amdhsa_uses_dynamic_stack 0
		.amdhsa_system_sgpr_private_segment_wavefront_offset 0
		.amdhsa_system_sgpr_workgroup_id_x 1
		.amdhsa_system_sgpr_workgroup_id_y 1
		.amdhsa_system_sgpr_workgroup_id_z 1
		.amdhsa_system_sgpr_workgroup_info 0
		.amdhsa_system_vgpr_workitem_id 0
		.amdhsa_next_free_vgpr 28
		.amdhsa_next_free_sgpr 26
		.amdhsa_accum_offset 28
		.amdhsa_reserve_vcc 1
		.amdhsa_reserve_flat_scratch 0
		.amdhsa_float_round_mode_32 0
		.amdhsa_float_round_mode_16_64 0
		.amdhsa_float_denorm_mode_32 3
		.amdhsa_float_denorm_mode_16_64 3
		.amdhsa_dx10_clamp 1
		.amdhsa_ieee_mode 1
		.amdhsa_fp16_overflow 0
		.amdhsa_tg_split 0
		.amdhsa_exception_fp_ieee_invalid_op 0
		.amdhsa_exception_fp_denorm_src 0
		.amdhsa_exception_fp_ieee_div_zero 0
		.amdhsa_exception_fp_ieee_overflow 0
		.amdhsa_exception_fp_ieee_underflow 0
		.amdhsa_exception_fp_ieee_inexact 0
		.amdhsa_exception_int_div_zero 0
	.end_amdhsa_kernel
	.section	.text._ZN7rocprim17ROCPRIM_400000_NS6detail17trampoline_kernelINS0_14default_configENS1_38merge_sort_block_merge_config_selectorIcNS0_10empty_typeEEEZZNS1_27merge_sort_block_merge_implIS3_PcPS5_jNS1_19radix_merge_compareILb0ELb1EcNS0_19identity_decomposerEEEEE10hipError_tT0_T1_T2_jT3_P12ihipStream_tbPNSt15iterator_traitsISE_E10value_typeEPNSK_ISF_E10value_typeEPSG_NS1_7vsmem_tEENKUlT_SE_SF_SG_E_clIS8_S8_S9_S9_EESD_ST_SE_SF_SG_EUlST_E0_NS1_11comp_targetILNS1_3genE4ELNS1_11target_archE910ELNS1_3gpuE8ELNS1_3repE0EEENS1_38merge_mergepath_config_static_selectorELNS0_4arch9wavefront6targetE1EEEvSF_,"axG",@progbits,_ZN7rocprim17ROCPRIM_400000_NS6detail17trampoline_kernelINS0_14default_configENS1_38merge_sort_block_merge_config_selectorIcNS0_10empty_typeEEEZZNS1_27merge_sort_block_merge_implIS3_PcPS5_jNS1_19radix_merge_compareILb0ELb1EcNS0_19identity_decomposerEEEEE10hipError_tT0_T1_T2_jT3_P12ihipStream_tbPNSt15iterator_traitsISE_E10value_typeEPNSK_ISF_E10value_typeEPSG_NS1_7vsmem_tEENKUlT_SE_SF_SG_E_clIS8_S8_S9_S9_EESD_ST_SE_SF_SG_EUlST_E0_NS1_11comp_targetILNS1_3genE4ELNS1_11target_archE910ELNS1_3gpuE8ELNS1_3repE0EEENS1_38merge_mergepath_config_static_selectorELNS0_4arch9wavefront6targetE1EEEvSF_,comdat
.Lfunc_end69:
	.size	_ZN7rocprim17ROCPRIM_400000_NS6detail17trampoline_kernelINS0_14default_configENS1_38merge_sort_block_merge_config_selectorIcNS0_10empty_typeEEEZZNS1_27merge_sort_block_merge_implIS3_PcPS5_jNS1_19radix_merge_compareILb0ELb1EcNS0_19identity_decomposerEEEEE10hipError_tT0_T1_T2_jT3_P12ihipStream_tbPNSt15iterator_traitsISE_E10value_typeEPNSK_ISF_E10value_typeEPSG_NS1_7vsmem_tEENKUlT_SE_SF_SG_E_clIS8_S8_S9_S9_EESD_ST_SE_SF_SG_EUlST_E0_NS1_11comp_targetILNS1_3genE4ELNS1_11target_archE910ELNS1_3gpuE8ELNS1_3repE0EEENS1_38merge_mergepath_config_static_selectorELNS0_4arch9wavefront6targetE1EEEvSF_, .Lfunc_end69-_ZN7rocprim17ROCPRIM_400000_NS6detail17trampoline_kernelINS0_14default_configENS1_38merge_sort_block_merge_config_selectorIcNS0_10empty_typeEEEZZNS1_27merge_sort_block_merge_implIS3_PcPS5_jNS1_19radix_merge_compareILb0ELb1EcNS0_19identity_decomposerEEEEE10hipError_tT0_T1_T2_jT3_P12ihipStream_tbPNSt15iterator_traitsISE_E10value_typeEPNSK_ISF_E10value_typeEPSG_NS1_7vsmem_tEENKUlT_SE_SF_SG_E_clIS8_S8_S9_S9_EESD_ST_SE_SF_SG_EUlST_E0_NS1_11comp_targetILNS1_3genE4ELNS1_11target_archE910ELNS1_3gpuE8ELNS1_3repE0EEENS1_38merge_mergepath_config_static_selectorELNS0_4arch9wavefront6targetE1EEEvSF_
                                        ; -- End function
	.section	.AMDGPU.csdata,"",@progbits
; Kernel info:
; codeLenInByte = 3196
; NumSgprs: 30
; NumVgprs: 28
; NumAgprs: 0
; TotalNumVgprs: 28
; ScratchSize: 0
; MemoryBound: 0
; FloatMode: 240
; IeeeMode: 1
; LDSByteSize: 1056 bytes/workgroup (compile time only)
; SGPRBlocks: 3
; VGPRBlocks: 3
; NumSGPRsForWavesPerEU: 30
; NumVGPRsForWavesPerEU: 28
; AccumOffset: 28
; Occupancy: 8
; WaveLimiterHint : 1
; COMPUTE_PGM_RSRC2:SCRATCH_EN: 0
; COMPUTE_PGM_RSRC2:USER_SGPR: 6
; COMPUTE_PGM_RSRC2:TRAP_HANDLER: 0
; COMPUTE_PGM_RSRC2:TGID_X_EN: 1
; COMPUTE_PGM_RSRC2:TGID_Y_EN: 1
; COMPUTE_PGM_RSRC2:TGID_Z_EN: 1
; COMPUTE_PGM_RSRC2:TIDIG_COMP_CNT: 0
; COMPUTE_PGM_RSRC3_GFX90A:ACCUM_OFFSET: 6
; COMPUTE_PGM_RSRC3_GFX90A:TG_SPLIT: 0
	.section	.text._ZN7rocprim17ROCPRIM_400000_NS6detail17trampoline_kernelINS0_14default_configENS1_38merge_sort_block_merge_config_selectorIcNS0_10empty_typeEEEZZNS1_27merge_sort_block_merge_implIS3_PcPS5_jNS1_19radix_merge_compareILb0ELb1EcNS0_19identity_decomposerEEEEE10hipError_tT0_T1_T2_jT3_P12ihipStream_tbPNSt15iterator_traitsISE_E10value_typeEPNSK_ISF_E10value_typeEPSG_NS1_7vsmem_tEENKUlT_SE_SF_SG_E_clIS8_S8_S9_S9_EESD_ST_SE_SF_SG_EUlST_E0_NS1_11comp_targetILNS1_3genE3ELNS1_11target_archE908ELNS1_3gpuE7ELNS1_3repE0EEENS1_38merge_mergepath_config_static_selectorELNS0_4arch9wavefront6targetE1EEEvSF_,"axG",@progbits,_ZN7rocprim17ROCPRIM_400000_NS6detail17trampoline_kernelINS0_14default_configENS1_38merge_sort_block_merge_config_selectorIcNS0_10empty_typeEEEZZNS1_27merge_sort_block_merge_implIS3_PcPS5_jNS1_19radix_merge_compareILb0ELb1EcNS0_19identity_decomposerEEEEE10hipError_tT0_T1_T2_jT3_P12ihipStream_tbPNSt15iterator_traitsISE_E10value_typeEPNSK_ISF_E10value_typeEPSG_NS1_7vsmem_tEENKUlT_SE_SF_SG_E_clIS8_S8_S9_S9_EESD_ST_SE_SF_SG_EUlST_E0_NS1_11comp_targetILNS1_3genE3ELNS1_11target_archE908ELNS1_3gpuE7ELNS1_3repE0EEENS1_38merge_mergepath_config_static_selectorELNS0_4arch9wavefront6targetE1EEEvSF_,comdat
	.protected	_ZN7rocprim17ROCPRIM_400000_NS6detail17trampoline_kernelINS0_14default_configENS1_38merge_sort_block_merge_config_selectorIcNS0_10empty_typeEEEZZNS1_27merge_sort_block_merge_implIS3_PcPS5_jNS1_19radix_merge_compareILb0ELb1EcNS0_19identity_decomposerEEEEE10hipError_tT0_T1_T2_jT3_P12ihipStream_tbPNSt15iterator_traitsISE_E10value_typeEPNSK_ISF_E10value_typeEPSG_NS1_7vsmem_tEENKUlT_SE_SF_SG_E_clIS8_S8_S9_S9_EESD_ST_SE_SF_SG_EUlST_E0_NS1_11comp_targetILNS1_3genE3ELNS1_11target_archE908ELNS1_3gpuE7ELNS1_3repE0EEENS1_38merge_mergepath_config_static_selectorELNS0_4arch9wavefront6targetE1EEEvSF_ ; -- Begin function _ZN7rocprim17ROCPRIM_400000_NS6detail17trampoline_kernelINS0_14default_configENS1_38merge_sort_block_merge_config_selectorIcNS0_10empty_typeEEEZZNS1_27merge_sort_block_merge_implIS3_PcPS5_jNS1_19radix_merge_compareILb0ELb1EcNS0_19identity_decomposerEEEEE10hipError_tT0_T1_T2_jT3_P12ihipStream_tbPNSt15iterator_traitsISE_E10value_typeEPNSK_ISF_E10value_typeEPSG_NS1_7vsmem_tEENKUlT_SE_SF_SG_E_clIS8_S8_S9_S9_EESD_ST_SE_SF_SG_EUlST_E0_NS1_11comp_targetILNS1_3genE3ELNS1_11target_archE908ELNS1_3gpuE7ELNS1_3repE0EEENS1_38merge_mergepath_config_static_selectorELNS0_4arch9wavefront6targetE1EEEvSF_
	.globl	_ZN7rocprim17ROCPRIM_400000_NS6detail17trampoline_kernelINS0_14default_configENS1_38merge_sort_block_merge_config_selectorIcNS0_10empty_typeEEEZZNS1_27merge_sort_block_merge_implIS3_PcPS5_jNS1_19radix_merge_compareILb0ELb1EcNS0_19identity_decomposerEEEEE10hipError_tT0_T1_T2_jT3_P12ihipStream_tbPNSt15iterator_traitsISE_E10value_typeEPNSK_ISF_E10value_typeEPSG_NS1_7vsmem_tEENKUlT_SE_SF_SG_E_clIS8_S8_S9_S9_EESD_ST_SE_SF_SG_EUlST_E0_NS1_11comp_targetILNS1_3genE3ELNS1_11target_archE908ELNS1_3gpuE7ELNS1_3repE0EEENS1_38merge_mergepath_config_static_selectorELNS0_4arch9wavefront6targetE1EEEvSF_
	.p2align	8
	.type	_ZN7rocprim17ROCPRIM_400000_NS6detail17trampoline_kernelINS0_14default_configENS1_38merge_sort_block_merge_config_selectorIcNS0_10empty_typeEEEZZNS1_27merge_sort_block_merge_implIS3_PcPS5_jNS1_19radix_merge_compareILb0ELb1EcNS0_19identity_decomposerEEEEE10hipError_tT0_T1_T2_jT3_P12ihipStream_tbPNSt15iterator_traitsISE_E10value_typeEPNSK_ISF_E10value_typeEPSG_NS1_7vsmem_tEENKUlT_SE_SF_SG_E_clIS8_S8_S9_S9_EESD_ST_SE_SF_SG_EUlST_E0_NS1_11comp_targetILNS1_3genE3ELNS1_11target_archE908ELNS1_3gpuE7ELNS1_3repE0EEENS1_38merge_mergepath_config_static_selectorELNS0_4arch9wavefront6targetE1EEEvSF_,@function
_ZN7rocprim17ROCPRIM_400000_NS6detail17trampoline_kernelINS0_14default_configENS1_38merge_sort_block_merge_config_selectorIcNS0_10empty_typeEEEZZNS1_27merge_sort_block_merge_implIS3_PcPS5_jNS1_19radix_merge_compareILb0ELb1EcNS0_19identity_decomposerEEEEE10hipError_tT0_T1_T2_jT3_P12ihipStream_tbPNSt15iterator_traitsISE_E10value_typeEPNSK_ISF_E10value_typeEPSG_NS1_7vsmem_tEENKUlT_SE_SF_SG_E_clIS8_S8_S9_S9_EESD_ST_SE_SF_SG_EUlST_E0_NS1_11comp_targetILNS1_3genE3ELNS1_11target_archE908ELNS1_3gpuE7ELNS1_3repE0EEENS1_38merge_mergepath_config_static_selectorELNS0_4arch9wavefront6targetE1EEEvSF_: ; @_ZN7rocprim17ROCPRIM_400000_NS6detail17trampoline_kernelINS0_14default_configENS1_38merge_sort_block_merge_config_selectorIcNS0_10empty_typeEEEZZNS1_27merge_sort_block_merge_implIS3_PcPS5_jNS1_19radix_merge_compareILb0ELb1EcNS0_19identity_decomposerEEEEE10hipError_tT0_T1_T2_jT3_P12ihipStream_tbPNSt15iterator_traitsISE_E10value_typeEPNSK_ISF_E10value_typeEPSG_NS1_7vsmem_tEENKUlT_SE_SF_SG_E_clIS8_S8_S9_S9_EESD_ST_SE_SF_SG_EUlST_E0_NS1_11comp_targetILNS1_3genE3ELNS1_11target_archE908ELNS1_3gpuE7ELNS1_3repE0EEENS1_38merge_mergepath_config_static_selectorELNS0_4arch9wavefront6targetE1EEEvSF_
; %bb.0:
	.section	.rodata,"a",@progbits
	.p2align	6, 0x0
	.amdhsa_kernel _ZN7rocprim17ROCPRIM_400000_NS6detail17trampoline_kernelINS0_14default_configENS1_38merge_sort_block_merge_config_selectorIcNS0_10empty_typeEEEZZNS1_27merge_sort_block_merge_implIS3_PcPS5_jNS1_19radix_merge_compareILb0ELb1EcNS0_19identity_decomposerEEEEE10hipError_tT0_T1_T2_jT3_P12ihipStream_tbPNSt15iterator_traitsISE_E10value_typeEPNSK_ISF_E10value_typeEPSG_NS1_7vsmem_tEENKUlT_SE_SF_SG_E_clIS8_S8_S9_S9_EESD_ST_SE_SF_SG_EUlST_E0_NS1_11comp_targetILNS1_3genE3ELNS1_11target_archE908ELNS1_3gpuE7ELNS1_3repE0EEENS1_38merge_mergepath_config_static_selectorELNS0_4arch9wavefront6targetE1EEEvSF_
		.amdhsa_group_segment_fixed_size 0
		.amdhsa_private_segment_fixed_size 0
		.amdhsa_kernarg_size 64
		.amdhsa_user_sgpr_count 6
		.amdhsa_user_sgpr_private_segment_buffer 1
		.amdhsa_user_sgpr_dispatch_ptr 0
		.amdhsa_user_sgpr_queue_ptr 0
		.amdhsa_user_sgpr_kernarg_segment_ptr 1
		.amdhsa_user_sgpr_dispatch_id 0
		.amdhsa_user_sgpr_flat_scratch_init 0
		.amdhsa_user_sgpr_kernarg_preload_length 0
		.amdhsa_user_sgpr_kernarg_preload_offset 0
		.amdhsa_user_sgpr_private_segment_size 0
		.amdhsa_uses_dynamic_stack 0
		.amdhsa_system_sgpr_private_segment_wavefront_offset 0
		.amdhsa_system_sgpr_workgroup_id_x 1
		.amdhsa_system_sgpr_workgroup_id_y 0
		.amdhsa_system_sgpr_workgroup_id_z 0
		.amdhsa_system_sgpr_workgroup_info 0
		.amdhsa_system_vgpr_workitem_id 0
		.amdhsa_next_free_vgpr 1
		.amdhsa_next_free_sgpr 0
		.amdhsa_accum_offset 4
		.amdhsa_reserve_vcc 0
		.amdhsa_reserve_flat_scratch 0
		.amdhsa_float_round_mode_32 0
		.amdhsa_float_round_mode_16_64 0
		.amdhsa_float_denorm_mode_32 3
		.amdhsa_float_denorm_mode_16_64 3
		.amdhsa_dx10_clamp 1
		.amdhsa_ieee_mode 1
		.amdhsa_fp16_overflow 0
		.amdhsa_tg_split 0
		.amdhsa_exception_fp_ieee_invalid_op 0
		.amdhsa_exception_fp_denorm_src 0
		.amdhsa_exception_fp_ieee_div_zero 0
		.amdhsa_exception_fp_ieee_overflow 0
		.amdhsa_exception_fp_ieee_underflow 0
		.amdhsa_exception_fp_ieee_inexact 0
		.amdhsa_exception_int_div_zero 0
	.end_amdhsa_kernel
	.section	.text._ZN7rocprim17ROCPRIM_400000_NS6detail17trampoline_kernelINS0_14default_configENS1_38merge_sort_block_merge_config_selectorIcNS0_10empty_typeEEEZZNS1_27merge_sort_block_merge_implIS3_PcPS5_jNS1_19radix_merge_compareILb0ELb1EcNS0_19identity_decomposerEEEEE10hipError_tT0_T1_T2_jT3_P12ihipStream_tbPNSt15iterator_traitsISE_E10value_typeEPNSK_ISF_E10value_typeEPSG_NS1_7vsmem_tEENKUlT_SE_SF_SG_E_clIS8_S8_S9_S9_EESD_ST_SE_SF_SG_EUlST_E0_NS1_11comp_targetILNS1_3genE3ELNS1_11target_archE908ELNS1_3gpuE7ELNS1_3repE0EEENS1_38merge_mergepath_config_static_selectorELNS0_4arch9wavefront6targetE1EEEvSF_,"axG",@progbits,_ZN7rocprim17ROCPRIM_400000_NS6detail17trampoline_kernelINS0_14default_configENS1_38merge_sort_block_merge_config_selectorIcNS0_10empty_typeEEEZZNS1_27merge_sort_block_merge_implIS3_PcPS5_jNS1_19radix_merge_compareILb0ELb1EcNS0_19identity_decomposerEEEEE10hipError_tT0_T1_T2_jT3_P12ihipStream_tbPNSt15iterator_traitsISE_E10value_typeEPNSK_ISF_E10value_typeEPSG_NS1_7vsmem_tEENKUlT_SE_SF_SG_E_clIS8_S8_S9_S9_EESD_ST_SE_SF_SG_EUlST_E0_NS1_11comp_targetILNS1_3genE3ELNS1_11target_archE908ELNS1_3gpuE7ELNS1_3repE0EEENS1_38merge_mergepath_config_static_selectorELNS0_4arch9wavefront6targetE1EEEvSF_,comdat
.Lfunc_end70:
	.size	_ZN7rocprim17ROCPRIM_400000_NS6detail17trampoline_kernelINS0_14default_configENS1_38merge_sort_block_merge_config_selectorIcNS0_10empty_typeEEEZZNS1_27merge_sort_block_merge_implIS3_PcPS5_jNS1_19radix_merge_compareILb0ELb1EcNS0_19identity_decomposerEEEEE10hipError_tT0_T1_T2_jT3_P12ihipStream_tbPNSt15iterator_traitsISE_E10value_typeEPNSK_ISF_E10value_typeEPSG_NS1_7vsmem_tEENKUlT_SE_SF_SG_E_clIS8_S8_S9_S9_EESD_ST_SE_SF_SG_EUlST_E0_NS1_11comp_targetILNS1_3genE3ELNS1_11target_archE908ELNS1_3gpuE7ELNS1_3repE0EEENS1_38merge_mergepath_config_static_selectorELNS0_4arch9wavefront6targetE1EEEvSF_, .Lfunc_end70-_ZN7rocprim17ROCPRIM_400000_NS6detail17trampoline_kernelINS0_14default_configENS1_38merge_sort_block_merge_config_selectorIcNS0_10empty_typeEEEZZNS1_27merge_sort_block_merge_implIS3_PcPS5_jNS1_19radix_merge_compareILb0ELb1EcNS0_19identity_decomposerEEEEE10hipError_tT0_T1_T2_jT3_P12ihipStream_tbPNSt15iterator_traitsISE_E10value_typeEPNSK_ISF_E10value_typeEPSG_NS1_7vsmem_tEENKUlT_SE_SF_SG_E_clIS8_S8_S9_S9_EESD_ST_SE_SF_SG_EUlST_E0_NS1_11comp_targetILNS1_3genE3ELNS1_11target_archE908ELNS1_3gpuE7ELNS1_3repE0EEENS1_38merge_mergepath_config_static_selectorELNS0_4arch9wavefront6targetE1EEEvSF_
                                        ; -- End function
	.section	.AMDGPU.csdata,"",@progbits
; Kernel info:
; codeLenInByte = 0
; NumSgprs: 4
; NumVgprs: 0
; NumAgprs: 0
; TotalNumVgprs: 0
; ScratchSize: 0
; MemoryBound: 0
; FloatMode: 240
; IeeeMode: 1
; LDSByteSize: 0 bytes/workgroup (compile time only)
; SGPRBlocks: 0
; VGPRBlocks: 0
; NumSGPRsForWavesPerEU: 4
; NumVGPRsForWavesPerEU: 1
; AccumOffset: 4
; Occupancy: 8
; WaveLimiterHint : 0
; COMPUTE_PGM_RSRC2:SCRATCH_EN: 0
; COMPUTE_PGM_RSRC2:USER_SGPR: 6
; COMPUTE_PGM_RSRC2:TRAP_HANDLER: 0
; COMPUTE_PGM_RSRC2:TGID_X_EN: 1
; COMPUTE_PGM_RSRC2:TGID_Y_EN: 0
; COMPUTE_PGM_RSRC2:TGID_Z_EN: 0
; COMPUTE_PGM_RSRC2:TIDIG_COMP_CNT: 0
; COMPUTE_PGM_RSRC3_GFX90A:ACCUM_OFFSET: 0
; COMPUTE_PGM_RSRC3_GFX90A:TG_SPLIT: 0
	.section	.text._ZN7rocprim17ROCPRIM_400000_NS6detail17trampoline_kernelINS0_14default_configENS1_38merge_sort_block_merge_config_selectorIcNS0_10empty_typeEEEZZNS1_27merge_sort_block_merge_implIS3_PcPS5_jNS1_19radix_merge_compareILb0ELb1EcNS0_19identity_decomposerEEEEE10hipError_tT0_T1_T2_jT3_P12ihipStream_tbPNSt15iterator_traitsISE_E10value_typeEPNSK_ISF_E10value_typeEPSG_NS1_7vsmem_tEENKUlT_SE_SF_SG_E_clIS8_S8_S9_S9_EESD_ST_SE_SF_SG_EUlST_E0_NS1_11comp_targetILNS1_3genE2ELNS1_11target_archE906ELNS1_3gpuE6ELNS1_3repE0EEENS1_38merge_mergepath_config_static_selectorELNS0_4arch9wavefront6targetE1EEEvSF_,"axG",@progbits,_ZN7rocprim17ROCPRIM_400000_NS6detail17trampoline_kernelINS0_14default_configENS1_38merge_sort_block_merge_config_selectorIcNS0_10empty_typeEEEZZNS1_27merge_sort_block_merge_implIS3_PcPS5_jNS1_19radix_merge_compareILb0ELb1EcNS0_19identity_decomposerEEEEE10hipError_tT0_T1_T2_jT3_P12ihipStream_tbPNSt15iterator_traitsISE_E10value_typeEPNSK_ISF_E10value_typeEPSG_NS1_7vsmem_tEENKUlT_SE_SF_SG_E_clIS8_S8_S9_S9_EESD_ST_SE_SF_SG_EUlST_E0_NS1_11comp_targetILNS1_3genE2ELNS1_11target_archE906ELNS1_3gpuE6ELNS1_3repE0EEENS1_38merge_mergepath_config_static_selectorELNS0_4arch9wavefront6targetE1EEEvSF_,comdat
	.protected	_ZN7rocprim17ROCPRIM_400000_NS6detail17trampoline_kernelINS0_14default_configENS1_38merge_sort_block_merge_config_selectorIcNS0_10empty_typeEEEZZNS1_27merge_sort_block_merge_implIS3_PcPS5_jNS1_19radix_merge_compareILb0ELb1EcNS0_19identity_decomposerEEEEE10hipError_tT0_T1_T2_jT3_P12ihipStream_tbPNSt15iterator_traitsISE_E10value_typeEPNSK_ISF_E10value_typeEPSG_NS1_7vsmem_tEENKUlT_SE_SF_SG_E_clIS8_S8_S9_S9_EESD_ST_SE_SF_SG_EUlST_E0_NS1_11comp_targetILNS1_3genE2ELNS1_11target_archE906ELNS1_3gpuE6ELNS1_3repE0EEENS1_38merge_mergepath_config_static_selectorELNS0_4arch9wavefront6targetE1EEEvSF_ ; -- Begin function _ZN7rocprim17ROCPRIM_400000_NS6detail17trampoline_kernelINS0_14default_configENS1_38merge_sort_block_merge_config_selectorIcNS0_10empty_typeEEEZZNS1_27merge_sort_block_merge_implIS3_PcPS5_jNS1_19radix_merge_compareILb0ELb1EcNS0_19identity_decomposerEEEEE10hipError_tT0_T1_T2_jT3_P12ihipStream_tbPNSt15iterator_traitsISE_E10value_typeEPNSK_ISF_E10value_typeEPSG_NS1_7vsmem_tEENKUlT_SE_SF_SG_E_clIS8_S8_S9_S9_EESD_ST_SE_SF_SG_EUlST_E0_NS1_11comp_targetILNS1_3genE2ELNS1_11target_archE906ELNS1_3gpuE6ELNS1_3repE0EEENS1_38merge_mergepath_config_static_selectorELNS0_4arch9wavefront6targetE1EEEvSF_
	.globl	_ZN7rocprim17ROCPRIM_400000_NS6detail17trampoline_kernelINS0_14default_configENS1_38merge_sort_block_merge_config_selectorIcNS0_10empty_typeEEEZZNS1_27merge_sort_block_merge_implIS3_PcPS5_jNS1_19radix_merge_compareILb0ELb1EcNS0_19identity_decomposerEEEEE10hipError_tT0_T1_T2_jT3_P12ihipStream_tbPNSt15iterator_traitsISE_E10value_typeEPNSK_ISF_E10value_typeEPSG_NS1_7vsmem_tEENKUlT_SE_SF_SG_E_clIS8_S8_S9_S9_EESD_ST_SE_SF_SG_EUlST_E0_NS1_11comp_targetILNS1_3genE2ELNS1_11target_archE906ELNS1_3gpuE6ELNS1_3repE0EEENS1_38merge_mergepath_config_static_selectorELNS0_4arch9wavefront6targetE1EEEvSF_
	.p2align	8
	.type	_ZN7rocprim17ROCPRIM_400000_NS6detail17trampoline_kernelINS0_14default_configENS1_38merge_sort_block_merge_config_selectorIcNS0_10empty_typeEEEZZNS1_27merge_sort_block_merge_implIS3_PcPS5_jNS1_19radix_merge_compareILb0ELb1EcNS0_19identity_decomposerEEEEE10hipError_tT0_T1_T2_jT3_P12ihipStream_tbPNSt15iterator_traitsISE_E10value_typeEPNSK_ISF_E10value_typeEPSG_NS1_7vsmem_tEENKUlT_SE_SF_SG_E_clIS8_S8_S9_S9_EESD_ST_SE_SF_SG_EUlST_E0_NS1_11comp_targetILNS1_3genE2ELNS1_11target_archE906ELNS1_3gpuE6ELNS1_3repE0EEENS1_38merge_mergepath_config_static_selectorELNS0_4arch9wavefront6targetE1EEEvSF_,@function
_ZN7rocprim17ROCPRIM_400000_NS6detail17trampoline_kernelINS0_14default_configENS1_38merge_sort_block_merge_config_selectorIcNS0_10empty_typeEEEZZNS1_27merge_sort_block_merge_implIS3_PcPS5_jNS1_19radix_merge_compareILb0ELb1EcNS0_19identity_decomposerEEEEE10hipError_tT0_T1_T2_jT3_P12ihipStream_tbPNSt15iterator_traitsISE_E10value_typeEPNSK_ISF_E10value_typeEPSG_NS1_7vsmem_tEENKUlT_SE_SF_SG_E_clIS8_S8_S9_S9_EESD_ST_SE_SF_SG_EUlST_E0_NS1_11comp_targetILNS1_3genE2ELNS1_11target_archE906ELNS1_3gpuE6ELNS1_3repE0EEENS1_38merge_mergepath_config_static_selectorELNS0_4arch9wavefront6targetE1EEEvSF_: ; @_ZN7rocprim17ROCPRIM_400000_NS6detail17trampoline_kernelINS0_14default_configENS1_38merge_sort_block_merge_config_selectorIcNS0_10empty_typeEEEZZNS1_27merge_sort_block_merge_implIS3_PcPS5_jNS1_19radix_merge_compareILb0ELb1EcNS0_19identity_decomposerEEEEE10hipError_tT0_T1_T2_jT3_P12ihipStream_tbPNSt15iterator_traitsISE_E10value_typeEPNSK_ISF_E10value_typeEPSG_NS1_7vsmem_tEENKUlT_SE_SF_SG_E_clIS8_S8_S9_S9_EESD_ST_SE_SF_SG_EUlST_E0_NS1_11comp_targetILNS1_3genE2ELNS1_11target_archE906ELNS1_3gpuE6ELNS1_3repE0EEENS1_38merge_mergepath_config_static_selectorELNS0_4arch9wavefront6targetE1EEEvSF_
; %bb.0:
	.section	.rodata,"a",@progbits
	.p2align	6, 0x0
	.amdhsa_kernel _ZN7rocprim17ROCPRIM_400000_NS6detail17trampoline_kernelINS0_14default_configENS1_38merge_sort_block_merge_config_selectorIcNS0_10empty_typeEEEZZNS1_27merge_sort_block_merge_implIS3_PcPS5_jNS1_19radix_merge_compareILb0ELb1EcNS0_19identity_decomposerEEEEE10hipError_tT0_T1_T2_jT3_P12ihipStream_tbPNSt15iterator_traitsISE_E10value_typeEPNSK_ISF_E10value_typeEPSG_NS1_7vsmem_tEENKUlT_SE_SF_SG_E_clIS8_S8_S9_S9_EESD_ST_SE_SF_SG_EUlST_E0_NS1_11comp_targetILNS1_3genE2ELNS1_11target_archE906ELNS1_3gpuE6ELNS1_3repE0EEENS1_38merge_mergepath_config_static_selectorELNS0_4arch9wavefront6targetE1EEEvSF_
		.amdhsa_group_segment_fixed_size 0
		.amdhsa_private_segment_fixed_size 0
		.amdhsa_kernarg_size 64
		.amdhsa_user_sgpr_count 6
		.amdhsa_user_sgpr_private_segment_buffer 1
		.amdhsa_user_sgpr_dispatch_ptr 0
		.amdhsa_user_sgpr_queue_ptr 0
		.amdhsa_user_sgpr_kernarg_segment_ptr 1
		.amdhsa_user_sgpr_dispatch_id 0
		.amdhsa_user_sgpr_flat_scratch_init 0
		.amdhsa_user_sgpr_kernarg_preload_length 0
		.amdhsa_user_sgpr_kernarg_preload_offset 0
		.amdhsa_user_sgpr_private_segment_size 0
		.amdhsa_uses_dynamic_stack 0
		.amdhsa_system_sgpr_private_segment_wavefront_offset 0
		.amdhsa_system_sgpr_workgroup_id_x 1
		.amdhsa_system_sgpr_workgroup_id_y 0
		.amdhsa_system_sgpr_workgroup_id_z 0
		.amdhsa_system_sgpr_workgroup_info 0
		.amdhsa_system_vgpr_workitem_id 0
		.amdhsa_next_free_vgpr 1
		.amdhsa_next_free_sgpr 0
		.amdhsa_accum_offset 4
		.amdhsa_reserve_vcc 0
		.amdhsa_reserve_flat_scratch 0
		.amdhsa_float_round_mode_32 0
		.amdhsa_float_round_mode_16_64 0
		.amdhsa_float_denorm_mode_32 3
		.amdhsa_float_denorm_mode_16_64 3
		.amdhsa_dx10_clamp 1
		.amdhsa_ieee_mode 1
		.amdhsa_fp16_overflow 0
		.amdhsa_tg_split 0
		.amdhsa_exception_fp_ieee_invalid_op 0
		.amdhsa_exception_fp_denorm_src 0
		.amdhsa_exception_fp_ieee_div_zero 0
		.amdhsa_exception_fp_ieee_overflow 0
		.amdhsa_exception_fp_ieee_underflow 0
		.amdhsa_exception_fp_ieee_inexact 0
		.amdhsa_exception_int_div_zero 0
	.end_amdhsa_kernel
	.section	.text._ZN7rocprim17ROCPRIM_400000_NS6detail17trampoline_kernelINS0_14default_configENS1_38merge_sort_block_merge_config_selectorIcNS0_10empty_typeEEEZZNS1_27merge_sort_block_merge_implIS3_PcPS5_jNS1_19radix_merge_compareILb0ELb1EcNS0_19identity_decomposerEEEEE10hipError_tT0_T1_T2_jT3_P12ihipStream_tbPNSt15iterator_traitsISE_E10value_typeEPNSK_ISF_E10value_typeEPSG_NS1_7vsmem_tEENKUlT_SE_SF_SG_E_clIS8_S8_S9_S9_EESD_ST_SE_SF_SG_EUlST_E0_NS1_11comp_targetILNS1_3genE2ELNS1_11target_archE906ELNS1_3gpuE6ELNS1_3repE0EEENS1_38merge_mergepath_config_static_selectorELNS0_4arch9wavefront6targetE1EEEvSF_,"axG",@progbits,_ZN7rocprim17ROCPRIM_400000_NS6detail17trampoline_kernelINS0_14default_configENS1_38merge_sort_block_merge_config_selectorIcNS0_10empty_typeEEEZZNS1_27merge_sort_block_merge_implIS3_PcPS5_jNS1_19radix_merge_compareILb0ELb1EcNS0_19identity_decomposerEEEEE10hipError_tT0_T1_T2_jT3_P12ihipStream_tbPNSt15iterator_traitsISE_E10value_typeEPNSK_ISF_E10value_typeEPSG_NS1_7vsmem_tEENKUlT_SE_SF_SG_E_clIS8_S8_S9_S9_EESD_ST_SE_SF_SG_EUlST_E0_NS1_11comp_targetILNS1_3genE2ELNS1_11target_archE906ELNS1_3gpuE6ELNS1_3repE0EEENS1_38merge_mergepath_config_static_selectorELNS0_4arch9wavefront6targetE1EEEvSF_,comdat
.Lfunc_end71:
	.size	_ZN7rocprim17ROCPRIM_400000_NS6detail17trampoline_kernelINS0_14default_configENS1_38merge_sort_block_merge_config_selectorIcNS0_10empty_typeEEEZZNS1_27merge_sort_block_merge_implIS3_PcPS5_jNS1_19radix_merge_compareILb0ELb1EcNS0_19identity_decomposerEEEEE10hipError_tT0_T1_T2_jT3_P12ihipStream_tbPNSt15iterator_traitsISE_E10value_typeEPNSK_ISF_E10value_typeEPSG_NS1_7vsmem_tEENKUlT_SE_SF_SG_E_clIS8_S8_S9_S9_EESD_ST_SE_SF_SG_EUlST_E0_NS1_11comp_targetILNS1_3genE2ELNS1_11target_archE906ELNS1_3gpuE6ELNS1_3repE0EEENS1_38merge_mergepath_config_static_selectorELNS0_4arch9wavefront6targetE1EEEvSF_, .Lfunc_end71-_ZN7rocprim17ROCPRIM_400000_NS6detail17trampoline_kernelINS0_14default_configENS1_38merge_sort_block_merge_config_selectorIcNS0_10empty_typeEEEZZNS1_27merge_sort_block_merge_implIS3_PcPS5_jNS1_19radix_merge_compareILb0ELb1EcNS0_19identity_decomposerEEEEE10hipError_tT0_T1_T2_jT3_P12ihipStream_tbPNSt15iterator_traitsISE_E10value_typeEPNSK_ISF_E10value_typeEPSG_NS1_7vsmem_tEENKUlT_SE_SF_SG_E_clIS8_S8_S9_S9_EESD_ST_SE_SF_SG_EUlST_E0_NS1_11comp_targetILNS1_3genE2ELNS1_11target_archE906ELNS1_3gpuE6ELNS1_3repE0EEENS1_38merge_mergepath_config_static_selectorELNS0_4arch9wavefront6targetE1EEEvSF_
                                        ; -- End function
	.section	.AMDGPU.csdata,"",@progbits
; Kernel info:
; codeLenInByte = 0
; NumSgprs: 4
; NumVgprs: 0
; NumAgprs: 0
; TotalNumVgprs: 0
; ScratchSize: 0
; MemoryBound: 0
; FloatMode: 240
; IeeeMode: 1
; LDSByteSize: 0 bytes/workgroup (compile time only)
; SGPRBlocks: 0
; VGPRBlocks: 0
; NumSGPRsForWavesPerEU: 4
; NumVGPRsForWavesPerEU: 1
; AccumOffset: 4
; Occupancy: 8
; WaveLimiterHint : 0
; COMPUTE_PGM_RSRC2:SCRATCH_EN: 0
; COMPUTE_PGM_RSRC2:USER_SGPR: 6
; COMPUTE_PGM_RSRC2:TRAP_HANDLER: 0
; COMPUTE_PGM_RSRC2:TGID_X_EN: 1
; COMPUTE_PGM_RSRC2:TGID_Y_EN: 0
; COMPUTE_PGM_RSRC2:TGID_Z_EN: 0
; COMPUTE_PGM_RSRC2:TIDIG_COMP_CNT: 0
; COMPUTE_PGM_RSRC3_GFX90A:ACCUM_OFFSET: 0
; COMPUTE_PGM_RSRC3_GFX90A:TG_SPLIT: 0
	.section	.text._ZN7rocprim17ROCPRIM_400000_NS6detail17trampoline_kernelINS0_14default_configENS1_38merge_sort_block_merge_config_selectorIcNS0_10empty_typeEEEZZNS1_27merge_sort_block_merge_implIS3_PcPS5_jNS1_19radix_merge_compareILb0ELb1EcNS0_19identity_decomposerEEEEE10hipError_tT0_T1_T2_jT3_P12ihipStream_tbPNSt15iterator_traitsISE_E10value_typeEPNSK_ISF_E10value_typeEPSG_NS1_7vsmem_tEENKUlT_SE_SF_SG_E_clIS8_S8_S9_S9_EESD_ST_SE_SF_SG_EUlST_E0_NS1_11comp_targetILNS1_3genE9ELNS1_11target_archE1100ELNS1_3gpuE3ELNS1_3repE0EEENS1_38merge_mergepath_config_static_selectorELNS0_4arch9wavefront6targetE1EEEvSF_,"axG",@progbits,_ZN7rocprim17ROCPRIM_400000_NS6detail17trampoline_kernelINS0_14default_configENS1_38merge_sort_block_merge_config_selectorIcNS0_10empty_typeEEEZZNS1_27merge_sort_block_merge_implIS3_PcPS5_jNS1_19radix_merge_compareILb0ELb1EcNS0_19identity_decomposerEEEEE10hipError_tT0_T1_T2_jT3_P12ihipStream_tbPNSt15iterator_traitsISE_E10value_typeEPNSK_ISF_E10value_typeEPSG_NS1_7vsmem_tEENKUlT_SE_SF_SG_E_clIS8_S8_S9_S9_EESD_ST_SE_SF_SG_EUlST_E0_NS1_11comp_targetILNS1_3genE9ELNS1_11target_archE1100ELNS1_3gpuE3ELNS1_3repE0EEENS1_38merge_mergepath_config_static_selectorELNS0_4arch9wavefront6targetE1EEEvSF_,comdat
	.protected	_ZN7rocprim17ROCPRIM_400000_NS6detail17trampoline_kernelINS0_14default_configENS1_38merge_sort_block_merge_config_selectorIcNS0_10empty_typeEEEZZNS1_27merge_sort_block_merge_implIS3_PcPS5_jNS1_19radix_merge_compareILb0ELb1EcNS0_19identity_decomposerEEEEE10hipError_tT0_T1_T2_jT3_P12ihipStream_tbPNSt15iterator_traitsISE_E10value_typeEPNSK_ISF_E10value_typeEPSG_NS1_7vsmem_tEENKUlT_SE_SF_SG_E_clIS8_S8_S9_S9_EESD_ST_SE_SF_SG_EUlST_E0_NS1_11comp_targetILNS1_3genE9ELNS1_11target_archE1100ELNS1_3gpuE3ELNS1_3repE0EEENS1_38merge_mergepath_config_static_selectorELNS0_4arch9wavefront6targetE1EEEvSF_ ; -- Begin function _ZN7rocprim17ROCPRIM_400000_NS6detail17trampoline_kernelINS0_14default_configENS1_38merge_sort_block_merge_config_selectorIcNS0_10empty_typeEEEZZNS1_27merge_sort_block_merge_implIS3_PcPS5_jNS1_19radix_merge_compareILb0ELb1EcNS0_19identity_decomposerEEEEE10hipError_tT0_T1_T2_jT3_P12ihipStream_tbPNSt15iterator_traitsISE_E10value_typeEPNSK_ISF_E10value_typeEPSG_NS1_7vsmem_tEENKUlT_SE_SF_SG_E_clIS8_S8_S9_S9_EESD_ST_SE_SF_SG_EUlST_E0_NS1_11comp_targetILNS1_3genE9ELNS1_11target_archE1100ELNS1_3gpuE3ELNS1_3repE0EEENS1_38merge_mergepath_config_static_selectorELNS0_4arch9wavefront6targetE1EEEvSF_
	.globl	_ZN7rocprim17ROCPRIM_400000_NS6detail17trampoline_kernelINS0_14default_configENS1_38merge_sort_block_merge_config_selectorIcNS0_10empty_typeEEEZZNS1_27merge_sort_block_merge_implIS3_PcPS5_jNS1_19radix_merge_compareILb0ELb1EcNS0_19identity_decomposerEEEEE10hipError_tT0_T1_T2_jT3_P12ihipStream_tbPNSt15iterator_traitsISE_E10value_typeEPNSK_ISF_E10value_typeEPSG_NS1_7vsmem_tEENKUlT_SE_SF_SG_E_clIS8_S8_S9_S9_EESD_ST_SE_SF_SG_EUlST_E0_NS1_11comp_targetILNS1_3genE9ELNS1_11target_archE1100ELNS1_3gpuE3ELNS1_3repE0EEENS1_38merge_mergepath_config_static_selectorELNS0_4arch9wavefront6targetE1EEEvSF_
	.p2align	8
	.type	_ZN7rocprim17ROCPRIM_400000_NS6detail17trampoline_kernelINS0_14default_configENS1_38merge_sort_block_merge_config_selectorIcNS0_10empty_typeEEEZZNS1_27merge_sort_block_merge_implIS3_PcPS5_jNS1_19radix_merge_compareILb0ELb1EcNS0_19identity_decomposerEEEEE10hipError_tT0_T1_T2_jT3_P12ihipStream_tbPNSt15iterator_traitsISE_E10value_typeEPNSK_ISF_E10value_typeEPSG_NS1_7vsmem_tEENKUlT_SE_SF_SG_E_clIS8_S8_S9_S9_EESD_ST_SE_SF_SG_EUlST_E0_NS1_11comp_targetILNS1_3genE9ELNS1_11target_archE1100ELNS1_3gpuE3ELNS1_3repE0EEENS1_38merge_mergepath_config_static_selectorELNS0_4arch9wavefront6targetE1EEEvSF_,@function
_ZN7rocprim17ROCPRIM_400000_NS6detail17trampoline_kernelINS0_14default_configENS1_38merge_sort_block_merge_config_selectorIcNS0_10empty_typeEEEZZNS1_27merge_sort_block_merge_implIS3_PcPS5_jNS1_19radix_merge_compareILb0ELb1EcNS0_19identity_decomposerEEEEE10hipError_tT0_T1_T2_jT3_P12ihipStream_tbPNSt15iterator_traitsISE_E10value_typeEPNSK_ISF_E10value_typeEPSG_NS1_7vsmem_tEENKUlT_SE_SF_SG_E_clIS8_S8_S9_S9_EESD_ST_SE_SF_SG_EUlST_E0_NS1_11comp_targetILNS1_3genE9ELNS1_11target_archE1100ELNS1_3gpuE3ELNS1_3repE0EEENS1_38merge_mergepath_config_static_selectorELNS0_4arch9wavefront6targetE1EEEvSF_: ; @_ZN7rocprim17ROCPRIM_400000_NS6detail17trampoline_kernelINS0_14default_configENS1_38merge_sort_block_merge_config_selectorIcNS0_10empty_typeEEEZZNS1_27merge_sort_block_merge_implIS3_PcPS5_jNS1_19radix_merge_compareILb0ELb1EcNS0_19identity_decomposerEEEEE10hipError_tT0_T1_T2_jT3_P12ihipStream_tbPNSt15iterator_traitsISE_E10value_typeEPNSK_ISF_E10value_typeEPSG_NS1_7vsmem_tEENKUlT_SE_SF_SG_E_clIS8_S8_S9_S9_EESD_ST_SE_SF_SG_EUlST_E0_NS1_11comp_targetILNS1_3genE9ELNS1_11target_archE1100ELNS1_3gpuE3ELNS1_3repE0EEENS1_38merge_mergepath_config_static_selectorELNS0_4arch9wavefront6targetE1EEEvSF_
; %bb.0:
	.section	.rodata,"a",@progbits
	.p2align	6, 0x0
	.amdhsa_kernel _ZN7rocprim17ROCPRIM_400000_NS6detail17trampoline_kernelINS0_14default_configENS1_38merge_sort_block_merge_config_selectorIcNS0_10empty_typeEEEZZNS1_27merge_sort_block_merge_implIS3_PcPS5_jNS1_19radix_merge_compareILb0ELb1EcNS0_19identity_decomposerEEEEE10hipError_tT0_T1_T2_jT3_P12ihipStream_tbPNSt15iterator_traitsISE_E10value_typeEPNSK_ISF_E10value_typeEPSG_NS1_7vsmem_tEENKUlT_SE_SF_SG_E_clIS8_S8_S9_S9_EESD_ST_SE_SF_SG_EUlST_E0_NS1_11comp_targetILNS1_3genE9ELNS1_11target_archE1100ELNS1_3gpuE3ELNS1_3repE0EEENS1_38merge_mergepath_config_static_selectorELNS0_4arch9wavefront6targetE1EEEvSF_
		.amdhsa_group_segment_fixed_size 0
		.amdhsa_private_segment_fixed_size 0
		.amdhsa_kernarg_size 64
		.amdhsa_user_sgpr_count 6
		.amdhsa_user_sgpr_private_segment_buffer 1
		.amdhsa_user_sgpr_dispatch_ptr 0
		.amdhsa_user_sgpr_queue_ptr 0
		.amdhsa_user_sgpr_kernarg_segment_ptr 1
		.amdhsa_user_sgpr_dispatch_id 0
		.amdhsa_user_sgpr_flat_scratch_init 0
		.amdhsa_user_sgpr_kernarg_preload_length 0
		.amdhsa_user_sgpr_kernarg_preload_offset 0
		.amdhsa_user_sgpr_private_segment_size 0
		.amdhsa_uses_dynamic_stack 0
		.amdhsa_system_sgpr_private_segment_wavefront_offset 0
		.amdhsa_system_sgpr_workgroup_id_x 1
		.amdhsa_system_sgpr_workgroup_id_y 0
		.amdhsa_system_sgpr_workgroup_id_z 0
		.amdhsa_system_sgpr_workgroup_info 0
		.amdhsa_system_vgpr_workitem_id 0
		.amdhsa_next_free_vgpr 1
		.amdhsa_next_free_sgpr 0
		.amdhsa_accum_offset 4
		.amdhsa_reserve_vcc 0
		.amdhsa_reserve_flat_scratch 0
		.amdhsa_float_round_mode_32 0
		.amdhsa_float_round_mode_16_64 0
		.amdhsa_float_denorm_mode_32 3
		.amdhsa_float_denorm_mode_16_64 3
		.amdhsa_dx10_clamp 1
		.amdhsa_ieee_mode 1
		.amdhsa_fp16_overflow 0
		.amdhsa_tg_split 0
		.amdhsa_exception_fp_ieee_invalid_op 0
		.amdhsa_exception_fp_denorm_src 0
		.amdhsa_exception_fp_ieee_div_zero 0
		.amdhsa_exception_fp_ieee_overflow 0
		.amdhsa_exception_fp_ieee_underflow 0
		.amdhsa_exception_fp_ieee_inexact 0
		.amdhsa_exception_int_div_zero 0
	.end_amdhsa_kernel
	.section	.text._ZN7rocprim17ROCPRIM_400000_NS6detail17trampoline_kernelINS0_14default_configENS1_38merge_sort_block_merge_config_selectorIcNS0_10empty_typeEEEZZNS1_27merge_sort_block_merge_implIS3_PcPS5_jNS1_19radix_merge_compareILb0ELb1EcNS0_19identity_decomposerEEEEE10hipError_tT0_T1_T2_jT3_P12ihipStream_tbPNSt15iterator_traitsISE_E10value_typeEPNSK_ISF_E10value_typeEPSG_NS1_7vsmem_tEENKUlT_SE_SF_SG_E_clIS8_S8_S9_S9_EESD_ST_SE_SF_SG_EUlST_E0_NS1_11comp_targetILNS1_3genE9ELNS1_11target_archE1100ELNS1_3gpuE3ELNS1_3repE0EEENS1_38merge_mergepath_config_static_selectorELNS0_4arch9wavefront6targetE1EEEvSF_,"axG",@progbits,_ZN7rocprim17ROCPRIM_400000_NS6detail17trampoline_kernelINS0_14default_configENS1_38merge_sort_block_merge_config_selectorIcNS0_10empty_typeEEEZZNS1_27merge_sort_block_merge_implIS3_PcPS5_jNS1_19radix_merge_compareILb0ELb1EcNS0_19identity_decomposerEEEEE10hipError_tT0_T1_T2_jT3_P12ihipStream_tbPNSt15iterator_traitsISE_E10value_typeEPNSK_ISF_E10value_typeEPSG_NS1_7vsmem_tEENKUlT_SE_SF_SG_E_clIS8_S8_S9_S9_EESD_ST_SE_SF_SG_EUlST_E0_NS1_11comp_targetILNS1_3genE9ELNS1_11target_archE1100ELNS1_3gpuE3ELNS1_3repE0EEENS1_38merge_mergepath_config_static_selectorELNS0_4arch9wavefront6targetE1EEEvSF_,comdat
.Lfunc_end72:
	.size	_ZN7rocprim17ROCPRIM_400000_NS6detail17trampoline_kernelINS0_14default_configENS1_38merge_sort_block_merge_config_selectorIcNS0_10empty_typeEEEZZNS1_27merge_sort_block_merge_implIS3_PcPS5_jNS1_19radix_merge_compareILb0ELb1EcNS0_19identity_decomposerEEEEE10hipError_tT0_T1_T2_jT3_P12ihipStream_tbPNSt15iterator_traitsISE_E10value_typeEPNSK_ISF_E10value_typeEPSG_NS1_7vsmem_tEENKUlT_SE_SF_SG_E_clIS8_S8_S9_S9_EESD_ST_SE_SF_SG_EUlST_E0_NS1_11comp_targetILNS1_3genE9ELNS1_11target_archE1100ELNS1_3gpuE3ELNS1_3repE0EEENS1_38merge_mergepath_config_static_selectorELNS0_4arch9wavefront6targetE1EEEvSF_, .Lfunc_end72-_ZN7rocprim17ROCPRIM_400000_NS6detail17trampoline_kernelINS0_14default_configENS1_38merge_sort_block_merge_config_selectorIcNS0_10empty_typeEEEZZNS1_27merge_sort_block_merge_implIS3_PcPS5_jNS1_19radix_merge_compareILb0ELb1EcNS0_19identity_decomposerEEEEE10hipError_tT0_T1_T2_jT3_P12ihipStream_tbPNSt15iterator_traitsISE_E10value_typeEPNSK_ISF_E10value_typeEPSG_NS1_7vsmem_tEENKUlT_SE_SF_SG_E_clIS8_S8_S9_S9_EESD_ST_SE_SF_SG_EUlST_E0_NS1_11comp_targetILNS1_3genE9ELNS1_11target_archE1100ELNS1_3gpuE3ELNS1_3repE0EEENS1_38merge_mergepath_config_static_selectorELNS0_4arch9wavefront6targetE1EEEvSF_
                                        ; -- End function
	.section	.AMDGPU.csdata,"",@progbits
; Kernel info:
; codeLenInByte = 0
; NumSgprs: 4
; NumVgprs: 0
; NumAgprs: 0
; TotalNumVgprs: 0
; ScratchSize: 0
; MemoryBound: 0
; FloatMode: 240
; IeeeMode: 1
; LDSByteSize: 0 bytes/workgroup (compile time only)
; SGPRBlocks: 0
; VGPRBlocks: 0
; NumSGPRsForWavesPerEU: 4
; NumVGPRsForWavesPerEU: 1
; AccumOffset: 4
; Occupancy: 8
; WaveLimiterHint : 0
; COMPUTE_PGM_RSRC2:SCRATCH_EN: 0
; COMPUTE_PGM_RSRC2:USER_SGPR: 6
; COMPUTE_PGM_RSRC2:TRAP_HANDLER: 0
; COMPUTE_PGM_RSRC2:TGID_X_EN: 1
; COMPUTE_PGM_RSRC2:TGID_Y_EN: 0
; COMPUTE_PGM_RSRC2:TGID_Z_EN: 0
; COMPUTE_PGM_RSRC2:TIDIG_COMP_CNT: 0
; COMPUTE_PGM_RSRC3_GFX90A:ACCUM_OFFSET: 0
; COMPUTE_PGM_RSRC3_GFX90A:TG_SPLIT: 0
	.section	.text._ZN7rocprim17ROCPRIM_400000_NS6detail17trampoline_kernelINS0_14default_configENS1_38merge_sort_block_merge_config_selectorIcNS0_10empty_typeEEEZZNS1_27merge_sort_block_merge_implIS3_PcPS5_jNS1_19radix_merge_compareILb0ELb1EcNS0_19identity_decomposerEEEEE10hipError_tT0_T1_T2_jT3_P12ihipStream_tbPNSt15iterator_traitsISE_E10value_typeEPNSK_ISF_E10value_typeEPSG_NS1_7vsmem_tEENKUlT_SE_SF_SG_E_clIS8_S8_S9_S9_EESD_ST_SE_SF_SG_EUlST_E0_NS1_11comp_targetILNS1_3genE8ELNS1_11target_archE1030ELNS1_3gpuE2ELNS1_3repE0EEENS1_38merge_mergepath_config_static_selectorELNS0_4arch9wavefront6targetE1EEEvSF_,"axG",@progbits,_ZN7rocprim17ROCPRIM_400000_NS6detail17trampoline_kernelINS0_14default_configENS1_38merge_sort_block_merge_config_selectorIcNS0_10empty_typeEEEZZNS1_27merge_sort_block_merge_implIS3_PcPS5_jNS1_19radix_merge_compareILb0ELb1EcNS0_19identity_decomposerEEEEE10hipError_tT0_T1_T2_jT3_P12ihipStream_tbPNSt15iterator_traitsISE_E10value_typeEPNSK_ISF_E10value_typeEPSG_NS1_7vsmem_tEENKUlT_SE_SF_SG_E_clIS8_S8_S9_S9_EESD_ST_SE_SF_SG_EUlST_E0_NS1_11comp_targetILNS1_3genE8ELNS1_11target_archE1030ELNS1_3gpuE2ELNS1_3repE0EEENS1_38merge_mergepath_config_static_selectorELNS0_4arch9wavefront6targetE1EEEvSF_,comdat
	.protected	_ZN7rocprim17ROCPRIM_400000_NS6detail17trampoline_kernelINS0_14default_configENS1_38merge_sort_block_merge_config_selectorIcNS0_10empty_typeEEEZZNS1_27merge_sort_block_merge_implIS3_PcPS5_jNS1_19radix_merge_compareILb0ELb1EcNS0_19identity_decomposerEEEEE10hipError_tT0_T1_T2_jT3_P12ihipStream_tbPNSt15iterator_traitsISE_E10value_typeEPNSK_ISF_E10value_typeEPSG_NS1_7vsmem_tEENKUlT_SE_SF_SG_E_clIS8_S8_S9_S9_EESD_ST_SE_SF_SG_EUlST_E0_NS1_11comp_targetILNS1_3genE8ELNS1_11target_archE1030ELNS1_3gpuE2ELNS1_3repE0EEENS1_38merge_mergepath_config_static_selectorELNS0_4arch9wavefront6targetE1EEEvSF_ ; -- Begin function _ZN7rocprim17ROCPRIM_400000_NS6detail17trampoline_kernelINS0_14default_configENS1_38merge_sort_block_merge_config_selectorIcNS0_10empty_typeEEEZZNS1_27merge_sort_block_merge_implIS3_PcPS5_jNS1_19radix_merge_compareILb0ELb1EcNS0_19identity_decomposerEEEEE10hipError_tT0_T1_T2_jT3_P12ihipStream_tbPNSt15iterator_traitsISE_E10value_typeEPNSK_ISF_E10value_typeEPSG_NS1_7vsmem_tEENKUlT_SE_SF_SG_E_clIS8_S8_S9_S9_EESD_ST_SE_SF_SG_EUlST_E0_NS1_11comp_targetILNS1_3genE8ELNS1_11target_archE1030ELNS1_3gpuE2ELNS1_3repE0EEENS1_38merge_mergepath_config_static_selectorELNS0_4arch9wavefront6targetE1EEEvSF_
	.globl	_ZN7rocprim17ROCPRIM_400000_NS6detail17trampoline_kernelINS0_14default_configENS1_38merge_sort_block_merge_config_selectorIcNS0_10empty_typeEEEZZNS1_27merge_sort_block_merge_implIS3_PcPS5_jNS1_19radix_merge_compareILb0ELb1EcNS0_19identity_decomposerEEEEE10hipError_tT0_T1_T2_jT3_P12ihipStream_tbPNSt15iterator_traitsISE_E10value_typeEPNSK_ISF_E10value_typeEPSG_NS1_7vsmem_tEENKUlT_SE_SF_SG_E_clIS8_S8_S9_S9_EESD_ST_SE_SF_SG_EUlST_E0_NS1_11comp_targetILNS1_3genE8ELNS1_11target_archE1030ELNS1_3gpuE2ELNS1_3repE0EEENS1_38merge_mergepath_config_static_selectorELNS0_4arch9wavefront6targetE1EEEvSF_
	.p2align	8
	.type	_ZN7rocprim17ROCPRIM_400000_NS6detail17trampoline_kernelINS0_14default_configENS1_38merge_sort_block_merge_config_selectorIcNS0_10empty_typeEEEZZNS1_27merge_sort_block_merge_implIS3_PcPS5_jNS1_19radix_merge_compareILb0ELb1EcNS0_19identity_decomposerEEEEE10hipError_tT0_T1_T2_jT3_P12ihipStream_tbPNSt15iterator_traitsISE_E10value_typeEPNSK_ISF_E10value_typeEPSG_NS1_7vsmem_tEENKUlT_SE_SF_SG_E_clIS8_S8_S9_S9_EESD_ST_SE_SF_SG_EUlST_E0_NS1_11comp_targetILNS1_3genE8ELNS1_11target_archE1030ELNS1_3gpuE2ELNS1_3repE0EEENS1_38merge_mergepath_config_static_selectorELNS0_4arch9wavefront6targetE1EEEvSF_,@function
_ZN7rocprim17ROCPRIM_400000_NS6detail17trampoline_kernelINS0_14default_configENS1_38merge_sort_block_merge_config_selectorIcNS0_10empty_typeEEEZZNS1_27merge_sort_block_merge_implIS3_PcPS5_jNS1_19radix_merge_compareILb0ELb1EcNS0_19identity_decomposerEEEEE10hipError_tT0_T1_T2_jT3_P12ihipStream_tbPNSt15iterator_traitsISE_E10value_typeEPNSK_ISF_E10value_typeEPSG_NS1_7vsmem_tEENKUlT_SE_SF_SG_E_clIS8_S8_S9_S9_EESD_ST_SE_SF_SG_EUlST_E0_NS1_11comp_targetILNS1_3genE8ELNS1_11target_archE1030ELNS1_3gpuE2ELNS1_3repE0EEENS1_38merge_mergepath_config_static_selectorELNS0_4arch9wavefront6targetE1EEEvSF_: ; @_ZN7rocprim17ROCPRIM_400000_NS6detail17trampoline_kernelINS0_14default_configENS1_38merge_sort_block_merge_config_selectorIcNS0_10empty_typeEEEZZNS1_27merge_sort_block_merge_implIS3_PcPS5_jNS1_19radix_merge_compareILb0ELb1EcNS0_19identity_decomposerEEEEE10hipError_tT0_T1_T2_jT3_P12ihipStream_tbPNSt15iterator_traitsISE_E10value_typeEPNSK_ISF_E10value_typeEPSG_NS1_7vsmem_tEENKUlT_SE_SF_SG_E_clIS8_S8_S9_S9_EESD_ST_SE_SF_SG_EUlST_E0_NS1_11comp_targetILNS1_3genE8ELNS1_11target_archE1030ELNS1_3gpuE2ELNS1_3repE0EEENS1_38merge_mergepath_config_static_selectorELNS0_4arch9wavefront6targetE1EEEvSF_
; %bb.0:
	.section	.rodata,"a",@progbits
	.p2align	6, 0x0
	.amdhsa_kernel _ZN7rocprim17ROCPRIM_400000_NS6detail17trampoline_kernelINS0_14default_configENS1_38merge_sort_block_merge_config_selectorIcNS0_10empty_typeEEEZZNS1_27merge_sort_block_merge_implIS3_PcPS5_jNS1_19radix_merge_compareILb0ELb1EcNS0_19identity_decomposerEEEEE10hipError_tT0_T1_T2_jT3_P12ihipStream_tbPNSt15iterator_traitsISE_E10value_typeEPNSK_ISF_E10value_typeEPSG_NS1_7vsmem_tEENKUlT_SE_SF_SG_E_clIS8_S8_S9_S9_EESD_ST_SE_SF_SG_EUlST_E0_NS1_11comp_targetILNS1_3genE8ELNS1_11target_archE1030ELNS1_3gpuE2ELNS1_3repE0EEENS1_38merge_mergepath_config_static_selectorELNS0_4arch9wavefront6targetE1EEEvSF_
		.amdhsa_group_segment_fixed_size 0
		.amdhsa_private_segment_fixed_size 0
		.amdhsa_kernarg_size 64
		.amdhsa_user_sgpr_count 6
		.amdhsa_user_sgpr_private_segment_buffer 1
		.amdhsa_user_sgpr_dispatch_ptr 0
		.amdhsa_user_sgpr_queue_ptr 0
		.amdhsa_user_sgpr_kernarg_segment_ptr 1
		.amdhsa_user_sgpr_dispatch_id 0
		.amdhsa_user_sgpr_flat_scratch_init 0
		.amdhsa_user_sgpr_kernarg_preload_length 0
		.amdhsa_user_sgpr_kernarg_preload_offset 0
		.amdhsa_user_sgpr_private_segment_size 0
		.amdhsa_uses_dynamic_stack 0
		.amdhsa_system_sgpr_private_segment_wavefront_offset 0
		.amdhsa_system_sgpr_workgroup_id_x 1
		.amdhsa_system_sgpr_workgroup_id_y 0
		.amdhsa_system_sgpr_workgroup_id_z 0
		.amdhsa_system_sgpr_workgroup_info 0
		.amdhsa_system_vgpr_workitem_id 0
		.amdhsa_next_free_vgpr 1
		.amdhsa_next_free_sgpr 0
		.amdhsa_accum_offset 4
		.amdhsa_reserve_vcc 0
		.amdhsa_reserve_flat_scratch 0
		.amdhsa_float_round_mode_32 0
		.amdhsa_float_round_mode_16_64 0
		.amdhsa_float_denorm_mode_32 3
		.amdhsa_float_denorm_mode_16_64 3
		.amdhsa_dx10_clamp 1
		.amdhsa_ieee_mode 1
		.amdhsa_fp16_overflow 0
		.amdhsa_tg_split 0
		.amdhsa_exception_fp_ieee_invalid_op 0
		.amdhsa_exception_fp_denorm_src 0
		.amdhsa_exception_fp_ieee_div_zero 0
		.amdhsa_exception_fp_ieee_overflow 0
		.amdhsa_exception_fp_ieee_underflow 0
		.amdhsa_exception_fp_ieee_inexact 0
		.amdhsa_exception_int_div_zero 0
	.end_amdhsa_kernel
	.section	.text._ZN7rocprim17ROCPRIM_400000_NS6detail17trampoline_kernelINS0_14default_configENS1_38merge_sort_block_merge_config_selectorIcNS0_10empty_typeEEEZZNS1_27merge_sort_block_merge_implIS3_PcPS5_jNS1_19radix_merge_compareILb0ELb1EcNS0_19identity_decomposerEEEEE10hipError_tT0_T1_T2_jT3_P12ihipStream_tbPNSt15iterator_traitsISE_E10value_typeEPNSK_ISF_E10value_typeEPSG_NS1_7vsmem_tEENKUlT_SE_SF_SG_E_clIS8_S8_S9_S9_EESD_ST_SE_SF_SG_EUlST_E0_NS1_11comp_targetILNS1_3genE8ELNS1_11target_archE1030ELNS1_3gpuE2ELNS1_3repE0EEENS1_38merge_mergepath_config_static_selectorELNS0_4arch9wavefront6targetE1EEEvSF_,"axG",@progbits,_ZN7rocprim17ROCPRIM_400000_NS6detail17trampoline_kernelINS0_14default_configENS1_38merge_sort_block_merge_config_selectorIcNS0_10empty_typeEEEZZNS1_27merge_sort_block_merge_implIS3_PcPS5_jNS1_19radix_merge_compareILb0ELb1EcNS0_19identity_decomposerEEEEE10hipError_tT0_T1_T2_jT3_P12ihipStream_tbPNSt15iterator_traitsISE_E10value_typeEPNSK_ISF_E10value_typeEPSG_NS1_7vsmem_tEENKUlT_SE_SF_SG_E_clIS8_S8_S9_S9_EESD_ST_SE_SF_SG_EUlST_E0_NS1_11comp_targetILNS1_3genE8ELNS1_11target_archE1030ELNS1_3gpuE2ELNS1_3repE0EEENS1_38merge_mergepath_config_static_selectorELNS0_4arch9wavefront6targetE1EEEvSF_,comdat
.Lfunc_end73:
	.size	_ZN7rocprim17ROCPRIM_400000_NS6detail17trampoline_kernelINS0_14default_configENS1_38merge_sort_block_merge_config_selectorIcNS0_10empty_typeEEEZZNS1_27merge_sort_block_merge_implIS3_PcPS5_jNS1_19radix_merge_compareILb0ELb1EcNS0_19identity_decomposerEEEEE10hipError_tT0_T1_T2_jT3_P12ihipStream_tbPNSt15iterator_traitsISE_E10value_typeEPNSK_ISF_E10value_typeEPSG_NS1_7vsmem_tEENKUlT_SE_SF_SG_E_clIS8_S8_S9_S9_EESD_ST_SE_SF_SG_EUlST_E0_NS1_11comp_targetILNS1_3genE8ELNS1_11target_archE1030ELNS1_3gpuE2ELNS1_3repE0EEENS1_38merge_mergepath_config_static_selectorELNS0_4arch9wavefront6targetE1EEEvSF_, .Lfunc_end73-_ZN7rocprim17ROCPRIM_400000_NS6detail17trampoline_kernelINS0_14default_configENS1_38merge_sort_block_merge_config_selectorIcNS0_10empty_typeEEEZZNS1_27merge_sort_block_merge_implIS3_PcPS5_jNS1_19radix_merge_compareILb0ELb1EcNS0_19identity_decomposerEEEEE10hipError_tT0_T1_T2_jT3_P12ihipStream_tbPNSt15iterator_traitsISE_E10value_typeEPNSK_ISF_E10value_typeEPSG_NS1_7vsmem_tEENKUlT_SE_SF_SG_E_clIS8_S8_S9_S9_EESD_ST_SE_SF_SG_EUlST_E0_NS1_11comp_targetILNS1_3genE8ELNS1_11target_archE1030ELNS1_3gpuE2ELNS1_3repE0EEENS1_38merge_mergepath_config_static_selectorELNS0_4arch9wavefront6targetE1EEEvSF_
                                        ; -- End function
	.section	.AMDGPU.csdata,"",@progbits
; Kernel info:
; codeLenInByte = 0
; NumSgprs: 4
; NumVgprs: 0
; NumAgprs: 0
; TotalNumVgprs: 0
; ScratchSize: 0
; MemoryBound: 0
; FloatMode: 240
; IeeeMode: 1
; LDSByteSize: 0 bytes/workgroup (compile time only)
; SGPRBlocks: 0
; VGPRBlocks: 0
; NumSGPRsForWavesPerEU: 4
; NumVGPRsForWavesPerEU: 1
; AccumOffset: 4
; Occupancy: 8
; WaveLimiterHint : 0
; COMPUTE_PGM_RSRC2:SCRATCH_EN: 0
; COMPUTE_PGM_RSRC2:USER_SGPR: 6
; COMPUTE_PGM_RSRC2:TRAP_HANDLER: 0
; COMPUTE_PGM_RSRC2:TGID_X_EN: 1
; COMPUTE_PGM_RSRC2:TGID_Y_EN: 0
; COMPUTE_PGM_RSRC2:TGID_Z_EN: 0
; COMPUTE_PGM_RSRC2:TIDIG_COMP_CNT: 0
; COMPUTE_PGM_RSRC3_GFX90A:ACCUM_OFFSET: 0
; COMPUTE_PGM_RSRC3_GFX90A:TG_SPLIT: 0
	.section	.text._ZN7rocprim17ROCPRIM_400000_NS6detail17trampoline_kernelINS0_14default_configENS1_38merge_sort_block_merge_config_selectorIcNS0_10empty_typeEEEZZNS1_27merge_sort_block_merge_implIS3_PcPS5_jNS1_19radix_merge_compareILb0ELb1EcNS0_19identity_decomposerEEEEE10hipError_tT0_T1_T2_jT3_P12ihipStream_tbPNSt15iterator_traitsISE_E10value_typeEPNSK_ISF_E10value_typeEPSG_NS1_7vsmem_tEENKUlT_SE_SF_SG_E_clIS8_S8_S9_S9_EESD_ST_SE_SF_SG_EUlST_E1_NS1_11comp_targetILNS1_3genE0ELNS1_11target_archE4294967295ELNS1_3gpuE0ELNS1_3repE0EEENS1_36merge_oddeven_config_static_selectorELNS0_4arch9wavefront6targetE1EEEvSF_,"axG",@progbits,_ZN7rocprim17ROCPRIM_400000_NS6detail17trampoline_kernelINS0_14default_configENS1_38merge_sort_block_merge_config_selectorIcNS0_10empty_typeEEEZZNS1_27merge_sort_block_merge_implIS3_PcPS5_jNS1_19radix_merge_compareILb0ELb1EcNS0_19identity_decomposerEEEEE10hipError_tT0_T1_T2_jT3_P12ihipStream_tbPNSt15iterator_traitsISE_E10value_typeEPNSK_ISF_E10value_typeEPSG_NS1_7vsmem_tEENKUlT_SE_SF_SG_E_clIS8_S8_S9_S9_EESD_ST_SE_SF_SG_EUlST_E1_NS1_11comp_targetILNS1_3genE0ELNS1_11target_archE4294967295ELNS1_3gpuE0ELNS1_3repE0EEENS1_36merge_oddeven_config_static_selectorELNS0_4arch9wavefront6targetE1EEEvSF_,comdat
	.protected	_ZN7rocprim17ROCPRIM_400000_NS6detail17trampoline_kernelINS0_14default_configENS1_38merge_sort_block_merge_config_selectorIcNS0_10empty_typeEEEZZNS1_27merge_sort_block_merge_implIS3_PcPS5_jNS1_19radix_merge_compareILb0ELb1EcNS0_19identity_decomposerEEEEE10hipError_tT0_T1_T2_jT3_P12ihipStream_tbPNSt15iterator_traitsISE_E10value_typeEPNSK_ISF_E10value_typeEPSG_NS1_7vsmem_tEENKUlT_SE_SF_SG_E_clIS8_S8_S9_S9_EESD_ST_SE_SF_SG_EUlST_E1_NS1_11comp_targetILNS1_3genE0ELNS1_11target_archE4294967295ELNS1_3gpuE0ELNS1_3repE0EEENS1_36merge_oddeven_config_static_selectorELNS0_4arch9wavefront6targetE1EEEvSF_ ; -- Begin function _ZN7rocprim17ROCPRIM_400000_NS6detail17trampoline_kernelINS0_14default_configENS1_38merge_sort_block_merge_config_selectorIcNS0_10empty_typeEEEZZNS1_27merge_sort_block_merge_implIS3_PcPS5_jNS1_19radix_merge_compareILb0ELb1EcNS0_19identity_decomposerEEEEE10hipError_tT0_T1_T2_jT3_P12ihipStream_tbPNSt15iterator_traitsISE_E10value_typeEPNSK_ISF_E10value_typeEPSG_NS1_7vsmem_tEENKUlT_SE_SF_SG_E_clIS8_S8_S9_S9_EESD_ST_SE_SF_SG_EUlST_E1_NS1_11comp_targetILNS1_3genE0ELNS1_11target_archE4294967295ELNS1_3gpuE0ELNS1_3repE0EEENS1_36merge_oddeven_config_static_selectorELNS0_4arch9wavefront6targetE1EEEvSF_
	.globl	_ZN7rocprim17ROCPRIM_400000_NS6detail17trampoline_kernelINS0_14default_configENS1_38merge_sort_block_merge_config_selectorIcNS0_10empty_typeEEEZZNS1_27merge_sort_block_merge_implIS3_PcPS5_jNS1_19radix_merge_compareILb0ELb1EcNS0_19identity_decomposerEEEEE10hipError_tT0_T1_T2_jT3_P12ihipStream_tbPNSt15iterator_traitsISE_E10value_typeEPNSK_ISF_E10value_typeEPSG_NS1_7vsmem_tEENKUlT_SE_SF_SG_E_clIS8_S8_S9_S9_EESD_ST_SE_SF_SG_EUlST_E1_NS1_11comp_targetILNS1_3genE0ELNS1_11target_archE4294967295ELNS1_3gpuE0ELNS1_3repE0EEENS1_36merge_oddeven_config_static_selectorELNS0_4arch9wavefront6targetE1EEEvSF_
	.p2align	8
	.type	_ZN7rocprim17ROCPRIM_400000_NS6detail17trampoline_kernelINS0_14default_configENS1_38merge_sort_block_merge_config_selectorIcNS0_10empty_typeEEEZZNS1_27merge_sort_block_merge_implIS3_PcPS5_jNS1_19radix_merge_compareILb0ELb1EcNS0_19identity_decomposerEEEEE10hipError_tT0_T1_T2_jT3_P12ihipStream_tbPNSt15iterator_traitsISE_E10value_typeEPNSK_ISF_E10value_typeEPSG_NS1_7vsmem_tEENKUlT_SE_SF_SG_E_clIS8_S8_S9_S9_EESD_ST_SE_SF_SG_EUlST_E1_NS1_11comp_targetILNS1_3genE0ELNS1_11target_archE4294967295ELNS1_3gpuE0ELNS1_3repE0EEENS1_36merge_oddeven_config_static_selectorELNS0_4arch9wavefront6targetE1EEEvSF_,@function
_ZN7rocprim17ROCPRIM_400000_NS6detail17trampoline_kernelINS0_14default_configENS1_38merge_sort_block_merge_config_selectorIcNS0_10empty_typeEEEZZNS1_27merge_sort_block_merge_implIS3_PcPS5_jNS1_19radix_merge_compareILb0ELb1EcNS0_19identity_decomposerEEEEE10hipError_tT0_T1_T2_jT3_P12ihipStream_tbPNSt15iterator_traitsISE_E10value_typeEPNSK_ISF_E10value_typeEPSG_NS1_7vsmem_tEENKUlT_SE_SF_SG_E_clIS8_S8_S9_S9_EESD_ST_SE_SF_SG_EUlST_E1_NS1_11comp_targetILNS1_3genE0ELNS1_11target_archE4294967295ELNS1_3gpuE0ELNS1_3repE0EEENS1_36merge_oddeven_config_static_selectorELNS0_4arch9wavefront6targetE1EEEvSF_: ; @_ZN7rocprim17ROCPRIM_400000_NS6detail17trampoline_kernelINS0_14default_configENS1_38merge_sort_block_merge_config_selectorIcNS0_10empty_typeEEEZZNS1_27merge_sort_block_merge_implIS3_PcPS5_jNS1_19radix_merge_compareILb0ELb1EcNS0_19identity_decomposerEEEEE10hipError_tT0_T1_T2_jT3_P12ihipStream_tbPNSt15iterator_traitsISE_E10value_typeEPNSK_ISF_E10value_typeEPSG_NS1_7vsmem_tEENKUlT_SE_SF_SG_E_clIS8_S8_S9_S9_EESD_ST_SE_SF_SG_EUlST_E1_NS1_11comp_targetILNS1_3genE0ELNS1_11target_archE4294967295ELNS1_3gpuE0ELNS1_3repE0EEENS1_36merge_oddeven_config_static_selectorELNS0_4arch9wavefront6targetE1EEEvSF_
; %bb.0:
	.section	.rodata,"a",@progbits
	.p2align	6, 0x0
	.amdhsa_kernel _ZN7rocprim17ROCPRIM_400000_NS6detail17trampoline_kernelINS0_14default_configENS1_38merge_sort_block_merge_config_selectorIcNS0_10empty_typeEEEZZNS1_27merge_sort_block_merge_implIS3_PcPS5_jNS1_19radix_merge_compareILb0ELb1EcNS0_19identity_decomposerEEEEE10hipError_tT0_T1_T2_jT3_P12ihipStream_tbPNSt15iterator_traitsISE_E10value_typeEPNSK_ISF_E10value_typeEPSG_NS1_7vsmem_tEENKUlT_SE_SF_SG_E_clIS8_S8_S9_S9_EESD_ST_SE_SF_SG_EUlST_E1_NS1_11comp_targetILNS1_3genE0ELNS1_11target_archE4294967295ELNS1_3gpuE0ELNS1_3repE0EEENS1_36merge_oddeven_config_static_selectorELNS0_4arch9wavefront6targetE1EEEvSF_
		.amdhsa_group_segment_fixed_size 0
		.amdhsa_private_segment_fixed_size 0
		.amdhsa_kernarg_size 48
		.amdhsa_user_sgpr_count 6
		.amdhsa_user_sgpr_private_segment_buffer 1
		.amdhsa_user_sgpr_dispatch_ptr 0
		.amdhsa_user_sgpr_queue_ptr 0
		.amdhsa_user_sgpr_kernarg_segment_ptr 1
		.amdhsa_user_sgpr_dispatch_id 0
		.amdhsa_user_sgpr_flat_scratch_init 0
		.amdhsa_user_sgpr_kernarg_preload_length 0
		.amdhsa_user_sgpr_kernarg_preload_offset 0
		.amdhsa_user_sgpr_private_segment_size 0
		.amdhsa_uses_dynamic_stack 0
		.amdhsa_system_sgpr_private_segment_wavefront_offset 0
		.amdhsa_system_sgpr_workgroup_id_x 1
		.amdhsa_system_sgpr_workgroup_id_y 0
		.amdhsa_system_sgpr_workgroup_id_z 0
		.amdhsa_system_sgpr_workgroup_info 0
		.amdhsa_system_vgpr_workitem_id 0
		.amdhsa_next_free_vgpr 1
		.amdhsa_next_free_sgpr 0
		.amdhsa_accum_offset 4
		.amdhsa_reserve_vcc 0
		.amdhsa_reserve_flat_scratch 0
		.amdhsa_float_round_mode_32 0
		.amdhsa_float_round_mode_16_64 0
		.amdhsa_float_denorm_mode_32 3
		.amdhsa_float_denorm_mode_16_64 3
		.amdhsa_dx10_clamp 1
		.amdhsa_ieee_mode 1
		.amdhsa_fp16_overflow 0
		.amdhsa_tg_split 0
		.amdhsa_exception_fp_ieee_invalid_op 0
		.amdhsa_exception_fp_denorm_src 0
		.amdhsa_exception_fp_ieee_div_zero 0
		.amdhsa_exception_fp_ieee_overflow 0
		.amdhsa_exception_fp_ieee_underflow 0
		.amdhsa_exception_fp_ieee_inexact 0
		.amdhsa_exception_int_div_zero 0
	.end_amdhsa_kernel
	.section	.text._ZN7rocprim17ROCPRIM_400000_NS6detail17trampoline_kernelINS0_14default_configENS1_38merge_sort_block_merge_config_selectorIcNS0_10empty_typeEEEZZNS1_27merge_sort_block_merge_implIS3_PcPS5_jNS1_19radix_merge_compareILb0ELb1EcNS0_19identity_decomposerEEEEE10hipError_tT0_T1_T2_jT3_P12ihipStream_tbPNSt15iterator_traitsISE_E10value_typeEPNSK_ISF_E10value_typeEPSG_NS1_7vsmem_tEENKUlT_SE_SF_SG_E_clIS8_S8_S9_S9_EESD_ST_SE_SF_SG_EUlST_E1_NS1_11comp_targetILNS1_3genE0ELNS1_11target_archE4294967295ELNS1_3gpuE0ELNS1_3repE0EEENS1_36merge_oddeven_config_static_selectorELNS0_4arch9wavefront6targetE1EEEvSF_,"axG",@progbits,_ZN7rocprim17ROCPRIM_400000_NS6detail17trampoline_kernelINS0_14default_configENS1_38merge_sort_block_merge_config_selectorIcNS0_10empty_typeEEEZZNS1_27merge_sort_block_merge_implIS3_PcPS5_jNS1_19radix_merge_compareILb0ELb1EcNS0_19identity_decomposerEEEEE10hipError_tT0_T1_T2_jT3_P12ihipStream_tbPNSt15iterator_traitsISE_E10value_typeEPNSK_ISF_E10value_typeEPSG_NS1_7vsmem_tEENKUlT_SE_SF_SG_E_clIS8_S8_S9_S9_EESD_ST_SE_SF_SG_EUlST_E1_NS1_11comp_targetILNS1_3genE0ELNS1_11target_archE4294967295ELNS1_3gpuE0ELNS1_3repE0EEENS1_36merge_oddeven_config_static_selectorELNS0_4arch9wavefront6targetE1EEEvSF_,comdat
.Lfunc_end74:
	.size	_ZN7rocprim17ROCPRIM_400000_NS6detail17trampoline_kernelINS0_14default_configENS1_38merge_sort_block_merge_config_selectorIcNS0_10empty_typeEEEZZNS1_27merge_sort_block_merge_implIS3_PcPS5_jNS1_19radix_merge_compareILb0ELb1EcNS0_19identity_decomposerEEEEE10hipError_tT0_T1_T2_jT3_P12ihipStream_tbPNSt15iterator_traitsISE_E10value_typeEPNSK_ISF_E10value_typeEPSG_NS1_7vsmem_tEENKUlT_SE_SF_SG_E_clIS8_S8_S9_S9_EESD_ST_SE_SF_SG_EUlST_E1_NS1_11comp_targetILNS1_3genE0ELNS1_11target_archE4294967295ELNS1_3gpuE0ELNS1_3repE0EEENS1_36merge_oddeven_config_static_selectorELNS0_4arch9wavefront6targetE1EEEvSF_, .Lfunc_end74-_ZN7rocprim17ROCPRIM_400000_NS6detail17trampoline_kernelINS0_14default_configENS1_38merge_sort_block_merge_config_selectorIcNS0_10empty_typeEEEZZNS1_27merge_sort_block_merge_implIS3_PcPS5_jNS1_19radix_merge_compareILb0ELb1EcNS0_19identity_decomposerEEEEE10hipError_tT0_T1_T2_jT3_P12ihipStream_tbPNSt15iterator_traitsISE_E10value_typeEPNSK_ISF_E10value_typeEPSG_NS1_7vsmem_tEENKUlT_SE_SF_SG_E_clIS8_S8_S9_S9_EESD_ST_SE_SF_SG_EUlST_E1_NS1_11comp_targetILNS1_3genE0ELNS1_11target_archE4294967295ELNS1_3gpuE0ELNS1_3repE0EEENS1_36merge_oddeven_config_static_selectorELNS0_4arch9wavefront6targetE1EEEvSF_
                                        ; -- End function
	.section	.AMDGPU.csdata,"",@progbits
; Kernel info:
; codeLenInByte = 0
; NumSgprs: 4
; NumVgprs: 0
; NumAgprs: 0
; TotalNumVgprs: 0
; ScratchSize: 0
; MemoryBound: 0
; FloatMode: 240
; IeeeMode: 1
; LDSByteSize: 0 bytes/workgroup (compile time only)
; SGPRBlocks: 0
; VGPRBlocks: 0
; NumSGPRsForWavesPerEU: 4
; NumVGPRsForWavesPerEU: 1
; AccumOffset: 4
; Occupancy: 8
; WaveLimiterHint : 0
; COMPUTE_PGM_RSRC2:SCRATCH_EN: 0
; COMPUTE_PGM_RSRC2:USER_SGPR: 6
; COMPUTE_PGM_RSRC2:TRAP_HANDLER: 0
; COMPUTE_PGM_RSRC2:TGID_X_EN: 1
; COMPUTE_PGM_RSRC2:TGID_Y_EN: 0
; COMPUTE_PGM_RSRC2:TGID_Z_EN: 0
; COMPUTE_PGM_RSRC2:TIDIG_COMP_CNT: 0
; COMPUTE_PGM_RSRC3_GFX90A:ACCUM_OFFSET: 0
; COMPUTE_PGM_RSRC3_GFX90A:TG_SPLIT: 0
	.section	.text._ZN7rocprim17ROCPRIM_400000_NS6detail17trampoline_kernelINS0_14default_configENS1_38merge_sort_block_merge_config_selectorIcNS0_10empty_typeEEEZZNS1_27merge_sort_block_merge_implIS3_PcPS5_jNS1_19radix_merge_compareILb0ELb1EcNS0_19identity_decomposerEEEEE10hipError_tT0_T1_T2_jT3_P12ihipStream_tbPNSt15iterator_traitsISE_E10value_typeEPNSK_ISF_E10value_typeEPSG_NS1_7vsmem_tEENKUlT_SE_SF_SG_E_clIS8_S8_S9_S9_EESD_ST_SE_SF_SG_EUlST_E1_NS1_11comp_targetILNS1_3genE10ELNS1_11target_archE1201ELNS1_3gpuE5ELNS1_3repE0EEENS1_36merge_oddeven_config_static_selectorELNS0_4arch9wavefront6targetE1EEEvSF_,"axG",@progbits,_ZN7rocprim17ROCPRIM_400000_NS6detail17trampoline_kernelINS0_14default_configENS1_38merge_sort_block_merge_config_selectorIcNS0_10empty_typeEEEZZNS1_27merge_sort_block_merge_implIS3_PcPS5_jNS1_19radix_merge_compareILb0ELb1EcNS0_19identity_decomposerEEEEE10hipError_tT0_T1_T2_jT3_P12ihipStream_tbPNSt15iterator_traitsISE_E10value_typeEPNSK_ISF_E10value_typeEPSG_NS1_7vsmem_tEENKUlT_SE_SF_SG_E_clIS8_S8_S9_S9_EESD_ST_SE_SF_SG_EUlST_E1_NS1_11comp_targetILNS1_3genE10ELNS1_11target_archE1201ELNS1_3gpuE5ELNS1_3repE0EEENS1_36merge_oddeven_config_static_selectorELNS0_4arch9wavefront6targetE1EEEvSF_,comdat
	.protected	_ZN7rocprim17ROCPRIM_400000_NS6detail17trampoline_kernelINS0_14default_configENS1_38merge_sort_block_merge_config_selectorIcNS0_10empty_typeEEEZZNS1_27merge_sort_block_merge_implIS3_PcPS5_jNS1_19radix_merge_compareILb0ELb1EcNS0_19identity_decomposerEEEEE10hipError_tT0_T1_T2_jT3_P12ihipStream_tbPNSt15iterator_traitsISE_E10value_typeEPNSK_ISF_E10value_typeEPSG_NS1_7vsmem_tEENKUlT_SE_SF_SG_E_clIS8_S8_S9_S9_EESD_ST_SE_SF_SG_EUlST_E1_NS1_11comp_targetILNS1_3genE10ELNS1_11target_archE1201ELNS1_3gpuE5ELNS1_3repE0EEENS1_36merge_oddeven_config_static_selectorELNS0_4arch9wavefront6targetE1EEEvSF_ ; -- Begin function _ZN7rocprim17ROCPRIM_400000_NS6detail17trampoline_kernelINS0_14default_configENS1_38merge_sort_block_merge_config_selectorIcNS0_10empty_typeEEEZZNS1_27merge_sort_block_merge_implIS3_PcPS5_jNS1_19radix_merge_compareILb0ELb1EcNS0_19identity_decomposerEEEEE10hipError_tT0_T1_T2_jT3_P12ihipStream_tbPNSt15iterator_traitsISE_E10value_typeEPNSK_ISF_E10value_typeEPSG_NS1_7vsmem_tEENKUlT_SE_SF_SG_E_clIS8_S8_S9_S9_EESD_ST_SE_SF_SG_EUlST_E1_NS1_11comp_targetILNS1_3genE10ELNS1_11target_archE1201ELNS1_3gpuE5ELNS1_3repE0EEENS1_36merge_oddeven_config_static_selectorELNS0_4arch9wavefront6targetE1EEEvSF_
	.globl	_ZN7rocprim17ROCPRIM_400000_NS6detail17trampoline_kernelINS0_14default_configENS1_38merge_sort_block_merge_config_selectorIcNS0_10empty_typeEEEZZNS1_27merge_sort_block_merge_implIS3_PcPS5_jNS1_19radix_merge_compareILb0ELb1EcNS0_19identity_decomposerEEEEE10hipError_tT0_T1_T2_jT3_P12ihipStream_tbPNSt15iterator_traitsISE_E10value_typeEPNSK_ISF_E10value_typeEPSG_NS1_7vsmem_tEENKUlT_SE_SF_SG_E_clIS8_S8_S9_S9_EESD_ST_SE_SF_SG_EUlST_E1_NS1_11comp_targetILNS1_3genE10ELNS1_11target_archE1201ELNS1_3gpuE5ELNS1_3repE0EEENS1_36merge_oddeven_config_static_selectorELNS0_4arch9wavefront6targetE1EEEvSF_
	.p2align	8
	.type	_ZN7rocprim17ROCPRIM_400000_NS6detail17trampoline_kernelINS0_14default_configENS1_38merge_sort_block_merge_config_selectorIcNS0_10empty_typeEEEZZNS1_27merge_sort_block_merge_implIS3_PcPS5_jNS1_19radix_merge_compareILb0ELb1EcNS0_19identity_decomposerEEEEE10hipError_tT0_T1_T2_jT3_P12ihipStream_tbPNSt15iterator_traitsISE_E10value_typeEPNSK_ISF_E10value_typeEPSG_NS1_7vsmem_tEENKUlT_SE_SF_SG_E_clIS8_S8_S9_S9_EESD_ST_SE_SF_SG_EUlST_E1_NS1_11comp_targetILNS1_3genE10ELNS1_11target_archE1201ELNS1_3gpuE5ELNS1_3repE0EEENS1_36merge_oddeven_config_static_selectorELNS0_4arch9wavefront6targetE1EEEvSF_,@function
_ZN7rocprim17ROCPRIM_400000_NS6detail17trampoline_kernelINS0_14default_configENS1_38merge_sort_block_merge_config_selectorIcNS0_10empty_typeEEEZZNS1_27merge_sort_block_merge_implIS3_PcPS5_jNS1_19radix_merge_compareILb0ELb1EcNS0_19identity_decomposerEEEEE10hipError_tT0_T1_T2_jT3_P12ihipStream_tbPNSt15iterator_traitsISE_E10value_typeEPNSK_ISF_E10value_typeEPSG_NS1_7vsmem_tEENKUlT_SE_SF_SG_E_clIS8_S8_S9_S9_EESD_ST_SE_SF_SG_EUlST_E1_NS1_11comp_targetILNS1_3genE10ELNS1_11target_archE1201ELNS1_3gpuE5ELNS1_3repE0EEENS1_36merge_oddeven_config_static_selectorELNS0_4arch9wavefront6targetE1EEEvSF_: ; @_ZN7rocprim17ROCPRIM_400000_NS6detail17trampoline_kernelINS0_14default_configENS1_38merge_sort_block_merge_config_selectorIcNS0_10empty_typeEEEZZNS1_27merge_sort_block_merge_implIS3_PcPS5_jNS1_19radix_merge_compareILb0ELb1EcNS0_19identity_decomposerEEEEE10hipError_tT0_T1_T2_jT3_P12ihipStream_tbPNSt15iterator_traitsISE_E10value_typeEPNSK_ISF_E10value_typeEPSG_NS1_7vsmem_tEENKUlT_SE_SF_SG_E_clIS8_S8_S9_S9_EESD_ST_SE_SF_SG_EUlST_E1_NS1_11comp_targetILNS1_3genE10ELNS1_11target_archE1201ELNS1_3gpuE5ELNS1_3repE0EEENS1_36merge_oddeven_config_static_selectorELNS0_4arch9wavefront6targetE1EEEvSF_
; %bb.0:
	.section	.rodata,"a",@progbits
	.p2align	6, 0x0
	.amdhsa_kernel _ZN7rocprim17ROCPRIM_400000_NS6detail17trampoline_kernelINS0_14default_configENS1_38merge_sort_block_merge_config_selectorIcNS0_10empty_typeEEEZZNS1_27merge_sort_block_merge_implIS3_PcPS5_jNS1_19radix_merge_compareILb0ELb1EcNS0_19identity_decomposerEEEEE10hipError_tT0_T1_T2_jT3_P12ihipStream_tbPNSt15iterator_traitsISE_E10value_typeEPNSK_ISF_E10value_typeEPSG_NS1_7vsmem_tEENKUlT_SE_SF_SG_E_clIS8_S8_S9_S9_EESD_ST_SE_SF_SG_EUlST_E1_NS1_11comp_targetILNS1_3genE10ELNS1_11target_archE1201ELNS1_3gpuE5ELNS1_3repE0EEENS1_36merge_oddeven_config_static_selectorELNS0_4arch9wavefront6targetE1EEEvSF_
		.amdhsa_group_segment_fixed_size 0
		.amdhsa_private_segment_fixed_size 0
		.amdhsa_kernarg_size 48
		.amdhsa_user_sgpr_count 6
		.amdhsa_user_sgpr_private_segment_buffer 1
		.amdhsa_user_sgpr_dispatch_ptr 0
		.amdhsa_user_sgpr_queue_ptr 0
		.amdhsa_user_sgpr_kernarg_segment_ptr 1
		.amdhsa_user_sgpr_dispatch_id 0
		.amdhsa_user_sgpr_flat_scratch_init 0
		.amdhsa_user_sgpr_kernarg_preload_length 0
		.amdhsa_user_sgpr_kernarg_preload_offset 0
		.amdhsa_user_sgpr_private_segment_size 0
		.amdhsa_uses_dynamic_stack 0
		.amdhsa_system_sgpr_private_segment_wavefront_offset 0
		.amdhsa_system_sgpr_workgroup_id_x 1
		.amdhsa_system_sgpr_workgroup_id_y 0
		.amdhsa_system_sgpr_workgroup_id_z 0
		.amdhsa_system_sgpr_workgroup_info 0
		.amdhsa_system_vgpr_workitem_id 0
		.amdhsa_next_free_vgpr 1
		.amdhsa_next_free_sgpr 0
		.amdhsa_accum_offset 4
		.amdhsa_reserve_vcc 0
		.amdhsa_reserve_flat_scratch 0
		.amdhsa_float_round_mode_32 0
		.amdhsa_float_round_mode_16_64 0
		.amdhsa_float_denorm_mode_32 3
		.amdhsa_float_denorm_mode_16_64 3
		.amdhsa_dx10_clamp 1
		.amdhsa_ieee_mode 1
		.amdhsa_fp16_overflow 0
		.amdhsa_tg_split 0
		.amdhsa_exception_fp_ieee_invalid_op 0
		.amdhsa_exception_fp_denorm_src 0
		.amdhsa_exception_fp_ieee_div_zero 0
		.amdhsa_exception_fp_ieee_overflow 0
		.amdhsa_exception_fp_ieee_underflow 0
		.amdhsa_exception_fp_ieee_inexact 0
		.amdhsa_exception_int_div_zero 0
	.end_amdhsa_kernel
	.section	.text._ZN7rocprim17ROCPRIM_400000_NS6detail17trampoline_kernelINS0_14default_configENS1_38merge_sort_block_merge_config_selectorIcNS0_10empty_typeEEEZZNS1_27merge_sort_block_merge_implIS3_PcPS5_jNS1_19radix_merge_compareILb0ELb1EcNS0_19identity_decomposerEEEEE10hipError_tT0_T1_T2_jT3_P12ihipStream_tbPNSt15iterator_traitsISE_E10value_typeEPNSK_ISF_E10value_typeEPSG_NS1_7vsmem_tEENKUlT_SE_SF_SG_E_clIS8_S8_S9_S9_EESD_ST_SE_SF_SG_EUlST_E1_NS1_11comp_targetILNS1_3genE10ELNS1_11target_archE1201ELNS1_3gpuE5ELNS1_3repE0EEENS1_36merge_oddeven_config_static_selectorELNS0_4arch9wavefront6targetE1EEEvSF_,"axG",@progbits,_ZN7rocprim17ROCPRIM_400000_NS6detail17trampoline_kernelINS0_14default_configENS1_38merge_sort_block_merge_config_selectorIcNS0_10empty_typeEEEZZNS1_27merge_sort_block_merge_implIS3_PcPS5_jNS1_19radix_merge_compareILb0ELb1EcNS0_19identity_decomposerEEEEE10hipError_tT0_T1_T2_jT3_P12ihipStream_tbPNSt15iterator_traitsISE_E10value_typeEPNSK_ISF_E10value_typeEPSG_NS1_7vsmem_tEENKUlT_SE_SF_SG_E_clIS8_S8_S9_S9_EESD_ST_SE_SF_SG_EUlST_E1_NS1_11comp_targetILNS1_3genE10ELNS1_11target_archE1201ELNS1_3gpuE5ELNS1_3repE0EEENS1_36merge_oddeven_config_static_selectorELNS0_4arch9wavefront6targetE1EEEvSF_,comdat
.Lfunc_end75:
	.size	_ZN7rocprim17ROCPRIM_400000_NS6detail17trampoline_kernelINS0_14default_configENS1_38merge_sort_block_merge_config_selectorIcNS0_10empty_typeEEEZZNS1_27merge_sort_block_merge_implIS3_PcPS5_jNS1_19radix_merge_compareILb0ELb1EcNS0_19identity_decomposerEEEEE10hipError_tT0_T1_T2_jT3_P12ihipStream_tbPNSt15iterator_traitsISE_E10value_typeEPNSK_ISF_E10value_typeEPSG_NS1_7vsmem_tEENKUlT_SE_SF_SG_E_clIS8_S8_S9_S9_EESD_ST_SE_SF_SG_EUlST_E1_NS1_11comp_targetILNS1_3genE10ELNS1_11target_archE1201ELNS1_3gpuE5ELNS1_3repE0EEENS1_36merge_oddeven_config_static_selectorELNS0_4arch9wavefront6targetE1EEEvSF_, .Lfunc_end75-_ZN7rocprim17ROCPRIM_400000_NS6detail17trampoline_kernelINS0_14default_configENS1_38merge_sort_block_merge_config_selectorIcNS0_10empty_typeEEEZZNS1_27merge_sort_block_merge_implIS3_PcPS5_jNS1_19radix_merge_compareILb0ELb1EcNS0_19identity_decomposerEEEEE10hipError_tT0_T1_T2_jT3_P12ihipStream_tbPNSt15iterator_traitsISE_E10value_typeEPNSK_ISF_E10value_typeEPSG_NS1_7vsmem_tEENKUlT_SE_SF_SG_E_clIS8_S8_S9_S9_EESD_ST_SE_SF_SG_EUlST_E1_NS1_11comp_targetILNS1_3genE10ELNS1_11target_archE1201ELNS1_3gpuE5ELNS1_3repE0EEENS1_36merge_oddeven_config_static_selectorELNS0_4arch9wavefront6targetE1EEEvSF_
                                        ; -- End function
	.section	.AMDGPU.csdata,"",@progbits
; Kernel info:
; codeLenInByte = 0
; NumSgprs: 4
; NumVgprs: 0
; NumAgprs: 0
; TotalNumVgprs: 0
; ScratchSize: 0
; MemoryBound: 0
; FloatMode: 240
; IeeeMode: 1
; LDSByteSize: 0 bytes/workgroup (compile time only)
; SGPRBlocks: 0
; VGPRBlocks: 0
; NumSGPRsForWavesPerEU: 4
; NumVGPRsForWavesPerEU: 1
; AccumOffset: 4
; Occupancy: 8
; WaveLimiterHint : 0
; COMPUTE_PGM_RSRC2:SCRATCH_EN: 0
; COMPUTE_PGM_RSRC2:USER_SGPR: 6
; COMPUTE_PGM_RSRC2:TRAP_HANDLER: 0
; COMPUTE_PGM_RSRC2:TGID_X_EN: 1
; COMPUTE_PGM_RSRC2:TGID_Y_EN: 0
; COMPUTE_PGM_RSRC2:TGID_Z_EN: 0
; COMPUTE_PGM_RSRC2:TIDIG_COMP_CNT: 0
; COMPUTE_PGM_RSRC3_GFX90A:ACCUM_OFFSET: 0
; COMPUTE_PGM_RSRC3_GFX90A:TG_SPLIT: 0
	.section	.text._ZN7rocprim17ROCPRIM_400000_NS6detail17trampoline_kernelINS0_14default_configENS1_38merge_sort_block_merge_config_selectorIcNS0_10empty_typeEEEZZNS1_27merge_sort_block_merge_implIS3_PcPS5_jNS1_19radix_merge_compareILb0ELb1EcNS0_19identity_decomposerEEEEE10hipError_tT0_T1_T2_jT3_P12ihipStream_tbPNSt15iterator_traitsISE_E10value_typeEPNSK_ISF_E10value_typeEPSG_NS1_7vsmem_tEENKUlT_SE_SF_SG_E_clIS8_S8_S9_S9_EESD_ST_SE_SF_SG_EUlST_E1_NS1_11comp_targetILNS1_3genE5ELNS1_11target_archE942ELNS1_3gpuE9ELNS1_3repE0EEENS1_36merge_oddeven_config_static_selectorELNS0_4arch9wavefront6targetE1EEEvSF_,"axG",@progbits,_ZN7rocprim17ROCPRIM_400000_NS6detail17trampoline_kernelINS0_14default_configENS1_38merge_sort_block_merge_config_selectorIcNS0_10empty_typeEEEZZNS1_27merge_sort_block_merge_implIS3_PcPS5_jNS1_19radix_merge_compareILb0ELb1EcNS0_19identity_decomposerEEEEE10hipError_tT0_T1_T2_jT3_P12ihipStream_tbPNSt15iterator_traitsISE_E10value_typeEPNSK_ISF_E10value_typeEPSG_NS1_7vsmem_tEENKUlT_SE_SF_SG_E_clIS8_S8_S9_S9_EESD_ST_SE_SF_SG_EUlST_E1_NS1_11comp_targetILNS1_3genE5ELNS1_11target_archE942ELNS1_3gpuE9ELNS1_3repE0EEENS1_36merge_oddeven_config_static_selectorELNS0_4arch9wavefront6targetE1EEEvSF_,comdat
	.protected	_ZN7rocprim17ROCPRIM_400000_NS6detail17trampoline_kernelINS0_14default_configENS1_38merge_sort_block_merge_config_selectorIcNS0_10empty_typeEEEZZNS1_27merge_sort_block_merge_implIS3_PcPS5_jNS1_19radix_merge_compareILb0ELb1EcNS0_19identity_decomposerEEEEE10hipError_tT0_T1_T2_jT3_P12ihipStream_tbPNSt15iterator_traitsISE_E10value_typeEPNSK_ISF_E10value_typeEPSG_NS1_7vsmem_tEENKUlT_SE_SF_SG_E_clIS8_S8_S9_S9_EESD_ST_SE_SF_SG_EUlST_E1_NS1_11comp_targetILNS1_3genE5ELNS1_11target_archE942ELNS1_3gpuE9ELNS1_3repE0EEENS1_36merge_oddeven_config_static_selectorELNS0_4arch9wavefront6targetE1EEEvSF_ ; -- Begin function _ZN7rocprim17ROCPRIM_400000_NS6detail17trampoline_kernelINS0_14default_configENS1_38merge_sort_block_merge_config_selectorIcNS0_10empty_typeEEEZZNS1_27merge_sort_block_merge_implIS3_PcPS5_jNS1_19radix_merge_compareILb0ELb1EcNS0_19identity_decomposerEEEEE10hipError_tT0_T1_T2_jT3_P12ihipStream_tbPNSt15iterator_traitsISE_E10value_typeEPNSK_ISF_E10value_typeEPSG_NS1_7vsmem_tEENKUlT_SE_SF_SG_E_clIS8_S8_S9_S9_EESD_ST_SE_SF_SG_EUlST_E1_NS1_11comp_targetILNS1_3genE5ELNS1_11target_archE942ELNS1_3gpuE9ELNS1_3repE0EEENS1_36merge_oddeven_config_static_selectorELNS0_4arch9wavefront6targetE1EEEvSF_
	.globl	_ZN7rocprim17ROCPRIM_400000_NS6detail17trampoline_kernelINS0_14default_configENS1_38merge_sort_block_merge_config_selectorIcNS0_10empty_typeEEEZZNS1_27merge_sort_block_merge_implIS3_PcPS5_jNS1_19radix_merge_compareILb0ELb1EcNS0_19identity_decomposerEEEEE10hipError_tT0_T1_T2_jT3_P12ihipStream_tbPNSt15iterator_traitsISE_E10value_typeEPNSK_ISF_E10value_typeEPSG_NS1_7vsmem_tEENKUlT_SE_SF_SG_E_clIS8_S8_S9_S9_EESD_ST_SE_SF_SG_EUlST_E1_NS1_11comp_targetILNS1_3genE5ELNS1_11target_archE942ELNS1_3gpuE9ELNS1_3repE0EEENS1_36merge_oddeven_config_static_selectorELNS0_4arch9wavefront6targetE1EEEvSF_
	.p2align	8
	.type	_ZN7rocprim17ROCPRIM_400000_NS6detail17trampoline_kernelINS0_14default_configENS1_38merge_sort_block_merge_config_selectorIcNS0_10empty_typeEEEZZNS1_27merge_sort_block_merge_implIS3_PcPS5_jNS1_19radix_merge_compareILb0ELb1EcNS0_19identity_decomposerEEEEE10hipError_tT0_T1_T2_jT3_P12ihipStream_tbPNSt15iterator_traitsISE_E10value_typeEPNSK_ISF_E10value_typeEPSG_NS1_7vsmem_tEENKUlT_SE_SF_SG_E_clIS8_S8_S9_S9_EESD_ST_SE_SF_SG_EUlST_E1_NS1_11comp_targetILNS1_3genE5ELNS1_11target_archE942ELNS1_3gpuE9ELNS1_3repE0EEENS1_36merge_oddeven_config_static_selectorELNS0_4arch9wavefront6targetE1EEEvSF_,@function
_ZN7rocprim17ROCPRIM_400000_NS6detail17trampoline_kernelINS0_14default_configENS1_38merge_sort_block_merge_config_selectorIcNS0_10empty_typeEEEZZNS1_27merge_sort_block_merge_implIS3_PcPS5_jNS1_19radix_merge_compareILb0ELb1EcNS0_19identity_decomposerEEEEE10hipError_tT0_T1_T2_jT3_P12ihipStream_tbPNSt15iterator_traitsISE_E10value_typeEPNSK_ISF_E10value_typeEPSG_NS1_7vsmem_tEENKUlT_SE_SF_SG_E_clIS8_S8_S9_S9_EESD_ST_SE_SF_SG_EUlST_E1_NS1_11comp_targetILNS1_3genE5ELNS1_11target_archE942ELNS1_3gpuE9ELNS1_3repE0EEENS1_36merge_oddeven_config_static_selectorELNS0_4arch9wavefront6targetE1EEEvSF_: ; @_ZN7rocprim17ROCPRIM_400000_NS6detail17trampoline_kernelINS0_14default_configENS1_38merge_sort_block_merge_config_selectorIcNS0_10empty_typeEEEZZNS1_27merge_sort_block_merge_implIS3_PcPS5_jNS1_19radix_merge_compareILb0ELb1EcNS0_19identity_decomposerEEEEE10hipError_tT0_T1_T2_jT3_P12ihipStream_tbPNSt15iterator_traitsISE_E10value_typeEPNSK_ISF_E10value_typeEPSG_NS1_7vsmem_tEENKUlT_SE_SF_SG_E_clIS8_S8_S9_S9_EESD_ST_SE_SF_SG_EUlST_E1_NS1_11comp_targetILNS1_3genE5ELNS1_11target_archE942ELNS1_3gpuE9ELNS1_3repE0EEENS1_36merge_oddeven_config_static_selectorELNS0_4arch9wavefront6targetE1EEEvSF_
; %bb.0:
	.section	.rodata,"a",@progbits
	.p2align	6, 0x0
	.amdhsa_kernel _ZN7rocprim17ROCPRIM_400000_NS6detail17trampoline_kernelINS0_14default_configENS1_38merge_sort_block_merge_config_selectorIcNS0_10empty_typeEEEZZNS1_27merge_sort_block_merge_implIS3_PcPS5_jNS1_19radix_merge_compareILb0ELb1EcNS0_19identity_decomposerEEEEE10hipError_tT0_T1_T2_jT3_P12ihipStream_tbPNSt15iterator_traitsISE_E10value_typeEPNSK_ISF_E10value_typeEPSG_NS1_7vsmem_tEENKUlT_SE_SF_SG_E_clIS8_S8_S9_S9_EESD_ST_SE_SF_SG_EUlST_E1_NS1_11comp_targetILNS1_3genE5ELNS1_11target_archE942ELNS1_3gpuE9ELNS1_3repE0EEENS1_36merge_oddeven_config_static_selectorELNS0_4arch9wavefront6targetE1EEEvSF_
		.amdhsa_group_segment_fixed_size 0
		.amdhsa_private_segment_fixed_size 0
		.amdhsa_kernarg_size 48
		.amdhsa_user_sgpr_count 6
		.amdhsa_user_sgpr_private_segment_buffer 1
		.amdhsa_user_sgpr_dispatch_ptr 0
		.amdhsa_user_sgpr_queue_ptr 0
		.amdhsa_user_sgpr_kernarg_segment_ptr 1
		.amdhsa_user_sgpr_dispatch_id 0
		.amdhsa_user_sgpr_flat_scratch_init 0
		.amdhsa_user_sgpr_kernarg_preload_length 0
		.amdhsa_user_sgpr_kernarg_preload_offset 0
		.amdhsa_user_sgpr_private_segment_size 0
		.amdhsa_uses_dynamic_stack 0
		.amdhsa_system_sgpr_private_segment_wavefront_offset 0
		.amdhsa_system_sgpr_workgroup_id_x 1
		.amdhsa_system_sgpr_workgroup_id_y 0
		.amdhsa_system_sgpr_workgroup_id_z 0
		.amdhsa_system_sgpr_workgroup_info 0
		.amdhsa_system_vgpr_workitem_id 0
		.amdhsa_next_free_vgpr 1
		.amdhsa_next_free_sgpr 0
		.amdhsa_accum_offset 4
		.amdhsa_reserve_vcc 0
		.amdhsa_reserve_flat_scratch 0
		.amdhsa_float_round_mode_32 0
		.amdhsa_float_round_mode_16_64 0
		.amdhsa_float_denorm_mode_32 3
		.amdhsa_float_denorm_mode_16_64 3
		.amdhsa_dx10_clamp 1
		.amdhsa_ieee_mode 1
		.amdhsa_fp16_overflow 0
		.amdhsa_tg_split 0
		.amdhsa_exception_fp_ieee_invalid_op 0
		.amdhsa_exception_fp_denorm_src 0
		.amdhsa_exception_fp_ieee_div_zero 0
		.amdhsa_exception_fp_ieee_overflow 0
		.amdhsa_exception_fp_ieee_underflow 0
		.amdhsa_exception_fp_ieee_inexact 0
		.amdhsa_exception_int_div_zero 0
	.end_amdhsa_kernel
	.section	.text._ZN7rocprim17ROCPRIM_400000_NS6detail17trampoline_kernelINS0_14default_configENS1_38merge_sort_block_merge_config_selectorIcNS0_10empty_typeEEEZZNS1_27merge_sort_block_merge_implIS3_PcPS5_jNS1_19radix_merge_compareILb0ELb1EcNS0_19identity_decomposerEEEEE10hipError_tT0_T1_T2_jT3_P12ihipStream_tbPNSt15iterator_traitsISE_E10value_typeEPNSK_ISF_E10value_typeEPSG_NS1_7vsmem_tEENKUlT_SE_SF_SG_E_clIS8_S8_S9_S9_EESD_ST_SE_SF_SG_EUlST_E1_NS1_11comp_targetILNS1_3genE5ELNS1_11target_archE942ELNS1_3gpuE9ELNS1_3repE0EEENS1_36merge_oddeven_config_static_selectorELNS0_4arch9wavefront6targetE1EEEvSF_,"axG",@progbits,_ZN7rocprim17ROCPRIM_400000_NS6detail17trampoline_kernelINS0_14default_configENS1_38merge_sort_block_merge_config_selectorIcNS0_10empty_typeEEEZZNS1_27merge_sort_block_merge_implIS3_PcPS5_jNS1_19radix_merge_compareILb0ELb1EcNS0_19identity_decomposerEEEEE10hipError_tT0_T1_T2_jT3_P12ihipStream_tbPNSt15iterator_traitsISE_E10value_typeEPNSK_ISF_E10value_typeEPSG_NS1_7vsmem_tEENKUlT_SE_SF_SG_E_clIS8_S8_S9_S9_EESD_ST_SE_SF_SG_EUlST_E1_NS1_11comp_targetILNS1_3genE5ELNS1_11target_archE942ELNS1_3gpuE9ELNS1_3repE0EEENS1_36merge_oddeven_config_static_selectorELNS0_4arch9wavefront6targetE1EEEvSF_,comdat
.Lfunc_end76:
	.size	_ZN7rocprim17ROCPRIM_400000_NS6detail17trampoline_kernelINS0_14default_configENS1_38merge_sort_block_merge_config_selectorIcNS0_10empty_typeEEEZZNS1_27merge_sort_block_merge_implIS3_PcPS5_jNS1_19radix_merge_compareILb0ELb1EcNS0_19identity_decomposerEEEEE10hipError_tT0_T1_T2_jT3_P12ihipStream_tbPNSt15iterator_traitsISE_E10value_typeEPNSK_ISF_E10value_typeEPSG_NS1_7vsmem_tEENKUlT_SE_SF_SG_E_clIS8_S8_S9_S9_EESD_ST_SE_SF_SG_EUlST_E1_NS1_11comp_targetILNS1_3genE5ELNS1_11target_archE942ELNS1_3gpuE9ELNS1_3repE0EEENS1_36merge_oddeven_config_static_selectorELNS0_4arch9wavefront6targetE1EEEvSF_, .Lfunc_end76-_ZN7rocprim17ROCPRIM_400000_NS6detail17trampoline_kernelINS0_14default_configENS1_38merge_sort_block_merge_config_selectorIcNS0_10empty_typeEEEZZNS1_27merge_sort_block_merge_implIS3_PcPS5_jNS1_19radix_merge_compareILb0ELb1EcNS0_19identity_decomposerEEEEE10hipError_tT0_T1_T2_jT3_P12ihipStream_tbPNSt15iterator_traitsISE_E10value_typeEPNSK_ISF_E10value_typeEPSG_NS1_7vsmem_tEENKUlT_SE_SF_SG_E_clIS8_S8_S9_S9_EESD_ST_SE_SF_SG_EUlST_E1_NS1_11comp_targetILNS1_3genE5ELNS1_11target_archE942ELNS1_3gpuE9ELNS1_3repE0EEENS1_36merge_oddeven_config_static_selectorELNS0_4arch9wavefront6targetE1EEEvSF_
                                        ; -- End function
	.section	.AMDGPU.csdata,"",@progbits
; Kernel info:
; codeLenInByte = 0
; NumSgprs: 4
; NumVgprs: 0
; NumAgprs: 0
; TotalNumVgprs: 0
; ScratchSize: 0
; MemoryBound: 0
; FloatMode: 240
; IeeeMode: 1
; LDSByteSize: 0 bytes/workgroup (compile time only)
; SGPRBlocks: 0
; VGPRBlocks: 0
; NumSGPRsForWavesPerEU: 4
; NumVGPRsForWavesPerEU: 1
; AccumOffset: 4
; Occupancy: 8
; WaveLimiterHint : 0
; COMPUTE_PGM_RSRC2:SCRATCH_EN: 0
; COMPUTE_PGM_RSRC2:USER_SGPR: 6
; COMPUTE_PGM_RSRC2:TRAP_HANDLER: 0
; COMPUTE_PGM_RSRC2:TGID_X_EN: 1
; COMPUTE_PGM_RSRC2:TGID_Y_EN: 0
; COMPUTE_PGM_RSRC2:TGID_Z_EN: 0
; COMPUTE_PGM_RSRC2:TIDIG_COMP_CNT: 0
; COMPUTE_PGM_RSRC3_GFX90A:ACCUM_OFFSET: 0
; COMPUTE_PGM_RSRC3_GFX90A:TG_SPLIT: 0
	.section	.text._ZN7rocprim17ROCPRIM_400000_NS6detail17trampoline_kernelINS0_14default_configENS1_38merge_sort_block_merge_config_selectorIcNS0_10empty_typeEEEZZNS1_27merge_sort_block_merge_implIS3_PcPS5_jNS1_19radix_merge_compareILb0ELb1EcNS0_19identity_decomposerEEEEE10hipError_tT0_T1_T2_jT3_P12ihipStream_tbPNSt15iterator_traitsISE_E10value_typeEPNSK_ISF_E10value_typeEPSG_NS1_7vsmem_tEENKUlT_SE_SF_SG_E_clIS8_S8_S9_S9_EESD_ST_SE_SF_SG_EUlST_E1_NS1_11comp_targetILNS1_3genE4ELNS1_11target_archE910ELNS1_3gpuE8ELNS1_3repE0EEENS1_36merge_oddeven_config_static_selectorELNS0_4arch9wavefront6targetE1EEEvSF_,"axG",@progbits,_ZN7rocprim17ROCPRIM_400000_NS6detail17trampoline_kernelINS0_14default_configENS1_38merge_sort_block_merge_config_selectorIcNS0_10empty_typeEEEZZNS1_27merge_sort_block_merge_implIS3_PcPS5_jNS1_19radix_merge_compareILb0ELb1EcNS0_19identity_decomposerEEEEE10hipError_tT0_T1_T2_jT3_P12ihipStream_tbPNSt15iterator_traitsISE_E10value_typeEPNSK_ISF_E10value_typeEPSG_NS1_7vsmem_tEENKUlT_SE_SF_SG_E_clIS8_S8_S9_S9_EESD_ST_SE_SF_SG_EUlST_E1_NS1_11comp_targetILNS1_3genE4ELNS1_11target_archE910ELNS1_3gpuE8ELNS1_3repE0EEENS1_36merge_oddeven_config_static_selectorELNS0_4arch9wavefront6targetE1EEEvSF_,comdat
	.protected	_ZN7rocprim17ROCPRIM_400000_NS6detail17trampoline_kernelINS0_14default_configENS1_38merge_sort_block_merge_config_selectorIcNS0_10empty_typeEEEZZNS1_27merge_sort_block_merge_implIS3_PcPS5_jNS1_19radix_merge_compareILb0ELb1EcNS0_19identity_decomposerEEEEE10hipError_tT0_T1_T2_jT3_P12ihipStream_tbPNSt15iterator_traitsISE_E10value_typeEPNSK_ISF_E10value_typeEPSG_NS1_7vsmem_tEENKUlT_SE_SF_SG_E_clIS8_S8_S9_S9_EESD_ST_SE_SF_SG_EUlST_E1_NS1_11comp_targetILNS1_3genE4ELNS1_11target_archE910ELNS1_3gpuE8ELNS1_3repE0EEENS1_36merge_oddeven_config_static_selectorELNS0_4arch9wavefront6targetE1EEEvSF_ ; -- Begin function _ZN7rocprim17ROCPRIM_400000_NS6detail17trampoline_kernelINS0_14default_configENS1_38merge_sort_block_merge_config_selectorIcNS0_10empty_typeEEEZZNS1_27merge_sort_block_merge_implIS3_PcPS5_jNS1_19radix_merge_compareILb0ELb1EcNS0_19identity_decomposerEEEEE10hipError_tT0_T1_T2_jT3_P12ihipStream_tbPNSt15iterator_traitsISE_E10value_typeEPNSK_ISF_E10value_typeEPSG_NS1_7vsmem_tEENKUlT_SE_SF_SG_E_clIS8_S8_S9_S9_EESD_ST_SE_SF_SG_EUlST_E1_NS1_11comp_targetILNS1_3genE4ELNS1_11target_archE910ELNS1_3gpuE8ELNS1_3repE0EEENS1_36merge_oddeven_config_static_selectorELNS0_4arch9wavefront6targetE1EEEvSF_
	.globl	_ZN7rocprim17ROCPRIM_400000_NS6detail17trampoline_kernelINS0_14default_configENS1_38merge_sort_block_merge_config_selectorIcNS0_10empty_typeEEEZZNS1_27merge_sort_block_merge_implIS3_PcPS5_jNS1_19radix_merge_compareILb0ELb1EcNS0_19identity_decomposerEEEEE10hipError_tT0_T1_T2_jT3_P12ihipStream_tbPNSt15iterator_traitsISE_E10value_typeEPNSK_ISF_E10value_typeEPSG_NS1_7vsmem_tEENKUlT_SE_SF_SG_E_clIS8_S8_S9_S9_EESD_ST_SE_SF_SG_EUlST_E1_NS1_11comp_targetILNS1_3genE4ELNS1_11target_archE910ELNS1_3gpuE8ELNS1_3repE0EEENS1_36merge_oddeven_config_static_selectorELNS0_4arch9wavefront6targetE1EEEvSF_
	.p2align	8
	.type	_ZN7rocprim17ROCPRIM_400000_NS6detail17trampoline_kernelINS0_14default_configENS1_38merge_sort_block_merge_config_selectorIcNS0_10empty_typeEEEZZNS1_27merge_sort_block_merge_implIS3_PcPS5_jNS1_19radix_merge_compareILb0ELb1EcNS0_19identity_decomposerEEEEE10hipError_tT0_T1_T2_jT3_P12ihipStream_tbPNSt15iterator_traitsISE_E10value_typeEPNSK_ISF_E10value_typeEPSG_NS1_7vsmem_tEENKUlT_SE_SF_SG_E_clIS8_S8_S9_S9_EESD_ST_SE_SF_SG_EUlST_E1_NS1_11comp_targetILNS1_3genE4ELNS1_11target_archE910ELNS1_3gpuE8ELNS1_3repE0EEENS1_36merge_oddeven_config_static_selectorELNS0_4arch9wavefront6targetE1EEEvSF_,@function
_ZN7rocprim17ROCPRIM_400000_NS6detail17trampoline_kernelINS0_14default_configENS1_38merge_sort_block_merge_config_selectorIcNS0_10empty_typeEEEZZNS1_27merge_sort_block_merge_implIS3_PcPS5_jNS1_19radix_merge_compareILb0ELb1EcNS0_19identity_decomposerEEEEE10hipError_tT0_T1_T2_jT3_P12ihipStream_tbPNSt15iterator_traitsISE_E10value_typeEPNSK_ISF_E10value_typeEPSG_NS1_7vsmem_tEENKUlT_SE_SF_SG_E_clIS8_S8_S9_S9_EESD_ST_SE_SF_SG_EUlST_E1_NS1_11comp_targetILNS1_3genE4ELNS1_11target_archE910ELNS1_3gpuE8ELNS1_3repE0EEENS1_36merge_oddeven_config_static_selectorELNS0_4arch9wavefront6targetE1EEEvSF_: ; @_ZN7rocprim17ROCPRIM_400000_NS6detail17trampoline_kernelINS0_14default_configENS1_38merge_sort_block_merge_config_selectorIcNS0_10empty_typeEEEZZNS1_27merge_sort_block_merge_implIS3_PcPS5_jNS1_19radix_merge_compareILb0ELb1EcNS0_19identity_decomposerEEEEE10hipError_tT0_T1_T2_jT3_P12ihipStream_tbPNSt15iterator_traitsISE_E10value_typeEPNSK_ISF_E10value_typeEPSG_NS1_7vsmem_tEENKUlT_SE_SF_SG_E_clIS8_S8_S9_S9_EESD_ST_SE_SF_SG_EUlST_E1_NS1_11comp_targetILNS1_3genE4ELNS1_11target_archE910ELNS1_3gpuE8ELNS1_3repE0EEENS1_36merge_oddeven_config_static_selectorELNS0_4arch9wavefront6targetE1EEEvSF_
; %bb.0:
	s_load_dword s17, s[4:5], 0x20
	s_waitcnt lgkmcnt(0)
	s_lshr_b32 s0, s17, 8
	s_cmp_lg_u32 s6, s0
	s_cselect_b64 s[14:15], -1, 0
	s_cmp_eq_u32 s6, s0
	s_cselect_b64 s[12:13], -1, 0
	s_lshl_b32 s7, s6, 8
	s_sub_i32 s0, s17, s7
	v_cmp_gt_u32_e64 s[2:3], s0, v0
	s_or_b64 s[0:1], s[14:15], s[2:3]
	s_and_saveexec_b64 s[8:9], s[0:1]
	s_cbranch_execz .LBB77_20
; %bb.1:
	s_load_dwordx4 s[8:11], s[4:5], 0x0
	s_load_dword s18, s[4:5], 0x24
	v_add_u32_e32 v2, s7, v0
	s_waitcnt lgkmcnt(0)
	s_add_u32 s0, s8, s7
	s_addc_u32 s1, s9, 0
	global_load_ubyte v1, v0, s[0:1]
	s_lshr_b32 s0, s18, 8
	s_sub_i32 s1, 0, s0
	s_and_b32 s1, s6, s1
	s_and_b32 s0, s1, s0
	s_lshl_b32 s19, s1, 8
	s_sub_i32 s6, 0, s18
	s_cmp_eq_u32 s0, 0
	s_cselect_b64 s[0:1], -1, 0
	s_and_b64 s[20:21], s[0:1], exec
	s_cselect_b32 s16, s18, s6
	s_add_i32 s16, s16, s19
	s_cmp_lt_u32 s16, s17
	s_cbranch_scc1 .LBB77_3
; %bb.2:
	v_cmp_gt_u32_e32 vcc, s17, v2
	s_or_b64 s[6:7], vcc, s[14:15]
	s_and_b64 s[6:7], s[6:7], exec
	s_cbranch_execz .LBB77_4
	s_branch .LBB77_18
.LBB77_3:
	s_mov_b64 s[6:7], 0
.LBB77_4:
	s_load_dword s14, s[4:5], 0x28
	s_min_u32 s15, s16, s17
	s_add_i32 s4, s15, s18
	s_min_u32 s17, s4, s17
	s_min_u32 s4, s19, s15
	s_add_i32 s19, s19, s15
	v_subrev_u32_e32 v0, s19, v2
	v_add_u32_e32 v0, s4, v0
	s_and_b64 vcc, exec, s[12:13]
	s_cbranch_vccz .LBB77_12
; %bb.5:
                                        ; implicit-def: $vgpr2
	s_and_saveexec_b64 s[4:5], s[2:3]
	s_cbranch_execz .LBB77_11
; %bb.6:
	s_cmp_ge_u32 s16, s17
	v_mov_b32_e32 v2, s15
	s_cbranch_scc1 .LBB77_10
; %bb.7:
	s_waitcnt vmcnt(0) lgkmcnt(0)
	v_and_b32_e32 v3, s14, v1
	s_mov_b64 s[2:3], 0
	v_mov_b32_e32 v4, s17
	v_mov_b32_e32 v2, s15
.LBB77_8:                               ; =>This Inner Loop Header: Depth=1
	v_add_u32_e32 v5, v2, v4
	v_lshrrev_b32_e32 v5, 1, v5
	global_load_ubyte v6, v5, s[8:9]
	v_add_u32_e32 v7, 1, v5
	s_waitcnt vmcnt(0)
	v_and_b32_e32 v6, s14, v6
	v_bfe_i32 v6, v6, 0, 8
	v_cmp_gt_i16_sdwa s[12:13], sext(v3), v6 src0_sel:BYTE_0 src1_sel:DWORD
	v_cndmask_b32_e64 v8, 0, 1, s[12:13]
	v_cmp_le_i16_sdwa s[12:13], v6, sext(v3) src0_sel:DWORD src1_sel:BYTE_0
	v_cndmask_b32_e64 v6, 0, 1, s[12:13]
	v_cndmask_b32_e64 v6, v6, v8, s[0:1]
	v_and_b32_e32 v6, 1, v6
	v_cmp_eq_u32_e32 vcc, 1, v6
	v_cndmask_b32_e32 v4, v5, v4, vcc
	v_cndmask_b32_e32 v2, v2, v7, vcc
	v_cmp_ge_u32_e32 vcc, v2, v4
	s_or_b64 s[2:3], vcc, s[2:3]
	s_andn2_b64 exec, exec, s[2:3]
	s_cbranch_execnz .LBB77_8
; %bb.9:
	s_or_b64 exec, exec, s[2:3]
.LBB77_10:
	v_add_u32_e32 v2, v2, v0
	s_or_b64 s[6:7], s[6:7], exec
.LBB77_11:
	s_or_b64 exec, exec, s[4:5]
	s_branch .LBB77_18
.LBB77_12:
                                        ; implicit-def: $vgpr2
	s_cbranch_execz .LBB77_18
; %bb.13:
	s_cmp_ge_u32 s16, s17
	v_mov_b32_e32 v2, s15
	s_cbranch_scc1 .LBB77_17
; %bb.14:
	s_waitcnt vmcnt(0) lgkmcnt(0)
	v_and_b32_e32 v3, s14, v1
	s_mov_b64 s[2:3], 0
	v_mov_b32_e32 v4, s17
	v_mov_b32_e32 v2, s15
.LBB77_15:                              ; =>This Inner Loop Header: Depth=1
	v_add_u32_e32 v5, v2, v4
	v_lshrrev_b32_e32 v5, 1, v5
	global_load_ubyte v6, v5, s[8:9]
	v_add_u32_e32 v7, 1, v5
	s_waitcnt vmcnt(0)
	v_and_b32_e32 v6, s14, v6
	v_bfe_i32 v6, v6, 0, 8
	v_cmp_gt_i16_sdwa s[4:5], sext(v3), v6 src0_sel:BYTE_0 src1_sel:DWORD
	v_cndmask_b32_e64 v8, 0, 1, s[4:5]
	v_cmp_le_i16_sdwa s[4:5], v6, sext(v3) src0_sel:DWORD src1_sel:BYTE_0
	v_cndmask_b32_e64 v6, 0, 1, s[4:5]
	v_cndmask_b32_e64 v6, v6, v8, s[0:1]
	v_and_b32_e32 v6, 1, v6
	v_cmp_eq_u32_e32 vcc, 1, v6
	v_cndmask_b32_e32 v4, v5, v4, vcc
	v_cndmask_b32_e32 v2, v2, v7, vcc
	v_cmp_ge_u32_e32 vcc, v2, v4
	s_or_b64 s[2:3], vcc, s[2:3]
	s_andn2_b64 exec, exec, s[2:3]
	s_cbranch_execnz .LBB77_15
; %bb.16:
	s_or_b64 exec, exec, s[2:3]
.LBB77_17:
	v_add_u32_e32 v2, v2, v0
	s_mov_b64 s[6:7], -1
.LBB77_18:
	s_and_b64 exec, exec, s[6:7]
	s_cbranch_execz .LBB77_20
; %bb.19:
	s_waitcnt vmcnt(0)
	global_store_byte v2, v1, s[10:11]
.LBB77_20:
	s_endpgm
	.section	.rodata,"a",@progbits
	.p2align	6, 0x0
	.amdhsa_kernel _ZN7rocprim17ROCPRIM_400000_NS6detail17trampoline_kernelINS0_14default_configENS1_38merge_sort_block_merge_config_selectorIcNS0_10empty_typeEEEZZNS1_27merge_sort_block_merge_implIS3_PcPS5_jNS1_19radix_merge_compareILb0ELb1EcNS0_19identity_decomposerEEEEE10hipError_tT0_T1_T2_jT3_P12ihipStream_tbPNSt15iterator_traitsISE_E10value_typeEPNSK_ISF_E10value_typeEPSG_NS1_7vsmem_tEENKUlT_SE_SF_SG_E_clIS8_S8_S9_S9_EESD_ST_SE_SF_SG_EUlST_E1_NS1_11comp_targetILNS1_3genE4ELNS1_11target_archE910ELNS1_3gpuE8ELNS1_3repE0EEENS1_36merge_oddeven_config_static_selectorELNS0_4arch9wavefront6targetE1EEEvSF_
		.amdhsa_group_segment_fixed_size 0
		.amdhsa_private_segment_fixed_size 0
		.amdhsa_kernarg_size 48
		.amdhsa_user_sgpr_count 6
		.amdhsa_user_sgpr_private_segment_buffer 1
		.amdhsa_user_sgpr_dispatch_ptr 0
		.amdhsa_user_sgpr_queue_ptr 0
		.amdhsa_user_sgpr_kernarg_segment_ptr 1
		.amdhsa_user_sgpr_dispatch_id 0
		.amdhsa_user_sgpr_flat_scratch_init 0
		.amdhsa_user_sgpr_kernarg_preload_length 0
		.amdhsa_user_sgpr_kernarg_preload_offset 0
		.amdhsa_user_sgpr_private_segment_size 0
		.amdhsa_uses_dynamic_stack 0
		.amdhsa_system_sgpr_private_segment_wavefront_offset 0
		.amdhsa_system_sgpr_workgroup_id_x 1
		.amdhsa_system_sgpr_workgroup_id_y 0
		.amdhsa_system_sgpr_workgroup_id_z 0
		.amdhsa_system_sgpr_workgroup_info 0
		.amdhsa_system_vgpr_workitem_id 0
		.amdhsa_next_free_vgpr 9
		.amdhsa_next_free_sgpr 22
		.amdhsa_accum_offset 12
		.amdhsa_reserve_vcc 1
		.amdhsa_reserve_flat_scratch 0
		.amdhsa_float_round_mode_32 0
		.amdhsa_float_round_mode_16_64 0
		.amdhsa_float_denorm_mode_32 3
		.amdhsa_float_denorm_mode_16_64 3
		.amdhsa_dx10_clamp 1
		.amdhsa_ieee_mode 1
		.amdhsa_fp16_overflow 0
		.amdhsa_tg_split 0
		.amdhsa_exception_fp_ieee_invalid_op 0
		.amdhsa_exception_fp_denorm_src 0
		.amdhsa_exception_fp_ieee_div_zero 0
		.amdhsa_exception_fp_ieee_overflow 0
		.amdhsa_exception_fp_ieee_underflow 0
		.amdhsa_exception_fp_ieee_inexact 0
		.amdhsa_exception_int_div_zero 0
	.end_amdhsa_kernel
	.section	.text._ZN7rocprim17ROCPRIM_400000_NS6detail17trampoline_kernelINS0_14default_configENS1_38merge_sort_block_merge_config_selectorIcNS0_10empty_typeEEEZZNS1_27merge_sort_block_merge_implIS3_PcPS5_jNS1_19radix_merge_compareILb0ELb1EcNS0_19identity_decomposerEEEEE10hipError_tT0_T1_T2_jT3_P12ihipStream_tbPNSt15iterator_traitsISE_E10value_typeEPNSK_ISF_E10value_typeEPSG_NS1_7vsmem_tEENKUlT_SE_SF_SG_E_clIS8_S8_S9_S9_EESD_ST_SE_SF_SG_EUlST_E1_NS1_11comp_targetILNS1_3genE4ELNS1_11target_archE910ELNS1_3gpuE8ELNS1_3repE0EEENS1_36merge_oddeven_config_static_selectorELNS0_4arch9wavefront6targetE1EEEvSF_,"axG",@progbits,_ZN7rocprim17ROCPRIM_400000_NS6detail17trampoline_kernelINS0_14default_configENS1_38merge_sort_block_merge_config_selectorIcNS0_10empty_typeEEEZZNS1_27merge_sort_block_merge_implIS3_PcPS5_jNS1_19radix_merge_compareILb0ELb1EcNS0_19identity_decomposerEEEEE10hipError_tT0_T1_T2_jT3_P12ihipStream_tbPNSt15iterator_traitsISE_E10value_typeEPNSK_ISF_E10value_typeEPSG_NS1_7vsmem_tEENKUlT_SE_SF_SG_E_clIS8_S8_S9_S9_EESD_ST_SE_SF_SG_EUlST_E1_NS1_11comp_targetILNS1_3genE4ELNS1_11target_archE910ELNS1_3gpuE8ELNS1_3repE0EEENS1_36merge_oddeven_config_static_selectorELNS0_4arch9wavefront6targetE1EEEvSF_,comdat
.Lfunc_end77:
	.size	_ZN7rocprim17ROCPRIM_400000_NS6detail17trampoline_kernelINS0_14default_configENS1_38merge_sort_block_merge_config_selectorIcNS0_10empty_typeEEEZZNS1_27merge_sort_block_merge_implIS3_PcPS5_jNS1_19radix_merge_compareILb0ELb1EcNS0_19identity_decomposerEEEEE10hipError_tT0_T1_T2_jT3_P12ihipStream_tbPNSt15iterator_traitsISE_E10value_typeEPNSK_ISF_E10value_typeEPSG_NS1_7vsmem_tEENKUlT_SE_SF_SG_E_clIS8_S8_S9_S9_EESD_ST_SE_SF_SG_EUlST_E1_NS1_11comp_targetILNS1_3genE4ELNS1_11target_archE910ELNS1_3gpuE8ELNS1_3repE0EEENS1_36merge_oddeven_config_static_selectorELNS0_4arch9wavefront6targetE1EEEvSF_, .Lfunc_end77-_ZN7rocprim17ROCPRIM_400000_NS6detail17trampoline_kernelINS0_14default_configENS1_38merge_sort_block_merge_config_selectorIcNS0_10empty_typeEEEZZNS1_27merge_sort_block_merge_implIS3_PcPS5_jNS1_19radix_merge_compareILb0ELb1EcNS0_19identity_decomposerEEEEE10hipError_tT0_T1_T2_jT3_P12ihipStream_tbPNSt15iterator_traitsISE_E10value_typeEPNSK_ISF_E10value_typeEPSG_NS1_7vsmem_tEENKUlT_SE_SF_SG_E_clIS8_S8_S9_S9_EESD_ST_SE_SF_SG_EUlST_E1_NS1_11comp_targetILNS1_3genE4ELNS1_11target_archE910ELNS1_3gpuE8ELNS1_3repE0EEENS1_36merge_oddeven_config_static_selectorELNS0_4arch9wavefront6targetE1EEEvSF_
                                        ; -- End function
	.section	.AMDGPU.csdata,"",@progbits
; Kernel info:
; codeLenInByte = 568
; NumSgprs: 26
; NumVgprs: 9
; NumAgprs: 0
; TotalNumVgprs: 9
; ScratchSize: 0
; MemoryBound: 0
; FloatMode: 240
; IeeeMode: 1
; LDSByteSize: 0 bytes/workgroup (compile time only)
; SGPRBlocks: 3
; VGPRBlocks: 1
; NumSGPRsForWavesPerEU: 26
; NumVGPRsForWavesPerEU: 9
; AccumOffset: 12
; Occupancy: 8
; WaveLimiterHint : 0
; COMPUTE_PGM_RSRC2:SCRATCH_EN: 0
; COMPUTE_PGM_RSRC2:USER_SGPR: 6
; COMPUTE_PGM_RSRC2:TRAP_HANDLER: 0
; COMPUTE_PGM_RSRC2:TGID_X_EN: 1
; COMPUTE_PGM_RSRC2:TGID_Y_EN: 0
; COMPUTE_PGM_RSRC2:TGID_Z_EN: 0
; COMPUTE_PGM_RSRC2:TIDIG_COMP_CNT: 0
; COMPUTE_PGM_RSRC3_GFX90A:ACCUM_OFFSET: 2
; COMPUTE_PGM_RSRC3_GFX90A:TG_SPLIT: 0
	.section	.text._ZN7rocprim17ROCPRIM_400000_NS6detail17trampoline_kernelINS0_14default_configENS1_38merge_sort_block_merge_config_selectorIcNS0_10empty_typeEEEZZNS1_27merge_sort_block_merge_implIS3_PcPS5_jNS1_19radix_merge_compareILb0ELb1EcNS0_19identity_decomposerEEEEE10hipError_tT0_T1_T2_jT3_P12ihipStream_tbPNSt15iterator_traitsISE_E10value_typeEPNSK_ISF_E10value_typeEPSG_NS1_7vsmem_tEENKUlT_SE_SF_SG_E_clIS8_S8_S9_S9_EESD_ST_SE_SF_SG_EUlST_E1_NS1_11comp_targetILNS1_3genE3ELNS1_11target_archE908ELNS1_3gpuE7ELNS1_3repE0EEENS1_36merge_oddeven_config_static_selectorELNS0_4arch9wavefront6targetE1EEEvSF_,"axG",@progbits,_ZN7rocprim17ROCPRIM_400000_NS6detail17trampoline_kernelINS0_14default_configENS1_38merge_sort_block_merge_config_selectorIcNS0_10empty_typeEEEZZNS1_27merge_sort_block_merge_implIS3_PcPS5_jNS1_19radix_merge_compareILb0ELb1EcNS0_19identity_decomposerEEEEE10hipError_tT0_T1_T2_jT3_P12ihipStream_tbPNSt15iterator_traitsISE_E10value_typeEPNSK_ISF_E10value_typeEPSG_NS1_7vsmem_tEENKUlT_SE_SF_SG_E_clIS8_S8_S9_S9_EESD_ST_SE_SF_SG_EUlST_E1_NS1_11comp_targetILNS1_3genE3ELNS1_11target_archE908ELNS1_3gpuE7ELNS1_3repE0EEENS1_36merge_oddeven_config_static_selectorELNS0_4arch9wavefront6targetE1EEEvSF_,comdat
	.protected	_ZN7rocprim17ROCPRIM_400000_NS6detail17trampoline_kernelINS0_14default_configENS1_38merge_sort_block_merge_config_selectorIcNS0_10empty_typeEEEZZNS1_27merge_sort_block_merge_implIS3_PcPS5_jNS1_19radix_merge_compareILb0ELb1EcNS0_19identity_decomposerEEEEE10hipError_tT0_T1_T2_jT3_P12ihipStream_tbPNSt15iterator_traitsISE_E10value_typeEPNSK_ISF_E10value_typeEPSG_NS1_7vsmem_tEENKUlT_SE_SF_SG_E_clIS8_S8_S9_S9_EESD_ST_SE_SF_SG_EUlST_E1_NS1_11comp_targetILNS1_3genE3ELNS1_11target_archE908ELNS1_3gpuE7ELNS1_3repE0EEENS1_36merge_oddeven_config_static_selectorELNS0_4arch9wavefront6targetE1EEEvSF_ ; -- Begin function _ZN7rocprim17ROCPRIM_400000_NS6detail17trampoline_kernelINS0_14default_configENS1_38merge_sort_block_merge_config_selectorIcNS0_10empty_typeEEEZZNS1_27merge_sort_block_merge_implIS3_PcPS5_jNS1_19radix_merge_compareILb0ELb1EcNS0_19identity_decomposerEEEEE10hipError_tT0_T1_T2_jT3_P12ihipStream_tbPNSt15iterator_traitsISE_E10value_typeEPNSK_ISF_E10value_typeEPSG_NS1_7vsmem_tEENKUlT_SE_SF_SG_E_clIS8_S8_S9_S9_EESD_ST_SE_SF_SG_EUlST_E1_NS1_11comp_targetILNS1_3genE3ELNS1_11target_archE908ELNS1_3gpuE7ELNS1_3repE0EEENS1_36merge_oddeven_config_static_selectorELNS0_4arch9wavefront6targetE1EEEvSF_
	.globl	_ZN7rocprim17ROCPRIM_400000_NS6detail17trampoline_kernelINS0_14default_configENS1_38merge_sort_block_merge_config_selectorIcNS0_10empty_typeEEEZZNS1_27merge_sort_block_merge_implIS3_PcPS5_jNS1_19radix_merge_compareILb0ELb1EcNS0_19identity_decomposerEEEEE10hipError_tT0_T1_T2_jT3_P12ihipStream_tbPNSt15iterator_traitsISE_E10value_typeEPNSK_ISF_E10value_typeEPSG_NS1_7vsmem_tEENKUlT_SE_SF_SG_E_clIS8_S8_S9_S9_EESD_ST_SE_SF_SG_EUlST_E1_NS1_11comp_targetILNS1_3genE3ELNS1_11target_archE908ELNS1_3gpuE7ELNS1_3repE0EEENS1_36merge_oddeven_config_static_selectorELNS0_4arch9wavefront6targetE1EEEvSF_
	.p2align	8
	.type	_ZN7rocprim17ROCPRIM_400000_NS6detail17trampoline_kernelINS0_14default_configENS1_38merge_sort_block_merge_config_selectorIcNS0_10empty_typeEEEZZNS1_27merge_sort_block_merge_implIS3_PcPS5_jNS1_19radix_merge_compareILb0ELb1EcNS0_19identity_decomposerEEEEE10hipError_tT0_T1_T2_jT3_P12ihipStream_tbPNSt15iterator_traitsISE_E10value_typeEPNSK_ISF_E10value_typeEPSG_NS1_7vsmem_tEENKUlT_SE_SF_SG_E_clIS8_S8_S9_S9_EESD_ST_SE_SF_SG_EUlST_E1_NS1_11comp_targetILNS1_3genE3ELNS1_11target_archE908ELNS1_3gpuE7ELNS1_3repE0EEENS1_36merge_oddeven_config_static_selectorELNS0_4arch9wavefront6targetE1EEEvSF_,@function
_ZN7rocprim17ROCPRIM_400000_NS6detail17trampoline_kernelINS0_14default_configENS1_38merge_sort_block_merge_config_selectorIcNS0_10empty_typeEEEZZNS1_27merge_sort_block_merge_implIS3_PcPS5_jNS1_19radix_merge_compareILb0ELb1EcNS0_19identity_decomposerEEEEE10hipError_tT0_T1_T2_jT3_P12ihipStream_tbPNSt15iterator_traitsISE_E10value_typeEPNSK_ISF_E10value_typeEPSG_NS1_7vsmem_tEENKUlT_SE_SF_SG_E_clIS8_S8_S9_S9_EESD_ST_SE_SF_SG_EUlST_E1_NS1_11comp_targetILNS1_3genE3ELNS1_11target_archE908ELNS1_3gpuE7ELNS1_3repE0EEENS1_36merge_oddeven_config_static_selectorELNS0_4arch9wavefront6targetE1EEEvSF_: ; @_ZN7rocprim17ROCPRIM_400000_NS6detail17trampoline_kernelINS0_14default_configENS1_38merge_sort_block_merge_config_selectorIcNS0_10empty_typeEEEZZNS1_27merge_sort_block_merge_implIS3_PcPS5_jNS1_19radix_merge_compareILb0ELb1EcNS0_19identity_decomposerEEEEE10hipError_tT0_T1_T2_jT3_P12ihipStream_tbPNSt15iterator_traitsISE_E10value_typeEPNSK_ISF_E10value_typeEPSG_NS1_7vsmem_tEENKUlT_SE_SF_SG_E_clIS8_S8_S9_S9_EESD_ST_SE_SF_SG_EUlST_E1_NS1_11comp_targetILNS1_3genE3ELNS1_11target_archE908ELNS1_3gpuE7ELNS1_3repE0EEENS1_36merge_oddeven_config_static_selectorELNS0_4arch9wavefront6targetE1EEEvSF_
; %bb.0:
	.section	.rodata,"a",@progbits
	.p2align	6, 0x0
	.amdhsa_kernel _ZN7rocprim17ROCPRIM_400000_NS6detail17trampoline_kernelINS0_14default_configENS1_38merge_sort_block_merge_config_selectorIcNS0_10empty_typeEEEZZNS1_27merge_sort_block_merge_implIS3_PcPS5_jNS1_19radix_merge_compareILb0ELb1EcNS0_19identity_decomposerEEEEE10hipError_tT0_T1_T2_jT3_P12ihipStream_tbPNSt15iterator_traitsISE_E10value_typeEPNSK_ISF_E10value_typeEPSG_NS1_7vsmem_tEENKUlT_SE_SF_SG_E_clIS8_S8_S9_S9_EESD_ST_SE_SF_SG_EUlST_E1_NS1_11comp_targetILNS1_3genE3ELNS1_11target_archE908ELNS1_3gpuE7ELNS1_3repE0EEENS1_36merge_oddeven_config_static_selectorELNS0_4arch9wavefront6targetE1EEEvSF_
		.amdhsa_group_segment_fixed_size 0
		.amdhsa_private_segment_fixed_size 0
		.amdhsa_kernarg_size 48
		.amdhsa_user_sgpr_count 6
		.amdhsa_user_sgpr_private_segment_buffer 1
		.amdhsa_user_sgpr_dispatch_ptr 0
		.amdhsa_user_sgpr_queue_ptr 0
		.amdhsa_user_sgpr_kernarg_segment_ptr 1
		.amdhsa_user_sgpr_dispatch_id 0
		.amdhsa_user_sgpr_flat_scratch_init 0
		.amdhsa_user_sgpr_kernarg_preload_length 0
		.amdhsa_user_sgpr_kernarg_preload_offset 0
		.amdhsa_user_sgpr_private_segment_size 0
		.amdhsa_uses_dynamic_stack 0
		.amdhsa_system_sgpr_private_segment_wavefront_offset 0
		.amdhsa_system_sgpr_workgroup_id_x 1
		.amdhsa_system_sgpr_workgroup_id_y 0
		.amdhsa_system_sgpr_workgroup_id_z 0
		.amdhsa_system_sgpr_workgroup_info 0
		.amdhsa_system_vgpr_workitem_id 0
		.amdhsa_next_free_vgpr 1
		.amdhsa_next_free_sgpr 0
		.amdhsa_accum_offset 4
		.amdhsa_reserve_vcc 0
		.amdhsa_reserve_flat_scratch 0
		.amdhsa_float_round_mode_32 0
		.amdhsa_float_round_mode_16_64 0
		.amdhsa_float_denorm_mode_32 3
		.amdhsa_float_denorm_mode_16_64 3
		.amdhsa_dx10_clamp 1
		.amdhsa_ieee_mode 1
		.amdhsa_fp16_overflow 0
		.amdhsa_tg_split 0
		.amdhsa_exception_fp_ieee_invalid_op 0
		.amdhsa_exception_fp_denorm_src 0
		.amdhsa_exception_fp_ieee_div_zero 0
		.amdhsa_exception_fp_ieee_overflow 0
		.amdhsa_exception_fp_ieee_underflow 0
		.amdhsa_exception_fp_ieee_inexact 0
		.amdhsa_exception_int_div_zero 0
	.end_amdhsa_kernel
	.section	.text._ZN7rocprim17ROCPRIM_400000_NS6detail17trampoline_kernelINS0_14default_configENS1_38merge_sort_block_merge_config_selectorIcNS0_10empty_typeEEEZZNS1_27merge_sort_block_merge_implIS3_PcPS5_jNS1_19radix_merge_compareILb0ELb1EcNS0_19identity_decomposerEEEEE10hipError_tT0_T1_T2_jT3_P12ihipStream_tbPNSt15iterator_traitsISE_E10value_typeEPNSK_ISF_E10value_typeEPSG_NS1_7vsmem_tEENKUlT_SE_SF_SG_E_clIS8_S8_S9_S9_EESD_ST_SE_SF_SG_EUlST_E1_NS1_11comp_targetILNS1_3genE3ELNS1_11target_archE908ELNS1_3gpuE7ELNS1_3repE0EEENS1_36merge_oddeven_config_static_selectorELNS0_4arch9wavefront6targetE1EEEvSF_,"axG",@progbits,_ZN7rocprim17ROCPRIM_400000_NS6detail17trampoline_kernelINS0_14default_configENS1_38merge_sort_block_merge_config_selectorIcNS0_10empty_typeEEEZZNS1_27merge_sort_block_merge_implIS3_PcPS5_jNS1_19radix_merge_compareILb0ELb1EcNS0_19identity_decomposerEEEEE10hipError_tT0_T1_T2_jT3_P12ihipStream_tbPNSt15iterator_traitsISE_E10value_typeEPNSK_ISF_E10value_typeEPSG_NS1_7vsmem_tEENKUlT_SE_SF_SG_E_clIS8_S8_S9_S9_EESD_ST_SE_SF_SG_EUlST_E1_NS1_11comp_targetILNS1_3genE3ELNS1_11target_archE908ELNS1_3gpuE7ELNS1_3repE0EEENS1_36merge_oddeven_config_static_selectorELNS0_4arch9wavefront6targetE1EEEvSF_,comdat
.Lfunc_end78:
	.size	_ZN7rocprim17ROCPRIM_400000_NS6detail17trampoline_kernelINS0_14default_configENS1_38merge_sort_block_merge_config_selectorIcNS0_10empty_typeEEEZZNS1_27merge_sort_block_merge_implIS3_PcPS5_jNS1_19radix_merge_compareILb0ELb1EcNS0_19identity_decomposerEEEEE10hipError_tT0_T1_T2_jT3_P12ihipStream_tbPNSt15iterator_traitsISE_E10value_typeEPNSK_ISF_E10value_typeEPSG_NS1_7vsmem_tEENKUlT_SE_SF_SG_E_clIS8_S8_S9_S9_EESD_ST_SE_SF_SG_EUlST_E1_NS1_11comp_targetILNS1_3genE3ELNS1_11target_archE908ELNS1_3gpuE7ELNS1_3repE0EEENS1_36merge_oddeven_config_static_selectorELNS0_4arch9wavefront6targetE1EEEvSF_, .Lfunc_end78-_ZN7rocprim17ROCPRIM_400000_NS6detail17trampoline_kernelINS0_14default_configENS1_38merge_sort_block_merge_config_selectorIcNS0_10empty_typeEEEZZNS1_27merge_sort_block_merge_implIS3_PcPS5_jNS1_19radix_merge_compareILb0ELb1EcNS0_19identity_decomposerEEEEE10hipError_tT0_T1_T2_jT3_P12ihipStream_tbPNSt15iterator_traitsISE_E10value_typeEPNSK_ISF_E10value_typeEPSG_NS1_7vsmem_tEENKUlT_SE_SF_SG_E_clIS8_S8_S9_S9_EESD_ST_SE_SF_SG_EUlST_E1_NS1_11comp_targetILNS1_3genE3ELNS1_11target_archE908ELNS1_3gpuE7ELNS1_3repE0EEENS1_36merge_oddeven_config_static_selectorELNS0_4arch9wavefront6targetE1EEEvSF_
                                        ; -- End function
	.section	.AMDGPU.csdata,"",@progbits
; Kernel info:
; codeLenInByte = 0
; NumSgprs: 4
; NumVgprs: 0
; NumAgprs: 0
; TotalNumVgprs: 0
; ScratchSize: 0
; MemoryBound: 0
; FloatMode: 240
; IeeeMode: 1
; LDSByteSize: 0 bytes/workgroup (compile time only)
; SGPRBlocks: 0
; VGPRBlocks: 0
; NumSGPRsForWavesPerEU: 4
; NumVGPRsForWavesPerEU: 1
; AccumOffset: 4
; Occupancy: 8
; WaveLimiterHint : 0
; COMPUTE_PGM_RSRC2:SCRATCH_EN: 0
; COMPUTE_PGM_RSRC2:USER_SGPR: 6
; COMPUTE_PGM_RSRC2:TRAP_HANDLER: 0
; COMPUTE_PGM_RSRC2:TGID_X_EN: 1
; COMPUTE_PGM_RSRC2:TGID_Y_EN: 0
; COMPUTE_PGM_RSRC2:TGID_Z_EN: 0
; COMPUTE_PGM_RSRC2:TIDIG_COMP_CNT: 0
; COMPUTE_PGM_RSRC3_GFX90A:ACCUM_OFFSET: 0
; COMPUTE_PGM_RSRC3_GFX90A:TG_SPLIT: 0
	.section	.text._ZN7rocprim17ROCPRIM_400000_NS6detail17trampoline_kernelINS0_14default_configENS1_38merge_sort_block_merge_config_selectorIcNS0_10empty_typeEEEZZNS1_27merge_sort_block_merge_implIS3_PcPS5_jNS1_19radix_merge_compareILb0ELb1EcNS0_19identity_decomposerEEEEE10hipError_tT0_T1_T2_jT3_P12ihipStream_tbPNSt15iterator_traitsISE_E10value_typeEPNSK_ISF_E10value_typeEPSG_NS1_7vsmem_tEENKUlT_SE_SF_SG_E_clIS8_S8_S9_S9_EESD_ST_SE_SF_SG_EUlST_E1_NS1_11comp_targetILNS1_3genE2ELNS1_11target_archE906ELNS1_3gpuE6ELNS1_3repE0EEENS1_36merge_oddeven_config_static_selectorELNS0_4arch9wavefront6targetE1EEEvSF_,"axG",@progbits,_ZN7rocprim17ROCPRIM_400000_NS6detail17trampoline_kernelINS0_14default_configENS1_38merge_sort_block_merge_config_selectorIcNS0_10empty_typeEEEZZNS1_27merge_sort_block_merge_implIS3_PcPS5_jNS1_19radix_merge_compareILb0ELb1EcNS0_19identity_decomposerEEEEE10hipError_tT0_T1_T2_jT3_P12ihipStream_tbPNSt15iterator_traitsISE_E10value_typeEPNSK_ISF_E10value_typeEPSG_NS1_7vsmem_tEENKUlT_SE_SF_SG_E_clIS8_S8_S9_S9_EESD_ST_SE_SF_SG_EUlST_E1_NS1_11comp_targetILNS1_3genE2ELNS1_11target_archE906ELNS1_3gpuE6ELNS1_3repE0EEENS1_36merge_oddeven_config_static_selectorELNS0_4arch9wavefront6targetE1EEEvSF_,comdat
	.protected	_ZN7rocprim17ROCPRIM_400000_NS6detail17trampoline_kernelINS0_14default_configENS1_38merge_sort_block_merge_config_selectorIcNS0_10empty_typeEEEZZNS1_27merge_sort_block_merge_implIS3_PcPS5_jNS1_19radix_merge_compareILb0ELb1EcNS0_19identity_decomposerEEEEE10hipError_tT0_T1_T2_jT3_P12ihipStream_tbPNSt15iterator_traitsISE_E10value_typeEPNSK_ISF_E10value_typeEPSG_NS1_7vsmem_tEENKUlT_SE_SF_SG_E_clIS8_S8_S9_S9_EESD_ST_SE_SF_SG_EUlST_E1_NS1_11comp_targetILNS1_3genE2ELNS1_11target_archE906ELNS1_3gpuE6ELNS1_3repE0EEENS1_36merge_oddeven_config_static_selectorELNS0_4arch9wavefront6targetE1EEEvSF_ ; -- Begin function _ZN7rocprim17ROCPRIM_400000_NS6detail17trampoline_kernelINS0_14default_configENS1_38merge_sort_block_merge_config_selectorIcNS0_10empty_typeEEEZZNS1_27merge_sort_block_merge_implIS3_PcPS5_jNS1_19radix_merge_compareILb0ELb1EcNS0_19identity_decomposerEEEEE10hipError_tT0_T1_T2_jT3_P12ihipStream_tbPNSt15iterator_traitsISE_E10value_typeEPNSK_ISF_E10value_typeEPSG_NS1_7vsmem_tEENKUlT_SE_SF_SG_E_clIS8_S8_S9_S9_EESD_ST_SE_SF_SG_EUlST_E1_NS1_11comp_targetILNS1_3genE2ELNS1_11target_archE906ELNS1_3gpuE6ELNS1_3repE0EEENS1_36merge_oddeven_config_static_selectorELNS0_4arch9wavefront6targetE1EEEvSF_
	.globl	_ZN7rocprim17ROCPRIM_400000_NS6detail17trampoline_kernelINS0_14default_configENS1_38merge_sort_block_merge_config_selectorIcNS0_10empty_typeEEEZZNS1_27merge_sort_block_merge_implIS3_PcPS5_jNS1_19radix_merge_compareILb0ELb1EcNS0_19identity_decomposerEEEEE10hipError_tT0_T1_T2_jT3_P12ihipStream_tbPNSt15iterator_traitsISE_E10value_typeEPNSK_ISF_E10value_typeEPSG_NS1_7vsmem_tEENKUlT_SE_SF_SG_E_clIS8_S8_S9_S9_EESD_ST_SE_SF_SG_EUlST_E1_NS1_11comp_targetILNS1_3genE2ELNS1_11target_archE906ELNS1_3gpuE6ELNS1_3repE0EEENS1_36merge_oddeven_config_static_selectorELNS0_4arch9wavefront6targetE1EEEvSF_
	.p2align	8
	.type	_ZN7rocprim17ROCPRIM_400000_NS6detail17trampoline_kernelINS0_14default_configENS1_38merge_sort_block_merge_config_selectorIcNS0_10empty_typeEEEZZNS1_27merge_sort_block_merge_implIS3_PcPS5_jNS1_19radix_merge_compareILb0ELb1EcNS0_19identity_decomposerEEEEE10hipError_tT0_T1_T2_jT3_P12ihipStream_tbPNSt15iterator_traitsISE_E10value_typeEPNSK_ISF_E10value_typeEPSG_NS1_7vsmem_tEENKUlT_SE_SF_SG_E_clIS8_S8_S9_S9_EESD_ST_SE_SF_SG_EUlST_E1_NS1_11comp_targetILNS1_3genE2ELNS1_11target_archE906ELNS1_3gpuE6ELNS1_3repE0EEENS1_36merge_oddeven_config_static_selectorELNS0_4arch9wavefront6targetE1EEEvSF_,@function
_ZN7rocprim17ROCPRIM_400000_NS6detail17trampoline_kernelINS0_14default_configENS1_38merge_sort_block_merge_config_selectorIcNS0_10empty_typeEEEZZNS1_27merge_sort_block_merge_implIS3_PcPS5_jNS1_19radix_merge_compareILb0ELb1EcNS0_19identity_decomposerEEEEE10hipError_tT0_T1_T2_jT3_P12ihipStream_tbPNSt15iterator_traitsISE_E10value_typeEPNSK_ISF_E10value_typeEPSG_NS1_7vsmem_tEENKUlT_SE_SF_SG_E_clIS8_S8_S9_S9_EESD_ST_SE_SF_SG_EUlST_E1_NS1_11comp_targetILNS1_3genE2ELNS1_11target_archE906ELNS1_3gpuE6ELNS1_3repE0EEENS1_36merge_oddeven_config_static_selectorELNS0_4arch9wavefront6targetE1EEEvSF_: ; @_ZN7rocprim17ROCPRIM_400000_NS6detail17trampoline_kernelINS0_14default_configENS1_38merge_sort_block_merge_config_selectorIcNS0_10empty_typeEEEZZNS1_27merge_sort_block_merge_implIS3_PcPS5_jNS1_19radix_merge_compareILb0ELb1EcNS0_19identity_decomposerEEEEE10hipError_tT0_T1_T2_jT3_P12ihipStream_tbPNSt15iterator_traitsISE_E10value_typeEPNSK_ISF_E10value_typeEPSG_NS1_7vsmem_tEENKUlT_SE_SF_SG_E_clIS8_S8_S9_S9_EESD_ST_SE_SF_SG_EUlST_E1_NS1_11comp_targetILNS1_3genE2ELNS1_11target_archE906ELNS1_3gpuE6ELNS1_3repE0EEENS1_36merge_oddeven_config_static_selectorELNS0_4arch9wavefront6targetE1EEEvSF_
; %bb.0:
	.section	.rodata,"a",@progbits
	.p2align	6, 0x0
	.amdhsa_kernel _ZN7rocprim17ROCPRIM_400000_NS6detail17trampoline_kernelINS0_14default_configENS1_38merge_sort_block_merge_config_selectorIcNS0_10empty_typeEEEZZNS1_27merge_sort_block_merge_implIS3_PcPS5_jNS1_19radix_merge_compareILb0ELb1EcNS0_19identity_decomposerEEEEE10hipError_tT0_T1_T2_jT3_P12ihipStream_tbPNSt15iterator_traitsISE_E10value_typeEPNSK_ISF_E10value_typeEPSG_NS1_7vsmem_tEENKUlT_SE_SF_SG_E_clIS8_S8_S9_S9_EESD_ST_SE_SF_SG_EUlST_E1_NS1_11comp_targetILNS1_3genE2ELNS1_11target_archE906ELNS1_3gpuE6ELNS1_3repE0EEENS1_36merge_oddeven_config_static_selectorELNS0_4arch9wavefront6targetE1EEEvSF_
		.amdhsa_group_segment_fixed_size 0
		.amdhsa_private_segment_fixed_size 0
		.amdhsa_kernarg_size 48
		.amdhsa_user_sgpr_count 6
		.amdhsa_user_sgpr_private_segment_buffer 1
		.amdhsa_user_sgpr_dispatch_ptr 0
		.amdhsa_user_sgpr_queue_ptr 0
		.amdhsa_user_sgpr_kernarg_segment_ptr 1
		.amdhsa_user_sgpr_dispatch_id 0
		.amdhsa_user_sgpr_flat_scratch_init 0
		.amdhsa_user_sgpr_kernarg_preload_length 0
		.amdhsa_user_sgpr_kernarg_preload_offset 0
		.amdhsa_user_sgpr_private_segment_size 0
		.amdhsa_uses_dynamic_stack 0
		.amdhsa_system_sgpr_private_segment_wavefront_offset 0
		.amdhsa_system_sgpr_workgroup_id_x 1
		.amdhsa_system_sgpr_workgroup_id_y 0
		.amdhsa_system_sgpr_workgroup_id_z 0
		.amdhsa_system_sgpr_workgroup_info 0
		.amdhsa_system_vgpr_workitem_id 0
		.amdhsa_next_free_vgpr 1
		.amdhsa_next_free_sgpr 0
		.amdhsa_accum_offset 4
		.amdhsa_reserve_vcc 0
		.amdhsa_reserve_flat_scratch 0
		.amdhsa_float_round_mode_32 0
		.amdhsa_float_round_mode_16_64 0
		.amdhsa_float_denorm_mode_32 3
		.amdhsa_float_denorm_mode_16_64 3
		.amdhsa_dx10_clamp 1
		.amdhsa_ieee_mode 1
		.amdhsa_fp16_overflow 0
		.amdhsa_tg_split 0
		.amdhsa_exception_fp_ieee_invalid_op 0
		.amdhsa_exception_fp_denorm_src 0
		.amdhsa_exception_fp_ieee_div_zero 0
		.amdhsa_exception_fp_ieee_overflow 0
		.amdhsa_exception_fp_ieee_underflow 0
		.amdhsa_exception_fp_ieee_inexact 0
		.amdhsa_exception_int_div_zero 0
	.end_amdhsa_kernel
	.section	.text._ZN7rocprim17ROCPRIM_400000_NS6detail17trampoline_kernelINS0_14default_configENS1_38merge_sort_block_merge_config_selectorIcNS0_10empty_typeEEEZZNS1_27merge_sort_block_merge_implIS3_PcPS5_jNS1_19radix_merge_compareILb0ELb1EcNS0_19identity_decomposerEEEEE10hipError_tT0_T1_T2_jT3_P12ihipStream_tbPNSt15iterator_traitsISE_E10value_typeEPNSK_ISF_E10value_typeEPSG_NS1_7vsmem_tEENKUlT_SE_SF_SG_E_clIS8_S8_S9_S9_EESD_ST_SE_SF_SG_EUlST_E1_NS1_11comp_targetILNS1_3genE2ELNS1_11target_archE906ELNS1_3gpuE6ELNS1_3repE0EEENS1_36merge_oddeven_config_static_selectorELNS0_4arch9wavefront6targetE1EEEvSF_,"axG",@progbits,_ZN7rocprim17ROCPRIM_400000_NS6detail17trampoline_kernelINS0_14default_configENS1_38merge_sort_block_merge_config_selectorIcNS0_10empty_typeEEEZZNS1_27merge_sort_block_merge_implIS3_PcPS5_jNS1_19radix_merge_compareILb0ELb1EcNS0_19identity_decomposerEEEEE10hipError_tT0_T1_T2_jT3_P12ihipStream_tbPNSt15iterator_traitsISE_E10value_typeEPNSK_ISF_E10value_typeEPSG_NS1_7vsmem_tEENKUlT_SE_SF_SG_E_clIS8_S8_S9_S9_EESD_ST_SE_SF_SG_EUlST_E1_NS1_11comp_targetILNS1_3genE2ELNS1_11target_archE906ELNS1_3gpuE6ELNS1_3repE0EEENS1_36merge_oddeven_config_static_selectorELNS0_4arch9wavefront6targetE1EEEvSF_,comdat
.Lfunc_end79:
	.size	_ZN7rocprim17ROCPRIM_400000_NS6detail17trampoline_kernelINS0_14default_configENS1_38merge_sort_block_merge_config_selectorIcNS0_10empty_typeEEEZZNS1_27merge_sort_block_merge_implIS3_PcPS5_jNS1_19radix_merge_compareILb0ELb1EcNS0_19identity_decomposerEEEEE10hipError_tT0_T1_T2_jT3_P12ihipStream_tbPNSt15iterator_traitsISE_E10value_typeEPNSK_ISF_E10value_typeEPSG_NS1_7vsmem_tEENKUlT_SE_SF_SG_E_clIS8_S8_S9_S9_EESD_ST_SE_SF_SG_EUlST_E1_NS1_11comp_targetILNS1_3genE2ELNS1_11target_archE906ELNS1_3gpuE6ELNS1_3repE0EEENS1_36merge_oddeven_config_static_selectorELNS0_4arch9wavefront6targetE1EEEvSF_, .Lfunc_end79-_ZN7rocprim17ROCPRIM_400000_NS6detail17trampoline_kernelINS0_14default_configENS1_38merge_sort_block_merge_config_selectorIcNS0_10empty_typeEEEZZNS1_27merge_sort_block_merge_implIS3_PcPS5_jNS1_19radix_merge_compareILb0ELb1EcNS0_19identity_decomposerEEEEE10hipError_tT0_T1_T2_jT3_P12ihipStream_tbPNSt15iterator_traitsISE_E10value_typeEPNSK_ISF_E10value_typeEPSG_NS1_7vsmem_tEENKUlT_SE_SF_SG_E_clIS8_S8_S9_S9_EESD_ST_SE_SF_SG_EUlST_E1_NS1_11comp_targetILNS1_3genE2ELNS1_11target_archE906ELNS1_3gpuE6ELNS1_3repE0EEENS1_36merge_oddeven_config_static_selectorELNS0_4arch9wavefront6targetE1EEEvSF_
                                        ; -- End function
	.section	.AMDGPU.csdata,"",@progbits
; Kernel info:
; codeLenInByte = 0
; NumSgprs: 4
; NumVgprs: 0
; NumAgprs: 0
; TotalNumVgprs: 0
; ScratchSize: 0
; MemoryBound: 0
; FloatMode: 240
; IeeeMode: 1
; LDSByteSize: 0 bytes/workgroup (compile time only)
; SGPRBlocks: 0
; VGPRBlocks: 0
; NumSGPRsForWavesPerEU: 4
; NumVGPRsForWavesPerEU: 1
; AccumOffset: 4
; Occupancy: 8
; WaveLimiterHint : 0
; COMPUTE_PGM_RSRC2:SCRATCH_EN: 0
; COMPUTE_PGM_RSRC2:USER_SGPR: 6
; COMPUTE_PGM_RSRC2:TRAP_HANDLER: 0
; COMPUTE_PGM_RSRC2:TGID_X_EN: 1
; COMPUTE_PGM_RSRC2:TGID_Y_EN: 0
; COMPUTE_PGM_RSRC2:TGID_Z_EN: 0
; COMPUTE_PGM_RSRC2:TIDIG_COMP_CNT: 0
; COMPUTE_PGM_RSRC3_GFX90A:ACCUM_OFFSET: 0
; COMPUTE_PGM_RSRC3_GFX90A:TG_SPLIT: 0
	.section	.text._ZN7rocprim17ROCPRIM_400000_NS6detail17trampoline_kernelINS0_14default_configENS1_38merge_sort_block_merge_config_selectorIcNS0_10empty_typeEEEZZNS1_27merge_sort_block_merge_implIS3_PcPS5_jNS1_19radix_merge_compareILb0ELb1EcNS0_19identity_decomposerEEEEE10hipError_tT0_T1_T2_jT3_P12ihipStream_tbPNSt15iterator_traitsISE_E10value_typeEPNSK_ISF_E10value_typeEPSG_NS1_7vsmem_tEENKUlT_SE_SF_SG_E_clIS8_S8_S9_S9_EESD_ST_SE_SF_SG_EUlST_E1_NS1_11comp_targetILNS1_3genE9ELNS1_11target_archE1100ELNS1_3gpuE3ELNS1_3repE0EEENS1_36merge_oddeven_config_static_selectorELNS0_4arch9wavefront6targetE1EEEvSF_,"axG",@progbits,_ZN7rocprim17ROCPRIM_400000_NS6detail17trampoline_kernelINS0_14default_configENS1_38merge_sort_block_merge_config_selectorIcNS0_10empty_typeEEEZZNS1_27merge_sort_block_merge_implIS3_PcPS5_jNS1_19radix_merge_compareILb0ELb1EcNS0_19identity_decomposerEEEEE10hipError_tT0_T1_T2_jT3_P12ihipStream_tbPNSt15iterator_traitsISE_E10value_typeEPNSK_ISF_E10value_typeEPSG_NS1_7vsmem_tEENKUlT_SE_SF_SG_E_clIS8_S8_S9_S9_EESD_ST_SE_SF_SG_EUlST_E1_NS1_11comp_targetILNS1_3genE9ELNS1_11target_archE1100ELNS1_3gpuE3ELNS1_3repE0EEENS1_36merge_oddeven_config_static_selectorELNS0_4arch9wavefront6targetE1EEEvSF_,comdat
	.protected	_ZN7rocprim17ROCPRIM_400000_NS6detail17trampoline_kernelINS0_14default_configENS1_38merge_sort_block_merge_config_selectorIcNS0_10empty_typeEEEZZNS1_27merge_sort_block_merge_implIS3_PcPS5_jNS1_19radix_merge_compareILb0ELb1EcNS0_19identity_decomposerEEEEE10hipError_tT0_T1_T2_jT3_P12ihipStream_tbPNSt15iterator_traitsISE_E10value_typeEPNSK_ISF_E10value_typeEPSG_NS1_7vsmem_tEENKUlT_SE_SF_SG_E_clIS8_S8_S9_S9_EESD_ST_SE_SF_SG_EUlST_E1_NS1_11comp_targetILNS1_3genE9ELNS1_11target_archE1100ELNS1_3gpuE3ELNS1_3repE0EEENS1_36merge_oddeven_config_static_selectorELNS0_4arch9wavefront6targetE1EEEvSF_ ; -- Begin function _ZN7rocprim17ROCPRIM_400000_NS6detail17trampoline_kernelINS0_14default_configENS1_38merge_sort_block_merge_config_selectorIcNS0_10empty_typeEEEZZNS1_27merge_sort_block_merge_implIS3_PcPS5_jNS1_19radix_merge_compareILb0ELb1EcNS0_19identity_decomposerEEEEE10hipError_tT0_T1_T2_jT3_P12ihipStream_tbPNSt15iterator_traitsISE_E10value_typeEPNSK_ISF_E10value_typeEPSG_NS1_7vsmem_tEENKUlT_SE_SF_SG_E_clIS8_S8_S9_S9_EESD_ST_SE_SF_SG_EUlST_E1_NS1_11comp_targetILNS1_3genE9ELNS1_11target_archE1100ELNS1_3gpuE3ELNS1_3repE0EEENS1_36merge_oddeven_config_static_selectorELNS0_4arch9wavefront6targetE1EEEvSF_
	.globl	_ZN7rocprim17ROCPRIM_400000_NS6detail17trampoline_kernelINS0_14default_configENS1_38merge_sort_block_merge_config_selectorIcNS0_10empty_typeEEEZZNS1_27merge_sort_block_merge_implIS3_PcPS5_jNS1_19radix_merge_compareILb0ELb1EcNS0_19identity_decomposerEEEEE10hipError_tT0_T1_T2_jT3_P12ihipStream_tbPNSt15iterator_traitsISE_E10value_typeEPNSK_ISF_E10value_typeEPSG_NS1_7vsmem_tEENKUlT_SE_SF_SG_E_clIS8_S8_S9_S9_EESD_ST_SE_SF_SG_EUlST_E1_NS1_11comp_targetILNS1_3genE9ELNS1_11target_archE1100ELNS1_3gpuE3ELNS1_3repE0EEENS1_36merge_oddeven_config_static_selectorELNS0_4arch9wavefront6targetE1EEEvSF_
	.p2align	8
	.type	_ZN7rocprim17ROCPRIM_400000_NS6detail17trampoline_kernelINS0_14default_configENS1_38merge_sort_block_merge_config_selectorIcNS0_10empty_typeEEEZZNS1_27merge_sort_block_merge_implIS3_PcPS5_jNS1_19radix_merge_compareILb0ELb1EcNS0_19identity_decomposerEEEEE10hipError_tT0_T1_T2_jT3_P12ihipStream_tbPNSt15iterator_traitsISE_E10value_typeEPNSK_ISF_E10value_typeEPSG_NS1_7vsmem_tEENKUlT_SE_SF_SG_E_clIS8_S8_S9_S9_EESD_ST_SE_SF_SG_EUlST_E1_NS1_11comp_targetILNS1_3genE9ELNS1_11target_archE1100ELNS1_3gpuE3ELNS1_3repE0EEENS1_36merge_oddeven_config_static_selectorELNS0_4arch9wavefront6targetE1EEEvSF_,@function
_ZN7rocprim17ROCPRIM_400000_NS6detail17trampoline_kernelINS0_14default_configENS1_38merge_sort_block_merge_config_selectorIcNS0_10empty_typeEEEZZNS1_27merge_sort_block_merge_implIS3_PcPS5_jNS1_19radix_merge_compareILb0ELb1EcNS0_19identity_decomposerEEEEE10hipError_tT0_T1_T2_jT3_P12ihipStream_tbPNSt15iterator_traitsISE_E10value_typeEPNSK_ISF_E10value_typeEPSG_NS1_7vsmem_tEENKUlT_SE_SF_SG_E_clIS8_S8_S9_S9_EESD_ST_SE_SF_SG_EUlST_E1_NS1_11comp_targetILNS1_3genE9ELNS1_11target_archE1100ELNS1_3gpuE3ELNS1_3repE0EEENS1_36merge_oddeven_config_static_selectorELNS0_4arch9wavefront6targetE1EEEvSF_: ; @_ZN7rocprim17ROCPRIM_400000_NS6detail17trampoline_kernelINS0_14default_configENS1_38merge_sort_block_merge_config_selectorIcNS0_10empty_typeEEEZZNS1_27merge_sort_block_merge_implIS3_PcPS5_jNS1_19radix_merge_compareILb0ELb1EcNS0_19identity_decomposerEEEEE10hipError_tT0_T1_T2_jT3_P12ihipStream_tbPNSt15iterator_traitsISE_E10value_typeEPNSK_ISF_E10value_typeEPSG_NS1_7vsmem_tEENKUlT_SE_SF_SG_E_clIS8_S8_S9_S9_EESD_ST_SE_SF_SG_EUlST_E1_NS1_11comp_targetILNS1_3genE9ELNS1_11target_archE1100ELNS1_3gpuE3ELNS1_3repE0EEENS1_36merge_oddeven_config_static_selectorELNS0_4arch9wavefront6targetE1EEEvSF_
; %bb.0:
	.section	.rodata,"a",@progbits
	.p2align	6, 0x0
	.amdhsa_kernel _ZN7rocprim17ROCPRIM_400000_NS6detail17trampoline_kernelINS0_14default_configENS1_38merge_sort_block_merge_config_selectorIcNS0_10empty_typeEEEZZNS1_27merge_sort_block_merge_implIS3_PcPS5_jNS1_19radix_merge_compareILb0ELb1EcNS0_19identity_decomposerEEEEE10hipError_tT0_T1_T2_jT3_P12ihipStream_tbPNSt15iterator_traitsISE_E10value_typeEPNSK_ISF_E10value_typeEPSG_NS1_7vsmem_tEENKUlT_SE_SF_SG_E_clIS8_S8_S9_S9_EESD_ST_SE_SF_SG_EUlST_E1_NS1_11comp_targetILNS1_3genE9ELNS1_11target_archE1100ELNS1_3gpuE3ELNS1_3repE0EEENS1_36merge_oddeven_config_static_selectorELNS0_4arch9wavefront6targetE1EEEvSF_
		.amdhsa_group_segment_fixed_size 0
		.amdhsa_private_segment_fixed_size 0
		.amdhsa_kernarg_size 48
		.amdhsa_user_sgpr_count 6
		.amdhsa_user_sgpr_private_segment_buffer 1
		.amdhsa_user_sgpr_dispatch_ptr 0
		.amdhsa_user_sgpr_queue_ptr 0
		.amdhsa_user_sgpr_kernarg_segment_ptr 1
		.amdhsa_user_sgpr_dispatch_id 0
		.amdhsa_user_sgpr_flat_scratch_init 0
		.amdhsa_user_sgpr_kernarg_preload_length 0
		.amdhsa_user_sgpr_kernarg_preload_offset 0
		.amdhsa_user_sgpr_private_segment_size 0
		.amdhsa_uses_dynamic_stack 0
		.amdhsa_system_sgpr_private_segment_wavefront_offset 0
		.amdhsa_system_sgpr_workgroup_id_x 1
		.amdhsa_system_sgpr_workgroup_id_y 0
		.amdhsa_system_sgpr_workgroup_id_z 0
		.amdhsa_system_sgpr_workgroup_info 0
		.amdhsa_system_vgpr_workitem_id 0
		.amdhsa_next_free_vgpr 1
		.amdhsa_next_free_sgpr 0
		.amdhsa_accum_offset 4
		.amdhsa_reserve_vcc 0
		.amdhsa_reserve_flat_scratch 0
		.amdhsa_float_round_mode_32 0
		.amdhsa_float_round_mode_16_64 0
		.amdhsa_float_denorm_mode_32 3
		.amdhsa_float_denorm_mode_16_64 3
		.amdhsa_dx10_clamp 1
		.amdhsa_ieee_mode 1
		.amdhsa_fp16_overflow 0
		.amdhsa_tg_split 0
		.amdhsa_exception_fp_ieee_invalid_op 0
		.amdhsa_exception_fp_denorm_src 0
		.amdhsa_exception_fp_ieee_div_zero 0
		.amdhsa_exception_fp_ieee_overflow 0
		.amdhsa_exception_fp_ieee_underflow 0
		.amdhsa_exception_fp_ieee_inexact 0
		.amdhsa_exception_int_div_zero 0
	.end_amdhsa_kernel
	.section	.text._ZN7rocprim17ROCPRIM_400000_NS6detail17trampoline_kernelINS0_14default_configENS1_38merge_sort_block_merge_config_selectorIcNS0_10empty_typeEEEZZNS1_27merge_sort_block_merge_implIS3_PcPS5_jNS1_19radix_merge_compareILb0ELb1EcNS0_19identity_decomposerEEEEE10hipError_tT0_T1_T2_jT3_P12ihipStream_tbPNSt15iterator_traitsISE_E10value_typeEPNSK_ISF_E10value_typeEPSG_NS1_7vsmem_tEENKUlT_SE_SF_SG_E_clIS8_S8_S9_S9_EESD_ST_SE_SF_SG_EUlST_E1_NS1_11comp_targetILNS1_3genE9ELNS1_11target_archE1100ELNS1_3gpuE3ELNS1_3repE0EEENS1_36merge_oddeven_config_static_selectorELNS0_4arch9wavefront6targetE1EEEvSF_,"axG",@progbits,_ZN7rocprim17ROCPRIM_400000_NS6detail17trampoline_kernelINS0_14default_configENS1_38merge_sort_block_merge_config_selectorIcNS0_10empty_typeEEEZZNS1_27merge_sort_block_merge_implIS3_PcPS5_jNS1_19radix_merge_compareILb0ELb1EcNS0_19identity_decomposerEEEEE10hipError_tT0_T1_T2_jT3_P12ihipStream_tbPNSt15iterator_traitsISE_E10value_typeEPNSK_ISF_E10value_typeEPSG_NS1_7vsmem_tEENKUlT_SE_SF_SG_E_clIS8_S8_S9_S9_EESD_ST_SE_SF_SG_EUlST_E1_NS1_11comp_targetILNS1_3genE9ELNS1_11target_archE1100ELNS1_3gpuE3ELNS1_3repE0EEENS1_36merge_oddeven_config_static_selectorELNS0_4arch9wavefront6targetE1EEEvSF_,comdat
.Lfunc_end80:
	.size	_ZN7rocprim17ROCPRIM_400000_NS6detail17trampoline_kernelINS0_14default_configENS1_38merge_sort_block_merge_config_selectorIcNS0_10empty_typeEEEZZNS1_27merge_sort_block_merge_implIS3_PcPS5_jNS1_19radix_merge_compareILb0ELb1EcNS0_19identity_decomposerEEEEE10hipError_tT0_T1_T2_jT3_P12ihipStream_tbPNSt15iterator_traitsISE_E10value_typeEPNSK_ISF_E10value_typeEPSG_NS1_7vsmem_tEENKUlT_SE_SF_SG_E_clIS8_S8_S9_S9_EESD_ST_SE_SF_SG_EUlST_E1_NS1_11comp_targetILNS1_3genE9ELNS1_11target_archE1100ELNS1_3gpuE3ELNS1_3repE0EEENS1_36merge_oddeven_config_static_selectorELNS0_4arch9wavefront6targetE1EEEvSF_, .Lfunc_end80-_ZN7rocprim17ROCPRIM_400000_NS6detail17trampoline_kernelINS0_14default_configENS1_38merge_sort_block_merge_config_selectorIcNS0_10empty_typeEEEZZNS1_27merge_sort_block_merge_implIS3_PcPS5_jNS1_19radix_merge_compareILb0ELb1EcNS0_19identity_decomposerEEEEE10hipError_tT0_T1_T2_jT3_P12ihipStream_tbPNSt15iterator_traitsISE_E10value_typeEPNSK_ISF_E10value_typeEPSG_NS1_7vsmem_tEENKUlT_SE_SF_SG_E_clIS8_S8_S9_S9_EESD_ST_SE_SF_SG_EUlST_E1_NS1_11comp_targetILNS1_3genE9ELNS1_11target_archE1100ELNS1_3gpuE3ELNS1_3repE0EEENS1_36merge_oddeven_config_static_selectorELNS0_4arch9wavefront6targetE1EEEvSF_
                                        ; -- End function
	.section	.AMDGPU.csdata,"",@progbits
; Kernel info:
; codeLenInByte = 0
; NumSgprs: 4
; NumVgprs: 0
; NumAgprs: 0
; TotalNumVgprs: 0
; ScratchSize: 0
; MemoryBound: 0
; FloatMode: 240
; IeeeMode: 1
; LDSByteSize: 0 bytes/workgroup (compile time only)
; SGPRBlocks: 0
; VGPRBlocks: 0
; NumSGPRsForWavesPerEU: 4
; NumVGPRsForWavesPerEU: 1
; AccumOffset: 4
; Occupancy: 8
; WaveLimiterHint : 0
; COMPUTE_PGM_RSRC2:SCRATCH_EN: 0
; COMPUTE_PGM_RSRC2:USER_SGPR: 6
; COMPUTE_PGM_RSRC2:TRAP_HANDLER: 0
; COMPUTE_PGM_RSRC2:TGID_X_EN: 1
; COMPUTE_PGM_RSRC2:TGID_Y_EN: 0
; COMPUTE_PGM_RSRC2:TGID_Z_EN: 0
; COMPUTE_PGM_RSRC2:TIDIG_COMP_CNT: 0
; COMPUTE_PGM_RSRC3_GFX90A:ACCUM_OFFSET: 0
; COMPUTE_PGM_RSRC3_GFX90A:TG_SPLIT: 0
	.section	.text._ZN7rocprim17ROCPRIM_400000_NS6detail17trampoline_kernelINS0_14default_configENS1_38merge_sort_block_merge_config_selectorIcNS0_10empty_typeEEEZZNS1_27merge_sort_block_merge_implIS3_PcPS5_jNS1_19radix_merge_compareILb0ELb1EcNS0_19identity_decomposerEEEEE10hipError_tT0_T1_T2_jT3_P12ihipStream_tbPNSt15iterator_traitsISE_E10value_typeEPNSK_ISF_E10value_typeEPSG_NS1_7vsmem_tEENKUlT_SE_SF_SG_E_clIS8_S8_S9_S9_EESD_ST_SE_SF_SG_EUlST_E1_NS1_11comp_targetILNS1_3genE8ELNS1_11target_archE1030ELNS1_3gpuE2ELNS1_3repE0EEENS1_36merge_oddeven_config_static_selectorELNS0_4arch9wavefront6targetE1EEEvSF_,"axG",@progbits,_ZN7rocprim17ROCPRIM_400000_NS6detail17trampoline_kernelINS0_14default_configENS1_38merge_sort_block_merge_config_selectorIcNS0_10empty_typeEEEZZNS1_27merge_sort_block_merge_implIS3_PcPS5_jNS1_19radix_merge_compareILb0ELb1EcNS0_19identity_decomposerEEEEE10hipError_tT0_T1_T2_jT3_P12ihipStream_tbPNSt15iterator_traitsISE_E10value_typeEPNSK_ISF_E10value_typeEPSG_NS1_7vsmem_tEENKUlT_SE_SF_SG_E_clIS8_S8_S9_S9_EESD_ST_SE_SF_SG_EUlST_E1_NS1_11comp_targetILNS1_3genE8ELNS1_11target_archE1030ELNS1_3gpuE2ELNS1_3repE0EEENS1_36merge_oddeven_config_static_selectorELNS0_4arch9wavefront6targetE1EEEvSF_,comdat
	.protected	_ZN7rocprim17ROCPRIM_400000_NS6detail17trampoline_kernelINS0_14default_configENS1_38merge_sort_block_merge_config_selectorIcNS0_10empty_typeEEEZZNS1_27merge_sort_block_merge_implIS3_PcPS5_jNS1_19radix_merge_compareILb0ELb1EcNS0_19identity_decomposerEEEEE10hipError_tT0_T1_T2_jT3_P12ihipStream_tbPNSt15iterator_traitsISE_E10value_typeEPNSK_ISF_E10value_typeEPSG_NS1_7vsmem_tEENKUlT_SE_SF_SG_E_clIS8_S8_S9_S9_EESD_ST_SE_SF_SG_EUlST_E1_NS1_11comp_targetILNS1_3genE8ELNS1_11target_archE1030ELNS1_3gpuE2ELNS1_3repE0EEENS1_36merge_oddeven_config_static_selectorELNS0_4arch9wavefront6targetE1EEEvSF_ ; -- Begin function _ZN7rocprim17ROCPRIM_400000_NS6detail17trampoline_kernelINS0_14default_configENS1_38merge_sort_block_merge_config_selectorIcNS0_10empty_typeEEEZZNS1_27merge_sort_block_merge_implIS3_PcPS5_jNS1_19radix_merge_compareILb0ELb1EcNS0_19identity_decomposerEEEEE10hipError_tT0_T1_T2_jT3_P12ihipStream_tbPNSt15iterator_traitsISE_E10value_typeEPNSK_ISF_E10value_typeEPSG_NS1_7vsmem_tEENKUlT_SE_SF_SG_E_clIS8_S8_S9_S9_EESD_ST_SE_SF_SG_EUlST_E1_NS1_11comp_targetILNS1_3genE8ELNS1_11target_archE1030ELNS1_3gpuE2ELNS1_3repE0EEENS1_36merge_oddeven_config_static_selectorELNS0_4arch9wavefront6targetE1EEEvSF_
	.globl	_ZN7rocprim17ROCPRIM_400000_NS6detail17trampoline_kernelINS0_14default_configENS1_38merge_sort_block_merge_config_selectorIcNS0_10empty_typeEEEZZNS1_27merge_sort_block_merge_implIS3_PcPS5_jNS1_19radix_merge_compareILb0ELb1EcNS0_19identity_decomposerEEEEE10hipError_tT0_T1_T2_jT3_P12ihipStream_tbPNSt15iterator_traitsISE_E10value_typeEPNSK_ISF_E10value_typeEPSG_NS1_7vsmem_tEENKUlT_SE_SF_SG_E_clIS8_S8_S9_S9_EESD_ST_SE_SF_SG_EUlST_E1_NS1_11comp_targetILNS1_3genE8ELNS1_11target_archE1030ELNS1_3gpuE2ELNS1_3repE0EEENS1_36merge_oddeven_config_static_selectorELNS0_4arch9wavefront6targetE1EEEvSF_
	.p2align	8
	.type	_ZN7rocprim17ROCPRIM_400000_NS6detail17trampoline_kernelINS0_14default_configENS1_38merge_sort_block_merge_config_selectorIcNS0_10empty_typeEEEZZNS1_27merge_sort_block_merge_implIS3_PcPS5_jNS1_19radix_merge_compareILb0ELb1EcNS0_19identity_decomposerEEEEE10hipError_tT0_T1_T2_jT3_P12ihipStream_tbPNSt15iterator_traitsISE_E10value_typeEPNSK_ISF_E10value_typeEPSG_NS1_7vsmem_tEENKUlT_SE_SF_SG_E_clIS8_S8_S9_S9_EESD_ST_SE_SF_SG_EUlST_E1_NS1_11comp_targetILNS1_3genE8ELNS1_11target_archE1030ELNS1_3gpuE2ELNS1_3repE0EEENS1_36merge_oddeven_config_static_selectorELNS0_4arch9wavefront6targetE1EEEvSF_,@function
_ZN7rocprim17ROCPRIM_400000_NS6detail17trampoline_kernelINS0_14default_configENS1_38merge_sort_block_merge_config_selectorIcNS0_10empty_typeEEEZZNS1_27merge_sort_block_merge_implIS3_PcPS5_jNS1_19radix_merge_compareILb0ELb1EcNS0_19identity_decomposerEEEEE10hipError_tT0_T1_T2_jT3_P12ihipStream_tbPNSt15iterator_traitsISE_E10value_typeEPNSK_ISF_E10value_typeEPSG_NS1_7vsmem_tEENKUlT_SE_SF_SG_E_clIS8_S8_S9_S9_EESD_ST_SE_SF_SG_EUlST_E1_NS1_11comp_targetILNS1_3genE8ELNS1_11target_archE1030ELNS1_3gpuE2ELNS1_3repE0EEENS1_36merge_oddeven_config_static_selectorELNS0_4arch9wavefront6targetE1EEEvSF_: ; @_ZN7rocprim17ROCPRIM_400000_NS6detail17trampoline_kernelINS0_14default_configENS1_38merge_sort_block_merge_config_selectorIcNS0_10empty_typeEEEZZNS1_27merge_sort_block_merge_implIS3_PcPS5_jNS1_19radix_merge_compareILb0ELb1EcNS0_19identity_decomposerEEEEE10hipError_tT0_T1_T2_jT3_P12ihipStream_tbPNSt15iterator_traitsISE_E10value_typeEPNSK_ISF_E10value_typeEPSG_NS1_7vsmem_tEENKUlT_SE_SF_SG_E_clIS8_S8_S9_S9_EESD_ST_SE_SF_SG_EUlST_E1_NS1_11comp_targetILNS1_3genE8ELNS1_11target_archE1030ELNS1_3gpuE2ELNS1_3repE0EEENS1_36merge_oddeven_config_static_selectorELNS0_4arch9wavefront6targetE1EEEvSF_
; %bb.0:
	.section	.rodata,"a",@progbits
	.p2align	6, 0x0
	.amdhsa_kernel _ZN7rocprim17ROCPRIM_400000_NS6detail17trampoline_kernelINS0_14default_configENS1_38merge_sort_block_merge_config_selectorIcNS0_10empty_typeEEEZZNS1_27merge_sort_block_merge_implIS3_PcPS5_jNS1_19radix_merge_compareILb0ELb1EcNS0_19identity_decomposerEEEEE10hipError_tT0_T1_T2_jT3_P12ihipStream_tbPNSt15iterator_traitsISE_E10value_typeEPNSK_ISF_E10value_typeEPSG_NS1_7vsmem_tEENKUlT_SE_SF_SG_E_clIS8_S8_S9_S9_EESD_ST_SE_SF_SG_EUlST_E1_NS1_11comp_targetILNS1_3genE8ELNS1_11target_archE1030ELNS1_3gpuE2ELNS1_3repE0EEENS1_36merge_oddeven_config_static_selectorELNS0_4arch9wavefront6targetE1EEEvSF_
		.amdhsa_group_segment_fixed_size 0
		.amdhsa_private_segment_fixed_size 0
		.amdhsa_kernarg_size 48
		.amdhsa_user_sgpr_count 6
		.amdhsa_user_sgpr_private_segment_buffer 1
		.amdhsa_user_sgpr_dispatch_ptr 0
		.amdhsa_user_sgpr_queue_ptr 0
		.amdhsa_user_sgpr_kernarg_segment_ptr 1
		.amdhsa_user_sgpr_dispatch_id 0
		.amdhsa_user_sgpr_flat_scratch_init 0
		.amdhsa_user_sgpr_kernarg_preload_length 0
		.amdhsa_user_sgpr_kernarg_preload_offset 0
		.amdhsa_user_sgpr_private_segment_size 0
		.amdhsa_uses_dynamic_stack 0
		.amdhsa_system_sgpr_private_segment_wavefront_offset 0
		.amdhsa_system_sgpr_workgroup_id_x 1
		.amdhsa_system_sgpr_workgroup_id_y 0
		.amdhsa_system_sgpr_workgroup_id_z 0
		.amdhsa_system_sgpr_workgroup_info 0
		.amdhsa_system_vgpr_workitem_id 0
		.amdhsa_next_free_vgpr 1
		.amdhsa_next_free_sgpr 0
		.amdhsa_accum_offset 4
		.amdhsa_reserve_vcc 0
		.amdhsa_reserve_flat_scratch 0
		.amdhsa_float_round_mode_32 0
		.amdhsa_float_round_mode_16_64 0
		.amdhsa_float_denorm_mode_32 3
		.amdhsa_float_denorm_mode_16_64 3
		.amdhsa_dx10_clamp 1
		.amdhsa_ieee_mode 1
		.amdhsa_fp16_overflow 0
		.amdhsa_tg_split 0
		.amdhsa_exception_fp_ieee_invalid_op 0
		.amdhsa_exception_fp_denorm_src 0
		.amdhsa_exception_fp_ieee_div_zero 0
		.amdhsa_exception_fp_ieee_overflow 0
		.amdhsa_exception_fp_ieee_underflow 0
		.amdhsa_exception_fp_ieee_inexact 0
		.amdhsa_exception_int_div_zero 0
	.end_amdhsa_kernel
	.section	.text._ZN7rocprim17ROCPRIM_400000_NS6detail17trampoline_kernelINS0_14default_configENS1_38merge_sort_block_merge_config_selectorIcNS0_10empty_typeEEEZZNS1_27merge_sort_block_merge_implIS3_PcPS5_jNS1_19radix_merge_compareILb0ELb1EcNS0_19identity_decomposerEEEEE10hipError_tT0_T1_T2_jT3_P12ihipStream_tbPNSt15iterator_traitsISE_E10value_typeEPNSK_ISF_E10value_typeEPSG_NS1_7vsmem_tEENKUlT_SE_SF_SG_E_clIS8_S8_S9_S9_EESD_ST_SE_SF_SG_EUlST_E1_NS1_11comp_targetILNS1_3genE8ELNS1_11target_archE1030ELNS1_3gpuE2ELNS1_3repE0EEENS1_36merge_oddeven_config_static_selectorELNS0_4arch9wavefront6targetE1EEEvSF_,"axG",@progbits,_ZN7rocprim17ROCPRIM_400000_NS6detail17trampoline_kernelINS0_14default_configENS1_38merge_sort_block_merge_config_selectorIcNS0_10empty_typeEEEZZNS1_27merge_sort_block_merge_implIS3_PcPS5_jNS1_19radix_merge_compareILb0ELb1EcNS0_19identity_decomposerEEEEE10hipError_tT0_T1_T2_jT3_P12ihipStream_tbPNSt15iterator_traitsISE_E10value_typeEPNSK_ISF_E10value_typeEPSG_NS1_7vsmem_tEENKUlT_SE_SF_SG_E_clIS8_S8_S9_S9_EESD_ST_SE_SF_SG_EUlST_E1_NS1_11comp_targetILNS1_3genE8ELNS1_11target_archE1030ELNS1_3gpuE2ELNS1_3repE0EEENS1_36merge_oddeven_config_static_selectorELNS0_4arch9wavefront6targetE1EEEvSF_,comdat
.Lfunc_end81:
	.size	_ZN7rocprim17ROCPRIM_400000_NS6detail17trampoline_kernelINS0_14default_configENS1_38merge_sort_block_merge_config_selectorIcNS0_10empty_typeEEEZZNS1_27merge_sort_block_merge_implIS3_PcPS5_jNS1_19radix_merge_compareILb0ELb1EcNS0_19identity_decomposerEEEEE10hipError_tT0_T1_T2_jT3_P12ihipStream_tbPNSt15iterator_traitsISE_E10value_typeEPNSK_ISF_E10value_typeEPSG_NS1_7vsmem_tEENKUlT_SE_SF_SG_E_clIS8_S8_S9_S9_EESD_ST_SE_SF_SG_EUlST_E1_NS1_11comp_targetILNS1_3genE8ELNS1_11target_archE1030ELNS1_3gpuE2ELNS1_3repE0EEENS1_36merge_oddeven_config_static_selectorELNS0_4arch9wavefront6targetE1EEEvSF_, .Lfunc_end81-_ZN7rocprim17ROCPRIM_400000_NS6detail17trampoline_kernelINS0_14default_configENS1_38merge_sort_block_merge_config_selectorIcNS0_10empty_typeEEEZZNS1_27merge_sort_block_merge_implIS3_PcPS5_jNS1_19radix_merge_compareILb0ELb1EcNS0_19identity_decomposerEEEEE10hipError_tT0_T1_T2_jT3_P12ihipStream_tbPNSt15iterator_traitsISE_E10value_typeEPNSK_ISF_E10value_typeEPSG_NS1_7vsmem_tEENKUlT_SE_SF_SG_E_clIS8_S8_S9_S9_EESD_ST_SE_SF_SG_EUlST_E1_NS1_11comp_targetILNS1_3genE8ELNS1_11target_archE1030ELNS1_3gpuE2ELNS1_3repE0EEENS1_36merge_oddeven_config_static_selectorELNS0_4arch9wavefront6targetE1EEEvSF_
                                        ; -- End function
	.section	.AMDGPU.csdata,"",@progbits
; Kernel info:
; codeLenInByte = 0
; NumSgprs: 4
; NumVgprs: 0
; NumAgprs: 0
; TotalNumVgprs: 0
; ScratchSize: 0
; MemoryBound: 0
; FloatMode: 240
; IeeeMode: 1
; LDSByteSize: 0 bytes/workgroup (compile time only)
; SGPRBlocks: 0
; VGPRBlocks: 0
; NumSGPRsForWavesPerEU: 4
; NumVGPRsForWavesPerEU: 1
; AccumOffset: 4
; Occupancy: 8
; WaveLimiterHint : 0
; COMPUTE_PGM_RSRC2:SCRATCH_EN: 0
; COMPUTE_PGM_RSRC2:USER_SGPR: 6
; COMPUTE_PGM_RSRC2:TRAP_HANDLER: 0
; COMPUTE_PGM_RSRC2:TGID_X_EN: 1
; COMPUTE_PGM_RSRC2:TGID_Y_EN: 0
; COMPUTE_PGM_RSRC2:TGID_Z_EN: 0
; COMPUTE_PGM_RSRC2:TIDIG_COMP_CNT: 0
; COMPUTE_PGM_RSRC3_GFX90A:ACCUM_OFFSET: 0
; COMPUTE_PGM_RSRC3_GFX90A:TG_SPLIT: 0
	.section	.text._ZN7rocprim17ROCPRIM_400000_NS6detail17trampoline_kernelINS0_14default_configENS1_35radix_sort_onesweep_config_selectorIcNS0_10empty_typeEEEZNS1_34radix_sort_onesweep_global_offsetsIS3_Lb0EPcPS5_mNS0_19identity_decomposerEEE10hipError_tT1_T2_PT3_SE_jT4_jjP12ihipStream_tbEUlT_E_NS1_11comp_targetILNS1_3genE0ELNS1_11target_archE4294967295ELNS1_3gpuE0ELNS1_3repE0EEENS1_52radix_sort_onesweep_histogram_config_static_selectorELNS0_4arch9wavefront6targetE1EEEvSC_,"axG",@progbits,_ZN7rocprim17ROCPRIM_400000_NS6detail17trampoline_kernelINS0_14default_configENS1_35radix_sort_onesweep_config_selectorIcNS0_10empty_typeEEEZNS1_34radix_sort_onesweep_global_offsetsIS3_Lb0EPcPS5_mNS0_19identity_decomposerEEE10hipError_tT1_T2_PT3_SE_jT4_jjP12ihipStream_tbEUlT_E_NS1_11comp_targetILNS1_3genE0ELNS1_11target_archE4294967295ELNS1_3gpuE0ELNS1_3repE0EEENS1_52radix_sort_onesweep_histogram_config_static_selectorELNS0_4arch9wavefront6targetE1EEEvSC_,comdat
	.protected	_ZN7rocprim17ROCPRIM_400000_NS6detail17trampoline_kernelINS0_14default_configENS1_35radix_sort_onesweep_config_selectorIcNS0_10empty_typeEEEZNS1_34radix_sort_onesweep_global_offsetsIS3_Lb0EPcPS5_mNS0_19identity_decomposerEEE10hipError_tT1_T2_PT3_SE_jT4_jjP12ihipStream_tbEUlT_E_NS1_11comp_targetILNS1_3genE0ELNS1_11target_archE4294967295ELNS1_3gpuE0ELNS1_3repE0EEENS1_52radix_sort_onesweep_histogram_config_static_selectorELNS0_4arch9wavefront6targetE1EEEvSC_ ; -- Begin function _ZN7rocprim17ROCPRIM_400000_NS6detail17trampoline_kernelINS0_14default_configENS1_35radix_sort_onesweep_config_selectorIcNS0_10empty_typeEEEZNS1_34radix_sort_onesweep_global_offsetsIS3_Lb0EPcPS5_mNS0_19identity_decomposerEEE10hipError_tT1_T2_PT3_SE_jT4_jjP12ihipStream_tbEUlT_E_NS1_11comp_targetILNS1_3genE0ELNS1_11target_archE4294967295ELNS1_3gpuE0ELNS1_3repE0EEENS1_52radix_sort_onesweep_histogram_config_static_selectorELNS0_4arch9wavefront6targetE1EEEvSC_
	.globl	_ZN7rocprim17ROCPRIM_400000_NS6detail17trampoline_kernelINS0_14default_configENS1_35radix_sort_onesweep_config_selectorIcNS0_10empty_typeEEEZNS1_34radix_sort_onesweep_global_offsetsIS3_Lb0EPcPS5_mNS0_19identity_decomposerEEE10hipError_tT1_T2_PT3_SE_jT4_jjP12ihipStream_tbEUlT_E_NS1_11comp_targetILNS1_3genE0ELNS1_11target_archE4294967295ELNS1_3gpuE0ELNS1_3repE0EEENS1_52radix_sort_onesweep_histogram_config_static_selectorELNS0_4arch9wavefront6targetE1EEEvSC_
	.p2align	8
	.type	_ZN7rocprim17ROCPRIM_400000_NS6detail17trampoline_kernelINS0_14default_configENS1_35radix_sort_onesweep_config_selectorIcNS0_10empty_typeEEEZNS1_34radix_sort_onesweep_global_offsetsIS3_Lb0EPcPS5_mNS0_19identity_decomposerEEE10hipError_tT1_T2_PT3_SE_jT4_jjP12ihipStream_tbEUlT_E_NS1_11comp_targetILNS1_3genE0ELNS1_11target_archE4294967295ELNS1_3gpuE0ELNS1_3repE0EEENS1_52radix_sort_onesweep_histogram_config_static_selectorELNS0_4arch9wavefront6targetE1EEEvSC_,@function
_ZN7rocprim17ROCPRIM_400000_NS6detail17trampoline_kernelINS0_14default_configENS1_35radix_sort_onesweep_config_selectorIcNS0_10empty_typeEEEZNS1_34radix_sort_onesweep_global_offsetsIS3_Lb0EPcPS5_mNS0_19identity_decomposerEEE10hipError_tT1_T2_PT3_SE_jT4_jjP12ihipStream_tbEUlT_E_NS1_11comp_targetILNS1_3genE0ELNS1_11target_archE4294967295ELNS1_3gpuE0ELNS1_3repE0EEENS1_52radix_sort_onesweep_histogram_config_static_selectorELNS0_4arch9wavefront6targetE1EEEvSC_: ; @_ZN7rocprim17ROCPRIM_400000_NS6detail17trampoline_kernelINS0_14default_configENS1_35radix_sort_onesweep_config_selectorIcNS0_10empty_typeEEEZNS1_34radix_sort_onesweep_global_offsetsIS3_Lb0EPcPS5_mNS0_19identity_decomposerEEE10hipError_tT1_T2_PT3_SE_jT4_jjP12ihipStream_tbEUlT_E_NS1_11comp_targetILNS1_3genE0ELNS1_11target_archE4294967295ELNS1_3gpuE0ELNS1_3repE0EEENS1_52radix_sort_onesweep_histogram_config_static_selectorELNS0_4arch9wavefront6targetE1EEEvSC_
; %bb.0:
	.section	.rodata,"a",@progbits
	.p2align	6, 0x0
	.amdhsa_kernel _ZN7rocprim17ROCPRIM_400000_NS6detail17trampoline_kernelINS0_14default_configENS1_35radix_sort_onesweep_config_selectorIcNS0_10empty_typeEEEZNS1_34radix_sort_onesweep_global_offsetsIS3_Lb0EPcPS5_mNS0_19identity_decomposerEEE10hipError_tT1_T2_PT3_SE_jT4_jjP12ihipStream_tbEUlT_E_NS1_11comp_targetILNS1_3genE0ELNS1_11target_archE4294967295ELNS1_3gpuE0ELNS1_3repE0EEENS1_52radix_sort_onesweep_histogram_config_static_selectorELNS0_4arch9wavefront6targetE1EEEvSC_
		.amdhsa_group_segment_fixed_size 0
		.amdhsa_private_segment_fixed_size 0
		.amdhsa_kernarg_size 48
		.amdhsa_user_sgpr_count 6
		.amdhsa_user_sgpr_private_segment_buffer 1
		.amdhsa_user_sgpr_dispatch_ptr 0
		.amdhsa_user_sgpr_queue_ptr 0
		.amdhsa_user_sgpr_kernarg_segment_ptr 1
		.amdhsa_user_sgpr_dispatch_id 0
		.amdhsa_user_sgpr_flat_scratch_init 0
		.amdhsa_user_sgpr_kernarg_preload_length 0
		.amdhsa_user_sgpr_kernarg_preload_offset 0
		.amdhsa_user_sgpr_private_segment_size 0
		.amdhsa_uses_dynamic_stack 0
		.amdhsa_system_sgpr_private_segment_wavefront_offset 0
		.amdhsa_system_sgpr_workgroup_id_x 1
		.amdhsa_system_sgpr_workgroup_id_y 0
		.amdhsa_system_sgpr_workgroup_id_z 0
		.amdhsa_system_sgpr_workgroup_info 0
		.amdhsa_system_vgpr_workitem_id 0
		.amdhsa_next_free_vgpr 1
		.amdhsa_next_free_sgpr 0
		.amdhsa_accum_offset 4
		.amdhsa_reserve_vcc 0
		.amdhsa_reserve_flat_scratch 0
		.amdhsa_float_round_mode_32 0
		.amdhsa_float_round_mode_16_64 0
		.amdhsa_float_denorm_mode_32 3
		.amdhsa_float_denorm_mode_16_64 3
		.amdhsa_dx10_clamp 1
		.amdhsa_ieee_mode 1
		.amdhsa_fp16_overflow 0
		.amdhsa_tg_split 0
		.amdhsa_exception_fp_ieee_invalid_op 0
		.amdhsa_exception_fp_denorm_src 0
		.amdhsa_exception_fp_ieee_div_zero 0
		.amdhsa_exception_fp_ieee_overflow 0
		.amdhsa_exception_fp_ieee_underflow 0
		.amdhsa_exception_fp_ieee_inexact 0
		.amdhsa_exception_int_div_zero 0
	.end_amdhsa_kernel
	.section	.text._ZN7rocprim17ROCPRIM_400000_NS6detail17trampoline_kernelINS0_14default_configENS1_35radix_sort_onesweep_config_selectorIcNS0_10empty_typeEEEZNS1_34radix_sort_onesweep_global_offsetsIS3_Lb0EPcPS5_mNS0_19identity_decomposerEEE10hipError_tT1_T2_PT3_SE_jT4_jjP12ihipStream_tbEUlT_E_NS1_11comp_targetILNS1_3genE0ELNS1_11target_archE4294967295ELNS1_3gpuE0ELNS1_3repE0EEENS1_52radix_sort_onesweep_histogram_config_static_selectorELNS0_4arch9wavefront6targetE1EEEvSC_,"axG",@progbits,_ZN7rocprim17ROCPRIM_400000_NS6detail17trampoline_kernelINS0_14default_configENS1_35radix_sort_onesweep_config_selectorIcNS0_10empty_typeEEEZNS1_34radix_sort_onesweep_global_offsetsIS3_Lb0EPcPS5_mNS0_19identity_decomposerEEE10hipError_tT1_T2_PT3_SE_jT4_jjP12ihipStream_tbEUlT_E_NS1_11comp_targetILNS1_3genE0ELNS1_11target_archE4294967295ELNS1_3gpuE0ELNS1_3repE0EEENS1_52radix_sort_onesweep_histogram_config_static_selectorELNS0_4arch9wavefront6targetE1EEEvSC_,comdat
.Lfunc_end82:
	.size	_ZN7rocprim17ROCPRIM_400000_NS6detail17trampoline_kernelINS0_14default_configENS1_35radix_sort_onesweep_config_selectorIcNS0_10empty_typeEEEZNS1_34radix_sort_onesweep_global_offsetsIS3_Lb0EPcPS5_mNS0_19identity_decomposerEEE10hipError_tT1_T2_PT3_SE_jT4_jjP12ihipStream_tbEUlT_E_NS1_11comp_targetILNS1_3genE0ELNS1_11target_archE4294967295ELNS1_3gpuE0ELNS1_3repE0EEENS1_52radix_sort_onesweep_histogram_config_static_selectorELNS0_4arch9wavefront6targetE1EEEvSC_, .Lfunc_end82-_ZN7rocprim17ROCPRIM_400000_NS6detail17trampoline_kernelINS0_14default_configENS1_35radix_sort_onesweep_config_selectorIcNS0_10empty_typeEEEZNS1_34radix_sort_onesweep_global_offsetsIS3_Lb0EPcPS5_mNS0_19identity_decomposerEEE10hipError_tT1_T2_PT3_SE_jT4_jjP12ihipStream_tbEUlT_E_NS1_11comp_targetILNS1_3genE0ELNS1_11target_archE4294967295ELNS1_3gpuE0ELNS1_3repE0EEENS1_52radix_sort_onesweep_histogram_config_static_selectorELNS0_4arch9wavefront6targetE1EEEvSC_
                                        ; -- End function
	.section	.AMDGPU.csdata,"",@progbits
; Kernel info:
; codeLenInByte = 0
; NumSgprs: 4
; NumVgprs: 0
; NumAgprs: 0
; TotalNumVgprs: 0
; ScratchSize: 0
; MemoryBound: 0
; FloatMode: 240
; IeeeMode: 1
; LDSByteSize: 0 bytes/workgroup (compile time only)
; SGPRBlocks: 0
; VGPRBlocks: 0
; NumSGPRsForWavesPerEU: 4
; NumVGPRsForWavesPerEU: 1
; AccumOffset: 4
; Occupancy: 8
; WaveLimiterHint : 0
; COMPUTE_PGM_RSRC2:SCRATCH_EN: 0
; COMPUTE_PGM_RSRC2:USER_SGPR: 6
; COMPUTE_PGM_RSRC2:TRAP_HANDLER: 0
; COMPUTE_PGM_RSRC2:TGID_X_EN: 1
; COMPUTE_PGM_RSRC2:TGID_Y_EN: 0
; COMPUTE_PGM_RSRC2:TGID_Z_EN: 0
; COMPUTE_PGM_RSRC2:TIDIG_COMP_CNT: 0
; COMPUTE_PGM_RSRC3_GFX90A:ACCUM_OFFSET: 0
; COMPUTE_PGM_RSRC3_GFX90A:TG_SPLIT: 0
	.section	.text._ZN7rocprim17ROCPRIM_400000_NS6detail17trampoline_kernelINS0_14default_configENS1_35radix_sort_onesweep_config_selectorIcNS0_10empty_typeEEEZNS1_34radix_sort_onesweep_global_offsetsIS3_Lb0EPcPS5_mNS0_19identity_decomposerEEE10hipError_tT1_T2_PT3_SE_jT4_jjP12ihipStream_tbEUlT_E_NS1_11comp_targetILNS1_3genE6ELNS1_11target_archE950ELNS1_3gpuE13ELNS1_3repE0EEENS1_52radix_sort_onesweep_histogram_config_static_selectorELNS0_4arch9wavefront6targetE1EEEvSC_,"axG",@progbits,_ZN7rocprim17ROCPRIM_400000_NS6detail17trampoline_kernelINS0_14default_configENS1_35radix_sort_onesweep_config_selectorIcNS0_10empty_typeEEEZNS1_34radix_sort_onesweep_global_offsetsIS3_Lb0EPcPS5_mNS0_19identity_decomposerEEE10hipError_tT1_T2_PT3_SE_jT4_jjP12ihipStream_tbEUlT_E_NS1_11comp_targetILNS1_3genE6ELNS1_11target_archE950ELNS1_3gpuE13ELNS1_3repE0EEENS1_52radix_sort_onesweep_histogram_config_static_selectorELNS0_4arch9wavefront6targetE1EEEvSC_,comdat
	.protected	_ZN7rocprim17ROCPRIM_400000_NS6detail17trampoline_kernelINS0_14default_configENS1_35radix_sort_onesweep_config_selectorIcNS0_10empty_typeEEEZNS1_34radix_sort_onesweep_global_offsetsIS3_Lb0EPcPS5_mNS0_19identity_decomposerEEE10hipError_tT1_T2_PT3_SE_jT4_jjP12ihipStream_tbEUlT_E_NS1_11comp_targetILNS1_3genE6ELNS1_11target_archE950ELNS1_3gpuE13ELNS1_3repE0EEENS1_52radix_sort_onesweep_histogram_config_static_selectorELNS0_4arch9wavefront6targetE1EEEvSC_ ; -- Begin function _ZN7rocprim17ROCPRIM_400000_NS6detail17trampoline_kernelINS0_14default_configENS1_35radix_sort_onesweep_config_selectorIcNS0_10empty_typeEEEZNS1_34radix_sort_onesweep_global_offsetsIS3_Lb0EPcPS5_mNS0_19identity_decomposerEEE10hipError_tT1_T2_PT3_SE_jT4_jjP12ihipStream_tbEUlT_E_NS1_11comp_targetILNS1_3genE6ELNS1_11target_archE950ELNS1_3gpuE13ELNS1_3repE0EEENS1_52radix_sort_onesweep_histogram_config_static_selectorELNS0_4arch9wavefront6targetE1EEEvSC_
	.globl	_ZN7rocprim17ROCPRIM_400000_NS6detail17trampoline_kernelINS0_14default_configENS1_35radix_sort_onesweep_config_selectorIcNS0_10empty_typeEEEZNS1_34radix_sort_onesweep_global_offsetsIS3_Lb0EPcPS5_mNS0_19identity_decomposerEEE10hipError_tT1_T2_PT3_SE_jT4_jjP12ihipStream_tbEUlT_E_NS1_11comp_targetILNS1_3genE6ELNS1_11target_archE950ELNS1_3gpuE13ELNS1_3repE0EEENS1_52radix_sort_onesweep_histogram_config_static_selectorELNS0_4arch9wavefront6targetE1EEEvSC_
	.p2align	8
	.type	_ZN7rocprim17ROCPRIM_400000_NS6detail17trampoline_kernelINS0_14default_configENS1_35radix_sort_onesweep_config_selectorIcNS0_10empty_typeEEEZNS1_34radix_sort_onesweep_global_offsetsIS3_Lb0EPcPS5_mNS0_19identity_decomposerEEE10hipError_tT1_T2_PT3_SE_jT4_jjP12ihipStream_tbEUlT_E_NS1_11comp_targetILNS1_3genE6ELNS1_11target_archE950ELNS1_3gpuE13ELNS1_3repE0EEENS1_52radix_sort_onesweep_histogram_config_static_selectorELNS0_4arch9wavefront6targetE1EEEvSC_,@function
_ZN7rocprim17ROCPRIM_400000_NS6detail17trampoline_kernelINS0_14default_configENS1_35radix_sort_onesweep_config_selectorIcNS0_10empty_typeEEEZNS1_34radix_sort_onesweep_global_offsetsIS3_Lb0EPcPS5_mNS0_19identity_decomposerEEE10hipError_tT1_T2_PT3_SE_jT4_jjP12ihipStream_tbEUlT_E_NS1_11comp_targetILNS1_3genE6ELNS1_11target_archE950ELNS1_3gpuE13ELNS1_3repE0EEENS1_52radix_sort_onesweep_histogram_config_static_selectorELNS0_4arch9wavefront6targetE1EEEvSC_: ; @_ZN7rocprim17ROCPRIM_400000_NS6detail17trampoline_kernelINS0_14default_configENS1_35radix_sort_onesweep_config_selectorIcNS0_10empty_typeEEEZNS1_34radix_sort_onesweep_global_offsetsIS3_Lb0EPcPS5_mNS0_19identity_decomposerEEE10hipError_tT1_T2_PT3_SE_jT4_jjP12ihipStream_tbEUlT_E_NS1_11comp_targetILNS1_3genE6ELNS1_11target_archE950ELNS1_3gpuE13ELNS1_3repE0EEENS1_52radix_sort_onesweep_histogram_config_static_selectorELNS0_4arch9wavefront6targetE1EEEvSC_
; %bb.0:
	.section	.rodata,"a",@progbits
	.p2align	6, 0x0
	.amdhsa_kernel _ZN7rocprim17ROCPRIM_400000_NS6detail17trampoline_kernelINS0_14default_configENS1_35radix_sort_onesweep_config_selectorIcNS0_10empty_typeEEEZNS1_34radix_sort_onesweep_global_offsetsIS3_Lb0EPcPS5_mNS0_19identity_decomposerEEE10hipError_tT1_T2_PT3_SE_jT4_jjP12ihipStream_tbEUlT_E_NS1_11comp_targetILNS1_3genE6ELNS1_11target_archE950ELNS1_3gpuE13ELNS1_3repE0EEENS1_52radix_sort_onesweep_histogram_config_static_selectorELNS0_4arch9wavefront6targetE1EEEvSC_
		.amdhsa_group_segment_fixed_size 0
		.amdhsa_private_segment_fixed_size 0
		.amdhsa_kernarg_size 48
		.amdhsa_user_sgpr_count 6
		.amdhsa_user_sgpr_private_segment_buffer 1
		.amdhsa_user_sgpr_dispatch_ptr 0
		.amdhsa_user_sgpr_queue_ptr 0
		.amdhsa_user_sgpr_kernarg_segment_ptr 1
		.amdhsa_user_sgpr_dispatch_id 0
		.amdhsa_user_sgpr_flat_scratch_init 0
		.amdhsa_user_sgpr_kernarg_preload_length 0
		.amdhsa_user_sgpr_kernarg_preload_offset 0
		.amdhsa_user_sgpr_private_segment_size 0
		.amdhsa_uses_dynamic_stack 0
		.amdhsa_system_sgpr_private_segment_wavefront_offset 0
		.amdhsa_system_sgpr_workgroup_id_x 1
		.amdhsa_system_sgpr_workgroup_id_y 0
		.amdhsa_system_sgpr_workgroup_id_z 0
		.amdhsa_system_sgpr_workgroup_info 0
		.amdhsa_system_vgpr_workitem_id 0
		.amdhsa_next_free_vgpr 1
		.amdhsa_next_free_sgpr 0
		.amdhsa_accum_offset 4
		.amdhsa_reserve_vcc 0
		.amdhsa_reserve_flat_scratch 0
		.amdhsa_float_round_mode_32 0
		.amdhsa_float_round_mode_16_64 0
		.amdhsa_float_denorm_mode_32 3
		.amdhsa_float_denorm_mode_16_64 3
		.amdhsa_dx10_clamp 1
		.amdhsa_ieee_mode 1
		.amdhsa_fp16_overflow 0
		.amdhsa_tg_split 0
		.amdhsa_exception_fp_ieee_invalid_op 0
		.amdhsa_exception_fp_denorm_src 0
		.amdhsa_exception_fp_ieee_div_zero 0
		.amdhsa_exception_fp_ieee_overflow 0
		.amdhsa_exception_fp_ieee_underflow 0
		.amdhsa_exception_fp_ieee_inexact 0
		.amdhsa_exception_int_div_zero 0
	.end_amdhsa_kernel
	.section	.text._ZN7rocprim17ROCPRIM_400000_NS6detail17trampoline_kernelINS0_14default_configENS1_35radix_sort_onesweep_config_selectorIcNS0_10empty_typeEEEZNS1_34radix_sort_onesweep_global_offsetsIS3_Lb0EPcPS5_mNS0_19identity_decomposerEEE10hipError_tT1_T2_PT3_SE_jT4_jjP12ihipStream_tbEUlT_E_NS1_11comp_targetILNS1_3genE6ELNS1_11target_archE950ELNS1_3gpuE13ELNS1_3repE0EEENS1_52radix_sort_onesweep_histogram_config_static_selectorELNS0_4arch9wavefront6targetE1EEEvSC_,"axG",@progbits,_ZN7rocprim17ROCPRIM_400000_NS6detail17trampoline_kernelINS0_14default_configENS1_35radix_sort_onesweep_config_selectorIcNS0_10empty_typeEEEZNS1_34radix_sort_onesweep_global_offsetsIS3_Lb0EPcPS5_mNS0_19identity_decomposerEEE10hipError_tT1_T2_PT3_SE_jT4_jjP12ihipStream_tbEUlT_E_NS1_11comp_targetILNS1_3genE6ELNS1_11target_archE950ELNS1_3gpuE13ELNS1_3repE0EEENS1_52radix_sort_onesweep_histogram_config_static_selectorELNS0_4arch9wavefront6targetE1EEEvSC_,comdat
.Lfunc_end83:
	.size	_ZN7rocprim17ROCPRIM_400000_NS6detail17trampoline_kernelINS0_14default_configENS1_35radix_sort_onesweep_config_selectorIcNS0_10empty_typeEEEZNS1_34radix_sort_onesweep_global_offsetsIS3_Lb0EPcPS5_mNS0_19identity_decomposerEEE10hipError_tT1_T2_PT3_SE_jT4_jjP12ihipStream_tbEUlT_E_NS1_11comp_targetILNS1_3genE6ELNS1_11target_archE950ELNS1_3gpuE13ELNS1_3repE0EEENS1_52radix_sort_onesweep_histogram_config_static_selectorELNS0_4arch9wavefront6targetE1EEEvSC_, .Lfunc_end83-_ZN7rocprim17ROCPRIM_400000_NS6detail17trampoline_kernelINS0_14default_configENS1_35radix_sort_onesweep_config_selectorIcNS0_10empty_typeEEEZNS1_34radix_sort_onesweep_global_offsetsIS3_Lb0EPcPS5_mNS0_19identity_decomposerEEE10hipError_tT1_T2_PT3_SE_jT4_jjP12ihipStream_tbEUlT_E_NS1_11comp_targetILNS1_3genE6ELNS1_11target_archE950ELNS1_3gpuE13ELNS1_3repE0EEENS1_52radix_sort_onesweep_histogram_config_static_selectorELNS0_4arch9wavefront6targetE1EEEvSC_
                                        ; -- End function
	.section	.AMDGPU.csdata,"",@progbits
; Kernel info:
; codeLenInByte = 0
; NumSgprs: 4
; NumVgprs: 0
; NumAgprs: 0
; TotalNumVgprs: 0
; ScratchSize: 0
; MemoryBound: 0
; FloatMode: 240
; IeeeMode: 1
; LDSByteSize: 0 bytes/workgroup (compile time only)
; SGPRBlocks: 0
; VGPRBlocks: 0
; NumSGPRsForWavesPerEU: 4
; NumVGPRsForWavesPerEU: 1
; AccumOffset: 4
; Occupancy: 8
; WaveLimiterHint : 0
; COMPUTE_PGM_RSRC2:SCRATCH_EN: 0
; COMPUTE_PGM_RSRC2:USER_SGPR: 6
; COMPUTE_PGM_RSRC2:TRAP_HANDLER: 0
; COMPUTE_PGM_RSRC2:TGID_X_EN: 1
; COMPUTE_PGM_RSRC2:TGID_Y_EN: 0
; COMPUTE_PGM_RSRC2:TGID_Z_EN: 0
; COMPUTE_PGM_RSRC2:TIDIG_COMP_CNT: 0
; COMPUTE_PGM_RSRC3_GFX90A:ACCUM_OFFSET: 0
; COMPUTE_PGM_RSRC3_GFX90A:TG_SPLIT: 0
	.section	.text._ZN7rocprim17ROCPRIM_400000_NS6detail17trampoline_kernelINS0_14default_configENS1_35radix_sort_onesweep_config_selectorIcNS0_10empty_typeEEEZNS1_34radix_sort_onesweep_global_offsetsIS3_Lb0EPcPS5_mNS0_19identity_decomposerEEE10hipError_tT1_T2_PT3_SE_jT4_jjP12ihipStream_tbEUlT_E_NS1_11comp_targetILNS1_3genE5ELNS1_11target_archE942ELNS1_3gpuE9ELNS1_3repE0EEENS1_52radix_sort_onesweep_histogram_config_static_selectorELNS0_4arch9wavefront6targetE1EEEvSC_,"axG",@progbits,_ZN7rocprim17ROCPRIM_400000_NS6detail17trampoline_kernelINS0_14default_configENS1_35radix_sort_onesweep_config_selectorIcNS0_10empty_typeEEEZNS1_34radix_sort_onesweep_global_offsetsIS3_Lb0EPcPS5_mNS0_19identity_decomposerEEE10hipError_tT1_T2_PT3_SE_jT4_jjP12ihipStream_tbEUlT_E_NS1_11comp_targetILNS1_3genE5ELNS1_11target_archE942ELNS1_3gpuE9ELNS1_3repE0EEENS1_52radix_sort_onesweep_histogram_config_static_selectorELNS0_4arch9wavefront6targetE1EEEvSC_,comdat
	.protected	_ZN7rocprim17ROCPRIM_400000_NS6detail17trampoline_kernelINS0_14default_configENS1_35radix_sort_onesweep_config_selectorIcNS0_10empty_typeEEEZNS1_34radix_sort_onesweep_global_offsetsIS3_Lb0EPcPS5_mNS0_19identity_decomposerEEE10hipError_tT1_T2_PT3_SE_jT4_jjP12ihipStream_tbEUlT_E_NS1_11comp_targetILNS1_3genE5ELNS1_11target_archE942ELNS1_3gpuE9ELNS1_3repE0EEENS1_52radix_sort_onesweep_histogram_config_static_selectorELNS0_4arch9wavefront6targetE1EEEvSC_ ; -- Begin function _ZN7rocprim17ROCPRIM_400000_NS6detail17trampoline_kernelINS0_14default_configENS1_35radix_sort_onesweep_config_selectorIcNS0_10empty_typeEEEZNS1_34radix_sort_onesweep_global_offsetsIS3_Lb0EPcPS5_mNS0_19identity_decomposerEEE10hipError_tT1_T2_PT3_SE_jT4_jjP12ihipStream_tbEUlT_E_NS1_11comp_targetILNS1_3genE5ELNS1_11target_archE942ELNS1_3gpuE9ELNS1_3repE0EEENS1_52radix_sort_onesweep_histogram_config_static_selectorELNS0_4arch9wavefront6targetE1EEEvSC_
	.globl	_ZN7rocprim17ROCPRIM_400000_NS6detail17trampoline_kernelINS0_14default_configENS1_35radix_sort_onesweep_config_selectorIcNS0_10empty_typeEEEZNS1_34radix_sort_onesweep_global_offsetsIS3_Lb0EPcPS5_mNS0_19identity_decomposerEEE10hipError_tT1_T2_PT3_SE_jT4_jjP12ihipStream_tbEUlT_E_NS1_11comp_targetILNS1_3genE5ELNS1_11target_archE942ELNS1_3gpuE9ELNS1_3repE0EEENS1_52radix_sort_onesweep_histogram_config_static_selectorELNS0_4arch9wavefront6targetE1EEEvSC_
	.p2align	8
	.type	_ZN7rocprim17ROCPRIM_400000_NS6detail17trampoline_kernelINS0_14default_configENS1_35radix_sort_onesweep_config_selectorIcNS0_10empty_typeEEEZNS1_34radix_sort_onesweep_global_offsetsIS3_Lb0EPcPS5_mNS0_19identity_decomposerEEE10hipError_tT1_T2_PT3_SE_jT4_jjP12ihipStream_tbEUlT_E_NS1_11comp_targetILNS1_3genE5ELNS1_11target_archE942ELNS1_3gpuE9ELNS1_3repE0EEENS1_52radix_sort_onesweep_histogram_config_static_selectorELNS0_4arch9wavefront6targetE1EEEvSC_,@function
_ZN7rocprim17ROCPRIM_400000_NS6detail17trampoline_kernelINS0_14default_configENS1_35radix_sort_onesweep_config_selectorIcNS0_10empty_typeEEEZNS1_34radix_sort_onesweep_global_offsetsIS3_Lb0EPcPS5_mNS0_19identity_decomposerEEE10hipError_tT1_T2_PT3_SE_jT4_jjP12ihipStream_tbEUlT_E_NS1_11comp_targetILNS1_3genE5ELNS1_11target_archE942ELNS1_3gpuE9ELNS1_3repE0EEENS1_52radix_sort_onesweep_histogram_config_static_selectorELNS0_4arch9wavefront6targetE1EEEvSC_: ; @_ZN7rocprim17ROCPRIM_400000_NS6detail17trampoline_kernelINS0_14default_configENS1_35radix_sort_onesweep_config_selectorIcNS0_10empty_typeEEEZNS1_34radix_sort_onesweep_global_offsetsIS3_Lb0EPcPS5_mNS0_19identity_decomposerEEE10hipError_tT1_T2_PT3_SE_jT4_jjP12ihipStream_tbEUlT_E_NS1_11comp_targetILNS1_3genE5ELNS1_11target_archE942ELNS1_3gpuE9ELNS1_3repE0EEENS1_52radix_sort_onesweep_histogram_config_static_selectorELNS0_4arch9wavefront6targetE1EEEvSC_
; %bb.0:
	.section	.rodata,"a",@progbits
	.p2align	6, 0x0
	.amdhsa_kernel _ZN7rocprim17ROCPRIM_400000_NS6detail17trampoline_kernelINS0_14default_configENS1_35radix_sort_onesweep_config_selectorIcNS0_10empty_typeEEEZNS1_34radix_sort_onesweep_global_offsetsIS3_Lb0EPcPS5_mNS0_19identity_decomposerEEE10hipError_tT1_T2_PT3_SE_jT4_jjP12ihipStream_tbEUlT_E_NS1_11comp_targetILNS1_3genE5ELNS1_11target_archE942ELNS1_3gpuE9ELNS1_3repE0EEENS1_52radix_sort_onesweep_histogram_config_static_selectorELNS0_4arch9wavefront6targetE1EEEvSC_
		.amdhsa_group_segment_fixed_size 0
		.amdhsa_private_segment_fixed_size 0
		.amdhsa_kernarg_size 48
		.amdhsa_user_sgpr_count 6
		.amdhsa_user_sgpr_private_segment_buffer 1
		.amdhsa_user_sgpr_dispatch_ptr 0
		.amdhsa_user_sgpr_queue_ptr 0
		.amdhsa_user_sgpr_kernarg_segment_ptr 1
		.amdhsa_user_sgpr_dispatch_id 0
		.amdhsa_user_sgpr_flat_scratch_init 0
		.amdhsa_user_sgpr_kernarg_preload_length 0
		.amdhsa_user_sgpr_kernarg_preload_offset 0
		.amdhsa_user_sgpr_private_segment_size 0
		.amdhsa_uses_dynamic_stack 0
		.amdhsa_system_sgpr_private_segment_wavefront_offset 0
		.amdhsa_system_sgpr_workgroup_id_x 1
		.amdhsa_system_sgpr_workgroup_id_y 0
		.amdhsa_system_sgpr_workgroup_id_z 0
		.amdhsa_system_sgpr_workgroup_info 0
		.amdhsa_system_vgpr_workitem_id 0
		.amdhsa_next_free_vgpr 1
		.amdhsa_next_free_sgpr 0
		.amdhsa_accum_offset 4
		.amdhsa_reserve_vcc 0
		.amdhsa_reserve_flat_scratch 0
		.amdhsa_float_round_mode_32 0
		.amdhsa_float_round_mode_16_64 0
		.amdhsa_float_denorm_mode_32 3
		.amdhsa_float_denorm_mode_16_64 3
		.amdhsa_dx10_clamp 1
		.amdhsa_ieee_mode 1
		.amdhsa_fp16_overflow 0
		.amdhsa_tg_split 0
		.amdhsa_exception_fp_ieee_invalid_op 0
		.amdhsa_exception_fp_denorm_src 0
		.amdhsa_exception_fp_ieee_div_zero 0
		.amdhsa_exception_fp_ieee_overflow 0
		.amdhsa_exception_fp_ieee_underflow 0
		.amdhsa_exception_fp_ieee_inexact 0
		.amdhsa_exception_int_div_zero 0
	.end_amdhsa_kernel
	.section	.text._ZN7rocprim17ROCPRIM_400000_NS6detail17trampoline_kernelINS0_14default_configENS1_35radix_sort_onesweep_config_selectorIcNS0_10empty_typeEEEZNS1_34radix_sort_onesweep_global_offsetsIS3_Lb0EPcPS5_mNS0_19identity_decomposerEEE10hipError_tT1_T2_PT3_SE_jT4_jjP12ihipStream_tbEUlT_E_NS1_11comp_targetILNS1_3genE5ELNS1_11target_archE942ELNS1_3gpuE9ELNS1_3repE0EEENS1_52radix_sort_onesweep_histogram_config_static_selectorELNS0_4arch9wavefront6targetE1EEEvSC_,"axG",@progbits,_ZN7rocprim17ROCPRIM_400000_NS6detail17trampoline_kernelINS0_14default_configENS1_35radix_sort_onesweep_config_selectorIcNS0_10empty_typeEEEZNS1_34radix_sort_onesweep_global_offsetsIS3_Lb0EPcPS5_mNS0_19identity_decomposerEEE10hipError_tT1_T2_PT3_SE_jT4_jjP12ihipStream_tbEUlT_E_NS1_11comp_targetILNS1_3genE5ELNS1_11target_archE942ELNS1_3gpuE9ELNS1_3repE0EEENS1_52radix_sort_onesweep_histogram_config_static_selectorELNS0_4arch9wavefront6targetE1EEEvSC_,comdat
.Lfunc_end84:
	.size	_ZN7rocprim17ROCPRIM_400000_NS6detail17trampoline_kernelINS0_14default_configENS1_35radix_sort_onesweep_config_selectorIcNS0_10empty_typeEEEZNS1_34radix_sort_onesweep_global_offsetsIS3_Lb0EPcPS5_mNS0_19identity_decomposerEEE10hipError_tT1_T2_PT3_SE_jT4_jjP12ihipStream_tbEUlT_E_NS1_11comp_targetILNS1_3genE5ELNS1_11target_archE942ELNS1_3gpuE9ELNS1_3repE0EEENS1_52radix_sort_onesweep_histogram_config_static_selectorELNS0_4arch9wavefront6targetE1EEEvSC_, .Lfunc_end84-_ZN7rocprim17ROCPRIM_400000_NS6detail17trampoline_kernelINS0_14default_configENS1_35radix_sort_onesweep_config_selectorIcNS0_10empty_typeEEEZNS1_34radix_sort_onesweep_global_offsetsIS3_Lb0EPcPS5_mNS0_19identity_decomposerEEE10hipError_tT1_T2_PT3_SE_jT4_jjP12ihipStream_tbEUlT_E_NS1_11comp_targetILNS1_3genE5ELNS1_11target_archE942ELNS1_3gpuE9ELNS1_3repE0EEENS1_52radix_sort_onesweep_histogram_config_static_selectorELNS0_4arch9wavefront6targetE1EEEvSC_
                                        ; -- End function
	.section	.AMDGPU.csdata,"",@progbits
; Kernel info:
; codeLenInByte = 0
; NumSgprs: 4
; NumVgprs: 0
; NumAgprs: 0
; TotalNumVgprs: 0
; ScratchSize: 0
; MemoryBound: 0
; FloatMode: 240
; IeeeMode: 1
; LDSByteSize: 0 bytes/workgroup (compile time only)
; SGPRBlocks: 0
; VGPRBlocks: 0
; NumSGPRsForWavesPerEU: 4
; NumVGPRsForWavesPerEU: 1
; AccumOffset: 4
; Occupancy: 8
; WaveLimiterHint : 0
; COMPUTE_PGM_RSRC2:SCRATCH_EN: 0
; COMPUTE_PGM_RSRC2:USER_SGPR: 6
; COMPUTE_PGM_RSRC2:TRAP_HANDLER: 0
; COMPUTE_PGM_RSRC2:TGID_X_EN: 1
; COMPUTE_PGM_RSRC2:TGID_Y_EN: 0
; COMPUTE_PGM_RSRC2:TGID_Z_EN: 0
; COMPUTE_PGM_RSRC2:TIDIG_COMP_CNT: 0
; COMPUTE_PGM_RSRC3_GFX90A:ACCUM_OFFSET: 0
; COMPUTE_PGM_RSRC3_GFX90A:TG_SPLIT: 0
	.section	.text._ZN7rocprim17ROCPRIM_400000_NS6detail17trampoline_kernelINS0_14default_configENS1_35radix_sort_onesweep_config_selectorIcNS0_10empty_typeEEEZNS1_34radix_sort_onesweep_global_offsetsIS3_Lb0EPcPS5_mNS0_19identity_decomposerEEE10hipError_tT1_T2_PT3_SE_jT4_jjP12ihipStream_tbEUlT_E_NS1_11comp_targetILNS1_3genE2ELNS1_11target_archE906ELNS1_3gpuE6ELNS1_3repE0EEENS1_52radix_sort_onesweep_histogram_config_static_selectorELNS0_4arch9wavefront6targetE1EEEvSC_,"axG",@progbits,_ZN7rocprim17ROCPRIM_400000_NS6detail17trampoline_kernelINS0_14default_configENS1_35radix_sort_onesweep_config_selectorIcNS0_10empty_typeEEEZNS1_34radix_sort_onesweep_global_offsetsIS3_Lb0EPcPS5_mNS0_19identity_decomposerEEE10hipError_tT1_T2_PT3_SE_jT4_jjP12ihipStream_tbEUlT_E_NS1_11comp_targetILNS1_3genE2ELNS1_11target_archE906ELNS1_3gpuE6ELNS1_3repE0EEENS1_52radix_sort_onesweep_histogram_config_static_selectorELNS0_4arch9wavefront6targetE1EEEvSC_,comdat
	.protected	_ZN7rocprim17ROCPRIM_400000_NS6detail17trampoline_kernelINS0_14default_configENS1_35radix_sort_onesweep_config_selectorIcNS0_10empty_typeEEEZNS1_34radix_sort_onesweep_global_offsetsIS3_Lb0EPcPS5_mNS0_19identity_decomposerEEE10hipError_tT1_T2_PT3_SE_jT4_jjP12ihipStream_tbEUlT_E_NS1_11comp_targetILNS1_3genE2ELNS1_11target_archE906ELNS1_3gpuE6ELNS1_3repE0EEENS1_52radix_sort_onesweep_histogram_config_static_selectorELNS0_4arch9wavefront6targetE1EEEvSC_ ; -- Begin function _ZN7rocprim17ROCPRIM_400000_NS6detail17trampoline_kernelINS0_14default_configENS1_35radix_sort_onesweep_config_selectorIcNS0_10empty_typeEEEZNS1_34radix_sort_onesweep_global_offsetsIS3_Lb0EPcPS5_mNS0_19identity_decomposerEEE10hipError_tT1_T2_PT3_SE_jT4_jjP12ihipStream_tbEUlT_E_NS1_11comp_targetILNS1_3genE2ELNS1_11target_archE906ELNS1_3gpuE6ELNS1_3repE0EEENS1_52radix_sort_onesweep_histogram_config_static_selectorELNS0_4arch9wavefront6targetE1EEEvSC_
	.globl	_ZN7rocprim17ROCPRIM_400000_NS6detail17trampoline_kernelINS0_14default_configENS1_35radix_sort_onesweep_config_selectorIcNS0_10empty_typeEEEZNS1_34radix_sort_onesweep_global_offsetsIS3_Lb0EPcPS5_mNS0_19identity_decomposerEEE10hipError_tT1_T2_PT3_SE_jT4_jjP12ihipStream_tbEUlT_E_NS1_11comp_targetILNS1_3genE2ELNS1_11target_archE906ELNS1_3gpuE6ELNS1_3repE0EEENS1_52radix_sort_onesweep_histogram_config_static_selectorELNS0_4arch9wavefront6targetE1EEEvSC_
	.p2align	8
	.type	_ZN7rocprim17ROCPRIM_400000_NS6detail17trampoline_kernelINS0_14default_configENS1_35radix_sort_onesweep_config_selectorIcNS0_10empty_typeEEEZNS1_34radix_sort_onesweep_global_offsetsIS3_Lb0EPcPS5_mNS0_19identity_decomposerEEE10hipError_tT1_T2_PT3_SE_jT4_jjP12ihipStream_tbEUlT_E_NS1_11comp_targetILNS1_3genE2ELNS1_11target_archE906ELNS1_3gpuE6ELNS1_3repE0EEENS1_52radix_sort_onesweep_histogram_config_static_selectorELNS0_4arch9wavefront6targetE1EEEvSC_,@function
_ZN7rocprim17ROCPRIM_400000_NS6detail17trampoline_kernelINS0_14default_configENS1_35radix_sort_onesweep_config_selectorIcNS0_10empty_typeEEEZNS1_34radix_sort_onesweep_global_offsetsIS3_Lb0EPcPS5_mNS0_19identity_decomposerEEE10hipError_tT1_T2_PT3_SE_jT4_jjP12ihipStream_tbEUlT_E_NS1_11comp_targetILNS1_3genE2ELNS1_11target_archE906ELNS1_3gpuE6ELNS1_3repE0EEENS1_52radix_sort_onesweep_histogram_config_static_selectorELNS0_4arch9wavefront6targetE1EEEvSC_: ; @_ZN7rocprim17ROCPRIM_400000_NS6detail17trampoline_kernelINS0_14default_configENS1_35radix_sort_onesweep_config_selectorIcNS0_10empty_typeEEEZNS1_34radix_sort_onesweep_global_offsetsIS3_Lb0EPcPS5_mNS0_19identity_decomposerEEE10hipError_tT1_T2_PT3_SE_jT4_jjP12ihipStream_tbEUlT_E_NS1_11comp_targetILNS1_3genE2ELNS1_11target_archE906ELNS1_3gpuE6ELNS1_3repE0EEENS1_52radix_sort_onesweep_histogram_config_static_selectorELNS0_4arch9wavefront6targetE1EEEvSC_
; %bb.0:
	.section	.rodata,"a",@progbits
	.p2align	6, 0x0
	.amdhsa_kernel _ZN7rocprim17ROCPRIM_400000_NS6detail17trampoline_kernelINS0_14default_configENS1_35radix_sort_onesweep_config_selectorIcNS0_10empty_typeEEEZNS1_34radix_sort_onesweep_global_offsetsIS3_Lb0EPcPS5_mNS0_19identity_decomposerEEE10hipError_tT1_T2_PT3_SE_jT4_jjP12ihipStream_tbEUlT_E_NS1_11comp_targetILNS1_3genE2ELNS1_11target_archE906ELNS1_3gpuE6ELNS1_3repE0EEENS1_52radix_sort_onesweep_histogram_config_static_selectorELNS0_4arch9wavefront6targetE1EEEvSC_
		.amdhsa_group_segment_fixed_size 0
		.amdhsa_private_segment_fixed_size 0
		.amdhsa_kernarg_size 48
		.amdhsa_user_sgpr_count 6
		.amdhsa_user_sgpr_private_segment_buffer 1
		.amdhsa_user_sgpr_dispatch_ptr 0
		.amdhsa_user_sgpr_queue_ptr 0
		.amdhsa_user_sgpr_kernarg_segment_ptr 1
		.amdhsa_user_sgpr_dispatch_id 0
		.amdhsa_user_sgpr_flat_scratch_init 0
		.amdhsa_user_sgpr_kernarg_preload_length 0
		.amdhsa_user_sgpr_kernarg_preload_offset 0
		.amdhsa_user_sgpr_private_segment_size 0
		.amdhsa_uses_dynamic_stack 0
		.amdhsa_system_sgpr_private_segment_wavefront_offset 0
		.amdhsa_system_sgpr_workgroup_id_x 1
		.amdhsa_system_sgpr_workgroup_id_y 0
		.amdhsa_system_sgpr_workgroup_id_z 0
		.amdhsa_system_sgpr_workgroup_info 0
		.amdhsa_system_vgpr_workitem_id 0
		.amdhsa_next_free_vgpr 1
		.amdhsa_next_free_sgpr 0
		.amdhsa_accum_offset 4
		.amdhsa_reserve_vcc 0
		.amdhsa_reserve_flat_scratch 0
		.amdhsa_float_round_mode_32 0
		.amdhsa_float_round_mode_16_64 0
		.amdhsa_float_denorm_mode_32 3
		.amdhsa_float_denorm_mode_16_64 3
		.amdhsa_dx10_clamp 1
		.amdhsa_ieee_mode 1
		.amdhsa_fp16_overflow 0
		.amdhsa_tg_split 0
		.amdhsa_exception_fp_ieee_invalid_op 0
		.amdhsa_exception_fp_denorm_src 0
		.amdhsa_exception_fp_ieee_div_zero 0
		.amdhsa_exception_fp_ieee_overflow 0
		.amdhsa_exception_fp_ieee_underflow 0
		.amdhsa_exception_fp_ieee_inexact 0
		.amdhsa_exception_int_div_zero 0
	.end_amdhsa_kernel
	.section	.text._ZN7rocprim17ROCPRIM_400000_NS6detail17trampoline_kernelINS0_14default_configENS1_35radix_sort_onesweep_config_selectorIcNS0_10empty_typeEEEZNS1_34radix_sort_onesweep_global_offsetsIS3_Lb0EPcPS5_mNS0_19identity_decomposerEEE10hipError_tT1_T2_PT3_SE_jT4_jjP12ihipStream_tbEUlT_E_NS1_11comp_targetILNS1_3genE2ELNS1_11target_archE906ELNS1_3gpuE6ELNS1_3repE0EEENS1_52radix_sort_onesweep_histogram_config_static_selectorELNS0_4arch9wavefront6targetE1EEEvSC_,"axG",@progbits,_ZN7rocprim17ROCPRIM_400000_NS6detail17trampoline_kernelINS0_14default_configENS1_35radix_sort_onesweep_config_selectorIcNS0_10empty_typeEEEZNS1_34radix_sort_onesweep_global_offsetsIS3_Lb0EPcPS5_mNS0_19identity_decomposerEEE10hipError_tT1_T2_PT3_SE_jT4_jjP12ihipStream_tbEUlT_E_NS1_11comp_targetILNS1_3genE2ELNS1_11target_archE906ELNS1_3gpuE6ELNS1_3repE0EEENS1_52radix_sort_onesweep_histogram_config_static_selectorELNS0_4arch9wavefront6targetE1EEEvSC_,comdat
.Lfunc_end85:
	.size	_ZN7rocprim17ROCPRIM_400000_NS6detail17trampoline_kernelINS0_14default_configENS1_35radix_sort_onesweep_config_selectorIcNS0_10empty_typeEEEZNS1_34radix_sort_onesweep_global_offsetsIS3_Lb0EPcPS5_mNS0_19identity_decomposerEEE10hipError_tT1_T2_PT3_SE_jT4_jjP12ihipStream_tbEUlT_E_NS1_11comp_targetILNS1_3genE2ELNS1_11target_archE906ELNS1_3gpuE6ELNS1_3repE0EEENS1_52radix_sort_onesweep_histogram_config_static_selectorELNS0_4arch9wavefront6targetE1EEEvSC_, .Lfunc_end85-_ZN7rocprim17ROCPRIM_400000_NS6detail17trampoline_kernelINS0_14default_configENS1_35radix_sort_onesweep_config_selectorIcNS0_10empty_typeEEEZNS1_34radix_sort_onesweep_global_offsetsIS3_Lb0EPcPS5_mNS0_19identity_decomposerEEE10hipError_tT1_T2_PT3_SE_jT4_jjP12ihipStream_tbEUlT_E_NS1_11comp_targetILNS1_3genE2ELNS1_11target_archE906ELNS1_3gpuE6ELNS1_3repE0EEENS1_52radix_sort_onesweep_histogram_config_static_selectorELNS0_4arch9wavefront6targetE1EEEvSC_
                                        ; -- End function
	.section	.AMDGPU.csdata,"",@progbits
; Kernel info:
; codeLenInByte = 0
; NumSgprs: 4
; NumVgprs: 0
; NumAgprs: 0
; TotalNumVgprs: 0
; ScratchSize: 0
; MemoryBound: 0
; FloatMode: 240
; IeeeMode: 1
; LDSByteSize: 0 bytes/workgroup (compile time only)
; SGPRBlocks: 0
; VGPRBlocks: 0
; NumSGPRsForWavesPerEU: 4
; NumVGPRsForWavesPerEU: 1
; AccumOffset: 4
; Occupancy: 8
; WaveLimiterHint : 0
; COMPUTE_PGM_RSRC2:SCRATCH_EN: 0
; COMPUTE_PGM_RSRC2:USER_SGPR: 6
; COMPUTE_PGM_RSRC2:TRAP_HANDLER: 0
; COMPUTE_PGM_RSRC2:TGID_X_EN: 1
; COMPUTE_PGM_RSRC2:TGID_Y_EN: 0
; COMPUTE_PGM_RSRC2:TGID_Z_EN: 0
; COMPUTE_PGM_RSRC2:TIDIG_COMP_CNT: 0
; COMPUTE_PGM_RSRC3_GFX90A:ACCUM_OFFSET: 0
; COMPUTE_PGM_RSRC3_GFX90A:TG_SPLIT: 0
	.section	.text._ZN7rocprim17ROCPRIM_400000_NS6detail17trampoline_kernelINS0_14default_configENS1_35radix_sort_onesweep_config_selectorIcNS0_10empty_typeEEEZNS1_34radix_sort_onesweep_global_offsetsIS3_Lb0EPcPS5_mNS0_19identity_decomposerEEE10hipError_tT1_T2_PT3_SE_jT4_jjP12ihipStream_tbEUlT_E_NS1_11comp_targetILNS1_3genE4ELNS1_11target_archE910ELNS1_3gpuE8ELNS1_3repE0EEENS1_52radix_sort_onesweep_histogram_config_static_selectorELNS0_4arch9wavefront6targetE1EEEvSC_,"axG",@progbits,_ZN7rocprim17ROCPRIM_400000_NS6detail17trampoline_kernelINS0_14default_configENS1_35radix_sort_onesweep_config_selectorIcNS0_10empty_typeEEEZNS1_34radix_sort_onesweep_global_offsetsIS3_Lb0EPcPS5_mNS0_19identity_decomposerEEE10hipError_tT1_T2_PT3_SE_jT4_jjP12ihipStream_tbEUlT_E_NS1_11comp_targetILNS1_3genE4ELNS1_11target_archE910ELNS1_3gpuE8ELNS1_3repE0EEENS1_52radix_sort_onesweep_histogram_config_static_selectorELNS0_4arch9wavefront6targetE1EEEvSC_,comdat
	.protected	_ZN7rocprim17ROCPRIM_400000_NS6detail17trampoline_kernelINS0_14default_configENS1_35radix_sort_onesweep_config_selectorIcNS0_10empty_typeEEEZNS1_34radix_sort_onesweep_global_offsetsIS3_Lb0EPcPS5_mNS0_19identity_decomposerEEE10hipError_tT1_T2_PT3_SE_jT4_jjP12ihipStream_tbEUlT_E_NS1_11comp_targetILNS1_3genE4ELNS1_11target_archE910ELNS1_3gpuE8ELNS1_3repE0EEENS1_52radix_sort_onesweep_histogram_config_static_selectorELNS0_4arch9wavefront6targetE1EEEvSC_ ; -- Begin function _ZN7rocprim17ROCPRIM_400000_NS6detail17trampoline_kernelINS0_14default_configENS1_35radix_sort_onesweep_config_selectorIcNS0_10empty_typeEEEZNS1_34radix_sort_onesweep_global_offsetsIS3_Lb0EPcPS5_mNS0_19identity_decomposerEEE10hipError_tT1_T2_PT3_SE_jT4_jjP12ihipStream_tbEUlT_E_NS1_11comp_targetILNS1_3genE4ELNS1_11target_archE910ELNS1_3gpuE8ELNS1_3repE0EEENS1_52radix_sort_onesweep_histogram_config_static_selectorELNS0_4arch9wavefront6targetE1EEEvSC_
	.globl	_ZN7rocprim17ROCPRIM_400000_NS6detail17trampoline_kernelINS0_14default_configENS1_35radix_sort_onesweep_config_selectorIcNS0_10empty_typeEEEZNS1_34radix_sort_onesweep_global_offsetsIS3_Lb0EPcPS5_mNS0_19identity_decomposerEEE10hipError_tT1_T2_PT3_SE_jT4_jjP12ihipStream_tbEUlT_E_NS1_11comp_targetILNS1_3genE4ELNS1_11target_archE910ELNS1_3gpuE8ELNS1_3repE0EEENS1_52radix_sort_onesweep_histogram_config_static_selectorELNS0_4arch9wavefront6targetE1EEEvSC_
	.p2align	8
	.type	_ZN7rocprim17ROCPRIM_400000_NS6detail17trampoline_kernelINS0_14default_configENS1_35radix_sort_onesweep_config_selectorIcNS0_10empty_typeEEEZNS1_34radix_sort_onesweep_global_offsetsIS3_Lb0EPcPS5_mNS0_19identity_decomposerEEE10hipError_tT1_T2_PT3_SE_jT4_jjP12ihipStream_tbEUlT_E_NS1_11comp_targetILNS1_3genE4ELNS1_11target_archE910ELNS1_3gpuE8ELNS1_3repE0EEENS1_52radix_sort_onesweep_histogram_config_static_selectorELNS0_4arch9wavefront6targetE1EEEvSC_,@function
_ZN7rocprim17ROCPRIM_400000_NS6detail17trampoline_kernelINS0_14default_configENS1_35radix_sort_onesweep_config_selectorIcNS0_10empty_typeEEEZNS1_34radix_sort_onesweep_global_offsetsIS3_Lb0EPcPS5_mNS0_19identity_decomposerEEE10hipError_tT1_T2_PT3_SE_jT4_jjP12ihipStream_tbEUlT_E_NS1_11comp_targetILNS1_3genE4ELNS1_11target_archE910ELNS1_3gpuE8ELNS1_3repE0EEENS1_52radix_sort_onesweep_histogram_config_static_selectorELNS0_4arch9wavefront6targetE1EEEvSC_: ; @_ZN7rocprim17ROCPRIM_400000_NS6detail17trampoline_kernelINS0_14default_configENS1_35radix_sort_onesweep_config_selectorIcNS0_10empty_typeEEEZNS1_34radix_sort_onesweep_global_offsetsIS3_Lb0EPcPS5_mNS0_19identity_decomposerEEE10hipError_tT1_T2_PT3_SE_jT4_jjP12ihipStream_tbEUlT_E_NS1_11comp_targetILNS1_3genE4ELNS1_11target_archE910ELNS1_3gpuE8ELNS1_3repE0EEENS1_52radix_sort_onesweep_histogram_config_static_selectorELNS0_4arch9wavefront6targetE1EEEvSC_
; %bb.0:
	s_load_dwordx4 s[8:11], s[4:5], 0x0
	s_load_dwordx2 s[0:1], s[4:5], 0x18
	s_load_dwordx2 s[12:13], s[4:5], 0x24
	v_mov_b32_e32 v2, s6
	v_mov_b32_e32 v3, 0
	s_mul_hi_u32 s3, s6, 0x2c00
	s_mulk_i32 s6, 0x2c00
	s_waitcnt lgkmcnt(0)
	v_cmp_le_u64_e32 vcc, s[0:1], v[2:3]
	s_add_u32 s2, s8, s6
	s_addc_u32 s3, s9, s3
	v_and_b32_e32 v1, 3, v0
	s_mov_b64 s[6:7], -1
	s_cbranch_vccz .LBB86_207
; %bb.1:
	s_load_dword s14, s[4:5], 0x10
	s_mulk_i32 s0, 0xd400
                                        ; implicit-def: $vgpr44
	s_waitcnt lgkmcnt(0)
	s_add_i32 s14, s14, s0
	v_cmp_gt_u32_e32 vcc, s14, v0
	s_and_saveexec_b64 s[0:1], vcc
	s_cbranch_execz .LBB86_3
; %bb.2:
	global_load_ubyte v44, v0, s[2:3]
.LBB86_3:
	s_or_b64 exec, exec, s[0:1]
	v_or_b32_e32 v42, 0x200, v0
	v_cmp_gt_u32_e32 vcc, s14, v42
                                        ; implicit-def: $vgpr43
	s_and_saveexec_b64 s[0:1], vcc
	s_cbranch_execz .LBB86_5
; %bb.4:
	global_load_ubyte v43, v0, s[2:3] offset:512
.LBB86_5:
	s_or_b64 exec, exec, s[0:1]
	v_or_b32_e32 v40, 0x400, v0
	v_cmp_gt_u32_e32 vcc, s14, v40
                                        ; implicit-def: $vgpr41
	s_and_saveexec_b64 s[0:1], vcc
	s_cbranch_execz .LBB86_7
; %bb.6:
	global_load_ubyte v41, v0, s[2:3] offset:1024
.LBB86_7:
	s_or_b64 exec, exec, s[0:1]
	v_or_b32_e32 v38, 0x600, v0
	v_cmp_gt_u32_e32 vcc, s14, v38
                                        ; implicit-def: $vgpr39
	s_and_saveexec_b64 s[0:1], vcc
	s_cbranch_execz .LBB86_9
; %bb.8:
	global_load_ubyte v39, v0, s[2:3] offset:1536
.LBB86_9:
	s_or_b64 exec, exec, s[0:1]
	v_or_b32_e32 v36, 0x800, v0
	v_cmp_gt_u32_e32 vcc, s14, v36
                                        ; implicit-def: $vgpr37
	s_and_saveexec_b64 s[0:1], vcc
	s_cbranch_execz .LBB86_11
; %bb.10:
	global_load_ubyte v37, v0, s[2:3] offset:2048
.LBB86_11:
	s_or_b64 exec, exec, s[0:1]
	v_or_b32_e32 v34, 0xa00, v0
	v_cmp_gt_u32_e32 vcc, s14, v34
                                        ; implicit-def: $vgpr35
	s_and_saveexec_b64 s[0:1], vcc
	s_cbranch_execz .LBB86_13
; %bb.12:
	global_load_ubyte v35, v0, s[2:3] offset:2560
.LBB86_13:
	s_or_b64 exec, exec, s[0:1]
	v_or_b32_e32 v32, 0xc00, v0
	v_cmp_gt_u32_e32 vcc, s14, v32
                                        ; implicit-def: $vgpr33
	s_and_saveexec_b64 s[0:1], vcc
	s_cbranch_execz .LBB86_15
; %bb.14:
	global_load_ubyte v33, v0, s[2:3] offset:3072
.LBB86_15:
	s_or_b64 exec, exec, s[0:1]
	v_or_b32_e32 v30, 0xe00, v0
	v_cmp_gt_u32_e32 vcc, s14, v30
                                        ; implicit-def: $vgpr31
	s_and_saveexec_b64 s[0:1], vcc
	s_cbranch_execz .LBB86_17
; %bb.16:
	global_load_ubyte v31, v0, s[2:3] offset:3584
.LBB86_17:
	s_or_b64 exec, exec, s[0:1]
	v_or_b32_e32 v28, 0x1000, v0
	v_cmp_gt_u32_e32 vcc, s14, v28
                                        ; implicit-def: $vgpr29
	s_and_saveexec_b64 s[0:1], vcc
	s_cbranch_execz .LBB86_19
; %bb.18:
	global_load_ubyte v29, v28, s[2:3]
.LBB86_19:
	s_or_b64 exec, exec, s[0:1]
	v_or_b32_e32 v26, 0x1200, v0
	v_cmp_gt_u32_e32 vcc, s14, v26
                                        ; implicit-def: $vgpr27
	s_and_saveexec_b64 s[0:1], vcc
	s_cbranch_execz .LBB86_21
; %bb.20:
	global_load_ubyte v27, v26, s[2:3]
.LBB86_21:
	s_or_b64 exec, exec, s[0:1]
	v_or_b32_e32 v24, 0x1400, v0
	v_cmp_gt_u32_e32 vcc, s14, v24
                                        ; implicit-def: $vgpr25
	s_and_saveexec_b64 s[0:1], vcc
	s_cbranch_execz .LBB86_23
; %bb.22:
	global_load_ubyte v25, v24, s[2:3]
.LBB86_23:
	s_or_b64 exec, exec, s[0:1]
	v_or_b32_e32 v22, 0x1600, v0
	v_cmp_gt_u32_e32 vcc, s14, v22
                                        ; implicit-def: $vgpr23
	s_and_saveexec_b64 s[0:1], vcc
	s_cbranch_execz .LBB86_25
; %bb.24:
	global_load_ubyte v23, v22, s[2:3]
.LBB86_25:
	s_or_b64 exec, exec, s[0:1]
	v_or_b32_e32 v20, 0x1800, v0
	v_cmp_gt_u32_e32 vcc, s14, v20
                                        ; implicit-def: $vgpr21
	s_and_saveexec_b64 s[0:1], vcc
	s_cbranch_execz .LBB86_27
; %bb.26:
	global_load_ubyte v21, v20, s[2:3]
.LBB86_27:
	s_or_b64 exec, exec, s[0:1]
	v_or_b32_e32 v18, 0x1a00, v0
	v_cmp_gt_u32_e32 vcc, s14, v18
                                        ; implicit-def: $vgpr19
	s_and_saveexec_b64 s[0:1], vcc
	s_cbranch_execz .LBB86_29
; %bb.28:
	global_load_ubyte v19, v18, s[2:3]
.LBB86_29:
	s_or_b64 exec, exec, s[0:1]
	v_or_b32_e32 v16, 0x1c00, v0
	v_cmp_gt_u32_e32 vcc, s14, v16
                                        ; implicit-def: $vgpr17
	s_and_saveexec_b64 s[0:1], vcc
	s_cbranch_execz .LBB86_31
; %bb.30:
	global_load_ubyte v17, v16, s[2:3]
.LBB86_31:
	s_or_b64 exec, exec, s[0:1]
	v_or_b32_e32 v14, 0x1e00, v0
	v_cmp_gt_u32_e32 vcc, s14, v14
                                        ; implicit-def: $vgpr15
	s_and_saveexec_b64 s[0:1], vcc
	s_cbranch_execz .LBB86_33
; %bb.32:
	global_load_ubyte v15, v14, s[2:3]
.LBB86_33:
	s_or_b64 exec, exec, s[0:1]
	v_or_b32_e32 v12, 0x2000, v0
	v_cmp_gt_u32_e32 vcc, s14, v12
                                        ; implicit-def: $vgpr13
	s_and_saveexec_b64 s[0:1], vcc
	s_cbranch_execz .LBB86_35
; %bb.34:
	global_load_ubyte v13, v12, s[2:3]
.LBB86_35:
	s_or_b64 exec, exec, s[0:1]
	v_or_b32_e32 v10, 0x2200, v0
	v_cmp_gt_u32_e32 vcc, s14, v10
                                        ; implicit-def: $vgpr11
	s_and_saveexec_b64 s[0:1], vcc
	s_cbranch_execz .LBB86_37
; %bb.36:
	global_load_ubyte v11, v10, s[2:3]
.LBB86_37:
	s_or_b64 exec, exec, s[0:1]
	v_or_b32_e32 v8, 0x2400, v0
	v_cmp_gt_u32_e32 vcc, s14, v8
                                        ; implicit-def: $vgpr9
	s_and_saveexec_b64 s[0:1], vcc
	s_cbranch_execz .LBB86_39
; %bb.38:
	global_load_ubyte v9, v8, s[2:3]
.LBB86_39:
	s_or_b64 exec, exec, s[0:1]
	v_or_b32_e32 v6, 0x2600, v0
	v_cmp_gt_u32_e32 vcc, s14, v6
                                        ; implicit-def: $vgpr7
	s_and_saveexec_b64 s[0:1], vcc
	s_cbranch_execz .LBB86_41
; %bb.40:
	global_load_ubyte v7, v6, s[2:3]
.LBB86_41:
	s_or_b64 exec, exec, s[0:1]
	v_or_b32_e32 v4, 0x2800, v0
	v_cmp_gt_u32_e32 vcc, s14, v4
                                        ; implicit-def: $vgpr5
	s_and_saveexec_b64 s[0:1], vcc
	s_cbranch_execz .LBB86_43
; %bb.42:
	global_load_ubyte v5, v4, s[2:3]
.LBB86_43:
	s_or_b64 exec, exec, s[0:1]
	v_or_b32_e32 v2, 0x2a00, v0
	v_cmp_gt_u32_e32 vcc, s14, v2
                                        ; implicit-def: $vgpr3
	s_and_saveexec_b64 s[0:1], vcc
	s_cbranch_execz .LBB86_45
; %bb.44:
	global_load_ubyte v3, v2, s[2:3]
.LBB86_45:
	s_or_b64 exec, exec, s[0:1]
	s_movk_i32 s0, 0x80
	v_cmp_gt_u32_e32 vcc, s0, v0
	s_and_saveexec_b64 s[0:1], vcc
	s_cbranch_execz .LBB86_47
; %bb.46:
	v_lshlrev_b32_e32 v45, 2, v0
	v_mov_b32_e32 v46, 0
	ds_write_b32 v45, v46
.LBB86_47:
	s_or_b64 exec, exec, s[0:1]
	s_cmp_le_u32 s13, s12
	s_cselect_b64 s[4:5], -1, 0
	v_cmp_le_u32_e32 vcc, s14, v0
	s_and_b64 s[0:1], s[4:5], exec
	s_cselect_b32 s15, 8, 10
	s_or_b64 s[0:1], s[4:5], vcc
	s_waitcnt vmcnt(0)
	v_xor_b32_e32 v44, 0xffffff80, v44
	s_xor_b64 s[6:7], s[0:1], -1
	v_mov_b32_e32 v45, s15
	s_waitcnt lgkmcnt(0)
	s_barrier
	s_and_saveexec_b64 s[0:1], s[6:7]
	s_cbranch_execz .LBB86_49
; %bb.48:
	s_sub_i32 s6, s13, s12
	s_min_u32 s6, s6, 4
	v_lshrrev_b32_sdwa v45, s12, v44 dst_sel:DWORD dst_unused:UNUSED_PAD src0_sel:DWORD src1_sel:BYTE_0
	v_bfe_u32 v45, v45, 0, s6
	v_lshlrev_b32_e32 v46, 2, v1
	v_lshl_or_b32 v45, v45, 4, v46
	v_mov_b32_e32 v46, 1
	ds_add_u32 v45, v46
	v_mov_b32_e32 v45, 0
.LBB86_49:
	s_or_b64 exec, exec, s[0:1]
	v_cmp_gt_i32_e64 s[0:1], 10, v45
	s_mov_b64 s[6:7], -1
	s_and_saveexec_b64 s[8:9], s[0:1]
; %bb.50:
	v_cmp_eq_u32_e64 s[0:1], 0, v45
	s_orn2_b64 s[6:7], s[0:1], exec
; %bb.51:
	s_or_b64 exec, exec, s[8:9]
	s_and_saveexec_b64 s[0:1], s[6:7]
	s_cbranch_execz .LBB86_54
; %bb.52:
	s_add_i32 s6, s12, 4
	s_cmp_gt_u32 s13, s6
	s_cselect_b64 s[8:9], -1, 0
	s_xor_b64 s[16:17], vcc, -1
	s_and_b64 s[8:9], s[8:9], s[16:17]
	s_and_b64 exec, exec, s[8:9]
	s_cbranch_execz .LBB86_54
; %bb.53:
	s_sub_i32 s7, s13, s6
	s_min_u32 s7, s7, 4
	v_lshrrev_b32_sdwa v44, s6, v44 dst_sel:DWORD dst_unused:UNUSED_PAD src0_sel:DWORD src1_sel:BYTE_0
	v_bfe_u32 v44, v44, 0, s7
	v_lshlrev_b32_e32 v45, 2, v1
	v_lshl_or_b32 v44, v44, 4, v45
	v_mov_b32_e32 v45, 1
	ds_add_u32 v44, v45 offset:256
.LBB86_54:
	s_or_b64 exec, exec, s[0:1]
	v_cmp_le_u32_e32 vcc, s14, v42
	s_or_b64 s[0:1], s[4:5], vcc
	v_xor_b32_e32 v43, 0xffffff80, v43
	s_xor_b64 s[6:7], s[0:1], -1
	v_mov_b32_e32 v42, s15
	s_and_saveexec_b64 s[0:1], s[6:7]
	s_cbranch_execz .LBB86_56
; %bb.55:
	s_sub_i32 s6, s13, s12
	s_min_u32 s6, s6, 4
	v_lshrrev_b32_sdwa v42, s12, v43 dst_sel:DWORD dst_unused:UNUSED_PAD src0_sel:DWORD src1_sel:BYTE_0
	v_bfe_u32 v42, v42, 0, s6
	v_lshlrev_b32_e32 v44, 2, v1
	v_lshl_or_b32 v42, v42, 4, v44
	v_mov_b32_e32 v44, 1
	ds_add_u32 v42, v44
	v_mov_b32_e32 v42, 0
.LBB86_56:
	s_or_b64 exec, exec, s[0:1]
	v_cmp_gt_i32_e64 s[0:1], 10, v42
	s_mov_b64 s[6:7], -1
	s_and_saveexec_b64 s[8:9], s[0:1]
; %bb.57:
	v_cmp_eq_u32_e64 s[0:1], 0, v42
	s_orn2_b64 s[6:7], s[0:1], exec
; %bb.58:
	s_or_b64 exec, exec, s[8:9]
	s_and_saveexec_b64 s[0:1], s[6:7]
	s_cbranch_execz .LBB86_61
; %bb.59:
	s_add_i32 s6, s12, 4
	s_cmp_gt_u32 s13, s6
	s_cselect_b64 s[8:9], -1, 0
	s_xor_b64 s[16:17], vcc, -1
	s_and_b64 s[8:9], s[8:9], s[16:17]
	s_and_b64 exec, exec, s[8:9]
	s_cbranch_execz .LBB86_61
; %bb.60:
	s_sub_i32 s7, s13, s6
	s_min_u32 s7, s7, 4
	v_lshrrev_b32_sdwa v42, s6, v43 dst_sel:DWORD dst_unused:UNUSED_PAD src0_sel:DWORD src1_sel:BYTE_0
	v_bfe_u32 v42, v42, 0, s7
	v_lshlrev_b32_e32 v43, 2, v1
	v_lshl_or_b32 v42, v42, 4, v43
	v_mov_b32_e32 v43, 1
	ds_add_u32 v42, v43 offset:256
.LBB86_61:
	s_or_b64 exec, exec, s[0:1]
	v_cmp_le_u32_e32 vcc, s14, v40
	s_or_b64 s[0:1], s[4:5], vcc
	v_xor_b32_e32 v41, 0xffffff80, v41
	s_xor_b64 s[6:7], s[0:1], -1
	v_mov_b32_e32 v40, s15
	;; [unrolled: 48-line block ×21, first 2 shown]
	s_and_saveexec_b64 s[0:1], s[4:5]
	s_cbranch_execz .LBB86_196
; %bb.195:
	s_sub_i32 s4, s13, s12
	s_min_u32 s4, s4, 4
	v_lshrrev_b32_sdwa v2, s12, v3 dst_sel:DWORD dst_unused:UNUSED_PAD src0_sel:DWORD src1_sel:BYTE_0
	v_bfe_u32 v2, v2, 0, s4
	v_lshlrev_b32_e32 v4, 2, v1
	v_lshl_or_b32 v2, v2, 4, v4
	v_mov_b32_e32 v4, 1
	ds_add_u32 v2, v4
	v_mov_b32_e32 v2, 0
.LBB86_196:
	s_or_b64 exec, exec, s[0:1]
	v_cmp_gt_i32_e64 s[0:1], 10, v2
	s_mov_b64 s[4:5], -1
	s_and_saveexec_b64 s[6:7], s[0:1]
; %bb.197:
	v_cmp_eq_u32_e64 s[0:1], 0, v2
	s_orn2_b64 s[4:5], s[0:1], exec
; %bb.198:
	s_or_b64 exec, exec, s[6:7]
	s_and_saveexec_b64 s[0:1], s[4:5]
	s_cbranch_execz .LBB86_201
; %bb.199:
	s_add_i32 s4, s12, 4
	s_cmp_gt_u32 s13, s4
	s_cselect_b64 s[6:7], -1, 0
	s_xor_b64 s[8:9], vcc, -1
	s_and_b64 s[6:7], s[6:7], s[8:9]
	s_and_b64 exec, exec, s[6:7]
	s_cbranch_execz .LBB86_201
; %bb.200:
	s_sub_i32 s5, s13, s4
	s_min_u32 s5, s5, 4
	v_lshrrev_b32_sdwa v2, s4, v3 dst_sel:DWORD dst_unused:UNUSED_PAD src0_sel:DWORD src1_sel:BYTE_0
	v_bfe_u32 v2, v2, 0, s5
	v_lshlrev_b32_e32 v3, 2, v1
	v_lshl_or_b32 v2, v2, 4, v3
	v_mov_b32_e32 v3, 1
	ds_add_u32 v2, v3 offset:256
.LBB86_201:
	s_or_b64 exec, exec, s[0:1]
	s_cmp_gt_u32 s13, s12
	s_waitcnt lgkmcnt(0)
	s_barrier
	s_cbranch_scc0 .LBB86_206
; %bb.202:
	v_cmp_gt_u32_e32 vcc, 16, v0
	v_lshlrev_b32_e32 v4, 4, v0
	v_mov_b32_e32 v3, 0
	v_mov_b32_e32 v2, v0
	s_mov_b32 s6, s12
	s_branch .LBB86_204
.LBB86_203:                             ;   in Loop: Header=BB86_204 Depth=1
	s_or_b64 exec, exec, s[4:5]
	s_add_i32 s6, s6, 4
	v_add_u32_e32 v2, 16, v2
	s_cmp_lt_u32 s6, s13
	v_add_u32_e32 v4, 0x100, v4
	s_cbranch_scc0 .LBB86_206
.LBB86_204:                             ; =>This Inner Loop Header: Depth=1
	s_and_saveexec_b64 s[4:5], vcc
	s_cbranch_execz .LBB86_203
; %bb.205:                              ;   in Loop: Header=BB86_204 Depth=1
	ds_read2_b32 v[6:7], v4 offset1:1
	ds_read2_b32 v[8:9], v4 offset0:2 offset1:3
	v_lshlrev_b64 v[10:11], 3, v[2:3]
	v_mov_b32_e32 v5, s11
	s_waitcnt lgkmcnt(1)
	v_add_u32_e32 v6, v7, v6
	s_waitcnt lgkmcnt(0)
	v_add3_u32 v6, v6, v8, v9
	v_add_co_u32_e64 v8, s[0:1], s10, v10
	v_addc_co_u32_e64 v9, s[0:1], v5, v11, s[0:1]
	v_mov_b32_e32 v7, v3
	global_atomic_add_x2 v[8:9], v[6:7], off
	s_branch .LBB86_203
.LBB86_206:
	s_mov_b64 s[6:7], 0
.LBB86_207:
	s_and_b64 vcc, exec, s[6:7]
	s_cbranch_vccz .LBB86_267
; %bb.208:
	v_mov_b32_e32 v2, s3
	v_add_co_u32_e32 v19, vcc, s2, v0
	v_addc_co_u32_e32 v20, vcc, 0, v2, vcc
	s_movk_i32 s0, 0x1000
	v_add_co_u32_e32 v2, vcc, s0, v19
	v_addc_co_u32_e32 v3, vcc, 0, v20, vcc
	global_load_ubyte v4, v0, s[2:3] offset:512
	global_load_ubyte v5, v0, s[2:3] offset:1024
	global_load_ubyte v6, v0, s[2:3] offset:1536
	global_load_ubyte v7, v0, s[2:3] offset:2048
	global_load_ubyte v8, v0, s[2:3] offset:2560
	global_load_ubyte v9, v0, s[2:3] offset:3072
	global_load_ubyte v10, v0, s[2:3] offset:3584
	global_load_ubyte v11, v[2:3], off
	global_load_ubyte v12, v[2:3], off offset:512
	global_load_ubyte v13, v[2:3], off offset:1024
	;; [unrolled: 1-line block ×7, first 2 shown]
	v_add_co_u32_e32 v2, vcc, 0x2000, v19
	v_addc_co_u32_e32 v3, vcc, 0, v20, vcc
	global_load_ubyte v19, v[2:3], off
	global_load_ubyte v20, v[2:3], off offset:512
	global_load_ubyte v21, v[2:3], off offset:1024
	global_load_ubyte v22, v[2:3], off offset:1536
	global_load_ubyte v23, v[2:3], off offset:2048
	global_load_ubyte v25, v0, s[2:3]
	global_load_ubyte v24, v[2:3], off offset:2560
	s_cmp_lg_u32 s12, 0
	s_cselect_b64 s[0:1], -1, 0
	s_cmp_lg_u32 s13, 8
	s_cselect_b64 s[2:3], -1, 0
	s_or_b64 s[4:5], s[0:1], s[2:3]
	s_movk_i32 s0, 0x80
	v_cmp_gt_u32_e64 s[0:1], s0, v0
	s_mov_b64 s[2:3], -1
	s_and_b64 vcc, exec, s[4:5]
	s_cbranch_vccz .LBB86_262
; %bb.209:
	s_and_saveexec_b64 s[2:3], s[0:1]
	s_cbranch_execz .LBB86_211
; %bb.210:
	v_lshlrev_b32_e32 v2, 2, v0
	v_mov_b32_e32 v3, 0
	ds_write_b32 v2, v3
.LBB86_211:
	s_or_b64 exec, exec, s[2:3]
	s_cmp_gt_u32 s13, s12
	s_cselect_b64 s[4:5], -1, 0
	s_and_b64 vcc, exec, s[4:5]
	s_waitcnt lgkmcnt(0)
	s_barrier
	s_cbranch_vccz .LBB86_256
; %bb.212:
	s_sub_i32 s2, s13, s12
	s_min_u32 s2, s2, 4
	s_waitcnt vmcnt(1)
	v_xor_b32_e32 v26, 0x80, v25
	s_lshl_b32 s2, -1, s2
	s_not_b32 s9, s2
	v_lshrrev_b32_sdwa v2, s12, v26 dst_sel:DWORD dst_unused:UNUSED_PAD src0_sel:DWORD src1_sel:BYTE_0
	v_and_b32_e32 v3, s9, v2
	v_lshlrev_b32_e32 v2, 2, v1
	v_lshl_or_b32 v27, v3, 4, v2
	v_mov_b32_e32 v3, 1
	ds_add_u32 v27, v3
	s_add_i32 s8, s12, 4
	s_cmp_gt_u32 s13, s8
	s_cselect_b64 s[6:7], -1, 0
	s_cmp_le_u32 s13, s8
	s_cbranch_scc1 .LBB86_214
; %bb.213:
	s_sub_i32 s2, s13, s8
	s_min_u32 s2, s2, 4
	v_lshrrev_b32_sdwa v26, s8, v26 dst_sel:DWORD dst_unused:UNUSED_PAD src0_sel:DWORD src1_sel:BYTE_0
	v_bfe_u32 v26, v26, 0, s2
	v_lshl_or_b32 v26, v26, 4, v2
	ds_add_u32 v26, v3 offset:256
.LBB86_214:
	v_xor_b32_e32 v26, 0x80, v4
	v_lshrrev_b32_sdwa v27, s12, v26 dst_sel:DWORD dst_unused:UNUSED_PAD src0_sel:DWORD src1_sel:BYTE_0
	v_and_b32_e32 v27, s9, v27
	v_lshl_or_b32 v27, v27, 4, v2
	ds_add_u32 v27, v3
	v_cndmask_b32_e64 v3, 0, 1, s[6:7]
	v_cmp_ne_u32_e64 s[2:3], 1, v3
	s_andn2_b64 vcc, exec, s[6:7]
	s_cbranch_vccnz .LBB86_216
; %bb.215:
	s_sub_i32 s6, s13, s8
	s_min_u32 s6, s6, 4
	v_lshrrev_b32_sdwa v3, s8, v26 dst_sel:DWORD dst_unused:UNUSED_PAD src0_sel:DWORD src1_sel:BYTE_0
	v_bfe_u32 v3, v3, 0, s6
	v_lshl_or_b32 v3, v3, 4, v2
	v_mov_b32_e32 v26, 1
	ds_add_u32 v3, v26 offset:256
.LBB86_216:
	v_xor_b32_e32 v26, 0x80, v5
	v_lshrrev_b32_sdwa v3, s12, v26 dst_sel:DWORD dst_unused:UNUSED_PAD src0_sel:DWORD src1_sel:BYTE_0
	v_and_b32_e32 v3, s9, v3
	v_lshl_or_b32 v27, v3, 4, v2
	v_mov_b32_e32 v3, 1
	ds_add_u32 v27, v3
	s_and_b64 vcc, exec, s[2:3]
	s_cbranch_vccnz .LBB86_218
; %bb.217:
	s_sub_i32 s6, s13, s8
	s_min_u32 s6, s6, 4
	v_lshrrev_b32_sdwa v26, s8, v26 dst_sel:DWORD dst_unused:UNUSED_PAD src0_sel:DWORD src1_sel:BYTE_0
	v_bfe_u32 v26, v26, 0, s6
	v_lshl_or_b32 v26, v26, 4, v2
	ds_add_u32 v26, v3 offset:256
.LBB86_218:
	v_xor_b32_e32 v26, 0x80, v6
	v_lshrrev_b32_sdwa v27, s12, v26 dst_sel:DWORD dst_unused:UNUSED_PAD src0_sel:DWORD src1_sel:BYTE_0
	v_and_b32_e32 v27, s9, v27
	v_lshl_or_b32 v27, v27, 4, v2
	ds_add_u32 v27, v3
	s_and_b64 vcc, exec, s[2:3]
	s_cbranch_vccnz .LBB86_220
; %bb.219:
	s_sub_i32 s6, s13, s8
	s_min_u32 s6, s6, 4
	v_lshrrev_b32_sdwa v3, s8, v26 dst_sel:DWORD dst_unused:UNUSED_PAD src0_sel:DWORD src1_sel:BYTE_0
	v_bfe_u32 v3, v3, 0, s6
	v_lshl_or_b32 v3, v3, 4, v2
	v_mov_b32_e32 v26, 1
	ds_add_u32 v3, v26 offset:256
.LBB86_220:
	v_xor_b32_e32 v26, 0x80, v7
	v_lshrrev_b32_sdwa v3, s12, v26 dst_sel:DWORD dst_unused:UNUSED_PAD src0_sel:DWORD src1_sel:BYTE_0
	v_and_b32_e32 v3, s9, v3
	v_lshl_or_b32 v27, v3, 4, v2
	v_mov_b32_e32 v3, 1
	ds_add_u32 v27, v3
	s_and_b64 vcc, exec, s[2:3]
	s_cbranch_vccnz .LBB86_222
; %bb.221:
	s_sub_i32 s6, s13, s8
	s_min_u32 s6, s6, 4
	v_lshrrev_b32_sdwa v26, s8, v26 dst_sel:DWORD dst_unused:UNUSED_PAD src0_sel:DWORD src1_sel:BYTE_0
	v_bfe_u32 v26, v26, 0, s6
	v_lshl_or_b32 v26, v26, 4, v2
	ds_add_u32 v26, v3 offset:256
.LBB86_222:
	v_xor_b32_e32 v26, 0x80, v8
	v_lshrrev_b32_sdwa v27, s12, v26 dst_sel:DWORD dst_unused:UNUSED_PAD src0_sel:DWORD src1_sel:BYTE_0
	v_and_b32_e32 v27, s9, v27
	v_lshl_or_b32 v27, v27, 4, v2
	ds_add_u32 v27, v3
	s_and_b64 vcc, exec, s[2:3]
	;; [unrolled: 32-line block ×9, first 2 shown]
	s_cbranch_vccnz .LBB86_252
; %bb.251:
	s_sub_i32 s6, s13, s8
	s_min_u32 s6, s6, 4
	v_lshrrev_b32_sdwa v3, s8, v26 dst_sel:DWORD dst_unused:UNUSED_PAD src0_sel:DWORD src1_sel:BYTE_0
	v_bfe_u32 v3, v3, 0, s6
	v_lshl_or_b32 v3, v3, 4, v2
	v_mov_b32_e32 v26, 1
	ds_add_u32 v3, v26 offset:256
.LBB86_252:
	v_xor_b32_e32 v26, 0x80, v23
	v_lshrrev_b32_sdwa v3, s12, v26 dst_sel:DWORD dst_unused:UNUSED_PAD src0_sel:DWORD src1_sel:BYTE_0
	v_and_b32_e32 v3, s9, v3
	v_lshl_or_b32 v27, v3, 4, v2
	v_mov_b32_e32 v3, 1
	ds_add_u32 v27, v3
	s_and_b64 vcc, exec, s[2:3]
	s_cbranch_vccnz .LBB86_254
; %bb.253:
	s_sub_i32 s6, s13, s8
	s_min_u32 s6, s6, 4
	v_lshrrev_b32_sdwa v26, s8, v26 dst_sel:DWORD dst_unused:UNUSED_PAD src0_sel:DWORD src1_sel:BYTE_0
	v_bfe_u32 v26, v26, 0, s6
	v_lshl_or_b32 v26, v26, 4, v2
	ds_add_u32 v26, v3 offset:256
.LBB86_254:
	s_waitcnt vmcnt(0)
	v_xor_b32_e32 v26, 0x80, v24
	v_lshrrev_b32_sdwa v27, s12, v26 dst_sel:DWORD dst_unused:UNUSED_PAD src0_sel:DWORD src1_sel:BYTE_0
	v_and_b32_e32 v27, s9, v27
	v_lshl_or_b32 v27, v27, 4, v2
	ds_add_u32 v27, v3
	s_and_b64 vcc, exec, s[2:3]
	s_cbranch_vccnz .LBB86_256
; %bb.255:
	s_sub_i32 s2, s13, s8
	s_min_u32 s2, s2, 4
	v_lshrrev_b32_sdwa v3, s8, v26 dst_sel:DWORD dst_unused:UNUSED_PAD src0_sel:DWORD src1_sel:BYTE_0
	v_bfe_u32 v3, v3, 0, s2
	v_lshl_or_b32 v2, v3, 4, v2
	v_mov_b32_e32 v3, 1
	ds_add_u32 v2, v3 offset:256
.LBB86_256:
	s_and_b64 vcc, exec, s[4:5]
	s_waitcnt lgkmcnt(0)
	s_barrier
	s_cbranch_vccz .LBB86_261
; %bb.257:
	v_cmp_gt_u32_e32 vcc, 16, v0
	v_lshlrev_b32_e32 v26, 4, v0
	v_mov_b32_e32 v3, 0
	v_mov_b32_e32 v2, v0
	s_branch .LBB86_259
.LBB86_258:                             ;   in Loop: Header=BB86_259 Depth=1
	s_or_b64 exec, exec, s[4:5]
	s_add_i32 s12, s12, 4
	v_add_u32_e32 v2, 16, v2
	s_cmp_ge_u32 s12, s13
	v_add_u32_e32 v26, 0x100, v26
	s_cbranch_scc1 .LBB86_261
.LBB86_259:                             ; =>This Inner Loop Header: Depth=1
	s_and_saveexec_b64 s[4:5], vcc
	s_cbranch_execz .LBB86_258
; %bb.260:                              ;   in Loop: Header=BB86_259 Depth=1
	ds_read2_b32 v[28:29], v26 offset1:1
	ds_read2_b32 v[30:31], v26 offset0:2 offset1:3
	v_lshlrev_b64 v[32:33], 3, v[2:3]
	v_mov_b32_e32 v27, s11
	s_waitcnt lgkmcnt(1)
	v_add_u32_e32 v28, v29, v28
	s_waitcnt lgkmcnt(0)
	v_add3_u32 v28, v28, v30, v31
	v_add_co_u32_e64 v30, s[2:3], s10, v32
	v_addc_co_u32_e64 v31, s[2:3], v27, v33, s[2:3]
	v_mov_b32_e32 v29, v3
	global_atomic_add_x2 v[30:31], v[28:29], off
	s_branch .LBB86_258
.LBB86_261:
	s_mov_b64 s[2:3], 0
.LBB86_262:
	s_and_b64 vcc, exec, s[2:3]
	s_cbranch_vccz .LBB86_267
; %bb.263:
	s_and_saveexec_b64 s[2:3], s[0:1]
	s_cbranch_execz .LBB86_265
; %bb.264:
	v_lshlrev_b32_e32 v2, 2, v0
	v_mov_b32_e32 v3, 0
	ds_write_b32 v2, v3
.LBB86_265:
	s_or_b64 exec, exec, s[2:3]
	s_waitcnt vmcnt(1)
	v_xor_b32_e32 v2, 0x80, v25
	v_xor_b32_e32 v3, 0x80, v4
	;; [unrolled: 1-line block ×21, first 2 shown]
	s_waitcnt vmcnt(0)
	v_xor_b32_e32 v23, 0x80, v24
	v_lshlrev_b32_e32 v24, 2, v2
	v_and_or_b32 v24, v24, 60, v1
	v_lshrrev_b32_e32 v2, 2, v2
	v_lshlrev_b32_e32 v24, 2, v24
	v_mov_b32_e32 v25, 1
	v_and_or_b32 v2, v2, 60, v1
	s_waitcnt lgkmcnt(0)
	s_barrier
	ds_add_u32 v24, v25
	v_lshlrev_b32_e32 v2, 2, v2
	ds_add_u32 v2, v25 offset:256
	v_lshlrev_b32_e32 v2, 2, v3
	v_and_or_b32 v2, v2, 60, v1
	v_lshlrev_b32_e32 v2, 2, v2
	ds_add_u32 v2, v25
	v_lshrrev_b32_e32 v2, 2, v3
	v_and_or_b32 v2, v2, 60, v1
	v_lshlrev_b32_e32 v2, 2, v2
	ds_add_u32 v2, v25 offset:256
	v_lshlrev_b32_e32 v2, 2, v4
	v_and_or_b32 v2, v2, 60, v1
	v_lshlrev_b32_e32 v2, 2, v2
	ds_add_u32 v2, v25
	v_lshrrev_b32_e32 v2, 2, v4
	v_and_or_b32 v2, v2, 60, v1
	;; [unrolled: 8-line block ×21, first 2 shown]
	v_lshlrev_b32_e32 v1, 2, v1
	ds_add_u32 v1, v25 offset:256
	v_cmp_gt_u32_e32 vcc, 16, v0
	s_waitcnt lgkmcnt(0)
	s_barrier
	s_and_saveexec_b64 s[0:1], vcc
	s_cbranch_execz .LBB86_267
; %bb.266:
	v_lshlrev_b32_e32 v6, 4, v0
	ds_read2_b32 v[2:3], v6 offset1:1
	ds_read2_b32 v[4:5], v6 offset0:2 offset1:3
	v_lshlrev_b32_e32 v7, 3, v0
	v_mov_b32_e32 v1, 0
	s_waitcnt lgkmcnt(1)
	v_add_u32_e32 v0, v3, v2
	s_waitcnt lgkmcnt(0)
	v_add3_u32 v0, v0, v4, v5
	global_atomic_add_x2 v7, v[0:1], s[10:11]
	ds_read2_b32 v[2:3], v6 offset0:64 offset1:65
	ds_read2_b32 v[4:5], v6 offset0:66 offset1:67
	s_waitcnt lgkmcnt(1)
	v_add_u32_e32 v0, v3, v2
	s_waitcnt lgkmcnt(0)
	v_add3_u32 v0, v0, v4, v5
	global_atomic_add_x2 v7, v[0:1], s[10:11] offset:128
.LBB86_267:
	s_endpgm
	.section	.rodata,"a",@progbits
	.p2align	6, 0x0
	.amdhsa_kernel _ZN7rocprim17ROCPRIM_400000_NS6detail17trampoline_kernelINS0_14default_configENS1_35radix_sort_onesweep_config_selectorIcNS0_10empty_typeEEEZNS1_34radix_sort_onesweep_global_offsetsIS3_Lb0EPcPS5_mNS0_19identity_decomposerEEE10hipError_tT1_T2_PT3_SE_jT4_jjP12ihipStream_tbEUlT_E_NS1_11comp_targetILNS1_3genE4ELNS1_11target_archE910ELNS1_3gpuE8ELNS1_3repE0EEENS1_52radix_sort_onesweep_histogram_config_static_selectorELNS0_4arch9wavefront6targetE1EEEvSC_
		.amdhsa_group_segment_fixed_size 512
		.amdhsa_private_segment_fixed_size 0
		.amdhsa_kernarg_size 48
		.amdhsa_user_sgpr_count 6
		.amdhsa_user_sgpr_private_segment_buffer 1
		.amdhsa_user_sgpr_dispatch_ptr 0
		.amdhsa_user_sgpr_queue_ptr 0
		.amdhsa_user_sgpr_kernarg_segment_ptr 1
		.amdhsa_user_sgpr_dispatch_id 0
		.amdhsa_user_sgpr_flat_scratch_init 0
		.amdhsa_user_sgpr_kernarg_preload_length 0
		.amdhsa_user_sgpr_kernarg_preload_offset 0
		.amdhsa_user_sgpr_private_segment_size 0
		.amdhsa_uses_dynamic_stack 0
		.amdhsa_system_sgpr_private_segment_wavefront_offset 0
		.amdhsa_system_sgpr_workgroup_id_x 1
		.amdhsa_system_sgpr_workgroup_id_y 0
		.amdhsa_system_sgpr_workgroup_id_z 0
		.amdhsa_system_sgpr_workgroup_info 0
		.amdhsa_system_vgpr_workitem_id 0
		.amdhsa_next_free_vgpr 47
		.amdhsa_next_free_sgpr 18
		.amdhsa_accum_offset 48
		.amdhsa_reserve_vcc 1
		.amdhsa_reserve_flat_scratch 0
		.amdhsa_float_round_mode_32 0
		.amdhsa_float_round_mode_16_64 0
		.amdhsa_float_denorm_mode_32 3
		.amdhsa_float_denorm_mode_16_64 3
		.amdhsa_dx10_clamp 1
		.amdhsa_ieee_mode 1
		.amdhsa_fp16_overflow 0
		.amdhsa_tg_split 0
		.amdhsa_exception_fp_ieee_invalid_op 0
		.amdhsa_exception_fp_denorm_src 0
		.amdhsa_exception_fp_ieee_div_zero 0
		.amdhsa_exception_fp_ieee_overflow 0
		.amdhsa_exception_fp_ieee_underflow 0
		.amdhsa_exception_fp_ieee_inexact 0
		.amdhsa_exception_int_div_zero 0
	.end_amdhsa_kernel
	.section	.text._ZN7rocprim17ROCPRIM_400000_NS6detail17trampoline_kernelINS0_14default_configENS1_35radix_sort_onesweep_config_selectorIcNS0_10empty_typeEEEZNS1_34radix_sort_onesweep_global_offsetsIS3_Lb0EPcPS5_mNS0_19identity_decomposerEEE10hipError_tT1_T2_PT3_SE_jT4_jjP12ihipStream_tbEUlT_E_NS1_11comp_targetILNS1_3genE4ELNS1_11target_archE910ELNS1_3gpuE8ELNS1_3repE0EEENS1_52radix_sort_onesweep_histogram_config_static_selectorELNS0_4arch9wavefront6targetE1EEEvSC_,"axG",@progbits,_ZN7rocprim17ROCPRIM_400000_NS6detail17trampoline_kernelINS0_14default_configENS1_35radix_sort_onesweep_config_selectorIcNS0_10empty_typeEEEZNS1_34radix_sort_onesweep_global_offsetsIS3_Lb0EPcPS5_mNS0_19identity_decomposerEEE10hipError_tT1_T2_PT3_SE_jT4_jjP12ihipStream_tbEUlT_E_NS1_11comp_targetILNS1_3genE4ELNS1_11target_archE910ELNS1_3gpuE8ELNS1_3repE0EEENS1_52radix_sort_onesweep_histogram_config_static_selectorELNS0_4arch9wavefront6targetE1EEEvSC_,comdat
.Lfunc_end86:
	.size	_ZN7rocprim17ROCPRIM_400000_NS6detail17trampoline_kernelINS0_14default_configENS1_35radix_sort_onesweep_config_selectorIcNS0_10empty_typeEEEZNS1_34radix_sort_onesweep_global_offsetsIS3_Lb0EPcPS5_mNS0_19identity_decomposerEEE10hipError_tT1_T2_PT3_SE_jT4_jjP12ihipStream_tbEUlT_E_NS1_11comp_targetILNS1_3genE4ELNS1_11target_archE910ELNS1_3gpuE8ELNS1_3repE0EEENS1_52radix_sort_onesweep_histogram_config_static_selectorELNS0_4arch9wavefront6targetE1EEEvSC_, .Lfunc_end86-_ZN7rocprim17ROCPRIM_400000_NS6detail17trampoline_kernelINS0_14default_configENS1_35radix_sort_onesweep_config_selectorIcNS0_10empty_typeEEEZNS1_34radix_sort_onesweep_global_offsetsIS3_Lb0EPcPS5_mNS0_19identity_decomposerEEE10hipError_tT1_T2_PT3_SE_jT4_jjP12ihipStream_tbEUlT_E_NS1_11comp_targetILNS1_3genE4ELNS1_11target_archE910ELNS1_3gpuE8ELNS1_3repE0EEENS1_52radix_sort_onesweep_histogram_config_static_selectorELNS0_4arch9wavefront6targetE1EEEvSC_
                                        ; -- End function
	.section	.AMDGPU.csdata,"",@progbits
; Kernel info:
; codeLenInByte = 9464
; NumSgprs: 22
; NumVgprs: 47
; NumAgprs: 0
; TotalNumVgprs: 47
; ScratchSize: 0
; MemoryBound: 0
; FloatMode: 240
; IeeeMode: 1
; LDSByteSize: 512 bytes/workgroup (compile time only)
; SGPRBlocks: 2
; VGPRBlocks: 5
; NumSGPRsForWavesPerEU: 22
; NumVGPRsForWavesPerEU: 47
; AccumOffset: 48
; Occupancy: 8
; WaveLimiterHint : 1
; COMPUTE_PGM_RSRC2:SCRATCH_EN: 0
; COMPUTE_PGM_RSRC2:USER_SGPR: 6
; COMPUTE_PGM_RSRC2:TRAP_HANDLER: 0
; COMPUTE_PGM_RSRC2:TGID_X_EN: 1
; COMPUTE_PGM_RSRC2:TGID_Y_EN: 0
; COMPUTE_PGM_RSRC2:TGID_Z_EN: 0
; COMPUTE_PGM_RSRC2:TIDIG_COMP_CNT: 0
; COMPUTE_PGM_RSRC3_GFX90A:ACCUM_OFFSET: 11
; COMPUTE_PGM_RSRC3_GFX90A:TG_SPLIT: 0
	.section	.text._ZN7rocprim17ROCPRIM_400000_NS6detail17trampoline_kernelINS0_14default_configENS1_35radix_sort_onesweep_config_selectorIcNS0_10empty_typeEEEZNS1_34radix_sort_onesweep_global_offsetsIS3_Lb0EPcPS5_mNS0_19identity_decomposerEEE10hipError_tT1_T2_PT3_SE_jT4_jjP12ihipStream_tbEUlT_E_NS1_11comp_targetILNS1_3genE3ELNS1_11target_archE908ELNS1_3gpuE7ELNS1_3repE0EEENS1_52radix_sort_onesweep_histogram_config_static_selectorELNS0_4arch9wavefront6targetE1EEEvSC_,"axG",@progbits,_ZN7rocprim17ROCPRIM_400000_NS6detail17trampoline_kernelINS0_14default_configENS1_35radix_sort_onesweep_config_selectorIcNS0_10empty_typeEEEZNS1_34radix_sort_onesweep_global_offsetsIS3_Lb0EPcPS5_mNS0_19identity_decomposerEEE10hipError_tT1_T2_PT3_SE_jT4_jjP12ihipStream_tbEUlT_E_NS1_11comp_targetILNS1_3genE3ELNS1_11target_archE908ELNS1_3gpuE7ELNS1_3repE0EEENS1_52radix_sort_onesweep_histogram_config_static_selectorELNS0_4arch9wavefront6targetE1EEEvSC_,comdat
	.protected	_ZN7rocprim17ROCPRIM_400000_NS6detail17trampoline_kernelINS0_14default_configENS1_35radix_sort_onesweep_config_selectorIcNS0_10empty_typeEEEZNS1_34radix_sort_onesweep_global_offsetsIS3_Lb0EPcPS5_mNS0_19identity_decomposerEEE10hipError_tT1_T2_PT3_SE_jT4_jjP12ihipStream_tbEUlT_E_NS1_11comp_targetILNS1_3genE3ELNS1_11target_archE908ELNS1_3gpuE7ELNS1_3repE0EEENS1_52radix_sort_onesweep_histogram_config_static_selectorELNS0_4arch9wavefront6targetE1EEEvSC_ ; -- Begin function _ZN7rocprim17ROCPRIM_400000_NS6detail17trampoline_kernelINS0_14default_configENS1_35radix_sort_onesweep_config_selectorIcNS0_10empty_typeEEEZNS1_34radix_sort_onesweep_global_offsetsIS3_Lb0EPcPS5_mNS0_19identity_decomposerEEE10hipError_tT1_T2_PT3_SE_jT4_jjP12ihipStream_tbEUlT_E_NS1_11comp_targetILNS1_3genE3ELNS1_11target_archE908ELNS1_3gpuE7ELNS1_3repE0EEENS1_52radix_sort_onesweep_histogram_config_static_selectorELNS0_4arch9wavefront6targetE1EEEvSC_
	.globl	_ZN7rocprim17ROCPRIM_400000_NS6detail17trampoline_kernelINS0_14default_configENS1_35radix_sort_onesweep_config_selectorIcNS0_10empty_typeEEEZNS1_34radix_sort_onesweep_global_offsetsIS3_Lb0EPcPS5_mNS0_19identity_decomposerEEE10hipError_tT1_T2_PT3_SE_jT4_jjP12ihipStream_tbEUlT_E_NS1_11comp_targetILNS1_3genE3ELNS1_11target_archE908ELNS1_3gpuE7ELNS1_3repE0EEENS1_52radix_sort_onesweep_histogram_config_static_selectorELNS0_4arch9wavefront6targetE1EEEvSC_
	.p2align	8
	.type	_ZN7rocprim17ROCPRIM_400000_NS6detail17trampoline_kernelINS0_14default_configENS1_35radix_sort_onesweep_config_selectorIcNS0_10empty_typeEEEZNS1_34radix_sort_onesweep_global_offsetsIS3_Lb0EPcPS5_mNS0_19identity_decomposerEEE10hipError_tT1_T2_PT3_SE_jT4_jjP12ihipStream_tbEUlT_E_NS1_11comp_targetILNS1_3genE3ELNS1_11target_archE908ELNS1_3gpuE7ELNS1_3repE0EEENS1_52radix_sort_onesweep_histogram_config_static_selectorELNS0_4arch9wavefront6targetE1EEEvSC_,@function
_ZN7rocprim17ROCPRIM_400000_NS6detail17trampoline_kernelINS0_14default_configENS1_35radix_sort_onesweep_config_selectorIcNS0_10empty_typeEEEZNS1_34radix_sort_onesweep_global_offsetsIS3_Lb0EPcPS5_mNS0_19identity_decomposerEEE10hipError_tT1_T2_PT3_SE_jT4_jjP12ihipStream_tbEUlT_E_NS1_11comp_targetILNS1_3genE3ELNS1_11target_archE908ELNS1_3gpuE7ELNS1_3repE0EEENS1_52radix_sort_onesweep_histogram_config_static_selectorELNS0_4arch9wavefront6targetE1EEEvSC_: ; @_ZN7rocprim17ROCPRIM_400000_NS6detail17trampoline_kernelINS0_14default_configENS1_35radix_sort_onesweep_config_selectorIcNS0_10empty_typeEEEZNS1_34radix_sort_onesweep_global_offsetsIS3_Lb0EPcPS5_mNS0_19identity_decomposerEEE10hipError_tT1_T2_PT3_SE_jT4_jjP12ihipStream_tbEUlT_E_NS1_11comp_targetILNS1_3genE3ELNS1_11target_archE908ELNS1_3gpuE7ELNS1_3repE0EEENS1_52radix_sort_onesweep_histogram_config_static_selectorELNS0_4arch9wavefront6targetE1EEEvSC_
; %bb.0:
	.section	.rodata,"a",@progbits
	.p2align	6, 0x0
	.amdhsa_kernel _ZN7rocprim17ROCPRIM_400000_NS6detail17trampoline_kernelINS0_14default_configENS1_35radix_sort_onesweep_config_selectorIcNS0_10empty_typeEEEZNS1_34radix_sort_onesweep_global_offsetsIS3_Lb0EPcPS5_mNS0_19identity_decomposerEEE10hipError_tT1_T2_PT3_SE_jT4_jjP12ihipStream_tbEUlT_E_NS1_11comp_targetILNS1_3genE3ELNS1_11target_archE908ELNS1_3gpuE7ELNS1_3repE0EEENS1_52radix_sort_onesweep_histogram_config_static_selectorELNS0_4arch9wavefront6targetE1EEEvSC_
		.amdhsa_group_segment_fixed_size 0
		.amdhsa_private_segment_fixed_size 0
		.amdhsa_kernarg_size 48
		.amdhsa_user_sgpr_count 6
		.amdhsa_user_sgpr_private_segment_buffer 1
		.amdhsa_user_sgpr_dispatch_ptr 0
		.amdhsa_user_sgpr_queue_ptr 0
		.amdhsa_user_sgpr_kernarg_segment_ptr 1
		.amdhsa_user_sgpr_dispatch_id 0
		.amdhsa_user_sgpr_flat_scratch_init 0
		.amdhsa_user_sgpr_kernarg_preload_length 0
		.amdhsa_user_sgpr_kernarg_preload_offset 0
		.amdhsa_user_sgpr_private_segment_size 0
		.amdhsa_uses_dynamic_stack 0
		.amdhsa_system_sgpr_private_segment_wavefront_offset 0
		.amdhsa_system_sgpr_workgroup_id_x 1
		.amdhsa_system_sgpr_workgroup_id_y 0
		.amdhsa_system_sgpr_workgroup_id_z 0
		.amdhsa_system_sgpr_workgroup_info 0
		.amdhsa_system_vgpr_workitem_id 0
		.amdhsa_next_free_vgpr 1
		.amdhsa_next_free_sgpr 0
		.amdhsa_accum_offset 4
		.amdhsa_reserve_vcc 0
		.amdhsa_reserve_flat_scratch 0
		.amdhsa_float_round_mode_32 0
		.amdhsa_float_round_mode_16_64 0
		.amdhsa_float_denorm_mode_32 3
		.amdhsa_float_denorm_mode_16_64 3
		.amdhsa_dx10_clamp 1
		.amdhsa_ieee_mode 1
		.amdhsa_fp16_overflow 0
		.amdhsa_tg_split 0
		.amdhsa_exception_fp_ieee_invalid_op 0
		.amdhsa_exception_fp_denorm_src 0
		.amdhsa_exception_fp_ieee_div_zero 0
		.amdhsa_exception_fp_ieee_overflow 0
		.amdhsa_exception_fp_ieee_underflow 0
		.amdhsa_exception_fp_ieee_inexact 0
		.amdhsa_exception_int_div_zero 0
	.end_amdhsa_kernel
	.section	.text._ZN7rocprim17ROCPRIM_400000_NS6detail17trampoline_kernelINS0_14default_configENS1_35radix_sort_onesweep_config_selectorIcNS0_10empty_typeEEEZNS1_34radix_sort_onesweep_global_offsetsIS3_Lb0EPcPS5_mNS0_19identity_decomposerEEE10hipError_tT1_T2_PT3_SE_jT4_jjP12ihipStream_tbEUlT_E_NS1_11comp_targetILNS1_3genE3ELNS1_11target_archE908ELNS1_3gpuE7ELNS1_3repE0EEENS1_52radix_sort_onesweep_histogram_config_static_selectorELNS0_4arch9wavefront6targetE1EEEvSC_,"axG",@progbits,_ZN7rocprim17ROCPRIM_400000_NS6detail17trampoline_kernelINS0_14default_configENS1_35radix_sort_onesweep_config_selectorIcNS0_10empty_typeEEEZNS1_34radix_sort_onesweep_global_offsetsIS3_Lb0EPcPS5_mNS0_19identity_decomposerEEE10hipError_tT1_T2_PT3_SE_jT4_jjP12ihipStream_tbEUlT_E_NS1_11comp_targetILNS1_3genE3ELNS1_11target_archE908ELNS1_3gpuE7ELNS1_3repE0EEENS1_52radix_sort_onesweep_histogram_config_static_selectorELNS0_4arch9wavefront6targetE1EEEvSC_,comdat
.Lfunc_end87:
	.size	_ZN7rocprim17ROCPRIM_400000_NS6detail17trampoline_kernelINS0_14default_configENS1_35radix_sort_onesweep_config_selectorIcNS0_10empty_typeEEEZNS1_34radix_sort_onesweep_global_offsetsIS3_Lb0EPcPS5_mNS0_19identity_decomposerEEE10hipError_tT1_T2_PT3_SE_jT4_jjP12ihipStream_tbEUlT_E_NS1_11comp_targetILNS1_3genE3ELNS1_11target_archE908ELNS1_3gpuE7ELNS1_3repE0EEENS1_52radix_sort_onesweep_histogram_config_static_selectorELNS0_4arch9wavefront6targetE1EEEvSC_, .Lfunc_end87-_ZN7rocprim17ROCPRIM_400000_NS6detail17trampoline_kernelINS0_14default_configENS1_35radix_sort_onesweep_config_selectorIcNS0_10empty_typeEEEZNS1_34radix_sort_onesweep_global_offsetsIS3_Lb0EPcPS5_mNS0_19identity_decomposerEEE10hipError_tT1_T2_PT3_SE_jT4_jjP12ihipStream_tbEUlT_E_NS1_11comp_targetILNS1_3genE3ELNS1_11target_archE908ELNS1_3gpuE7ELNS1_3repE0EEENS1_52radix_sort_onesweep_histogram_config_static_selectorELNS0_4arch9wavefront6targetE1EEEvSC_
                                        ; -- End function
	.section	.AMDGPU.csdata,"",@progbits
; Kernel info:
; codeLenInByte = 0
; NumSgprs: 4
; NumVgprs: 0
; NumAgprs: 0
; TotalNumVgprs: 0
; ScratchSize: 0
; MemoryBound: 0
; FloatMode: 240
; IeeeMode: 1
; LDSByteSize: 0 bytes/workgroup (compile time only)
; SGPRBlocks: 0
; VGPRBlocks: 0
; NumSGPRsForWavesPerEU: 4
; NumVGPRsForWavesPerEU: 1
; AccumOffset: 4
; Occupancy: 8
; WaveLimiterHint : 0
; COMPUTE_PGM_RSRC2:SCRATCH_EN: 0
; COMPUTE_PGM_RSRC2:USER_SGPR: 6
; COMPUTE_PGM_RSRC2:TRAP_HANDLER: 0
; COMPUTE_PGM_RSRC2:TGID_X_EN: 1
; COMPUTE_PGM_RSRC2:TGID_Y_EN: 0
; COMPUTE_PGM_RSRC2:TGID_Z_EN: 0
; COMPUTE_PGM_RSRC2:TIDIG_COMP_CNT: 0
; COMPUTE_PGM_RSRC3_GFX90A:ACCUM_OFFSET: 0
; COMPUTE_PGM_RSRC3_GFX90A:TG_SPLIT: 0
	.section	.text._ZN7rocprim17ROCPRIM_400000_NS6detail17trampoline_kernelINS0_14default_configENS1_35radix_sort_onesweep_config_selectorIcNS0_10empty_typeEEEZNS1_34radix_sort_onesweep_global_offsetsIS3_Lb0EPcPS5_mNS0_19identity_decomposerEEE10hipError_tT1_T2_PT3_SE_jT4_jjP12ihipStream_tbEUlT_E_NS1_11comp_targetILNS1_3genE10ELNS1_11target_archE1201ELNS1_3gpuE5ELNS1_3repE0EEENS1_52radix_sort_onesweep_histogram_config_static_selectorELNS0_4arch9wavefront6targetE1EEEvSC_,"axG",@progbits,_ZN7rocprim17ROCPRIM_400000_NS6detail17trampoline_kernelINS0_14default_configENS1_35radix_sort_onesweep_config_selectorIcNS0_10empty_typeEEEZNS1_34radix_sort_onesweep_global_offsetsIS3_Lb0EPcPS5_mNS0_19identity_decomposerEEE10hipError_tT1_T2_PT3_SE_jT4_jjP12ihipStream_tbEUlT_E_NS1_11comp_targetILNS1_3genE10ELNS1_11target_archE1201ELNS1_3gpuE5ELNS1_3repE0EEENS1_52radix_sort_onesweep_histogram_config_static_selectorELNS0_4arch9wavefront6targetE1EEEvSC_,comdat
	.protected	_ZN7rocprim17ROCPRIM_400000_NS6detail17trampoline_kernelINS0_14default_configENS1_35radix_sort_onesweep_config_selectorIcNS0_10empty_typeEEEZNS1_34radix_sort_onesweep_global_offsetsIS3_Lb0EPcPS5_mNS0_19identity_decomposerEEE10hipError_tT1_T2_PT3_SE_jT4_jjP12ihipStream_tbEUlT_E_NS1_11comp_targetILNS1_3genE10ELNS1_11target_archE1201ELNS1_3gpuE5ELNS1_3repE0EEENS1_52radix_sort_onesweep_histogram_config_static_selectorELNS0_4arch9wavefront6targetE1EEEvSC_ ; -- Begin function _ZN7rocprim17ROCPRIM_400000_NS6detail17trampoline_kernelINS0_14default_configENS1_35radix_sort_onesweep_config_selectorIcNS0_10empty_typeEEEZNS1_34radix_sort_onesweep_global_offsetsIS3_Lb0EPcPS5_mNS0_19identity_decomposerEEE10hipError_tT1_T2_PT3_SE_jT4_jjP12ihipStream_tbEUlT_E_NS1_11comp_targetILNS1_3genE10ELNS1_11target_archE1201ELNS1_3gpuE5ELNS1_3repE0EEENS1_52radix_sort_onesweep_histogram_config_static_selectorELNS0_4arch9wavefront6targetE1EEEvSC_
	.globl	_ZN7rocprim17ROCPRIM_400000_NS6detail17trampoline_kernelINS0_14default_configENS1_35radix_sort_onesweep_config_selectorIcNS0_10empty_typeEEEZNS1_34radix_sort_onesweep_global_offsetsIS3_Lb0EPcPS5_mNS0_19identity_decomposerEEE10hipError_tT1_T2_PT3_SE_jT4_jjP12ihipStream_tbEUlT_E_NS1_11comp_targetILNS1_3genE10ELNS1_11target_archE1201ELNS1_3gpuE5ELNS1_3repE0EEENS1_52radix_sort_onesweep_histogram_config_static_selectorELNS0_4arch9wavefront6targetE1EEEvSC_
	.p2align	8
	.type	_ZN7rocprim17ROCPRIM_400000_NS6detail17trampoline_kernelINS0_14default_configENS1_35radix_sort_onesweep_config_selectorIcNS0_10empty_typeEEEZNS1_34radix_sort_onesweep_global_offsetsIS3_Lb0EPcPS5_mNS0_19identity_decomposerEEE10hipError_tT1_T2_PT3_SE_jT4_jjP12ihipStream_tbEUlT_E_NS1_11comp_targetILNS1_3genE10ELNS1_11target_archE1201ELNS1_3gpuE5ELNS1_3repE0EEENS1_52radix_sort_onesweep_histogram_config_static_selectorELNS0_4arch9wavefront6targetE1EEEvSC_,@function
_ZN7rocprim17ROCPRIM_400000_NS6detail17trampoline_kernelINS0_14default_configENS1_35radix_sort_onesweep_config_selectorIcNS0_10empty_typeEEEZNS1_34radix_sort_onesweep_global_offsetsIS3_Lb0EPcPS5_mNS0_19identity_decomposerEEE10hipError_tT1_T2_PT3_SE_jT4_jjP12ihipStream_tbEUlT_E_NS1_11comp_targetILNS1_3genE10ELNS1_11target_archE1201ELNS1_3gpuE5ELNS1_3repE0EEENS1_52radix_sort_onesweep_histogram_config_static_selectorELNS0_4arch9wavefront6targetE1EEEvSC_: ; @_ZN7rocprim17ROCPRIM_400000_NS6detail17trampoline_kernelINS0_14default_configENS1_35radix_sort_onesweep_config_selectorIcNS0_10empty_typeEEEZNS1_34radix_sort_onesweep_global_offsetsIS3_Lb0EPcPS5_mNS0_19identity_decomposerEEE10hipError_tT1_T2_PT3_SE_jT4_jjP12ihipStream_tbEUlT_E_NS1_11comp_targetILNS1_3genE10ELNS1_11target_archE1201ELNS1_3gpuE5ELNS1_3repE0EEENS1_52radix_sort_onesweep_histogram_config_static_selectorELNS0_4arch9wavefront6targetE1EEEvSC_
; %bb.0:
	.section	.rodata,"a",@progbits
	.p2align	6, 0x0
	.amdhsa_kernel _ZN7rocprim17ROCPRIM_400000_NS6detail17trampoline_kernelINS0_14default_configENS1_35radix_sort_onesweep_config_selectorIcNS0_10empty_typeEEEZNS1_34radix_sort_onesweep_global_offsetsIS3_Lb0EPcPS5_mNS0_19identity_decomposerEEE10hipError_tT1_T2_PT3_SE_jT4_jjP12ihipStream_tbEUlT_E_NS1_11comp_targetILNS1_3genE10ELNS1_11target_archE1201ELNS1_3gpuE5ELNS1_3repE0EEENS1_52radix_sort_onesweep_histogram_config_static_selectorELNS0_4arch9wavefront6targetE1EEEvSC_
		.amdhsa_group_segment_fixed_size 0
		.amdhsa_private_segment_fixed_size 0
		.amdhsa_kernarg_size 48
		.amdhsa_user_sgpr_count 6
		.amdhsa_user_sgpr_private_segment_buffer 1
		.amdhsa_user_sgpr_dispatch_ptr 0
		.amdhsa_user_sgpr_queue_ptr 0
		.amdhsa_user_sgpr_kernarg_segment_ptr 1
		.amdhsa_user_sgpr_dispatch_id 0
		.amdhsa_user_sgpr_flat_scratch_init 0
		.amdhsa_user_sgpr_kernarg_preload_length 0
		.amdhsa_user_sgpr_kernarg_preload_offset 0
		.amdhsa_user_sgpr_private_segment_size 0
		.amdhsa_uses_dynamic_stack 0
		.amdhsa_system_sgpr_private_segment_wavefront_offset 0
		.amdhsa_system_sgpr_workgroup_id_x 1
		.amdhsa_system_sgpr_workgroup_id_y 0
		.amdhsa_system_sgpr_workgroup_id_z 0
		.amdhsa_system_sgpr_workgroup_info 0
		.amdhsa_system_vgpr_workitem_id 0
		.amdhsa_next_free_vgpr 1
		.amdhsa_next_free_sgpr 0
		.amdhsa_accum_offset 4
		.amdhsa_reserve_vcc 0
		.amdhsa_reserve_flat_scratch 0
		.amdhsa_float_round_mode_32 0
		.amdhsa_float_round_mode_16_64 0
		.amdhsa_float_denorm_mode_32 3
		.amdhsa_float_denorm_mode_16_64 3
		.amdhsa_dx10_clamp 1
		.amdhsa_ieee_mode 1
		.amdhsa_fp16_overflow 0
		.amdhsa_tg_split 0
		.amdhsa_exception_fp_ieee_invalid_op 0
		.amdhsa_exception_fp_denorm_src 0
		.amdhsa_exception_fp_ieee_div_zero 0
		.amdhsa_exception_fp_ieee_overflow 0
		.amdhsa_exception_fp_ieee_underflow 0
		.amdhsa_exception_fp_ieee_inexact 0
		.amdhsa_exception_int_div_zero 0
	.end_amdhsa_kernel
	.section	.text._ZN7rocprim17ROCPRIM_400000_NS6detail17trampoline_kernelINS0_14default_configENS1_35radix_sort_onesweep_config_selectorIcNS0_10empty_typeEEEZNS1_34radix_sort_onesweep_global_offsetsIS3_Lb0EPcPS5_mNS0_19identity_decomposerEEE10hipError_tT1_T2_PT3_SE_jT4_jjP12ihipStream_tbEUlT_E_NS1_11comp_targetILNS1_3genE10ELNS1_11target_archE1201ELNS1_3gpuE5ELNS1_3repE0EEENS1_52radix_sort_onesweep_histogram_config_static_selectorELNS0_4arch9wavefront6targetE1EEEvSC_,"axG",@progbits,_ZN7rocprim17ROCPRIM_400000_NS6detail17trampoline_kernelINS0_14default_configENS1_35radix_sort_onesweep_config_selectorIcNS0_10empty_typeEEEZNS1_34radix_sort_onesweep_global_offsetsIS3_Lb0EPcPS5_mNS0_19identity_decomposerEEE10hipError_tT1_T2_PT3_SE_jT4_jjP12ihipStream_tbEUlT_E_NS1_11comp_targetILNS1_3genE10ELNS1_11target_archE1201ELNS1_3gpuE5ELNS1_3repE0EEENS1_52radix_sort_onesweep_histogram_config_static_selectorELNS0_4arch9wavefront6targetE1EEEvSC_,comdat
.Lfunc_end88:
	.size	_ZN7rocprim17ROCPRIM_400000_NS6detail17trampoline_kernelINS0_14default_configENS1_35radix_sort_onesweep_config_selectorIcNS0_10empty_typeEEEZNS1_34radix_sort_onesweep_global_offsetsIS3_Lb0EPcPS5_mNS0_19identity_decomposerEEE10hipError_tT1_T2_PT3_SE_jT4_jjP12ihipStream_tbEUlT_E_NS1_11comp_targetILNS1_3genE10ELNS1_11target_archE1201ELNS1_3gpuE5ELNS1_3repE0EEENS1_52radix_sort_onesweep_histogram_config_static_selectorELNS0_4arch9wavefront6targetE1EEEvSC_, .Lfunc_end88-_ZN7rocprim17ROCPRIM_400000_NS6detail17trampoline_kernelINS0_14default_configENS1_35radix_sort_onesweep_config_selectorIcNS0_10empty_typeEEEZNS1_34radix_sort_onesweep_global_offsetsIS3_Lb0EPcPS5_mNS0_19identity_decomposerEEE10hipError_tT1_T2_PT3_SE_jT4_jjP12ihipStream_tbEUlT_E_NS1_11comp_targetILNS1_3genE10ELNS1_11target_archE1201ELNS1_3gpuE5ELNS1_3repE0EEENS1_52radix_sort_onesweep_histogram_config_static_selectorELNS0_4arch9wavefront6targetE1EEEvSC_
                                        ; -- End function
	.section	.AMDGPU.csdata,"",@progbits
; Kernel info:
; codeLenInByte = 0
; NumSgprs: 4
; NumVgprs: 0
; NumAgprs: 0
; TotalNumVgprs: 0
; ScratchSize: 0
; MemoryBound: 0
; FloatMode: 240
; IeeeMode: 1
; LDSByteSize: 0 bytes/workgroup (compile time only)
; SGPRBlocks: 0
; VGPRBlocks: 0
; NumSGPRsForWavesPerEU: 4
; NumVGPRsForWavesPerEU: 1
; AccumOffset: 4
; Occupancy: 8
; WaveLimiterHint : 0
; COMPUTE_PGM_RSRC2:SCRATCH_EN: 0
; COMPUTE_PGM_RSRC2:USER_SGPR: 6
; COMPUTE_PGM_RSRC2:TRAP_HANDLER: 0
; COMPUTE_PGM_RSRC2:TGID_X_EN: 1
; COMPUTE_PGM_RSRC2:TGID_Y_EN: 0
; COMPUTE_PGM_RSRC2:TGID_Z_EN: 0
; COMPUTE_PGM_RSRC2:TIDIG_COMP_CNT: 0
; COMPUTE_PGM_RSRC3_GFX90A:ACCUM_OFFSET: 0
; COMPUTE_PGM_RSRC3_GFX90A:TG_SPLIT: 0
	.section	.text._ZN7rocprim17ROCPRIM_400000_NS6detail17trampoline_kernelINS0_14default_configENS1_35radix_sort_onesweep_config_selectorIcNS0_10empty_typeEEEZNS1_34radix_sort_onesweep_global_offsetsIS3_Lb0EPcPS5_mNS0_19identity_decomposerEEE10hipError_tT1_T2_PT3_SE_jT4_jjP12ihipStream_tbEUlT_E_NS1_11comp_targetILNS1_3genE9ELNS1_11target_archE1100ELNS1_3gpuE3ELNS1_3repE0EEENS1_52radix_sort_onesweep_histogram_config_static_selectorELNS0_4arch9wavefront6targetE1EEEvSC_,"axG",@progbits,_ZN7rocprim17ROCPRIM_400000_NS6detail17trampoline_kernelINS0_14default_configENS1_35radix_sort_onesweep_config_selectorIcNS0_10empty_typeEEEZNS1_34radix_sort_onesweep_global_offsetsIS3_Lb0EPcPS5_mNS0_19identity_decomposerEEE10hipError_tT1_T2_PT3_SE_jT4_jjP12ihipStream_tbEUlT_E_NS1_11comp_targetILNS1_3genE9ELNS1_11target_archE1100ELNS1_3gpuE3ELNS1_3repE0EEENS1_52radix_sort_onesweep_histogram_config_static_selectorELNS0_4arch9wavefront6targetE1EEEvSC_,comdat
	.protected	_ZN7rocprim17ROCPRIM_400000_NS6detail17trampoline_kernelINS0_14default_configENS1_35radix_sort_onesweep_config_selectorIcNS0_10empty_typeEEEZNS1_34radix_sort_onesweep_global_offsetsIS3_Lb0EPcPS5_mNS0_19identity_decomposerEEE10hipError_tT1_T2_PT3_SE_jT4_jjP12ihipStream_tbEUlT_E_NS1_11comp_targetILNS1_3genE9ELNS1_11target_archE1100ELNS1_3gpuE3ELNS1_3repE0EEENS1_52radix_sort_onesweep_histogram_config_static_selectorELNS0_4arch9wavefront6targetE1EEEvSC_ ; -- Begin function _ZN7rocprim17ROCPRIM_400000_NS6detail17trampoline_kernelINS0_14default_configENS1_35radix_sort_onesweep_config_selectorIcNS0_10empty_typeEEEZNS1_34radix_sort_onesweep_global_offsetsIS3_Lb0EPcPS5_mNS0_19identity_decomposerEEE10hipError_tT1_T2_PT3_SE_jT4_jjP12ihipStream_tbEUlT_E_NS1_11comp_targetILNS1_3genE9ELNS1_11target_archE1100ELNS1_3gpuE3ELNS1_3repE0EEENS1_52radix_sort_onesweep_histogram_config_static_selectorELNS0_4arch9wavefront6targetE1EEEvSC_
	.globl	_ZN7rocprim17ROCPRIM_400000_NS6detail17trampoline_kernelINS0_14default_configENS1_35radix_sort_onesweep_config_selectorIcNS0_10empty_typeEEEZNS1_34radix_sort_onesweep_global_offsetsIS3_Lb0EPcPS5_mNS0_19identity_decomposerEEE10hipError_tT1_T2_PT3_SE_jT4_jjP12ihipStream_tbEUlT_E_NS1_11comp_targetILNS1_3genE9ELNS1_11target_archE1100ELNS1_3gpuE3ELNS1_3repE0EEENS1_52radix_sort_onesweep_histogram_config_static_selectorELNS0_4arch9wavefront6targetE1EEEvSC_
	.p2align	8
	.type	_ZN7rocprim17ROCPRIM_400000_NS6detail17trampoline_kernelINS0_14default_configENS1_35radix_sort_onesweep_config_selectorIcNS0_10empty_typeEEEZNS1_34radix_sort_onesweep_global_offsetsIS3_Lb0EPcPS5_mNS0_19identity_decomposerEEE10hipError_tT1_T2_PT3_SE_jT4_jjP12ihipStream_tbEUlT_E_NS1_11comp_targetILNS1_3genE9ELNS1_11target_archE1100ELNS1_3gpuE3ELNS1_3repE0EEENS1_52radix_sort_onesweep_histogram_config_static_selectorELNS0_4arch9wavefront6targetE1EEEvSC_,@function
_ZN7rocprim17ROCPRIM_400000_NS6detail17trampoline_kernelINS0_14default_configENS1_35radix_sort_onesweep_config_selectorIcNS0_10empty_typeEEEZNS1_34radix_sort_onesweep_global_offsetsIS3_Lb0EPcPS5_mNS0_19identity_decomposerEEE10hipError_tT1_T2_PT3_SE_jT4_jjP12ihipStream_tbEUlT_E_NS1_11comp_targetILNS1_3genE9ELNS1_11target_archE1100ELNS1_3gpuE3ELNS1_3repE0EEENS1_52radix_sort_onesweep_histogram_config_static_selectorELNS0_4arch9wavefront6targetE1EEEvSC_: ; @_ZN7rocprim17ROCPRIM_400000_NS6detail17trampoline_kernelINS0_14default_configENS1_35radix_sort_onesweep_config_selectorIcNS0_10empty_typeEEEZNS1_34radix_sort_onesweep_global_offsetsIS3_Lb0EPcPS5_mNS0_19identity_decomposerEEE10hipError_tT1_T2_PT3_SE_jT4_jjP12ihipStream_tbEUlT_E_NS1_11comp_targetILNS1_3genE9ELNS1_11target_archE1100ELNS1_3gpuE3ELNS1_3repE0EEENS1_52radix_sort_onesweep_histogram_config_static_selectorELNS0_4arch9wavefront6targetE1EEEvSC_
; %bb.0:
	.section	.rodata,"a",@progbits
	.p2align	6, 0x0
	.amdhsa_kernel _ZN7rocprim17ROCPRIM_400000_NS6detail17trampoline_kernelINS0_14default_configENS1_35radix_sort_onesweep_config_selectorIcNS0_10empty_typeEEEZNS1_34radix_sort_onesweep_global_offsetsIS3_Lb0EPcPS5_mNS0_19identity_decomposerEEE10hipError_tT1_T2_PT3_SE_jT4_jjP12ihipStream_tbEUlT_E_NS1_11comp_targetILNS1_3genE9ELNS1_11target_archE1100ELNS1_3gpuE3ELNS1_3repE0EEENS1_52radix_sort_onesweep_histogram_config_static_selectorELNS0_4arch9wavefront6targetE1EEEvSC_
		.amdhsa_group_segment_fixed_size 0
		.amdhsa_private_segment_fixed_size 0
		.amdhsa_kernarg_size 48
		.amdhsa_user_sgpr_count 6
		.amdhsa_user_sgpr_private_segment_buffer 1
		.amdhsa_user_sgpr_dispatch_ptr 0
		.amdhsa_user_sgpr_queue_ptr 0
		.amdhsa_user_sgpr_kernarg_segment_ptr 1
		.amdhsa_user_sgpr_dispatch_id 0
		.amdhsa_user_sgpr_flat_scratch_init 0
		.amdhsa_user_sgpr_kernarg_preload_length 0
		.amdhsa_user_sgpr_kernarg_preload_offset 0
		.amdhsa_user_sgpr_private_segment_size 0
		.amdhsa_uses_dynamic_stack 0
		.amdhsa_system_sgpr_private_segment_wavefront_offset 0
		.amdhsa_system_sgpr_workgroup_id_x 1
		.amdhsa_system_sgpr_workgroup_id_y 0
		.amdhsa_system_sgpr_workgroup_id_z 0
		.amdhsa_system_sgpr_workgroup_info 0
		.amdhsa_system_vgpr_workitem_id 0
		.amdhsa_next_free_vgpr 1
		.amdhsa_next_free_sgpr 0
		.amdhsa_accum_offset 4
		.amdhsa_reserve_vcc 0
		.amdhsa_reserve_flat_scratch 0
		.amdhsa_float_round_mode_32 0
		.amdhsa_float_round_mode_16_64 0
		.amdhsa_float_denorm_mode_32 3
		.amdhsa_float_denorm_mode_16_64 3
		.amdhsa_dx10_clamp 1
		.amdhsa_ieee_mode 1
		.amdhsa_fp16_overflow 0
		.amdhsa_tg_split 0
		.amdhsa_exception_fp_ieee_invalid_op 0
		.amdhsa_exception_fp_denorm_src 0
		.amdhsa_exception_fp_ieee_div_zero 0
		.amdhsa_exception_fp_ieee_overflow 0
		.amdhsa_exception_fp_ieee_underflow 0
		.amdhsa_exception_fp_ieee_inexact 0
		.amdhsa_exception_int_div_zero 0
	.end_amdhsa_kernel
	.section	.text._ZN7rocprim17ROCPRIM_400000_NS6detail17trampoline_kernelINS0_14default_configENS1_35radix_sort_onesweep_config_selectorIcNS0_10empty_typeEEEZNS1_34radix_sort_onesweep_global_offsetsIS3_Lb0EPcPS5_mNS0_19identity_decomposerEEE10hipError_tT1_T2_PT3_SE_jT4_jjP12ihipStream_tbEUlT_E_NS1_11comp_targetILNS1_3genE9ELNS1_11target_archE1100ELNS1_3gpuE3ELNS1_3repE0EEENS1_52radix_sort_onesweep_histogram_config_static_selectorELNS0_4arch9wavefront6targetE1EEEvSC_,"axG",@progbits,_ZN7rocprim17ROCPRIM_400000_NS6detail17trampoline_kernelINS0_14default_configENS1_35radix_sort_onesweep_config_selectorIcNS0_10empty_typeEEEZNS1_34radix_sort_onesweep_global_offsetsIS3_Lb0EPcPS5_mNS0_19identity_decomposerEEE10hipError_tT1_T2_PT3_SE_jT4_jjP12ihipStream_tbEUlT_E_NS1_11comp_targetILNS1_3genE9ELNS1_11target_archE1100ELNS1_3gpuE3ELNS1_3repE0EEENS1_52radix_sort_onesweep_histogram_config_static_selectorELNS0_4arch9wavefront6targetE1EEEvSC_,comdat
.Lfunc_end89:
	.size	_ZN7rocprim17ROCPRIM_400000_NS6detail17trampoline_kernelINS0_14default_configENS1_35radix_sort_onesweep_config_selectorIcNS0_10empty_typeEEEZNS1_34radix_sort_onesweep_global_offsetsIS3_Lb0EPcPS5_mNS0_19identity_decomposerEEE10hipError_tT1_T2_PT3_SE_jT4_jjP12ihipStream_tbEUlT_E_NS1_11comp_targetILNS1_3genE9ELNS1_11target_archE1100ELNS1_3gpuE3ELNS1_3repE0EEENS1_52radix_sort_onesweep_histogram_config_static_selectorELNS0_4arch9wavefront6targetE1EEEvSC_, .Lfunc_end89-_ZN7rocprim17ROCPRIM_400000_NS6detail17trampoline_kernelINS0_14default_configENS1_35radix_sort_onesweep_config_selectorIcNS0_10empty_typeEEEZNS1_34radix_sort_onesweep_global_offsetsIS3_Lb0EPcPS5_mNS0_19identity_decomposerEEE10hipError_tT1_T2_PT3_SE_jT4_jjP12ihipStream_tbEUlT_E_NS1_11comp_targetILNS1_3genE9ELNS1_11target_archE1100ELNS1_3gpuE3ELNS1_3repE0EEENS1_52radix_sort_onesweep_histogram_config_static_selectorELNS0_4arch9wavefront6targetE1EEEvSC_
                                        ; -- End function
	.section	.AMDGPU.csdata,"",@progbits
; Kernel info:
; codeLenInByte = 0
; NumSgprs: 4
; NumVgprs: 0
; NumAgprs: 0
; TotalNumVgprs: 0
; ScratchSize: 0
; MemoryBound: 0
; FloatMode: 240
; IeeeMode: 1
; LDSByteSize: 0 bytes/workgroup (compile time only)
; SGPRBlocks: 0
; VGPRBlocks: 0
; NumSGPRsForWavesPerEU: 4
; NumVGPRsForWavesPerEU: 1
; AccumOffset: 4
; Occupancy: 8
; WaveLimiterHint : 0
; COMPUTE_PGM_RSRC2:SCRATCH_EN: 0
; COMPUTE_PGM_RSRC2:USER_SGPR: 6
; COMPUTE_PGM_RSRC2:TRAP_HANDLER: 0
; COMPUTE_PGM_RSRC2:TGID_X_EN: 1
; COMPUTE_PGM_RSRC2:TGID_Y_EN: 0
; COMPUTE_PGM_RSRC2:TGID_Z_EN: 0
; COMPUTE_PGM_RSRC2:TIDIG_COMP_CNT: 0
; COMPUTE_PGM_RSRC3_GFX90A:ACCUM_OFFSET: 0
; COMPUTE_PGM_RSRC3_GFX90A:TG_SPLIT: 0
	.section	.text._ZN7rocprim17ROCPRIM_400000_NS6detail17trampoline_kernelINS0_14default_configENS1_35radix_sort_onesweep_config_selectorIcNS0_10empty_typeEEEZNS1_34radix_sort_onesweep_global_offsetsIS3_Lb0EPcPS5_mNS0_19identity_decomposerEEE10hipError_tT1_T2_PT3_SE_jT4_jjP12ihipStream_tbEUlT_E_NS1_11comp_targetILNS1_3genE8ELNS1_11target_archE1030ELNS1_3gpuE2ELNS1_3repE0EEENS1_52radix_sort_onesweep_histogram_config_static_selectorELNS0_4arch9wavefront6targetE1EEEvSC_,"axG",@progbits,_ZN7rocprim17ROCPRIM_400000_NS6detail17trampoline_kernelINS0_14default_configENS1_35radix_sort_onesweep_config_selectorIcNS0_10empty_typeEEEZNS1_34radix_sort_onesweep_global_offsetsIS3_Lb0EPcPS5_mNS0_19identity_decomposerEEE10hipError_tT1_T2_PT3_SE_jT4_jjP12ihipStream_tbEUlT_E_NS1_11comp_targetILNS1_3genE8ELNS1_11target_archE1030ELNS1_3gpuE2ELNS1_3repE0EEENS1_52radix_sort_onesweep_histogram_config_static_selectorELNS0_4arch9wavefront6targetE1EEEvSC_,comdat
	.protected	_ZN7rocprim17ROCPRIM_400000_NS6detail17trampoline_kernelINS0_14default_configENS1_35radix_sort_onesweep_config_selectorIcNS0_10empty_typeEEEZNS1_34radix_sort_onesweep_global_offsetsIS3_Lb0EPcPS5_mNS0_19identity_decomposerEEE10hipError_tT1_T2_PT3_SE_jT4_jjP12ihipStream_tbEUlT_E_NS1_11comp_targetILNS1_3genE8ELNS1_11target_archE1030ELNS1_3gpuE2ELNS1_3repE0EEENS1_52radix_sort_onesweep_histogram_config_static_selectorELNS0_4arch9wavefront6targetE1EEEvSC_ ; -- Begin function _ZN7rocprim17ROCPRIM_400000_NS6detail17trampoline_kernelINS0_14default_configENS1_35radix_sort_onesweep_config_selectorIcNS0_10empty_typeEEEZNS1_34radix_sort_onesweep_global_offsetsIS3_Lb0EPcPS5_mNS0_19identity_decomposerEEE10hipError_tT1_T2_PT3_SE_jT4_jjP12ihipStream_tbEUlT_E_NS1_11comp_targetILNS1_3genE8ELNS1_11target_archE1030ELNS1_3gpuE2ELNS1_3repE0EEENS1_52radix_sort_onesweep_histogram_config_static_selectorELNS0_4arch9wavefront6targetE1EEEvSC_
	.globl	_ZN7rocprim17ROCPRIM_400000_NS6detail17trampoline_kernelINS0_14default_configENS1_35radix_sort_onesweep_config_selectorIcNS0_10empty_typeEEEZNS1_34radix_sort_onesweep_global_offsetsIS3_Lb0EPcPS5_mNS0_19identity_decomposerEEE10hipError_tT1_T2_PT3_SE_jT4_jjP12ihipStream_tbEUlT_E_NS1_11comp_targetILNS1_3genE8ELNS1_11target_archE1030ELNS1_3gpuE2ELNS1_3repE0EEENS1_52radix_sort_onesweep_histogram_config_static_selectorELNS0_4arch9wavefront6targetE1EEEvSC_
	.p2align	8
	.type	_ZN7rocprim17ROCPRIM_400000_NS6detail17trampoline_kernelINS0_14default_configENS1_35radix_sort_onesweep_config_selectorIcNS0_10empty_typeEEEZNS1_34radix_sort_onesweep_global_offsetsIS3_Lb0EPcPS5_mNS0_19identity_decomposerEEE10hipError_tT1_T2_PT3_SE_jT4_jjP12ihipStream_tbEUlT_E_NS1_11comp_targetILNS1_3genE8ELNS1_11target_archE1030ELNS1_3gpuE2ELNS1_3repE0EEENS1_52radix_sort_onesweep_histogram_config_static_selectorELNS0_4arch9wavefront6targetE1EEEvSC_,@function
_ZN7rocprim17ROCPRIM_400000_NS6detail17trampoline_kernelINS0_14default_configENS1_35radix_sort_onesweep_config_selectorIcNS0_10empty_typeEEEZNS1_34radix_sort_onesweep_global_offsetsIS3_Lb0EPcPS5_mNS0_19identity_decomposerEEE10hipError_tT1_T2_PT3_SE_jT4_jjP12ihipStream_tbEUlT_E_NS1_11comp_targetILNS1_3genE8ELNS1_11target_archE1030ELNS1_3gpuE2ELNS1_3repE0EEENS1_52radix_sort_onesweep_histogram_config_static_selectorELNS0_4arch9wavefront6targetE1EEEvSC_: ; @_ZN7rocprim17ROCPRIM_400000_NS6detail17trampoline_kernelINS0_14default_configENS1_35radix_sort_onesweep_config_selectorIcNS0_10empty_typeEEEZNS1_34radix_sort_onesweep_global_offsetsIS3_Lb0EPcPS5_mNS0_19identity_decomposerEEE10hipError_tT1_T2_PT3_SE_jT4_jjP12ihipStream_tbEUlT_E_NS1_11comp_targetILNS1_3genE8ELNS1_11target_archE1030ELNS1_3gpuE2ELNS1_3repE0EEENS1_52radix_sort_onesweep_histogram_config_static_selectorELNS0_4arch9wavefront6targetE1EEEvSC_
; %bb.0:
	.section	.rodata,"a",@progbits
	.p2align	6, 0x0
	.amdhsa_kernel _ZN7rocprim17ROCPRIM_400000_NS6detail17trampoline_kernelINS0_14default_configENS1_35radix_sort_onesweep_config_selectorIcNS0_10empty_typeEEEZNS1_34radix_sort_onesweep_global_offsetsIS3_Lb0EPcPS5_mNS0_19identity_decomposerEEE10hipError_tT1_T2_PT3_SE_jT4_jjP12ihipStream_tbEUlT_E_NS1_11comp_targetILNS1_3genE8ELNS1_11target_archE1030ELNS1_3gpuE2ELNS1_3repE0EEENS1_52radix_sort_onesweep_histogram_config_static_selectorELNS0_4arch9wavefront6targetE1EEEvSC_
		.amdhsa_group_segment_fixed_size 0
		.amdhsa_private_segment_fixed_size 0
		.amdhsa_kernarg_size 48
		.amdhsa_user_sgpr_count 6
		.amdhsa_user_sgpr_private_segment_buffer 1
		.amdhsa_user_sgpr_dispatch_ptr 0
		.amdhsa_user_sgpr_queue_ptr 0
		.amdhsa_user_sgpr_kernarg_segment_ptr 1
		.amdhsa_user_sgpr_dispatch_id 0
		.amdhsa_user_sgpr_flat_scratch_init 0
		.amdhsa_user_sgpr_kernarg_preload_length 0
		.amdhsa_user_sgpr_kernarg_preload_offset 0
		.amdhsa_user_sgpr_private_segment_size 0
		.amdhsa_uses_dynamic_stack 0
		.amdhsa_system_sgpr_private_segment_wavefront_offset 0
		.amdhsa_system_sgpr_workgroup_id_x 1
		.amdhsa_system_sgpr_workgroup_id_y 0
		.amdhsa_system_sgpr_workgroup_id_z 0
		.amdhsa_system_sgpr_workgroup_info 0
		.amdhsa_system_vgpr_workitem_id 0
		.amdhsa_next_free_vgpr 1
		.amdhsa_next_free_sgpr 0
		.amdhsa_accum_offset 4
		.amdhsa_reserve_vcc 0
		.amdhsa_reserve_flat_scratch 0
		.amdhsa_float_round_mode_32 0
		.amdhsa_float_round_mode_16_64 0
		.amdhsa_float_denorm_mode_32 3
		.amdhsa_float_denorm_mode_16_64 3
		.amdhsa_dx10_clamp 1
		.amdhsa_ieee_mode 1
		.amdhsa_fp16_overflow 0
		.amdhsa_tg_split 0
		.amdhsa_exception_fp_ieee_invalid_op 0
		.amdhsa_exception_fp_denorm_src 0
		.amdhsa_exception_fp_ieee_div_zero 0
		.amdhsa_exception_fp_ieee_overflow 0
		.amdhsa_exception_fp_ieee_underflow 0
		.amdhsa_exception_fp_ieee_inexact 0
		.amdhsa_exception_int_div_zero 0
	.end_amdhsa_kernel
	.section	.text._ZN7rocprim17ROCPRIM_400000_NS6detail17trampoline_kernelINS0_14default_configENS1_35radix_sort_onesweep_config_selectorIcNS0_10empty_typeEEEZNS1_34radix_sort_onesweep_global_offsetsIS3_Lb0EPcPS5_mNS0_19identity_decomposerEEE10hipError_tT1_T2_PT3_SE_jT4_jjP12ihipStream_tbEUlT_E_NS1_11comp_targetILNS1_3genE8ELNS1_11target_archE1030ELNS1_3gpuE2ELNS1_3repE0EEENS1_52radix_sort_onesweep_histogram_config_static_selectorELNS0_4arch9wavefront6targetE1EEEvSC_,"axG",@progbits,_ZN7rocprim17ROCPRIM_400000_NS6detail17trampoline_kernelINS0_14default_configENS1_35radix_sort_onesweep_config_selectorIcNS0_10empty_typeEEEZNS1_34radix_sort_onesweep_global_offsetsIS3_Lb0EPcPS5_mNS0_19identity_decomposerEEE10hipError_tT1_T2_PT3_SE_jT4_jjP12ihipStream_tbEUlT_E_NS1_11comp_targetILNS1_3genE8ELNS1_11target_archE1030ELNS1_3gpuE2ELNS1_3repE0EEENS1_52radix_sort_onesweep_histogram_config_static_selectorELNS0_4arch9wavefront6targetE1EEEvSC_,comdat
.Lfunc_end90:
	.size	_ZN7rocprim17ROCPRIM_400000_NS6detail17trampoline_kernelINS0_14default_configENS1_35radix_sort_onesweep_config_selectorIcNS0_10empty_typeEEEZNS1_34radix_sort_onesweep_global_offsetsIS3_Lb0EPcPS5_mNS0_19identity_decomposerEEE10hipError_tT1_T2_PT3_SE_jT4_jjP12ihipStream_tbEUlT_E_NS1_11comp_targetILNS1_3genE8ELNS1_11target_archE1030ELNS1_3gpuE2ELNS1_3repE0EEENS1_52radix_sort_onesweep_histogram_config_static_selectorELNS0_4arch9wavefront6targetE1EEEvSC_, .Lfunc_end90-_ZN7rocprim17ROCPRIM_400000_NS6detail17trampoline_kernelINS0_14default_configENS1_35radix_sort_onesweep_config_selectorIcNS0_10empty_typeEEEZNS1_34radix_sort_onesweep_global_offsetsIS3_Lb0EPcPS5_mNS0_19identity_decomposerEEE10hipError_tT1_T2_PT3_SE_jT4_jjP12ihipStream_tbEUlT_E_NS1_11comp_targetILNS1_3genE8ELNS1_11target_archE1030ELNS1_3gpuE2ELNS1_3repE0EEENS1_52radix_sort_onesweep_histogram_config_static_selectorELNS0_4arch9wavefront6targetE1EEEvSC_
                                        ; -- End function
	.section	.AMDGPU.csdata,"",@progbits
; Kernel info:
; codeLenInByte = 0
; NumSgprs: 4
; NumVgprs: 0
; NumAgprs: 0
; TotalNumVgprs: 0
; ScratchSize: 0
; MemoryBound: 0
; FloatMode: 240
; IeeeMode: 1
; LDSByteSize: 0 bytes/workgroup (compile time only)
; SGPRBlocks: 0
; VGPRBlocks: 0
; NumSGPRsForWavesPerEU: 4
; NumVGPRsForWavesPerEU: 1
; AccumOffset: 4
; Occupancy: 8
; WaveLimiterHint : 0
; COMPUTE_PGM_RSRC2:SCRATCH_EN: 0
; COMPUTE_PGM_RSRC2:USER_SGPR: 6
; COMPUTE_PGM_RSRC2:TRAP_HANDLER: 0
; COMPUTE_PGM_RSRC2:TGID_X_EN: 1
; COMPUTE_PGM_RSRC2:TGID_Y_EN: 0
; COMPUTE_PGM_RSRC2:TGID_Z_EN: 0
; COMPUTE_PGM_RSRC2:TIDIG_COMP_CNT: 0
; COMPUTE_PGM_RSRC3_GFX90A:ACCUM_OFFSET: 0
; COMPUTE_PGM_RSRC3_GFX90A:TG_SPLIT: 0
	.section	.text._ZN7rocprim17ROCPRIM_400000_NS6detail17trampoline_kernelINS0_14default_configENS1_35radix_sort_onesweep_config_selectorIcNS0_10empty_typeEEEZNS1_34radix_sort_onesweep_global_offsetsIS3_Lb0EPcPS5_mNS0_19identity_decomposerEEE10hipError_tT1_T2_PT3_SE_jT4_jjP12ihipStream_tbEUlT_E0_NS1_11comp_targetILNS1_3genE0ELNS1_11target_archE4294967295ELNS1_3gpuE0ELNS1_3repE0EEENS1_52radix_sort_onesweep_histogram_config_static_selectorELNS0_4arch9wavefront6targetE1EEEvSC_,"axG",@progbits,_ZN7rocprim17ROCPRIM_400000_NS6detail17trampoline_kernelINS0_14default_configENS1_35radix_sort_onesweep_config_selectorIcNS0_10empty_typeEEEZNS1_34radix_sort_onesweep_global_offsetsIS3_Lb0EPcPS5_mNS0_19identity_decomposerEEE10hipError_tT1_T2_PT3_SE_jT4_jjP12ihipStream_tbEUlT_E0_NS1_11comp_targetILNS1_3genE0ELNS1_11target_archE4294967295ELNS1_3gpuE0ELNS1_3repE0EEENS1_52radix_sort_onesweep_histogram_config_static_selectorELNS0_4arch9wavefront6targetE1EEEvSC_,comdat
	.protected	_ZN7rocprim17ROCPRIM_400000_NS6detail17trampoline_kernelINS0_14default_configENS1_35radix_sort_onesweep_config_selectorIcNS0_10empty_typeEEEZNS1_34radix_sort_onesweep_global_offsetsIS3_Lb0EPcPS5_mNS0_19identity_decomposerEEE10hipError_tT1_T2_PT3_SE_jT4_jjP12ihipStream_tbEUlT_E0_NS1_11comp_targetILNS1_3genE0ELNS1_11target_archE4294967295ELNS1_3gpuE0ELNS1_3repE0EEENS1_52radix_sort_onesweep_histogram_config_static_selectorELNS0_4arch9wavefront6targetE1EEEvSC_ ; -- Begin function _ZN7rocprim17ROCPRIM_400000_NS6detail17trampoline_kernelINS0_14default_configENS1_35radix_sort_onesweep_config_selectorIcNS0_10empty_typeEEEZNS1_34radix_sort_onesweep_global_offsetsIS3_Lb0EPcPS5_mNS0_19identity_decomposerEEE10hipError_tT1_T2_PT3_SE_jT4_jjP12ihipStream_tbEUlT_E0_NS1_11comp_targetILNS1_3genE0ELNS1_11target_archE4294967295ELNS1_3gpuE0ELNS1_3repE0EEENS1_52radix_sort_onesweep_histogram_config_static_selectorELNS0_4arch9wavefront6targetE1EEEvSC_
	.globl	_ZN7rocprim17ROCPRIM_400000_NS6detail17trampoline_kernelINS0_14default_configENS1_35radix_sort_onesweep_config_selectorIcNS0_10empty_typeEEEZNS1_34radix_sort_onesweep_global_offsetsIS3_Lb0EPcPS5_mNS0_19identity_decomposerEEE10hipError_tT1_T2_PT3_SE_jT4_jjP12ihipStream_tbEUlT_E0_NS1_11comp_targetILNS1_3genE0ELNS1_11target_archE4294967295ELNS1_3gpuE0ELNS1_3repE0EEENS1_52radix_sort_onesweep_histogram_config_static_selectorELNS0_4arch9wavefront6targetE1EEEvSC_
	.p2align	8
	.type	_ZN7rocprim17ROCPRIM_400000_NS6detail17trampoline_kernelINS0_14default_configENS1_35radix_sort_onesweep_config_selectorIcNS0_10empty_typeEEEZNS1_34radix_sort_onesweep_global_offsetsIS3_Lb0EPcPS5_mNS0_19identity_decomposerEEE10hipError_tT1_T2_PT3_SE_jT4_jjP12ihipStream_tbEUlT_E0_NS1_11comp_targetILNS1_3genE0ELNS1_11target_archE4294967295ELNS1_3gpuE0ELNS1_3repE0EEENS1_52radix_sort_onesweep_histogram_config_static_selectorELNS0_4arch9wavefront6targetE1EEEvSC_,@function
_ZN7rocprim17ROCPRIM_400000_NS6detail17trampoline_kernelINS0_14default_configENS1_35radix_sort_onesweep_config_selectorIcNS0_10empty_typeEEEZNS1_34radix_sort_onesweep_global_offsetsIS3_Lb0EPcPS5_mNS0_19identity_decomposerEEE10hipError_tT1_T2_PT3_SE_jT4_jjP12ihipStream_tbEUlT_E0_NS1_11comp_targetILNS1_3genE0ELNS1_11target_archE4294967295ELNS1_3gpuE0ELNS1_3repE0EEENS1_52radix_sort_onesweep_histogram_config_static_selectorELNS0_4arch9wavefront6targetE1EEEvSC_: ; @_ZN7rocprim17ROCPRIM_400000_NS6detail17trampoline_kernelINS0_14default_configENS1_35radix_sort_onesweep_config_selectorIcNS0_10empty_typeEEEZNS1_34radix_sort_onesweep_global_offsetsIS3_Lb0EPcPS5_mNS0_19identity_decomposerEEE10hipError_tT1_T2_PT3_SE_jT4_jjP12ihipStream_tbEUlT_E0_NS1_11comp_targetILNS1_3genE0ELNS1_11target_archE4294967295ELNS1_3gpuE0ELNS1_3repE0EEENS1_52radix_sort_onesweep_histogram_config_static_selectorELNS0_4arch9wavefront6targetE1EEEvSC_
; %bb.0:
	.section	.rodata,"a",@progbits
	.p2align	6, 0x0
	.amdhsa_kernel _ZN7rocprim17ROCPRIM_400000_NS6detail17trampoline_kernelINS0_14default_configENS1_35radix_sort_onesweep_config_selectorIcNS0_10empty_typeEEEZNS1_34radix_sort_onesweep_global_offsetsIS3_Lb0EPcPS5_mNS0_19identity_decomposerEEE10hipError_tT1_T2_PT3_SE_jT4_jjP12ihipStream_tbEUlT_E0_NS1_11comp_targetILNS1_3genE0ELNS1_11target_archE4294967295ELNS1_3gpuE0ELNS1_3repE0EEENS1_52radix_sort_onesweep_histogram_config_static_selectorELNS0_4arch9wavefront6targetE1EEEvSC_
		.amdhsa_group_segment_fixed_size 0
		.amdhsa_private_segment_fixed_size 0
		.amdhsa_kernarg_size 8
		.amdhsa_user_sgpr_count 6
		.amdhsa_user_sgpr_private_segment_buffer 1
		.amdhsa_user_sgpr_dispatch_ptr 0
		.amdhsa_user_sgpr_queue_ptr 0
		.amdhsa_user_sgpr_kernarg_segment_ptr 1
		.amdhsa_user_sgpr_dispatch_id 0
		.amdhsa_user_sgpr_flat_scratch_init 0
		.amdhsa_user_sgpr_kernarg_preload_length 0
		.amdhsa_user_sgpr_kernarg_preload_offset 0
		.amdhsa_user_sgpr_private_segment_size 0
		.amdhsa_uses_dynamic_stack 0
		.amdhsa_system_sgpr_private_segment_wavefront_offset 0
		.amdhsa_system_sgpr_workgroup_id_x 1
		.amdhsa_system_sgpr_workgroup_id_y 0
		.amdhsa_system_sgpr_workgroup_id_z 0
		.amdhsa_system_sgpr_workgroup_info 0
		.amdhsa_system_vgpr_workitem_id 0
		.amdhsa_next_free_vgpr 1
		.amdhsa_next_free_sgpr 0
		.amdhsa_accum_offset 4
		.amdhsa_reserve_vcc 0
		.amdhsa_reserve_flat_scratch 0
		.amdhsa_float_round_mode_32 0
		.amdhsa_float_round_mode_16_64 0
		.amdhsa_float_denorm_mode_32 3
		.amdhsa_float_denorm_mode_16_64 3
		.amdhsa_dx10_clamp 1
		.amdhsa_ieee_mode 1
		.amdhsa_fp16_overflow 0
		.amdhsa_tg_split 0
		.amdhsa_exception_fp_ieee_invalid_op 0
		.amdhsa_exception_fp_denorm_src 0
		.amdhsa_exception_fp_ieee_div_zero 0
		.amdhsa_exception_fp_ieee_overflow 0
		.amdhsa_exception_fp_ieee_underflow 0
		.amdhsa_exception_fp_ieee_inexact 0
		.amdhsa_exception_int_div_zero 0
	.end_amdhsa_kernel
	.section	.text._ZN7rocprim17ROCPRIM_400000_NS6detail17trampoline_kernelINS0_14default_configENS1_35radix_sort_onesweep_config_selectorIcNS0_10empty_typeEEEZNS1_34radix_sort_onesweep_global_offsetsIS3_Lb0EPcPS5_mNS0_19identity_decomposerEEE10hipError_tT1_T2_PT3_SE_jT4_jjP12ihipStream_tbEUlT_E0_NS1_11comp_targetILNS1_3genE0ELNS1_11target_archE4294967295ELNS1_3gpuE0ELNS1_3repE0EEENS1_52radix_sort_onesweep_histogram_config_static_selectorELNS0_4arch9wavefront6targetE1EEEvSC_,"axG",@progbits,_ZN7rocprim17ROCPRIM_400000_NS6detail17trampoline_kernelINS0_14default_configENS1_35radix_sort_onesweep_config_selectorIcNS0_10empty_typeEEEZNS1_34radix_sort_onesweep_global_offsetsIS3_Lb0EPcPS5_mNS0_19identity_decomposerEEE10hipError_tT1_T2_PT3_SE_jT4_jjP12ihipStream_tbEUlT_E0_NS1_11comp_targetILNS1_3genE0ELNS1_11target_archE4294967295ELNS1_3gpuE0ELNS1_3repE0EEENS1_52radix_sort_onesweep_histogram_config_static_selectorELNS0_4arch9wavefront6targetE1EEEvSC_,comdat
.Lfunc_end91:
	.size	_ZN7rocprim17ROCPRIM_400000_NS6detail17trampoline_kernelINS0_14default_configENS1_35radix_sort_onesweep_config_selectorIcNS0_10empty_typeEEEZNS1_34radix_sort_onesweep_global_offsetsIS3_Lb0EPcPS5_mNS0_19identity_decomposerEEE10hipError_tT1_T2_PT3_SE_jT4_jjP12ihipStream_tbEUlT_E0_NS1_11comp_targetILNS1_3genE0ELNS1_11target_archE4294967295ELNS1_3gpuE0ELNS1_3repE0EEENS1_52radix_sort_onesweep_histogram_config_static_selectorELNS0_4arch9wavefront6targetE1EEEvSC_, .Lfunc_end91-_ZN7rocprim17ROCPRIM_400000_NS6detail17trampoline_kernelINS0_14default_configENS1_35radix_sort_onesweep_config_selectorIcNS0_10empty_typeEEEZNS1_34radix_sort_onesweep_global_offsetsIS3_Lb0EPcPS5_mNS0_19identity_decomposerEEE10hipError_tT1_T2_PT3_SE_jT4_jjP12ihipStream_tbEUlT_E0_NS1_11comp_targetILNS1_3genE0ELNS1_11target_archE4294967295ELNS1_3gpuE0ELNS1_3repE0EEENS1_52radix_sort_onesweep_histogram_config_static_selectorELNS0_4arch9wavefront6targetE1EEEvSC_
                                        ; -- End function
	.section	.AMDGPU.csdata,"",@progbits
; Kernel info:
; codeLenInByte = 0
; NumSgprs: 4
; NumVgprs: 0
; NumAgprs: 0
; TotalNumVgprs: 0
; ScratchSize: 0
; MemoryBound: 0
; FloatMode: 240
; IeeeMode: 1
; LDSByteSize: 0 bytes/workgroup (compile time only)
; SGPRBlocks: 0
; VGPRBlocks: 0
; NumSGPRsForWavesPerEU: 4
; NumVGPRsForWavesPerEU: 1
; AccumOffset: 4
; Occupancy: 8
; WaveLimiterHint : 0
; COMPUTE_PGM_RSRC2:SCRATCH_EN: 0
; COMPUTE_PGM_RSRC2:USER_SGPR: 6
; COMPUTE_PGM_RSRC2:TRAP_HANDLER: 0
; COMPUTE_PGM_RSRC2:TGID_X_EN: 1
; COMPUTE_PGM_RSRC2:TGID_Y_EN: 0
; COMPUTE_PGM_RSRC2:TGID_Z_EN: 0
; COMPUTE_PGM_RSRC2:TIDIG_COMP_CNT: 0
; COMPUTE_PGM_RSRC3_GFX90A:ACCUM_OFFSET: 0
; COMPUTE_PGM_RSRC3_GFX90A:TG_SPLIT: 0
	.section	.text._ZN7rocprim17ROCPRIM_400000_NS6detail17trampoline_kernelINS0_14default_configENS1_35radix_sort_onesweep_config_selectorIcNS0_10empty_typeEEEZNS1_34radix_sort_onesweep_global_offsetsIS3_Lb0EPcPS5_mNS0_19identity_decomposerEEE10hipError_tT1_T2_PT3_SE_jT4_jjP12ihipStream_tbEUlT_E0_NS1_11comp_targetILNS1_3genE6ELNS1_11target_archE950ELNS1_3gpuE13ELNS1_3repE0EEENS1_52radix_sort_onesweep_histogram_config_static_selectorELNS0_4arch9wavefront6targetE1EEEvSC_,"axG",@progbits,_ZN7rocprim17ROCPRIM_400000_NS6detail17trampoline_kernelINS0_14default_configENS1_35radix_sort_onesweep_config_selectorIcNS0_10empty_typeEEEZNS1_34radix_sort_onesweep_global_offsetsIS3_Lb0EPcPS5_mNS0_19identity_decomposerEEE10hipError_tT1_T2_PT3_SE_jT4_jjP12ihipStream_tbEUlT_E0_NS1_11comp_targetILNS1_3genE6ELNS1_11target_archE950ELNS1_3gpuE13ELNS1_3repE0EEENS1_52radix_sort_onesweep_histogram_config_static_selectorELNS0_4arch9wavefront6targetE1EEEvSC_,comdat
	.protected	_ZN7rocprim17ROCPRIM_400000_NS6detail17trampoline_kernelINS0_14default_configENS1_35radix_sort_onesweep_config_selectorIcNS0_10empty_typeEEEZNS1_34radix_sort_onesweep_global_offsetsIS3_Lb0EPcPS5_mNS0_19identity_decomposerEEE10hipError_tT1_T2_PT3_SE_jT4_jjP12ihipStream_tbEUlT_E0_NS1_11comp_targetILNS1_3genE6ELNS1_11target_archE950ELNS1_3gpuE13ELNS1_3repE0EEENS1_52radix_sort_onesweep_histogram_config_static_selectorELNS0_4arch9wavefront6targetE1EEEvSC_ ; -- Begin function _ZN7rocprim17ROCPRIM_400000_NS6detail17trampoline_kernelINS0_14default_configENS1_35radix_sort_onesweep_config_selectorIcNS0_10empty_typeEEEZNS1_34radix_sort_onesweep_global_offsetsIS3_Lb0EPcPS5_mNS0_19identity_decomposerEEE10hipError_tT1_T2_PT3_SE_jT4_jjP12ihipStream_tbEUlT_E0_NS1_11comp_targetILNS1_3genE6ELNS1_11target_archE950ELNS1_3gpuE13ELNS1_3repE0EEENS1_52radix_sort_onesweep_histogram_config_static_selectorELNS0_4arch9wavefront6targetE1EEEvSC_
	.globl	_ZN7rocprim17ROCPRIM_400000_NS6detail17trampoline_kernelINS0_14default_configENS1_35radix_sort_onesweep_config_selectorIcNS0_10empty_typeEEEZNS1_34radix_sort_onesweep_global_offsetsIS3_Lb0EPcPS5_mNS0_19identity_decomposerEEE10hipError_tT1_T2_PT3_SE_jT4_jjP12ihipStream_tbEUlT_E0_NS1_11comp_targetILNS1_3genE6ELNS1_11target_archE950ELNS1_3gpuE13ELNS1_3repE0EEENS1_52radix_sort_onesweep_histogram_config_static_selectorELNS0_4arch9wavefront6targetE1EEEvSC_
	.p2align	8
	.type	_ZN7rocprim17ROCPRIM_400000_NS6detail17trampoline_kernelINS0_14default_configENS1_35radix_sort_onesweep_config_selectorIcNS0_10empty_typeEEEZNS1_34radix_sort_onesweep_global_offsetsIS3_Lb0EPcPS5_mNS0_19identity_decomposerEEE10hipError_tT1_T2_PT3_SE_jT4_jjP12ihipStream_tbEUlT_E0_NS1_11comp_targetILNS1_3genE6ELNS1_11target_archE950ELNS1_3gpuE13ELNS1_3repE0EEENS1_52radix_sort_onesweep_histogram_config_static_selectorELNS0_4arch9wavefront6targetE1EEEvSC_,@function
_ZN7rocprim17ROCPRIM_400000_NS6detail17trampoline_kernelINS0_14default_configENS1_35radix_sort_onesweep_config_selectorIcNS0_10empty_typeEEEZNS1_34radix_sort_onesweep_global_offsetsIS3_Lb0EPcPS5_mNS0_19identity_decomposerEEE10hipError_tT1_T2_PT3_SE_jT4_jjP12ihipStream_tbEUlT_E0_NS1_11comp_targetILNS1_3genE6ELNS1_11target_archE950ELNS1_3gpuE13ELNS1_3repE0EEENS1_52radix_sort_onesweep_histogram_config_static_selectorELNS0_4arch9wavefront6targetE1EEEvSC_: ; @_ZN7rocprim17ROCPRIM_400000_NS6detail17trampoline_kernelINS0_14default_configENS1_35radix_sort_onesweep_config_selectorIcNS0_10empty_typeEEEZNS1_34radix_sort_onesweep_global_offsetsIS3_Lb0EPcPS5_mNS0_19identity_decomposerEEE10hipError_tT1_T2_PT3_SE_jT4_jjP12ihipStream_tbEUlT_E0_NS1_11comp_targetILNS1_3genE6ELNS1_11target_archE950ELNS1_3gpuE13ELNS1_3repE0EEENS1_52radix_sort_onesweep_histogram_config_static_selectorELNS0_4arch9wavefront6targetE1EEEvSC_
; %bb.0:
	.section	.rodata,"a",@progbits
	.p2align	6, 0x0
	.amdhsa_kernel _ZN7rocprim17ROCPRIM_400000_NS6detail17trampoline_kernelINS0_14default_configENS1_35radix_sort_onesweep_config_selectorIcNS0_10empty_typeEEEZNS1_34radix_sort_onesweep_global_offsetsIS3_Lb0EPcPS5_mNS0_19identity_decomposerEEE10hipError_tT1_T2_PT3_SE_jT4_jjP12ihipStream_tbEUlT_E0_NS1_11comp_targetILNS1_3genE6ELNS1_11target_archE950ELNS1_3gpuE13ELNS1_3repE0EEENS1_52radix_sort_onesweep_histogram_config_static_selectorELNS0_4arch9wavefront6targetE1EEEvSC_
		.amdhsa_group_segment_fixed_size 0
		.amdhsa_private_segment_fixed_size 0
		.amdhsa_kernarg_size 8
		.amdhsa_user_sgpr_count 6
		.amdhsa_user_sgpr_private_segment_buffer 1
		.amdhsa_user_sgpr_dispatch_ptr 0
		.amdhsa_user_sgpr_queue_ptr 0
		.amdhsa_user_sgpr_kernarg_segment_ptr 1
		.amdhsa_user_sgpr_dispatch_id 0
		.amdhsa_user_sgpr_flat_scratch_init 0
		.amdhsa_user_sgpr_kernarg_preload_length 0
		.amdhsa_user_sgpr_kernarg_preload_offset 0
		.amdhsa_user_sgpr_private_segment_size 0
		.amdhsa_uses_dynamic_stack 0
		.amdhsa_system_sgpr_private_segment_wavefront_offset 0
		.amdhsa_system_sgpr_workgroup_id_x 1
		.amdhsa_system_sgpr_workgroup_id_y 0
		.amdhsa_system_sgpr_workgroup_id_z 0
		.amdhsa_system_sgpr_workgroup_info 0
		.amdhsa_system_vgpr_workitem_id 0
		.amdhsa_next_free_vgpr 1
		.amdhsa_next_free_sgpr 0
		.amdhsa_accum_offset 4
		.amdhsa_reserve_vcc 0
		.amdhsa_reserve_flat_scratch 0
		.amdhsa_float_round_mode_32 0
		.amdhsa_float_round_mode_16_64 0
		.amdhsa_float_denorm_mode_32 3
		.amdhsa_float_denorm_mode_16_64 3
		.amdhsa_dx10_clamp 1
		.amdhsa_ieee_mode 1
		.amdhsa_fp16_overflow 0
		.amdhsa_tg_split 0
		.amdhsa_exception_fp_ieee_invalid_op 0
		.amdhsa_exception_fp_denorm_src 0
		.amdhsa_exception_fp_ieee_div_zero 0
		.amdhsa_exception_fp_ieee_overflow 0
		.amdhsa_exception_fp_ieee_underflow 0
		.amdhsa_exception_fp_ieee_inexact 0
		.amdhsa_exception_int_div_zero 0
	.end_amdhsa_kernel
	.section	.text._ZN7rocprim17ROCPRIM_400000_NS6detail17trampoline_kernelINS0_14default_configENS1_35radix_sort_onesweep_config_selectorIcNS0_10empty_typeEEEZNS1_34radix_sort_onesweep_global_offsetsIS3_Lb0EPcPS5_mNS0_19identity_decomposerEEE10hipError_tT1_T2_PT3_SE_jT4_jjP12ihipStream_tbEUlT_E0_NS1_11comp_targetILNS1_3genE6ELNS1_11target_archE950ELNS1_3gpuE13ELNS1_3repE0EEENS1_52radix_sort_onesweep_histogram_config_static_selectorELNS0_4arch9wavefront6targetE1EEEvSC_,"axG",@progbits,_ZN7rocprim17ROCPRIM_400000_NS6detail17trampoline_kernelINS0_14default_configENS1_35radix_sort_onesweep_config_selectorIcNS0_10empty_typeEEEZNS1_34radix_sort_onesweep_global_offsetsIS3_Lb0EPcPS5_mNS0_19identity_decomposerEEE10hipError_tT1_T2_PT3_SE_jT4_jjP12ihipStream_tbEUlT_E0_NS1_11comp_targetILNS1_3genE6ELNS1_11target_archE950ELNS1_3gpuE13ELNS1_3repE0EEENS1_52radix_sort_onesweep_histogram_config_static_selectorELNS0_4arch9wavefront6targetE1EEEvSC_,comdat
.Lfunc_end92:
	.size	_ZN7rocprim17ROCPRIM_400000_NS6detail17trampoline_kernelINS0_14default_configENS1_35radix_sort_onesweep_config_selectorIcNS0_10empty_typeEEEZNS1_34radix_sort_onesweep_global_offsetsIS3_Lb0EPcPS5_mNS0_19identity_decomposerEEE10hipError_tT1_T2_PT3_SE_jT4_jjP12ihipStream_tbEUlT_E0_NS1_11comp_targetILNS1_3genE6ELNS1_11target_archE950ELNS1_3gpuE13ELNS1_3repE0EEENS1_52radix_sort_onesweep_histogram_config_static_selectorELNS0_4arch9wavefront6targetE1EEEvSC_, .Lfunc_end92-_ZN7rocprim17ROCPRIM_400000_NS6detail17trampoline_kernelINS0_14default_configENS1_35radix_sort_onesweep_config_selectorIcNS0_10empty_typeEEEZNS1_34radix_sort_onesweep_global_offsetsIS3_Lb0EPcPS5_mNS0_19identity_decomposerEEE10hipError_tT1_T2_PT3_SE_jT4_jjP12ihipStream_tbEUlT_E0_NS1_11comp_targetILNS1_3genE6ELNS1_11target_archE950ELNS1_3gpuE13ELNS1_3repE0EEENS1_52radix_sort_onesweep_histogram_config_static_selectorELNS0_4arch9wavefront6targetE1EEEvSC_
                                        ; -- End function
	.section	.AMDGPU.csdata,"",@progbits
; Kernel info:
; codeLenInByte = 0
; NumSgprs: 4
; NumVgprs: 0
; NumAgprs: 0
; TotalNumVgprs: 0
; ScratchSize: 0
; MemoryBound: 0
; FloatMode: 240
; IeeeMode: 1
; LDSByteSize: 0 bytes/workgroup (compile time only)
; SGPRBlocks: 0
; VGPRBlocks: 0
; NumSGPRsForWavesPerEU: 4
; NumVGPRsForWavesPerEU: 1
; AccumOffset: 4
; Occupancy: 8
; WaveLimiterHint : 0
; COMPUTE_PGM_RSRC2:SCRATCH_EN: 0
; COMPUTE_PGM_RSRC2:USER_SGPR: 6
; COMPUTE_PGM_RSRC2:TRAP_HANDLER: 0
; COMPUTE_PGM_RSRC2:TGID_X_EN: 1
; COMPUTE_PGM_RSRC2:TGID_Y_EN: 0
; COMPUTE_PGM_RSRC2:TGID_Z_EN: 0
; COMPUTE_PGM_RSRC2:TIDIG_COMP_CNT: 0
; COMPUTE_PGM_RSRC3_GFX90A:ACCUM_OFFSET: 0
; COMPUTE_PGM_RSRC3_GFX90A:TG_SPLIT: 0
	.section	.text._ZN7rocprim17ROCPRIM_400000_NS6detail17trampoline_kernelINS0_14default_configENS1_35radix_sort_onesweep_config_selectorIcNS0_10empty_typeEEEZNS1_34radix_sort_onesweep_global_offsetsIS3_Lb0EPcPS5_mNS0_19identity_decomposerEEE10hipError_tT1_T2_PT3_SE_jT4_jjP12ihipStream_tbEUlT_E0_NS1_11comp_targetILNS1_3genE5ELNS1_11target_archE942ELNS1_3gpuE9ELNS1_3repE0EEENS1_52radix_sort_onesweep_histogram_config_static_selectorELNS0_4arch9wavefront6targetE1EEEvSC_,"axG",@progbits,_ZN7rocprim17ROCPRIM_400000_NS6detail17trampoline_kernelINS0_14default_configENS1_35radix_sort_onesweep_config_selectorIcNS0_10empty_typeEEEZNS1_34radix_sort_onesweep_global_offsetsIS3_Lb0EPcPS5_mNS0_19identity_decomposerEEE10hipError_tT1_T2_PT3_SE_jT4_jjP12ihipStream_tbEUlT_E0_NS1_11comp_targetILNS1_3genE5ELNS1_11target_archE942ELNS1_3gpuE9ELNS1_3repE0EEENS1_52radix_sort_onesweep_histogram_config_static_selectorELNS0_4arch9wavefront6targetE1EEEvSC_,comdat
	.protected	_ZN7rocprim17ROCPRIM_400000_NS6detail17trampoline_kernelINS0_14default_configENS1_35radix_sort_onesweep_config_selectorIcNS0_10empty_typeEEEZNS1_34radix_sort_onesweep_global_offsetsIS3_Lb0EPcPS5_mNS0_19identity_decomposerEEE10hipError_tT1_T2_PT3_SE_jT4_jjP12ihipStream_tbEUlT_E0_NS1_11comp_targetILNS1_3genE5ELNS1_11target_archE942ELNS1_3gpuE9ELNS1_3repE0EEENS1_52radix_sort_onesweep_histogram_config_static_selectorELNS0_4arch9wavefront6targetE1EEEvSC_ ; -- Begin function _ZN7rocprim17ROCPRIM_400000_NS6detail17trampoline_kernelINS0_14default_configENS1_35radix_sort_onesweep_config_selectorIcNS0_10empty_typeEEEZNS1_34radix_sort_onesweep_global_offsetsIS3_Lb0EPcPS5_mNS0_19identity_decomposerEEE10hipError_tT1_T2_PT3_SE_jT4_jjP12ihipStream_tbEUlT_E0_NS1_11comp_targetILNS1_3genE5ELNS1_11target_archE942ELNS1_3gpuE9ELNS1_3repE0EEENS1_52radix_sort_onesweep_histogram_config_static_selectorELNS0_4arch9wavefront6targetE1EEEvSC_
	.globl	_ZN7rocprim17ROCPRIM_400000_NS6detail17trampoline_kernelINS0_14default_configENS1_35radix_sort_onesweep_config_selectorIcNS0_10empty_typeEEEZNS1_34radix_sort_onesweep_global_offsetsIS3_Lb0EPcPS5_mNS0_19identity_decomposerEEE10hipError_tT1_T2_PT3_SE_jT4_jjP12ihipStream_tbEUlT_E0_NS1_11comp_targetILNS1_3genE5ELNS1_11target_archE942ELNS1_3gpuE9ELNS1_3repE0EEENS1_52radix_sort_onesweep_histogram_config_static_selectorELNS0_4arch9wavefront6targetE1EEEvSC_
	.p2align	8
	.type	_ZN7rocprim17ROCPRIM_400000_NS6detail17trampoline_kernelINS0_14default_configENS1_35radix_sort_onesweep_config_selectorIcNS0_10empty_typeEEEZNS1_34radix_sort_onesweep_global_offsetsIS3_Lb0EPcPS5_mNS0_19identity_decomposerEEE10hipError_tT1_T2_PT3_SE_jT4_jjP12ihipStream_tbEUlT_E0_NS1_11comp_targetILNS1_3genE5ELNS1_11target_archE942ELNS1_3gpuE9ELNS1_3repE0EEENS1_52radix_sort_onesweep_histogram_config_static_selectorELNS0_4arch9wavefront6targetE1EEEvSC_,@function
_ZN7rocprim17ROCPRIM_400000_NS6detail17trampoline_kernelINS0_14default_configENS1_35radix_sort_onesweep_config_selectorIcNS0_10empty_typeEEEZNS1_34radix_sort_onesweep_global_offsetsIS3_Lb0EPcPS5_mNS0_19identity_decomposerEEE10hipError_tT1_T2_PT3_SE_jT4_jjP12ihipStream_tbEUlT_E0_NS1_11comp_targetILNS1_3genE5ELNS1_11target_archE942ELNS1_3gpuE9ELNS1_3repE0EEENS1_52radix_sort_onesweep_histogram_config_static_selectorELNS0_4arch9wavefront6targetE1EEEvSC_: ; @_ZN7rocprim17ROCPRIM_400000_NS6detail17trampoline_kernelINS0_14default_configENS1_35radix_sort_onesweep_config_selectorIcNS0_10empty_typeEEEZNS1_34radix_sort_onesweep_global_offsetsIS3_Lb0EPcPS5_mNS0_19identity_decomposerEEE10hipError_tT1_T2_PT3_SE_jT4_jjP12ihipStream_tbEUlT_E0_NS1_11comp_targetILNS1_3genE5ELNS1_11target_archE942ELNS1_3gpuE9ELNS1_3repE0EEENS1_52radix_sort_onesweep_histogram_config_static_selectorELNS0_4arch9wavefront6targetE1EEEvSC_
; %bb.0:
	.section	.rodata,"a",@progbits
	.p2align	6, 0x0
	.amdhsa_kernel _ZN7rocprim17ROCPRIM_400000_NS6detail17trampoline_kernelINS0_14default_configENS1_35radix_sort_onesweep_config_selectorIcNS0_10empty_typeEEEZNS1_34radix_sort_onesweep_global_offsetsIS3_Lb0EPcPS5_mNS0_19identity_decomposerEEE10hipError_tT1_T2_PT3_SE_jT4_jjP12ihipStream_tbEUlT_E0_NS1_11comp_targetILNS1_3genE5ELNS1_11target_archE942ELNS1_3gpuE9ELNS1_3repE0EEENS1_52radix_sort_onesweep_histogram_config_static_selectorELNS0_4arch9wavefront6targetE1EEEvSC_
		.amdhsa_group_segment_fixed_size 0
		.amdhsa_private_segment_fixed_size 0
		.amdhsa_kernarg_size 8
		.amdhsa_user_sgpr_count 6
		.amdhsa_user_sgpr_private_segment_buffer 1
		.amdhsa_user_sgpr_dispatch_ptr 0
		.amdhsa_user_sgpr_queue_ptr 0
		.amdhsa_user_sgpr_kernarg_segment_ptr 1
		.amdhsa_user_sgpr_dispatch_id 0
		.amdhsa_user_sgpr_flat_scratch_init 0
		.amdhsa_user_sgpr_kernarg_preload_length 0
		.amdhsa_user_sgpr_kernarg_preload_offset 0
		.amdhsa_user_sgpr_private_segment_size 0
		.amdhsa_uses_dynamic_stack 0
		.amdhsa_system_sgpr_private_segment_wavefront_offset 0
		.amdhsa_system_sgpr_workgroup_id_x 1
		.amdhsa_system_sgpr_workgroup_id_y 0
		.amdhsa_system_sgpr_workgroup_id_z 0
		.amdhsa_system_sgpr_workgroup_info 0
		.amdhsa_system_vgpr_workitem_id 0
		.amdhsa_next_free_vgpr 1
		.amdhsa_next_free_sgpr 0
		.amdhsa_accum_offset 4
		.amdhsa_reserve_vcc 0
		.amdhsa_reserve_flat_scratch 0
		.amdhsa_float_round_mode_32 0
		.amdhsa_float_round_mode_16_64 0
		.amdhsa_float_denorm_mode_32 3
		.amdhsa_float_denorm_mode_16_64 3
		.amdhsa_dx10_clamp 1
		.amdhsa_ieee_mode 1
		.amdhsa_fp16_overflow 0
		.amdhsa_tg_split 0
		.amdhsa_exception_fp_ieee_invalid_op 0
		.amdhsa_exception_fp_denorm_src 0
		.amdhsa_exception_fp_ieee_div_zero 0
		.amdhsa_exception_fp_ieee_overflow 0
		.amdhsa_exception_fp_ieee_underflow 0
		.amdhsa_exception_fp_ieee_inexact 0
		.amdhsa_exception_int_div_zero 0
	.end_amdhsa_kernel
	.section	.text._ZN7rocprim17ROCPRIM_400000_NS6detail17trampoline_kernelINS0_14default_configENS1_35radix_sort_onesweep_config_selectorIcNS0_10empty_typeEEEZNS1_34radix_sort_onesweep_global_offsetsIS3_Lb0EPcPS5_mNS0_19identity_decomposerEEE10hipError_tT1_T2_PT3_SE_jT4_jjP12ihipStream_tbEUlT_E0_NS1_11comp_targetILNS1_3genE5ELNS1_11target_archE942ELNS1_3gpuE9ELNS1_3repE0EEENS1_52radix_sort_onesweep_histogram_config_static_selectorELNS0_4arch9wavefront6targetE1EEEvSC_,"axG",@progbits,_ZN7rocprim17ROCPRIM_400000_NS6detail17trampoline_kernelINS0_14default_configENS1_35radix_sort_onesweep_config_selectorIcNS0_10empty_typeEEEZNS1_34radix_sort_onesweep_global_offsetsIS3_Lb0EPcPS5_mNS0_19identity_decomposerEEE10hipError_tT1_T2_PT3_SE_jT4_jjP12ihipStream_tbEUlT_E0_NS1_11comp_targetILNS1_3genE5ELNS1_11target_archE942ELNS1_3gpuE9ELNS1_3repE0EEENS1_52radix_sort_onesweep_histogram_config_static_selectorELNS0_4arch9wavefront6targetE1EEEvSC_,comdat
.Lfunc_end93:
	.size	_ZN7rocprim17ROCPRIM_400000_NS6detail17trampoline_kernelINS0_14default_configENS1_35radix_sort_onesweep_config_selectorIcNS0_10empty_typeEEEZNS1_34radix_sort_onesweep_global_offsetsIS3_Lb0EPcPS5_mNS0_19identity_decomposerEEE10hipError_tT1_T2_PT3_SE_jT4_jjP12ihipStream_tbEUlT_E0_NS1_11comp_targetILNS1_3genE5ELNS1_11target_archE942ELNS1_3gpuE9ELNS1_3repE0EEENS1_52radix_sort_onesweep_histogram_config_static_selectorELNS0_4arch9wavefront6targetE1EEEvSC_, .Lfunc_end93-_ZN7rocprim17ROCPRIM_400000_NS6detail17trampoline_kernelINS0_14default_configENS1_35radix_sort_onesweep_config_selectorIcNS0_10empty_typeEEEZNS1_34radix_sort_onesweep_global_offsetsIS3_Lb0EPcPS5_mNS0_19identity_decomposerEEE10hipError_tT1_T2_PT3_SE_jT4_jjP12ihipStream_tbEUlT_E0_NS1_11comp_targetILNS1_3genE5ELNS1_11target_archE942ELNS1_3gpuE9ELNS1_3repE0EEENS1_52radix_sort_onesweep_histogram_config_static_selectorELNS0_4arch9wavefront6targetE1EEEvSC_
                                        ; -- End function
	.section	.AMDGPU.csdata,"",@progbits
; Kernel info:
; codeLenInByte = 0
; NumSgprs: 4
; NumVgprs: 0
; NumAgprs: 0
; TotalNumVgprs: 0
; ScratchSize: 0
; MemoryBound: 0
; FloatMode: 240
; IeeeMode: 1
; LDSByteSize: 0 bytes/workgroup (compile time only)
; SGPRBlocks: 0
; VGPRBlocks: 0
; NumSGPRsForWavesPerEU: 4
; NumVGPRsForWavesPerEU: 1
; AccumOffset: 4
; Occupancy: 8
; WaveLimiterHint : 0
; COMPUTE_PGM_RSRC2:SCRATCH_EN: 0
; COMPUTE_PGM_RSRC2:USER_SGPR: 6
; COMPUTE_PGM_RSRC2:TRAP_HANDLER: 0
; COMPUTE_PGM_RSRC2:TGID_X_EN: 1
; COMPUTE_PGM_RSRC2:TGID_Y_EN: 0
; COMPUTE_PGM_RSRC2:TGID_Z_EN: 0
; COMPUTE_PGM_RSRC2:TIDIG_COMP_CNT: 0
; COMPUTE_PGM_RSRC3_GFX90A:ACCUM_OFFSET: 0
; COMPUTE_PGM_RSRC3_GFX90A:TG_SPLIT: 0
	.section	.text._ZN7rocprim17ROCPRIM_400000_NS6detail17trampoline_kernelINS0_14default_configENS1_35radix_sort_onesweep_config_selectorIcNS0_10empty_typeEEEZNS1_34radix_sort_onesweep_global_offsetsIS3_Lb0EPcPS5_mNS0_19identity_decomposerEEE10hipError_tT1_T2_PT3_SE_jT4_jjP12ihipStream_tbEUlT_E0_NS1_11comp_targetILNS1_3genE2ELNS1_11target_archE906ELNS1_3gpuE6ELNS1_3repE0EEENS1_52radix_sort_onesweep_histogram_config_static_selectorELNS0_4arch9wavefront6targetE1EEEvSC_,"axG",@progbits,_ZN7rocprim17ROCPRIM_400000_NS6detail17trampoline_kernelINS0_14default_configENS1_35radix_sort_onesweep_config_selectorIcNS0_10empty_typeEEEZNS1_34radix_sort_onesweep_global_offsetsIS3_Lb0EPcPS5_mNS0_19identity_decomposerEEE10hipError_tT1_T2_PT3_SE_jT4_jjP12ihipStream_tbEUlT_E0_NS1_11comp_targetILNS1_3genE2ELNS1_11target_archE906ELNS1_3gpuE6ELNS1_3repE0EEENS1_52radix_sort_onesweep_histogram_config_static_selectorELNS0_4arch9wavefront6targetE1EEEvSC_,comdat
	.protected	_ZN7rocprim17ROCPRIM_400000_NS6detail17trampoline_kernelINS0_14default_configENS1_35radix_sort_onesweep_config_selectorIcNS0_10empty_typeEEEZNS1_34radix_sort_onesweep_global_offsetsIS3_Lb0EPcPS5_mNS0_19identity_decomposerEEE10hipError_tT1_T2_PT3_SE_jT4_jjP12ihipStream_tbEUlT_E0_NS1_11comp_targetILNS1_3genE2ELNS1_11target_archE906ELNS1_3gpuE6ELNS1_3repE0EEENS1_52radix_sort_onesweep_histogram_config_static_selectorELNS0_4arch9wavefront6targetE1EEEvSC_ ; -- Begin function _ZN7rocprim17ROCPRIM_400000_NS6detail17trampoline_kernelINS0_14default_configENS1_35radix_sort_onesweep_config_selectorIcNS0_10empty_typeEEEZNS1_34radix_sort_onesweep_global_offsetsIS3_Lb0EPcPS5_mNS0_19identity_decomposerEEE10hipError_tT1_T2_PT3_SE_jT4_jjP12ihipStream_tbEUlT_E0_NS1_11comp_targetILNS1_3genE2ELNS1_11target_archE906ELNS1_3gpuE6ELNS1_3repE0EEENS1_52radix_sort_onesweep_histogram_config_static_selectorELNS0_4arch9wavefront6targetE1EEEvSC_
	.globl	_ZN7rocprim17ROCPRIM_400000_NS6detail17trampoline_kernelINS0_14default_configENS1_35radix_sort_onesweep_config_selectorIcNS0_10empty_typeEEEZNS1_34radix_sort_onesweep_global_offsetsIS3_Lb0EPcPS5_mNS0_19identity_decomposerEEE10hipError_tT1_T2_PT3_SE_jT4_jjP12ihipStream_tbEUlT_E0_NS1_11comp_targetILNS1_3genE2ELNS1_11target_archE906ELNS1_3gpuE6ELNS1_3repE0EEENS1_52radix_sort_onesweep_histogram_config_static_selectorELNS0_4arch9wavefront6targetE1EEEvSC_
	.p2align	8
	.type	_ZN7rocprim17ROCPRIM_400000_NS6detail17trampoline_kernelINS0_14default_configENS1_35radix_sort_onesweep_config_selectorIcNS0_10empty_typeEEEZNS1_34radix_sort_onesweep_global_offsetsIS3_Lb0EPcPS5_mNS0_19identity_decomposerEEE10hipError_tT1_T2_PT3_SE_jT4_jjP12ihipStream_tbEUlT_E0_NS1_11comp_targetILNS1_3genE2ELNS1_11target_archE906ELNS1_3gpuE6ELNS1_3repE0EEENS1_52radix_sort_onesweep_histogram_config_static_selectorELNS0_4arch9wavefront6targetE1EEEvSC_,@function
_ZN7rocprim17ROCPRIM_400000_NS6detail17trampoline_kernelINS0_14default_configENS1_35radix_sort_onesweep_config_selectorIcNS0_10empty_typeEEEZNS1_34radix_sort_onesweep_global_offsetsIS3_Lb0EPcPS5_mNS0_19identity_decomposerEEE10hipError_tT1_T2_PT3_SE_jT4_jjP12ihipStream_tbEUlT_E0_NS1_11comp_targetILNS1_3genE2ELNS1_11target_archE906ELNS1_3gpuE6ELNS1_3repE0EEENS1_52radix_sort_onesweep_histogram_config_static_selectorELNS0_4arch9wavefront6targetE1EEEvSC_: ; @_ZN7rocprim17ROCPRIM_400000_NS6detail17trampoline_kernelINS0_14default_configENS1_35radix_sort_onesweep_config_selectorIcNS0_10empty_typeEEEZNS1_34radix_sort_onesweep_global_offsetsIS3_Lb0EPcPS5_mNS0_19identity_decomposerEEE10hipError_tT1_T2_PT3_SE_jT4_jjP12ihipStream_tbEUlT_E0_NS1_11comp_targetILNS1_3genE2ELNS1_11target_archE906ELNS1_3gpuE6ELNS1_3repE0EEENS1_52radix_sort_onesweep_histogram_config_static_selectorELNS0_4arch9wavefront6targetE1EEEvSC_
; %bb.0:
	.section	.rodata,"a",@progbits
	.p2align	6, 0x0
	.amdhsa_kernel _ZN7rocprim17ROCPRIM_400000_NS6detail17trampoline_kernelINS0_14default_configENS1_35radix_sort_onesweep_config_selectorIcNS0_10empty_typeEEEZNS1_34radix_sort_onesweep_global_offsetsIS3_Lb0EPcPS5_mNS0_19identity_decomposerEEE10hipError_tT1_T2_PT3_SE_jT4_jjP12ihipStream_tbEUlT_E0_NS1_11comp_targetILNS1_3genE2ELNS1_11target_archE906ELNS1_3gpuE6ELNS1_3repE0EEENS1_52radix_sort_onesweep_histogram_config_static_selectorELNS0_4arch9wavefront6targetE1EEEvSC_
		.amdhsa_group_segment_fixed_size 0
		.amdhsa_private_segment_fixed_size 0
		.amdhsa_kernarg_size 8
		.amdhsa_user_sgpr_count 6
		.amdhsa_user_sgpr_private_segment_buffer 1
		.amdhsa_user_sgpr_dispatch_ptr 0
		.amdhsa_user_sgpr_queue_ptr 0
		.amdhsa_user_sgpr_kernarg_segment_ptr 1
		.amdhsa_user_sgpr_dispatch_id 0
		.amdhsa_user_sgpr_flat_scratch_init 0
		.amdhsa_user_sgpr_kernarg_preload_length 0
		.amdhsa_user_sgpr_kernarg_preload_offset 0
		.amdhsa_user_sgpr_private_segment_size 0
		.amdhsa_uses_dynamic_stack 0
		.amdhsa_system_sgpr_private_segment_wavefront_offset 0
		.amdhsa_system_sgpr_workgroup_id_x 1
		.amdhsa_system_sgpr_workgroup_id_y 0
		.amdhsa_system_sgpr_workgroup_id_z 0
		.amdhsa_system_sgpr_workgroup_info 0
		.amdhsa_system_vgpr_workitem_id 0
		.amdhsa_next_free_vgpr 1
		.amdhsa_next_free_sgpr 0
		.amdhsa_accum_offset 4
		.amdhsa_reserve_vcc 0
		.amdhsa_reserve_flat_scratch 0
		.amdhsa_float_round_mode_32 0
		.amdhsa_float_round_mode_16_64 0
		.amdhsa_float_denorm_mode_32 3
		.amdhsa_float_denorm_mode_16_64 3
		.amdhsa_dx10_clamp 1
		.amdhsa_ieee_mode 1
		.amdhsa_fp16_overflow 0
		.amdhsa_tg_split 0
		.amdhsa_exception_fp_ieee_invalid_op 0
		.amdhsa_exception_fp_denorm_src 0
		.amdhsa_exception_fp_ieee_div_zero 0
		.amdhsa_exception_fp_ieee_overflow 0
		.amdhsa_exception_fp_ieee_underflow 0
		.amdhsa_exception_fp_ieee_inexact 0
		.amdhsa_exception_int_div_zero 0
	.end_amdhsa_kernel
	.section	.text._ZN7rocprim17ROCPRIM_400000_NS6detail17trampoline_kernelINS0_14default_configENS1_35radix_sort_onesweep_config_selectorIcNS0_10empty_typeEEEZNS1_34radix_sort_onesweep_global_offsetsIS3_Lb0EPcPS5_mNS0_19identity_decomposerEEE10hipError_tT1_T2_PT3_SE_jT4_jjP12ihipStream_tbEUlT_E0_NS1_11comp_targetILNS1_3genE2ELNS1_11target_archE906ELNS1_3gpuE6ELNS1_3repE0EEENS1_52radix_sort_onesweep_histogram_config_static_selectorELNS0_4arch9wavefront6targetE1EEEvSC_,"axG",@progbits,_ZN7rocprim17ROCPRIM_400000_NS6detail17trampoline_kernelINS0_14default_configENS1_35radix_sort_onesweep_config_selectorIcNS0_10empty_typeEEEZNS1_34radix_sort_onesweep_global_offsetsIS3_Lb0EPcPS5_mNS0_19identity_decomposerEEE10hipError_tT1_T2_PT3_SE_jT4_jjP12ihipStream_tbEUlT_E0_NS1_11comp_targetILNS1_3genE2ELNS1_11target_archE906ELNS1_3gpuE6ELNS1_3repE0EEENS1_52radix_sort_onesweep_histogram_config_static_selectorELNS0_4arch9wavefront6targetE1EEEvSC_,comdat
.Lfunc_end94:
	.size	_ZN7rocprim17ROCPRIM_400000_NS6detail17trampoline_kernelINS0_14default_configENS1_35radix_sort_onesweep_config_selectorIcNS0_10empty_typeEEEZNS1_34radix_sort_onesweep_global_offsetsIS3_Lb0EPcPS5_mNS0_19identity_decomposerEEE10hipError_tT1_T2_PT3_SE_jT4_jjP12ihipStream_tbEUlT_E0_NS1_11comp_targetILNS1_3genE2ELNS1_11target_archE906ELNS1_3gpuE6ELNS1_3repE0EEENS1_52radix_sort_onesweep_histogram_config_static_selectorELNS0_4arch9wavefront6targetE1EEEvSC_, .Lfunc_end94-_ZN7rocprim17ROCPRIM_400000_NS6detail17trampoline_kernelINS0_14default_configENS1_35radix_sort_onesweep_config_selectorIcNS0_10empty_typeEEEZNS1_34radix_sort_onesweep_global_offsetsIS3_Lb0EPcPS5_mNS0_19identity_decomposerEEE10hipError_tT1_T2_PT3_SE_jT4_jjP12ihipStream_tbEUlT_E0_NS1_11comp_targetILNS1_3genE2ELNS1_11target_archE906ELNS1_3gpuE6ELNS1_3repE0EEENS1_52radix_sort_onesweep_histogram_config_static_selectorELNS0_4arch9wavefront6targetE1EEEvSC_
                                        ; -- End function
	.section	.AMDGPU.csdata,"",@progbits
; Kernel info:
; codeLenInByte = 0
; NumSgprs: 4
; NumVgprs: 0
; NumAgprs: 0
; TotalNumVgprs: 0
; ScratchSize: 0
; MemoryBound: 0
; FloatMode: 240
; IeeeMode: 1
; LDSByteSize: 0 bytes/workgroup (compile time only)
; SGPRBlocks: 0
; VGPRBlocks: 0
; NumSGPRsForWavesPerEU: 4
; NumVGPRsForWavesPerEU: 1
; AccumOffset: 4
; Occupancy: 8
; WaveLimiterHint : 0
; COMPUTE_PGM_RSRC2:SCRATCH_EN: 0
; COMPUTE_PGM_RSRC2:USER_SGPR: 6
; COMPUTE_PGM_RSRC2:TRAP_HANDLER: 0
; COMPUTE_PGM_RSRC2:TGID_X_EN: 1
; COMPUTE_PGM_RSRC2:TGID_Y_EN: 0
; COMPUTE_PGM_RSRC2:TGID_Z_EN: 0
; COMPUTE_PGM_RSRC2:TIDIG_COMP_CNT: 0
; COMPUTE_PGM_RSRC3_GFX90A:ACCUM_OFFSET: 0
; COMPUTE_PGM_RSRC3_GFX90A:TG_SPLIT: 0
	.section	.text._ZN7rocprim17ROCPRIM_400000_NS6detail17trampoline_kernelINS0_14default_configENS1_35radix_sort_onesweep_config_selectorIcNS0_10empty_typeEEEZNS1_34radix_sort_onesweep_global_offsetsIS3_Lb0EPcPS5_mNS0_19identity_decomposerEEE10hipError_tT1_T2_PT3_SE_jT4_jjP12ihipStream_tbEUlT_E0_NS1_11comp_targetILNS1_3genE4ELNS1_11target_archE910ELNS1_3gpuE8ELNS1_3repE0EEENS1_52radix_sort_onesweep_histogram_config_static_selectorELNS0_4arch9wavefront6targetE1EEEvSC_,"axG",@progbits,_ZN7rocprim17ROCPRIM_400000_NS6detail17trampoline_kernelINS0_14default_configENS1_35radix_sort_onesweep_config_selectorIcNS0_10empty_typeEEEZNS1_34radix_sort_onesweep_global_offsetsIS3_Lb0EPcPS5_mNS0_19identity_decomposerEEE10hipError_tT1_T2_PT3_SE_jT4_jjP12ihipStream_tbEUlT_E0_NS1_11comp_targetILNS1_3genE4ELNS1_11target_archE910ELNS1_3gpuE8ELNS1_3repE0EEENS1_52radix_sort_onesweep_histogram_config_static_selectorELNS0_4arch9wavefront6targetE1EEEvSC_,comdat
	.protected	_ZN7rocprim17ROCPRIM_400000_NS6detail17trampoline_kernelINS0_14default_configENS1_35radix_sort_onesweep_config_selectorIcNS0_10empty_typeEEEZNS1_34radix_sort_onesweep_global_offsetsIS3_Lb0EPcPS5_mNS0_19identity_decomposerEEE10hipError_tT1_T2_PT3_SE_jT4_jjP12ihipStream_tbEUlT_E0_NS1_11comp_targetILNS1_3genE4ELNS1_11target_archE910ELNS1_3gpuE8ELNS1_3repE0EEENS1_52radix_sort_onesweep_histogram_config_static_selectorELNS0_4arch9wavefront6targetE1EEEvSC_ ; -- Begin function _ZN7rocprim17ROCPRIM_400000_NS6detail17trampoline_kernelINS0_14default_configENS1_35radix_sort_onesweep_config_selectorIcNS0_10empty_typeEEEZNS1_34radix_sort_onesweep_global_offsetsIS3_Lb0EPcPS5_mNS0_19identity_decomposerEEE10hipError_tT1_T2_PT3_SE_jT4_jjP12ihipStream_tbEUlT_E0_NS1_11comp_targetILNS1_3genE4ELNS1_11target_archE910ELNS1_3gpuE8ELNS1_3repE0EEENS1_52radix_sort_onesweep_histogram_config_static_selectorELNS0_4arch9wavefront6targetE1EEEvSC_
	.globl	_ZN7rocprim17ROCPRIM_400000_NS6detail17trampoline_kernelINS0_14default_configENS1_35radix_sort_onesweep_config_selectorIcNS0_10empty_typeEEEZNS1_34radix_sort_onesweep_global_offsetsIS3_Lb0EPcPS5_mNS0_19identity_decomposerEEE10hipError_tT1_T2_PT3_SE_jT4_jjP12ihipStream_tbEUlT_E0_NS1_11comp_targetILNS1_3genE4ELNS1_11target_archE910ELNS1_3gpuE8ELNS1_3repE0EEENS1_52radix_sort_onesweep_histogram_config_static_selectorELNS0_4arch9wavefront6targetE1EEEvSC_
	.p2align	8
	.type	_ZN7rocprim17ROCPRIM_400000_NS6detail17trampoline_kernelINS0_14default_configENS1_35radix_sort_onesweep_config_selectorIcNS0_10empty_typeEEEZNS1_34radix_sort_onesweep_global_offsetsIS3_Lb0EPcPS5_mNS0_19identity_decomposerEEE10hipError_tT1_T2_PT3_SE_jT4_jjP12ihipStream_tbEUlT_E0_NS1_11comp_targetILNS1_3genE4ELNS1_11target_archE910ELNS1_3gpuE8ELNS1_3repE0EEENS1_52radix_sort_onesweep_histogram_config_static_selectorELNS0_4arch9wavefront6targetE1EEEvSC_,@function
_ZN7rocprim17ROCPRIM_400000_NS6detail17trampoline_kernelINS0_14default_configENS1_35radix_sort_onesweep_config_selectorIcNS0_10empty_typeEEEZNS1_34radix_sort_onesweep_global_offsetsIS3_Lb0EPcPS5_mNS0_19identity_decomposerEEE10hipError_tT1_T2_PT3_SE_jT4_jjP12ihipStream_tbEUlT_E0_NS1_11comp_targetILNS1_3genE4ELNS1_11target_archE910ELNS1_3gpuE8ELNS1_3repE0EEENS1_52radix_sort_onesweep_histogram_config_static_selectorELNS0_4arch9wavefront6targetE1EEEvSC_: ; @_ZN7rocprim17ROCPRIM_400000_NS6detail17trampoline_kernelINS0_14default_configENS1_35radix_sort_onesweep_config_selectorIcNS0_10empty_typeEEEZNS1_34radix_sort_onesweep_global_offsetsIS3_Lb0EPcPS5_mNS0_19identity_decomposerEEE10hipError_tT1_T2_PT3_SE_jT4_jjP12ihipStream_tbEUlT_E0_NS1_11comp_targetILNS1_3genE4ELNS1_11target_archE910ELNS1_3gpuE8ELNS1_3repE0EEENS1_52radix_sort_onesweep_histogram_config_static_selectorELNS0_4arch9wavefront6targetE1EEEvSC_
; %bb.0:
	s_load_dwordx2 s[0:1], s[4:5], 0x0
	s_lshl_b32 s2, s6, 4
	s_mov_b32 s3, 0
	s_lshl_b64 s[2:3], s[2:3], 3
	v_cmp_gt_u32_e32 vcc, 16, v0
	s_waitcnt lgkmcnt(0)
	s_add_u32 s6, s0, s2
	s_addc_u32 s7, s1, s3
	v_lshlrev_b32_e32 v6, 3, v0
                                        ; implicit-def: $vgpr2_vgpr3
	s_and_saveexec_b64 s[0:1], vcc
	s_cbranch_execz .LBB95_2
; %bb.1:
	global_load_dwordx2 v[2:3], v6, s[6:7]
.LBB95_2:
	s_or_b64 exec, exec, s[0:1]
	s_waitcnt vmcnt(0)
	v_mov_b32_dpp v4, v2 row_shr:1 row_mask:0xf bank_mask:0xf
	v_add_co_u32_e64 v4, s[0:1], v2, v4
	v_mbcnt_lo_u32_b32 v1, -1, 0
	v_addc_co_u32_e64 v8, s[0:1], 0, v3, s[0:1]
	v_mbcnt_hi_u32_b32 v7, -1, v1
	v_mov_b32_dpp v5, v3 row_shr:1 row_mask:0xf bank_mask:0xf
	v_add_co_u32_e64 v9, s[0:1], 0, v4
	v_and_b32_e32 v1, 15, v7
	v_addc_co_u32_e64 v5, s[0:1], v5, v8, s[0:1]
	v_cmp_eq_u32_e64 s[0:1], 0, v1
	v_cndmask_b32_e64 v4, v4, v2, s[0:1]
	v_cndmask_b32_e64 v5, v5, v3, s[0:1]
	v_cndmask_b32_e64 v8, v9, v2, s[0:1]
	v_mov_b32_dpp v9, v4 row_shr:2 row_mask:0xf bank_mask:0xf
	v_mov_b32_dpp v10, v5 row_shr:2 row_mask:0xf bank_mask:0xf
	v_add_co_u32_e64 v9, s[0:1], v9, v8
	v_addc_co_u32_e64 v10, s[0:1], v10, v5, s[0:1]
	v_cmp_lt_u32_e64 s[0:1], 1, v1
	v_cndmask_b32_e64 v4, v4, v9, s[0:1]
	v_cndmask_b32_e64 v5, v5, v10, s[0:1]
	v_cndmask_b32_e64 v8, v8, v9, s[0:1]
	v_mov_b32_dpp v9, v4 row_shr:4 row_mask:0xf bank_mask:0xf
	v_mov_b32_dpp v10, v5 row_shr:4 row_mask:0xf bank_mask:0xf
	v_add_co_u32_e64 v9, s[0:1], v9, v8
	v_addc_co_u32_e64 v10, s[0:1], v10, v5, s[0:1]
	v_cmp_lt_u32_e64 s[0:1], 3, v1
	;; [unrolled: 8-line block ×3, first 2 shown]
	v_cndmask_b32_e64 v11, v4, v9, s[0:1]
	v_cndmask_b32_e64 v1, v5, v10, s[0:1]
	v_cndmask_b32_e64 v4, v8, v9, s[0:1]
	v_mov_b32_dpp v5, v11 row_bcast:15 row_mask:0xf bank_mask:0xf
	v_mov_b32_dpp v8, v1 row_bcast:15 row_mask:0xf bank_mask:0xf
	v_and_b32_e32 v10, 16, v7
	v_add_co_u32_e64 v5, s[0:1], v5, v4
	v_addc_co_u32_e64 v9, s[0:1], v8, v1, s[0:1]
	v_cmp_eq_u32_e64 s[2:3], 0, v10
	v_cndmask_b32_e64 v10, v9, v1, s[2:3]
	v_cndmask_b32_e64 v8, v5, v11, s[2:3]
	v_cmp_eq_u32_e64 s[0:1], 0, v7
	v_mov_b32_dpp v10, v10 row_bcast:31 row_mask:0xf bank_mask:0xf
	v_mov_b32_dpp v8, v8 row_bcast:31 row_mask:0xf bank_mask:0xf
	v_cmp_ne_u32_e64 s[4:5], 0, v7
	s_and_saveexec_b64 s[8:9], s[4:5]
; %bb.3:
	v_cndmask_b32_e64 v1, v9, v1, s[2:3]
	v_cndmask_b32_e64 v2, v5, v4, s[2:3]
	v_cmp_lt_u32_e64 s[2:3], 31, v7
	v_cndmask_b32_e64 v4, 0, v8, s[2:3]
	v_cndmask_b32_e64 v3, 0, v10, s[2:3]
	v_add_co_u32_e64 v2, s[2:3], v4, v2
	v_addc_co_u32_e64 v3, s[2:3], v3, v1, s[2:3]
; %bb.4:
	s_or_b64 exec, exec, s[8:9]
	v_or_b32_e32 v1, 63, v0
	v_lshrrev_b32_e32 v8, 6, v0
	v_cmp_eq_u32_e64 s[2:3], v1, v0
	s_and_saveexec_b64 s[4:5], s[2:3]
	s_cbranch_execz .LBB95_6
; %bb.5:
	v_lshlrev_b32_e32 v1, 3, v8
	ds_write_b64 v1, v[2:3]
.LBB95_6:
	s_or_b64 exec, exec, s[4:5]
	v_cmp_gt_u32_e64 s[2:3], 8, v0
	s_waitcnt lgkmcnt(0)
	s_barrier
	s_and_saveexec_b64 s[8:9], s[2:3]
	s_cbranch_execz .LBB95_10
; %bb.7:
	ds_read_b64 v[4:5], v6
	v_and_b32_e32 v1, 7, v7
	v_cmp_ne_u32_e64 s[4:5], 0, v1
	s_waitcnt lgkmcnt(0)
	v_mov_b32_dpp v9, v4 row_shr:1 row_mask:0xf bank_mask:0xf
	v_add_co_u32_e64 v11, s[2:3], v4, v9
	v_addc_co_u32_e64 v12, s[2:3], 0, v5, s[2:3]
	v_mov_b32_dpp v10, v5 row_shr:1 row_mask:0xf bank_mask:0xf
	v_add_co_u32_e64 v9, s[2:3], 0, v11
	v_addc_co_u32_e64 v10, s[2:3], v10, v12, s[2:3]
	v_cmp_eq_u32_e64 s[2:3], 0, v1
	v_cndmask_b32_e64 v12, v11, v4, s[2:3]
	v_cndmask_b32_e64 v14, v10, v5, s[2:3]
	;; [unrolled: 1-line block ×3, first 2 shown]
	v_mov_b32_dpp v13, v12 row_shr:2 row_mask:0xf bank_mask:0xf
	v_mov_b32_dpp v15, v14 row_shr:2 row_mask:0xf bank_mask:0xf
	v_add_co_u32_e64 v11, s[2:3], v13, v11
	v_addc_co_u32_e64 v13, s[2:3], v15, v14, s[2:3]
	v_cmp_lt_u32_e64 s[2:3], 1, v1
	v_cndmask_b32_e64 v14, v14, v13, s[2:3]
	v_cndmask_b32_e64 v12, v12, v11, s[2:3]
	s_nop 0
	v_mov_b32_dpp v14, v14 row_shr:4 row_mask:0xf bank_mask:0xf
	v_mov_b32_dpp v12, v12 row_shr:4 row_mask:0xf bank_mask:0xf
	s_and_saveexec_b64 s[10:11], s[4:5]
; %bb.8:
	v_cndmask_b32_e64 v5, v10, v13, s[2:3]
	v_cndmask_b32_e64 v4, v9, v11, s[2:3]
	v_cmp_lt_u32_e64 s[2:3], 3, v1
	v_cndmask_b32_e64 v9, 0, v12, s[2:3]
	v_cndmask_b32_e64 v1, 0, v14, s[2:3]
	v_add_co_u32_e64 v4, s[2:3], v9, v4
	v_addc_co_u32_e64 v5, s[2:3], v1, v5, s[2:3]
; %bb.9:
	s_or_b64 exec, exec, s[10:11]
	ds_write_b64 v6, v[4:5]
.LBB95_10:
	s_or_b64 exec, exec, s[8:9]
	v_cmp_lt_u32_e64 s[2:3], 63, v0
	v_pk_mov_b32 v[0:1], 0, 0
	s_waitcnt lgkmcnt(0)
	s_barrier
	s_and_saveexec_b64 s[4:5], s[2:3]
	s_cbranch_execz .LBB95_12
; %bb.11:
	v_lshl_add_u32 v0, v8, 3, -8
	ds_read_b64 v[0:1], v0
.LBB95_12:
	s_or_b64 exec, exec, s[4:5]
	s_waitcnt lgkmcnt(0)
	v_add_co_u32_e64 v2, s[2:3], v0, v2
	v_addc_co_u32_e64 v3, s[2:3], v1, v3, s[2:3]
	v_add_u32_e32 v4, -1, v7
	v_and_b32_e32 v5, 64, v7
	v_cmp_lt_i32_e64 s[2:3], v4, v5
	v_cndmask_b32_e64 v4, v4, v7, s[2:3]
	v_lshlrev_b32_e32 v4, 2, v4
	ds_bpermute_b32 v2, v4, v2
	ds_bpermute_b32 v3, v4, v3
	s_and_saveexec_b64 s[2:3], vcc
	s_cbranch_execz .LBB95_14
; %bb.13:
	s_waitcnt lgkmcnt(0)
	v_cndmask_b32_e64 v1, v3, v1, s[0:1]
	v_cndmask_b32_e64 v0, v2, v0, s[0:1]
	global_store_dwordx2 v6, v[0:1], s[6:7]
.LBB95_14:
	s_endpgm
	.section	.rodata,"a",@progbits
	.p2align	6, 0x0
	.amdhsa_kernel _ZN7rocprim17ROCPRIM_400000_NS6detail17trampoline_kernelINS0_14default_configENS1_35radix_sort_onesweep_config_selectorIcNS0_10empty_typeEEEZNS1_34radix_sort_onesweep_global_offsetsIS3_Lb0EPcPS5_mNS0_19identity_decomposerEEE10hipError_tT1_T2_PT3_SE_jT4_jjP12ihipStream_tbEUlT_E0_NS1_11comp_targetILNS1_3genE4ELNS1_11target_archE910ELNS1_3gpuE8ELNS1_3repE0EEENS1_52radix_sort_onesweep_histogram_config_static_selectorELNS0_4arch9wavefront6targetE1EEEvSC_
		.amdhsa_group_segment_fixed_size 64
		.amdhsa_private_segment_fixed_size 0
		.amdhsa_kernarg_size 8
		.amdhsa_user_sgpr_count 6
		.amdhsa_user_sgpr_private_segment_buffer 1
		.amdhsa_user_sgpr_dispatch_ptr 0
		.amdhsa_user_sgpr_queue_ptr 0
		.amdhsa_user_sgpr_kernarg_segment_ptr 1
		.amdhsa_user_sgpr_dispatch_id 0
		.amdhsa_user_sgpr_flat_scratch_init 0
		.amdhsa_user_sgpr_kernarg_preload_length 0
		.amdhsa_user_sgpr_kernarg_preload_offset 0
		.amdhsa_user_sgpr_private_segment_size 0
		.amdhsa_uses_dynamic_stack 0
		.amdhsa_system_sgpr_private_segment_wavefront_offset 0
		.amdhsa_system_sgpr_workgroup_id_x 1
		.amdhsa_system_sgpr_workgroup_id_y 0
		.amdhsa_system_sgpr_workgroup_id_z 0
		.amdhsa_system_sgpr_workgroup_info 0
		.amdhsa_system_vgpr_workitem_id 0
		.amdhsa_next_free_vgpr 16
		.amdhsa_next_free_sgpr 12
		.amdhsa_accum_offset 16
		.amdhsa_reserve_vcc 1
		.amdhsa_reserve_flat_scratch 0
		.amdhsa_float_round_mode_32 0
		.amdhsa_float_round_mode_16_64 0
		.amdhsa_float_denorm_mode_32 3
		.amdhsa_float_denorm_mode_16_64 3
		.amdhsa_dx10_clamp 1
		.amdhsa_ieee_mode 1
		.amdhsa_fp16_overflow 0
		.amdhsa_tg_split 0
		.amdhsa_exception_fp_ieee_invalid_op 0
		.amdhsa_exception_fp_denorm_src 0
		.amdhsa_exception_fp_ieee_div_zero 0
		.amdhsa_exception_fp_ieee_overflow 0
		.amdhsa_exception_fp_ieee_underflow 0
		.amdhsa_exception_fp_ieee_inexact 0
		.amdhsa_exception_int_div_zero 0
	.end_amdhsa_kernel
	.section	.text._ZN7rocprim17ROCPRIM_400000_NS6detail17trampoline_kernelINS0_14default_configENS1_35radix_sort_onesweep_config_selectorIcNS0_10empty_typeEEEZNS1_34radix_sort_onesweep_global_offsetsIS3_Lb0EPcPS5_mNS0_19identity_decomposerEEE10hipError_tT1_T2_PT3_SE_jT4_jjP12ihipStream_tbEUlT_E0_NS1_11comp_targetILNS1_3genE4ELNS1_11target_archE910ELNS1_3gpuE8ELNS1_3repE0EEENS1_52radix_sort_onesweep_histogram_config_static_selectorELNS0_4arch9wavefront6targetE1EEEvSC_,"axG",@progbits,_ZN7rocprim17ROCPRIM_400000_NS6detail17trampoline_kernelINS0_14default_configENS1_35radix_sort_onesweep_config_selectorIcNS0_10empty_typeEEEZNS1_34radix_sort_onesweep_global_offsetsIS3_Lb0EPcPS5_mNS0_19identity_decomposerEEE10hipError_tT1_T2_PT3_SE_jT4_jjP12ihipStream_tbEUlT_E0_NS1_11comp_targetILNS1_3genE4ELNS1_11target_archE910ELNS1_3gpuE8ELNS1_3repE0EEENS1_52radix_sort_onesweep_histogram_config_static_selectorELNS0_4arch9wavefront6targetE1EEEvSC_,comdat
.Lfunc_end95:
	.size	_ZN7rocprim17ROCPRIM_400000_NS6detail17trampoline_kernelINS0_14default_configENS1_35radix_sort_onesweep_config_selectorIcNS0_10empty_typeEEEZNS1_34radix_sort_onesweep_global_offsetsIS3_Lb0EPcPS5_mNS0_19identity_decomposerEEE10hipError_tT1_T2_PT3_SE_jT4_jjP12ihipStream_tbEUlT_E0_NS1_11comp_targetILNS1_3genE4ELNS1_11target_archE910ELNS1_3gpuE8ELNS1_3repE0EEENS1_52radix_sort_onesweep_histogram_config_static_selectorELNS0_4arch9wavefront6targetE1EEEvSC_, .Lfunc_end95-_ZN7rocprim17ROCPRIM_400000_NS6detail17trampoline_kernelINS0_14default_configENS1_35radix_sort_onesweep_config_selectorIcNS0_10empty_typeEEEZNS1_34radix_sort_onesweep_global_offsetsIS3_Lb0EPcPS5_mNS0_19identity_decomposerEEE10hipError_tT1_T2_PT3_SE_jT4_jjP12ihipStream_tbEUlT_E0_NS1_11comp_targetILNS1_3genE4ELNS1_11target_archE910ELNS1_3gpuE8ELNS1_3repE0EEENS1_52radix_sort_onesweep_histogram_config_static_selectorELNS0_4arch9wavefront6targetE1EEEvSC_
                                        ; -- End function
	.section	.AMDGPU.csdata,"",@progbits
; Kernel info:
; codeLenInByte = 988
; NumSgprs: 16
; NumVgprs: 16
; NumAgprs: 0
; TotalNumVgprs: 16
; ScratchSize: 0
; MemoryBound: 0
; FloatMode: 240
; IeeeMode: 1
; LDSByteSize: 64 bytes/workgroup (compile time only)
; SGPRBlocks: 1
; VGPRBlocks: 1
; NumSGPRsForWavesPerEU: 16
; NumVGPRsForWavesPerEU: 16
; AccumOffset: 16
; Occupancy: 8
; WaveLimiterHint : 0
; COMPUTE_PGM_RSRC2:SCRATCH_EN: 0
; COMPUTE_PGM_RSRC2:USER_SGPR: 6
; COMPUTE_PGM_RSRC2:TRAP_HANDLER: 0
; COMPUTE_PGM_RSRC2:TGID_X_EN: 1
; COMPUTE_PGM_RSRC2:TGID_Y_EN: 0
; COMPUTE_PGM_RSRC2:TGID_Z_EN: 0
; COMPUTE_PGM_RSRC2:TIDIG_COMP_CNT: 0
; COMPUTE_PGM_RSRC3_GFX90A:ACCUM_OFFSET: 3
; COMPUTE_PGM_RSRC3_GFX90A:TG_SPLIT: 0
	.section	.text._ZN7rocprim17ROCPRIM_400000_NS6detail17trampoline_kernelINS0_14default_configENS1_35radix_sort_onesweep_config_selectorIcNS0_10empty_typeEEEZNS1_34radix_sort_onesweep_global_offsetsIS3_Lb0EPcPS5_mNS0_19identity_decomposerEEE10hipError_tT1_T2_PT3_SE_jT4_jjP12ihipStream_tbEUlT_E0_NS1_11comp_targetILNS1_3genE3ELNS1_11target_archE908ELNS1_3gpuE7ELNS1_3repE0EEENS1_52radix_sort_onesweep_histogram_config_static_selectorELNS0_4arch9wavefront6targetE1EEEvSC_,"axG",@progbits,_ZN7rocprim17ROCPRIM_400000_NS6detail17trampoline_kernelINS0_14default_configENS1_35radix_sort_onesweep_config_selectorIcNS0_10empty_typeEEEZNS1_34radix_sort_onesweep_global_offsetsIS3_Lb0EPcPS5_mNS0_19identity_decomposerEEE10hipError_tT1_T2_PT3_SE_jT4_jjP12ihipStream_tbEUlT_E0_NS1_11comp_targetILNS1_3genE3ELNS1_11target_archE908ELNS1_3gpuE7ELNS1_3repE0EEENS1_52radix_sort_onesweep_histogram_config_static_selectorELNS0_4arch9wavefront6targetE1EEEvSC_,comdat
	.protected	_ZN7rocprim17ROCPRIM_400000_NS6detail17trampoline_kernelINS0_14default_configENS1_35radix_sort_onesweep_config_selectorIcNS0_10empty_typeEEEZNS1_34radix_sort_onesweep_global_offsetsIS3_Lb0EPcPS5_mNS0_19identity_decomposerEEE10hipError_tT1_T2_PT3_SE_jT4_jjP12ihipStream_tbEUlT_E0_NS1_11comp_targetILNS1_3genE3ELNS1_11target_archE908ELNS1_3gpuE7ELNS1_3repE0EEENS1_52radix_sort_onesweep_histogram_config_static_selectorELNS0_4arch9wavefront6targetE1EEEvSC_ ; -- Begin function _ZN7rocprim17ROCPRIM_400000_NS6detail17trampoline_kernelINS0_14default_configENS1_35radix_sort_onesweep_config_selectorIcNS0_10empty_typeEEEZNS1_34radix_sort_onesweep_global_offsetsIS3_Lb0EPcPS5_mNS0_19identity_decomposerEEE10hipError_tT1_T2_PT3_SE_jT4_jjP12ihipStream_tbEUlT_E0_NS1_11comp_targetILNS1_3genE3ELNS1_11target_archE908ELNS1_3gpuE7ELNS1_3repE0EEENS1_52radix_sort_onesweep_histogram_config_static_selectorELNS0_4arch9wavefront6targetE1EEEvSC_
	.globl	_ZN7rocprim17ROCPRIM_400000_NS6detail17trampoline_kernelINS0_14default_configENS1_35radix_sort_onesweep_config_selectorIcNS0_10empty_typeEEEZNS1_34radix_sort_onesweep_global_offsetsIS3_Lb0EPcPS5_mNS0_19identity_decomposerEEE10hipError_tT1_T2_PT3_SE_jT4_jjP12ihipStream_tbEUlT_E0_NS1_11comp_targetILNS1_3genE3ELNS1_11target_archE908ELNS1_3gpuE7ELNS1_3repE0EEENS1_52radix_sort_onesweep_histogram_config_static_selectorELNS0_4arch9wavefront6targetE1EEEvSC_
	.p2align	8
	.type	_ZN7rocprim17ROCPRIM_400000_NS6detail17trampoline_kernelINS0_14default_configENS1_35radix_sort_onesweep_config_selectorIcNS0_10empty_typeEEEZNS1_34radix_sort_onesweep_global_offsetsIS3_Lb0EPcPS5_mNS0_19identity_decomposerEEE10hipError_tT1_T2_PT3_SE_jT4_jjP12ihipStream_tbEUlT_E0_NS1_11comp_targetILNS1_3genE3ELNS1_11target_archE908ELNS1_3gpuE7ELNS1_3repE0EEENS1_52radix_sort_onesweep_histogram_config_static_selectorELNS0_4arch9wavefront6targetE1EEEvSC_,@function
_ZN7rocprim17ROCPRIM_400000_NS6detail17trampoline_kernelINS0_14default_configENS1_35radix_sort_onesweep_config_selectorIcNS0_10empty_typeEEEZNS1_34radix_sort_onesweep_global_offsetsIS3_Lb0EPcPS5_mNS0_19identity_decomposerEEE10hipError_tT1_T2_PT3_SE_jT4_jjP12ihipStream_tbEUlT_E0_NS1_11comp_targetILNS1_3genE3ELNS1_11target_archE908ELNS1_3gpuE7ELNS1_3repE0EEENS1_52radix_sort_onesweep_histogram_config_static_selectorELNS0_4arch9wavefront6targetE1EEEvSC_: ; @_ZN7rocprim17ROCPRIM_400000_NS6detail17trampoline_kernelINS0_14default_configENS1_35radix_sort_onesweep_config_selectorIcNS0_10empty_typeEEEZNS1_34radix_sort_onesweep_global_offsetsIS3_Lb0EPcPS5_mNS0_19identity_decomposerEEE10hipError_tT1_T2_PT3_SE_jT4_jjP12ihipStream_tbEUlT_E0_NS1_11comp_targetILNS1_3genE3ELNS1_11target_archE908ELNS1_3gpuE7ELNS1_3repE0EEENS1_52radix_sort_onesweep_histogram_config_static_selectorELNS0_4arch9wavefront6targetE1EEEvSC_
; %bb.0:
	.section	.rodata,"a",@progbits
	.p2align	6, 0x0
	.amdhsa_kernel _ZN7rocprim17ROCPRIM_400000_NS6detail17trampoline_kernelINS0_14default_configENS1_35radix_sort_onesweep_config_selectorIcNS0_10empty_typeEEEZNS1_34radix_sort_onesweep_global_offsetsIS3_Lb0EPcPS5_mNS0_19identity_decomposerEEE10hipError_tT1_T2_PT3_SE_jT4_jjP12ihipStream_tbEUlT_E0_NS1_11comp_targetILNS1_3genE3ELNS1_11target_archE908ELNS1_3gpuE7ELNS1_3repE0EEENS1_52radix_sort_onesweep_histogram_config_static_selectorELNS0_4arch9wavefront6targetE1EEEvSC_
		.amdhsa_group_segment_fixed_size 0
		.amdhsa_private_segment_fixed_size 0
		.amdhsa_kernarg_size 8
		.amdhsa_user_sgpr_count 6
		.amdhsa_user_sgpr_private_segment_buffer 1
		.amdhsa_user_sgpr_dispatch_ptr 0
		.amdhsa_user_sgpr_queue_ptr 0
		.amdhsa_user_sgpr_kernarg_segment_ptr 1
		.amdhsa_user_sgpr_dispatch_id 0
		.amdhsa_user_sgpr_flat_scratch_init 0
		.amdhsa_user_sgpr_kernarg_preload_length 0
		.amdhsa_user_sgpr_kernarg_preload_offset 0
		.amdhsa_user_sgpr_private_segment_size 0
		.amdhsa_uses_dynamic_stack 0
		.amdhsa_system_sgpr_private_segment_wavefront_offset 0
		.amdhsa_system_sgpr_workgroup_id_x 1
		.amdhsa_system_sgpr_workgroup_id_y 0
		.amdhsa_system_sgpr_workgroup_id_z 0
		.amdhsa_system_sgpr_workgroup_info 0
		.amdhsa_system_vgpr_workitem_id 0
		.amdhsa_next_free_vgpr 1
		.amdhsa_next_free_sgpr 0
		.amdhsa_accum_offset 4
		.amdhsa_reserve_vcc 0
		.amdhsa_reserve_flat_scratch 0
		.amdhsa_float_round_mode_32 0
		.amdhsa_float_round_mode_16_64 0
		.amdhsa_float_denorm_mode_32 3
		.amdhsa_float_denorm_mode_16_64 3
		.amdhsa_dx10_clamp 1
		.amdhsa_ieee_mode 1
		.amdhsa_fp16_overflow 0
		.amdhsa_tg_split 0
		.amdhsa_exception_fp_ieee_invalid_op 0
		.amdhsa_exception_fp_denorm_src 0
		.amdhsa_exception_fp_ieee_div_zero 0
		.amdhsa_exception_fp_ieee_overflow 0
		.amdhsa_exception_fp_ieee_underflow 0
		.amdhsa_exception_fp_ieee_inexact 0
		.amdhsa_exception_int_div_zero 0
	.end_amdhsa_kernel
	.section	.text._ZN7rocprim17ROCPRIM_400000_NS6detail17trampoline_kernelINS0_14default_configENS1_35radix_sort_onesweep_config_selectorIcNS0_10empty_typeEEEZNS1_34radix_sort_onesweep_global_offsetsIS3_Lb0EPcPS5_mNS0_19identity_decomposerEEE10hipError_tT1_T2_PT3_SE_jT4_jjP12ihipStream_tbEUlT_E0_NS1_11comp_targetILNS1_3genE3ELNS1_11target_archE908ELNS1_3gpuE7ELNS1_3repE0EEENS1_52radix_sort_onesweep_histogram_config_static_selectorELNS0_4arch9wavefront6targetE1EEEvSC_,"axG",@progbits,_ZN7rocprim17ROCPRIM_400000_NS6detail17trampoline_kernelINS0_14default_configENS1_35radix_sort_onesweep_config_selectorIcNS0_10empty_typeEEEZNS1_34radix_sort_onesweep_global_offsetsIS3_Lb0EPcPS5_mNS0_19identity_decomposerEEE10hipError_tT1_T2_PT3_SE_jT4_jjP12ihipStream_tbEUlT_E0_NS1_11comp_targetILNS1_3genE3ELNS1_11target_archE908ELNS1_3gpuE7ELNS1_3repE0EEENS1_52radix_sort_onesweep_histogram_config_static_selectorELNS0_4arch9wavefront6targetE1EEEvSC_,comdat
.Lfunc_end96:
	.size	_ZN7rocprim17ROCPRIM_400000_NS6detail17trampoline_kernelINS0_14default_configENS1_35radix_sort_onesweep_config_selectorIcNS0_10empty_typeEEEZNS1_34radix_sort_onesweep_global_offsetsIS3_Lb0EPcPS5_mNS0_19identity_decomposerEEE10hipError_tT1_T2_PT3_SE_jT4_jjP12ihipStream_tbEUlT_E0_NS1_11comp_targetILNS1_3genE3ELNS1_11target_archE908ELNS1_3gpuE7ELNS1_3repE0EEENS1_52radix_sort_onesweep_histogram_config_static_selectorELNS0_4arch9wavefront6targetE1EEEvSC_, .Lfunc_end96-_ZN7rocprim17ROCPRIM_400000_NS6detail17trampoline_kernelINS0_14default_configENS1_35radix_sort_onesweep_config_selectorIcNS0_10empty_typeEEEZNS1_34radix_sort_onesweep_global_offsetsIS3_Lb0EPcPS5_mNS0_19identity_decomposerEEE10hipError_tT1_T2_PT3_SE_jT4_jjP12ihipStream_tbEUlT_E0_NS1_11comp_targetILNS1_3genE3ELNS1_11target_archE908ELNS1_3gpuE7ELNS1_3repE0EEENS1_52radix_sort_onesweep_histogram_config_static_selectorELNS0_4arch9wavefront6targetE1EEEvSC_
                                        ; -- End function
	.section	.AMDGPU.csdata,"",@progbits
; Kernel info:
; codeLenInByte = 0
; NumSgprs: 4
; NumVgprs: 0
; NumAgprs: 0
; TotalNumVgprs: 0
; ScratchSize: 0
; MemoryBound: 0
; FloatMode: 240
; IeeeMode: 1
; LDSByteSize: 0 bytes/workgroup (compile time only)
; SGPRBlocks: 0
; VGPRBlocks: 0
; NumSGPRsForWavesPerEU: 4
; NumVGPRsForWavesPerEU: 1
; AccumOffset: 4
; Occupancy: 8
; WaveLimiterHint : 0
; COMPUTE_PGM_RSRC2:SCRATCH_EN: 0
; COMPUTE_PGM_RSRC2:USER_SGPR: 6
; COMPUTE_PGM_RSRC2:TRAP_HANDLER: 0
; COMPUTE_PGM_RSRC2:TGID_X_EN: 1
; COMPUTE_PGM_RSRC2:TGID_Y_EN: 0
; COMPUTE_PGM_RSRC2:TGID_Z_EN: 0
; COMPUTE_PGM_RSRC2:TIDIG_COMP_CNT: 0
; COMPUTE_PGM_RSRC3_GFX90A:ACCUM_OFFSET: 0
; COMPUTE_PGM_RSRC3_GFX90A:TG_SPLIT: 0
	.section	.text._ZN7rocprim17ROCPRIM_400000_NS6detail17trampoline_kernelINS0_14default_configENS1_35radix_sort_onesweep_config_selectorIcNS0_10empty_typeEEEZNS1_34radix_sort_onesweep_global_offsetsIS3_Lb0EPcPS5_mNS0_19identity_decomposerEEE10hipError_tT1_T2_PT3_SE_jT4_jjP12ihipStream_tbEUlT_E0_NS1_11comp_targetILNS1_3genE10ELNS1_11target_archE1201ELNS1_3gpuE5ELNS1_3repE0EEENS1_52radix_sort_onesweep_histogram_config_static_selectorELNS0_4arch9wavefront6targetE1EEEvSC_,"axG",@progbits,_ZN7rocprim17ROCPRIM_400000_NS6detail17trampoline_kernelINS0_14default_configENS1_35radix_sort_onesweep_config_selectorIcNS0_10empty_typeEEEZNS1_34radix_sort_onesweep_global_offsetsIS3_Lb0EPcPS5_mNS0_19identity_decomposerEEE10hipError_tT1_T2_PT3_SE_jT4_jjP12ihipStream_tbEUlT_E0_NS1_11comp_targetILNS1_3genE10ELNS1_11target_archE1201ELNS1_3gpuE5ELNS1_3repE0EEENS1_52radix_sort_onesweep_histogram_config_static_selectorELNS0_4arch9wavefront6targetE1EEEvSC_,comdat
	.protected	_ZN7rocprim17ROCPRIM_400000_NS6detail17trampoline_kernelINS0_14default_configENS1_35radix_sort_onesweep_config_selectorIcNS0_10empty_typeEEEZNS1_34radix_sort_onesweep_global_offsetsIS3_Lb0EPcPS5_mNS0_19identity_decomposerEEE10hipError_tT1_T2_PT3_SE_jT4_jjP12ihipStream_tbEUlT_E0_NS1_11comp_targetILNS1_3genE10ELNS1_11target_archE1201ELNS1_3gpuE5ELNS1_3repE0EEENS1_52radix_sort_onesweep_histogram_config_static_selectorELNS0_4arch9wavefront6targetE1EEEvSC_ ; -- Begin function _ZN7rocprim17ROCPRIM_400000_NS6detail17trampoline_kernelINS0_14default_configENS1_35radix_sort_onesweep_config_selectorIcNS0_10empty_typeEEEZNS1_34radix_sort_onesweep_global_offsetsIS3_Lb0EPcPS5_mNS0_19identity_decomposerEEE10hipError_tT1_T2_PT3_SE_jT4_jjP12ihipStream_tbEUlT_E0_NS1_11comp_targetILNS1_3genE10ELNS1_11target_archE1201ELNS1_3gpuE5ELNS1_3repE0EEENS1_52radix_sort_onesweep_histogram_config_static_selectorELNS0_4arch9wavefront6targetE1EEEvSC_
	.globl	_ZN7rocprim17ROCPRIM_400000_NS6detail17trampoline_kernelINS0_14default_configENS1_35radix_sort_onesweep_config_selectorIcNS0_10empty_typeEEEZNS1_34radix_sort_onesweep_global_offsetsIS3_Lb0EPcPS5_mNS0_19identity_decomposerEEE10hipError_tT1_T2_PT3_SE_jT4_jjP12ihipStream_tbEUlT_E0_NS1_11comp_targetILNS1_3genE10ELNS1_11target_archE1201ELNS1_3gpuE5ELNS1_3repE0EEENS1_52radix_sort_onesweep_histogram_config_static_selectorELNS0_4arch9wavefront6targetE1EEEvSC_
	.p2align	8
	.type	_ZN7rocprim17ROCPRIM_400000_NS6detail17trampoline_kernelINS0_14default_configENS1_35radix_sort_onesweep_config_selectorIcNS0_10empty_typeEEEZNS1_34radix_sort_onesweep_global_offsetsIS3_Lb0EPcPS5_mNS0_19identity_decomposerEEE10hipError_tT1_T2_PT3_SE_jT4_jjP12ihipStream_tbEUlT_E0_NS1_11comp_targetILNS1_3genE10ELNS1_11target_archE1201ELNS1_3gpuE5ELNS1_3repE0EEENS1_52radix_sort_onesweep_histogram_config_static_selectorELNS0_4arch9wavefront6targetE1EEEvSC_,@function
_ZN7rocprim17ROCPRIM_400000_NS6detail17trampoline_kernelINS0_14default_configENS1_35radix_sort_onesweep_config_selectorIcNS0_10empty_typeEEEZNS1_34radix_sort_onesweep_global_offsetsIS3_Lb0EPcPS5_mNS0_19identity_decomposerEEE10hipError_tT1_T2_PT3_SE_jT4_jjP12ihipStream_tbEUlT_E0_NS1_11comp_targetILNS1_3genE10ELNS1_11target_archE1201ELNS1_3gpuE5ELNS1_3repE0EEENS1_52radix_sort_onesweep_histogram_config_static_selectorELNS0_4arch9wavefront6targetE1EEEvSC_: ; @_ZN7rocprim17ROCPRIM_400000_NS6detail17trampoline_kernelINS0_14default_configENS1_35radix_sort_onesweep_config_selectorIcNS0_10empty_typeEEEZNS1_34radix_sort_onesweep_global_offsetsIS3_Lb0EPcPS5_mNS0_19identity_decomposerEEE10hipError_tT1_T2_PT3_SE_jT4_jjP12ihipStream_tbEUlT_E0_NS1_11comp_targetILNS1_3genE10ELNS1_11target_archE1201ELNS1_3gpuE5ELNS1_3repE0EEENS1_52radix_sort_onesweep_histogram_config_static_selectorELNS0_4arch9wavefront6targetE1EEEvSC_
; %bb.0:
	.section	.rodata,"a",@progbits
	.p2align	6, 0x0
	.amdhsa_kernel _ZN7rocprim17ROCPRIM_400000_NS6detail17trampoline_kernelINS0_14default_configENS1_35radix_sort_onesweep_config_selectorIcNS0_10empty_typeEEEZNS1_34radix_sort_onesweep_global_offsetsIS3_Lb0EPcPS5_mNS0_19identity_decomposerEEE10hipError_tT1_T2_PT3_SE_jT4_jjP12ihipStream_tbEUlT_E0_NS1_11comp_targetILNS1_3genE10ELNS1_11target_archE1201ELNS1_3gpuE5ELNS1_3repE0EEENS1_52radix_sort_onesweep_histogram_config_static_selectorELNS0_4arch9wavefront6targetE1EEEvSC_
		.amdhsa_group_segment_fixed_size 0
		.amdhsa_private_segment_fixed_size 0
		.amdhsa_kernarg_size 8
		.amdhsa_user_sgpr_count 6
		.amdhsa_user_sgpr_private_segment_buffer 1
		.amdhsa_user_sgpr_dispatch_ptr 0
		.amdhsa_user_sgpr_queue_ptr 0
		.amdhsa_user_sgpr_kernarg_segment_ptr 1
		.amdhsa_user_sgpr_dispatch_id 0
		.amdhsa_user_sgpr_flat_scratch_init 0
		.amdhsa_user_sgpr_kernarg_preload_length 0
		.amdhsa_user_sgpr_kernarg_preload_offset 0
		.amdhsa_user_sgpr_private_segment_size 0
		.amdhsa_uses_dynamic_stack 0
		.amdhsa_system_sgpr_private_segment_wavefront_offset 0
		.amdhsa_system_sgpr_workgroup_id_x 1
		.amdhsa_system_sgpr_workgroup_id_y 0
		.amdhsa_system_sgpr_workgroup_id_z 0
		.amdhsa_system_sgpr_workgroup_info 0
		.amdhsa_system_vgpr_workitem_id 0
		.amdhsa_next_free_vgpr 1
		.amdhsa_next_free_sgpr 0
		.amdhsa_accum_offset 4
		.amdhsa_reserve_vcc 0
		.amdhsa_reserve_flat_scratch 0
		.amdhsa_float_round_mode_32 0
		.amdhsa_float_round_mode_16_64 0
		.amdhsa_float_denorm_mode_32 3
		.amdhsa_float_denorm_mode_16_64 3
		.amdhsa_dx10_clamp 1
		.amdhsa_ieee_mode 1
		.amdhsa_fp16_overflow 0
		.amdhsa_tg_split 0
		.amdhsa_exception_fp_ieee_invalid_op 0
		.amdhsa_exception_fp_denorm_src 0
		.amdhsa_exception_fp_ieee_div_zero 0
		.amdhsa_exception_fp_ieee_overflow 0
		.amdhsa_exception_fp_ieee_underflow 0
		.amdhsa_exception_fp_ieee_inexact 0
		.amdhsa_exception_int_div_zero 0
	.end_amdhsa_kernel
	.section	.text._ZN7rocprim17ROCPRIM_400000_NS6detail17trampoline_kernelINS0_14default_configENS1_35radix_sort_onesweep_config_selectorIcNS0_10empty_typeEEEZNS1_34radix_sort_onesweep_global_offsetsIS3_Lb0EPcPS5_mNS0_19identity_decomposerEEE10hipError_tT1_T2_PT3_SE_jT4_jjP12ihipStream_tbEUlT_E0_NS1_11comp_targetILNS1_3genE10ELNS1_11target_archE1201ELNS1_3gpuE5ELNS1_3repE0EEENS1_52radix_sort_onesweep_histogram_config_static_selectorELNS0_4arch9wavefront6targetE1EEEvSC_,"axG",@progbits,_ZN7rocprim17ROCPRIM_400000_NS6detail17trampoline_kernelINS0_14default_configENS1_35radix_sort_onesweep_config_selectorIcNS0_10empty_typeEEEZNS1_34radix_sort_onesweep_global_offsetsIS3_Lb0EPcPS5_mNS0_19identity_decomposerEEE10hipError_tT1_T2_PT3_SE_jT4_jjP12ihipStream_tbEUlT_E0_NS1_11comp_targetILNS1_3genE10ELNS1_11target_archE1201ELNS1_3gpuE5ELNS1_3repE0EEENS1_52radix_sort_onesweep_histogram_config_static_selectorELNS0_4arch9wavefront6targetE1EEEvSC_,comdat
.Lfunc_end97:
	.size	_ZN7rocprim17ROCPRIM_400000_NS6detail17trampoline_kernelINS0_14default_configENS1_35radix_sort_onesweep_config_selectorIcNS0_10empty_typeEEEZNS1_34radix_sort_onesweep_global_offsetsIS3_Lb0EPcPS5_mNS0_19identity_decomposerEEE10hipError_tT1_T2_PT3_SE_jT4_jjP12ihipStream_tbEUlT_E0_NS1_11comp_targetILNS1_3genE10ELNS1_11target_archE1201ELNS1_3gpuE5ELNS1_3repE0EEENS1_52radix_sort_onesweep_histogram_config_static_selectorELNS0_4arch9wavefront6targetE1EEEvSC_, .Lfunc_end97-_ZN7rocprim17ROCPRIM_400000_NS6detail17trampoline_kernelINS0_14default_configENS1_35radix_sort_onesweep_config_selectorIcNS0_10empty_typeEEEZNS1_34radix_sort_onesweep_global_offsetsIS3_Lb0EPcPS5_mNS0_19identity_decomposerEEE10hipError_tT1_T2_PT3_SE_jT4_jjP12ihipStream_tbEUlT_E0_NS1_11comp_targetILNS1_3genE10ELNS1_11target_archE1201ELNS1_3gpuE5ELNS1_3repE0EEENS1_52radix_sort_onesweep_histogram_config_static_selectorELNS0_4arch9wavefront6targetE1EEEvSC_
                                        ; -- End function
	.section	.AMDGPU.csdata,"",@progbits
; Kernel info:
; codeLenInByte = 0
; NumSgprs: 4
; NumVgprs: 0
; NumAgprs: 0
; TotalNumVgprs: 0
; ScratchSize: 0
; MemoryBound: 0
; FloatMode: 240
; IeeeMode: 1
; LDSByteSize: 0 bytes/workgroup (compile time only)
; SGPRBlocks: 0
; VGPRBlocks: 0
; NumSGPRsForWavesPerEU: 4
; NumVGPRsForWavesPerEU: 1
; AccumOffset: 4
; Occupancy: 8
; WaveLimiterHint : 0
; COMPUTE_PGM_RSRC2:SCRATCH_EN: 0
; COMPUTE_PGM_RSRC2:USER_SGPR: 6
; COMPUTE_PGM_RSRC2:TRAP_HANDLER: 0
; COMPUTE_PGM_RSRC2:TGID_X_EN: 1
; COMPUTE_PGM_RSRC2:TGID_Y_EN: 0
; COMPUTE_PGM_RSRC2:TGID_Z_EN: 0
; COMPUTE_PGM_RSRC2:TIDIG_COMP_CNT: 0
; COMPUTE_PGM_RSRC3_GFX90A:ACCUM_OFFSET: 0
; COMPUTE_PGM_RSRC3_GFX90A:TG_SPLIT: 0
	.section	.text._ZN7rocprim17ROCPRIM_400000_NS6detail17trampoline_kernelINS0_14default_configENS1_35radix_sort_onesweep_config_selectorIcNS0_10empty_typeEEEZNS1_34radix_sort_onesweep_global_offsetsIS3_Lb0EPcPS5_mNS0_19identity_decomposerEEE10hipError_tT1_T2_PT3_SE_jT4_jjP12ihipStream_tbEUlT_E0_NS1_11comp_targetILNS1_3genE9ELNS1_11target_archE1100ELNS1_3gpuE3ELNS1_3repE0EEENS1_52radix_sort_onesweep_histogram_config_static_selectorELNS0_4arch9wavefront6targetE1EEEvSC_,"axG",@progbits,_ZN7rocprim17ROCPRIM_400000_NS6detail17trampoline_kernelINS0_14default_configENS1_35radix_sort_onesweep_config_selectorIcNS0_10empty_typeEEEZNS1_34radix_sort_onesweep_global_offsetsIS3_Lb0EPcPS5_mNS0_19identity_decomposerEEE10hipError_tT1_T2_PT3_SE_jT4_jjP12ihipStream_tbEUlT_E0_NS1_11comp_targetILNS1_3genE9ELNS1_11target_archE1100ELNS1_3gpuE3ELNS1_3repE0EEENS1_52radix_sort_onesweep_histogram_config_static_selectorELNS0_4arch9wavefront6targetE1EEEvSC_,comdat
	.protected	_ZN7rocprim17ROCPRIM_400000_NS6detail17trampoline_kernelINS0_14default_configENS1_35radix_sort_onesweep_config_selectorIcNS0_10empty_typeEEEZNS1_34radix_sort_onesweep_global_offsetsIS3_Lb0EPcPS5_mNS0_19identity_decomposerEEE10hipError_tT1_T2_PT3_SE_jT4_jjP12ihipStream_tbEUlT_E0_NS1_11comp_targetILNS1_3genE9ELNS1_11target_archE1100ELNS1_3gpuE3ELNS1_3repE0EEENS1_52radix_sort_onesweep_histogram_config_static_selectorELNS0_4arch9wavefront6targetE1EEEvSC_ ; -- Begin function _ZN7rocprim17ROCPRIM_400000_NS6detail17trampoline_kernelINS0_14default_configENS1_35radix_sort_onesweep_config_selectorIcNS0_10empty_typeEEEZNS1_34radix_sort_onesweep_global_offsetsIS3_Lb0EPcPS5_mNS0_19identity_decomposerEEE10hipError_tT1_T2_PT3_SE_jT4_jjP12ihipStream_tbEUlT_E0_NS1_11comp_targetILNS1_3genE9ELNS1_11target_archE1100ELNS1_3gpuE3ELNS1_3repE0EEENS1_52radix_sort_onesweep_histogram_config_static_selectorELNS0_4arch9wavefront6targetE1EEEvSC_
	.globl	_ZN7rocprim17ROCPRIM_400000_NS6detail17trampoline_kernelINS0_14default_configENS1_35radix_sort_onesweep_config_selectorIcNS0_10empty_typeEEEZNS1_34radix_sort_onesweep_global_offsetsIS3_Lb0EPcPS5_mNS0_19identity_decomposerEEE10hipError_tT1_T2_PT3_SE_jT4_jjP12ihipStream_tbEUlT_E0_NS1_11comp_targetILNS1_3genE9ELNS1_11target_archE1100ELNS1_3gpuE3ELNS1_3repE0EEENS1_52radix_sort_onesweep_histogram_config_static_selectorELNS0_4arch9wavefront6targetE1EEEvSC_
	.p2align	8
	.type	_ZN7rocprim17ROCPRIM_400000_NS6detail17trampoline_kernelINS0_14default_configENS1_35radix_sort_onesweep_config_selectorIcNS0_10empty_typeEEEZNS1_34radix_sort_onesweep_global_offsetsIS3_Lb0EPcPS5_mNS0_19identity_decomposerEEE10hipError_tT1_T2_PT3_SE_jT4_jjP12ihipStream_tbEUlT_E0_NS1_11comp_targetILNS1_3genE9ELNS1_11target_archE1100ELNS1_3gpuE3ELNS1_3repE0EEENS1_52radix_sort_onesweep_histogram_config_static_selectorELNS0_4arch9wavefront6targetE1EEEvSC_,@function
_ZN7rocprim17ROCPRIM_400000_NS6detail17trampoline_kernelINS0_14default_configENS1_35radix_sort_onesweep_config_selectorIcNS0_10empty_typeEEEZNS1_34radix_sort_onesweep_global_offsetsIS3_Lb0EPcPS5_mNS0_19identity_decomposerEEE10hipError_tT1_T2_PT3_SE_jT4_jjP12ihipStream_tbEUlT_E0_NS1_11comp_targetILNS1_3genE9ELNS1_11target_archE1100ELNS1_3gpuE3ELNS1_3repE0EEENS1_52radix_sort_onesweep_histogram_config_static_selectorELNS0_4arch9wavefront6targetE1EEEvSC_: ; @_ZN7rocprim17ROCPRIM_400000_NS6detail17trampoline_kernelINS0_14default_configENS1_35radix_sort_onesweep_config_selectorIcNS0_10empty_typeEEEZNS1_34radix_sort_onesweep_global_offsetsIS3_Lb0EPcPS5_mNS0_19identity_decomposerEEE10hipError_tT1_T2_PT3_SE_jT4_jjP12ihipStream_tbEUlT_E0_NS1_11comp_targetILNS1_3genE9ELNS1_11target_archE1100ELNS1_3gpuE3ELNS1_3repE0EEENS1_52radix_sort_onesweep_histogram_config_static_selectorELNS0_4arch9wavefront6targetE1EEEvSC_
; %bb.0:
	.section	.rodata,"a",@progbits
	.p2align	6, 0x0
	.amdhsa_kernel _ZN7rocprim17ROCPRIM_400000_NS6detail17trampoline_kernelINS0_14default_configENS1_35radix_sort_onesweep_config_selectorIcNS0_10empty_typeEEEZNS1_34radix_sort_onesweep_global_offsetsIS3_Lb0EPcPS5_mNS0_19identity_decomposerEEE10hipError_tT1_T2_PT3_SE_jT4_jjP12ihipStream_tbEUlT_E0_NS1_11comp_targetILNS1_3genE9ELNS1_11target_archE1100ELNS1_3gpuE3ELNS1_3repE0EEENS1_52radix_sort_onesweep_histogram_config_static_selectorELNS0_4arch9wavefront6targetE1EEEvSC_
		.amdhsa_group_segment_fixed_size 0
		.amdhsa_private_segment_fixed_size 0
		.amdhsa_kernarg_size 8
		.amdhsa_user_sgpr_count 6
		.amdhsa_user_sgpr_private_segment_buffer 1
		.amdhsa_user_sgpr_dispatch_ptr 0
		.amdhsa_user_sgpr_queue_ptr 0
		.amdhsa_user_sgpr_kernarg_segment_ptr 1
		.amdhsa_user_sgpr_dispatch_id 0
		.amdhsa_user_sgpr_flat_scratch_init 0
		.amdhsa_user_sgpr_kernarg_preload_length 0
		.amdhsa_user_sgpr_kernarg_preload_offset 0
		.amdhsa_user_sgpr_private_segment_size 0
		.amdhsa_uses_dynamic_stack 0
		.amdhsa_system_sgpr_private_segment_wavefront_offset 0
		.amdhsa_system_sgpr_workgroup_id_x 1
		.amdhsa_system_sgpr_workgroup_id_y 0
		.amdhsa_system_sgpr_workgroup_id_z 0
		.amdhsa_system_sgpr_workgroup_info 0
		.amdhsa_system_vgpr_workitem_id 0
		.amdhsa_next_free_vgpr 1
		.amdhsa_next_free_sgpr 0
		.amdhsa_accum_offset 4
		.amdhsa_reserve_vcc 0
		.amdhsa_reserve_flat_scratch 0
		.amdhsa_float_round_mode_32 0
		.amdhsa_float_round_mode_16_64 0
		.amdhsa_float_denorm_mode_32 3
		.amdhsa_float_denorm_mode_16_64 3
		.amdhsa_dx10_clamp 1
		.amdhsa_ieee_mode 1
		.amdhsa_fp16_overflow 0
		.amdhsa_tg_split 0
		.amdhsa_exception_fp_ieee_invalid_op 0
		.amdhsa_exception_fp_denorm_src 0
		.amdhsa_exception_fp_ieee_div_zero 0
		.amdhsa_exception_fp_ieee_overflow 0
		.amdhsa_exception_fp_ieee_underflow 0
		.amdhsa_exception_fp_ieee_inexact 0
		.amdhsa_exception_int_div_zero 0
	.end_amdhsa_kernel
	.section	.text._ZN7rocprim17ROCPRIM_400000_NS6detail17trampoline_kernelINS0_14default_configENS1_35radix_sort_onesweep_config_selectorIcNS0_10empty_typeEEEZNS1_34radix_sort_onesweep_global_offsetsIS3_Lb0EPcPS5_mNS0_19identity_decomposerEEE10hipError_tT1_T2_PT3_SE_jT4_jjP12ihipStream_tbEUlT_E0_NS1_11comp_targetILNS1_3genE9ELNS1_11target_archE1100ELNS1_3gpuE3ELNS1_3repE0EEENS1_52radix_sort_onesweep_histogram_config_static_selectorELNS0_4arch9wavefront6targetE1EEEvSC_,"axG",@progbits,_ZN7rocprim17ROCPRIM_400000_NS6detail17trampoline_kernelINS0_14default_configENS1_35radix_sort_onesweep_config_selectorIcNS0_10empty_typeEEEZNS1_34radix_sort_onesweep_global_offsetsIS3_Lb0EPcPS5_mNS0_19identity_decomposerEEE10hipError_tT1_T2_PT3_SE_jT4_jjP12ihipStream_tbEUlT_E0_NS1_11comp_targetILNS1_3genE9ELNS1_11target_archE1100ELNS1_3gpuE3ELNS1_3repE0EEENS1_52radix_sort_onesweep_histogram_config_static_selectorELNS0_4arch9wavefront6targetE1EEEvSC_,comdat
.Lfunc_end98:
	.size	_ZN7rocprim17ROCPRIM_400000_NS6detail17trampoline_kernelINS0_14default_configENS1_35radix_sort_onesweep_config_selectorIcNS0_10empty_typeEEEZNS1_34radix_sort_onesweep_global_offsetsIS3_Lb0EPcPS5_mNS0_19identity_decomposerEEE10hipError_tT1_T2_PT3_SE_jT4_jjP12ihipStream_tbEUlT_E0_NS1_11comp_targetILNS1_3genE9ELNS1_11target_archE1100ELNS1_3gpuE3ELNS1_3repE0EEENS1_52radix_sort_onesweep_histogram_config_static_selectorELNS0_4arch9wavefront6targetE1EEEvSC_, .Lfunc_end98-_ZN7rocprim17ROCPRIM_400000_NS6detail17trampoline_kernelINS0_14default_configENS1_35radix_sort_onesweep_config_selectorIcNS0_10empty_typeEEEZNS1_34radix_sort_onesweep_global_offsetsIS3_Lb0EPcPS5_mNS0_19identity_decomposerEEE10hipError_tT1_T2_PT3_SE_jT4_jjP12ihipStream_tbEUlT_E0_NS1_11comp_targetILNS1_3genE9ELNS1_11target_archE1100ELNS1_3gpuE3ELNS1_3repE0EEENS1_52radix_sort_onesweep_histogram_config_static_selectorELNS0_4arch9wavefront6targetE1EEEvSC_
                                        ; -- End function
	.section	.AMDGPU.csdata,"",@progbits
; Kernel info:
; codeLenInByte = 0
; NumSgprs: 4
; NumVgprs: 0
; NumAgprs: 0
; TotalNumVgprs: 0
; ScratchSize: 0
; MemoryBound: 0
; FloatMode: 240
; IeeeMode: 1
; LDSByteSize: 0 bytes/workgroup (compile time only)
; SGPRBlocks: 0
; VGPRBlocks: 0
; NumSGPRsForWavesPerEU: 4
; NumVGPRsForWavesPerEU: 1
; AccumOffset: 4
; Occupancy: 8
; WaveLimiterHint : 0
; COMPUTE_PGM_RSRC2:SCRATCH_EN: 0
; COMPUTE_PGM_RSRC2:USER_SGPR: 6
; COMPUTE_PGM_RSRC2:TRAP_HANDLER: 0
; COMPUTE_PGM_RSRC2:TGID_X_EN: 1
; COMPUTE_PGM_RSRC2:TGID_Y_EN: 0
; COMPUTE_PGM_RSRC2:TGID_Z_EN: 0
; COMPUTE_PGM_RSRC2:TIDIG_COMP_CNT: 0
; COMPUTE_PGM_RSRC3_GFX90A:ACCUM_OFFSET: 0
; COMPUTE_PGM_RSRC3_GFX90A:TG_SPLIT: 0
	.section	.text._ZN7rocprim17ROCPRIM_400000_NS6detail17trampoline_kernelINS0_14default_configENS1_35radix_sort_onesweep_config_selectorIcNS0_10empty_typeEEEZNS1_34radix_sort_onesweep_global_offsetsIS3_Lb0EPcPS5_mNS0_19identity_decomposerEEE10hipError_tT1_T2_PT3_SE_jT4_jjP12ihipStream_tbEUlT_E0_NS1_11comp_targetILNS1_3genE8ELNS1_11target_archE1030ELNS1_3gpuE2ELNS1_3repE0EEENS1_52radix_sort_onesweep_histogram_config_static_selectorELNS0_4arch9wavefront6targetE1EEEvSC_,"axG",@progbits,_ZN7rocprim17ROCPRIM_400000_NS6detail17trampoline_kernelINS0_14default_configENS1_35radix_sort_onesweep_config_selectorIcNS0_10empty_typeEEEZNS1_34radix_sort_onesweep_global_offsetsIS3_Lb0EPcPS5_mNS0_19identity_decomposerEEE10hipError_tT1_T2_PT3_SE_jT4_jjP12ihipStream_tbEUlT_E0_NS1_11comp_targetILNS1_3genE8ELNS1_11target_archE1030ELNS1_3gpuE2ELNS1_3repE0EEENS1_52radix_sort_onesweep_histogram_config_static_selectorELNS0_4arch9wavefront6targetE1EEEvSC_,comdat
	.protected	_ZN7rocprim17ROCPRIM_400000_NS6detail17trampoline_kernelINS0_14default_configENS1_35radix_sort_onesweep_config_selectorIcNS0_10empty_typeEEEZNS1_34radix_sort_onesweep_global_offsetsIS3_Lb0EPcPS5_mNS0_19identity_decomposerEEE10hipError_tT1_T2_PT3_SE_jT4_jjP12ihipStream_tbEUlT_E0_NS1_11comp_targetILNS1_3genE8ELNS1_11target_archE1030ELNS1_3gpuE2ELNS1_3repE0EEENS1_52radix_sort_onesweep_histogram_config_static_selectorELNS0_4arch9wavefront6targetE1EEEvSC_ ; -- Begin function _ZN7rocprim17ROCPRIM_400000_NS6detail17trampoline_kernelINS0_14default_configENS1_35radix_sort_onesweep_config_selectorIcNS0_10empty_typeEEEZNS1_34radix_sort_onesweep_global_offsetsIS3_Lb0EPcPS5_mNS0_19identity_decomposerEEE10hipError_tT1_T2_PT3_SE_jT4_jjP12ihipStream_tbEUlT_E0_NS1_11comp_targetILNS1_3genE8ELNS1_11target_archE1030ELNS1_3gpuE2ELNS1_3repE0EEENS1_52radix_sort_onesweep_histogram_config_static_selectorELNS0_4arch9wavefront6targetE1EEEvSC_
	.globl	_ZN7rocprim17ROCPRIM_400000_NS6detail17trampoline_kernelINS0_14default_configENS1_35radix_sort_onesweep_config_selectorIcNS0_10empty_typeEEEZNS1_34radix_sort_onesweep_global_offsetsIS3_Lb0EPcPS5_mNS0_19identity_decomposerEEE10hipError_tT1_T2_PT3_SE_jT4_jjP12ihipStream_tbEUlT_E0_NS1_11comp_targetILNS1_3genE8ELNS1_11target_archE1030ELNS1_3gpuE2ELNS1_3repE0EEENS1_52radix_sort_onesweep_histogram_config_static_selectorELNS0_4arch9wavefront6targetE1EEEvSC_
	.p2align	8
	.type	_ZN7rocprim17ROCPRIM_400000_NS6detail17trampoline_kernelINS0_14default_configENS1_35radix_sort_onesweep_config_selectorIcNS0_10empty_typeEEEZNS1_34radix_sort_onesweep_global_offsetsIS3_Lb0EPcPS5_mNS0_19identity_decomposerEEE10hipError_tT1_T2_PT3_SE_jT4_jjP12ihipStream_tbEUlT_E0_NS1_11comp_targetILNS1_3genE8ELNS1_11target_archE1030ELNS1_3gpuE2ELNS1_3repE0EEENS1_52radix_sort_onesweep_histogram_config_static_selectorELNS0_4arch9wavefront6targetE1EEEvSC_,@function
_ZN7rocprim17ROCPRIM_400000_NS6detail17trampoline_kernelINS0_14default_configENS1_35radix_sort_onesweep_config_selectorIcNS0_10empty_typeEEEZNS1_34radix_sort_onesweep_global_offsetsIS3_Lb0EPcPS5_mNS0_19identity_decomposerEEE10hipError_tT1_T2_PT3_SE_jT4_jjP12ihipStream_tbEUlT_E0_NS1_11comp_targetILNS1_3genE8ELNS1_11target_archE1030ELNS1_3gpuE2ELNS1_3repE0EEENS1_52radix_sort_onesweep_histogram_config_static_selectorELNS0_4arch9wavefront6targetE1EEEvSC_: ; @_ZN7rocprim17ROCPRIM_400000_NS6detail17trampoline_kernelINS0_14default_configENS1_35radix_sort_onesweep_config_selectorIcNS0_10empty_typeEEEZNS1_34radix_sort_onesweep_global_offsetsIS3_Lb0EPcPS5_mNS0_19identity_decomposerEEE10hipError_tT1_T2_PT3_SE_jT4_jjP12ihipStream_tbEUlT_E0_NS1_11comp_targetILNS1_3genE8ELNS1_11target_archE1030ELNS1_3gpuE2ELNS1_3repE0EEENS1_52radix_sort_onesweep_histogram_config_static_selectorELNS0_4arch9wavefront6targetE1EEEvSC_
; %bb.0:
	.section	.rodata,"a",@progbits
	.p2align	6, 0x0
	.amdhsa_kernel _ZN7rocprim17ROCPRIM_400000_NS6detail17trampoline_kernelINS0_14default_configENS1_35radix_sort_onesweep_config_selectorIcNS0_10empty_typeEEEZNS1_34radix_sort_onesweep_global_offsetsIS3_Lb0EPcPS5_mNS0_19identity_decomposerEEE10hipError_tT1_T2_PT3_SE_jT4_jjP12ihipStream_tbEUlT_E0_NS1_11comp_targetILNS1_3genE8ELNS1_11target_archE1030ELNS1_3gpuE2ELNS1_3repE0EEENS1_52radix_sort_onesweep_histogram_config_static_selectorELNS0_4arch9wavefront6targetE1EEEvSC_
		.amdhsa_group_segment_fixed_size 0
		.amdhsa_private_segment_fixed_size 0
		.amdhsa_kernarg_size 8
		.amdhsa_user_sgpr_count 6
		.amdhsa_user_sgpr_private_segment_buffer 1
		.amdhsa_user_sgpr_dispatch_ptr 0
		.amdhsa_user_sgpr_queue_ptr 0
		.amdhsa_user_sgpr_kernarg_segment_ptr 1
		.amdhsa_user_sgpr_dispatch_id 0
		.amdhsa_user_sgpr_flat_scratch_init 0
		.amdhsa_user_sgpr_kernarg_preload_length 0
		.amdhsa_user_sgpr_kernarg_preload_offset 0
		.amdhsa_user_sgpr_private_segment_size 0
		.amdhsa_uses_dynamic_stack 0
		.amdhsa_system_sgpr_private_segment_wavefront_offset 0
		.amdhsa_system_sgpr_workgroup_id_x 1
		.amdhsa_system_sgpr_workgroup_id_y 0
		.amdhsa_system_sgpr_workgroup_id_z 0
		.amdhsa_system_sgpr_workgroup_info 0
		.amdhsa_system_vgpr_workitem_id 0
		.amdhsa_next_free_vgpr 1
		.amdhsa_next_free_sgpr 0
		.amdhsa_accum_offset 4
		.amdhsa_reserve_vcc 0
		.amdhsa_reserve_flat_scratch 0
		.amdhsa_float_round_mode_32 0
		.amdhsa_float_round_mode_16_64 0
		.amdhsa_float_denorm_mode_32 3
		.amdhsa_float_denorm_mode_16_64 3
		.amdhsa_dx10_clamp 1
		.amdhsa_ieee_mode 1
		.amdhsa_fp16_overflow 0
		.amdhsa_tg_split 0
		.amdhsa_exception_fp_ieee_invalid_op 0
		.amdhsa_exception_fp_denorm_src 0
		.amdhsa_exception_fp_ieee_div_zero 0
		.amdhsa_exception_fp_ieee_overflow 0
		.amdhsa_exception_fp_ieee_underflow 0
		.amdhsa_exception_fp_ieee_inexact 0
		.amdhsa_exception_int_div_zero 0
	.end_amdhsa_kernel
	.section	.text._ZN7rocprim17ROCPRIM_400000_NS6detail17trampoline_kernelINS0_14default_configENS1_35radix_sort_onesweep_config_selectorIcNS0_10empty_typeEEEZNS1_34radix_sort_onesweep_global_offsetsIS3_Lb0EPcPS5_mNS0_19identity_decomposerEEE10hipError_tT1_T2_PT3_SE_jT4_jjP12ihipStream_tbEUlT_E0_NS1_11comp_targetILNS1_3genE8ELNS1_11target_archE1030ELNS1_3gpuE2ELNS1_3repE0EEENS1_52radix_sort_onesweep_histogram_config_static_selectorELNS0_4arch9wavefront6targetE1EEEvSC_,"axG",@progbits,_ZN7rocprim17ROCPRIM_400000_NS6detail17trampoline_kernelINS0_14default_configENS1_35radix_sort_onesweep_config_selectorIcNS0_10empty_typeEEEZNS1_34radix_sort_onesweep_global_offsetsIS3_Lb0EPcPS5_mNS0_19identity_decomposerEEE10hipError_tT1_T2_PT3_SE_jT4_jjP12ihipStream_tbEUlT_E0_NS1_11comp_targetILNS1_3genE8ELNS1_11target_archE1030ELNS1_3gpuE2ELNS1_3repE0EEENS1_52radix_sort_onesweep_histogram_config_static_selectorELNS0_4arch9wavefront6targetE1EEEvSC_,comdat
.Lfunc_end99:
	.size	_ZN7rocprim17ROCPRIM_400000_NS6detail17trampoline_kernelINS0_14default_configENS1_35radix_sort_onesweep_config_selectorIcNS0_10empty_typeEEEZNS1_34radix_sort_onesweep_global_offsetsIS3_Lb0EPcPS5_mNS0_19identity_decomposerEEE10hipError_tT1_T2_PT3_SE_jT4_jjP12ihipStream_tbEUlT_E0_NS1_11comp_targetILNS1_3genE8ELNS1_11target_archE1030ELNS1_3gpuE2ELNS1_3repE0EEENS1_52radix_sort_onesweep_histogram_config_static_selectorELNS0_4arch9wavefront6targetE1EEEvSC_, .Lfunc_end99-_ZN7rocprim17ROCPRIM_400000_NS6detail17trampoline_kernelINS0_14default_configENS1_35radix_sort_onesweep_config_selectorIcNS0_10empty_typeEEEZNS1_34radix_sort_onesweep_global_offsetsIS3_Lb0EPcPS5_mNS0_19identity_decomposerEEE10hipError_tT1_T2_PT3_SE_jT4_jjP12ihipStream_tbEUlT_E0_NS1_11comp_targetILNS1_3genE8ELNS1_11target_archE1030ELNS1_3gpuE2ELNS1_3repE0EEENS1_52radix_sort_onesweep_histogram_config_static_selectorELNS0_4arch9wavefront6targetE1EEEvSC_
                                        ; -- End function
	.section	.AMDGPU.csdata,"",@progbits
; Kernel info:
; codeLenInByte = 0
; NumSgprs: 4
; NumVgprs: 0
; NumAgprs: 0
; TotalNumVgprs: 0
; ScratchSize: 0
; MemoryBound: 0
; FloatMode: 240
; IeeeMode: 1
; LDSByteSize: 0 bytes/workgroup (compile time only)
; SGPRBlocks: 0
; VGPRBlocks: 0
; NumSGPRsForWavesPerEU: 4
; NumVGPRsForWavesPerEU: 1
; AccumOffset: 4
; Occupancy: 8
; WaveLimiterHint : 0
; COMPUTE_PGM_RSRC2:SCRATCH_EN: 0
; COMPUTE_PGM_RSRC2:USER_SGPR: 6
; COMPUTE_PGM_RSRC2:TRAP_HANDLER: 0
; COMPUTE_PGM_RSRC2:TGID_X_EN: 1
; COMPUTE_PGM_RSRC2:TGID_Y_EN: 0
; COMPUTE_PGM_RSRC2:TGID_Z_EN: 0
; COMPUTE_PGM_RSRC2:TIDIG_COMP_CNT: 0
; COMPUTE_PGM_RSRC3_GFX90A:ACCUM_OFFSET: 0
; COMPUTE_PGM_RSRC3_GFX90A:TG_SPLIT: 0
	.section	.text._ZN7rocprim17ROCPRIM_400000_NS6detail17trampoline_kernelINS0_14default_configENS1_35radix_sort_onesweep_config_selectorIcNS0_10empty_typeEEEZZNS1_29radix_sort_onesweep_iterationIS3_Lb0EPcS8_PS5_S9_mNS0_19identity_decomposerENS1_16block_id_wrapperIjLb1EEEEE10hipError_tT1_PNSt15iterator_traitsISE_E10value_typeET2_T3_PNSF_ISK_E10value_typeET4_T5_PSP_SQ_PNS1_23onesweep_lookback_stateEbbT6_jjT7_P12ihipStream_tbENKUlT_T0_SE_SJ_E_clIS8_S8_S9_S9_EEDaSX_SY_SE_SJ_EUlSX_E_NS1_11comp_targetILNS1_3genE0ELNS1_11target_archE4294967295ELNS1_3gpuE0ELNS1_3repE0EEENS1_47radix_sort_onesweep_sort_config_static_selectorELNS0_4arch9wavefront6targetE1EEEvSE_,"axG",@progbits,_ZN7rocprim17ROCPRIM_400000_NS6detail17trampoline_kernelINS0_14default_configENS1_35radix_sort_onesweep_config_selectorIcNS0_10empty_typeEEEZZNS1_29radix_sort_onesweep_iterationIS3_Lb0EPcS8_PS5_S9_mNS0_19identity_decomposerENS1_16block_id_wrapperIjLb1EEEEE10hipError_tT1_PNSt15iterator_traitsISE_E10value_typeET2_T3_PNSF_ISK_E10value_typeET4_T5_PSP_SQ_PNS1_23onesweep_lookback_stateEbbT6_jjT7_P12ihipStream_tbENKUlT_T0_SE_SJ_E_clIS8_S8_S9_S9_EEDaSX_SY_SE_SJ_EUlSX_E_NS1_11comp_targetILNS1_3genE0ELNS1_11target_archE4294967295ELNS1_3gpuE0ELNS1_3repE0EEENS1_47radix_sort_onesweep_sort_config_static_selectorELNS0_4arch9wavefront6targetE1EEEvSE_,comdat
	.protected	_ZN7rocprim17ROCPRIM_400000_NS6detail17trampoline_kernelINS0_14default_configENS1_35radix_sort_onesweep_config_selectorIcNS0_10empty_typeEEEZZNS1_29radix_sort_onesweep_iterationIS3_Lb0EPcS8_PS5_S9_mNS0_19identity_decomposerENS1_16block_id_wrapperIjLb1EEEEE10hipError_tT1_PNSt15iterator_traitsISE_E10value_typeET2_T3_PNSF_ISK_E10value_typeET4_T5_PSP_SQ_PNS1_23onesweep_lookback_stateEbbT6_jjT7_P12ihipStream_tbENKUlT_T0_SE_SJ_E_clIS8_S8_S9_S9_EEDaSX_SY_SE_SJ_EUlSX_E_NS1_11comp_targetILNS1_3genE0ELNS1_11target_archE4294967295ELNS1_3gpuE0ELNS1_3repE0EEENS1_47radix_sort_onesweep_sort_config_static_selectorELNS0_4arch9wavefront6targetE1EEEvSE_ ; -- Begin function _ZN7rocprim17ROCPRIM_400000_NS6detail17trampoline_kernelINS0_14default_configENS1_35radix_sort_onesweep_config_selectorIcNS0_10empty_typeEEEZZNS1_29radix_sort_onesweep_iterationIS3_Lb0EPcS8_PS5_S9_mNS0_19identity_decomposerENS1_16block_id_wrapperIjLb1EEEEE10hipError_tT1_PNSt15iterator_traitsISE_E10value_typeET2_T3_PNSF_ISK_E10value_typeET4_T5_PSP_SQ_PNS1_23onesweep_lookback_stateEbbT6_jjT7_P12ihipStream_tbENKUlT_T0_SE_SJ_E_clIS8_S8_S9_S9_EEDaSX_SY_SE_SJ_EUlSX_E_NS1_11comp_targetILNS1_3genE0ELNS1_11target_archE4294967295ELNS1_3gpuE0ELNS1_3repE0EEENS1_47radix_sort_onesweep_sort_config_static_selectorELNS0_4arch9wavefront6targetE1EEEvSE_
	.globl	_ZN7rocprim17ROCPRIM_400000_NS6detail17trampoline_kernelINS0_14default_configENS1_35radix_sort_onesweep_config_selectorIcNS0_10empty_typeEEEZZNS1_29radix_sort_onesweep_iterationIS3_Lb0EPcS8_PS5_S9_mNS0_19identity_decomposerENS1_16block_id_wrapperIjLb1EEEEE10hipError_tT1_PNSt15iterator_traitsISE_E10value_typeET2_T3_PNSF_ISK_E10value_typeET4_T5_PSP_SQ_PNS1_23onesweep_lookback_stateEbbT6_jjT7_P12ihipStream_tbENKUlT_T0_SE_SJ_E_clIS8_S8_S9_S9_EEDaSX_SY_SE_SJ_EUlSX_E_NS1_11comp_targetILNS1_3genE0ELNS1_11target_archE4294967295ELNS1_3gpuE0ELNS1_3repE0EEENS1_47radix_sort_onesweep_sort_config_static_selectorELNS0_4arch9wavefront6targetE1EEEvSE_
	.p2align	8
	.type	_ZN7rocprim17ROCPRIM_400000_NS6detail17trampoline_kernelINS0_14default_configENS1_35radix_sort_onesweep_config_selectorIcNS0_10empty_typeEEEZZNS1_29radix_sort_onesweep_iterationIS3_Lb0EPcS8_PS5_S9_mNS0_19identity_decomposerENS1_16block_id_wrapperIjLb1EEEEE10hipError_tT1_PNSt15iterator_traitsISE_E10value_typeET2_T3_PNSF_ISK_E10value_typeET4_T5_PSP_SQ_PNS1_23onesweep_lookback_stateEbbT6_jjT7_P12ihipStream_tbENKUlT_T0_SE_SJ_E_clIS8_S8_S9_S9_EEDaSX_SY_SE_SJ_EUlSX_E_NS1_11comp_targetILNS1_3genE0ELNS1_11target_archE4294967295ELNS1_3gpuE0ELNS1_3repE0EEENS1_47radix_sort_onesweep_sort_config_static_selectorELNS0_4arch9wavefront6targetE1EEEvSE_,@function
_ZN7rocprim17ROCPRIM_400000_NS6detail17trampoline_kernelINS0_14default_configENS1_35radix_sort_onesweep_config_selectorIcNS0_10empty_typeEEEZZNS1_29radix_sort_onesweep_iterationIS3_Lb0EPcS8_PS5_S9_mNS0_19identity_decomposerENS1_16block_id_wrapperIjLb1EEEEE10hipError_tT1_PNSt15iterator_traitsISE_E10value_typeET2_T3_PNSF_ISK_E10value_typeET4_T5_PSP_SQ_PNS1_23onesweep_lookback_stateEbbT6_jjT7_P12ihipStream_tbENKUlT_T0_SE_SJ_E_clIS8_S8_S9_S9_EEDaSX_SY_SE_SJ_EUlSX_E_NS1_11comp_targetILNS1_3genE0ELNS1_11target_archE4294967295ELNS1_3gpuE0ELNS1_3repE0EEENS1_47radix_sort_onesweep_sort_config_static_selectorELNS0_4arch9wavefront6targetE1EEEvSE_: ; @_ZN7rocprim17ROCPRIM_400000_NS6detail17trampoline_kernelINS0_14default_configENS1_35radix_sort_onesweep_config_selectorIcNS0_10empty_typeEEEZZNS1_29radix_sort_onesweep_iterationIS3_Lb0EPcS8_PS5_S9_mNS0_19identity_decomposerENS1_16block_id_wrapperIjLb1EEEEE10hipError_tT1_PNSt15iterator_traitsISE_E10value_typeET2_T3_PNSF_ISK_E10value_typeET4_T5_PSP_SQ_PNS1_23onesweep_lookback_stateEbbT6_jjT7_P12ihipStream_tbENKUlT_T0_SE_SJ_E_clIS8_S8_S9_S9_EEDaSX_SY_SE_SJ_EUlSX_E_NS1_11comp_targetILNS1_3genE0ELNS1_11target_archE4294967295ELNS1_3gpuE0ELNS1_3repE0EEENS1_47radix_sort_onesweep_sort_config_static_selectorELNS0_4arch9wavefront6targetE1EEEvSE_
; %bb.0:
	.section	.rodata,"a",@progbits
	.p2align	6, 0x0
	.amdhsa_kernel _ZN7rocprim17ROCPRIM_400000_NS6detail17trampoline_kernelINS0_14default_configENS1_35radix_sort_onesweep_config_selectorIcNS0_10empty_typeEEEZZNS1_29radix_sort_onesweep_iterationIS3_Lb0EPcS8_PS5_S9_mNS0_19identity_decomposerENS1_16block_id_wrapperIjLb1EEEEE10hipError_tT1_PNSt15iterator_traitsISE_E10value_typeET2_T3_PNSF_ISK_E10value_typeET4_T5_PSP_SQ_PNS1_23onesweep_lookback_stateEbbT6_jjT7_P12ihipStream_tbENKUlT_T0_SE_SJ_E_clIS8_S8_S9_S9_EEDaSX_SY_SE_SJ_EUlSX_E_NS1_11comp_targetILNS1_3genE0ELNS1_11target_archE4294967295ELNS1_3gpuE0ELNS1_3repE0EEENS1_47radix_sort_onesweep_sort_config_static_selectorELNS0_4arch9wavefront6targetE1EEEvSE_
		.amdhsa_group_segment_fixed_size 0
		.amdhsa_private_segment_fixed_size 0
		.amdhsa_kernarg_size 88
		.amdhsa_user_sgpr_count 6
		.amdhsa_user_sgpr_private_segment_buffer 1
		.amdhsa_user_sgpr_dispatch_ptr 0
		.amdhsa_user_sgpr_queue_ptr 0
		.amdhsa_user_sgpr_kernarg_segment_ptr 1
		.amdhsa_user_sgpr_dispatch_id 0
		.amdhsa_user_sgpr_flat_scratch_init 0
		.amdhsa_user_sgpr_kernarg_preload_length 0
		.amdhsa_user_sgpr_kernarg_preload_offset 0
		.amdhsa_user_sgpr_private_segment_size 0
		.amdhsa_uses_dynamic_stack 0
		.amdhsa_system_sgpr_private_segment_wavefront_offset 0
		.amdhsa_system_sgpr_workgroup_id_x 1
		.amdhsa_system_sgpr_workgroup_id_y 0
		.amdhsa_system_sgpr_workgroup_id_z 0
		.amdhsa_system_sgpr_workgroup_info 0
		.amdhsa_system_vgpr_workitem_id 0
		.amdhsa_next_free_vgpr 1
		.amdhsa_next_free_sgpr 0
		.amdhsa_accum_offset 4
		.amdhsa_reserve_vcc 0
		.amdhsa_reserve_flat_scratch 0
		.amdhsa_float_round_mode_32 0
		.amdhsa_float_round_mode_16_64 0
		.amdhsa_float_denorm_mode_32 3
		.amdhsa_float_denorm_mode_16_64 3
		.amdhsa_dx10_clamp 1
		.amdhsa_ieee_mode 1
		.amdhsa_fp16_overflow 0
		.amdhsa_tg_split 0
		.amdhsa_exception_fp_ieee_invalid_op 0
		.amdhsa_exception_fp_denorm_src 0
		.amdhsa_exception_fp_ieee_div_zero 0
		.amdhsa_exception_fp_ieee_overflow 0
		.amdhsa_exception_fp_ieee_underflow 0
		.amdhsa_exception_fp_ieee_inexact 0
		.amdhsa_exception_int_div_zero 0
	.end_amdhsa_kernel
	.section	.text._ZN7rocprim17ROCPRIM_400000_NS6detail17trampoline_kernelINS0_14default_configENS1_35radix_sort_onesweep_config_selectorIcNS0_10empty_typeEEEZZNS1_29radix_sort_onesweep_iterationIS3_Lb0EPcS8_PS5_S9_mNS0_19identity_decomposerENS1_16block_id_wrapperIjLb1EEEEE10hipError_tT1_PNSt15iterator_traitsISE_E10value_typeET2_T3_PNSF_ISK_E10value_typeET4_T5_PSP_SQ_PNS1_23onesweep_lookback_stateEbbT6_jjT7_P12ihipStream_tbENKUlT_T0_SE_SJ_E_clIS8_S8_S9_S9_EEDaSX_SY_SE_SJ_EUlSX_E_NS1_11comp_targetILNS1_3genE0ELNS1_11target_archE4294967295ELNS1_3gpuE0ELNS1_3repE0EEENS1_47radix_sort_onesweep_sort_config_static_selectorELNS0_4arch9wavefront6targetE1EEEvSE_,"axG",@progbits,_ZN7rocprim17ROCPRIM_400000_NS6detail17trampoline_kernelINS0_14default_configENS1_35radix_sort_onesweep_config_selectorIcNS0_10empty_typeEEEZZNS1_29radix_sort_onesweep_iterationIS3_Lb0EPcS8_PS5_S9_mNS0_19identity_decomposerENS1_16block_id_wrapperIjLb1EEEEE10hipError_tT1_PNSt15iterator_traitsISE_E10value_typeET2_T3_PNSF_ISK_E10value_typeET4_T5_PSP_SQ_PNS1_23onesweep_lookback_stateEbbT6_jjT7_P12ihipStream_tbENKUlT_T0_SE_SJ_E_clIS8_S8_S9_S9_EEDaSX_SY_SE_SJ_EUlSX_E_NS1_11comp_targetILNS1_3genE0ELNS1_11target_archE4294967295ELNS1_3gpuE0ELNS1_3repE0EEENS1_47radix_sort_onesweep_sort_config_static_selectorELNS0_4arch9wavefront6targetE1EEEvSE_,comdat
.Lfunc_end100:
	.size	_ZN7rocprim17ROCPRIM_400000_NS6detail17trampoline_kernelINS0_14default_configENS1_35radix_sort_onesweep_config_selectorIcNS0_10empty_typeEEEZZNS1_29radix_sort_onesweep_iterationIS3_Lb0EPcS8_PS5_S9_mNS0_19identity_decomposerENS1_16block_id_wrapperIjLb1EEEEE10hipError_tT1_PNSt15iterator_traitsISE_E10value_typeET2_T3_PNSF_ISK_E10value_typeET4_T5_PSP_SQ_PNS1_23onesweep_lookback_stateEbbT6_jjT7_P12ihipStream_tbENKUlT_T0_SE_SJ_E_clIS8_S8_S9_S9_EEDaSX_SY_SE_SJ_EUlSX_E_NS1_11comp_targetILNS1_3genE0ELNS1_11target_archE4294967295ELNS1_3gpuE0ELNS1_3repE0EEENS1_47radix_sort_onesweep_sort_config_static_selectorELNS0_4arch9wavefront6targetE1EEEvSE_, .Lfunc_end100-_ZN7rocprim17ROCPRIM_400000_NS6detail17trampoline_kernelINS0_14default_configENS1_35radix_sort_onesweep_config_selectorIcNS0_10empty_typeEEEZZNS1_29radix_sort_onesweep_iterationIS3_Lb0EPcS8_PS5_S9_mNS0_19identity_decomposerENS1_16block_id_wrapperIjLb1EEEEE10hipError_tT1_PNSt15iterator_traitsISE_E10value_typeET2_T3_PNSF_ISK_E10value_typeET4_T5_PSP_SQ_PNS1_23onesweep_lookback_stateEbbT6_jjT7_P12ihipStream_tbENKUlT_T0_SE_SJ_E_clIS8_S8_S9_S9_EEDaSX_SY_SE_SJ_EUlSX_E_NS1_11comp_targetILNS1_3genE0ELNS1_11target_archE4294967295ELNS1_3gpuE0ELNS1_3repE0EEENS1_47radix_sort_onesweep_sort_config_static_selectorELNS0_4arch9wavefront6targetE1EEEvSE_
                                        ; -- End function
	.section	.AMDGPU.csdata,"",@progbits
; Kernel info:
; codeLenInByte = 0
; NumSgprs: 4
; NumVgprs: 0
; NumAgprs: 0
; TotalNumVgprs: 0
; ScratchSize: 0
; MemoryBound: 0
; FloatMode: 240
; IeeeMode: 1
; LDSByteSize: 0 bytes/workgroup (compile time only)
; SGPRBlocks: 0
; VGPRBlocks: 0
; NumSGPRsForWavesPerEU: 4
; NumVGPRsForWavesPerEU: 1
; AccumOffset: 4
; Occupancy: 8
; WaveLimiterHint : 0
; COMPUTE_PGM_RSRC2:SCRATCH_EN: 0
; COMPUTE_PGM_RSRC2:USER_SGPR: 6
; COMPUTE_PGM_RSRC2:TRAP_HANDLER: 0
; COMPUTE_PGM_RSRC2:TGID_X_EN: 1
; COMPUTE_PGM_RSRC2:TGID_Y_EN: 0
; COMPUTE_PGM_RSRC2:TGID_Z_EN: 0
; COMPUTE_PGM_RSRC2:TIDIG_COMP_CNT: 0
; COMPUTE_PGM_RSRC3_GFX90A:ACCUM_OFFSET: 0
; COMPUTE_PGM_RSRC3_GFX90A:TG_SPLIT: 0
	.section	.text._ZN7rocprim17ROCPRIM_400000_NS6detail17trampoline_kernelINS0_14default_configENS1_35radix_sort_onesweep_config_selectorIcNS0_10empty_typeEEEZZNS1_29radix_sort_onesweep_iterationIS3_Lb0EPcS8_PS5_S9_mNS0_19identity_decomposerENS1_16block_id_wrapperIjLb1EEEEE10hipError_tT1_PNSt15iterator_traitsISE_E10value_typeET2_T3_PNSF_ISK_E10value_typeET4_T5_PSP_SQ_PNS1_23onesweep_lookback_stateEbbT6_jjT7_P12ihipStream_tbENKUlT_T0_SE_SJ_E_clIS8_S8_S9_S9_EEDaSX_SY_SE_SJ_EUlSX_E_NS1_11comp_targetILNS1_3genE6ELNS1_11target_archE950ELNS1_3gpuE13ELNS1_3repE0EEENS1_47radix_sort_onesweep_sort_config_static_selectorELNS0_4arch9wavefront6targetE1EEEvSE_,"axG",@progbits,_ZN7rocprim17ROCPRIM_400000_NS6detail17trampoline_kernelINS0_14default_configENS1_35radix_sort_onesweep_config_selectorIcNS0_10empty_typeEEEZZNS1_29radix_sort_onesweep_iterationIS3_Lb0EPcS8_PS5_S9_mNS0_19identity_decomposerENS1_16block_id_wrapperIjLb1EEEEE10hipError_tT1_PNSt15iterator_traitsISE_E10value_typeET2_T3_PNSF_ISK_E10value_typeET4_T5_PSP_SQ_PNS1_23onesweep_lookback_stateEbbT6_jjT7_P12ihipStream_tbENKUlT_T0_SE_SJ_E_clIS8_S8_S9_S9_EEDaSX_SY_SE_SJ_EUlSX_E_NS1_11comp_targetILNS1_3genE6ELNS1_11target_archE950ELNS1_3gpuE13ELNS1_3repE0EEENS1_47radix_sort_onesweep_sort_config_static_selectorELNS0_4arch9wavefront6targetE1EEEvSE_,comdat
	.protected	_ZN7rocprim17ROCPRIM_400000_NS6detail17trampoline_kernelINS0_14default_configENS1_35radix_sort_onesweep_config_selectorIcNS0_10empty_typeEEEZZNS1_29radix_sort_onesweep_iterationIS3_Lb0EPcS8_PS5_S9_mNS0_19identity_decomposerENS1_16block_id_wrapperIjLb1EEEEE10hipError_tT1_PNSt15iterator_traitsISE_E10value_typeET2_T3_PNSF_ISK_E10value_typeET4_T5_PSP_SQ_PNS1_23onesweep_lookback_stateEbbT6_jjT7_P12ihipStream_tbENKUlT_T0_SE_SJ_E_clIS8_S8_S9_S9_EEDaSX_SY_SE_SJ_EUlSX_E_NS1_11comp_targetILNS1_3genE6ELNS1_11target_archE950ELNS1_3gpuE13ELNS1_3repE0EEENS1_47radix_sort_onesweep_sort_config_static_selectorELNS0_4arch9wavefront6targetE1EEEvSE_ ; -- Begin function _ZN7rocprim17ROCPRIM_400000_NS6detail17trampoline_kernelINS0_14default_configENS1_35radix_sort_onesweep_config_selectorIcNS0_10empty_typeEEEZZNS1_29radix_sort_onesweep_iterationIS3_Lb0EPcS8_PS5_S9_mNS0_19identity_decomposerENS1_16block_id_wrapperIjLb1EEEEE10hipError_tT1_PNSt15iterator_traitsISE_E10value_typeET2_T3_PNSF_ISK_E10value_typeET4_T5_PSP_SQ_PNS1_23onesweep_lookback_stateEbbT6_jjT7_P12ihipStream_tbENKUlT_T0_SE_SJ_E_clIS8_S8_S9_S9_EEDaSX_SY_SE_SJ_EUlSX_E_NS1_11comp_targetILNS1_3genE6ELNS1_11target_archE950ELNS1_3gpuE13ELNS1_3repE0EEENS1_47radix_sort_onesweep_sort_config_static_selectorELNS0_4arch9wavefront6targetE1EEEvSE_
	.globl	_ZN7rocprim17ROCPRIM_400000_NS6detail17trampoline_kernelINS0_14default_configENS1_35radix_sort_onesweep_config_selectorIcNS0_10empty_typeEEEZZNS1_29radix_sort_onesweep_iterationIS3_Lb0EPcS8_PS5_S9_mNS0_19identity_decomposerENS1_16block_id_wrapperIjLb1EEEEE10hipError_tT1_PNSt15iterator_traitsISE_E10value_typeET2_T3_PNSF_ISK_E10value_typeET4_T5_PSP_SQ_PNS1_23onesweep_lookback_stateEbbT6_jjT7_P12ihipStream_tbENKUlT_T0_SE_SJ_E_clIS8_S8_S9_S9_EEDaSX_SY_SE_SJ_EUlSX_E_NS1_11comp_targetILNS1_3genE6ELNS1_11target_archE950ELNS1_3gpuE13ELNS1_3repE0EEENS1_47radix_sort_onesweep_sort_config_static_selectorELNS0_4arch9wavefront6targetE1EEEvSE_
	.p2align	8
	.type	_ZN7rocprim17ROCPRIM_400000_NS6detail17trampoline_kernelINS0_14default_configENS1_35radix_sort_onesweep_config_selectorIcNS0_10empty_typeEEEZZNS1_29radix_sort_onesweep_iterationIS3_Lb0EPcS8_PS5_S9_mNS0_19identity_decomposerENS1_16block_id_wrapperIjLb1EEEEE10hipError_tT1_PNSt15iterator_traitsISE_E10value_typeET2_T3_PNSF_ISK_E10value_typeET4_T5_PSP_SQ_PNS1_23onesweep_lookback_stateEbbT6_jjT7_P12ihipStream_tbENKUlT_T0_SE_SJ_E_clIS8_S8_S9_S9_EEDaSX_SY_SE_SJ_EUlSX_E_NS1_11comp_targetILNS1_3genE6ELNS1_11target_archE950ELNS1_3gpuE13ELNS1_3repE0EEENS1_47radix_sort_onesweep_sort_config_static_selectorELNS0_4arch9wavefront6targetE1EEEvSE_,@function
_ZN7rocprim17ROCPRIM_400000_NS6detail17trampoline_kernelINS0_14default_configENS1_35radix_sort_onesweep_config_selectorIcNS0_10empty_typeEEEZZNS1_29radix_sort_onesweep_iterationIS3_Lb0EPcS8_PS5_S9_mNS0_19identity_decomposerENS1_16block_id_wrapperIjLb1EEEEE10hipError_tT1_PNSt15iterator_traitsISE_E10value_typeET2_T3_PNSF_ISK_E10value_typeET4_T5_PSP_SQ_PNS1_23onesweep_lookback_stateEbbT6_jjT7_P12ihipStream_tbENKUlT_T0_SE_SJ_E_clIS8_S8_S9_S9_EEDaSX_SY_SE_SJ_EUlSX_E_NS1_11comp_targetILNS1_3genE6ELNS1_11target_archE950ELNS1_3gpuE13ELNS1_3repE0EEENS1_47radix_sort_onesweep_sort_config_static_selectorELNS0_4arch9wavefront6targetE1EEEvSE_: ; @_ZN7rocprim17ROCPRIM_400000_NS6detail17trampoline_kernelINS0_14default_configENS1_35radix_sort_onesweep_config_selectorIcNS0_10empty_typeEEEZZNS1_29radix_sort_onesweep_iterationIS3_Lb0EPcS8_PS5_S9_mNS0_19identity_decomposerENS1_16block_id_wrapperIjLb1EEEEE10hipError_tT1_PNSt15iterator_traitsISE_E10value_typeET2_T3_PNSF_ISK_E10value_typeET4_T5_PSP_SQ_PNS1_23onesweep_lookback_stateEbbT6_jjT7_P12ihipStream_tbENKUlT_T0_SE_SJ_E_clIS8_S8_S9_S9_EEDaSX_SY_SE_SJ_EUlSX_E_NS1_11comp_targetILNS1_3genE6ELNS1_11target_archE950ELNS1_3gpuE13ELNS1_3repE0EEENS1_47radix_sort_onesweep_sort_config_static_selectorELNS0_4arch9wavefront6targetE1EEEvSE_
; %bb.0:
	.section	.rodata,"a",@progbits
	.p2align	6, 0x0
	.amdhsa_kernel _ZN7rocprim17ROCPRIM_400000_NS6detail17trampoline_kernelINS0_14default_configENS1_35radix_sort_onesweep_config_selectorIcNS0_10empty_typeEEEZZNS1_29radix_sort_onesweep_iterationIS3_Lb0EPcS8_PS5_S9_mNS0_19identity_decomposerENS1_16block_id_wrapperIjLb1EEEEE10hipError_tT1_PNSt15iterator_traitsISE_E10value_typeET2_T3_PNSF_ISK_E10value_typeET4_T5_PSP_SQ_PNS1_23onesweep_lookback_stateEbbT6_jjT7_P12ihipStream_tbENKUlT_T0_SE_SJ_E_clIS8_S8_S9_S9_EEDaSX_SY_SE_SJ_EUlSX_E_NS1_11comp_targetILNS1_3genE6ELNS1_11target_archE950ELNS1_3gpuE13ELNS1_3repE0EEENS1_47radix_sort_onesweep_sort_config_static_selectorELNS0_4arch9wavefront6targetE1EEEvSE_
		.amdhsa_group_segment_fixed_size 0
		.amdhsa_private_segment_fixed_size 0
		.amdhsa_kernarg_size 88
		.amdhsa_user_sgpr_count 6
		.amdhsa_user_sgpr_private_segment_buffer 1
		.amdhsa_user_sgpr_dispatch_ptr 0
		.amdhsa_user_sgpr_queue_ptr 0
		.amdhsa_user_sgpr_kernarg_segment_ptr 1
		.amdhsa_user_sgpr_dispatch_id 0
		.amdhsa_user_sgpr_flat_scratch_init 0
		.amdhsa_user_sgpr_kernarg_preload_length 0
		.amdhsa_user_sgpr_kernarg_preload_offset 0
		.amdhsa_user_sgpr_private_segment_size 0
		.amdhsa_uses_dynamic_stack 0
		.amdhsa_system_sgpr_private_segment_wavefront_offset 0
		.amdhsa_system_sgpr_workgroup_id_x 1
		.amdhsa_system_sgpr_workgroup_id_y 0
		.amdhsa_system_sgpr_workgroup_id_z 0
		.amdhsa_system_sgpr_workgroup_info 0
		.amdhsa_system_vgpr_workitem_id 0
		.amdhsa_next_free_vgpr 1
		.amdhsa_next_free_sgpr 0
		.amdhsa_accum_offset 4
		.amdhsa_reserve_vcc 0
		.amdhsa_reserve_flat_scratch 0
		.amdhsa_float_round_mode_32 0
		.amdhsa_float_round_mode_16_64 0
		.amdhsa_float_denorm_mode_32 3
		.amdhsa_float_denorm_mode_16_64 3
		.amdhsa_dx10_clamp 1
		.amdhsa_ieee_mode 1
		.amdhsa_fp16_overflow 0
		.amdhsa_tg_split 0
		.amdhsa_exception_fp_ieee_invalid_op 0
		.amdhsa_exception_fp_denorm_src 0
		.amdhsa_exception_fp_ieee_div_zero 0
		.amdhsa_exception_fp_ieee_overflow 0
		.amdhsa_exception_fp_ieee_underflow 0
		.amdhsa_exception_fp_ieee_inexact 0
		.amdhsa_exception_int_div_zero 0
	.end_amdhsa_kernel
	.section	.text._ZN7rocprim17ROCPRIM_400000_NS6detail17trampoline_kernelINS0_14default_configENS1_35radix_sort_onesweep_config_selectorIcNS0_10empty_typeEEEZZNS1_29radix_sort_onesweep_iterationIS3_Lb0EPcS8_PS5_S9_mNS0_19identity_decomposerENS1_16block_id_wrapperIjLb1EEEEE10hipError_tT1_PNSt15iterator_traitsISE_E10value_typeET2_T3_PNSF_ISK_E10value_typeET4_T5_PSP_SQ_PNS1_23onesweep_lookback_stateEbbT6_jjT7_P12ihipStream_tbENKUlT_T0_SE_SJ_E_clIS8_S8_S9_S9_EEDaSX_SY_SE_SJ_EUlSX_E_NS1_11comp_targetILNS1_3genE6ELNS1_11target_archE950ELNS1_3gpuE13ELNS1_3repE0EEENS1_47radix_sort_onesweep_sort_config_static_selectorELNS0_4arch9wavefront6targetE1EEEvSE_,"axG",@progbits,_ZN7rocprim17ROCPRIM_400000_NS6detail17trampoline_kernelINS0_14default_configENS1_35radix_sort_onesweep_config_selectorIcNS0_10empty_typeEEEZZNS1_29radix_sort_onesweep_iterationIS3_Lb0EPcS8_PS5_S9_mNS0_19identity_decomposerENS1_16block_id_wrapperIjLb1EEEEE10hipError_tT1_PNSt15iterator_traitsISE_E10value_typeET2_T3_PNSF_ISK_E10value_typeET4_T5_PSP_SQ_PNS1_23onesweep_lookback_stateEbbT6_jjT7_P12ihipStream_tbENKUlT_T0_SE_SJ_E_clIS8_S8_S9_S9_EEDaSX_SY_SE_SJ_EUlSX_E_NS1_11comp_targetILNS1_3genE6ELNS1_11target_archE950ELNS1_3gpuE13ELNS1_3repE0EEENS1_47radix_sort_onesweep_sort_config_static_selectorELNS0_4arch9wavefront6targetE1EEEvSE_,comdat
.Lfunc_end101:
	.size	_ZN7rocprim17ROCPRIM_400000_NS6detail17trampoline_kernelINS0_14default_configENS1_35radix_sort_onesweep_config_selectorIcNS0_10empty_typeEEEZZNS1_29radix_sort_onesweep_iterationIS3_Lb0EPcS8_PS5_S9_mNS0_19identity_decomposerENS1_16block_id_wrapperIjLb1EEEEE10hipError_tT1_PNSt15iterator_traitsISE_E10value_typeET2_T3_PNSF_ISK_E10value_typeET4_T5_PSP_SQ_PNS1_23onesweep_lookback_stateEbbT6_jjT7_P12ihipStream_tbENKUlT_T0_SE_SJ_E_clIS8_S8_S9_S9_EEDaSX_SY_SE_SJ_EUlSX_E_NS1_11comp_targetILNS1_3genE6ELNS1_11target_archE950ELNS1_3gpuE13ELNS1_3repE0EEENS1_47radix_sort_onesweep_sort_config_static_selectorELNS0_4arch9wavefront6targetE1EEEvSE_, .Lfunc_end101-_ZN7rocprim17ROCPRIM_400000_NS6detail17trampoline_kernelINS0_14default_configENS1_35radix_sort_onesweep_config_selectorIcNS0_10empty_typeEEEZZNS1_29radix_sort_onesweep_iterationIS3_Lb0EPcS8_PS5_S9_mNS0_19identity_decomposerENS1_16block_id_wrapperIjLb1EEEEE10hipError_tT1_PNSt15iterator_traitsISE_E10value_typeET2_T3_PNSF_ISK_E10value_typeET4_T5_PSP_SQ_PNS1_23onesweep_lookback_stateEbbT6_jjT7_P12ihipStream_tbENKUlT_T0_SE_SJ_E_clIS8_S8_S9_S9_EEDaSX_SY_SE_SJ_EUlSX_E_NS1_11comp_targetILNS1_3genE6ELNS1_11target_archE950ELNS1_3gpuE13ELNS1_3repE0EEENS1_47radix_sort_onesweep_sort_config_static_selectorELNS0_4arch9wavefront6targetE1EEEvSE_
                                        ; -- End function
	.section	.AMDGPU.csdata,"",@progbits
; Kernel info:
; codeLenInByte = 0
; NumSgprs: 4
; NumVgprs: 0
; NumAgprs: 0
; TotalNumVgprs: 0
; ScratchSize: 0
; MemoryBound: 0
; FloatMode: 240
; IeeeMode: 1
; LDSByteSize: 0 bytes/workgroup (compile time only)
; SGPRBlocks: 0
; VGPRBlocks: 0
; NumSGPRsForWavesPerEU: 4
; NumVGPRsForWavesPerEU: 1
; AccumOffset: 4
; Occupancy: 8
; WaveLimiterHint : 0
; COMPUTE_PGM_RSRC2:SCRATCH_EN: 0
; COMPUTE_PGM_RSRC2:USER_SGPR: 6
; COMPUTE_PGM_RSRC2:TRAP_HANDLER: 0
; COMPUTE_PGM_RSRC2:TGID_X_EN: 1
; COMPUTE_PGM_RSRC2:TGID_Y_EN: 0
; COMPUTE_PGM_RSRC2:TGID_Z_EN: 0
; COMPUTE_PGM_RSRC2:TIDIG_COMP_CNT: 0
; COMPUTE_PGM_RSRC3_GFX90A:ACCUM_OFFSET: 0
; COMPUTE_PGM_RSRC3_GFX90A:TG_SPLIT: 0
	.section	.text._ZN7rocprim17ROCPRIM_400000_NS6detail17trampoline_kernelINS0_14default_configENS1_35radix_sort_onesweep_config_selectorIcNS0_10empty_typeEEEZZNS1_29radix_sort_onesweep_iterationIS3_Lb0EPcS8_PS5_S9_mNS0_19identity_decomposerENS1_16block_id_wrapperIjLb1EEEEE10hipError_tT1_PNSt15iterator_traitsISE_E10value_typeET2_T3_PNSF_ISK_E10value_typeET4_T5_PSP_SQ_PNS1_23onesweep_lookback_stateEbbT6_jjT7_P12ihipStream_tbENKUlT_T0_SE_SJ_E_clIS8_S8_S9_S9_EEDaSX_SY_SE_SJ_EUlSX_E_NS1_11comp_targetILNS1_3genE5ELNS1_11target_archE942ELNS1_3gpuE9ELNS1_3repE0EEENS1_47radix_sort_onesweep_sort_config_static_selectorELNS0_4arch9wavefront6targetE1EEEvSE_,"axG",@progbits,_ZN7rocprim17ROCPRIM_400000_NS6detail17trampoline_kernelINS0_14default_configENS1_35radix_sort_onesweep_config_selectorIcNS0_10empty_typeEEEZZNS1_29radix_sort_onesweep_iterationIS3_Lb0EPcS8_PS5_S9_mNS0_19identity_decomposerENS1_16block_id_wrapperIjLb1EEEEE10hipError_tT1_PNSt15iterator_traitsISE_E10value_typeET2_T3_PNSF_ISK_E10value_typeET4_T5_PSP_SQ_PNS1_23onesweep_lookback_stateEbbT6_jjT7_P12ihipStream_tbENKUlT_T0_SE_SJ_E_clIS8_S8_S9_S9_EEDaSX_SY_SE_SJ_EUlSX_E_NS1_11comp_targetILNS1_3genE5ELNS1_11target_archE942ELNS1_3gpuE9ELNS1_3repE0EEENS1_47radix_sort_onesweep_sort_config_static_selectorELNS0_4arch9wavefront6targetE1EEEvSE_,comdat
	.protected	_ZN7rocprim17ROCPRIM_400000_NS6detail17trampoline_kernelINS0_14default_configENS1_35radix_sort_onesweep_config_selectorIcNS0_10empty_typeEEEZZNS1_29radix_sort_onesweep_iterationIS3_Lb0EPcS8_PS5_S9_mNS0_19identity_decomposerENS1_16block_id_wrapperIjLb1EEEEE10hipError_tT1_PNSt15iterator_traitsISE_E10value_typeET2_T3_PNSF_ISK_E10value_typeET4_T5_PSP_SQ_PNS1_23onesweep_lookback_stateEbbT6_jjT7_P12ihipStream_tbENKUlT_T0_SE_SJ_E_clIS8_S8_S9_S9_EEDaSX_SY_SE_SJ_EUlSX_E_NS1_11comp_targetILNS1_3genE5ELNS1_11target_archE942ELNS1_3gpuE9ELNS1_3repE0EEENS1_47radix_sort_onesweep_sort_config_static_selectorELNS0_4arch9wavefront6targetE1EEEvSE_ ; -- Begin function _ZN7rocprim17ROCPRIM_400000_NS6detail17trampoline_kernelINS0_14default_configENS1_35radix_sort_onesweep_config_selectorIcNS0_10empty_typeEEEZZNS1_29radix_sort_onesweep_iterationIS3_Lb0EPcS8_PS5_S9_mNS0_19identity_decomposerENS1_16block_id_wrapperIjLb1EEEEE10hipError_tT1_PNSt15iterator_traitsISE_E10value_typeET2_T3_PNSF_ISK_E10value_typeET4_T5_PSP_SQ_PNS1_23onesweep_lookback_stateEbbT6_jjT7_P12ihipStream_tbENKUlT_T0_SE_SJ_E_clIS8_S8_S9_S9_EEDaSX_SY_SE_SJ_EUlSX_E_NS1_11comp_targetILNS1_3genE5ELNS1_11target_archE942ELNS1_3gpuE9ELNS1_3repE0EEENS1_47radix_sort_onesweep_sort_config_static_selectorELNS0_4arch9wavefront6targetE1EEEvSE_
	.globl	_ZN7rocprim17ROCPRIM_400000_NS6detail17trampoline_kernelINS0_14default_configENS1_35radix_sort_onesweep_config_selectorIcNS0_10empty_typeEEEZZNS1_29radix_sort_onesweep_iterationIS3_Lb0EPcS8_PS5_S9_mNS0_19identity_decomposerENS1_16block_id_wrapperIjLb1EEEEE10hipError_tT1_PNSt15iterator_traitsISE_E10value_typeET2_T3_PNSF_ISK_E10value_typeET4_T5_PSP_SQ_PNS1_23onesweep_lookback_stateEbbT6_jjT7_P12ihipStream_tbENKUlT_T0_SE_SJ_E_clIS8_S8_S9_S9_EEDaSX_SY_SE_SJ_EUlSX_E_NS1_11comp_targetILNS1_3genE5ELNS1_11target_archE942ELNS1_3gpuE9ELNS1_3repE0EEENS1_47radix_sort_onesweep_sort_config_static_selectorELNS0_4arch9wavefront6targetE1EEEvSE_
	.p2align	8
	.type	_ZN7rocprim17ROCPRIM_400000_NS6detail17trampoline_kernelINS0_14default_configENS1_35radix_sort_onesweep_config_selectorIcNS0_10empty_typeEEEZZNS1_29radix_sort_onesweep_iterationIS3_Lb0EPcS8_PS5_S9_mNS0_19identity_decomposerENS1_16block_id_wrapperIjLb1EEEEE10hipError_tT1_PNSt15iterator_traitsISE_E10value_typeET2_T3_PNSF_ISK_E10value_typeET4_T5_PSP_SQ_PNS1_23onesweep_lookback_stateEbbT6_jjT7_P12ihipStream_tbENKUlT_T0_SE_SJ_E_clIS8_S8_S9_S9_EEDaSX_SY_SE_SJ_EUlSX_E_NS1_11comp_targetILNS1_3genE5ELNS1_11target_archE942ELNS1_3gpuE9ELNS1_3repE0EEENS1_47radix_sort_onesweep_sort_config_static_selectorELNS0_4arch9wavefront6targetE1EEEvSE_,@function
_ZN7rocprim17ROCPRIM_400000_NS6detail17trampoline_kernelINS0_14default_configENS1_35radix_sort_onesweep_config_selectorIcNS0_10empty_typeEEEZZNS1_29radix_sort_onesweep_iterationIS3_Lb0EPcS8_PS5_S9_mNS0_19identity_decomposerENS1_16block_id_wrapperIjLb1EEEEE10hipError_tT1_PNSt15iterator_traitsISE_E10value_typeET2_T3_PNSF_ISK_E10value_typeET4_T5_PSP_SQ_PNS1_23onesweep_lookback_stateEbbT6_jjT7_P12ihipStream_tbENKUlT_T0_SE_SJ_E_clIS8_S8_S9_S9_EEDaSX_SY_SE_SJ_EUlSX_E_NS1_11comp_targetILNS1_3genE5ELNS1_11target_archE942ELNS1_3gpuE9ELNS1_3repE0EEENS1_47radix_sort_onesweep_sort_config_static_selectorELNS0_4arch9wavefront6targetE1EEEvSE_: ; @_ZN7rocprim17ROCPRIM_400000_NS6detail17trampoline_kernelINS0_14default_configENS1_35radix_sort_onesweep_config_selectorIcNS0_10empty_typeEEEZZNS1_29radix_sort_onesweep_iterationIS3_Lb0EPcS8_PS5_S9_mNS0_19identity_decomposerENS1_16block_id_wrapperIjLb1EEEEE10hipError_tT1_PNSt15iterator_traitsISE_E10value_typeET2_T3_PNSF_ISK_E10value_typeET4_T5_PSP_SQ_PNS1_23onesweep_lookback_stateEbbT6_jjT7_P12ihipStream_tbENKUlT_T0_SE_SJ_E_clIS8_S8_S9_S9_EEDaSX_SY_SE_SJ_EUlSX_E_NS1_11comp_targetILNS1_3genE5ELNS1_11target_archE942ELNS1_3gpuE9ELNS1_3repE0EEENS1_47radix_sort_onesweep_sort_config_static_selectorELNS0_4arch9wavefront6targetE1EEEvSE_
; %bb.0:
	.section	.rodata,"a",@progbits
	.p2align	6, 0x0
	.amdhsa_kernel _ZN7rocprim17ROCPRIM_400000_NS6detail17trampoline_kernelINS0_14default_configENS1_35radix_sort_onesweep_config_selectorIcNS0_10empty_typeEEEZZNS1_29radix_sort_onesweep_iterationIS3_Lb0EPcS8_PS5_S9_mNS0_19identity_decomposerENS1_16block_id_wrapperIjLb1EEEEE10hipError_tT1_PNSt15iterator_traitsISE_E10value_typeET2_T3_PNSF_ISK_E10value_typeET4_T5_PSP_SQ_PNS1_23onesweep_lookback_stateEbbT6_jjT7_P12ihipStream_tbENKUlT_T0_SE_SJ_E_clIS8_S8_S9_S9_EEDaSX_SY_SE_SJ_EUlSX_E_NS1_11comp_targetILNS1_3genE5ELNS1_11target_archE942ELNS1_3gpuE9ELNS1_3repE0EEENS1_47radix_sort_onesweep_sort_config_static_selectorELNS0_4arch9wavefront6targetE1EEEvSE_
		.amdhsa_group_segment_fixed_size 0
		.amdhsa_private_segment_fixed_size 0
		.amdhsa_kernarg_size 88
		.amdhsa_user_sgpr_count 6
		.amdhsa_user_sgpr_private_segment_buffer 1
		.amdhsa_user_sgpr_dispatch_ptr 0
		.amdhsa_user_sgpr_queue_ptr 0
		.amdhsa_user_sgpr_kernarg_segment_ptr 1
		.amdhsa_user_sgpr_dispatch_id 0
		.amdhsa_user_sgpr_flat_scratch_init 0
		.amdhsa_user_sgpr_kernarg_preload_length 0
		.amdhsa_user_sgpr_kernarg_preload_offset 0
		.amdhsa_user_sgpr_private_segment_size 0
		.amdhsa_uses_dynamic_stack 0
		.amdhsa_system_sgpr_private_segment_wavefront_offset 0
		.amdhsa_system_sgpr_workgroup_id_x 1
		.amdhsa_system_sgpr_workgroup_id_y 0
		.amdhsa_system_sgpr_workgroup_id_z 0
		.amdhsa_system_sgpr_workgroup_info 0
		.amdhsa_system_vgpr_workitem_id 0
		.amdhsa_next_free_vgpr 1
		.amdhsa_next_free_sgpr 0
		.amdhsa_accum_offset 4
		.amdhsa_reserve_vcc 0
		.amdhsa_reserve_flat_scratch 0
		.amdhsa_float_round_mode_32 0
		.amdhsa_float_round_mode_16_64 0
		.amdhsa_float_denorm_mode_32 3
		.amdhsa_float_denorm_mode_16_64 3
		.amdhsa_dx10_clamp 1
		.amdhsa_ieee_mode 1
		.amdhsa_fp16_overflow 0
		.amdhsa_tg_split 0
		.amdhsa_exception_fp_ieee_invalid_op 0
		.amdhsa_exception_fp_denorm_src 0
		.amdhsa_exception_fp_ieee_div_zero 0
		.amdhsa_exception_fp_ieee_overflow 0
		.amdhsa_exception_fp_ieee_underflow 0
		.amdhsa_exception_fp_ieee_inexact 0
		.amdhsa_exception_int_div_zero 0
	.end_amdhsa_kernel
	.section	.text._ZN7rocprim17ROCPRIM_400000_NS6detail17trampoline_kernelINS0_14default_configENS1_35radix_sort_onesweep_config_selectorIcNS0_10empty_typeEEEZZNS1_29radix_sort_onesweep_iterationIS3_Lb0EPcS8_PS5_S9_mNS0_19identity_decomposerENS1_16block_id_wrapperIjLb1EEEEE10hipError_tT1_PNSt15iterator_traitsISE_E10value_typeET2_T3_PNSF_ISK_E10value_typeET4_T5_PSP_SQ_PNS1_23onesweep_lookback_stateEbbT6_jjT7_P12ihipStream_tbENKUlT_T0_SE_SJ_E_clIS8_S8_S9_S9_EEDaSX_SY_SE_SJ_EUlSX_E_NS1_11comp_targetILNS1_3genE5ELNS1_11target_archE942ELNS1_3gpuE9ELNS1_3repE0EEENS1_47radix_sort_onesweep_sort_config_static_selectorELNS0_4arch9wavefront6targetE1EEEvSE_,"axG",@progbits,_ZN7rocprim17ROCPRIM_400000_NS6detail17trampoline_kernelINS0_14default_configENS1_35radix_sort_onesweep_config_selectorIcNS0_10empty_typeEEEZZNS1_29radix_sort_onesweep_iterationIS3_Lb0EPcS8_PS5_S9_mNS0_19identity_decomposerENS1_16block_id_wrapperIjLb1EEEEE10hipError_tT1_PNSt15iterator_traitsISE_E10value_typeET2_T3_PNSF_ISK_E10value_typeET4_T5_PSP_SQ_PNS1_23onesweep_lookback_stateEbbT6_jjT7_P12ihipStream_tbENKUlT_T0_SE_SJ_E_clIS8_S8_S9_S9_EEDaSX_SY_SE_SJ_EUlSX_E_NS1_11comp_targetILNS1_3genE5ELNS1_11target_archE942ELNS1_3gpuE9ELNS1_3repE0EEENS1_47radix_sort_onesweep_sort_config_static_selectorELNS0_4arch9wavefront6targetE1EEEvSE_,comdat
.Lfunc_end102:
	.size	_ZN7rocprim17ROCPRIM_400000_NS6detail17trampoline_kernelINS0_14default_configENS1_35radix_sort_onesweep_config_selectorIcNS0_10empty_typeEEEZZNS1_29radix_sort_onesweep_iterationIS3_Lb0EPcS8_PS5_S9_mNS0_19identity_decomposerENS1_16block_id_wrapperIjLb1EEEEE10hipError_tT1_PNSt15iterator_traitsISE_E10value_typeET2_T3_PNSF_ISK_E10value_typeET4_T5_PSP_SQ_PNS1_23onesweep_lookback_stateEbbT6_jjT7_P12ihipStream_tbENKUlT_T0_SE_SJ_E_clIS8_S8_S9_S9_EEDaSX_SY_SE_SJ_EUlSX_E_NS1_11comp_targetILNS1_3genE5ELNS1_11target_archE942ELNS1_3gpuE9ELNS1_3repE0EEENS1_47radix_sort_onesweep_sort_config_static_selectorELNS0_4arch9wavefront6targetE1EEEvSE_, .Lfunc_end102-_ZN7rocprim17ROCPRIM_400000_NS6detail17trampoline_kernelINS0_14default_configENS1_35radix_sort_onesweep_config_selectorIcNS0_10empty_typeEEEZZNS1_29radix_sort_onesweep_iterationIS3_Lb0EPcS8_PS5_S9_mNS0_19identity_decomposerENS1_16block_id_wrapperIjLb1EEEEE10hipError_tT1_PNSt15iterator_traitsISE_E10value_typeET2_T3_PNSF_ISK_E10value_typeET4_T5_PSP_SQ_PNS1_23onesweep_lookback_stateEbbT6_jjT7_P12ihipStream_tbENKUlT_T0_SE_SJ_E_clIS8_S8_S9_S9_EEDaSX_SY_SE_SJ_EUlSX_E_NS1_11comp_targetILNS1_3genE5ELNS1_11target_archE942ELNS1_3gpuE9ELNS1_3repE0EEENS1_47radix_sort_onesweep_sort_config_static_selectorELNS0_4arch9wavefront6targetE1EEEvSE_
                                        ; -- End function
	.section	.AMDGPU.csdata,"",@progbits
; Kernel info:
; codeLenInByte = 0
; NumSgprs: 4
; NumVgprs: 0
; NumAgprs: 0
; TotalNumVgprs: 0
; ScratchSize: 0
; MemoryBound: 0
; FloatMode: 240
; IeeeMode: 1
; LDSByteSize: 0 bytes/workgroup (compile time only)
; SGPRBlocks: 0
; VGPRBlocks: 0
; NumSGPRsForWavesPerEU: 4
; NumVGPRsForWavesPerEU: 1
; AccumOffset: 4
; Occupancy: 8
; WaveLimiterHint : 0
; COMPUTE_PGM_RSRC2:SCRATCH_EN: 0
; COMPUTE_PGM_RSRC2:USER_SGPR: 6
; COMPUTE_PGM_RSRC2:TRAP_HANDLER: 0
; COMPUTE_PGM_RSRC2:TGID_X_EN: 1
; COMPUTE_PGM_RSRC2:TGID_Y_EN: 0
; COMPUTE_PGM_RSRC2:TGID_Z_EN: 0
; COMPUTE_PGM_RSRC2:TIDIG_COMP_CNT: 0
; COMPUTE_PGM_RSRC3_GFX90A:ACCUM_OFFSET: 0
; COMPUTE_PGM_RSRC3_GFX90A:TG_SPLIT: 0
	.section	.text._ZN7rocprim17ROCPRIM_400000_NS6detail17trampoline_kernelINS0_14default_configENS1_35radix_sort_onesweep_config_selectorIcNS0_10empty_typeEEEZZNS1_29radix_sort_onesweep_iterationIS3_Lb0EPcS8_PS5_S9_mNS0_19identity_decomposerENS1_16block_id_wrapperIjLb1EEEEE10hipError_tT1_PNSt15iterator_traitsISE_E10value_typeET2_T3_PNSF_ISK_E10value_typeET4_T5_PSP_SQ_PNS1_23onesweep_lookback_stateEbbT6_jjT7_P12ihipStream_tbENKUlT_T0_SE_SJ_E_clIS8_S8_S9_S9_EEDaSX_SY_SE_SJ_EUlSX_E_NS1_11comp_targetILNS1_3genE2ELNS1_11target_archE906ELNS1_3gpuE6ELNS1_3repE0EEENS1_47radix_sort_onesweep_sort_config_static_selectorELNS0_4arch9wavefront6targetE1EEEvSE_,"axG",@progbits,_ZN7rocprim17ROCPRIM_400000_NS6detail17trampoline_kernelINS0_14default_configENS1_35radix_sort_onesweep_config_selectorIcNS0_10empty_typeEEEZZNS1_29radix_sort_onesweep_iterationIS3_Lb0EPcS8_PS5_S9_mNS0_19identity_decomposerENS1_16block_id_wrapperIjLb1EEEEE10hipError_tT1_PNSt15iterator_traitsISE_E10value_typeET2_T3_PNSF_ISK_E10value_typeET4_T5_PSP_SQ_PNS1_23onesweep_lookback_stateEbbT6_jjT7_P12ihipStream_tbENKUlT_T0_SE_SJ_E_clIS8_S8_S9_S9_EEDaSX_SY_SE_SJ_EUlSX_E_NS1_11comp_targetILNS1_3genE2ELNS1_11target_archE906ELNS1_3gpuE6ELNS1_3repE0EEENS1_47radix_sort_onesweep_sort_config_static_selectorELNS0_4arch9wavefront6targetE1EEEvSE_,comdat
	.protected	_ZN7rocprim17ROCPRIM_400000_NS6detail17trampoline_kernelINS0_14default_configENS1_35radix_sort_onesweep_config_selectorIcNS0_10empty_typeEEEZZNS1_29radix_sort_onesweep_iterationIS3_Lb0EPcS8_PS5_S9_mNS0_19identity_decomposerENS1_16block_id_wrapperIjLb1EEEEE10hipError_tT1_PNSt15iterator_traitsISE_E10value_typeET2_T3_PNSF_ISK_E10value_typeET4_T5_PSP_SQ_PNS1_23onesweep_lookback_stateEbbT6_jjT7_P12ihipStream_tbENKUlT_T0_SE_SJ_E_clIS8_S8_S9_S9_EEDaSX_SY_SE_SJ_EUlSX_E_NS1_11comp_targetILNS1_3genE2ELNS1_11target_archE906ELNS1_3gpuE6ELNS1_3repE0EEENS1_47radix_sort_onesweep_sort_config_static_selectorELNS0_4arch9wavefront6targetE1EEEvSE_ ; -- Begin function _ZN7rocprim17ROCPRIM_400000_NS6detail17trampoline_kernelINS0_14default_configENS1_35radix_sort_onesweep_config_selectorIcNS0_10empty_typeEEEZZNS1_29radix_sort_onesweep_iterationIS3_Lb0EPcS8_PS5_S9_mNS0_19identity_decomposerENS1_16block_id_wrapperIjLb1EEEEE10hipError_tT1_PNSt15iterator_traitsISE_E10value_typeET2_T3_PNSF_ISK_E10value_typeET4_T5_PSP_SQ_PNS1_23onesweep_lookback_stateEbbT6_jjT7_P12ihipStream_tbENKUlT_T0_SE_SJ_E_clIS8_S8_S9_S9_EEDaSX_SY_SE_SJ_EUlSX_E_NS1_11comp_targetILNS1_3genE2ELNS1_11target_archE906ELNS1_3gpuE6ELNS1_3repE0EEENS1_47radix_sort_onesweep_sort_config_static_selectorELNS0_4arch9wavefront6targetE1EEEvSE_
	.globl	_ZN7rocprim17ROCPRIM_400000_NS6detail17trampoline_kernelINS0_14default_configENS1_35radix_sort_onesweep_config_selectorIcNS0_10empty_typeEEEZZNS1_29radix_sort_onesweep_iterationIS3_Lb0EPcS8_PS5_S9_mNS0_19identity_decomposerENS1_16block_id_wrapperIjLb1EEEEE10hipError_tT1_PNSt15iterator_traitsISE_E10value_typeET2_T3_PNSF_ISK_E10value_typeET4_T5_PSP_SQ_PNS1_23onesweep_lookback_stateEbbT6_jjT7_P12ihipStream_tbENKUlT_T0_SE_SJ_E_clIS8_S8_S9_S9_EEDaSX_SY_SE_SJ_EUlSX_E_NS1_11comp_targetILNS1_3genE2ELNS1_11target_archE906ELNS1_3gpuE6ELNS1_3repE0EEENS1_47radix_sort_onesweep_sort_config_static_selectorELNS0_4arch9wavefront6targetE1EEEvSE_
	.p2align	8
	.type	_ZN7rocprim17ROCPRIM_400000_NS6detail17trampoline_kernelINS0_14default_configENS1_35radix_sort_onesweep_config_selectorIcNS0_10empty_typeEEEZZNS1_29radix_sort_onesweep_iterationIS3_Lb0EPcS8_PS5_S9_mNS0_19identity_decomposerENS1_16block_id_wrapperIjLb1EEEEE10hipError_tT1_PNSt15iterator_traitsISE_E10value_typeET2_T3_PNSF_ISK_E10value_typeET4_T5_PSP_SQ_PNS1_23onesweep_lookback_stateEbbT6_jjT7_P12ihipStream_tbENKUlT_T0_SE_SJ_E_clIS8_S8_S9_S9_EEDaSX_SY_SE_SJ_EUlSX_E_NS1_11comp_targetILNS1_3genE2ELNS1_11target_archE906ELNS1_3gpuE6ELNS1_3repE0EEENS1_47radix_sort_onesweep_sort_config_static_selectorELNS0_4arch9wavefront6targetE1EEEvSE_,@function
_ZN7rocprim17ROCPRIM_400000_NS6detail17trampoline_kernelINS0_14default_configENS1_35radix_sort_onesweep_config_selectorIcNS0_10empty_typeEEEZZNS1_29radix_sort_onesweep_iterationIS3_Lb0EPcS8_PS5_S9_mNS0_19identity_decomposerENS1_16block_id_wrapperIjLb1EEEEE10hipError_tT1_PNSt15iterator_traitsISE_E10value_typeET2_T3_PNSF_ISK_E10value_typeET4_T5_PSP_SQ_PNS1_23onesweep_lookback_stateEbbT6_jjT7_P12ihipStream_tbENKUlT_T0_SE_SJ_E_clIS8_S8_S9_S9_EEDaSX_SY_SE_SJ_EUlSX_E_NS1_11comp_targetILNS1_3genE2ELNS1_11target_archE906ELNS1_3gpuE6ELNS1_3repE0EEENS1_47radix_sort_onesweep_sort_config_static_selectorELNS0_4arch9wavefront6targetE1EEEvSE_: ; @_ZN7rocprim17ROCPRIM_400000_NS6detail17trampoline_kernelINS0_14default_configENS1_35radix_sort_onesweep_config_selectorIcNS0_10empty_typeEEEZZNS1_29radix_sort_onesweep_iterationIS3_Lb0EPcS8_PS5_S9_mNS0_19identity_decomposerENS1_16block_id_wrapperIjLb1EEEEE10hipError_tT1_PNSt15iterator_traitsISE_E10value_typeET2_T3_PNSF_ISK_E10value_typeET4_T5_PSP_SQ_PNS1_23onesweep_lookback_stateEbbT6_jjT7_P12ihipStream_tbENKUlT_T0_SE_SJ_E_clIS8_S8_S9_S9_EEDaSX_SY_SE_SJ_EUlSX_E_NS1_11comp_targetILNS1_3genE2ELNS1_11target_archE906ELNS1_3gpuE6ELNS1_3repE0EEENS1_47radix_sort_onesweep_sort_config_static_selectorELNS0_4arch9wavefront6targetE1EEEvSE_
; %bb.0:
	.section	.rodata,"a",@progbits
	.p2align	6, 0x0
	.amdhsa_kernel _ZN7rocprim17ROCPRIM_400000_NS6detail17trampoline_kernelINS0_14default_configENS1_35radix_sort_onesweep_config_selectorIcNS0_10empty_typeEEEZZNS1_29radix_sort_onesweep_iterationIS3_Lb0EPcS8_PS5_S9_mNS0_19identity_decomposerENS1_16block_id_wrapperIjLb1EEEEE10hipError_tT1_PNSt15iterator_traitsISE_E10value_typeET2_T3_PNSF_ISK_E10value_typeET4_T5_PSP_SQ_PNS1_23onesweep_lookback_stateEbbT6_jjT7_P12ihipStream_tbENKUlT_T0_SE_SJ_E_clIS8_S8_S9_S9_EEDaSX_SY_SE_SJ_EUlSX_E_NS1_11comp_targetILNS1_3genE2ELNS1_11target_archE906ELNS1_3gpuE6ELNS1_3repE0EEENS1_47radix_sort_onesweep_sort_config_static_selectorELNS0_4arch9wavefront6targetE1EEEvSE_
		.amdhsa_group_segment_fixed_size 0
		.amdhsa_private_segment_fixed_size 0
		.amdhsa_kernarg_size 88
		.amdhsa_user_sgpr_count 6
		.amdhsa_user_sgpr_private_segment_buffer 1
		.amdhsa_user_sgpr_dispatch_ptr 0
		.amdhsa_user_sgpr_queue_ptr 0
		.amdhsa_user_sgpr_kernarg_segment_ptr 1
		.amdhsa_user_sgpr_dispatch_id 0
		.amdhsa_user_sgpr_flat_scratch_init 0
		.amdhsa_user_sgpr_kernarg_preload_length 0
		.amdhsa_user_sgpr_kernarg_preload_offset 0
		.amdhsa_user_sgpr_private_segment_size 0
		.amdhsa_uses_dynamic_stack 0
		.amdhsa_system_sgpr_private_segment_wavefront_offset 0
		.amdhsa_system_sgpr_workgroup_id_x 1
		.amdhsa_system_sgpr_workgroup_id_y 0
		.amdhsa_system_sgpr_workgroup_id_z 0
		.amdhsa_system_sgpr_workgroup_info 0
		.amdhsa_system_vgpr_workitem_id 0
		.amdhsa_next_free_vgpr 1
		.amdhsa_next_free_sgpr 0
		.amdhsa_accum_offset 4
		.amdhsa_reserve_vcc 0
		.amdhsa_reserve_flat_scratch 0
		.amdhsa_float_round_mode_32 0
		.amdhsa_float_round_mode_16_64 0
		.amdhsa_float_denorm_mode_32 3
		.amdhsa_float_denorm_mode_16_64 3
		.amdhsa_dx10_clamp 1
		.amdhsa_ieee_mode 1
		.amdhsa_fp16_overflow 0
		.amdhsa_tg_split 0
		.amdhsa_exception_fp_ieee_invalid_op 0
		.amdhsa_exception_fp_denorm_src 0
		.amdhsa_exception_fp_ieee_div_zero 0
		.amdhsa_exception_fp_ieee_overflow 0
		.amdhsa_exception_fp_ieee_underflow 0
		.amdhsa_exception_fp_ieee_inexact 0
		.amdhsa_exception_int_div_zero 0
	.end_amdhsa_kernel
	.section	.text._ZN7rocprim17ROCPRIM_400000_NS6detail17trampoline_kernelINS0_14default_configENS1_35radix_sort_onesweep_config_selectorIcNS0_10empty_typeEEEZZNS1_29radix_sort_onesweep_iterationIS3_Lb0EPcS8_PS5_S9_mNS0_19identity_decomposerENS1_16block_id_wrapperIjLb1EEEEE10hipError_tT1_PNSt15iterator_traitsISE_E10value_typeET2_T3_PNSF_ISK_E10value_typeET4_T5_PSP_SQ_PNS1_23onesweep_lookback_stateEbbT6_jjT7_P12ihipStream_tbENKUlT_T0_SE_SJ_E_clIS8_S8_S9_S9_EEDaSX_SY_SE_SJ_EUlSX_E_NS1_11comp_targetILNS1_3genE2ELNS1_11target_archE906ELNS1_3gpuE6ELNS1_3repE0EEENS1_47radix_sort_onesweep_sort_config_static_selectorELNS0_4arch9wavefront6targetE1EEEvSE_,"axG",@progbits,_ZN7rocprim17ROCPRIM_400000_NS6detail17trampoline_kernelINS0_14default_configENS1_35radix_sort_onesweep_config_selectorIcNS0_10empty_typeEEEZZNS1_29radix_sort_onesweep_iterationIS3_Lb0EPcS8_PS5_S9_mNS0_19identity_decomposerENS1_16block_id_wrapperIjLb1EEEEE10hipError_tT1_PNSt15iterator_traitsISE_E10value_typeET2_T3_PNSF_ISK_E10value_typeET4_T5_PSP_SQ_PNS1_23onesweep_lookback_stateEbbT6_jjT7_P12ihipStream_tbENKUlT_T0_SE_SJ_E_clIS8_S8_S9_S9_EEDaSX_SY_SE_SJ_EUlSX_E_NS1_11comp_targetILNS1_3genE2ELNS1_11target_archE906ELNS1_3gpuE6ELNS1_3repE0EEENS1_47radix_sort_onesweep_sort_config_static_selectorELNS0_4arch9wavefront6targetE1EEEvSE_,comdat
.Lfunc_end103:
	.size	_ZN7rocprim17ROCPRIM_400000_NS6detail17trampoline_kernelINS0_14default_configENS1_35radix_sort_onesweep_config_selectorIcNS0_10empty_typeEEEZZNS1_29radix_sort_onesweep_iterationIS3_Lb0EPcS8_PS5_S9_mNS0_19identity_decomposerENS1_16block_id_wrapperIjLb1EEEEE10hipError_tT1_PNSt15iterator_traitsISE_E10value_typeET2_T3_PNSF_ISK_E10value_typeET4_T5_PSP_SQ_PNS1_23onesweep_lookback_stateEbbT6_jjT7_P12ihipStream_tbENKUlT_T0_SE_SJ_E_clIS8_S8_S9_S9_EEDaSX_SY_SE_SJ_EUlSX_E_NS1_11comp_targetILNS1_3genE2ELNS1_11target_archE906ELNS1_3gpuE6ELNS1_3repE0EEENS1_47radix_sort_onesweep_sort_config_static_selectorELNS0_4arch9wavefront6targetE1EEEvSE_, .Lfunc_end103-_ZN7rocprim17ROCPRIM_400000_NS6detail17trampoline_kernelINS0_14default_configENS1_35radix_sort_onesweep_config_selectorIcNS0_10empty_typeEEEZZNS1_29radix_sort_onesweep_iterationIS3_Lb0EPcS8_PS5_S9_mNS0_19identity_decomposerENS1_16block_id_wrapperIjLb1EEEEE10hipError_tT1_PNSt15iterator_traitsISE_E10value_typeET2_T3_PNSF_ISK_E10value_typeET4_T5_PSP_SQ_PNS1_23onesweep_lookback_stateEbbT6_jjT7_P12ihipStream_tbENKUlT_T0_SE_SJ_E_clIS8_S8_S9_S9_EEDaSX_SY_SE_SJ_EUlSX_E_NS1_11comp_targetILNS1_3genE2ELNS1_11target_archE906ELNS1_3gpuE6ELNS1_3repE0EEENS1_47radix_sort_onesweep_sort_config_static_selectorELNS0_4arch9wavefront6targetE1EEEvSE_
                                        ; -- End function
	.section	.AMDGPU.csdata,"",@progbits
; Kernel info:
; codeLenInByte = 0
; NumSgprs: 4
; NumVgprs: 0
; NumAgprs: 0
; TotalNumVgprs: 0
; ScratchSize: 0
; MemoryBound: 0
; FloatMode: 240
; IeeeMode: 1
; LDSByteSize: 0 bytes/workgroup (compile time only)
; SGPRBlocks: 0
; VGPRBlocks: 0
; NumSGPRsForWavesPerEU: 4
; NumVGPRsForWavesPerEU: 1
; AccumOffset: 4
; Occupancy: 8
; WaveLimiterHint : 0
; COMPUTE_PGM_RSRC2:SCRATCH_EN: 0
; COMPUTE_PGM_RSRC2:USER_SGPR: 6
; COMPUTE_PGM_RSRC2:TRAP_HANDLER: 0
; COMPUTE_PGM_RSRC2:TGID_X_EN: 1
; COMPUTE_PGM_RSRC2:TGID_Y_EN: 0
; COMPUTE_PGM_RSRC2:TGID_Z_EN: 0
; COMPUTE_PGM_RSRC2:TIDIG_COMP_CNT: 0
; COMPUTE_PGM_RSRC3_GFX90A:ACCUM_OFFSET: 0
; COMPUTE_PGM_RSRC3_GFX90A:TG_SPLIT: 0
	.section	.text._ZN7rocprim17ROCPRIM_400000_NS6detail17trampoline_kernelINS0_14default_configENS1_35radix_sort_onesweep_config_selectorIcNS0_10empty_typeEEEZZNS1_29radix_sort_onesweep_iterationIS3_Lb0EPcS8_PS5_S9_mNS0_19identity_decomposerENS1_16block_id_wrapperIjLb1EEEEE10hipError_tT1_PNSt15iterator_traitsISE_E10value_typeET2_T3_PNSF_ISK_E10value_typeET4_T5_PSP_SQ_PNS1_23onesweep_lookback_stateEbbT6_jjT7_P12ihipStream_tbENKUlT_T0_SE_SJ_E_clIS8_S8_S9_S9_EEDaSX_SY_SE_SJ_EUlSX_E_NS1_11comp_targetILNS1_3genE4ELNS1_11target_archE910ELNS1_3gpuE8ELNS1_3repE0EEENS1_47radix_sort_onesweep_sort_config_static_selectorELNS0_4arch9wavefront6targetE1EEEvSE_,"axG",@progbits,_ZN7rocprim17ROCPRIM_400000_NS6detail17trampoline_kernelINS0_14default_configENS1_35radix_sort_onesweep_config_selectorIcNS0_10empty_typeEEEZZNS1_29radix_sort_onesweep_iterationIS3_Lb0EPcS8_PS5_S9_mNS0_19identity_decomposerENS1_16block_id_wrapperIjLb1EEEEE10hipError_tT1_PNSt15iterator_traitsISE_E10value_typeET2_T3_PNSF_ISK_E10value_typeET4_T5_PSP_SQ_PNS1_23onesweep_lookback_stateEbbT6_jjT7_P12ihipStream_tbENKUlT_T0_SE_SJ_E_clIS8_S8_S9_S9_EEDaSX_SY_SE_SJ_EUlSX_E_NS1_11comp_targetILNS1_3genE4ELNS1_11target_archE910ELNS1_3gpuE8ELNS1_3repE0EEENS1_47radix_sort_onesweep_sort_config_static_selectorELNS0_4arch9wavefront6targetE1EEEvSE_,comdat
	.protected	_ZN7rocprim17ROCPRIM_400000_NS6detail17trampoline_kernelINS0_14default_configENS1_35radix_sort_onesweep_config_selectorIcNS0_10empty_typeEEEZZNS1_29radix_sort_onesweep_iterationIS3_Lb0EPcS8_PS5_S9_mNS0_19identity_decomposerENS1_16block_id_wrapperIjLb1EEEEE10hipError_tT1_PNSt15iterator_traitsISE_E10value_typeET2_T3_PNSF_ISK_E10value_typeET4_T5_PSP_SQ_PNS1_23onesweep_lookback_stateEbbT6_jjT7_P12ihipStream_tbENKUlT_T0_SE_SJ_E_clIS8_S8_S9_S9_EEDaSX_SY_SE_SJ_EUlSX_E_NS1_11comp_targetILNS1_3genE4ELNS1_11target_archE910ELNS1_3gpuE8ELNS1_3repE0EEENS1_47radix_sort_onesweep_sort_config_static_selectorELNS0_4arch9wavefront6targetE1EEEvSE_ ; -- Begin function _ZN7rocprim17ROCPRIM_400000_NS6detail17trampoline_kernelINS0_14default_configENS1_35radix_sort_onesweep_config_selectorIcNS0_10empty_typeEEEZZNS1_29radix_sort_onesweep_iterationIS3_Lb0EPcS8_PS5_S9_mNS0_19identity_decomposerENS1_16block_id_wrapperIjLb1EEEEE10hipError_tT1_PNSt15iterator_traitsISE_E10value_typeET2_T3_PNSF_ISK_E10value_typeET4_T5_PSP_SQ_PNS1_23onesweep_lookback_stateEbbT6_jjT7_P12ihipStream_tbENKUlT_T0_SE_SJ_E_clIS8_S8_S9_S9_EEDaSX_SY_SE_SJ_EUlSX_E_NS1_11comp_targetILNS1_3genE4ELNS1_11target_archE910ELNS1_3gpuE8ELNS1_3repE0EEENS1_47radix_sort_onesweep_sort_config_static_selectorELNS0_4arch9wavefront6targetE1EEEvSE_
	.globl	_ZN7rocprim17ROCPRIM_400000_NS6detail17trampoline_kernelINS0_14default_configENS1_35radix_sort_onesweep_config_selectorIcNS0_10empty_typeEEEZZNS1_29radix_sort_onesweep_iterationIS3_Lb0EPcS8_PS5_S9_mNS0_19identity_decomposerENS1_16block_id_wrapperIjLb1EEEEE10hipError_tT1_PNSt15iterator_traitsISE_E10value_typeET2_T3_PNSF_ISK_E10value_typeET4_T5_PSP_SQ_PNS1_23onesweep_lookback_stateEbbT6_jjT7_P12ihipStream_tbENKUlT_T0_SE_SJ_E_clIS8_S8_S9_S9_EEDaSX_SY_SE_SJ_EUlSX_E_NS1_11comp_targetILNS1_3genE4ELNS1_11target_archE910ELNS1_3gpuE8ELNS1_3repE0EEENS1_47radix_sort_onesweep_sort_config_static_selectorELNS0_4arch9wavefront6targetE1EEEvSE_
	.p2align	8
	.type	_ZN7rocprim17ROCPRIM_400000_NS6detail17trampoline_kernelINS0_14default_configENS1_35radix_sort_onesweep_config_selectorIcNS0_10empty_typeEEEZZNS1_29radix_sort_onesweep_iterationIS3_Lb0EPcS8_PS5_S9_mNS0_19identity_decomposerENS1_16block_id_wrapperIjLb1EEEEE10hipError_tT1_PNSt15iterator_traitsISE_E10value_typeET2_T3_PNSF_ISK_E10value_typeET4_T5_PSP_SQ_PNS1_23onesweep_lookback_stateEbbT6_jjT7_P12ihipStream_tbENKUlT_T0_SE_SJ_E_clIS8_S8_S9_S9_EEDaSX_SY_SE_SJ_EUlSX_E_NS1_11comp_targetILNS1_3genE4ELNS1_11target_archE910ELNS1_3gpuE8ELNS1_3repE0EEENS1_47radix_sort_onesweep_sort_config_static_selectorELNS0_4arch9wavefront6targetE1EEEvSE_,@function
_ZN7rocprim17ROCPRIM_400000_NS6detail17trampoline_kernelINS0_14default_configENS1_35radix_sort_onesweep_config_selectorIcNS0_10empty_typeEEEZZNS1_29radix_sort_onesweep_iterationIS3_Lb0EPcS8_PS5_S9_mNS0_19identity_decomposerENS1_16block_id_wrapperIjLb1EEEEE10hipError_tT1_PNSt15iterator_traitsISE_E10value_typeET2_T3_PNSF_ISK_E10value_typeET4_T5_PSP_SQ_PNS1_23onesweep_lookback_stateEbbT6_jjT7_P12ihipStream_tbENKUlT_T0_SE_SJ_E_clIS8_S8_S9_S9_EEDaSX_SY_SE_SJ_EUlSX_E_NS1_11comp_targetILNS1_3genE4ELNS1_11target_archE910ELNS1_3gpuE8ELNS1_3repE0EEENS1_47radix_sort_onesweep_sort_config_static_selectorELNS0_4arch9wavefront6targetE1EEEvSE_: ; @_ZN7rocprim17ROCPRIM_400000_NS6detail17trampoline_kernelINS0_14default_configENS1_35radix_sort_onesweep_config_selectorIcNS0_10empty_typeEEEZZNS1_29radix_sort_onesweep_iterationIS3_Lb0EPcS8_PS5_S9_mNS0_19identity_decomposerENS1_16block_id_wrapperIjLb1EEEEE10hipError_tT1_PNSt15iterator_traitsISE_E10value_typeET2_T3_PNSF_ISK_E10value_typeET4_T5_PSP_SQ_PNS1_23onesweep_lookback_stateEbbT6_jjT7_P12ihipStream_tbENKUlT_T0_SE_SJ_E_clIS8_S8_S9_S9_EEDaSX_SY_SE_SJ_EUlSX_E_NS1_11comp_targetILNS1_3genE4ELNS1_11target_archE910ELNS1_3gpuE8ELNS1_3repE0EEENS1_47radix_sort_onesweep_sort_config_static_selectorELNS0_4arch9wavefront6targetE1EEEvSE_
; %bb.0:
	s_load_dwordx4 s[8:11], s[4:5], 0x28
	s_load_dwordx2 s[6:7], s[4:5], 0x38
	s_load_dwordx4 s[16:19], s[4:5], 0x44
	v_cmp_eq_u32_e32 vcc, 0, v0
	s_and_saveexec_b64 s[0:1], vcc
	s_cbranch_execz .LBB104_4
; %bb.1:
	s_mov_b64 s[12:13], exec
	v_mbcnt_lo_u32_b32 v1, s12, 0
	v_mbcnt_hi_u32_b32 v1, s13, v1
	v_cmp_eq_u32_e32 vcc, 0, v1
                                        ; implicit-def: $vgpr2
	s_and_saveexec_b64 s[2:3], vcc
	s_cbranch_execz .LBB104_3
; %bb.2:
	s_load_dwordx2 s[14:15], s[4:5], 0x50
	s_bcnt1_i32_b64 s12, s[12:13]
	v_mov_b32_e32 v2, 0
	v_mov_b32_e32 v3, s12
	s_waitcnt lgkmcnt(0)
	global_atomic_add v2, v2, v3, s[14:15] glc
.LBB104_3:
	s_or_b64 exec, exec, s[2:3]
	s_waitcnt vmcnt(0)
	v_readfirstlane_b32 s2, v2
	v_add_u32_e32 v1, s2, v1
	v_mov_b32_e32 v2, 0
	ds_write_b32 v2, v1 offset:16416
.LBB104_4:
	s_or_b64 exec, exec, s[0:1]
	v_mov_b32_e32 v1, 0
	s_load_dwordx4 s[12:15], s[4:5], 0x0
	s_load_dword s0, s[4:5], 0x20
	s_waitcnt lgkmcnt(0)
	s_barrier
	ds_read_b32 v1, v1 offset:16416
	v_mul_u32_u24_e32 v10, 22, v0
	s_waitcnt lgkmcnt(0)
	s_barrier
	v_readfirstlane_b32 s24, v1
	v_cmp_le_u32_e32 vcc, s18, v1
	s_mul_i32 s25, s24, 0x2c00
	s_cbranch_vccz .LBB104_124
; %bb.5:
	s_mul_i32 s26, s18, 0xffffd400
	s_add_i32 s26, s26, s0
	s_add_u32 s0, s12, s25
	s_addc_u32 s1, s13, 0
	v_mov_b32_e32 v1, s1
	v_add_co_u32_e32 v2, vcc, s0, v10
	v_addc_co_u32_e32 v3, vcc, 0, v1, vcc
	v_cmp_gt_u32_e32 vcc, s26, v10
	v_mov_b32_e32 v4, 0x7f
	v_mov_b32_e32 v1, 0x7f
	s_and_saveexec_b64 s[0:1], vcc
	s_cbranch_execz .LBB104_7
; %bb.6:
	global_load_ubyte v1, v[2:3], off
.LBB104_7:
	s_or_b64 exec, exec, s[0:1]
	v_or_b32_e32 v5, 1, v10
	v_cmp_gt_u32_e32 vcc, s26, v5
	s_and_saveexec_b64 s[0:1], vcc
	s_cbranch_execz .LBB104_9
; %bb.8:
	global_load_ubyte v4, v[2:3], off offset:1
.LBB104_9:
	s_or_b64 exec, exec, s[0:1]
	v_add_u32_e32 v5, 2, v10
	v_cmp_gt_u32_e32 vcc, s26, v5
	v_mov_b32_e32 v6, 0x7f
	v_mov_b32_e32 v5, 0x7f
	s_and_saveexec_b64 s[0:1], vcc
	s_cbranch_execz .LBB104_11
; %bb.10:
	global_load_ubyte v5, v[2:3], off offset:2
.LBB104_11:
	s_or_b64 exec, exec, s[0:1]
	v_add_u32_e32 v7, 3, v10
	v_cmp_gt_u32_e32 vcc, s26, v7
	s_and_saveexec_b64 s[0:1], vcc
	s_cbranch_execz .LBB104_13
; %bb.12:
	global_load_ubyte v6, v[2:3], off offset:3
.LBB104_13:
	s_or_b64 exec, exec, s[0:1]
	v_add_u32_e32 v7, 4, v10
	v_cmp_gt_u32_e32 vcc, s26, v7
	v_mov_b32_e32 v11, 0x7f
	v_mov_b32_e32 v8, 0x7f
	s_and_saveexec_b64 s[0:1], vcc
	s_cbranch_execz .LBB104_15
; %bb.14:
	global_load_ubyte v8, v[2:3], off offset:4
.LBB104_15:
	s_or_b64 exec, exec, s[0:1]
	v_add_u32_e32 v7, 5, v10
	;; [unrolled: 18-line block ×10, first 2 shown]
	v_cmp_gt_u32_e32 vcc, s26, v7
	s_and_saveexec_b64 s[0:1], vcc
	s_cbranch_execz .LBB104_49
; %bb.48:
	global_load_ubyte v40, v[2:3], off offset:21
.LBB104_49:
	s_or_b64 exec, exec, s[0:1]
	v_lshlrev_b32_e32 v2, 2, v0
	v_mov_b32_e32 v3, 0
	s_mov_b64 s[0:1], -1
	ds_write2st64_b32 v2, v3, v3 offset1:8
	ds_write2st64_b32 v2, v3, v3 offset0:16 offset1:24
	s_and_saveexec_b64 s[2:3], s[0:1]
	s_cbranch_execz .LBB104_51
; %bb.50:
	ds_write_b32 v2, v3 offset:8192
.LBB104_51:
	s_or_b64 exec, exec, s[2:3]
	s_and_saveexec_b64 s[2:3], s[0:1]
	s_cbranch_execz .LBB104_53
; %bb.52:
	v_mov_b32_e32 v3, 0
	ds_write_b32 v2, v3 offset:10240
.LBB104_53:
	s_or_b64 exec, exec, s[2:3]
	v_cmp_gt_u32_e64 s[0:1], 7, 6
	v_cmp_gt_u32_e64 s[18:19], 7, 5
	s_and_saveexec_b64 s[2:3], s[18:19]
	s_cbranch_execz .LBB104_55
; %bb.54:
	v_mov_b32_e32 v3, 0
	ds_write_b32 v2, v3 offset:12288
.LBB104_55:
	s_or_b64 exec, exec, s[2:3]
	s_and_saveexec_b64 s[2:3], s[0:1]
	s_cbranch_execz .LBB104_57
; %bb.56:
	v_mov_b32_e32 v3, 0
	ds_write_b32 v2, v3 offset:14336
.LBB104_57:
	s_or_b64 exec, exec, s[2:3]
	s_waitcnt vmcnt(0)
	v_xor_b32_e32 v1, 0xffffff80, v1
	s_lshl_b32 s0, -1, s17
	s_not_b32 s27, s0
	v_lshrrev_b32_sdwa v2, s16, v1 dst_sel:DWORD dst_unused:UNUSED_PAD src0_sel:DWORD src1_sel:BYTE_0
	v_and_b32_e32 v2, s27, v2
	v_lshrrev_b32_e32 v3, 3, v2
	v_lshlrev_b32_e32 v2, 9, v2
	s_movk_i32 s0, 0xe00
	v_and_or_b32 v2, v2, s0, v0
	v_lshlrev_b32_e32 v2, 1, v2
	v_add_lshl_u32 v2, v2, v3, 1
	ds_read_u16 v7, v2
	v_xor_b32_e32 v4, 0xffffff80, v4
	v_xor_b32_e32 v5, 0xffffff80, v5
	v_xor_b32_e32 v6, 0xffffff80, v6
	v_xor_b32_e32 v8, 0xffffff80, v8
	s_waitcnt lgkmcnt(0)
	v_add_u16_e32 v3, 1, v7
	ds_write_b16 v2, v3
	v_lshrrev_b32_sdwa v3, s16, v4 dst_sel:DWORD dst_unused:UNUSED_PAD src0_sel:DWORD src1_sel:BYTE_0
	v_and_b32_e32 v3, s27, v3
	v_lshrrev_b32_e32 v9, 3, v3
	v_lshlrev_b32_e32 v3, 9, v3
	v_and_or_b32 v3, v3, s0, v0
	v_lshlrev_b32_e32 v3, 1, v3
	v_add_lshl_u32 v3, v3, v9, 1
	ds_read_u16 v9, v3
	v_xor_b32_e32 v14, 0xffffff80, v14
	v_xor_b32_e32 v16, 0xffffff80, v16
	v_xor_b32_e32 v18, 0xffffff80, v18
	v_xor_b32_e32 v20, 0xffffff80, v20
	s_waitcnt lgkmcnt(0)
	v_add_u16_e32 v12, 1, v9
	ds_write_b16 v3, v12
	v_lshrrev_b32_sdwa v12, s16, v5 dst_sel:DWORD dst_unused:UNUSED_PAD src0_sel:DWORD src1_sel:BYTE_0
	v_and_b32_e32 v12, s27, v12
	v_lshrrev_b32_e32 v13, 3, v12
	v_lshlrev_b32_e32 v12, 9, v12
	;; [unrolled: 15-line block ×5, first 2 shown]
	v_and_or_b32 v11, v11, s0, v0
	v_lshlrev_b32_e32 v11, 1, v11
	v_add_lshl_u32 v11, v11, v19, 1
	ds_read_u16 v19, v11
	v_xor_b32_e32 v40, 0xffffff80, v40
	s_waitcnt lgkmcnt(0)
	v_add_u16_e32 v21, 1, v19
	ds_write_b16 v11, v21
	v_lshrrev_b32_sdwa v21, s16, v14 dst_sel:DWORD dst_unused:UNUSED_PAD src0_sel:DWORD src1_sel:BYTE_0
	v_and_b32_e32 v21, s27, v21
	v_lshrrev_b32_e32 v23, 3, v21
	v_lshlrev_b32_e32 v21, 9, v21
	v_and_or_b32 v21, v21, s0, v0
	v_lshlrev_b32_e32 v21, 1, v21
	v_add_lshl_u32 v43, v21, v23, 1
	ds_read_u16 v21, v43
	s_waitcnt lgkmcnt(0)
	v_add_u16_e32 v23, 1, v21
	ds_write_b16 v43, v23
	v_lshrrev_b32_sdwa v23, s16, v16 dst_sel:DWORD dst_unused:UNUSED_PAD src0_sel:DWORD src1_sel:BYTE_0
	v_and_b32_e32 v23, s27, v23
	v_lshrrev_b32_e32 v25, 3, v23
	v_lshlrev_b32_e32 v23, 9, v23
	v_and_or_b32 v23, v23, s0, v0
	v_lshlrev_b32_e32 v23, 1, v23
	v_add_lshl_u32 v46, v23, v25, 1
	ds_read_u16 v23, v46
	;; [unrolled: 11-line block ×16, first 2 shown]
	s_waitcnt lgkmcnt(0)
	v_add_u16_e32 v68, 1, v59
	ds_write_b16 v67, v68
	v_lshlrev_b32_e32 v68, 5, v0
	s_waitcnt lgkmcnt(0)
	s_barrier
	ds_read2_b64 v[70:73], v68 offset1:1
	ds_read2_b64 v[74:77], v68 offset0:2 offset1:3
	s_waitcnt lgkmcnt(1)
	v_add_u32_e32 v69, v71, v70
	v_add3_u32 v69, v69, v72, v73
	s_waitcnt lgkmcnt(0)
	v_add3_u32 v69, v69, v74, v75
	v_add3_u32 v70, v69, v76, v77
	v_mbcnt_lo_u32_b32 v69, -1, 0
	v_mbcnt_hi_u32_b32 v69, -1, v69
	v_and_b32_e32 v71, 15, v69
	v_mov_b32_dpp v72, v70 row_shr:1 row_mask:0xf bank_mask:0xf
	v_cmp_ne_u32_e32 vcc, 0, v71
	v_cndmask_b32_e32 v72, 0, v72, vcc
	v_add_u32_e32 v70, v72, v70
	v_cmp_lt_u32_e32 vcc, 1, v71
	s_nop 0
	v_mov_b32_dpp v72, v70 row_shr:2 row_mask:0xf bank_mask:0xf
	v_cndmask_b32_e32 v72, 0, v72, vcc
	v_add_u32_e32 v70, v70, v72
	v_cmp_lt_u32_e32 vcc, 3, v71
	s_nop 0
	v_mov_b32_dpp v72, v70 row_shr:4 row_mask:0xf bank_mask:0xf
	;; [unrolled: 5-line block ×3, first 2 shown]
	v_cndmask_b32_e32 v71, 0, v72, vcc
	v_add_u32_e32 v70, v70, v71
	v_bfe_i32 v72, v69, 4, 1
	v_cmp_lt_u32_e32 vcc, 31, v69
	v_mov_b32_dpp v71, v70 row_bcast:15 row_mask:0xf bank_mask:0xf
	v_and_b32_e32 v71, v72, v71
	v_add_u32_e32 v70, v70, v71
	v_or_b32_e32 v72, 63, v0
	s_nop 0
	v_mov_b32_dpp v71, v70 row_bcast:31 row_mask:0xf bank_mask:0xf
	v_cndmask_b32_e32 v71, 0, v71, vcc
	v_add_u32_e32 v70, v70, v71
	v_lshrrev_b32_e32 v71, 6, v0
	v_cmp_eq_u32_e32 vcc, v72, v0
	v_lshlrev_b32_e32 v71, 2, v71
	s_and_saveexec_b64 s[0:1], vcc
	s_cbranch_execz .LBB104_59
; %bb.58:
	ds_write_b32 v71, v70 offset:16384
.LBB104_59:
	s_or_b64 exec, exec, s[0:1]
	v_cmp_gt_u32_e32 vcc, 8, v0
	s_waitcnt lgkmcnt(0)
	s_barrier
	s_and_saveexec_b64 s[0:1], vcc
	s_cbranch_execz .LBB104_61
; %bb.60:
	s_movk_i32 s2, 0xffe4
	v_mad_i32_i24 v72, v0, s2, v68
	ds_read_b32 v73, v72 offset:16384
	v_and_b32_e32 v74, 7, v69
	v_cmp_ne_u32_e32 vcc, 0, v74
	s_waitcnt lgkmcnt(0)
	v_mov_b32_dpp v75, v73 row_shr:1 row_mask:0xf bank_mask:0xf
	v_cndmask_b32_e32 v75, 0, v75, vcc
	v_add_u32_e32 v73, v75, v73
	v_cmp_lt_u32_e32 vcc, 1, v74
	s_nop 0
	v_mov_b32_dpp v75, v73 row_shr:2 row_mask:0xf bank_mask:0xf
	v_cndmask_b32_e32 v75, 0, v75, vcc
	v_add_u32_e32 v73, v73, v75
	v_cmp_lt_u32_e32 vcc, 3, v74
	s_nop 0
	v_mov_b32_dpp v75, v73 row_shr:4 row_mask:0xf bank_mask:0xf
	v_cndmask_b32_e32 v74, 0, v75, vcc
	v_add_u32_e32 v73, v73, v74
	ds_write_b32 v72, v73 offset:16384
.LBB104_61:
	s_or_b64 exec, exec, s[0:1]
	v_cmp_lt_u32_e32 vcc, 63, v0
	v_mov_b32_e32 v73, 0
	v_mov_b32_e32 v72, 0
	s_waitcnt lgkmcnt(0)
	s_barrier
	s_and_saveexec_b64 s[0:1], vcc
	s_cbranch_execz .LBB104_63
; %bb.62:
	ds_read_b32 v72, v71 offset:16380
.LBB104_63:
	s_or_b64 exec, exec, s[0:1]
	v_add_u32_e32 v71, -1, v69
	v_and_b32_e32 v74, 64, v69
	v_cmp_lt_i32_e32 vcc, v71, v74
	v_cndmask_b32_e32 v71, v71, v69, vcc
	s_waitcnt lgkmcnt(0)
	v_add_u32_e32 v70, v72, v70
	v_lshlrev_b32_e32 v71, 2, v71
	ds_bpermute_b32 v70, v71, v70
	ds_read_b32 v71, v73 offset:16412
	ds_read2_b64 v[74:77], v68 offset1:1
	v_cmp_eq_u32_e32 vcc, 0, v69
	ds_read_b32 v78, v68 offset:24
	s_waitcnt lgkmcnt(3)
	v_cndmask_b32_e32 v69, v70, v72, vcc
	ds_read_b64 v[72:73], v68 offset:16
	s_waitcnt lgkmcnt(3)
	v_lshl_add_u32 v70, v71, 16, v69
	s_waitcnt lgkmcnt(2)
	v_add_u32_e32 v71, v70, v74
	v_add_u32_e32 v74, v75, v71
	;; [unrolled: 1-line block ×3, first 2 shown]
	ds_write2_b64 v68, v[70:71], v[74:75] offset1:1
	v_add_u32_e32 v70, v77, v75
	s_waitcnt lgkmcnt(1)
	v_add_u32_e32 v71, v72, v70
	v_add_u32_e32 v72, v73, v71
	v_add_u32_e32 v73, v78, v72
	ds_write2_b64 v68, v[70:71], v[72:73] offset0:2 offset1:3
	s_waitcnt lgkmcnt(0)
	s_barrier
	ds_read_u16 v68, v2
	ds_read_u16 v69, v3
	;; [unrolled: 1-line block ×22, first 2 shown]
	v_cmp_gt_u32_e32 vcc, 16, v0
	v_pk_mov_b32 v[2:3], 0, 0
                                        ; implicit-def: $vgpr11
	s_and_saveexec_b64 s[2:3], vcc
	s_cbranch_execz .LBB104_67
; %bb.64:
	v_lshrrev_b32_e32 v2, 3, v0
	v_lshlrev_b32_e32 v3, 10, v0
	s_movk_i32 s20, 0x1c00
	v_and_or_b32 v2, v3, s20, v2
	v_lshlrev_b32_e32 v2, 1, v2
	ds_read_u16 v2, v2
	v_add_u32_e32 v11, 1, v0
	v_cmp_ne_u32_e64 s[0:1], 16, v11
	v_mov_b32_e32 v3, 0x2c00
	s_and_saveexec_b64 s[18:19], s[0:1]
	s_cbranch_execz .LBB104_66
; %bb.65:
	v_lshlrev_b32_e32 v3, 10, v11
	v_lshrrev_b32_e32 v11, 3, v11
	v_and_or_b32 v3, v3, s20, v11
	v_lshlrev_b32_e32 v3, 1, v3
	ds_read_u16 v3, v3
.LBB104_66:
	s_or_b64 exec, exec, s[18:19]
	s_waitcnt lgkmcnt(0)
	v_and_b32_e32 v2, 0xffff, v2
	s_mov_b32 s0, 0
	v_sub_u32_e32 v11, v3, v2
	v_mov_b32_e32 v3, s0
.LBB104_67:
	s_or_b64 exec, exec, s[2:3]
	s_waitcnt lgkmcnt(14)
	v_add_u32_sdwa v7, v68, v7 dst_sel:DWORD dst_unused:UNUSED_PAD src0_sel:WORD_0 src1_sel:WORD_0
	v_add_u32_sdwa v9, v69, v9 dst_sel:DWORD dst_unused:UNUSED_PAD src0_sel:WORD_0 src1_sel:WORD_0
	;; [unrolled: 1-line block ×8, first 2 shown]
	s_waitcnt lgkmcnt(13)
	v_add_u32_sdwa v25, v48, v25 dst_sel:DWORD dst_unused:UNUSED_PAD src0_sel:WORD_0 src1_sel:WORD_0
	s_waitcnt lgkmcnt(12)
	v_add_u32_sdwa v27, v50, v27 dst_sel:DWORD dst_unused:UNUSED_PAD src0_sel:WORD_0 src1_sel:WORD_0
	;; [unrolled: 2-line block ×14, first 2 shown]
	s_barrier
	ds_write_b8 v7, v1 offset:128
	ds_write_b8 v9, v4 offset:128
	;; [unrolled: 1-line block ×22, first 2 shown]
	s_and_saveexec_b64 s[2:3], vcc
	s_cbranch_execz .LBB104_77
; %bb.68:
	v_lshl_or_b32 v4, s24, 4, v0
	v_mov_b32_e32 v5, 0
	v_lshlrev_b64 v[6:7], 2, v[4:5]
	v_mov_b32_e32 v1, s7
	v_add_co_u32_e64 v6, s[0:1], s6, v6
	v_addc_co_u32_e64 v7, s[0:1], v1, v7, s[0:1]
	v_or_b32_e32 v4, 2.0, v11
	s_mov_b64 s[18:19], 0
	s_brev_b32 s28, 1
	s_mov_b32 s29, s24
	v_mov_b32_e32 v12, 0
	global_store_dword v[6:7], v4, off
                                        ; implicit-def: $sgpr0_sgpr1
	s_branch .LBB104_70
.LBB104_69:                             ;   in Loop: Header=BB104_70 Depth=1
	s_or_b64 exec, exec, s[20:21]
	v_and_b32_e32 v8, 0x3fffffff, v13
	v_add_u32_e32 v12, v8, v12
	v_cmp_eq_u32_e64 s[0:1], s28, v4
	s_and_b64 s[20:21], exec, s[0:1]
	s_or_b64 s[18:19], s[20:21], s[18:19]
	s_andn2_b64 exec, exec, s[18:19]
	s_cbranch_execz .LBB104_76
.LBB104_70:                             ; =>This Loop Header: Depth=1
                                        ;     Child Loop BB104_73 Depth 2
	s_or_b64 s[0:1], s[0:1], exec
	s_cmp_eq_u32 s29, 0
	s_cbranch_scc1 .LBB104_75
; %bb.71:                               ;   in Loop: Header=BB104_70 Depth=1
	s_add_i32 s29, s29, -1
	v_lshl_or_b32 v4, s29, 4, v0
	v_lshlrev_b64 v[8:9], 2, v[4:5]
	v_add_co_u32_e64 v8, s[0:1], s6, v8
	v_addc_co_u32_e64 v9, s[0:1], v1, v9, s[0:1]
	global_load_dword v13, v[8:9], off glc
	s_waitcnt vmcnt(0)
	v_and_b32_e32 v4, -2.0, v13
	v_cmp_eq_u32_e64 s[0:1], 0, v4
	s_and_saveexec_b64 s[20:21], s[0:1]
	s_cbranch_execz .LBB104_69
; %bb.72:                               ;   in Loop: Header=BB104_70 Depth=1
	s_mov_b64 s[22:23], 0
.LBB104_73:                             ;   Parent Loop BB104_70 Depth=1
                                        ; =>  This Inner Loop Header: Depth=2
	global_load_dword v13, v[8:9], off glc
	s_waitcnt vmcnt(0)
	v_and_b32_e32 v4, -2.0, v13
	v_cmp_ne_u32_e64 s[0:1], 0, v4
	s_or_b64 s[22:23], s[0:1], s[22:23]
	s_andn2_b64 exec, exec, s[22:23]
	s_cbranch_execnz .LBB104_73
; %bb.74:                               ;   in Loop: Header=BB104_70 Depth=1
	s_or_b64 exec, exec, s[22:23]
	s_branch .LBB104_69
.LBB104_75:                             ;   in Loop: Header=BB104_70 Depth=1
                                        ; implicit-def: $sgpr29
	s_and_b64 s[20:21], exec, s[0:1]
	s_or_b64 s[18:19], s[20:21], s[18:19]
	s_andn2_b64 exec, exec, s[18:19]
	s_cbranch_execnz .LBB104_70
.LBB104_76:
	s_or_b64 exec, exec, s[18:19]
	v_add_u32_e32 v1, v12, v11
	v_or_b32_e32 v1, 0x80000000, v1
	global_store_dword v[6:7], v1, off
	v_lshlrev_b32_e32 v1, 3, v0
	global_load_dwordx2 v[4:5], v1, s[8:9]
	v_sub_co_u32_e64 v6, s[0:1], v12, v2
	v_subb_co_u32_e64 v7, s[0:1], 0, v3, s[0:1]
	s_waitcnt vmcnt(0)
	v_add_co_u32_e64 v4, s[0:1], v6, v4
	v_addc_co_u32_e64 v5, s[0:1], v7, v5, s[0:1]
	ds_write_b64 v1, v[4:5]
.LBB104_77:
	s_or_b64 exec, exec, s[2:3]
	v_cmp_gt_u32_e64 s[0:1], s26, v0
	s_waitcnt lgkmcnt(0)
	s_barrier
	s_and_saveexec_b64 s[2:3], s[0:1]
	s_cbranch_execz .LBB104_79
; %bb.78:
	ds_read_u8 v1, v0 offset:128
	v_mov_b32_e32 v6, s15
	s_waitcnt lgkmcnt(0)
	v_lshrrev_b32_sdwa v4, s16, v1 dst_sel:DWORD dst_unused:UNUSED_PAD src0_sel:DWORD src1_sel:BYTE_0
	v_and_b32_e32 v4, s27, v4
	v_lshlrev_b32_e32 v4, 3, v4
	ds_read_b64 v[4:5], v4
	v_xor_b32_e32 v1, 0x80, v1
	s_waitcnt lgkmcnt(0)
	v_add_co_u32_e64 v4, s[0:1], s14, v4
	v_addc_co_u32_e64 v5, s[0:1], v6, v5, s[0:1]
	v_add_co_u32_e64 v4, s[0:1], v4, v0
	v_addc_co_u32_e64 v5, s[0:1], 0, v5, s[0:1]
	global_store_byte v[4:5], v1, off
.LBB104_79:
	s_or_b64 exec, exec, s[2:3]
	v_or_b32_e32 v1, 0x200, v0
	v_cmp_gt_u32_e64 s[0:1], s26, v1
	s_and_saveexec_b64 s[2:3], s[0:1]
	s_cbranch_execz .LBB104_81
; %bb.80:
	ds_read_u8 v1, v0 offset:640
	v_mov_b32_e32 v6, s15
	s_waitcnt lgkmcnt(0)
	v_lshrrev_b32_sdwa v4, s16, v1 dst_sel:DWORD dst_unused:UNUSED_PAD src0_sel:DWORD src1_sel:BYTE_0
	v_and_b32_e32 v4, s27, v4
	v_lshlrev_b32_e32 v4, 3, v4
	ds_read_b64 v[4:5], v4
	v_xor_b32_e32 v1, 0x80, v1
	s_waitcnt lgkmcnt(0)
	v_add_co_u32_e64 v4, s[0:1], s14, v4
	v_addc_co_u32_e64 v5, s[0:1], v6, v5, s[0:1]
	v_add_co_u32_e64 v4, s[0:1], v4, v0
	v_addc_co_u32_e64 v5, s[0:1], 0, v5, s[0:1]
	global_store_byte v[4:5], v1, off offset:512
.LBB104_81:
	s_or_b64 exec, exec, s[2:3]
	v_or_b32_e32 v1, 0x400, v0
	v_cmp_gt_u32_e64 s[0:1], s26, v1
	s_and_saveexec_b64 s[2:3], s[0:1]
	s_cbranch_execz .LBB104_83
; %bb.82:
	ds_read_u8 v1, v0 offset:1152
	v_mov_b32_e32 v6, s15
	s_waitcnt lgkmcnt(0)
	v_lshrrev_b32_sdwa v4, s16, v1 dst_sel:DWORD dst_unused:UNUSED_PAD src0_sel:DWORD src1_sel:BYTE_0
	v_and_b32_e32 v4, s27, v4
	v_lshlrev_b32_e32 v4, 3, v4
	ds_read_b64 v[4:5], v4
	v_xor_b32_e32 v1, 0x80, v1
	s_waitcnt lgkmcnt(0)
	v_add_co_u32_e64 v4, s[0:1], s14, v4
	v_addc_co_u32_e64 v5, s[0:1], v6, v5, s[0:1]
	v_add_co_u32_e64 v4, s[0:1], v4, v0
	v_addc_co_u32_e64 v5, s[0:1], 0, v5, s[0:1]
	global_store_byte v[4:5], v1, off offset:1024
.LBB104_83:
	;; [unrolled: 21-line block ×7, first 2 shown]
	s_or_b64 exec, exec, s[2:3]
	v_or_b32_e32 v1, 0x1000, v0
	v_cmp_gt_u32_e64 s[0:1], s26, v1
	s_and_saveexec_b64 s[2:3], s[0:1]
	s_cbranch_execz .LBB104_95
; %bb.94:
	ds_read_u8 v6, v0 offset:4224
	v_mov_b32_e32 v7, s15
	s_waitcnt lgkmcnt(0)
	v_lshrrev_b32_sdwa v4, s16, v6 dst_sel:DWORD dst_unused:UNUSED_PAD src0_sel:DWORD src1_sel:BYTE_0
	v_and_b32_e32 v4, s27, v4
	v_lshlrev_b32_e32 v4, 3, v4
	ds_read_b64 v[4:5], v4
	v_xor_b32_e32 v6, 0x80, v6
	s_waitcnt lgkmcnt(0)
	v_add_co_u32_e64 v4, s[0:1], s14, v4
	v_addc_co_u32_e64 v5, s[0:1], v7, v5, s[0:1]
	v_add_co_u32_e64 v4, s[0:1], v4, v1
	v_addc_co_u32_e64 v5, s[0:1], 0, v5, s[0:1]
	global_store_byte v[4:5], v6, off
.LBB104_95:
	s_or_b64 exec, exec, s[2:3]
	v_or_b32_e32 v1, 0x1200, v0
	v_cmp_gt_u32_e64 s[0:1], s26, v1
	s_and_saveexec_b64 s[2:3], s[0:1]
	s_cbranch_execz .LBB104_97
; %bb.96:
	ds_read_u8 v6, v0 offset:4736
	v_mov_b32_e32 v7, s15
	s_waitcnt lgkmcnt(0)
	v_lshrrev_b32_sdwa v4, s16, v6 dst_sel:DWORD dst_unused:UNUSED_PAD src0_sel:DWORD src1_sel:BYTE_0
	v_and_b32_e32 v4, s27, v4
	v_lshlrev_b32_e32 v4, 3, v4
	ds_read_b64 v[4:5], v4
	v_xor_b32_e32 v6, 0x80, v6
	s_waitcnt lgkmcnt(0)
	v_add_co_u32_e64 v4, s[0:1], s14, v4
	v_addc_co_u32_e64 v5, s[0:1], v7, v5, s[0:1]
	v_add_co_u32_e64 v4, s[0:1], v4, v1
	v_addc_co_u32_e64 v5, s[0:1], 0, v5, s[0:1]
	global_store_byte v[4:5], v6, off
.LBB104_97:
	;; [unrolled: 21-line block ×14, first 2 shown]
	s_or_b64 exec, exec, s[2:3]
	s_load_dword s2, s[4:5], 0x58
	s_mov_b64 s[0:1], 0
	s_mov_b64 s[18:19], 0
                                        ; implicit-def: $vgpr4_vgpr5
	s_waitcnt lgkmcnt(0)
	s_add_i32 s2, s2, -1
	s_cmp_eq_u32 s2, s24
	s_cselect_b64 s[2:3], -1, 0
	s_and_b64 s[2:3], vcc, s[2:3]
	s_and_saveexec_b64 s[20:21], s[2:3]
	s_xor_b64 s[2:3], exec, s[20:21]
; %bb.122:
	v_add_co_u32_e32 v4, vcc, v2, v11
	s_mov_b64 s[18:19], exec
	v_mov_b32_e32 v1, 0
	v_addc_co_u32_e32 v5, vcc, 0, v3, vcc
; %bb.123:
	s_or_b64 exec, exec, s[2:3]
	s_and_b64 vcc, exec, s[0:1]
	s_cbranch_vccnz .LBB104_125
	s_branch .LBB104_158
.LBB104_124:
	s_mov_b64 s[18:19], 0
                                        ; implicit-def: $vgpr4_vgpr5
	s_cbranch_execz .LBB104_158
.LBB104_125:
	s_add_u32 s0, s12, s25
	s_addc_u32 s1, s13, 0
	global_load_ushort v7, v10, s[0:1] offset:20
	global_load_dwordx4 v[2:5], v10, s[0:1]
	global_load_dword v6, v10, s[0:1] offset:16
	v_mov_b32_e32 v9, 8
	s_mov_b32 s12, 0x3020104
	v_lshlrev_b32_e32 v1, 2, v0
	v_mov_b32_e32 v8, 0
	s_mov_b64 s[0:1], -1
	ds_write2st64_b32 v1, v8, v8 offset1:8
	ds_write2st64_b32 v1, v8, v8 offset0:16 offset1:24
	s_waitcnt vmcnt(2)
	v_lshrrev_b32_sdwa v9, v9, v7 dst_sel:BYTE_1 dst_unused:UNUSED_PAD src0_sel:DWORD src1_sel:DWORD
	v_or_b32_sdwa v7, v7, v9 dst_sel:DWORD dst_unused:UNUSED_PAD src0_sel:BYTE_0 src1_sel:DWORD
	s_and_saveexec_b64 s[2:3], s[0:1]
	s_cbranch_execz .LBB104_127
; %bb.126:
	ds_write_b32 v1, v8 offset:8192
.LBB104_127:
	s_or_b64 exec, exec, s[2:3]
	v_and_b32_e32 v7, 0xffff, v7
	s_waitcnt vmcnt(0)
	v_perm_b32 v6, v6, v6, s12
	s_and_saveexec_b64 s[2:3], s[0:1]
	s_cbranch_execz .LBB104_129
; %bb.128:
	v_mov_b32_e32 v8, 0
	ds_write_b32 v1, v8 offset:10240
.LBB104_129:
	s_or_b64 exec, exec, s[2:3]
	v_cmp_gt_u32_e64 s[0:1], 7, 6
	v_cmp_gt_u32_e64 s[12:13], 7, 5
	s_and_saveexec_b64 s[2:3], s[12:13]
	s_cbranch_execz .LBB104_131
; %bb.130:
	v_mov_b32_e32 v8, 0
	ds_write_b32 v1, v8 offset:12288
.LBB104_131:
	s_or_b64 exec, exec, s[2:3]
	s_and_saveexec_b64 s[2:3], s[0:1]
	s_cbranch_execz .LBB104_133
; %bb.132:
	v_mov_b32_e32 v8, 0
	ds_write_b32 v1, v8 offset:14336
.LBB104_133:
	s_or_b64 exec, exec, s[2:3]
	v_xor_b32_e32 v1, 0xffffff80, v2
	s_lshl_b32 s0, -1, s17
	s_not_b32 s17, s0
	v_lshrrev_b32_sdwa v8, s16, v1 dst_sel:DWORD dst_unused:UNUSED_PAD src0_sel:DWORD src1_sel:BYTE_0
	v_and_b32_e32 v8, s17, v8
	v_lshrrev_b32_e32 v9, 3, v8
	v_lshlrev_b32_e32 v8, 9, v8
	s_movk_i32 s0, 0xe00
	v_and_or_b32 v8, v8, s0, v0
	v_lshlrev_b32_e32 v8, 1, v8
	v_add_lshl_u32 v10, v8, v9, 1
	ds_read_u16 v12, v10
	v_lshrrev_b32_e32 v8, 8, v2
	v_xor_b32_e32 v8, 0xffffff80, v8
	s_movk_i32 s1, 0xff80
	v_lshrrev_b64 v[18:19], 24, v[2:3]
	s_waitcnt lgkmcnt(0)
	v_add_u16_e32 v9, 1, v12
	ds_write_b16 v10, v9
	v_lshrrev_b32_sdwa v9, s16, v8 dst_sel:DWORD dst_unused:UNUSED_PAD src0_sel:DWORD src1_sel:BYTE_0
	v_and_b32_e32 v9, s17, v9
	v_lshrrev_b32_e32 v11, 3, v9
	v_lshlrev_b32_e32 v9, 9, v9
	v_and_or_b32 v9, v9, s0, v0
	v_lshlrev_b32_e32 v9, 1, v9
	v_add_lshl_u32 v27, v9, v11, 1
	ds_read_u16 v14, v27
	v_xor_b32_sdwa v9, v2, s1 dst_sel:DWORD dst_unused:UNUSED_PAD src0_sel:WORD_1 src1_sel:DWORD
	v_lshrrev_b64 v[36:37], 24, v[4:5]
	v_lshrrev_b64 v[64:65], 24, v[6:7]
	s_waitcnt lgkmcnt(0)
	v_add_u16_e32 v11, 1, v14
	ds_write_b16 v27, v11
	v_lshrrev_b32_sdwa v11, s16, v9 dst_sel:DWORD dst_unused:UNUSED_PAD src0_sel:DWORD src1_sel:BYTE_0
	v_and_b32_e32 v11, s17, v11
	v_lshrrev_b32_e32 v13, 3, v11
	v_lshlrev_b32_e32 v11, 9, v11
	v_and_or_b32 v11, v11, s0, v0
	v_lshlrev_b32_e32 v11, 1, v11
	v_add_lshl_u32 v30, v11, v13, 1
	ds_read_u16 v16, v30
	v_xor_b32_e32 v11, 0xffffff80, v18
	s_waitcnt lgkmcnt(0)
	v_add_u16_e32 v2, 1, v16
	ds_write_b16 v30, v2
	v_lshrrev_b32_sdwa v2, s16, v11 dst_sel:DWORD dst_unused:UNUSED_PAD src0_sel:DWORD src1_sel:BYTE_0
	v_and_b32_e32 v2, s17, v2
	v_lshrrev_b32_e32 v13, 3, v2
	v_lshlrev_b32_e32 v2, 9, v2
	v_and_or_b32 v2, v2, s0, v0
	v_lshlrev_b32_e32 v2, 1, v2
	v_add_lshl_u32 v2, v2, v13, 1
	ds_read_u16 v18, v2
	v_xor_b32_e32 v13, 0xffffff80, v3
	s_waitcnt lgkmcnt(0)
	v_add_u16_e32 v15, 1, v18
	ds_write_b16 v2, v15
	v_lshrrev_b32_sdwa v15, s16, v13 dst_sel:DWORD dst_unused:UNUSED_PAD src0_sel:DWORD src1_sel:BYTE_0
	v_and_b32_e32 v15, s17, v15
	v_lshrrev_b32_e32 v17, 3, v15
	v_lshlrev_b32_e32 v15, 9, v15
	v_and_or_b32 v15, v15, s0, v0
	v_lshlrev_b32_e32 v15, 1, v15
	v_add_lshl_u32 v35, v15, v17, 1
	ds_read_u16 v20, v35
	v_lshrrev_b32_e32 v15, 8, v3
	v_xor_b32_e32 v15, 0xffffff80, v15
	s_waitcnt lgkmcnt(0)
	v_add_u16_e32 v17, 1, v20
	ds_write_b16 v35, v17
	v_lshrrev_b32_sdwa v17, s16, v15 dst_sel:DWORD dst_unused:UNUSED_PAD src0_sel:DWORD src1_sel:BYTE_0
	v_and_b32_e32 v17, s17, v17
	v_lshrrev_b32_e32 v19, 3, v17
	v_lshlrev_b32_e32 v17, 9, v17
	v_and_or_b32 v17, v17, s0, v0
	v_lshlrev_b32_e32 v17, 1, v17
	v_add_lshl_u32 v38, v17, v19, 1
	ds_read_u16 v22, v38
	v_xor_b32_sdwa v17, v3, s1 dst_sel:DWORD dst_unused:UNUSED_PAD src0_sel:WORD_1 src1_sel:DWORD
	s_waitcnt lgkmcnt(0)
	v_add_u16_e32 v19, 1, v22
	ds_write_b16 v38, v19
	v_lshrrev_b32_sdwa v19, s16, v17 dst_sel:DWORD dst_unused:UNUSED_PAD src0_sel:DWORD src1_sel:BYTE_0
	v_and_b32_e32 v19, s17, v19
	v_lshrrev_b32_e32 v21, 3, v19
	v_lshlrev_b32_e32 v19, 9, v19
	v_and_or_b32 v19, v19, s0, v0
	v_lshlrev_b32_e32 v19, 1, v19
	v_add_lshl_u32 v40, v19, v21, 1
	ds_read_u16 v24, v40
	v_xor_b32_sdwa v19, v3, s1 dst_sel:DWORD dst_unused:UNUSED_PAD src0_sel:BYTE_3 src1_sel:DWORD
	s_waitcnt lgkmcnt(0)
	v_add_u16_e32 v3, 1, v24
	ds_write_b16 v40, v3
	v_lshrrev_b32_sdwa v3, s16, v19 dst_sel:DWORD dst_unused:UNUSED_PAD src0_sel:DWORD src1_sel:BYTE_0
	v_and_b32_e32 v3, s17, v3
	v_lshrrev_b32_e32 v21, 3, v3
	v_lshlrev_b32_e32 v3, 9, v3
	v_and_or_b32 v3, v3, s0, v0
	v_lshlrev_b32_e32 v3, 1, v3
	v_add_lshl_u32 v3, v3, v21, 1
	ds_read_u16 v26, v3
	v_xor_b32_e32 v21, 0xffffff80, v4
	s_waitcnt lgkmcnt(0)
	v_add_u16_e32 v23, 1, v26
	ds_write_b16 v3, v23
	v_lshrrev_b32_sdwa v23, s16, v21 dst_sel:DWORD dst_unused:UNUSED_PAD src0_sel:DWORD src1_sel:BYTE_0
	v_and_b32_e32 v23, s17, v23
	v_lshrrev_b32_e32 v25, 3, v23
	v_lshlrev_b32_e32 v23, 9, v23
	v_and_or_b32 v23, v23, s0, v0
	v_lshlrev_b32_e32 v23, 1, v23
	v_add_lshl_u32 v45, v23, v25, 1
	ds_read_u16 v28, v45
	v_lshrrev_b32_e32 v23, 8, v4
	v_xor_b32_e32 v23, 0xffffff80, v23
	s_waitcnt lgkmcnt(0)
	v_add_u16_e32 v25, 1, v28
	ds_write_b16 v45, v25
	v_lshrrev_b32_sdwa v25, s16, v23 dst_sel:DWORD dst_unused:UNUSED_PAD src0_sel:DWORD src1_sel:BYTE_0
	v_and_b32_e32 v25, s17, v25
	v_lshrrev_b32_e32 v29, 3, v25
	v_lshlrev_b32_e32 v25, 9, v25
	v_and_or_b32 v25, v25, s0, v0
	v_lshlrev_b32_e32 v25, 1, v25
	v_add_lshl_u32 v48, v25, v29, 1
	ds_read_u16 v31, v48
	v_xor_b32_sdwa v25, v4, s1 dst_sel:DWORD dst_unused:UNUSED_PAD src0_sel:WORD_1 src1_sel:DWORD
	v_xor_b32_e32 v4, 0xffffff80, v36
	s_waitcnt lgkmcnt(0)
	v_add_u16_e32 v29, 1, v31
	ds_write_b16 v48, v29
	v_lshrrev_b32_sdwa v29, s16, v25 dst_sel:DWORD dst_unused:UNUSED_PAD src0_sel:DWORD src1_sel:BYTE_0
	v_and_b32_e32 v29, s17, v29
	v_lshrrev_b32_e32 v32, 3, v29
	v_lshlrev_b32_e32 v29, 9, v29
	v_and_or_b32 v29, v29, s0, v0
	v_lshlrev_b32_e32 v29, 1, v29
	v_add_lshl_u32 v50, v29, v32, 1
	ds_read_u16 v33, v50
	s_waitcnt lgkmcnt(0)
	v_add_u16_e32 v29, 1, v33
	ds_write_b16 v50, v29
	v_lshrrev_b32_sdwa v29, s16, v4 dst_sel:DWORD dst_unused:UNUSED_PAD src0_sel:DWORD src1_sel:BYTE_0
	v_and_b32_e32 v29, s17, v29
	v_lshrrev_b32_e32 v32, 3, v29
	v_lshlrev_b32_e32 v29, 9, v29
	v_and_or_b32 v29, v29, s0, v0
	v_lshlrev_b32_e32 v29, 1, v29
	v_add_lshl_u32 v53, v29, v32, 1
	ds_read_u16 v36, v53
	v_xor_b32_e32 v29, 0xffffff80, v5
	s_waitcnt lgkmcnt(0)
	v_add_u16_e32 v32, 1, v36
	ds_write_b16 v53, v32
	v_lshrrev_b32_sdwa v32, s16, v29 dst_sel:DWORD dst_unused:UNUSED_PAD src0_sel:DWORD src1_sel:BYTE_0
	v_and_b32_e32 v32, s17, v32
	v_lshrrev_b32_e32 v34, 3, v32
	v_lshlrev_b32_e32 v32, 9, v32
	v_and_or_b32 v32, v32, s0, v0
	v_lshlrev_b32_e32 v32, 1, v32
	v_add_lshl_u32 v54, v32, v34, 1
	ds_read_u16 v37, v54
	v_lshrrev_b32_e32 v32, 8, v5
	v_xor_b32_e32 v32, 0xffffff80, v32
	s_waitcnt lgkmcnt(0)
	v_add_u16_e32 v34, 1, v37
	ds_write_b16 v54, v34
	v_lshrrev_b32_sdwa v34, s16, v32 dst_sel:DWORD dst_unused:UNUSED_PAD src0_sel:DWORD src1_sel:BYTE_0
	v_and_b32_e32 v34, s17, v34
	v_lshrrev_b32_e32 v39, 3, v34
	v_lshlrev_b32_e32 v34, 9, v34
	v_and_or_b32 v34, v34, s0, v0
	v_lshlrev_b32_e32 v34, 1, v34
	v_add_lshl_u32 v57, v34, v39, 1
	ds_read_u16 v41, v57
	v_xor_b32_sdwa v34, v5, s1 dst_sel:DWORD dst_unused:UNUSED_PAD src0_sel:WORD_1 src1_sel:DWORD
	v_xor_b32_sdwa v5, v5, s1 dst_sel:DWORD dst_unused:UNUSED_PAD src0_sel:BYTE_3 src1_sel:DWORD
	s_waitcnt lgkmcnt(0)
	v_add_u16_e32 v39, 1, v41
	ds_write_b16 v57, v39
	v_lshrrev_b32_sdwa v39, s16, v34 dst_sel:DWORD dst_unused:UNUSED_PAD src0_sel:DWORD src1_sel:BYTE_0
	v_and_b32_e32 v39, s17, v39
	v_lshrrev_b32_e32 v42, 3, v39
	v_lshlrev_b32_e32 v39, 9, v39
	v_and_or_b32 v39, v39, s0, v0
	v_lshlrev_b32_e32 v39, 1, v39
	v_add_lshl_u32 v58, v39, v42, 1
	ds_read_u16 v43, v58
	s_waitcnt lgkmcnt(0)
	v_add_u16_e32 v39, 1, v43
	ds_write_b16 v58, v39
	v_lshrrev_b32_sdwa v39, s16, v5 dst_sel:DWORD dst_unused:UNUSED_PAD src0_sel:DWORD src1_sel:BYTE_0
	v_and_b32_e32 v39, s17, v39
	v_lshrrev_b32_e32 v42, 3, v39
	v_lshlrev_b32_e32 v39, 9, v39
	v_and_or_b32 v39, v39, s0, v0
	v_lshlrev_b32_e32 v39, 1, v39
	v_add_lshl_u32 v60, v39, v42, 1
	ds_read_u16 v46, v60
	v_xor_b32_e32 v39, 0xffffff80, v6
	s_waitcnt lgkmcnt(0)
	v_add_u16_e32 v42, 1, v46
	ds_write_b16 v60, v42
	v_lshrrev_b32_sdwa v42, s16, v39 dst_sel:DWORD dst_unused:UNUSED_PAD src0_sel:DWORD src1_sel:BYTE_0
	v_and_b32_e32 v42, s17, v42
	v_lshrrev_b32_e32 v44, 3, v42
	v_lshlrev_b32_e32 v42, 9, v42
	v_and_or_b32 v42, v42, s0, v0
	v_lshlrev_b32_e32 v42, 1, v42
	v_add_lshl_u32 v61, v42, v44, 1
	ds_read_u16 v47, v61
	v_lshrrev_b32_e32 v42, 8, v6
	v_xor_b32_e32 v42, 0xffffff80, v42
	s_waitcnt lgkmcnt(0)
	v_add_u16_e32 v44, 1, v47
	ds_write_b16 v61, v44
	v_lshrrev_b32_sdwa v44, s16, v42 dst_sel:DWORD dst_unused:UNUSED_PAD src0_sel:DWORD src1_sel:BYTE_0
	v_and_b32_e32 v44, s17, v44
	v_lshrrev_b32_e32 v49, 3, v44
	v_lshlrev_b32_e32 v44, 9, v44
	v_and_or_b32 v44, v44, s0, v0
	v_lshlrev_b32_e32 v44, 1, v44
	v_add_lshl_u32 v62, v44, v49, 1
	ds_read_u16 v51, v62
	v_xor_b32_sdwa v44, v6, s1 dst_sel:DWORD dst_unused:UNUSED_PAD src0_sel:WORD_1 src1_sel:DWORD
	v_xor_b32_e32 v6, 0xffffff80, v64
	s_waitcnt lgkmcnt(0)
	v_add_u16_e32 v49, 1, v51
	ds_write_b16 v62, v49
	v_lshrrev_b32_sdwa v49, s16, v44 dst_sel:DWORD dst_unused:UNUSED_PAD src0_sel:DWORD src1_sel:BYTE_0
	v_and_b32_e32 v49, s17, v49
	v_lshrrev_b32_e32 v52, 3, v49
	v_lshlrev_b32_e32 v49, 9, v49
	v_and_or_b32 v49, v49, s0, v0
	v_lshlrev_b32_e32 v49, 1, v49
	v_add_lshl_u32 v63, v49, v52, 1
	ds_read_u16 v52, v63
	s_waitcnt lgkmcnt(0)
	v_add_u16_e32 v49, 1, v52
	ds_write_b16 v63, v49
	v_lshrrev_b32_sdwa v49, s16, v6 dst_sel:DWORD dst_unused:UNUSED_PAD src0_sel:DWORD src1_sel:BYTE_0
	v_and_b32_e32 v49, s17, v49
	v_lshrrev_b32_e32 v55, 3, v49
	v_lshlrev_b32_e32 v49, 9, v49
	v_and_or_b32 v49, v49, s0, v0
	v_lshlrev_b32_e32 v49, 1, v49
	v_add_lshl_u32 v64, v49, v55, 1
	ds_read_u16 v55, v64
	v_xor_b32_e32 v49, 0xffffff80, v7
	v_lshrrev_b32_e32 v7, 8, v7
	v_xor_b32_e32 v7, 0xffffff80, v7
	s_waitcnt lgkmcnt(0)
	v_add_u16_e32 v56, 1, v55
	ds_write_b16 v64, v56
	v_lshrrev_b32_sdwa v56, s16, v49 dst_sel:DWORD dst_unused:UNUSED_PAD src0_sel:DWORD src1_sel:BYTE_0
	v_and_b32_e32 v56, s17, v56
	v_lshrrev_b32_e32 v59, 3, v56
	v_lshlrev_b32_e32 v56, 9, v56
	v_and_or_b32 v56, v56, s0, v0
	v_lshlrev_b32_e32 v56, 1, v56
	v_add_lshl_u32 v65, v56, v59, 1
	ds_read_u16 v56, v65
	s_waitcnt lgkmcnt(0)
	v_add_u16_e32 v59, 1, v56
	ds_write_b16 v65, v59
	v_lshrrev_b32_sdwa v59, s16, v7 dst_sel:DWORD dst_unused:UNUSED_PAD src0_sel:DWORD src1_sel:BYTE_0
	v_and_b32_e32 v59, s17, v59
	v_lshrrev_b32_e32 v66, 3, v59
	v_lshlrev_b32_e32 v59, 9, v59
	v_and_or_b32 v59, v59, s0, v0
	v_lshlrev_b32_e32 v59, 1, v59
	v_add_lshl_u32 v66, v59, v66, 1
	ds_read_u16 v59, v66
	s_waitcnt lgkmcnt(0)
	v_add_u16_e32 v67, 1, v59
	ds_write_b16 v66, v67
	v_lshlrev_b32_e32 v67, 5, v0
	s_waitcnt lgkmcnt(0)
	s_barrier
	ds_read2_b64 v[68:71], v67 offset1:1
	ds_read2_b64 v[72:75], v67 offset0:2 offset1:3
	s_waitcnt lgkmcnt(1)
	v_add_u32_e32 v68, v69, v68
	v_add3_u32 v68, v68, v70, v71
	s_waitcnt lgkmcnt(0)
	v_add3_u32 v68, v68, v72, v73
	v_add3_u32 v69, v68, v74, v75
	v_mbcnt_lo_u32_b32 v68, -1, 0
	v_mbcnt_hi_u32_b32 v68, -1, v68
	v_and_b32_e32 v70, 15, v68
	v_mov_b32_dpp v71, v69 row_shr:1 row_mask:0xf bank_mask:0xf
	v_cmp_ne_u32_e32 vcc, 0, v70
	v_cndmask_b32_e32 v71, 0, v71, vcc
	v_add_u32_e32 v69, v71, v69
	v_cmp_lt_u32_e32 vcc, 1, v70
	s_nop 0
	v_mov_b32_dpp v71, v69 row_shr:2 row_mask:0xf bank_mask:0xf
	v_cndmask_b32_e32 v71, 0, v71, vcc
	v_add_u32_e32 v69, v69, v71
	v_cmp_lt_u32_e32 vcc, 3, v70
	s_nop 0
	v_mov_b32_dpp v71, v69 row_shr:4 row_mask:0xf bank_mask:0xf
	;; [unrolled: 5-line block ×3, first 2 shown]
	v_cndmask_b32_e32 v70, 0, v71, vcc
	v_add_u32_e32 v69, v69, v70
	v_bfe_i32 v71, v68, 4, 1
	v_cmp_lt_u32_e32 vcc, 31, v68
	v_mov_b32_dpp v70, v69 row_bcast:15 row_mask:0xf bank_mask:0xf
	v_and_b32_e32 v70, v71, v70
	v_add_u32_e32 v69, v69, v70
	v_or_b32_e32 v71, 63, v0
	s_nop 0
	v_mov_b32_dpp v70, v69 row_bcast:31 row_mask:0xf bank_mask:0xf
	v_cndmask_b32_e32 v70, 0, v70, vcc
	v_add_u32_e32 v69, v69, v70
	v_lshrrev_b32_e32 v70, 6, v0
	v_cmp_eq_u32_e32 vcc, v71, v0
	v_lshlrev_b32_e32 v70, 2, v70
	s_and_saveexec_b64 s[0:1], vcc
	s_cbranch_execz .LBB104_135
; %bb.134:
	ds_write_b32 v70, v69 offset:16384
.LBB104_135:
	s_or_b64 exec, exec, s[0:1]
	v_cmp_gt_u32_e32 vcc, 8, v0
	s_waitcnt lgkmcnt(0)
	s_barrier
	s_and_saveexec_b64 s[0:1], vcc
	s_cbranch_execz .LBB104_137
; %bb.136:
	s_movk_i32 s2, 0xffe4
	v_mad_i32_i24 v71, v0, s2, v67
	ds_read_b32 v72, v71 offset:16384
	v_and_b32_e32 v73, 7, v68
	v_cmp_ne_u32_e32 vcc, 0, v73
	s_waitcnt lgkmcnt(0)
	v_mov_b32_dpp v74, v72 row_shr:1 row_mask:0xf bank_mask:0xf
	v_cndmask_b32_e32 v74, 0, v74, vcc
	v_add_u32_e32 v72, v74, v72
	v_cmp_lt_u32_e32 vcc, 1, v73
	s_nop 0
	v_mov_b32_dpp v74, v72 row_shr:2 row_mask:0xf bank_mask:0xf
	v_cndmask_b32_e32 v74, 0, v74, vcc
	v_add_u32_e32 v72, v72, v74
	v_cmp_lt_u32_e32 vcc, 3, v73
	s_nop 0
	v_mov_b32_dpp v74, v72 row_shr:4 row_mask:0xf bank_mask:0xf
	v_cndmask_b32_e32 v73, 0, v74, vcc
	v_add_u32_e32 v72, v72, v73
	ds_write_b32 v71, v72 offset:16384
.LBB104_137:
	s_or_b64 exec, exec, s[0:1]
	v_cmp_lt_u32_e32 vcc, 63, v0
	v_mov_b32_e32 v72, 0
	v_mov_b32_e32 v71, 0
	s_waitcnt lgkmcnt(0)
	s_barrier
	s_and_saveexec_b64 s[0:1], vcc
	s_cbranch_execz .LBB104_139
; %bb.138:
	ds_read_b32 v71, v70 offset:16380
.LBB104_139:
	s_or_b64 exec, exec, s[0:1]
	v_add_u32_e32 v70, -1, v68
	v_and_b32_e32 v73, 64, v68
	v_cmp_lt_i32_e32 vcc, v70, v73
	v_cndmask_b32_e32 v70, v70, v68, vcc
	s_waitcnt lgkmcnt(0)
	v_add_u32_e32 v69, v71, v69
	v_lshlrev_b32_e32 v70, 2, v70
	ds_bpermute_b32 v69, v70, v69
	ds_read_b32 v70, v72 offset:16412
	ds_read2_b64 v[72:75], v67 offset1:1
	v_cmp_eq_u32_e32 vcc, 0, v68
	ds_read_b32 v76, v67 offset:24
	v_cmp_lt_u32_e64 s[0:1], 15, v0
	s_waitcnt lgkmcnt(3)
	v_cndmask_b32_e32 v68, v69, v71, vcc
	s_waitcnt lgkmcnt(2)
	v_lshl_add_u32 v68, v70, 16, v68
	ds_read_b64 v[70:71], v67 offset:16
	s_waitcnt lgkmcnt(2)
	v_add_u32_e32 v69, v68, v72
	v_add_u32_e32 v72, v73, v69
	;; [unrolled: 1-line block ×3, first 2 shown]
	ds_write2_b64 v67, v[68:69], v[72:73] offset1:1
	v_add_u32_e32 v68, v75, v73
	s_waitcnt lgkmcnt(1)
	v_add_u32_e32 v69, v70, v68
	v_add_u32_e32 v70, v71, v69
	;; [unrolled: 1-line block ×3, first 2 shown]
	ds_write2_b64 v67, v[68:69], v[70:71] offset0:2 offset1:3
	s_waitcnt lgkmcnt(0)
	s_barrier
	ds_read_u16 v67, v10
	ds_read_u16 v27, v27
	;; [unrolled: 1-line block ×22, first 2 shown]
	v_cmp_gt_u32_e32 vcc, 16, v0
	v_pk_mov_b32 v[2:3], 0, 0
                                        ; implicit-def: $vgpr10
	s_and_saveexec_b64 s[12:13], vcc
	s_cbranch_execz .LBB104_143
; %bb.140:
	v_lshrrev_b32_e32 v2, 3, v0
	v_lshlrev_b32_e32 v3, 10, v0
	s_movk_i32 s22, 0x1c00
	v_and_or_b32 v2, v3, s22, v2
	v_lshlrev_b32_e32 v2, 1, v2
	ds_read_u16 v2, v2
	v_add_u32_e32 v10, 1, v0
	v_cmp_ne_u32_e64 s[2:3], 16, v10
	v_mov_b32_e32 v3, 0x2c00
	s_and_saveexec_b64 s[20:21], s[2:3]
	s_cbranch_execz .LBB104_142
; %bb.141:
	v_lshlrev_b32_e32 v3, 10, v10
	v_lshrrev_b32_e32 v10, 3, v10
	v_and_or_b32 v3, v3, s22, v10
	v_lshlrev_b32_e32 v3, 1, v3
	ds_read_u16 v3, v3
.LBB104_142:
	s_or_b64 exec, exec, s[20:21]
	s_waitcnt lgkmcnt(0)
	v_and_b32_e32 v2, 0xffff, v2
	s_mov_b32 s2, 0
	v_sub_u32_e32 v10, v3, v2
	v_mov_b32_e32 v3, s2
.LBB104_143:
	s_or_b64 exec, exec, s[12:13]
	s_waitcnt lgkmcnt(14)
	v_add_u32_sdwa v12, v67, v12 dst_sel:DWORD dst_unused:UNUSED_PAD src0_sel:WORD_0 src1_sel:WORD_0
	v_add_u32_sdwa v14, v27, v14 dst_sel:DWORD dst_unused:UNUSED_PAD src0_sel:WORD_0 src1_sel:WORD_0
	;; [unrolled: 1-line block ×8, first 2 shown]
	s_waitcnt lgkmcnt(13)
	v_add_u32_sdwa v27, v45, v28 dst_sel:DWORD dst_unused:UNUSED_PAD src0_sel:WORD_0 src1_sel:WORD_0
	s_waitcnt lgkmcnt(12)
	v_add_u32_sdwa v28, v48, v31 dst_sel:DWORD dst_unused:UNUSED_PAD src0_sel:WORD_0 src1_sel:WORD_0
	;; [unrolled: 2-line block ×14, first 2 shown]
	s_barrier
	ds_write_b8 v12, v1 offset:128
	ds_write_b8 v14, v8 offset:128
	;; [unrolled: 1-line block ×22, first 2 shown]
	s_and_saveexec_b64 s[2:3], s[0:1]
	s_xor_b64 s[0:1], exec, s[2:3]
; %bb.144:
	v_mov_b32_e32 v1, 0
; %bb.145:
	s_andn2_saveexec_b64 s[2:3], s[0:1]
	s_cbranch_execz .LBB104_155
; %bb.146:
	v_lshl_or_b32 v4, s24, 4, v0
	v_mov_b32_e32 v5, 0
	v_lshlrev_b64 v[6:7], 2, v[4:5]
	v_mov_b32_e32 v1, s7
	v_add_co_u32_e64 v6, s[0:1], s6, v6
	v_addc_co_u32_e64 v7, s[0:1], v1, v7, s[0:1]
	v_or_b32_e32 v4, 2.0, v10
	s_mov_b64 s[12:13], 0
	s_brev_b32 s7, 1
	s_mov_b32 s25, s24
	v_mov_b32_e32 v11, 0
	global_store_dword v[6:7], v4, off
                                        ; implicit-def: $sgpr0_sgpr1
	s_branch .LBB104_149
.LBB104_147:                            ;   in Loop: Header=BB104_149 Depth=1
	s_or_b64 exec, exec, s[22:23]
.LBB104_148:                            ;   in Loop: Header=BB104_149 Depth=1
	s_or_b64 exec, exec, s[20:21]
	v_and_b32_e32 v8, 0x3fffffff, v12
	v_add_u32_e32 v11, v8, v11
	v_cmp_eq_u32_e64 s[0:1], s7, v4
	s_and_b64 s[20:21], exec, s[0:1]
	s_or_b64 s[12:13], s[20:21], s[12:13]
	s_andn2_b64 exec, exec, s[12:13]
	s_cbranch_execz .LBB104_154
.LBB104_149:                            ; =>This Loop Header: Depth=1
                                        ;     Child Loop BB104_152 Depth 2
	s_or_b64 s[0:1], s[0:1], exec
	s_cmp_eq_u32 s25, 0
	s_cbranch_scc1 .LBB104_153
; %bb.150:                              ;   in Loop: Header=BB104_149 Depth=1
	s_add_i32 s25, s25, -1
	v_lshl_or_b32 v4, s25, 4, v0
	v_lshlrev_b64 v[8:9], 2, v[4:5]
	v_add_co_u32_e64 v8, s[0:1], s6, v8
	v_addc_co_u32_e64 v9, s[0:1], v1, v9, s[0:1]
	global_load_dword v12, v[8:9], off glc
	s_waitcnt vmcnt(0)
	v_and_b32_e32 v4, -2.0, v12
	v_cmp_eq_u32_e64 s[0:1], 0, v4
	s_and_saveexec_b64 s[20:21], s[0:1]
	s_cbranch_execz .LBB104_148
; %bb.151:                              ;   in Loop: Header=BB104_149 Depth=1
	s_mov_b64 s[22:23], 0
.LBB104_152:                            ;   Parent Loop BB104_149 Depth=1
                                        ; =>  This Inner Loop Header: Depth=2
	global_load_dword v12, v[8:9], off glc
	s_waitcnt vmcnt(0)
	v_and_b32_e32 v4, -2.0, v12
	v_cmp_ne_u32_e64 s[0:1], 0, v4
	s_or_b64 s[22:23], s[0:1], s[22:23]
	s_andn2_b64 exec, exec, s[22:23]
	s_cbranch_execnz .LBB104_152
	s_branch .LBB104_147
.LBB104_153:                            ;   in Loop: Header=BB104_149 Depth=1
                                        ; implicit-def: $sgpr25
	s_and_b64 s[20:21], exec, s[0:1]
	s_or_b64 s[12:13], s[20:21], s[12:13]
	s_andn2_b64 exec, exec, s[12:13]
	s_cbranch_execnz .LBB104_149
.LBB104_154:
	s_or_b64 exec, exec, s[12:13]
	v_add_u32_e32 v1, v11, v10
	v_or_b32_e32 v1, 0x80000000, v1
	global_store_dword v[6:7], v1, off
	v_lshlrev_b32_e32 v6, 3, v0
	global_load_dwordx2 v[4:5], v6, s[8:9]
	v_sub_co_u32_e64 v7, s[0:1], v11, v2
	v_subb_co_u32_e64 v8, s[0:1], 0, v3, s[0:1]
	v_mov_b32_e32 v1, 0
	s_waitcnt vmcnt(0)
	v_add_co_u32_e64 v4, s[0:1], v7, v4
	v_addc_co_u32_e64 v5, s[0:1], v8, v5, s[0:1]
	ds_write_b64 v6, v[4:5]
.LBB104_155:
	s_or_b64 exec, exec, s[2:3]
	s_waitcnt lgkmcnt(0)
	s_barrier
	ds_read_u8 v11, v0 offset:10368
	ds_read_u8 v18, v0 offset:9344
	;; [unrolled: 1-line block ×5, first 2 shown]
	s_waitcnt lgkmcnt(4)
	v_lshrrev_b32_sdwa v4, s16, v11 dst_sel:DWORD dst_unused:UNUSED_PAD src0_sel:DWORD src1_sel:BYTE_0
	v_and_b32_e32 v4, s17, v4
	v_lshlrev_b32_e32 v4, 3, v4
	ds_read_b64 v[6:7], v4
	ds_read_u8 v8, v0 offset:128
	s_waitcnt lgkmcnt(2)
	v_lshrrev_b32_sdwa v4, s16, v21 dst_sel:DWORD dst_unused:UNUSED_PAD src0_sel:DWORD src1_sel:BYTE_0
	v_and_b32_e32 v4, s17, v4
	v_lshlrev_b32_e32 v4, 3, v4
	ds_read_b64 v[4:5], v4
	s_waitcnt lgkmcnt(1)
	v_lshrrev_b32_sdwa v9, s16, v8 dst_sel:DWORD dst_unused:UNUSED_PAD src0_sel:DWORD src1_sel:BYTE_0
	v_and_b32_e32 v9, s17, v9
	v_xor_b32_e32 v22, 0x80, v8
	v_lshlrev_b32_e32 v8, 3, v9
	v_lshrrev_b32_sdwa v9, s16, v20 dst_sel:DWORD dst_unused:UNUSED_PAD src0_sel:DWORD src1_sel:BYTE_0
	v_and_b32_e32 v9, s17, v9
	v_lshlrev_b32_e32 v12, 3, v9
	ds_read_u8 v24, v0 offset:1152
	ds_read_u8 v25, v0 offset:1664
	;; [unrolled: 1-line block ×8, first 2 shown]
	s_waitcnt lgkmcnt(7)
	v_lshrrev_b32_sdwa v9, s16, v24 dst_sel:DWORD dst_unused:UNUSED_PAD src0_sel:DWORD src1_sel:BYTE_0
	v_and_b32_e32 v9, s17, v9
	v_lshlrev_b32_e32 v14, 3, v9
	s_waitcnt lgkmcnt(6)
	v_lshrrev_b32_sdwa v9, s16, v25 dst_sel:DWORD dst_unused:UNUSED_PAD src0_sel:DWORD src1_sel:BYTE_0
	v_and_b32_e32 v9, s17, v9
	v_lshlrev_b32_e32 v16, 3, v9
	ds_read_b64 v[8:9], v8
	ds_read_b64 v[12:13], v12
	;; [unrolled: 1-line block ×4, first 2 shown]
	v_mov_b32_e32 v23, s15
	s_waitcnt lgkmcnt(3)
	v_add_co_u32_e64 v8, s[0:1], s14, v8
	v_addc_co_u32_e64 v9, s[0:1], v23, v9, s[0:1]
	v_add_co_u32_e64 v8, s[0:1], v8, v0
	v_addc_co_u32_e64 v9, s[0:1], v9, v1, s[0:1]
	global_store_byte v[8:9], v22, off
	v_mov_b32_e32 v8, s15
	s_waitcnt lgkmcnt(2)
	v_add_co_u32_e64 v9, s[0:1], s14, v12
	v_addc_co_u32_e64 v12, s[0:1], v8, v13, s[0:1]
	v_add_co_u32_e64 v8, s[0:1], v9, v0
	v_xor_b32_e32 v20, 0x80, v20
	v_addc_co_u32_e64 v9, s[0:1], v12, v1, s[0:1]
	global_store_byte v[8:9], v20, off offset:512
	v_mov_b32_e32 v8, s15
	s_waitcnt lgkmcnt(1)
	v_add_co_u32_e64 v9, s[0:1], s14, v14
	v_addc_co_u32_e64 v13, s[0:1], v8, v15, s[0:1]
	v_add_co_u32_e64 v8, s[0:1], v9, v0
	v_xor_b32_e32 v12, 0x80, v24
	v_addc_co_u32_e64 v9, s[0:1], v13, v1, s[0:1]
	global_store_byte v[8:9], v12, off offset:1024
	;; [unrolled: 8-line block ×3, first 2 shown]
	v_lshrrev_b32_sdwa v9, s16, v27 dst_sel:DWORD dst_unused:UNUSED_PAD src0_sel:DWORD src1_sel:BYTE_0
	v_and_b32_e32 v9, s17, v9
	v_lshlrev_b32_e32 v12, 3, v9
	v_lshrrev_b32_sdwa v9, s16, v28 dst_sel:DWORD dst_unused:UNUSED_PAD src0_sel:DWORD src1_sel:BYTE_0
	v_and_b32_e32 v9, s17, v9
	v_lshrrev_b32_sdwa v8, s16, v26 dst_sel:DWORD dst_unused:UNUSED_PAD src0_sel:DWORD src1_sel:BYTE_0
	v_lshlrev_b32_e32 v14, 3, v9
	v_lshrrev_b32_sdwa v9, s16, v29 dst_sel:DWORD dst_unused:UNUSED_PAD src0_sel:DWORD src1_sel:BYTE_0
	v_and_b32_e32 v8, s17, v8
	v_and_b32_e32 v9, s17, v9
	v_lshlrev_b32_e32 v8, 3, v8
	v_lshlrev_b32_e32 v16, 3, v9
	ds_read_b64 v[8:9], v8
	ds_read_b64 v[12:13], v12
	;; [unrolled: 1-line block ×4, first 2 shown]
	v_mov_b32_e32 v22, s15
	s_waitcnt lgkmcnt(3)
	v_add_co_u32_e64 v8, s[0:1], s14, v8
	v_addc_co_u32_e64 v9, s[0:1], v22, v9, s[0:1]
	v_add_co_u32_e64 v8, s[0:1], v8, v0
	v_xor_b32_e32 v20, 0x80, v26
	v_addc_co_u32_e64 v9, s[0:1], v9, v1, s[0:1]
	global_store_byte v[8:9], v20, off offset:2048
	v_mov_b32_e32 v8, s15
	s_waitcnt lgkmcnt(2)
	v_add_co_u32_e64 v9, s[0:1], s14, v12
	v_addc_co_u32_e64 v12, s[0:1], v8, v13, s[0:1]
	v_add_co_u32_e64 v8, s[0:1], v9, v0
	v_xor_b32_e32 v20, 0x80, v27
	v_addc_co_u32_e64 v9, s[0:1], v12, v1, s[0:1]
	global_store_byte v[8:9], v20, off offset:2560
	;; [unrolled: 8-line block ×4, first 2 shown]
	v_lshrrev_b32_sdwa v9, s16, v31 dst_sel:DWORD dst_unused:UNUSED_PAD src0_sel:DWORD src1_sel:BYTE_0
	v_and_b32_e32 v9, s17, v9
	v_lshrrev_b32_sdwa v8, s16, v30 dst_sel:DWORD dst_unused:UNUSED_PAD src0_sel:DWORD src1_sel:BYTE_0
	v_xor_b32_e32 v22, 0x80, v30
	v_lshlrev_b32_e32 v12, 3, v9
	ds_read_u8 v24, v0 offset:5248
	ds_read_u8 v25, v0 offset:5760
	;; [unrolled: 1-line block ×8, first 2 shown]
	s_waitcnt lgkmcnt(7)
	v_lshrrev_b32_sdwa v9, s16, v24 dst_sel:DWORD dst_unused:UNUSED_PAD src0_sel:DWORD src1_sel:BYTE_0
	v_and_b32_e32 v9, s17, v9
	v_lshlrev_b32_e32 v14, 3, v9
	s_waitcnt lgkmcnt(6)
	v_lshrrev_b32_sdwa v9, s16, v25 dst_sel:DWORD dst_unused:UNUSED_PAD src0_sel:DWORD src1_sel:BYTE_0
	v_and_b32_e32 v8, s17, v8
	v_and_b32_e32 v9, s17, v9
	v_lshlrev_b32_e32 v8, 3, v8
	v_lshlrev_b32_e32 v16, 3, v9
	ds_read_b64 v[8:9], v8
	ds_read_b64 v[12:13], v12
	;; [unrolled: 1-line block ×4, first 2 shown]
	v_or_b32_e32 v20, 0x1000, v0
	s_waitcnt lgkmcnt(3)
	v_add_co_u32_e64 v8, s[0:1], s14, v8
	v_addc_co_u32_e64 v9, s[0:1], v23, v9, s[0:1]
	v_add_co_u32_e64 v8, s[0:1], v8, v20
	v_addc_co_u32_e64 v9, s[0:1], 0, v9, s[0:1]
	global_store_byte v[8:9], v22, off
	v_mov_b32_e32 v9, s15
	s_waitcnt lgkmcnt(2)
	v_add_co_u32_e64 v12, s[0:1], s14, v12
	v_or_b32_e32 v8, 0x1200, v0
	v_addc_co_u32_e64 v9, s[0:1], v9, v13, s[0:1]
	v_add_co_u32_e64 v8, s[0:1], v12, v8
	v_xor_b32_e32 v20, 0x80, v31
	v_addc_co_u32_e64 v9, s[0:1], 0, v9, s[0:1]
	global_store_byte v[8:9], v20, off
	v_mov_b32_e32 v9, s15
	s_waitcnt lgkmcnt(1)
	v_add_co_u32_e64 v13, s[0:1], s14, v14
	v_or_b32_e32 v8, 0x1400, v0
	v_addc_co_u32_e64 v9, s[0:1], v9, v15, s[0:1]
	v_add_co_u32_e64 v8, s[0:1], v13, v8
	v_xor_b32_e32 v12, 0x80, v24
	;; [unrolled: 9-line block ×3, first 2 shown]
	v_addc_co_u32_e64 v9, s[0:1], 0, v9, s[0:1]
	global_store_byte v[8:9], v12, off
	v_lshrrev_b32_sdwa v9, s16, v27 dst_sel:DWORD dst_unused:UNUSED_PAD src0_sel:DWORD src1_sel:BYTE_0
	v_and_b32_e32 v9, s17, v9
	v_lshlrev_b32_e32 v12, 3, v9
	v_lshrrev_b32_sdwa v9, s16, v28 dst_sel:DWORD dst_unused:UNUSED_PAD src0_sel:DWORD src1_sel:BYTE_0
	v_and_b32_e32 v9, s17, v9
	v_lshrrev_b32_sdwa v8, s16, v26 dst_sel:DWORD dst_unused:UNUSED_PAD src0_sel:DWORD src1_sel:BYTE_0
	v_lshlrev_b32_e32 v14, 3, v9
	v_lshrrev_b32_sdwa v9, s16, v29 dst_sel:DWORD dst_unused:UNUSED_PAD src0_sel:DWORD src1_sel:BYTE_0
	v_and_b32_e32 v8, s17, v8
	v_and_b32_e32 v9, s17, v9
	v_lshlrev_b32_e32 v8, 3, v8
	v_lshlrev_b32_e32 v16, 3, v9
	ds_read_b64 v[8:9], v8
	ds_read_b64 v[12:13], v12
	;; [unrolled: 1-line block ×4, first 2 shown]
	v_or_b32_e32 v20, 0x1800, v0
	s_waitcnt lgkmcnt(3)
	v_add_co_u32_e64 v8, s[0:1], s14, v8
	v_addc_co_u32_e64 v9, s[0:1], v23, v9, s[0:1]
	v_add_co_u32_e64 v8, s[0:1], v8, v20
	v_xor_b32_e32 v22, 0x80, v26
	v_addc_co_u32_e64 v9, s[0:1], 0, v9, s[0:1]
	global_store_byte v[8:9], v22, off
	v_mov_b32_e32 v9, s15
	s_waitcnt lgkmcnt(2)
	v_add_co_u32_e64 v12, s[0:1], s14, v12
	v_or_b32_e32 v8, 0x1a00, v0
	v_addc_co_u32_e64 v9, s[0:1], v9, v13, s[0:1]
	v_add_co_u32_e64 v8, s[0:1], v12, v8
	v_xor_b32_e32 v20, 0x80, v27
	v_addc_co_u32_e64 v9, s[0:1], 0, v9, s[0:1]
	global_store_byte v[8:9], v20, off
	v_mov_b32_e32 v9, s15
	s_waitcnt lgkmcnt(1)
	v_add_co_u32_e64 v13, s[0:1], s14, v14
	v_or_b32_e32 v8, 0x1c00, v0
	;; [unrolled: 9-line block ×3, first 2 shown]
	v_addc_co_u32_e64 v9, s[0:1], v9, v17, s[0:1]
	v_add_co_u32_e64 v8, s[0:1], v13, v8
	v_xor_b32_e32 v12, 0x80, v29
	v_addc_co_u32_e64 v9, s[0:1], 0, v9, s[0:1]
	global_store_byte v[8:9], v12, off
	v_lshrrev_b32_sdwa v9, s16, v32 dst_sel:DWORD dst_unused:UNUSED_PAD src0_sel:DWORD src1_sel:BYTE_0
	v_and_b32_e32 v9, s17, v9
	v_lshlrev_b32_e32 v12, 3, v9
	v_lshrrev_b32_sdwa v9, s16, v18 dst_sel:DWORD dst_unused:UNUSED_PAD src0_sel:DWORD src1_sel:BYTE_0
	v_and_b32_e32 v9, s17, v9
	v_lshrrev_b32_sdwa v8, s16, v30 dst_sel:DWORD dst_unused:UNUSED_PAD src0_sel:DWORD src1_sel:BYTE_0
	v_lshlrev_b32_e32 v14, 3, v9
	v_lshrrev_b32_sdwa v9, s16, v19 dst_sel:DWORD dst_unused:UNUSED_PAD src0_sel:DWORD src1_sel:BYTE_0
	v_and_b32_e32 v8, s17, v8
	v_and_b32_e32 v9, s17, v9
	v_lshlrev_b32_e32 v8, 3, v8
	v_lshlrev_b32_e32 v16, 3, v9
	ds_read_b64 v[8:9], v8
	ds_read_b64 v[12:13], v12
	;; [unrolled: 1-line block ×4, first 2 shown]
	v_or_b32_e32 v20, 0x2000, v0
	s_waitcnt lgkmcnt(3)
	v_add_co_u32_e64 v8, s[0:1], s14, v8
	v_addc_co_u32_e64 v9, s[0:1], v23, v9, s[0:1]
	v_add_co_u32_e64 v8, s[0:1], v8, v20
	v_xor_b32_e32 v22, 0x80, v30
	v_addc_co_u32_e64 v9, s[0:1], 0, v9, s[0:1]
	global_store_byte v[8:9], v22, off
	v_mov_b32_e32 v9, s15
	s_waitcnt lgkmcnt(2)
	v_add_co_u32_e64 v12, s[0:1], s14, v12
	v_or_b32_e32 v8, 0x2200, v0
	v_addc_co_u32_e64 v9, s[0:1], v9, v13, s[0:1]
	v_add_co_u32_e64 v8, s[0:1], v12, v8
	v_xor_b32_e32 v20, 0x80, v32
	v_addc_co_u32_e64 v9, s[0:1], 0, v9, s[0:1]
	global_store_byte v[8:9], v20, off
	v_mov_b32_e32 v9, s15
	s_waitcnt lgkmcnt(1)
	v_add_co_u32_e64 v13, s[0:1], s14, v14
	v_or_b32_e32 v8, 0x2400, v0
	;; [unrolled: 9-line block ×3, first 2 shown]
	v_addc_co_u32_e64 v9, s[0:1], v9, v17, s[0:1]
	v_add_co_u32_e64 v8, s[0:1], v13, v8
	v_xor_b32_e32 v12, 0x80, v19
	v_addc_co_u32_e64 v9, s[0:1], 0, v9, s[0:1]
	global_store_byte v[8:9], v12, off
	v_xor_b32_e32 v9, 0x80, v11
	v_mov_b32_e32 v11, s15
	v_add_co_u32_e64 v6, s[0:1], s14, v6
	v_or_b32_e32 v8, 0x2800, v0
	v_addc_co_u32_e64 v7, s[0:1], v11, v7, s[0:1]
	v_add_co_u32_e64 v6, s[0:1], v6, v8
	v_addc_co_u32_e64 v7, s[0:1], 0, v7, s[0:1]
	v_mov_b32_e32 v8, s15
	v_add_co_u32_e64 v4, s[0:1], s14, v4
	global_store_byte v[6:7], v9, off
	v_or_b32_e32 v6, 0x2a00, v0
	v_addc_co_u32_e64 v5, s[0:1], v8, v5, s[0:1]
	v_add_co_u32_e64 v4, s[0:1], v4, v6
	v_xor_b32_e32 v7, 0x80, v21
	v_addc_co_u32_e64 v5, s[0:1], 0, v5, s[0:1]
	global_store_byte v[4:5], v7, off
	s_load_dword s0, s[4:5], 0x58
                                        ; implicit-def: $vgpr4_vgpr5
	s_waitcnt lgkmcnt(0)
	s_add_i32 s0, s0, -1
	s_cmp_eq_u32 s0, s24
	s_cselect_b64 s[0:1], -1, 0
	s_and_b64 s[2:3], vcc, s[0:1]
	s_and_saveexec_b64 s[0:1], s[2:3]
; %bb.156:
	v_add_co_u32_e32 v4, vcc, v2, v10
	v_addc_co_u32_e32 v5, vcc, 0, v3, vcc
	s_or_b64 s[18:19], s[18:19], exec
; %bb.157:
	s_or_b64 exec, exec, s[0:1]
.LBB104_158:
	s_and_saveexec_b64 s[0:1], s[18:19]
	s_cbranch_execnz .LBB104_160
; %bb.159:
	s_endpgm
.LBB104_160:
	v_lshlrev_b32_e32 v2, 3, v0
	ds_read_b64 v[2:3], v2
	v_lshlrev_b64 v[0:1], 3, v[0:1]
	v_mov_b32_e32 v6, s11
	v_add_co_u32_e32 v0, vcc, s10, v0
	v_addc_co_u32_e32 v1, vcc, v6, v1, vcc
	s_waitcnt lgkmcnt(0)
	v_add_co_u32_e32 v2, vcc, v2, v4
	v_addc_co_u32_e32 v3, vcc, v3, v5, vcc
	global_store_dwordx2 v[0:1], v[2:3], off
	s_endpgm
	.section	.rodata,"a",@progbits
	.p2align	6, 0x0
	.amdhsa_kernel _ZN7rocprim17ROCPRIM_400000_NS6detail17trampoline_kernelINS0_14default_configENS1_35radix_sort_onesweep_config_selectorIcNS0_10empty_typeEEEZZNS1_29radix_sort_onesweep_iterationIS3_Lb0EPcS8_PS5_S9_mNS0_19identity_decomposerENS1_16block_id_wrapperIjLb1EEEEE10hipError_tT1_PNSt15iterator_traitsISE_E10value_typeET2_T3_PNSF_ISK_E10value_typeET4_T5_PSP_SQ_PNS1_23onesweep_lookback_stateEbbT6_jjT7_P12ihipStream_tbENKUlT_T0_SE_SJ_E_clIS8_S8_S9_S9_EEDaSX_SY_SE_SJ_EUlSX_E_NS1_11comp_targetILNS1_3genE4ELNS1_11target_archE910ELNS1_3gpuE8ELNS1_3repE0EEENS1_47radix_sort_onesweep_sort_config_static_selectorELNS0_4arch9wavefront6targetE1EEEvSE_
		.amdhsa_group_segment_fixed_size 16424
		.amdhsa_private_segment_fixed_size 0
		.amdhsa_kernarg_size 344
		.amdhsa_user_sgpr_count 6
		.amdhsa_user_sgpr_private_segment_buffer 1
		.amdhsa_user_sgpr_dispatch_ptr 0
		.amdhsa_user_sgpr_queue_ptr 0
		.amdhsa_user_sgpr_kernarg_segment_ptr 1
		.amdhsa_user_sgpr_dispatch_id 0
		.amdhsa_user_sgpr_flat_scratch_init 0
		.amdhsa_user_sgpr_kernarg_preload_length 0
		.amdhsa_user_sgpr_kernarg_preload_offset 0
		.amdhsa_user_sgpr_private_segment_size 0
		.amdhsa_uses_dynamic_stack 0
		.amdhsa_system_sgpr_private_segment_wavefront_offset 0
		.amdhsa_system_sgpr_workgroup_id_x 1
		.amdhsa_system_sgpr_workgroup_id_y 0
		.amdhsa_system_sgpr_workgroup_id_z 0
		.amdhsa_system_sgpr_workgroup_info 0
		.amdhsa_system_vgpr_workitem_id 0
		.amdhsa_next_free_vgpr 79
		.amdhsa_next_free_sgpr 30
		.amdhsa_accum_offset 80
		.amdhsa_reserve_vcc 1
		.amdhsa_reserve_flat_scratch 0
		.amdhsa_float_round_mode_32 0
		.amdhsa_float_round_mode_16_64 0
		.amdhsa_float_denorm_mode_32 3
		.amdhsa_float_denorm_mode_16_64 3
		.amdhsa_dx10_clamp 1
		.amdhsa_ieee_mode 1
		.amdhsa_fp16_overflow 0
		.amdhsa_tg_split 0
		.amdhsa_exception_fp_ieee_invalid_op 0
		.amdhsa_exception_fp_denorm_src 0
		.amdhsa_exception_fp_ieee_div_zero 0
		.amdhsa_exception_fp_ieee_overflow 0
		.amdhsa_exception_fp_ieee_underflow 0
		.amdhsa_exception_fp_ieee_inexact 0
		.amdhsa_exception_int_div_zero 0
	.end_amdhsa_kernel
	.section	.text._ZN7rocprim17ROCPRIM_400000_NS6detail17trampoline_kernelINS0_14default_configENS1_35radix_sort_onesweep_config_selectorIcNS0_10empty_typeEEEZZNS1_29radix_sort_onesweep_iterationIS3_Lb0EPcS8_PS5_S9_mNS0_19identity_decomposerENS1_16block_id_wrapperIjLb1EEEEE10hipError_tT1_PNSt15iterator_traitsISE_E10value_typeET2_T3_PNSF_ISK_E10value_typeET4_T5_PSP_SQ_PNS1_23onesweep_lookback_stateEbbT6_jjT7_P12ihipStream_tbENKUlT_T0_SE_SJ_E_clIS8_S8_S9_S9_EEDaSX_SY_SE_SJ_EUlSX_E_NS1_11comp_targetILNS1_3genE4ELNS1_11target_archE910ELNS1_3gpuE8ELNS1_3repE0EEENS1_47radix_sort_onesweep_sort_config_static_selectorELNS0_4arch9wavefront6targetE1EEEvSE_,"axG",@progbits,_ZN7rocprim17ROCPRIM_400000_NS6detail17trampoline_kernelINS0_14default_configENS1_35radix_sort_onesweep_config_selectorIcNS0_10empty_typeEEEZZNS1_29radix_sort_onesweep_iterationIS3_Lb0EPcS8_PS5_S9_mNS0_19identity_decomposerENS1_16block_id_wrapperIjLb1EEEEE10hipError_tT1_PNSt15iterator_traitsISE_E10value_typeET2_T3_PNSF_ISK_E10value_typeET4_T5_PSP_SQ_PNS1_23onesweep_lookback_stateEbbT6_jjT7_P12ihipStream_tbENKUlT_T0_SE_SJ_E_clIS8_S8_S9_S9_EEDaSX_SY_SE_SJ_EUlSX_E_NS1_11comp_targetILNS1_3genE4ELNS1_11target_archE910ELNS1_3gpuE8ELNS1_3repE0EEENS1_47radix_sort_onesweep_sort_config_static_selectorELNS0_4arch9wavefront6targetE1EEEvSE_,comdat
.Lfunc_end104:
	.size	_ZN7rocprim17ROCPRIM_400000_NS6detail17trampoline_kernelINS0_14default_configENS1_35radix_sort_onesweep_config_selectorIcNS0_10empty_typeEEEZZNS1_29radix_sort_onesweep_iterationIS3_Lb0EPcS8_PS5_S9_mNS0_19identity_decomposerENS1_16block_id_wrapperIjLb1EEEEE10hipError_tT1_PNSt15iterator_traitsISE_E10value_typeET2_T3_PNSF_ISK_E10value_typeET4_T5_PSP_SQ_PNS1_23onesweep_lookback_stateEbbT6_jjT7_P12ihipStream_tbENKUlT_T0_SE_SJ_E_clIS8_S8_S9_S9_EEDaSX_SY_SE_SJ_EUlSX_E_NS1_11comp_targetILNS1_3genE4ELNS1_11target_archE910ELNS1_3gpuE8ELNS1_3repE0EEENS1_47radix_sort_onesweep_sort_config_static_selectorELNS0_4arch9wavefront6targetE1EEEvSE_, .Lfunc_end104-_ZN7rocprim17ROCPRIM_400000_NS6detail17trampoline_kernelINS0_14default_configENS1_35radix_sort_onesweep_config_selectorIcNS0_10empty_typeEEEZZNS1_29radix_sort_onesweep_iterationIS3_Lb0EPcS8_PS5_S9_mNS0_19identity_decomposerENS1_16block_id_wrapperIjLb1EEEEE10hipError_tT1_PNSt15iterator_traitsISE_E10value_typeET2_T3_PNSF_ISK_E10value_typeET4_T5_PSP_SQ_PNS1_23onesweep_lookback_stateEbbT6_jjT7_P12ihipStream_tbENKUlT_T0_SE_SJ_E_clIS8_S8_S9_S9_EEDaSX_SY_SE_SJ_EUlSX_E_NS1_11comp_targetILNS1_3genE4ELNS1_11target_archE910ELNS1_3gpuE8ELNS1_3repE0EEENS1_47radix_sort_onesweep_sort_config_static_selectorELNS0_4arch9wavefront6targetE1EEEvSE_
                                        ; -- End function
	.section	.AMDGPU.csdata,"",@progbits
; Kernel info:
; codeLenInByte = 12872
; NumSgprs: 34
; NumVgprs: 79
; NumAgprs: 0
; TotalNumVgprs: 79
; ScratchSize: 0
; MemoryBound: 0
; FloatMode: 240
; IeeeMode: 1
; LDSByteSize: 16424 bytes/workgroup (compile time only)
; SGPRBlocks: 4
; VGPRBlocks: 9
; NumSGPRsForWavesPerEU: 34
; NumVGPRsForWavesPerEU: 79
; AccumOffset: 80
; Occupancy: 6
; WaveLimiterHint : 0
; COMPUTE_PGM_RSRC2:SCRATCH_EN: 0
; COMPUTE_PGM_RSRC2:USER_SGPR: 6
; COMPUTE_PGM_RSRC2:TRAP_HANDLER: 0
; COMPUTE_PGM_RSRC2:TGID_X_EN: 1
; COMPUTE_PGM_RSRC2:TGID_Y_EN: 0
; COMPUTE_PGM_RSRC2:TGID_Z_EN: 0
; COMPUTE_PGM_RSRC2:TIDIG_COMP_CNT: 0
; COMPUTE_PGM_RSRC3_GFX90A:ACCUM_OFFSET: 19
; COMPUTE_PGM_RSRC3_GFX90A:TG_SPLIT: 0
	.section	.text._ZN7rocprim17ROCPRIM_400000_NS6detail17trampoline_kernelINS0_14default_configENS1_35radix_sort_onesweep_config_selectorIcNS0_10empty_typeEEEZZNS1_29radix_sort_onesweep_iterationIS3_Lb0EPcS8_PS5_S9_mNS0_19identity_decomposerENS1_16block_id_wrapperIjLb1EEEEE10hipError_tT1_PNSt15iterator_traitsISE_E10value_typeET2_T3_PNSF_ISK_E10value_typeET4_T5_PSP_SQ_PNS1_23onesweep_lookback_stateEbbT6_jjT7_P12ihipStream_tbENKUlT_T0_SE_SJ_E_clIS8_S8_S9_S9_EEDaSX_SY_SE_SJ_EUlSX_E_NS1_11comp_targetILNS1_3genE3ELNS1_11target_archE908ELNS1_3gpuE7ELNS1_3repE0EEENS1_47radix_sort_onesweep_sort_config_static_selectorELNS0_4arch9wavefront6targetE1EEEvSE_,"axG",@progbits,_ZN7rocprim17ROCPRIM_400000_NS6detail17trampoline_kernelINS0_14default_configENS1_35radix_sort_onesweep_config_selectorIcNS0_10empty_typeEEEZZNS1_29radix_sort_onesweep_iterationIS3_Lb0EPcS8_PS5_S9_mNS0_19identity_decomposerENS1_16block_id_wrapperIjLb1EEEEE10hipError_tT1_PNSt15iterator_traitsISE_E10value_typeET2_T3_PNSF_ISK_E10value_typeET4_T5_PSP_SQ_PNS1_23onesweep_lookback_stateEbbT6_jjT7_P12ihipStream_tbENKUlT_T0_SE_SJ_E_clIS8_S8_S9_S9_EEDaSX_SY_SE_SJ_EUlSX_E_NS1_11comp_targetILNS1_3genE3ELNS1_11target_archE908ELNS1_3gpuE7ELNS1_3repE0EEENS1_47radix_sort_onesweep_sort_config_static_selectorELNS0_4arch9wavefront6targetE1EEEvSE_,comdat
	.protected	_ZN7rocprim17ROCPRIM_400000_NS6detail17trampoline_kernelINS0_14default_configENS1_35radix_sort_onesweep_config_selectorIcNS0_10empty_typeEEEZZNS1_29radix_sort_onesweep_iterationIS3_Lb0EPcS8_PS5_S9_mNS0_19identity_decomposerENS1_16block_id_wrapperIjLb1EEEEE10hipError_tT1_PNSt15iterator_traitsISE_E10value_typeET2_T3_PNSF_ISK_E10value_typeET4_T5_PSP_SQ_PNS1_23onesweep_lookback_stateEbbT6_jjT7_P12ihipStream_tbENKUlT_T0_SE_SJ_E_clIS8_S8_S9_S9_EEDaSX_SY_SE_SJ_EUlSX_E_NS1_11comp_targetILNS1_3genE3ELNS1_11target_archE908ELNS1_3gpuE7ELNS1_3repE0EEENS1_47radix_sort_onesweep_sort_config_static_selectorELNS0_4arch9wavefront6targetE1EEEvSE_ ; -- Begin function _ZN7rocprim17ROCPRIM_400000_NS6detail17trampoline_kernelINS0_14default_configENS1_35radix_sort_onesweep_config_selectorIcNS0_10empty_typeEEEZZNS1_29radix_sort_onesweep_iterationIS3_Lb0EPcS8_PS5_S9_mNS0_19identity_decomposerENS1_16block_id_wrapperIjLb1EEEEE10hipError_tT1_PNSt15iterator_traitsISE_E10value_typeET2_T3_PNSF_ISK_E10value_typeET4_T5_PSP_SQ_PNS1_23onesweep_lookback_stateEbbT6_jjT7_P12ihipStream_tbENKUlT_T0_SE_SJ_E_clIS8_S8_S9_S9_EEDaSX_SY_SE_SJ_EUlSX_E_NS1_11comp_targetILNS1_3genE3ELNS1_11target_archE908ELNS1_3gpuE7ELNS1_3repE0EEENS1_47radix_sort_onesweep_sort_config_static_selectorELNS0_4arch9wavefront6targetE1EEEvSE_
	.globl	_ZN7rocprim17ROCPRIM_400000_NS6detail17trampoline_kernelINS0_14default_configENS1_35radix_sort_onesweep_config_selectorIcNS0_10empty_typeEEEZZNS1_29radix_sort_onesweep_iterationIS3_Lb0EPcS8_PS5_S9_mNS0_19identity_decomposerENS1_16block_id_wrapperIjLb1EEEEE10hipError_tT1_PNSt15iterator_traitsISE_E10value_typeET2_T3_PNSF_ISK_E10value_typeET4_T5_PSP_SQ_PNS1_23onesweep_lookback_stateEbbT6_jjT7_P12ihipStream_tbENKUlT_T0_SE_SJ_E_clIS8_S8_S9_S9_EEDaSX_SY_SE_SJ_EUlSX_E_NS1_11comp_targetILNS1_3genE3ELNS1_11target_archE908ELNS1_3gpuE7ELNS1_3repE0EEENS1_47radix_sort_onesweep_sort_config_static_selectorELNS0_4arch9wavefront6targetE1EEEvSE_
	.p2align	8
	.type	_ZN7rocprim17ROCPRIM_400000_NS6detail17trampoline_kernelINS0_14default_configENS1_35radix_sort_onesweep_config_selectorIcNS0_10empty_typeEEEZZNS1_29radix_sort_onesweep_iterationIS3_Lb0EPcS8_PS5_S9_mNS0_19identity_decomposerENS1_16block_id_wrapperIjLb1EEEEE10hipError_tT1_PNSt15iterator_traitsISE_E10value_typeET2_T3_PNSF_ISK_E10value_typeET4_T5_PSP_SQ_PNS1_23onesweep_lookback_stateEbbT6_jjT7_P12ihipStream_tbENKUlT_T0_SE_SJ_E_clIS8_S8_S9_S9_EEDaSX_SY_SE_SJ_EUlSX_E_NS1_11comp_targetILNS1_3genE3ELNS1_11target_archE908ELNS1_3gpuE7ELNS1_3repE0EEENS1_47radix_sort_onesweep_sort_config_static_selectorELNS0_4arch9wavefront6targetE1EEEvSE_,@function
_ZN7rocprim17ROCPRIM_400000_NS6detail17trampoline_kernelINS0_14default_configENS1_35radix_sort_onesweep_config_selectorIcNS0_10empty_typeEEEZZNS1_29radix_sort_onesweep_iterationIS3_Lb0EPcS8_PS5_S9_mNS0_19identity_decomposerENS1_16block_id_wrapperIjLb1EEEEE10hipError_tT1_PNSt15iterator_traitsISE_E10value_typeET2_T3_PNSF_ISK_E10value_typeET4_T5_PSP_SQ_PNS1_23onesweep_lookback_stateEbbT6_jjT7_P12ihipStream_tbENKUlT_T0_SE_SJ_E_clIS8_S8_S9_S9_EEDaSX_SY_SE_SJ_EUlSX_E_NS1_11comp_targetILNS1_3genE3ELNS1_11target_archE908ELNS1_3gpuE7ELNS1_3repE0EEENS1_47radix_sort_onesweep_sort_config_static_selectorELNS0_4arch9wavefront6targetE1EEEvSE_: ; @_ZN7rocprim17ROCPRIM_400000_NS6detail17trampoline_kernelINS0_14default_configENS1_35radix_sort_onesweep_config_selectorIcNS0_10empty_typeEEEZZNS1_29radix_sort_onesweep_iterationIS3_Lb0EPcS8_PS5_S9_mNS0_19identity_decomposerENS1_16block_id_wrapperIjLb1EEEEE10hipError_tT1_PNSt15iterator_traitsISE_E10value_typeET2_T3_PNSF_ISK_E10value_typeET4_T5_PSP_SQ_PNS1_23onesweep_lookback_stateEbbT6_jjT7_P12ihipStream_tbENKUlT_T0_SE_SJ_E_clIS8_S8_S9_S9_EEDaSX_SY_SE_SJ_EUlSX_E_NS1_11comp_targetILNS1_3genE3ELNS1_11target_archE908ELNS1_3gpuE7ELNS1_3repE0EEENS1_47radix_sort_onesweep_sort_config_static_selectorELNS0_4arch9wavefront6targetE1EEEvSE_
; %bb.0:
	.section	.rodata,"a",@progbits
	.p2align	6, 0x0
	.amdhsa_kernel _ZN7rocprim17ROCPRIM_400000_NS6detail17trampoline_kernelINS0_14default_configENS1_35radix_sort_onesweep_config_selectorIcNS0_10empty_typeEEEZZNS1_29radix_sort_onesweep_iterationIS3_Lb0EPcS8_PS5_S9_mNS0_19identity_decomposerENS1_16block_id_wrapperIjLb1EEEEE10hipError_tT1_PNSt15iterator_traitsISE_E10value_typeET2_T3_PNSF_ISK_E10value_typeET4_T5_PSP_SQ_PNS1_23onesweep_lookback_stateEbbT6_jjT7_P12ihipStream_tbENKUlT_T0_SE_SJ_E_clIS8_S8_S9_S9_EEDaSX_SY_SE_SJ_EUlSX_E_NS1_11comp_targetILNS1_3genE3ELNS1_11target_archE908ELNS1_3gpuE7ELNS1_3repE0EEENS1_47radix_sort_onesweep_sort_config_static_selectorELNS0_4arch9wavefront6targetE1EEEvSE_
		.amdhsa_group_segment_fixed_size 0
		.amdhsa_private_segment_fixed_size 0
		.amdhsa_kernarg_size 88
		.amdhsa_user_sgpr_count 6
		.amdhsa_user_sgpr_private_segment_buffer 1
		.amdhsa_user_sgpr_dispatch_ptr 0
		.amdhsa_user_sgpr_queue_ptr 0
		.amdhsa_user_sgpr_kernarg_segment_ptr 1
		.amdhsa_user_sgpr_dispatch_id 0
		.amdhsa_user_sgpr_flat_scratch_init 0
		.amdhsa_user_sgpr_kernarg_preload_length 0
		.amdhsa_user_sgpr_kernarg_preload_offset 0
		.amdhsa_user_sgpr_private_segment_size 0
		.amdhsa_uses_dynamic_stack 0
		.amdhsa_system_sgpr_private_segment_wavefront_offset 0
		.amdhsa_system_sgpr_workgroup_id_x 1
		.amdhsa_system_sgpr_workgroup_id_y 0
		.amdhsa_system_sgpr_workgroup_id_z 0
		.amdhsa_system_sgpr_workgroup_info 0
		.amdhsa_system_vgpr_workitem_id 0
		.amdhsa_next_free_vgpr 1
		.amdhsa_next_free_sgpr 0
		.amdhsa_accum_offset 4
		.amdhsa_reserve_vcc 0
		.amdhsa_reserve_flat_scratch 0
		.amdhsa_float_round_mode_32 0
		.amdhsa_float_round_mode_16_64 0
		.amdhsa_float_denorm_mode_32 3
		.amdhsa_float_denorm_mode_16_64 3
		.amdhsa_dx10_clamp 1
		.amdhsa_ieee_mode 1
		.amdhsa_fp16_overflow 0
		.amdhsa_tg_split 0
		.amdhsa_exception_fp_ieee_invalid_op 0
		.amdhsa_exception_fp_denorm_src 0
		.amdhsa_exception_fp_ieee_div_zero 0
		.amdhsa_exception_fp_ieee_overflow 0
		.amdhsa_exception_fp_ieee_underflow 0
		.amdhsa_exception_fp_ieee_inexact 0
		.amdhsa_exception_int_div_zero 0
	.end_amdhsa_kernel
	.section	.text._ZN7rocprim17ROCPRIM_400000_NS6detail17trampoline_kernelINS0_14default_configENS1_35radix_sort_onesweep_config_selectorIcNS0_10empty_typeEEEZZNS1_29radix_sort_onesweep_iterationIS3_Lb0EPcS8_PS5_S9_mNS0_19identity_decomposerENS1_16block_id_wrapperIjLb1EEEEE10hipError_tT1_PNSt15iterator_traitsISE_E10value_typeET2_T3_PNSF_ISK_E10value_typeET4_T5_PSP_SQ_PNS1_23onesweep_lookback_stateEbbT6_jjT7_P12ihipStream_tbENKUlT_T0_SE_SJ_E_clIS8_S8_S9_S9_EEDaSX_SY_SE_SJ_EUlSX_E_NS1_11comp_targetILNS1_3genE3ELNS1_11target_archE908ELNS1_3gpuE7ELNS1_3repE0EEENS1_47radix_sort_onesweep_sort_config_static_selectorELNS0_4arch9wavefront6targetE1EEEvSE_,"axG",@progbits,_ZN7rocprim17ROCPRIM_400000_NS6detail17trampoline_kernelINS0_14default_configENS1_35radix_sort_onesweep_config_selectorIcNS0_10empty_typeEEEZZNS1_29radix_sort_onesweep_iterationIS3_Lb0EPcS8_PS5_S9_mNS0_19identity_decomposerENS1_16block_id_wrapperIjLb1EEEEE10hipError_tT1_PNSt15iterator_traitsISE_E10value_typeET2_T3_PNSF_ISK_E10value_typeET4_T5_PSP_SQ_PNS1_23onesweep_lookback_stateEbbT6_jjT7_P12ihipStream_tbENKUlT_T0_SE_SJ_E_clIS8_S8_S9_S9_EEDaSX_SY_SE_SJ_EUlSX_E_NS1_11comp_targetILNS1_3genE3ELNS1_11target_archE908ELNS1_3gpuE7ELNS1_3repE0EEENS1_47radix_sort_onesweep_sort_config_static_selectorELNS0_4arch9wavefront6targetE1EEEvSE_,comdat
.Lfunc_end105:
	.size	_ZN7rocprim17ROCPRIM_400000_NS6detail17trampoline_kernelINS0_14default_configENS1_35radix_sort_onesweep_config_selectorIcNS0_10empty_typeEEEZZNS1_29radix_sort_onesweep_iterationIS3_Lb0EPcS8_PS5_S9_mNS0_19identity_decomposerENS1_16block_id_wrapperIjLb1EEEEE10hipError_tT1_PNSt15iterator_traitsISE_E10value_typeET2_T3_PNSF_ISK_E10value_typeET4_T5_PSP_SQ_PNS1_23onesweep_lookback_stateEbbT6_jjT7_P12ihipStream_tbENKUlT_T0_SE_SJ_E_clIS8_S8_S9_S9_EEDaSX_SY_SE_SJ_EUlSX_E_NS1_11comp_targetILNS1_3genE3ELNS1_11target_archE908ELNS1_3gpuE7ELNS1_3repE0EEENS1_47radix_sort_onesweep_sort_config_static_selectorELNS0_4arch9wavefront6targetE1EEEvSE_, .Lfunc_end105-_ZN7rocprim17ROCPRIM_400000_NS6detail17trampoline_kernelINS0_14default_configENS1_35radix_sort_onesweep_config_selectorIcNS0_10empty_typeEEEZZNS1_29radix_sort_onesweep_iterationIS3_Lb0EPcS8_PS5_S9_mNS0_19identity_decomposerENS1_16block_id_wrapperIjLb1EEEEE10hipError_tT1_PNSt15iterator_traitsISE_E10value_typeET2_T3_PNSF_ISK_E10value_typeET4_T5_PSP_SQ_PNS1_23onesweep_lookback_stateEbbT6_jjT7_P12ihipStream_tbENKUlT_T0_SE_SJ_E_clIS8_S8_S9_S9_EEDaSX_SY_SE_SJ_EUlSX_E_NS1_11comp_targetILNS1_3genE3ELNS1_11target_archE908ELNS1_3gpuE7ELNS1_3repE0EEENS1_47radix_sort_onesweep_sort_config_static_selectorELNS0_4arch9wavefront6targetE1EEEvSE_
                                        ; -- End function
	.section	.AMDGPU.csdata,"",@progbits
; Kernel info:
; codeLenInByte = 0
; NumSgprs: 4
; NumVgprs: 0
; NumAgprs: 0
; TotalNumVgprs: 0
; ScratchSize: 0
; MemoryBound: 0
; FloatMode: 240
; IeeeMode: 1
; LDSByteSize: 0 bytes/workgroup (compile time only)
; SGPRBlocks: 0
; VGPRBlocks: 0
; NumSGPRsForWavesPerEU: 4
; NumVGPRsForWavesPerEU: 1
; AccumOffset: 4
; Occupancy: 8
; WaveLimiterHint : 0
; COMPUTE_PGM_RSRC2:SCRATCH_EN: 0
; COMPUTE_PGM_RSRC2:USER_SGPR: 6
; COMPUTE_PGM_RSRC2:TRAP_HANDLER: 0
; COMPUTE_PGM_RSRC2:TGID_X_EN: 1
; COMPUTE_PGM_RSRC2:TGID_Y_EN: 0
; COMPUTE_PGM_RSRC2:TGID_Z_EN: 0
; COMPUTE_PGM_RSRC2:TIDIG_COMP_CNT: 0
; COMPUTE_PGM_RSRC3_GFX90A:ACCUM_OFFSET: 0
; COMPUTE_PGM_RSRC3_GFX90A:TG_SPLIT: 0
	.section	.text._ZN7rocprim17ROCPRIM_400000_NS6detail17trampoline_kernelINS0_14default_configENS1_35radix_sort_onesweep_config_selectorIcNS0_10empty_typeEEEZZNS1_29radix_sort_onesweep_iterationIS3_Lb0EPcS8_PS5_S9_mNS0_19identity_decomposerENS1_16block_id_wrapperIjLb1EEEEE10hipError_tT1_PNSt15iterator_traitsISE_E10value_typeET2_T3_PNSF_ISK_E10value_typeET4_T5_PSP_SQ_PNS1_23onesweep_lookback_stateEbbT6_jjT7_P12ihipStream_tbENKUlT_T0_SE_SJ_E_clIS8_S8_S9_S9_EEDaSX_SY_SE_SJ_EUlSX_E_NS1_11comp_targetILNS1_3genE10ELNS1_11target_archE1201ELNS1_3gpuE5ELNS1_3repE0EEENS1_47radix_sort_onesweep_sort_config_static_selectorELNS0_4arch9wavefront6targetE1EEEvSE_,"axG",@progbits,_ZN7rocprim17ROCPRIM_400000_NS6detail17trampoline_kernelINS0_14default_configENS1_35radix_sort_onesweep_config_selectorIcNS0_10empty_typeEEEZZNS1_29radix_sort_onesweep_iterationIS3_Lb0EPcS8_PS5_S9_mNS0_19identity_decomposerENS1_16block_id_wrapperIjLb1EEEEE10hipError_tT1_PNSt15iterator_traitsISE_E10value_typeET2_T3_PNSF_ISK_E10value_typeET4_T5_PSP_SQ_PNS1_23onesweep_lookback_stateEbbT6_jjT7_P12ihipStream_tbENKUlT_T0_SE_SJ_E_clIS8_S8_S9_S9_EEDaSX_SY_SE_SJ_EUlSX_E_NS1_11comp_targetILNS1_3genE10ELNS1_11target_archE1201ELNS1_3gpuE5ELNS1_3repE0EEENS1_47radix_sort_onesweep_sort_config_static_selectorELNS0_4arch9wavefront6targetE1EEEvSE_,comdat
	.protected	_ZN7rocprim17ROCPRIM_400000_NS6detail17trampoline_kernelINS0_14default_configENS1_35radix_sort_onesweep_config_selectorIcNS0_10empty_typeEEEZZNS1_29radix_sort_onesweep_iterationIS3_Lb0EPcS8_PS5_S9_mNS0_19identity_decomposerENS1_16block_id_wrapperIjLb1EEEEE10hipError_tT1_PNSt15iterator_traitsISE_E10value_typeET2_T3_PNSF_ISK_E10value_typeET4_T5_PSP_SQ_PNS1_23onesweep_lookback_stateEbbT6_jjT7_P12ihipStream_tbENKUlT_T0_SE_SJ_E_clIS8_S8_S9_S9_EEDaSX_SY_SE_SJ_EUlSX_E_NS1_11comp_targetILNS1_3genE10ELNS1_11target_archE1201ELNS1_3gpuE5ELNS1_3repE0EEENS1_47radix_sort_onesweep_sort_config_static_selectorELNS0_4arch9wavefront6targetE1EEEvSE_ ; -- Begin function _ZN7rocprim17ROCPRIM_400000_NS6detail17trampoline_kernelINS0_14default_configENS1_35radix_sort_onesweep_config_selectorIcNS0_10empty_typeEEEZZNS1_29radix_sort_onesweep_iterationIS3_Lb0EPcS8_PS5_S9_mNS0_19identity_decomposerENS1_16block_id_wrapperIjLb1EEEEE10hipError_tT1_PNSt15iterator_traitsISE_E10value_typeET2_T3_PNSF_ISK_E10value_typeET4_T5_PSP_SQ_PNS1_23onesweep_lookback_stateEbbT6_jjT7_P12ihipStream_tbENKUlT_T0_SE_SJ_E_clIS8_S8_S9_S9_EEDaSX_SY_SE_SJ_EUlSX_E_NS1_11comp_targetILNS1_3genE10ELNS1_11target_archE1201ELNS1_3gpuE5ELNS1_3repE0EEENS1_47radix_sort_onesweep_sort_config_static_selectorELNS0_4arch9wavefront6targetE1EEEvSE_
	.globl	_ZN7rocprim17ROCPRIM_400000_NS6detail17trampoline_kernelINS0_14default_configENS1_35radix_sort_onesweep_config_selectorIcNS0_10empty_typeEEEZZNS1_29radix_sort_onesweep_iterationIS3_Lb0EPcS8_PS5_S9_mNS0_19identity_decomposerENS1_16block_id_wrapperIjLb1EEEEE10hipError_tT1_PNSt15iterator_traitsISE_E10value_typeET2_T3_PNSF_ISK_E10value_typeET4_T5_PSP_SQ_PNS1_23onesweep_lookback_stateEbbT6_jjT7_P12ihipStream_tbENKUlT_T0_SE_SJ_E_clIS8_S8_S9_S9_EEDaSX_SY_SE_SJ_EUlSX_E_NS1_11comp_targetILNS1_3genE10ELNS1_11target_archE1201ELNS1_3gpuE5ELNS1_3repE0EEENS1_47radix_sort_onesweep_sort_config_static_selectorELNS0_4arch9wavefront6targetE1EEEvSE_
	.p2align	8
	.type	_ZN7rocprim17ROCPRIM_400000_NS6detail17trampoline_kernelINS0_14default_configENS1_35radix_sort_onesweep_config_selectorIcNS0_10empty_typeEEEZZNS1_29radix_sort_onesweep_iterationIS3_Lb0EPcS8_PS5_S9_mNS0_19identity_decomposerENS1_16block_id_wrapperIjLb1EEEEE10hipError_tT1_PNSt15iterator_traitsISE_E10value_typeET2_T3_PNSF_ISK_E10value_typeET4_T5_PSP_SQ_PNS1_23onesweep_lookback_stateEbbT6_jjT7_P12ihipStream_tbENKUlT_T0_SE_SJ_E_clIS8_S8_S9_S9_EEDaSX_SY_SE_SJ_EUlSX_E_NS1_11comp_targetILNS1_3genE10ELNS1_11target_archE1201ELNS1_3gpuE5ELNS1_3repE0EEENS1_47radix_sort_onesweep_sort_config_static_selectorELNS0_4arch9wavefront6targetE1EEEvSE_,@function
_ZN7rocprim17ROCPRIM_400000_NS6detail17trampoline_kernelINS0_14default_configENS1_35radix_sort_onesweep_config_selectorIcNS0_10empty_typeEEEZZNS1_29radix_sort_onesweep_iterationIS3_Lb0EPcS8_PS5_S9_mNS0_19identity_decomposerENS1_16block_id_wrapperIjLb1EEEEE10hipError_tT1_PNSt15iterator_traitsISE_E10value_typeET2_T3_PNSF_ISK_E10value_typeET4_T5_PSP_SQ_PNS1_23onesweep_lookback_stateEbbT6_jjT7_P12ihipStream_tbENKUlT_T0_SE_SJ_E_clIS8_S8_S9_S9_EEDaSX_SY_SE_SJ_EUlSX_E_NS1_11comp_targetILNS1_3genE10ELNS1_11target_archE1201ELNS1_3gpuE5ELNS1_3repE0EEENS1_47radix_sort_onesweep_sort_config_static_selectorELNS0_4arch9wavefront6targetE1EEEvSE_: ; @_ZN7rocprim17ROCPRIM_400000_NS6detail17trampoline_kernelINS0_14default_configENS1_35radix_sort_onesweep_config_selectorIcNS0_10empty_typeEEEZZNS1_29radix_sort_onesweep_iterationIS3_Lb0EPcS8_PS5_S9_mNS0_19identity_decomposerENS1_16block_id_wrapperIjLb1EEEEE10hipError_tT1_PNSt15iterator_traitsISE_E10value_typeET2_T3_PNSF_ISK_E10value_typeET4_T5_PSP_SQ_PNS1_23onesweep_lookback_stateEbbT6_jjT7_P12ihipStream_tbENKUlT_T0_SE_SJ_E_clIS8_S8_S9_S9_EEDaSX_SY_SE_SJ_EUlSX_E_NS1_11comp_targetILNS1_3genE10ELNS1_11target_archE1201ELNS1_3gpuE5ELNS1_3repE0EEENS1_47radix_sort_onesweep_sort_config_static_selectorELNS0_4arch9wavefront6targetE1EEEvSE_
; %bb.0:
	.section	.rodata,"a",@progbits
	.p2align	6, 0x0
	.amdhsa_kernel _ZN7rocprim17ROCPRIM_400000_NS6detail17trampoline_kernelINS0_14default_configENS1_35radix_sort_onesweep_config_selectorIcNS0_10empty_typeEEEZZNS1_29radix_sort_onesweep_iterationIS3_Lb0EPcS8_PS5_S9_mNS0_19identity_decomposerENS1_16block_id_wrapperIjLb1EEEEE10hipError_tT1_PNSt15iterator_traitsISE_E10value_typeET2_T3_PNSF_ISK_E10value_typeET4_T5_PSP_SQ_PNS1_23onesweep_lookback_stateEbbT6_jjT7_P12ihipStream_tbENKUlT_T0_SE_SJ_E_clIS8_S8_S9_S9_EEDaSX_SY_SE_SJ_EUlSX_E_NS1_11comp_targetILNS1_3genE10ELNS1_11target_archE1201ELNS1_3gpuE5ELNS1_3repE0EEENS1_47radix_sort_onesweep_sort_config_static_selectorELNS0_4arch9wavefront6targetE1EEEvSE_
		.amdhsa_group_segment_fixed_size 0
		.amdhsa_private_segment_fixed_size 0
		.amdhsa_kernarg_size 88
		.amdhsa_user_sgpr_count 6
		.amdhsa_user_sgpr_private_segment_buffer 1
		.amdhsa_user_sgpr_dispatch_ptr 0
		.amdhsa_user_sgpr_queue_ptr 0
		.amdhsa_user_sgpr_kernarg_segment_ptr 1
		.amdhsa_user_sgpr_dispatch_id 0
		.amdhsa_user_sgpr_flat_scratch_init 0
		.amdhsa_user_sgpr_kernarg_preload_length 0
		.amdhsa_user_sgpr_kernarg_preload_offset 0
		.amdhsa_user_sgpr_private_segment_size 0
		.amdhsa_uses_dynamic_stack 0
		.amdhsa_system_sgpr_private_segment_wavefront_offset 0
		.amdhsa_system_sgpr_workgroup_id_x 1
		.amdhsa_system_sgpr_workgroup_id_y 0
		.amdhsa_system_sgpr_workgroup_id_z 0
		.amdhsa_system_sgpr_workgroup_info 0
		.amdhsa_system_vgpr_workitem_id 0
		.amdhsa_next_free_vgpr 1
		.amdhsa_next_free_sgpr 0
		.amdhsa_accum_offset 4
		.amdhsa_reserve_vcc 0
		.amdhsa_reserve_flat_scratch 0
		.amdhsa_float_round_mode_32 0
		.amdhsa_float_round_mode_16_64 0
		.amdhsa_float_denorm_mode_32 3
		.amdhsa_float_denorm_mode_16_64 3
		.amdhsa_dx10_clamp 1
		.amdhsa_ieee_mode 1
		.amdhsa_fp16_overflow 0
		.amdhsa_tg_split 0
		.amdhsa_exception_fp_ieee_invalid_op 0
		.amdhsa_exception_fp_denorm_src 0
		.amdhsa_exception_fp_ieee_div_zero 0
		.amdhsa_exception_fp_ieee_overflow 0
		.amdhsa_exception_fp_ieee_underflow 0
		.amdhsa_exception_fp_ieee_inexact 0
		.amdhsa_exception_int_div_zero 0
	.end_amdhsa_kernel
	.section	.text._ZN7rocprim17ROCPRIM_400000_NS6detail17trampoline_kernelINS0_14default_configENS1_35radix_sort_onesweep_config_selectorIcNS0_10empty_typeEEEZZNS1_29radix_sort_onesweep_iterationIS3_Lb0EPcS8_PS5_S9_mNS0_19identity_decomposerENS1_16block_id_wrapperIjLb1EEEEE10hipError_tT1_PNSt15iterator_traitsISE_E10value_typeET2_T3_PNSF_ISK_E10value_typeET4_T5_PSP_SQ_PNS1_23onesweep_lookback_stateEbbT6_jjT7_P12ihipStream_tbENKUlT_T0_SE_SJ_E_clIS8_S8_S9_S9_EEDaSX_SY_SE_SJ_EUlSX_E_NS1_11comp_targetILNS1_3genE10ELNS1_11target_archE1201ELNS1_3gpuE5ELNS1_3repE0EEENS1_47radix_sort_onesweep_sort_config_static_selectorELNS0_4arch9wavefront6targetE1EEEvSE_,"axG",@progbits,_ZN7rocprim17ROCPRIM_400000_NS6detail17trampoline_kernelINS0_14default_configENS1_35radix_sort_onesweep_config_selectorIcNS0_10empty_typeEEEZZNS1_29radix_sort_onesweep_iterationIS3_Lb0EPcS8_PS5_S9_mNS0_19identity_decomposerENS1_16block_id_wrapperIjLb1EEEEE10hipError_tT1_PNSt15iterator_traitsISE_E10value_typeET2_T3_PNSF_ISK_E10value_typeET4_T5_PSP_SQ_PNS1_23onesweep_lookback_stateEbbT6_jjT7_P12ihipStream_tbENKUlT_T0_SE_SJ_E_clIS8_S8_S9_S9_EEDaSX_SY_SE_SJ_EUlSX_E_NS1_11comp_targetILNS1_3genE10ELNS1_11target_archE1201ELNS1_3gpuE5ELNS1_3repE0EEENS1_47radix_sort_onesweep_sort_config_static_selectorELNS0_4arch9wavefront6targetE1EEEvSE_,comdat
.Lfunc_end106:
	.size	_ZN7rocprim17ROCPRIM_400000_NS6detail17trampoline_kernelINS0_14default_configENS1_35radix_sort_onesweep_config_selectorIcNS0_10empty_typeEEEZZNS1_29radix_sort_onesweep_iterationIS3_Lb0EPcS8_PS5_S9_mNS0_19identity_decomposerENS1_16block_id_wrapperIjLb1EEEEE10hipError_tT1_PNSt15iterator_traitsISE_E10value_typeET2_T3_PNSF_ISK_E10value_typeET4_T5_PSP_SQ_PNS1_23onesweep_lookback_stateEbbT6_jjT7_P12ihipStream_tbENKUlT_T0_SE_SJ_E_clIS8_S8_S9_S9_EEDaSX_SY_SE_SJ_EUlSX_E_NS1_11comp_targetILNS1_3genE10ELNS1_11target_archE1201ELNS1_3gpuE5ELNS1_3repE0EEENS1_47radix_sort_onesweep_sort_config_static_selectorELNS0_4arch9wavefront6targetE1EEEvSE_, .Lfunc_end106-_ZN7rocprim17ROCPRIM_400000_NS6detail17trampoline_kernelINS0_14default_configENS1_35radix_sort_onesweep_config_selectorIcNS0_10empty_typeEEEZZNS1_29radix_sort_onesweep_iterationIS3_Lb0EPcS8_PS5_S9_mNS0_19identity_decomposerENS1_16block_id_wrapperIjLb1EEEEE10hipError_tT1_PNSt15iterator_traitsISE_E10value_typeET2_T3_PNSF_ISK_E10value_typeET4_T5_PSP_SQ_PNS1_23onesweep_lookback_stateEbbT6_jjT7_P12ihipStream_tbENKUlT_T0_SE_SJ_E_clIS8_S8_S9_S9_EEDaSX_SY_SE_SJ_EUlSX_E_NS1_11comp_targetILNS1_3genE10ELNS1_11target_archE1201ELNS1_3gpuE5ELNS1_3repE0EEENS1_47radix_sort_onesweep_sort_config_static_selectorELNS0_4arch9wavefront6targetE1EEEvSE_
                                        ; -- End function
	.section	.AMDGPU.csdata,"",@progbits
; Kernel info:
; codeLenInByte = 0
; NumSgprs: 4
; NumVgprs: 0
; NumAgprs: 0
; TotalNumVgprs: 0
; ScratchSize: 0
; MemoryBound: 0
; FloatMode: 240
; IeeeMode: 1
; LDSByteSize: 0 bytes/workgroup (compile time only)
; SGPRBlocks: 0
; VGPRBlocks: 0
; NumSGPRsForWavesPerEU: 4
; NumVGPRsForWavesPerEU: 1
; AccumOffset: 4
; Occupancy: 8
; WaveLimiterHint : 0
; COMPUTE_PGM_RSRC2:SCRATCH_EN: 0
; COMPUTE_PGM_RSRC2:USER_SGPR: 6
; COMPUTE_PGM_RSRC2:TRAP_HANDLER: 0
; COMPUTE_PGM_RSRC2:TGID_X_EN: 1
; COMPUTE_PGM_RSRC2:TGID_Y_EN: 0
; COMPUTE_PGM_RSRC2:TGID_Z_EN: 0
; COMPUTE_PGM_RSRC2:TIDIG_COMP_CNT: 0
; COMPUTE_PGM_RSRC3_GFX90A:ACCUM_OFFSET: 0
; COMPUTE_PGM_RSRC3_GFX90A:TG_SPLIT: 0
	.section	.text._ZN7rocprim17ROCPRIM_400000_NS6detail17trampoline_kernelINS0_14default_configENS1_35radix_sort_onesweep_config_selectorIcNS0_10empty_typeEEEZZNS1_29radix_sort_onesweep_iterationIS3_Lb0EPcS8_PS5_S9_mNS0_19identity_decomposerENS1_16block_id_wrapperIjLb1EEEEE10hipError_tT1_PNSt15iterator_traitsISE_E10value_typeET2_T3_PNSF_ISK_E10value_typeET4_T5_PSP_SQ_PNS1_23onesweep_lookback_stateEbbT6_jjT7_P12ihipStream_tbENKUlT_T0_SE_SJ_E_clIS8_S8_S9_S9_EEDaSX_SY_SE_SJ_EUlSX_E_NS1_11comp_targetILNS1_3genE9ELNS1_11target_archE1100ELNS1_3gpuE3ELNS1_3repE0EEENS1_47radix_sort_onesweep_sort_config_static_selectorELNS0_4arch9wavefront6targetE1EEEvSE_,"axG",@progbits,_ZN7rocprim17ROCPRIM_400000_NS6detail17trampoline_kernelINS0_14default_configENS1_35radix_sort_onesweep_config_selectorIcNS0_10empty_typeEEEZZNS1_29radix_sort_onesweep_iterationIS3_Lb0EPcS8_PS5_S9_mNS0_19identity_decomposerENS1_16block_id_wrapperIjLb1EEEEE10hipError_tT1_PNSt15iterator_traitsISE_E10value_typeET2_T3_PNSF_ISK_E10value_typeET4_T5_PSP_SQ_PNS1_23onesweep_lookback_stateEbbT6_jjT7_P12ihipStream_tbENKUlT_T0_SE_SJ_E_clIS8_S8_S9_S9_EEDaSX_SY_SE_SJ_EUlSX_E_NS1_11comp_targetILNS1_3genE9ELNS1_11target_archE1100ELNS1_3gpuE3ELNS1_3repE0EEENS1_47radix_sort_onesweep_sort_config_static_selectorELNS0_4arch9wavefront6targetE1EEEvSE_,comdat
	.protected	_ZN7rocprim17ROCPRIM_400000_NS6detail17trampoline_kernelINS0_14default_configENS1_35radix_sort_onesweep_config_selectorIcNS0_10empty_typeEEEZZNS1_29radix_sort_onesweep_iterationIS3_Lb0EPcS8_PS5_S9_mNS0_19identity_decomposerENS1_16block_id_wrapperIjLb1EEEEE10hipError_tT1_PNSt15iterator_traitsISE_E10value_typeET2_T3_PNSF_ISK_E10value_typeET4_T5_PSP_SQ_PNS1_23onesweep_lookback_stateEbbT6_jjT7_P12ihipStream_tbENKUlT_T0_SE_SJ_E_clIS8_S8_S9_S9_EEDaSX_SY_SE_SJ_EUlSX_E_NS1_11comp_targetILNS1_3genE9ELNS1_11target_archE1100ELNS1_3gpuE3ELNS1_3repE0EEENS1_47radix_sort_onesweep_sort_config_static_selectorELNS0_4arch9wavefront6targetE1EEEvSE_ ; -- Begin function _ZN7rocprim17ROCPRIM_400000_NS6detail17trampoline_kernelINS0_14default_configENS1_35radix_sort_onesweep_config_selectorIcNS0_10empty_typeEEEZZNS1_29radix_sort_onesweep_iterationIS3_Lb0EPcS8_PS5_S9_mNS0_19identity_decomposerENS1_16block_id_wrapperIjLb1EEEEE10hipError_tT1_PNSt15iterator_traitsISE_E10value_typeET2_T3_PNSF_ISK_E10value_typeET4_T5_PSP_SQ_PNS1_23onesweep_lookback_stateEbbT6_jjT7_P12ihipStream_tbENKUlT_T0_SE_SJ_E_clIS8_S8_S9_S9_EEDaSX_SY_SE_SJ_EUlSX_E_NS1_11comp_targetILNS1_3genE9ELNS1_11target_archE1100ELNS1_3gpuE3ELNS1_3repE0EEENS1_47radix_sort_onesweep_sort_config_static_selectorELNS0_4arch9wavefront6targetE1EEEvSE_
	.globl	_ZN7rocprim17ROCPRIM_400000_NS6detail17trampoline_kernelINS0_14default_configENS1_35radix_sort_onesweep_config_selectorIcNS0_10empty_typeEEEZZNS1_29radix_sort_onesweep_iterationIS3_Lb0EPcS8_PS5_S9_mNS0_19identity_decomposerENS1_16block_id_wrapperIjLb1EEEEE10hipError_tT1_PNSt15iterator_traitsISE_E10value_typeET2_T3_PNSF_ISK_E10value_typeET4_T5_PSP_SQ_PNS1_23onesweep_lookback_stateEbbT6_jjT7_P12ihipStream_tbENKUlT_T0_SE_SJ_E_clIS8_S8_S9_S9_EEDaSX_SY_SE_SJ_EUlSX_E_NS1_11comp_targetILNS1_3genE9ELNS1_11target_archE1100ELNS1_3gpuE3ELNS1_3repE0EEENS1_47radix_sort_onesweep_sort_config_static_selectorELNS0_4arch9wavefront6targetE1EEEvSE_
	.p2align	8
	.type	_ZN7rocprim17ROCPRIM_400000_NS6detail17trampoline_kernelINS0_14default_configENS1_35radix_sort_onesweep_config_selectorIcNS0_10empty_typeEEEZZNS1_29radix_sort_onesweep_iterationIS3_Lb0EPcS8_PS5_S9_mNS0_19identity_decomposerENS1_16block_id_wrapperIjLb1EEEEE10hipError_tT1_PNSt15iterator_traitsISE_E10value_typeET2_T3_PNSF_ISK_E10value_typeET4_T5_PSP_SQ_PNS1_23onesweep_lookback_stateEbbT6_jjT7_P12ihipStream_tbENKUlT_T0_SE_SJ_E_clIS8_S8_S9_S9_EEDaSX_SY_SE_SJ_EUlSX_E_NS1_11comp_targetILNS1_3genE9ELNS1_11target_archE1100ELNS1_3gpuE3ELNS1_3repE0EEENS1_47radix_sort_onesweep_sort_config_static_selectorELNS0_4arch9wavefront6targetE1EEEvSE_,@function
_ZN7rocprim17ROCPRIM_400000_NS6detail17trampoline_kernelINS0_14default_configENS1_35radix_sort_onesweep_config_selectorIcNS0_10empty_typeEEEZZNS1_29radix_sort_onesweep_iterationIS3_Lb0EPcS8_PS5_S9_mNS0_19identity_decomposerENS1_16block_id_wrapperIjLb1EEEEE10hipError_tT1_PNSt15iterator_traitsISE_E10value_typeET2_T3_PNSF_ISK_E10value_typeET4_T5_PSP_SQ_PNS1_23onesweep_lookback_stateEbbT6_jjT7_P12ihipStream_tbENKUlT_T0_SE_SJ_E_clIS8_S8_S9_S9_EEDaSX_SY_SE_SJ_EUlSX_E_NS1_11comp_targetILNS1_3genE9ELNS1_11target_archE1100ELNS1_3gpuE3ELNS1_3repE0EEENS1_47radix_sort_onesweep_sort_config_static_selectorELNS0_4arch9wavefront6targetE1EEEvSE_: ; @_ZN7rocprim17ROCPRIM_400000_NS6detail17trampoline_kernelINS0_14default_configENS1_35radix_sort_onesweep_config_selectorIcNS0_10empty_typeEEEZZNS1_29radix_sort_onesweep_iterationIS3_Lb0EPcS8_PS5_S9_mNS0_19identity_decomposerENS1_16block_id_wrapperIjLb1EEEEE10hipError_tT1_PNSt15iterator_traitsISE_E10value_typeET2_T3_PNSF_ISK_E10value_typeET4_T5_PSP_SQ_PNS1_23onesweep_lookback_stateEbbT6_jjT7_P12ihipStream_tbENKUlT_T0_SE_SJ_E_clIS8_S8_S9_S9_EEDaSX_SY_SE_SJ_EUlSX_E_NS1_11comp_targetILNS1_3genE9ELNS1_11target_archE1100ELNS1_3gpuE3ELNS1_3repE0EEENS1_47radix_sort_onesweep_sort_config_static_selectorELNS0_4arch9wavefront6targetE1EEEvSE_
; %bb.0:
	.section	.rodata,"a",@progbits
	.p2align	6, 0x0
	.amdhsa_kernel _ZN7rocprim17ROCPRIM_400000_NS6detail17trampoline_kernelINS0_14default_configENS1_35radix_sort_onesweep_config_selectorIcNS0_10empty_typeEEEZZNS1_29radix_sort_onesweep_iterationIS3_Lb0EPcS8_PS5_S9_mNS0_19identity_decomposerENS1_16block_id_wrapperIjLb1EEEEE10hipError_tT1_PNSt15iterator_traitsISE_E10value_typeET2_T3_PNSF_ISK_E10value_typeET4_T5_PSP_SQ_PNS1_23onesweep_lookback_stateEbbT6_jjT7_P12ihipStream_tbENKUlT_T0_SE_SJ_E_clIS8_S8_S9_S9_EEDaSX_SY_SE_SJ_EUlSX_E_NS1_11comp_targetILNS1_3genE9ELNS1_11target_archE1100ELNS1_3gpuE3ELNS1_3repE0EEENS1_47radix_sort_onesweep_sort_config_static_selectorELNS0_4arch9wavefront6targetE1EEEvSE_
		.amdhsa_group_segment_fixed_size 0
		.amdhsa_private_segment_fixed_size 0
		.amdhsa_kernarg_size 88
		.amdhsa_user_sgpr_count 6
		.amdhsa_user_sgpr_private_segment_buffer 1
		.amdhsa_user_sgpr_dispatch_ptr 0
		.amdhsa_user_sgpr_queue_ptr 0
		.amdhsa_user_sgpr_kernarg_segment_ptr 1
		.amdhsa_user_sgpr_dispatch_id 0
		.amdhsa_user_sgpr_flat_scratch_init 0
		.amdhsa_user_sgpr_kernarg_preload_length 0
		.amdhsa_user_sgpr_kernarg_preload_offset 0
		.amdhsa_user_sgpr_private_segment_size 0
		.amdhsa_uses_dynamic_stack 0
		.amdhsa_system_sgpr_private_segment_wavefront_offset 0
		.amdhsa_system_sgpr_workgroup_id_x 1
		.amdhsa_system_sgpr_workgroup_id_y 0
		.amdhsa_system_sgpr_workgroup_id_z 0
		.amdhsa_system_sgpr_workgroup_info 0
		.amdhsa_system_vgpr_workitem_id 0
		.amdhsa_next_free_vgpr 1
		.amdhsa_next_free_sgpr 0
		.amdhsa_accum_offset 4
		.amdhsa_reserve_vcc 0
		.amdhsa_reserve_flat_scratch 0
		.amdhsa_float_round_mode_32 0
		.amdhsa_float_round_mode_16_64 0
		.amdhsa_float_denorm_mode_32 3
		.amdhsa_float_denorm_mode_16_64 3
		.amdhsa_dx10_clamp 1
		.amdhsa_ieee_mode 1
		.amdhsa_fp16_overflow 0
		.amdhsa_tg_split 0
		.amdhsa_exception_fp_ieee_invalid_op 0
		.amdhsa_exception_fp_denorm_src 0
		.amdhsa_exception_fp_ieee_div_zero 0
		.amdhsa_exception_fp_ieee_overflow 0
		.amdhsa_exception_fp_ieee_underflow 0
		.amdhsa_exception_fp_ieee_inexact 0
		.amdhsa_exception_int_div_zero 0
	.end_amdhsa_kernel
	.section	.text._ZN7rocprim17ROCPRIM_400000_NS6detail17trampoline_kernelINS0_14default_configENS1_35radix_sort_onesweep_config_selectorIcNS0_10empty_typeEEEZZNS1_29radix_sort_onesweep_iterationIS3_Lb0EPcS8_PS5_S9_mNS0_19identity_decomposerENS1_16block_id_wrapperIjLb1EEEEE10hipError_tT1_PNSt15iterator_traitsISE_E10value_typeET2_T3_PNSF_ISK_E10value_typeET4_T5_PSP_SQ_PNS1_23onesweep_lookback_stateEbbT6_jjT7_P12ihipStream_tbENKUlT_T0_SE_SJ_E_clIS8_S8_S9_S9_EEDaSX_SY_SE_SJ_EUlSX_E_NS1_11comp_targetILNS1_3genE9ELNS1_11target_archE1100ELNS1_3gpuE3ELNS1_3repE0EEENS1_47radix_sort_onesweep_sort_config_static_selectorELNS0_4arch9wavefront6targetE1EEEvSE_,"axG",@progbits,_ZN7rocprim17ROCPRIM_400000_NS6detail17trampoline_kernelINS0_14default_configENS1_35radix_sort_onesweep_config_selectorIcNS0_10empty_typeEEEZZNS1_29radix_sort_onesweep_iterationIS3_Lb0EPcS8_PS5_S9_mNS0_19identity_decomposerENS1_16block_id_wrapperIjLb1EEEEE10hipError_tT1_PNSt15iterator_traitsISE_E10value_typeET2_T3_PNSF_ISK_E10value_typeET4_T5_PSP_SQ_PNS1_23onesweep_lookback_stateEbbT6_jjT7_P12ihipStream_tbENKUlT_T0_SE_SJ_E_clIS8_S8_S9_S9_EEDaSX_SY_SE_SJ_EUlSX_E_NS1_11comp_targetILNS1_3genE9ELNS1_11target_archE1100ELNS1_3gpuE3ELNS1_3repE0EEENS1_47radix_sort_onesweep_sort_config_static_selectorELNS0_4arch9wavefront6targetE1EEEvSE_,comdat
.Lfunc_end107:
	.size	_ZN7rocprim17ROCPRIM_400000_NS6detail17trampoline_kernelINS0_14default_configENS1_35radix_sort_onesweep_config_selectorIcNS0_10empty_typeEEEZZNS1_29radix_sort_onesweep_iterationIS3_Lb0EPcS8_PS5_S9_mNS0_19identity_decomposerENS1_16block_id_wrapperIjLb1EEEEE10hipError_tT1_PNSt15iterator_traitsISE_E10value_typeET2_T3_PNSF_ISK_E10value_typeET4_T5_PSP_SQ_PNS1_23onesweep_lookback_stateEbbT6_jjT7_P12ihipStream_tbENKUlT_T0_SE_SJ_E_clIS8_S8_S9_S9_EEDaSX_SY_SE_SJ_EUlSX_E_NS1_11comp_targetILNS1_3genE9ELNS1_11target_archE1100ELNS1_3gpuE3ELNS1_3repE0EEENS1_47radix_sort_onesweep_sort_config_static_selectorELNS0_4arch9wavefront6targetE1EEEvSE_, .Lfunc_end107-_ZN7rocprim17ROCPRIM_400000_NS6detail17trampoline_kernelINS0_14default_configENS1_35radix_sort_onesweep_config_selectorIcNS0_10empty_typeEEEZZNS1_29radix_sort_onesweep_iterationIS3_Lb0EPcS8_PS5_S9_mNS0_19identity_decomposerENS1_16block_id_wrapperIjLb1EEEEE10hipError_tT1_PNSt15iterator_traitsISE_E10value_typeET2_T3_PNSF_ISK_E10value_typeET4_T5_PSP_SQ_PNS1_23onesweep_lookback_stateEbbT6_jjT7_P12ihipStream_tbENKUlT_T0_SE_SJ_E_clIS8_S8_S9_S9_EEDaSX_SY_SE_SJ_EUlSX_E_NS1_11comp_targetILNS1_3genE9ELNS1_11target_archE1100ELNS1_3gpuE3ELNS1_3repE0EEENS1_47radix_sort_onesweep_sort_config_static_selectorELNS0_4arch9wavefront6targetE1EEEvSE_
                                        ; -- End function
	.section	.AMDGPU.csdata,"",@progbits
; Kernel info:
; codeLenInByte = 0
; NumSgprs: 4
; NumVgprs: 0
; NumAgprs: 0
; TotalNumVgprs: 0
; ScratchSize: 0
; MemoryBound: 0
; FloatMode: 240
; IeeeMode: 1
; LDSByteSize: 0 bytes/workgroup (compile time only)
; SGPRBlocks: 0
; VGPRBlocks: 0
; NumSGPRsForWavesPerEU: 4
; NumVGPRsForWavesPerEU: 1
; AccumOffset: 4
; Occupancy: 8
; WaveLimiterHint : 0
; COMPUTE_PGM_RSRC2:SCRATCH_EN: 0
; COMPUTE_PGM_RSRC2:USER_SGPR: 6
; COMPUTE_PGM_RSRC2:TRAP_HANDLER: 0
; COMPUTE_PGM_RSRC2:TGID_X_EN: 1
; COMPUTE_PGM_RSRC2:TGID_Y_EN: 0
; COMPUTE_PGM_RSRC2:TGID_Z_EN: 0
; COMPUTE_PGM_RSRC2:TIDIG_COMP_CNT: 0
; COMPUTE_PGM_RSRC3_GFX90A:ACCUM_OFFSET: 0
; COMPUTE_PGM_RSRC3_GFX90A:TG_SPLIT: 0
	.section	.text._ZN7rocprim17ROCPRIM_400000_NS6detail17trampoline_kernelINS0_14default_configENS1_35radix_sort_onesweep_config_selectorIcNS0_10empty_typeEEEZZNS1_29radix_sort_onesweep_iterationIS3_Lb0EPcS8_PS5_S9_mNS0_19identity_decomposerENS1_16block_id_wrapperIjLb1EEEEE10hipError_tT1_PNSt15iterator_traitsISE_E10value_typeET2_T3_PNSF_ISK_E10value_typeET4_T5_PSP_SQ_PNS1_23onesweep_lookback_stateEbbT6_jjT7_P12ihipStream_tbENKUlT_T0_SE_SJ_E_clIS8_S8_S9_S9_EEDaSX_SY_SE_SJ_EUlSX_E_NS1_11comp_targetILNS1_3genE8ELNS1_11target_archE1030ELNS1_3gpuE2ELNS1_3repE0EEENS1_47radix_sort_onesweep_sort_config_static_selectorELNS0_4arch9wavefront6targetE1EEEvSE_,"axG",@progbits,_ZN7rocprim17ROCPRIM_400000_NS6detail17trampoline_kernelINS0_14default_configENS1_35radix_sort_onesweep_config_selectorIcNS0_10empty_typeEEEZZNS1_29radix_sort_onesweep_iterationIS3_Lb0EPcS8_PS5_S9_mNS0_19identity_decomposerENS1_16block_id_wrapperIjLb1EEEEE10hipError_tT1_PNSt15iterator_traitsISE_E10value_typeET2_T3_PNSF_ISK_E10value_typeET4_T5_PSP_SQ_PNS1_23onesweep_lookback_stateEbbT6_jjT7_P12ihipStream_tbENKUlT_T0_SE_SJ_E_clIS8_S8_S9_S9_EEDaSX_SY_SE_SJ_EUlSX_E_NS1_11comp_targetILNS1_3genE8ELNS1_11target_archE1030ELNS1_3gpuE2ELNS1_3repE0EEENS1_47radix_sort_onesweep_sort_config_static_selectorELNS0_4arch9wavefront6targetE1EEEvSE_,comdat
	.protected	_ZN7rocprim17ROCPRIM_400000_NS6detail17trampoline_kernelINS0_14default_configENS1_35radix_sort_onesweep_config_selectorIcNS0_10empty_typeEEEZZNS1_29radix_sort_onesweep_iterationIS3_Lb0EPcS8_PS5_S9_mNS0_19identity_decomposerENS1_16block_id_wrapperIjLb1EEEEE10hipError_tT1_PNSt15iterator_traitsISE_E10value_typeET2_T3_PNSF_ISK_E10value_typeET4_T5_PSP_SQ_PNS1_23onesweep_lookback_stateEbbT6_jjT7_P12ihipStream_tbENKUlT_T0_SE_SJ_E_clIS8_S8_S9_S9_EEDaSX_SY_SE_SJ_EUlSX_E_NS1_11comp_targetILNS1_3genE8ELNS1_11target_archE1030ELNS1_3gpuE2ELNS1_3repE0EEENS1_47radix_sort_onesweep_sort_config_static_selectorELNS0_4arch9wavefront6targetE1EEEvSE_ ; -- Begin function _ZN7rocprim17ROCPRIM_400000_NS6detail17trampoline_kernelINS0_14default_configENS1_35radix_sort_onesweep_config_selectorIcNS0_10empty_typeEEEZZNS1_29radix_sort_onesweep_iterationIS3_Lb0EPcS8_PS5_S9_mNS0_19identity_decomposerENS1_16block_id_wrapperIjLb1EEEEE10hipError_tT1_PNSt15iterator_traitsISE_E10value_typeET2_T3_PNSF_ISK_E10value_typeET4_T5_PSP_SQ_PNS1_23onesweep_lookback_stateEbbT6_jjT7_P12ihipStream_tbENKUlT_T0_SE_SJ_E_clIS8_S8_S9_S9_EEDaSX_SY_SE_SJ_EUlSX_E_NS1_11comp_targetILNS1_3genE8ELNS1_11target_archE1030ELNS1_3gpuE2ELNS1_3repE0EEENS1_47radix_sort_onesweep_sort_config_static_selectorELNS0_4arch9wavefront6targetE1EEEvSE_
	.globl	_ZN7rocprim17ROCPRIM_400000_NS6detail17trampoline_kernelINS0_14default_configENS1_35radix_sort_onesweep_config_selectorIcNS0_10empty_typeEEEZZNS1_29radix_sort_onesweep_iterationIS3_Lb0EPcS8_PS5_S9_mNS0_19identity_decomposerENS1_16block_id_wrapperIjLb1EEEEE10hipError_tT1_PNSt15iterator_traitsISE_E10value_typeET2_T3_PNSF_ISK_E10value_typeET4_T5_PSP_SQ_PNS1_23onesweep_lookback_stateEbbT6_jjT7_P12ihipStream_tbENKUlT_T0_SE_SJ_E_clIS8_S8_S9_S9_EEDaSX_SY_SE_SJ_EUlSX_E_NS1_11comp_targetILNS1_3genE8ELNS1_11target_archE1030ELNS1_3gpuE2ELNS1_3repE0EEENS1_47radix_sort_onesweep_sort_config_static_selectorELNS0_4arch9wavefront6targetE1EEEvSE_
	.p2align	8
	.type	_ZN7rocprim17ROCPRIM_400000_NS6detail17trampoline_kernelINS0_14default_configENS1_35radix_sort_onesweep_config_selectorIcNS0_10empty_typeEEEZZNS1_29radix_sort_onesweep_iterationIS3_Lb0EPcS8_PS5_S9_mNS0_19identity_decomposerENS1_16block_id_wrapperIjLb1EEEEE10hipError_tT1_PNSt15iterator_traitsISE_E10value_typeET2_T3_PNSF_ISK_E10value_typeET4_T5_PSP_SQ_PNS1_23onesweep_lookback_stateEbbT6_jjT7_P12ihipStream_tbENKUlT_T0_SE_SJ_E_clIS8_S8_S9_S9_EEDaSX_SY_SE_SJ_EUlSX_E_NS1_11comp_targetILNS1_3genE8ELNS1_11target_archE1030ELNS1_3gpuE2ELNS1_3repE0EEENS1_47radix_sort_onesweep_sort_config_static_selectorELNS0_4arch9wavefront6targetE1EEEvSE_,@function
_ZN7rocprim17ROCPRIM_400000_NS6detail17trampoline_kernelINS0_14default_configENS1_35radix_sort_onesweep_config_selectorIcNS0_10empty_typeEEEZZNS1_29radix_sort_onesweep_iterationIS3_Lb0EPcS8_PS5_S9_mNS0_19identity_decomposerENS1_16block_id_wrapperIjLb1EEEEE10hipError_tT1_PNSt15iterator_traitsISE_E10value_typeET2_T3_PNSF_ISK_E10value_typeET4_T5_PSP_SQ_PNS1_23onesweep_lookback_stateEbbT6_jjT7_P12ihipStream_tbENKUlT_T0_SE_SJ_E_clIS8_S8_S9_S9_EEDaSX_SY_SE_SJ_EUlSX_E_NS1_11comp_targetILNS1_3genE8ELNS1_11target_archE1030ELNS1_3gpuE2ELNS1_3repE0EEENS1_47radix_sort_onesweep_sort_config_static_selectorELNS0_4arch9wavefront6targetE1EEEvSE_: ; @_ZN7rocprim17ROCPRIM_400000_NS6detail17trampoline_kernelINS0_14default_configENS1_35radix_sort_onesweep_config_selectorIcNS0_10empty_typeEEEZZNS1_29radix_sort_onesweep_iterationIS3_Lb0EPcS8_PS5_S9_mNS0_19identity_decomposerENS1_16block_id_wrapperIjLb1EEEEE10hipError_tT1_PNSt15iterator_traitsISE_E10value_typeET2_T3_PNSF_ISK_E10value_typeET4_T5_PSP_SQ_PNS1_23onesweep_lookback_stateEbbT6_jjT7_P12ihipStream_tbENKUlT_T0_SE_SJ_E_clIS8_S8_S9_S9_EEDaSX_SY_SE_SJ_EUlSX_E_NS1_11comp_targetILNS1_3genE8ELNS1_11target_archE1030ELNS1_3gpuE2ELNS1_3repE0EEENS1_47radix_sort_onesweep_sort_config_static_selectorELNS0_4arch9wavefront6targetE1EEEvSE_
; %bb.0:
	.section	.rodata,"a",@progbits
	.p2align	6, 0x0
	.amdhsa_kernel _ZN7rocprim17ROCPRIM_400000_NS6detail17trampoline_kernelINS0_14default_configENS1_35radix_sort_onesweep_config_selectorIcNS0_10empty_typeEEEZZNS1_29radix_sort_onesweep_iterationIS3_Lb0EPcS8_PS5_S9_mNS0_19identity_decomposerENS1_16block_id_wrapperIjLb1EEEEE10hipError_tT1_PNSt15iterator_traitsISE_E10value_typeET2_T3_PNSF_ISK_E10value_typeET4_T5_PSP_SQ_PNS1_23onesweep_lookback_stateEbbT6_jjT7_P12ihipStream_tbENKUlT_T0_SE_SJ_E_clIS8_S8_S9_S9_EEDaSX_SY_SE_SJ_EUlSX_E_NS1_11comp_targetILNS1_3genE8ELNS1_11target_archE1030ELNS1_3gpuE2ELNS1_3repE0EEENS1_47radix_sort_onesweep_sort_config_static_selectorELNS0_4arch9wavefront6targetE1EEEvSE_
		.amdhsa_group_segment_fixed_size 0
		.amdhsa_private_segment_fixed_size 0
		.amdhsa_kernarg_size 88
		.amdhsa_user_sgpr_count 6
		.amdhsa_user_sgpr_private_segment_buffer 1
		.amdhsa_user_sgpr_dispatch_ptr 0
		.amdhsa_user_sgpr_queue_ptr 0
		.amdhsa_user_sgpr_kernarg_segment_ptr 1
		.amdhsa_user_sgpr_dispatch_id 0
		.amdhsa_user_sgpr_flat_scratch_init 0
		.amdhsa_user_sgpr_kernarg_preload_length 0
		.amdhsa_user_sgpr_kernarg_preload_offset 0
		.amdhsa_user_sgpr_private_segment_size 0
		.amdhsa_uses_dynamic_stack 0
		.amdhsa_system_sgpr_private_segment_wavefront_offset 0
		.amdhsa_system_sgpr_workgroup_id_x 1
		.amdhsa_system_sgpr_workgroup_id_y 0
		.amdhsa_system_sgpr_workgroup_id_z 0
		.amdhsa_system_sgpr_workgroup_info 0
		.amdhsa_system_vgpr_workitem_id 0
		.amdhsa_next_free_vgpr 1
		.amdhsa_next_free_sgpr 0
		.amdhsa_accum_offset 4
		.amdhsa_reserve_vcc 0
		.amdhsa_reserve_flat_scratch 0
		.amdhsa_float_round_mode_32 0
		.amdhsa_float_round_mode_16_64 0
		.amdhsa_float_denorm_mode_32 3
		.amdhsa_float_denorm_mode_16_64 3
		.amdhsa_dx10_clamp 1
		.amdhsa_ieee_mode 1
		.amdhsa_fp16_overflow 0
		.amdhsa_tg_split 0
		.amdhsa_exception_fp_ieee_invalid_op 0
		.amdhsa_exception_fp_denorm_src 0
		.amdhsa_exception_fp_ieee_div_zero 0
		.amdhsa_exception_fp_ieee_overflow 0
		.amdhsa_exception_fp_ieee_underflow 0
		.amdhsa_exception_fp_ieee_inexact 0
		.amdhsa_exception_int_div_zero 0
	.end_amdhsa_kernel
	.section	.text._ZN7rocprim17ROCPRIM_400000_NS6detail17trampoline_kernelINS0_14default_configENS1_35radix_sort_onesweep_config_selectorIcNS0_10empty_typeEEEZZNS1_29radix_sort_onesweep_iterationIS3_Lb0EPcS8_PS5_S9_mNS0_19identity_decomposerENS1_16block_id_wrapperIjLb1EEEEE10hipError_tT1_PNSt15iterator_traitsISE_E10value_typeET2_T3_PNSF_ISK_E10value_typeET4_T5_PSP_SQ_PNS1_23onesweep_lookback_stateEbbT6_jjT7_P12ihipStream_tbENKUlT_T0_SE_SJ_E_clIS8_S8_S9_S9_EEDaSX_SY_SE_SJ_EUlSX_E_NS1_11comp_targetILNS1_3genE8ELNS1_11target_archE1030ELNS1_3gpuE2ELNS1_3repE0EEENS1_47radix_sort_onesweep_sort_config_static_selectorELNS0_4arch9wavefront6targetE1EEEvSE_,"axG",@progbits,_ZN7rocprim17ROCPRIM_400000_NS6detail17trampoline_kernelINS0_14default_configENS1_35radix_sort_onesweep_config_selectorIcNS0_10empty_typeEEEZZNS1_29radix_sort_onesweep_iterationIS3_Lb0EPcS8_PS5_S9_mNS0_19identity_decomposerENS1_16block_id_wrapperIjLb1EEEEE10hipError_tT1_PNSt15iterator_traitsISE_E10value_typeET2_T3_PNSF_ISK_E10value_typeET4_T5_PSP_SQ_PNS1_23onesweep_lookback_stateEbbT6_jjT7_P12ihipStream_tbENKUlT_T0_SE_SJ_E_clIS8_S8_S9_S9_EEDaSX_SY_SE_SJ_EUlSX_E_NS1_11comp_targetILNS1_3genE8ELNS1_11target_archE1030ELNS1_3gpuE2ELNS1_3repE0EEENS1_47radix_sort_onesweep_sort_config_static_selectorELNS0_4arch9wavefront6targetE1EEEvSE_,comdat
.Lfunc_end108:
	.size	_ZN7rocprim17ROCPRIM_400000_NS6detail17trampoline_kernelINS0_14default_configENS1_35radix_sort_onesweep_config_selectorIcNS0_10empty_typeEEEZZNS1_29radix_sort_onesweep_iterationIS3_Lb0EPcS8_PS5_S9_mNS0_19identity_decomposerENS1_16block_id_wrapperIjLb1EEEEE10hipError_tT1_PNSt15iterator_traitsISE_E10value_typeET2_T3_PNSF_ISK_E10value_typeET4_T5_PSP_SQ_PNS1_23onesweep_lookback_stateEbbT6_jjT7_P12ihipStream_tbENKUlT_T0_SE_SJ_E_clIS8_S8_S9_S9_EEDaSX_SY_SE_SJ_EUlSX_E_NS1_11comp_targetILNS1_3genE8ELNS1_11target_archE1030ELNS1_3gpuE2ELNS1_3repE0EEENS1_47radix_sort_onesweep_sort_config_static_selectorELNS0_4arch9wavefront6targetE1EEEvSE_, .Lfunc_end108-_ZN7rocprim17ROCPRIM_400000_NS6detail17trampoline_kernelINS0_14default_configENS1_35radix_sort_onesweep_config_selectorIcNS0_10empty_typeEEEZZNS1_29radix_sort_onesweep_iterationIS3_Lb0EPcS8_PS5_S9_mNS0_19identity_decomposerENS1_16block_id_wrapperIjLb1EEEEE10hipError_tT1_PNSt15iterator_traitsISE_E10value_typeET2_T3_PNSF_ISK_E10value_typeET4_T5_PSP_SQ_PNS1_23onesweep_lookback_stateEbbT6_jjT7_P12ihipStream_tbENKUlT_T0_SE_SJ_E_clIS8_S8_S9_S9_EEDaSX_SY_SE_SJ_EUlSX_E_NS1_11comp_targetILNS1_3genE8ELNS1_11target_archE1030ELNS1_3gpuE2ELNS1_3repE0EEENS1_47radix_sort_onesweep_sort_config_static_selectorELNS0_4arch9wavefront6targetE1EEEvSE_
                                        ; -- End function
	.section	.AMDGPU.csdata,"",@progbits
; Kernel info:
; codeLenInByte = 0
; NumSgprs: 4
; NumVgprs: 0
; NumAgprs: 0
; TotalNumVgprs: 0
; ScratchSize: 0
; MemoryBound: 0
; FloatMode: 240
; IeeeMode: 1
; LDSByteSize: 0 bytes/workgroup (compile time only)
; SGPRBlocks: 0
; VGPRBlocks: 0
; NumSGPRsForWavesPerEU: 4
; NumVGPRsForWavesPerEU: 1
; AccumOffset: 4
; Occupancy: 8
; WaveLimiterHint : 0
; COMPUTE_PGM_RSRC2:SCRATCH_EN: 0
; COMPUTE_PGM_RSRC2:USER_SGPR: 6
; COMPUTE_PGM_RSRC2:TRAP_HANDLER: 0
; COMPUTE_PGM_RSRC2:TGID_X_EN: 1
; COMPUTE_PGM_RSRC2:TGID_Y_EN: 0
; COMPUTE_PGM_RSRC2:TGID_Z_EN: 0
; COMPUTE_PGM_RSRC2:TIDIG_COMP_CNT: 0
; COMPUTE_PGM_RSRC3_GFX90A:ACCUM_OFFSET: 0
; COMPUTE_PGM_RSRC3_GFX90A:TG_SPLIT: 0
	.section	.text._ZN7rocprim17ROCPRIM_400000_NS6detail17trampoline_kernelINS0_14default_configENS1_35radix_sort_onesweep_config_selectorIcNS0_10empty_typeEEEZZNS1_29radix_sort_onesweep_iterationIS3_Lb0EPcS8_PS5_S9_mNS0_19identity_decomposerENS1_16block_id_wrapperIjLb0EEEEE10hipError_tT1_PNSt15iterator_traitsISE_E10value_typeET2_T3_PNSF_ISK_E10value_typeET4_T5_PSP_SQ_PNS1_23onesweep_lookback_stateEbbT6_jjT7_P12ihipStream_tbENKUlT_T0_SE_SJ_E_clIS8_S8_S9_S9_EEDaSX_SY_SE_SJ_EUlSX_E_NS1_11comp_targetILNS1_3genE0ELNS1_11target_archE4294967295ELNS1_3gpuE0ELNS1_3repE0EEENS1_47radix_sort_onesweep_sort_config_static_selectorELNS0_4arch9wavefront6targetE1EEEvSE_,"axG",@progbits,_ZN7rocprim17ROCPRIM_400000_NS6detail17trampoline_kernelINS0_14default_configENS1_35radix_sort_onesweep_config_selectorIcNS0_10empty_typeEEEZZNS1_29radix_sort_onesweep_iterationIS3_Lb0EPcS8_PS5_S9_mNS0_19identity_decomposerENS1_16block_id_wrapperIjLb0EEEEE10hipError_tT1_PNSt15iterator_traitsISE_E10value_typeET2_T3_PNSF_ISK_E10value_typeET4_T5_PSP_SQ_PNS1_23onesweep_lookback_stateEbbT6_jjT7_P12ihipStream_tbENKUlT_T0_SE_SJ_E_clIS8_S8_S9_S9_EEDaSX_SY_SE_SJ_EUlSX_E_NS1_11comp_targetILNS1_3genE0ELNS1_11target_archE4294967295ELNS1_3gpuE0ELNS1_3repE0EEENS1_47radix_sort_onesweep_sort_config_static_selectorELNS0_4arch9wavefront6targetE1EEEvSE_,comdat
	.protected	_ZN7rocprim17ROCPRIM_400000_NS6detail17trampoline_kernelINS0_14default_configENS1_35radix_sort_onesweep_config_selectorIcNS0_10empty_typeEEEZZNS1_29radix_sort_onesweep_iterationIS3_Lb0EPcS8_PS5_S9_mNS0_19identity_decomposerENS1_16block_id_wrapperIjLb0EEEEE10hipError_tT1_PNSt15iterator_traitsISE_E10value_typeET2_T3_PNSF_ISK_E10value_typeET4_T5_PSP_SQ_PNS1_23onesweep_lookback_stateEbbT6_jjT7_P12ihipStream_tbENKUlT_T0_SE_SJ_E_clIS8_S8_S9_S9_EEDaSX_SY_SE_SJ_EUlSX_E_NS1_11comp_targetILNS1_3genE0ELNS1_11target_archE4294967295ELNS1_3gpuE0ELNS1_3repE0EEENS1_47radix_sort_onesweep_sort_config_static_selectorELNS0_4arch9wavefront6targetE1EEEvSE_ ; -- Begin function _ZN7rocprim17ROCPRIM_400000_NS6detail17trampoline_kernelINS0_14default_configENS1_35radix_sort_onesweep_config_selectorIcNS0_10empty_typeEEEZZNS1_29radix_sort_onesweep_iterationIS3_Lb0EPcS8_PS5_S9_mNS0_19identity_decomposerENS1_16block_id_wrapperIjLb0EEEEE10hipError_tT1_PNSt15iterator_traitsISE_E10value_typeET2_T3_PNSF_ISK_E10value_typeET4_T5_PSP_SQ_PNS1_23onesweep_lookback_stateEbbT6_jjT7_P12ihipStream_tbENKUlT_T0_SE_SJ_E_clIS8_S8_S9_S9_EEDaSX_SY_SE_SJ_EUlSX_E_NS1_11comp_targetILNS1_3genE0ELNS1_11target_archE4294967295ELNS1_3gpuE0ELNS1_3repE0EEENS1_47radix_sort_onesweep_sort_config_static_selectorELNS0_4arch9wavefront6targetE1EEEvSE_
	.globl	_ZN7rocprim17ROCPRIM_400000_NS6detail17trampoline_kernelINS0_14default_configENS1_35radix_sort_onesweep_config_selectorIcNS0_10empty_typeEEEZZNS1_29radix_sort_onesweep_iterationIS3_Lb0EPcS8_PS5_S9_mNS0_19identity_decomposerENS1_16block_id_wrapperIjLb0EEEEE10hipError_tT1_PNSt15iterator_traitsISE_E10value_typeET2_T3_PNSF_ISK_E10value_typeET4_T5_PSP_SQ_PNS1_23onesweep_lookback_stateEbbT6_jjT7_P12ihipStream_tbENKUlT_T0_SE_SJ_E_clIS8_S8_S9_S9_EEDaSX_SY_SE_SJ_EUlSX_E_NS1_11comp_targetILNS1_3genE0ELNS1_11target_archE4294967295ELNS1_3gpuE0ELNS1_3repE0EEENS1_47radix_sort_onesweep_sort_config_static_selectorELNS0_4arch9wavefront6targetE1EEEvSE_
	.p2align	8
	.type	_ZN7rocprim17ROCPRIM_400000_NS6detail17trampoline_kernelINS0_14default_configENS1_35radix_sort_onesweep_config_selectorIcNS0_10empty_typeEEEZZNS1_29radix_sort_onesweep_iterationIS3_Lb0EPcS8_PS5_S9_mNS0_19identity_decomposerENS1_16block_id_wrapperIjLb0EEEEE10hipError_tT1_PNSt15iterator_traitsISE_E10value_typeET2_T3_PNSF_ISK_E10value_typeET4_T5_PSP_SQ_PNS1_23onesweep_lookback_stateEbbT6_jjT7_P12ihipStream_tbENKUlT_T0_SE_SJ_E_clIS8_S8_S9_S9_EEDaSX_SY_SE_SJ_EUlSX_E_NS1_11comp_targetILNS1_3genE0ELNS1_11target_archE4294967295ELNS1_3gpuE0ELNS1_3repE0EEENS1_47radix_sort_onesweep_sort_config_static_selectorELNS0_4arch9wavefront6targetE1EEEvSE_,@function
_ZN7rocprim17ROCPRIM_400000_NS6detail17trampoline_kernelINS0_14default_configENS1_35radix_sort_onesweep_config_selectorIcNS0_10empty_typeEEEZZNS1_29radix_sort_onesweep_iterationIS3_Lb0EPcS8_PS5_S9_mNS0_19identity_decomposerENS1_16block_id_wrapperIjLb0EEEEE10hipError_tT1_PNSt15iterator_traitsISE_E10value_typeET2_T3_PNSF_ISK_E10value_typeET4_T5_PSP_SQ_PNS1_23onesweep_lookback_stateEbbT6_jjT7_P12ihipStream_tbENKUlT_T0_SE_SJ_E_clIS8_S8_S9_S9_EEDaSX_SY_SE_SJ_EUlSX_E_NS1_11comp_targetILNS1_3genE0ELNS1_11target_archE4294967295ELNS1_3gpuE0ELNS1_3repE0EEENS1_47radix_sort_onesweep_sort_config_static_selectorELNS0_4arch9wavefront6targetE1EEEvSE_: ; @_ZN7rocprim17ROCPRIM_400000_NS6detail17trampoline_kernelINS0_14default_configENS1_35radix_sort_onesweep_config_selectorIcNS0_10empty_typeEEEZZNS1_29radix_sort_onesweep_iterationIS3_Lb0EPcS8_PS5_S9_mNS0_19identity_decomposerENS1_16block_id_wrapperIjLb0EEEEE10hipError_tT1_PNSt15iterator_traitsISE_E10value_typeET2_T3_PNSF_ISK_E10value_typeET4_T5_PSP_SQ_PNS1_23onesweep_lookback_stateEbbT6_jjT7_P12ihipStream_tbENKUlT_T0_SE_SJ_E_clIS8_S8_S9_S9_EEDaSX_SY_SE_SJ_EUlSX_E_NS1_11comp_targetILNS1_3genE0ELNS1_11target_archE4294967295ELNS1_3gpuE0ELNS1_3repE0EEENS1_47radix_sort_onesweep_sort_config_static_selectorELNS0_4arch9wavefront6targetE1EEEvSE_
; %bb.0:
	.section	.rodata,"a",@progbits
	.p2align	6, 0x0
	.amdhsa_kernel _ZN7rocprim17ROCPRIM_400000_NS6detail17trampoline_kernelINS0_14default_configENS1_35radix_sort_onesweep_config_selectorIcNS0_10empty_typeEEEZZNS1_29radix_sort_onesweep_iterationIS3_Lb0EPcS8_PS5_S9_mNS0_19identity_decomposerENS1_16block_id_wrapperIjLb0EEEEE10hipError_tT1_PNSt15iterator_traitsISE_E10value_typeET2_T3_PNSF_ISK_E10value_typeET4_T5_PSP_SQ_PNS1_23onesweep_lookback_stateEbbT6_jjT7_P12ihipStream_tbENKUlT_T0_SE_SJ_E_clIS8_S8_S9_S9_EEDaSX_SY_SE_SJ_EUlSX_E_NS1_11comp_targetILNS1_3genE0ELNS1_11target_archE4294967295ELNS1_3gpuE0ELNS1_3repE0EEENS1_47radix_sort_onesweep_sort_config_static_selectorELNS0_4arch9wavefront6targetE1EEEvSE_
		.amdhsa_group_segment_fixed_size 0
		.amdhsa_private_segment_fixed_size 0
		.amdhsa_kernarg_size 88
		.amdhsa_user_sgpr_count 6
		.amdhsa_user_sgpr_private_segment_buffer 1
		.amdhsa_user_sgpr_dispatch_ptr 0
		.amdhsa_user_sgpr_queue_ptr 0
		.amdhsa_user_sgpr_kernarg_segment_ptr 1
		.amdhsa_user_sgpr_dispatch_id 0
		.amdhsa_user_sgpr_flat_scratch_init 0
		.amdhsa_user_sgpr_kernarg_preload_length 0
		.amdhsa_user_sgpr_kernarg_preload_offset 0
		.amdhsa_user_sgpr_private_segment_size 0
		.amdhsa_uses_dynamic_stack 0
		.amdhsa_system_sgpr_private_segment_wavefront_offset 0
		.amdhsa_system_sgpr_workgroup_id_x 1
		.amdhsa_system_sgpr_workgroup_id_y 0
		.amdhsa_system_sgpr_workgroup_id_z 0
		.amdhsa_system_sgpr_workgroup_info 0
		.amdhsa_system_vgpr_workitem_id 0
		.amdhsa_next_free_vgpr 1
		.amdhsa_next_free_sgpr 0
		.amdhsa_accum_offset 4
		.amdhsa_reserve_vcc 0
		.amdhsa_reserve_flat_scratch 0
		.amdhsa_float_round_mode_32 0
		.amdhsa_float_round_mode_16_64 0
		.amdhsa_float_denorm_mode_32 3
		.amdhsa_float_denorm_mode_16_64 3
		.amdhsa_dx10_clamp 1
		.amdhsa_ieee_mode 1
		.amdhsa_fp16_overflow 0
		.amdhsa_tg_split 0
		.amdhsa_exception_fp_ieee_invalid_op 0
		.amdhsa_exception_fp_denorm_src 0
		.amdhsa_exception_fp_ieee_div_zero 0
		.amdhsa_exception_fp_ieee_overflow 0
		.amdhsa_exception_fp_ieee_underflow 0
		.amdhsa_exception_fp_ieee_inexact 0
		.amdhsa_exception_int_div_zero 0
	.end_amdhsa_kernel
	.section	.text._ZN7rocprim17ROCPRIM_400000_NS6detail17trampoline_kernelINS0_14default_configENS1_35radix_sort_onesweep_config_selectorIcNS0_10empty_typeEEEZZNS1_29radix_sort_onesweep_iterationIS3_Lb0EPcS8_PS5_S9_mNS0_19identity_decomposerENS1_16block_id_wrapperIjLb0EEEEE10hipError_tT1_PNSt15iterator_traitsISE_E10value_typeET2_T3_PNSF_ISK_E10value_typeET4_T5_PSP_SQ_PNS1_23onesweep_lookback_stateEbbT6_jjT7_P12ihipStream_tbENKUlT_T0_SE_SJ_E_clIS8_S8_S9_S9_EEDaSX_SY_SE_SJ_EUlSX_E_NS1_11comp_targetILNS1_3genE0ELNS1_11target_archE4294967295ELNS1_3gpuE0ELNS1_3repE0EEENS1_47radix_sort_onesweep_sort_config_static_selectorELNS0_4arch9wavefront6targetE1EEEvSE_,"axG",@progbits,_ZN7rocprim17ROCPRIM_400000_NS6detail17trampoline_kernelINS0_14default_configENS1_35radix_sort_onesweep_config_selectorIcNS0_10empty_typeEEEZZNS1_29radix_sort_onesweep_iterationIS3_Lb0EPcS8_PS5_S9_mNS0_19identity_decomposerENS1_16block_id_wrapperIjLb0EEEEE10hipError_tT1_PNSt15iterator_traitsISE_E10value_typeET2_T3_PNSF_ISK_E10value_typeET4_T5_PSP_SQ_PNS1_23onesweep_lookback_stateEbbT6_jjT7_P12ihipStream_tbENKUlT_T0_SE_SJ_E_clIS8_S8_S9_S9_EEDaSX_SY_SE_SJ_EUlSX_E_NS1_11comp_targetILNS1_3genE0ELNS1_11target_archE4294967295ELNS1_3gpuE0ELNS1_3repE0EEENS1_47radix_sort_onesweep_sort_config_static_selectorELNS0_4arch9wavefront6targetE1EEEvSE_,comdat
.Lfunc_end109:
	.size	_ZN7rocprim17ROCPRIM_400000_NS6detail17trampoline_kernelINS0_14default_configENS1_35radix_sort_onesweep_config_selectorIcNS0_10empty_typeEEEZZNS1_29radix_sort_onesweep_iterationIS3_Lb0EPcS8_PS5_S9_mNS0_19identity_decomposerENS1_16block_id_wrapperIjLb0EEEEE10hipError_tT1_PNSt15iterator_traitsISE_E10value_typeET2_T3_PNSF_ISK_E10value_typeET4_T5_PSP_SQ_PNS1_23onesweep_lookback_stateEbbT6_jjT7_P12ihipStream_tbENKUlT_T0_SE_SJ_E_clIS8_S8_S9_S9_EEDaSX_SY_SE_SJ_EUlSX_E_NS1_11comp_targetILNS1_3genE0ELNS1_11target_archE4294967295ELNS1_3gpuE0ELNS1_3repE0EEENS1_47radix_sort_onesweep_sort_config_static_selectorELNS0_4arch9wavefront6targetE1EEEvSE_, .Lfunc_end109-_ZN7rocprim17ROCPRIM_400000_NS6detail17trampoline_kernelINS0_14default_configENS1_35radix_sort_onesweep_config_selectorIcNS0_10empty_typeEEEZZNS1_29radix_sort_onesweep_iterationIS3_Lb0EPcS8_PS5_S9_mNS0_19identity_decomposerENS1_16block_id_wrapperIjLb0EEEEE10hipError_tT1_PNSt15iterator_traitsISE_E10value_typeET2_T3_PNSF_ISK_E10value_typeET4_T5_PSP_SQ_PNS1_23onesweep_lookback_stateEbbT6_jjT7_P12ihipStream_tbENKUlT_T0_SE_SJ_E_clIS8_S8_S9_S9_EEDaSX_SY_SE_SJ_EUlSX_E_NS1_11comp_targetILNS1_3genE0ELNS1_11target_archE4294967295ELNS1_3gpuE0ELNS1_3repE0EEENS1_47radix_sort_onesweep_sort_config_static_selectorELNS0_4arch9wavefront6targetE1EEEvSE_
                                        ; -- End function
	.section	.AMDGPU.csdata,"",@progbits
; Kernel info:
; codeLenInByte = 0
; NumSgprs: 4
; NumVgprs: 0
; NumAgprs: 0
; TotalNumVgprs: 0
; ScratchSize: 0
; MemoryBound: 0
; FloatMode: 240
; IeeeMode: 1
; LDSByteSize: 0 bytes/workgroup (compile time only)
; SGPRBlocks: 0
; VGPRBlocks: 0
; NumSGPRsForWavesPerEU: 4
; NumVGPRsForWavesPerEU: 1
; AccumOffset: 4
; Occupancy: 8
; WaveLimiterHint : 0
; COMPUTE_PGM_RSRC2:SCRATCH_EN: 0
; COMPUTE_PGM_RSRC2:USER_SGPR: 6
; COMPUTE_PGM_RSRC2:TRAP_HANDLER: 0
; COMPUTE_PGM_RSRC2:TGID_X_EN: 1
; COMPUTE_PGM_RSRC2:TGID_Y_EN: 0
; COMPUTE_PGM_RSRC2:TGID_Z_EN: 0
; COMPUTE_PGM_RSRC2:TIDIG_COMP_CNT: 0
; COMPUTE_PGM_RSRC3_GFX90A:ACCUM_OFFSET: 0
; COMPUTE_PGM_RSRC3_GFX90A:TG_SPLIT: 0
	.section	.text._ZN7rocprim17ROCPRIM_400000_NS6detail17trampoline_kernelINS0_14default_configENS1_35radix_sort_onesweep_config_selectorIcNS0_10empty_typeEEEZZNS1_29radix_sort_onesweep_iterationIS3_Lb0EPcS8_PS5_S9_mNS0_19identity_decomposerENS1_16block_id_wrapperIjLb0EEEEE10hipError_tT1_PNSt15iterator_traitsISE_E10value_typeET2_T3_PNSF_ISK_E10value_typeET4_T5_PSP_SQ_PNS1_23onesweep_lookback_stateEbbT6_jjT7_P12ihipStream_tbENKUlT_T0_SE_SJ_E_clIS8_S8_S9_S9_EEDaSX_SY_SE_SJ_EUlSX_E_NS1_11comp_targetILNS1_3genE6ELNS1_11target_archE950ELNS1_3gpuE13ELNS1_3repE0EEENS1_47radix_sort_onesweep_sort_config_static_selectorELNS0_4arch9wavefront6targetE1EEEvSE_,"axG",@progbits,_ZN7rocprim17ROCPRIM_400000_NS6detail17trampoline_kernelINS0_14default_configENS1_35radix_sort_onesweep_config_selectorIcNS0_10empty_typeEEEZZNS1_29radix_sort_onesweep_iterationIS3_Lb0EPcS8_PS5_S9_mNS0_19identity_decomposerENS1_16block_id_wrapperIjLb0EEEEE10hipError_tT1_PNSt15iterator_traitsISE_E10value_typeET2_T3_PNSF_ISK_E10value_typeET4_T5_PSP_SQ_PNS1_23onesweep_lookback_stateEbbT6_jjT7_P12ihipStream_tbENKUlT_T0_SE_SJ_E_clIS8_S8_S9_S9_EEDaSX_SY_SE_SJ_EUlSX_E_NS1_11comp_targetILNS1_3genE6ELNS1_11target_archE950ELNS1_3gpuE13ELNS1_3repE0EEENS1_47radix_sort_onesweep_sort_config_static_selectorELNS0_4arch9wavefront6targetE1EEEvSE_,comdat
	.protected	_ZN7rocprim17ROCPRIM_400000_NS6detail17trampoline_kernelINS0_14default_configENS1_35radix_sort_onesweep_config_selectorIcNS0_10empty_typeEEEZZNS1_29radix_sort_onesweep_iterationIS3_Lb0EPcS8_PS5_S9_mNS0_19identity_decomposerENS1_16block_id_wrapperIjLb0EEEEE10hipError_tT1_PNSt15iterator_traitsISE_E10value_typeET2_T3_PNSF_ISK_E10value_typeET4_T5_PSP_SQ_PNS1_23onesweep_lookback_stateEbbT6_jjT7_P12ihipStream_tbENKUlT_T0_SE_SJ_E_clIS8_S8_S9_S9_EEDaSX_SY_SE_SJ_EUlSX_E_NS1_11comp_targetILNS1_3genE6ELNS1_11target_archE950ELNS1_3gpuE13ELNS1_3repE0EEENS1_47radix_sort_onesweep_sort_config_static_selectorELNS0_4arch9wavefront6targetE1EEEvSE_ ; -- Begin function _ZN7rocprim17ROCPRIM_400000_NS6detail17trampoline_kernelINS0_14default_configENS1_35radix_sort_onesweep_config_selectorIcNS0_10empty_typeEEEZZNS1_29radix_sort_onesweep_iterationIS3_Lb0EPcS8_PS5_S9_mNS0_19identity_decomposerENS1_16block_id_wrapperIjLb0EEEEE10hipError_tT1_PNSt15iterator_traitsISE_E10value_typeET2_T3_PNSF_ISK_E10value_typeET4_T5_PSP_SQ_PNS1_23onesweep_lookback_stateEbbT6_jjT7_P12ihipStream_tbENKUlT_T0_SE_SJ_E_clIS8_S8_S9_S9_EEDaSX_SY_SE_SJ_EUlSX_E_NS1_11comp_targetILNS1_3genE6ELNS1_11target_archE950ELNS1_3gpuE13ELNS1_3repE0EEENS1_47radix_sort_onesweep_sort_config_static_selectorELNS0_4arch9wavefront6targetE1EEEvSE_
	.globl	_ZN7rocprim17ROCPRIM_400000_NS6detail17trampoline_kernelINS0_14default_configENS1_35radix_sort_onesweep_config_selectorIcNS0_10empty_typeEEEZZNS1_29radix_sort_onesweep_iterationIS3_Lb0EPcS8_PS5_S9_mNS0_19identity_decomposerENS1_16block_id_wrapperIjLb0EEEEE10hipError_tT1_PNSt15iterator_traitsISE_E10value_typeET2_T3_PNSF_ISK_E10value_typeET4_T5_PSP_SQ_PNS1_23onesweep_lookback_stateEbbT6_jjT7_P12ihipStream_tbENKUlT_T0_SE_SJ_E_clIS8_S8_S9_S9_EEDaSX_SY_SE_SJ_EUlSX_E_NS1_11comp_targetILNS1_3genE6ELNS1_11target_archE950ELNS1_3gpuE13ELNS1_3repE0EEENS1_47radix_sort_onesweep_sort_config_static_selectorELNS0_4arch9wavefront6targetE1EEEvSE_
	.p2align	8
	.type	_ZN7rocprim17ROCPRIM_400000_NS6detail17trampoline_kernelINS0_14default_configENS1_35radix_sort_onesweep_config_selectorIcNS0_10empty_typeEEEZZNS1_29radix_sort_onesweep_iterationIS3_Lb0EPcS8_PS5_S9_mNS0_19identity_decomposerENS1_16block_id_wrapperIjLb0EEEEE10hipError_tT1_PNSt15iterator_traitsISE_E10value_typeET2_T3_PNSF_ISK_E10value_typeET4_T5_PSP_SQ_PNS1_23onesweep_lookback_stateEbbT6_jjT7_P12ihipStream_tbENKUlT_T0_SE_SJ_E_clIS8_S8_S9_S9_EEDaSX_SY_SE_SJ_EUlSX_E_NS1_11comp_targetILNS1_3genE6ELNS1_11target_archE950ELNS1_3gpuE13ELNS1_3repE0EEENS1_47radix_sort_onesweep_sort_config_static_selectorELNS0_4arch9wavefront6targetE1EEEvSE_,@function
_ZN7rocprim17ROCPRIM_400000_NS6detail17trampoline_kernelINS0_14default_configENS1_35radix_sort_onesweep_config_selectorIcNS0_10empty_typeEEEZZNS1_29radix_sort_onesweep_iterationIS3_Lb0EPcS8_PS5_S9_mNS0_19identity_decomposerENS1_16block_id_wrapperIjLb0EEEEE10hipError_tT1_PNSt15iterator_traitsISE_E10value_typeET2_T3_PNSF_ISK_E10value_typeET4_T5_PSP_SQ_PNS1_23onesweep_lookback_stateEbbT6_jjT7_P12ihipStream_tbENKUlT_T0_SE_SJ_E_clIS8_S8_S9_S9_EEDaSX_SY_SE_SJ_EUlSX_E_NS1_11comp_targetILNS1_3genE6ELNS1_11target_archE950ELNS1_3gpuE13ELNS1_3repE0EEENS1_47radix_sort_onesweep_sort_config_static_selectorELNS0_4arch9wavefront6targetE1EEEvSE_: ; @_ZN7rocprim17ROCPRIM_400000_NS6detail17trampoline_kernelINS0_14default_configENS1_35radix_sort_onesweep_config_selectorIcNS0_10empty_typeEEEZZNS1_29radix_sort_onesweep_iterationIS3_Lb0EPcS8_PS5_S9_mNS0_19identity_decomposerENS1_16block_id_wrapperIjLb0EEEEE10hipError_tT1_PNSt15iterator_traitsISE_E10value_typeET2_T3_PNSF_ISK_E10value_typeET4_T5_PSP_SQ_PNS1_23onesweep_lookback_stateEbbT6_jjT7_P12ihipStream_tbENKUlT_T0_SE_SJ_E_clIS8_S8_S9_S9_EEDaSX_SY_SE_SJ_EUlSX_E_NS1_11comp_targetILNS1_3genE6ELNS1_11target_archE950ELNS1_3gpuE13ELNS1_3repE0EEENS1_47radix_sort_onesweep_sort_config_static_selectorELNS0_4arch9wavefront6targetE1EEEvSE_
; %bb.0:
	.section	.rodata,"a",@progbits
	.p2align	6, 0x0
	.amdhsa_kernel _ZN7rocprim17ROCPRIM_400000_NS6detail17trampoline_kernelINS0_14default_configENS1_35radix_sort_onesweep_config_selectorIcNS0_10empty_typeEEEZZNS1_29radix_sort_onesweep_iterationIS3_Lb0EPcS8_PS5_S9_mNS0_19identity_decomposerENS1_16block_id_wrapperIjLb0EEEEE10hipError_tT1_PNSt15iterator_traitsISE_E10value_typeET2_T3_PNSF_ISK_E10value_typeET4_T5_PSP_SQ_PNS1_23onesweep_lookback_stateEbbT6_jjT7_P12ihipStream_tbENKUlT_T0_SE_SJ_E_clIS8_S8_S9_S9_EEDaSX_SY_SE_SJ_EUlSX_E_NS1_11comp_targetILNS1_3genE6ELNS1_11target_archE950ELNS1_3gpuE13ELNS1_3repE0EEENS1_47radix_sort_onesweep_sort_config_static_selectorELNS0_4arch9wavefront6targetE1EEEvSE_
		.amdhsa_group_segment_fixed_size 0
		.amdhsa_private_segment_fixed_size 0
		.amdhsa_kernarg_size 88
		.amdhsa_user_sgpr_count 6
		.amdhsa_user_sgpr_private_segment_buffer 1
		.amdhsa_user_sgpr_dispatch_ptr 0
		.amdhsa_user_sgpr_queue_ptr 0
		.amdhsa_user_sgpr_kernarg_segment_ptr 1
		.amdhsa_user_sgpr_dispatch_id 0
		.amdhsa_user_sgpr_flat_scratch_init 0
		.amdhsa_user_sgpr_kernarg_preload_length 0
		.amdhsa_user_sgpr_kernarg_preload_offset 0
		.amdhsa_user_sgpr_private_segment_size 0
		.amdhsa_uses_dynamic_stack 0
		.amdhsa_system_sgpr_private_segment_wavefront_offset 0
		.amdhsa_system_sgpr_workgroup_id_x 1
		.amdhsa_system_sgpr_workgroup_id_y 0
		.amdhsa_system_sgpr_workgroup_id_z 0
		.amdhsa_system_sgpr_workgroup_info 0
		.amdhsa_system_vgpr_workitem_id 0
		.amdhsa_next_free_vgpr 1
		.amdhsa_next_free_sgpr 0
		.amdhsa_accum_offset 4
		.amdhsa_reserve_vcc 0
		.amdhsa_reserve_flat_scratch 0
		.amdhsa_float_round_mode_32 0
		.amdhsa_float_round_mode_16_64 0
		.amdhsa_float_denorm_mode_32 3
		.amdhsa_float_denorm_mode_16_64 3
		.amdhsa_dx10_clamp 1
		.amdhsa_ieee_mode 1
		.amdhsa_fp16_overflow 0
		.amdhsa_tg_split 0
		.amdhsa_exception_fp_ieee_invalid_op 0
		.amdhsa_exception_fp_denorm_src 0
		.amdhsa_exception_fp_ieee_div_zero 0
		.amdhsa_exception_fp_ieee_overflow 0
		.amdhsa_exception_fp_ieee_underflow 0
		.amdhsa_exception_fp_ieee_inexact 0
		.amdhsa_exception_int_div_zero 0
	.end_amdhsa_kernel
	.section	.text._ZN7rocprim17ROCPRIM_400000_NS6detail17trampoline_kernelINS0_14default_configENS1_35radix_sort_onesweep_config_selectorIcNS0_10empty_typeEEEZZNS1_29radix_sort_onesweep_iterationIS3_Lb0EPcS8_PS5_S9_mNS0_19identity_decomposerENS1_16block_id_wrapperIjLb0EEEEE10hipError_tT1_PNSt15iterator_traitsISE_E10value_typeET2_T3_PNSF_ISK_E10value_typeET4_T5_PSP_SQ_PNS1_23onesweep_lookback_stateEbbT6_jjT7_P12ihipStream_tbENKUlT_T0_SE_SJ_E_clIS8_S8_S9_S9_EEDaSX_SY_SE_SJ_EUlSX_E_NS1_11comp_targetILNS1_3genE6ELNS1_11target_archE950ELNS1_3gpuE13ELNS1_3repE0EEENS1_47radix_sort_onesweep_sort_config_static_selectorELNS0_4arch9wavefront6targetE1EEEvSE_,"axG",@progbits,_ZN7rocprim17ROCPRIM_400000_NS6detail17trampoline_kernelINS0_14default_configENS1_35radix_sort_onesweep_config_selectorIcNS0_10empty_typeEEEZZNS1_29radix_sort_onesweep_iterationIS3_Lb0EPcS8_PS5_S9_mNS0_19identity_decomposerENS1_16block_id_wrapperIjLb0EEEEE10hipError_tT1_PNSt15iterator_traitsISE_E10value_typeET2_T3_PNSF_ISK_E10value_typeET4_T5_PSP_SQ_PNS1_23onesweep_lookback_stateEbbT6_jjT7_P12ihipStream_tbENKUlT_T0_SE_SJ_E_clIS8_S8_S9_S9_EEDaSX_SY_SE_SJ_EUlSX_E_NS1_11comp_targetILNS1_3genE6ELNS1_11target_archE950ELNS1_3gpuE13ELNS1_3repE0EEENS1_47radix_sort_onesweep_sort_config_static_selectorELNS0_4arch9wavefront6targetE1EEEvSE_,comdat
.Lfunc_end110:
	.size	_ZN7rocprim17ROCPRIM_400000_NS6detail17trampoline_kernelINS0_14default_configENS1_35radix_sort_onesweep_config_selectorIcNS0_10empty_typeEEEZZNS1_29radix_sort_onesweep_iterationIS3_Lb0EPcS8_PS5_S9_mNS0_19identity_decomposerENS1_16block_id_wrapperIjLb0EEEEE10hipError_tT1_PNSt15iterator_traitsISE_E10value_typeET2_T3_PNSF_ISK_E10value_typeET4_T5_PSP_SQ_PNS1_23onesweep_lookback_stateEbbT6_jjT7_P12ihipStream_tbENKUlT_T0_SE_SJ_E_clIS8_S8_S9_S9_EEDaSX_SY_SE_SJ_EUlSX_E_NS1_11comp_targetILNS1_3genE6ELNS1_11target_archE950ELNS1_3gpuE13ELNS1_3repE0EEENS1_47radix_sort_onesweep_sort_config_static_selectorELNS0_4arch9wavefront6targetE1EEEvSE_, .Lfunc_end110-_ZN7rocprim17ROCPRIM_400000_NS6detail17trampoline_kernelINS0_14default_configENS1_35radix_sort_onesweep_config_selectorIcNS0_10empty_typeEEEZZNS1_29radix_sort_onesweep_iterationIS3_Lb0EPcS8_PS5_S9_mNS0_19identity_decomposerENS1_16block_id_wrapperIjLb0EEEEE10hipError_tT1_PNSt15iterator_traitsISE_E10value_typeET2_T3_PNSF_ISK_E10value_typeET4_T5_PSP_SQ_PNS1_23onesweep_lookback_stateEbbT6_jjT7_P12ihipStream_tbENKUlT_T0_SE_SJ_E_clIS8_S8_S9_S9_EEDaSX_SY_SE_SJ_EUlSX_E_NS1_11comp_targetILNS1_3genE6ELNS1_11target_archE950ELNS1_3gpuE13ELNS1_3repE0EEENS1_47radix_sort_onesweep_sort_config_static_selectorELNS0_4arch9wavefront6targetE1EEEvSE_
                                        ; -- End function
	.section	.AMDGPU.csdata,"",@progbits
; Kernel info:
; codeLenInByte = 0
; NumSgprs: 4
; NumVgprs: 0
; NumAgprs: 0
; TotalNumVgprs: 0
; ScratchSize: 0
; MemoryBound: 0
; FloatMode: 240
; IeeeMode: 1
; LDSByteSize: 0 bytes/workgroup (compile time only)
; SGPRBlocks: 0
; VGPRBlocks: 0
; NumSGPRsForWavesPerEU: 4
; NumVGPRsForWavesPerEU: 1
; AccumOffset: 4
; Occupancy: 8
; WaveLimiterHint : 0
; COMPUTE_PGM_RSRC2:SCRATCH_EN: 0
; COMPUTE_PGM_RSRC2:USER_SGPR: 6
; COMPUTE_PGM_RSRC2:TRAP_HANDLER: 0
; COMPUTE_PGM_RSRC2:TGID_X_EN: 1
; COMPUTE_PGM_RSRC2:TGID_Y_EN: 0
; COMPUTE_PGM_RSRC2:TGID_Z_EN: 0
; COMPUTE_PGM_RSRC2:TIDIG_COMP_CNT: 0
; COMPUTE_PGM_RSRC3_GFX90A:ACCUM_OFFSET: 0
; COMPUTE_PGM_RSRC3_GFX90A:TG_SPLIT: 0
	.section	.text._ZN7rocprim17ROCPRIM_400000_NS6detail17trampoline_kernelINS0_14default_configENS1_35radix_sort_onesweep_config_selectorIcNS0_10empty_typeEEEZZNS1_29radix_sort_onesweep_iterationIS3_Lb0EPcS8_PS5_S9_mNS0_19identity_decomposerENS1_16block_id_wrapperIjLb0EEEEE10hipError_tT1_PNSt15iterator_traitsISE_E10value_typeET2_T3_PNSF_ISK_E10value_typeET4_T5_PSP_SQ_PNS1_23onesweep_lookback_stateEbbT6_jjT7_P12ihipStream_tbENKUlT_T0_SE_SJ_E_clIS8_S8_S9_S9_EEDaSX_SY_SE_SJ_EUlSX_E_NS1_11comp_targetILNS1_3genE5ELNS1_11target_archE942ELNS1_3gpuE9ELNS1_3repE0EEENS1_47radix_sort_onesweep_sort_config_static_selectorELNS0_4arch9wavefront6targetE1EEEvSE_,"axG",@progbits,_ZN7rocprim17ROCPRIM_400000_NS6detail17trampoline_kernelINS0_14default_configENS1_35radix_sort_onesweep_config_selectorIcNS0_10empty_typeEEEZZNS1_29radix_sort_onesweep_iterationIS3_Lb0EPcS8_PS5_S9_mNS0_19identity_decomposerENS1_16block_id_wrapperIjLb0EEEEE10hipError_tT1_PNSt15iterator_traitsISE_E10value_typeET2_T3_PNSF_ISK_E10value_typeET4_T5_PSP_SQ_PNS1_23onesweep_lookback_stateEbbT6_jjT7_P12ihipStream_tbENKUlT_T0_SE_SJ_E_clIS8_S8_S9_S9_EEDaSX_SY_SE_SJ_EUlSX_E_NS1_11comp_targetILNS1_3genE5ELNS1_11target_archE942ELNS1_3gpuE9ELNS1_3repE0EEENS1_47radix_sort_onesweep_sort_config_static_selectorELNS0_4arch9wavefront6targetE1EEEvSE_,comdat
	.protected	_ZN7rocprim17ROCPRIM_400000_NS6detail17trampoline_kernelINS0_14default_configENS1_35radix_sort_onesweep_config_selectorIcNS0_10empty_typeEEEZZNS1_29radix_sort_onesweep_iterationIS3_Lb0EPcS8_PS5_S9_mNS0_19identity_decomposerENS1_16block_id_wrapperIjLb0EEEEE10hipError_tT1_PNSt15iterator_traitsISE_E10value_typeET2_T3_PNSF_ISK_E10value_typeET4_T5_PSP_SQ_PNS1_23onesweep_lookback_stateEbbT6_jjT7_P12ihipStream_tbENKUlT_T0_SE_SJ_E_clIS8_S8_S9_S9_EEDaSX_SY_SE_SJ_EUlSX_E_NS1_11comp_targetILNS1_3genE5ELNS1_11target_archE942ELNS1_3gpuE9ELNS1_3repE0EEENS1_47radix_sort_onesweep_sort_config_static_selectorELNS0_4arch9wavefront6targetE1EEEvSE_ ; -- Begin function _ZN7rocprim17ROCPRIM_400000_NS6detail17trampoline_kernelINS0_14default_configENS1_35radix_sort_onesweep_config_selectorIcNS0_10empty_typeEEEZZNS1_29radix_sort_onesweep_iterationIS3_Lb0EPcS8_PS5_S9_mNS0_19identity_decomposerENS1_16block_id_wrapperIjLb0EEEEE10hipError_tT1_PNSt15iterator_traitsISE_E10value_typeET2_T3_PNSF_ISK_E10value_typeET4_T5_PSP_SQ_PNS1_23onesweep_lookback_stateEbbT6_jjT7_P12ihipStream_tbENKUlT_T0_SE_SJ_E_clIS8_S8_S9_S9_EEDaSX_SY_SE_SJ_EUlSX_E_NS1_11comp_targetILNS1_3genE5ELNS1_11target_archE942ELNS1_3gpuE9ELNS1_3repE0EEENS1_47radix_sort_onesweep_sort_config_static_selectorELNS0_4arch9wavefront6targetE1EEEvSE_
	.globl	_ZN7rocprim17ROCPRIM_400000_NS6detail17trampoline_kernelINS0_14default_configENS1_35radix_sort_onesweep_config_selectorIcNS0_10empty_typeEEEZZNS1_29radix_sort_onesweep_iterationIS3_Lb0EPcS8_PS5_S9_mNS0_19identity_decomposerENS1_16block_id_wrapperIjLb0EEEEE10hipError_tT1_PNSt15iterator_traitsISE_E10value_typeET2_T3_PNSF_ISK_E10value_typeET4_T5_PSP_SQ_PNS1_23onesweep_lookback_stateEbbT6_jjT7_P12ihipStream_tbENKUlT_T0_SE_SJ_E_clIS8_S8_S9_S9_EEDaSX_SY_SE_SJ_EUlSX_E_NS1_11comp_targetILNS1_3genE5ELNS1_11target_archE942ELNS1_3gpuE9ELNS1_3repE0EEENS1_47radix_sort_onesweep_sort_config_static_selectorELNS0_4arch9wavefront6targetE1EEEvSE_
	.p2align	8
	.type	_ZN7rocprim17ROCPRIM_400000_NS6detail17trampoline_kernelINS0_14default_configENS1_35radix_sort_onesweep_config_selectorIcNS0_10empty_typeEEEZZNS1_29radix_sort_onesweep_iterationIS3_Lb0EPcS8_PS5_S9_mNS0_19identity_decomposerENS1_16block_id_wrapperIjLb0EEEEE10hipError_tT1_PNSt15iterator_traitsISE_E10value_typeET2_T3_PNSF_ISK_E10value_typeET4_T5_PSP_SQ_PNS1_23onesweep_lookback_stateEbbT6_jjT7_P12ihipStream_tbENKUlT_T0_SE_SJ_E_clIS8_S8_S9_S9_EEDaSX_SY_SE_SJ_EUlSX_E_NS1_11comp_targetILNS1_3genE5ELNS1_11target_archE942ELNS1_3gpuE9ELNS1_3repE0EEENS1_47radix_sort_onesweep_sort_config_static_selectorELNS0_4arch9wavefront6targetE1EEEvSE_,@function
_ZN7rocprim17ROCPRIM_400000_NS6detail17trampoline_kernelINS0_14default_configENS1_35radix_sort_onesweep_config_selectorIcNS0_10empty_typeEEEZZNS1_29radix_sort_onesweep_iterationIS3_Lb0EPcS8_PS5_S9_mNS0_19identity_decomposerENS1_16block_id_wrapperIjLb0EEEEE10hipError_tT1_PNSt15iterator_traitsISE_E10value_typeET2_T3_PNSF_ISK_E10value_typeET4_T5_PSP_SQ_PNS1_23onesweep_lookback_stateEbbT6_jjT7_P12ihipStream_tbENKUlT_T0_SE_SJ_E_clIS8_S8_S9_S9_EEDaSX_SY_SE_SJ_EUlSX_E_NS1_11comp_targetILNS1_3genE5ELNS1_11target_archE942ELNS1_3gpuE9ELNS1_3repE0EEENS1_47radix_sort_onesweep_sort_config_static_selectorELNS0_4arch9wavefront6targetE1EEEvSE_: ; @_ZN7rocprim17ROCPRIM_400000_NS6detail17trampoline_kernelINS0_14default_configENS1_35radix_sort_onesweep_config_selectorIcNS0_10empty_typeEEEZZNS1_29radix_sort_onesweep_iterationIS3_Lb0EPcS8_PS5_S9_mNS0_19identity_decomposerENS1_16block_id_wrapperIjLb0EEEEE10hipError_tT1_PNSt15iterator_traitsISE_E10value_typeET2_T3_PNSF_ISK_E10value_typeET4_T5_PSP_SQ_PNS1_23onesweep_lookback_stateEbbT6_jjT7_P12ihipStream_tbENKUlT_T0_SE_SJ_E_clIS8_S8_S9_S9_EEDaSX_SY_SE_SJ_EUlSX_E_NS1_11comp_targetILNS1_3genE5ELNS1_11target_archE942ELNS1_3gpuE9ELNS1_3repE0EEENS1_47radix_sort_onesweep_sort_config_static_selectorELNS0_4arch9wavefront6targetE1EEEvSE_
; %bb.0:
	.section	.rodata,"a",@progbits
	.p2align	6, 0x0
	.amdhsa_kernel _ZN7rocprim17ROCPRIM_400000_NS6detail17trampoline_kernelINS0_14default_configENS1_35radix_sort_onesweep_config_selectorIcNS0_10empty_typeEEEZZNS1_29radix_sort_onesweep_iterationIS3_Lb0EPcS8_PS5_S9_mNS0_19identity_decomposerENS1_16block_id_wrapperIjLb0EEEEE10hipError_tT1_PNSt15iterator_traitsISE_E10value_typeET2_T3_PNSF_ISK_E10value_typeET4_T5_PSP_SQ_PNS1_23onesweep_lookback_stateEbbT6_jjT7_P12ihipStream_tbENKUlT_T0_SE_SJ_E_clIS8_S8_S9_S9_EEDaSX_SY_SE_SJ_EUlSX_E_NS1_11comp_targetILNS1_3genE5ELNS1_11target_archE942ELNS1_3gpuE9ELNS1_3repE0EEENS1_47radix_sort_onesweep_sort_config_static_selectorELNS0_4arch9wavefront6targetE1EEEvSE_
		.amdhsa_group_segment_fixed_size 0
		.amdhsa_private_segment_fixed_size 0
		.amdhsa_kernarg_size 88
		.amdhsa_user_sgpr_count 6
		.amdhsa_user_sgpr_private_segment_buffer 1
		.amdhsa_user_sgpr_dispatch_ptr 0
		.amdhsa_user_sgpr_queue_ptr 0
		.amdhsa_user_sgpr_kernarg_segment_ptr 1
		.amdhsa_user_sgpr_dispatch_id 0
		.amdhsa_user_sgpr_flat_scratch_init 0
		.amdhsa_user_sgpr_kernarg_preload_length 0
		.amdhsa_user_sgpr_kernarg_preload_offset 0
		.amdhsa_user_sgpr_private_segment_size 0
		.amdhsa_uses_dynamic_stack 0
		.amdhsa_system_sgpr_private_segment_wavefront_offset 0
		.amdhsa_system_sgpr_workgroup_id_x 1
		.amdhsa_system_sgpr_workgroup_id_y 0
		.amdhsa_system_sgpr_workgroup_id_z 0
		.amdhsa_system_sgpr_workgroup_info 0
		.amdhsa_system_vgpr_workitem_id 0
		.amdhsa_next_free_vgpr 1
		.amdhsa_next_free_sgpr 0
		.amdhsa_accum_offset 4
		.amdhsa_reserve_vcc 0
		.amdhsa_reserve_flat_scratch 0
		.amdhsa_float_round_mode_32 0
		.amdhsa_float_round_mode_16_64 0
		.amdhsa_float_denorm_mode_32 3
		.amdhsa_float_denorm_mode_16_64 3
		.amdhsa_dx10_clamp 1
		.amdhsa_ieee_mode 1
		.amdhsa_fp16_overflow 0
		.amdhsa_tg_split 0
		.amdhsa_exception_fp_ieee_invalid_op 0
		.amdhsa_exception_fp_denorm_src 0
		.amdhsa_exception_fp_ieee_div_zero 0
		.amdhsa_exception_fp_ieee_overflow 0
		.amdhsa_exception_fp_ieee_underflow 0
		.amdhsa_exception_fp_ieee_inexact 0
		.amdhsa_exception_int_div_zero 0
	.end_amdhsa_kernel
	.section	.text._ZN7rocprim17ROCPRIM_400000_NS6detail17trampoline_kernelINS0_14default_configENS1_35radix_sort_onesweep_config_selectorIcNS0_10empty_typeEEEZZNS1_29radix_sort_onesweep_iterationIS3_Lb0EPcS8_PS5_S9_mNS0_19identity_decomposerENS1_16block_id_wrapperIjLb0EEEEE10hipError_tT1_PNSt15iterator_traitsISE_E10value_typeET2_T3_PNSF_ISK_E10value_typeET4_T5_PSP_SQ_PNS1_23onesweep_lookback_stateEbbT6_jjT7_P12ihipStream_tbENKUlT_T0_SE_SJ_E_clIS8_S8_S9_S9_EEDaSX_SY_SE_SJ_EUlSX_E_NS1_11comp_targetILNS1_3genE5ELNS1_11target_archE942ELNS1_3gpuE9ELNS1_3repE0EEENS1_47radix_sort_onesweep_sort_config_static_selectorELNS0_4arch9wavefront6targetE1EEEvSE_,"axG",@progbits,_ZN7rocprim17ROCPRIM_400000_NS6detail17trampoline_kernelINS0_14default_configENS1_35radix_sort_onesweep_config_selectorIcNS0_10empty_typeEEEZZNS1_29radix_sort_onesweep_iterationIS3_Lb0EPcS8_PS5_S9_mNS0_19identity_decomposerENS1_16block_id_wrapperIjLb0EEEEE10hipError_tT1_PNSt15iterator_traitsISE_E10value_typeET2_T3_PNSF_ISK_E10value_typeET4_T5_PSP_SQ_PNS1_23onesweep_lookback_stateEbbT6_jjT7_P12ihipStream_tbENKUlT_T0_SE_SJ_E_clIS8_S8_S9_S9_EEDaSX_SY_SE_SJ_EUlSX_E_NS1_11comp_targetILNS1_3genE5ELNS1_11target_archE942ELNS1_3gpuE9ELNS1_3repE0EEENS1_47radix_sort_onesweep_sort_config_static_selectorELNS0_4arch9wavefront6targetE1EEEvSE_,comdat
.Lfunc_end111:
	.size	_ZN7rocprim17ROCPRIM_400000_NS6detail17trampoline_kernelINS0_14default_configENS1_35radix_sort_onesweep_config_selectorIcNS0_10empty_typeEEEZZNS1_29radix_sort_onesweep_iterationIS3_Lb0EPcS8_PS5_S9_mNS0_19identity_decomposerENS1_16block_id_wrapperIjLb0EEEEE10hipError_tT1_PNSt15iterator_traitsISE_E10value_typeET2_T3_PNSF_ISK_E10value_typeET4_T5_PSP_SQ_PNS1_23onesweep_lookback_stateEbbT6_jjT7_P12ihipStream_tbENKUlT_T0_SE_SJ_E_clIS8_S8_S9_S9_EEDaSX_SY_SE_SJ_EUlSX_E_NS1_11comp_targetILNS1_3genE5ELNS1_11target_archE942ELNS1_3gpuE9ELNS1_3repE0EEENS1_47radix_sort_onesweep_sort_config_static_selectorELNS0_4arch9wavefront6targetE1EEEvSE_, .Lfunc_end111-_ZN7rocprim17ROCPRIM_400000_NS6detail17trampoline_kernelINS0_14default_configENS1_35radix_sort_onesweep_config_selectorIcNS0_10empty_typeEEEZZNS1_29radix_sort_onesweep_iterationIS3_Lb0EPcS8_PS5_S9_mNS0_19identity_decomposerENS1_16block_id_wrapperIjLb0EEEEE10hipError_tT1_PNSt15iterator_traitsISE_E10value_typeET2_T3_PNSF_ISK_E10value_typeET4_T5_PSP_SQ_PNS1_23onesweep_lookback_stateEbbT6_jjT7_P12ihipStream_tbENKUlT_T0_SE_SJ_E_clIS8_S8_S9_S9_EEDaSX_SY_SE_SJ_EUlSX_E_NS1_11comp_targetILNS1_3genE5ELNS1_11target_archE942ELNS1_3gpuE9ELNS1_3repE0EEENS1_47radix_sort_onesweep_sort_config_static_selectorELNS0_4arch9wavefront6targetE1EEEvSE_
                                        ; -- End function
	.section	.AMDGPU.csdata,"",@progbits
; Kernel info:
; codeLenInByte = 0
; NumSgprs: 4
; NumVgprs: 0
; NumAgprs: 0
; TotalNumVgprs: 0
; ScratchSize: 0
; MemoryBound: 0
; FloatMode: 240
; IeeeMode: 1
; LDSByteSize: 0 bytes/workgroup (compile time only)
; SGPRBlocks: 0
; VGPRBlocks: 0
; NumSGPRsForWavesPerEU: 4
; NumVGPRsForWavesPerEU: 1
; AccumOffset: 4
; Occupancy: 8
; WaveLimiterHint : 0
; COMPUTE_PGM_RSRC2:SCRATCH_EN: 0
; COMPUTE_PGM_RSRC2:USER_SGPR: 6
; COMPUTE_PGM_RSRC2:TRAP_HANDLER: 0
; COMPUTE_PGM_RSRC2:TGID_X_EN: 1
; COMPUTE_PGM_RSRC2:TGID_Y_EN: 0
; COMPUTE_PGM_RSRC2:TGID_Z_EN: 0
; COMPUTE_PGM_RSRC2:TIDIG_COMP_CNT: 0
; COMPUTE_PGM_RSRC3_GFX90A:ACCUM_OFFSET: 0
; COMPUTE_PGM_RSRC3_GFX90A:TG_SPLIT: 0
	.section	.text._ZN7rocprim17ROCPRIM_400000_NS6detail17trampoline_kernelINS0_14default_configENS1_35radix_sort_onesweep_config_selectorIcNS0_10empty_typeEEEZZNS1_29radix_sort_onesweep_iterationIS3_Lb0EPcS8_PS5_S9_mNS0_19identity_decomposerENS1_16block_id_wrapperIjLb0EEEEE10hipError_tT1_PNSt15iterator_traitsISE_E10value_typeET2_T3_PNSF_ISK_E10value_typeET4_T5_PSP_SQ_PNS1_23onesweep_lookback_stateEbbT6_jjT7_P12ihipStream_tbENKUlT_T0_SE_SJ_E_clIS8_S8_S9_S9_EEDaSX_SY_SE_SJ_EUlSX_E_NS1_11comp_targetILNS1_3genE2ELNS1_11target_archE906ELNS1_3gpuE6ELNS1_3repE0EEENS1_47radix_sort_onesweep_sort_config_static_selectorELNS0_4arch9wavefront6targetE1EEEvSE_,"axG",@progbits,_ZN7rocprim17ROCPRIM_400000_NS6detail17trampoline_kernelINS0_14default_configENS1_35radix_sort_onesweep_config_selectorIcNS0_10empty_typeEEEZZNS1_29radix_sort_onesweep_iterationIS3_Lb0EPcS8_PS5_S9_mNS0_19identity_decomposerENS1_16block_id_wrapperIjLb0EEEEE10hipError_tT1_PNSt15iterator_traitsISE_E10value_typeET2_T3_PNSF_ISK_E10value_typeET4_T5_PSP_SQ_PNS1_23onesweep_lookback_stateEbbT6_jjT7_P12ihipStream_tbENKUlT_T0_SE_SJ_E_clIS8_S8_S9_S9_EEDaSX_SY_SE_SJ_EUlSX_E_NS1_11comp_targetILNS1_3genE2ELNS1_11target_archE906ELNS1_3gpuE6ELNS1_3repE0EEENS1_47radix_sort_onesweep_sort_config_static_selectorELNS0_4arch9wavefront6targetE1EEEvSE_,comdat
	.protected	_ZN7rocprim17ROCPRIM_400000_NS6detail17trampoline_kernelINS0_14default_configENS1_35radix_sort_onesweep_config_selectorIcNS0_10empty_typeEEEZZNS1_29radix_sort_onesweep_iterationIS3_Lb0EPcS8_PS5_S9_mNS0_19identity_decomposerENS1_16block_id_wrapperIjLb0EEEEE10hipError_tT1_PNSt15iterator_traitsISE_E10value_typeET2_T3_PNSF_ISK_E10value_typeET4_T5_PSP_SQ_PNS1_23onesweep_lookback_stateEbbT6_jjT7_P12ihipStream_tbENKUlT_T0_SE_SJ_E_clIS8_S8_S9_S9_EEDaSX_SY_SE_SJ_EUlSX_E_NS1_11comp_targetILNS1_3genE2ELNS1_11target_archE906ELNS1_3gpuE6ELNS1_3repE0EEENS1_47radix_sort_onesweep_sort_config_static_selectorELNS0_4arch9wavefront6targetE1EEEvSE_ ; -- Begin function _ZN7rocprim17ROCPRIM_400000_NS6detail17trampoline_kernelINS0_14default_configENS1_35radix_sort_onesweep_config_selectorIcNS0_10empty_typeEEEZZNS1_29radix_sort_onesweep_iterationIS3_Lb0EPcS8_PS5_S9_mNS0_19identity_decomposerENS1_16block_id_wrapperIjLb0EEEEE10hipError_tT1_PNSt15iterator_traitsISE_E10value_typeET2_T3_PNSF_ISK_E10value_typeET4_T5_PSP_SQ_PNS1_23onesweep_lookback_stateEbbT6_jjT7_P12ihipStream_tbENKUlT_T0_SE_SJ_E_clIS8_S8_S9_S9_EEDaSX_SY_SE_SJ_EUlSX_E_NS1_11comp_targetILNS1_3genE2ELNS1_11target_archE906ELNS1_3gpuE6ELNS1_3repE0EEENS1_47radix_sort_onesweep_sort_config_static_selectorELNS0_4arch9wavefront6targetE1EEEvSE_
	.globl	_ZN7rocprim17ROCPRIM_400000_NS6detail17trampoline_kernelINS0_14default_configENS1_35radix_sort_onesweep_config_selectorIcNS0_10empty_typeEEEZZNS1_29radix_sort_onesweep_iterationIS3_Lb0EPcS8_PS5_S9_mNS0_19identity_decomposerENS1_16block_id_wrapperIjLb0EEEEE10hipError_tT1_PNSt15iterator_traitsISE_E10value_typeET2_T3_PNSF_ISK_E10value_typeET4_T5_PSP_SQ_PNS1_23onesweep_lookback_stateEbbT6_jjT7_P12ihipStream_tbENKUlT_T0_SE_SJ_E_clIS8_S8_S9_S9_EEDaSX_SY_SE_SJ_EUlSX_E_NS1_11comp_targetILNS1_3genE2ELNS1_11target_archE906ELNS1_3gpuE6ELNS1_3repE0EEENS1_47radix_sort_onesweep_sort_config_static_selectorELNS0_4arch9wavefront6targetE1EEEvSE_
	.p2align	8
	.type	_ZN7rocprim17ROCPRIM_400000_NS6detail17trampoline_kernelINS0_14default_configENS1_35radix_sort_onesweep_config_selectorIcNS0_10empty_typeEEEZZNS1_29radix_sort_onesweep_iterationIS3_Lb0EPcS8_PS5_S9_mNS0_19identity_decomposerENS1_16block_id_wrapperIjLb0EEEEE10hipError_tT1_PNSt15iterator_traitsISE_E10value_typeET2_T3_PNSF_ISK_E10value_typeET4_T5_PSP_SQ_PNS1_23onesweep_lookback_stateEbbT6_jjT7_P12ihipStream_tbENKUlT_T0_SE_SJ_E_clIS8_S8_S9_S9_EEDaSX_SY_SE_SJ_EUlSX_E_NS1_11comp_targetILNS1_3genE2ELNS1_11target_archE906ELNS1_3gpuE6ELNS1_3repE0EEENS1_47radix_sort_onesweep_sort_config_static_selectorELNS0_4arch9wavefront6targetE1EEEvSE_,@function
_ZN7rocprim17ROCPRIM_400000_NS6detail17trampoline_kernelINS0_14default_configENS1_35radix_sort_onesweep_config_selectorIcNS0_10empty_typeEEEZZNS1_29radix_sort_onesweep_iterationIS3_Lb0EPcS8_PS5_S9_mNS0_19identity_decomposerENS1_16block_id_wrapperIjLb0EEEEE10hipError_tT1_PNSt15iterator_traitsISE_E10value_typeET2_T3_PNSF_ISK_E10value_typeET4_T5_PSP_SQ_PNS1_23onesweep_lookback_stateEbbT6_jjT7_P12ihipStream_tbENKUlT_T0_SE_SJ_E_clIS8_S8_S9_S9_EEDaSX_SY_SE_SJ_EUlSX_E_NS1_11comp_targetILNS1_3genE2ELNS1_11target_archE906ELNS1_3gpuE6ELNS1_3repE0EEENS1_47radix_sort_onesweep_sort_config_static_selectorELNS0_4arch9wavefront6targetE1EEEvSE_: ; @_ZN7rocprim17ROCPRIM_400000_NS6detail17trampoline_kernelINS0_14default_configENS1_35radix_sort_onesweep_config_selectorIcNS0_10empty_typeEEEZZNS1_29radix_sort_onesweep_iterationIS3_Lb0EPcS8_PS5_S9_mNS0_19identity_decomposerENS1_16block_id_wrapperIjLb0EEEEE10hipError_tT1_PNSt15iterator_traitsISE_E10value_typeET2_T3_PNSF_ISK_E10value_typeET4_T5_PSP_SQ_PNS1_23onesweep_lookback_stateEbbT6_jjT7_P12ihipStream_tbENKUlT_T0_SE_SJ_E_clIS8_S8_S9_S9_EEDaSX_SY_SE_SJ_EUlSX_E_NS1_11comp_targetILNS1_3genE2ELNS1_11target_archE906ELNS1_3gpuE6ELNS1_3repE0EEENS1_47radix_sort_onesweep_sort_config_static_selectorELNS0_4arch9wavefront6targetE1EEEvSE_
; %bb.0:
	.section	.rodata,"a",@progbits
	.p2align	6, 0x0
	.amdhsa_kernel _ZN7rocprim17ROCPRIM_400000_NS6detail17trampoline_kernelINS0_14default_configENS1_35radix_sort_onesweep_config_selectorIcNS0_10empty_typeEEEZZNS1_29radix_sort_onesweep_iterationIS3_Lb0EPcS8_PS5_S9_mNS0_19identity_decomposerENS1_16block_id_wrapperIjLb0EEEEE10hipError_tT1_PNSt15iterator_traitsISE_E10value_typeET2_T3_PNSF_ISK_E10value_typeET4_T5_PSP_SQ_PNS1_23onesweep_lookback_stateEbbT6_jjT7_P12ihipStream_tbENKUlT_T0_SE_SJ_E_clIS8_S8_S9_S9_EEDaSX_SY_SE_SJ_EUlSX_E_NS1_11comp_targetILNS1_3genE2ELNS1_11target_archE906ELNS1_3gpuE6ELNS1_3repE0EEENS1_47radix_sort_onesweep_sort_config_static_selectorELNS0_4arch9wavefront6targetE1EEEvSE_
		.amdhsa_group_segment_fixed_size 0
		.amdhsa_private_segment_fixed_size 0
		.amdhsa_kernarg_size 88
		.amdhsa_user_sgpr_count 6
		.amdhsa_user_sgpr_private_segment_buffer 1
		.amdhsa_user_sgpr_dispatch_ptr 0
		.amdhsa_user_sgpr_queue_ptr 0
		.amdhsa_user_sgpr_kernarg_segment_ptr 1
		.amdhsa_user_sgpr_dispatch_id 0
		.amdhsa_user_sgpr_flat_scratch_init 0
		.amdhsa_user_sgpr_kernarg_preload_length 0
		.amdhsa_user_sgpr_kernarg_preload_offset 0
		.amdhsa_user_sgpr_private_segment_size 0
		.amdhsa_uses_dynamic_stack 0
		.amdhsa_system_sgpr_private_segment_wavefront_offset 0
		.amdhsa_system_sgpr_workgroup_id_x 1
		.amdhsa_system_sgpr_workgroup_id_y 0
		.amdhsa_system_sgpr_workgroup_id_z 0
		.amdhsa_system_sgpr_workgroup_info 0
		.amdhsa_system_vgpr_workitem_id 0
		.amdhsa_next_free_vgpr 1
		.amdhsa_next_free_sgpr 0
		.amdhsa_accum_offset 4
		.amdhsa_reserve_vcc 0
		.amdhsa_reserve_flat_scratch 0
		.amdhsa_float_round_mode_32 0
		.amdhsa_float_round_mode_16_64 0
		.amdhsa_float_denorm_mode_32 3
		.amdhsa_float_denorm_mode_16_64 3
		.amdhsa_dx10_clamp 1
		.amdhsa_ieee_mode 1
		.amdhsa_fp16_overflow 0
		.amdhsa_tg_split 0
		.amdhsa_exception_fp_ieee_invalid_op 0
		.amdhsa_exception_fp_denorm_src 0
		.amdhsa_exception_fp_ieee_div_zero 0
		.amdhsa_exception_fp_ieee_overflow 0
		.amdhsa_exception_fp_ieee_underflow 0
		.amdhsa_exception_fp_ieee_inexact 0
		.amdhsa_exception_int_div_zero 0
	.end_amdhsa_kernel
	.section	.text._ZN7rocprim17ROCPRIM_400000_NS6detail17trampoline_kernelINS0_14default_configENS1_35radix_sort_onesweep_config_selectorIcNS0_10empty_typeEEEZZNS1_29radix_sort_onesweep_iterationIS3_Lb0EPcS8_PS5_S9_mNS0_19identity_decomposerENS1_16block_id_wrapperIjLb0EEEEE10hipError_tT1_PNSt15iterator_traitsISE_E10value_typeET2_T3_PNSF_ISK_E10value_typeET4_T5_PSP_SQ_PNS1_23onesweep_lookback_stateEbbT6_jjT7_P12ihipStream_tbENKUlT_T0_SE_SJ_E_clIS8_S8_S9_S9_EEDaSX_SY_SE_SJ_EUlSX_E_NS1_11comp_targetILNS1_3genE2ELNS1_11target_archE906ELNS1_3gpuE6ELNS1_3repE0EEENS1_47radix_sort_onesweep_sort_config_static_selectorELNS0_4arch9wavefront6targetE1EEEvSE_,"axG",@progbits,_ZN7rocprim17ROCPRIM_400000_NS6detail17trampoline_kernelINS0_14default_configENS1_35radix_sort_onesweep_config_selectorIcNS0_10empty_typeEEEZZNS1_29radix_sort_onesweep_iterationIS3_Lb0EPcS8_PS5_S9_mNS0_19identity_decomposerENS1_16block_id_wrapperIjLb0EEEEE10hipError_tT1_PNSt15iterator_traitsISE_E10value_typeET2_T3_PNSF_ISK_E10value_typeET4_T5_PSP_SQ_PNS1_23onesweep_lookback_stateEbbT6_jjT7_P12ihipStream_tbENKUlT_T0_SE_SJ_E_clIS8_S8_S9_S9_EEDaSX_SY_SE_SJ_EUlSX_E_NS1_11comp_targetILNS1_3genE2ELNS1_11target_archE906ELNS1_3gpuE6ELNS1_3repE0EEENS1_47radix_sort_onesweep_sort_config_static_selectorELNS0_4arch9wavefront6targetE1EEEvSE_,comdat
.Lfunc_end112:
	.size	_ZN7rocprim17ROCPRIM_400000_NS6detail17trampoline_kernelINS0_14default_configENS1_35radix_sort_onesweep_config_selectorIcNS0_10empty_typeEEEZZNS1_29radix_sort_onesweep_iterationIS3_Lb0EPcS8_PS5_S9_mNS0_19identity_decomposerENS1_16block_id_wrapperIjLb0EEEEE10hipError_tT1_PNSt15iterator_traitsISE_E10value_typeET2_T3_PNSF_ISK_E10value_typeET4_T5_PSP_SQ_PNS1_23onesweep_lookback_stateEbbT6_jjT7_P12ihipStream_tbENKUlT_T0_SE_SJ_E_clIS8_S8_S9_S9_EEDaSX_SY_SE_SJ_EUlSX_E_NS1_11comp_targetILNS1_3genE2ELNS1_11target_archE906ELNS1_3gpuE6ELNS1_3repE0EEENS1_47radix_sort_onesweep_sort_config_static_selectorELNS0_4arch9wavefront6targetE1EEEvSE_, .Lfunc_end112-_ZN7rocprim17ROCPRIM_400000_NS6detail17trampoline_kernelINS0_14default_configENS1_35radix_sort_onesweep_config_selectorIcNS0_10empty_typeEEEZZNS1_29radix_sort_onesweep_iterationIS3_Lb0EPcS8_PS5_S9_mNS0_19identity_decomposerENS1_16block_id_wrapperIjLb0EEEEE10hipError_tT1_PNSt15iterator_traitsISE_E10value_typeET2_T3_PNSF_ISK_E10value_typeET4_T5_PSP_SQ_PNS1_23onesweep_lookback_stateEbbT6_jjT7_P12ihipStream_tbENKUlT_T0_SE_SJ_E_clIS8_S8_S9_S9_EEDaSX_SY_SE_SJ_EUlSX_E_NS1_11comp_targetILNS1_3genE2ELNS1_11target_archE906ELNS1_3gpuE6ELNS1_3repE0EEENS1_47radix_sort_onesweep_sort_config_static_selectorELNS0_4arch9wavefront6targetE1EEEvSE_
                                        ; -- End function
	.section	.AMDGPU.csdata,"",@progbits
; Kernel info:
; codeLenInByte = 0
; NumSgprs: 4
; NumVgprs: 0
; NumAgprs: 0
; TotalNumVgprs: 0
; ScratchSize: 0
; MemoryBound: 0
; FloatMode: 240
; IeeeMode: 1
; LDSByteSize: 0 bytes/workgroup (compile time only)
; SGPRBlocks: 0
; VGPRBlocks: 0
; NumSGPRsForWavesPerEU: 4
; NumVGPRsForWavesPerEU: 1
; AccumOffset: 4
; Occupancy: 8
; WaveLimiterHint : 0
; COMPUTE_PGM_RSRC2:SCRATCH_EN: 0
; COMPUTE_PGM_RSRC2:USER_SGPR: 6
; COMPUTE_PGM_RSRC2:TRAP_HANDLER: 0
; COMPUTE_PGM_RSRC2:TGID_X_EN: 1
; COMPUTE_PGM_RSRC2:TGID_Y_EN: 0
; COMPUTE_PGM_RSRC2:TGID_Z_EN: 0
; COMPUTE_PGM_RSRC2:TIDIG_COMP_CNT: 0
; COMPUTE_PGM_RSRC3_GFX90A:ACCUM_OFFSET: 0
; COMPUTE_PGM_RSRC3_GFX90A:TG_SPLIT: 0
	.section	.text._ZN7rocprim17ROCPRIM_400000_NS6detail17trampoline_kernelINS0_14default_configENS1_35radix_sort_onesweep_config_selectorIcNS0_10empty_typeEEEZZNS1_29radix_sort_onesweep_iterationIS3_Lb0EPcS8_PS5_S9_mNS0_19identity_decomposerENS1_16block_id_wrapperIjLb0EEEEE10hipError_tT1_PNSt15iterator_traitsISE_E10value_typeET2_T3_PNSF_ISK_E10value_typeET4_T5_PSP_SQ_PNS1_23onesweep_lookback_stateEbbT6_jjT7_P12ihipStream_tbENKUlT_T0_SE_SJ_E_clIS8_S8_S9_S9_EEDaSX_SY_SE_SJ_EUlSX_E_NS1_11comp_targetILNS1_3genE4ELNS1_11target_archE910ELNS1_3gpuE8ELNS1_3repE0EEENS1_47radix_sort_onesweep_sort_config_static_selectorELNS0_4arch9wavefront6targetE1EEEvSE_,"axG",@progbits,_ZN7rocprim17ROCPRIM_400000_NS6detail17trampoline_kernelINS0_14default_configENS1_35radix_sort_onesweep_config_selectorIcNS0_10empty_typeEEEZZNS1_29radix_sort_onesweep_iterationIS3_Lb0EPcS8_PS5_S9_mNS0_19identity_decomposerENS1_16block_id_wrapperIjLb0EEEEE10hipError_tT1_PNSt15iterator_traitsISE_E10value_typeET2_T3_PNSF_ISK_E10value_typeET4_T5_PSP_SQ_PNS1_23onesweep_lookback_stateEbbT6_jjT7_P12ihipStream_tbENKUlT_T0_SE_SJ_E_clIS8_S8_S9_S9_EEDaSX_SY_SE_SJ_EUlSX_E_NS1_11comp_targetILNS1_3genE4ELNS1_11target_archE910ELNS1_3gpuE8ELNS1_3repE0EEENS1_47radix_sort_onesweep_sort_config_static_selectorELNS0_4arch9wavefront6targetE1EEEvSE_,comdat
	.protected	_ZN7rocprim17ROCPRIM_400000_NS6detail17trampoline_kernelINS0_14default_configENS1_35radix_sort_onesweep_config_selectorIcNS0_10empty_typeEEEZZNS1_29radix_sort_onesweep_iterationIS3_Lb0EPcS8_PS5_S9_mNS0_19identity_decomposerENS1_16block_id_wrapperIjLb0EEEEE10hipError_tT1_PNSt15iterator_traitsISE_E10value_typeET2_T3_PNSF_ISK_E10value_typeET4_T5_PSP_SQ_PNS1_23onesweep_lookback_stateEbbT6_jjT7_P12ihipStream_tbENKUlT_T0_SE_SJ_E_clIS8_S8_S9_S9_EEDaSX_SY_SE_SJ_EUlSX_E_NS1_11comp_targetILNS1_3genE4ELNS1_11target_archE910ELNS1_3gpuE8ELNS1_3repE0EEENS1_47radix_sort_onesweep_sort_config_static_selectorELNS0_4arch9wavefront6targetE1EEEvSE_ ; -- Begin function _ZN7rocprim17ROCPRIM_400000_NS6detail17trampoline_kernelINS0_14default_configENS1_35radix_sort_onesweep_config_selectorIcNS0_10empty_typeEEEZZNS1_29radix_sort_onesweep_iterationIS3_Lb0EPcS8_PS5_S9_mNS0_19identity_decomposerENS1_16block_id_wrapperIjLb0EEEEE10hipError_tT1_PNSt15iterator_traitsISE_E10value_typeET2_T3_PNSF_ISK_E10value_typeET4_T5_PSP_SQ_PNS1_23onesweep_lookback_stateEbbT6_jjT7_P12ihipStream_tbENKUlT_T0_SE_SJ_E_clIS8_S8_S9_S9_EEDaSX_SY_SE_SJ_EUlSX_E_NS1_11comp_targetILNS1_3genE4ELNS1_11target_archE910ELNS1_3gpuE8ELNS1_3repE0EEENS1_47radix_sort_onesweep_sort_config_static_selectorELNS0_4arch9wavefront6targetE1EEEvSE_
	.globl	_ZN7rocprim17ROCPRIM_400000_NS6detail17trampoline_kernelINS0_14default_configENS1_35radix_sort_onesweep_config_selectorIcNS0_10empty_typeEEEZZNS1_29radix_sort_onesweep_iterationIS3_Lb0EPcS8_PS5_S9_mNS0_19identity_decomposerENS1_16block_id_wrapperIjLb0EEEEE10hipError_tT1_PNSt15iterator_traitsISE_E10value_typeET2_T3_PNSF_ISK_E10value_typeET4_T5_PSP_SQ_PNS1_23onesweep_lookback_stateEbbT6_jjT7_P12ihipStream_tbENKUlT_T0_SE_SJ_E_clIS8_S8_S9_S9_EEDaSX_SY_SE_SJ_EUlSX_E_NS1_11comp_targetILNS1_3genE4ELNS1_11target_archE910ELNS1_3gpuE8ELNS1_3repE0EEENS1_47radix_sort_onesweep_sort_config_static_selectorELNS0_4arch9wavefront6targetE1EEEvSE_
	.p2align	8
	.type	_ZN7rocprim17ROCPRIM_400000_NS6detail17trampoline_kernelINS0_14default_configENS1_35radix_sort_onesweep_config_selectorIcNS0_10empty_typeEEEZZNS1_29radix_sort_onesweep_iterationIS3_Lb0EPcS8_PS5_S9_mNS0_19identity_decomposerENS1_16block_id_wrapperIjLb0EEEEE10hipError_tT1_PNSt15iterator_traitsISE_E10value_typeET2_T3_PNSF_ISK_E10value_typeET4_T5_PSP_SQ_PNS1_23onesweep_lookback_stateEbbT6_jjT7_P12ihipStream_tbENKUlT_T0_SE_SJ_E_clIS8_S8_S9_S9_EEDaSX_SY_SE_SJ_EUlSX_E_NS1_11comp_targetILNS1_3genE4ELNS1_11target_archE910ELNS1_3gpuE8ELNS1_3repE0EEENS1_47radix_sort_onesweep_sort_config_static_selectorELNS0_4arch9wavefront6targetE1EEEvSE_,@function
_ZN7rocprim17ROCPRIM_400000_NS6detail17trampoline_kernelINS0_14default_configENS1_35radix_sort_onesweep_config_selectorIcNS0_10empty_typeEEEZZNS1_29radix_sort_onesweep_iterationIS3_Lb0EPcS8_PS5_S9_mNS0_19identity_decomposerENS1_16block_id_wrapperIjLb0EEEEE10hipError_tT1_PNSt15iterator_traitsISE_E10value_typeET2_T3_PNSF_ISK_E10value_typeET4_T5_PSP_SQ_PNS1_23onesweep_lookback_stateEbbT6_jjT7_P12ihipStream_tbENKUlT_T0_SE_SJ_E_clIS8_S8_S9_S9_EEDaSX_SY_SE_SJ_EUlSX_E_NS1_11comp_targetILNS1_3genE4ELNS1_11target_archE910ELNS1_3gpuE8ELNS1_3repE0EEENS1_47radix_sort_onesweep_sort_config_static_selectorELNS0_4arch9wavefront6targetE1EEEvSE_: ; @_ZN7rocprim17ROCPRIM_400000_NS6detail17trampoline_kernelINS0_14default_configENS1_35radix_sort_onesweep_config_selectorIcNS0_10empty_typeEEEZZNS1_29radix_sort_onesweep_iterationIS3_Lb0EPcS8_PS5_S9_mNS0_19identity_decomposerENS1_16block_id_wrapperIjLb0EEEEE10hipError_tT1_PNSt15iterator_traitsISE_E10value_typeET2_T3_PNSF_ISK_E10value_typeET4_T5_PSP_SQ_PNS1_23onesweep_lookback_stateEbbT6_jjT7_P12ihipStream_tbENKUlT_T0_SE_SJ_E_clIS8_S8_S9_S9_EEDaSX_SY_SE_SJ_EUlSX_E_NS1_11comp_targetILNS1_3genE4ELNS1_11target_archE910ELNS1_3gpuE8ELNS1_3repE0EEENS1_47radix_sort_onesweep_sort_config_static_selectorELNS0_4arch9wavefront6targetE1EEEvSE_
; %bb.0:
	s_load_dwordx4 s[16:19], s[4:5], 0x44
	s_load_dwordx2 s[20:21], s[4:5], 0x38
	s_load_dwordx4 s[12:15], s[4:5], 0x0
	s_load_dwordx4 s[8:11], s[4:5], 0x28
	s_mul_i32 s7, s6, 0x2c00
	s_waitcnt lgkmcnt(0)
	s_cmp_ge_u32 s6, s18
	v_mul_u32_u24_e32 v10, 22, v0
	s_cbranch_scc0 .LBB113_120
; %bb.1:
	s_load_dword s26, s[4:5], 0x20
	s_mul_i32 s0, s18, 0xffffd400
	v_mov_b32_e32 v4, 0x7f
	s_waitcnt lgkmcnt(0)
	s_add_i32 s26, s26, s0
	s_add_u32 s0, s12, s7
	s_addc_u32 s1, s13, 0
	v_mov_b32_e32 v1, s1
	v_add_co_u32_e32 v2, vcc, s0, v10
	v_addc_co_u32_e32 v3, vcc, 0, v1, vcc
	v_cmp_gt_u32_e32 vcc, s26, v10
	v_mov_b32_e32 v1, 0x7f
	s_and_saveexec_b64 s[0:1], vcc
	s_cbranch_execz .LBB113_3
; %bb.2:
	global_load_ubyte v1, v[2:3], off
.LBB113_3:
	s_or_b64 exec, exec, s[0:1]
	v_or_b32_e32 v5, 1, v10
	v_cmp_gt_u32_e32 vcc, s26, v5
	s_and_saveexec_b64 s[0:1], vcc
	s_cbranch_execz .LBB113_5
; %bb.4:
	global_load_ubyte v4, v[2:3], off offset:1
.LBB113_5:
	s_or_b64 exec, exec, s[0:1]
	v_add_u32_e32 v5, 2, v10
	v_cmp_gt_u32_e32 vcc, s26, v5
	v_mov_b32_e32 v6, 0x7f
	v_mov_b32_e32 v5, 0x7f
	s_and_saveexec_b64 s[0:1], vcc
	s_cbranch_execz .LBB113_7
; %bb.6:
	global_load_ubyte v5, v[2:3], off offset:2
.LBB113_7:
	s_or_b64 exec, exec, s[0:1]
	v_add_u32_e32 v7, 3, v10
	v_cmp_gt_u32_e32 vcc, s26, v7
	s_and_saveexec_b64 s[0:1], vcc
	s_cbranch_execz .LBB113_9
; %bb.8:
	global_load_ubyte v6, v[2:3], off offset:3
.LBB113_9:
	s_or_b64 exec, exec, s[0:1]
	v_add_u32_e32 v7, 4, v10
	v_cmp_gt_u32_e32 vcc, s26, v7
	v_mov_b32_e32 v11, 0x7f
	v_mov_b32_e32 v8, 0x7f
	s_and_saveexec_b64 s[0:1], vcc
	s_cbranch_execz .LBB113_11
; %bb.10:
	global_load_ubyte v8, v[2:3], off offset:4
.LBB113_11:
	s_or_b64 exec, exec, s[0:1]
	v_add_u32_e32 v7, 5, v10
	;; [unrolled: 18-line block ×10, first 2 shown]
	v_cmp_gt_u32_e32 vcc, s26, v7
	s_and_saveexec_b64 s[0:1], vcc
	s_cbranch_execz .LBB113_45
; %bb.44:
	global_load_ubyte v40, v[2:3], off offset:21
.LBB113_45:
	s_or_b64 exec, exec, s[0:1]
	v_lshlrev_b32_e32 v2, 2, v0
	v_mov_b32_e32 v3, 0
	s_mov_b64 s[0:1], -1
	ds_write2st64_b32 v2, v3, v3 offset1:8
	ds_write2st64_b32 v2, v3, v3 offset0:16 offset1:24
	s_and_saveexec_b64 s[2:3], s[0:1]
	s_cbranch_execz .LBB113_47
; %bb.46:
	ds_write_b32 v2, v3 offset:8192
.LBB113_47:
	s_or_b64 exec, exec, s[2:3]
	s_and_saveexec_b64 s[2:3], s[0:1]
	s_cbranch_execz .LBB113_49
; %bb.48:
	v_mov_b32_e32 v3, 0
	ds_write_b32 v2, v3 offset:10240
.LBB113_49:
	s_or_b64 exec, exec, s[2:3]
	v_cmp_gt_u32_e64 s[0:1], 7, 6
	v_cmp_gt_u32_e64 s[18:19], 7, 5
	s_and_saveexec_b64 s[2:3], s[18:19]
	s_cbranch_execz .LBB113_51
; %bb.50:
	v_mov_b32_e32 v3, 0
	ds_write_b32 v2, v3 offset:12288
.LBB113_51:
	s_or_b64 exec, exec, s[2:3]
	s_and_saveexec_b64 s[2:3], s[0:1]
	s_cbranch_execz .LBB113_53
; %bb.52:
	v_mov_b32_e32 v3, 0
	ds_write_b32 v2, v3 offset:14336
.LBB113_53:
	s_or_b64 exec, exec, s[2:3]
	s_waitcnt vmcnt(0)
	v_xor_b32_e32 v1, 0xffffff80, v1
	s_lshl_b32 s0, -1, s17
	s_not_b32 s27, s0
	v_lshrrev_b32_sdwa v2, s16, v1 dst_sel:DWORD dst_unused:UNUSED_PAD src0_sel:DWORD src1_sel:BYTE_0
	v_and_b32_e32 v2, s27, v2
	v_lshrrev_b32_e32 v3, 3, v2
	v_lshlrev_b32_e32 v2, 9, v2
	s_movk_i32 s0, 0xe00
	v_and_or_b32 v2, v2, s0, v0
	v_lshlrev_b32_e32 v2, 1, v2
	v_add_lshl_u32 v2, v2, v3, 1
	ds_read_u16 v7, v2
	v_xor_b32_e32 v4, 0xffffff80, v4
	v_xor_b32_e32 v5, 0xffffff80, v5
	v_xor_b32_e32 v6, 0xffffff80, v6
	v_xor_b32_e32 v8, 0xffffff80, v8
	s_waitcnt lgkmcnt(0)
	v_add_u16_e32 v3, 1, v7
	ds_write_b16 v2, v3
	v_lshrrev_b32_sdwa v3, s16, v4 dst_sel:DWORD dst_unused:UNUSED_PAD src0_sel:DWORD src1_sel:BYTE_0
	v_and_b32_e32 v3, s27, v3
	v_lshrrev_b32_e32 v9, 3, v3
	v_lshlrev_b32_e32 v3, 9, v3
	v_and_or_b32 v3, v3, s0, v0
	v_lshlrev_b32_e32 v3, 1, v3
	v_add_lshl_u32 v3, v3, v9, 1
	ds_read_u16 v9, v3
	v_xor_b32_e32 v14, 0xffffff80, v14
	v_xor_b32_e32 v16, 0xffffff80, v16
	v_xor_b32_e32 v18, 0xffffff80, v18
	v_xor_b32_e32 v20, 0xffffff80, v20
	s_waitcnt lgkmcnt(0)
	v_add_u16_e32 v12, 1, v9
	ds_write_b16 v3, v12
	v_lshrrev_b32_sdwa v12, s16, v5 dst_sel:DWORD dst_unused:UNUSED_PAD src0_sel:DWORD src1_sel:BYTE_0
	v_and_b32_e32 v12, s27, v12
	v_lshrrev_b32_e32 v13, 3, v12
	v_lshlrev_b32_e32 v12, 9, v12
	;; [unrolled: 15-line block ×5, first 2 shown]
	v_and_or_b32 v11, v11, s0, v0
	v_lshlrev_b32_e32 v11, 1, v11
	v_add_lshl_u32 v11, v11, v19, 1
	ds_read_u16 v19, v11
	v_xor_b32_e32 v40, 0xffffff80, v40
	s_waitcnt lgkmcnt(0)
	v_add_u16_e32 v21, 1, v19
	ds_write_b16 v11, v21
	v_lshrrev_b32_sdwa v21, s16, v14 dst_sel:DWORD dst_unused:UNUSED_PAD src0_sel:DWORD src1_sel:BYTE_0
	v_and_b32_e32 v21, s27, v21
	v_lshrrev_b32_e32 v23, 3, v21
	v_lshlrev_b32_e32 v21, 9, v21
	v_and_or_b32 v21, v21, s0, v0
	v_lshlrev_b32_e32 v21, 1, v21
	v_add_lshl_u32 v43, v21, v23, 1
	ds_read_u16 v21, v43
	s_waitcnt lgkmcnt(0)
	v_add_u16_e32 v23, 1, v21
	ds_write_b16 v43, v23
	v_lshrrev_b32_sdwa v23, s16, v16 dst_sel:DWORD dst_unused:UNUSED_PAD src0_sel:DWORD src1_sel:BYTE_0
	v_and_b32_e32 v23, s27, v23
	v_lshrrev_b32_e32 v25, 3, v23
	v_lshlrev_b32_e32 v23, 9, v23
	v_and_or_b32 v23, v23, s0, v0
	v_lshlrev_b32_e32 v23, 1, v23
	v_add_lshl_u32 v46, v23, v25, 1
	ds_read_u16 v23, v46
	;; [unrolled: 11-line block ×16, first 2 shown]
	s_waitcnt lgkmcnt(0)
	v_add_u16_e32 v68, 1, v59
	ds_write_b16 v67, v68
	v_lshlrev_b32_e32 v68, 5, v0
	s_waitcnt lgkmcnt(0)
	s_barrier
	ds_read2_b64 v[70:73], v68 offset1:1
	ds_read2_b64 v[74:77], v68 offset0:2 offset1:3
	s_waitcnt lgkmcnt(1)
	v_add_u32_e32 v69, v71, v70
	v_add3_u32 v69, v69, v72, v73
	s_waitcnt lgkmcnt(0)
	v_add3_u32 v69, v69, v74, v75
	v_add3_u32 v70, v69, v76, v77
	v_mbcnt_lo_u32_b32 v69, -1, 0
	v_mbcnt_hi_u32_b32 v69, -1, v69
	v_and_b32_e32 v71, 15, v69
	v_mov_b32_dpp v72, v70 row_shr:1 row_mask:0xf bank_mask:0xf
	v_cmp_ne_u32_e32 vcc, 0, v71
	v_cndmask_b32_e32 v72, 0, v72, vcc
	v_add_u32_e32 v70, v72, v70
	v_cmp_lt_u32_e32 vcc, 1, v71
	s_nop 0
	v_mov_b32_dpp v72, v70 row_shr:2 row_mask:0xf bank_mask:0xf
	v_cndmask_b32_e32 v72, 0, v72, vcc
	v_add_u32_e32 v70, v70, v72
	v_cmp_lt_u32_e32 vcc, 3, v71
	s_nop 0
	v_mov_b32_dpp v72, v70 row_shr:4 row_mask:0xf bank_mask:0xf
	;; [unrolled: 5-line block ×3, first 2 shown]
	v_cndmask_b32_e32 v71, 0, v72, vcc
	v_add_u32_e32 v70, v70, v71
	v_bfe_i32 v72, v69, 4, 1
	v_cmp_lt_u32_e32 vcc, 31, v69
	v_mov_b32_dpp v71, v70 row_bcast:15 row_mask:0xf bank_mask:0xf
	v_and_b32_e32 v71, v72, v71
	v_add_u32_e32 v70, v70, v71
	v_or_b32_e32 v72, 63, v0
	s_nop 0
	v_mov_b32_dpp v71, v70 row_bcast:31 row_mask:0xf bank_mask:0xf
	v_cndmask_b32_e32 v71, 0, v71, vcc
	v_add_u32_e32 v70, v70, v71
	v_lshrrev_b32_e32 v71, 6, v0
	v_cmp_eq_u32_e32 vcc, v72, v0
	v_lshlrev_b32_e32 v71, 2, v71
	s_and_saveexec_b64 s[0:1], vcc
	s_cbranch_execz .LBB113_55
; %bb.54:
	ds_write_b32 v71, v70 offset:16384
.LBB113_55:
	s_or_b64 exec, exec, s[0:1]
	v_cmp_gt_u32_e32 vcc, 8, v0
	s_waitcnt lgkmcnt(0)
	s_barrier
	s_and_saveexec_b64 s[0:1], vcc
	s_cbranch_execz .LBB113_57
; %bb.56:
	s_movk_i32 s2, 0xffe4
	v_mad_i32_i24 v72, v0, s2, v68
	ds_read_b32 v73, v72 offset:16384
	v_and_b32_e32 v74, 7, v69
	v_cmp_ne_u32_e32 vcc, 0, v74
	s_waitcnt lgkmcnt(0)
	v_mov_b32_dpp v75, v73 row_shr:1 row_mask:0xf bank_mask:0xf
	v_cndmask_b32_e32 v75, 0, v75, vcc
	v_add_u32_e32 v73, v75, v73
	v_cmp_lt_u32_e32 vcc, 1, v74
	s_nop 0
	v_mov_b32_dpp v75, v73 row_shr:2 row_mask:0xf bank_mask:0xf
	v_cndmask_b32_e32 v75, 0, v75, vcc
	v_add_u32_e32 v73, v73, v75
	v_cmp_lt_u32_e32 vcc, 3, v74
	s_nop 0
	v_mov_b32_dpp v75, v73 row_shr:4 row_mask:0xf bank_mask:0xf
	v_cndmask_b32_e32 v74, 0, v75, vcc
	v_add_u32_e32 v73, v73, v74
	ds_write_b32 v72, v73 offset:16384
.LBB113_57:
	s_or_b64 exec, exec, s[0:1]
	v_cmp_lt_u32_e32 vcc, 63, v0
	v_mov_b32_e32 v73, 0
	v_mov_b32_e32 v72, 0
	s_waitcnt lgkmcnt(0)
	s_barrier
	s_and_saveexec_b64 s[0:1], vcc
	s_cbranch_execz .LBB113_59
; %bb.58:
	ds_read_b32 v72, v71 offset:16380
.LBB113_59:
	s_or_b64 exec, exec, s[0:1]
	v_add_u32_e32 v71, -1, v69
	v_and_b32_e32 v74, 64, v69
	v_cmp_lt_i32_e32 vcc, v71, v74
	v_cndmask_b32_e32 v71, v71, v69, vcc
	s_waitcnt lgkmcnt(0)
	v_add_u32_e32 v70, v72, v70
	v_lshlrev_b32_e32 v71, 2, v71
	ds_bpermute_b32 v70, v71, v70
	ds_read_b32 v71, v73 offset:16412
	ds_read2_b64 v[74:77], v68 offset1:1
	v_cmp_eq_u32_e32 vcc, 0, v69
	ds_read_b32 v78, v68 offset:24
	s_waitcnt lgkmcnt(3)
	v_cndmask_b32_e32 v69, v70, v72, vcc
	ds_read_b64 v[72:73], v68 offset:16
	s_waitcnt lgkmcnt(3)
	v_lshl_add_u32 v70, v71, 16, v69
	s_waitcnt lgkmcnt(2)
	v_add_u32_e32 v71, v70, v74
	v_add_u32_e32 v74, v75, v71
	;; [unrolled: 1-line block ×3, first 2 shown]
	ds_write2_b64 v68, v[70:71], v[74:75] offset1:1
	v_add_u32_e32 v70, v77, v75
	s_waitcnt lgkmcnt(1)
	v_add_u32_e32 v71, v72, v70
	v_add_u32_e32 v72, v73, v71
	;; [unrolled: 1-line block ×3, first 2 shown]
	ds_write2_b64 v68, v[70:71], v[72:73] offset0:2 offset1:3
	s_waitcnt lgkmcnt(0)
	s_barrier
	ds_read_u16 v68, v2
	ds_read_u16 v69, v3
	;; [unrolled: 1-line block ×22, first 2 shown]
	v_cmp_gt_u32_e32 vcc, 16, v0
	v_pk_mov_b32 v[2:3], 0, 0
                                        ; implicit-def: $vgpr11
	s_and_saveexec_b64 s[2:3], vcc
	s_cbranch_execz .LBB113_63
; %bb.60:
	v_lshrrev_b32_e32 v2, 3, v0
	v_lshlrev_b32_e32 v3, 10, v0
	s_movk_i32 s22, 0x1c00
	v_and_or_b32 v2, v3, s22, v2
	v_lshlrev_b32_e32 v2, 1, v2
	ds_read_u16 v2, v2
	v_add_u32_e32 v11, 1, v0
	v_cmp_ne_u32_e64 s[0:1], 16, v11
	v_mov_b32_e32 v3, 0x2c00
	s_and_saveexec_b64 s[18:19], s[0:1]
	s_cbranch_execz .LBB113_62
; %bb.61:
	v_lshlrev_b32_e32 v3, 10, v11
	v_lshrrev_b32_e32 v11, 3, v11
	v_and_or_b32 v3, v3, s22, v11
	v_lshlrev_b32_e32 v3, 1, v3
	ds_read_u16 v3, v3
.LBB113_62:
	s_or_b64 exec, exec, s[18:19]
	s_waitcnt lgkmcnt(0)
	v_and_b32_e32 v2, 0xffff, v2
	s_mov_b32 s0, 0
	v_sub_u32_e32 v11, v3, v2
	v_mov_b32_e32 v3, s0
.LBB113_63:
	s_or_b64 exec, exec, s[2:3]
	s_waitcnt lgkmcnt(14)
	v_add_u32_sdwa v7, v68, v7 dst_sel:DWORD dst_unused:UNUSED_PAD src0_sel:WORD_0 src1_sel:WORD_0
	v_add_u32_sdwa v9, v69, v9 dst_sel:DWORD dst_unused:UNUSED_PAD src0_sel:WORD_0 src1_sel:WORD_0
	;; [unrolled: 1-line block ×8, first 2 shown]
	s_waitcnt lgkmcnt(13)
	v_add_u32_sdwa v25, v48, v25 dst_sel:DWORD dst_unused:UNUSED_PAD src0_sel:WORD_0 src1_sel:WORD_0
	s_waitcnt lgkmcnt(12)
	v_add_u32_sdwa v27, v50, v27 dst_sel:DWORD dst_unused:UNUSED_PAD src0_sel:WORD_0 src1_sel:WORD_0
	;; [unrolled: 2-line block ×14, first 2 shown]
	s_barrier
	ds_write_b8 v7, v1 offset:128
	ds_write_b8 v9, v4 offset:128
	;; [unrolled: 1-line block ×22, first 2 shown]
	s_and_saveexec_b64 s[2:3], vcc
	s_cbranch_execz .LBB113_73
; %bb.64:
	v_lshl_or_b32 v4, s6, 4, v0
	v_mov_b32_e32 v5, 0
	v_lshlrev_b64 v[6:7], 2, v[4:5]
	v_mov_b32_e32 v1, s21
	v_add_co_u32_e64 v6, s[0:1], s20, v6
	v_addc_co_u32_e64 v7, s[0:1], v1, v7, s[0:1]
	v_or_b32_e32 v4, 2.0, v11
	s_mov_b64 s[18:19], 0
	s_brev_b32 s28, 1
	s_mov_b32 s29, s6
	v_mov_b32_e32 v12, 0
	global_store_dword v[6:7], v4, off
                                        ; implicit-def: $sgpr0_sgpr1
	s_branch .LBB113_66
.LBB113_65:                             ;   in Loop: Header=BB113_66 Depth=1
	s_or_b64 exec, exec, s[22:23]
	v_and_b32_e32 v8, 0x3fffffff, v13
	v_add_u32_e32 v12, v8, v12
	v_cmp_eq_u32_e64 s[0:1], s28, v4
	s_and_b64 s[22:23], exec, s[0:1]
	s_or_b64 s[18:19], s[22:23], s[18:19]
	s_andn2_b64 exec, exec, s[18:19]
	s_cbranch_execz .LBB113_72
.LBB113_66:                             ; =>This Loop Header: Depth=1
                                        ;     Child Loop BB113_69 Depth 2
	s_or_b64 s[0:1], s[0:1], exec
	s_cmp_eq_u32 s29, 0
	s_cbranch_scc1 .LBB113_71
; %bb.67:                               ;   in Loop: Header=BB113_66 Depth=1
	s_add_i32 s29, s29, -1
	v_lshl_or_b32 v4, s29, 4, v0
	v_lshlrev_b64 v[8:9], 2, v[4:5]
	v_add_co_u32_e64 v8, s[0:1], s20, v8
	v_addc_co_u32_e64 v9, s[0:1], v1, v9, s[0:1]
	global_load_dword v13, v[8:9], off glc
	s_waitcnt vmcnt(0)
	v_and_b32_e32 v4, -2.0, v13
	v_cmp_eq_u32_e64 s[0:1], 0, v4
	s_and_saveexec_b64 s[22:23], s[0:1]
	s_cbranch_execz .LBB113_65
; %bb.68:                               ;   in Loop: Header=BB113_66 Depth=1
	s_mov_b64 s[24:25], 0
.LBB113_69:                             ;   Parent Loop BB113_66 Depth=1
                                        ; =>  This Inner Loop Header: Depth=2
	global_load_dword v13, v[8:9], off glc
	s_waitcnt vmcnt(0)
	v_and_b32_e32 v4, -2.0, v13
	v_cmp_ne_u32_e64 s[0:1], 0, v4
	s_or_b64 s[24:25], s[0:1], s[24:25]
	s_andn2_b64 exec, exec, s[24:25]
	s_cbranch_execnz .LBB113_69
; %bb.70:                               ;   in Loop: Header=BB113_66 Depth=1
	s_or_b64 exec, exec, s[24:25]
	s_branch .LBB113_65
.LBB113_71:                             ;   in Loop: Header=BB113_66 Depth=1
                                        ; implicit-def: $sgpr29
	s_and_b64 s[22:23], exec, s[0:1]
	s_or_b64 s[18:19], s[22:23], s[18:19]
	s_andn2_b64 exec, exec, s[18:19]
	s_cbranch_execnz .LBB113_66
.LBB113_72:
	s_or_b64 exec, exec, s[18:19]
	v_add_u32_e32 v1, v12, v11
	v_or_b32_e32 v1, 0x80000000, v1
	global_store_dword v[6:7], v1, off
	v_lshlrev_b32_e32 v1, 3, v0
	global_load_dwordx2 v[4:5], v1, s[8:9]
	v_sub_co_u32_e64 v6, s[0:1], v12, v2
	v_subb_co_u32_e64 v7, s[0:1], 0, v3, s[0:1]
	s_waitcnt vmcnt(0)
	v_add_co_u32_e64 v4, s[0:1], v6, v4
	v_addc_co_u32_e64 v5, s[0:1], v7, v5, s[0:1]
	ds_write_b64 v1, v[4:5]
.LBB113_73:
	s_or_b64 exec, exec, s[2:3]
	v_cmp_gt_u32_e64 s[0:1], s26, v0
	s_waitcnt lgkmcnt(0)
	s_barrier
	s_and_saveexec_b64 s[2:3], s[0:1]
	s_cbranch_execz .LBB113_75
; %bb.74:
	ds_read_u8 v1, v0 offset:128
	v_mov_b32_e32 v6, s15
	s_waitcnt lgkmcnt(0)
	v_lshrrev_b32_sdwa v4, s16, v1 dst_sel:DWORD dst_unused:UNUSED_PAD src0_sel:DWORD src1_sel:BYTE_0
	v_and_b32_e32 v4, s27, v4
	v_lshlrev_b32_e32 v4, 3, v4
	ds_read_b64 v[4:5], v4
	v_xor_b32_e32 v1, 0x80, v1
	s_waitcnt lgkmcnt(0)
	v_add_co_u32_e64 v4, s[0:1], s14, v4
	v_addc_co_u32_e64 v5, s[0:1], v6, v5, s[0:1]
	v_add_co_u32_e64 v4, s[0:1], v4, v0
	v_addc_co_u32_e64 v5, s[0:1], 0, v5, s[0:1]
	global_store_byte v[4:5], v1, off
.LBB113_75:
	s_or_b64 exec, exec, s[2:3]
	v_or_b32_e32 v1, 0x200, v0
	v_cmp_gt_u32_e64 s[0:1], s26, v1
	s_and_saveexec_b64 s[2:3], s[0:1]
	s_cbranch_execz .LBB113_77
; %bb.76:
	ds_read_u8 v1, v0 offset:640
	v_mov_b32_e32 v6, s15
	s_waitcnt lgkmcnt(0)
	v_lshrrev_b32_sdwa v4, s16, v1 dst_sel:DWORD dst_unused:UNUSED_PAD src0_sel:DWORD src1_sel:BYTE_0
	v_and_b32_e32 v4, s27, v4
	v_lshlrev_b32_e32 v4, 3, v4
	ds_read_b64 v[4:5], v4
	v_xor_b32_e32 v1, 0x80, v1
	s_waitcnt lgkmcnt(0)
	v_add_co_u32_e64 v4, s[0:1], s14, v4
	v_addc_co_u32_e64 v5, s[0:1], v6, v5, s[0:1]
	v_add_co_u32_e64 v4, s[0:1], v4, v0
	v_addc_co_u32_e64 v5, s[0:1], 0, v5, s[0:1]
	global_store_byte v[4:5], v1, off offset:512
.LBB113_77:
	s_or_b64 exec, exec, s[2:3]
	v_or_b32_e32 v1, 0x400, v0
	v_cmp_gt_u32_e64 s[0:1], s26, v1
	s_and_saveexec_b64 s[2:3], s[0:1]
	s_cbranch_execz .LBB113_79
; %bb.78:
	ds_read_u8 v1, v0 offset:1152
	v_mov_b32_e32 v6, s15
	s_waitcnt lgkmcnt(0)
	v_lshrrev_b32_sdwa v4, s16, v1 dst_sel:DWORD dst_unused:UNUSED_PAD src0_sel:DWORD src1_sel:BYTE_0
	v_and_b32_e32 v4, s27, v4
	v_lshlrev_b32_e32 v4, 3, v4
	ds_read_b64 v[4:5], v4
	v_xor_b32_e32 v1, 0x80, v1
	s_waitcnt lgkmcnt(0)
	v_add_co_u32_e64 v4, s[0:1], s14, v4
	v_addc_co_u32_e64 v5, s[0:1], v6, v5, s[0:1]
	v_add_co_u32_e64 v4, s[0:1], v4, v0
	v_addc_co_u32_e64 v5, s[0:1], 0, v5, s[0:1]
	global_store_byte v[4:5], v1, off offset:1024
.LBB113_79:
	;; [unrolled: 21-line block ×7, first 2 shown]
	s_or_b64 exec, exec, s[2:3]
	v_or_b32_e32 v1, 0x1000, v0
	v_cmp_gt_u32_e64 s[0:1], s26, v1
	s_and_saveexec_b64 s[2:3], s[0:1]
	s_cbranch_execz .LBB113_91
; %bb.90:
	ds_read_u8 v6, v0 offset:4224
	v_mov_b32_e32 v7, s15
	s_waitcnt lgkmcnt(0)
	v_lshrrev_b32_sdwa v4, s16, v6 dst_sel:DWORD dst_unused:UNUSED_PAD src0_sel:DWORD src1_sel:BYTE_0
	v_and_b32_e32 v4, s27, v4
	v_lshlrev_b32_e32 v4, 3, v4
	ds_read_b64 v[4:5], v4
	v_xor_b32_e32 v6, 0x80, v6
	s_waitcnt lgkmcnt(0)
	v_add_co_u32_e64 v4, s[0:1], s14, v4
	v_addc_co_u32_e64 v5, s[0:1], v7, v5, s[0:1]
	v_add_co_u32_e64 v4, s[0:1], v4, v1
	v_addc_co_u32_e64 v5, s[0:1], 0, v5, s[0:1]
	global_store_byte v[4:5], v6, off
.LBB113_91:
	s_or_b64 exec, exec, s[2:3]
	v_or_b32_e32 v1, 0x1200, v0
	v_cmp_gt_u32_e64 s[0:1], s26, v1
	s_and_saveexec_b64 s[2:3], s[0:1]
	s_cbranch_execz .LBB113_93
; %bb.92:
	ds_read_u8 v6, v0 offset:4736
	v_mov_b32_e32 v7, s15
	s_waitcnt lgkmcnt(0)
	v_lshrrev_b32_sdwa v4, s16, v6 dst_sel:DWORD dst_unused:UNUSED_PAD src0_sel:DWORD src1_sel:BYTE_0
	v_and_b32_e32 v4, s27, v4
	v_lshlrev_b32_e32 v4, 3, v4
	ds_read_b64 v[4:5], v4
	v_xor_b32_e32 v6, 0x80, v6
	s_waitcnt lgkmcnt(0)
	v_add_co_u32_e64 v4, s[0:1], s14, v4
	v_addc_co_u32_e64 v5, s[0:1], v7, v5, s[0:1]
	v_add_co_u32_e64 v4, s[0:1], v4, v1
	v_addc_co_u32_e64 v5, s[0:1], 0, v5, s[0:1]
	global_store_byte v[4:5], v6, off
.LBB113_93:
	;; [unrolled: 21-line block ×14, first 2 shown]
	s_or_b64 exec, exec, s[2:3]
	s_load_dword s2, s[4:5], 0x58
	s_mov_b64 s[0:1], 0
	s_mov_b64 s[18:19], 0
                                        ; implicit-def: $vgpr4_vgpr5
	s_waitcnt lgkmcnt(0)
	s_add_i32 s2, s2, -1
	s_cmp_eq_u32 s2, s6
	s_cselect_b64 s[2:3], -1, 0
	s_and_b64 s[2:3], vcc, s[2:3]
	s_and_saveexec_b64 s[22:23], s[2:3]
	s_xor_b64 s[2:3], exec, s[22:23]
; %bb.118:
	v_add_co_u32_e32 v4, vcc, v2, v11
	s_mov_b64 s[18:19], exec
	v_mov_b32_e32 v1, 0
	v_addc_co_u32_e32 v5, vcc, 0, v3, vcc
; %bb.119:
	s_or_b64 exec, exec, s[2:3]
	s_and_b64 vcc, exec, s[0:1]
	s_cbranch_vccnz .LBB113_121
	s_branch .LBB113_154
.LBB113_120:
	s_mov_b64 s[18:19], 0
                                        ; implicit-def: $vgpr4_vgpr5
	s_cbranch_execz .LBB113_154
.LBB113_121:
	s_add_u32 s0, s12, s7
	s_addc_u32 s1, s13, 0
	global_load_ushort v7, v10, s[0:1] offset:20
	global_load_dwordx4 v[2:5], v10, s[0:1]
	global_load_dword v6, v10, s[0:1] offset:16
	v_mov_b32_e32 v9, 8
	s_mov_b32 s7, 0x3020104
	v_lshlrev_b32_e32 v1, 2, v0
	v_mov_b32_e32 v8, 0
	s_mov_b64 s[0:1], -1
	ds_write2st64_b32 v1, v8, v8 offset1:8
	ds_write2st64_b32 v1, v8, v8 offset0:16 offset1:24
	s_waitcnt vmcnt(2)
	v_lshrrev_b32_sdwa v9, v9, v7 dst_sel:BYTE_1 dst_unused:UNUSED_PAD src0_sel:DWORD src1_sel:DWORD
	v_or_b32_sdwa v7, v7, v9 dst_sel:DWORD dst_unused:UNUSED_PAD src0_sel:BYTE_0 src1_sel:DWORD
	s_and_saveexec_b64 s[2:3], s[0:1]
	s_cbranch_execz .LBB113_123
; %bb.122:
	ds_write_b32 v1, v8 offset:8192
.LBB113_123:
	s_or_b64 exec, exec, s[2:3]
	v_and_b32_e32 v7, 0xffff, v7
	s_waitcnt vmcnt(0)
	v_perm_b32 v6, v6, v6, s7
	s_and_saveexec_b64 s[2:3], s[0:1]
	s_cbranch_execz .LBB113_125
; %bb.124:
	v_mov_b32_e32 v8, 0
	ds_write_b32 v1, v8 offset:10240
.LBB113_125:
	s_or_b64 exec, exec, s[2:3]
	v_cmp_gt_u32_e64 s[0:1], 7, 6
	v_cmp_gt_u32_e64 s[12:13], 7, 5
	s_and_saveexec_b64 s[2:3], s[12:13]
	s_cbranch_execz .LBB113_127
; %bb.126:
	v_mov_b32_e32 v8, 0
	ds_write_b32 v1, v8 offset:12288
.LBB113_127:
	s_or_b64 exec, exec, s[2:3]
	s_and_saveexec_b64 s[2:3], s[0:1]
	s_cbranch_execz .LBB113_129
; %bb.128:
	v_mov_b32_e32 v8, 0
	ds_write_b32 v1, v8 offset:14336
.LBB113_129:
	s_or_b64 exec, exec, s[2:3]
	v_xor_b32_e32 v1, 0xffffff80, v2
	s_lshl_b32 s0, -1, s17
	s_not_b32 s7, s0
	v_lshrrev_b32_sdwa v8, s16, v1 dst_sel:DWORD dst_unused:UNUSED_PAD src0_sel:DWORD src1_sel:BYTE_0
	v_and_b32_e32 v8, s7, v8
	v_lshrrev_b32_e32 v9, 3, v8
	v_lshlrev_b32_e32 v8, 9, v8
	s_movk_i32 s0, 0xe00
	v_and_or_b32 v8, v8, s0, v0
	v_lshlrev_b32_e32 v8, 1, v8
	v_add_lshl_u32 v10, v8, v9, 1
	ds_read_u16 v12, v10
	v_lshrrev_b32_e32 v8, 8, v2
	v_xor_b32_e32 v8, 0xffffff80, v8
	s_movk_i32 s1, 0xff80
	v_lshrrev_b64 v[18:19], 24, v[2:3]
	s_waitcnt lgkmcnt(0)
	v_add_u16_e32 v9, 1, v12
	ds_write_b16 v10, v9
	v_lshrrev_b32_sdwa v9, s16, v8 dst_sel:DWORD dst_unused:UNUSED_PAD src0_sel:DWORD src1_sel:BYTE_0
	v_and_b32_e32 v9, s7, v9
	v_lshrrev_b32_e32 v11, 3, v9
	v_lshlrev_b32_e32 v9, 9, v9
	v_and_or_b32 v9, v9, s0, v0
	v_lshlrev_b32_e32 v9, 1, v9
	v_add_lshl_u32 v28, v9, v11, 1
	ds_read_u16 v14, v28
	v_xor_b32_sdwa v9, v2, s1 dst_sel:DWORD dst_unused:UNUSED_PAD src0_sel:WORD_1 src1_sel:DWORD
	v_lshrrev_b64 v[34:35], 24, v[4:5]
	v_lshrrev_b64 v[64:65], 24, v[6:7]
	s_waitcnt lgkmcnt(0)
	v_add_u16_e32 v11, 1, v14
	ds_write_b16 v28, v11
	v_lshrrev_b32_sdwa v11, s16, v9 dst_sel:DWORD dst_unused:UNUSED_PAD src0_sel:DWORD src1_sel:BYTE_0
	v_and_b32_e32 v11, s7, v11
	v_lshrrev_b32_e32 v13, 3, v11
	v_lshlrev_b32_e32 v11, 9, v11
	v_and_or_b32 v11, v11, s0, v0
	v_lshlrev_b32_e32 v11, 1, v11
	v_add_lshl_u32 v31, v11, v13, 1
	ds_read_u16 v16, v31
	v_xor_b32_e32 v11, 0xffffff80, v18
	s_waitcnt lgkmcnt(0)
	v_add_u16_e32 v2, 1, v16
	ds_write_b16 v31, v2
	v_lshrrev_b32_sdwa v2, s16, v11 dst_sel:DWORD dst_unused:UNUSED_PAD src0_sel:DWORD src1_sel:BYTE_0
	v_and_b32_e32 v2, s7, v2
	v_lshrrev_b32_e32 v13, 3, v2
	v_lshlrev_b32_e32 v2, 9, v2
	v_and_or_b32 v2, v2, s0, v0
	v_lshlrev_b32_e32 v2, 1, v2
	v_add_lshl_u32 v2, v2, v13, 1
	ds_read_u16 v18, v2
	v_xor_b32_e32 v13, 0xffffff80, v3
	s_waitcnt lgkmcnt(0)
	v_add_u16_e32 v15, 1, v18
	ds_write_b16 v2, v15
	v_lshrrev_b32_sdwa v15, s16, v13 dst_sel:DWORD dst_unused:UNUSED_PAD src0_sel:DWORD src1_sel:BYTE_0
	v_and_b32_e32 v15, s7, v15
	v_lshrrev_b32_e32 v17, 3, v15
	v_lshlrev_b32_e32 v15, 9, v15
	v_and_or_b32 v15, v15, s0, v0
	v_lshlrev_b32_e32 v15, 1, v15
	v_add_lshl_u32 v36, v15, v17, 1
	ds_read_u16 v20, v36
	v_lshrrev_b32_e32 v15, 8, v3
	v_xor_b32_e32 v15, 0xffffff80, v15
	s_waitcnt lgkmcnt(0)
	v_add_u16_e32 v17, 1, v20
	ds_write_b16 v36, v17
	v_lshrrev_b32_sdwa v17, s16, v15 dst_sel:DWORD dst_unused:UNUSED_PAD src0_sel:DWORD src1_sel:BYTE_0
	v_and_b32_e32 v17, s7, v17
	v_lshrrev_b32_e32 v19, 3, v17
	v_lshlrev_b32_e32 v17, 9, v17
	v_and_or_b32 v17, v17, s0, v0
	v_lshlrev_b32_e32 v17, 1, v17
	v_add_lshl_u32 v38, v17, v19, 1
	ds_read_u16 v22, v38
	v_xor_b32_sdwa v17, v3, s1 dst_sel:DWORD dst_unused:UNUSED_PAD src0_sel:WORD_1 src1_sel:DWORD
	s_waitcnt lgkmcnt(0)
	v_add_u16_e32 v19, 1, v22
	ds_write_b16 v38, v19
	v_lshrrev_b32_sdwa v19, s16, v17 dst_sel:DWORD dst_unused:UNUSED_PAD src0_sel:DWORD src1_sel:BYTE_0
	v_and_b32_e32 v19, s7, v19
	v_lshrrev_b32_e32 v21, 3, v19
	v_lshlrev_b32_e32 v19, 9, v19
	v_and_or_b32 v19, v19, s0, v0
	v_lshlrev_b32_e32 v19, 1, v19
	v_add_lshl_u32 v41, v19, v21, 1
	ds_read_u16 v24, v41
	v_xor_b32_sdwa v19, v3, s1 dst_sel:DWORD dst_unused:UNUSED_PAD src0_sel:BYTE_3 src1_sel:DWORD
	s_waitcnt lgkmcnt(0)
	v_add_u16_e32 v3, 1, v24
	ds_write_b16 v41, v3
	v_lshrrev_b32_sdwa v3, s16, v19 dst_sel:DWORD dst_unused:UNUSED_PAD src0_sel:DWORD src1_sel:BYTE_0
	v_and_b32_e32 v3, s7, v3
	v_lshrrev_b32_e32 v21, 3, v3
	v_lshlrev_b32_e32 v3, 9, v3
	v_and_or_b32 v3, v3, s0, v0
	v_lshlrev_b32_e32 v3, 1, v3
	v_add_lshl_u32 v3, v3, v21, 1
	ds_read_u16 v26, v3
	v_xor_b32_e32 v21, 0xffffff80, v4
	s_waitcnt lgkmcnt(0)
	v_add_u16_e32 v23, 1, v26
	ds_write_b16 v3, v23
	v_lshrrev_b32_sdwa v23, s16, v21 dst_sel:DWORD dst_unused:UNUSED_PAD src0_sel:DWORD src1_sel:BYTE_0
	v_and_b32_e32 v23, s7, v23
	v_lshrrev_b32_e32 v25, 3, v23
	v_lshlrev_b32_e32 v23, 9, v23
	v_and_or_b32 v23, v23, s0, v0
	v_lshlrev_b32_e32 v23, 1, v23
	v_add_lshl_u32 v46, v23, v25, 1
	ds_read_u16 v27, v46
	v_lshrrev_b32_e32 v23, 8, v4
	v_xor_b32_e32 v23, 0xffffff80, v23
	s_waitcnt lgkmcnt(0)
	v_add_u16_e32 v25, 1, v27
	ds_write_b16 v46, v25
	v_lshrrev_b32_sdwa v25, s16, v23 dst_sel:DWORD dst_unused:UNUSED_PAD src0_sel:DWORD src1_sel:BYTE_0
	v_and_b32_e32 v25, s7, v25
	v_lshrrev_b32_e32 v29, 3, v25
	v_lshlrev_b32_e32 v25, 9, v25
	v_and_or_b32 v25, v25, s0, v0
	v_lshlrev_b32_e32 v25, 1, v25
	v_add_lshl_u32 v48, v25, v29, 1
	ds_read_u16 v30, v48
	v_xor_b32_sdwa v25, v4, s1 dst_sel:DWORD dst_unused:UNUSED_PAD src0_sel:WORD_1 src1_sel:DWORD
	v_xor_b32_e32 v4, 0xffffff80, v34
	s_waitcnt lgkmcnt(0)
	v_add_u16_e32 v29, 1, v30
	ds_write_b16 v48, v29
	v_lshrrev_b32_sdwa v29, s16, v25 dst_sel:DWORD dst_unused:UNUSED_PAD src0_sel:DWORD src1_sel:BYTE_0
	v_and_b32_e32 v29, s7, v29
	v_lshrrev_b32_e32 v32, 3, v29
	v_lshlrev_b32_e32 v29, 9, v29
	v_and_or_b32 v29, v29, s0, v0
	v_lshlrev_b32_e32 v29, 1, v29
	v_add_lshl_u32 v51, v29, v32, 1
	ds_read_u16 v33, v51
	s_waitcnt lgkmcnt(0)
	v_add_u16_e32 v29, 1, v33
	ds_write_b16 v51, v29
	v_lshrrev_b32_sdwa v29, s16, v4 dst_sel:DWORD dst_unused:UNUSED_PAD src0_sel:DWORD src1_sel:BYTE_0
	v_and_b32_e32 v29, s7, v29
	v_lshrrev_b32_e32 v32, 3, v29
	v_lshlrev_b32_e32 v29, 9, v29
	v_and_or_b32 v29, v29, s0, v0
	v_lshlrev_b32_e32 v29, 1, v29
	v_add_lshl_u32 v53, v29, v32, 1
	ds_read_u16 v35, v53
	v_xor_b32_e32 v29, 0xffffff80, v5
	s_waitcnt lgkmcnt(0)
	v_add_u16_e32 v32, 1, v35
	ds_write_b16 v53, v32
	v_lshrrev_b32_sdwa v32, s16, v29 dst_sel:DWORD dst_unused:UNUSED_PAD src0_sel:DWORD src1_sel:BYTE_0
	v_and_b32_e32 v32, s7, v32
	v_lshrrev_b32_e32 v34, 3, v32
	v_lshlrev_b32_e32 v32, 9, v32
	v_and_or_b32 v32, v32, s0, v0
	v_lshlrev_b32_e32 v32, 1, v32
	v_add_lshl_u32 v55, v32, v34, 1
	ds_read_u16 v37, v55
	v_lshrrev_b32_e32 v32, 8, v5
	v_xor_b32_e32 v32, 0xffffff80, v32
	s_waitcnt lgkmcnt(0)
	v_add_u16_e32 v34, 1, v37
	ds_write_b16 v55, v34
	v_lshrrev_b32_sdwa v34, s16, v32 dst_sel:DWORD dst_unused:UNUSED_PAD src0_sel:DWORD src1_sel:BYTE_0
	v_and_b32_e32 v34, s7, v34
	v_lshrrev_b32_e32 v39, 3, v34
	v_lshlrev_b32_e32 v34, 9, v34
	v_and_or_b32 v34, v34, s0, v0
	v_lshlrev_b32_e32 v34, 1, v34
	v_add_lshl_u32 v57, v34, v39, 1
	ds_read_u16 v40, v57
	v_xor_b32_sdwa v34, v5, s1 dst_sel:DWORD dst_unused:UNUSED_PAD src0_sel:WORD_1 src1_sel:DWORD
	v_xor_b32_sdwa v5, v5, s1 dst_sel:DWORD dst_unused:UNUSED_PAD src0_sel:BYTE_3 src1_sel:DWORD
	s_waitcnt lgkmcnt(0)
	v_add_u16_e32 v39, 1, v40
	ds_write_b16 v57, v39
	v_lshrrev_b32_sdwa v39, s16, v34 dst_sel:DWORD dst_unused:UNUSED_PAD src0_sel:DWORD src1_sel:BYTE_0
	v_and_b32_e32 v39, s7, v39
	v_lshrrev_b32_e32 v42, 3, v39
	v_lshlrev_b32_e32 v39, 9, v39
	v_and_or_b32 v39, v39, s0, v0
	v_lshlrev_b32_e32 v39, 1, v39
	v_add_lshl_u32 v59, v39, v42, 1
	ds_read_u16 v43, v59
	s_waitcnt lgkmcnt(0)
	v_add_u16_e32 v39, 1, v43
	ds_write_b16 v59, v39
	v_lshrrev_b32_sdwa v39, s16, v5 dst_sel:DWORD dst_unused:UNUSED_PAD src0_sel:DWORD src1_sel:BYTE_0
	v_and_b32_e32 v39, s7, v39
	v_lshrrev_b32_e32 v42, 3, v39
	v_lshlrev_b32_e32 v39, 9, v39
	v_and_or_b32 v39, v39, s0, v0
	v_lshlrev_b32_e32 v39, 1, v39
	v_add_lshl_u32 v60, v39, v42, 1
	ds_read_u16 v45, v60
	v_xor_b32_e32 v39, 0xffffff80, v6
	s_waitcnt lgkmcnt(0)
	v_add_u16_e32 v42, 1, v45
	ds_write_b16 v60, v42
	v_lshrrev_b32_sdwa v42, s16, v39 dst_sel:DWORD dst_unused:UNUSED_PAD src0_sel:DWORD src1_sel:BYTE_0
	v_and_b32_e32 v42, s7, v42
	v_lshrrev_b32_e32 v44, 3, v42
	v_lshlrev_b32_e32 v42, 9, v42
	v_and_or_b32 v42, v42, s0, v0
	v_lshlrev_b32_e32 v42, 1, v42
	v_add_lshl_u32 v61, v42, v44, 1
	ds_read_u16 v47, v61
	v_lshrrev_b32_e32 v42, 8, v6
	v_xor_b32_e32 v42, 0xffffff80, v42
	s_waitcnt lgkmcnt(0)
	v_add_u16_e32 v44, 1, v47
	ds_write_b16 v61, v44
	v_lshrrev_b32_sdwa v44, s16, v42 dst_sel:DWORD dst_unused:UNUSED_PAD src0_sel:DWORD src1_sel:BYTE_0
	v_and_b32_e32 v44, s7, v44
	v_lshrrev_b32_e32 v49, 3, v44
	v_lshlrev_b32_e32 v44, 9, v44
	v_and_or_b32 v44, v44, s0, v0
	v_lshlrev_b32_e32 v44, 1, v44
	v_add_lshl_u32 v62, v44, v49, 1
	ds_read_u16 v50, v62
	v_xor_b32_sdwa v44, v6, s1 dst_sel:DWORD dst_unused:UNUSED_PAD src0_sel:WORD_1 src1_sel:DWORD
	v_xor_b32_e32 v6, 0xffffff80, v64
	s_waitcnt lgkmcnt(0)
	v_add_u16_e32 v49, 1, v50
	ds_write_b16 v62, v49
	v_lshrrev_b32_sdwa v49, s16, v44 dst_sel:DWORD dst_unused:UNUSED_PAD src0_sel:DWORD src1_sel:BYTE_0
	v_and_b32_e32 v49, s7, v49
	v_lshrrev_b32_e32 v52, 3, v49
	v_lshlrev_b32_e32 v49, 9, v49
	v_and_or_b32 v49, v49, s0, v0
	v_lshlrev_b32_e32 v49, 1, v49
	v_add_lshl_u32 v63, v49, v52, 1
	ds_read_u16 v52, v63
	s_waitcnt lgkmcnt(0)
	v_add_u16_e32 v49, 1, v52
	ds_write_b16 v63, v49
	v_lshrrev_b32_sdwa v49, s16, v6 dst_sel:DWORD dst_unused:UNUSED_PAD src0_sel:DWORD src1_sel:BYTE_0
	v_and_b32_e32 v49, s7, v49
	v_lshrrev_b32_e32 v54, 3, v49
	v_lshlrev_b32_e32 v49, 9, v49
	v_and_or_b32 v49, v49, s0, v0
	v_lshlrev_b32_e32 v49, 1, v49
	v_add_lshl_u32 v64, v49, v54, 1
	ds_read_u16 v54, v64
	v_xor_b32_e32 v49, 0xffffff80, v7
	v_lshrrev_b32_e32 v7, 8, v7
	v_xor_b32_e32 v7, 0xffffff80, v7
	s_waitcnt lgkmcnt(0)
	v_add_u16_e32 v56, 1, v54
	ds_write_b16 v64, v56
	v_lshrrev_b32_sdwa v56, s16, v49 dst_sel:DWORD dst_unused:UNUSED_PAD src0_sel:DWORD src1_sel:BYTE_0
	v_and_b32_e32 v56, s7, v56
	v_lshrrev_b32_e32 v58, 3, v56
	v_lshlrev_b32_e32 v56, 9, v56
	v_and_or_b32 v56, v56, s0, v0
	v_lshlrev_b32_e32 v56, 1, v56
	v_add_lshl_u32 v65, v56, v58, 1
	ds_read_u16 v56, v65
	s_waitcnt lgkmcnt(0)
	v_add_u16_e32 v58, 1, v56
	ds_write_b16 v65, v58
	v_lshrrev_b32_sdwa v58, s16, v7 dst_sel:DWORD dst_unused:UNUSED_PAD src0_sel:DWORD src1_sel:BYTE_0
	v_and_b32_e32 v58, s7, v58
	v_lshrrev_b32_e32 v66, 3, v58
	v_lshlrev_b32_e32 v58, 9, v58
	v_and_or_b32 v58, v58, s0, v0
	v_lshlrev_b32_e32 v58, 1, v58
	v_add_lshl_u32 v66, v58, v66, 1
	ds_read_u16 v58, v66
	s_waitcnt lgkmcnt(0)
	v_add_u16_e32 v67, 1, v58
	ds_write_b16 v66, v67
	v_lshlrev_b32_e32 v67, 5, v0
	s_waitcnt lgkmcnt(0)
	s_barrier
	ds_read2_b64 v[68:71], v67 offset1:1
	ds_read2_b64 v[72:75], v67 offset0:2 offset1:3
	s_waitcnt lgkmcnt(1)
	v_add_u32_e32 v68, v69, v68
	v_add3_u32 v68, v68, v70, v71
	s_waitcnt lgkmcnt(0)
	v_add3_u32 v68, v68, v72, v73
	v_add3_u32 v69, v68, v74, v75
	v_mbcnt_lo_u32_b32 v68, -1, 0
	v_mbcnt_hi_u32_b32 v68, -1, v68
	v_and_b32_e32 v70, 15, v68
	v_mov_b32_dpp v71, v69 row_shr:1 row_mask:0xf bank_mask:0xf
	v_cmp_ne_u32_e32 vcc, 0, v70
	v_cndmask_b32_e32 v71, 0, v71, vcc
	v_add_u32_e32 v69, v71, v69
	v_cmp_lt_u32_e32 vcc, 1, v70
	s_nop 0
	v_mov_b32_dpp v71, v69 row_shr:2 row_mask:0xf bank_mask:0xf
	v_cndmask_b32_e32 v71, 0, v71, vcc
	v_add_u32_e32 v69, v69, v71
	v_cmp_lt_u32_e32 vcc, 3, v70
	s_nop 0
	v_mov_b32_dpp v71, v69 row_shr:4 row_mask:0xf bank_mask:0xf
	;; [unrolled: 5-line block ×3, first 2 shown]
	v_cndmask_b32_e32 v70, 0, v71, vcc
	v_add_u32_e32 v69, v69, v70
	v_bfe_i32 v71, v68, 4, 1
	v_cmp_lt_u32_e32 vcc, 31, v68
	v_mov_b32_dpp v70, v69 row_bcast:15 row_mask:0xf bank_mask:0xf
	v_and_b32_e32 v70, v71, v70
	v_add_u32_e32 v69, v69, v70
	v_or_b32_e32 v71, 63, v0
	s_nop 0
	v_mov_b32_dpp v70, v69 row_bcast:31 row_mask:0xf bank_mask:0xf
	v_cndmask_b32_e32 v70, 0, v70, vcc
	v_add_u32_e32 v69, v69, v70
	v_lshrrev_b32_e32 v70, 6, v0
	v_cmp_eq_u32_e32 vcc, v71, v0
	v_lshlrev_b32_e32 v70, 2, v70
	s_and_saveexec_b64 s[0:1], vcc
	s_cbranch_execz .LBB113_131
; %bb.130:
	ds_write_b32 v70, v69 offset:16384
.LBB113_131:
	s_or_b64 exec, exec, s[0:1]
	v_cmp_gt_u32_e32 vcc, 8, v0
	s_waitcnt lgkmcnt(0)
	s_barrier
	s_and_saveexec_b64 s[0:1], vcc
	s_cbranch_execz .LBB113_133
; %bb.132:
	s_movk_i32 s2, 0xffe4
	v_mad_i32_i24 v71, v0, s2, v67
	ds_read_b32 v72, v71 offset:16384
	v_and_b32_e32 v73, 7, v68
	v_cmp_ne_u32_e32 vcc, 0, v73
	s_waitcnt lgkmcnt(0)
	v_mov_b32_dpp v74, v72 row_shr:1 row_mask:0xf bank_mask:0xf
	v_cndmask_b32_e32 v74, 0, v74, vcc
	v_add_u32_e32 v72, v74, v72
	v_cmp_lt_u32_e32 vcc, 1, v73
	s_nop 0
	v_mov_b32_dpp v74, v72 row_shr:2 row_mask:0xf bank_mask:0xf
	v_cndmask_b32_e32 v74, 0, v74, vcc
	v_add_u32_e32 v72, v72, v74
	v_cmp_lt_u32_e32 vcc, 3, v73
	s_nop 0
	v_mov_b32_dpp v74, v72 row_shr:4 row_mask:0xf bank_mask:0xf
	v_cndmask_b32_e32 v73, 0, v74, vcc
	v_add_u32_e32 v72, v72, v73
	ds_write_b32 v71, v72 offset:16384
.LBB113_133:
	s_or_b64 exec, exec, s[0:1]
	v_cmp_lt_u32_e32 vcc, 63, v0
	v_mov_b32_e32 v72, 0
	v_mov_b32_e32 v71, 0
	s_waitcnt lgkmcnt(0)
	s_barrier
	s_and_saveexec_b64 s[0:1], vcc
	s_cbranch_execz .LBB113_135
; %bb.134:
	ds_read_b32 v71, v70 offset:16380
.LBB113_135:
	s_or_b64 exec, exec, s[0:1]
	v_add_u32_e32 v70, -1, v68
	v_and_b32_e32 v73, 64, v68
	v_cmp_lt_i32_e32 vcc, v70, v73
	v_cndmask_b32_e32 v70, v70, v68, vcc
	s_waitcnt lgkmcnt(0)
	v_add_u32_e32 v69, v71, v69
	v_lshlrev_b32_e32 v70, 2, v70
	ds_bpermute_b32 v69, v70, v69
	ds_read_b32 v70, v72 offset:16412
	ds_read2_b64 v[72:75], v67 offset1:1
	v_cmp_eq_u32_e32 vcc, 0, v68
	ds_read_b32 v76, v67 offset:24
	v_cmp_lt_u32_e64 s[0:1], 15, v0
	s_waitcnt lgkmcnt(3)
	v_cndmask_b32_e32 v68, v69, v71, vcc
	s_waitcnt lgkmcnt(2)
	v_lshl_add_u32 v68, v70, 16, v68
	ds_read_b64 v[70:71], v67 offset:16
	s_waitcnt lgkmcnt(2)
	v_add_u32_e32 v69, v68, v72
	v_add_u32_e32 v72, v73, v69
	;; [unrolled: 1-line block ×3, first 2 shown]
	ds_write2_b64 v67, v[68:69], v[72:73] offset1:1
	v_add_u32_e32 v68, v75, v73
	s_waitcnt lgkmcnt(1)
	v_add_u32_e32 v69, v70, v68
	v_add_u32_e32 v70, v71, v69
	;; [unrolled: 1-line block ×3, first 2 shown]
	ds_write2_b64 v67, v[68:69], v[70:71] offset0:2 offset1:3
	s_waitcnt lgkmcnt(0)
	s_barrier
	ds_read_u16 v67, v10
	ds_read_u16 v28, v28
	;; [unrolled: 1-line block ×22, first 2 shown]
	v_cmp_gt_u32_e32 vcc, 16, v0
	v_pk_mov_b32 v[2:3], 0, 0
                                        ; implicit-def: $vgpr10
	s_and_saveexec_b64 s[12:13], vcc
	s_cbranch_execz .LBB113_139
; %bb.136:
	v_lshrrev_b32_e32 v2, 3, v0
	v_lshlrev_b32_e32 v3, 10, v0
	s_movk_i32 s17, 0x1c00
	v_and_or_b32 v2, v3, s17, v2
	v_lshlrev_b32_e32 v2, 1, v2
	ds_read_u16 v2, v2
	v_add_u32_e32 v10, 1, v0
	v_cmp_ne_u32_e64 s[2:3], 16, v10
	v_mov_b32_e32 v3, 0x2c00
	s_and_saveexec_b64 s[22:23], s[2:3]
	s_cbranch_execz .LBB113_138
; %bb.137:
	v_lshlrev_b32_e32 v3, 10, v10
	v_lshrrev_b32_e32 v10, 3, v10
	v_and_or_b32 v3, v3, s17, v10
	v_lshlrev_b32_e32 v3, 1, v3
	ds_read_u16 v3, v3
.LBB113_138:
	s_or_b64 exec, exec, s[22:23]
	s_waitcnt lgkmcnt(0)
	v_and_b32_e32 v2, 0xffff, v2
	s_mov_b32 s2, 0
	v_sub_u32_e32 v10, v3, v2
	v_mov_b32_e32 v3, s2
.LBB113_139:
	s_or_b64 exec, exec, s[12:13]
	s_waitcnt lgkmcnt(14)
	v_add_u32_sdwa v12, v67, v12 dst_sel:DWORD dst_unused:UNUSED_PAD src0_sel:WORD_0 src1_sel:WORD_0
	v_add_u32_sdwa v14, v28, v14 dst_sel:DWORD dst_unused:UNUSED_PAD src0_sel:WORD_0 src1_sel:WORD_0
	;; [unrolled: 1-line block ×8, first 2 shown]
	s_waitcnt lgkmcnt(13)
	v_add_u32_sdwa v27, v46, v27 dst_sel:DWORD dst_unused:UNUSED_PAD src0_sel:WORD_0 src1_sel:WORD_0
	s_waitcnt lgkmcnt(12)
	v_add_u32_sdwa v28, v48, v30 dst_sel:DWORD dst_unused:UNUSED_PAD src0_sel:WORD_0 src1_sel:WORD_0
	;; [unrolled: 2-line block ×14, first 2 shown]
	s_barrier
	ds_write_b8 v12, v1 offset:128
	ds_write_b8 v14, v8 offset:128
	;; [unrolled: 1-line block ×22, first 2 shown]
	s_and_saveexec_b64 s[2:3], s[0:1]
	s_xor_b64 s[0:1], exec, s[2:3]
; %bb.140:
	v_mov_b32_e32 v1, 0
; %bb.141:
	s_andn2_saveexec_b64 s[2:3], s[0:1]
	s_cbranch_execz .LBB113_151
; %bb.142:
	v_lshl_or_b32 v4, s6, 4, v0
	v_mov_b32_e32 v5, 0
	v_lshlrev_b64 v[6:7], 2, v[4:5]
	v_mov_b32_e32 v1, s21
	v_add_co_u32_e64 v6, s[0:1], s20, v6
	v_addc_co_u32_e64 v7, s[0:1], v1, v7, s[0:1]
	v_or_b32_e32 v4, 2.0, v10
	s_mov_b64 s[12:13], 0
	s_brev_b32 s17, 1
	s_mov_b32 s21, s6
	v_mov_b32_e32 v11, 0
	global_store_dword v[6:7], v4, off
                                        ; implicit-def: $sgpr0_sgpr1
	s_branch .LBB113_145
.LBB113_143:                            ;   in Loop: Header=BB113_145 Depth=1
	s_or_b64 exec, exec, s[24:25]
.LBB113_144:                            ;   in Loop: Header=BB113_145 Depth=1
	s_or_b64 exec, exec, s[22:23]
	v_and_b32_e32 v8, 0x3fffffff, v12
	v_add_u32_e32 v11, v8, v11
	v_cmp_eq_u32_e64 s[0:1], s17, v4
	s_and_b64 s[22:23], exec, s[0:1]
	s_or_b64 s[12:13], s[22:23], s[12:13]
	s_andn2_b64 exec, exec, s[12:13]
	s_cbranch_execz .LBB113_150
.LBB113_145:                            ; =>This Loop Header: Depth=1
                                        ;     Child Loop BB113_148 Depth 2
	s_or_b64 s[0:1], s[0:1], exec
	s_cmp_eq_u32 s21, 0
	s_cbranch_scc1 .LBB113_149
; %bb.146:                              ;   in Loop: Header=BB113_145 Depth=1
	s_add_i32 s21, s21, -1
	v_lshl_or_b32 v4, s21, 4, v0
	v_lshlrev_b64 v[8:9], 2, v[4:5]
	v_add_co_u32_e64 v8, s[0:1], s20, v8
	v_addc_co_u32_e64 v9, s[0:1], v1, v9, s[0:1]
	global_load_dword v12, v[8:9], off glc
	s_waitcnt vmcnt(0)
	v_and_b32_e32 v4, -2.0, v12
	v_cmp_eq_u32_e64 s[0:1], 0, v4
	s_and_saveexec_b64 s[22:23], s[0:1]
	s_cbranch_execz .LBB113_144
; %bb.147:                              ;   in Loop: Header=BB113_145 Depth=1
	s_mov_b64 s[24:25], 0
.LBB113_148:                            ;   Parent Loop BB113_145 Depth=1
                                        ; =>  This Inner Loop Header: Depth=2
	global_load_dword v12, v[8:9], off glc
	s_waitcnt vmcnt(0)
	v_and_b32_e32 v4, -2.0, v12
	v_cmp_ne_u32_e64 s[0:1], 0, v4
	s_or_b64 s[24:25], s[0:1], s[24:25]
	s_andn2_b64 exec, exec, s[24:25]
	s_cbranch_execnz .LBB113_148
	s_branch .LBB113_143
.LBB113_149:                            ;   in Loop: Header=BB113_145 Depth=1
                                        ; implicit-def: $sgpr21
	s_and_b64 s[22:23], exec, s[0:1]
	s_or_b64 s[12:13], s[22:23], s[12:13]
	s_andn2_b64 exec, exec, s[12:13]
	s_cbranch_execnz .LBB113_145
.LBB113_150:
	s_or_b64 exec, exec, s[12:13]
	v_add_u32_e32 v1, v11, v10
	v_or_b32_e32 v1, 0x80000000, v1
	global_store_dword v[6:7], v1, off
	v_lshlrev_b32_e32 v6, 3, v0
	global_load_dwordx2 v[4:5], v6, s[8:9]
	v_sub_co_u32_e64 v7, s[0:1], v11, v2
	v_subb_co_u32_e64 v8, s[0:1], 0, v3, s[0:1]
	v_mov_b32_e32 v1, 0
	s_waitcnt vmcnt(0)
	v_add_co_u32_e64 v4, s[0:1], v7, v4
	v_addc_co_u32_e64 v5, s[0:1], v8, v5, s[0:1]
	ds_write_b64 v6, v[4:5]
.LBB113_151:
	s_or_b64 exec, exec, s[2:3]
	s_waitcnt lgkmcnt(0)
	s_barrier
	ds_read_u8 v11, v0 offset:10368
	ds_read_u8 v18, v0 offset:9344
	;; [unrolled: 1-line block ×5, first 2 shown]
	s_waitcnt lgkmcnt(4)
	v_lshrrev_b32_sdwa v4, s16, v11 dst_sel:DWORD dst_unused:UNUSED_PAD src0_sel:DWORD src1_sel:BYTE_0
	v_and_b32_e32 v4, s7, v4
	v_lshlrev_b32_e32 v4, 3, v4
	ds_read_b64 v[6:7], v4
	ds_read_u8 v8, v0 offset:128
	s_waitcnt lgkmcnt(2)
	v_lshrrev_b32_sdwa v4, s16, v21 dst_sel:DWORD dst_unused:UNUSED_PAD src0_sel:DWORD src1_sel:BYTE_0
	v_and_b32_e32 v4, s7, v4
	v_lshlrev_b32_e32 v4, 3, v4
	ds_read_b64 v[4:5], v4
	s_waitcnt lgkmcnt(1)
	v_lshrrev_b32_sdwa v9, s16, v8 dst_sel:DWORD dst_unused:UNUSED_PAD src0_sel:DWORD src1_sel:BYTE_0
	v_and_b32_e32 v9, s7, v9
	v_xor_b32_e32 v22, 0x80, v8
	v_lshlrev_b32_e32 v8, 3, v9
	v_lshrrev_b32_sdwa v9, s16, v20 dst_sel:DWORD dst_unused:UNUSED_PAD src0_sel:DWORD src1_sel:BYTE_0
	v_and_b32_e32 v9, s7, v9
	v_lshlrev_b32_e32 v12, 3, v9
	ds_read_u8 v24, v0 offset:1152
	ds_read_u8 v25, v0 offset:1664
	;; [unrolled: 1-line block ×8, first 2 shown]
	s_waitcnt lgkmcnt(7)
	v_lshrrev_b32_sdwa v9, s16, v24 dst_sel:DWORD dst_unused:UNUSED_PAD src0_sel:DWORD src1_sel:BYTE_0
	v_and_b32_e32 v9, s7, v9
	v_lshlrev_b32_e32 v14, 3, v9
	s_waitcnt lgkmcnt(6)
	v_lshrrev_b32_sdwa v9, s16, v25 dst_sel:DWORD dst_unused:UNUSED_PAD src0_sel:DWORD src1_sel:BYTE_0
	v_and_b32_e32 v9, s7, v9
	v_lshlrev_b32_e32 v16, 3, v9
	ds_read_b64 v[8:9], v8
	ds_read_b64 v[12:13], v12
	;; [unrolled: 1-line block ×4, first 2 shown]
	v_mov_b32_e32 v23, s15
	s_waitcnt lgkmcnt(3)
	v_add_co_u32_e64 v8, s[0:1], s14, v8
	v_addc_co_u32_e64 v9, s[0:1], v23, v9, s[0:1]
	v_add_co_u32_e64 v8, s[0:1], v8, v0
	v_addc_co_u32_e64 v9, s[0:1], v9, v1, s[0:1]
	global_store_byte v[8:9], v22, off
	v_mov_b32_e32 v8, s15
	s_waitcnt lgkmcnt(2)
	v_add_co_u32_e64 v9, s[0:1], s14, v12
	v_addc_co_u32_e64 v12, s[0:1], v8, v13, s[0:1]
	v_add_co_u32_e64 v8, s[0:1], v9, v0
	v_xor_b32_e32 v20, 0x80, v20
	v_addc_co_u32_e64 v9, s[0:1], v12, v1, s[0:1]
	global_store_byte v[8:9], v20, off offset:512
	v_mov_b32_e32 v8, s15
	s_waitcnt lgkmcnt(1)
	v_add_co_u32_e64 v9, s[0:1], s14, v14
	v_addc_co_u32_e64 v13, s[0:1], v8, v15, s[0:1]
	v_add_co_u32_e64 v8, s[0:1], v9, v0
	v_xor_b32_e32 v12, 0x80, v24
	v_addc_co_u32_e64 v9, s[0:1], v13, v1, s[0:1]
	global_store_byte v[8:9], v12, off offset:1024
	;; [unrolled: 8-line block ×3, first 2 shown]
	v_lshrrev_b32_sdwa v9, s16, v27 dst_sel:DWORD dst_unused:UNUSED_PAD src0_sel:DWORD src1_sel:BYTE_0
	v_and_b32_e32 v9, s7, v9
	v_lshlrev_b32_e32 v12, 3, v9
	v_lshrrev_b32_sdwa v9, s16, v28 dst_sel:DWORD dst_unused:UNUSED_PAD src0_sel:DWORD src1_sel:BYTE_0
	v_and_b32_e32 v9, s7, v9
	v_lshrrev_b32_sdwa v8, s16, v26 dst_sel:DWORD dst_unused:UNUSED_PAD src0_sel:DWORD src1_sel:BYTE_0
	v_lshlrev_b32_e32 v14, 3, v9
	v_lshrrev_b32_sdwa v9, s16, v29 dst_sel:DWORD dst_unused:UNUSED_PAD src0_sel:DWORD src1_sel:BYTE_0
	v_and_b32_e32 v8, s7, v8
	v_and_b32_e32 v9, s7, v9
	v_lshlrev_b32_e32 v8, 3, v8
	v_lshlrev_b32_e32 v16, 3, v9
	ds_read_b64 v[8:9], v8
	ds_read_b64 v[12:13], v12
	ds_read_b64 v[14:15], v14
	ds_read_b64 v[16:17], v16
	v_mov_b32_e32 v22, s15
	s_waitcnt lgkmcnt(3)
	v_add_co_u32_e64 v8, s[0:1], s14, v8
	v_addc_co_u32_e64 v9, s[0:1], v22, v9, s[0:1]
	v_add_co_u32_e64 v8, s[0:1], v8, v0
	v_xor_b32_e32 v20, 0x80, v26
	v_addc_co_u32_e64 v9, s[0:1], v9, v1, s[0:1]
	global_store_byte v[8:9], v20, off offset:2048
	v_mov_b32_e32 v8, s15
	s_waitcnt lgkmcnt(2)
	v_add_co_u32_e64 v9, s[0:1], s14, v12
	v_addc_co_u32_e64 v12, s[0:1], v8, v13, s[0:1]
	v_add_co_u32_e64 v8, s[0:1], v9, v0
	v_xor_b32_e32 v20, 0x80, v27
	v_addc_co_u32_e64 v9, s[0:1], v12, v1, s[0:1]
	global_store_byte v[8:9], v20, off offset:2560
	;; [unrolled: 8-line block ×4, first 2 shown]
	v_lshrrev_b32_sdwa v9, s16, v31 dst_sel:DWORD dst_unused:UNUSED_PAD src0_sel:DWORD src1_sel:BYTE_0
	v_and_b32_e32 v9, s7, v9
	v_lshrrev_b32_sdwa v8, s16, v30 dst_sel:DWORD dst_unused:UNUSED_PAD src0_sel:DWORD src1_sel:BYTE_0
	v_xor_b32_e32 v22, 0x80, v30
	v_lshlrev_b32_e32 v12, 3, v9
	ds_read_u8 v24, v0 offset:5248
	ds_read_u8 v25, v0 offset:5760
	;; [unrolled: 1-line block ×8, first 2 shown]
	s_waitcnt lgkmcnt(7)
	v_lshrrev_b32_sdwa v9, s16, v24 dst_sel:DWORD dst_unused:UNUSED_PAD src0_sel:DWORD src1_sel:BYTE_0
	v_and_b32_e32 v9, s7, v9
	v_lshlrev_b32_e32 v14, 3, v9
	s_waitcnt lgkmcnt(6)
	v_lshrrev_b32_sdwa v9, s16, v25 dst_sel:DWORD dst_unused:UNUSED_PAD src0_sel:DWORD src1_sel:BYTE_0
	v_and_b32_e32 v8, s7, v8
	v_and_b32_e32 v9, s7, v9
	v_lshlrev_b32_e32 v8, 3, v8
	v_lshlrev_b32_e32 v16, 3, v9
	ds_read_b64 v[8:9], v8
	ds_read_b64 v[12:13], v12
	;; [unrolled: 1-line block ×4, first 2 shown]
	v_or_b32_e32 v20, 0x1000, v0
	s_waitcnt lgkmcnt(3)
	v_add_co_u32_e64 v8, s[0:1], s14, v8
	v_addc_co_u32_e64 v9, s[0:1], v23, v9, s[0:1]
	v_add_co_u32_e64 v8, s[0:1], v8, v20
	v_addc_co_u32_e64 v9, s[0:1], 0, v9, s[0:1]
	global_store_byte v[8:9], v22, off
	v_mov_b32_e32 v9, s15
	s_waitcnt lgkmcnt(2)
	v_add_co_u32_e64 v12, s[0:1], s14, v12
	v_or_b32_e32 v8, 0x1200, v0
	v_addc_co_u32_e64 v9, s[0:1], v9, v13, s[0:1]
	v_add_co_u32_e64 v8, s[0:1], v12, v8
	v_xor_b32_e32 v20, 0x80, v31
	v_addc_co_u32_e64 v9, s[0:1], 0, v9, s[0:1]
	global_store_byte v[8:9], v20, off
	v_mov_b32_e32 v9, s15
	s_waitcnt lgkmcnt(1)
	v_add_co_u32_e64 v13, s[0:1], s14, v14
	v_or_b32_e32 v8, 0x1400, v0
	v_addc_co_u32_e64 v9, s[0:1], v9, v15, s[0:1]
	v_add_co_u32_e64 v8, s[0:1], v13, v8
	v_xor_b32_e32 v12, 0x80, v24
	;; [unrolled: 9-line block ×3, first 2 shown]
	v_addc_co_u32_e64 v9, s[0:1], 0, v9, s[0:1]
	global_store_byte v[8:9], v12, off
	v_lshrrev_b32_sdwa v9, s16, v27 dst_sel:DWORD dst_unused:UNUSED_PAD src0_sel:DWORD src1_sel:BYTE_0
	v_and_b32_e32 v9, s7, v9
	v_lshlrev_b32_e32 v12, 3, v9
	v_lshrrev_b32_sdwa v9, s16, v28 dst_sel:DWORD dst_unused:UNUSED_PAD src0_sel:DWORD src1_sel:BYTE_0
	v_and_b32_e32 v9, s7, v9
	v_lshrrev_b32_sdwa v8, s16, v26 dst_sel:DWORD dst_unused:UNUSED_PAD src0_sel:DWORD src1_sel:BYTE_0
	v_lshlrev_b32_e32 v14, 3, v9
	v_lshrrev_b32_sdwa v9, s16, v29 dst_sel:DWORD dst_unused:UNUSED_PAD src0_sel:DWORD src1_sel:BYTE_0
	v_and_b32_e32 v8, s7, v8
	v_and_b32_e32 v9, s7, v9
	v_lshlrev_b32_e32 v8, 3, v8
	v_lshlrev_b32_e32 v16, 3, v9
	ds_read_b64 v[8:9], v8
	ds_read_b64 v[12:13], v12
	;; [unrolled: 1-line block ×4, first 2 shown]
	v_or_b32_e32 v20, 0x1800, v0
	s_waitcnt lgkmcnt(3)
	v_add_co_u32_e64 v8, s[0:1], s14, v8
	v_addc_co_u32_e64 v9, s[0:1], v23, v9, s[0:1]
	v_add_co_u32_e64 v8, s[0:1], v8, v20
	v_xor_b32_e32 v22, 0x80, v26
	v_addc_co_u32_e64 v9, s[0:1], 0, v9, s[0:1]
	global_store_byte v[8:9], v22, off
	v_mov_b32_e32 v9, s15
	s_waitcnt lgkmcnt(2)
	v_add_co_u32_e64 v12, s[0:1], s14, v12
	v_or_b32_e32 v8, 0x1a00, v0
	v_addc_co_u32_e64 v9, s[0:1], v9, v13, s[0:1]
	v_add_co_u32_e64 v8, s[0:1], v12, v8
	v_xor_b32_e32 v20, 0x80, v27
	v_addc_co_u32_e64 v9, s[0:1], 0, v9, s[0:1]
	global_store_byte v[8:9], v20, off
	v_mov_b32_e32 v9, s15
	s_waitcnt lgkmcnt(1)
	v_add_co_u32_e64 v13, s[0:1], s14, v14
	v_or_b32_e32 v8, 0x1c00, v0
	;; [unrolled: 9-line block ×3, first 2 shown]
	v_addc_co_u32_e64 v9, s[0:1], v9, v17, s[0:1]
	v_add_co_u32_e64 v8, s[0:1], v13, v8
	v_xor_b32_e32 v12, 0x80, v29
	v_addc_co_u32_e64 v9, s[0:1], 0, v9, s[0:1]
	global_store_byte v[8:9], v12, off
	v_lshrrev_b32_sdwa v9, s16, v32 dst_sel:DWORD dst_unused:UNUSED_PAD src0_sel:DWORD src1_sel:BYTE_0
	v_and_b32_e32 v9, s7, v9
	v_lshlrev_b32_e32 v12, 3, v9
	v_lshrrev_b32_sdwa v9, s16, v18 dst_sel:DWORD dst_unused:UNUSED_PAD src0_sel:DWORD src1_sel:BYTE_0
	v_and_b32_e32 v9, s7, v9
	v_lshrrev_b32_sdwa v8, s16, v30 dst_sel:DWORD dst_unused:UNUSED_PAD src0_sel:DWORD src1_sel:BYTE_0
	v_lshlrev_b32_e32 v14, 3, v9
	v_lshrrev_b32_sdwa v9, s16, v19 dst_sel:DWORD dst_unused:UNUSED_PAD src0_sel:DWORD src1_sel:BYTE_0
	v_and_b32_e32 v8, s7, v8
	v_and_b32_e32 v9, s7, v9
	v_lshlrev_b32_e32 v8, 3, v8
	v_lshlrev_b32_e32 v16, 3, v9
	ds_read_b64 v[8:9], v8
	ds_read_b64 v[12:13], v12
	;; [unrolled: 1-line block ×4, first 2 shown]
	v_or_b32_e32 v20, 0x2000, v0
	s_waitcnt lgkmcnt(3)
	v_add_co_u32_e64 v8, s[0:1], s14, v8
	v_addc_co_u32_e64 v9, s[0:1], v23, v9, s[0:1]
	v_add_co_u32_e64 v8, s[0:1], v8, v20
	v_xor_b32_e32 v22, 0x80, v30
	v_addc_co_u32_e64 v9, s[0:1], 0, v9, s[0:1]
	global_store_byte v[8:9], v22, off
	v_mov_b32_e32 v9, s15
	s_waitcnt lgkmcnt(2)
	v_add_co_u32_e64 v12, s[0:1], s14, v12
	v_or_b32_e32 v8, 0x2200, v0
	v_addc_co_u32_e64 v9, s[0:1], v9, v13, s[0:1]
	v_add_co_u32_e64 v8, s[0:1], v12, v8
	v_xor_b32_e32 v20, 0x80, v32
	v_addc_co_u32_e64 v9, s[0:1], 0, v9, s[0:1]
	global_store_byte v[8:9], v20, off
	v_mov_b32_e32 v9, s15
	s_waitcnt lgkmcnt(1)
	v_add_co_u32_e64 v13, s[0:1], s14, v14
	v_or_b32_e32 v8, 0x2400, v0
	;; [unrolled: 9-line block ×3, first 2 shown]
	v_addc_co_u32_e64 v9, s[0:1], v9, v17, s[0:1]
	v_add_co_u32_e64 v8, s[0:1], v13, v8
	v_xor_b32_e32 v12, 0x80, v19
	v_addc_co_u32_e64 v9, s[0:1], 0, v9, s[0:1]
	global_store_byte v[8:9], v12, off
	v_xor_b32_e32 v9, 0x80, v11
	v_mov_b32_e32 v11, s15
	v_add_co_u32_e64 v6, s[0:1], s14, v6
	v_or_b32_e32 v8, 0x2800, v0
	v_addc_co_u32_e64 v7, s[0:1], v11, v7, s[0:1]
	v_add_co_u32_e64 v6, s[0:1], v6, v8
	v_addc_co_u32_e64 v7, s[0:1], 0, v7, s[0:1]
	v_mov_b32_e32 v8, s15
	v_add_co_u32_e64 v4, s[0:1], s14, v4
	global_store_byte v[6:7], v9, off
	v_or_b32_e32 v6, 0x2a00, v0
	v_addc_co_u32_e64 v5, s[0:1], v8, v5, s[0:1]
	v_add_co_u32_e64 v4, s[0:1], v4, v6
	v_xor_b32_e32 v7, 0x80, v21
	v_addc_co_u32_e64 v5, s[0:1], 0, v5, s[0:1]
	global_store_byte v[4:5], v7, off
	s_load_dword s0, s[4:5], 0x58
                                        ; implicit-def: $vgpr4_vgpr5
	s_waitcnt lgkmcnt(0)
	s_add_i32 s0, s0, -1
	s_cmp_eq_u32 s0, s6
	s_cselect_b64 s[0:1], -1, 0
	s_and_b64 s[2:3], vcc, s[0:1]
	s_and_saveexec_b64 s[0:1], s[2:3]
; %bb.152:
	v_add_co_u32_e32 v4, vcc, v2, v10
	v_addc_co_u32_e32 v5, vcc, 0, v3, vcc
	s_or_b64 s[18:19], s[18:19], exec
; %bb.153:
	s_or_b64 exec, exec, s[0:1]
.LBB113_154:
	s_and_saveexec_b64 s[0:1], s[18:19]
	s_cbranch_execnz .LBB113_156
; %bb.155:
	s_endpgm
.LBB113_156:
	v_lshlrev_b32_e32 v2, 3, v0
	ds_read_b64 v[2:3], v2
	v_lshlrev_b64 v[0:1], 3, v[0:1]
	v_mov_b32_e32 v6, s11
	v_add_co_u32_e32 v0, vcc, s10, v0
	v_addc_co_u32_e32 v1, vcc, v6, v1, vcc
	s_waitcnt lgkmcnt(0)
	v_add_co_u32_e32 v2, vcc, v2, v4
	v_addc_co_u32_e32 v3, vcc, v3, v5, vcc
	global_store_dwordx2 v[0:1], v[2:3], off
	s_endpgm
	.section	.rodata,"a",@progbits
	.p2align	6, 0x0
	.amdhsa_kernel _ZN7rocprim17ROCPRIM_400000_NS6detail17trampoline_kernelINS0_14default_configENS1_35radix_sort_onesweep_config_selectorIcNS0_10empty_typeEEEZZNS1_29radix_sort_onesweep_iterationIS3_Lb0EPcS8_PS5_S9_mNS0_19identity_decomposerENS1_16block_id_wrapperIjLb0EEEEE10hipError_tT1_PNSt15iterator_traitsISE_E10value_typeET2_T3_PNSF_ISK_E10value_typeET4_T5_PSP_SQ_PNS1_23onesweep_lookback_stateEbbT6_jjT7_P12ihipStream_tbENKUlT_T0_SE_SJ_E_clIS8_S8_S9_S9_EEDaSX_SY_SE_SJ_EUlSX_E_NS1_11comp_targetILNS1_3genE4ELNS1_11target_archE910ELNS1_3gpuE8ELNS1_3repE0EEENS1_47radix_sort_onesweep_sort_config_static_selectorELNS0_4arch9wavefront6targetE1EEEvSE_
		.amdhsa_group_segment_fixed_size 16424
		.amdhsa_private_segment_fixed_size 0
		.amdhsa_kernarg_size 344
		.amdhsa_user_sgpr_count 6
		.amdhsa_user_sgpr_private_segment_buffer 1
		.amdhsa_user_sgpr_dispatch_ptr 0
		.amdhsa_user_sgpr_queue_ptr 0
		.amdhsa_user_sgpr_kernarg_segment_ptr 1
		.amdhsa_user_sgpr_dispatch_id 0
		.amdhsa_user_sgpr_flat_scratch_init 0
		.amdhsa_user_sgpr_kernarg_preload_length 0
		.amdhsa_user_sgpr_kernarg_preload_offset 0
		.amdhsa_user_sgpr_private_segment_size 0
		.amdhsa_uses_dynamic_stack 0
		.amdhsa_system_sgpr_private_segment_wavefront_offset 0
		.amdhsa_system_sgpr_workgroup_id_x 1
		.amdhsa_system_sgpr_workgroup_id_y 0
		.amdhsa_system_sgpr_workgroup_id_z 0
		.amdhsa_system_sgpr_workgroup_info 0
		.amdhsa_system_vgpr_workitem_id 0
		.amdhsa_next_free_vgpr 79
		.amdhsa_next_free_sgpr 30
		.amdhsa_accum_offset 80
		.amdhsa_reserve_vcc 1
		.amdhsa_reserve_flat_scratch 0
		.amdhsa_float_round_mode_32 0
		.amdhsa_float_round_mode_16_64 0
		.amdhsa_float_denorm_mode_32 3
		.amdhsa_float_denorm_mode_16_64 3
		.amdhsa_dx10_clamp 1
		.amdhsa_ieee_mode 1
		.amdhsa_fp16_overflow 0
		.amdhsa_tg_split 0
		.amdhsa_exception_fp_ieee_invalid_op 0
		.amdhsa_exception_fp_denorm_src 0
		.amdhsa_exception_fp_ieee_div_zero 0
		.amdhsa_exception_fp_ieee_overflow 0
		.amdhsa_exception_fp_ieee_underflow 0
		.amdhsa_exception_fp_ieee_inexact 0
		.amdhsa_exception_int_div_zero 0
	.end_amdhsa_kernel
	.section	.text._ZN7rocprim17ROCPRIM_400000_NS6detail17trampoline_kernelINS0_14default_configENS1_35radix_sort_onesweep_config_selectorIcNS0_10empty_typeEEEZZNS1_29radix_sort_onesweep_iterationIS3_Lb0EPcS8_PS5_S9_mNS0_19identity_decomposerENS1_16block_id_wrapperIjLb0EEEEE10hipError_tT1_PNSt15iterator_traitsISE_E10value_typeET2_T3_PNSF_ISK_E10value_typeET4_T5_PSP_SQ_PNS1_23onesweep_lookback_stateEbbT6_jjT7_P12ihipStream_tbENKUlT_T0_SE_SJ_E_clIS8_S8_S9_S9_EEDaSX_SY_SE_SJ_EUlSX_E_NS1_11comp_targetILNS1_3genE4ELNS1_11target_archE910ELNS1_3gpuE8ELNS1_3repE0EEENS1_47radix_sort_onesweep_sort_config_static_selectorELNS0_4arch9wavefront6targetE1EEEvSE_,"axG",@progbits,_ZN7rocprim17ROCPRIM_400000_NS6detail17trampoline_kernelINS0_14default_configENS1_35radix_sort_onesweep_config_selectorIcNS0_10empty_typeEEEZZNS1_29radix_sort_onesweep_iterationIS3_Lb0EPcS8_PS5_S9_mNS0_19identity_decomposerENS1_16block_id_wrapperIjLb0EEEEE10hipError_tT1_PNSt15iterator_traitsISE_E10value_typeET2_T3_PNSF_ISK_E10value_typeET4_T5_PSP_SQ_PNS1_23onesweep_lookback_stateEbbT6_jjT7_P12ihipStream_tbENKUlT_T0_SE_SJ_E_clIS8_S8_S9_S9_EEDaSX_SY_SE_SJ_EUlSX_E_NS1_11comp_targetILNS1_3genE4ELNS1_11target_archE910ELNS1_3gpuE8ELNS1_3repE0EEENS1_47radix_sort_onesweep_sort_config_static_selectorELNS0_4arch9wavefront6targetE1EEEvSE_,comdat
.Lfunc_end113:
	.size	_ZN7rocprim17ROCPRIM_400000_NS6detail17trampoline_kernelINS0_14default_configENS1_35radix_sort_onesweep_config_selectorIcNS0_10empty_typeEEEZZNS1_29radix_sort_onesweep_iterationIS3_Lb0EPcS8_PS5_S9_mNS0_19identity_decomposerENS1_16block_id_wrapperIjLb0EEEEE10hipError_tT1_PNSt15iterator_traitsISE_E10value_typeET2_T3_PNSF_ISK_E10value_typeET4_T5_PSP_SQ_PNS1_23onesweep_lookback_stateEbbT6_jjT7_P12ihipStream_tbENKUlT_T0_SE_SJ_E_clIS8_S8_S9_S9_EEDaSX_SY_SE_SJ_EUlSX_E_NS1_11comp_targetILNS1_3genE4ELNS1_11target_archE910ELNS1_3gpuE8ELNS1_3repE0EEENS1_47radix_sort_onesweep_sort_config_static_selectorELNS0_4arch9wavefront6targetE1EEEvSE_, .Lfunc_end113-_ZN7rocprim17ROCPRIM_400000_NS6detail17trampoline_kernelINS0_14default_configENS1_35radix_sort_onesweep_config_selectorIcNS0_10empty_typeEEEZZNS1_29radix_sort_onesweep_iterationIS3_Lb0EPcS8_PS5_S9_mNS0_19identity_decomposerENS1_16block_id_wrapperIjLb0EEEEE10hipError_tT1_PNSt15iterator_traitsISE_E10value_typeET2_T3_PNSF_ISK_E10value_typeET4_T5_PSP_SQ_PNS1_23onesweep_lookback_stateEbbT6_jjT7_P12ihipStream_tbENKUlT_T0_SE_SJ_E_clIS8_S8_S9_S9_EEDaSX_SY_SE_SJ_EUlSX_E_NS1_11comp_targetILNS1_3genE4ELNS1_11target_archE910ELNS1_3gpuE8ELNS1_3repE0EEENS1_47radix_sort_onesweep_sort_config_static_selectorELNS0_4arch9wavefront6targetE1EEEvSE_
                                        ; -- End function
	.section	.AMDGPU.csdata,"",@progbits
; Kernel info:
; codeLenInByte = 12740
; NumSgprs: 34
; NumVgprs: 79
; NumAgprs: 0
; TotalNumVgprs: 79
; ScratchSize: 0
; MemoryBound: 0
; FloatMode: 240
; IeeeMode: 1
; LDSByteSize: 16424 bytes/workgroup (compile time only)
; SGPRBlocks: 4
; VGPRBlocks: 9
; NumSGPRsForWavesPerEU: 34
; NumVGPRsForWavesPerEU: 79
; AccumOffset: 80
; Occupancy: 6
; WaveLimiterHint : 0
; COMPUTE_PGM_RSRC2:SCRATCH_EN: 0
; COMPUTE_PGM_RSRC2:USER_SGPR: 6
; COMPUTE_PGM_RSRC2:TRAP_HANDLER: 0
; COMPUTE_PGM_RSRC2:TGID_X_EN: 1
; COMPUTE_PGM_RSRC2:TGID_Y_EN: 0
; COMPUTE_PGM_RSRC2:TGID_Z_EN: 0
; COMPUTE_PGM_RSRC2:TIDIG_COMP_CNT: 0
; COMPUTE_PGM_RSRC3_GFX90A:ACCUM_OFFSET: 19
; COMPUTE_PGM_RSRC3_GFX90A:TG_SPLIT: 0
	.section	.text._ZN7rocprim17ROCPRIM_400000_NS6detail17trampoline_kernelINS0_14default_configENS1_35radix_sort_onesweep_config_selectorIcNS0_10empty_typeEEEZZNS1_29radix_sort_onesweep_iterationIS3_Lb0EPcS8_PS5_S9_mNS0_19identity_decomposerENS1_16block_id_wrapperIjLb0EEEEE10hipError_tT1_PNSt15iterator_traitsISE_E10value_typeET2_T3_PNSF_ISK_E10value_typeET4_T5_PSP_SQ_PNS1_23onesweep_lookback_stateEbbT6_jjT7_P12ihipStream_tbENKUlT_T0_SE_SJ_E_clIS8_S8_S9_S9_EEDaSX_SY_SE_SJ_EUlSX_E_NS1_11comp_targetILNS1_3genE3ELNS1_11target_archE908ELNS1_3gpuE7ELNS1_3repE0EEENS1_47radix_sort_onesweep_sort_config_static_selectorELNS0_4arch9wavefront6targetE1EEEvSE_,"axG",@progbits,_ZN7rocprim17ROCPRIM_400000_NS6detail17trampoline_kernelINS0_14default_configENS1_35radix_sort_onesweep_config_selectorIcNS0_10empty_typeEEEZZNS1_29radix_sort_onesweep_iterationIS3_Lb0EPcS8_PS5_S9_mNS0_19identity_decomposerENS1_16block_id_wrapperIjLb0EEEEE10hipError_tT1_PNSt15iterator_traitsISE_E10value_typeET2_T3_PNSF_ISK_E10value_typeET4_T5_PSP_SQ_PNS1_23onesweep_lookback_stateEbbT6_jjT7_P12ihipStream_tbENKUlT_T0_SE_SJ_E_clIS8_S8_S9_S9_EEDaSX_SY_SE_SJ_EUlSX_E_NS1_11comp_targetILNS1_3genE3ELNS1_11target_archE908ELNS1_3gpuE7ELNS1_3repE0EEENS1_47radix_sort_onesweep_sort_config_static_selectorELNS0_4arch9wavefront6targetE1EEEvSE_,comdat
	.protected	_ZN7rocprim17ROCPRIM_400000_NS6detail17trampoline_kernelINS0_14default_configENS1_35radix_sort_onesweep_config_selectorIcNS0_10empty_typeEEEZZNS1_29radix_sort_onesweep_iterationIS3_Lb0EPcS8_PS5_S9_mNS0_19identity_decomposerENS1_16block_id_wrapperIjLb0EEEEE10hipError_tT1_PNSt15iterator_traitsISE_E10value_typeET2_T3_PNSF_ISK_E10value_typeET4_T5_PSP_SQ_PNS1_23onesweep_lookback_stateEbbT6_jjT7_P12ihipStream_tbENKUlT_T0_SE_SJ_E_clIS8_S8_S9_S9_EEDaSX_SY_SE_SJ_EUlSX_E_NS1_11comp_targetILNS1_3genE3ELNS1_11target_archE908ELNS1_3gpuE7ELNS1_3repE0EEENS1_47radix_sort_onesweep_sort_config_static_selectorELNS0_4arch9wavefront6targetE1EEEvSE_ ; -- Begin function _ZN7rocprim17ROCPRIM_400000_NS6detail17trampoline_kernelINS0_14default_configENS1_35radix_sort_onesweep_config_selectorIcNS0_10empty_typeEEEZZNS1_29radix_sort_onesweep_iterationIS3_Lb0EPcS8_PS5_S9_mNS0_19identity_decomposerENS1_16block_id_wrapperIjLb0EEEEE10hipError_tT1_PNSt15iterator_traitsISE_E10value_typeET2_T3_PNSF_ISK_E10value_typeET4_T5_PSP_SQ_PNS1_23onesweep_lookback_stateEbbT6_jjT7_P12ihipStream_tbENKUlT_T0_SE_SJ_E_clIS8_S8_S9_S9_EEDaSX_SY_SE_SJ_EUlSX_E_NS1_11comp_targetILNS1_3genE3ELNS1_11target_archE908ELNS1_3gpuE7ELNS1_3repE0EEENS1_47radix_sort_onesweep_sort_config_static_selectorELNS0_4arch9wavefront6targetE1EEEvSE_
	.globl	_ZN7rocprim17ROCPRIM_400000_NS6detail17trampoline_kernelINS0_14default_configENS1_35radix_sort_onesweep_config_selectorIcNS0_10empty_typeEEEZZNS1_29radix_sort_onesweep_iterationIS3_Lb0EPcS8_PS5_S9_mNS0_19identity_decomposerENS1_16block_id_wrapperIjLb0EEEEE10hipError_tT1_PNSt15iterator_traitsISE_E10value_typeET2_T3_PNSF_ISK_E10value_typeET4_T5_PSP_SQ_PNS1_23onesweep_lookback_stateEbbT6_jjT7_P12ihipStream_tbENKUlT_T0_SE_SJ_E_clIS8_S8_S9_S9_EEDaSX_SY_SE_SJ_EUlSX_E_NS1_11comp_targetILNS1_3genE3ELNS1_11target_archE908ELNS1_3gpuE7ELNS1_3repE0EEENS1_47radix_sort_onesweep_sort_config_static_selectorELNS0_4arch9wavefront6targetE1EEEvSE_
	.p2align	8
	.type	_ZN7rocprim17ROCPRIM_400000_NS6detail17trampoline_kernelINS0_14default_configENS1_35radix_sort_onesweep_config_selectorIcNS0_10empty_typeEEEZZNS1_29radix_sort_onesweep_iterationIS3_Lb0EPcS8_PS5_S9_mNS0_19identity_decomposerENS1_16block_id_wrapperIjLb0EEEEE10hipError_tT1_PNSt15iterator_traitsISE_E10value_typeET2_T3_PNSF_ISK_E10value_typeET4_T5_PSP_SQ_PNS1_23onesweep_lookback_stateEbbT6_jjT7_P12ihipStream_tbENKUlT_T0_SE_SJ_E_clIS8_S8_S9_S9_EEDaSX_SY_SE_SJ_EUlSX_E_NS1_11comp_targetILNS1_3genE3ELNS1_11target_archE908ELNS1_3gpuE7ELNS1_3repE0EEENS1_47radix_sort_onesweep_sort_config_static_selectorELNS0_4arch9wavefront6targetE1EEEvSE_,@function
_ZN7rocprim17ROCPRIM_400000_NS6detail17trampoline_kernelINS0_14default_configENS1_35radix_sort_onesweep_config_selectorIcNS0_10empty_typeEEEZZNS1_29radix_sort_onesweep_iterationIS3_Lb0EPcS8_PS5_S9_mNS0_19identity_decomposerENS1_16block_id_wrapperIjLb0EEEEE10hipError_tT1_PNSt15iterator_traitsISE_E10value_typeET2_T3_PNSF_ISK_E10value_typeET4_T5_PSP_SQ_PNS1_23onesweep_lookback_stateEbbT6_jjT7_P12ihipStream_tbENKUlT_T0_SE_SJ_E_clIS8_S8_S9_S9_EEDaSX_SY_SE_SJ_EUlSX_E_NS1_11comp_targetILNS1_3genE3ELNS1_11target_archE908ELNS1_3gpuE7ELNS1_3repE0EEENS1_47radix_sort_onesweep_sort_config_static_selectorELNS0_4arch9wavefront6targetE1EEEvSE_: ; @_ZN7rocprim17ROCPRIM_400000_NS6detail17trampoline_kernelINS0_14default_configENS1_35radix_sort_onesweep_config_selectorIcNS0_10empty_typeEEEZZNS1_29radix_sort_onesweep_iterationIS3_Lb0EPcS8_PS5_S9_mNS0_19identity_decomposerENS1_16block_id_wrapperIjLb0EEEEE10hipError_tT1_PNSt15iterator_traitsISE_E10value_typeET2_T3_PNSF_ISK_E10value_typeET4_T5_PSP_SQ_PNS1_23onesweep_lookback_stateEbbT6_jjT7_P12ihipStream_tbENKUlT_T0_SE_SJ_E_clIS8_S8_S9_S9_EEDaSX_SY_SE_SJ_EUlSX_E_NS1_11comp_targetILNS1_3genE3ELNS1_11target_archE908ELNS1_3gpuE7ELNS1_3repE0EEENS1_47radix_sort_onesweep_sort_config_static_selectorELNS0_4arch9wavefront6targetE1EEEvSE_
; %bb.0:
	.section	.rodata,"a",@progbits
	.p2align	6, 0x0
	.amdhsa_kernel _ZN7rocprim17ROCPRIM_400000_NS6detail17trampoline_kernelINS0_14default_configENS1_35radix_sort_onesweep_config_selectorIcNS0_10empty_typeEEEZZNS1_29radix_sort_onesweep_iterationIS3_Lb0EPcS8_PS5_S9_mNS0_19identity_decomposerENS1_16block_id_wrapperIjLb0EEEEE10hipError_tT1_PNSt15iterator_traitsISE_E10value_typeET2_T3_PNSF_ISK_E10value_typeET4_T5_PSP_SQ_PNS1_23onesweep_lookback_stateEbbT6_jjT7_P12ihipStream_tbENKUlT_T0_SE_SJ_E_clIS8_S8_S9_S9_EEDaSX_SY_SE_SJ_EUlSX_E_NS1_11comp_targetILNS1_3genE3ELNS1_11target_archE908ELNS1_3gpuE7ELNS1_3repE0EEENS1_47radix_sort_onesweep_sort_config_static_selectorELNS0_4arch9wavefront6targetE1EEEvSE_
		.amdhsa_group_segment_fixed_size 0
		.amdhsa_private_segment_fixed_size 0
		.amdhsa_kernarg_size 88
		.amdhsa_user_sgpr_count 6
		.amdhsa_user_sgpr_private_segment_buffer 1
		.amdhsa_user_sgpr_dispatch_ptr 0
		.amdhsa_user_sgpr_queue_ptr 0
		.amdhsa_user_sgpr_kernarg_segment_ptr 1
		.amdhsa_user_sgpr_dispatch_id 0
		.amdhsa_user_sgpr_flat_scratch_init 0
		.amdhsa_user_sgpr_kernarg_preload_length 0
		.amdhsa_user_sgpr_kernarg_preload_offset 0
		.amdhsa_user_sgpr_private_segment_size 0
		.amdhsa_uses_dynamic_stack 0
		.amdhsa_system_sgpr_private_segment_wavefront_offset 0
		.amdhsa_system_sgpr_workgroup_id_x 1
		.amdhsa_system_sgpr_workgroup_id_y 0
		.amdhsa_system_sgpr_workgroup_id_z 0
		.amdhsa_system_sgpr_workgroup_info 0
		.amdhsa_system_vgpr_workitem_id 0
		.amdhsa_next_free_vgpr 1
		.amdhsa_next_free_sgpr 0
		.amdhsa_accum_offset 4
		.amdhsa_reserve_vcc 0
		.amdhsa_reserve_flat_scratch 0
		.amdhsa_float_round_mode_32 0
		.amdhsa_float_round_mode_16_64 0
		.amdhsa_float_denorm_mode_32 3
		.amdhsa_float_denorm_mode_16_64 3
		.amdhsa_dx10_clamp 1
		.amdhsa_ieee_mode 1
		.amdhsa_fp16_overflow 0
		.amdhsa_tg_split 0
		.amdhsa_exception_fp_ieee_invalid_op 0
		.amdhsa_exception_fp_denorm_src 0
		.amdhsa_exception_fp_ieee_div_zero 0
		.amdhsa_exception_fp_ieee_overflow 0
		.amdhsa_exception_fp_ieee_underflow 0
		.amdhsa_exception_fp_ieee_inexact 0
		.amdhsa_exception_int_div_zero 0
	.end_amdhsa_kernel
	.section	.text._ZN7rocprim17ROCPRIM_400000_NS6detail17trampoline_kernelINS0_14default_configENS1_35radix_sort_onesweep_config_selectorIcNS0_10empty_typeEEEZZNS1_29radix_sort_onesweep_iterationIS3_Lb0EPcS8_PS5_S9_mNS0_19identity_decomposerENS1_16block_id_wrapperIjLb0EEEEE10hipError_tT1_PNSt15iterator_traitsISE_E10value_typeET2_T3_PNSF_ISK_E10value_typeET4_T5_PSP_SQ_PNS1_23onesweep_lookback_stateEbbT6_jjT7_P12ihipStream_tbENKUlT_T0_SE_SJ_E_clIS8_S8_S9_S9_EEDaSX_SY_SE_SJ_EUlSX_E_NS1_11comp_targetILNS1_3genE3ELNS1_11target_archE908ELNS1_3gpuE7ELNS1_3repE0EEENS1_47radix_sort_onesweep_sort_config_static_selectorELNS0_4arch9wavefront6targetE1EEEvSE_,"axG",@progbits,_ZN7rocprim17ROCPRIM_400000_NS6detail17trampoline_kernelINS0_14default_configENS1_35radix_sort_onesweep_config_selectorIcNS0_10empty_typeEEEZZNS1_29radix_sort_onesweep_iterationIS3_Lb0EPcS8_PS5_S9_mNS0_19identity_decomposerENS1_16block_id_wrapperIjLb0EEEEE10hipError_tT1_PNSt15iterator_traitsISE_E10value_typeET2_T3_PNSF_ISK_E10value_typeET4_T5_PSP_SQ_PNS1_23onesweep_lookback_stateEbbT6_jjT7_P12ihipStream_tbENKUlT_T0_SE_SJ_E_clIS8_S8_S9_S9_EEDaSX_SY_SE_SJ_EUlSX_E_NS1_11comp_targetILNS1_3genE3ELNS1_11target_archE908ELNS1_3gpuE7ELNS1_3repE0EEENS1_47radix_sort_onesweep_sort_config_static_selectorELNS0_4arch9wavefront6targetE1EEEvSE_,comdat
.Lfunc_end114:
	.size	_ZN7rocprim17ROCPRIM_400000_NS6detail17trampoline_kernelINS0_14default_configENS1_35radix_sort_onesweep_config_selectorIcNS0_10empty_typeEEEZZNS1_29radix_sort_onesweep_iterationIS3_Lb0EPcS8_PS5_S9_mNS0_19identity_decomposerENS1_16block_id_wrapperIjLb0EEEEE10hipError_tT1_PNSt15iterator_traitsISE_E10value_typeET2_T3_PNSF_ISK_E10value_typeET4_T5_PSP_SQ_PNS1_23onesweep_lookback_stateEbbT6_jjT7_P12ihipStream_tbENKUlT_T0_SE_SJ_E_clIS8_S8_S9_S9_EEDaSX_SY_SE_SJ_EUlSX_E_NS1_11comp_targetILNS1_3genE3ELNS1_11target_archE908ELNS1_3gpuE7ELNS1_3repE0EEENS1_47radix_sort_onesweep_sort_config_static_selectorELNS0_4arch9wavefront6targetE1EEEvSE_, .Lfunc_end114-_ZN7rocprim17ROCPRIM_400000_NS6detail17trampoline_kernelINS0_14default_configENS1_35radix_sort_onesweep_config_selectorIcNS0_10empty_typeEEEZZNS1_29radix_sort_onesweep_iterationIS3_Lb0EPcS8_PS5_S9_mNS0_19identity_decomposerENS1_16block_id_wrapperIjLb0EEEEE10hipError_tT1_PNSt15iterator_traitsISE_E10value_typeET2_T3_PNSF_ISK_E10value_typeET4_T5_PSP_SQ_PNS1_23onesweep_lookback_stateEbbT6_jjT7_P12ihipStream_tbENKUlT_T0_SE_SJ_E_clIS8_S8_S9_S9_EEDaSX_SY_SE_SJ_EUlSX_E_NS1_11comp_targetILNS1_3genE3ELNS1_11target_archE908ELNS1_3gpuE7ELNS1_3repE0EEENS1_47radix_sort_onesweep_sort_config_static_selectorELNS0_4arch9wavefront6targetE1EEEvSE_
                                        ; -- End function
	.section	.AMDGPU.csdata,"",@progbits
; Kernel info:
; codeLenInByte = 0
; NumSgprs: 4
; NumVgprs: 0
; NumAgprs: 0
; TotalNumVgprs: 0
; ScratchSize: 0
; MemoryBound: 0
; FloatMode: 240
; IeeeMode: 1
; LDSByteSize: 0 bytes/workgroup (compile time only)
; SGPRBlocks: 0
; VGPRBlocks: 0
; NumSGPRsForWavesPerEU: 4
; NumVGPRsForWavesPerEU: 1
; AccumOffset: 4
; Occupancy: 8
; WaveLimiterHint : 0
; COMPUTE_PGM_RSRC2:SCRATCH_EN: 0
; COMPUTE_PGM_RSRC2:USER_SGPR: 6
; COMPUTE_PGM_RSRC2:TRAP_HANDLER: 0
; COMPUTE_PGM_RSRC2:TGID_X_EN: 1
; COMPUTE_PGM_RSRC2:TGID_Y_EN: 0
; COMPUTE_PGM_RSRC2:TGID_Z_EN: 0
; COMPUTE_PGM_RSRC2:TIDIG_COMP_CNT: 0
; COMPUTE_PGM_RSRC3_GFX90A:ACCUM_OFFSET: 0
; COMPUTE_PGM_RSRC3_GFX90A:TG_SPLIT: 0
	.section	.text._ZN7rocprim17ROCPRIM_400000_NS6detail17trampoline_kernelINS0_14default_configENS1_35radix_sort_onesweep_config_selectorIcNS0_10empty_typeEEEZZNS1_29radix_sort_onesweep_iterationIS3_Lb0EPcS8_PS5_S9_mNS0_19identity_decomposerENS1_16block_id_wrapperIjLb0EEEEE10hipError_tT1_PNSt15iterator_traitsISE_E10value_typeET2_T3_PNSF_ISK_E10value_typeET4_T5_PSP_SQ_PNS1_23onesweep_lookback_stateEbbT6_jjT7_P12ihipStream_tbENKUlT_T0_SE_SJ_E_clIS8_S8_S9_S9_EEDaSX_SY_SE_SJ_EUlSX_E_NS1_11comp_targetILNS1_3genE10ELNS1_11target_archE1201ELNS1_3gpuE5ELNS1_3repE0EEENS1_47radix_sort_onesweep_sort_config_static_selectorELNS0_4arch9wavefront6targetE1EEEvSE_,"axG",@progbits,_ZN7rocprim17ROCPRIM_400000_NS6detail17trampoline_kernelINS0_14default_configENS1_35radix_sort_onesweep_config_selectorIcNS0_10empty_typeEEEZZNS1_29radix_sort_onesweep_iterationIS3_Lb0EPcS8_PS5_S9_mNS0_19identity_decomposerENS1_16block_id_wrapperIjLb0EEEEE10hipError_tT1_PNSt15iterator_traitsISE_E10value_typeET2_T3_PNSF_ISK_E10value_typeET4_T5_PSP_SQ_PNS1_23onesweep_lookback_stateEbbT6_jjT7_P12ihipStream_tbENKUlT_T0_SE_SJ_E_clIS8_S8_S9_S9_EEDaSX_SY_SE_SJ_EUlSX_E_NS1_11comp_targetILNS1_3genE10ELNS1_11target_archE1201ELNS1_3gpuE5ELNS1_3repE0EEENS1_47radix_sort_onesweep_sort_config_static_selectorELNS0_4arch9wavefront6targetE1EEEvSE_,comdat
	.protected	_ZN7rocprim17ROCPRIM_400000_NS6detail17trampoline_kernelINS0_14default_configENS1_35radix_sort_onesweep_config_selectorIcNS0_10empty_typeEEEZZNS1_29radix_sort_onesweep_iterationIS3_Lb0EPcS8_PS5_S9_mNS0_19identity_decomposerENS1_16block_id_wrapperIjLb0EEEEE10hipError_tT1_PNSt15iterator_traitsISE_E10value_typeET2_T3_PNSF_ISK_E10value_typeET4_T5_PSP_SQ_PNS1_23onesweep_lookback_stateEbbT6_jjT7_P12ihipStream_tbENKUlT_T0_SE_SJ_E_clIS8_S8_S9_S9_EEDaSX_SY_SE_SJ_EUlSX_E_NS1_11comp_targetILNS1_3genE10ELNS1_11target_archE1201ELNS1_3gpuE5ELNS1_3repE0EEENS1_47radix_sort_onesweep_sort_config_static_selectorELNS0_4arch9wavefront6targetE1EEEvSE_ ; -- Begin function _ZN7rocprim17ROCPRIM_400000_NS6detail17trampoline_kernelINS0_14default_configENS1_35radix_sort_onesweep_config_selectorIcNS0_10empty_typeEEEZZNS1_29radix_sort_onesweep_iterationIS3_Lb0EPcS8_PS5_S9_mNS0_19identity_decomposerENS1_16block_id_wrapperIjLb0EEEEE10hipError_tT1_PNSt15iterator_traitsISE_E10value_typeET2_T3_PNSF_ISK_E10value_typeET4_T5_PSP_SQ_PNS1_23onesweep_lookback_stateEbbT6_jjT7_P12ihipStream_tbENKUlT_T0_SE_SJ_E_clIS8_S8_S9_S9_EEDaSX_SY_SE_SJ_EUlSX_E_NS1_11comp_targetILNS1_3genE10ELNS1_11target_archE1201ELNS1_3gpuE5ELNS1_3repE0EEENS1_47radix_sort_onesweep_sort_config_static_selectorELNS0_4arch9wavefront6targetE1EEEvSE_
	.globl	_ZN7rocprim17ROCPRIM_400000_NS6detail17trampoline_kernelINS0_14default_configENS1_35radix_sort_onesweep_config_selectorIcNS0_10empty_typeEEEZZNS1_29radix_sort_onesweep_iterationIS3_Lb0EPcS8_PS5_S9_mNS0_19identity_decomposerENS1_16block_id_wrapperIjLb0EEEEE10hipError_tT1_PNSt15iterator_traitsISE_E10value_typeET2_T3_PNSF_ISK_E10value_typeET4_T5_PSP_SQ_PNS1_23onesweep_lookback_stateEbbT6_jjT7_P12ihipStream_tbENKUlT_T0_SE_SJ_E_clIS8_S8_S9_S9_EEDaSX_SY_SE_SJ_EUlSX_E_NS1_11comp_targetILNS1_3genE10ELNS1_11target_archE1201ELNS1_3gpuE5ELNS1_3repE0EEENS1_47radix_sort_onesweep_sort_config_static_selectorELNS0_4arch9wavefront6targetE1EEEvSE_
	.p2align	8
	.type	_ZN7rocprim17ROCPRIM_400000_NS6detail17trampoline_kernelINS0_14default_configENS1_35radix_sort_onesweep_config_selectorIcNS0_10empty_typeEEEZZNS1_29radix_sort_onesweep_iterationIS3_Lb0EPcS8_PS5_S9_mNS0_19identity_decomposerENS1_16block_id_wrapperIjLb0EEEEE10hipError_tT1_PNSt15iterator_traitsISE_E10value_typeET2_T3_PNSF_ISK_E10value_typeET4_T5_PSP_SQ_PNS1_23onesweep_lookback_stateEbbT6_jjT7_P12ihipStream_tbENKUlT_T0_SE_SJ_E_clIS8_S8_S9_S9_EEDaSX_SY_SE_SJ_EUlSX_E_NS1_11comp_targetILNS1_3genE10ELNS1_11target_archE1201ELNS1_3gpuE5ELNS1_3repE0EEENS1_47radix_sort_onesweep_sort_config_static_selectorELNS0_4arch9wavefront6targetE1EEEvSE_,@function
_ZN7rocprim17ROCPRIM_400000_NS6detail17trampoline_kernelINS0_14default_configENS1_35radix_sort_onesweep_config_selectorIcNS0_10empty_typeEEEZZNS1_29radix_sort_onesweep_iterationIS3_Lb0EPcS8_PS5_S9_mNS0_19identity_decomposerENS1_16block_id_wrapperIjLb0EEEEE10hipError_tT1_PNSt15iterator_traitsISE_E10value_typeET2_T3_PNSF_ISK_E10value_typeET4_T5_PSP_SQ_PNS1_23onesweep_lookback_stateEbbT6_jjT7_P12ihipStream_tbENKUlT_T0_SE_SJ_E_clIS8_S8_S9_S9_EEDaSX_SY_SE_SJ_EUlSX_E_NS1_11comp_targetILNS1_3genE10ELNS1_11target_archE1201ELNS1_3gpuE5ELNS1_3repE0EEENS1_47radix_sort_onesweep_sort_config_static_selectorELNS0_4arch9wavefront6targetE1EEEvSE_: ; @_ZN7rocprim17ROCPRIM_400000_NS6detail17trampoline_kernelINS0_14default_configENS1_35radix_sort_onesweep_config_selectorIcNS0_10empty_typeEEEZZNS1_29radix_sort_onesweep_iterationIS3_Lb0EPcS8_PS5_S9_mNS0_19identity_decomposerENS1_16block_id_wrapperIjLb0EEEEE10hipError_tT1_PNSt15iterator_traitsISE_E10value_typeET2_T3_PNSF_ISK_E10value_typeET4_T5_PSP_SQ_PNS1_23onesweep_lookback_stateEbbT6_jjT7_P12ihipStream_tbENKUlT_T0_SE_SJ_E_clIS8_S8_S9_S9_EEDaSX_SY_SE_SJ_EUlSX_E_NS1_11comp_targetILNS1_3genE10ELNS1_11target_archE1201ELNS1_3gpuE5ELNS1_3repE0EEENS1_47radix_sort_onesweep_sort_config_static_selectorELNS0_4arch9wavefront6targetE1EEEvSE_
; %bb.0:
	.section	.rodata,"a",@progbits
	.p2align	6, 0x0
	.amdhsa_kernel _ZN7rocprim17ROCPRIM_400000_NS6detail17trampoline_kernelINS0_14default_configENS1_35radix_sort_onesweep_config_selectorIcNS0_10empty_typeEEEZZNS1_29radix_sort_onesweep_iterationIS3_Lb0EPcS8_PS5_S9_mNS0_19identity_decomposerENS1_16block_id_wrapperIjLb0EEEEE10hipError_tT1_PNSt15iterator_traitsISE_E10value_typeET2_T3_PNSF_ISK_E10value_typeET4_T5_PSP_SQ_PNS1_23onesweep_lookback_stateEbbT6_jjT7_P12ihipStream_tbENKUlT_T0_SE_SJ_E_clIS8_S8_S9_S9_EEDaSX_SY_SE_SJ_EUlSX_E_NS1_11comp_targetILNS1_3genE10ELNS1_11target_archE1201ELNS1_3gpuE5ELNS1_3repE0EEENS1_47radix_sort_onesweep_sort_config_static_selectorELNS0_4arch9wavefront6targetE1EEEvSE_
		.amdhsa_group_segment_fixed_size 0
		.amdhsa_private_segment_fixed_size 0
		.amdhsa_kernarg_size 88
		.amdhsa_user_sgpr_count 6
		.amdhsa_user_sgpr_private_segment_buffer 1
		.amdhsa_user_sgpr_dispatch_ptr 0
		.amdhsa_user_sgpr_queue_ptr 0
		.amdhsa_user_sgpr_kernarg_segment_ptr 1
		.amdhsa_user_sgpr_dispatch_id 0
		.amdhsa_user_sgpr_flat_scratch_init 0
		.amdhsa_user_sgpr_kernarg_preload_length 0
		.amdhsa_user_sgpr_kernarg_preload_offset 0
		.amdhsa_user_sgpr_private_segment_size 0
		.amdhsa_uses_dynamic_stack 0
		.amdhsa_system_sgpr_private_segment_wavefront_offset 0
		.amdhsa_system_sgpr_workgroup_id_x 1
		.amdhsa_system_sgpr_workgroup_id_y 0
		.amdhsa_system_sgpr_workgroup_id_z 0
		.amdhsa_system_sgpr_workgroup_info 0
		.amdhsa_system_vgpr_workitem_id 0
		.amdhsa_next_free_vgpr 1
		.amdhsa_next_free_sgpr 0
		.amdhsa_accum_offset 4
		.amdhsa_reserve_vcc 0
		.amdhsa_reserve_flat_scratch 0
		.amdhsa_float_round_mode_32 0
		.amdhsa_float_round_mode_16_64 0
		.amdhsa_float_denorm_mode_32 3
		.amdhsa_float_denorm_mode_16_64 3
		.amdhsa_dx10_clamp 1
		.amdhsa_ieee_mode 1
		.amdhsa_fp16_overflow 0
		.amdhsa_tg_split 0
		.amdhsa_exception_fp_ieee_invalid_op 0
		.amdhsa_exception_fp_denorm_src 0
		.amdhsa_exception_fp_ieee_div_zero 0
		.amdhsa_exception_fp_ieee_overflow 0
		.amdhsa_exception_fp_ieee_underflow 0
		.amdhsa_exception_fp_ieee_inexact 0
		.amdhsa_exception_int_div_zero 0
	.end_amdhsa_kernel
	.section	.text._ZN7rocprim17ROCPRIM_400000_NS6detail17trampoline_kernelINS0_14default_configENS1_35radix_sort_onesweep_config_selectorIcNS0_10empty_typeEEEZZNS1_29radix_sort_onesweep_iterationIS3_Lb0EPcS8_PS5_S9_mNS0_19identity_decomposerENS1_16block_id_wrapperIjLb0EEEEE10hipError_tT1_PNSt15iterator_traitsISE_E10value_typeET2_T3_PNSF_ISK_E10value_typeET4_T5_PSP_SQ_PNS1_23onesweep_lookback_stateEbbT6_jjT7_P12ihipStream_tbENKUlT_T0_SE_SJ_E_clIS8_S8_S9_S9_EEDaSX_SY_SE_SJ_EUlSX_E_NS1_11comp_targetILNS1_3genE10ELNS1_11target_archE1201ELNS1_3gpuE5ELNS1_3repE0EEENS1_47radix_sort_onesweep_sort_config_static_selectorELNS0_4arch9wavefront6targetE1EEEvSE_,"axG",@progbits,_ZN7rocprim17ROCPRIM_400000_NS6detail17trampoline_kernelINS0_14default_configENS1_35radix_sort_onesweep_config_selectorIcNS0_10empty_typeEEEZZNS1_29radix_sort_onesweep_iterationIS3_Lb0EPcS8_PS5_S9_mNS0_19identity_decomposerENS1_16block_id_wrapperIjLb0EEEEE10hipError_tT1_PNSt15iterator_traitsISE_E10value_typeET2_T3_PNSF_ISK_E10value_typeET4_T5_PSP_SQ_PNS1_23onesweep_lookback_stateEbbT6_jjT7_P12ihipStream_tbENKUlT_T0_SE_SJ_E_clIS8_S8_S9_S9_EEDaSX_SY_SE_SJ_EUlSX_E_NS1_11comp_targetILNS1_3genE10ELNS1_11target_archE1201ELNS1_3gpuE5ELNS1_3repE0EEENS1_47radix_sort_onesweep_sort_config_static_selectorELNS0_4arch9wavefront6targetE1EEEvSE_,comdat
.Lfunc_end115:
	.size	_ZN7rocprim17ROCPRIM_400000_NS6detail17trampoline_kernelINS0_14default_configENS1_35radix_sort_onesweep_config_selectorIcNS0_10empty_typeEEEZZNS1_29radix_sort_onesweep_iterationIS3_Lb0EPcS8_PS5_S9_mNS0_19identity_decomposerENS1_16block_id_wrapperIjLb0EEEEE10hipError_tT1_PNSt15iterator_traitsISE_E10value_typeET2_T3_PNSF_ISK_E10value_typeET4_T5_PSP_SQ_PNS1_23onesweep_lookback_stateEbbT6_jjT7_P12ihipStream_tbENKUlT_T0_SE_SJ_E_clIS8_S8_S9_S9_EEDaSX_SY_SE_SJ_EUlSX_E_NS1_11comp_targetILNS1_3genE10ELNS1_11target_archE1201ELNS1_3gpuE5ELNS1_3repE0EEENS1_47radix_sort_onesweep_sort_config_static_selectorELNS0_4arch9wavefront6targetE1EEEvSE_, .Lfunc_end115-_ZN7rocprim17ROCPRIM_400000_NS6detail17trampoline_kernelINS0_14default_configENS1_35radix_sort_onesweep_config_selectorIcNS0_10empty_typeEEEZZNS1_29radix_sort_onesweep_iterationIS3_Lb0EPcS8_PS5_S9_mNS0_19identity_decomposerENS1_16block_id_wrapperIjLb0EEEEE10hipError_tT1_PNSt15iterator_traitsISE_E10value_typeET2_T3_PNSF_ISK_E10value_typeET4_T5_PSP_SQ_PNS1_23onesweep_lookback_stateEbbT6_jjT7_P12ihipStream_tbENKUlT_T0_SE_SJ_E_clIS8_S8_S9_S9_EEDaSX_SY_SE_SJ_EUlSX_E_NS1_11comp_targetILNS1_3genE10ELNS1_11target_archE1201ELNS1_3gpuE5ELNS1_3repE0EEENS1_47radix_sort_onesweep_sort_config_static_selectorELNS0_4arch9wavefront6targetE1EEEvSE_
                                        ; -- End function
	.section	.AMDGPU.csdata,"",@progbits
; Kernel info:
; codeLenInByte = 0
; NumSgprs: 4
; NumVgprs: 0
; NumAgprs: 0
; TotalNumVgprs: 0
; ScratchSize: 0
; MemoryBound: 0
; FloatMode: 240
; IeeeMode: 1
; LDSByteSize: 0 bytes/workgroup (compile time only)
; SGPRBlocks: 0
; VGPRBlocks: 0
; NumSGPRsForWavesPerEU: 4
; NumVGPRsForWavesPerEU: 1
; AccumOffset: 4
; Occupancy: 8
; WaveLimiterHint : 0
; COMPUTE_PGM_RSRC2:SCRATCH_EN: 0
; COMPUTE_PGM_RSRC2:USER_SGPR: 6
; COMPUTE_PGM_RSRC2:TRAP_HANDLER: 0
; COMPUTE_PGM_RSRC2:TGID_X_EN: 1
; COMPUTE_PGM_RSRC2:TGID_Y_EN: 0
; COMPUTE_PGM_RSRC2:TGID_Z_EN: 0
; COMPUTE_PGM_RSRC2:TIDIG_COMP_CNT: 0
; COMPUTE_PGM_RSRC3_GFX90A:ACCUM_OFFSET: 0
; COMPUTE_PGM_RSRC3_GFX90A:TG_SPLIT: 0
	.section	.text._ZN7rocprim17ROCPRIM_400000_NS6detail17trampoline_kernelINS0_14default_configENS1_35radix_sort_onesweep_config_selectorIcNS0_10empty_typeEEEZZNS1_29radix_sort_onesweep_iterationIS3_Lb0EPcS8_PS5_S9_mNS0_19identity_decomposerENS1_16block_id_wrapperIjLb0EEEEE10hipError_tT1_PNSt15iterator_traitsISE_E10value_typeET2_T3_PNSF_ISK_E10value_typeET4_T5_PSP_SQ_PNS1_23onesweep_lookback_stateEbbT6_jjT7_P12ihipStream_tbENKUlT_T0_SE_SJ_E_clIS8_S8_S9_S9_EEDaSX_SY_SE_SJ_EUlSX_E_NS1_11comp_targetILNS1_3genE9ELNS1_11target_archE1100ELNS1_3gpuE3ELNS1_3repE0EEENS1_47radix_sort_onesweep_sort_config_static_selectorELNS0_4arch9wavefront6targetE1EEEvSE_,"axG",@progbits,_ZN7rocprim17ROCPRIM_400000_NS6detail17trampoline_kernelINS0_14default_configENS1_35radix_sort_onesweep_config_selectorIcNS0_10empty_typeEEEZZNS1_29radix_sort_onesweep_iterationIS3_Lb0EPcS8_PS5_S9_mNS0_19identity_decomposerENS1_16block_id_wrapperIjLb0EEEEE10hipError_tT1_PNSt15iterator_traitsISE_E10value_typeET2_T3_PNSF_ISK_E10value_typeET4_T5_PSP_SQ_PNS1_23onesweep_lookback_stateEbbT6_jjT7_P12ihipStream_tbENKUlT_T0_SE_SJ_E_clIS8_S8_S9_S9_EEDaSX_SY_SE_SJ_EUlSX_E_NS1_11comp_targetILNS1_3genE9ELNS1_11target_archE1100ELNS1_3gpuE3ELNS1_3repE0EEENS1_47radix_sort_onesweep_sort_config_static_selectorELNS0_4arch9wavefront6targetE1EEEvSE_,comdat
	.protected	_ZN7rocprim17ROCPRIM_400000_NS6detail17trampoline_kernelINS0_14default_configENS1_35radix_sort_onesweep_config_selectorIcNS0_10empty_typeEEEZZNS1_29radix_sort_onesweep_iterationIS3_Lb0EPcS8_PS5_S9_mNS0_19identity_decomposerENS1_16block_id_wrapperIjLb0EEEEE10hipError_tT1_PNSt15iterator_traitsISE_E10value_typeET2_T3_PNSF_ISK_E10value_typeET4_T5_PSP_SQ_PNS1_23onesweep_lookback_stateEbbT6_jjT7_P12ihipStream_tbENKUlT_T0_SE_SJ_E_clIS8_S8_S9_S9_EEDaSX_SY_SE_SJ_EUlSX_E_NS1_11comp_targetILNS1_3genE9ELNS1_11target_archE1100ELNS1_3gpuE3ELNS1_3repE0EEENS1_47radix_sort_onesweep_sort_config_static_selectorELNS0_4arch9wavefront6targetE1EEEvSE_ ; -- Begin function _ZN7rocprim17ROCPRIM_400000_NS6detail17trampoline_kernelINS0_14default_configENS1_35radix_sort_onesweep_config_selectorIcNS0_10empty_typeEEEZZNS1_29radix_sort_onesweep_iterationIS3_Lb0EPcS8_PS5_S9_mNS0_19identity_decomposerENS1_16block_id_wrapperIjLb0EEEEE10hipError_tT1_PNSt15iterator_traitsISE_E10value_typeET2_T3_PNSF_ISK_E10value_typeET4_T5_PSP_SQ_PNS1_23onesweep_lookback_stateEbbT6_jjT7_P12ihipStream_tbENKUlT_T0_SE_SJ_E_clIS8_S8_S9_S9_EEDaSX_SY_SE_SJ_EUlSX_E_NS1_11comp_targetILNS1_3genE9ELNS1_11target_archE1100ELNS1_3gpuE3ELNS1_3repE0EEENS1_47radix_sort_onesweep_sort_config_static_selectorELNS0_4arch9wavefront6targetE1EEEvSE_
	.globl	_ZN7rocprim17ROCPRIM_400000_NS6detail17trampoline_kernelINS0_14default_configENS1_35radix_sort_onesweep_config_selectorIcNS0_10empty_typeEEEZZNS1_29radix_sort_onesweep_iterationIS3_Lb0EPcS8_PS5_S9_mNS0_19identity_decomposerENS1_16block_id_wrapperIjLb0EEEEE10hipError_tT1_PNSt15iterator_traitsISE_E10value_typeET2_T3_PNSF_ISK_E10value_typeET4_T5_PSP_SQ_PNS1_23onesweep_lookback_stateEbbT6_jjT7_P12ihipStream_tbENKUlT_T0_SE_SJ_E_clIS8_S8_S9_S9_EEDaSX_SY_SE_SJ_EUlSX_E_NS1_11comp_targetILNS1_3genE9ELNS1_11target_archE1100ELNS1_3gpuE3ELNS1_3repE0EEENS1_47radix_sort_onesweep_sort_config_static_selectorELNS0_4arch9wavefront6targetE1EEEvSE_
	.p2align	8
	.type	_ZN7rocprim17ROCPRIM_400000_NS6detail17trampoline_kernelINS0_14default_configENS1_35radix_sort_onesweep_config_selectorIcNS0_10empty_typeEEEZZNS1_29radix_sort_onesweep_iterationIS3_Lb0EPcS8_PS5_S9_mNS0_19identity_decomposerENS1_16block_id_wrapperIjLb0EEEEE10hipError_tT1_PNSt15iterator_traitsISE_E10value_typeET2_T3_PNSF_ISK_E10value_typeET4_T5_PSP_SQ_PNS1_23onesweep_lookback_stateEbbT6_jjT7_P12ihipStream_tbENKUlT_T0_SE_SJ_E_clIS8_S8_S9_S9_EEDaSX_SY_SE_SJ_EUlSX_E_NS1_11comp_targetILNS1_3genE9ELNS1_11target_archE1100ELNS1_3gpuE3ELNS1_3repE0EEENS1_47radix_sort_onesweep_sort_config_static_selectorELNS0_4arch9wavefront6targetE1EEEvSE_,@function
_ZN7rocprim17ROCPRIM_400000_NS6detail17trampoline_kernelINS0_14default_configENS1_35radix_sort_onesweep_config_selectorIcNS0_10empty_typeEEEZZNS1_29radix_sort_onesweep_iterationIS3_Lb0EPcS8_PS5_S9_mNS0_19identity_decomposerENS1_16block_id_wrapperIjLb0EEEEE10hipError_tT1_PNSt15iterator_traitsISE_E10value_typeET2_T3_PNSF_ISK_E10value_typeET4_T5_PSP_SQ_PNS1_23onesweep_lookback_stateEbbT6_jjT7_P12ihipStream_tbENKUlT_T0_SE_SJ_E_clIS8_S8_S9_S9_EEDaSX_SY_SE_SJ_EUlSX_E_NS1_11comp_targetILNS1_3genE9ELNS1_11target_archE1100ELNS1_3gpuE3ELNS1_3repE0EEENS1_47radix_sort_onesweep_sort_config_static_selectorELNS0_4arch9wavefront6targetE1EEEvSE_: ; @_ZN7rocprim17ROCPRIM_400000_NS6detail17trampoline_kernelINS0_14default_configENS1_35radix_sort_onesweep_config_selectorIcNS0_10empty_typeEEEZZNS1_29radix_sort_onesweep_iterationIS3_Lb0EPcS8_PS5_S9_mNS0_19identity_decomposerENS1_16block_id_wrapperIjLb0EEEEE10hipError_tT1_PNSt15iterator_traitsISE_E10value_typeET2_T3_PNSF_ISK_E10value_typeET4_T5_PSP_SQ_PNS1_23onesweep_lookback_stateEbbT6_jjT7_P12ihipStream_tbENKUlT_T0_SE_SJ_E_clIS8_S8_S9_S9_EEDaSX_SY_SE_SJ_EUlSX_E_NS1_11comp_targetILNS1_3genE9ELNS1_11target_archE1100ELNS1_3gpuE3ELNS1_3repE0EEENS1_47radix_sort_onesweep_sort_config_static_selectorELNS0_4arch9wavefront6targetE1EEEvSE_
; %bb.0:
	.section	.rodata,"a",@progbits
	.p2align	6, 0x0
	.amdhsa_kernel _ZN7rocprim17ROCPRIM_400000_NS6detail17trampoline_kernelINS0_14default_configENS1_35radix_sort_onesweep_config_selectorIcNS0_10empty_typeEEEZZNS1_29radix_sort_onesweep_iterationIS3_Lb0EPcS8_PS5_S9_mNS0_19identity_decomposerENS1_16block_id_wrapperIjLb0EEEEE10hipError_tT1_PNSt15iterator_traitsISE_E10value_typeET2_T3_PNSF_ISK_E10value_typeET4_T5_PSP_SQ_PNS1_23onesweep_lookback_stateEbbT6_jjT7_P12ihipStream_tbENKUlT_T0_SE_SJ_E_clIS8_S8_S9_S9_EEDaSX_SY_SE_SJ_EUlSX_E_NS1_11comp_targetILNS1_3genE9ELNS1_11target_archE1100ELNS1_3gpuE3ELNS1_3repE0EEENS1_47radix_sort_onesweep_sort_config_static_selectorELNS0_4arch9wavefront6targetE1EEEvSE_
		.amdhsa_group_segment_fixed_size 0
		.amdhsa_private_segment_fixed_size 0
		.amdhsa_kernarg_size 88
		.amdhsa_user_sgpr_count 6
		.amdhsa_user_sgpr_private_segment_buffer 1
		.amdhsa_user_sgpr_dispatch_ptr 0
		.amdhsa_user_sgpr_queue_ptr 0
		.amdhsa_user_sgpr_kernarg_segment_ptr 1
		.amdhsa_user_sgpr_dispatch_id 0
		.amdhsa_user_sgpr_flat_scratch_init 0
		.amdhsa_user_sgpr_kernarg_preload_length 0
		.amdhsa_user_sgpr_kernarg_preload_offset 0
		.amdhsa_user_sgpr_private_segment_size 0
		.amdhsa_uses_dynamic_stack 0
		.amdhsa_system_sgpr_private_segment_wavefront_offset 0
		.amdhsa_system_sgpr_workgroup_id_x 1
		.amdhsa_system_sgpr_workgroup_id_y 0
		.amdhsa_system_sgpr_workgroup_id_z 0
		.amdhsa_system_sgpr_workgroup_info 0
		.amdhsa_system_vgpr_workitem_id 0
		.amdhsa_next_free_vgpr 1
		.amdhsa_next_free_sgpr 0
		.amdhsa_accum_offset 4
		.amdhsa_reserve_vcc 0
		.amdhsa_reserve_flat_scratch 0
		.amdhsa_float_round_mode_32 0
		.amdhsa_float_round_mode_16_64 0
		.amdhsa_float_denorm_mode_32 3
		.amdhsa_float_denorm_mode_16_64 3
		.amdhsa_dx10_clamp 1
		.amdhsa_ieee_mode 1
		.amdhsa_fp16_overflow 0
		.amdhsa_tg_split 0
		.amdhsa_exception_fp_ieee_invalid_op 0
		.amdhsa_exception_fp_denorm_src 0
		.amdhsa_exception_fp_ieee_div_zero 0
		.amdhsa_exception_fp_ieee_overflow 0
		.amdhsa_exception_fp_ieee_underflow 0
		.amdhsa_exception_fp_ieee_inexact 0
		.amdhsa_exception_int_div_zero 0
	.end_amdhsa_kernel
	.section	.text._ZN7rocprim17ROCPRIM_400000_NS6detail17trampoline_kernelINS0_14default_configENS1_35radix_sort_onesweep_config_selectorIcNS0_10empty_typeEEEZZNS1_29radix_sort_onesweep_iterationIS3_Lb0EPcS8_PS5_S9_mNS0_19identity_decomposerENS1_16block_id_wrapperIjLb0EEEEE10hipError_tT1_PNSt15iterator_traitsISE_E10value_typeET2_T3_PNSF_ISK_E10value_typeET4_T5_PSP_SQ_PNS1_23onesweep_lookback_stateEbbT6_jjT7_P12ihipStream_tbENKUlT_T0_SE_SJ_E_clIS8_S8_S9_S9_EEDaSX_SY_SE_SJ_EUlSX_E_NS1_11comp_targetILNS1_3genE9ELNS1_11target_archE1100ELNS1_3gpuE3ELNS1_3repE0EEENS1_47radix_sort_onesweep_sort_config_static_selectorELNS0_4arch9wavefront6targetE1EEEvSE_,"axG",@progbits,_ZN7rocprim17ROCPRIM_400000_NS6detail17trampoline_kernelINS0_14default_configENS1_35radix_sort_onesweep_config_selectorIcNS0_10empty_typeEEEZZNS1_29radix_sort_onesweep_iterationIS3_Lb0EPcS8_PS5_S9_mNS0_19identity_decomposerENS1_16block_id_wrapperIjLb0EEEEE10hipError_tT1_PNSt15iterator_traitsISE_E10value_typeET2_T3_PNSF_ISK_E10value_typeET4_T5_PSP_SQ_PNS1_23onesweep_lookback_stateEbbT6_jjT7_P12ihipStream_tbENKUlT_T0_SE_SJ_E_clIS8_S8_S9_S9_EEDaSX_SY_SE_SJ_EUlSX_E_NS1_11comp_targetILNS1_3genE9ELNS1_11target_archE1100ELNS1_3gpuE3ELNS1_3repE0EEENS1_47radix_sort_onesweep_sort_config_static_selectorELNS0_4arch9wavefront6targetE1EEEvSE_,comdat
.Lfunc_end116:
	.size	_ZN7rocprim17ROCPRIM_400000_NS6detail17trampoline_kernelINS0_14default_configENS1_35radix_sort_onesweep_config_selectorIcNS0_10empty_typeEEEZZNS1_29radix_sort_onesweep_iterationIS3_Lb0EPcS8_PS5_S9_mNS0_19identity_decomposerENS1_16block_id_wrapperIjLb0EEEEE10hipError_tT1_PNSt15iterator_traitsISE_E10value_typeET2_T3_PNSF_ISK_E10value_typeET4_T5_PSP_SQ_PNS1_23onesweep_lookback_stateEbbT6_jjT7_P12ihipStream_tbENKUlT_T0_SE_SJ_E_clIS8_S8_S9_S9_EEDaSX_SY_SE_SJ_EUlSX_E_NS1_11comp_targetILNS1_3genE9ELNS1_11target_archE1100ELNS1_3gpuE3ELNS1_3repE0EEENS1_47radix_sort_onesweep_sort_config_static_selectorELNS0_4arch9wavefront6targetE1EEEvSE_, .Lfunc_end116-_ZN7rocprim17ROCPRIM_400000_NS6detail17trampoline_kernelINS0_14default_configENS1_35radix_sort_onesweep_config_selectorIcNS0_10empty_typeEEEZZNS1_29radix_sort_onesweep_iterationIS3_Lb0EPcS8_PS5_S9_mNS0_19identity_decomposerENS1_16block_id_wrapperIjLb0EEEEE10hipError_tT1_PNSt15iterator_traitsISE_E10value_typeET2_T3_PNSF_ISK_E10value_typeET4_T5_PSP_SQ_PNS1_23onesweep_lookback_stateEbbT6_jjT7_P12ihipStream_tbENKUlT_T0_SE_SJ_E_clIS8_S8_S9_S9_EEDaSX_SY_SE_SJ_EUlSX_E_NS1_11comp_targetILNS1_3genE9ELNS1_11target_archE1100ELNS1_3gpuE3ELNS1_3repE0EEENS1_47radix_sort_onesweep_sort_config_static_selectorELNS0_4arch9wavefront6targetE1EEEvSE_
                                        ; -- End function
	.section	.AMDGPU.csdata,"",@progbits
; Kernel info:
; codeLenInByte = 0
; NumSgprs: 4
; NumVgprs: 0
; NumAgprs: 0
; TotalNumVgprs: 0
; ScratchSize: 0
; MemoryBound: 0
; FloatMode: 240
; IeeeMode: 1
; LDSByteSize: 0 bytes/workgroup (compile time only)
; SGPRBlocks: 0
; VGPRBlocks: 0
; NumSGPRsForWavesPerEU: 4
; NumVGPRsForWavesPerEU: 1
; AccumOffset: 4
; Occupancy: 8
; WaveLimiterHint : 0
; COMPUTE_PGM_RSRC2:SCRATCH_EN: 0
; COMPUTE_PGM_RSRC2:USER_SGPR: 6
; COMPUTE_PGM_RSRC2:TRAP_HANDLER: 0
; COMPUTE_PGM_RSRC2:TGID_X_EN: 1
; COMPUTE_PGM_RSRC2:TGID_Y_EN: 0
; COMPUTE_PGM_RSRC2:TGID_Z_EN: 0
; COMPUTE_PGM_RSRC2:TIDIG_COMP_CNT: 0
; COMPUTE_PGM_RSRC3_GFX90A:ACCUM_OFFSET: 0
; COMPUTE_PGM_RSRC3_GFX90A:TG_SPLIT: 0
	.section	.text._ZN7rocprim17ROCPRIM_400000_NS6detail17trampoline_kernelINS0_14default_configENS1_35radix_sort_onesweep_config_selectorIcNS0_10empty_typeEEEZZNS1_29radix_sort_onesweep_iterationIS3_Lb0EPcS8_PS5_S9_mNS0_19identity_decomposerENS1_16block_id_wrapperIjLb0EEEEE10hipError_tT1_PNSt15iterator_traitsISE_E10value_typeET2_T3_PNSF_ISK_E10value_typeET4_T5_PSP_SQ_PNS1_23onesweep_lookback_stateEbbT6_jjT7_P12ihipStream_tbENKUlT_T0_SE_SJ_E_clIS8_S8_S9_S9_EEDaSX_SY_SE_SJ_EUlSX_E_NS1_11comp_targetILNS1_3genE8ELNS1_11target_archE1030ELNS1_3gpuE2ELNS1_3repE0EEENS1_47radix_sort_onesweep_sort_config_static_selectorELNS0_4arch9wavefront6targetE1EEEvSE_,"axG",@progbits,_ZN7rocprim17ROCPRIM_400000_NS6detail17trampoline_kernelINS0_14default_configENS1_35radix_sort_onesweep_config_selectorIcNS0_10empty_typeEEEZZNS1_29radix_sort_onesweep_iterationIS3_Lb0EPcS8_PS5_S9_mNS0_19identity_decomposerENS1_16block_id_wrapperIjLb0EEEEE10hipError_tT1_PNSt15iterator_traitsISE_E10value_typeET2_T3_PNSF_ISK_E10value_typeET4_T5_PSP_SQ_PNS1_23onesweep_lookback_stateEbbT6_jjT7_P12ihipStream_tbENKUlT_T0_SE_SJ_E_clIS8_S8_S9_S9_EEDaSX_SY_SE_SJ_EUlSX_E_NS1_11comp_targetILNS1_3genE8ELNS1_11target_archE1030ELNS1_3gpuE2ELNS1_3repE0EEENS1_47radix_sort_onesweep_sort_config_static_selectorELNS0_4arch9wavefront6targetE1EEEvSE_,comdat
	.protected	_ZN7rocprim17ROCPRIM_400000_NS6detail17trampoline_kernelINS0_14default_configENS1_35radix_sort_onesweep_config_selectorIcNS0_10empty_typeEEEZZNS1_29radix_sort_onesweep_iterationIS3_Lb0EPcS8_PS5_S9_mNS0_19identity_decomposerENS1_16block_id_wrapperIjLb0EEEEE10hipError_tT1_PNSt15iterator_traitsISE_E10value_typeET2_T3_PNSF_ISK_E10value_typeET4_T5_PSP_SQ_PNS1_23onesweep_lookback_stateEbbT6_jjT7_P12ihipStream_tbENKUlT_T0_SE_SJ_E_clIS8_S8_S9_S9_EEDaSX_SY_SE_SJ_EUlSX_E_NS1_11comp_targetILNS1_3genE8ELNS1_11target_archE1030ELNS1_3gpuE2ELNS1_3repE0EEENS1_47radix_sort_onesweep_sort_config_static_selectorELNS0_4arch9wavefront6targetE1EEEvSE_ ; -- Begin function _ZN7rocprim17ROCPRIM_400000_NS6detail17trampoline_kernelINS0_14default_configENS1_35radix_sort_onesweep_config_selectorIcNS0_10empty_typeEEEZZNS1_29radix_sort_onesweep_iterationIS3_Lb0EPcS8_PS5_S9_mNS0_19identity_decomposerENS1_16block_id_wrapperIjLb0EEEEE10hipError_tT1_PNSt15iterator_traitsISE_E10value_typeET2_T3_PNSF_ISK_E10value_typeET4_T5_PSP_SQ_PNS1_23onesweep_lookback_stateEbbT6_jjT7_P12ihipStream_tbENKUlT_T0_SE_SJ_E_clIS8_S8_S9_S9_EEDaSX_SY_SE_SJ_EUlSX_E_NS1_11comp_targetILNS1_3genE8ELNS1_11target_archE1030ELNS1_3gpuE2ELNS1_3repE0EEENS1_47radix_sort_onesweep_sort_config_static_selectorELNS0_4arch9wavefront6targetE1EEEvSE_
	.globl	_ZN7rocprim17ROCPRIM_400000_NS6detail17trampoline_kernelINS0_14default_configENS1_35radix_sort_onesweep_config_selectorIcNS0_10empty_typeEEEZZNS1_29radix_sort_onesweep_iterationIS3_Lb0EPcS8_PS5_S9_mNS0_19identity_decomposerENS1_16block_id_wrapperIjLb0EEEEE10hipError_tT1_PNSt15iterator_traitsISE_E10value_typeET2_T3_PNSF_ISK_E10value_typeET4_T5_PSP_SQ_PNS1_23onesweep_lookback_stateEbbT6_jjT7_P12ihipStream_tbENKUlT_T0_SE_SJ_E_clIS8_S8_S9_S9_EEDaSX_SY_SE_SJ_EUlSX_E_NS1_11comp_targetILNS1_3genE8ELNS1_11target_archE1030ELNS1_3gpuE2ELNS1_3repE0EEENS1_47radix_sort_onesweep_sort_config_static_selectorELNS0_4arch9wavefront6targetE1EEEvSE_
	.p2align	8
	.type	_ZN7rocprim17ROCPRIM_400000_NS6detail17trampoline_kernelINS0_14default_configENS1_35radix_sort_onesweep_config_selectorIcNS0_10empty_typeEEEZZNS1_29radix_sort_onesweep_iterationIS3_Lb0EPcS8_PS5_S9_mNS0_19identity_decomposerENS1_16block_id_wrapperIjLb0EEEEE10hipError_tT1_PNSt15iterator_traitsISE_E10value_typeET2_T3_PNSF_ISK_E10value_typeET4_T5_PSP_SQ_PNS1_23onesweep_lookback_stateEbbT6_jjT7_P12ihipStream_tbENKUlT_T0_SE_SJ_E_clIS8_S8_S9_S9_EEDaSX_SY_SE_SJ_EUlSX_E_NS1_11comp_targetILNS1_3genE8ELNS1_11target_archE1030ELNS1_3gpuE2ELNS1_3repE0EEENS1_47radix_sort_onesweep_sort_config_static_selectorELNS0_4arch9wavefront6targetE1EEEvSE_,@function
_ZN7rocprim17ROCPRIM_400000_NS6detail17trampoline_kernelINS0_14default_configENS1_35radix_sort_onesweep_config_selectorIcNS0_10empty_typeEEEZZNS1_29radix_sort_onesweep_iterationIS3_Lb0EPcS8_PS5_S9_mNS0_19identity_decomposerENS1_16block_id_wrapperIjLb0EEEEE10hipError_tT1_PNSt15iterator_traitsISE_E10value_typeET2_T3_PNSF_ISK_E10value_typeET4_T5_PSP_SQ_PNS1_23onesweep_lookback_stateEbbT6_jjT7_P12ihipStream_tbENKUlT_T0_SE_SJ_E_clIS8_S8_S9_S9_EEDaSX_SY_SE_SJ_EUlSX_E_NS1_11comp_targetILNS1_3genE8ELNS1_11target_archE1030ELNS1_3gpuE2ELNS1_3repE0EEENS1_47radix_sort_onesweep_sort_config_static_selectorELNS0_4arch9wavefront6targetE1EEEvSE_: ; @_ZN7rocprim17ROCPRIM_400000_NS6detail17trampoline_kernelINS0_14default_configENS1_35radix_sort_onesweep_config_selectorIcNS0_10empty_typeEEEZZNS1_29radix_sort_onesweep_iterationIS3_Lb0EPcS8_PS5_S9_mNS0_19identity_decomposerENS1_16block_id_wrapperIjLb0EEEEE10hipError_tT1_PNSt15iterator_traitsISE_E10value_typeET2_T3_PNSF_ISK_E10value_typeET4_T5_PSP_SQ_PNS1_23onesweep_lookback_stateEbbT6_jjT7_P12ihipStream_tbENKUlT_T0_SE_SJ_E_clIS8_S8_S9_S9_EEDaSX_SY_SE_SJ_EUlSX_E_NS1_11comp_targetILNS1_3genE8ELNS1_11target_archE1030ELNS1_3gpuE2ELNS1_3repE0EEENS1_47radix_sort_onesweep_sort_config_static_selectorELNS0_4arch9wavefront6targetE1EEEvSE_
; %bb.0:
	.section	.rodata,"a",@progbits
	.p2align	6, 0x0
	.amdhsa_kernel _ZN7rocprim17ROCPRIM_400000_NS6detail17trampoline_kernelINS0_14default_configENS1_35radix_sort_onesweep_config_selectorIcNS0_10empty_typeEEEZZNS1_29radix_sort_onesweep_iterationIS3_Lb0EPcS8_PS5_S9_mNS0_19identity_decomposerENS1_16block_id_wrapperIjLb0EEEEE10hipError_tT1_PNSt15iterator_traitsISE_E10value_typeET2_T3_PNSF_ISK_E10value_typeET4_T5_PSP_SQ_PNS1_23onesweep_lookback_stateEbbT6_jjT7_P12ihipStream_tbENKUlT_T0_SE_SJ_E_clIS8_S8_S9_S9_EEDaSX_SY_SE_SJ_EUlSX_E_NS1_11comp_targetILNS1_3genE8ELNS1_11target_archE1030ELNS1_3gpuE2ELNS1_3repE0EEENS1_47radix_sort_onesweep_sort_config_static_selectorELNS0_4arch9wavefront6targetE1EEEvSE_
		.amdhsa_group_segment_fixed_size 0
		.amdhsa_private_segment_fixed_size 0
		.amdhsa_kernarg_size 88
		.amdhsa_user_sgpr_count 6
		.amdhsa_user_sgpr_private_segment_buffer 1
		.amdhsa_user_sgpr_dispatch_ptr 0
		.amdhsa_user_sgpr_queue_ptr 0
		.amdhsa_user_sgpr_kernarg_segment_ptr 1
		.amdhsa_user_sgpr_dispatch_id 0
		.amdhsa_user_sgpr_flat_scratch_init 0
		.amdhsa_user_sgpr_kernarg_preload_length 0
		.amdhsa_user_sgpr_kernarg_preload_offset 0
		.amdhsa_user_sgpr_private_segment_size 0
		.amdhsa_uses_dynamic_stack 0
		.amdhsa_system_sgpr_private_segment_wavefront_offset 0
		.amdhsa_system_sgpr_workgroup_id_x 1
		.amdhsa_system_sgpr_workgroup_id_y 0
		.amdhsa_system_sgpr_workgroup_id_z 0
		.amdhsa_system_sgpr_workgroup_info 0
		.amdhsa_system_vgpr_workitem_id 0
		.amdhsa_next_free_vgpr 1
		.amdhsa_next_free_sgpr 0
		.amdhsa_accum_offset 4
		.amdhsa_reserve_vcc 0
		.amdhsa_reserve_flat_scratch 0
		.amdhsa_float_round_mode_32 0
		.amdhsa_float_round_mode_16_64 0
		.amdhsa_float_denorm_mode_32 3
		.amdhsa_float_denorm_mode_16_64 3
		.amdhsa_dx10_clamp 1
		.amdhsa_ieee_mode 1
		.amdhsa_fp16_overflow 0
		.amdhsa_tg_split 0
		.amdhsa_exception_fp_ieee_invalid_op 0
		.amdhsa_exception_fp_denorm_src 0
		.amdhsa_exception_fp_ieee_div_zero 0
		.amdhsa_exception_fp_ieee_overflow 0
		.amdhsa_exception_fp_ieee_underflow 0
		.amdhsa_exception_fp_ieee_inexact 0
		.amdhsa_exception_int_div_zero 0
	.end_amdhsa_kernel
	.section	.text._ZN7rocprim17ROCPRIM_400000_NS6detail17trampoline_kernelINS0_14default_configENS1_35radix_sort_onesweep_config_selectorIcNS0_10empty_typeEEEZZNS1_29radix_sort_onesweep_iterationIS3_Lb0EPcS8_PS5_S9_mNS0_19identity_decomposerENS1_16block_id_wrapperIjLb0EEEEE10hipError_tT1_PNSt15iterator_traitsISE_E10value_typeET2_T3_PNSF_ISK_E10value_typeET4_T5_PSP_SQ_PNS1_23onesweep_lookback_stateEbbT6_jjT7_P12ihipStream_tbENKUlT_T0_SE_SJ_E_clIS8_S8_S9_S9_EEDaSX_SY_SE_SJ_EUlSX_E_NS1_11comp_targetILNS1_3genE8ELNS1_11target_archE1030ELNS1_3gpuE2ELNS1_3repE0EEENS1_47radix_sort_onesweep_sort_config_static_selectorELNS0_4arch9wavefront6targetE1EEEvSE_,"axG",@progbits,_ZN7rocprim17ROCPRIM_400000_NS6detail17trampoline_kernelINS0_14default_configENS1_35radix_sort_onesweep_config_selectorIcNS0_10empty_typeEEEZZNS1_29radix_sort_onesweep_iterationIS3_Lb0EPcS8_PS5_S9_mNS0_19identity_decomposerENS1_16block_id_wrapperIjLb0EEEEE10hipError_tT1_PNSt15iterator_traitsISE_E10value_typeET2_T3_PNSF_ISK_E10value_typeET4_T5_PSP_SQ_PNS1_23onesweep_lookback_stateEbbT6_jjT7_P12ihipStream_tbENKUlT_T0_SE_SJ_E_clIS8_S8_S9_S9_EEDaSX_SY_SE_SJ_EUlSX_E_NS1_11comp_targetILNS1_3genE8ELNS1_11target_archE1030ELNS1_3gpuE2ELNS1_3repE0EEENS1_47radix_sort_onesweep_sort_config_static_selectorELNS0_4arch9wavefront6targetE1EEEvSE_,comdat
.Lfunc_end117:
	.size	_ZN7rocprim17ROCPRIM_400000_NS6detail17trampoline_kernelINS0_14default_configENS1_35radix_sort_onesweep_config_selectorIcNS0_10empty_typeEEEZZNS1_29radix_sort_onesweep_iterationIS3_Lb0EPcS8_PS5_S9_mNS0_19identity_decomposerENS1_16block_id_wrapperIjLb0EEEEE10hipError_tT1_PNSt15iterator_traitsISE_E10value_typeET2_T3_PNSF_ISK_E10value_typeET4_T5_PSP_SQ_PNS1_23onesweep_lookback_stateEbbT6_jjT7_P12ihipStream_tbENKUlT_T0_SE_SJ_E_clIS8_S8_S9_S9_EEDaSX_SY_SE_SJ_EUlSX_E_NS1_11comp_targetILNS1_3genE8ELNS1_11target_archE1030ELNS1_3gpuE2ELNS1_3repE0EEENS1_47radix_sort_onesweep_sort_config_static_selectorELNS0_4arch9wavefront6targetE1EEEvSE_, .Lfunc_end117-_ZN7rocprim17ROCPRIM_400000_NS6detail17trampoline_kernelINS0_14default_configENS1_35radix_sort_onesweep_config_selectorIcNS0_10empty_typeEEEZZNS1_29radix_sort_onesweep_iterationIS3_Lb0EPcS8_PS5_S9_mNS0_19identity_decomposerENS1_16block_id_wrapperIjLb0EEEEE10hipError_tT1_PNSt15iterator_traitsISE_E10value_typeET2_T3_PNSF_ISK_E10value_typeET4_T5_PSP_SQ_PNS1_23onesweep_lookback_stateEbbT6_jjT7_P12ihipStream_tbENKUlT_T0_SE_SJ_E_clIS8_S8_S9_S9_EEDaSX_SY_SE_SJ_EUlSX_E_NS1_11comp_targetILNS1_3genE8ELNS1_11target_archE1030ELNS1_3gpuE2ELNS1_3repE0EEENS1_47radix_sort_onesweep_sort_config_static_selectorELNS0_4arch9wavefront6targetE1EEEvSE_
                                        ; -- End function
	.section	.AMDGPU.csdata,"",@progbits
; Kernel info:
; codeLenInByte = 0
; NumSgprs: 4
; NumVgprs: 0
; NumAgprs: 0
; TotalNumVgprs: 0
; ScratchSize: 0
; MemoryBound: 0
; FloatMode: 240
; IeeeMode: 1
; LDSByteSize: 0 bytes/workgroup (compile time only)
; SGPRBlocks: 0
; VGPRBlocks: 0
; NumSGPRsForWavesPerEU: 4
; NumVGPRsForWavesPerEU: 1
; AccumOffset: 4
; Occupancy: 8
; WaveLimiterHint : 0
; COMPUTE_PGM_RSRC2:SCRATCH_EN: 0
; COMPUTE_PGM_RSRC2:USER_SGPR: 6
; COMPUTE_PGM_RSRC2:TRAP_HANDLER: 0
; COMPUTE_PGM_RSRC2:TGID_X_EN: 1
; COMPUTE_PGM_RSRC2:TGID_Y_EN: 0
; COMPUTE_PGM_RSRC2:TGID_Z_EN: 0
; COMPUTE_PGM_RSRC2:TIDIG_COMP_CNT: 0
; COMPUTE_PGM_RSRC3_GFX90A:ACCUM_OFFSET: 0
; COMPUTE_PGM_RSRC3_GFX90A:TG_SPLIT: 0
	.section	.text._ZN7rocprim17ROCPRIM_400000_NS6detail17trampoline_kernelINS0_13kernel_configILj256ELj4ELj4294967295EEENS1_37radix_sort_block_sort_config_selectorIaNS0_10empty_typeEEEZNS1_21radix_sort_block_sortIS4_Lb0EPaS9_PS6_SA_NS0_19identity_decomposerEEE10hipError_tT1_T2_T3_T4_jRjT5_jjP12ihipStream_tbEUlT_E_NS1_11comp_targetILNS1_3genE0ELNS1_11target_archE4294967295ELNS1_3gpuE0ELNS1_3repE0EEENS1_44radix_sort_block_sort_config_static_selectorELNS0_4arch9wavefront6targetE1EEEvSD_,"axG",@progbits,_ZN7rocprim17ROCPRIM_400000_NS6detail17trampoline_kernelINS0_13kernel_configILj256ELj4ELj4294967295EEENS1_37radix_sort_block_sort_config_selectorIaNS0_10empty_typeEEEZNS1_21radix_sort_block_sortIS4_Lb0EPaS9_PS6_SA_NS0_19identity_decomposerEEE10hipError_tT1_T2_T3_T4_jRjT5_jjP12ihipStream_tbEUlT_E_NS1_11comp_targetILNS1_3genE0ELNS1_11target_archE4294967295ELNS1_3gpuE0ELNS1_3repE0EEENS1_44radix_sort_block_sort_config_static_selectorELNS0_4arch9wavefront6targetE1EEEvSD_,comdat
	.protected	_ZN7rocprim17ROCPRIM_400000_NS6detail17trampoline_kernelINS0_13kernel_configILj256ELj4ELj4294967295EEENS1_37radix_sort_block_sort_config_selectorIaNS0_10empty_typeEEEZNS1_21radix_sort_block_sortIS4_Lb0EPaS9_PS6_SA_NS0_19identity_decomposerEEE10hipError_tT1_T2_T3_T4_jRjT5_jjP12ihipStream_tbEUlT_E_NS1_11comp_targetILNS1_3genE0ELNS1_11target_archE4294967295ELNS1_3gpuE0ELNS1_3repE0EEENS1_44radix_sort_block_sort_config_static_selectorELNS0_4arch9wavefront6targetE1EEEvSD_ ; -- Begin function _ZN7rocprim17ROCPRIM_400000_NS6detail17trampoline_kernelINS0_13kernel_configILj256ELj4ELj4294967295EEENS1_37radix_sort_block_sort_config_selectorIaNS0_10empty_typeEEEZNS1_21radix_sort_block_sortIS4_Lb0EPaS9_PS6_SA_NS0_19identity_decomposerEEE10hipError_tT1_T2_T3_T4_jRjT5_jjP12ihipStream_tbEUlT_E_NS1_11comp_targetILNS1_3genE0ELNS1_11target_archE4294967295ELNS1_3gpuE0ELNS1_3repE0EEENS1_44radix_sort_block_sort_config_static_selectorELNS0_4arch9wavefront6targetE1EEEvSD_
	.globl	_ZN7rocprim17ROCPRIM_400000_NS6detail17trampoline_kernelINS0_13kernel_configILj256ELj4ELj4294967295EEENS1_37radix_sort_block_sort_config_selectorIaNS0_10empty_typeEEEZNS1_21radix_sort_block_sortIS4_Lb0EPaS9_PS6_SA_NS0_19identity_decomposerEEE10hipError_tT1_T2_T3_T4_jRjT5_jjP12ihipStream_tbEUlT_E_NS1_11comp_targetILNS1_3genE0ELNS1_11target_archE4294967295ELNS1_3gpuE0ELNS1_3repE0EEENS1_44radix_sort_block_sort_config_static_selectorELNS0_4arch9wavefront6targetE1EEEvSD_
	.p2align	8
	.type	_ZN7rocprim17ROCPRIM_400000_NS6detail17trampoline_kernelINS0_13kernel_configILj256ELj4ELj4294967295EEENS1_37radix_sort_block_sort_config_selectorIaNS0_10empty_typeEEEZNS1_21radix_sort_block_sortIS4_Lb0EPaS9_PS6_SA_NS0_19identity_decomposerEEE10hipError_tT1_T2_T3_T4_jRjT5_jjP12ihipStream_tbEUlT_E_NS1_11comp_targetILNS1_3genE0ELNS1_11target_archE4294967295ELNS1_3gpuE0ELNS1_3repE0EEENS1_44radix_sort_block_sort_config_static_selectorELNS0_4arch9wavefront6targetE1EEEvSD_,@function
_ZN7rocprim17ROCPRIM_400000_NS6detail17trampoline_kernelINS0_13kernel_configILj256ELj4ELj4294967295EEENS1_37radix_sort_block_sort_config_selectorIaNS0_10empty_typeEEEZNS1_21radix_sort_block_sortIS4_Lb0EPaS9_PS6_SA_NS0_19identity_decomposerEEE10hipError_tT1_T2_T3_T4_jRjT5_jjP12ihipStream_tbEUlT_E_NS1_11comp_targetILNS1_3genE0ELNS1_11target_archE4294967295ELNS1_3gpuE0ELNS1_3repE0EEENS1_44radix_sort_block_sort_config_static_selectorELNS0_4arch9wavefront6targetE1EEEvSD_: ; @_ZN7rocprim17ROCPRIM_400000_NS6detail17trampoline_kernelINS0_13kernel_configILj256ELj4ELj4294967295EEENS1_37radix_sort_block_sort_config_selectorIaNS0_10empty_typeEEEZNS1_21radix_sort_block_sortIS4_Lb0EPaS9_PS6_SA_NS0_19identity_decomposerEEE10hipError_tT1_T2_T3_T4_jRjT5_jjP12ihipStream_tbEUlT_E_NS1_11comp_targetILNS1_3genE0ELNS1_11target_archE4294967295ELNS1_3gpuE0ELNS1_3repE0EEENS1_44radix_sort_block_sort_config_static_selectorELNS0_4arch9wavefront6targetE1EEEvSD_
; %bb.0:
	.section	.rodata,"a",@progbits
	.p2align	6, 0x0
	.amdhsa_kernel _ZN7rocprim17ROCPRIM_400000_NS6detail17trampoline_kernelINS0_13kernel_configILj256ELj4ELj4294967295EEENS1_37radix_sort_block_sort_config_selectorIaNS0_10empty_typeEEEZNS1_21radix_sort_block_sortIS4_Lb0EPaS9_PS6_SA_NS0_19identity_decomposerEEE10hipError_tT1_T2_T3_T4_jRjT5_jjP12ihipStream_tbEUlT_E_NS1_11comp_targetILNS1_3genE0ELNS1_11target_archE4294967295ELNS1_3gpuE0ELNS1_3repE0EEENS1_44radix_sort_block_sort_config_static_selectorELNS0_4arch9wavefront6targetE1EEEvSD_
		.amdhsa_group_segment_fixed_size 0
		.amdhsa_private_segment_fixed_size 0
		.amdhsa_kernarg_size 48
		.amdhsa_user_sgpr_count 6
		.amdhsa_user_sgpr_private_segment_buffer 1
		.amdhsa_user_sgpr_dispatch_ptr 0
		.amdhsa_user_sgpr_queue_ptr 0
		.amdhsa_user_sgpr_kernarg_segment_ptr 1
		.amdhsa_user_sgpr_dispatch_id 0
		.amdhsa_user_sgpr_flat_scratch_init 0
		.amdhsa_user_sgpr_kernarg_preload_length 0
		.amdhsa_user_sgpr_kernarg_preload_offset 0
		.amdhsa_user_sgpr_private_segment_size 0
		.amdhsa_uses_dynamic_stack 0
		.amdhsa_system_sgpr_private_segment_wavefront_offset 0
		.amdhsa_system_sgpr_workgroup_id_x 1
		.amdhsa_system_sgpr_workgroup_id_y 0
		.amdhsa_system_sgpr_workgroup_id_z 0
		.amdhsa_system_sgpr_workgroup_info 0
		.amdhsa_system_vgpr_workitem_id 0
		.amdhsa_next_free_vgpr 1
		.amdhsa_next_free_sgpr 0
		.amdhsa_accum_offset 4
		.amdhsa_reserve_vcc 0
		.amdhsa_reserve_flat_scratch 0
		.amdhsa_float_round_mode_32 0
		.amdhsa_float_round_mode_16_64 0
		.amdhsa_float_denorm_mode_32 3
		.amdhsa_float_denorm_mode_16_64 3
		.amdhsa_dx10_clamp 1
		.amdhsa_ieee_mode 1
		.amdhsa_fp16_overflow 0
		.amdhsa_tg_split 0
		.amdhsa_exception_fp_ieee_invalid_op 0
		.amdhsa_exception_fp_denorm_src 0
		.amdhsa_exception_fp_ieee_div_zero 0
		.amdhsa_exception_fp_ieee_overflow 0
		.amdhsa_exception_fp_ieee_underflow 0
		.amdhsa_exception_fp_ieee_inexact 0
		.amdhsa_exception_int_div_zero 0
	.end_amdhsa_kernel
	.section	.text._ZN7rocprim17ROCPRIM_400000_NS6detail17trampoline_kernelINS0_13kernel_configILj256ELj4ELj4294967295EEENS1_37radix_sort_block_sort_config_selectorIaNS0_10empty_typeEEEZNS1_21radix_sort_block_sortIS4_Lb0EPaS9_PS6_SA_NS0_19identity_decomposerEEE10hipError_tT1_T2_T3_T4_jRjT5_jjP12ihipStream_tbEUlT_E_NS1_11comp_targetILNS1_3genE0ELNS1_11target_archE4294967295ELNS1_3gpuE0ELNS1_3repE0EEENS1_44radix_sort_block_sort_config_static_selectorELNS0_4arch9wavefront6targetE1EEEvSD_,"axG",@progbits,_ZN7rocprim17ROCPRIM_400000_NS6detail17trampoline_kernelINS0_13kernel_configILj256ELj4ELj4294967295EEENS1_37radix_sort_block_sort_config_selectorIaNS0_10empty_typeEEEZNS1_21radix_sort_block_sortIS4_Lb0EPaS9_PS6_SA_NS0_19identity_decomposerEEE10hipError_tT1_T2_T3_T4_jRjT5_jjP12ihipStream_tbEUlT_E_NS1_11comp_targetILNS1_3genE0ELNS1_11target_archE4294967295ELNS1_3gpuE0ELNS1_3repE0EEENS1_44radix_sort_block_sort_config_static_selectorELNS0_4arch9wavefront6targetE1EEEvSD_,comdat
.Lfunc_end118:
	.size	_ZN7rocprim17ROCPRIM_400000_NS6detail17trampoline_kernelINS0_13kernel_configILj256ELj4ELj4294967295EEENS1_37radix_sort_block_sort_config_selectorIaNS0_10empty_typeEEEZNS1_21radix_sort_block_sortIS4_Lb0EPaS9_PS6_SA_NS0_19identity_decomposerEEE10hipError_tT1_T2_T3_T4_jRjT5_jjP12ihipStream_tbEUlT_E_NS1_11comp_targetILNS1_3genE0ELNS1_11target_archE4294967295ELNS1_3gpuE0ELNS1_3repE0EEENS1_44radix_sort_block_sort_config_static_selectorELNS0_4arch9wavefront6targetE1EEEvSD_, .Lfunc_end118-_ZN7rocprim17ROCPRIM_400000_NS6detail17trampoline_kernelINS0_13kernel_configILj256ELj4ELj4294967295EEENS1_37radix_sort_block_sort_config_selectorIaNS0_10empty_typeEEEZNS1_21radix_sort_block_sortIS4_Lb0EPaS9_PS6_SA_NS0_19identity_decomposerEEE10hipError_tT1_T2_T3_T4_jRjT5_jjP12ihipStream_tbEUlT_E_NS1_11comp_targetILNS1_3genE0ELNS1_11target_archE4294967295ELNS1_3gpuE0ELNS1_3repE0EEENS1_44radix_sort_block_sort_config_static_selectorELNS0_4arch9wavefront6targetE1EEEvSD_
                                        ; -- End function
	.section	.AMDGPU.csdata,"",@progbits
; Kernel info:
; codeLenInByte = 0
; NumSgprs: 4
; NumVgprs: 0
; NumAgprs: 0
; TotalNumVgprs: 0
; ScratchSize: 0
; MemoryBound: 0
; FloatMode: 240
; IeeeMode: 1
; LDSByteSize: 0 bytes/workgroup (compile time only)
; SGPRBlocks: 0
; VGPRBlocks: 0
; NumSGPRsForWavesPerEU: 4
; NumVGPRsForWavesPerEU: 1
; AccumOffset: 4
; Occupancy: 8
; WaveLimiterHint : 0
; COMPUTE_PGM_RSRC2:SCRATCH_EN: 0
; COMPUTE_PGM_RSRC2:USER_SGPR: 6
; COMPUTE_PGM_RSRC2:TRAP_HANDLER: 0
; COMPUTE_PGM_RSRC2:TGID_X_EN: 1
; COMPUTE_PGM_RSRC2:TGID_Y_EN: 0
; COMPUTE_PGM_RSRC2:TGID_Z_EN: 0
; COMPUTE_PGM_RSRC2:TIDIG_COMP_CNT: 0
; COMPUTE_PGM_RSRC3_GFX90A:ACCUM_OFFSET: 0
; COMPUTE_PGM_RSRC3_GFX90A:TG_SPLIT: 0
	.section	.text._ZN7rocprim17ROCPRIM_400000_NS6detail17trampoline_kernelINS0_13kernel_configILj256ELj4ELj4294967295EEENS1_37radix_sort_block_sort_config_selectorIaNS0_10empty_typeEEEZNS1_21radix_sort_block_sortIS4_Lb0EPaS9_PS6_SA_NS0_19identity_decomposerEEE10hipError_tT1_T2_T3_T4_jRjT5_jjP12ihipStream_tbEUlT_E_NS1_11comp_targetILNS1_3genE5ELNS1_11target_archE942ELNS1_3gpuE9ELNS1_3repE0EEENS1_44radix_sort_block_sort_config_static_selectorELNS0_4arch9wavefront6targetE1EEEvSD_,"axG",@progbits,_ZN7rocprim17ROCPRIM_400000_NS6detail17trampoline_kernelINS0_13kernel_configILj256ELj4ELj4294967295EEENS1_37radix_sort_block_sort_config_selectorIaNS0_10empty_typeEEEZNS1_21radix_sort_block_sortIS4_Lb0EPaS9_PS6_SA_NS0_19identity_decomposerEEE10hipError_tT1_T2_T3_T4_jRjT5_jjP12ihipStream_tbEUlT_E_NS1_11comp_targetILNS1_3genE5ELNS1_11target_archE942ELNS1_3gpuE9ELNS1_3repE0EEENS1_44radix_sort_block_sort_config_static_selectorELNS0_4arch9wavefront6targetE1EEEvSD_,comdat
	.protected	_ZN7rocprim17ROCPRIM_400000_NS6detail17trampoline_kernelINS0_13kernel_configILj256ELj4ELj4294967295EEENS1_37radix_sort_block_sort_config_selectorIaNS0_10empty_typeEEEZNS1_21radix_sort_block_sortIS4_Lb0EPaS9_PS6_SA_NS0_19identity_decomposerEEE10hipError_tT1_T2_T3_T4_jRjT5_jjP12ihipStream_tbEUlT_E_NS1_11comp_targetILNS1_3genE5ELNS1_11target_archE942ELNS1_3gpuE9ELNS1_3repE0EEENS1_44radix_sort_block_sort_config_static_selectorELNS0_4arch9wavefront6targetE1EEEvSD_ ; -- Begin function _ZN7rocprim17ROCPRIM_400000_NS6detail17trampoline_kernelINS0_13kernel_configILj256ELj4ELj4294967295EEENS1_37radix_sort_block_sort_config_selectorIaNS0_10empty_typeEEEZNS1_21radix_sort_block_sortIS4_Lb0EPaS9_PS6_SA_NS0_19identity_decomposerEEE10hipError_tT1_T2_T3_T4_jRjT5_jjP12ihipStream_tbEUlT_E_NS1_11comp_targetILNS1_3genE5ELNS1_11target_archE942ELNS1_3gpuE9ELNS1_3repE0EEENS1_44radix_sort_block_sort_config_static_selectorELNS0_4arch9wavefront6targetE1EEEvSD_
	.globl	_ZN7rocprim17ROCPRIM_400000_NS6detail17trampoline_kernelINS0_13kernel_configILj256ELj4ELj4294967295EEENS1_37radix_sort_block_sort_config_selectorIaNS0_10empty_typeEEEZNS1_21radix_sort_block_sortIS4_Lb0EPaS9_PS6_SA_NS0_19identity_decomposerEEE10hipError_tT1_T2_T3_T4_jRjT5_jjP12ihipStream_tbEUlT_E_NS1_11comp_targetILNS1_3genE5ELNS1_11target_archE942ELNS1_3gpuE9ELNS1_3repE0EEENS1_44radix_sort_block_sort_config_static_selectorELNS0_4arch9wavefront6targetE1EEEvSD_
	.p2align	8
	.type	_ZN7rocprim17ROCPRIM_400000_NS6detail17trampoline_kernelINS0_13kernel_configILj256ELj4ELj4294967295EEENS1_37radix_sort_block_sort_config_selectorIaNS0_10empty_typeEEEZNS1_21radix_sort_block_sortIS4_Lb0EPaS9_PS6_SA_NS0_19identity_decomposerEEE10hipError_tT1_T2_T3_T4_jRjT5_jjP12ihipStream_tbEUlT_E_NS1_11comp_targetILNS1_3genE5ELNS1_11target_archE942ELNS1_3gpuE9ELNS1_3repE0EEENS1_44radix_sort_block_sort_config_static_selectorELNS0_4arch9wavefront6targetE1EEEvSD_,@function
_ZN7rocprim17ROCPRIM_400000_NS6detail17trampoline_kernelINS0_13kernel_configILj256ELj4ELj4294967295EEENS1_37radix_sort_block_sort_config_selectorIaNS0_10empty_typeEEEZNS1_21radix_sort_block_sortIS4_Lb0EPaS9_PS6_SA_NS0_19identity_decomposerEEE10hipError_tT1_T2_T3_T4_jRjT5_jjP12ihipStream_tbEUlT_E_NS1_11comp_targetILNS1_3genE5ELNS1_11target_archE942ELNS1_3gpuE9ELNS1_3repE0EEENS1_44radix_sort_block_sort_config_static_selectorELNS0_4arch9wavefront6targetE1EEEvSD_: ; @_ZN7rocprim17ROCPRIM_400000_NS6detail17trampoline_kernelINS0_13kernel_configILj256ELj4ELj4294967295EEENS1_37radix_sort_block_sort_config_selectorIaNS0_10empty_typeEEEZNS1_21radix_sort_block_sortIS4_Lb0EPaS9_PS6_SA_NS0_19identity_decomposerEEE10hipError_tT1_T2_T3_T4_jRjT5_jjP12ihipStream_tbEUlT_E_NS1_11comp_targetILNS1_3genE5ELNS1_11target_archE942ELNS1_3gpuE9ELNS1_3repE0EEENS1_44radix_sort_block_sort_config_static_selectorELNS0_4arch9wavefront6targetE1EEEvSD_
; %bb.0:
	.section	.rodata,"a",@progbits
	.p2align	6, 0x0
	.amdhsa_kernel _ZN7rocprim17ROCPRIM_400000_NS6detail17trampoline_kernelINS0_13kernel_configILj256ELj4ELj4294967295EEENS1_37radix_sort_block_sort_config_selectorIaNS0_10empty_typeEEEZNS1_21radix_sort_block_sortIS4_Lb0EPaS9_PS6_SA_NS0_19identity_decomposerEEE10hipError_tT1_T2_T3_T4_jRjT5_jjP12ihipStream_tbEUlT_E_NS1_11comp_targetILNS1_3genE5ELNS1_11target_archE942ELNS1_3gpuE9ELNS1_3repE0EEENS1_44radix_sort_block_sort_config_static_selectorELNS0_4arch9wavefront6targetE1EEEvSD_
		.amdhsa_group_segment_fixed_size 0
		.amdhsa_private_segment_fixed_size 0
		.amdhsa_kernarg_size 48
		.amdhsa_user_sgpr_count 6
		.amdhsa_user_sgpr_private_segment_buffer 1
		.amdhsa_user_sgpr_dispatch_ptr 0
		.amdhsa_user_sgpr_queue_ptr 0
		.amdhsa_user_sgpr_kernarg_segment_ptr 1
		.amdhsa_user_sgpr_dispatch_id 0
		.amdhsa_user_sgpr_flat_scratch_init 0
		.amdhsa_user_sgpr_kernarg_preload_length 0
		.amdhsa_user_sgpr_kernarg_preload_offset 0
		.amdhsa_user_sgpr_private_segment_size 0
		.amdhsa_uses_dynamic_stack 0
		.amdhsa_system_sgpr_private_segment_wavefront_offset 0
		.amdhsa_system_sgpr_workgroup_id_x 1
		.amdhsa_system_sgpr_workgroup_id_y 0
		.amdhsa_system_sgpr_workgroup_id_z 0
		.amdhsa_system_sgpr_workgroup_info 0
		.amdhsa_system_vgpr_workitem_id 0
		.amdhsa_next_free_vgpr 1
		.amdhsa_next_free_sgpr 0
		.amdhsa_accum_offset 4
		.amdhsa_reserve_vcc 0
		.amdhsa_reserve_flat_scratch 0
		.amdhsa_float_round_mode_32 0
		.amdhsa_float_round_mode_16_64 0
		.amdhsa_float_denorm_mode_32 3
		.amdhsa_float_denorm_mode_16_64 3
		.amdhsa_dx10_clamp 1
		.amdhsa_ieee_mode 1
		.amdhsa_fp16_overflow 0
		.amdhsa_tg_split 0
		.amdhsa_exception_fp_ieee_invalid_op 0
		.amdhsa_exception_fp_denorm_src 0
		.amdhsa_exception_fp_ieee_div_zero 0
		.amdhsa_exception_fp_ieee_overflow 0
		.amdhsa_exception_fp_ieee_underflow 0
		.amdhsa_exception_fp_ieee_inexact 0
		.amdhsa_exception_int_div_zero 0
	.end_amdhsa_kernel
	.section	.text._ZN7rocprim17ROCPRIM_400000_NS6detail17trampoline_kernelINS0_13kernel_configILj256ELj4ELj4294967295EEENS1_37radix_sort_block_sort_config_selectorIaNS0_10empty_typeEEEZNS1_21radix_sort_block_sortIS4_Lb0EPaS9_PS6_SA_NS0_19identity_decomposerEEE10hipError_tT1_T2_T3_T4_jRjT5_jjP12ihipStream_tbEUlT_E_NS1_11comp_targetILNS1_3genE5ELNS1_11target_archE942ELNS1_3gpuE9ELNS1_3repE0EEENS1_44radix_sort_block_sort_config_static_selectorELNS0_4arch9wavefront6targetE1EEEvSD_,"axG",@progbits,_ZN7rocprim17ROCPRIM_400000_NS6detail17trampoline_kernelINS0_13kernel_configILj256ELj4ELj4294967295EEENS1_37radix_sort_block_sort_config_selectorIaNS0_10empty_typeEEEZNS1_21radix_sort_block_sortIS4_Lb0EPaS9_PS6_SA_NS0_19identity_decomposerEEE10hipError_tT1_T2_T3_T4_jRjT5_jjP12ihipStream_tbEUlT_E_NS1_11comp_targetILNS1_3genE5ELNS1_11target_archE942ELNS1_3gpuE9ELNS1_3repE0EEENS1_44radix_sort_block_sort_config_static_selectorELNS0_4arch9wavefront6targetE1EEEvSD_,comdat
.Lfunc_end119:
	.size	_ZN7rocprim17ROCPRIM_400000_NS6detail17trampoline_kernelINS0_13kernel_configILj256ELj4ELj4294967295EEENS1_37radix_sort_block_sort_config_selectorIaNS0_10empty_typeEEEZNS1_21radix_sort_block_sortIS4_Lb0EPaS9_PS6_SA_NS0_19identity_decomposerEEE10hipError_tT1_T2_T3_T4_jRjT5_jjP12ihipStream_tbEUlT_E_NS1_11comp_targetILNS1_3genE5ELNS1_11target_archE942ELNS1_3gpuE9ELNS1_3repE0EEENS1_44radix_sort_block_sort_config_static_selectorELNS0_4arch9wavefront6targetE1EEEvSD_, .Lfunc_end119-_ZN7rocprim17ROCPRIM_400000_NS6detail17trampoline_kernelINS0_13kernel_configILj256ELj4ELj4294967295EEENS1_37radix_sort_block_sort_config_selectorIaNS0_10empty_typeEEEZNS1_21radix_sort_block_sortIS4_Lb0EPaS9_PS6_SA_NS0_19identity_decomposerEEE10hipError_tT1_T2_T3_T4_jRjT5_jjP12ihipStream_tbEUlT_E_NS1_11comp_targetILNS1_3genE5ELNS1_11target_archE942ELNS1_3gpuE9ELNS1_3repE0EEENS1_44radix_sort_block_sort_config_static_selectorELNS0_4arch9wavefront6targetE1EEEvSD_
                                        ; -- End function
	.section	.AMDGPU.csdata,"",@progbits
; Kernel info:
; codeLenInByte = 0
; NumSgprs: 4
; NumVgprs: 0
; NumAgprs: 0
; TotalNumVgprs: 0
; ScratchSize: 0
; MemoryBound: 0
; FloatMode: 240
; IeeeMode: 1
; LDSByteSize: 0 bytes/workgroup (compile time only)
; SGPRBlocks: 0
; VGPRBlocks: 0
; NumSGPRsForWavesPerEU: 4
; NumVGPRsForWavesPerEU: 1
; AccumOffset: 4
; Occupancy: 8
; WaveLimiterHint : 0
; COMPUTE_PGM_RSRC2:SCRATCH_EN: 0
; COMPUTE_PGM_RSRC2:USER_SGPR: 6
; COMPUTE_PGM_RSRC2:TRAP_HANDLER: 0
; COMPUTE_PGM_RSRC2:TGID_X_EN: 1
; COMPUTE_PGM_RSRC2:TGID_Y_EN: 0
; COMPUTE_PGM_RSRC2:TGID_Z_EN: 0
; COMPUTE_PGM_RSRC2:TIDIG_COMP_CNT: 0
; COMPUTE_PGM_RSRC3_GFX90A:ACCUM_OFFSET: 0
; COMPUTE_PGM_RSRC3_GFX90A:TG_SPLIT: 0
	.section	.text._ZN7rocprim17ROCPRIM_400000_NS6detail17trampoline_kernelINS0_13kernel_configILj256ELj4ELj4294967295EEENS1_37radix_sort_block_sort_config_selectorIaNS0_10empty_typeEEEZNS1_21radix_sort_block_sortIS4_Lb0EPaS9_PS6_SA_NS0_19identity_decomposerEEE10hipError_tT1_T2_T3_T4_jRjT5_jjP12ihipStream_tbEUlT_E_NS1_11comp_targetILNS1_3genE4ELNS1_11target_archE910ELNS1_3gpuE8ELNS1_3repE0EEENS1_44radix_sort_block_sort_config_static_selectorELNS0_4arch9wavefront6targetE1EEEvSD_,"axG",@progbits,_ZN7rocprim17ROCPRIM_400000_NS6detail17trampoline_kernelINS0_13kernel_configILj256ELj4ELj4294967295EEENS1_37radix_sort_block_sort_config_selectorIaNS0_10empty_typeEEEZNS1_21radix_sort_block_sortIS4_Lb0EPaS9_PS6_SA_NS0_19identity_decomposerEEE10hipError_tT1_T2_T3_T4_jRjT5_jjP12ihipStream_tbEUlT_E_NS1_11comp_targetILNS1_3genE4ELNS1_11target_archE910ELNS1_3gpuE8ELNS1_3repE0EEENS1_44radix_sort_block_sort_config_static_selectorELNS0_4arch9wavefront6targetE1EEEvSD_,comdat
	.protected	_ZN7rocprim17ROCPRIM_400000_NS6detail17trampoline_kernelINS0_13kernel_configILj256ELj4ELj4294967295EEENS1_37radix_sort_block_sort_config_selectorIaNS0_10empty_typeEEEZNS1_21radix_sort_block_sortIS4_Lb0EPaS9_PS6_SA_NS0_19identity_decomposerEEE10hipError_tT1_T2_T3_T4_jRjT5_jjP12ihipStream_tbEUlT_E_NS1_11comp_targetILNS1_3genE4ELNS1_11target_archE910ELNS1_3gpuE8ELNS1_3repE0EEENS1_44radix_sort_block_sort_config_static_selectorELNS0_4arch9wavefront6targetE1EEEvSD_ ; -- Begin function _ZN7rocprim17ROCPRIM_400000_NS6detail17trampoline_kernelINS0_13kernel_configILj256ELj4ELj4294967295EEENS1_37radix_sort_block_sort_config_selectorIaNS0_10empty_typeEEEZNS1_21radix_sort_block_sortIS4_Lb0EPaS9_PS6_SA_NS0_19identity_decomposerEEE10hipError_tT1_T2_T3_T4_jRjT5_jjP12ihipStream_tbEUlT_E_NS1_11comp_targetILNS1_3genE4ELNS1_11target_archE910ELNS1_3gpuE8ELNS1_3repE0EEENS1_44radix_sort_block_sort_config_static_selectorELNS0_4arch9wavefront6targetE1EEEvSD_
	.globl	_ZN7rocprim17ROCPRIM_400000_NS6detail17trampoline_kernelINS0_13kernel_configILj256ELj4ELj4294967295EEENS1_37radix_sort_block_sort_config_selectorIaNS0_10empty_typeEEEZNS1_21radix_sort_block_sortIS4_Lb0EPaS9_PS6_SA_NS0_19identity_decomposerEEE10hipError_tT1_T2_T3_T4_jRjT5_jjP12ihipStream_tbEUlT_E_NS1_11comp_targetILNS1_3genE4ELNS1_11target_archE910ELNS1_3gpuE8ELNS1_3repE0EEENS1_44radix_sort_block_sort_config_static_selectorELNS0_4arch9wavefront6targetE1EEEvSD_
	.p2align	8
	.type	_ZN7rocprim17ROCPRIM_400000_NS6detail17trampoline_kernelINS0_13kernel_configILj256ELj4ELj4294967295EEENS1_37radix_sort_block_sort_config_selectorIaNS0_10empty_typeEEEZNS1_21radix_sort_block_sortIS4_Lb0EPaS9_PS6_SA_NS0_19identity_decomposerEEE10hipError_tT1_T2_T3_T4_jRjT5_jjP12ihipStream_tbEUlT_E_NS1_11comp_targetILNS1_3genE4ELNS1_11target_archE910ELNS1_3gpuE8ELNS1_3repE0EEENS1_44radix_sort_block_sort_config_static_selectorELNS0_4arch9wavefront6targetE1EEEvSD_,@function
_ZN7rocprim17ROCPRIM_400000_NS6detail17trampoline_kernelINS0_13kernel_configILj256ELj4ELj4294967295EEENS1_37radix_sort_block_sort_config_selectorIaNS0_10empty_typeEEEZNS1_21radix_sort_block_sortIS4_Lb0EPaS9_PS6_SA_NS0_19identity_decomposerEEE10hipError_tT1_T2_T3_T4_jRjT5_jjP12ihipStream_tbEUlT_E_NS1_11comp_targetILNS1_3genE4ELNS1_11target_archE910ELNS1_3gpuE8ELNS1_3repE0EEENS1_44radix_sort_block_sort_config_static_selectorELNS0_4arch9wavefront6targetE1EEEvSD_: ; @_ZN7rocprim17ROCPRIM_400000_NS6detail17trampoline_kernelINS0_13kernel_configILj256ELj4ELj4294967295EEENS1_37radix_sort_block_sort_config_selectorIaNS0_10empty_typeEEEZNS1_21radix_sort_block_sortIS4_Lb0EPaS9_PS6_SA_NS0_19identity_decomposerEEE10hipError_tT1_T2_T3_T4_jRjT5_jjP12ihipStream_tbEUlT_E_NS1_11comp_targetILNS1_3genE4ELNS1_11target_archE910ELNS1_3gpuE8ELNS1_3repE0EEENS1_44radix_sort_block_sort_config_static_selectorELNS0_4arch9wavefront6targetE1EEEvSD_
; %bb.0:
	s_load_dword s2, s[4:5], 0x20
	s_load_dwordx4 s[28:31], s[4:5], 0x0
	s_lshl_b32 s36, s6, 10
	v_mbcnt_lo_u32_b32 v1, -1, 0
	v_mbcnt_hi_u32_b32 v1, -1, v1
	s_waitcnt lgkmcnt(0)
	s_lshr_b32 s0, s2, 10
	s_cmp_lg_u32 s6, s0
	s_cselect_b64 s[34:35], -1, 0
	s_add_u32 s1, s28, s36
	v_and_b32_e32 v4, 0x3ff, v0
	s_addc_u32 s3, s29, 0
	v_and_b32_e32 v5, 63, v1
	v_lshlrev_b32_e32 v6, 2, v4
	v_mov_b32_e32 v2, s3
	v_add_co_u32_e32 v3, vcc, s1, v5
	v_and_b32_e32 v12, 0x300, v6
	v_addc_co_u32_e32 v7, vcc, 0, v2, vcc
	v_add_co_u32_e32 v2, vcc, v3, v12
	s_cmp_eq_u32 s6, s0
	v_addc_co_u32_e32 v3, vcc, 0, v7, vcc
	v_or_b32_e32 v11, v5, v12
	s_cbranch_scc1 .LBB120_2
; %bb.1:
	global_load_ubyte v8, v[2:3], off offset:192
	global_load_ubyte v10, v[2:3], off offset:128
	global_load_ubyte v9, v[2:3], off offset:64
	global_load_ubyte v7, v[2:3], off
	v_or_b32_e32 v14, v5, v12
	v_or_b32_e32 v5, 64, v14
	;; [unrolled: 1-line block ×4, first 2 shown]
	s_load_dwordx2 s[28:29], s[4:5], 0x28
	s_sub_i32 s33, s2, s36
	s_cbranch_execz .LBB120_3
	s_branch .LBB120_12
.LBB120_2:
                                        ; implicit-def: $vgpr7
                                        ; implicit-def: $vgpr9
                                        ; implicit-def: $vgpr10
                                        ; implicit-def: $vgpr8
                                        ; implicit-def: $vgpr14
                                        ; implicit-def: $vgpr5
                                        ; implicit-def: $vgpr12
                                        ; implicit-def: $vgpr13
	s_load_dwordx2 s[28:29], s[4:5], 0x28
	s_sub_i32 s33, s2, s36
.LBB120_3:
	v_cmp_gt_u32_e32 vcc, s33, v11
	s_waitcnt vmcnt(0)
	v_mov_b32_e32 v7, 0x7f
	v_mov_b32_e32 v8, 0x7f
	;; [unrolled: 1-line block ×4, first 2 shown]
	s_and_saveexec_b64 s[0:1], vcc
	s_cbranch_execz .LBB120_5
; %bb.4:
	global_load_ubyte v7, v[2:3], off
	v_mov_b32_e32 v9, 0x7f
	v_mov_b32_e32 v10, 0x7f
	;; [unrolled: 1-line block ×3, first 2 shown]
.LBB120_5:
	s_or_b64 exec, exec, s[0:1]
	v_or_b32_e32 v5, 64, v11
	v_cmp_gt_u32_e32 vcc, s33, v5
	s_and_saveexec_b64 s[0:1], vcc
	s_cbranch_execz .LBB120_7
; %bb.6:
	global_load_ubyte v9, v[2:3], off offset:64
.LBB120_7:
	s_or_b64 exec, exec, s[0:1]
	v_or_b32_e32 v12, 0x80, v11
	v_cmp_gt_u32_e32 vcc, s33, v12
	s_and_saveexec_b64 s[0:1], vcc
	s_cbranch_execz .LBB120_9
; %bb.8:
	global_load_ubyte v10, v[2:3], off offset:128
.LBB120_9:
	;; [unrolled: 8-line block ×3, first 2 shown]
	s_or_b64 exec, exec, s[0:1]
	v_mov_b32_e32 v14, v11
.LBB120_12:
	s_load_dword s2, s[4:5], 0x3c
	s_movk_i32 s0, 0x80
	s_waitcnt lgkmcnt(0)
	s_add_i32 s37, s29, s28
	s_waitcnt vmcnt(0)
	v_xor_b32_e32 v2, 0x80, v7
	v_xor_b32_sdwa v3, v9, s0 dst_sel:BYTE_1 dst_unused:UNUSED_PAD src0_sel:DWORD src1_sel:DWORD
	v_xor_b32_e32 v7, 0x80, v10
	v_xor_b32_sdwa v8, v8, s0 dst_sel:BYTE_1 dst_unused:UNUSED_PAD src0_sel:DWORD src1_sel:DWORD
	v_or_b32_sdwa v2, v2, v3 dst_sel:DWORD dst_unused:UNUSED_PAD src0_sel:BYTE_0 src1_sel:DWORD
	v_or_b32_sdwa v3, v7, v8 dst_sel:WORD_1 dst_unused:UNUSED_PAD src0_sel:BYTE_0 src1_sel:DWORD
	s_getpc_b64 s[0:1]
	s_add_u32 s0, s0, _ZN7rocprim17ROCPRIM_400000_NS16block_radix_sortIaLj256ELj4ENS0_10empty_typeELj1ELj1ELj0ELNS0_26block_radix_rank_algorithmE1ELNS0_18block_padding_hintE2ELNS0_4arch9wavefront6targetE1EE19radix_bits_per_passE@rel32@lo+4
	s_addc_u32 s1, s1, _ZN7rocprim17ROCPRIM_400000_NS16block_radix_sortIaLj256ELj4ENS0_10empty_typeELj1ELj1ELj0ELNS0_26block_radix_rank_algorithmE1ELNS0_18block_padding_hintE2ELNS0_4arch9wavefront6targetE1EE19radix_bits_per_passE@rel32@hi+12
	v_or_b32_sdwa v17, v2, v3 dst_sel:DWORD dst_unused:UNUSED_PAD src0_sel:WORD_0 src1_sel:DWORD
	s_load_dword s38, s[0:1], 0x0
	s_lshr_b32 s0, s2, 16
	v_bfe_u32 v2, v0, 10, 10
	v_bfe_u32 v0, v0, 20, 10
	s_and_b32 s1, s2, 0xffff
	v_mad_u32_u24 v0, v0, s0, v2
	v_mad_u64_u32 v[2:3], s[0:1], v0, s1, v[4:5]
	v_and_b32_e32 v0, 15, v1
	v_cmp_eq_u32_e64 s[0:1], 0, v0
	v_cmp_lt_u32_e64 s[2:3], 1, v0
	v_cmp_lt_u32_e64 s[4:5], 3, v0
	;; [unrolled: 1-line block ×3, first 2 shown]
	v_and_b32_e32 v0, 16, v1
	v_cmp_eq_u32_e64 s[8:9], 0, v0
	v_and_b32_e32 v0, 0x3c0, v4
	v_min_u32_e32 v0, 0xc0, v0
	v_or_b32_e32 v0, 63, v0
	v_lshrrev_b32_e32 v16, 6, v2
	v_cmp_eq_u32_e64 s[12:13], v0, v4
	v_add_u32_e32 v0, -1, v1
	v_and_b32_e32 v2, 64, v1
	v_cmp_lt_i32_e32 vcc, v0, v2
	v_cndmask_b32_e32 v0, v0, v1, vcc
	s_mov_b32 s26, 0
	v_lshlrev_b32_e32 v18, 2, v0
	v_lshrrev_b32_e32 v0, 4, v4
	v_lshlrev_b32_e32 v15, 2, v6
	v_cmp_lt_u32_e64 s[10:11], 31, v1
	v_cmp_eq_u32_e64 s[18:19], 0, v1
	v_and_b32_e32 v19, 60, v0
	v_mul_i32_i24_e32 v0, -12, v4
	v_and_b32_e32 v1, 3, v1
	s_mov_b32 s27, s26
	s_mov_b32 s40, s26
	;; [unrolled: 1-line block ×3, first 2 shown]
	v_cmp_gt_u32_e64 s[14:15], 4, v4
	v_cmp_lt_u32_e64 s[16:17], 63, v4
	v_cmp_eq_u32_e64 s[20:21], 0, v4
	v_cmp_eq_u32_e64 s[22:23], 0, v1
	v_cmp_lt_u32_e64 s[24:25], 1, v1
	v_add_u32_e32 v20, -4, v19
	v_pk_mov_b32 v[6:7], s[26:27], s[26:27] op_sel:[0,1]
	v_pk_mov_b32 v[8:9], s[40:41], s[40:41] op_sel:[0,1]
	v_add_u32_e32 v21, v15, v0
	v_mov_b32_e32 v10, 0
	s_branch .LBB120_14
.LBB120_13:                             ;   in Loop: Header=BB120_14 Depth=1
	v_add_u32_e32 v26, v22, v23
	s_barrier
	ds_write_b8 v26, v17
	v_add_u32_e32 v17, v25, v2
	ds_write_b8 v17, v33
	v_add_u32_e32 v17, v24, v1
	;; [unrolled: 2-line block ×3, first 2 shown]
	ds_write_b8 v17, v29
	s_waitcnt lgkmcnt(0)
	s_barrier
	ds_read_u8 v17, v5
	ds_read_u8 v26, v14
	;; [unrolled: 1-line block ×4, first 2 shown]
	s_add_i32 s29, s29, -8
	s_waitcnt lgkmcnt(3)
	v_lshlrev_b16_e32 v17, 8, v17
	s_waitcnt lgkmcnt(2)
	v_or_b32_e32 v17, v26, v17
	s_waitcnt lgkmcnt(1)
	v_lshlrev_b16_e32 v26, 8, v27
	s_waitcnt lgkmcnt(0)
	v_or_b32_sdwa v26, v28, v26 dst_sel:WORD_1 dst_unused:UNUSED_PAD src0_sel:DWORD src1_sel:DWORD
	v_or_b32_sdwa v17, v17, v26 dst_sel:DWORD dst_unused:UNUSED_PAD src0_sel:WORD_0 src1_sel:DWORD
	s_barrier
	s_cbranch_execz .LBB120_30
.LBB120_14:                             ; =>This Inner Loop Header: Depth=1
	s_waitcnt lgkmcnt(0)
	s_min_u32 s26, s38, s29
	s_lshl_b32 s26, -1, s26
	s_not_b32 s39, s26
	v_lshrrev_b32_sdwa v0, s28, v17 dst_sel:DWORD dst_unused:UNUSED_PAD src0_sel:DWORD src1_sel:BYTE_0
	v_and_b32_e32 v0, s39, v0
	v_lshl_add_u32 v1, v0, 2, v16
	v_lshl_add_u32 v22, v1, 2, 16
	v_and_b32_e32 v1, 1, v0
	v_add_co_u32_e32 v2, vcc, -1, v1
	v_addc_co_u32_e64 v3, s[26:27], 0, -1, vcc
	v_cmp_ne_u32_e32 vcc, 0, v1
	v_lshlrev_b32_e32 v11, 30, v0
	v_xor_b32_e32 v1, vcc_hi, v3
	v_not_b32_e32 v3, v11
	v_xor_b32_e32 v2, vcc_lo, v2
	v_cmp_gt_i64_e32 vcc, 0, v[10:11]
	v_ashrrev_i32_e32 v3, 31, v3
	v_and_b32_e32 v1, exec_hi, v1
	v_xor_b32_e32 v11, vcc_hi, v3
	v_and_b32_e32 v2, exec_lo, v2
	v_xor_b32_e32 v3, vcc_lo, v3
	v_and_b32_e32 v1, v1, v11
	v_lshlrev_b32_e32 v11, 29, v0
	v_and_b32_e32 v2, v2, v3
	v_not_b32_e32 v3, v11
	v_cmp_gt_i64_e32 vcc, 0, v[10:11]
	v_ashrrev_i32_e32 v3, 31, v3
	v_xor_b32_e32 v11, vcc_hi, v3
	v_xor_b32_e32 v3, vcc_lo, v3
	v_and_b32_e32 v1, v1, v11
	v_lshlrev_b32_e32 v11, 28, v0
	v_and_b32_e32 v2, v2, v3
	v_not_b32_e32 v3, v11
	v_cmp_gt_i64_e32 vcc, 0, v[10:11]
	v_ashrrev_i32_e32 v3, 31, v3
	v_xor_b32_e32 v11, vcc_hi, v3
	;; [unrolled: 8-line block ×5, first 2 shown]
	v_and_b32_e32 v1, v1, v11
	v_lshlrev_b32_e32 v11, 24, v0
	v_not_b32_e32 v0, v11
	v_xor_b32_e32 v3, vcc_lo, v3
	v_cmp_gt_i64_e32 vcc, 0, v[10:11]
	v_ashrrev_i32_e32 v0, 31, v0
	v_and_b32_e32 v2, v2, v3
	v_xor_b32_e32 v3, vcc_hi, v0
	v_xor_b32_e32 v0, vcc_lo, v0
	v_and_b32_e32 v0, v2, v0
	v_and_b32_e32 v1, v1, v3
	v_mbcnt_lo_u32_b32 v2, v0, 0
	v_mbcnt_hi_u32_b32 v23, v1, v2
	v_cmp_eq_u32_e32 vcc, 0, v23
	v_cmp_ne_u64_e64 s[26:27], 0, v[0:1]
	s_and_b64 s[40:41], s[26:27], vcc
	ds_write2_b64 v15, v[6:7], v[8:9] offset0:2 offset1:3
	s_waitcnt lgkmcnt(0)
	s_barrier
	s_waitcnt lgkmcnt(0)
	; wave barrier
	s_and_saveexec_b64 s[26:27], s[40:41]
	s_cbranch_execz .LBB120_16
; %bb.15:                               ;   in Loop: Header=BB120_14 Depth=1
	v_bcnt_u32_b32 v0, v0, 0
	v_bcnt_u32_b32 v0, v1, v0
	ds_write_b32 v22, v0
.LBB120_16:                             ;   in Loop: Header=BB120_14 Depth=1
	s_or_b64 exec, exec, s[26:27]
	v_lshrrev_b32_sdwa v0, s28, v17 dst_sel:DWORD dst_unused:UNUSED_PAD src0_sel:DWORD src1_sel:BYTE_1
	v_and_b32_e32 v0, s39, v0
	v_lshlrev_b32_e32 v1, 2, v0
	v_add_lshl_u32 v1, v1, v16, 2
	; wave barrier
	v_add_u32_e32 v25, 16, v1
	ds_read_b32 v24, v1 offset:16
	v_and_b32_e32 v1, 1, v0
	v_add_co_u32_e32 v2, vcc, -1, v1
	v_addc_co_u32_e64 v3, s[26:27], 0, -1, vcc
	v_cmp_ne_u32_e32 vcc, 0, v1
	v_lshlrev_b32_e32 v11, 30, v0
	v_xor_b32_e32 v1, vcc_hi, v3
	v_not_b32_e32 v3, v11
	v_xor_b32_e32 v2, vcc_lo, v2
	v_cmp_gt_i64_e32 vcc, 0, v[10:11]
	v_ashrrev_i32_e32 v3, 31, v3
	v_and_b32_e32 v1, exec_hi, v1
	v_xor_b32_e32 v11, vcc_hi, v3
	v_and_b32_e32 v2, exec_lo, v2
	v_xor_b32_e32 v3, vcc_lo, v3
	v_and_b32_e32 v1, v1, v11
	v_lshlrev_b32_e32 v11, 29, v0
	v_and_b32_e32 v2, v2, v3
	v_not_b32_e32 v3, v11
	v_cmp_gt_i64_e32 vcc, 0, v[10:11]
	v_ashrrev_i32_e32 v3, 31, v3
	v_xor_b32_e32 v11, vcc_hi, v3
	v_xor_b32_e32 v3, vcc_lo, v3
	v_and_b32_e32 v1, v1, v11
	v_lshlrev_b32_e32 v11, 28, v0
	v_and_b32_e32 v2, v2, v3
	v_not_b32_e32 v3, v11
	v_cmp_gt_i64_e32 vcc, 0, v[10:11]
	v_ashrrev_i32_e32 v3, 31, v3
	v_xor_b32_e32 v11, vcc_hi, v3
	v_xor_b32_e32 v3, vcc_lo, v3
	v_and_b32_e32 v1, v1, v11
	v_lshlrev_b32_e32 v11, 27, v0
	v_and_b32_e32 v2, v2, v3
	v_not_b32_e32 v3, v11
	v_cmp_gt_i64_e32 vcc, 0, v[10:11]
	v_ashrrev_i32_e32 v3, 31, v3
	v_xor_b32_e32 v11, vcc_hi, v3
	v_xor_b32_e32 v3, vcc_lo, v3
	v_and_b32_e32 v1, v1, v11
	v_lshlrev_b32_e32 v11, 26, v0
	v_and_b32_e32 v2, v2, v3
	v_not_b32_e32 v3, v11
	v_cmp_gt_i64_e32 vcc, 0, v[10:11]
	v_ashrrev_i32_e32 v3, 31, v3
	v_xor_b32_e32 v11, vcc_hi, v3
	v_xor_b32_e32 v3, vcc_lo, v3
	v_and_b32_e32 v1, v1, v11
	v_lshlrev_b32_e32 v11, 25, v0
	v_and_b32_e32 v2, v2, v3
	v_not_b32_e32 v3, v11
	v_cmp_gt_i64_e32 vcc, 0, v[10:11]
	v_ashrrev_i32_e32 v3, 31, v3
	v_xor_b32_e32 v11, vcc_hi, v3
	v_and_b32_e32 v1, v1, v11
	v_lshlrev_b32_e32 v11, 24, v0
	v_not_b32_e32 v0, v11
	v_xor_b32_e32 v3, vcc_lo, v3
	v_cmp_gt_i64_e32 vcc, 0, v[10:11]
	v_ashrrev_i32_e32 v0, 31, v0
	v_and_b32_e32 v2, v2, v3
	v_xor_b32_e32 v3, vcc_hi, v0
	v_xor_b32_e32 v0, vcc_lo, v0
	v_and_b32_e32 v0, v2, v0
	v_and_b32_e32 v1, v1, v3
	v_mbcnt_lo_u32_b32 v2, v0, 0
	v_mbcnt_hi_u32_b32 v26, v1, v2
	v_cmp_eq_u32_e32 vcc, 0, v26
	v_cmp_ne_u64_e64 s[26:27], 0, v[0:1]
	s_and_b64 s[40:41], s[26:27], vcc
	; wave barrier
	s_and_saveexec_b64 s[26:27], s[40:41]
	s_cbranch_execz .LBB120_18
; %bb.17:                               ;   in Loop: Header=BB120_14 Depth=1
	v_bcnt_u32_b32 v0, v0, 0
	v_bcnt_u32_b32 v0, v1, v0
	s_waitcnt lgkmcnt(0)
	v_add_u32_e32 v0, v24, v0
	ds_write_b32 v25, v0
.LBB120_18:                             ;   in Loop: Header=BB120_14 Depth=1
	s_or_b64 exec, exec, s[26:27]
	v_lshrrev_b32_sdwa v0, s28, v17 dst_sel:DWORD dst_unused:UNUSED_PAD src0_sel:DWORD src1_sel:BYTE_2
	v_and_b32_e32 v0, s39, v0
	v_lshlrev_b32_e32 v1, 2, v0
	v_add_lshl_u32 v1, v1, v16, 2
	; wave barrier
	v_add_u32_e32 v28, 16, v1
	ds_read_b32 v27, v1 offset:16
	v_and_b32_e32 v1, 1, v0
	v_add_co_u32_e32 v2, vcc, -1, v1
	v_addc_co_u32_e64 v3, s[26:27], 0, -1, vcc
	v_cmp_ne_u32_e32 vcc, 0, v1
	v_lshlrev_b32_e32 v11, 30, v0
	v_xor_b32_e32 v1, vcc_hi, v3
	v_not_b32_e32 v3, v11
	v_xor_b32_e32 v2, vcc_lo, v2
	v_cmp_gt_i64_e32 vcc, 0, v[10:11]
	v_ashrrev_i32_e32 v3, 31, v3
	v_and_b32_e32 v1, exec_hi, v1
	v_xor_b32_e32 v11, vcc_hi, v3
	v_and_b32_e32 v2, exec_lo, v2
	v_xor_b32_e32 v3, vcc_lo, v3
	v_and_b32_e32 v1, v1, v11
	v_lshlrev_b32_e32 v11, 29, v0
	v_and_b32_e32 v2, v2, v3
	v_not_b32_e32 v3, v11
	v_cmp_gt_i64_e32 vcc, 0, v[10:11]
	v_ashrrev_i32_e32 v3, 31, v3
	v_xor_b32_e32 v11, vcc_hi, v3
	v_xor_b32_e32 v3, vcc_lo, v3
	v_and_b32_e32 v1, v1, v11
	v_lshlrev_b32_e32 v11, 28, v0
	v_and_b32_e32 v2, v2, v3
	v_not_b32_e32 v3, v11
	v_cmp_gt_i64_e32 vcc, 0, v[10:11]
	v_ashrrev_i32_e32 v3, 31, v3
	v_xor_b32_e32 v11, vcc_hi, v3
	;; [unrolled: 8-line block ×5, first 2 shown]
	v_and_b32_e32 v1, v1, v11
	v_lshlrev_b32_e32 v11, 24, v0
	v_not_b32_e32 v0, v11
	v_xor_b32_e32 v3, vcc_lo, v3
	v_cmp_gt_i64_e32 vcc, 0, v[10:11]
	v_ashrrev_i32_e32 v0, 31, v0
	v_and_b32_e32 v2, v2, v3
	v_xor_b32_e32 v3, vcc_hi, v0
	v_xor_b32_e32 v0, vcc_lo, v0
	v_and_b32_e32 v0, v2, v0
	v_and_b32_e32 v1, v1, v3
	v_mbcnt_lo_u32_b32 v2, v0, 0
	v_mbcnt_hi_u32_b32 v30, v1, v2
	v_cmp_eq_u32_e32 vcc, 0, v30
	v_cmp_ne_u64_e64 s[26:27], 0, v[0:1]
	s_and_b64 s[40:41], s[26:27], vcc
	; wave barrier
	s_and_saveexec_b64 s[26:27], s[40:41]
	s_cbranch_execz .LBB120_20
; %bb.19:                               ;   in Loop: Header=BB120_14 Depth=1
	v_bcnt_u32_b32 v0, v0, 0
	v_bcnt_u32_b32 v0, v1, v0
	s_waitcnt lgkmcnt(0)
	v_add_u32_e32 v0, v27, v0
	ds_write_b32 v28, v0
.LBB120_20:                             ;   in Loop: Header=BB120_14 Depth=1
	s_or_b64 exec, exec, s[26:27]
	v_lshrrev_b32_e32 v29, 24, v17
	v_lshrrev_b32_e32 v0, s28, v29
	v_and_b32_e32 v0, s39, v0
	v_lshlrev_b32_e32 v1, 2, v0
	v_add_lshl_u32 v1, v1, v16, 2
	; wave barrier
	v_add_u32_e32 v32, 16, v1
	ds_read_b32 v31, v1 offset:16
	v_and_b32_e32 v1, 1, v0
	v_add_co_u32_e32 v2, vcc, -1, v1
	v_addc_co_u32_e64 v3, s[26:27], 0, -1, vcc
	v_cmp_ne_u32_e32 vcc, 0, v1
	v_lshlrev_b32_e32 v11, 30, v0
	v_xor_b32_e32 v1, vcc_hi, v3
	v_not_b32_e32 v3, v11
	v_xor_b32_e32 v2, vcc_lo, v2
	v_cmp_gt_i64_e32 vcc, 0, v[10:11]
	v_ashrrev_i32_e32 v3, 31, v3
	v_and_b32_e32 v1, exec_hi, v1
	v_xor_b32_e32 v11, vcc_hi, v3
	v_and_b32_e32 v2, exec_lo, v2
	v_xor_b32_e32 v3, vcc_lo, v3
	v_and_b32_e32 v1, v1, v11
	v_lshlrev_b32_e32 v11, 29, v0
	v_and_b32_e32 v2, v2, v3
	v_not_b32_e32 v3, v11
	v_cmp_gt_i64_e32 vcc, 0, v[10:11]
	v_ashrrev_i32_e32 v3, 31, v3
	v_xor_b32_e32 v11, vcc_hi, v3
	v_xor_b32_e32 v3, vcc_lo, v3
	v_and_b32_e32 v1, v1, v11
	v_lshlrev_b32_e32 v11, 28, v0
	v_and_b32_e32 v2, v2, v3
	v_not_b32_e32 v3, v11
	v_cmp_gt_i64_e32 vcc, 0, v[10:11]
	v_ashrrev_i32_e32 v3, 31, v3
	v_xor_b32_e32 v11, vcc_hi, v3
	;; [unrolled: 8-line block ×5, first 2 shown]
	v_and_b32_e32 v1, v1, v11
	v_lshlrev_b32_e32 v11, 24, v0
	v_not_b32_e32 v0, v11
	v_xor_b32_e32 v3, vcc_lo, v3
	v_cmp_gt_i64_e32 vcc, 0, v[10:11]
	v_ashrrev_i32_e32 v0, 31, v0
	v_and_b32_e32 v2, v2, v3
	v_xor_b32_e32 v3, vcc_hi, v0
	v_xor_b32_e32 v0, vcc_lo, v0
	v_and_b32_e32 v0, v2, v0
	v_and_b32_e32 v1, v1, v3
	v_mbcnt_lo_u32_b32 v2, v0, 0
	v_mbcnt_hi_u32_b32 v11, v1, v2
	v_cmp_eq_u32_e32 vcc, 0, v11
	v_cmp_ne_u64_e64 s[26:27], 0, v[0:1]
	s_and_b64 s[40:41], s[26:27], vcc
	; wave barrier
	s_and_saveexec_b64 s[26:27], s[40:41]
	s_cbranch_execz .LBB120_22
; %bb.21:                               ;   in Loop: Header=BB120_14 Depth=1
	v_bcnt_u32_b32 v0, v0, 0
	v_bcnt_u32_b32 v0, v1, v0
	s_waitcnt lgkmcnt(0)
	v_add_u32_e32 v0, v31, v0
	ds_write_b32 v32, v0
.LBB120_22:                             ;   in Loop: Header=BB120_14 Depth=1
	s_or_b64 exec, exec, s[26:27]
	; wave barrier
	s_waitcnt lgkmcnt(0)
	s_barrier
	ds_read2_b64 v[0:3], v15 offset0:2 offset1:3
	s_waitcnt lgkmcnt(0)
	v_add_u32_e32 v33, v1, v0
	v_add3_u32 v3, v33, v2, v3
	s_nop 1
	v_mov_b32_dpp v33, v3 row_shr:1 row_mask:0xf bank_mask:0xf
	v_cndmask_b32_e64 v33, v33, 0, s[0:1]
	v_add_u32_e32 v3, v33, v3
	s_nop 1
	v_mov_b32_dpp v33, v3 row_shr:2 row_mask:0xf bank_mask:0xf
	v_cndmask_b32_e64 v33, 0, v33, s[2:3]
	v_add_u32_e32 v3, v3, v33
	;; [unrolled: 4-line block ×4, first 2 shown]
	s_nop 1
	v_mov_b32_dpp v33, v3 row_bcast:15 row_mask:0xf bank_mask:0xf
	v_cndmask_b32_e64 v33, v33, 0, s[8:9]
	v_add_u32_e32 v3, v3, v33
	s_nop 1
	v_mov_b32_dpp v33, v3 row_bcast:31 row_mask:0xf bank_mask:0xf
	v_cndmask_b32_e64 v33, 0, v33, s[10:11]
	v_add_u32_e32 v3, v3, v33
	s_and_saveexec_b64 s[26:27], s[12:13]
	s_cbranch_execz .LBB120_24
; %bb.23:                               ;   in Loop: Header=BB120_14 Depth=1
	ds_write_b32 v19, v3
.LBB120_24:                             ;   in Loop: Header=BB120_14 Depth=1
	s_or_b64 exec, exec, s[26:27]
	s_waitcnt lgkmcnt(0)
	s_barrier
	s_and_saveexec_b64 s[26:27], s[14:15]
	s_cbranch_execz .LBB120_26
; %bb.25:                               ;   in Loop: Header=BB120_14 Depth=1
	ds_read_b32 v33, v21
	s_waitcnt lgkmcnt(0)
	s_nop 0
	v_mov_b32_dpp v34, v33 row_shr:1 row_mask:0xf bank_mask:0xf
	v_cndmask_b32_e64 v34, v34, 0, s[22:23]
	v_add_u32_e32 v33, v34, v33
	s_nop 1
	v_mov_b32_dpp v34, v33 row_shr:2 row_mask:0xf bank_mask:0xf
	v_cndmask_b32_e64 v34, 0, v34, s[24:25]
	v_add_u32_e32 v33, v33, v34
	ds_write_b32 v21, v33
.LBB120_26:                             ;   in Loop: Header=BB120_14 Depth=1
	s_or_b64 exec, exec, s[26:27]
	v_mov_b32_e32 v35, 0
	s_waitcnt lgkmcnt(0)
	s_barrier
	s_and_saveexec_b64 s[26:27], s[16:17]
	s_cbranch_execz .LBB120_28
; %bb.27:                               ;   in Loop: Header=BB120_14 Depth=1
	ds_read_b32 v35, v20
.LBB120_28:                             ;   in Loop: Header=BB120_14 Depth=1
	s_or_b64 exec, exec, s[26:27]
	s_waitcnt lgkmcnt(0)
	v_add_u32_e32 v3, v35, v3
	ds_bpermute_b32 v36, v18, v3
	s_add_i32 s28, s28, 8
	v_mov_b32_e32 v34, v17
	v_lshrrev_b32_e32 v33, 8, v17
	v_lshrrev_b32_e32 v3, 16, v17
	s_waitcnt lgkmcnt(0)
	v_cndmask_b32_e64 v35, v36, v35, s[18:19]
	v_cndmask_b32_e64 v36, v35, 0, s[20:21]
	v_add_u32_e32 v37, v36, v0
	v_add_u32_e32 v0, v37, v1
	;; [unrolled: 1-line block ×3, first 2 shown]
	ds_write2_b64 v15, v[36:37], v[0:1] offset0:2 offset1:3
	s_waitcnt lgkmcnt(0)
	s_barrier
	ds_read_b32 v22, v22
	ds_read_b32 v2, v25
	ds_read_b32 v1, v28
	ds_read_b32 v0, v32
	s_cmp_ge_u32 s28, s37
	v_add_u32_e32 v25, v26, v24
	v_add_u32_e32 v24, v30, v27
	;; [unrolled: 1-line block ×3, first 2 shown]
	s_waitcnt lgkmcnt(0)
	s_cbranch_scc0 .LBB120_13
; %bb.29:
                                        ; implicit-def: $sgpr28
                                        ; implicit-def: $vgpr17
.LBB120_30:
	v_add_u32_e32 v5, v22, v23
	v_add_u32_e32 v2, v25, v2
	;; [unrolled: 1-line block ×4, first 2 shown]
	s_barrier
	ds_write_b8 v5, v34
	ds_write_b8 v2, v33
	;; [unrolled: 1-line block ×4, first 2 shown]
	s_waitcnt lgkmcnt(0)
	s_barrier
	ds_read_u8 v0, v4
	ds_read_u8 v1, v4 offset:256
	ds_read_u8 v3, v4 offset:512
	ds_read_u8 v2, v4 offset:768
	s_add_u32 s0, s30, s36
	s_addc_u32 s1, s31, 0
	s_waitcnt lgkmcnt(3)
	v_xor_b32_e32 v6, 0xffffff80, v0
	s_waitcnt lgkmcnt(2)
	v_xor_b32_e32 v5, 0xffffff80, v1
	v_mov_b32_e32 v1, s1
	v_add_co_u32_e64 v0, s[0:1], s0, v4
	s_waitcnt lgkmcnt(1)
	v_xor_b32_e32 v3, 0xffffff80, v3
	s_andn2_b64 vcc, exec, s[34:35]
	v_addc_co_u32_e64 v1, s[0:1], 0, v1, s[0:1]
	s_cbranch_vccnz .LBB120_32
; %bb.31:
	s_mov_b64 s[0:1], -1
	global_store_byte v[0:1], v6, off
	global_store_byte v[0:1], v5, off offset:256
	global_store_byte v[0:1], v3, off offset:512
	s_cbranch_execz .LBB120_33
	s_branch .LBB120_40
.LBB120_32:
	s_mov_b64 s[0:1], 0
.LBB120_33:
	v_cmp_gt_u32_e32 vcc, s33, v4
	s_and_saveexec_b64 s[0:1], vcc
	s_cbranch_execz .LBB120_35
; %bb.34:
	global_store_byte v[0:1], v6, off
.LBB120_35:
	s_or_b64 exec, exec, s[0:1]
	v_add_u32_e32 v6, 0x100, v4
	v_cmp_gt_u32_e32 vcc, s33, v6
	s_and_saveexec_b64 s[0:1], vcc
	s_cbranch_execz .LBB120_37
; %bb.36:
	global_store_byte v[0:1], v5, off offset:256
.LBB120_37:
	s_or_b64 exec, exec, s[0:1]
	v_add_u32_e32 v5, 0x200, v4
	v_cmp_gt_u32_e32 vcc, s33, v5
	s_and_saveexec_b64 s[0:1], vcc
	s_cbranch_execz .LBB120_39
; %bb.38:
	global_store_byte v[0:1], v3, off offset:512
.LBB120_39:
	s_or_b64 exec, exec, s[0:1]
	v_add_u32_e32 v3, 0x300, v4
	v_cmp_gt_u32_e64 s[0:1], s33, v3
.LBB120_40:
	s_and_saveexec_b64 s[2:3], s[0:1]
	s_cbranch_execnz .LBB120_42
; %bb.41:
	s_endpgm
.LBB120_42:
	s_waitcnt lgkmcnt(0)
	v_xor_b32_e32 v2, 0x80, v2
	global_store_byte v[0:1], v2, off offset:768
	s_endpgm
	.section	.rodata,"a",@progbits
	.p2align	6, 0x0
	.amdhsa_kernel _ZN7rocprim17ROCPRIM_400000_NS6detail17trampoline_kernelINS0_13kernel_configILj256ELj4ELj4294967295EEENS1_37radix_sort_block_sort_config_selectorIaNS0_10empty_typeEEEZNS1_21radix_sort_block_sortIS4_Lb0EPaS9_PS6_SA_NS0_19identity_decomposerEEE10hipError_tT1_T2_T3_T4_jRjT5_jjP12ihipStream_tbEUlT_E_NS1_11comp_targetILNS1_3genE4ELNS1_11target_archE910ELNS1_3gpuE8ELNS1_3repE0EEENS1_44radix_sort_block_sort_config_static_selectorELNS0_4arch9wavefront6targetE1EEEvSD_
		.amdhsa_group_segment_fixed_size 4112
		.amdhsa_private_segment_fixed_size 0
		.amdhsa_kernarg_size 304
		.amdhsa_user_sgpr_count 6
		.amdhsa_user_sgpr_private_segment_buffer 1
		.amdhsa_user_sgpr_dispatch_ptr 0
		.amdhsa_user_sgpr_queue_ptr 0
		.amdhsa_user_sgpr_kernarg_segment_ptr 1
		.amdhsa_user_sgpr_dispatch_id 0
		.amdhsa_user_sgpr_flat_scratch_init 0
		.amdhsa_user_sgpr_kernarg_preload_length 0
		.amdhsa_user_sgpr_kernarg_preload_offset 0
		.amdhsa_user_sgpr_private_segment_size 0
		.amdhsa_uses_dynamic_stack 0
		.amdhsa_system_sgpr_private_segment_wavefront_offset 0
		.amdhsa_system_sgpr_workgroup_id_x 1
		.amdhsa_system_sgpr_workgroup_id_y 0
		.amdhsa_system_sgpr_workgroup_id_z 0
		.amdhsa_system_sgpr_workgroup_info 0
		.amdhsa_system_vgpr_workitem_id 2
		.amdhsa_next_free_vgpr 38
		.amdhsa_next_free_sgpr 42
		.amdhsa_accum_offset 40
		.amdhsa_reserve_vcc 1
		.amdhsa_reserve_flat_scratch 0
		.amdhsa_float_round_mode_32 0
		.amdhsa_float_round_mode_16_64 0
		.amdhsa_float_denorm_mode_32 3
		.amdhsa_float_denorm_mode_16_64 3
		.amdhsa_dx10_clamp 1
		.amdhsa_ieee_mode 1
		.amdhsa_fp16_overflow 0
		.amdhsa_tg_split 0
		.amdhsa_exception_fp_ieee_invalid_op 0
		.amdhsa_exception_fp_denorm_src 0
		.amdhsa_exception_fp_ieee_div_zero 0
		.amdhsa_exception_fp_ieee_overflow 0
		.amdhsa_exception_fp_ieee_underflow 0
		.amdhsa_exception_fp_ieee_inexact 0
		.amdhsa_exception_int_div_zero 0
	.end_amdhsa_kernel
	.section	.text._ZN7rocprim17ROCPRIM_400000_NS6detail17trampoline_kernelINS0_13kernel_configILj256ELj4ELj4294967295EEENS1_37radix_sort_block_sort_config_selectorIaNS0_10empty_typeEEEZNS1_21radix_sort_block_sortIS4_Lb0EPaS9_PS6_SA_NS0_19identity_decomposerEEE10hipError_tT1_T2_T3_T4_jRjT5_jjP12ihipStream_tbEUlT_E_NS1_11comp_targetILNS1_3genE4ELNS1_11target_archE910ELNS1_3gpuE8ELNS1_3repE0EEENS1_44radix_sort_block_sort_config_static_selectorELNS0_4arch9wavefront6targetE1EEEvSD_,"axG",@progbits,_ZN7rocprim17ROCPRIM_400000_NS6detail17trampoline_kernelINS0_13kernel_configILj256ELj4ELj4294967295EEENS1_37radix_sort_block_sort_config_selectorIaNS0_10empty_typeEEEZNS1_21radix_sort_block_sortIS4_Lb0EPaS9_PS6_SA_NS0_19identity_decomposerEEE10hipError_tT1_T2_T3_T4_jRjT5_jjP12ihipStream_tbEUlT_E_NS1_11comp_targetILNS1_3genE4ELNS1_11target_archE910ELNS1_3gpuE8ELNS1_3repE0EEENS1_44radix_sort_block_sort_config_static_selectorELNS0_4arch9wavefront6targetE1EEEvSD_,comdat
.Lfunc_end120:
	.size	_ZN7rocprim17ROCPRIM_400000_NS6detail17trampoline_kernelINS0_13kernel_configILj256ELj4ELj4294967295EEENS1_37radix_sort_block_sort_config_selectorIaNS0_10empty_typeEEEZNS1_21radix_sort_block_sortIS4_Lb0EPaS9_PS6_SA_NS0_19identity_decomposerEEE10hipError_tT1_T2_T3_T4_jRjT5_jjP12ihipStream_tbEUlT_E_NS1_11comp_targetILNS1_3genE4ELNS1_11target_archE910ELNS1_3gpuE8ELNS1_3repE0EEENS1_44radix_sort_block_sort_config_static_selectorELNS0_4arch9wavefront6targetE1EEEvSD_, .Lfunc_end120-_ZN7rocprim17ROCPRIM_400000_NS6detail17trampoline_kernelINS0_13kernel_configILj256ELj4ELj4294967295EEENS1_37radix_sort_block_sort_config_selectorIaNS0_10empty_typeEEEZNS1_21radix_sort_block_sortIS4_Lb0EPaS9_PS6_SA_NS0_19identity_decomposerEEE10hipError_tT1_T2_T3_T4_jRjT5_jjP12ihipStream_tbEUlT_E_NS1_11comp_targetILNS1_3genE4ELNS1_11target_archE910ELNS1_3gpuE8ELNS1_3repE0EEENS1_44radix_sort_block_sort_config_static_selectorELNS0_4arch9wavefront6targetE1EEEvSD_
                                        ; -- End function
	.section	.AMDGPU.csdata,"",@progbits
; Kernel info:
; codeLenInByte = 3212
; NumSgprs: 46
; NumVgprs: 38
; NumAgprs: 0
; TotalNumVgprs: 38
; ScratchSize: 0
; MemoryBound: 0
; FloatMode: 240
; IeeeMode: 1
; LDSByteSize: 4112 bytes/workgroup (compile time only)
; SGPRBlocks: 5
; VGPRBlocks: 4
; NumSGPRsForWavesPerEU: 46
; NumVGPRsForWavesPerEU: 38
; AccumOffset: 40
; Occupancy: 8
; WaveLimiterHint : 1
; COMPUTE_PGM_RSRC2:SCRATCH_EN: 0
; COMPUTE_PGM_RSRC2:USER_SGPR: 6
; COMPUTE_PGM_RSRC2:TRAP_HANDLER: 0
; COMPUTE_PGM_RSRC2:TGID_X_EN: 1
; COMPUTE_PGM_RSRC2:TGID_Y_EN: 0
; COMPUTE_PGM_RSRC2:TGID_Z_EN: 0
; COMPUTE_PGM_RSRC2:TIDIG_COMP_CNT: 2
; COMPUTE_PGM_RSRC3_GFX90A:ACCUM_OFFSET: 9
; COMPUTE_PGM_RSRC3_GFX90A:TG_SPLIT: 0
	.section	.text._ZN7rocprim17ROCPRIM_400000_NS6detail17trampoline_kernelINS0_13kernel_configILj256ELj4ELj4294967295EEENS1_37radix_sort_block_sort_config_selectorIaNS0_10empty_typeEEEZNS1_21radix_sort_block_sortIS4_Lb0EPaS9_PS6_SA_NS0_19identity_decomposerEEE10hipError_tT1_T2_T3_T4_jRjT5_jjP12ihipStream_tbEUlT_E_NS1_11comp_targetILNS1_3genE3ELNS1_11target_archE908ELNS1_3gpuE7ELNS1_3repE0EEENS1_44radix_sort_block_sort_config_static_selectorELNS0_4arch9wavefront6targetE1EEEvSD_,"axG",@progbits,_ZN7rocprim17ROCPRIM_400000_NS6detail17trampoline_kernelINS0_13kernel_configILj256ELj4ELj4294967295EEENS1_37radix_sort_block_sort_config_selectorIaNS0_10empty_typeEEEZNS1_21radix_sort_block_sortIS4_Lb0EPaS9_PS6_SA_NS0_19identity_decomposerEEE10hipError_tT1_T2_T3_T4_jRjT5_jjP12ihipStream_tbEUlT_E_NS1_11comp_targetILNS1_3genE3ELNS1_11target_archE908ELNS1_3gpuE7ELNS1_3repE0EEENS1_44radix_sort_block_sort_config_static_selectorELNS0_4arch9wavefront6targetE1EEEvSD_,comdat
	.protected	_ZN7rocprim17ROCPRIM_400000_NS6detail17trampoline_kernelINS0_13kernel_configILj256ELj4ELj4294967295EEENS1_37radix_sort_block_sort_config_selectorIaNS0_10empty_typeEEEZNS1_21radix_sort_block_sortIS4_Lb0EPaS9_PS6_SA_NS0_19identity_decomposerEEE10hipError_tT1_T2_T3_T4_jRjT5_jjP12ihipStream_tbEUlT_E_NS1_11comp_targetILNS1_3genE3ELNS1_11target_archE908ELNS1_3gpuE7ELNS1_3repE0EEENS1_44radix_sort_block_sort_config_static_selectorELNS0_4arch9wavefront6targetE1EEEvSD_ ; -- Begin function _ZN7rocprim17ROCPRIM_400000_NS6detail17trampoline_kernelINS0_13kernel_configILj256ELj4ELj4294967295EEENS1_37radix_sort_block_sort_config_selectorIaNS0_10empty_typeEEEZNS1_21radix_sort_block_sortIS4_Lb0EPaS9_PS6_SA_NS0_19identity_decomposerEEE10hipError_tT1_T2_T3_T4_jRjT5_jjP12ihipStream_tbEUlT_E_NS1_11comp_targetILNS1_3genE3ELNS1_11target_archE908ELNS1_3gpuE7ELNS1_3repE0EEENS1_44radix_sort_block_sort_config_static_selectorELNS0_4arch9wavefront6targetE1EEEvSD_
	.globl	_ZN7rocprim17ROCPRIM_400000_NS6detail17trampoline_kernelINS0_13kernel_configILj256ELj4ELj4294967295EEENS1_37radix_sort_block_sort_config_selectorIaNS0_10empty_typeEEEZNS1_21radix_sort_block_sortIS4_Lb0EPaS9_PS6_SA_NS0_19identity_decomposerEEE10hipError_tT1_T2_T3_T4_jRjT5_jjP12ihipStream_tbEUlT_E_NS1_11comp_targetILNS1_3genE3ELNS1_11target_archE908ELNS1_3gpuE7ELNS1_3repE0EEENS1_44radix_sort_block_sort_config_static_selectorELNS0_4arch9wavefront6targetE1EEEvSD_
	.p2align	8
	.type	_ZN7rocprim17ROCPRIM_400000_NS6detail17trampoline_kernelINS0_13kernel_configILj256ELj4ELj4294967295EEENS1_37radix_sort_block_sort_config_selectorIaNS0_10empty_typeEEEZNS1_21radix_sort_block_sortIS4_Lb0EPaS9_PS6_SA_NS0_19identity_decomposerEEE10hipError_tT1_T2_T3_T4_jRjT5_jjP12ihipStream_tbEUlT_E_NS1_11comp_targetILNS1_3genE3ELNS1_11target_archE908ELNS1_3gpuE7ELNS1_3repE0EEENS1_44radix_sort_block_sort_config_static_selectorELNS0_4arch9wavefront6targetE1EEEvSD_,@function
_ZN7rocprim17ROCPRIM_400000_NS6detail17trampoline_kernelINS0_13kernel_configILj256ELj4ELj4294967295EEENS1_37radix_sort_block_sort_config_selectorIaNS0_10empty_typeEEEZNS1_21radix_sort_block_sortIS4_Lb0EPaS9_PS6_SA_NS0_19identity_decomposerEEE10hipError_tT1_T2_T3_T4_jRjT5_jjP12ihipStream_tbEUlT_E_NS1_11comp_targetILNS1_3genE3ELNS1_11target_archE908ELNS1_3gpuE7ELNS1_3repE0EEENS1_44radix_sort_block_sort_config_static_selectorELNS0_4arch9wavefront6targetE1EEEvSD_: ; @_ZN7rocprim17ROCPRIM_400000_NS6detail17trampoline_kernelINS0_13kernel_configILj256ELj4ELj4294967295EEENS1_37radix_sort_block_sort_config_selectorIaNS0_10empty_typeEEEZNS1_21radix_sort_block_sortIS4_Lb0EPaS9_PS6_SA_NS0_19identity_decomposerEEE10hipError_tT1_T2_T3_T4_jRjT5_jjP12ihipStream_tbEUlT_E_NS1_11comp_targetILNS1_3genE3ELNS1_11target_archE908ELNS1_3gpuE7ELNS1_3repE0EEENS1_44radix_sort_block_sort_config_static_selectorELNS0_4arch9wavefront6targetE1EEEvSD_
; %bb.0:
	.section	.rodata,"a",@progbits
	.p2align	6, 0x0
	.amdhsa_kernel _ZN7rocprim17ROCPRIM_400000_NS6detail17trampoline_kernelINS0_13kernel_configILj256ELj4ELj4294967295EEENS1_37radix_sort_block_sort_config_selectorIaNS0_10empty_typeEEEZNS1_21radix_sort_block_sortIS4_Lb0EPaS9_PS6_SA_NS0_19identity_decomposerEEE10hipError_tT1_T2_T3_T4_jRjT5_jjP12ihipStream_tbEUlT_E_NS1_11comp_targetILNS1_3genE3ELNS1_11target_archE908ELNS1_3gpuE7ELNS1_3repE0EEENS1_44radix_sort_block_sort_config_static_selectorELNS0_4arch9wavefront6targetE1EEEvSD_
		.amdhsa_group_segment_fixed_size 0
		.amdhsa_private_segment_fixed_size 0
		.amdhsa_kernarg_size 48
		.amdhsa_user_sgpr_count 6
		.amdhsa_user_sgpr_private_segment_buffer 1
		.amdhsa_user_sgpr_dispatch_ptr 0
		.amdhsa_user_sgpr_queue_ptr 0
		.amdhsa_user_sgpr_kernarg_segment_ptr 1
		.amdhsa_user_sgpr_dispatch_id 0
		.amdhsa_user_sgpr_flat_scratch_init 0
		.amdhsa_user_sgpr_kernarg_preload_length 0
		.amdhsa_user_sgpr_kernarg_preload_offset 0
		.amdhsa_user_sgpr_private_segment_size 0
		.amdhsa_uses_dynamic_stack 0
		.amdhsa_system_sgpr_private_segment_wavefront_offset 0
		.amdhsa_system_sgpr_workgroup_id_x 1
		.amdhsa_system_sgpr_workgroup_id_y 0
		.amdhsa_system_sgpr_workgroup_id_z 0
		.amdhsa_system_sgpr_workgroup_info 0
		.amdhsa_system_vgpr_workitem_id 0
		.amdhsa_next_free_vgpr 1
		.amdhsa_next_free_sgpr 0
		.amdhsa_accum_offset 4
		.amdhsa_reserve_vcc 0
		.amdhsa_reserve_flat_scratch 0
		.amdhsa_float_round_mode_32 0
		.amdhsa_float_round_mode_16_64 0
		.amdhsa_float_denorm_mode_32 3
		.amdhsa_float_denorm_mode_16_64 3
		.amdhsa_dx10_clamp 1
		.amdhsa_ieee_mode 1
		.amdhsa_fp16_overflow 0
		.amdhsa_tg_split 0
		.amdhsa_exception_fp_ieee_invalid_op 0
		.amdhsa_exception_fp_denorm_src 0
		.amdhsa_exception_fp_ieee_div_zero 0
		.amdhsa_exception_fp_ieee_overflow 0
		.amdhsa_exception_fp_ieee_underflow 0
		.amdhsa_exception_fp_ieee_inexact 0
		.amdhsa_exception_int_div_zero 0
	.end_amdhsa_kernel
	.section	.text._ZN7rocprim17ROCPRIM_400000_NS6detail17trampoline_kernelINS0_13kernel_configILj256ELj4ELj4294967295EEENS1_37radix_sort_block_sort_config_selectorIaNS0_10empty_typeEEEZNS1_21radix_sort_block_sortIS4_Lb0EPaS9_PS6_SA_NS0_19identity_decomposerEEE10hipError_tT1_T2_T3_T4_jRjT5_jjP12ihipStream_tbEUlT_E_NS1_11comp_targetILNS1_3genE3ELNS1_11target_archE908ELNS1_3gpuE7ELNS1_3repE0EEENS1_44radix_sort_block_sort_config_static_selectorELNS0_4arch9wavefront6targetE1EEEvSD_,"axG",@progbits,_ZN7rocprim17ROCPRIM_400000_NS6detail17trampoline_kernelINS0_13kernel_configILj256ELj4ELj4294967295EEENS1_37radix_sort_block_sort_config_selectorIaNS0_10empty_typeEEEZNS1_21radix_sort_block_sortIS4_Lb0EPaS9_PS6_SA_NS0_19identity_decomposerEEE10hipError_tT1_T2_T3_T4_jRjT5_jjP12ihipStream_tbEUlT_E_NS1_11comp_targetILNS1_3genE3ELNS1_11target_archE908ELNS1_3gpuE7ELNS1_3repE0EEENS1_44radix_sort_block_sort_config_static_selectorELNS0_4arch9wavefront6targetE1EEEvSD_,comdat
.Lfunc_end121:
	.size	_ZN7rocprim17ROCPRIM_400000_NS6detail17trampoline_kernelINS0_13kernel_configILj256ELj4ELj4294967295EEENS1_37radix_sort_block_sort_config_selectorIaNS0_10empty_typeEEEZNS1_21radix_sort_block_sortIS4_Lb0EPaS9_PS6_SA_NS0_19identity_decomposerEEE10hipError_tT1_T2_T3_T4_jRjT5_jjP12ihipStream_tbEUlT_E_NS1_11comp_targetILNS1_3genE3ELNS1_11target_archE908ELNS1_3gpuE7ELNS1_3repE0EEENS1_44radix_sort_block_sort_config_static_selectorELNS0_4arch9wavefront6targetE1EEEvSD_, .Lfunc_end121-_ZN7rocprim17ROCPRIM_400000_NS6detail17trampoline_kernelINS0_13kernel_configILj256ELj4ELj4294967295EEENS1_37radix_sort_block_sort_config_selectorIaNS0_10empty_typeEEEZNS1_21radix_sort_block_sortIS4_Lb0EPaS9_PS6_SA_NS0_19identity_decomposerEEE10hipError_tT1_T2_T3_T4_jRjT5_jjP12ihipStream_tbEUlT_E_NS1_11comp_targetILNS1_3genE3ELNS1_11target_archE908ELNS1_3gpuE7ELNS1_3repE0EEENS1_44radix_sort_block_sort_config_static_selectorELNS0_4arch9wavefront6targetE1EEEvSD_
                                        ; -- End function
	.section	.AMDGPU.csdata,"",@progbits
; Kernel info:
; codeLenInByte = 0
; NumSgprs: 4
; NumVgprs: 0
; NumAgprs: 0
; TotalNumVgprs: 0
; ScratchSize: 0
; MemoryBound: 0
; FloatMode: 240
; IeeeMode: 1
; LDSByteSize: 0 bytes/workgroup (compile time only)
; SGPRBlocks: 0
; VGPRBlocks: 0
; NumSGPRsForWavesPerEU: 4
; NumVGPRsForWavesPerEU: 1
; AccumOffset: 4
; Occupancy: 8
; WaveLimiterHint : 0
; COMPUTE_PGM_RSRC2:SCRATCH_EN: 0
; COMPUTE_PGM_RSRC2:USER_SGPR: 6
; COMPUTE_PGM_RSRC2:TRAP_HANDLER: 0
; COMPUTE_PGM_RSRC2:TGID_X_EN: 1
; COMPUTE_PGM_RSRC2:TGID_Y_EN: 0
; COMPUTE_PGM_RSRC2:TGID_Z_EN: 0
; COMPUTE_PGM_RSRC2:TIDIG_COMP_CNT: 0
; COMPUTE_PGM_RSRC3_GFX90A:ACCUM_OFFSET: 0
; COMPUTE_PGM_RSRC3_GFX90A:TG_SPLIT: 0
	.section	.text._ZN7rocprim17ROCPRIM_400000_NS6detail17trampoline_kernelINS0_13kernel_configILj256ELj4ELj4294967295EEENS1_37radix_sort_block_sort_config_selectorIaNS0_10empty_typeEEEZNS1_21radix_sort_block_sortIS4_Lb0EPaS9_PS6_SA_NS0_19identity_decomposerEEE10hipError_tT1_T2_T3_T4_jRjT5_jjP12ihipStream_tbEUlT_E_NS1_11comp_targetILNS1_3genE2ELNS1_11target_archE906ELNS1_3gpuE6ELNS1_3repE0EEENS1_44radix_sort_block_sort_config_static_selectorELNS0_4arch9wavefront6targetE1EEEvSD_,"axG",@progbits,_ZN7rocprim17ROCPRIM_400000_NS6detail17trampoline_kernelINS0_13kernel_configILj256ELj4ELj4294967295EEENS1_37radix_sort_block_sort_config_selectorIaNS0_10empty_typeEEEZNS1_21radix_sort_block_sortIS4_Lb0EPaS9_PS6_SA_NS0_19identity_decomposerEEE10hipError_tT1_T2_T3_T4_jRjT5_jjP12ihipStream_tbEUlT_E_NS1_11comp_targetILNS1_3genE2ELNS1_11target_archE906ELNS1_3gpuE6ELNS1_3repE0EEENS1_44radix_sort_block_sort_config_static_selectorELNS0_4arch9wavefront6targetE1EEEvSD_,comdat
	.protected	_ZN7rocprim17ROCPRIM_400000_NS6detail17trampoline_kernelINS0_13kernel_configILj256ELj4ELj4294967295EEENS1_37radix_sort_block_sort_config_selectorIaNS0_10empty_typeEEEZNS1_21radix_sort_block_sortIS4_Lb0EPaS9_PS6_SA_NS0_19identity_decomposerEEE10hipError_tT1_T2_T3_T4_jRjT5_jjP12ihipStream_tbEUlT_E_NS1_11comp_targetILNS1_3genE2ELNS1_11target_archE906ELNS1_3gpuE6ELNS1_3repE0EEENS1_44radix_sort_block_sort_config_static_selectorELNS0_4arch9wavefront6targetE1EEEvSD_ ; -- Begin function _ZN7rocprim17ROCPRIM_400000_NS6detail17trampoline_kernelINS0_13kernel_configILj256ELj4ELj4294967295EEENS1_37radix_sort_block_sort_config_selectorIaNS0_10empty_typeEEEZNS1_21radix_sort_block_sortIS4_Lb0EPaS9_PS6_SA_NS0_19identity_decomposerEEE10hipError_tT1_T2_T3_T4_jRjT5_jjP12ihipStream_tbEUlT_E_NS1_11comp_targetILNS1_3genE2ELNS1_11target_archE906ELNS1_3gpuE6ELNS1_3repE0EEENS1_44radix_sort_block_sort_config_static_selectorELNS0_4arch9wavefront6targetE1EEEvSD_
	.globl	_ZN7rocprim17ROCPRIM_400000_NS6detail17trampoline_kernelINS0_13kernel_configILj256ELj4ELj4294967295EEENS1_37radix_sort_block_sort_config_selectorIaNS0_10empty_typeEEEZNS1_21radix_sort_block_sortIS4_Lb0EPaS9_PS6_SA_NS0_19identity_decomposerEEE10hipError_tT1_T2_T3_T4_jRjT5_jjP12ihipStream_tbEUlT_E_NS1_11comp_targetILNS1_3genE2ELNS1_11target_archE906ELNS1_3gpuE6ELNS1_3repE0EEENS1_44radix_sort_block_sort_config_static_selectorELNS0_4arch9wavefront6targetE1EEEvSD_
	.p2align	8
	.type	_ZN7rocprim17ROCPRIM_400000_NS6detail17trampoline_kernelINS0_13kernel_configILj256ELj4ELj4294967295EEENS1_37radix_sort_block_sort_config_selectorIaNS0_10empty_typeEEEZNS1_21radix_sort_block_sortIS4_Lb0EPaS9_PS6_SA_NS0_19identity_decomposerEEE10hipError_tT1_T2_T3_T4_jRjT5_jjP12ihipStream_tbEUlT_E_NS1_11comp_targetILNS1_3genE2ELNS1_11target_archE906ELNS1_3gpuE6ELNS1_3repE0EEENS1_44radix_sort_block_sort_config_static_selectorELNS0_4arch9wavefront6targetE1EEEvSD_,@function
_ZN7rocprim17ROCPRIM_400000_NS6detail17trampoline_kernelINS0_13kernel_configILj256ELj4ELj4294967295EEENS1_37radix_sort_block_sort_config_selectorIaNS0_10empty_typeEEEZNS1_21radix_sort_block_sortIS4_Lb0EPaS9_PS6_SA_NS0_19identity_decomposerEEE10hipError_tT1_T2_T3_T4_jRjT5_jjP12ihipStream_tbEUlT_E_NS1_11comp_targetILNS1_3genE2ELNS1_11target_archE906ELNS1_3gpuE6ELNS1_3repE0EEENS1_44radix_sort_block_sort_config_static_selectorELNS0_4arch9wavefront6targetE1EEEvSD_: ; @_ZN7rocprim17ROCPRIM_400000_NS6detail17trampoline_kernelINS0_13kernel_configILj256ELj4ELj4294967295EEENS1_37radix_sort_block_sort_config_selectorIaNS0_10empty_typeEEEZNS1_21radix_sort_block_sortIS4_Lb0EPaS9_PS6_SA_NS0_19identity_decomposerEEE10hipError_tT1_T2_T3_T4_jRjT5_jjP12ihipStream_tbEUlT_E_NS1_11comp_targetILNS1_3genE2ELNS1_11target_archE906ELNS1_3gpuE6ELNS1_3repE0EEENS1_44radix_sort_block_sort_config_static_selectorELNS0_4arch9wavefront6targetE1EEEvSD_
; %bb.0:
	.section	.rodata,"a",@progbits
	.p2align	6, 0x0
	.amdhsa_kernel _ZN7rocprim17ROCPRIM_400000_NS6detail17trampoline_kernelINS0_13kernel_configILj256ELj4ELj4294967295EEENS1_37radix_sort_block_sort_config_selectorIaNS0_10empty_typeEEEZNS1_21radix_sort_block_sortIS4_Lb0EPaS9_PS6_SA_NS0_19identity_decomposerEEE10hipError_tT1_T2_T3_T4_jRjT5_jjP12ihipStream_tbEUlT_E_NS1_11comp_targetILNS1_3genE2ELNS1_11target_archE906ELNS1_3gpuE6ELNS1_3repE0EEENS1_44radix_sort_block_sort_config_static_selectorELNS0_4arch9wavefront6targetE1EEEvSD_
		.amdhsa_group_segment_fixed_size 0
		.amdhsa_private_segment_fixed_size 0
		.amdhsa_kernarg_size 48
		.amdhsa_user_sgpr_count 6
		.amdhsa_user_sgpr_private_segment_buffer 1
		.amdhsa_user_sgpr_dispatch_ptr 0
		.amdhsa_user_sgpr_queue_ptr 0
		.amdhsa_user_sgpr_kernarg_segment_ptr 1
		.amdhsa_user_sgpr_dispatch_id 0
		.amdhsa_user_sgpr_flat_scratch_init 0
		.amdhsa_user_sgpr_kernarg_preload_length 0
		.amdhsa_user_sgpr_kernarg_preload_offset 0
		.amdhsa_user_sgpr_private_segment_size 0
		.amdhsa_uses_dynamic_stack 0
		.amdhsa_system_sgpr_private_segment_wavefront_offset 0
		.amdhsa_system_sgpr_workgroup_id_x 1
		.amdhsa_system_sgpr_workgroup_id_y 0
		.amdhsa_system_sgpr_workgroup_id_z 0
		.amdhsa_system_sgpr_workgroup_info 0
		.amdhsa_system_vgpr_workitem_id 0
		.amdhsa_next_free_vgpr 1
		.amdhsa_next_free_sgpr 0
		.amdhsa_accum_offset 4
		.amdhsa_reserve_vcc 0
		.amdhsa_reserve_flat_scratch 0
		.amdhsa_float_round_mode_32 0
		.amdhsa_float_round_mode_16_64 0
		.amdhsa_float_denorm_mode_32 3
		.amdhsa_float_denorm_mode_16_64 3
		.amdhsa_dx10_clamp 1
		.amdhsa_ieee_mode 1
		.amdhsa_fp16_overflow 0
		.amdhsa_tg_split 0
		.amdhsa_exception_fp_ieee_invalid_op 0
		.amdhsa_exception_fp_denorm_src 0
		.amdhsa_exception_fp_ieee_div_zero 0
		.amdhsa_exception_fp_ieee_overflow 0
		.amdhsa_exception_fp_ieee_underflow 0
		.amdhsa_exception_fp_ieee_inexact 0
		.amdhsa_exception_int_div_zero 0
	.end_amdhsa_kernel
	.section	.text._ZN7rocprim17ROCPRIM_400000_NS6detail17trampoline_kernelINS0_13kernel_configILj256ELj4ELj4294967295EEENS1_37radix_sort_block_sort_config_selectorIaNS0_10empty_typeEEEZNS1_21radix_sort_block_sortIS4_Lb0EPaS9_PS6_SA_NS0_19identity_decomposerEEE10hipError_tT1_T2_T3_T4_jRjT5_jjP12ihipStream_tbEUlT_E_NS1_11comp_targetILNS1_3genE2ELNS1_11target_archE906ELNS1_3gpuE6ELNS1_3repE0EEENS1_44radix_sort_block_sort_config_static_selectorELNS0_4arch9wavefront6targetE1EEEvSD_,"axG",@progbits,_ZN7rocprim17ROCPRIM_400000_NS6detail17trampoline_kernelINS0_13kernel_configILj256ELj4ELj4294967295EEENS1_37radix_sort_block_sort_config_selectorIaNS0_10empty_typeEEEZNS1_21radix_sort_block_sortIS4_Lb0EPaS9_PS6_SA_NS0_19identity_decomposerEEE10hipError_tT1_T2_T3_T4_jRjT5_jjP12ihipStream_tbEUlT_E_NS1_11comp_targetILNS1_3genE2ELNS1_11target_archE906ELNS1_3gpuE6ELNS1_3repE0EEENS1_44radix_sort_block_sort_config_static_selectorELNS0_4arch9wavefront6targetE1EEEvSD_,comdat
.Lfunc_end122:
	.size	_ZN7rocprim17ROCPRIM_400000_NS6detail17trampoline_kernelINS0_13kernel_configILj256ELj4ELj4294967295EEENS1_37radix_sort_block_sort_config_selectorIaNS0_10empty_typeEEEZNS1_21radix_sort_block_sortIS4_Lb0EPaS9_PS6_SA_NS0_19identity_decomposerEEE10hipError_tT1_T2_T3_T4_jRjT5_jjP12ihipStream_tbEUlT_E_NS1_11comp_targetILNS1_3genE2ELNS1_11target_archE906ELNS1_3gpuE6ELNS1_3repE0EEENS1_44radix_sort_block_sort_config_static_selectorELNS0_4arch9wavefront6targetE1EEEvSD_, .Lfunc_end122-_ZN7rocprim17ROCPRIM_400000_NS6detail17trampoline_kernelINS0_13kernel_configILj256ELj4ELj4294967295EEENS1_37radix_sort_block_sort_config_selectorIaNS0_10empty_typeEEEZNS1_21radix_sort_block_sortIS4_Lb0EPaS9_PS6_SA_NS0_19identity_decomposerEEE10hipError_tT1_T2_T3_T4_jRjT5_jjP12ihipStream_tbEUlT_E_NS1_11comp_targetILNS1_3genE2ELNS1_11target_archE906ELNS1_3gpuE6ELNS1_3repE0EEENS1_44radix_sort_block_sort_config_static_selectorELNS0_4arch9wavefront6targetE1EEEvSD_
                                        ; -- End function
	.section	.AMDGPU.csdata,"",@progbits
; Kernel info:
; codeLenInByte = 0
; NumSgprs: 4
; NumVgprs: 0
; NumAgprs: 0
; TotalNumVgprs: 0
; ScratchSize: 0
; MemoryBound: 0
; FloatMode: 240
; IeeeMode: 1
; LDSByteSize: 0 bytes/workgroup (compile time only)
; SGPRBlocks: 0
; VGPRBlocks: 0
; NumSGPRsForWavesPerEU: 4
; NumVGPRsForWavesPerEU: 1
; AccumOffset: 4
; Occupancy: 8
; WaveLimiterHint : 0
; COMPUTE_PGM_RSRC2:SCRATCH_EN: 0
; COMPUTE_PGM_RSRC2:USER_SGPR: 6
; COMPUTE_PGM_RSRC2:TRAP_HANDLER: 0
; COMPUTE_PGM_RSRC2:TGID_X_EN: 1
; COMPUTE_PGM_RSRC2:TGID_Y_EN: 0
; COMPUTE_PGM_RSRC2:TGID_Z_EN: 0
; COMPUTE_PGM_RSRC2:TIDIG_COMP_CNT: 0
; COMPUTE_PGM_RSRC3_GFX90A:ACCUM_OFFSET: 0
; COMPUTE_PGM_RSRC3_GFX90A:TG_SPLIT: 0
	.section	.text._ZN7rocprim17ROCPRIM_400000_NS6detail17trampoline_kernelINS0_13kernel_configILj256ELj4ELj4294967295EEENS1_37radix_sort_block_sort_config_selectorIaNS0_10empty_typeEEEZNS1_21radix_sort_block_sortIS4_Lb0EPaS9_PS6_SA_NS0_19identity_decomposerEEE10hipError_tT1_T2_T3_T4_jRjT5_jjP12ihipStream_tbEUlT_E_NS1_11comp_targetILNS1_3genE10ELNS1_11target_archE1201ELNS1_3gpuE5ELNS1_3repE0EEENS1_44radix_sort_block_sort_config_static_selectorELNS0_4arch9wavefront6targetE1EEEvSD_,"axG",@progbits,_ZN7rocprim17ROCPRIM_400000_NS6detail17trampoline_kernelINS0_13kernel_configILj256ELj4ELj4294967295EEENS1_37radix_sort_block_sort_config_selectorIaNS0_10empty_typeEEEZNS1_21radix_sort_block_sortIS4_Lb0EPaS9_PS6_SA_NS0_19identity_decomposerEEE10hipError_tT1_T2_T3_T4_jRjT5_jjP12ihipStream_tbEUlT_E_NS1_11comp_targetILNS1_3genE10ELNS1_11target_archE1201ELNS1_3gpuE5ELNS1_3repE0EEENS1_44radix_sort_block_sort_config_static_selectorELNS0_4arch9wavefront6targetE1EEEvSD_,comdat
	.protected	_ZN7rocprim17ROCPRIM_400000_NS6detail17trampoline_kernelINS0_13kernel_configILj256ELj4ELj4294967295EEENS1_37radix_sort_block_sort_config_selectorIaNS0_10empty_typeEEEZNS1_21radix_sort_block_sortIS4_Lb0EPaS9_PS6_SA_NS0_19identity_decomposerEEE10hipError_tT1_T2_T3_T4_jRjT5_jjP12ihipStream_tbEUlT_E_NS1_11comp_targetILNS1_3genE10ELNS1_11target_archE1201ELNS1_3gpuE5ELNS1_3repE0EEENS1_44radix_sort_block_sort_config_static_selectorELNS0_4arch9wavefront6targetE1EEEvSD_ ; -- Begin function _ZN7rocprim17ROCPRIM_400000_NS6detail17trampoline_kernelINS0_13kernel_configILj256ELj4ELj4294967295EEENS1_37radix_sort_block_sort_config_selectorIaNS0_10empty_typeEEEZNS1_21radix_sort_block_sortIS4_Lb0EPaS9_PS6_SA_NS0_19identity_decomposerEEE10hipError_tT1_T2_T3_T4_jRjT5_jjP12ihipStream_tbEUlT_E_NS1_11comp_targetILNS1_3genE10ELNS1_11target_archE1201ELNS1_3gpuE5ELNS1_3repE0EEENS1_44radix_sort_block_sort_config_static_selectorELNS0_4arch9wavefront6targetE1EEEvSD_
	.globl	_ZN7rocprim17ROCPRIM_400000_NS6detail17trampoline_kernelINS0_13kernel_configILj256ELj4ELj4294967295EEENS1_37radix_sort_block_sort_config_selectorIaNS0_10empty_typeEEEZNS1_21radix_sort_block_sortIS4_Lb0EPaS9_PS6_SA_NS0_19identity_decomposerEEE10hipError_tT1_T2_T3_T4_jRjT5_jjP12ihipStream_tbEUlT_E_NS1_11comp_targetILNS1_3genE10ELNS1_11target_archE1201ELNS1_3gpuE5ELNS1_3repE0EEENS1_44radix_sort_block_sort_config_static_selectorELNS0_4arch9wavefront6targetE1EEEvSD_
	.p2align	8
	.type	_ZN7rocprim17ROCPRIM_400000_NS6detail17trampoline_kernelINS0_13kernel_configILj256ELj4ELj4294967295EEENS1_37radix_sort_block_sort_config_selectorIaNS0_10empty_typeEEEZNS1_21radix_sort_block_sortIS4_Lb0EPaS9_PS6_SA_NS0_19identity_decomposerEEE10hipError_tT1_T2_T3_T4_jRjT5_jjP12ihipStream_tbEUlT_E_NS1_11comp_targetILNS1_3genE10ELNS1_11target_archE1201ELNS1_3gpuE5ELNS1_3repE0EEENS1_44radix_sort_block_sort_config_static_selectorELNS0_4arch9wavefront6targetE1EEEvSD_,@function
_ZN7rocprim17ROCPRIM_400000_NS6detail17trampoline_kernelINS0_13kernel_configILj256ELj4ELj4294967295EEENS1_37radix_sort_block_sort_config_selectorIaNS0_10empty_typeEEEZNS1_21radix_sort_block_sortIS4_Lb0EPaS9_PS6_SA_NS0_19identity_decomposerEEE10hipError_tT1_T2_T3_T4_jRjT5_jjP12ihipStream_tbEUlT_E_NS1_11comp_targetILNS1_3genE10ELNS1_11target_archE1201ELNS1_3gpuE5ELNS1_3repE0EEENS1_44radix_sort_block_sort_config_static_selectorELNS0_4arch9wavefront6targetE1EEEvSD_: ; @_ZN7rocprim17ROCPRIM_400000_NS6detail17trampoline_kernelINS0_13kernel_configILj256ELj4ELj4294967295EEENS1_37radix_sort_block_sort_config_selectorIaNS0_10empty_typeEEEZNS1_21radix_sort_block_sortIS4_Lb0EPaS9_PS6_SA_NS0_19identity_decomposerEEE10hipError_tT1_T2_T3_T4_jRjT5_jjP12ihipStream_tbEUlT_E_NS1_11comp_targetILNS1_3genE10ELNS1_11target_archE1201ELNS1_3gpuE5ELNS1_3repE0EEENS1_44radix_sort_block_sort_config_static_selectorELNS0_4arch9wavefront6targetE1EEEvSD_
; %bb.0:
	.section	.rodata,"a",@progbits
	.p2align	6, 0x0
	.amdhsa_kernel _ZN7rocprim17ROCPRIM_400000_NS6detail17trampoline_kernelINS0_13kernel_configILj256ELj4ELj4294967295EEENS1_37radix_sort_block_sort_config_selectorIaNS0_10empty_typeEEEZNS1_21radix_sort_block_sortIS4_Lb0EPaS9_PS6_SA_NS0_19identity_decomposerEEE10hipError_tT1_T2_T3_T4_jRjT5_jjP12ihipStream_tbEUlT_E_NS1_11comp_targetILNS1_3genE10ELNS1_11target_archE1201ELNS1_3gpuE5ELNS1_3repE0EEENS1_44radix_sort_block_sort_config_static_selectorELNS0_4arch9wavefront6targetE1EEEvSD_
		.amdhsa_group_segment_fixed_size 0
		.amdhsa_private_segment_fixed_size 0
		.amdhsa_kernarg_size 48
		.amdhsa_user_sgpr_count 6
		.amdhsa_user_sgpr_private_segment_buffer 1
		.amdhsa_user_sgpr_dispatch_ptr 0
		.amdhsa_user_sgpr_queue_ptr 0
		.amdhsa_user_sgpr_kernarg_segment_ptr 1
		.amdhsa_user_sgpr_dispatch_id 0
		.amdhsa_user_sgpr_flat_scratch_init 0
		.amdhsa_user_sgpr_kernarg_preload_length 0
		.amdhsa_user_sgpr_kernarg_preload_offset 0
		.amdhsa_user_sgpr_private_segment_size 0
		.amdhsa_uses_dynamic_stack 0
		.amdhsa_system_sgpr_private_segment_wavefront_offset 0
		.amdhsa_system_sgpr_workgroup_id_x 1
		.amdhsa_system_sgpr_workgroup_id_y 0
		.amdhsa_system_sgpr_workgroup_id_z 0
		.amdhsa_system_sgpr_workgroup_info 0
		.amdhsa_system_vgpr_workitem_id 0
		.amdhsa_next_free_vgpr 1
		.amdhsa_next_free_sgpr 0
		.amdhsa_accum_offset 4
		.amdhsa_reserve_vcc 0
		.amdhsa_reserve_flat_scratch 0
		.amdhsa_float_round_mode_32 0
		.amdhsa_float_round_mode_16_64 0
		.amdhsa_float_denorm_mode_32 3
		.amdhsa_float_denorm_mode_16_64 3
		.amdhsa_dx10_clamp 1
		.amdhsa_ieee_mode 1
		.amdhsa_fp16_overflow 0
		.amdhsa_tg_split 0
		.amdhsa_exception_fp_ieee_invalid_op 0
		.amdhsa_exception_fp_denorm_src 0
		.amdhsa_exception_fp_ieee_div_zero 0
		.amdhsa_exception_fp_ieee_overflow 0
		.amdhsa_exception_fp_ieee_underflow 0
		.amdhsa_exception_fp_ieee_inexact 0
		.amdhsa_exception_int_div_zero 0
	.end_amdhsa_kernel
	.section	.text._ZN7rocprim17ROCPRIM_400000_NS6detail17trampoline_kernelINS0_13kernel_configILj256ELj4ELj4294967295EEENS1_37radix_sort_block_sort_config_selectorIaNS0_10empty_typeEEEZNS1_21radix_sort_block_sortIS4_Lb0EPaS9_PS6_SA_NS0_19identity_decomposerEEE10hipError_tT1_T2_T3_T4_jRjT5_jjP12ihipStream_tbEUlT_E_NS1_11comp_targetILNS1_3genE10ELNS1_11target_archE1201ELNS1_3gpuE5ELNS1_3repE0EEENS1_44radix_sort_block_sort_config_static_selectorELNS0_4arch9wavefront6targetE1EEEvSD_,"axG",@progbits,_ZN7rocprim17ROCPRIM_400000_NS6detail17trampoline_kernelINS0_13kernel_configILj256ELj4ELj4294967295EEENS1_37radix_sort_block_sort_config_selectorIaNS0_10empty_typeEEEZNS1_21radix_sort_block_sortIS4_Lb0EPaS9_PS6_SA_NS0_19identity_decomposerEEE10hipError_tT1_T2_T3_T4_jRjT5_jjP12ihipStream_tbEUlT_E_NS1_11comp_targetILNS1_3genE10ELNS1_11target_archE1201ELNS1_3gpuE5ELNS1_3repE0EEENS1_44radix_sort_block_sort_config_static_selectorELNS0_4arch9wavefront6targetE1EEEvSD_,comdat
.Lfunc_end123:
	.size	_ZN7rocprim17ROCPRIM_400000_NS6detail17trampoline_kernelINS0_13kernel_configILj256ELj4ELj4294967295EEENS1_37radix_sort_block_sort_config_selectorIaNS0_10empty_typeEEEZNS1_21radix_sort_block_sortIS4_Lb0EPaS9_PS6_SA_NS0_19identity_decomposerEEE10hipError_tT1_T2_T3_T4_jRjT5_jjP12ihipStream_tbEUlT_E_NS1_11comp_targetILNS1_3genE10ELNS1_11target_archE1201ELNS1_3gpuE5ELNS1_3repE0EEENS1_44radix_sort_block_sort_config_static_selectorELNS0_4arch9wavefront6targetE1EEEvSD_, .Lfunc_end123-_ZN7rocprim17ROCPRIM_400000_NS6detail17trampoline_kernelINS0_13kernel_configILj256ELj4ELj4294967295EEENS1_37radix_sort_block_sort_config_selectorIaNS0_10empty_typeEEEZNS1_21radix_sort_block_sortIS4_Lb0EPaS9_PS6_SA_NS0_19identity_decomposerEEE10hipError_tT1_T2_T3_T4_jRjT5_jjP12ihipStream_tbEUlT_E_NS1_11comp_targetILNS1_3genE10ELNS1_11target_archE1201ELNS1_3gpuE5ELNS1_3repE0EEENS1_44radix_sort_block_sort_config_static_selectorELNS0_4arch9wavefront6targetE1EEEvSD_
                                        ; -- End function
	.section	.AMDGPU.csdata,"",@progbits
; Kernel info:
; codeLenInByte = 0
; NumSgprs: 4
; NumVgprs: 0
; NumAgprs: 0
; TotalNumVgprs: 0
; ScratchSize: 0
; MemoryBound: 0
; FloatMode: 240
; IeeeMode: 1
; LDSByteSize: 0 bytes/workgroup (compile time only)
; SGPRBlocks: 0
; VGPRBlocks: 0
; NumSGPRsForWavesPerEU: 4
; NumVGPRsForWavesPerEU: 1
; AccumOffset: 4
; Occupancy: 8
; WaveLimiterHint : 0
; COMPUTE_PGM_RSRC2:SCRATCH_EN: 0
; COMPUTE_PGM_RSRC2:USER_SGPR: 6
; COMPUTE_PGM_RSRC2:TRAP_HANDLER: 0
; COMPUTE_PGM_RSRC2:TGID_X_EN: 1
; COMPUTE_PGM_RSRC2:TGID_Y_EN: 0
; COMPUTE_PGM_RSRC2:TGID_Z_EN: 0
; COMPUTE_PGM_RSRC2:TIDIG_COMP_CNT: 0
; COMPUTE_PGM_RSRC3_GFX90A:ACCUM_OFFSET: 0
; COMPUTE_PGM_RSRC3_GFX90A:TG_SPLIT: 0
	.section	.text._ZN7rocprim17ROCPRIM_400000_NS6detail17trampoline_kernelINS0_13kernel_configILj256ELj4ELj4294967295EEENS1_37radix_sort_block_sort_config_selectorIaNS0_10empty_typeEEEZNS1_21radix_sort_block_sortIS4_Lb0EPaS9_PS6_SA_NS0_19identity_decomposerEEE10hipError_tT1_T2_T3_T4_jRjT5_jjP12ihipStream_tbEUlT_E_NS1_11comp_targetILNS1_3genE10ELNS1_11target_archE1200ELNS1_3gpuE4ELNS1_3repE0EEENS1_44radix_sort_block_sort_config_static_selectorELNS0_4arch9wavefront6targetE1EEEvSD_,"axG",@progbits,_ZN7rocprim17ROCPRIM_400000_NS6detail17trampoline_kernelINS0_13kernel_configILj256ELj4ELj4294967295EEENS1_37radix_sort_block_sort_config_selectorIaNS0_10empty_typeEEEZNS1_21radix_sort_block_sortIS4_Lb0EPaS9_PS6_SA_NS0_19identity_decomposerEEE10hipError_tT1_T2_T3_T4_jRjT5_jjP12ihipStream_tbEUlT_E_NS1_11comp_targetILNS1_3genE10ELNS1_11target_archE1200ELNS1_3gpuE4ELNS1_3repE0EEENS1_44radix_sort_block_sort_config_static_selectorELNS0_4arch9wavefront6targetE1EEEvSD_,comdat
	.protected	_ZN7rocprim17ROCPRIM_400000_NS6detail17trampoline_kernelINS0_13kernel_configILj256ELj4ELj4294967295EEENS1_37radix_sort_block_sort_config_selectorIaNS0_10empty_typeEEEZNS1_21radix_sort_block_sortIS4_Lb0EPaS9_PS6_SA_NS0_19identity_decomposerEEE10hipError_tT1_T2_T3_T4_jRjT5_jjP12ihipStream_tbEUlT_E_NS1_11comp_targetILNS1_3genE10ELNS1_11target_archE1200ELNS1_3gpuE4ELNS1_3repE0EEENS1_44radix_sort_block_sort_config_static_selectorELNS0_4arch9wavefront6targetE1EEEvSD_ ; -- Begin function _ZN7rocprim17ROCPRIM_400000_NS6detail17trampoline_kernelINS0_13kernel_configILj256ELj4ELj4294967295EEENS1_37radix_sort_block_sort_config_selectorIaNS0_10empty_typeEEEZNS1_21radix_sort_block_sortIS4_Lb0EPaS9_PS6_SA_NS0_19identity_decomposerEEE10hipError_tT1_T2_T3_T4_jRjT5_jjP12ihipStream_tbEUlT_E_NS1_11comp_targetILNS1_3genE10ELNS1_11target_archE1200ELNS1_3gpuE4ELNS1_3repE0EEENS1_44radix_sort_block_sort_config_static_selectorELNS0_4arch9wavefront6targetE1EEEvSD_
	.globl	_ZN7rocprim17ROCPRIM_400000_NS6detail17trampoline_kernelINS0_13kernel_configILj256ELj4ELj4294967295EEENS1_37radix_sort_block_sort_config_selectorIaNS0_10empty_typeEEEZNS1_21radix_sort_block_sortIS4_Lb0EPaS9_PS6_SA_NS0_19identity_decomposerEEE10hipError_tT1_T2_T3_T4_jRjT5_jjP12ihipStream_tbEUlT_E_NS1_11comp_targetILNS1_3genE10ELNS1_11target_archE1200ELNS1_3gpuE4ELNS1_3repE0EEENS1_44radix_sort_block_sort_config_static_selectorELNS0_4arch9wavefront6targetE1EEEvSD_
	.p2align	8
	.type	_ZN7rocprim17ROCPRIM_400000_NS6detail17trampoline_kernelINS0_13kernel_configILj256ELj4ELj4294967295EEENS1_37radix_sort_block_sort_config_selectorIaNS0_10empty_typeEEEZNS1_21radix_sort_block_sortIS4_Lb0EPaS9_PS6_SA_NS0_19identity_decomposerEEE10hipError_tT1_T2_T3_T4_jRjT5_jjP12ihipStream_tbEUlT_E_NS1_11comp_targetILNS1_3genE10ELNS1_11target_archE1200ELNS1_3gpuE4ELNS1_3repE0EEENS1_44radix_sort_block_sort_config_static_selectorELNS0_4arch9wavefront6targetE1EEEvSD_,@function
_ZN7rocprim17ROCPRIM_400000_NS6detail17trampoline_kernelINS0_13kernel_configILj256ELj4ELj4294967295EEENS1_37radix_sort_block_sort_config_selectorIaNS0_10empty_typeEEEZNS1_21radix_sort_block_sortIS4_Lb0EPaS9_PS6_SA_NS0_19identity_decomposerEEE10hipError_tT1_T2_T3_T4_jRjT5_jjP12ihipStream_tbEUlT_E_NS1_11comp_targetILNS1_3genE10ELNS1_11target_archE1200ELNS1_3gpuE4ELNS1_3repE0EEENS1_44radix_sort_block_sort_config_static_selectorELNS0_4arch9wavefront6targetE1EEEvSD_: ; @_ZN7rocprim17ROCPRIM_400000_NS6detail17trampoline_kernelINS0_13kernel_configILj256ELj4ELj4294967295EEENS1_37radix_sort_block_sort_config_selectorIaNS0_10empty_typeEEEZNS1_21radix_sort_block_sortIS4_Lb0EPaS9_PS6_SA_NS0_19identity_decomposerEEE10hipError_tT1_T2_T3_T4_jRjT5_jjP12ihipStream_tbEUlT_E_NS1_11comp_targetILNS1_3genE10ELNS1_11target_archE1200ELNS1_3gpuE4ELNS1_3repE0EEENS1_44radix_sort_block_sort_config_static_selectorELNS0_4arch9wavefront6targetE1EEEvSD_
; %bb.0:
	.section	.rodata,"a",@progbits
	.p2align	6, 0x0
	.amdhsa_kernel _ZN7rocprim17ROCPRIM_400000_NS6detail17trampoline_kernelINS0_13kernel_configILj256ELj4ELj4294967295EEENS1_37radix_sort_block_sort_config_selectorIaNS0_10empty_typeEEEZNS1_21radix_sort_block_sortIS4_Lb0EPaS9_PS6_SA_NS0_19identity_decomposerEEE10hipError_tT1_T2_T3_T4_jRjT5_jjP12ihipStream_tbEUlT_E_NS1_11comp_targetILNS1_3genE10ELNS1_11target_archE1200ELNS1_3gpuE4ELNS1_3repE0EEENS1_44radix_sort_block_sort_config_static_selectorELNS0_4arch9wavefront6targetE1EEEvSD_
		.amdhsa_group_segment_fixed_size 0
		.amdhsa_private_segment_fixed_size 0
		.amdhsa_kernarg_size 48
		.amdhsa_user_sgpr_count 6
		.amdhsa_user_sgpr_private_segment_buffer 1
		.amdhsa_user_sgpr_dispatch_ptr 0
		.amdhsa_user_sgpr_queue_ptr 0
		.amdhsa_user_sgpr_kernarg_segment_ptr 1
		.amdhsa_user_sgpr_dispatch_id 0
		.amdhsa_user_sgpr_flat_scratch_init 0
		.amdhsa_user_sgpr_kernarg_preload_length 0
		.amdhsa_user_sgpr_kernarg_preload_offset 0
		.amdhsa_user_sgpr_private_segment_size 0
		.amdhsa_uses_dynamic_stack 0
		.amdhsa_system_sgpr_private_segment_wavefront_offset 0
		.amdhsa_system_sgpr_workgroup_id_x 1
		.amdhsa_system_sgpr_workgroup_id_y 0
		.amdhsa_system_sgpr_workgroup_id_z 0
		.amdhsa_system_sgpr_workgroup_info 0
		.amdhsa_system_vgpr_workitem_id 0
		.amdhsa_next_free_vgpr 1
		.amdhsa_next_free_sgpr 0
		.amdhsa_accum_offset 4
		.amdhsa_reserve_vcc 0
		.amdhsa_reserve_flat_scratch 0
		.amdhsa_float_round_mode_32 0
		.amdhsa_float_round_mode_16_64 0
		.amdhsa_float_denorm_mode_32 3
		.amdhsa_float_denorm_mode_16_64 3
		.amdhsa_dx10_clamp 1
		.amdhsa_ieee_mode 1
		.amdhsa_fp16_overflow 0
		.amdhsa_tg_split 0
		.amdhsa_exception_fp_ieee_invalid_op 0
		.amdhsa_exception_fp_denorm_src 0
		.amdhsa_exception_fp_ieee_div_zero 0
		.amdhsa_exception_fp_ieee_overflow 0
		.amdhsa_exception_fp_ieee_underflow 0
		.amdhsa_exception_fp_ieee_inexact 0
		.amdhsa_exception_int_div_zero 0
	.end_amdhsa_kernel
	.section	.text._ZN7rocprim17ROCPRIM_400000_NS6detail17trampoline_kernelINS0_13kernel_configILj256ELj4ELj4294967295EEENS1_37radix_sort_block_sort_config_selectorIaNS0_10empty_typeEEEZNS1_21radix_sort_block_sortIS4_Lb0EPaS9_PS6_SA_NS0_19identity_decomposerEEE10hipError_tT1_T2_T3_T4_jRjT5_jjP12ihipStream_tbEUlT_E_NS1_11comp_targetILNS1_3genE10ELNS1_11target_archE1200ELNS1_3gpuE4ELNS1_3repE0EEENS1_44radix_sort_block_sort_config_static_selectorELNS0_4arch9wavefront6targetE1EEEvSD_,"axG",@progbits,_ZN7rocprim17ROCPRIM_400000_NS6detail17trampoline_kernelINS0_13kernel_configILj256ELj4ELj4294967295EEENS1_37radix_sort_block_sort_config_selectorIaNS0_10empty_typeEEEZNS1_21radix_sort_block_sortIS4_Lb0EPaS9_PS6_SA_NS0_19identity_decomposerEEE10hipError_tT1_T2_T3_T4_jRjT5_jjP12ihipStream_tbEUlT_E_NS1_11comp_targetILNS1_3genE10ELNS1_11target_archE1200ELNS1_3gpuE4ELNS1_3repE0EEENS1_44radix_sort_block_sort_config_static_selectorELNS0_4arch9wavefront6targetE1EEEvSD_,comdat
.Lfunc_end124:
	.size	_ZN7rocprim17ROCPRIM_400000_NS6detail17trampoline_kernelINS0_13kernel_configILj256ELj4ELj4294967295EEENS1_37radix_sort_block_sort_config_selectorIaNS0_10empty_typeEEEZNS1_21radix_sort_block_sortIS4_Lb0EPaS9_PS6_SA_NS0_19identity_decomposerEEE10hipError_tT1_T2_T3_T4_jRjT5_jjP12ihipStream_tbEUlT_E_NS1_11comp_targetILNS1_3genE10ELNS1_11target_archE1200ELNS1_3gpuE4ELNS1_3repE0EEENS1_44radix_sort_block_sort_config_static_selectorELNS0_4arch9wavefront6targetE1EEEvSD_, .Lfunc_end124-_ZN7rocprim17ROCPRIM_400000_NS6detail17trampoline_kernelINS0_13kernel_configILj256ELj4ELj4294967295EEENS1_37radix_sort_block_sort_config_selectorIaNS0_10empty_typeEEEZNS1_21radix_sort_block_sortIS4_Lb0EPaS9_PS6_SA_NS0_19identity_decomposerEEE10hipError_tT1_T2_T3_T4_jRjT5_jjP12ihipStream_tbEUlT_E_NS1_11comp_targetILNS1_3genE10ELNS1_11target_archE1200ELNS1_3gpuE4ELNS1_3repE0EEENS1_44radix_sort_block_sort_config_static_selectorELNS0_4arch9wavefront6targetE1EEEvSD_
                                        ; -- End function
	.section	.AMDGPU.csdata,"",@progbits
; Kernel info:
; codeLenInByte = 0
; NumSgprs: 4
; NumVgprs: 0
; NumAgprs: 0
; TotalNumVgprs: 0
; ScratchSize: 0
; MemoryBound: 0
; FloatMode: 240
; IeeeMode: 1
; LDSByteSize: 0 bytes/workgroup (compile time only)
; SGPRBlocks: 0
; VGPRBlocks: 0
; NumSGPRsForWavesPerEU: 4
; NumVGPRsForWavesPerEU: 1
; AccumOffset: 4
; Occupancy: 8
; WaveLimiterHint : 0
; COMPUTE_PGM_RSRC2:SCRATCH_EN: 0
; COMPUTE_PGM_RSRC2:USER_SGPR: 6
; COMPUTE_PGM_RSRC2:TRAP_HANDLER: 0
; COMPUTE_PGM_RSRC2:TGID_X_EN: 1
; COMPUTE_PGM_RSRC2:TGID_Y_EN: 0
; COMPUTE_PGM_RSRC2:TGID_Z_EN: 0
; COMPUTE_PGM_RSRC2:TIDIG_COMP_CNT: 0
; COMPUTE_PGM_RSRC3_GFX90A:ACCUM_OFFSET: 0
; COMPUTE_PGM_RSRC3_GFX90A:TG_SPLIT: 0
	.section	.text._ZN7rocprim17ROCPRIM_400000_NS6detail17trampoline_kernelINS0_13kernel_configILj256ELj4ELj4294967295EEENS1_37radix_sort_block_sort_config_selectorIaNS0_10empty_typeEEEZNS1_21radix_sort_block_sortIS4_Lb0EPaS9_PS6_SA_NS0_19identity_decomposerEEE10hipError_tT1_T2_T3_T4_jRjT5_jjP12ihipStream_tbEUlT_E_NS1_11comp_targetILNS1_3genE9ELNS1_11target_archE1100ELNS1_3gpuE3ELNS1_3repE0EEENS1_44radix_sort_block_sort_config_static_selectorELNS0_4arch9wavefront6targetE1EEEvSD_,"axG",@progbits,_ZN7rocprim17ROCPRIM_400000_NS6detail17trampoline_kernelINS0_13kernel_configILj256ELj4ELj4294967295EEENS1_37radix_sort_block_sort_config_selectorIaNS0_10empty_typeEEEZNS1_21radix_sort_block_sortIS4_Lb0EPaS9_PS6_SA_NS0_19identity_decomposerEEE10hipError_tT1_T2_T3_T4_jRjT5_jjP12ihipStream_tbEUlT_E_NS1_11comp_targetILNS1_3genE9ELNS1_11target_archE1100ELNS1_3gpuE3ELNS1_3repE0EEENS1_44radix_sort_block_sort_config_static_selectorELNS0_4arch9wavefront6targetE1EEEvSD_,comdat
	.protected	_ZN7rocprim17ROCPRIM_400000_NS6detail17trampoline_kernelINS0_13kernel_configILj256ELj4ELj4294967295EEENS1_37radix_sort_block_sort_config_selectorIaNS0_10empty_typeEEEZNS1_21radix_sort_block_sortIS4_Lb0EPaS9_PS6_SA_NS0_19identity_decomposerEEE10hipError_tT1_T2_T3_T4_jRjT5_jjP12ihipStream_tbEUlT_E_NS1_11comp_targetILNS1_3genE9ELNS1_11target_archE1100ELNS1_3gpuE3ELNS1_3repE0EEENS1_44radix_sort_block_sort_config_static_selectorELNS0_4arch9wavefront6targetE1EEEvSD_ ; -- Begin function _ZN7rocprim17ROCPRIM_400000_NS6detail17trampoline_kernelINS0_13kernel_configILj256ELj4ELj4294967295EEENS1_37radix_sort_block_sort_config_selectorIaNS0_10empty_typeEEEZNS1_21radix_sort_block_sortIS4_Lb0EPaS9_PS6_SA_NS0_19identity_decomposerEEE10hipError_tT1_T2_T3_T4_jRjT5_jjP12ihipStream_tbEUlT_E_NS1_11comp_targetILNS1_3genE9ELNS1_11target_archE1100ELNS1_3gpuE3ELNS1_3repE0EEENS1_44radix_sort_block_sort_config_static_selectorELNS0_4arch9wavefront6targetE1EEEvSD_
	.globl	_ZN7rocprim17ROCPRIM_400000_NS6detail17trampoline_kernelINS0_13kernel_configILj256ELj4ELj4294967295EEENS1_37radix_sort_block_sort_config_selectorIaNS0_10empty_typeEEEZNS1_21radix_sort_block_sortIS4_Lb0EPaS9_PS6_SA_NS0_19identity_decomposerEEE10hipError_tT1_T2_T3_T4_jRjT5_jjP12ihipStream_tbEUlT_E_NS1_11comp_targetILNS1_3genE9ELNS1_11target_archE1100ELNS1_3gpuE3ELNS1_3repE0EEENS1_44radix_sort_block_sort_config_static_selectorELNS0_4arch9wavefront6targetE1EEEvSD_
	.p2align	8
	.type	_ZN7rocprim17ROCPRIM_400000_NS6detail17trampoline_kernelINS0_13kernel_configILj256ELj4ELj4294967295EEENS1_37radix_sort_block_sort_config_selectorIaNS0_10empty_typeEEEZNS1_21radix_sort_block_sortIS4_Lb0EPaS9_PS6_SA_NS0_19identity_decomposerEEE10hipError_tT1_T2_T3_T4_jRjT5_jjP12ihipStream_tbEUlT_E_NS1_11comp_targetILNS1_3genE9ELNS1_11target_archE1100ELNS1_3gpuE3ELNS1_3repE0EEENS1_44radix_sort_block_sort_config_static_selectorELNS0_4arch9wavefront6targetE1EEEvSD_,@function
_ZN7rocprim17ROCPRIM_400000_NS6detail17trampoline_kernelINS0_13kernel_configILj256ELj4ELj4294967295EEENS1_37radix_sort_block_sort_config_selectorIaNS0_10empty_typeEEEZNS1_21radix_sort_block_sortIS4_Lb0EPaS9_PS6_SA_NS0_19identity_decomposerEEE10hipError_tT1_T2_T3_T4_jRjT5_jjP12ihipStream_tbEUlT_E_NS1_11comp_targetILNS1_3genE9ELNS1_11target_archE1100ELNS1_3gpuE3ELNS1_3repE0EEENS1_44radix_sort_block_sort_config_static_selectorELNS0_4arch9wavefront6targetE1EEEvSD_: ; @_ZN7rocprim17ROCPRIM_400000_NS6detail17trampoline_kernelINS0_13kernel_configILj256ELj4ELj4294967295EEENS1_37radix_sort_block_sort_config_selectorIaNS0_10empty_typeEEEZNS1_21radix_sort_block_sortIS4_Lb0EPaS9_PS6_SA_NS0_19identity_decomposerEEE10hipError_tT1_T2_T3_T4_jRjT5_jjP12ihipStream_tbEUlT_E_NS1_11comp_targetILNS1_3genE9ELNS1_11target_archE1100ELNS1_3gpuE3ELNS1_3repE0EEENS1_44radix_sort_block_sort_config_static_selectorELNS0_4arch9wavefront6targetE1EEEvSD_
; %bb.0:
	.section	.rodata,"a",@progbits
	.p2align	6, 0x0
	.amdhsa_kernel _ZN7rocprim17ROCPRIM_400000_NS6detail17trampoline_kernelINS0_13kernel_configILj256ELj4ELj4294967295EEENS1_37radix_sort_block_sort_config_selectorIaNS0_10empty_typeEEEZNS1_21radix_sort_block_sortIS4_Lb0EPaS9_PS6_SA_NS0_19identity_decomposerEEE10hipError_tT1_T2_T3_T4_jRjT5_jjP12ihipStream_tbEUlT_E_NS1_11comp_targetILNS1_3genE9ELNS1_11target_archE1100ELNS1_3gpuE3ELNS1_3repE0EEENS1_44radix_sort_block_sort_config_static_selectorELNS0_4arch9wavefront6targetE1EEEvSD_
		.amdhsa_group_segment_fixed_size 0
		.amdhsa_private_segment_fixed_size 0
		.amdhsa_kernarg_size 48
		.amdhsa_user_sgpr_count 6
		.amdhsa_user_sgpr_private_segment_buffer 1
		.amdhsa_user_sgpr_dispatch_ptr 0
		.amdhsa_user_sgpr_queue_ptr 0
		.amdhsa_user_sgpr_kernarg_segment_ptr 1
		.amdhsa_user_sgpr_dispatch_id 0
		.amdhsa_user_sgpr_flat_scratch_init 0
		.amdhsa_user_sgpr_kernarg_preload_length 0
		.amdhsa_user_sgpr_kernarg_preload_offset 0
		.amdhsa_user_sgpr_private_segment_size 0
		.amdhsa_uses_dynamic_stack 0
		.amdhsa_system_sgpr_private_segment_wavefront_offset 0
		.amdhsa_system_sgpr_workgroup_id_x 1
		.amdhsa_system_sgpr_workgroup_id_y 0
		.amdhsa_system_sgpr_workgroup_id_z 0
		.amdhsa_system_sgpr_workgroup_info 0
		.amdhsa_system_vgpr_workitem_id 0
		.amdhsa_next_free_vgpr 1
		.amdhsa_next_free_sgpr 0
		.amdhsa_accum_offset 4
		.amdhsa_reserve_vcc 0
		.amdhsa_reserve_flat_scratch 0
		.amdhsa_float_round_mode_32 0
		.amdhsa_float_round_mode_16_64 0
		.amdhsa_float_denorm_mode_32 3
		.amdhsa_float_denorm_mode_16_64 3
		.amdhsa_dx10_clamp 1
		.amdhsa_ieee_mode 1
		.amdhsa_fp16_overflow 0
		.amdhsa_tg_split 0
		.amdhsa_exception_fp_ieee_invalid_op 0
		.amdhsa_exception_fp_denorm_src 0
		.amdhsa_exception_fp_ieee_div_zero 0
		.amdhsa_exception_fp_ieee_overflow 0
		.amdhsa_exception_fp_ieee_underflow 0
		.amdhsa_exception_fp_ieee_inexact 0
		.amdhsa_exception_int_div_zero 0
	.end_amdhsa_kernel
	.section	.text._ZN7rocprim17ROCPRIM_400000_NS6detail17trampoline_kernelINS0_13kernel_configILj256ELj4ELj4294967295EEENS1_37radix_sort_block_sort_config_selectorIaNS0_10empty_typeEEEZNS1_21radix_sort_block_sortIS4_Lb0EPaS9_PS6_SA_NS0_19identity_decomposerEEE10hipError_tT1_T2_T3_T4_jRjT5_jjP12ihipStream_tbEUlT_E_NS1_11comp_targetILNS1_3genE9ELNS1_11target_archE1100ELNS1_3gpuE3ELNS1_3repE0EEENS1_44radix_sort_block_sort_config_static_selectorELNS0_4arch9wavefront6targetE1EEEvSD_,"axG",@progbits,_ZN7rocprim17ROCPRIM_400000_NS6detail17trampoline_kernelINS0_13kernel_configILj256ELj4ELj4294967295EEENS1_37radix_sort_block_sort_config_selectorIaNS0_10empty_typeEEEZNS1_21radix_sort_block_sortIS4_Lb0EPaS9_PS6_SA_NS0_19identity_decomposerEEE10hipError_tT1_T2_T3_T4_jRjT5_jjP12ihipStream_tbEUlT_E_NS1_11comp_targetILNS1_3genE9ELNS1_11target_archE1100ELNS1_3gpuE3ELNS1_3repE0EEENS1_44radix_sort_block_sort_config_static_selectorELNS0_4arch9wavefront6targetE1EEEvSD_,comdat
.Lfunc_end125:
	.size	_ZN7rocprim17ROCPRIM_400000_NS6detail17trampoline_kernelINS0_13kernel_configILj256ELj4ELj4294967295EEENS1_37radix_sort_block_sort_config_selectorIaNS0_10empty_typeEEEZNS1_21radix_sort_block_sortIS4_Lb0EPaS9_PS6_SA_NS0_19identity_decomposerEEE10hipError_tT1_T2_T3_T4_jRjT5_jjP12ihipStream_tbEUlT_E_NS1_11comp_targetILNS1_3genE9ELNS1_11target_archE1100ELNS1_3gpuE3ELNS1_3repE0EEENS1_44radix_sort_block_sort_config_static_selectorELNS0_4arch9wavefront6targetE1EEEvSD_, .Lfunc_end125-_ZN7rocprim17ROCPRIM_400000_NS6detail17trampoline_kernelINS0_13kernel_configILj256ELj4ELj4294967295EEENS1_37radix_sort_block_sort_config_selectorIaNS0_10empty_typeEEEZNS1_21radix_sort_block_sortIS4_Lb0EPaS9_PS6_SA_NS0_19identity_decomposerEEE10hipError_tT1_T2_T3_T4_jRjT5_jjP12ihipStream_tbEUlT_E_NS1_11comp_targetILNS1_3genE9ELNS1_11target_archE1100ELNS1_3gpuE3ELNS1_3repE0EEENS1_44radix_sort_block_sort_config_static_selectorELNS0_4arch9wavefront6targetE1EEEvSD_
                                        ; -- End function
	.section	.AMDGPU.csdata,"",@progbits
; Kernel info:
; codeLenInByte = 0
; NumSgprs: 4
; NumVgprs: 0
; NumAgprs: 0
; TotalNumVgprs: 0
; ScratchSize: 0
; MemoryBound: 0
; FloatMode: 240
; IeeeMode: 1
; LDSByteSize: 0 bytes/workgroup (compile time only)
; SGPRBlocks: 0
; VGPRBlocks: 0
; NumSGPRsForWavesPerEU: 4
; NumVGPRsForWavesPerEU: 1
; AccumOffset: 4
; Occupancy: 8
; WaveLimiterHint : 0
; COMPUTE_PGM_RSRC2:SCRATCH_EN: 0
; COMPUTE_PGM_RSRC2:USER_SGPR: 6
; COMPUTE_PGM_RSRC2:TRAP_HANDLER: 0
; COMPUTE_PGM_RSRC2:TGID_X_EN: 1
; COMPUTE_PGM_RSRC2:TGID_Y_EN: 0
; COMPUTE_PGM_RSRC2:TGID_Z_EN: 0
; COMPUTE_PGM_RSRC2:TIDIG_COMP_CNT: 0
; COMPUTE_PGM_RSRC3_GFX90A:ACCUM_OFFSET: 0
; COMPUTE_PGM_RSRC3_GFX90A:TG_SPLIT: 0
	.section	.text._ZN7rocprim17ROCPRIM_400000_NS6detail17trampoline_kernelINS0_13kernel_configILj256ELj4ELj4294967295EEENS1_37radix_sort_block_sort_config_selectorIaNS0_10empty_typeEEEZNS1_21radix_sort_block_sortIS4_Lb0EPaS9_PS6_SA_NS0_19identity_decomposerEEE10hipError_tT1_T2_T3_T4_jRjT5_jjP12ihipStream_tbEUlT_E_NS1_11comp_targetILNS1_3genE8ELNS1_11target_archE1030ELNS1_3gpuE2ELNS1_3repE0EEENS1_44radix_sort_block_sort_config_static_selectorELNS0_4arch9wavefront6targetE1EEEvSD_,"axG",@progbits,_ZN7rocprim17ROCPRIM_400000_NS6detail17trampoline_kernelINS0_13kernel_configILj256ELj4ELj4294967295EEENS1_37radix_sort_block_sort_config_selectorIaNS0_10empty_typeEEEZNS1_21radix_sort_block_sortIS4_Lb0EPaS9_PS6_SA_NS0_19identity_decomposerEEE10hipError_tT1_T2_T3_T4_jRjT5_jjP12ihipStream_tbEUlT_E_NS1_11comp_targetILNS1_3genE8ELNS1_11target_archE1030ELNS1_3gpuE2ELNS1_3repE0EEENS1_44radix_sort_block_sort_config_static_selectorELNS0_4arch9wavefront6targetE1EEEvSD_,comdat
	.protected	_ZN7rocprim17ROCPRIM_400000_NS6detail17trampoline_kernelINS0_13kernel_configILj256ELj4ELj4294967295EEENS1_37radix_sort_block_sort_config_selectorIaNS0_10empty_typeEEEZNS1_21radix_sort_block_sortIS4_Lb0EPaS9_PS6_SA_NS0_19identity_decomposerEEE10hipError_tT1_T2_T3_T4_jRjT5_jjP12ihipStream_tbEUlT_E_NS1_11comp_targetILNS1_3genE8ELNS1_11target_archE1030ELNS1_3gpuE2ELNS1_3repE0EEENS1_44radix_sort_block_sort_config_static_selectorELNS0_4arch9wavefront6targetE1EEEvSD_ ; -- Begin function _ZN7rocprim17ROCPRIM_400000_NS6detail17trampoline_kernelINS0_13kernel_configILj256ELj4ELj4294967295EEENS1_37radix_sort_block_sort_config_selectorIaNS0_10empty_typeEEEZNS1_21radix_sort_block_sortIS4_Lb0EPaS9_PS6_SA_NS0_19identity_decomposerEEE10hipError_tT1_T2_T3_T4_jRjT5_jjP12ihipStream_tbEUlT_E_NS1_11comp_targetILNS1_3genE8ELNS1_11target_archE1030ELNS1_3gpuE2ELNS1_3repE0EEENS1_44radix_sort_block_sort_config_static_selectorELNS0_4arch9wavefront6targetE1EEEvSD_
	.globl	_ZN7rocprim17ROCPRIM_400000_NS6detail17trampoline_kernelINS0_13kernel_configILj256ELj4ELj4294967295EEENS1_37radix_sort_block_sort_config_selectorIaNS0_10empty_typeEEEZNS1_21radix_sort_block_sortIS4_Lb0EPaS9_PS6_SA_NS0_19identity_decomposerEEE10hipError_tT1_T2_T3_T4_jRjT5_jjP12ihipStream_tbEUlT_E_NS1_11comp_targetILNS1_3genE8ELNS1_11target_archE1030ELNS1_3gpuE2ELNS1_3repE0EEENS1_44radix_sort_block_sort_config_static_selectorELNS0_4arch9wavefront6targetE1EEEvSD_
	.p2align	8
	.type	_ZN7rocprim17ROCPRIM_400000_NS6detail17trampoline_kernelINS0_13kernel_configILj256ELj4ELj4294967295EEENS1_37radix_sort_block_sort_config_selectorIaNS0_10empty_typeEEEZNS1_21radix_sort_block_sortIS4_Lb0EPaS9_PS6_SA_NS0_19identity_decomposerEEE10hipError_tT1_T2_T3_T4_jRjT5_jjP12ihipStream_tbEUlT_E_NS1_11comp_targetILNS1_3genE8ELNS1_11target_archE1030ELNS1_3gpuE2ELNS1_3repE0EEENS1_44radix_sort_block_sort_config_static_selectorELNS0_4arch9wavefront6targetE1EEEvSD_,@function
_ZN7rocprim17ROCPRIM_400000_NS6detail17trampoline_kernelINS0_13kernel_configILj256ELj4ELj4294967295EEENS1_37radix_sort_block_sort_config_selectorIaNS0_10empty_typeEEEZNS1_21radix_sort_block_sortIS4_Lb0EPaS9_PS6_SA_NS0_19identity_decomposerEEE10hipError_tT1_T2_T3_T4_jRjT5_jjP12ihipStream_tbEUlT_E_NS1_11comp_targetILNS1_3genE8ELNS1_11target_archE1030ELNS1_3gpuE2ELNS1_3repE0EEENS1_44radix_sort_block_sort_config_static_selectorELNS0_4arch9wavefront6targetE1EEEvSD_: ; @_ZN7rocprim17ROCPRIM_400000_NS6detail17trampoline_kernelINS0_13kernel_configILj256ELj4ELj4294967295EEENS1_37radix_sort_block_sort_config_selectorIaNS0_10empty_typeEEEZNS1_21radix_sort_block_sortIS4_Lb0EPaS9_PS6_SA_NS0_19identity_decomposerEEE10hipError_tT1_T2_T3_T4_jRjT5_jjP12ihipStream_tbEUlT_E_NS1_11comp_targetILNS1_3genE8ELNS1_11target_archE1030ELNS1_3gpuE2ELNS1_3repE0EEENS1_44radix_sort_block_sort_config_static_selectorELNS0_4arch9wavefront6targetE1EEEvSD_
; %bb.0:
	.section	.rodata,"a",@progbits
	.p2align	6, 0x0
	.amdhsa_kernel _ZN7rocprim17ROCPRIM_400000_NS6detail17trampoline_kernelINS0_13kernel_configILj256ELj4ELj4294967295EEENS1_37radix_sort_block_sort_config_selectorIaNS0_10empty_typeEEEZNS1_21radix_sort_block_sortIS4_Lb0EPaS9_PS6_SA_NS0_19identity_decomposerEEE10hipError_tT1_T2_T3_T4_jRjT5_jjP12ihipStream_tbEUlT_E_NS1_11comp_targetILNS1_3genE8ELNS1_11target_archE1030ELNS1_3gpuE2ELNS1_3repE0EEENS1_44radix_sort_block_sort_config_static_selectorELNS0_4arch9wavefront6targetE1EEEvSD_
		.amdhsa_group_segment_fixed_size 0
		.amdhsa_private_segment_fixed_size 0
		.amdhsa_kernarg_size 48
		.amdhsa_user_sgpr_count 6
		.amdhsa_user_sgpr_private_segment_buffer 1
		.amdhsa_user_sgpr_dispatch_ptr 0
		.amdhsa_user_sgpr_queue_ptr 0
		.amdhsa_user_sgpr_kernarg_segment_ptr 1
		.amdhsa_user_sgpr_dispatch_id 0
		.amdhsa_user_sgpr_flat_scratch_init 0
		.amdhsa_user_sgpr_kernarg_preload_length 0
		.amdhsa_user_sgpr_kernarg_preload_offset 0
		.amdhsa_user_sgpr_private_segment_size 0
		.amdhsa_uses_dynamic_stack 0
		.amdhsa_system_sgpr_private_segment_wavefront_offset 0
		.amdhsa_system_sgpr_workgroup_id_x 1
		.amdhsa_system_sgpr_workgroup_id_y 0
		.amdhsa_system_sgpr_workgroup_id_z 0
		.amdhsa_system_sgpr_workgroup_info 0
		.amdhsa_system_vgpr_workitem_id 0
		.amdhsa_next_free_vgpr 1
		.amdhsa_next_free_sgpr 0
		.amdhsa_accum_offset 4
		.amdhsa_reserve_vcc 0
		.amdhsa_reserve_flat_scratch 0
		.amdhsa_float_round_mode_32 0
		.amdhsa_float_round_mode_16_64 0
		.amdhsa_float_denorm_mode_32 3
		.amdhsa_float_denorm_mode_16_64 3
		.amdhsa_dx10_clamp 1
		.amdhsa_ieee_mode 1
		.amdhsa_fp16_overflow 0
		.amdhsa_tg_split 0
		.amdhsa_exception_fp_ieee_invalid_op 0
		.amdhsa_exception_fp_denorm_src 0
		.amdhsa_exception_fp_ieee_div_zero 0
		.amdhsa_exception_fp_ieee_overflow 0
		.amdhsa_exception_fp_ieee_underflow 0
		.amdhsa_exception_fp_ieee_inexact 0
		.amdhsa_exception_int_div_zero 0
	.end_amdhsa_kernel
	.section	.text._ZN7rocprim17ROCPRIM_400000_NS6detail17trampoline_kernelINS0_13kernel_configILj256ELj4ELj4294967295EEENS1_37radix_sort_block_sort_config_selectorIaNS0_10empty_typeEEEZNS1_21radix_sort_block_sortIS4_Lb0EPaS9_PS6_SA_NS0_19identity_decomposerEEE10hipError_tT1_T2_T3_T4_jRjT5_jjP12ihipStream_tbEUlT_E_NS1_11comp_targetILNS1_3genE8ELNS1_11target_archE1030ELNS1_3gpuE2ELNS1_3repE0EEENS1_44radix_sort_block_sort_config_static_selectorELNS0_4arch9wavefront6targetE1EEEvSD_,"axG",@progbits,_ZN7rocprim17ROCPRIM_400000_NS6detail17trampoline_kernelINS0_13kernel_configILj256ELj4ELj4294967295EEENS1_37radix_sort_block_sort_config_selectorIaNS0_10empty_typeEEEZNS1_21radix_sort_block_sortIS4_Lb0EPaS9_PS6_SA_NS0_19identity_decomposerEEE10hipError_tT1_T2_T3_T4_jRjT5_jjP12ihipStream_tbEUlT_E_NS1_11comp_targetILNS1_3genE8ELNS1_11target_archE1030ELNS1_3gpuE2ELNS1_3repE0EEENS1_44radix_sort_block_sort_config_static_selectorELNS0_4arch9wavefront6targetE1EEEvSD_,comdat
.Lfunc_end126:
	.size	_ZN7rocprim17ROCPRIM_400000_NS6detail17trampoline_kernelINS0_13kernel_configILj256ELj4ELj4294967295EEENS1_37radix_sort_block_sort_config_selectorIaNS0_10empty_typeEEEZNS1_21radix_sort_block_sortIS4_Lb0EPaS9_PS6_SA_NS0_19identity_decomposerEEE10hipError_tT1_T2_T3_T4_jRjT5_jjP12ihipStream_tbEUlT_E_NS1_11comp_targetILNS1_3genE8ELNS1_11target_archE1030ELNS1_3gpuE2ELNS1_3repE0EEENS1_44radix_sort_block_sort_config_static_selectorELNS0_4arch9wavefront6targetE1EEEvSD_, .Lfunc_end126-_ZN7rocprim17ROCPRIM_400000_NS6detail17trampoline_kernelINS0_13kernel_configILj256ELj4ELj4294967295EEENS1_37radix_sort_block_sort_config_selectorIaNS0_10empty_typeEEEZNS1_21radix_sort_block_sortIS4_Lb0EPaS9_PS6_SA_NS0_19identity_decomposerEEE10hipError_tT1_T2_T3_T4_jRjT5_jjP12ihipStream_tbEUlT_E_NS1_11comp_targetILNS1_3genE8ELNS1_11target_archE1030ELNS1_3gpuE2ELNS1_3repE0EEENS1_44radix_sort_block_sort_config_static_selectorELNS0_4arch9wavefront6targetE1EEEvSD_
                                        ; -- End function
	.section	.AMDGPU.csdata,"",@progbits
; Kernel info:
; codeLenInByte = 0
; NumSgprs: 4
; NumVgprs: 0
; NumAgprs: 0
; TotalNumVgprs: 0
; ScratchSize: 0
; MemoryBound: 0
; FloatMode: 240
; IeeeMode: 1
; LDSByteSize: 0 bytes/workgroup (compile time only)
; SGPRBlocks: 0
; VGPRBlocks: 0
; NumSGPRsForWavesPerEU: 4
; NumVGPRsForWavesPerEU: 1
; AccumOffset: 4
; Occupancy: 8
; WaveLimiterHint : 0
; COMPUTE_PGM_RSRC2:SCRATCH_EN: 0
; COMPUTE_PGM_RSRC2:USER_SGPR: 6
; COMPUTE_PGM_RSRC2:TRAP_HANDLER: 0
; COMPUTE_PGM_RSRC2:TGID_X_EN: 1
; COMPUTE_PGM_RSRC2:TGID_Y_EN: 0
; COMPUTE_PGM_RSRC2:TGID_Z_EN: 0
; COMPUTE_PGM_RSRC2:TIDIG_COMP_CNT: 0
; COMPUTE_PGM_RSRC3_GFX90A:ACCUM_OFFSET: 0
; COMPUTE_PGM_RSRC3_GFX90A:TG_SPLIT: 0
	.section	.text._ZN7rocprim17ROCPRIM_400000_NS6detail44device_merge_sort_compile_time_verifier_archINS1_11comp_targetILNS1_3genE0ELNS1_11target_archE4294967295ELNS1_3gpuE0ELNS1_3repE0EEES8_NS1_28merge_sort_block_sort_configILj256ELj4ELNS0_20block_sort_algorithmE0EEENS0_14default_configENS1_37merge_sort_block_sort_config_selectorIaNS0_10empty_typeEEENS1_38merge_sort_block_merge_config_selectorIaSE_EEEEvv,"axG",@progbits,_ZN7rocprim17ROCPRIM_400000_NS6detail44device_merge_sort_compile_time_verifier_archINS1_11comp_targetILNS1_3genE0ELNS1_11target_archE4294967295ELNS1_3gpuE0ELNS1_3repE0EEES8_NS1_28merge_sort_block_sort_configILj256ELj4ELNS0_20block_sort_algorithmE0EEENS0_14default_configENS1_37merge_sort_block_sort_config_selectorIaNS0_10empty_typeEEENS1_38merge_sort_block_merge_config_selectorIaSE_EEEEvv,comdat
	.protected	_ZN7rocprim17ROCPRIM_400000_NS6detail44device_merge_sort_compile_time_verifier_archINS1_11comp_targetILNS1_3genE0ELNS1_11target_archE4294967295ELNS1_3gpuE0ELNS1_3repE0EEES8_NS1_28merge_sort_block_sort_configILj256ELj4ELNS0_20block_sort_algorithmE0EEENS0_14default_configENS1_37merge_sort_block_sort_config_selectorIaNS0_10empty_typeEEENS1_38merge_sort_block_merge_config_selectorIaSE_EEEEvv ; -- Begin function _ZN7rocprim17ROCPRIM_400000_NS6detail44device_merge_sort_compile_time_verifier_archINS1_11comp_targetILNS1_3genE0ELNS1_11target_archE4294967295ELNS1_3gpuE0ELNS1_3repE0EEES8_NS1_28merge_sort_block_sort_configILj256ELj4ELNS0_20block_sort_algorithmE0EEENS0_14default_configENS1_37merge_sort_block_sort_config_selectorIaNS0_10empty_typeEEENS1_38merge_sort_block_merge_config_selectorIaSE_EEEEvv
	.globl	_ZN7rocprim17ROCPRIM_400000_NS6detail44device_merge_sort_compile_time_verifier_archINS1_11comp_targetILNS1_3genE0ELNS1_11target_archE4294967295ELNS1_3gpuE0ELNS1_3repE0EEES8_NS1_28merge_sort_block_sort_configILj256ELj4ELNS0_20block_sort_algorithmE0EEENS0_14default_configENS1_37merge_sort_block_sort_config_selectorIaNS0_10empty_typeEEENS1_38merge_sort_block_merge_config_selectorIaSE_EEEEvv
	.p2align	8
	.type	_ZN7rocprim17ROCPRIM_400000_NS6detail44device_merge_sort_compile_time_verifier_archINS1_11comp_targetILNS1_3genE0ELNS1_11target_archE4294967295ELNS1_3gpuE0ELNS1_3repE0EEES8_NS1_28merge_sort_block_sort_configILj256ELj4ELNS0_20block_sort_algorithmE0EEENS0_14default_configENS1_37merge_sort_block_sort_config_selectorIaNS0_10empty_typeEEENS1_38merge_sort_block_merge_config_selectorIaSE_EEEEvv,@function
_ZN7rocprim17ROCPRIM_400000_NS6detail44device_merge_sort_compile_time_verifier_archINS1_11comp_targetILNS1_3genE0ELNS1_11target_archE4294967295ELNS1_3gpuE0ELNS1_3repE0EEES8_NS1_28merge_sort_block_sort_configILj256ELj4ELNS0_20block_sort_algorithmE0EEENS0_14default_configENS1_37merge_sort_block_sort_config_selectorIaNS0_10empty_typeEEENS1_38merge_sort_block_merge_config_selectorIaSE_EEEEvv: ; @_ZN7rocprim17ROCPRIM_400000_NS6detail44device_merge_sort_compile_time_verifier_archINS1_11comp_targetILNS1_3genE0ELNS1_11target_archE4294967295ELNS1_3gpuE0ELNS1_3repE0EEES8_NS1_28merge_sort_block_sort_configILj256ELj4ELNS0_20block_sort_algorithmE0EEENS0_14default_configENS1_37merge_sort_block_sort_config_selectorIaNS0_10empty_typeEEENS1_38merge_sort_block_merge_config_selectorIaSE_EEEEvv
; %bb.0:
	s_endpgm
	.section	.rodata,"a",@progbits
	.p2align	6, 0x0
	.amdhsa_kernel _ZN7rocprim17ROCPRIM_400000_NS6detail44device_merge_sort_compile_time_verifier_archINS1_11comp_targetILNS1_3genE0ELNS1_11target_archE4294967295ELNS1_3gpuE0ELNS1_3repE0EEES8_NS1_28merge_sort_block_sort_configILj256ELj4ELNS0_20block_sort_algorithmE0EEENS0_14default_configENS1_37merge_sort_block_sort_config_selectorIaNS0_10empty_typeEEENS1_38merge_sort_block_merge_config_selectorIaSE_EEEEvv
		.amdhsa_group_segment_fixed_size 0
		.amdhsa_private_segment_fixed_size 0
		.amdhsa_kernarg_size 0
		.amdhsa_user_sgpr_count 4
		.amdhsa_user_sgpr_private_segment_buffer 1
		.amdhsa_user_sgpr_dispatch_ptr 0
		.amdhsa_user_sgpr_queue_ptr 0
		.amdhsa_user_sgpr_kernarg_segment_ptr 0
		.amdhsa_user_sgpr_dispatch_id 0
		.amdhsa_user_sgpr_flat_scratch_init 0
		.amdhsa_user_sgpr_kernarg_preload_length 0
		.amdhsa_user_sgpr_kernarg_preload_offset 0
		.amdhsa_user_sgpr_private_segment_size 0
		.amdhsa_uses_dynamic_stack 0
		.amdhsa_system_sgpr_private_segment_wavefront_offset 0
		.amdhsa_system_sgpr_workgroup_id_x 1
		.amdhsa_system_sgpr_workgroup_id_y 0
		.amdhsa_system_sgpr_workgroup_id_z 0
		.amdhsa_system_sgpr_workgroup_info 0
		.amdhsa_system_vgpr_workitem_id 0
		.amdhsa_next_free_vgpr 1
		.amdhsa_next_free_sgpr 0
		.amdhsa_accum_offset 4
		.amdhsa_reserve_vcc 0
		.amdhsa_reserve_flat_scratch 0
		.amdhsa_float_round_mode_32 0
		.amdhsa_float_round_mode_16_64 0
		.amdhsa_float_denorm_mode_32 3
		.amdhsa_float_denorm_mode_16_64 3
		.amdhsa_dx10_clamp 1
		.amdhsa_ieee_mode 1
		.amdhsa_fp16_overflow 0
		.amdhsa_tg_split 0
		.amdhsa_exception_fp_ieee_invalid_op 0
		.amdhsa_exception_fp_denorm_src 0
		.amdhsa_exception_fp_ieee_div_zero 0
		.amdhsa_exception_fp_ieee_overflow 0
		.amdhsa_exception_fp_ieee_underflow 0
		.amdhsa_exception_fp_ieee_inexact 0
		.amdhsa_exception_int_div_zero 0
	.end_amdhsa_kernel
	.section	.text._ZN7rocprim17ROCPRIM_400000_NS6detail44device_merge_sort_compile_time_verifier_archINS1_11comp_targetILNS1_3genE0ELNS1_11target_archE4294967295ELNS1_3gpuE0ELNS1_3repE0EEES8_NS1_28merge_sort_block_sort_configILj256ELj4ELNS0_20block_sort_algorithmE0EEENS0_14default_configENS1_37merge_sort_block_sort_config_selectorIaNS0_10empty_typeEEENS1_38merge_sort_block_merge_config_selectorIaSE_EEEEvv,"axG",@progbits,_ZN7rocprim17ROCPRIM_400000_NS6detail44device_merge_sort_compile_time_verifier_archINS1_11comp_targetILNS1_3genE0ELNS1_11target_archE4294967295ELNS1_3gpuE0ELNS1_3repE0EEES8_NS1_28merge_sort_block_sort_configILj256ELj4ELNS0_20block_sort_algorithmE0EEENS0_14default_configENS1_37merge_sort_block_sort_config_selectorIaNS0_10empty_typeEEENS1_38merge_sort_block_merge_config_selectorIaSE_EEEEvv,comdat
.Lfunc_end127:
	.size	_ZN7rocprim17ROCPRIM_400000_NS6detail44device_merge_sort_compile_time_verifier_archINS1_11comp_targetILNS1_3genE0ELNS1_11target_archE4294967295ELNS1_3gpuE0ELNS1_3repE0EEES8_NS1_28merge_sort_block_sort_configILj256ELj4ELNS0_20block_sort_algorithmE0EEENS0_14default_configENS1_37merge_sort_block_sort_config_selectorIaNS0_10empty_typeEEENS1_38merge_sort_block_merge_config_selectorIaSE_EEEEvv, .Lfunc_end127-_ZN7rocprim17ROCPRIM_400000_NS6detail44device_merge_sort_compile_time_verifier_archINS1_11comp_targetILNS1_3genE0ELNS1_11target_archE4294967295ELNS1_3gpuE0ELNS1_3repE0EEES8_NS1_28merge_sort_block_sort_configILj256ELj4ELNS0_20block_sort_algorithmE0EEENS0_14default_configENS1_37merge_sort_block_sort_config_selectorIaNS0_10empty_typeEEENS1_38merge_sort_block_merge_config_selectorIaSE_EEEEvv
                                        ; -- End function
	.section	.AMDGPU.csdata,"",@progbits
; Kernel info:
; codeLenInByte = 4
; NumSgprs: 4
; NumVgprs: 0
; NumAgprs: 0
; TotalNumVgprs: 0
; ScratchSize: 0
; MemoryBound: 0
; FloatMode: 240
; IeeeMode: 1
; LDSByteSize: 0 bytes/workgroup (compile time only)
; SGPRBlocks: 0
; VGPRBlocks: 0
; NumSGPRsForWavesPerEU: 4
; NumVGPRsForWavesPerEU: 1
; AccumOffset: 4
; Occupancy: 8
; WaveLimiterHint : 0
; COMPUTE_PGM_RSRC2:SCRATCH_EN: 0
; COMPUTE_PGM_RSRC2:USER_SGPR: 4
; COMPUTE_PGM_RSRC2:TRAP_HANDLER: 0
; COMPUTE_PGM_RSRC2:TGID_X_EN: 1
; COMPUTE_PGM_RSRC2:TGID_Y_EN: 0
; COMPUTE_PGM_RSRC2:TGID_Z_EN: 0
; COMPUTE_PGM_RSRC2:TIDIG_COMP_CNT: 0
; COMPUTE_PGM_RSRC3_GFX90A:ACCUM_OFFSET: 0
; COMPUTE_PGM_RSRC3_GFX90A:TG_SPLIT: 0
	.section	.text._ZN7rocprim17ROCPRIM_400000_NS6detail44device_merge_sort_compile_time_verifier_archINS1_11comp_targetILNS1_3genE5ELNS1_11target_archE942ELNS1_3gpuE9ELNS1_3repE0EEES8_NS1_28merge_sort_block_sort_configILj256ELj4ELNS0_20block_sort_algorithmE0EEENS0_14default_configENS1_37merge_sort_block_sort_config_selectorIaNS0_10empty_typeEEENS1_38merge_sort_block_merge_config_selectorIaSE_EEEEvv,"axG",@progbits,_ZN7rocprim17ROCPRIM_400000_NS6detail44device_merge_sort_compile_time_verifier_archINS1_11comp_targetILNS1_3genE5ELNS1_11target_archE942ELNS1_3gpuE9ELNS1_3repE0EEES8_NS1_28merge_sort_block_sort_configILj256ELj4ELNS0_20block_sort_algorithmE0EEENS0_14default_configENS1_37merge_sort_block_sort_config_selectorIaNS0_10empty_typeEEENS1_38merge_sort_block_merge_config_selectorIaSE_EEEEvv,comdat
	.protected	_ZN7rocprim17ROCPRIM_400000_NS6detail44device_merge_sort_compile_time_verifier_archINS1_11comp_targetILNS1_3genE5ELNS1_11target_archE942ELNS1_3gpuE9ELNS1_3repE0EEES8_NS1_28merge_sort_block_sort_configILj256ELj4ELNS0_20block_sort_algorithmE0EEENS0_14default_configENS1_37merge_sort_block_sort_config_selectorIaNS0_10empty_typeEEENS1_38merge_sort_block_merge_config_selectorIaSE_EEEEvv ; -- Begin function _ZN7rocprim17ROCPRIM_400000_NS6detail44device_merge_sort_compile_time_verifier_archINS1_11comp_targetILNS1_3genE5ELNS1_11target_archE942ELNS1_3gpuE9ELNS1_3repE0EEES8_NS1_28merge_sort_block_sort_configILj256ELj4ELNS0_20block_sort_algorithmE0EEENS0_14default_configENS1_37merge_sort_block_sort_config_selectorIaNS0_10empty_typeEEENS1_38merge_sort_block_merge_config_selectorIaSE_EEEEvv
	.globl	_ZN7rocprim17ROCPRIM_400000_NS6detail44device_merge_sort_compile_time_verifier_archINS1_11comp_targetILNS1_3genE5ELNS1_11target_archE942ELNS1_3gpuE9ELNS1_3repE0EEES8_NS1_28merge_sort_block_sort_configILj256ELj4ELNS0_20block_sort_algorithmE0EEENS0_14default_configENS1_37merge_sort_block_sort_config_selectorIaNS0_10empty_typeEEENS1_38merge_sort_block_merge_config_selectorIaSE_EEEEvv
	.p2align	8
	.type	_ZN7rocprim17ROCPRIM_400000_NS6detail44device_merge_sort_compile_time_verifier_archINS1_11comp_targetILNS1_3genE5ELNS1_11target_archE942ELNS1_3gpuE9ELNS1_3repE0EEES8_NS1_28merge_sort_block_sort_configILj256ELj4ELNS0_20block_sort_algorithmE0EEENS0_14default_configENS1_37merge_sort_block_sort_config_selectorIaNS0_10empty_typeEEENS1_38merge_sort_block_merge_config_selectorIaSE_EEEEvv,@function
_ZN7rocprim17ROCPRIM_400000_NS6detail44device_merge_sort_compile_time_verifier_archINS1_11comp_targetILNS1_3genE5ELNS1_11target_archE942ELNS1_3gpuE9ELNS1_3repE0EEES8_NS1_28merge_sort_block_sort_configILj256ELj4ELNS0_20block_sort_algorithmE0EEENS0_14default_configENS1_37merge_sort_block_sort_config_selectorIaNS0_10empty_typeEEENS1_38merge_sort_block_merge_config_selectorIaSE_EEEEvv: ; @_ZN7rocprim17ROCPRIM_400000_NS6detail44device_merge_sort_compile_time_verifier_archINS1_11comp_targetILNS1_3genE5ELNS1_11target_archE942ELNS1_3gpuE9ELNS1_3repE0EEES8_NS1_28merge_sort_block_sort_configILj256ELj4ELNS0_20block_sort_algorithmE0EEENS0_14default_configENS1_37merge_sort_block_sort_config_selectorIaNS0_10empty_typeEEENS1_38merge_sort_block_merge_config_selectorIaSE_EEEEvv
; %bb.0:
	s_endpgm
	.section	.rodata,"a",@progbits
	.p2align	6, 0x0
	.amdhsa_kernel _ZN7rocprim17ROCPRIM_400000_NS6detail44device_merge_sort_compile_time_verifier_archINS1_11comp_targetILNS1_3genE5ELNS1_11target_archE942ELNS1_3gpuE9ELNS1_3repE0EEES8_NS1_28merge_sort_block_sort_configILj256ELj4ELNS0_20block_sort_algorithmE0EEENS0_14default_configENS1_37merge_sort_block_sort_config_selectorIaNS0_10empty_typeEEENS1_38merge_sort_block_merge_config_selectorIaSE_EEEEvv
		.amdhsa_group_segment_fixed_size 0
		.amdhsa_private_segment_fixed_size 0
		.amdhsa_kernarg_size 0
		.amdhsa_user_sgpr_count 4
		.amdhsa_user_sgpr_private_segment_buffer 1
		.amdhsa_user_sgpr_dispatch_ptr 0
		.amdhsa_user_sgpr_queue_ptr 0
		.amdhsa_user_sgpr_kernarg_segment_ptr 0
		.amdhsa_user_sgpr_dispatch_id 0
		.amdhsa_user_sgpr_flat_scratch_init 0
		.amdhsa_user_sgpr_kernarg_preload_length 0
		.amdhsa_user_sgpr_kernarg_preload_offset 0
		.amdhsa_user_sgpr_private_segment_size 0
		.amdhsa_uses_dynamic_stack 0
		.amdhsa_system_sgpr_private_segment_wavefront_offset 0
		.amdhsa_system_sgpr_workgroup_id_x 1
		.amdhsa_system_sgpr_workgroup_id_y 0
		.amdhsa_system_sgpr_workgroup_id_z 0
		.amdhsa_system_sgpr_workgroup_info 0
		.amdhsa_system_vgpr_workitem_id 0
		.amdhsa_next_free_vgpr 1
		.amdhsa_next_free_sgpr 0
		.amdhsa_accum_offset 4
		.amdhsa_reserve_vcc 0
		.amdhsa_reserve_flat_scratch 0
		.amdhsa_float_round_mode_32 0
		.amdhsa_float_round_mode_16_64 0
		.amdhsa_float_denorm_mode_32 3
		.amdhsa_float_denorm_mode_16_64 3
		.amdhsa_dx10_clamp 1
		.amdhsa_ieee_mode 1
		.amdhsa_fp16_overflow 0
		.amdhsa_tg_split 0
		.amdhsa_exception_fp_ieee_invalid_op 0
		.amdhsa_exception_fp_denorm_src 0
		.amdhsa_exception_fp_ieee_div_zero 0
		.amdhsa_exception_fp_ieee_overflow 0
		.amdhsa_exception_fp_ieee_underflow 0
		.amdhsa_exception_fp_ieee_inexact 0
		.amdhsa_exception_int_div_zero 0
	.end_amdhsa_kernel
	.section	.text._ZN7rocprim17ROCPRIM_400000_NS6detail44device_merge_sort_compile_time_verifier_archINS1_11comp_targetILNS1_3genE5ELNS1_11target_archE942ELNS1_3gpuE9ELNS1_3repE0EEES8_NS1_28merge_sort_block_sort_configILj256ELj4ELNS0_20block_sort_algorithmE0EEENS0_14default_configENS1_37merge_sort_block_sort_config_selectorIaNS0_10empty_typeEEENS1_38merge_sort_block_merge_config_selectorIaSE_EEEEvv,"axG",@progbits,_ZN7rocprim17ROCPRIM_400000_NS6detail44device_merge_sort_compile_time_verifier_archINS1_11comp_targetILNS1_3genE5ELNS1_11target_archE942ELNS1_3gpuE9ELNS1_3repE0EEES8_NS1_28merge_sort_block_sort_configILj256ELj4ELNS0_20block_sort_algorithmE0EEENS0_14default_configENS1_37merge_sort_block_sort_config_selectorIaNS0_10empty_typeEEENS1_38merge_sort_block_merge_config_selectorIaSE_EEEEvv,comdat
.Lfunc_end128:
	.size	_ZN7rocprim17ROCPRIM_400000_NS6detail44device_merge_sort_compile_time_verifier_archINS1_11comp_targetILNS1_3genE5ELNS1_11target_archE942ELNS1_3gpuE9ELNS1_3repE0EEES8_NS1_28merge_sort_block_sort_configILj256ELj4ELNS0_20block_sort_algorithmE0EEENS0_14default_configENS1_37merge_sort_block_sort_config_selectorIaNS0_10empty_typeEEENS1_38merge_sort_block_merge_config_selectorIaSE_EEEEvv, .Lfunc_end128-_ZN7rocprim17ROCPRIM_400000_NS6detail44device_merge_sort_compile_time_verifier_archINS1_11comp_targetILNS1_3genE5ELNS1_11target_archE942ELNS1_3gpuE9ELNS1_3repE0EEES8_NS1_28merge_sort_block_sort_configILj256ELj4ELNS0_20block_sort_algorithmE0EEENS0_14default_configENS1_37merge_sort_block_sort_config_selectorIaNS0_10empty_typeEEENS1_38merge_sort_block_merge_config_selectorIaSE_EEEEvv
                                        ; -- End function
	.section	.AMDGPU.csdata,"",@progbits
; Kernel info:
; codeLenInByte = 4
; NumSgprs: 4
; NumVgprs: 0
; NumAgprs: 0
; TotalNumVgprs: 0
; ScratchSize: 0
; MemoryBound: 0
; FloatMode: 240
; IeeeMode: 1
; LDSByteSize: 0 bytes/workgroup (compile time only)
; SGPRBlocks: 0
; VGPRBlocks: 0
; NumSGPRsForWavesPerEU: 4
; NumVGPRsForWavesPerEU: 1
; AccumOffset: 4
; Occupancy: 8
; WaveLimiterHint : 0
; COMPUTE_PGM_RSRC2:SCRATCH_EN: 0
; COMPUTE_PGM_RSRC2:USER_SGPR: 4
; COMPUTE_PGM_RSRC2:TRAP_HANDLER: 0
; COMPUTE_PGM_RSRC2:TGID_X_EN: 1
; COMPUTE_PGM_RSRC2:TGID_Y_EN: 0
; COMPUTE_PGM_RSRC2:TGID_Z_EN: 0
; COMPUTE_PGM_RSRC2:TIDIG_COMP_CNT: 0
; COMPUTE_PGM_RSRC3_GFX90A:ACCUM_OFFSET: 0
; COMPUTE_PGM_RSRC3_GFX90A:TG_SPLIT: 0
	.section	.text._ZN7rocprim17ROCPRIM_400000_NS6detail44device_merge_sort_compile_time_verifier_archINS1_11comp_targetILNS1_3genE4ELNS1_11target_archE910ELNS1_3gpuE8ELNS1_3repE0EEES8_NS1_28merge_sort_block_sort_configILj256ELj4ELNS0_20block_sort_algorithmE0EEENS0_14default_configENS1_37merge_sort_block_sort_config_selectorIaNS0_10empty_typeEEENS1_38merge_sort_block_merge_config_selectorIaSE_EEEEvv,"axG",@progbits,_ZN7rocprim17ROCPRIM_400000_NS6detail44device_merge_sort_compile_time_verifier_archINS1_11comp_targetILNS1_3genE4ELNS1_11target_archE910ELNS1_3gpuE8ELNS1_3repE0EEES8_NS1_28merge_sort_block_sort_configILj256ELj4ELNS0_20block_sort_algorithmE0EEENS0_14default_configENS1_37merge_sort_block_sort_config_selectorIaNS0_10empty_typeEEENS1_38merge_sort_block_merge_config_selectorIaSE_EEEEvv,comdat
	.protected	_ZN7rocprim17ROCPRIM_400000_NS6detail44device_merge_sort_compile_time_verifier_archINS1_11comp_targetILNS1_3genE4ELNS1_11target_archE910ELNS1_3gpuE8ELNS1_3repE0EEES8_NS1_28merge_sort_block_sort_configILj256ELj4ELNS0_20block_sort_algorithmE0EEENS0_14default_configENS1_37merge_sort_block_sort_config_selectorIaNS0_10empty_typeEEENS1_38merge_sort_block_merge_config_selectorIaSE_EEEEvv ; -- Begin function _ZN7rocprim17ROCPRIM_400000_NS6detail44device_merge_sort_compile_time_verifier_archINS1_11comp_targetILNS1_3genE4ELNS1_11target_archE910ELNS1_3gpuE8ELNS1_3repE0EEES8_NS1_28merge_sort_block_sort_configILj256ELj4ELNS0_20block_sort_algorithmE0EEENS0_14default_configENS1_37merge_sort_block_sort_config_selectorIaNS0_10empty_typeEEENS1_38merge_sort_block_merge_config_selectorIaSE_EEEEvv
	.globl	_ZN7rocprim17ROCPRIM_400000_NS6detail44device_merge_sort_compile_time_verifier_archINS1_11comp_targetILNS1_3genE4ELNS1_11target_archE910ELNS1_3gpuE8ELNS1_3repE0EEES8_NS1_28merge_sort_block_sort_configILj256ELj4ELNS0_20block_sort_algorithmE0EEENS0_14default_configENS1_37merge_sort_block_sort_config_selectorIaNS0_10empty_typeEEENS1_38merge_sort_block_merge_config_selectorIaSE_EEEEvv
	.p2align	8
	.type	_ZN7rocprim17ROCPRIM_400000_NS6detail44device_merge_sort_compile_time_verifier_archINS1_11comp_targetILNS1_3genE4ELNS1_11target_archE910ELNS1_3gpuE8ELNS1_3repE0EEES8_NS1_28merge_sort_block_sort_configILj256ELj4ELNS0_20block_sort_algorithmE0EEENS0_14default_configENS1_37merge_sort_block_sort_config_selectorIaNS0_10empty_typeEEENS1_38merge_sort_block_merge_config_selectorIaSE_EEEEvv,@function
_ZN7rocprim17ROCPRIM_400000_NS6detail44device_merge_sort_compile_time_verifier_archINS1_11comp_targetILNS1_3genE4ELNS1_11target_archE910ELNS1_3gpuE8ELNS1_3repE0EEES8_NS1_28merge_sort_block_sort_configILj256ELj4ELNS0_20block_sort_algorithmE0EEENS0_14default_configENS1_37merge_sort_block_sort_config_selectorIaNS0_10empty_typeEEENS1_38merge_sort_block_merge_config_selectorIaSE_EEEEvv: ; @_ZN7rocprim17ROCPRIM_400000_NS6detail44device_merge_sort_compile_time_verifier_archINS1_11comp_targetILNS1_3genE4ELNS1_11target_archE910ELNS1_3gpuE8ELNS1_3repE0EEES8_NS1_28merge_sort_block_sort_configILj256ELj4ELNS0_20block_sort_algorithmE0EEENS0_14default_configENS1_37merge_sort_block_sort_config_selectorIaNS0_10empty_typeEEENS1_38merge_sort_block_merge_config_selectorIaSE_EEEEvv
; %bb.0:
	s_endpgm
	.section	.rodata,"a",@progbits
	.p2align	6, 0x0
	.amdhsa_kernel _ZN7rocprim17ROCPRIM_400000_NS6detail44device_merge_sort_compile_time_verifier_archINS1_11comp_targetILNS1_3genE4ELNS1_11target_archE910ELNS1_3gpuE8ELNS1_3repE0EEES8_NS1_28merge_sort_block_sort_configILj256ELj4ELNS0_20block_sort_algorithmE0EEENS0_14default_configENS1_37merge_sort_block_sort_config_selectorIaNS0_10empty_typeEEENS1_38merge_sort_block_merge_config_selectorIaSE_EEEEvv
		.amdhsa_group_segment_fixed_size 0
		.amdhsa_private_segment_fixed_size 0
		.amdhsa_kernarg_size 0
		.amdhsa_user_sgpr_count 4
		.amdhsa_user_sgpr_private_segment_buffer 1
		.amdhsa_user_sgpr_dispatch_ptr 0
		.amdhsa_user_sgpr_queue_ptr 0
		.amdhsa_user_sgpr_kernarg_segment_ptr 0
		.amdhsa_user_sgpr_dispatch_id 0
		.amdhsa_user_sgpr_flat_scratch_init 0
		.amdhsa_user_sgpr_kernarg_preload_length 0
		.amdhsa_user_sgpr_kernarg_preload_offset 0
		.amdhsa_user_sgpr_private_segment_size 0
		.amdhsa_uses_dynamic_stack 0
		.amdhsa_system_sgpr_private_segment_wavefront_offset 0
		.amdhsa_system_sgpr_workgroup_id_x 1
		.amdhsa_system_sgpr_workgroup_id_y 0
		.amdhsa_system_sgpr_workgroup_id_z 0
		.amdhsa_system_sgpr_workgroup_info 0
		.amdhsa_system_vgpr_workitem_id 0
		.amdhsa_next_free_vgpr 1
		.amdhsa_next_free_sgpr 0
		.amdhsa_accum_offset 4
		.amdhsa_reserve_vcc 0
		.amdhsa_reserve_flat_scratch 0
		.amdhsa_float_round_mode_32 0
		.amdhsa_float_round_mode_16_64 0
		.amdhsa_float_denorm_mode_32 3
		.amdhsa_float_denorm_mode_16_64 3
		.amdhsa_dx10_clamp 1
		.amdhsa_ieee_mode 1
		.amdhsa_fp16_overflow 0
		.amdhsa_tg_split 0
		.amdhsa_exception_fp_ieee_invalid_op 0
		.amdhsa_exception_fp_denorm_src 0
		.amdhsa_exception_fp_ieee_div_zero 0
		.amdhsa_exception_fp_ieee_overflow 0
		.amdhsa_exception_fp_ieee_underflow 0
		.amdhsa_exception_fp_ieee_inexact 0
		.amdhsa_exception_int_div_zero 0
	.end_amdhsa_kernel
	.section	.text._ZN7rocprim17ROCPRIM_400000_NS6detail44device_merge_sort_compile_time_verifier_archINS1_11comp_targetILNS1_3genE4ELNS1_11target_archE910ELNS1_3gpuE8ELNS1_3repE0EEES8_NS1_28merge_sort_block_sort_configILj256ELj4ELNS0_20block_sort_algorithmE0EEENS0_14default_configENS1_37merge_sort_block_sort_config_selectorIaNS0_10empty_typeEEENS1_38merge_sort_block_merge_config_selectorIaSE_EEEEvv,"axG",@progbits,_ZN7rocprim17ROCPRIM_400000_NS6detail44device_merge_sort_compile_time_verifier_archINS1_11comp_targetILNS1_3genE4ELNS1_11target_archE910ELNS1_3gpuE8ELNS1_3repE0EEES8_NS1_28merge_sort_block_sort_configILj256ELj4ELNS0_20block_sort_algorithmE0EEENS0_14default_configENS1_37merge_sort_block_sort_config_selectorIaNS0_10empty_typeEEENS1_38merge_sort_block_merge_config_selectorIaSE_EEEEvv,comdat
.Lfunc_end129:
	.size	_ZN7rocprim17ROCPRIM_400000_NS6detail44device_merge_sort_compile_time_verifier_archINS1_11comp_targetILNS1_3genE4ELNS1_11target_archE910ELNS1_3gpuE8ELNS1_3repE0EEES8_NS1_28merge_sort_block_sort_configILj256ELj4ELNS0_20block_sort_algorithmE0EEENS0_14default_configENS1_37merge_sort_block_sort_config_selectorIaNS0_10empty_typeEEENS1_38merge_sort_block_merge_config_selectorIaSE_EEEEvv, .Lfunc_end129-_ZN7rocprim17ROCPRIM_400000_NS6detail44device_merge_sort_compile_time_verifier_archINS1_11comp_targetILNS1_3genE4ELNS1_11target_archE910ELNS1_3gpuE8ELNS1_3repE0EEES8_NS1_28merge_sort_block_sort_configILj256ELj4ELNS0_20block_sort_algorithmE0EEENS0_14default_configENS1_37merge_sort_block_sort_config_selectorIaNS0_10empty_typeEEENS1_38merge_sort_block_merge_config_selectorIaSE_EEEEvv
                                        ; -- End function
	.section	.AMDGPU.csdata,"",@progbits
; Kernel info:
; codeLenInByte = 4
; NumSgprs: 4
; NumVgprs: 0
; NumAgprs: 0
; TotalNumVgprs: 0
; ScratchSize: 0
; MemoryBound: 0
; FloatMode: 240
; IeeeMode: 1
; LDSByteSize: 0 bytes/workgroup (compile time only)
; SGPRBlocks: 0
; VGPRBlocks: 0
; NumSGPRsForWavesPerEU: 4
; NumVGPRsForWavesPerEU: 1
; AccumOffset: 4
; Occupancy: 8
; WaveLimiterHint : 0
; COMPUTE_PGM_RSRC2:SCRATCH_EN: 0
; COMPUTE_PGM_RSRC2:USER_SGPR: 4
; COMPUTE_PGM_RSRC2:TRAP_HANDLER: 0
; COMPUTE_PGM_RSRC2:TGID_X_EN: 1
; COMPUTE_PGM_RSRC2:TGID_Y_EN: 0
; COMPUTE_PGM_RSRC2:TGID_Z_EN: 0
; COMPUTE_PGM_RSRC2:TIDIG_COMP_CNT: 0
; COMPUTE_PGM_RSRC3_GFX90A:ACCUM_OFFSET: 0
; COMPUTE_PGM_RSRC3_GFX90A:TG_SPLIT: 0
	.section	.text._ZN7rocprim17ROCPRIM_400000_NS6detail44device_merge_sort_compile_time_verifier_archINS1_11comp_targetILNS1_3genE3ELNS1_11target_archE908ELNS1_3gpuE7ELNS1_3repE0EEES8_NS1_28merge_sort_block_sort_configILj256ELj4ELNS0_20block_sort_algorithmE0EEENS0_14default_configENS1_37merge_sort_block_sort_config_selectorIaNS0_10empty_typeEEENS1_38merge_sort_block_merge_config_selectorIaSE_EEEEvv,"axG",@progbits,_ZN7rocprim17ROCPRIM_400000_NS6detail44device_merge_sort_compile_time_verifier_archINS1_11comp_targetILNS1_3genE3ELNS1_11target_archE908ELNS1_3gpuE7ELNS1_3repE0EEES8_NS1_28merge_sort_block_sort_configILj256ELj4ELNS0_20block_sort_algorithmE0EEENS0_14default_configENS1_37merge_sort_block_sort_config_selectorIaNS0_10empty_typeEEENS1_38merge_sort_block_merge_config_selectorIaSE_EEEEvv,comdat
	.protected	_ZN7rocprim17ROCPRIM_400000_NS6detail44device_merge_sort_compile_time_verifier_archINS1_11comp_targetILNS1_3genE3ELNS1_11target_archE908ELNS1_3gpuE7ELNS1_3repE0EEES8_NS1_28merge_sort_block_sort_configILj256ELj4ELNS0_20block_sort_algorithmE0EEENS0_14default_configENS1_37merge_sort_block_sort_config_selectorIaNS0_10empty_typeEEENS1_38merge_sort_block_merge_config_selectorIaSE_EEEEvv ; -- Begin function _ZN7rocprim17ROCPRIM_400000_NS6detail44device_merge_sort_compile_time_verifier_archINS1_11comp_targetILNS1_3genE3ELNS1_11target_archE908ELNS1_3gpuE7ELNS1_3repE0EEES8_NS1_28merge_sort_block_sort_configILj256ELj4ELNS0_20block_sort_algorithmE0EEENS0_14default_configENS1_37merge_sort_block_sort_config_selectorIaNS0_10empty_typeEEENS1_38merge_sort_block_merge_config_selectorIaSE_EEEEvv
	.globl	_ZN7rocprim17ROCPRIM_400000_NS6detail44device_merge_sort_compile_time_verifier_archINS1_11comp_targetILNS1_3genE3ELNS1_11target_archE908ELNS1_3gpuE7ELNS1_3repE0EEES8_NS1_28merge_sort_block_sort_configILj256ELj4ELNS0_20block_sort_algorithmE0EEENS0_14default_configENS1_37merge_sort_block_sort_config_selectorIaNS0_10empty_typeEEENS1_38merge_sort_block_merge_config_selectorIaSE_EEEEvv
	.p2align	8
	.type	_ZN7rocprim17ROCPRIM_400000_NS6detail44device_merge_sort_compile_time_verifier_archINS1_11comp_targetILNS1_3genE3ELNS1_11target_archE908ELNS1_3gpuE7ELNS1_3repE0EEES8_NS1_28merge_sort_block_sort_configILj256ELj4ELNS0_20block_sort_algorithmE0EEENS0_14default_configENS1_37merge_sort_block_sort_config_selectorIaNS0_10empty_typeEEENS1_38merge_sort_block_merge_config_selectorIaSE_EEEEvv,@function
_ZN7rocprim17ROCPRIM_400000_NS6detail44device_merge_sort_compile_time_verifier_archINS1_11comp_targetILNS1_3genE3ELNS1_11target_archE908ELNS1_3gpuE7ELNS1_3repE0EEES8_NS1_28merge_sort_block_sort_configILj256ELj4ELNS0_20block_sort_algorithmE0EEENS0_14default_configENS1_37merge_sort_block_sort_config_selectorIaNS0_10empty_typeEEENS1_38merge_sort_block_merge_config_selectorIaSE_EEEEvv: ; @_ZN7rocprim17ROCPRIM_400000_NS6detail44device_merge_sort_compile_time_verifier_archINS1_11comp_targetILNS1_3genE3ELNS1_11target_archE908ELNS1_3gpuE7ELNS1_3repE0EEES8_NS1_28merge_sort_block_sort_configILj256ELj4ELNS0_20block_sort_algorithmE0EEENS0_14default_configENS1_37merge_sort_block_sort_config_selectorIaNS0_10empty_typeEEENS1_38merge_sort_block_merge_config_selectorIaSE_EEEEvv
; %bb.0:
	s_endpgm
	.section	.rodata,"a",@progbits
	.p2align	6, 0x0
	.amdhsa_kernel _ZN7rocprim17ROCPRIM_400000_NS6detail44device_merge_sort_compile_time_verifier_archINS1_11comp_targetILNS1_3genE3ELNS1_11target_archE908ELNS1_3gpuE7ELNS1_3repE0EEES8_NS1_28merge_sort_block_sort_configILj256ELj4ELNS0_20block_sort_algorithmE0EEENS0_14default_configENS1_37merge_sort_block_sort_config_selectorIaNS0_10empty_typeEEENS1_38merge_sort_block_merge_config_selectorIaSE_EEEEvv
		.amdhsa_group_segment_fixed_size 0
		.amdhsa_private_segment_fixed_size 0
		.amdhsa_kernarg_size 0
		.amdhsa_user_sgpr_count 4
		.amdhsa_user_sgpr_private_segment_buffer 1
		.amdhsa_user_sgpr_dispatch_ptr 0
		.amdhsa_user_sgpr_queue_ptr 0
		.amdhsa_user_sgpr_kernarg_segment_ptr 0
		.amdhsa_user_sgpr_dispatch_id 0
		.amdhsa_user_sgpr_flat_scratch_init 0
		.amdhsa_user_sgpr_kernarg_preload_length 0
		.amdhsa_user_sgpr_kernarg_preload_offset 0
		.amdhsa_user_sgpr_private_segment_size 0
		.amdhsa_uses_dynamic_stack 0
		.amdhsa_system_sgpr_private_segment_wavefront_offset 0
		.amdhsa_system_sgpr_workgroup_id_x 1
		.amdhsa_system_sgpr_workgroup_id_y 0
		.amdhsa_system_sgpr_workgroup_id_z 0
		.amdhsa_system_sgpr_workgroup_info 0
		.amdhsa_system_vgpr_workitem_id 0
		.amdhsa_next_free_vgpr 1
		.amdhsa_next_free_sgpr 0
		.amdhsa_accum_offset 4
		.amdhsa_reserve_vcc 0
		.amdhsa_reserve_flat_scratch 0
		.amdhsa_float_round_mode_32 0
		.amdhsa_float_round_mode_16_64 0
		.amdhsa_float_denorm_mode_32 3
		.amdhsa_float_denorm_mode_16_64 3
		.amdhsa_dx10_clamp 1
		.amdhsa_ieee_mode 1
		.amdhsa_fp16_overflow 0
		.amdhsa_tg_split 0
		.amdhsa_exception_fp_ieee_invalid_op 0
		.amdhsa_exception_fp_denorm_src 0
		.amdhsa_exception_fp_ieee_div_zero 0
		.amdhsa_exception_fp_ieee_overflow 0
		.amdhsa_exception_fp_ieee_underflow 0
		.amdhsa_exception_fp_ieee_inexact 0
		.amdhsa_exception_int_div_zero 0
	.end_amdhsa_kernel
	.section	.text._ZN7rocprim17ROCPRIM_400000_NS6detail44device_merge_sort_compile_time_verifier_archINS1_11comp_targetILNS1_3genE3ELNS1_11target_archE908ELNS1_3gpuE7ELNS1_3repE0EEES8_NS1_28merge_sort_block_sort_configILj256ELj4ELNS0_20block_sort_algorithmE0EEENS0_14default_configENS1_37merge_sort_block_sort_config_selectorIaNS0_10empty_typeEEENS1_38merge_sort_block_merge_config_selectorIaSE_EEEEvv,"axG",@progbits,_ZN7rocprim17ROCPRIM_400000_NS6detail44device_merge_sort_compile_time_verifier_archINS1_11comp_targetILNS1_3genE3ELNS1_11target_archE908ELNS1_3gpuE7ELNS1_3repE0EEES8_NS1_28merge_sort_block_sort_configILj256ELj4ELNS0_20block_sort_algorithmE0EEENS0_14default_configENS1_37merge_sort_block_sort_config_selectorIaNS0_10empty_typeEEENS1_38merge_sort_block_merge_config_selectorIaSE_EEEEvv,comdat
.Lfunc_end130:
	.size	_ZN7rocprim17ROCPRIM_400000_NS6detail44device_merge_sort_compile_time_verifier_archINS1_11comp_targetILNS1_3genE3ELNS1_11target_archE908ELNS1_3gpuE7ELNS1_3repE0EEES8_NS1_28merge_sort_block_sort_configILj256ELj4ELNS0_20block_sort_algorithmE0EEENS0_14default_configENS1_37merge_sort_block_sort_config_selectorIaNS0_10empty_typeEEENS1_38merge_sort_block_merge_config_selectorIaSE_EEEEvv, .Lfunc_end130-_ZN7rocprim17ROCPRIM_400000_NS6detail44device_merge_sort_compile_time_verifier_archINS1_11comp_targetILNS1_3genE3ELNS1_11target_archE908ELNS1_3gpuE7ELNS1_3repE0EEES8_NS1_28merge_sort_block_sort_configILj256ELj4ELNS0_20block_sort_algorithmE0EEENS0_14default_configENS1_37merge_sort_block_sort_config_selectorIaNS0_10empty_typeEEENS1_38merge_sort_block_merge_config_selectorIaSE_EEEEvv
                                        ; -- End function
	.section	.AMDGPU.csdata,"",@progbits
; Kernel info:
; codeLenInByte = 4
; NumSgprs: 4
; NumVgprs: 0
; NumAgprs: 0
; TotalNumVgprs: 0
; ScratchSize: 0
; MemoryBound: 0
; FloatMode: 240
; IeeeMode: 1
; LDSByteSize: 0 bytes/workgroup (compile time only)
; SGPRBlocks: 0
; VGPRBlocks: 0
; NumSGPRsForWavesPerEU: 4
; NumVGPRsForWavesPerEU: 1
; AccumOffset: 4
; Occupancy: 8
; WaveLimiterHint : 0
; COMPUTE_PGM_RSRC2:SCRATCH_EN: 0
; COMPUTE_PGM_RSRC2:USER_SGPR: 4
; COMPUTE_PGM_RSRC2:TRAP_HANDLER: 0
; COMPUTE_PGM_RSRC2:TGID_X_EN: 1
; COMPUTE_PGM_RSRC2:TGID_Y_EN: 0
; COMPUTE_PGM_RSRC2:TGID_Z_EN: 0
; COMPUTE_PGM_RSRC2:TIDIG_COMP_CNT: 0
; COMPUTE_PGM_RSRC3_GFX90A:ACCUM_OFFSET: 0
; COMPUTE_PGM_RSRC3_GFX90A:TG_SPLIT: 0
	.section	.text._ZN7rocprim17ROCPRIM_400000_NS6detail44device_merge_sort_compile_time_verifier_archINS1_11comp_targetILNS1_3genE2ELNS1_11target_archE906ELNS1_3gpuE6ELNS1_3repE0EEES8_NS1_28merge_sort_block_sort_configILj256ELj4ELNS0_20block_sort_algorithmE0EEENS0_14default_configENS1_37merge_sort_block_sort_config_selectorIaNS0_10empty_typeEEENS1_38merge_sort_block_merge_config_selectorIaSE_EEEEvv,"axG",@progbits,_ZN7rocprim17ROCPRIM_400000_NS6detail44device_merge_sort_compile_time_verifier_archINS1_11comp_targetILNS1_3genE2ELNS1_11target_archE906ELNS1_3gpuE6ELNS1_3repE0EEES8_NS1_28merge_sort_block_sort_configILj256ELj4ELNS0_20block_sort_algorithmE0EEENS0_14default_configENS1_37merge_sort_block_sort_config_selectorIaNS0_10empty_typeEEENS1_38merge_sort_block_merge_config_selectorIaSE_EEEEvv,comdat
	.protected	_ZN7rocprim17ROCPRIM_400000_NS6detail44device_merge_sort_compile_time_verifier_archINS1_11comp_targetILNS1_3genE2ELNS1_11target_archE906ELNS1_3gpuE6ELNS1_3repE0EEES8_NS1_28merge_sort_block_sort_configILj256ELj4ELNS0_20block_sort_algorithmE0EEENS0_14default_configENS1_37merge_sort_block_sort_config_selectorIaNS0_10empty_typeEEENS1_38merge_sort_block_merge_config_selectorIaSE_EEEEvv ; -- Begin function _ZN7rocprim17ROCPRIM_400000_NS6detail44device_merge_sort_compile_time_verifier_archINS1_11comp_targetILNS1_3genE2ELNS1_11target_archE906ELNS1_3gpuE6ELNS1_3repE0EEES8_NS1_28merge_sort_block_sort_configILj256ELj4ELNS0_20block_sort_algorithmE0EEENS0_14default_configENS1_37merge_sort_block_sort_config_selectorIaNS0_10empty_typeEEENS1_38merge_sort_block_merge_config_selectorIaSE_EEEEvv
	.globl	_ZN7rocprim17ROCPRIM_400000_NS6detail44device_merge_sort_compile_time_verifier_archINS1_11comp_targetILNS1_3genE2ELNS1_11target_archE906ELNS1_3gpuE6ELNS1_3repE0EEES8_NS1_28merge_sort_block_sort_configILj256ELj4ELNS0_20block_sort_algorithmE0EEENS0_14default_configENS1_37merge_sort_block_sort_config_selectorIaNS0_10empty_typeEEENS1_38merge_sort_block_merge_config_selectorIaSE_EEEEvv
	.p2align	8
	.type	_ZN7rocprim17ROCPRIM_400000_NS6detail44device_merge_sort_compile_time_verifier_archINS1_11comp_targetILNS1_3genE2ELNS1_11target_archE906ELNS1_3gpuE6ELNS1_3repE0EEES8_NS1_28merge_sort_block_sort_configILj256ELj4ELNS0_20block_sort_algorithmE0EEENS0_14default_configENS1_37merge_sort_block_sort_config_selectorIaNS0_10empty_typeEEENS1_38merge_sort_block_merge_config_selectorIaSE_EEEEvv,@function
_ZN7rocprim17ROCPRIM_400000_NS6detail44device_merge_sort_compile_time_verifier_archINS1_11comp_targetILNS1_3genE2ELNS1_11target_archE906ELNS1_3gpuE6ELNS1_3repE0EEES8_NS1_28merge_sort_block_sort_configILj256ELj4ELNS0_20block_sort_algorithmE0EEENS0_14default_configENS1_37merge_sort_block_sort_config_selectorIaNS0_10empty_typeEEENS1_38merge_sort_block_merge_config_selectorIaSE_EEEEvv: ; @_ZN7rocprim17ROCPRIM_400000_NS6detail44device_merge_sort_compile_time_verifier_archINS1_11comp_targetILNS1_3genE2ELNS1_11target_archE906ELNS1_3gpuE6ELNS1_3repE0EEES8_NS1_28merge_sort_block_sort_configILj256ELj4ELNS0_20block_sort_algorithmE0EEENS0_14default_configENS1_37merge_sort_block_sort_config_selectorIaNS0_10empty_typeEEENS1_38merge_sort_block_merge_config_selectorIaSE_EEEEvv
; %bb.0:
	s_endpgm
	.section	.rodata,"a",@progbits
	.p2align	6, 0x0
	.amdhsa_kernel _ZN7rocprim17ROCPRIM_400000_NS6detail44device_merge_sort_compile_time_verifier_archINS1_11comp_targetILNS1_3genE2ELNS1_11target_archE906ELNS1_3gpuE6ELNS1_3repE0EEES8_NS1_28merge_sort_block_sort_configILj256ELj4ELNS0_20block_sort_algorithmE0EEENS0_14default_configENS1_37merge_sort_block_sort_config_selectorIaNS0_10empty_typeEEENS1_38merge_sort_block_merge_config_selectorIaSE_EEEEvv
		.amdhsa_group_segment_fixed_size 0
		.amdhsa_private_segment_fixed_size 0
		.amdhsa_kernarg_size 0
		.amdhsa_user_sgpr_count 4
		.amdhsa_user_sgpr_private_segment_buffer 1
		.amdhsa_user_sgpr_dispatch_ptr 0
		.amdhsa_user_sgpr_queue_ptr 0
		.amdhsa_user_sgpr_kernarg_segment_ptr 0
		.amdhsa_user_sgpr_dispatch_id 0
		.amdhsa_user_sgpr_flat_scratch_init 0
		.amdhsa_user_sgpr_kernarg_preload_length 0
		.amdhsa_user_sgpr_kernarg_preload_offset 0
		.amdhsa_user_sgpr_private_segment_size 0
		.amdhsa_uses_dynamic_stack 0
		.amdhsa_system_sgpr_private_segment_wavefront_offset 0
		.amdhsa_system_sgpr_workgroup_id_x 1
		.amdhsa_system_sgpr_workgroup_id_y 0
		.amdhsa_system_sgpr_workgroup_id_z 0
		.amdhsa_system_sgpr_workgroup_info 0
		.amdhsa_system_vgpr_workitem_id 0
		.amdhsa_next_free_vgpr 1
		.amdhsa_next_free_sgpr 0
		.amdhsa_accum_offset 4
		.amdhsa_reserve_vcc 0
		.amdhsa_reserve_flat_scratch 0
		.amdhsa_float_round_mode_32 0
		.amdhsa_float_round_mode_16_64 0
		.amdhsa_float_denorm_mode_32 3
		.amdhsa_float_denorm_mode_16_64 3
		.amdhsa_dx10_clamp 1
		.amdhsa_ieee_mode 1
		.amdhsa_fp16_overflow 0
		.amdhsa_tg_split 0
		.amdhsa_exception_fp_ieee_invalid_op 0
		.amdhsa_exception_fp_denorm_src 0
		.amdhsa_exception_fp_ieee_div_zero 0
		.amdhsa_exception_fp_ieee_overflow 0
		.amdhsa_exception_fp_ieee_underflow 0
		.amdhsa_exception_fp_ieee_inexact 0
		.amdhsa_exception_int_div_zero 0
	.end_amdhsa_kernel
	.section	.text._ZN7rocprim17ROCPRIM_400000_NS6detail44device_merge_sort_compile_time_verifier_archINS1_11comp_targetILNS1_3genE2ELNS1_11target_archE906ELNS1_3gpuE6ELNS1_3repE0EEES8_NS1_28merge_sort_block_sort_configILj256ELj4ELNS0_20block_sort_algorithmE0EEENS0_14default_configENS1_37merge_sort_block_sort_config_selectorIaNS0_10empty_typeEEENS1_38merge_sort_block_merge_config_selectorIaSE_EEEEvv,"axG",@progbits,_ZN7rocprim17ROCPRIM_400000_NS6detail44device_merge_sort_compile_time_verifier_archINS1_11comp_targetILNS1_3genE2ELNS1_11target_archE906ELNS1_3gpuE6ELNS1_3repE0EEES8_NS1_28merge_sort_block_sort_configILj256ELj4ELNS0_20block_sort_algorithmE0EEENS0_14default_configENS1_37merge_sort_block_sort_config_selectorIaNS0_10empty_typeEEENS1_38merge_sort_block_merge_config_selectorIaSE_EEEEvv,comdat
.Lfunc_end131:
	.size	_ZN7rocprim17ROCPRIM_400000_NS6detail44device_merge_sort_compile_time_verifier_archINS1_11comp_targetILNS1_3genE2ELNS1_11target_archE906ELNS1_3gpuE6ELNS1_3repE0EEES8_NS1_28merge_sort_block_sort_configILj256ELj4ELNS0_20block_sort_algorithmE0EEENS0_14default_configENS1_37merge_sort_block_sort_config_selectorIaNS0_10empty_typeEEENS1_38merge_sort_block_merge_config_selectorIaSE_EEEEvv, .Lfunc_end131-_ZN7rocprim17ROCPRIM_400000_NS6detail44device_merge_sort_compile_time_verifier_archINS1_11comp_targetILNS1_3genE2ELNS1_11target_archE906ELNS1_3gpuE6ELNS1_3repE0EEES8_NS1_28merge_sort_block_sort_configILj256ELj4ELNS0_20block_sort_algorithmE0EEENS0_14default_configENS1_37merge_sort_block_sort_config_selectorIaNS0_10empty_typeEEENS1_38merge_sort_block_merge_config_selectorIaSE_EEEEvv
                                        ; -- End function
	.section	.AMDGPU.csdata,"",@progbits
; Kernel info:
; codeLenInByte = 4
; NumSgprs: 4
; NumVgprs: 0
; NumAgprs: 0
; TotalNumVgprs: 0
; ScratchSize: 0
; MemoryBound: 0
; FloatMode: 240
; IeeeMode: 1
; LDSByteSize: 0 bytes/workgroup (compile time only)
; SGPRBlocks: 0
; VGPRBlocks: 0
; NumSGPRsForWavesPerEU: 4
; NumVGPRsForWavesPerEU: 1
; AccumOffset: 4
; Occupancy: 8
; WaveLimiterHint : 0
; COMPUTE_PGM_RSRC2:SCRATCH_EN: 0
; COMPUTE_PGM_RSRC2:USER_SGPR: 4
; COMPUTE_PGM_RSRC2:TRAP_HANDLER: 0
; COMPUTE_PGM_RSRC2:TGID_X_EN: 1
; COMPUTE_PGM_RSRC2:TGID_Y_EN: 0
; COMPUTE_PGM_RSRC2:TGID_Z_EN: 0
; COMPUTE_PGM_RSRC2:TIDIG_COMP_CNT: 0
; COMPUTE_PGM_RSRC3_GFX90A:ACCUM_OFFSET: 0
; COMPUTE_PGM_RSRC3_GFX90A:TG_SPLIT: 0
	.section	.text._ZN7rocprim17ROCPRIM_400000_NS6detail44device_merge_sort_compile_time_verifier_archINS1_11comp_targetILNS1_3genE10ELNS1_11target_archE1201ELNS1_3gpuE5ELNS1_3repE0EEES8_NS1_28merge_sort_block_sort_configILj256ELj4ELNS0_20block_sort_algorithmE0EEENS0_14default_configENS1_37merge_sort_block_sort_config_selectorIaNS0_10empty_typeEEENS1_38merge_sort_block_merge_config_selectorIaSE_EEEEvv,"axG",@progbits,_ZN7rocprim17ROCPRIM_400000_NS6detail44device_merge_sort_compile_time_verifier_archINS1_11comp_targetILNS1_3genE10ELNS1_11target_archE1201ELNS1_3gpuE5ELNS1_3repE0EEES8_NS1_28merge_sort_block_sort_configILj256ELj4ELNS0_20block_sort_algorithmE0EEENS0_14default_configENS1_37merge_sort_block_sort_config_selectorIaNS0_10empty_typeEEENS1_38merge_sort_block_merge_config_selectorIaSE_EEEEvv,comdat
	.protected	_ZN7rocprim17ROCPRIM_400000_NS6detail44device_merge_sort_compile_time_verifier_archINS1_11comp_targetILNS1_3genE10ELNS1_11target_archE1201ELNS1_3gpuE5ELNS1_3repE0EEES8_NS1_28merge_sort_block_sort_configILj256ELj4ELNS0_20block_sort_algorithmE0EEENS0_14default_configENS1_37merge_sort_block_sort_config_selectorIaNS0_10empty_typeEEENS1_38merge_sort_block_merge_config_selectorIaSE_EEEEvv ; -- Begin function _ZN7rocprim17ROCPRIM_400000_NS6detail44device_merge_sort_compile_time_verifier_archINS1_11comp_targetILNS1_3genE10ELNS1_11target_archE1201ELNS1_3gpuE5ELNS1_3repE0EEES8_NS1_28merge_sort_block_sort_configILj256ELj4ELNS0_20block_sort_algorithmE0EEENS0_14default_configENS1_37merge_sort_block_sort_config_selectorIaNS0_10empty_typeEEENS1_38merge_sort_block_merge_config_selectorIaSE_EEEEvv
	.globl	_ZN7rocprim17ROCPRIM_400000_NS6detail44device_merge_sort_compile_time_verifier_archINS1_11comp_targetILNS1_3genE10ELNS1_11target_archE1201ELNS1_3gpuE5ELNS1_3repE0EEES8_NS1_28merge_sort_block_sort_configILj256ELj4ELNS0_20block_sort_algorithmE0EEENS0_14default_configENS1_37merge_sort_block_sort_config_selectorIaNS0_10empty_typeEEENS1_38merge_sort_block_merge_config_selectorIaSE_EEEEvv
	.p2align	8
	.type	_ZN7rocprim17ROCPRIM_400000_NS6detail44device_merge_sort_compile_time_verifier_archINS1_11comp_targetILNS1_3genE10ELNS1_11target_archE1201ELNS1_3gpuE5ELNS1_3repE0EEES8_NS1_28merge_sort_block_sort_configILj256ELj4ELNS0_20block_sort_algorithmE0EEENS0_14default_configENS1_37merge_sort_block_sort_config_selectorIaNS0_10empty_typeEEENS1_38merge_sort_block_merge_config_selectorIaSE_EEEEvv,@function
_ZN7rocprim17ROCPRIM_400000_NS6detail44device_merge_sort_compile_time_verifier_archINS1_11comp_targetILNS1_3genE10ELNS1_11target_archE1201ELNS1_3gpuE5ELNS1_3repE0EEES8_NS1_28merge_sort_block_sort_configILj256ELj4ELNS0_20block_sort_algorithmE0EEENS0_14default_configENS1_37merge_sort_block_sort_config_selectorIaNS0_10empty_typeEEENS1_38merge_sort_block_merge_config_selectorIaSE_EEEEvv: ; @_ZN7rocprim17ROCPRIM_400000_NS6detail44device_merge_sort_compile_time_verifier_archINS1_11comp_targetILNS1_3genE10ELNS1_11target_archE1201ELNS1_3gpuE5ELNS1_3repE0EEES8_NS1_28merge_sort_block_sort_configILj256ELj4ELNS0_20block_sort_algorithmE0EEENS0_14default_configENS1_37merge_sort_block_sort_config_selectorIaNS0_10empty_typeEEENS1_38merge_sort_block_merge_config_selectorIaSE_EEEEvv
; %bb.0:
	s_endpgm
	.section	.rodata,"a",@progbits
	.p2align	6, 0x0
	.amdhsa_kernel _ZN7rocprim17ROCPRIM_400000_NS6detail44device_merge_sort_compile_time_verifier_archINS1_11comp_targetILNS1_3genE10ELNS1_11target_archE1201ELNS1_3gpuE5ELNS1_3repE0EEES8_NS1_28merge_sort_block_sort_configILj256ELj4ELNS0_20block_sort_algorithmE0EEENS0_14default_configENS1_37merge_sort_block_sort_config_selectorIaNS0_10empty_typeEEENS1_38merge_sort_block_merge_config_selectorIaSE_EEEEvv
		.amdhsa_group_segment_fixed_size 0
		.amdhsa_private_segment_fixed_size 0
		.amdhsa_kernarg_size 0
		.amdhsa_user_sgpr_count 4
		.amdhsa_user_sgpr_private_segment_buffer 1
		.amdhsa_user_sgpr_dispatch_ptr 0
		.amdhsa_user_sgpr_queue_ptr 0
		.amdhsa_user_sgpr_kernarg_segment_ptr 0
		.amdhsa_user_sgpr_dispatch_id 0
		.amdhsa_user_sgpr_flat_scratch_init 0
		.amdhsa_user_sgpr_kernarg_preload_length 0
		.amdhsa_user_sgpr_kernarg_preload_offset 0
		.amdhsa_user_sgpr_private_segment_size 0
		.amdhsa_uses_dynamic_stack 0
		.amdhsa_system_sgpr_private_segment_wavefront_offset 0
		.amdhsa_system_sgpr_workgroup_id_x 1
		.amdhsa_system_sgpr_workgroup_id_y 0
		.amdhsa_system_sgpr_workgroup_id_z 0
		.amdhsa_system_sgpr_workgroup_info 0
		.amdhsa_system_vgpr_workitem_id 0
		.amdhsa_next_free_vgpr 1
		.amdhsa_next_free_sgpr 0
		.amdhsa_accum_offset 4
		.amdhsa_reserve_vcc 0
		.amdhsa_reserve_flat_scratch 0
		.amdhsa_float_round_mode_32 0
		.amdhsa_float_round_mode_16_64 0
		.amdhsa_float_denorm_mode_32 3
		.amdhsa_float_denorm_mode_16_64 3
		.amdhsa_dx10_clamp 1
		.amdhsa_ieee_mode 1
		.amdhsa_fp16_overflow 0
		.amdhsa_tg_split 0
		.amdhsa_exception_fp_ieee_invalid_op 0
		.amdhsa_exception_fp_denorm_src 0
		.amdhsa_exception_fp_ieee_div_zero 0
		.amdhsa_exception_fp_ieee_overflow 0
		.amdhsa_exception_fp_ieee_underflow 0
		.amdhsa_exception_fp_ieee_inexact 0
		.amdhsa_exception_int_div_zero 0
	.end_amdhsa_kernel
	.section	.text._ZN7rocprim17ROCPRIM_400000_NS6detail44device_merge_sort_compile_time_verifier_archINS1_11comp_targetILNS1_3genE10ELNS1_11target_archE1201ELNS1_3gpuE5ELNS1_3repE0EEES8_NS1_28merge_sort_block_sort_configILj256ELj4ELNS0_20block_sort_algorithmE0EEENS0_14default_configENS1_37merge_sort_block_sort_config_selectorIaNS0_10empty_typeEEENS1_38merge_sort_block_merge_config_selectorIaSE_EEEEvv,"axG",@progbits,_ZN7rocprim17ROCPRIM_400000_NS6detail44device_merge_sort_compile_time_verifier_archINS1_11comp_targetILNS1_3genE10ELNS1_11target_archE1201ELNS1_3gpuE5ELNS1_3repE0EEES8_NS1_28merge_sort_block_sort_configILj256ELj4ELNS0_20block_sort_algorithmE0EEENS0_14default_configENS1_37merge_sort_block_sort_config_selectorIaNS0_10empty_typeEEENS1_38merge_sort_block_merge_config_selectorIaSE_EEEEvv,comdat
.Lfunc_end132:
	.size	_ZN7rocprim17ROCPRIM_400000_NS6detail44device_merge_sort_compile_time_verifier_archINS1_11comp_targetILNS1_3genE10ELNS1_11target_archE1201ELNS1_3gpuE5ELNS1_3repE0EEES8_NS1_28merge_sort_block_sort_configILj256ELj4ELNS0_20block_sort_algorithmE0EEENS0_14default_configENS1_37merge_sort_block_sort_config_selectorIaNS0_10empty_typeEEENS1_38merge_sort_block_merge_config_selectorIaSE_EEEEvv, .Lfunc_end132-_ZN7rocprim17ROCPRIM_400000_NS6detail44device_merge_sort_compile_time_verifier_archINS1_11comp_targetILNS1_3genE10ELNS1_11target_archE1201ELNS1_3gpuE5ELNS1_3repE0EEES8_NS1_28merge_sort_block_sort_configILj256ELj4ELNS0_20block_sort_algorithmE0EEENS0_14default_configENS1_37merge_sort_block_sort_config_selectorIaNS0_10empty_typeEEENS1_38merge_sort_block_merge_config_selectorIaSE_EEEEvv
                                        ; -- End function
	.section	.AMDGPU.csdata,"",@progbits
; Kernel info:
; codeLenInByte = 4
; NumSgprs: 4
; NumVgprs: 0
; NumAgprs: 0
; TotalNumVgprs: 0
; ScratchSize: 0
; MemoryBound: 0
; FloatMode: 240
; IeeeMode: 1
; LDSByteSize: 0 bytes/workgroup (compile time only)
; SGPRBlocks: 0
; VGPRBlocks: 0
; NumSGPRsForWavesPerEU: 4
; NumVGPRsForWavesPerEU: 1
; AccumOffset: 4
; Occupancy: 8
; WaveLimiterHint : 0
; COMPUTE_PGM_RSRC2:SCRATCH_EN: 0
; COMPUTE_PGM_RSRC2:USER_SGPR: 4
; COMPUTE_PGM_RSRC2:TRAP_HANDLER: 0
; COMPUTE_PGM_RSRC2:TGID_X_EN: 1
; COMPUTE_PGM_RSRC2:TGID_Y_EN: 0
; COMPUTE_PGM_RSRC2:TGID_Z_EN: 0
; COMPUTE_PGM_RSRC2:TIDIG_COMP_CNT: 0
; COMPUTE_PGM_RSRC3_GFX90A:ACCUM_OFFSET: 0
; COMPUTE_PGM_RSRC3_GFX90A:TG_SPLIT: 0
	.section	.text._ZN7rocprim17ROCPRIM_400000_NS6detail44device_merge_sort_compile_time_verifier_archINS1_11comp_targetILNS1_3genE10ELNS1_11target_archE1200ELNS1_3gpuE4ELNS1_3repE0EEENS3_ILS4_10ELS5_1201ELS6_5ELS7_0EEENS1_28merge_sort_block_sort_configILj256ELj4ELNS0_20block_sort_algorithmE0EEENS0_14default_configENS1_37merge_sort_block_sort_config_selectorIaNS0_10empty_typeEEENS1_38merge_sort_block_merge_config_selectorIaSF_EEEEvv,"axG",@progbits,_ZN7rocprim17ROCPRIM_400000_NS6detail44device_merge_sort_compile_time_verifier_archINS1_11comp_targetILNS1_3genE10ELNS1_11target_archE1200ELNS1_3gpuE4ELNS1_3repE0EEENS3_ILS4_10ELS5_1201ELS6_5ELS7_0EEENS1_28merge_sort_block_sort_configILj256ELj4ELNS0_20block_sort_algorithmE0EEENS0_14default_configENS1_37merge_sort_block_sort_config_selectorIaNS0_10empty_typeEEENS1_38merge_sort_block_merge_config_selectorIaSF_EEEEvv,comdat
	.protected	_ZN7rocprim17ROCPRIM_400000_NS6detail44device_merge_sort_compile_time_verifier_archINS1_11comp_targetILNS1_3genE10ELNS1_11target_archE1200ELNS1_3gpuE4ELNS1_3repE0EEENS3_ILS4_10ELS5_1201ELS6_5ELS7_0EEENS1_28merge_sort_block_sort_configILj256ELj4ELNS0_20block_sort_algorithmE0EEENS0_14default_configENS1_37merge_sort_block_sort_config_selectorIaNS0_10empty_typeEEENS1_38merge_sort_block_merge_config_selectorIaSF_EEEEvv ; -- Begin function _ZN7rocprim17ROCPRIM_400000_NS6detail44device_merge_sort_compile_time_verifier_archINS1_11comp_targetILNS1_3genE10ELNS1_11target_archE1200ELNS1_3gpuE4ELNS1_3repE0EEENS3_ILS4_10ELS5_1201ELS6_5ELS7_0EEENS1_28merge_sort_block_sort_configILj256ELj4ELNS0_20block_sort_algorithmE0EEENS0_14default_configENS1_37merge_sort_block_sort_config_selectorIaNS0_10empty_typeEEENS1_38merge_sort_block_merge_config_selectorIaSF_EEEEvv
	.globl	_ZN7rocprim17ROCPRIM_400000_NS6detail44device_merge_sort_compile_time_verifier_archINS1_11comp_targetILNS1_3genE10ELNS1_11target_archE1200ELNS1_3gpuE4ELNS1_3repE0EEENS3_ILS4_10ELS5_1201ELS6_5ELS7_0EEENS1_28merge_sort_block_sort_configILj256ELj4ELNS0_20block_sort_algorithmE0EEENS0_14default_configENS1_37merge_sort_block_sort_config_selectorIaNS0_10empty_typeEEENS1_38merge_sort_block_merge_config_selectorIaSF_EEEEvv
	.p2align	8
	.type	_ZN7rocprim17ROCPRIM_400000_NS6detail44device_merge_sort_compile_time_verifier_archINS1_11comp_targetILNS1_3genE10ELNS1_11target_archE1200ELNS1_3gpuE4ELNS1_3repE0EEENS3_ILS4_10ELS5_1201ELS6_5ELS7_0EEENS1_28merge_sort_block_sort_configILj256ELj4ELNS0_20block_sort_algorithmE0EEENS0_14default_configENS1_37merge_sort_block_sort_config_selectorIaNS0_10empty_typeEEENS1_38merge_sort_block_merge_config_selectorIaSF_EEEEvv,@function
_ZN7rocprim17ROCPRIM_400000_NS6detail44device_merge_sort_compile_time_verifier_archINS1_11comp_targetILNS1_3genE10ELNS1_11target_archE1200ELNS1_3gpuE4ELNS1_3repE0EEENS3_ILS4_10ELS5_1201ELS6_5ELS7_0EEENS1_28merge_sort_block_sort_configILj256ELj4ELNS0_20block_sort_algorithmE0EEENS0_14default_configENS1_37merge_sort_block_sort_config_selectorIaNS0_10empty_typeEEENS1_38merge_sort_block_merge_config_selectorIaSF_EEEEvv: ; @_ZN7rocprim17ROCPRIM_400000_NS6detail44device_merge_sort_compile_time_verifier_archINS1_11comp_targetILNS1_3genE10ELNS1_11target_archE1200ELNS1_3gpuE4ELNS1_3repE0EEENS3_ILS4_10ELS5_1201ELS6_5ELS7_0EEENS1_28merge_sort_block_sort_configILj256ELj4ELNS0_20block_sort_algorithmE0EEENS0_14default_configENS1_37merge_sort_block_sort_config_selectorIaNS0_10empty_typeEEENS1_38merge_sort_block_merge_config_selectorIaSF_EEEEvv
; %bb.0:
	s_endpgm
	.section	.rodata,"a",@progbits
	.p2align	6, 0x0
	.amdhsa_kernel _ZN7rocprim17ROCPRIM_400000_NS6detail44device_merge_sort_compile_time_verifier_archINS1_11comp_targetILNS1_3genE10ELNS1_11target_archE1200ELNS1_3gpuE4ELNS1_3repE0EEENS3_ILS4_10ELS5_1201ELS6_5ELS7_0EEENS1_28merge_sort_block_sort_configILj256ELj4ELNS0_20block_sort_algorithmE0EEENS0_14default_configENS1_37merge_sort_block_sort_config_selectorIaNS0_10empty_typeEEENS1_38merge_sort_block_merge_config_selectorIaSF_EEEEvv
		.amdhsa_group_segment_fixed_size 0
		.amdhsa_private_segment_fixed_size 0
		.amdhsa_kernarg_size 0
		.amdhsa_user_sgpr_count 4
		.amdhsa_user_sgpr_private_segment_buffer 1
		.amdhsa_user_sgpr_dispatch_ptr 0
		.amdhsa_user_sgpr_queue_ptr 0
		.amdhsa_user_sgpr_kernarg_segment_ptr 0
		.amdhsa_user_sgpr_dispatch_id 0
		.amdhsa_user_sgpr_flat_scratch_init 0
		.amdhsa_user_sgpr_kernarg_preload_length 0
		.amdhsa_user_sgpr_kernarg_preload_offset 0
		.amdhsa_user_sgpr_private_segment_size 0
		.amdhsa_uses_dynamic_stack 0
		.amdhsa_system_sgpr_private_segment_wavefront_offset 0
		.amdhsa_system_sgpr_workgroup_id_x 1
		.amdhsa_system_sgpr_workgroup_id_y 0
		.amdhsa_system_sgpr_workgroup_id_z 0
		.amdhsa_system_sgpr_workgroup_info 0
		.amdhsa_system_vgpr_workitem_id 0
		.amdhsa_next_free_vgpr 1
		.amdhsa_next_free_sgpr 0
		.amdhsa_accum_offset 4
		.amdhsa_reserve_vcc 0
		.amdhsa_reserve_flat_scratch 0
		.amdhsa_float_round_mode_32 0
		.amdhsa_float_round_mode_16_64 0
		.amdhsa_float_denorm_mode_32 3
		.amdhsa_float_denorm_mode_16_64 3
		.amdhsa_dx10_clamp 1
		.amdhsa_ieee_mode 1
		.amdhsa_fp16_overflow 0
		.amdhsa_tg_split 0
		.amdhsa_exception_fp_ieee_invalid_op 0
		.amdhsa_exception_fp_denorm_src 0
		.amdhsa_exception_fp_ieee_div_zero 0
		.amdhsa_exception_fp_ieee_overflow 0
		.amdhsa_exception_fp_ieee_underflow 0
		.amdhsa_exception_fp_ieee_inexact 0
		.amdhsa_exception_int_div_zero 0
	.end_amdhsa_kernel
	.section	.text._ZN7rocprim17ROCPRIM_400000_NS6detail44device_merge_sort_compile_time_verifier_archINS1_11comp_targetILNS1_3genE10ELNS1_11target_archE1200ELNS1_3gpuE4ELNS1_3repE0EEENS3_ILS4_10ELS5_1201ELS6_5ELS7_0EEENS1_28merge_sort_block_sort_configILj256ELj4ELNS0_20block_sort_algorithmE0EEENS0_14default_configENS1_37merge_sort_block_sort_config_selectorIaNS0_10empty_typeEEENS1_38merge_sort_block_merge_config_selectorIaSF_EEEEvv,"axG",@progbits,_ZN7rocprim17ROCPRIM_400000_NS6detail44device_merge_sort_compile_time_verifier_archINS1_11comp_targetILNS1_3genE10ELNS1_11target_archE1200ELNS1_3gpuE4ELNS1_3repE0EEENS3_ILS4_10ELS5_1201ELS6_5ELS7_0EEENS1_28merge_sort_block_sort_configILj256ELj4ELNS0_20block_sort_algorithmE0EEENS0_14default_configENS1_37merge_sort_block_sort_config_selectorIaNS0_10empty_typeEEENS1_38merge_sort_block_merge_config_selectorIaSF_EEEEvv,comdat
.Lfunc_end133:
	.size	_ZN7rocprim17ROCPRIM_400000_NS6detail44device_merge_sort_compile_time_verifier_archINS1_11comp_targetILNS1_3genE10ELNS1_11target_archE1200ELNS1_3gpuE4ELNS1_3repE0EEENS3_ILS4_10ELS5_1201ELS6_5ELS7_0EEENS1_28merge_sort_block_sort_configILj256ELj4ELNS0_20block_sort_algorithmE0EEENS0_14default_configENS1_37merge_sort_block_sort_config_selectorIaNS0_10empty_typeEEENS1_38merge_sort_block_merge_config_selectorIaSF_EEEEvv, .Lfunc_end133-_ZN7rocprim17ROCPRIM_400000_NS6detail44device_merge_sort_compile_time_verifier_archINS1_11comp_targetILNS1_3genE10ELNS1_11target_archE1200ELNS1_3gpuE4ELNS1_3repE0EEENS3_ILS4_10ELS5_1201ELS6_5ELS7_0EEENS1_28merge_sort_block_sort_configILj256ELj4ELNS0_20block_sort_algorithmE0EEENS0_14default_configENS1_37merge_sort_block_sort_config_selectorIaNS0_10empty_typeEEENS1_38merge_sort_block_merge_config_selectorIaSF_EEEEvv
                                        ; -- End function
	.section	.AMDGPU.csdata,"",@progbits
; Kernel info:
; codeLenInByte = 4
; NumSgprs: 4
; NumVgprs: 0
; NumAgprs: 0
; TotalNumVgprs: 0
; ScratchSize: 0
; MemoryBound: 0
; FloatMode: 240
; IeeeMode: 1
; LDSByteSize: 0 bytes/workgroup (compile time only)
; SGPRBlocks: 0
; VGPRBlocks: 0
; NumSGPRsForWavesPerEU: 4
; NumVGPRsForWavesPerEU: 1
; AccumOffset: 4
; Occupancy: 8
; WaveLimiterHint : 0
; COMPUTE_PGM_RSRC2:SCRATCH_EN: 0
; COMPUTE_PGM_RSRC2:USER_SGPR: 4
; COMPUTE_PGM_RSRC2:TRAP_HANDLER: 0
; COMPUTE_PGM_RSRC2:TGID_X_EN: 1
; COMPUTE_PGM_RSRC2:TGID_Y_EN: 0
; COMPUTE_PGM_RSRC2:TGID_Z_EN: 0
; COMPUTE_PGM_RSRC2:TIDIG_COMP_CNT: 0
; COMPUTE_PGM_RSRC3_GFX90A:ACCUM_OFFSET: 0
; COMPUTE_PGM_RSRC3_GFX90A:TG_SPLIT: 0
	.section	.text._ZN7rocprim17ROCPRIM_400000_NS6detail44device_merge_sort_compile_time_verifier_archINS1_11comp_targetILNS1_3genE9ELNS1_11target_archE1100ELNS1_3gpuE3ELNS1_3repE0EEES8_NS1_28merge_sort_block_sort_configILj256ELj4ELNS0_20block_sort_algorithmE0EEENS0_14default_configENS1_37merge_sort_block_sort_config_selectorIaNS0_10empty_typeEEENS1_38merge_sort_block_merge_config_selectorIaSE_EEEEvv,"axG",@progbits,_ZN7rocprim17ROCPRIM_400000_NS6detail44device_merge_sort_compile_time_verifier_archINS1_11comp_targetILNS1_3genE9ELNS1_11target_archE1100ELNS1_3gpuE3ELNS1_3repE0EEES8_NS1_28merge_sort_block_sort_configILj256ELj4ELNS0_20block_sort_algorithmE0EEENS0_14default_configENS1_37merge_sort_block_sort_config_selectorIaNS0_10empty_typeEEENS1_38merge_sort_block_merge_config_selectorIaSE_EEEEvv,comdat
	.protected	_ZN7rocprim17ROCPRIM_400000_NS6detail44device_merge_sort_compile_time_verifier_archINS1_11comp_targetILNS1_3genE9ELNS1_11target_archE1100ELNS1_3gpuE3ELNS1_3repE0EEES8_NS1_28merge_sort_block_sort_configILj256ELj4ELNS0_20block_sort_algorithmE0EEENS0_14default_configENS1_37merge_sort_block_sort_config_selectorIaNS0_10empty_typeEEENS1_38merge_sort_block_merge_config_selectorIaSE_EEEEvv ; -- Begin function _ZN7rocprim17ROCPRIM_400000_NS6detail44device_merge_sort_compile_time_verifier_archINS1_11comp_targetILNS1_3genE9ELNS1_11target_archE1100ELNS1_3gpuE3ELNS1_3repE0EEES8_NS1_28merge_sort_block_sort_configILj256ELj4ELNS0_20block_sort_algorithmE0EEENS0_14default_configENS1_37merge_sort_block_sort_config_selectorIaNS0_10empty_typeEEENS1_38merge_sort_block_merge_config_selectorIaSE_EEEEvv
	.globl	_ZN7rocprim17ROCPRIM_400000_NS6detail44device_merge_sort_compile_time_verifier_archINS1_11comp_targetILNS1_3genE9ELNS1_11target_archE1100ELNS1_3gpuE3ELNS1_3repE0EEES8_NS1_28merge_sort_block_sort_configILj256ELj4ELNS0_20block_sort_algorithmE0EEENS0_14default_configENS1_37merge_sort_block_sort_config_selectorIaNS0_10empty_typeEEENS1_38merge_sort_block_merge_config_selectorIaSE_EEEEvv
	.p2align	8
	.type	_ZN7rocprim17ROCPRIM_400000_NS6detail44device_merge_sort_compile_time_verifier_archINS1_11comp_targetILNS1_3genE9ELNS1_11target_archE1100ELNS1_3gpuE3ELNS1_3repE0EEES8_NS1_28merge_sort_block_sort_configILj256ELj4ELNS0_20block_sort_algorithmE0EEENS0_14default_configENS1_37merge_sort_block_sort_config_selectorIaNS0_10empty_typeEEENS1_38merge_sort_block_merge_config_selectorIaSE_EEEEvv,@function
_ZN7rocprim17ROCPRIM_400000_NS6detail44device_merge_sort_compile_time_verifier_archINS1_11comp_targetILNS1_3genE9ELNS1_11target_archE1100ELNS1_3gpuE3ELNS1_3repE0EEES8_NS1_28merge_sort_block_sort_configILj256ELj4ELNS0_20block_sort_algorithmE0EEENS0_14default_configENS1_37merge_sort_block_sort_config_selectorIaNS0_10empty_typeEEENS1_38merge_sort_block_merge_config_selectorIaSE_EEEEvv: ; @_ZN7rocprim17ROCPRIM_400000_NS6detail44device_merge_sort_compile_time_verifier_archINS1_11comp_targetILNS1_3genE9ELNS1_11target_archE1100ELNS1_3gpuE3ELNS1_3repE0EEES8_NS1_28merge_sort_block_sort_configILj256ELj4ELNS0_20block_sort_algorithmE0EEENS0_14default_configENS1_37merge_sort_block_sort_config_selectorIaNS0_10empty_typeEEENS1_38merge_sort_block_merge_config_selectorIaSE_EEEEvv
; %bb.0:
	s_endpgm
	.section	.rodata,"a",@progbits
	.p2align	6, 0x0
	.amdhsa_kernel _ZN7rocprim17ROCPRIM_400000_NS6detail44device_merge_sort_compile_time_verifier_archINS1_11comp_targetILNS1_3genE9ELNS1_11target_archE1100ELNS1_3gpuE3ELNS1_3repE0EEES8_NS1_28merge_sort_block_sort_configILj256ELj4ELNS0_20block_sort_algorithmE0EEENS0_14default_configENS1_37merge_sort_block_sort_config_selectorIaNS0_10empty_typeEEENS1_38merge_sort_block_merge_config_selectorIaSE_EEEEvv
		.amdhsa_group_segment_fixed_size 0
		.amdhsa_private_segment_fixed_size 0
		.amdhsa_kernarg_size 0
		.amdhsa_user_sgpr_count 4
		.amdhsa_user_sgpr_private_segment_buffer 1
		.amdhsa_user_sgpr_dispatch_ptr 0
		.amdhsa_user_sgpr_queue_ptr 0
		.amdhsa_user_sgpr_kernarg_segment_ptr 0
		.amdhsa_user_sgpr_dispatch_id 0
		.amdhsa_user_sgpr_flat_scratch_init 0
		.amdhsa_user_sgpr_kernarg_preload_length 0
		.amdhsa_user_sgpr_kernarg_preload_offset 0
		.amdhsa_user_sgpr_private_segment_size 0
		.amdhsa_uses_dynamic_stack 0
		.amdhsa_system_sgpr_private_segment_wavefront_offset 0
		.amdhsa_system_sgpr_workgroup_id_x 1
		.amdhsa_system_sgpr_workgroup_id_y 0
		.amdhsa_system_sgpr_workgroup_id_z 0
		.amdhsa_system_sgpr_workgroup_info 0
		.amdhsa_system_vgpr_workitem_id 0
		.amdhsa_next_free_vgpr 1
		.amdhsa_next_free_sgpr 0
		.amdhsa_accum_offset 4
		.amdhsa_reserve_vcc 0
		.amdhsa_reserve_flat_scratch 0
		.amdhsa_float_round_mode_32 0
		.amdhsa_float_round_mode_16_64 0
		.amdhsa_float_denorm_mode_32 3
		.amdhsa_float_denorm_mode_16_64 3
		.amdhsa_dx10_clamp 1
		.amdhsa_ieee_mode 1
		.amdhsa_fp16_overflow 0
		.amdhsa_tg_split 0
		.amdhsa_exception_fp_ieee_invalid_op 0
		.amdhsa_exception_fp_denorm_src 0
		.amdhsa_exception_fp_ieee_div_zero 0
		.amdhsa_exception_fp_ieee_overflow 0
		.amdhsa_exception_fp_ieee_underflow 0
		.amdhsa_exception_fp_ieee_inexact 0
		.amdhsa_exception_int_div_zero 0
	.end_amdhsa_kernel
	.section	.text._ZN7rocprim17ROCPRIM_400000_NS6detail44device_merge_sort_compile_time_verifier_archINS1_11comp_targetILNS1_3genE9ELNS1_11target_archE1100ELNS1_3gpuE3ELNS1_3repE0EEES8_NS1_28merge_sort_block_sort_configILj256ELj4ELNS0_20block_sort_algorithmE0EEENS0_14default_configENS1_37merge_sort_block_sort_config_selectorIaNS0_10empty_typeEEENS1_38merge_sort_block_merge_config_selectorIaSE_EEEEvv,"axG",@progbits,_ZN7rocprim17ROCPRIM_400000_NS6detail44device_merge_sort_compile_time_verifier_archINS1_11comp_targetILNS1_3genE9ELNS1_11target_archE1100ELNS1_3gpuE3ELNS1_3repE0EEES8_NS1_28merge_sort_block_sort_configILj256ELj4ELNS0_20block_sort_algorithmE0EEENS0_14default_configENS1_37merge_sort_block_sort_config_selectorIaNS0_10empty_typeEEENS1_38merge_sort_block_merge_config_selectorIaSE_EEEEvv,comdat
.Lfunc_end134:
	.size	_ZN7rocprim17ROCPRIM_400000_NS6detail44device_merge_sort_compile_time_verifier_archINS1_11comp_targetILNS1_3genE9ELNS1_11target_archE1100ELNS1_3gpuE3ELNS1_3repE0EEES8_NS1_28merge_sort_block_sort_configILj256ELj4ELNS0_20block_sort_algorithmE0EEENS0_14default_configENS1_37merge_sort_block_sort_config_selectorIaNS0_10empty_typeEEENS1_38merge_sort_block_merge_config_selectorIaSE_EEEEvv, .Lfunc_end134-_ZN7rocprim17ROCPRIM_400000_NS6detail44device_merge_sort_compile_time_verifier_archINS1_11comp_targetILNS1_3genE9ELNS1_11target_archE1100ELNS1_3gpuE3ELNS1_3repE0EEES8_NS1_28merge_sort_block_sort_configILj256ELj4ELNS0_20block_sort_algorithmE0EEENS0_14default_configENS1_37merge_sort_block_sort_config_selectorIaNS0_10empty_typeEEENS1_38merge_sort_block_merge_config_selectorIaSE_EEEEvv
                                        ; -- End function
	.section	.AMDGPU.csdata,"",@progbits
; Kernel info:
; codeLenInByte = 4
; NumSgprs: 4
; NumVgprs: 0
; NumAgprs: 0
; TotalNumVgprs: 0
; ScratchSize: 0
; MemoryBound: 0
; FloatMode: 240
; IeeeMode: 1
; LDSByteSize: 0 bytes/workgroup (compile time only)
; SGPRBlocks: 0
; VGPRBlocks: 0
; NumSGPRsForWavesPerEU: 4
; NumVGPRsForWavesPerEU: 1
; AccumOffset: 4
; Occupancy: 8
; WaveLimiterHint : 0
; COMPUTE_PGM_RSRC2:SCRATCH_EN: 0
; COMPUTE_PGM_RSRC2:USER_SGPR: 4
; COMPUTE_PGM_RSRC2:TRAP_HANDLER: 0
; COMPUTE_PGM_RSRC2:TGID_X_EN: 1
; COMPUTE_PGM_RSRC2:TGID_Y_EN: 0
; COMPUTE_PGM_RSRC2:TGID_Z_EN: 0
; COMPUTE_PGM_RSRC2:TIDIG_COMP_CNT: 0
; COMPUTE_PGM_RSRC3_GFX90A:ACCUM_OFFSET: 0
; COMPUTE_PGM_RSRC3_GFX90A:TG_SPLIT: 0
	.section	.text._ZN7rocprim17ROCPRIM_400000_NS6detail44device_merge_sort_compile_time_verifier_archINS1_11comp_targetILNS1_3genE8ELNS1_11target_archE1030ELNS1_3gpuE2ELNS1_3repE0EEES8_NS1_28merge_sort_block_sort_configILj256ELj4ELNS0_20block_sort_algorithmE0EEENS0_14default_configENS1_37merge_sort_block_sort_config_selectorIaNS0_10empty_typeEEENS1_38merge_sort_block_merge_config_selectorIaSE_EEEEvv,"axG",@progbits,_ZN7rocprim17ROCPRIM_400000_NS6detail44device_merge_sort_compile_time_verifier_archINS1_11comp_targetILNS1_3genE8ELNS1_11target_archE1030ELNS1_3gpuE2ELNS1_3repE0EEES8_NS1_28merge_sort_block_sort_configILj256ELj4ELNS0_20block_sort_algorithmE0EEENS0_14default_configENS1_37merge_sort_block_sort_config_selectorIaNS0_10empty_typeEEENS1_38merge_sort_block_merge_config_selectorIaSE_EEEEvv,comdat
	.protected	_ZN7rocprim17ROCPRIM_400000_NS6detail44device_merge_sort_compile_time_verifier_archINS1_11comp_targetILNS1_3genE8ELNS1_11target_archE1030ELNS1_3gpuE2ELNS1_3repE0EEES8_NS1_28merge_sort_block_sort_configILj256ELj4ELNS0_20block_sort_algorithmE0EEENS0_14default_configENS1_37merge_sort_block_sort_config_selectorIaNS0_10empty_typeEEENS1_38merge_sort_block_merge_config_selectorIaSE_EEEEvv ; -- Begin function _ZN7rocprim17ROCPRIM_400000_NS6detail44device_merge_sort_compile_time_verifier_archINS1_11comp_targetILNS1_3genE8ELNS1_11target_archE1030ELNS1_3gpuE2ELNS1_3repE0EEES8_NS1_28merge_sort_block_sort_configILj256ELj4ELNS0_20block_sort_algorithmE0EEENS0_14default_configENS1_37merge_sort_block_sort_config_selectorIaNS0_10empty_typeEEENS1_38merge_sort_block_merge_config_selectorIaSE_EEEEvv
	.globl	_ZN7rocprim17ROCPRIM_400000_NS6detail44device_merge_sort_compile_time_verifier_archINS1_11comp_targetILNS1_3genE8ELNS1_11target_archE1030ELNS1_3gpuE2ELNS1_3repE0EEES8_NS1_28merge_sort_block_sort_configILj256ELj4ELNS0_20block_sort_algorithmE0EEENS0_14default_configENS1_37merge_sort_block_sort_config_selectorIaNS0_10empty_typeEEENS1_38merge_sort_block_merge_config_selectorIaSE_EEEEvv
	.p2align	8
	.type	_ZN7rocprim17ROCPRIM_400000_NS6detail44device_merge_sort_compile_time_verifier_archINS1_11comp_targetILNS1_3genE8ELNS1_11target_archE1030ELNS1_3gpuE2ELNS1_3repE0EEES8_NS1_28merge_sort_block_sort_configILj256ELj4ELNS0_20block_sort_algorithmE0EEENS0_14default_configENS1_37merge_sort_block_sort_config_selectorIaNS0_10empty_typeEEENS1_38merge_sort_block_merge_config_selectorIaSE_EEEEvv,@function
_ZN7rocprim17ROCPRIM_400000_NS6detail44device_merge_sort_compile_time_verifier_archINS1_11comp_targetILNS1_3genE8ELNS1_11target_archE1030ELNS1_3gpuE2ELNS1_3repE0EEES8_NS1_28merge_sort_block_sort_configILj256ELj4ELNS0_20block_sort_algorithmE0EEENS0_14default_configENS1_37merge_sort_block_sort_config_selectorIaNS0_10empty_typeEEENS1_38merge_sort_block_merge_config_selectorIaSE_EEEEvv: ; @_ZN7rocprim17ROCPRIM_400000_NS6detail44device_merge_sort_compile_time_verifier_archINS1_11comp_targetILNS1_3genE8ELNS1_11target_archE1030ELNS1_3gpuE2ELNS1_3repE0EEES8_NS1_28merge_sort_block_sort_configILj256ELj4ELNS0_20block_sort_algorithmE0EEENS0_14default_configENS1_37merge_sort_block_sort_config_selectorIaNS0_10empty_typeEEENS1_38merge_sort_block_merge_config_selectorIaSE_EEEEvv
; %bb.0:
	s_endpgm
	.section	.rodata,"a",@progbits
	.p2align	6, 0x0
	.amdhsa_kernel _ZN7rocprim17ROCPRIM_400000_NS6detail44device_merge_sort_compile_time_verifier_archINS1_11comp_targetILNS1_3genE8ELNS1_11target_archE1030ELNS1_3gpuE2ELNS1_3repE0EEES8_NS1_28merge_sort_block_sort_configILj256ELj4ELNS0_20block_sort_algorithmE0EEENS0_14default_configENS1_37merge_sort_block_sort_config_selectorIaNS0_10empty_typeEEENS1_38merge_sort_block_merge_config_selectorIaSE_EEEEvv
		.amdhsa_group_segment_fixed_size 0
		.amdhsa_private_segment_fixed_size 0
		.amdhsa_kernarg_size 0
		.amdhsa_user_sgpr_count 4
		.amdhsa_user_sgpr_private_segment_buffer 1
		.amdhsa_user_sgpr_dispatch_ptr 0
		.amdhsa_user_sgpr_queue_ptr 0
		.amdhsa_user_sgpr_kernarg_segment_ptr 0
		.amdhsa_user_sgpr_dispatch_id 0
		.amdhsa_user_sgpr_flat_scratch_init 0
		.amdhsa_user_sgpr_kernarg_preload_length 0
		.amdhsa_user_sgpr_kernarg_preload_offset 0
		.amdhsa_user_sgpr_private_segment_size 0
		.amdhsa_uses_dynamic_stack 0
		.amdhsa_system_sgpr_private_segment_wavefront_offset 0
		.amdhsa_system_sgpr_workgroup_id_x 1
		.amdhsa_system_sgpr_workgroup_id_y 0
		.amdhsa_system_sgpr_workgroup_id_z 0
		.amdhsa_system_sgpr_workgroup_info 0
		.amdhsa_system_vgpr_workitem_id 0
		.amdhsa_next_free_vgpr 1
		.amdhsa_next_free_sgpr 0
		.amdhsa_accum_offset 4
		.amdhsa_reserve_vcc 0
		.amdhsa_reserve_flat_scratch 0
		.amdhsa_float_round_mode_32 0
		.amdhsa_float_round_mode_16_64 0
		.amdhsa_float_denorm_mode_32 3
		.amdhsa_float_denorm_mode_16_64 3
		.amdhsa_dx10_clamp 1
		.amdhsa_ieee_mode 1
		.amdhsa_fp16_overflow 0
		.amdhsa_tg_split 0
		.amdhsa_exception_fp_ieee_invalid_op 0
		.amdhsa_exception_fp_denorm_src 0
		.amdhsa_exception_fp_ieee_div_zero 0
		.amdhsa_exception_fp_ieee_overflow 0
		.amdhsa_exception_fp_ieee_underflow 0
		.amdhsa_exception_fp_ieee_inexact 0
		.amdhsa_exception_int_div_zero 0
	.end_amdhsa_kernel
	.section	.text._ZN7rocprim17ROCPRIM_400000_NS6detail44device_merge_sort_compile_time_verifier_archINS1_11comp_targetILNS1_3genE8ELNS1_11target_archE1030ELNS1_3gpuE2ELNS1_3repE0EEES8_NS1_28merge_sort_block_sort_configILj256ELj4ELNS0_20block_sort_algorithmE0EEENS0_14default_configENS1_37merge_sort_block_sort_config_selectorIaNS0_10empty_typeEEENS1_38merge_sort_block_merge_config_selectorIaSE_EEEEvv,"axG",@progbits,_ZN7rocprim17ROCPRIM_400000_NS6detail44device_merge_sort_compile_time_verifier_archINS1_11comp_targetILNS1_3genE8ELNS1_11target_archE1030ELNS1_3gpuE2ELNS1_3repE0EEES8_NS1_28merge_sort_block_sort_configILj256ELj4ELNS0_20block_sort_algorithmE0EEENS0_14default_configENS1_37merge_sort_block_sort_config_selectorIaNS0_10empty_typeEEENS1_38merge_sort_block_merge_config_selectorIaSE_EEEEvv,comdat
.Lfunc_end135:
	.size	_ZN7rocprim17ROCPRIM_400000_NS6detail44device_merge_sort_compile_time_verifier_archINS1_11comp_targetILNS1_3genE8ELNS1_11target_archE1030ELNS1_3gpuE2ELNS1_3repE0EEES8_NS1_28merge_sort_block_sort_configILj256ELj4ELNS0_20block_sort_algorithmE0EEENS0_14default_configENS1_37merge_sort_block_sort_config_selectorIaNS0_10empty_typeEEENS1_38merge_sort_block_merge_config_selectorIaSE_EEEEvv, .Lfunc_end135-_ZN7rocprim17ROCPRIM_400000_NS6detail44device_merge_sort_compile_time_verifier_archINS1_11comp_targetILNS1_3genE8ELNS1_11target_archE1030ELNS1_3gpuE2ELNS1_3repE0EEES8_NS1_28merge_sort_block_sort_configILj256ELj4ELNS0_20block_sort_algorithmE0EEENS0_14default_configENS1_37merge_sort_block_sort_config_selectorIaNS0_10empty_typeEEENS1_38merge_sort_block_merge_config_selectorIaSE_EEEEvv
                                        ; -- End function
	.section	.AMDGPU.csdata,"",@progbits
; Kernel info:
; codeLenInByte = 4
; NumSgprs: 4
; NumVgprs: 0
; NumAgprs: 0
; TotalNumVgprs: 0
; ScratchSize: 0
; MemoryBound: 0
; FloatMode: 240
; IeeeMode: 1
; LDSByteSize: 0 bytes/workgroup (compile time only)
; SGPRBlocks: 0
; VGPRBlocks: 0
; NumSGPRsForWavesPerEU: 4
; NumVGPRsForWavesPerEU: 1
; AccumOffset: 4
; Occupancy: 8
; WaveLimiterHint : 0
; COMPUTE_PGM_RSRC2:SCRATCH_EN: 0
; COMPUTE_PGM_RSRC2:USER_SGPR: 4
; COMPUTE_PGM_RSRC2:TRAP_HANDLER: 0
; COMPUTE_PGM_RSRC2:TGID_X_EN: 1
; COMPUTE_PGM_RSRC2:TGID_Y_EN: 0
; COMPUTE_PGM_RSRC2:TGID_Z_EN: 0
; COMPUTE_PGM_RSRC2:TIDIG_COMP_CNT: 0
; COMPUTE_PGM_RSRC3_GFX90A:ACCUM_OFFSET: 0
; COMPUTE_PGM_RSRC3_GFX90A:TG_SPLIT: 0
	.section	.text._ZN7rocprim17ROCPRIM_400000_NS6detail17trampoline_kernelINS0_14default_configENS1_38merge_sort_block_merge_config_selectorIaNS0_10empty_typeEEEZZNS1_27merge_sort_block_merge_implIS3_PaPS5_jNS1_19radix_merge_compareILb0ELb0EaNS0_19identity_decomposerEEEEE10hipError_tT0_T1_T2_jT3_P12ihipStream_tbPNSt15iterator_traitsISE_E10value_typeEPNSK_ISF_E10value_typeEPSG_NS1_7vsmem_tEENKUlT_SE_SF_SG_E_clIS8_S8_S9_S9_EESD_ST_SE_SF_SG_EUlST_E_NS1_11comp_targetILNS1_3genE0ELNS1_11target_archE4294967295ELNS1_3gpuE0ELNS1_3repE0EEENS1_48merge_mergepath_partition_config_static_selectorELNS0_4arch9wavefront6targetE1EEEvSF_,"axG",@progbits,_ZN7rocprim17ROCPRIM_400000_NS6detail17trampoline_kernelINS0_14default_configENS1_38merge_sort_block_merge_config_selectorIaNS0_10empty_typeEEEZZNS1_27merge_sort_block_merge_implIS3_PaPS5_jNS1_19radix_merge_compareILb0ELb0EaNS0_19identity_decomposerEEEEE10hipError_tT0_T1_T2_jT3_P12ihipStream_tbPNSt15iterator_traitsISE_E10value_typeEPNSK_ISF_E10value_typeEPSG_NS1_7vsmem_tEENKUlT_SE_SF_SG_E_clIS8_S8_S9_S9_EESD_ST_SE_SF_SG_EUlST_E_NS1_11comp_targetILNS1_3genE0ELNS1_11target_archE4294967295ELNS1_3gpuE0ELNS1_3repE0EEENS1_48merge_mergepath_partition_config_static_selectorELNS0_4arch9wavefront6targetE1EEEvSF_,comdat
	.protected	_ZN7rocprim17ROCPRIM_400000_NS6detail17trampoline_kernelINS0_14default_configENS1_38merge_sort_block_merge_config_selectorIaNS0_10empty_typeEEEZZNS1_27merge_sort_block_merge_implIS3_PaPS5_jNS1_19radix_merge_compareILb0ELb0EaNS0_19identity_decomposerEEEEE10hipError_tT0_T1_T2_jT3_P12ihipStream_tbPNSt15iterator_traitsISE_E10value_typeEPNSK_ISF_E10value_typeEPSG_NS1_7vsmem_tEENKUlT_SE_SF_SG_E_clIS8_S8_S9_S9_EESD_ST_SE_SF_SG_EUlST_E_NS1_11comp_targetILNS1_3genE0ELNS1_11target_archE4294967295ELNS1_3gpuE0ELNS1_3repE0EEENS1_48merge_mergepath_partition_config_static_selectorELNS0_4arch9wavefront6targetE1EEEvSF_ ; -- Begin function _ZN7rocprim17ROCPRIM_400000_NS6detail17trampoline_kernelINS0_14default_configENS1_38merge_sort_block_merge_config_selectorIaNS0_10empty_typeEEEZZNS1_27merge_sort_block_merge_implIS3_PaPS5_jNS1_19radix_merge_compareILb0ELb0EaNS0_19identity_decomposerEEEEE10hipError_tT0_T1_T2_jT3_P12ihipStream_tbPNSt15iterator_traitsISE_E10value_typeEPNSK_ISF_E10value_typeEPSG_NS1_7vsmem_tEENKUlT_SE_SF_SG_E_clIS8_S8_S9_S9_EESD_ST_SE_SF_SG_EUlST_E_NS1_11comp_targetILNS1_3genE0ELNS1_11target_archE4294967295ELNS1_3gpuE0ELNS1_3repE0EEENS1_48merge_mergepath_partition_config_static_selectorELNS0_4arch9wavefront6targetE1EEEvSF_
	.globl	_ZN7rocprim17ROCPRIM_400000_NS6detail17trampoline_kernelINS0_14default_configENS1_38merge_sort_block_merge_config_selectorIaNS0_10empty_typeEEEZZNS1_27merge_sort_block_merge_implIS3_PaPS5_jNS1_19radix_merge_compareILb0ELb0EaNS0_19identity_decomposerEEEEE10hipError_tT0_T1_T2_jT3_P12ihipStream_tbPNSt15iterator_traitsISE_E10value_typeEPNSK_ISF_E10value_typeEPSG_NS1_7vsmem_tEENKUlT_SE_SF_SG_E_clIS8_S8_S9_S9_EESD_ST_SE_SF_SG_EUlST_E_NS1_11comp_targetILNS1_3genE0ELNS1_11target_archE4294967295ELNS1_3gpuE0ELNS1_3repE0EEENS1_48merge_mergepath_partition_config_static_selectorELNS0_4arch9wavefront6targetE1EEEvSF_
	.p2align	8
	.type	_ZN7rocprim17ROCPRIM_400000_NS6detail17trampoline_kernelINS0_14default_configENS1_38merge_sort_block_merge_config_selectorIaNS0_10empty_typeEEEZZNS1_27merge_sort_block_merge_implIS3_PaPS5_jNS1_19radix_merge_compareILb0ELb0EaNS0_19identity_decomposerEEEEE10hipError_tT0_T1_T2_jT3_P12ihipStream_tbPNSt15iterator_traitsISE_E10value_typeEPNSK_ISF_E10value_typeEPSG_NS1_7vsmem_tEENKUlT_SE_SF_SG_E_clIS8_S8_S9_S9_EESD_ST_SE_SF_SG_EUlST_E_NS1_11comp_targetILNS1_3genE0ELNS1_11target_archE4294967295ELNS1_3gpuE0ELNS1_3repE0EEENS1_48merge_mergepath_partition_config_static_selectorELNS0_4arch9wavefront6targetE1EEEvSF_,@function
_ZN7rocprim17ROCPRIM_400000_NS6detail17trampoline_kernelINS0_14default_configENS1_38merge_sort_block_merge_config_selectorIaNS0_10empty_typeEEEZZNS1_27merge_sort_block_merge_implIS3_PaPS5_jNS1_19radix_merge_compareILb0ELb0EaNS0_19identity_decomposerEEEEE10hipError_tT0_T1_T2_jT3_P12ihipStream_tbPNSt15iterator_traitsISE_E10value_typeEPNSK_ISF_E10value_typeEPSG_NS1_7vsmem_tEENKUlT_SE_SF_SG_E_clIS8_S8_S9_S9_EESD_ST_SE_SF_SG_EUlST_E_NS1_11comp_targetILNS1_3genE0ELNS1_11target_archE4294967295ELNS1_3gpuE0ELNS1_3repE0EEENS1_48merge_mergepath_partition_config_static_selectorELNS0_4arch9wavefront6targetE1EEEvSF_: ; @_ZN7rocprim17ROCPRIM_400000_NS6detail17trampoline_kernelINS0_14default_configENS1_38merge_sort_block_merge_config_selectorIaNS0_10empty_typeEEEZZNS1_27merge_sort_block_merge_implIS3_PaPS5_jNS1_19radix_merge_compareILb0ELb0EaNS0_19identity_decomposerEEEEE10hipError_tT0_T1_T2_jT3_P12ihipStream_tbPNSt15iterator_traitsISE_E10value_typeEPNSK_ISF_E10value_typeEPSG_NS1_7vsmem_tEENKUlT_SE_SF_SG_E_clIS8_S8_S9_S9_EESD_ST_SE_SF_SG_EUlST_E_NS1_11comp_targetILNS1_3genE0ELNS1_11target_archE4294967295ELNS1_3gpuE0ELNS1_3repE0EEENS1_48merge_mergepath_partition_config_static_selectorELNS0_4arch9wavefront6targetE1EEEvSF_
; %bb.0:
	.section	.rodata,"a",@progbits
	.p2align	6, 0x0
	.amdhsa_kernel _ZN7rocprim17ROCPRIM_400000_NS6detail17trampoline_kernelINS0_14default_configENS1_38merge_sort_block_merge_config_selectorIaNS0_10empty_typeEEEZZNS1_27merge_sort_block_merge_implIS3_PaPS5_jNS1_19radix_merge_compareILb0ELb0EaNS0_19identity_decomposerEEEEE10hipError_tT0_T1_T2_jT3_P12ihipStream_tbPNSt15iterator_traitsISE_E10value_typeEPNSK_ISF_E10value_typeEPSG_NS1_7vsmem_tEENKUlT_SE_SF_SG_E_clIS8_S8_S9_S9_EESD_ST_SE_SF_SG_EUlST_E_NS1_11comp_targetILNS1_3genE0ELNS1_11target_archE4294967295ELNS1_3gpuE0ELNS1_3repE0EEENS1_48merge_mergepath_partition_config_static_selectorELNS0_4arch9wavefront6targetE1EEEvSF_
		.amdhsa_group_segment_fixed_size 0
		.amdhsa_private_segment_fixed_size 0
		.amdhsa_kernarg_size 40
		.amdhsa_user_sgpr_count 6
		.amdhsa_user_sgpr_private_segment_buffer 1
		.amdhsa_user_sgpr_dispatch_ptr 0
		.amdhsa_user_sgpr_queue_ptr 0
		.amdhsa_user_sgpr_kernarg_segment_ptr 1
		.amdhsa_user_sgpr_dispatch_id 0
		.amdhsa_user_sgpr_flat_scratch_init 0
		.amdhsa_user_sgpr_kernarg_preload_length 0
		.amdhsa_user_sgpr_kernarg_preload_offset 0
		.amdhsa_user_sgpr_private_segment_size 0
		.amdhsa_uses_dynamic_stack 0
		.amdhsa_system_sgpr_private_segment_wavefront_offset 0
		.amdhsa_system_sgpr_workgroup_id_x 1
		.amdhsa_system_sgpr_workgroup_id_y 0
		.amdhsa_system_sgpr_workgroup_id_z 0
		.amdhsa_system_sgpr_workgroup_info 0
		.amdhsa_system_vgpr_workitem_id 0
		.amdhsa_next_free_vgpr 1
		.amdhsa_next_free_sgpr 0
		.amdhsa_accum_offset 4
		.amdhsa_reserve_vcc 0
		.amdhsa_reserve_flat_scratch 0
		.amdhsa_float_round_mode_32 0
		.amdhsa_float_round_mode_16_64 0
		.amdhsa_float_denorm_mode_32 3
		.amdhsa_float_denorm_mode_16_64 3
		.amdhsa_dx10_clamp 1
		.amdhsa_ieee_mode 1
		.amdhsa_fp16_overflow 0
		.amdhsa_tg_split 0
		.amdhsa_exception_fp_ieee_invalid_op 0
		.amdhsa_exception_fp_denorm_src 0
		.amdhsa_exception_fp_ieee_div_zero 0
		.amdhsa_exception_fp_ieee_overflow 0
		.amdhsa_exception_fp_ieee_underflow 0
		.amdhsa_exception_fp_ieee_inexact 0
		.amdhsa_exception_int_div_zero 0
	.end_amdhsa_kernel
	.section	.text._ZN7rocprim17ROCPRIM_400000_NS6detail17trampoline_kernelINS0_14default_configENS1_38merge_sort_block_merge_config_selectorIaNS0_10empty_typeEEEZZNS1_27merge_sort_block_merge_implIS3_PaPS5_jNS1_19radix_merge_compareILb0ELb0EaNS0_19identity_decomposerEEEEE10hipError_tT0_T1_T2_jT3_P12ihipStream_tbPNSt15iterator_traitsISE_E10value_typeEPNSK_ISF_E10value_typeEPSG_NS1_7vsmem_tEENKUlT_SE_SF_SG_E_clIS8_S8_S9_S9_EESD_ST_SE_SF_SG_EUlST_E_NS1_11comp_targetILNS1_3genE0ELNS1_11target_archE4294967295ELNS1_3gpuE0ELNS1_3repE0EEENS1_48merge_mergepath_partition_config_static_selectorELNS0_4arch9wavefront6targetE1EEEvSF_,"axG",@progbits,_ZN7rocprim17ROCPRIM_400000_NS6detail17trampoline_kernelINS0_14default_configENS1_38merge_sort_block_merge_config_selectorIaNS0_10empty_typeEEEZZNS1_27merge_sort_block_merge_implIS3_PaPS5_jNS1_19radix_merge_compareILb0ELb0EaNS0_19identity_decomposerEEEEE10hipError_tT0_T1_T2_jT3_P12ihipStream_tbPNSt15iterator_traitsISE_E10value_typeEPNSK_ISF_E10value_typeEPSG_NS1_7vsmem_tEENKUlT_SE_SF_SG_E_clIS8_S8_S9_S9_EESD_ST_SE_SF_SG_EUlST_E_NS1_11comp_targetILNS1_3genE0ELNS1_11target_archE4294967295ELNS1_3gpuE0ELNS1_3repE0EEENS1_48merge_mergepath_partition_config_static_selectorELNS0_4arch9wavefront6targetE1EEEvSF_,comdat
.Lfunc_end136:
	.size	_ZN7rocprim17ROCPRIM_400000_NS6detail17trampoline_kernelINS0_14default_configENS1_38merge_sort_block_merge_config_selectorIaNS0_10empty_typeEEEZZNS1_27merge_sort_block_merge_implIS3_PaPS5_jNS1_19radix_merge_compareILb0ELb0EaNS0_19identity_decomposerEEEEE10hipError_tT0_T1_T2_jT3_P12ihipStream_tbPNSt15iterator_traitsISE_E10value_typeEPNSK_ISF_E10value_typeEPSG_NS1_7vsmem_tEENKUlT_SE_SF_SG_E_clIS8_S8_S9_S9_EESD_ST_SE_SF_SG_EUlST_E_NS1_11comp_targetILNS1_3genE0ELNS1_11target_archE4294967295ELNS1_3gpuE0ELNS1_3repE0EEENS1_48merge_mergepath_partition_config_static_selectorELNS0_4arch9wavefront6targetE1EEEvSF_, .Lfunc_end136-_ZN7rocprim17ROCPRIM_400000_NS6detail17trampoline_kernelINS0_14default_configENS1_38merge_sort_block_merge_config_selectorIaNS0_10empty_typeEEEZZNS1_27merge_sort_block_merge_implIS3_PaPS5_jNS1_19radix_merge_compareILb0ELb0EaNS0_19identity_decomposerEEEEE10hipError_tT0_T1_T2_jT3_P12ihipStream_tbPNSt15iterator_traitsISE_E10value_typeEPNSK_ISF_E10value_typeEPSG_NS1_7vsmem_tEENKUlT_SE_SF_SG_E_clIS8_S8_S9_S9_EESD_ST_SE_SF_SG_EUlST_E_NS1_11comp_targetILNS1_3genE0ELNS1_11target_archE4294967295ELNS1_3gpuE0ELNS1_3repE0EEENS1_48merge_mergepath_partition_config_static_selectorELNS0_4arch9wavefront6targetE1EEEvSF_
                                        ; -- End function
	.section	.AMDGPU.csdata,"",@progbits
; Kernel info:
; codeLenInByte = 0
; NumSgprs: 4
; NumVgprs: 0
; NumAgprs: 0
; TotalNumVgprs: 0
; ScratchSize: 0
; MemoryBound: 0
; FloatMode: 240
; IeeeMode: 1
; LDSByteSize: 0 bytes/workgroup (compile time only)
; SGPRBlocks: 0
; VGPRBlocks: 0
; NumSGPRsForWavesPerEU: 4
; NumVGPRsForWavesPerEU: 1
; AccumOffset: 4
; Occupancy: 8
; WaveLimiterHint : 0
; COMPUTE_PGM_RSRC2:SCRATCH_EN: 0
; COMPUTE_PGM_RSRC2:USER_SGPR: 6
; COMPUTE_PGM_RSRC2:TRAP_HANDLER: 0
; COMPUTE_PGM_RSRC2:TGID_X_EN: 1
; COMPUTE_PGM_RSRC2:TGID_Y_EN: 0
; COMPUTE_PGM_RSRC2:TGID_Z_EN: 0
; COMPUTE_PGM_RSRC2:TIDIG_COMP_CNT: 0
; COMPUTE_PGM_RSRC3_GFX90A:ACCUM_OFFSET: 0
; COMPUTE_PGM_RSRC3_GFX90A:TG_SPLIT: 0
	.section	.text._ZN7rocprim17ROCPRIM_400000_NS6detail17trampoline_kernelINS0_14default_configENS1_38merge_sort_block_merge_config_selectorIaNS0_10empty_typeEEEZZNS1_27merge_sort_block_merge_implIS3_PaPS5_jNS1_19radix_merge_compareILb0ELb0EaNS0_19identity_decomposerEEEEE10hipError_tT0_T1_T2_jT3_P12ihipStream_tbPNSt15iterator_traitsISE_E10value_typeEPNSK_ISF_E10value_typeEPSG_NS1_7vsmem_tEENKUlT_SE_SF_SG_E_clIS8_S8_S9_S9_EESD_ST_SE_SF_SG_EUlST_E_NS1_11comp_targetILNS1_3genE10ELNS1_11target_archE1201ELNS1_3gpuE5ELNS1_3repE0EEENS1_48merge_mergepath_partition_config_static_selectorELNS0_4arch9wavefront6targetE1EEEvSF_,"axG",@progbits,_ZN7rocprim17ROCPRIM_400000_NS6detail17trampoline_kernelINS0_14default_configENS1_38merge_sort_block_merge_config_selectorIaNS0_10empty_typeEEEZZNS1_27merge_sort_block_merge_implIS3_PaPS5_jNS1_19radix_merge_compareILb0ELb0EaNS0_19identity_decomposerEEEEE10hipError_tT0_T1_T2_jT3_P12ihipStream_tbPNSt15iterator_traitsISE_E10value_typeEPNSK_ISF_E10value_typeEPSG_NS1_7vsmem_tEENKUlT_SE_SF_SG_E_clIS8_S8_S9_S9_EESD_ST_SE_SF_SG_EUlST_E_NS1_11comp_targetILNS1_3genE10ELNS1_11target_archE1201ELNS1_3gpuE5ELNS1_3repE0EEENS1_48merge_mergepath_partition_config_static_selectorELNS0_4arch9wavefront6targetE1EEEvSF_,comdat
	.protected	_ZN7rocprim17ROCPRIM_400000_NS6detail17trampoline_kernelINS0_14default_configENS1_38merge_sort_block_merge_config_selectorIaNS0_10empty_typeEEEZZNS1_27merge_sort_block_merge_implIS3_PaPS5_jNS1_19radix_merge_compareILb0ELb0EaNS0_19identity_decomposerEEEEE10hipError_tT0_T1_T2_jT3_P12ihipStream_tbPNSt15iterator_traitsISE_E10value_typeEPNSK_ISF_E10value_typeEPSG_NS1_7vsmem_tEENKUlT_SE_SF_SG_E_clIS8_S8_S9_S9_EESD_ST_SE_SF_SG_EUlST_E_NS1_11comp_targetILNS1_3genE10ELNS1_11target_archE1201ELNS1_3gpuE5ELNS1_3repE0EEENS1_48merge_mergepath_partition_config_static_selectorELNS0_4arch9wavefront6targetE1EEEvSF_ ; -- Begin function _ZN7rocprim17ROCPRIM_400000_NS6detail17trampoline_kernelINS0_14default_configENS1_38merge_sort_block_merge_config_selectorIaNS0_10empty_typeEEEZZNS1_27merge_sort_block_merge_implIS3_PaPS5_jNS1_19radix_merge_compareILb0ELb0EaNS0_19identity_decomposerEEEEE10hipError_tT0_T1_T2_jT3_P12ihipStream_tbPNSt15iterator_traitsISE_E10value_typeEPNSK_ISF_E10value_typeEPSG_NS1_7vsmem_tEENKUlT_SE_SF_SG_E_clIS8_S8_S9_S9_EESD_ST_SE_SF_SG_EUlST_E_NS1_11comp_targetILNS1_3genE10ELNS1_11target_archE1201ELNS1_3gpuE5ELNS1_3repE0EEENS1_48merge_mergepath_partition_config_static_selectorELNS0_4arch9wavefront6targetE1EEEvSF_
	.globl	_ZN7rocprim17ROCPRIM_400000_NS6detail17trampoline_kernelINS0_14default_configENS1_38merge_sort_block_merge_config_selectorIaNS0_10empty_typeEEEZZNS1_27merge_sort_block_merge_implIS3_PaPS5_jNS1_19radix_merge_compareILb0ELb0EaNS0_19identity_decomposerEEEEE10hipError_tT0_T1_T2_jT3_P12ihipStream_tbPNSt15iterator_traitsISE_E10value_typeEPNSK_ISF_E10value_typeEPSG_NS1_7vsmem_tEENKUlT_SE_SF_SG_E_clIS8_S8_S9_S9_EESD_ST_SE_SF_SG_EUlST_E_NS1_11comp_targetILNS1_3genE10ELNS1_11target_archE1201ELNS1_3gpuE5ELNS1_3repE0EEENS1_48merge_mergepath_partition_config_static_selectorELNS0_4arch9wavefront6targetE1EEEvSF_
	.p2align	8
	.type	_ZN7rocprim17ROCPRIM_400000_NS6detail17trampoline_kernelINS0_14default_configENS1_38merge_sort_block_merge_config_selectorIaNS0_10empty_typeEEEZZNS1_27merge_sort_block_merge_implIS3_PaPS5_jNS1_19radix_merge_compareILb0ELb0EaNS0_19identity_decomposerEEEEE10hipError_tT0_T1_T2_jT3_P12ihipStream_tbPNSt15iterator_traitsISE_E10value_typeEPNSK_ISF_E10value_typeEPSG_NS1_7vsmem_tEENKUlT_SE_SF_SG_E_clIS8_S8_S9_S9_EESD_ST_SE_SF_SG_EUlST_E_NS1_11comp_targetILNS1_3genE10ELNS1_11target_archE1201ELNS1_3gpuE5ELNS1_3repE0EEENS1_48merge_mergepath_partition_config_static_selectorELNS0_4arch9wavefront6targetE1EEEvSF_,@function
_ZN7rocprim17ROCPRIM_400000_NS6detail17trampoline_kernelINS0_14default_configENS1_38merge_sort_block_merge_config_selectorIaNS0_10empty_typeEEEZZNS1_27merge_sort_block_merge_implIS3_PaPS5_jNS1_19radix_merge_compareILb0ELb0EaNS0_19identity_decomposerEEEEE10hipError_tT0_T1_T2_jT3_P12ihipStream_tbPNSt15iterator_traitsISE_E10value_typeEPNSK_ISF_E10value_typeEPSG_NS1_7vsmem_tEENKUlT_SE_SF_SG_E_clIS8_S8_S9_S9_EESD_ST_SE_SF_SG_EUlST_E_NS1_11comp_targetILNS1_3genE10ELNS1_11target_archE1201ELNS1_3gpuE5ELNS1_3repE0EEENS1_48merge_mergepath_partition_config_static_selectorELNS0_4arch9wavefront6targetE1EEEvSF_: ; @_ZN7rocprim17ROCPRIM_400000_NS6detail17trampoline_kernelINS0_14default_configENS1_38merge_sort_block_merge_config_selectorIaNS0_10empty_typeEEEZZNS1_27merge_sort_block_merge_implIS3_PaPS5_jNS1_19radix_merge_compareILb0ELb0EaNS0_19identity_decomposerEEEEE10hipError_tT0_T1_T2_jT3_P12ihipStream_tbPNSt15iterator_traitsISE_E10value_typeEPNSK_ISF_E10value_typeEPSG_NS1_7vsmem_tEENKUlT_SE_SF_SG_E_clIS8_S8_S9_S9_EESD_ST_SE_SF_SG_EUlST_E_NS1_11comp_targetILNS1_3genE10ELNS1_11target_archE1201ELNS1_3gpuE5ELNS1_3repE0EEENS1_48merge_mergepath_partition_config_static_selectorELNS0_4arch9wavefront6targetE1EEEvSF_
; %bb.0:
	.section	.rodata,"a",@progbits
	.p2align	6, 0x0
	.amdhsa_kernel _ZN7rocprim17ROCPRIM_400000_NS6detail17trampoline_kernelINS0_14default_configENS1_38merge_sort_block_merge_config_selectorIaNS0_10empty_typeEEEZZNS1_27merge_sort_block_merge_implIS3_PaPS5_jNS1_19radix_merge_compareILb0ELb0EaNS0_19identity_decomposerEEEEE10hipError_tT0_T1_T2_jT3_P12ihipStream_tbPNSt15iterator_traitsISE_E10value_typeEPNSK_ISF_E10value_typeEPSG_NS1_7vsmem_tEENKUlT_SE_SF_SG_E_clIS8_S8_S9_S9_EESD_ST_SE_SF_SG_EUlST_E_NS1_11comp_targetILNS1_3genE10ELNS1_11target_archE1201ELNS1_3gpuE5ELNS1_3repE0EEENS1_48merge_mergepath_partition_config_static_selectorELNS0_4arch9wavefront6targetE1EEEvSF_
		.amdhsa_group_segment_fixed_size 0
		.amdhsa_private_segment_fixed_size 0
		.amdhsa_kernarg_size 40
		.amdhsa_user_sgpr_count 6
		.amdhsa_user_sgpr_private_segment_buffer 1
		.amdhsa_user_sgpr_dispatch_ptr 0
		.amdhsa_user_sgpr_queue_ptr 0
		.amdhsa_user_sgpr_kernarg_segment_ptr 1
		.amdhsa_user_sgpr_dispatch_id 0
		.amdhsa_user_sgpr_flat_scratch_init 0
		.amdhsa_user_sgpr_kernarg_preload_length 0
		.amdhsa_user_sgpr_kernarg_preload_offset 0
		.amdhsa_user_sgpr_private_segment_size 0
		.amdhsa_uses_dynamic_stack 0
		.amdhsa_system_sgpr_private_segment_wavefront_offset 0
		.amdhsa_system_sgpr_workgroup_id_x 1
		.amdhsa_system_sgpr_workgroup_id_y 0
		.amdhsa_system_sgpr_workgroup_id_z 0
		.amdhsa_system_sgpr_workgroup_info 0
		.amdhsa_system_vgpr_workitem_id 0
		.amdhsa_next_free_vgpr 1
		.amdhsa_next_free_sgpr 0
		.amdhsa_accum_offset 4
		.amdhsa_reserve_vcc 0
		.amdhsa_reserve_flat_scratch 0
		.amdhsa_float_round_mode_32 0
		.amdhsa_float_round_mode_16_64 0
		.amdhsa_float_denorm_mode_32 3
		.amdhsa_float_denorm_mode_16_64 3
		.amdhsa_dx10_clamp 1
		.amdhsa_ieee_mode 1
		.amdhsa_fp16_overflow 0
		.amdhsa_tg_split 0
		.amdhsa_exception_fp_ieee_invalid_op 0
		.amdhsa_exception_fp_denorm_src 0
		.amdhsa_exception_fp_ieee_div_zero 0
		.amdhsa_exception_fp_ieee_overflow 0
		.amdhsa_exception_fp_ieee_underflow 0
		.amdhsa_exception_fp_ieee_inexact 0
		.amdhsa_exception_int_div_zero 0
	.end_amdhsa_kernel
	.section	.text._ZN7rocprim17ROCPRIM_400000_NS6detail17trampoline_kernelINS0_14default_configENS1_38merge_sort_block_merge_config_selectorIaNS0_10empty_typeEEEZZNS1_27merge_sort_block_merge_implIS3_PaPS5_jNS1_19radix_merge_compareILb0ELb0EaNS0_19identity_decomposerEEEEE10hipError_tT0_T1_T2_jT3_P12ihipStream_tbPNSt15iterator_traitsISE_E10value_typeEPNSK_ISF_E10value_typeEPSG_NS1_7vsmem_tEENKUlT_SE_SF_SG_E_clIS8_S8_S9_S9_EESD_ST_SE_SF_SG_EUlST_E_NS1_11comp_targetILNS1_3genE10ELNS1_11target_archE1201ELNS1_3gpuE5ELNS1_3repE0EEENS1_48merge_mergepath_partition_config_static_selectorELNS0_4arch9wavefront6targetE1EEEvSF_,"axG",@progbits,_ZN7rocprim17ROCPRIM_400000_NS6detail17trampoline_kernelINS0_14default_configENS1_38merge_sort_block_merge_config_selectorIaNS0_10empty_typeEEEZZNS1_27merge_sort_block_merge_implIS3_PaPS5_jNS1_19radix_merge_compareILb0ELb0EaNS0_19identity_decomposerEEEEE10hipError_tT0_T1_T2_jT3_P12ihipStream_tbPNSt15iterator_traitsISE_E10value_typeEPNSK_ISF_E10value_typeEPSG_NS1_7vsmem_tEENKUlT_SE_SF_SG_E_clIS8_S8_S9_S9_EESD_ST_SE_SF_SG_EUlST_E_NS1_11comp_targetILNS1_3genE10ELNS1_11target_archE1201ELNS1_3gpuE5ELNS1_3repE0EEENS1_48merge_mergepath_partition_config_static_selectorELNS0_4arch9wavefront6targetE1EEEvSF_,comdat
.Lfunc_end137:
	.size	_ZN7rocprim17ROCPRIM_400000_NS6detail17trampoline_kernelINS0_14default_configENS1_38merge_sort_block_merge_config_selectorIaNS0_10empty_typeEEEZZNS1_27merge_sort_block_merge_implIS3_PaPS5_jNS1_19radix_merge_compareILb0ELb0EaNS0_19identity_decomposerEEEEE10hipError_tT0_T1_T2_jT3_P12ihipStream_tbPNSt15iterator_traitsISE_E10value_typeEPNSK_ISF_E10value_typeEPSG_NS1_7vsmem_tEENKUlT_SE_SF_SG_E_clIS8_S8_S9_S9_EESD_ST_SE_SF_SG_EUlST_E_NS1_11comp_targetILNS1_3genE10ELNS1_11target_archE1201ELNS1_3gpuE5ELNS1_3repE0EEENS1_48merge_mergepath_partition_config_static_selectorELNS0_4arch9wavefront6targetE1EEEvSF_, .Lfunc_end137-_ZN7rocprim17ROCPRIM_400000_NS6detail17trampoline_kernelINS0_14default_configENS1_38merge_sort_block_merge_config_selectorIaNS0_10empty_typeEEEZZNS1_27merge_sort_block_merge_implIS3_PaPS5_jNS1_19radix_merge_compareILb0ELb0EaNS0_19identity_decomposerEEEEE10hipError_tT0_T1_T2_jT3_P12ihipStream_tbPNSt15iterator_traitsISE_E10value_typeEPNSK_ISF_E10value_typeEPSG_NS1_7vsmem_tEENKUlT_SE_SF_SG_E_clIS8_S8_S9_S9_EESD_ST_SE_SF_SG_EUlST_E_NS1_11comp_targetILNS1_3genE10ELNS1_11target_archE1201ELNS1_3gpuE5ELNS1_3repE0EEENS1_48merge_mergepath_partition_config_static_selectorELNS0_4arch9wavefront6targetE1EEEvSF_
                                        ; -- End function
	.section	.AMDGPU.csdata,"",@progbits
; Kernel info:
; codeLenInByte = 0
; NumSgprs: 4
; NumVgprs: 0
; NumAgprs: 0
; TotalNumVgprs: 0
; ScratchSize: 0
; MemoryBound: 0
; FloatMode: 240
; IeeeMode: 1
; LDSByteSize: 0 bytes/workgroup (compile time only)
; SGPRBlocks: 0
; VGPRBlocks: 0
; NumSGPRsForWavesPerEU: 4
; NumVGPRsForWavesPerEU: 1
; AccumOffset: 4
; Occupancy: 8
; WaveLimiterHint : 0
; COMPUTE_PGM_RSRC2:SCRATCH_EN: 0
; COMPUTE_PGM_RSRC2:USER_SGPR: 6
; COMPUTE_PGM_RSRC2:TRAP_HANDLER: 0
; COMPUTE_PGM_RSRC2:TGID_X_EN: 1
; COMPUTE_PGM_RSRC2:TGID_Y_EN: 0
; COMPUTE_PGM_RSRC2:TGID_Z_EN: 0
; COMPUTE_PGM_RSRC2:TIDIG_COMP_CNT: 0
; COMPUTE_PGM_RSRC3_GFX90A:ACCUM_OFFSET: 0
; COMPUTE_PGM_RSRC3_GFX90A:TG_SPLIT: 0
	.section	.text._ZN7rocprim17ROCPRIM_400000_NS6detail17trampoline_kernelINS0_14default_configENS1_38merge_sort_block_merge_config_selectorIaNS0_10empty_typeEEEZZNS1_27merge_sort_block_merge_implIS3_PaPS5_jNS1_19radix_merge_compareILb0ELb0EaNS0_19identity_decomposerEEEEE10hipError_tT0_T1_T2_jT3_P12ihipStream_tbPNSt15iterator_traitsISE_E10value_typeEPNSK_ISF_E10value_typeEPSG_NS1_7vsmem_tEENKUlT_SE_SF_SG_E_clIS8_S8_S9_S9_EESD_ST_SE_SF_SG_EUlST_E_NS1_11comp_targetILNS1_3genE5ELNS1_11target_archE942ELNS1_3gpuE9ELNS1_3repE0EEENS1_48merge_mergepath_partition_config_static_selectorELNS0_4arch9wavefront6targetE1EEEvSF_,"axG",@progbits,_ZN7rocprim17ROCPRIM_400000_NS6detail17trampoline_kernelINS0_14default_configENS1_38merge_sort_block_merge_config_selectorIaNS0_10empty_typeEEEZZNS1_27merge_sort_block_merge_implIS3_PaPS5_jNS1_19radix_merge_compareILb0ELb0EaNS0_19identity_decomposerEEEEE10hipError_tT0_T1_T2_jT3_P12ihipStream_tbPNSt15iterator_traitsISE_E10value_typeEPNSK_ISF_E10value_typeEPSG_NS1_7vsmem_tEENKUlT_SE_SF_SG_E_clIS8_S8_S9_S9_EESD_ST_SE_SF_SG_EUlST_E_NS1_11comp_targetILNS1_3genE5ELNS1_11target_archE942ELNS1_3gpuE9ELNS1_3repE0EEENS1_48merge_mergepath_partition_config_static_selectorELNS0_4arch9wavefront6targetE1EEEvSF_,comdat
	.protected	_ZN7rocprim17ROCPRIM_400000_NS6detail17trampoline_kernelINS0_14default_configENS1_38merge_sort_block_merge_config_selectorIaNS0_10empty_typeEEEZZNS1_27merge_sort_block_merge_implIS3_PaPS5_jNS1_19radix_merge_compareILb0ELb0EaNS0_19identity_decomposerEEEEE10hipError_tT0_T1_T2_jT3_P12ihipStream_tbPNSt15iterator_traitsISE_E10value_typeEPNSK_ISF_E10value_typeEPSG_NS1_7vsmem_tEENKUlT_SE_SF_SG_E_clIS8_S8_S9_S9_EESD_ST_SE_SF_SG_EUlST_E_NS1_11comp_targetILNS1_3genE5ELNS1_11target_archE942ELNS1_3gpuE9ELNS1_3repE0EEENS1_48merge_mergepath_partition_config_static_selectorELNS0_4arch9wavefront6targetE1EEEvSF_ ; -- Begin function _ZN7rocprim17ROCPRIM_400000_NS6detail17trampoline_kernelINS0_14default_configENS1_38merge_sort_block_merge_config_selectorIaNS0_10empty_typeEEEZZNS1_27merge_sort_block_merge_implIS3_PaPS5_jNS1_19radix_merge_compareILb0ELb0EaNS0_19identity_decomposerEEEEE10hipError_tT0_T1_T2_jT3_P12ihipStream_tbPNSt15iterator_traitsISE_E10value_typeEPNSK_ISF_E10value_typeEPSG_NS1_7vsmem_tEENKUlT_SE_SF_SG_E_clIS8_S8_S9_S9_EESD_ST_SE_SF_SG_EUlST_E_NS1_11comp_targetILNS1_3genE5ELNS1_11target_archE942ELNS1_3gpuE9ELNS1_3repE0EEENS1_48merge_mergepath_partition_config_static_selectorELNS0_4arch9wavefront6targetE1EEEvSF_
	.globl	_ZN7rocprim17ROCPRIM_400000_NS6detail17trampoline_kernelINS0_14default_configENS1_38merge_sort_block_merge_config_selectorIaNS0_10empty_typeEEEZZNS1_27merge_sort_block_merge_implIS3_PaPS5_jNS1_19radix_merge_compareILb0ELb0EaNS0_19identity_decomposerEEEEE10hipError_tT0_T1_T2_jT3_P12ihipStream_tbPNSt15iterator_traitsISE_E10value_typeEPNSK_ISF_E10value_typeEPSG_NS1_7vsmem_tEENKUlT_SE_SF_SG_E_clIS8_S8_S9_S9_EESD_ST_SE_SF_SG_EUlST_E_NS1_11comp_targetILNS1_3genE5ELNS1_11target_archE942ELNS1_3gpuE9ELNS1_3repE0EEENS1_48merge_mergepath_partition_config_static_selectorELNS0_4arch9wavefront6targetE1EEEvSF_
	.p2align	8
	.type	_ZN7rocprim17ROCPRIM_400000_NS6detail17trampoline_kernelINS0_14default_configENS1_38merge_sort_block_merge_config_selectorIaNS0_10empty_typeEEEZZNS1_27merge_sort_block_merge_implIS3_PaPS5_jNS1_19radix_merge_compareILb0ELb0EaNS0_19identity_decomposerEEEEE10hipError_tT0_T1_T2_jT3_P12ihipStream_tbPNSt15iterator_traitsISE_E10value_typeEPNSK_ISF_E10value_typeEPSG_NS1_7vsmem_tEENKUlT_SE_SF_SG_E_clIS8_S8_S9_S9_EESD_ST_SE_SF_SG_EUlST_E_NS1_11comp_targetILNS1_3genE5ELNS1_11target_archE942ELNS1_3gpuE9ELNS1_3repE0EEENS1_48merge_mergepath_partition_config_static_selectorELNS0_4arch9wavefront6targetE1EEEvSF_,@function
_ZN7rocprim17ROCPRIM_400000_NS6detail17trampoline_kernelINS0_14default_configENS1_38merge_sort_block_merge_config_selectorIaNS0_10empty_typeEEEZZNS1_27merge_sort_block_merge_implIS3_PaPS5_jNS1_19radix_merge_compareILb0ELb0EaNS0_19identity_decomposerEEEEE10hipError_tT0_T1_T2_jT3_P12ihipStream_tbPNSt15iterator_traitsISE_E10value_typeEPNSK_ISF_E10value_typeEPSG_NS1_7vsmem_tEENKUlT_SE_SF_SG_E_clIS8_S8_S9_S9_EESD_ST_SE_SF_SG_EUlST_E_NS1_11comp_targetILNS1_3genE5ELNS1_11target_archE942ELNS1_3gpuE9ELNS1_3repE0EEENS1_48merge_mergepath_partition_config_static_selectorELNS0_4arch9wavefront6targetE1EEEvSF_: ; @_ZN7rocprim17ROCPRIM_400000_NS6detail17trampoline_kernelINS0_14default_configENS1_38merge_sort_block_merge_config_selectorIaNS0_10empty_typeEEEZZNS1_27merge_sort_block_merge_implIS3_PaPS5_jNS1_19radix_merge_compareILb0ELb0EaNS0_19identity_decomposerEEEEE10hipError_tT0_T1_T2_jT3_P12ihipStream_tbPNSt15iterator_traitsISE_E10value_typeEPNSK_ISF_E10value_typeEPSG_NS1_7vsmem_tEENKUlT_SE_SF_SG_E_clIS8_S8_S9_S9_EESD_ST_SE_SF_SG_EUlST_E_NS1_11comp_targetILNS1_3genE5ELNS1_11target_archE942ELNS1_3gpuE9ELNS1_3repE0EEENS1_48merge_mergepath_partition_config_static_selectorELNS0_4arch9wavefront6targetE1EEEvSF_
; %bb.0:
	.section	.rodata,"a",@progbits
	.p2align	6, 0x0
	.amdhsa_kernel _ZN7rocprim17ROCPRIM_400000_NS6detail17trampoline_kernelINS0_14default_configENS1_38merge_sort_block_merge_config_selectorIaNS0_10empty_typeEEEZZNS1_27merge_sort_block_merge_implIS3_PaPS5_jNS1_19radix_merge_compareILb0ELb0EaNS0_19identity_decomposerEEEEE10hipError_tT0_T1_T2_jT3_P12ihipStream_tbPNSt15iterator_traitsISE_E10value_typeEPNSK_ISF_E10value_typeEPSG_NS1_7vsmem_tEENKUlT_SE_SF_SG_E_clIS8_S8_S9_S9_EESD_ST_SE_SF_SG_EUlST_E_NS1_11comp_targetILNS1_3genE5ELNS1_11target_archE942ELNS1_3gpuE9ELNS1_3repE0EEENS1_48merge_mergepath_partition_config_static_selectorELNS0_4arch9wavefront6targetE1EEEvSF_
		.amdhsa_group_segment_fixed_size 0
		.amdhsa_private_segment_fixed_size 0
		.amdhsa_kernarg_size 40
		.amdhsa_user_sgpr_count 6
		.amdhsa_user_sgpr_private_segment_buffer 1
		.amdhsa_user_sgpr_dispatch_ptr 0
		.amdhsa_user_sgpr_queue_ptr 0
		.amdhsa_user_sgpr_kernarg_segment_ptr 1
		.amdhsa_user_sgpr_dispatch_id 0
		.amdhsa_user_sgpr_flat_scratch_init 0
		.amdhsa_user_sgpr_kernarg_preload_length 0
		.amdhsa_user_sgpr_kernarg_preload_offset 0
		.amdhsa_user_sgpr_private_segment_size 0
		.amdhsa_uses_dynamic_stack 0
		.amdhsa_system_sgpr_private_segment_wavefront_offset 0
		.amdhsa_system_sgpr_workgroup_id_x 1
		.amdhsa_system_sgpr_workgroup_id_y 0
		.amdhsa_system_sgpr_workgroup_id_z 0
		.amdhsa_system_sgpr_workgroup_info 0
		.amdhsa_system_vgpr_workitem_id 0
		.amdhsa_next_free_vgpr 1
		.amdhsa_next_free_sgpr 0
		.amdhsa_accum_offset 4
		.amdhsa_reserve_vcc 0
		.amdhsa_reserve_flat_scratch 0
		.amdhsa_float_round_mode_32 0
		.amdhsa_float_round_mode_16_64 0
		.amdhsa_float_denorm_mode_32 3
		.amdhsa_float_denorm_mode_16_64 3
		.amdhsa_dx10_clamp 1
		.amdhsa_ieee_mode 1
		.amdhsa_fp16_overflow 0
		.amdhsa_tg_split 0
		.amdhsa_exception_fp_ieee_invalid_op 0
		.amdhsa_exception_fp_denorm_src 0
		.amdhsa_exception_fp_ieee_div_zero 0
		.amdhsa_exception_fp_ieee_overflow 0
		.amdhsa_exception_fp_ieee_underflow 0
		.amdhsa_exception_fp_ieee_inexact 0
		.amdhsa_exception_int_div_zero 0
	.end_amdhsa_kernel
	.section	.text._ZN7rocprim17ROCPRIM_400000_NS6detail17trampoline_kernelINS0_14default_configENS1_38merge_sort_block_merge_config_selectorIaNS0_10empty_typeEEEZZNS1_27merge_sort_block_merge_implIS3_PaPS5_jNS1_19radix_merge_compareILb0ELb0EaNS0_19identity_decomposerEEEEE10hipError_tT0_T1_T2_jT3_P12ihipStream_tbPNSt15iterator_traitsISE_E10value_typeEPNSK_ISF_E10value_typeEPSG_NS1_7vsmem_tEENKUlT_SE_SF_SG_E_clIS8_S8_S9_S9_EESD_ST_SE_SF_SG_EUlST_E_NS1_11comp_targetILNS1_3genE5ELNS1_11target_archE942ELNS1_3gpuE9ELNS1_3repE0EEENS1_48merge_mergepath_partition_config_static_selectorELNS0_4arch9wavefront6targetE1EEEvSF_,"axG",@progbits,_ZN7rocprim17ROCPRIM_400000_NS6detail17trampoline_kernelINS0_14default_configENS1_38merge_sort_block_merge_config_selectorIaNS0_10empty_typeEEEZZNS1_27merge_sort_block_merge_implIS3_PaPS5_jNS1_19radix_merge_compareILb0ELb0EaNS0_19identity_decomposerEEEEE10hipError_tT0_T1_T2_jT3_P12ihipStream_tbPNSt15iterator_traitsISE_E10value_typeEPNSK_ISF_E10value_typeEPSG_NS1_7vsmem_tEENKUlT_SE_SF_SG_E_clIS8_S8_S9_S9_EESD_ST_SE_SF_SG_EUlST_E_NS1_11comp_targetILNS1_3genE5ELNS1_11target_archE942ELNS1_3gpuE9ELNS1_3repE0EEENS1_48merge_mergepath_partition_config_static_selectorELNS0_4arch9wavefront6targetE1EEEvSF_,comdat
.Lfunc_end138:
	.size	_ZN7rocprim17ROCPRIM_400000_NS6detail17trampoline_kernelINS0_14default_configENS1_38merge_sort_block_merge_config_selectorIaNS0_10empty_typeEEEZZNS1_27merge_sort_block_merge_implIS3_PaPS5_jNS1_19radix_merge_compareILb0ELb0EaNS0_19identity_decomposerEEEEE10hipError_tT0_T1_T2_jT3_P12ihipStream_tbPNSt15iterator_traitsISE_E10value_typeEPNSK_ISF_E10value_typeEPSG_NS1_7vsmem_tEENKUlT_SE_SF_SG_E_clIS8_S8_S9_S9_EESD_ST_SE_SF_SG_EUlST_E_NS1_11comp_targetILNS1_3genE5ELNS1_11target_archE942ELNS1_3gpuE9ELNS1_3repE0EEENS1_48merge_mergepath_partition_config_static_selectorELNS0_4arch9wavefront6targetE1EEEvSF_, .Lfunc_end138-_ZN7rocprim17ROCPRIM_400000_NS6detail17trampoline_kernelINS0_14default_configENS1_38merge_sort_block_merge_config_selectorIaNS0_10empty_typeEEEZZNS1_27merge_sort_block_merge_implIS3_PaPS5_jNS1_19radix_merge_compareILb0ELb0EaNS0_19identity_decomposerEEEEE10hipError_tT0_T1_T2_jT3_P12ihipStream_tbPNSt15iterator_traitsISE_E10value_typeEPNSK_ISF_E10value_typeEPSG_NS1_7vsmem_tEENKUlT_SE_SF_SG_E_clIS8_S8_S9_S9_EESD_ST_SE_SF_SG_EUlST_E_NS1_11comp_targetILNS1_3genE5ELNS1_11target_archE942ELNS1_3gpuE9ELNS1_3repE0EEENS1_48merge_mergepath_partition_config_static_selectorELNS0_4arch9wavefront6targetE1EEEvSF_
                                        ; -- End function
	.section	.AMDGPU.csdata,"",@progbits
; Kernel info:
; codeLenInByte = 0
; NumSgprs: 4
; NumVgprs: 0
; NumAgprs: 0
; TotalNumVgprs: 0
; ScratchSize: 0
; MemoryBound: 0
; FloatMode: 240
; IeeeMode: 1
; LDSByteSize: 0 bytes/workgroup (compile time only)
; SGPRBlocks: 0
; VGPRBlocks: 0
; NumSGPRsForWavesPerEU: 4
; NumVGPRsForWavesPerEU: 1
; AccumOffset: 4
; Occupancy: 8
; WaveLimiterHint : 0
; COMPUTE_PGM_RSRC2:SCRATCH_EN: 0
; COMPUTE_PGM_RSRC2:USER_SGPR: 6
; COMPUTE_PGM_RSRC2:TRAP_HANDLER: 0
; COMPUTE_PGM_RSRC2:TGID_X_EN: 1
; COMPUTE_PGM_RSRC2:TGID_Y_EN: 0
; COMPUTE_PGM_RSRC2:TGID_Z_EN: 0
; COMPUTE_PGM_RSRC2:TIDIG_COMP_CNT: 0
; COMPUTE_PGM_RSRC3_GFX90A:ACCUM_OFFSET: 0
; COMPUTE_PGM_RSRC3_GFX90A:TG_SPLIT: 0
	.section	.text._ZN7rocprim17ROCPRIM_400000_NS6detail17trampoline_kernelINS0_14default_configENS1_38merge_sort_block_merge_config_selectorIaNS0_10empty_typeEEEZZNS1_27merge_sort_block_merge_implIS3_PaPS5_jNS1_19radix_merge_compareILb0ELb0EaNS0_19identity_decomposerEEEEE10hipError_tT0_T1_T2_jT3_P12ihipStream_tbPNSt15iterator_traitsISE_E10value_typeEPNSK_ISF_E10value_typeEPSG_NS1_7vsmem_tEENKUlT_SE_SF_SG_E_clIS8_S8_S9_S9_EESD_ST_SE_SF_SG_EUlST_E_NS1_11comp_targetILNS1_3genE4ELNS1_11target_archE910ELNS1_3gpuE8ELNS1_3repE0EEENS1_48merge_mergepath_partition_config_static_selectorELNS0_4arch9wavefront6targetE1EEEvSF_,"axG",@progbits,_ZN7rocprim17ROCPRIM_400000_NS6detail17trampoline_kernelINS0_14default_configENS1_38merge_sort_block_merge_config_selectorIaNS0_10empty_typeEEEZZNS1_27merge_sort_block_merge_implIS3_PaPS5_jNS1_19radix_merge_compareILb0ELb0EaNS0_19identity_decomposerEEEEE10hipError_tT0_T1_T2_jT3_P12ihipStream_tbPNSt15iterator_traitsISE_E10value_typeEPNSK_ISF_E10value_typeEPSG_NS1_7vsmem_tEENKUlT_SE_SF_SG_E_clIS8_S8_S9_S9_EESD_ST_SE_SF_SG_EUlST_E_NS1_11comp_targetILNS1_3genE4ELNS1_11target_archE910ELNS1_3gpuE8ELNS1_3repE0EEENS1_48merge_mergepath_partition_config_static_selectorELNS0_4arch9wavefront6targetE1EEEvSF_,comdat
	.protected	_ZN7rocprim17ROCPRIM_400000_NS6detail17trampoline_kernelINS0_14default_configENS1_38merge_sort_block_merge_config_selectorIaNS0_10empty_typeEEEZZNS1_27merge_sort_block_merge_implIS3_PaPS5_jNS1_19radix_merge_compareILb0ELb0EaNS0_19identity_decomposerEEEEE10hipError_tT0_T1_T2_jT3_P12ihipStream_tbPNSt15iterator_traitsISE_E10value_typeEPNSK_ISF_E10value_typeEPSG_NS1_7vsmem_tEENKUlT_SE_SF_SG_E_clIS8_S8_S9_S9_EESD_ST_SE_SF_SG_EUlST_E_NS1_11comp_targetILNS1_3genE4ELNS1_11target_archE910ELNS1_3gpuE8ELNS1_3repE0EEENS1_48merge_mergepath_partition_config_static_selectorELNS0_4arch9wavefront6targetE1EEEvSF_ ; -- Begin function _ZN7rocprim17ROCPRIM_400000_NS6detail17trampoline_kernelINS0_14default_configENS1_38merge_sort_block_merge_config_selectorIaNS0_10empty_typeEEEZZNS1_27merge_sort_block_merge_implIS3_PaPS5_jNS1_19radix_merge_compareILb0ELb0EaNS0_19identity_decomposerEEEEE10hipError_tT0_T1_T2_jT3_P12ihipStream_tbPNSt15iterator_traitsISE_E10value_typeEPNSK_ISF_E10value_typeEPSG_NS1_7vsmem_tEENKUlT_SE_SF_SG_E_clIS8_S8_S9_S9_EESD_ST_SE_SF_SG_EUlST_E_NS1_11comp_targetILNS1_3genE4ELNS1_11target_archE910ELNS1_3gpuE8ELNS1_3repE0EEENS1_48merge_mergepath_partition_config_static_selectorELNS0_4arch9wavefront6targetE1EEEvSF_
	.globl	_ZN7rocprim17ROCPRIM_400000_NS6detail17trampoline_kernelINS0_14default_configENS1_38merge_sort_block_merge_config_selectorIaNS0_10empty_typeEEEZZNS1_27merge_sort_block_merge_implIS3_PaPS5_jNS1_19radix_merge_compareILb0ELb0EaNS0_19identity_decomposerEEEEE10hipError_tT0_T1_T2_jT3_P12ihipStream_tbPNSt15iterator_traitsISE_E10value_typeEPNSK_ISF_E10value_typeEPSG_NS1_7vsmem_tEENKUlT_SE_SF_SG_E_clIS8_S8_S9_S9_EESD_ST_SE_SF_SG_EUlST_E_NS1_11comp_targetILNS1_3genE4ELNS1_11target_archE910ELNS1_3gpuE8ELNS1_3repE0EEENS1_48merge_mergepath_partition_config_static_selectorELNS0_4arch9wavefront6targetE1EEEvSF_
	.p2align	8
	.type	_ZN7rocprim17ROCPRIM_400000_NS6detail17trampoline_kernelINS0_14default_configENS1_38merge_sort_block_merge_config_selectorIaNS0_10empty_typeEEEZZNS1_27merge_sort_block_merge_implIS3_PaPS5_jNS1_19radix_merge_compareILb0ELb0EaNS0_19identity_decomposerEEEEE10hipError_tT0_T1_T2_jT3_P12ihipStream_tbPNSt15iterator_traitsISE_E10value_typeEPNSK_ISF_E10value_typeEPSG_NS1_7vsmem_tEENKUlT_SE_SF_SG_E_clIS8_S8_S9_S9_EESD_ST_SE_SF_SG_EUlST_E_NS1_11comp_targetILNS1_3genE4ELNS1_11target_archE910ELNS1_3gpuE8ELNS1_3repE0EEENS1_48merge_mergepath_partition_config_static_selectorELNS0_4arch9wavefront6targetE1EEEvSF_,@function
_ZN7rocprim17ROCPRIM_400000_NS6detail17trampoline_kernelINS0_14default_configENS1_38merge_sort_block_merge_config_selectorIaNS0_10empty_typeEEEZZNS1_27merge_sort_block_merge_implIS3_PaPS5_jNS1_19radix_merge_compareILb0ELb0EaNS0_19identity_decomposerEEEEE10hipError_tT0_T1_T2_jT3_P12ihipStream_tbPNSt15iterator_traitsISE_E10value_typeEPNSK_ISF_E10value_typeEPSG_NS1_7vsmem_tEENKUlT_SE_SF_SG_E_clIS8_S8_S9_S9_EESD_ST_SE_SF_SG_EUlST_E_NS1_11comp_targetILNS1_3genE4ELNS1_11target_archE910ELNS1_3gpuE8ELNS1_3repE0EEENS1_48merge_mergepath_partition_config_static_selectorELNS0_4arch9wavefront6targetE1EEEvSF_: ; @_ZN7rocprim17ROCPRIM_400000_NS6detail17trampoline_kernelINS0_14default_configENS1_38merge_sort_block_merge_config_selectorIaNS0_10empty_typeEEEZZNS1_27merge_sort_block_merge_implIS3_PaPS5_jNS1_19radix_merge_compareILb0ELb0EaNS0_19identity_decomposerEEEEE10hipError_tT0_T1_T2_jT3_P12ihipStream_tbPNSt15iterator_traitsISE_E10value_typeEPNSK_ISF_E10value_typeEPSG_NS1_7vsmem_tEENKUlT_SE_SF_SG_E_clIS8_S8_S9_S9_EESD_ST_SE_SF_SG_EUlST_E_NS1_11comp_targetILNS1_3genE4ELNS1_11target_archE910ELNS1_3gpuE8ELNS1_3repE0EEENS1_48merge_mergepath_partition_config_static_selectorELNS0_4arch9wavefront6targetE1EEEvSF_
; %bb.0:
	s_load_dword s0, s[4:5], 0x0
	v_lshl_or_b32 v0, s6, 7, v0
	s_waitcnt lgkmcnt(0)
	v_cmp_gt_u32_e32 vcc, s0, v0
	s_and_saveexec_b64 s[0:1], vcc
	s_cbranch_execz .LBB139_6
; %bb.1:
	s_load_dwordx2 s[2:3], s[4:5], 0x4
	s_load_dwordx2 s[0:1], s[4:5], 0x20
	s_waitcnt lgkmcnt(0)
	s_lshr_b32 s6, s2, 9
	s_and_b32 s6, s6, 0x7ffffe
	s_add_i32 s7, s6, -1
	s_sub_i32 s6, 0, s6
	v_and_b32_e32 v1, s6, v0
	v_lshlrev_b32_e32 v3, 10, v1
	v_min_u32_e32 v1, s3, v3
	v_add_u32_e32 v3, s2, v3
	v_min_u32_e32 v7, s3, v3
	v_add_u32_e32 v3, s2, v7
	v_and_b32_e32 v2, s7, v0
	v_min_u32_e32 v4, s3, v3
	v_sub_u32_e32 v3, v4, v1
	v_lshlrev_b32_e32 v2, 10, v2
	v_min_u32_e32 v3, v3, v2
	v_sub_u32_e32 v5, v7, v1
	v_sub_u32_e32 v2, v4, v7
	v_sub_u32_e64 v2, v3, v2 clamp
	v_min_u32_e32 v4, v3, v5
	v_cmp_lt_u32_e32 vcc, v2, v4
	s_and_saveexec_b64 s[2:3], vcc
	s_cbranch_execz .LBB139_5
; %bb.2:
	s_load_dwordx2 s[4:5], s[4:5], 0x10
	s_waitcnt lgkmcnt(0)
	v_mov_b32_e32 v8, s5
	v_add_co_u32_e32 v5, vcc, s4, v1
	v_addc_co_u32_e32 v6, vcc, 0, v8, vcc
	v_add_co_u32_e32 v7, vcc, s4, v7
	v_addc_co_u32_e32 v8, vcc, 0, v8, vcc
	s_mov_b64 s[4:5], 0
.LBB139_3:                              ; =>This Inner Loop Header: Depth=1
	v_add_u32_e32 v9, v4, v2
	v_lshrrev_b32_e32 v9, 1, v9
	v_add_co_u32_e32 v10, vcc, v5, v9
	v_xad_u32 v12, v9, -1, v3
	v_addc_co_u32_e32 v11, vcc, 0, v6, vcc
	v_add_co_u32_e32 v12, vcc, v7, v12
	v_addc_co_u32_e32 v13, vcc, 0, v8, vcc
	global_load_sbyte v14, v[10:11], off
	global_load_sbyte v15, v[12:13], off
	v_add_u32_e32 v10, 1, v9
	s_waitcnt vmcnt(0)
	v_cmp_gt_i16_e32 vcc, v14, v15
	v_cndmask_b32_e32 v4, v4, v9, vcc
	v_cndmask_b32_e32 v2, v10, v2, vcc
	v_cmp_ge_u32_e32 vcc, v2, v4
	s_or_b64 s[4:5], vcc, s[4:5]
	s_andn2_b64 exec, exec, s[4:5]
	s_cbranch_execnz .LBB139_3
; %bb.4:
	s_or_b64 exec, exec, s[4:5]
.LBB139_5:
	s_or_b64 exec, exec, s[2:3]
	v_add_u32_e32 v2, v2, v1
	v_mov_b32_e32 v1, 0
	v_lshlrev_b64 v[0:1], 2, v[0:1]
	v_mov_b32_e32 v3, s1
	v_add_co_u32_e32 v0, vcc, s0, v0
	v_addc_co_u32_e32 v1, vcc, v3, v1, vcc
	global_store_dword v[0:1], v2, off
.LBB139_6:
	s_endpgm
	.section	.rodata,"a",@progbits
	.p2align	6, 0x0
	.amdhsa_kernel _ZN7rocprim17ROCPRIM_400000_NS6detail17trampoline_kernelINS0_14default_configENS1_38merge_sort_block_merge_config_selectorIaNS0_10empty_typeEEEZZNS1_27merge_sort_block_merge_implIS3_PaPS5_jNS1_19radix_merge_compareILb0ELb0EaNS0_19identity_decomposerEEEEE10hipError_tT0_T1_T2_jT3_P12ihipStream_tbPNSt15iterator_traitsISE_E10value_typeEPNSK_ISF_E10value_typeEPSG_NS1_7vsmem_tEENKUlT_SE_SF_SG_E_clIS8_S8_S9_S9_EESD_ST_SE_SF_SG_EUlST_E_NS1_11comp_targetILNS1_3genE4ELNS1_11target_archE910ELNS1_3gpuE8ELNS1_3repE0EEENS1_48merge_mergepath_partition_config_static_selectorELNS0_4arch9wavefront6targetE1EEEvSF_
		.amdhsa_group_segment_fixed_size 0
		.amdhsa_private_segment_fixed_size 0
		.amdhsa_kernarg_size 40
		.amdhsa_user_sgpr_count 6
		.amdhsa_user_sgpr_private_segment_buffer 1
		.amdhsa_user_sgpr_dispatch_ptr 0
		.amdhsa_user_sgpr_queue_ptr 0
		.amdhsa_user_sgpr_kernarg_segment_ptr 1
		.amdhsa_user_sgpr_dispatch_id 0
		.amdhsa_user_sgpr_flat_scratch_init 0
		.amdhsa_user_sgpr_kernarg_preload_length 0
		.amdhsa_user_sgpr_kernarg_preload_offset 0
		.amdhsa_user_sgpr_private_segment_size 0
		.amdhsa_uses_dynamic_stack 0
		.amdhsa_system_sgpr_private_segment_wavefront_offset 0
		.amdhsa_system_sgpr_workgroup_id_x 1
		.amdhsa_system_sgpr_workgroup_id_y 0
		.amdhsa_system_sgpr_workgroup_id_z 0
		.amdhsa_system_sgpr_workgroup_info 0
		.amdhsa_system_vgpr_workitem_id 0
		.amdhsa_next_free_vgpr 16
		.amdhsa_next_free_sgpr 8
		.amdhsa_accum_offset 16
		.amdhsa_reserve_vcc 1
		.amdhsa_reserve_flat_scratch 0
		.amdhsa_float_round_mode_32 0
		.amdhsa_float_round_mode_16_64 0
		.amdhsa_float_denorm_mode_32 3
		.amdhsa_float_denorm_mode_16_64 3
		.amdhsa_dx10_clamp 1
		.amdhsa_ieee_mode 1
		.amdhsa_fp16_overflow 0
		.amdhsa_tg_split 0
		.amdhsa_exception_fp_ieee_invalid_op 0
		.amdhsa_exception_fp_denorm_src 0
		.amdhsa_exception_fp_ieee_div_zero 0
		.amdhsa_exception_fp_ieee_overflow 0
		.amdhsa_exception_fp_ieee_underflow 0
		.amdhsa_exception_fp_ieee_inexact 0
		.amdhsa_exception_int_div_zero 0
	.end_amdhsa_kernel
	.section	.text._ZN7rocprim17ROCPRIM_400000_NS6detail17trampoline_kernelINS0_14default_configENS1_38merge_sort_block_merge_config_selectorIaNS0_10empty_typeEEEZZNS1_27merge_sort_block_merge_implIS3_PaPS5_jNS1_19radix_merge_compareILb0ELb0EaNS0_19identity_decomposerEEEEE10hipError_tT0_T1_T2_jT3_P12ihipStream_tbPNSt15iterator_traitsISE_E10value_typeEPNSK_ISF_E10value_typeEPSG_NS1_7vsmem_tEENKUlT_SE_SF_SG_E_clIS8_S8_S9_S9_EESD_ST_SE_SF_SG_EUlST_E_NS1_11comp_targetILNS1_3genE4ELNS1_11target_archE910ELNS1_3gpuE8ELNS1_3repE0EEENS1_48merge_mergepath_partition_config_static_selectorELNS0_4arch9wavefront6targetE1EEEvSF_,"axG",@progbits,_ZN7rocprim17ROCPRIM_400000_NS6detail17trampoline_kernelINS0_14default_configENS1_38merge_sort_block_merge_config_selectorIaNS0_10empty_typeEEEZZNS1_27merge_sort_block_merge_implIS3_PaPS5_jNS1_19radix_merge_compareILb0ELb0EaNS0_19identity_decomposerEEEEE10hipError_tT0_T1_T2_jT3_P12ihipStream_tbPNSt15iterator_traitsISE_E10value_typeEPNSK_ISF_E10value_typeEPSG_NS1_7vsmem_tEENKUlT_SE_SF_SG_E_clIS8_S8_S9_S9_EESD_ST_SE_SF_SG_EUlST_E_NS1_11comp_targetILNS1_3genE4ELNS1_11target_archE910ELNS1_3gpuE8ELNS1_3repE0EEENS1_48merge_mergepath_partition_config_static_selectorELNS0_4arch9wavefront6targetE1EEEvSF_,comdat
.Lfunc_end139:
	.size	_ZN7rocprim17ROCPRIM_400000_NS6detail17trampoline_kernelINS0_14default_configENS1_38merge_sort_block_merge_config_selectorIaNS0_10empty_typeEEEZZNS1_27merge_sort_block_merge_implIS3_PaPS5_jNS1_19radix_merge_compareILb0ELb0EaNS0_19identity_decomposerEEEEE10hipError_tT0_T1_T2_jT3_P12ihipStream_tbPNSt15iterator_traitsISE_E10value_typeEPNSK_ISF_E10value_typeEPSG_NS1_7vsmem_tEENKUlT_SE_SF_SG_E_clIS8_S8_S9_S9_EESD_ST_SE_SF_SG_EUlST_E_NS1_11comp_targetILNS1_3genE4ELNS1_11target_archE910ELNS1_3gpuE8ELNS1_3repE0EEENS1_48merge_mergepath_partition_config_static_selectorELNS0_4arch9wavefront6targetE1EEEvSF_, .Lfunc_end139-_ZN7rocprim17ROCPRIM_400000_NS6detail17trampoline_kernelINS0_14default_configENS1_38merge_sort_block_merge_config_selectorIaNS0_10empty_typeEEEZZNS1_27merge_sort_block_merge_implIS3_PaPS5_jNS1_19radix_merge_compareILb0ELb0EaNS0_19identity_decomposerEEEEE10hipError_tT0_T1_T2_jT3_P12ihipStream_tbPNSt15iterator_traitsISE_E10value_typeEPNSK_ISF_E10value_typeEPSG_NS1_7vsmem_tEENKUlT_SE_SF_SG_E_clIS8_S8_S9_S9_EESD_ST_SE_SF_SG_EUlST_E_NS1_11comp_targetILNS1_3genE4ELNS1_11target_archE910ELNS1_3gpuE8ELNS1_3repE0EEENS1_48merge_mergepath_partition_config_static_selectorELNS0_4arch9wavefront6targetE1EEEvSF_
                                        ; -- End function
	.section	.AMDGPU.csdata,"",@progbits
; Kernel info:
; codeLenInByte = 316
; NumSgprs: 12
; NumVgprs: 16
; NumAgprs: 0
; TotalNumVgprs: 16
; ScratchSize: 0
; MemoryBound: 0
; FloatMode: 240
; IeeeMode: 1
; LDSByteSize: 0 bytes/workgroup (compile time only)
; SGPRBlocks: 1
; VGPRBlocks: 1
; NumSGPRsForWavesPerEU: 12
; NumVGPRsForWavesPerEU: 16
; AccumOffset: 16
; Occupancy: 8
; WaveLimiterHint : 0
; COMPUTE_PGM_RSRC2:SCRATCH_EN: 0
; COMPUTE_PGM_RSRC2:USER_SGPR: 6
; COMPUTE_PGM_RSRC2:TRAP_HANDLER: 0
; COMPUTE_PGM_RSRC2:TGID_X_EN: 1
; COMPUTE_PGM_RSRC2:TGID_Y_EN: 0
; COMPUTE_PGM_RSRC2:TGID_Z_EN: 0
; COMPUTE_PGM_RSRC2:TIDIG_COMP_CNT: 0
; COMPUTE_PGM_RSRC3_GFX90A:ACCUM_OFFSET: 3
; COMPUTE_PGM_RSRC3_GFX90A:TG_SPLIT: 0
	.section	.text._ZN7rocprim17ROCPRIM_400000_NS6detail17trampoline_kernelINS0_14default_configENS1_38merge_sort_block_merge_config_selectorIaNS0_10empty_typeEEEZZNS1_27merge_sort_block_merge_implIS3_PaPS5_jNS1_19radix_merge_compareILb0ELb0EaNS0_19identity_decomposerEEEEE10hipError_tT0_T1_T2_jT3_P12ihipStream_tbPNSt15iterator_traitsISE_E10value_typeEPNSK_ISF_E10value_typeEPSG_NS1_7vsmem_tEENKUlT_SE_SF_SG_E_clIS8_S8_S9_S9_EESD_ST_SE_SF_SG_EUlST_E_NS1_11comp_targetILNS1_3genE3ELNS1_11target_archE908ELNS1_3gpuE7ELNS1_3repE0EEENS1_48merge_mergepath_partition_config_static_selectorELNS0_4arch9wavefront6targetE1EEEvSF_,"axG",@progbits,_ZN7rocprim17ROCPRIM_400000_NS6detail17trampoline_kernelINS0_14default_configENS1_38merge_sort_block_merge_config_selectorIaNS0_10empty_typeEEEZZNS1_27merge_sort_block_merge_implIS3_PaPS5_jNS1_19radix_merge_compareILb0ELb0EaNS0_19identity_decomposerEEEEE10hipError_tT0_T1_T2_jT3_P12ihipStream_tbPNSt15iterator_traitsISE_E10value_typeEPNSK_ISF_E10value_typeEPSG_NS1_7vsmem_tEENKUlT_SE_SF_SG_E_clIS8_S8_S9_S9_EESD_ST_SE_SF_SG_EUlST_E_NS1_11comp_targetILNS1_3genE3ELNS1_11target_archE908ELNS1_3gpuE7ELNS1_3repE0EEENS1_48merge_mergepath_partition_config_static_selectorELNS0_4arch9wavefront6targetE1EEEvSF_,comdat
	.protected	_ZN7rocprim17ROCPRIM_400000_NS6detail17trampoline_kernelINS0_14default_configENS1_38merge_sort_block_merge_config_selectorIaNS0_10empty_typeEEEZZNS1_27merge_sort_block_merge_implIS3_PaPS5_jNS1_19radix_merge_compareILb0ELb0EaNS0_19identity_decomposerEEEEE10hipError_tT0_T1_T2_jT3_P12ihipStream_tbPNSt15iterator_traitsISE_E10value_typeEPNSK_ISF_E10value_typeEPSG_NS1_7vsmem_tEENKUlT_SE_SF_SG_E_clIS8_S8_S9_S9_EESD_ST_SE_SF_SG_EUlST_E_NS1_11comp_targetILNS1_3genE3ELNS1_11target_archE908ELNS1_3gpuE7ELNS1_3repE0EEENS1_48merge_mergepath_partition_config_static_selectorELNS0_4arch9wavefront6targetE1EEEvSF_ ; -- Begin function _ZN7rocprim17ROCPRIM_400000_NS6detail17trampoline_kernelINS0_14default_configENS1_38merge_sort_block_merge_config_selectorIaNS0_10empty_typeEEEZZNS1_27merge_sort_block_merge_implIS3_PaPS5_jNS1_19radix_merge_compareILb0ELb0EaNS0_19identity_decomposerEEEEE10hipError_tT0_T1_T2_jT3_P12ihipStream_tbPNSt15iterator_traitsISE_E10value_typeEPNSK_ISF_E10value_typeEPSG_NS1_7vsmem_tEENKUlT_SE_SF_SG_E_clIS8_S8_S9_S9_EESD_ST_SE_SF_SG_EUlST_E_NS1_11comp_targetILNS1_3genE3ELNS1_11target_archE908ELNS1_3gpuE7ELNS1_3repE0EEENS1_48merge_mergepath_partition_config_static_selectorELNS0_4arch9wavefront6targetE1EEEvSF_
	.globl	_ZN7rocprim17ROCPRIM_400000_NS6detail17trampoline_kernelINS0_14default_configENS1_38merge_sort_block_merge_config_selectorIaNS0_10empty_typeEEEZZNS1_27merge_sort_block_merge_implIS3_PaPS5_jNS1_19radix_merge_compareILb0ELb0EaNS0_19identity_decomposerEEEEE10hipError_tT0_T1_T2_jT3_P12ihipStream_tbPNSt15iterator_traitsISE_E10value_typeEPNSK_ISF_E10value_typeEPSG_NS1_7vsmem_tEENKUlT_SE_SF_SG_E_clIS8_S8_S9_S9_EESD_ST_SE_SF_SG_EUlST_E_NS1_11comp_targetILNS1_3genE3ELNS1_11target_archE908ELNS1_3gpuE7ELNS1_3repE0EEENS1_48merge_mergepath_partition_config_static_selectorELNS0_4arch9wavefront6targetE1EEEvSF_
	.p2align	8
	.type	_ZN7rocprim17ROCPRIM_400000_NS6detail17trampoline_kernelINS0_14default_configENS1_38merge_sort_block_merge_config_selectorIaNS0_10empty_typeEEEZZNS1_27merge_sort_block_merge_implIS3_PaPS5_jNS1_19radix_merge_compareILb0ELb0EaNS0_19identity_decomposerEEEEE10hipError_tT0_T1_T2_jT3_P12ihipStream_tbPNSt15iterator_traitsISE_E10value_typeEPNSK_ISF_E10value_typeEPSG_NS1_7vsmem_tEENKUlT_SE_SF_SG_E_clIS8_S8_S9_S9_EESD_ST_SE_SF_SG_EUlST_E_NS1_11comp_targetILNS1_3genE3ELNS1_11target_archE908ELNS1_3gpuE7ELNS1_3repE0EEENS1_48merge_mergepath_partition_config_static_selectorELNS0_4arch9wavefront6targetE1EEEvSF_,@function
_ZN7rocprim17ROCPRIM_400000_NS6detail17trampoline_kernelINS0_14default_configENS1_38merge_sort_block_merge_config_selectorIaNS0_10empty_typeEEEZZNS1_27merge_sort_block_merge_implIS3_PaPS5_jNS1_19radix_merge_compareILb0ELb0EaNS0_19identity_decomposerEEEEE10hipError_tT0_T1_T2_jT3_P12ihipStream_tbPNSt15iterator_traitsISE_E10value_typeEPNSK_ISF_E10value_typeEPSG_NS1_7vsmem_tEENKUlT_SE_SF_SG_E_clIS8_S8_S9_S9_EESD_ST_SE_SF_SG_EUlST_E_NS1_11comp_targetILNS1_3genE3ELNS1_11target_archE908ELNS1_3gpuE7ELNS1_3repE0EEENS1_48merge_mergepath_partition_config_static_selectorELNS0_4arch9wavefront6targetE1EEEvSF_: ; @_ZN7rocprim17ROCPRIM_400000_NS6detail17trampoline_kernelINS0_14default_configENS1_38merge_sort_block_merge_config_selectorIaNS0_10empty_typeEEEZZNS1_27merge_sort_block_merge_implIS3_PaPS5_jNS1_19radix_merge_compareILb0ELb0EaNS0_19identity_decomposerEEEEE10hipError_tT0_T1_T2_jT3_P12ihipStream_tbPNSt15iterator_traitsISE_E10value_typeEPNSK_ISF_E10value_typeEPSG_NS1_7vsmem_tEENKUlT_SE_SF_SG_E_clIS8_S8_S9_S9_EESD_ST_SE_SF_SG_EUlST_E_NS1_11comp_targetILNS1_3genE3ELNS1_11target_archE908ELNS1_3gpuE7ELNS1_3repE0EEENS1_48merge_mergepath_partition_config_static_selectorELNS0_4arch9wavefront6targetE1EEEvSF_
; %bb.0:
	.section	.rodata,"a",@progbits
	.p2align	6, 0x0
	.amdhsa_kernel _ZN7rocprim17ROCPRIM_400000_NS6detail17trampoline_kernelINS0_14default_configENS1_38merge_sort_block_merge_config_selectorIaNS0_10empty_typeEEEZZNS1_27merge_sort_block_merge_implIS3_PaPS5_jNS1_19radix_merge_compareILb0ELb0EaNS0_19identity_decomposerEEEEE10hipError_tT0_T1_T2_jT3_P12ihipStream_tbPNSt15iterator_traitsISE_E10value_typeEPNSK_ISF_E10value_typeEPSG_NS1_7vsmem_tEENKUlT_SE_SF_SG_E_clIS8_S8_S9_S9_EESD_ST_SE_SF_SG_EUlST_E_NS1_11comp_targetILNS1_3genE3ELNS1_11target_archE908ELNS1_3gpuE7ELNS1_3repE0EEENS1_48merge_mergepath_partition_config_static_selectorELNS0_4arch9wavefront6targetE1EEEvSF_
		.amdhsa_group_segment_fixed_size 0
		.amdhsa_private_segment_fixed_size 0
		.amdhsa_kernarg_size 40
		.amdhsa_user_sgpr_count 6
		.amdhsa_user_sgpr_private_segment_buffer 1
		.amdhsa_user_sgpr_dispatch_ptr 0
		.amdhsa_user_sgpr_queue_ptr 0
		.amdhsa_user_sgpr_kernarg_segment_ptr 1
		.amdhsa_user_sgpr_dispatch_id 0
		.amdhsa_user_sgpr_flat_scratch_init 0
		.amdhsa_user_sgpr_kernarg_preload_length 0
		.amdhsa_user_sgpr_kernarg_preload_offset 0
		.amdhsa_user_sgpr_private_segment_size 0
		.amdhsa_uses_dynamic_stack 0
		.amdhsa_system_sgpr_private_segment_wavefront_offset 0
		.amdhsa_system_sgpr_workgroup_id_x 1
		.amdhsa_system_sgpr_workgroup_id_y 0
		.amdhsa_system_sgpr_workgroup_id_z 0
		.amdhsa_system_sgpr_workgroup_info 0
		.amdhsa_system_vgpr_workitem_id 0
		.amdhsa_next_free_vgpr 1
		.amdhsa_next_free_sgpr 0
		.amdhsa_accum_offset 4
		.amdhsa_reserve_vcc 0
		.amdhsa_reserve_flat_scratch 0
		.amdhsa_float_round_mode_32 0
		.amdhsa_float_round_mode_16_64 0
		.amdhsa_float_denorm_mode_32 3
		.amdhsa_float_denorm_mode_16_64 3
		.amdhsa_dx10_clamp 1
		.amdhsa_ieee_mode 1
		.amdhsa_fp16_overflow 0
		.amdhsa_tg_split 0
		.amdhsa_exception_fp_ieee_invalid_op 0
		.amdhsa_exception_fp_denorm_src 0
		.amdhsa_exception_fp_ieee_div_zero 0
		.amdhsa_exception_fp_ieee_overflow 0
		.amdhsa_exception_fp_ieee_underflow 0
		.amdhsa_exception_fp_ieee_inexact 0
		.amdhsa_exception_int_div_zero 0
	.end_amdhsa_kernel
	.section	.text._ZN7rocprim17ROCPRIM_400000_NS6detail17trampoline_kernelINS0_14default_configENS1_38merge_sort_block_merge_config_selectorIaNS0_10empty_typeEEEZZNS1_27merge_sort_block_merge_implIS3_PaPS5_jNS1_19radix_merge_compareILb0ELb0EaNS0_19identity_decomposerEEEEE10hipError_tT0_T1_T2_jT3_P12ihipStream_tbPNSt15iterator_traitsISE_E10value_typeEPNSK_ISF_E10value_typeEPSG_NS1_7vsmem_tEENKUlT_SE_SF_SG_E_clIS8_S8_S9_S9_EESD_ST_SE_SF_SG_EUlST_E_NS1_11comp_targetILNS1_3genE3ELNS1_11target_archE908ELNS1_3gpuE7ELNS1_3repE0EEENS1_48merge_mergepath_partition_config_static_selectorELNS0_4arch9wavefront6targetE1EEEvSF_,"axG",@progbits,_ZN7rocprim17ROCPRIM_400000_NS6detail17trampoline_kernelINS0_14default_configENS1_38merge_sort_block_merge_config_selectorIaNS0_10empty_typeEEEZZNS1_27merge_sort_block_merge_implIS3_PaPS5_jNS1_19radix_merge_compareILb0ELb0EaNS0_19identity_decomposerEEEEE10hipError_tT0_T1_T2_jT3_P12ihipStream_tbPNSt15iterator_traitsISE_E10value_typeEPNSK_ISF_E10value_typeEPSG_NS1_7vsmem_tEENKUlT_SE_SF_SG_E_clIS8_S8_S9_S9_EESD_ST_SE_SF_SG_EUlST_E_NS1_11comp_targetILNS1_3genE3ELNS1_11target_archE908ELNS1_3gpuE7ELNS1_3repE0EEENS1_48merge_mergepath_partition_config_static_selectorELNS0_4arch9wavefront6targetE1EEEvSF_,comdat
.Lfunc_end140:
	.size	_ZN7rocprim17ROCPRIM_400000_NS6detail17trampoline_kernelINS0_14default_configENS1_38merge_sort_block_merge_config_selectorIaNS0_10empty_typeEEEZZNS1_27merge_sort_block_merge_implIS3_PaPS5_jNS1_19radix_merge_compareILb0ELb0EaNS0_19identity_decomposerEEEEE10hipError_tT0_T1_T2_jT3_P12ihipStream_tbPNSt15iterator_traitsISE_E10value_typeEPNSK_ISF_E10value_typeEPSG_NS1_7vsmem_tEENKUlT_SE_SF_SG_E_clIS8_S8_S9_S9_EESD_ST_SE_SF_SG_EUlST_E_NS1_11comp_targetILNS1_3genE3ELNS1_11target_archE908ELNS1_3gpuE7ELNS1_3repE0EEENS1_48merge_mergepath_partition_config_static_selectorELNS0_4arch9wavefront6targetE1EEEvSF_, .Lfunc_end140-_ZN7rocprim17ROCPRIM_400000_NS6detail17trampoline_kernelINS0_14default_configENS1_38merge_sort_block_merge_config_selectorIaNS0_10empty_typeEEEZZNS1_27merge_sort_block_merge_implIS3_PaPS5_jNS1_19radix_merge_compareILb0ELb0EaNS0_19identity_decomposerEEEEE10hipError_tT0_T1_T2_jT3_P12ihipStream_tbPNSt15iterator_traitsISE_E10value_typeEPNSK_ISF_E10value_typeEPSG_NS1_7vsmem_tEENKUlT_SE_SF_SG_E_clIS8_S8_S9_S9_EESD_ST_SE_SF_SG_EUlST_E_NS1_11comp_targetILNS1_3genE3ELNS1_11target_archE908ELNS1_3gpuE7ELNS1_3repE0EEENS1_48merge_mergepath_partition_config_static_selectorELNS0_4arch9wavefront6targetE1EEEvSF_
                                        ; -- End function
	.section	.AMDGPU.csdata,"",@progbits
; Kernel info:
; codeLenInByte = 0
; NumSgprs: 4
; NumVgprs: 0
; NumAgprs: 0
; TotalNumVgprs: 0
; ScratchSize: 0
; MemoryBound: 0
; FloatMode: 240
; IeeeMode: 1
; LDSByteSize: 0 bytes/workgroup (compile time only)
; SGPRBlocks: 0
; VGPRBlocks: 0
; NumSGPRsForWavesPerEU: 4
; NumVGPRsForWavesPerEU: 1
; AccumOffset: 4
; Occupancy: 8
; WaveLimiterHint : 0
; COMPUTE_PGM_RSRC2:SCRATCH_EN: 0
; COMPUTE_PGM_RSRC2:USER_SGPR: 6
; COMPUTE_PGM_RSRC2:TRAP_HANDLER: 0
; COMPUTE_PGM_RSRC2:TGID_X_EN: 1
; COMPUTE_PGM_RSRC2:TGID_Y_EN: 0
; COMPUTE_PGM_RSRC2:TGID_Z_EN: 0
; COMPUTE_PGM_RSRC2:TIDIG_COMP_CNT: 0
; COMPUTE_PGM_RSRC3_GFX90A:ACCUM_OFFSET: 0
; COMPUTE_PGM_RSRC3_GFX90A:TG_SPLIT: 0
	.section	.text._ZN7rocprim17ROCPRIM_400000_NS6detail17trampoline_kernelINS0_14default_configENS1_38merge_sort_block_merge_config_selectorIaNS0_10empty_typeEEEZZNS1_27merge_sort_block_merge_implIS3_PaPS5_jNS1_19radix_merge_compareILb0ELb0EaNS0_19identity_decomposerEEEEE10hipError_tT0_T1_T2_jT3_P12ihipStream_tbPNSt15iterator_traitsISE_E10value_typeEPNSK_ISF_E10value_typeEPSG_NS1_7vsmem_tEENKUlT_SE_SF_SG_E_clIS8_S8_S9_S9_EESD_ST_SE_SF_SG_EUlST_E_NS1_11comp_targetILNS1_3genE2ELNS1_11target_archE906ELNS1_3gpuE6ELNS1_3repE0EEENS1_48merge_mergepath_partition_config_static_selectorELNS0_4arch9wavefront6targetE1EEEvSF_,"axG",@progbits,_ZN7rocprim17ROCPRIM_400000_NS6detail17trampoline_kernelINS0_14default_configENS1_38merge_sort_block_merge_config_selectorIaNS0_10empty_typeEEEZZNS1_27merge_sort_block_merge_implIS3_PaPS5_jNS1_19radix_merge_compareILb0ELb0EaNS0_19identity_decomposerEEEEE10hipError_tT0_T1_T2_jT3_P12ihipStream_tbPNSt15iterator_traitsISE_E10value_typeEPNSK_ISF_E10value_typeEPSG_NS1_7vsmem_tEENKUlT_SE_SF_SG_E_clIS8_S8_S9_S9_EESD_ST_SE_SF_SG_EUlST_E_NS1_11comp_targetILNS1_3genE2ELNS1_11target_archE906ELNS1_3gpuE6ELNS1_3repE0EEENS1_48merge_mergepath_partition_config_static_selectorELNS0_4arch9wavefront6targetE1EEEvSF_,comdat
	.protected	_ZN7rocprim17ROCPRIM_400000_NS6detail17trampoline_kernelINS0_14default_configENS1_38merge_sort_block_merge_config_selectorIaNS0_10empty_typeEEEZZNS1_27merge_sort_block_merge_implIS3_PaPS5_jNS1_19radix_merge_compareILb0ELb0EaNS0_19identity_decomposerEEEEE10hipError_tT0_T1_T2_jT3_P12ihipStream_tbPNSt15iterator_traitsISE_E10value_typeEPNSK_ISF_E10value_typeEPSG_NS1_7vsmem_tEENKUlT_SE_SF_SG_E_clIS8_S8_S9_S9_EESD_ST_SE_SF_SG_EUlST_E_NS1_11comp_targetILNS1_3genE2ELNS1_11target_archE906ELNS1_3gpuE6ELNS1_3repE0EEENS1_48merge_mergepath_partition_config_static_selectorELNS0_4arch9wavefront6targetE1EEEvSF_ ; -- Begin function _ZN7rocprim17ROCPRIM_400000_NS6detail17trampoline_kernelINS0_14default_configENS1_38merge_sort_block_merge_config_selectorIaNS0_10empty_typeEEEZZNS1_27merge_sort_block_merge_implIS3_PaPS5_jNS1_19radix_merge_compareILb0ELb0EaNS0_19identity_decomposerEEEEE10hipError_tT0_T1_T2_jT3_P12ihipStream_tbPNSt15iterator_traitsISE_E10value_typeEPNSK_ISF_E10value_typeEPSG_NS1_7vsmem_tEENKUlT_SE_SF_SG_E_clIS8_S8_S9_S9_EESD_ST_SE_SF_SG_EUlST_E_NS1_11comp_targetILNS1_3genE2ELNS1_11target_archE906ELNS1_3gpuE6ELNS1_3repE0EEENS1_48merge_mergepath_partition_config_static_selectorELNS0_4arch9wavefront6targetE1EEEvSF_
	.globl	_ZN7rocprim17ROCPRIM_400000_NS6detail17trampoline_kernelINS0_14default_configENS1_38merge_sort_block_merge_config_selectorIaNS0_10empty_typeEEEZZNS1_27merge_sort_block_merge_implIS3_PaPS5_jNS1_19radix_merge_compareILb0ELb0EaNS0_19identity_decomposerEEEEE10hipError_tT0_T1_T2_jT3_P12ihipStream_tbPNSt15iterator_traitsISE_E10value_typeEPNSK_ISF_E10value_typeEPSG_NS1_7vsmem_tEENKUlT_SE_SF_SG_E_clIS8_S8_S9_S9_EESD_ST_SE_SF_SG_EUlST_E_NS1_11comp_targetILNS1_3genE2ELNS1_11target_archE906ELNS1_3gpuE6ELNS1_3repE0EEENS1_48merge_mergepath_partition_config_static_selectorELNS0_4arch9wavefront6targetE1EEEvSF_
	.p2align	8
	.type	_ZN7rocprim17ROCPRIM_400000_NS6detail17trampoline_kernelINS0_14default_configENS1_38merge_sort_block_merge_config_selectorIaNS0_10empty_typeEEEZZNS1_27merge_sort_block_merge_implIS3_PaPS5_jNS1_19radix_merge_compareILb0ELb0EaNS0_19identity_decomposerEEEEE10hipError_tT0_T1_T2_jT3_P12ihipStream_tbPNSt15iterator_traitsISE_E10value_typeEPNSK_ISF_E10value_typeEPSG_NS1_7vsmem_tEENKUlT_SE_SF_SG_E_clIS8_S8_S9_S9_EESD_ST_SE_SF_SG_EUlST_E_NS1_11comp_targetILNS1_3genE2ELNS1_11target_archE906ELNS1_3gpuE6ELNS1_3repE0EEENS1_48merge_mergepath_partition_config_static_selectorELNS0_4arch9wavefront6targetE1EEEvSF_,@function
_ZN7rocprim17ROCPRIM_400000_NS6detail17trampoline_kernelINS0_14default_configENS1_38merge_sort_block_merge_config_selectorIaNS0_10empty_typeEEEZZNS1_27merge_sort_block_merge_implIS3_PaPS5_jNS1_19radix_merge_compareILb0ELb0EaNS0_19identity_decomposerEEEEE10hipError_tT0_T1_T2_jT3_P12ihipStream_tbPNSt15iterator_traitsISE_E10value_typeEPNSK_ISF_E10value_typeEPSG_NS1_7vsmem_tEENKUlT_SE_SF_SG_E_clIS8_S8_S9_S9_EESD_ST_SE_SF_SG_EUlST_E_NS1_11comp_targetILNS1_3genE2ELNS1_11target_archE906ELNS1_3gpuE6ELNS1_3repE0EEENS1_48merge_mergepath_partition_config_static_selectorELNS0_4arch9wavefront6targetE1EEEvSF_: ; @_ZN7rocprim17ROCPRIM_400000_NS6detail17trampoline_kernelINS0_14default_configENS1_38merge_sort_block_merge_config_selectorIaNS0_10empty_typeEEEZZNS1_27merge_sort_block_merge_implIS3_PaPS5_jNS1_19radix_merge_compareILb0ELb0EaNS0_19identity_decomposerEEEEE10hipError_tT0_T1_T2_jT3_P12ihipStream_tbPNSt15iterator_traitsISE_E10value_typeEPNSK_ISF_E10value_typeEPSG_NS1_7vsmem_tEENKUlT_SE_SF_SG_E_clIS8_S8_S9_S9_EESD_ST_SE_SF_SG_EUlST_E_NS1_11comp_targetILNS1_3genE2ELNS1_11target_archE906ELNS1_3gpuE6ELNS1_3repE0EEENS1_48merge_mergepath_partition_config_static_selectorELNS0_4arch9wavefront6targetE1EEEvSF_
; %bb.0:
	.section	.rodata,"a",@progbits
	.p2align	6, 0x0
	.amdhsa_kernel _ZN7rocprim17ROCPRIM_400000_NS6detail17trampoline_kernelINS0_14default_configENS1_38merge_sort_block_merge_config_selectorIaNS0_10empty_typeEEEZZNS1_27merge_sort_block_merge_implIS3_PaPS5_jNS1_19radix_merge_compareILb0ELb0EaNS0_19identity_decomposerEEEEE10hipError_tT0_T1_T2_jT3_P12ihipStream_tbPNSt15iterator_traitsISE_E10value_typeEPNSK_ISF_E10value_typeEPSG_NS1_7vsmem_tEENKUlT_SE_SF_SG_E_clIS8_S8_S9_S9_EESD_ST_SE_SF_SG_EUlST_E_NS1_11comp_targetILNS1_3genE2ELNS1_11target_archE906ELNS1_3gpuE6ELNS1_3repE0EEENS1_48merge_mergepath_partition_config_static_selectorELNS0_4arch9wavefront6targetE1EEEvSF_
		.amdhsa_group_segment_fixed_size 0
		.amdhsa_private_segment_fixed_size 0
		.amdhsa_kernarg_size 40
		.amdhsa_user_sgpr_count 6
		.amdhsa_user_sgpr_private_segment_buffer 1
		.amdhsa_user_sgpr_dispatch_ptr 0
		.amdhsa_user_sgpr_queue_ptr 0
		.amdhsa_user_sgpr_kernarg_segment_ptr 1
		.amdhsa_user_sgpr_dispatch_id 0
		.amdhsa_user_sgpr_flat_scratch_init 0
		.amdhsa_user_sgpr_kernarg_preload_length 0
		.amdhsa_user_sgpr_kernarg_preload_offset 0
		.amdhsa_user_sgpr_private_segment_size 0
		.amdhsa_uses_dynamic_stack 0
		.amdhsa_system_sgpr_private_segment_wavefront_offset 0
		.amdhsa_system_sgpr_workgroup_id_x 1
		.amdhsa_system_sgpr_workgroup_id_y 0
		.amdhsa_system_sgpr_workgroup_id_z 0
		.amdhsa_system_sgpr_workgroup_info 0
		.amdhsa_system_vgpr_workitem_id 0
		.amdhsa_next_free_vgpr 1
		.amdhsa_next_free_sgpr 0
		.amdhsa_accum_offset 4
		.amdhsa_reserve_vcc 0
		.amdhsa_reserve_flat_scratch 0
		.amdhsa_float_round_mode_32 0
		.amdhsa_float_round_mode_16_64 0
		.amdhsa_float_denorm_mode_32 3
		.amdhsa_float_denorm_mode_16_64 3
		.amdhsa_dx10_clamp 1
		.amdhsa_ieee_mode 1
		.amdhsa_fp16_overflow 0
		.amdhsa_tg_split 0
		.amdhsa_exception_fp_ieee_invalid_op 0
		.amdhsa_exception_fp_denorm_src 0
		.amdhsa_exception_fp_ieee_div_zero 0
		.amdhsa_exception_fp_ieee_overflow 0
		.amdhsa_exception_fp_ieee_underflow 0
		.amdhsa_exception_fp_ieee_inexact 0
		.amdhsa_exception_int_div_zero 0
	.end_amdhsa_kernel
	.section	.text._ZN7rocprim17ROCPRIM_400000_NS6detail17trampoline_kernelINS0_14default_configENS1_38merge_sort_block_merge_config_selectorIaNS0_10empty_typeEEEZZNS1_27merge_sort_block_merge_implIS3_PaPS5_jNS1_19radix_merge_compareILb0ELb0EaNS0_19identity_decomposerEEEEE10hipError_tT0_T1_T2_jT3_P12ihipStream_tbPNSt15iterator_traitsISE_E10value_typeEPNSK_ISF_E10value_typeEPSG_NS1_7vsmem_tEENKUlT_SE_SF_SG_E_clIS8_S8_S9_S9_EESD_ST_SE_SF_SG_EUlST_E_NS1_11comp_targetILNS1_3genE2ELNS1_11target_archE906ELNS1_3gpuE6ELNS1_3repE0EEENS1_48merge_mergepath_partition_config_static_selectorELNS0_4arch9wavefront6targetE1EEEvSF_,"axG",@progbits,_ZN7rocprim17ROCPRIM_400000_NS6detail17trampoline_kernelINS0_14default_configENS1_38merge_sort_block_merge_config_selectorIaNS0_10empty_typeEEEZZNS1_27merge_sort_block_merge_implIS3_PaPS5_jNS1_19radix_merge_compareILb0ELb0EaNS0_19identity_decomposerEEEEE10hipError_tT0_T1_T2_jT3_P12ihipStream_tbPNSt15iterator_traitsISE_E10value_typeEPNSK_ISF_E10value_typeEPSG_NS1_7vsmem_tEENKUlT_SE_SF_SG_E_clIS8_S8_S9_S9_EESD_ST_SE_SF_SG_EUlST_E_NS1_11comp_targetILNS1_3genE2ELNS1_11target_archE906ELNS1_3gpuE6ELNS1_3repE0EEENS1_48merge_mergepath_partition_config_static_selectorELNS0_4arch9wavefront6targetE1EEEvSF_,comdat
.Lfunc_end141:
	.size	_ZN7rocprim17ROCPRIM_400000_NS6detail17trampoline_kernelINS0_14default_configENS1_38merge_sort_block_merge_config_selectorIaNS0_10empty_typeEEEZZNS1_27merge_sort_block_merge_implIS3_PaPS5_jNS1_19radix_merge_compareILb0ELb0EaNS0_19identity_decomposerEEEEE10hipError_tT0_T1_T2_jT3_P12ihipStream_tbPNSt15iterator_traitsISE_E10value_typeEPNSK_ISF_E10value_typeEPSG_NS1_7vsmem_tEENKUlT_SE_SF_SG_E_clIS8_S8_S9_S9_EESD_ST_SE_SF_SG_EUlST_E_NS1_11comp_targetILNS1_3genE2ELNS1_11target_archE906ELNS1_3gpuE6ELNS1_3repE0EEENS1_48merge_mergepath_partition_config_static_selectorELNS0_4arch9wavefront6targetE1EEEvSF_, .Lfunc_end141-_ZN7rocprim17ROCPRIM_400000_NS6detail17trampoline_kernelINS0_14default_configENS1_38merge_sort_block_merge_config_selectorIaNS0_10empty_typeEEEZZNS1_27merge_sort_block_merge_implIS3_PaPS5_jNS1_19radix_merge_compareILb0ELb0EaNS0_19identity_decomposerEEEEE10hipError_tT0_T1_T2_jT3_P12ihipStream_tbPNSt15iterator_traitsISE_E10value_typeEPNSK_ISF_E10value_typeEPSG_NS1_7vsmem_tEENKUlT_SE_SF_SG_E_clIS8_S8_S9_S9_EESD_ST_SE_SF_SG_EUlST_E_NS1_11comp_targetILNS1_3genE2ELNS1_11target_archE906ELNS1_3gpuE6ELNS1_3repE0EEENS1_48merge_mergepath_partition_config_static_selectorELNS0_4arch9wavefront6targetE1EEEvSF_
                                        ; -- End function
	.section	.AMDGPU.csdata,"",@progbits
; Kernel info:
; codeLenInByte = 0
; NumSgprs: 4
; NumVgprs: 0
; NumAgprs: 0
; TotalNumVgprs: 0
; ScratchSize: 0
; MemoryBound: 0
; FloatMode: 240
; IeeeMode: 1
; LDSByteSize: 0 bytes/workgroup (compile time only)
; SGPRBlocks: 0
; VGPRBlocks: 0
; NumSGPRsForWavesPerEU: 4
; NumVGPRsForWavesPerEU: 1
; AccumOffset: 4
; Occupancy: 8
; WaveLimiterHint : 0
; COMPUTE_PGM_RSRC2:SCRATCH_EN: 0
; COMPUTE_PGM_RSRC2:USER_SGPR: 6
; COMPUTE_PGM_RSRC2:TRAP_HANDLER: 0
; COMPUTE_PGM_RSRC2:TGID_X_EN: 1
; COMPUTE_PGM_RSRC2:TGID_Y_EN: 0
; COMPUTE_PGM_RSRC2:TGID_Z_EN: 0
; COMPUTE_PGM_RSRC2:TIDIG_COMP_CNT: 0
; COMPUTE_PGM_RSRC3_GFX90A:ACCUM_OFFSET: 0
; COMPUTE_PGM_RSRC3_GFX90A:TG_SPLIT: 0
	.section	.text._ZN7rocprim17ROCPRIM_400000_NS6detail17trampoline_kernelINS0_14default_configENS1_38merge_sort_block_merge_config_selectorIaNS0_10empty_typeEEEZZNS1_27merge_sort_block_merge_implIS3_PaPS5_jNS1_19radix_merge_compareILb0ELb0EaNS0_19identity_decomposerEEEEE10hipError_tT0_T1_T2_jT3_P12ihipStream_tbPNSt15iterator_traitsISE_E10value_typeEPNSK_ISF_E10value_typeEPSG_NS1_7vsmem_tEENKUlT_SE_SF_SG_E_clIS8_S8_S9_S9_EESD_ST_SE_SF_SG_EUlST_E_NS1_11comp_targetILNS1_3genE9ELNS1_11target_archE1100ELNS1_3gpuE3ELNS1_3repE0EEENS1_48merge_mergepath_partition_config_static_selectorELNS0_4arch9wavefront6targetE1EEEvSF_,"axG",@progbits,_ZN7rocprim17ROCPRIM_400000_NS6detail17trampoline_kernelINS0_14default_configENS1_38merge_sort_block_merge_config_selectorIaNS0_10empty_typeEEEZZNS1_27merge_sort_block_merge_implIS3_PaPS5_jNS1_19radix_merge_compareILb0ELb0EaNS0_19identity_decomposerEEEEE10hipError_tT0_T1_T2_jT3_P12ihipStream_tbPNSt15iterator_traitsISE_E10value_typeEPNSK_ISF_E10value_typeEPSG_NS1_7vsmem_tEENKUlT_SE_SF_SG_E_clIS8_S8_S9_S9_EESD_ST_SE_SF_SG_EUlST_E_NS1_11comp_targetILNS1_3genE9ELNS1_11target_archE1100ELNS1_3gpuE3ELNS1_3repE0EEENS1_48merge_mergepath_partition_config_static_selectorELNS0_4arch9wavefront6targetE1EEEvSF_,comdat
	.protected	_ZN7rocprim17ROCPRIM_400000_NS6detail17trampoline_kernelINS0_14default_configENS1_38merge_sort_block_merge_config_selectorIaNS0_10empty_typeEEEZZNS1_27merge_sort_block_merge_implIS3_PaPS5_jNS1_19radix_merge_compareILb0ELb0EaNS0_19identity_decomposerEEEEE10hipError_tT0_T1_T2_jT3_P12ihipStream_tbPNSt15iterator_traitsISE_E10value_typeEPNSK_ISF_E10value_typeEPSG_NS1_7vsmem_tEENKUlT_SE_SF_SG_E_clIS8_S8_S9_S9_EESD_ST_SE_SF_SG_EUlST_E_NS1_11comp_targetILNS1_3genE9ELNS1_11target_archE1100ELNS1_3gpuE3ELNS1_3repE0EEENS1_48merge_mergepath_partition_config_static_selectorELNS0_4arch9wavefront6targetE1EEEvSF_ ; -- Begin function _ZN7rocprim17ROCPRIM_400000_NS6detail17trampoline_kernelINS0_14default_configENS1_38merge_sort_block_merge_config_selectorIaNS0_10empty_typeEEEZZNS1_27merge_sort_block_merge_implIS3_PaPS5_jNS1_19radix_merge_compareILb0ELb0EaNS0_19identity_decomposerEEEEE10hipError_tT0_T1_T2_jT3_P12ihipStream_tbPNSt15iterator_traitsISE_E10value_typeEPNSK_ISF_E10value_typeEPSG_NS1_7vsmem_tEENKUlT_SE_SF_SG_E_clIS8_S8_S9_S9_EESD_ST_SE_SF_SG_EUlST_E_NS1_11comp_targetILNS1_3genE9ELNS1_11target_archE1100ELNS1_3gpuE3ELNS1_3repE0EEENS1_48merge_mergepath_partition_config_static_selectorELNS0_4arch9wavefront6targetE1EEEvSF_
	.globl	_ZN7rocprim17ROCPRIM_400000_NS6detail17trampoline_kernelINS0_14default_configENS1_38merge_sort_block_merge_config_selectorIaNS0_10empty_typeEEEZZNS1_27merge_sort_block_merge_implIS3_PaPS5_jNS1_19radix_merge_compareILb0ELb0EaNS0_19identity_decomposerEEEEE10hipError_tT0_T1_T2_jT3_P12ihipStream_tbPNSt15iterator_traitsISE_E10value_typeEPNSK_ISF_E10value_typeEPSG_NS1_7vsmem_tEENKUlT_SE_SF_SG_E_clIS8_S8_S9_S9_EESD_ST_SE_SF_SG_EUlST_E_NS1_11comp_targetILNS1_3genE9ELNS1_11target_archE1100ELNS1_3gpuE3ELNS1_3repE0EEENS1_48merge_mergepath_partition_config_static_selectorELNS0_4arch9wavefront6targetE1EEEvSF_
	.p2align	8
	.type	_ZN7rocprim17ROCPRIM_400000_NS6detail17trampoline_kernelINS0_14default_configENS1_38merge_sort_block_merge_config_selectorIaNS0_10empty_typeEEEZZNS1_27merge_sort_block_merge_implIS3_PaPS5_jNS1_19radix_merge_compareILb0ELb0EaNS0_19identity_decomposerEEEEE10hipError_tT0_T1_T2_jT3_P12ihipStream_tbPNSt15iterator_traitsISE_E10value_typeEPNSK_ISF_E10value_typeEPSG_NS1_7vsmem_tEENKUlT_SE_SF_SG_E_clIS8_S8_S9_S9_EESD_ST_SE_SF_SG_EUlST_E_NS1_11comp_targetILNS1_3genE9ELNS1_11target_archE1100ELNS1_3gpuE3ELNS1_3repE0EEENS1_48merge_mergepath_partition_config_static_selectorELNS0_4arch9wavefront6targetE1EEEvSF_,@function
_ZN7rocprim17ROCPRIM_400000_NS6detail17trampoline_kernelINS0_14default_configENS1_38merge_sort_block_merge_config_selectorIaNS0_10empty_typeEEEZZNS1_27merge_sort_block_merge_implIS3_PaPS5_jNS1_19radix_merge_compareILb0ELb0EaNS0_19identity_decomposerEEEEE10hipError_tT0_T1_T2_jT3_P12ihipStream_tbPNSt15iterator_traitsISE_E10value_typeEPNSK_ISF_E10value_typeEPSG_NS1_7vsmem_tEENKUlT_SE_SF_SG_E_clIS8_S8_S9_S9_EESD_ST_SE_SF_SG_EUlST_E_NS1_11comp_targetILNS1_3genE9ELNS1_11target_archE1100ELNS1_3gpuE3ELNS1_3repE0EEENS1_48merge_mergepath_partition_config_static_selectorELNS0_4arch9wavefront6targetE1EEEvSF_: ; @_ZN7rocprim17ROCPRIM_400000_NS6detail17trampoline_kernelINS0_14default_configENS1_38merge_sort_block_merge_config_selectorIaNS0_10empty_typeEEEZZNS1_27merge_sort_block_merge_implIS3_PaPS5_jNS1_19radix_merge_compareILb0ELb0EaNS0_19identity_decomposerEEEEE10hipError_tT0_T1_T2_jT3_P12ihipStream_tbPNSt15iterator_traitsISE_E10value_typeEPNSK_ISF_E10value_typeEPSG_NS1_7vsmem_tEENKUlT_SE_SF_SG_E_clIS8_S8_S9_S9_EESD_ST_SE_SF_SG_EUlST_E_NS1_11comp_targetILNS1_3genE9ELNS1_11target_archE1100ELNS1_3gpuE3ELNS1_3repE0EEENS1_48merge_mergepath_partition_config_static_selectorELNS0_4arch9wavefront6targetE1EEEvSF_
; %bb.0:
	.section	.rodata,"a",@progbits
	.p2align	6, 0x0
	.amdhsa_kernel _ZN7rocprim17ROCPRIM_400000_NS6detail17trampoline_kernelINS0_14default_configENS1_38merge_sort_block_merge_config_selectorIaNS0_10empty_typeEEEZZNS1_27merge_sort_block_merge_implIS3_PaPS5_jNS1_19radix_merge_compareILb0ELb0EaNS0_19identity_decomposerEEEEE10hipError_tT0_T1_T2_jT3_P12ihipStream_tbPNSt15iterator_traitsISE_E10value_typeEPNSK_ISF_E10value_typeEPSG_NS1_7vsmem_tEENKUlT_SE_SF_SG_E_clIS8_S8_S9_S9_EESD_ST_SE_SF_SG_EUlST_E_NS1_11comp_targetILNS1_3genE9ELNS1_11target_archE1100ELNS1_3gpuE3ELNS1_3repE0EEENS1_48merge_mergepath_partition_config_static_selectorELNS0_4arch9wavefront6targetE1EEEvSF_
		.amdhsa_group_segment_fixed_size 0
		.amdhsa_private_segment_fixed_size 0
		.amdhsa_kernarg_size 40
		.amdhsa_user_sgpr_count 6
		.amdhsa_user_sgpr_private_segment_buffer 1
		.amdhsa_user_sgpr_dispatch_ptr 0
		.amdhsa_user_sgpr_queue_ptr 0
		.amdhsa_user_sgpr_kernarg_segment_ptr 1
		.amdhsa_user_sgpr_dispatch_id 0
		.amdhsa_user_sgpr_flat_scratch_init 0
		.amdhsa_user_sgpr_kernarg_preload_length 0
		.amdhsa_user_sgpr_kernarg_preload_offset 0
		.amdhsa_user_sgpr_private_segment_size 0
		.amdhsa_uses_dynamic_stack 0
		.amdhsa_system_sgpr_private_segment_wavefront_offset 0
		.amdhsa_system_sgpr_workgroup_id_x 1
		.amdhsa_system_sgpr_workgroup_id_y 0
		.amdhsa_system_sgpr_workgroup_id_z 0
		.amdhsa_system_sgpr_workgroup_info 0
		.amdhsa_system_vgpr_workitem_id 0
		.amdhsa_next_free_vgpr 1
		.amdhsa_next_free_sgpr 0
		.amdhsa_accum_offset 4
		.amdhsa_reserve_vcc 0
		.amdhsa_reserve_flat_scratch 0
		.amdhsa_float_round_mode_32 0
		.amdhsa_float_round_mode_16_64 0
		.amdhsa_float_denorm_mode_32 3
		.amdhsa_float_denorm_mode_16_64 3
		.amdhsa_dx10_clamp 1
		.amdhsa_ieee_mode 1
		.amdhsa_fp16_overflow 0
		.amdhsa_tg_split 0
		.amdhsa_exception_fp_ieee_invalid_op 0
		.amdhsa_exception_fp_denorm_src 0
		.amdhsa_exception_fp_ieee_div_zero 0
		.amdhsa_exception_fp_ieee_overflow 0
		.amdhsa_exception_fp_ieee_underflow 0
		.amdhsa_exception_fp_ieee_inexact 0
		.amdhsa_exception_int_div_zero 0
	.end_amdhsa_kernel
	.section	.text._ZN7rocprim17ROCPRIM_400000_NS6detail17trampoline_kernelINS0_14default_configENS1_38merge_sort_block_merge_config_selectorIaNS0_10empty_typeEEEZZNS1_27merge_sort_block_merge_implIS3_PaPS5_jNS1_19radix_merge_compareILb0ELb0EaNS0_19identity_decomposerEEEEE10hipError_tT0_T1_T2_jT3_P12ihipStream_tbPNSt15iterator_traitsISE_E10value_typeEPNSK_ISF_E10value_typeEPSG_NS1_7vsmem_tEENKUlT_SE_SF_SG_E_clIS8_S8_S9_S9_EESD_ST_SE_SF_SG_EUlST_E_NS1_11comp_targetILNS1_3genE9ELNS1_11target_archE1100ELNS1_3gpuE3ELNS1_3repE0EEENS1_48merge_mergepath_partition_config_static_selectorELNS0_4arch9wavefront6targetE1EEEvSF_,"axG",@progbits,_ZN7rocprim17ROCPRIM_400000_NS6detail17trampoline_kernelINS0_14default_configENS1_38merge_sort_block_merge_config_selectorIaNS0_10empty_typeEEEZZNS1_27merge_sort_block_merge_implIS3_PaPS5_jNS1_19radix_merge_compareILb0ELb0EaNS0_19identity_decomposerEEEEE10hipError_tT0_T1_T2_jT3_P12ihipStream_tbPNSt15iterator_traitsISE_E10value_typeEPNSK_ISF_E10value_typeEPSG_NS1_7vsmem_tEENKUlT_SE_SF_SG_E_clIS8_S8_S9_S9_EESD_ST_SE_SF_SG_EUlST_E_NS1_11comp_targetILNS1_3genE9ELNS1_11target_archE1100ELNS1_3gpuE3ELNS1_3repE0EEENS1_48merge_mergepath_partition_config_static_selectorELNS0_4arch9wavefront6targetE1EEEvSF_,comdat
.Lfunc_end142:
	.size	_ZN7rocprim17ROCPRIM_400000_NS6detail17trampoline_kernelINS0_14default_configENS1_38merge_sort_block_merge_config_selectorIaNS0_10empty_typeEEEZZNS1_27merge_sort_block_merge_implIS3_PaPS5_jNS1_19radix_merge_compareILb0ELb0EaNS0_19identity_decomposerEEEEE10hipError_tT0_T1_T2_jT3_P12ihipStream_tbPNSt15iterator_traitsISE_E10value_typeEPNSK_ISF_E10value_typeEPSG_NS1_7vsmem_tEENKUlT_SE_SF_SG_E_clIS8_S8_S9_S9_EESD_ST_SE_SF_SG_EUlST_E_NS1_11comp_targetILNS1_3genE9ELNS1_11target_archE1100ELNS1_3gpuE3ELNS1_3repE0EEENS1_48merge_mergepath_partition_config_static_selectorELNS0_4arch9wavefront6targetE1EEEvSF_, .Lfunc_end142-_ZN7rocprim17ROCPRIM_400000_NS6detail17trampoline_kernelINS0_14default_configENS1_38merge_sort_block_merge_config_selectorIaNS0_10empty_typeEEEZZNS1_27merge_sort_block_merge_implIS3_PaPS5_jNS1_19radix_merge_compareILb0ELb0EaNS0_19identity_decomposerEEEEE10hipError_tT0_T1_T2_jT3_P12ihipStream_tbPNSt15iterator_traitsISE_E10value_typeEPNSK_ISF_E10value_typeEPSG_NS1_7vsmem_tEENKUlT_SE_SF_SG_E_clIS8_S8_S9_S9_EESD_ST_SE_SF_SG_EUlST_E_NS1_11comp_targetILNS1_3genE9ELNS1_11target_archE1100ELNS1_3gpuE3ELNS1_3repE0EEENS1_48merge_mergepath_partition_config_static_selectorELNS0_4arch9wavefront6targetE1EEEvSF_
                                        ; -- End function
	.section	.AMDGPU.csdata,"",@progbits
; Kernel info:
; codeLenInByte = 0
; NumSgprs: 4
; NumVgprs: 0
; NumAgprs: 0
; TotalNumVgprs: 0
; ScratchSize: 0
; MemoryBound: 0
; FloatMode: 240
; IeeeMode: 1
; LDSByteSize: 0 bytes/workgroup (compile time only)
; SGPRBlocks: 0
; VGPRBlocks: 0
; NumSGPRsForWavesPerEU: 4
; NumVGPRsForWavesPerEU: 1
; AccumOffset: 4
; Occupancy: 8
; WaveLimiterHint : 0
; COMPUTE_PGM_RSRC2:SCRATCH_EN: 0
; COMPUTE_PGM_RSRC2:USER_SGPR: 6
; COMPUTE_PGM_RSRC2:TRAP_HANDLER: 0
; COMPUTE_PGM_RSRC2:TGID_X_EN: 1
; COMPUTE_PGM_RSRC2:TGID_Y_EN: 0
; COMPUTE_PGM_RSRC2:TGID_Z_EN: 0
; COMPUTE_PGM_RSRC2:TIDIG_COMP_CNT: 0
; COMPUTE_PGM_RSRC3_GFX90A:ACCUM_OFFSET: 0
; COMPUTE_PGM_RSRC3_GFX90A:TG_SPLIT: 0
	.section	.text._ZN7rocprim17ROCPRIM_400000_NS6detail17trampoline_kernelINS0_14default_configENS1_38merge_sort_block_merge_config_selectorIaNS0_10empty_typeEEEZZNS1_27merge_sort_block_merge_implIS3_PaPS5_jNS1_19radix_merge_compareILb0ELb0EaNS0_19identity_decomposerEEEEE10hipError_tT0_T1_T2_jT3_P12ihipStream_tbPNSt15iterator_traitsISE_E10value_typeEPNSK_ISF_E10value_typeEPSG_NS1_7vsmem_tEENKUlT_SE_SF_SG_E_clIS8_S8_S9_S9_EESD_ST_SE_SF_SG_EUlST_E_NS1_11comp_targetILNS1_3genE8ELNS1_11target_archE1030ELNS1_3gpuE2ELNS1_3repE0EEENS1_48merge_mergepath_partition_config_static_selectorELNS0_4arch9wavefront6targetE1EEEvSF_,"axG",@progbits,_ZN7rocprim17ROCPRIM_400000_NS6detail17trampoline_kernelINS0_14default_configENS1_38merge_sort_block_merge_config_selectorIaNS0_10empty_typeEEEZZNS1_27merge_sort_block_merge_implIS3_PaPS5_jNS1_19radix_merge_compareILb0ELb0EaNS0_19identity_decomposerEEEEE10hipError_tT0_T1_T2_jT3_P12ihipStream_tbPNSt15iterator_traitsISE_E10value_typeEPNSK_ISF_E10value_typeEPSG_NS1_7vsmem_tEENKUlT_SE_SF_SG_E_clIS8_S8_S9_S9_EESD_ST_SE_SF_SG_EUlST_E_NS1_11comp_targetILNS1_3genE8ELNS1_11target_archE1030ELNS1_3gpuE2ELNS1_3repE0EEENS1_48merge_mergepath_partition_config_static_selectorELNS0_4arch9wavefront6targetE1EEEvSF_,comdat
	.protected	_ZN7rocprim17ROCPRIM_400000_NS6detail17trampoline_kernelINS0_14default_configENS1_38merge_sort_block_merge_config_selectorIaNS0_10empty_typeEEEZZNS1_27merge_sort_block_merge_implIS3_PaPS5_jNS1_19radix_merge_compareILb0ELb0EaNS0_19identity_decomposerEEEEE10hipError_tT0_T1_T2_jT3_P12ihipStream_tbPNSt15iterator_traitsISE_E10value_typeEPNSK_ISF_E10value_typeEPSG_NS1_7vsmem_tEENKUlT_SE_SF_SG_E_clIS8_S8_S9_S9_EESD_ST_SE_SF_SG_EUlST_E_NS1_11comp_targetILNS1_3genE8ELNS1_11target_archE1030ELNS1_3gpuE2ELNS1_3repE0EEENS1_48merge_mergepath_partition_config_static_selectorELNS0_4arch9wavefront6targetE1EEEvSF_ ; -- Begin function _ZN7rocprim17ROCPRIM_400000_NS6detail17trampoline_kernelINS0_14default_configENS1_38merge_sort_block_merge_config_selectorIaNS0_10empty_typeEEEZZNS1_27merge_sort_block_merge_implIS3_PaPS5_jNS1_19radix_merge_compareILb0ELb0EaNS0_19identity_decomposerEEEEE10hipError_tT0_T1_T2_jT3_P12ihipStream_tbPNSt15iterator_traitsISE_E10value_typeEPNSK_ISF_E10value_typeEPSG_NS1_7vsmem_tEENKUlT_SE_SF_SG_E_clIS8_S8_S9_S9_EESD_ST_SE_SF_SG_EUlST_E_NS1_11comp_targetILNS1_3genE8ELNS1_11target_archE1030ELNS1_3gpuE2ELNS1_3repE0EEENS1_48merge_mergepath_partition_config_static_selectorELNS0_4arch9wavefront6targetE1EEEvSF_
	.globl	_ZN7rocprim17ROCPRIM_400000_NS6detail17trampoline_kernelINS0_14default_configENS1_38merge_sort_block_merge_config_selectorIaNS0_10empty_typeEEEZZNS1_27merge_sort_block_merge_implIS3_PaPS5_jNS1_19radix_merge_compareILb0ELb0EaNS0_19identity_decomposerEEEEE10hipError_tT0_T1_T2_jT3_P12ihipStream_tbPNSt15iterator_traitsISE_E10value_typeEPNSK_ISF_E10value_typeEPSG_NS1_7vsmem_tEENKUlT_SE_SF_SG_E_clIS8_S8_S9_S9_EESD_ST_SE_SF_SG_EUlST_E_NS1_11comp_targetILNS1_3genE8ELNS1_11target_archE1030ELNS1_3gpuE2ELNS1_3repE0EEENS1_48merge_mergepath_partition_config_static_selectorELNS0_4arch9wavefront6targetE1EEEvSF_
	.p2align	8
	.type	_ZN7rocprim17ROCPRIM_400000_NS6detail17trampoline_kernelINS0_14default_configENS1_38merge_sort_block_merge_config_selectorIaNS0_10empty_typeEEEZZNS1_27merge_sort_block_merge_implIS3_PaPS5_jNS1_19radix_merge_compareILb0ELb0EaNS0_19identity_decomposerEEEEE10hipError_tT0_T1_T2_jT3_P12ihipStream_tbPNSt15iterator_traitsISE_E10value_typeEPNSK_ISF_E10value_typeEPSG_NS1_7vsmem_tEENKUlT_SE_SF_SG_E_clIS8_S8_S9_S9_EESD_ST_SE_SF_SG_EUlST_E_NS1_11comp_targetILNS1_3genE8ELNS1_11target_archE1030ELNS1_3gpuE2ELNS1_3repE0EEENS1_48merge_mergepath_partition_config_static_selectorELNS0_4arch9wavefront6targetE1EEEvSF_,@function
_ZN7rocprim17ROCPRIM_400000_NS6detail17trampoline_kernelINS0_14default_configENS1_38merge_sort_block_merge_config_selectorIaNS0_10empty_typeEEEZZNS1_27merge_sort_block_merge_implIS3_PaPS5_jNS1_19radix_merge_compareILb0ELb0EaNS0_19identity_decomposerEEEEE10hipError_tT0_T1_T2_jT3_P12ihipStream_tbPNSt15iterator_traitsISE_E10value_typeEPNSK_ISF_E10value_typeEPSG_NS1_7vsmem_tEENKUlT_SE_SF_SG_E_clIS8_S8_S9_S9_EESD_ST_SE_SF_SG_EUlST_E_NS1_11comp_targetILNS1_3genE8ELNS1_11target_archE1030ELNS1_3gpuE2ELNS1_3repE0EEENS1_48merge_mergepath_partition_config_static_selectorELNS0_4arch9wavefront6targetE1EEEvSF_: ; @_ZN7rocprim17ROCPRIM_400000_NS6detail17trampoline_kernelINS0_14default_configENS1_38merge_sort_block_merge_config_selectorIaNS0_10empty_typeEEEZZNS1_27merge_sort_block_merge_implIS3_PaPS5_jNS1_19radix_merge_compareILb0ELb0EaNS0_19identity_decomposerEEEEE10hipError_tT0_T1_T2_jT3_P12ihipStream_tbPNSt15iterator_traitsISE_E10value_typeEPNSK_ISF_E10value_typeEPSG_NS1_7vsmem_tEENKUlT_SE_SF_SG_E_clIS8_S8_S9_S9_EESD_ST_SE_SF_SG_EUlST_E_NS1_11comp_targetILNS1_3genE8ELNS1_11target_archE1030ELNS1_3gpuE2ELNS1_3repE0EEENS1_48merge_mergepath_partition_config_static_selectorELNS0_4arch9wavefront6targetE1EEEvSF_
; %bb.0:
	.section	.rodata,"a",@progbits
	.p2align	6, 0x0
	.amdhsa_kernel _ZN7rocprim17ROCPRIM_400000_NS6detail17trampoline_kernelINS0_14default_configENS1_38merge_sort_block_merge_config_selectorIaNS0_10empty_typeEEEZZNS1_27merge_sort_block_merge_implIS3_PaPS5_jNS1_19radix_merge_compareILb0ELb0EaNS0_19identity_decomposerEEEEE10hipError_tT0_T1_T2_jT3_P12ihipStream_tbPNSt15iterator_traitsISE_E10value_typeEPNSK_ISF_E10value_typeEPSG_NS1_7vsmem_tEENKUlT_SE_SF_SG_E_clIS8_S8_S9_S9_EESD_ST_SE_SF_SG_EUlST_E_NS1_11comp_targetILNS1_3genE8ELNS1_11target_archE1030ELNS1_3gpuE2ELNS1_3repE0EEENS1_48merge_mergepath_partition_config_static_selectorELNS0_4arch9wavefront6targetE1EEEvSF_
		.amdhsa_group_segment_fixed_size 0
		.amdhsa_private_segment_fixed_size 0
		.amdhsa_kernarg_size 40
		.amdhsa_user_sgpr_count 6
		.amdhsa_user_sgpr_private_segment_buffer 1
		.amdhsa_user_sgpr_dispatch_ptr 0
		.amdhsa_user_sgpr_queue_ptr 0
		.amdhsa_user_sgpr_kernarg_segment_ptr 1
		.amdhsa_user_sgpr_dispatch_id 0
		.amdhsa_user_sgpr_flat_scratch_init 0
		.amdhsa_user_sgpr_kernarg_preload_length 0
		.amdhsa_user_sgpr_kernarg_preload_offset 0
		.amdhsa_user_sgpr_private_segment_size 0
		.amdhsa_uses_dynamic_stack 0
		.amdhsa_system_sgpr_private_segment_wavefront_offset 0
		.amdhsa_system_sgpr_workgroup_id_x 1
		.amdhsa_system_sgpr_workgroup_id_y 0
		.amdhsa_system_sgpr_workgroup_id_z 0
		.amdhsa_system_sgpr_workgroup_info 0
		.amdhsa_system_vgpr_workitem_id 0
		.amdhsa_next_free_vgpr 1
		.amdhsa_next_free_sgpr 0
		.amdhsa_accum_offset 4
		.amdhsa_reserve_vcc 0
		.amdhsa_reserve_flat_scratch 0
		.amdhsa_float_round_mode_32 0
		.amdhsa_float_round_mode_16_64 0
		.amdhsa_float_denorm_mode_32 3
		.amdhsa_float_denorm_mode_16_64 3
		.amdhsa_dx10_clamp 1
		.amdhsa_ieee_mode 1
		.amdhsa_fp16_overflow 0
		.amdhsa_tg_split 0
		.amdhsa_exception_fp_ieee_invalid_op 0
		.amdhsa_exception_fp_denorm_src 0
		.amdhsa_exception_fp_ieee_div_zero 0
		.amdhsa_exception_fp_ieee_overflow 0
		.amdhsa_exception_fp_ieee_underflow 0
		.amdhsa_exception_fp_ieee_inexact 0
		.amdhsa_exception_int_div_zero 0
	.end_amdhsa_kernel
	.section	.text._ZN7rocprim17ROCPRIM_400000_NS6detail17trampoline_kernelINS0_14default_configENS1_38merge_sort_block_merge_config_selectorIaNS0_10empty_typeEEEZZNS1_27merge_sort_block_merge_implIS3_PaPS5_jNS1_19radix_merge_compareILb0ELb0EaNS0_19identity_decomposerEEEEE10hipError_tT0_T1_T2_jT3_P12ihipStream_tbPNSt15iterator_traitsISE_E10value_typeEPNSK_ISF_E10value_typeEPSG_NS1_7vsmem_tEENKUlT_SE_SF_SG_E_clIS8_S8_S9_S9_EESD_ST_SE_SF_SG_EUlST_E_NS1_11comp_targetILNS1_3genE8ELNS1_11target_archE1030ELNS1_3gpuE2ELNS1_3repE0EEENS1_48merge_mergepath_partition_config_static_selectorELNS0_4arch9wavefront6targetE1EEEvSF_,"axG",@progbits,_ZN7rocprim17ROCPRIM_400000_NS6detail17trampoline_kernelINS0_14default_configENS1_38merge_sort_block_merge_config_selectorIaNS0_10empty_typeEEEZZNS1_27merge_sort_block_merge_implIS3_PaPS5_jNS1_19radix_merge_compareILb0ELb0EaNS0_19identity_decomposerEEEEE10hipError_tT0_T1_T2_jT3_P12ihipStream_tbPNSt15iterator_traitsISE_E10value_typeEPNSK_ISF_E10value_typeEPSG_NS1_7vsmem_tEENKUlT_SE_SF_SG_E_clIS8_S8_S9_S9_EESD_ST_SE_SF_SG_EUlST_E_NS1_11comp_targetILNS1_3genE8ELNS1_11target_archE1030ELNS1_3gpuE2ELNS1_3repE0EEENS1_48merge_mergepath_partition_config_static_selectorELNS0_4arch9wavefront6targetE1EEEvSF_,comdat
.Lfunc_end143:
	.size	_ZN7rocprim17ROCPRIM_400000_NS6detail17trampoline_kernelINS0_14default_configENS1_38merge_sort_block_merge_config_selectorIaNS0_10empty_typeEEEZZNS1_27merge_sort_block_merge_implIS3_PaPS5_jNS1_19radix_merge_compareILb0ELb0EaNS0_19identity_decomposerEEEEE10hipError_tT0_T1_T2_jT3_P12ihipStream_tbPNSt15iterator_traitsISE_E10value_typeEPNSK_ISF_E10value_typeEPSG_NS1_7vsmem_tEENKUlT_SE_SF_SG_E_clIS8_S8_S9_S9_EESD_ST_SE_SF_SG_EUlST_E_NS1_11comp_targetILNS1_3genE8ELNS1_11target_archE1030ELNS1_3gpuE2ELNS1_3repE0EEENS1_48merge_mergepath_partition_config_static_selectorELNS0_4arch9wavefront6targetE1EEEvSF_, .Lfunc_end143-_ZN7rocprim17ROCPRIM_400000_NS6detail17trampoline_kernelINS0_14default_configENS1_38merge_sort_block_merge_config_selectorIaNS0_10empty_typeEEEZZNS1_27merge_sort_block_merge_implIS3_PaPS5_jNS1_19radix_merge_compareILb0ELb0EaNS0_19identity_decomposerEEEEE10hipError_tT0_T1_T2_jT3_P12ihipStream_tbPNSt15iterator_traitsISE_E10value_typeEPNSK_ISF_E10value_typeEPSG_NS1_7vsmem_tEENKUlT_SE_SF_SG_E_clIS8_S8_S9_S9_EESD_ST_SE_SF_SG_EUlST_E_NS1_11comp_targetILNS1_3genE8ELNS1_11target_archE1030ELNS1_3gpuE2ELNS1_3repE0EEENS1_48merge_mergepath_partition_config_static_selectorELNS0_4arch9wavefront6targetE1EEEvSF_
                                        ; -- End function
	.section	.AMDGPU.csdata,"",@progbits
; Kernel info:
; codeLenInByte = 0
; NumSgprs: 4
; NumVgprs: 0
; NumAgprs: 0
; TotalNumVgprs: 0
; ScratchSize: 0
; MemoryBound: 0
; FloatMode: 240
; IeeeMode: 1
; LDSByteSize: 0 bytes/workgroup (compile time only)
; SGPRBlocks: 0
; VGPRBlocks: 0
; NumSGPRsForWavesPerEU: 4
; NumVGPRsForWavesPerEU: 1
; AccumOffset: 4
; Occupancy: 8
; WaveLimiterHint : 0
; COMPUTE_PGM_RSRC2:SCRATCH_EN: 0
; COMPUTE_PGM_RSRC2:USER_SGPR: 6
; COMPUTE_PGM_RSRC2:TRAP_HANDLER: 0
; COMPUTE_PGM_RSRC2:TGID_X_EN: 1
; COMPUTE_PGM_RSRC2:TGID_Y_EN: 0
; COMPUTE_PGM_RSRC2:TGID_Z_EN: 0
; COMPUTE_PGM_RSRC2:TIDIG_COMP_CNT: 0
; COMPUTE_PGM_RSRC3_GFX90A:ACCUM_OFFSET: 0
; COMPUTE_PGM_RSRC3_GFX90A:TG_SPLIT: 0
	.section	.text._ZN7rocprim17ROCPRIM_400000_NS6detail17trampoline_kernelINS0_14default_configENS1_38merge_sort_block_merge_config_selectorIaNS0_10empty_typeEEEZZNS1_27merge_sort_block_merge_implIS3_PaPS5_jNS1_19radix_merge_compareILb0ELb0EaNS0_19identity_decomposerEEEEE10hipError_tT0_T1_T2_jT3_P12ihipStream_tbPNSt15iterator_traitsISE_E10value_typeEPNSK_ISF_E10value_typeEPSG_NS1_7vsmem_tEENKUlT_SE_SF_SG_E_clIS8_S8_S9_S9_EESD_ST_SE_SF_SG_EUlST_E0_NS1_11comp_targetILNS1_3genE0ELNS1_11target_archE4294967295ELNS1_3gpuE0ELNS1_3repE0EEENS1_38merge_mergepath_config_static_selectorELNS0_4arch9wavefront6targetE1EEEvSF_,"axG",@progbits,_ZN7rocprim17ROCPRIM_400000_NS6detail17trampoline_kernelINS0_14default_configENS1_38merge_sort_block_merge_config_selectorIaNS0_10empty_typeEEEZZNS1_27merge_sort_block_merge_implIS3_PaPS5_jNS1_19radix_merge_compareILb0ELb0EaNS0_19identity_decomposerEEEEE10hipError_tT0_T1_T2_jT3_P12ihipStream_tbPNSt15iterator_traitsISE_E10value_typeEPNSK_ISF_E10value_typeEPSG_NS1_7vsmem_tEENKUlT_SE_SF_SG_E_clIS8_S8_S9_S9_EESD_ST_SE_SF_SG_EUlST_E0_NS1_11comp_targetILNS1_3genE0ELNS1_11target_archE4294967295ELNS1_3gpuE0ELNS1_3repE0EEENS1_38merge_mergepath_config_static_selectorELNS0_4arch9wavefront6targetE1EEEvSF_,comdat
	.protected	_ZN7rocprim17ROCPRIM_400000_NS6detail17trampoline_kernelINS0_14default_configENS1_38merge_sort_block_merge_config_selectorIaNS0_10empty_typeEEEZZNS1_27merge_sort_block_merge_implIS3_PaPS5_jNS1_19radix_merge_compareILb0ELb0EaNS0_19identity_decomposerEEEEE10hipError_tT0_T1_T2_jT3_P12ihipStream_tbPNSt15iterator_traitsISE_E10value_typeEPNSK_ISF_E10value_typeEPSG_NS1_7vsmem_tEENKUlT_SE_SF_SG_E_clIS8_S8_S9_S9_EESD_ST_SE_SF_SG_EUlST_E0_NS1_11comp_targetILNS1_3genE0ELNS1_11target_archE4294967295ELNS1_3gpuE0ELNS1_3repE0EEENS1_38merge_mergepath_config_static_selectorELNS0_4arch9wavefront6targetE1EEEvSF_ ; -- Begin function _ZN7rocprim17ROCPRIM_400000_NS6detail17trampoline_kernelINS0_14default_configENS1_38merge_sort_block_merge_config_selectorIaNS0_10empty_typeEEEZZNS1_27merge_sort_block_merge_implIS3_PaPS5_jNS1_19radix_merge_compareILb0ELb0EaNS0_19identity_decomposerEEEEE10hipError_tT0_T1_T2_jT3_P12ihipStream_tbPNSt15iterator_traitsISE_E10value_typeEPNSK_ISF_E10value_typeEPSG_NS1_7vsmem_tEENKUlT_SE_SF_SG_E_clIS8_S8_S9_S9_EESD_ST_SE_SF_SG_EUlST_E0_NS1_11comp_targetILNS1_3genE0ELNS1_11target_archE4294967295ELNS1_3gpuE0ELNS1_3repE0EEENS1_38merge_mergepath_config_static_selectorELNS0_4arch9wavefront6targetE1EEEvSF_
	.globl	_ZN7rocprim17ROCPRIM_400000_NS6detail17trampoline_kernelINS0_14default_configENS1_38merge_sort_block_merge_config_selectorIaNS0_10empty_typeEEEZZNS1_27merge_sort_block_merge_implIS3_PaPS5_jNS1_19radix_merge_compareILb0ELb0EaNS0_19identity_decomposerEEEEE10hipError_tT0_T1_T2_jT3_P12ihipStream_tbPNSt15iterator_traitsISE_E10value_typeEPNSK_ISF_E10value_typeEPSG_NS1_7vsmem_tEENKUlT_SE_SF_SG_E_clIS8_S8_S9_S9_EESD_ST_SE_SF_SG_EUlST_E0_NS1_11comp_targetILNS1_3genE0ELNS1_11target_archE4294967295ELNS1_3gpuE0ELNS1_3repE0EEENS1_38merge_mergepath_config_static_selectorELNS0_4arch9wavefront6targetE1EEEvSF_
	.p2align	8
	.type	_ZN7rocprim17ROCPRIM_400000_NS6detail17trampoline_kernelINS0_14default_configENS1_38merge_sort_block_merge_config_selectorIaNS0_10empty_typeEEEZZNS1_27merge_sort_block_merge_implIS3_PaPS5_jNS1_19radix_merge_compareILb0ELb0EaNS0_19identity_decomposerEEEEE10hipError_tT0_T1_T2_jT3_P12ihipStream_tbPNSt15iterator_traitsISE_E10value_typeEPNSK_ISF_E10value_typeEPSG_NS1_7vsmem_tEENKUlT_SE_SF_SG_E_clIS8_S8_S9_S9_EESD_ST_SE_SF_SG_EUlST_E0_NS1_11comp_targetILNS1_3genE0ELNS1_11target_archE4294967295ELNS1_3gpuE0ELNS1_3repE0EEENS1_38merge_mergepath_config_static_selectorELNS0_4arch9wavefront6targetE1EEEvSF_,@function
_ZN7rocprim17ROCPRIM_400000_NS6detail17trampoline_kernelINS0_14default_configENS1_38merge_sort_block_merge_config_selectorIaNS0_10empty_typeEEEZZNS1_27merge_sort_block_merge_implIS3_PaPS5_jNS1_19radix_merge_compareILb0ELb0EaNS0_19identity_decomposerEEEEE10hipError_tT0_T1_T2_jT3_P12ihipStream_tbPNSt15iterator_traitsISE_E10value_typeEPNSK_ISF_E10value_typeEPSG_NS1_7vsmem_tEENKUlT_SE_SF_SG_E_clIS8_S8_S9_S9_EESD_ST_SE_SF_SG_EUlST_E0_NS1_11comp_targetILNS1_3genE0ELNS1_11target_archE4294967295ELNS1_3gpuE0ELNS1_3repE0EEENS1_38merge_mergepath_config_static_selectorELNS0_4arch9wavefront6targetE1EEEvSF_: ; @_ZN7rocprim17ROCPRIM_400000_NS6detail17trampoline_kernelINS0_14default_configENS1_38merge_sort_block_merge_config_selectorIaNS0_10empty_typeEEEZZNS1_27merge_sort_block_merge_implIS3_PaPS5_jNS1_19radix_merge_compareILb0ELb0EaNS0_19identity_decomposerEEEEE10hipError_tT0_T1_T2_jT3_P12ihipStream_tbPNSt15iterator_traitsISE_E10value_typeEPNSK_ISF_E10value_typeEPSG_NS1_7vsmem_tEENKUlT_SE_SF_SG_E_clIS8_S8_S9_S9_EESD_ST_SE_SF_SG_EUlST_E0_NS1_11comp_targetILNS1_3genE0ELNS1_11target_archE4294967295ELNS1_3gpuE0ELNS1_3repE0EEENS1_38merge_mergepath_config_static_selectorELNS0_4arch9wavefront6targetE1EEEvSF_
; %bb.0:
	.section	.rodata,"a",@progbits
	.p2align	6, 0x0
	.amdhsa_kernel _ZN7rocprim17ROCPRIM_400000_NS6detail17trampoline_kernelINS0_14default_configENS1_38merge_sort_block_merge_config_selectorIaNS0_10empty_typeEEEZZNS1_27merge_sort_block_merge_implIS3_PaPS5_jNS1_19radix_merge_compareILb0ELb0EaNS0_19identity_decomposerEEEEE10hipError_tT0_T1_T2_jT3_P12ihipStream_tbPNSt15iterator_traitsISE_E10value_typeEPNSK_ISF_E10value_typeEPSG_NS1_7vsmem_tEENKUlT_SE_SF_SG_E_clIS8_S8_S9_S9_EESD_ST_SE_SF_SG_EUlST_E0_NS1_11comp_targetILNS1_3genE0ELNS1_11target_archE4294967295ELNS1_3gpuE0ELNS1_3repE0EEENS1_38merge_mergepath_config_static_selectorELNS0_4arch9wavefront6targetE1EEEvSF_
		.amdhsa_group_segment_fixed_size 0
		.amdhsa_private_segment_fixed_size 0
		.amdhsa_kernarg_size 64
		.amdhsa_user_sgpr_count 6
		.amdhsa_user_sgpr_private_segment_buffer 1
		.amdhsa_user_sgpr_dispatch_ptr 0
		.amdhsa_user_sgpr_queue_ptr 0
		.amdhsa_user_sgpr_kernarg_segment_ptr 1
		.amdhsa_user_sgpr_dispatch_id 0
		.amdhsa_user_sgpr_flat_scratch_init 0
		.amdhsa_user_sgpr_kernarg_preload_length 0
		.amdhsa_user_sgpr_kernarg_preload_offset 0
		.amdhsa_user_sgpr_private_segment_size 0
		.amdhsa_uses_dynamic_stack 0
		.amdhsa_system_sgpr_private_segment_wavefront_offset 0
		.amdhsa_system_sgpr_workgroup_id_x 1
		.amdhsa_system_sgpr_workgroup_id_y 0
		.amdhsa_system_sgpr_workgroup_id_z 0
		.amdhsa_system_sgpr_workgroup_info 0
		.amdhsa_system_vgpr_workitem_id 0
		.amdhsa_next_free_vgpr 1
		.amdhsa_next_free_sgpr 0
		.amdhsa_accum_offset 4
		.amdhsa_reserve_vcc 0
		.amdhsa_reserve_flat_scratch 0
		.amdhsa_float_round_mode_32 0
		.amdhsa_float_round_mode_16_64 0
		.amdhsa_float_denorm_mode_32 3
		.amdhsa_float_denorm_mode_16_64 3
		.amdhsa_dx10_clamp 1
		.amdhsa_ieee_mode 1
		.amdhsa_fp16_overflow 0
		.amdhsa_tg_split 0
		.amdhsa_exception_fp_ieee_invalid_op 0
		.amdhsa_exception_fp_denorm_src 0
		.amdhsa_exception_fp_ieee_div_zero 0
		.amdhsa_exception_fp_ieee_overflow 0
		.amdhsa_exception_fp_ieee_underflow 0
		.amdhsa_exception_fp_ieee_inexact 0
		.amdhsa_exception_int_div_zero 0
	.end_amdhsa_kernel
	.section	.text._ZN7rocprim17ROCPRIM_400000_NS6detail17trampoline_kernelINS0_14default_configENS1_38merge_sort_block_merge_config_selectorIaNS0_10empty_typeEEEZZNS1_27merge_sort_block_merge_implIS3_PaPS5_jNS1_19radix_merge_compareILb0ELb0EaNS0_19identity_decomposerEEEEE10hipError_tT0_T1_T2_jT3_P12ihipStream_tbPNSt15iterator_traitsISE_E10value_typeEPNSK_ISF_E10value_typeEPSG_NS1_7vsmem_tEENKUlT_SE_SF_SG_E_clIS8_S8_S9_S9_EESD_ST_SE_SF_SG_EUlST_E0_NS1_11comp_targetILNS1_3genE0ELNS1_11target_archE4294967295ELNS1_3gpuE0ELNS1_3repE0EEENS1_38merge_mergepath_config_static_selectorELNS0_4arch9wavefront6targetE1EEEvSF_,"axG",@progbits,_ZN7rocprim17ROCPRIM_400000_NS6detail17trampoline_kernelINS0_14default_configENS1_38merge_sort_block_merge_config_selectorIaNS0_10empty_typeEEEZZNS1_27merge_sort_block_merge_implIS3_PaPS5_jNS1_19radix_merge_compareILb0ELb0EaNS0_19identity_decomposerEEEEE10hipError_tT0_T1_T2_jT3_P12ihipStream_tbPNSt15iterator_traitsISE_E10value_typeEPNSK_ISF_E10value_typeEPSG_NS1_7vsmem_tEENKUlT_SE_SF_SG_E_clIS8_S8_S9_S9_EESD_ST_SE_SF_SG_EUlST_E0_NS1_11comp_targetILNS1_3genE0ELNS1_11target_archE4294967295ELNS1_3gpuE0ELNS1_3repE0EEENS1_38merge_mergepath_config_static_selectorELNS0_4arch9wavefront6targetE1EEEvSF_,comdat
.Lfunc_end144:
	.size	_ZN7rocprim17ROCPRIM_400000_NS6detail17trampoline_kernelINS0_14default_configENS1_38merge_sort_block_merge_config_selectorIaNS0_10empty_typeEEEZZNS1_27merge_sort_block_merge_implIS3_PaPS5_jNS1_19radix_merge_compareILb0ELb0EaNS0_19identity_decomposerEEEEE10hipError_tT0_T1_T2_jT3_P12ihipStream_tbPNSt15iterator_traitsISE_E10value_typeEPNSK_ISF_E10value_typeEPSG_NS1_7vsmem_tEENKUlT_SE_SF_SG_E_clIS8_S8_S9_S9_EESD_ST_SE_SF_SG_EUlST_E0_NS1_11comp_targetILNS1_3genE0ELNS1_11target_archE4294967295ELNS1_3gpuE0ELNS1_3repE0EEENS1_38merge_mergepath_config_static_selectorELNS0_4arch9wavefront6targetE1EEEvSF_, .Lfunc_end144-_ZN7rocprim17ROCPRIM_400000_NS6detail17trampoline_kernelINS0_14default_configENS1_38merge_sort_block_merge_config_selectorIaNS0_10empty_typeEEEZZNS1_27merge_sort_block_merge_implIS3_PaPS5_jNS1_19radix_merge_compareILb0ELb0EaNS0_19identity_decomposerEEEEE10hipError_tT0_T1_T2_jT3_P12ihipStream_tbPNSt15iterator_traitsISE_E10value_typeEPNSK_ISF_E10value_typeEPSG_NS1_7vsmem_tEENKUlT_SE_SF_SG_E_clIS8_S8_S9_S9_EESD_ST_SE_SF_SG_EUlST_E0_NS1_11comp_targetILNS1_3genE0ELNS1_11target_archE4294967295ELNS1_3gpuE0ELNS1_3repE0EEENS1_38merge_mergepath_config_static_selectorELNS0_4arch9wavefront6targetE1EEEvSF_
                                        ; -- End function
	.section	.AMDGPU.csdata,"",@progbits
; Kernel info:
; codeLenInByte = 0
; NumSgprs: 4
; NumVgprs: 0
; NumAgprs: 0
; TotalNumVgprs: 0
; ScratchSize: 0
; MemoryBound: 0
; FloatMode: 240
; IeeeMode: 1
; LDSByteSize: 0 bytes/workgroup (compile time only)
; SGPRBlocks: 0
; VGPRBlocks: 0
; NumSGPRsForWavesPerEU: 4
; NumVGPRsForWavesPerEU: 1
; AccumOffset: 4
; Occupancy: 8
; WaveLimiterHint : 0
; COMPUTE_PGM_RSRC2:SCRATCH_EN: 0
; COMPUTE_PGM_RSRC2:USER_SGPR: 6
; COMPUTE_PGM_RSRC2:TRAP_HANDLER: 0
; COMPUTE_PGM_RSRC2:TGID_X_EN: 1
; COMPUTE_PGM_RSRC2:TGID_Y_EN: 0
; COMPUTE_PGM_RSRC2:TGID_Z_EN: 0
; COMPUTE_PGM_RSRC2:TIDIG_COMP_CNT: 0
; COMPUTE_PGM_RSRC3_GFX90A:ACCUM_OFFSET: 0
; COMPUTE_PGM_RSRC3_GFX90A:TG_SPLIT: 0
	.section	.text._ZN7rocprim17ROCPRIM_400000_NS6detail17trampoline_kernelINS0_14default_configENS1_38merge_sort_block_merge_config_selectorIaNS0_10empty_typeEEEZZNS1_27merge_sort_block_merge_implIS3_PaPS5_jNS1_19radix_merge_compareILb0ELb0EaNS0_19identity_decomposerEEEEE10hipError_tT0_T1_T2_jT3_P12ihipStream_tbPNSt15iterator_traitsISE_E10value_typeEPNSK_ISF_E10value_typeEPSG_NS1_7vsmem_tEENKUlT_SE_SF_SG_E_clIS8_S8_S9_S9_EESD_ST_SE_SF_SG_EUlST_E0_NS1_11comp_targetILNS1_3genE10ELNS1_11target_archE1201ELNS1_3gpuE5ELNS1_3repE0EEENS1_38merge_mergepath_config_static_selectorELNS0_4arch9wavefront6targetE1EEEvSF_,"axG",@progbits,_ZN7rocprim17ROCPRIM_400000_NS6detail17trampoline_kernelINS0_14default_configENS1_38merge_sort_block_merge_config_selectorIaNS0_10empty_typeEEEZZNS1_27merge_sort_block_merge_implIS3_PaPS5_jNS1_19radix_merge_compareILb0ELb0EaNS0_19identity_decomposerEEEEE10hipError_tT0_T1_T2_jT3_P12ihipStream_tbPNSt15iterator_traitsISE_E10value_typeEPNSK_ISF_E10value_typeEPSG_NS1_7vsmem_tEENKUlT_SE_SF_SG_E_clIS8_S8_S9_S9_EESD_ST_SE_SF_SG_EUlST_E0_NS1_11comp_targetILNS1_3genE10ELNS1_11target_archE1201ELNS1_3gpuE5ELNS1_3repE0EEENS1_38merge_mergepath_config_static_selectorELNS0_4arch9wavefront6targetE1EEEvSF_,comdat
	.protected	_ZN7rocprim17ROCPRIM_400000_NS6detail17trampoline_kernelINS0_14default_configENS1_38merge_sort_block_merge_config_selectorIaNS0_10empty_typeEEEZZNS1_27merge_sort_block_merge_implIS3_PaPS5_jNS1_19radix_merge_compareILb0ELb0EaNS0_19identity_decomposerEEEEE10hipError_tT0_T1_T2_jT3_P12ihipStream_tbPNSt15iterator_traitsISE_E10value_typeEPNSK_ISF_E10value_typeEPSG_NS1_7vsmem_tEENKUlT_SE_SF_SG_E_clIS8_S8_S9_S9_EESD_ST_SE_SF_SG_EUlST_E0_NS1_11comp_targetILNS1_3genE10ELNS1_11target_archE1201ELNS1_3gpuE5ELNS1_3repE0EEENS1_38merge_mergepath_config_static_selectorELNS0_4arch9wavefront6targetE1EEEvSF_ ; -- Begin function _ZN7rocprim17ROCPRIM_400000_NS6detail17trampoline_kernelINS0_14default_configENS1_38merge_sort_block_merge_config_selectorIaNS0_10empty_typeEEEZZNS1_27merge_sort_block_merge_implIS3_PaPS5_jNS1_19radix_merge_compareILb0ELb0EaNS0_19identity_decomposerEEEEE10hipError_tT0_T1_T2_jT3_P12ihipStream_tbPNSt15iterator_traitsISE_E10value_typeEPNSK_ISF_E10value_typeEPSG_NS1_7vsmem_tEENKUlT_SE_SF_SG_E_clIS8_S8_S9_S9_EESD_ST_SE_SF_SG_EUlST_E0_NS1_11comp_targetILNS1_3genE10ELNS1_11target_archE1201ELNS1_3gpuE5ELNS1_3repE0EEENS1_38merge_mergepath_config_static_selectorELNS0_4arch9wavefront6targetE1EEEvSF_
	.globl	_ZN7rocprim17ROCPRIM_400000_NS6detail17trampoline_kernelINS0_14default_configENS1_38merge_sort_block_merge_config_selectorIaNS0_10empty_typeEEEZZNS1_27merge_sort_block_merge_implIS3_PaPS5_jNS1_19radix_merge_compareILb0ELb0EaNS0_19identity_decomposerEEEEE10hipError_tT0_T1_T2_jT3_P12ihipStream_tbPNSt15iterator_traitsISE_E10value_typeEPNSK_ISF_E10value_typeEPSG_NS1_7vsmem_tEENKUlT_SE_SF_SG_E_clIS8_S8_S9_S9_EESD_ST_SE_SF_SG_EUlST_E0_NS1_11comp_targetILNS1_3genE10ELNS1_11target_archE1201ELNS1_3gpuE5ELNS1_3repE0EEENS1_38merge_mergepath_config_static_selectorELNS0_4arch9wavefront6targetE1EEEvSF_
	.p2align	8
	.type	_ZN7rocprim17ROCPRIM_400000_NS6detail17trampoline_kernelINS0_14default_configENS1_38merge_sort_block_merge_config_selectorIaNS0_10empty_typeEEEZZNS1_27merge_sort_block_merge_implIS3_PaPS5_jNS1_19radix_merge_compareILb0ELb0EaNS0_19identity_decomposerEEEEE10hipError_tT0_T1_T2_jT3_P12ihipStream_tbPNSt15iterator_traitsISE_E10value_typeEPNSK_ISF_E10value_typeEPSG_NS1_7vsmem_tEENKUlT_SE_SF_SG_E_clIS8_S8_S9_S9_EESD_ST_SE_SF_SG_EUlST_E0_NS1_11comp_targetILNS1_3genE10ELNS1_11target_archE1201ELNS1_3gpuE5ELNS1_3repE0EEENS1_38merge_mergepath_config_static_selectorELNS0_4arch9wavefront6targetE1EEEvSF_,@function
_ZN7rocprim17ROCPRIM_400000_NS6detail17trampoline_kernelINS0_14default_configENS1_38merge_sort_block_merge_config_selectorIaNS0_10empty_typeEEEZZNS1_27merge_sort_block_merge_implIS3_PaPS5_jNS1_19radix_merge_compareILb0ELb0EaNS0_19identity_decomposerEEEEE10hipError_tT0_T1_T2_jT3_P12ihipStream_tbPNSt15iterator_traitsISE_E10value_typeEPNSK_ISF_E10value_typeEPSG_NS1_7vsmem_tEENKUlT_SE_SF_SG_E_clIS8_S8_S9_S9_EESD_ST_SE_SF_SG_EUlST_E0_NS1_11comp_targetILNS1_3genE10ELNS1_11target_archE1201ELNS1_3gpuE5ELNS1_3repE0EEENS1_38merge_mergepath_config_static_selectorELNS0_4arch9wavefront6targetE1EEEvSF_: ; @_ZN7rocprim17ROCPRIM_400000_NS6detail17trampoline_kernelINS0_14default_configENS1_38merge_sort_block_merge_config_selectorIaNS0_10empty_typeEEEZZNS1_27merge_sort_block_merge_implIS3_PaPS5_jNS1_19radix_merge_compareILb0ELb0EaNS0_19identity_decomposerEEEEE10hipError_tT0_T1_T2_jT3_P12ihipStream_tbPNSt15iterator_traitsISE_E10value_typeEPNSK_ISF_E10value_typeEPSG_NS1_7vsmem_tEENKUlT_SE_SF_SG_E_clIS8_S8_S9_S9_EESD_ST_SE_SF_SG_EUlST_E0_NS1_11comp_targetILNS1_3genE10ELNS1_11target_archE1201ELNS1_3gpuE5ELNS1_3repE0EEENS1_38merge_mergepath_config_static_selectorELNS0_4arch9wavefront6targetE1EEEvSF_
; %bb.0:
	.section	.rodata,"a",@progbits
	.p2align	6, 0x0
	.amdhsa_kernel _ZN7rocprim17ROCPRIM_400000_NS6detail17trampoline_kernelINS0_14default_configENS1_38merge_sort_block_merge_config_selectorIaNS0_10empty_typeEEEZZNS1_27merge_sort_block_merge_implIS3_PaPS5_jNS1_19radix_merge_compareILb0ELb0EaNS0_19identity_decomposerEEEEE10hipError_tT0_T1_T2_jT3_P12ihipStream_tbPNSt15iterator_traitsISE_E10value_typeEPNSK_ISF_E10value_typeEPSG_NS1_7vsmem_tEENKUlT_SE_SF_SG_E_clIS8_S8_S9_S9_EESD_ST_SE_SF_SG_EUlST_E0_NS1_11comp_targetILNS1_3genE10ELNS1_11target_archE1201ELNS1_3gpuE5ELNS1_3repE0EEENS1_38merge_mergepath_config_static_selectorELNS0_4arch9wavefront6targetE1EEEvSF_
		.amdhsa_group_segment_fixed_size 0
		.amdhsa_private_segment_fixed_size 0
		.amdhsa_kernarg_size 64
		.amdhsa_user_sgpr_count 6
		.amdhsa_user_sgpr_private_segment_buffer 1
		.amdhsa_user_sgpr_dispatch_ptr 0
		.amdhsa_user_sgpr_queue_ptr 0
		.amdhsa_user_sgpr_kernarg_segment_ptr 1
		.amdhsa_user_sgpr_dispatch_id 0
		.amdhsa_user_sgpr_flat_scratch_init 0
		.amdhsa_user_sgpr_kernarg_preload_length 0
		.amdhsa_user_sgpr_kernarg_preload_offset 0
		.amdhsa_user_sgpr_private_segment_size 0
		.amdhsa_uses_dynamic_stack 0
		.amdhsa_system_sgpr_private_segment_wavefront_offset 0
		.amdhsa_system_sgpr_workgroup_id_x 1
		.amdhsa_system_sgpr_workgroup_id_y 0
		.amdhsa_system_sgpr_workgroup_id_z 0
		.amdhsa_system_sgpr_workgroup_info 0
		.amdhsa_system_vgpr_workitem_id 0
		.amdhsa_next_free_vgpr 1
		.amdhsa_next_free_sgpr 0
		.amdhsa_accum_offset 4
		.amdhsa_reserve_vcc 0
		.amdhsa_reserve_flat_scratch 0
		.amdhsa_float_round_mode_32 0
		.amdhsa_float_round_mode_16_64 0
		.amdhsa_float_denorm_mode_32 3
		.amdhsa_float_denorm_mode_16_64 3
		.amdhsa_dx10_clamp 1
		.amdhsa_ieee_mode 1
		.amdhsa_fp16_overflow 0
		.amdhsa_tg_split 0
		.amdhsa_exception_fp_ieee_invalid_op 0
		.amdhsa_exception_fp_denorm_src 0
		.amdhsa_exception_fp_ieee_div_zero 0
		.amdhsa_exception_fp_ieee_overflow 0
		.amdhsa_exception_fp_ieee_underflow 0
		.amdhsa_exception_fp_ieee_inexact 0
		.amdhsa_exception_int_div_zero 0
	.end_amdhsa_kernel
	.section	.text._ZN7rocprim17ROCPRIM_400000_NS6detail17trampoline_kernelINS0_14default_configENS1_38merge_sort_block_merge_config_selectorIaNS0_10empty_typeEEEZZNS1_27merge_sort_block_merge_implIS3_PaPS5_jNS1_19radix_merge_compareILb0ELb0EaNS0_19identity_decomposerEEEEE10hipError_tT0_T1_T2_jT3_P12ihipStream_tbPNSt15iterator_traitsISE_E10value_typeEPNSK_ISF_E10value_typeEPSG_NS1_7vsmem_tEENKUlT_SE_SF_SG_E_clIS8_S8_S9_S9_EESD_ST_SE_SF_SG_EUlST_E0_NS1_11comp_targetILNS1_3genE10ELNS1_11target_archE1201ELNS1_3gpuE5ELNS1_3repE0EEENS1_38merge_mergepath_config_static_selectorELNS0_4arch9wavefront6targetE1EEEvSF_,"axG",@progbits,_ZN7rocprim17ROCPRIM_400000_NS6detail17trampoline_kernelINS0_14default_configENS1_38merge_sort_block_merge_config_selectorIaNS0_10empty_typeEEEZZNS1_27merge_sort_block_merge_implIS3_PaPS5_jNS1_19radix_merge_compareILb0ELb0EaNS0_19identity_decomposerEEEEE10hipError_tT0_T1_T2_jT3_P12ihipStream_tbPNSt15iterator_traitsISE_E10value_typeEPNSK_ISF_E10value_typeEPSG_NS1_7vsmem_tEENKUlT_SE_SF_SG_E_clIS8_S8_S9_S9_EESD_ST_SE_SF_SG_EUlST_E0_NS1_11comp_targetILNS1_3genE10ELNS1_11target_archE1201ELNS1_3gpuE5ELNS1_3repE0EEENS1_38merge_mergepath_config_static_selectorELNS0_4arch9wavefront6targetE1EEEvSF_,comdat
.Lfunc_end145:
	.size	_ZN7rocprim17ROCPRIM_400000_NS6detail17trampoline_kernelINS0_14default_configENS1_38merge_sort_block_merge_config_selectorIaNS0_10empty_typeEEEZZNS1_27merge_sort_block_merge_implIS3_PaPS5_jNS1_19radix_merge_compareILb0ELb0EaNS0_19identity_decomposerEEEEE10hipError_tT0_T1_T2_jT3_P12ihipStream_tbPNSt15iterator_traitsISE_E10value_typeEPNSK_ISF_E10value_typeEPSG_NS1_7vsmem_tEENKUlT_SE_SF_SG_E_clIS8_S8_S9_S9_EESD_ST_SE_SF_SG_EUlST_E0_NS1_11comp_targetILNS1_3genE10ELNS1_11target_archE1201ELNS1_3gpuE5ELNS1_3repE0EEENS1_38merge_mergepath_config_static_selectorELNS0_4arch9wavefront6targetE1EEEvSF_, .Lfunc_end145-_ZN7rocprim17ROCPRIM_400000_NS6detail17trampoline_kernelINS0_14default_configENS1_38merge_sort_block_merge_config_selectorIaNS0_10empty_typeEEEZZNS1_27merge_sort_block_merge_implIS3_PaPS5_jNS1_19radix_merge_compareILb0ELb0EaNS0_19identity_decomposerEEEEE10hipError_tT0_T1_T2_jT3_P12ihipStream_tbPNSt15iterator_traitsISE_E10value_typeEPNSK_ISF_E10value_typeEPSG_NS1_7vsmem_tEENKUlT_SE_SF_SG_E_clIS8_S8_S9_S9_EESD_ST_SE_SF_SG_EUlST_E0_NS1_11comp_targetILNS1_3genE10ELNS1_11target_archE1201ELNS1_3gpuE5ELNS1_3repE0EEENS1_38merge_mergepath_config_static_selectorELNS0_4arch9wavefront6targetE1EEEvSF_
                                        ; -- End function
	.section	.AMDGPU.csdata,"",@progbits
; Kernel info:
; codeLenInByte = 0
; NumSgprs: 4
; NumVgprs: 0
; NumAgprs: 0
; TotalNumVgprs: 0
; ScratchSize: 0
; MemoryBound: 0
; FloatMode: 240
; IeeeMode: 1
; LDSByteSize: 0 bytes/workgroup (compile time only)
; SGPRBlocks: 0
; VGPRBlocks: 0
; NumSGPRsForWavesPerEU: 4
; NumVGPRsForWavesPerEU: 1
; AccumOffset: 4
; Occupancy: 8
; WaveLimiterHint : 0
; COMPUTE_PGM_RSRC2:SCRATCH_EN: 0
; COMPUTE_PGM_RSRC2:USER_SGPR: 6
; COMPUTE_PGM_RSRC2:TRAP_HANDLER: 0
; COMPUTE_PGM_RSRC2:TGID_X_EN: 1
; COMPUTE_PGM_RSRC2:TGID_Y_EN: 0
; COMPUTE_PGM_RSRC2:TGID_Z_EN: 0
; COMPUTE_PGM_RSRC2:TIDIG_COMP_CNT: 0
; COMPUTE_PGM_RSRC3_GFX90A:ACCUM_OFFSET: 0
; COMPUTE_PGM_RSRC3_GFX90A:TG_SPLIT: 0
	.section	.text._ZN7rocprim17ROCPRIM_400000_NS6detail17trampoline_kernelINS0_14default_configENS1_38merge_sort_block_merge_config_selectorIaNS0_10empty_typeEEEZZNS1_27merge_sort_block_merge_implIS3_PaPS5_jNS1_19radix_merge_compareILb0ELb0EaNS0_19identity_decomposerEEEEE10hipError_tT0_T1_T2_jT3_P12ihipStream_tbPNSt15iterator_traitsISE_E10value_typeEPNSK_ISF_E10value_typeEPSG_NS1_7vsmem_tEENKUlT_SE_SF_SG_E_clIS8_S8_S9_S9_EESD_ST_SE_SF_SG_EUlST_E0_NS1_11comp_targetILNS1_3genE5ELNS1_11target_archE942ELNS1_3gpuE9ELNS1_3repE0EEENS1_38merge_mergepath_config_static_selectorELNS0_4arch9wavefront6targetE1EEEvSF_,"axG",@progbits,_ZN7rocprim17ROCPRIM_400000_NS6detail17trampoline_kernelINS0_14default_configENS1_38merge_sort_block_merge_config_selectorIaNS0_10empty_typeEEEZZNS1_27merge_sort_block_merge_implIS3_PaPS5_jNS1_19radix_merge_compareILb0ELb0EaNS0_19identity_decomposerEEEEE10hipError_tT0_T1_T2_jT3_P12ihipStream_tbPNSt15iterator_traitsISE_E10value_typeEPNSK_ISF_E10value_typeEPSG_NS1_7vsmem_tEENKUlT_SE_SF_SG_E_clIS8_S8_S9_S9_EESD_ST_SE_SF_SG_EUlST_E0_NS1_11comp_targetILNS1_3genE5ELNS1_11target_archE942ELNS1_3gpuE9ELNS1_3repE0EEENS1_38merge_mergepath_config_static_selectorELNS0_4arch9wavefront6targetE1EEEvSF_,comdat
	.protected	_ZN7rocprim17ROCPRIM_400000_NS6detail17trampoline_kernelINS0_14default_configENS1_38merge_sort_block_merge_config_selectorIaNS0_10empty_typeEEEZZNS1_27merge_sort_block_merge_implIS3_PaPS5_jNS1_19radix_merge_compareILb0ELb0EaNS0_19identity_decomposerEEEEE10hipError_tT0_T1_T2_jT3_P12ihipStream_tbPNSt15iterator_traitsISE_E10value_typeEPNSK_ISF_E10value_typeEPSG_NS1_7vsmem_tEENKUlT_SE_SF_SG_E_clIS8_S8_S9_S9_EESD_ST_SE_SF_SG_EUlST_E0_NS1_11comp_targetILNS1_3genE5ELNS1_11target_archE942ELNS1_3gpuE9ELNS1_3repE0EEENS1_38merge_mergepath_config_static_selectorELNS0_4arch9wavefront6targetE1EEEvSF_ ; -- Begin function _ZN7rocprim17ROCPRIM_400000_NS6detail17trampoline_kernelINS0_14default_configENS1_38merge_sort_block_merge_config_selectorIaNS0_10empty_typeEEEZZNS1_27merge_sort_block_merge_implIS3_PaPS5_jNS1_19radix_merge_compareILb0ELb0EaNS0_19identity_decomposerEEEEE10hipError_tT0_T1_T2_jT3_P12ihipStream_tbPNSt15iterator_traitsISE_E10value_typeEPNSK_ISF_E10value_typeEPSG_NS1_7vsmem_tEENKUlT_SE_SF_SG_E_clIS8_S8_S9_S9_EESD_ST_SE_SF_SG_EUlST_E0_NS1_11comp_targetILNS1_3genE5ELNS1_11target_archE942ELNS1_3gpuE9ELNS1_3repE0EEENS1_38merge_mergepath_config_static_selectorELNS0_4arch9wavefront6targetE1EEEvSF_
	.globl	_ZN7rocprim17ROCPRIM_400000_NS6detail17trampoline_kernelINS0_14default_configENS1_38merge_sort_block_merge_config_selectorIaNS0_10empty_typeEEEZZNS1_27merge_sort_block_merge_implIS3_PaPS5_jNS1_19radix_merge_compareILb0ELb0EaNS0_19identity_decomposerEEEEE10hipError_tT0_T1_T2_jT3_P12ihipStream_tbPNSt15iterator_traitsISE_E10value_typeEPNSK_ISF_E10value_typeEPSG_NS1_7vsmem_tEENKUlT_SE_SF_SG_E_clIS8_S8_S9_S9_EESD_ST_SE_SF_SG_EUlST_E0_NS1_11comp_targetILNS1_3genE5ELNS1_11target_archE942ELNS1_3gpuE9ELNS1_3repE0EEENS1_38merge_mergepath_config_static_selectorELNS0_4arch9wavefront6targetE1EEEvSF_
	.p2align	8
	.type	_ZN7rocprim17ROCPRIM_400000_NS6detail17trampoline_kernelINS0_14default_configENS1_38merge_sort_block_merge_config_selectorIaNS0_10empty_typeEEEZZNS1_27merge_sort_block_merge_implIS3_PaPS5_jNS1_19radix_merge_compareILb0ELb0EaNS0_19identity_decomposerEEEEE10hipError_tT0_T1_T2_jT3_P12ihipStream_tbPNSt15iterator_traitsISE_E10value_typeEPNSK_ISF_E10value_typeEPSG_NS1_7vsmem_tEENKUlT_SE_SF_SG_E_clIS8_S8_S9_S9_EESD_ST_SE_SF_SG_EUlST_E0_NS1_11comp_targetILNS1_3genE5ELNS1_11target_archE942ELNS1_3gpuE9ELNS1_3repE0EEENS1_38merge_mergepath_config_static_selectorELNS0_4arch9wavefront6targetE1EEEvSF_,@function
_ZN7rocprim17ROCPRIM_400000_NS6detail17trampoline_kernelINS0_14default_configENS1_38merge_sort_block_merge_config_selectorIaNS0_10empty_typeEEEZZNS1_27merge_sort_block_merge_implIS3_PaPS5_jNS1_19radix_merge_compareILb0ELb0EaNS0_19identity_decomposerEEEEE10hipError_tT0_T1_T2_jT3_P12ihipStream_tbPNSt15iterator_traitsISE_E10value_typeEPNSK_ISF_E10value_typeEPSG_NS1_7vsmem_tEENKUlT_SE_SF_SG_E_clIS8_S8_S9_S9_EESD_ST_SE_SF_SG_EUlST_E0_NS1_11comp_targetILNS1_3genE5ELNS1_11target_archE942ELNS1_3gpuE9ELNS1_3repE0EEENS1_38merge_mergepath_config_static_selectorELNS0_4arch9wavefront6targetE1EEEvSF_: ; @_ZN7rocprim17ROCPRIM_400000_NS6detail17trampoline_kernelINS0_14default_configENS1_38merge_sort_block_merge_config_selectorIaNS0_10empty_typeEEEZZNS1_27merge_sort_block_merge_implIS3_PaPS5_jNS1_19radix_merge_compareILb0ELb0EaNS0_19identity_decomposerEEEEE10hipError_tT0_T1_T2_jT3_P12ihipStream_tbPNSt15iterator_traitsISE_E10value_typeEPNSK_ISF_E10value_typeEPSG_NS1_7vsmem_tEENKUlT_SE_SF_SG_E_clIS8_S8_S9_S9_EESD_ST_SE_SF_SG_EUlST_E0_NS1_11comp_targetILNS1_3genE5ELNS1_11target_archE942ELNS1_3gpuE9ELNS1_3repE0EEENS1_38merge_mergepath_config_static_selectorELNS0_4arch9wavefront6targetE1EEEvSF_
; %bb.0:
	.section	.rodata,"a",@progbits
	.p2align	6, 0x0
	.amdhsa_kernel _ZN7rocprim17ROCPRIM_400000_NS6detail17trampoline_kernelINS0_14default_configENS1_38merge_sort_block_merge_config_selectorIaNS0_10empty_typeEEEZZNS1_27merge_sort_block_merge_implIS3_PaPS5_jNS1_19radix_merge_compareILb0ELb0EaNS0_19identity_decomposerEEEEE10hipError_tT0_T1_T2_jT3_P12ihipStream_tbPNSt15iterator_traitsISE_E10value_typeEPNSK_ISF_E10value_typeEPSG_NS1_7vsmem_tEENKUlT_SE_SF_SG_E_clIS8_S8_S9_S9_EESD_ST_SE_SF_SG_EUlST_E0_NS1_11comp_targetILNS1_3genE5ELNS1_11target_archE942ELNS1_3gpuE9ELNS1_3repE0EEENS1_38merge_mergepath_config_static_selectorELNS0_4arch9wavefront6targetE1EEEvSF_
		.amdhsa_group_segment_fixed_size 0
		.amdhsa_private_segment_fixed_size 0
		.amdhsa_kernarg_size 64
		.amdhsa_user_sgpr_count 6
		.amdhsa_user_sgpr_private_segment_buffer 1
		.amdhsa_user_sgpr_dispatch_ptr 0
		.amdhsa_user_sgpr_queue_ptr 0
		.amdhsa_user_sgpr_kernarg_segment_ptr 1
		.amdhsa_user_sgpr_dispatch_id 0
		.amdhsa_user_sgpr_flat_scratch_init 0
		.amdhsa_user_sgpr_kernarg_preload_length 0
		.amdhsa_user_sgpr_kernarg_preload_offset 0
		.amdhsa_user_sgpr_private_segment_size 0
		.amdhsa_uses_dynamic_stack 0
		.amdhsa_system_sgpr_private_segment_wavefront_offset 0
		.amdhsa_system_sgpr_workgroup_id_x 1
		.amdhsa_system_sgpr_workgroup_id_y 0
		.amdhsa_system_sgpr_workgroup_id_z 0
		.amdhsa_system_sgpr_workgroup_info 0
		.amdhsa_system_vgpr_workitem_id 0
		.amdhsa_next_free_vgpr 1
		.amdhsa_next_free_sgpr 0
		.amdhsa_accum_offset 4
		.amdhsa_reserve_vcc 0
		.amdhsa_reserve_flat_scratch 0
		.amdhsa_float_round_mode_32 0
		.amdhsa_float_round_mode_16_64 0
		.amdhsa_float_denorm_mode_32 3
		.amdhsa_float_denorm_mode_16_64 3
		.amdhsa_dx10_clamp 1
		.amdhsa_ieee_mode 1
		.amdhsa_fp16_overflow 0
		.amdhsa_tg_split 0
		.amdhsa_exception_fp_ieee_invalid_op 0
		.amdhsa_exception_fp_denorm_src 0
		.amdhsa_exception_fp_ieee_div_zero 0
		.amdhsa_exception_fp_ieee_overflow 0
		.amdhsa_exception_fp_ieee_underflow 0
		.amdhsa_exception_fp_ieee_inexact 0
		.amdhsa_exception_int_div_zero 0
	.end_amdhsa_kernel
	.section	.text._ZN7rocprim17ROCPRIM_400000_NS6detail17trampoline_kernelINS0_14default_configENS1_38merge_sort_block_merge_config_selectorIaNS0_10empty_typeEEEZZNS1_27merge_sort_block_merge_implIS3_PaPS5_jNS1_19radix_merge_compareILb0ELb0EaNS0_19identity_decomposerEEEEE10hipError_tT0_T1_T2_jT3_P12ihipStream_tbPNSt15iterator_traitsISE_E10value_typeEPNSK_ISF_E10value_typeEPSG_NS1_7vsmem_tEENKUlT_SE_SF_SG_E_clIS8_S8_S9_S9_EESD_ST_SE_SF_SG_EUlST_E0_NS1_11comp_targetILNS1_3genE5ELNS1_11target_archE942ELNS1_3gpuE9ELNS1_3repE0EEENS1_38merge_mergepath_config_static_selectorELNS0_4arch9wavefront6targetE1EEEvSF_,"axG",@progbits,_ZN7rocprim17ROCPRIM_400000_NS6detail17trampoline_kernelINS0_14default_configENS1_38merge_sort_block_merge_config_selectorIaNS0_10empty_typeEEEZZNS1_27merge_sort_block_merge_implIS3_PaPS5_jNS1_19radix_merge_compareILb0ELb0EaNS0_19identity_decomposerEEEEE10hipError_tT0_T1_T2_jT3_P12ihipStream_tbPNSt15iterator_traitsISE_E10value_typeEPNSK_ISF_E10value_typeEPSG_NS1_7vsmem_tEENKUlT_SE_SF_SG_E_clIS8_S8_S9_S9_EESD_ST_SE_SF_SG_EUlST_E0_NS1_11comp_targetILNS1_3genE5ELNS1_11target_archE942ELNS1_3gpuE9ELNS1_3repE0EEENS1_38merge_mergepath_config_static_selectorELNS0_4arch9wavefront6targetE1EEEvSF_,comdat
.Lfunc_end146:
	.size	_ZN7rocprim17ROCPRIM_400000_NS6detail17trampoline_kernelINS0_14default_configENS1_38merge_sort_block_merge_config_selectorIaNS0_10empty_typeEEEZZNS1_27merge_sort_block_merge_implIS3_PaPS5_jNS1_19radix_merge_compareILb0ELb0EaNS0_19identity_decomposerEEEEE10hipError_tT0_T1_T2_jT3_P12ihipStream_tbPNSt15iterator_traitsISE_E10value_typeEPNSK_ISF_E10value_typeEPSG_NS1_7vsmem_tEENKUlT_SE_SF_SG_E_clIS8_S8_S9_S9_EESD_ST_SE_SF_SG_EUlST_E0_NS1_11comp_targetILNS1_3genE5ELNS1_11target_archE942ELNS1_3gpuE9ELNS1_3repE0EEENS1_38merge_mergepath_config_static_selectorELNS0_4arch9wavefront6targetE1EEEvSF_, .Lfunc_end146-_ZN7rocprim17ROCPRIM_400000_NS6detail17trampoline_kernelINS0_14default_configENS1_38merge_sort_block_merge_config_selectorIaNS0_10empty_typeEEEZZNS1_27merge_sort_block_merge_implIS3_PaPS5_jNS1_19radix_merge_compareILb0ELb0EaNS0_19identity_decomposerEEEEE10hipError_tT0_T1_T2_jT3_P12ihipStream_tbPNSt15iterator_traitsISE_E10value_typeEPNSK_ISF_E10value_typeEPSG_NS1_7vsmem_tEENKUlT_SE_SF_SG_E_clIS8_S8_S9_S9_EESD_ST_SE_SF_SG_EUlST_E0_NS1_11comp_targetILNS1_3genE5ELNS1_11target_archE942ELNS1_3gpuE9ELNS1_3repE0EEENS1_38merge_mergepath_config_static_selectorELNS0_4arch9wavefront6targetE1EEEvSF_
                                        ; -- End function
	.section	.AMDGPU.csdata,"",@progbits
; Kernel info:
; codeLenInByte = 0
; NumSgprs: 4
; NumVgprs: 0
; NumAgprs: 0
; TotalNumVgprs: 0
; ScratchSize: 0
; MemoryBound: 0
; FloatMode: 240
; IeeeMode: 1
; LDSByteSize: 0 bytes/workgroup (compile time only)
; SGPRBlocks: 0
; VGPRBlocks: 0
; NumSGPRsForWavesPerEU: 4
; NumVGPRsForWavesPerEU: 1
; AccumOffset: 4
; Occupancy: 8
; WaveLimiterHint : 0
; COMPUTE_PGM_RSRC2:SCRATCH_EN: 0
; COMPUTE_PGM_RSRC2:USER_SGPR: 6
; COMPUTE_PGM_RSRC2:TRAP_HANDLER: 0
; COMPUTE_PGM_RSRC2:TGID_X_EN: 1
; COMPUTE_PGM_RSRC2:TGID_Y_EN: 0
; COMPUTE_PGM_RSRC2:TGID_Z_EN: 0
; COMPUTE_PGM_RSRC2:TIDIG_COMP_CNT: 0
; COMPUTE_PGM_RSRC3_GFX90A:ACCUM_OFFSET: 0
; COMPUTE_PGM_RSRC3_GFX90A:TG_SPLIT: 0
	.section	.text._ZN7rocprim17ROCPRIM_400000_NS6detail17trampoline_kernelINS0_14default_configENS1_38merge_sort_block_merge_config_selectorIaNS0_10empty_typeEEEZZNS1_27merge_sort_block_merge_implIS3_PaPS5_jNS1_19radix_merge_compareILb0ELb0EaNS0_19identity_decomposerEEEEE10hipError_tT0_T1_T2_jT3_P12ihipStream_tbPNSt15iterator_traitsISE_E10value_typeEPNSK_ISF_E10value_typeEPSG_NS1_7vsmem_tEENKUlT_SE_SF_SG_E_clIS8_S8_S9_S9_EESD_ST_SE_SF_SG_EUlST_E0_NS1_11comp_targetILNS1_3genE4ELNS1_11target_archE910ELNS1_3gpuE8ELNS1_3repE0EEENS1_38merge_mergepath_config_static_selectorELNS0_4arch9wavefront6targetE1EEEvSF_,"axG",@progbits,_ZN7rocprim17ROCPRIM_400000_NS6detail17trampoline_kernelINS0_14default_configENS1_38merge_sort_block_merge_config_selectorIaNS0_10empty_typeEEEZZNS1_27merge_sort_block_merge_implIS3_PaPS5_jNS1_19radix_merge_compareILb0ELb0EaNS0_19identity_decomposerEEEEE10hipError_tT0_T1_T2_jT3_P12ihipStream_tbPNSt15iterator_traitsISE_E10value_typeEPNSK_ISF_E10value_typeEPSG_NS1_7vsmem_tEENKUlT_SE_SF_SG_E_clIS8_S8_S9_S9_EESD_ST_SE_SF_SG_EUlST_E0_NS1_11comp_targetILNS1_3genE4ELNS1_11target_archE910ELNS1_3gpuE8ELNS1_3repE0EEENS1_38merge_mergepath_config_static_selectorELNS0_4arch9wavefront6targetE1EEEvSF_,comdat
	.protected	_ZN7rocprim17ROCPRIM_400000_NS6detail17trampoline_kernelINS0_14default_configENS1_38merge_sort_block_merge_config_selectorIaNS0_10empty_typeEEEZZNS1_27merge_sort_block_merge_implIS3_PaPS5_jNS1_19radix_merge_compareILb0ELb0EaNS0_19identity_decomposerEEEEE10hipError_tT0_T1_T2_jT3_P12ihipStream_tbPNSt15iterator_traitsISE_E10value_typeEPNSK_ISF_E10value_typeEPSG_NS1_7vsmem_tEENKUlT_SE_SF_SG_E_clIS8_S8_S9_S9_EESD_ST_SE_SF_SG_EUlST_E0_NS1_11comp_targetILNS1_3genE4ELNS1_11target_archE910ELNS1_3gpuE8ELNS1_3repE0EEENS1_38merge_mergepath_config_static_selectorELNS0_4arch9wavefront6targetE1EEEvSF_ ; -- Begin function _ZN7rocprim17ROCPRIM_400000_NS6detail17trampoline_kernelINS0_14default_configENS1_38merge_sort_block_merge_config_selectorIaNS0_10empty_typeEEEZZNS1_27merge_sort_block_merge_implIS3_PaPS5_jNS1_19radix_merge_compareILb0ELb0EaNS0_19identity_decomposerEEEEE10hipError_tT0_T1_T2_jT3_P12ihipStream_tbPNSt15iterator_traitsISE_E10value_typeEPNSK_ISF_E10value_typeEPSG_NS1_7vsmem_tEENKUlT_SE_SF_SG_E_clIS8_S8_S9_S9_EESD_ST_SE_SF_SG_EUlST_E0_NS1_11comp_targetILNS1_3genE4ELNS1_11target_archE910ELNS1_3gpuE8ELNS1_3repE0EEENS1_38merge_mergepath_config_static_selectorELNS0_4arch9wavefront6targetE1EEEvSF_
	.globl	_ZN7rocprim17ROCPRIM_400000_NS6detail17trampoline_kernelINS0_14default_configENS1_38merge_sort_block_merge_config_selectorIaNS0_10empty_typeEEEZZNS1_27merge_sort_block_merge_implIS3_PaPS5_jNS1_19radix_merge_compareILb0ELb0EaNS0_19identity_decomposerEEEEE10hipError_tT0_T1_T2_jT3_P12ihipStream_tbPNSt15iterator_traitsISE_E10value_typeEPNSK_ISF_E10value_typeEPSG_NS1_7vsmem_tEENKUlT_SE_SF_SG_E_clIS8_S8_S9_S9_EESD_ST_SE_SF_SG_EUlST_E0_NS1_11comp_targetILNS1_3genE4ELNS1_11target_archE910ELNS1_3gpuE8ELNS1_3repE0EEENS1_38merge_mergepath_config_static_selectorELNS0_4arch9wavefront6targetE1EEEvSF_
	.p2align	8
	.type	_ZN7rocprim17ROCPRIM_400000_NS6detail17trampoline_kernelINS0_14default_configENS1_38merge_sort_block_merge_config_selectorIaNS0_10empty_typeEEEZZNS1_27merge_sort_block_merge_implIS3_PaPS5_jNS1_19radix_merge_compareILb0ELb0EaNS0_19identity_decomposerEEEEE10hipError_tT0_T1_T2_jT3_P12ihipStream_tbPNSt15iterator_traitsISE_E10value_typeEPNSK_ISF_E10value_typeEPSG_NS1_7vsmem_tEENKUlT_SE_SF_SG_E_clIS8_S8_S9_S9_EESD_ST_SE_SF_SG_EUlST_E0_NS1_11comp_targetILNS1_3genE4ELNS1_11target_archE910ELNS1_3gpuE8ELNS1_3repE0EEENS1_38merge_mergepath_config_static_selectorELNS0_4arch9wavefront6targetE1EEEvSF_,@function
_ZN7rocprim17ROCPRIM_400000_NS6detail17trampoline_kernelINS0_14default_configENS1_38merge_sort_block_merge_config_selectorIaNS0_10empty_typeEEEZZNS1_27merge_sort_block_merge_implIS3_PaPS5_jNS1_19radix_merge_compareILb0ELb0EaNS0_19identity_decomposerEEEEE10hipError_tT0_T1_T2_jT3_P12ihipStream_tbPNSt15iterator_traitsISE_E10value_typeEPNSK_ISF_E10value_typeEPSG_NS1_7vsmem_tEENKUlT_SE_SF_SG_E_clIS8_S8_S9_S9_EESD_ST_SE_SF_SG_EUlST_E0_NS1_11comp_targetILNS1_3genE4ELNS1_11target_archE910ELNS1_3gpuE8ELNS1_3repE0EEENS1_38merge_mergepath_config_static_selectorELNS0_4arch9wavefront6targetE1EEEvSF_: ; @_ZN7rocprim17ROCPRIM_400000_NS6detail17trampoline_kernelINS0_14default_configENS1_38merge_sort_block_merge_config_selectorIaNS0_10empty_typeEEEZZNS1_27merge_sort_block_merge_implIS3_PaPS5_jNS1_19radix_merge_compareILb0ELb0EaNS0_19identity_decomposerEEEEE10hipError_tT0_T1_T2_jT3_P12ihipStream_tbPNSt15iterator_traitsISE_E10value_typeEPNSK_ISF_E10value_typeEPSG_NS1_7vsmem_tEENKUlT_SE_SF_SG_E_clIS8_S8_S9_S9_EESD_ST_SE_SF_SG_EUlST_E0_NS1_11comp_targetILNS1_3genE4ELNS1_11target_archE910ELNS1_3gpuE8ELNS1_3repE0EEENS1_38merge_mergepath_config_static_selectorELNS0_4arch9wavefront6targetE1EEEvSF_
; %bb.0:
	s_load_dwordx2 s[10:11], s[4:5], 0x40
	s_load_dword s1, s[4:5], 0x30
	s_add_u32 s2, s4, 64
	s_addc_u32 s3, s5, 0
	s_waitcnt lgkmcnt(0)
	s_mul_i32 s0, s11, s8
	s_add_i32 s0, s0, s7
	s_mul_i32 s0, s0, s10
	s_add_i32 s0, s0, s6
	s_cmp_ge_u32 s0, s1
	s_cbranch_scc1 .LBB147_51
; %bb.1:
	s_load_dwordx2 s[12:13], s[4:5], 0x28
	s_load_dwordx2 s[8:9], s[4:5], 0x38
	;; [unrolled: 1-line block ×3, first 2 shown]
	s_mov_b32 s1, 0
	v_mov_b32_e32 v1, 0
	s_waitcnt lgkmcnt(0)
	s_lshr_b32 s21, s12, 10
	s_cmp_lg_u32 s0, s21
	s_cselect_b64 s[14:15], -1, 0
	s_lshl_b64 s[18:19], s[0:1], 2
	s_add_u32 s8, s8, s18
	s_addc_u32 s9, s9, s19
	s_lshr_b32 s1, s13, 9
	s_and_b32 s1, s1, 0x7ffffe
	s_load_dwordx2 s[8:9], s[8:9], 0x0
	s_sub_i32 s1, 0, s1
	s_and_b32 s7, s0, s1
	s_lshl_b32 s11, s7, 10
	s_lshl_b32 s20, s0, 10
	;; [unrolled: 1-line block ×3, first 2 shown]
	s_sub_i32 s18, s20, s11
	s_add_i32 s7, s7, s13
	s_add_i32 s18, s7, s18
	s_waitcnt lgkmcnt(0)
	s_sub_i32 s19, s18, s8
	s_sub_i32 s18, s18, s9
	;; [unrolled: 1-line block ×3, first 2 shown]
	s_min_u32 s19, s12, s19
	s_addk_i32 s18, 0x400
	s_or_b32 s1, s0, s1
	s_min_u32 s11, s12, s7
	s_add_i32 s7, s7, s13
	s_cmp_eq_u32 s1, -1
	s_cselect_b32 s1, s7, s18
	s_cselect_b32 s7, s11, s9
	s_min_u32 s1, s1, s12
	s_sub_i32 s13, s7, s8
	s_sub_i32 s7, s1, s19
	s_add_u32 s11, s16, s8
	s_addc_u32 s18, s17, 0
	s_add_u32 s8, s16, s19
	s_addc_u32 s9, s17, 0
	s_cmp_lt_u32 s6, s10
	s_cselect_b32 s1, 12, 18
	global_load_dword v2, v1, s[2:3] offset:14
	s_add_u32 s2, s2, s1
	s_addc_u32 s3, s3, 0
	global_load_ushort v1, v1, s[2:3]
	s_cmp_eq_u32 s0, s21
	s_waitcnt vmcnt(1)
	v_lshrrev_b32_e32 v3, 16, v2
	v_and_b32_e32 v2, 0xffff, v2
	v_mul_lo_u32 v2, v2, v3
	s_waitcnt vmcnt(0)
	v_mul_lo_u32 v4, v2, v1
	v_add_u32_e32 v10, v4, v0
	v_add_u32_e32 v8, v10, v4
	s_cbranch_scc1 .LBB147_3
; %bb.2:
	v_mov_b32_e32 v1, s18
	v_add_co_u32_e32 v2, vcc, s11, v0
	v_addc_co_u32_e32 v1, vcc, 0, v1, vcc
	v_subrev_u32_e32 v3, s13, v0
	v_mov_b32_e32 v5, s9
	v_add_co_u32_e32 v3, vcc, s8, v3
	v_addc_co_u32_e32 v5, vcc, 0, v5, vcc
	v_cmp_gt_u32_e32 vcc, s13, v0
	v_cndmask_b32_e32 v13, v5, v1, vcc
	v_cndmask_b32_e32 v12, v3, v2, vcc
	v_mov_b32_e32 v1, s18
	v_add_co_u32_e32 v2, vcc, s11, v10
	v_addc_co_u32_e32 v1, vcc, 0, v1, vcc
	v_subrev_u32_e32 v3, s13, v10
	v_mov_b32_e32 v5, s9
	v_add_co_u32_e32 v3, vcc, s8, v3
	v_addc_co_u32_e32 v5, vcc, 0, v5, vcc
	v_cmp_gt_u32_e32 vcc, s13, v10
	v_cndmask_b32_e32 v15, v5, v1, vcc
	v_cndmask_b32_e32 v14, v3, v2, vcc
	v_mov_b32_e32 v1, s18
	v_add_co_u32_e32 v2, vcc, s11, v8
	v_addc_co_u32_e32 v1, vcc, 0, v1, vcc
	v_subrev_u32_e32 v3, s13, v8
	v_mov_b32_e32 v5, s9
	v_add_co_u32_e32 v3, vcc, s8, v3
	v_addc_co_u32_e32 v5, vcc, 0, v5, vcc
	v_cmp_gt_u32_e32 vcc, s13, v8
	v_cndmask_b32_e32 v17, v5, v1, vcc
	v_add_u32_e32 v1, v8, v4
	v_cndmask_b32_e32 v16, v3, v2, vcc
	v_mov_b32_e32 v2, s18
	v_add_co_u32_e32 v3, vcc, s11, v1
	v_addc_co_u32_e32 v2, vcc, 0, v2, vcc
	v_subrev_u32_e32 v5, s13, v1
	v_mov_b32_e32 v6, s9
	v_add_co_u32_e32 v5, vcc, s8, v5
	v_addc_co_u32_e32 v6, vcc, 0, v6, vcc
	v_cmp_gt_u32_e32 vcc, s13, v1
	v_add_u32_e32 v1, v1, v4
	v_cndmask_b32_e32 v19, v6, v2, vcc
	v_cndmask_b32_e32 v18, v5, v3, vcc
	v_mov_b32_e32 v2, s18
	v_add_co_u32_e32 v3, vcc, s11, v1
	v_addc_co_u32_e32 v2, vcc, 0, v2, vcc
	v_subrev_u32_e32 v5, s13, v1
	v_mov_b32_e32 v6, s9
	v_add_co_u32_e32 v5, vcc, s8, v5
	v_addc_co_u32_e32 v6, vcc, 0, v6, vcc
	v_cmp_gt_u32_e32 vcc, s13, v1
	v_add_u32_e32 v1, v1, v4
	v_cndmask_b32_e32 v21, v6, v2, vcc
	;; [unrolled: 11-line block ×4, first 2 shown]
	v_cndmask_b32_e32 v24, v5, v3, vcc
	v_mov_b32_e32 v2, s18
	v_add_co_u32_e32 v3, vcc, s11, v1
	v_addc_co_u32_e32 v2, vcc, 0, v2, vcc
	v_subrev_u32_e32 v5, s13, v1
	v_mov_b32_e32 v6, s9
	v_add_co_u32_e32 v5, vcc, s8, v5
	v_addc_co_u32_e32 v6, vcc, 0, v6, vcc
	v_cmp_gt_u32_e32 vcc, s13, v1
	v_cndmask_b32_e32 v27, v6, v2, vcc
	v_cndmask_b32_e32 v26, v5, v3, vcc
	global_load_ubyte v1, v[12:13], off
	global_load_ubyte v2, v[14:15], off
	;; [unrolled: 1-line block ×8, first 2 shown]
	s_add_i32 s21, s7, s13
	s_load_dwordx2 s[16:17], s[4:5], 0x10
	s_cbranch_execz .LBB147_4
	s_branch .LBB147_21
.LBB147_3:
                                        ; implicit-def: $vgpr1
                                        ; implicit-def: $vgpr2
                                        ; implicit-def: $vgpr3
                                        ; implicit-def: $vgpr5
                                        ; implicit-def: $vgpr6
                                        ; implicit-def: $vgpr7
                                        ; implicit-def: $vgpr9
                                        ; implicit-def: $vgpr11
                                        ; implicit-def: $sgpr21
	s_load_dwordx2 s[16:17], s[4:5], 0x10
.LBB147_4:
	s_add_i32 s21, s7, s13
	v_cmp_gt_u32_e32 vcc, s21, v0
                                        ; implicit-def: $vgpr1
	s_and_saveexec_b64 s[0:1], vcc
	s_cbranch_execz .LBB147_6
; %bb.5:
	s_waitcnt vmcnt(7)
	v_mov_b32_e32 v1, s18
	s_waitcnt vmcnt(6)
	v_add_co_u32_e32 v2, vcc, s11, v0
	v_addc_co_u32_e32 v1, vcc, 0, v1, vcc
	s_waitcnt vmcnt(5)
	v_subrev_u32_e32 v3, s13, v0
	s_waitcnt vmcnt(4)
	v_mov_b32_e32 v5, s9
	s_waitcnt vmcnt(3)
	v_add_co_u32_e32 v6, vcc, s8, v3
	v_addc_co_u32_e32 v3, vcc, 0, v5, vcc
	v_cmp_gt_u32_e32 vcc, s13, v0
	v_cndmask_b32_e32 v3, v3, v1, vcc
	v_cndmask_b32_e32 v2, v6, v2, vcc
	global_load_ubyte v1, v[2:3], off
.LBB147_6:
	s_or_b64 exec, exec, s[0:1]
	v_cmp_gt_u32_e32 vcc, s21, v10
                                        ; implicit-def: $vgpr2
	s_and_saveexec_b64 s[0:1], vcc
	s_cbranch_execz .LBB147_8
; %bb.7:
	s_waitcnt vmcnt(6)
	v_mov_b32_e32 v2, s18
	s_waitcnt vmcnt(4)
	v_add_co_u32_e32 v5, vcc, s11, v10
	v_addc_co_u32_e32 v2, vcc, 0, v2, vcc
	v_subrev_u32_e32 v3, s13, v10
	s_waitcnt vmcnt(3)
	v_mov_b32_e32 v6, s9
	s_waitcnt vmcnt(2)
	v_add_co_u32_e32 v7, vcc, s8, v3
	v_addc_co_u32_e32 v3, vcc, 0, v6, vcc
	v_cmp_gt_u32_e32 vcc, s13, v10
	v_cndmask_b32_e32 v3, v3, v2, vcc
	v_cndmask_b32_e32 v2, v7, v5, vcc
	global_load_ubyte v2, v[2:3], off
.LBB147_8:
	s_or_b64 exec, exec, s[0:1]
	v_cmp_gt_u32_e32 vcc, s21, v8
                                        ; implicit-def: $vgpr3
	s_and_saveexec_b64 s[0:1], vcc
	s_cbranch_execz .LBB147_10
; %bb.9:
	s_waitcnt vmcnt(5)
	v_mov_b32_e32 v3, s18
	s_waitcnt vmcnt(4)
	v_add_co_u32_e32 v5, vcc, s11, v8
	v_addc_co_u32_e32 v3, vcc, 0, v3, vcc
	s_waitcnt vmcnt(3)
	v_subrev_u32_e32 v6, s13, v8
	s_waitcnt vmcnt(2)
	v_mov_b32_e32 v7, s9
	v_add_co_u32_e32 v6, vcc, s8, v6
	v_addc_co_u32_e32 v7, vcc, 0, v7, vcc
	v_cmp_gt_u32_e32 vcc, s13, v8
	v_cndmask_b32_e32 v7, v7, v3, vcc
	v_cndmask_b32_e32 v6, v6, v5, vcc
	global_load_ubyte v3, v[6:7], off
.LBB147_10:
	s_or_b64 exec, exec, s[0:1]
	s_waitcnt vmcnt(3)
	v_add_u32_e32 v6, v8, v4
	v_cmp_gt_u32_e32 vcc, s21, v6
                                        ; implicit-def: $vgpr5
	s_and_saveexec_b64 s[0:1], vcc
	s_cbranch_execz .LBB147_12
; %bb.11:
	v_mov_b32_e32 v5, s18
	s_waitcnt vmcnt(2)
	v_add_co_u32_e32 v7, vcc, s11, v6
	v_addc_co_u32_e32 v5, vcc, 0, v5, vcc
	v_subrev_u32_e32 v8, s13, v6
	s_waitcnt vmcnt(1)
	v_mov_b32_e32 v9, s9
	v_add_co_u32_e32 v8, vcc, s8, v8
	v_addc_co_u32_e32 v9, vcc, 0, v9, vcc
	v_cmp_gt_u32_e32 vcc, s13, v6
	v_cndmask_b32_e32 v9, v9, v5, vcc
	v_cndmask_b32_e32 v8, v8, v7, vcc
	global_load_ubyte v5, v[8:9], off
.LBB147_12:
	s_or_b64 exec, exec, s[0:1]
	s_waitcnt vmcnt(2)
	v_add_u32_e32 v7, v6, v4
	v_cmp_gt_u32_e32 vcc, s21, v7
                                        ; implicit-def: $vgpr6
	s_and_saveexec_b64 s[0:1], vcc
	s_cbranch_execz .LBB147_14
; %bb.13:
	v_mov_b32_e32 v6, s18
	v_add_co_u32_e32 v8, vcc, s11, v7
	v_addc_co_u32_e32 v6, vcc, 0, v6, vcc
	s_waitcnt vmcnt(1)
	v_subrev_u32_e32 v9, s13, v7
	v_mov_b32_e32 v10, s9
	s_waitcnt vmcnt(0)
	v_add_co_u32_e32 v11, vcc, s8, v9
	v_addc_co_u32_e32 v9, vcc, 0, v10, vcc
	v_cmp_gt_u32_e32 vcc, s13, v7
	v_cndmask_b32_e32 v9, v9, v6, vcc
	v_cndmask_b32_e32 v8, v11, v8, vcc
	global_load_ubyte v6, v[8:9], off
.LBB147_14:
	s_or_b64 exec, exec, s[0:1]
	v_add_u32_e32 v8, v7, v4
	v_cmp_gt_u32_e32 vcc, s21, v8
                                        ; implicit-def: $vgpr7
	s_and_saveexec_b64 s[0:1], vcc
	s_cbranch_execz .LBB147_16
; %bb.15:
	v_mov_b32_e32 v7, s18
	s_waitcnt vmcnt(1)
	v_add_co_u32_e32 v9, vcc, s11, v8
	v_addc_co_u32_e32 v7, vcc, 0, v7, vcc
	v_subrev_u32_e32 v10, s13, v8
	s_waitcnt vmcnt(0)
	v_mov_b32_e32 v11, s9
	v_add_co_u32_e32 v10, vcc, s8, v10
	v_addc_co_u32_e32 v11, vcc, 0, v11, vcc
	v_cmp_gt_u32_e32 vcc, s13, v8
	v_cndmask_b32_e32 v11, v11, v7, vcc
	v_cndmask_b32_e32 v10, v10, v9, vcc
	global_load_ubyte v7, v[10:11], off
.LBB147_16:
	s_or_b64 exec, exec, s[0:1]
	v_add_u32_e32 v8, v8, v4
	v_cmp_gt_u32_e32 vcc, s21, v8
                                        ; implicit-def: $vgpr9
	s_and_saveexec_b64 s[0:1], vcc
	s_cbranch_execz .LBB147_18
; %bb.17:
	s_waitcnt vmcnt(1)
	v_mov_b32_e32 v9, s18
	v_add_co_u32_e32 v10, vcc, s11, v8
	v_addc_co_u32_e32 v9, vcc, 0, v9, vcc
	s_waitcnt vmcnt(0)
	v_subrev_u32_e32 v11, s13, v8
	v_mov_b32_e32 v12, s9
	v_add_co_u32_e32 v13, vcc, s8, v11
	v_addc_co_u32_e32 v11, vcc, 0, v12, vcc
	v_cmp_gt_u32_e32 vcc, s13, v8
	v_cndmask_b32_e32 v11, v11, v9, vcc
	v_cndmask_b32_e32 v10, v13, v10, vcc
	global_load_ubyte v9, v[10:11], off
.LBB147_18:
	s_or_b64 exec, exec, s[0:1]
	v_add_u32_e32 v4, v8, v4
	v_cmp_gt_u32_e32 vcc, s21, v4
                                        ; implicit-def: $vgpr11
	s_and_saveexec_b64 s[0:1], vcc
	s_cbranch_execz .LBB147_20
; %bb.19:
	v_mov_b32_e32 v8, s18
	v_add_co_u32_e32 v10, vcc, s11, v4
	v_addc_co_u32_e32 v8, vcc, 0, v8, vcc
	s_waitcnt vmcnt(0)
	v_subrev_u32_e32 v11, s13, v4
	v_mov_b32_e32 v12, s9
	v_add_co_u32_e32 v13, vcc, s8, v11
	v_addc_co_u32_e32 v11, vcc, 0, v12, vcc
	v_cmp_gt_u32_e32 vcc, s13, v4
	v_cndmask_b32_e32 v11, v11, v8, vcc
	v_cndmask_b32_e32 v10, v13, v10, vcc
	global_load_ubyte v11, v[10:11], off
.LBB147_20:
	s_or_b64 exec, exec, s[0:1]
.LBB147_21:
	v_lshlrev_b32_e32 v4, 3, v0
	v_min_u32_e32 v10, s21, v4
	v_sub_u32_e64 v8, v10, s7 clamp
	v_min_u32_e32 v12, s13, v10
	v_cmp_lt_u32_e32 vcc, v8, v12
	s_waitcnt vmcnt(0)
	ds_write_b8 v0, v1
	ds_write_b8 v0, v2 offset:128
	ds_write_b8 v0, v3 offset:256
	;; [unrolled: 1-line block ×7, first 2 shown]
	s_waitcnt lgkmcnt(0)
	s_barrier
	s_and_saveexec_b64 s[0:1], vcc
	s_cbranch_execz .LBB147_25
; %bb.22:
	v_add_u32_e32 v13, s13, v10
	s_mov_b64 s[2:3], 0
.LBB147_23:                             ; =>This Inner Loop Header: Depth=1
	v_add_u32_e32 v14, v12, v8
	v_lshrrev_b32_e32 v14, 1, v14
	v_xad_u32 v15, v14, -1, v13
	ds_read_i8 v16, v14
	ds_read_i8 v15, v15
	v_add_u32_e32 v17, 1, v14
	s_waitcnt lgkmcnt(0)
	v_cmp_gt_i16_e32 vcc, v16, v15
	v_cndmask_b32_e32 v12, v12, v14, vcc
	v_cndmask_b32_e32 v8, v17, v8, vcc
	v_cmp_ge_u32_e32 vcc, v8, v12
	s_or_b64 s[2:3], vcc, s[2:3]
	s_andn2_b64 exec, exec, s[2:3]
	s_cbranch_execnz .LBB147_23
; %bb.24:
	s_or_b64 exec, exec, s[2:3]
.LBB147_25:
	s_or_b64 exec, exec, s[0:1]
	v_sub_u32_e32 v10, v10, v8
	v_add_u32_e32 v10, s13, v10
	v_cmp_ge_u32_e32 vcc, s13, v8
	v_cmp_ge_u32_e64 s[0:1], s21, v10
	s_or_b64 s[0:1], vcc, s[0:1]
	s_and_saveexec_b64 s[18:19], s[0:1]
	s_cbranch_execz .LBB147_31
; %bb.26:
	v_cmp_gt_u32_e32 vcc, s13, v8
                                        ; implicit-def: $vgpr1
	s_and_saveexec_b64 s[0:1], vcc
	s_cbranch_execz .LBB147_28
; %bb.27:
	ds_read_u8 v1, v8
.LBB147_28:
	s_or_b64 exec, exec, s[0:1]
	v_cmp_le_u32_e64 s[0:1], s21, v10
	v_cmp_gt_u32_e64 s[2:3], s21, v10
                                        ; implicit-def: $vgpr2
	s_and_saveexec_b64 s[4:5], s[2:3]
	s_cbranch_execz .LBB147_30
; %bb.29:
	ds_read_u8 v2, v10
.LBB147_30:
	s_or_b64 exec, exec, s[4:5]
	s_waitcnt lgkmcnt(0)
	v_cmp_le_i16_sdwa s[2:3], sext(v1), sext(v2) src0_sel:BYTE_0 src1_sel:BYTE_0
	s_and_b64 s[2:3], vcc, s[2:3]
	s_or_b64 vcc, s[0:1], s[2:3]
	v_mov_b32_e32 v5, s21
	v_mov_b32_e32 v6, s13
	v_cndmask_b32_e32 v3, v10, v8, vcc
	v_cndmask_b32_e32 v7, v5, v6, vcc
	v_add_u32_e32 v3, 1, v3
	v_add_u32_e32 v7, -1, v7
	v_min_u32_e32 v7, v3, v7
	ds_read_u8 v7, v7
	v_cndmask_b32_e32 v10, v3, v10, vcc
	v_cndmask_b32_e32 v3, v8, v3, vcc
	v_cmp_gt_u32_e64 s[2:3], s13, v3
	v_cmp_le_u32_e64 s[0:1], s21, v10
	s_waitcnt lgkmcnt(0)
	v_cndmask_b32_e32 v9, v7, v2, vcc
	v_cndmask_b32_e32 v7, v1, v7, vcc
	v_cmp_le_i16_sdwa s[4:5], sext(v7), sext(v9) src0_sel:BYTE_0 src1_sel:BYTE_0
	s_and_b64 s[2:3], s[2:3], s[4:5]
	s_or_b64 s[0:1], s[0:1], s[2:3]
	v_cndmask_b32_e64 v8, v10, v3, s[0:1]
	v_cndmask_b32_e64 v11, v5, v6, s[0:1]
	v_add_u32_e32 v8, 1, v8
	v_add_u32_e32 v11, -1, v11
	v_min_u32_e32 v11, v8, v11
	ds_read_u8 v11, v11
	v_cndmask_b32_e64 v3, v3, v8, s[0:1]
	v_cndmask_b32_e64 v10, v8, v10, s[0:1]
	v_cmp_gt_u32_e64 s[4:5], s13, v3
	v_cmp_le_u32_e64 s[2:3], s21, v10
	s_waitcnt lgkmcnt(0)
	v_cndmask_b32_e64 v12, v11, v9, s[0:1]
	v_cndmask_b32_e64 v11, v7, v11, s[0:1]
	v_cmp_le_i16_sdwa s[6:7], sext(v11), sext(v12) src0_sel:BYTE_0 src1_sel:BYTE_0
	s_and_b64 s[4:5], s[4:5], s[6:7]
	s_or_b64 s[2:3], s[2:3], s[4:5]
	v_cndmask_b32_e64 v8, v10, v3, s[2:3]
	v_cndmask_b32_e64 v13, v5, v6, s[2:3]
	v_add_u32_e32 v8, 1, v8
	v_add_u32_e32 v13, -1, v13
	v_min_u32_e32 v13, v8, v13
	ds_read_u8 v13, v13
	v_cndmask_b32_e64 v3, v3, v8, s[2:3]
	v_cndmask_b32_e64 v10, v8, v10, s[2:3]
	v_cmp_gt_u32_e64 s[6:7], s13, v3
	v_cmp_le_u32_e64 s[4:5], s21, v10
	s_waitcnt lgkmcnt(0)
	v_cndmask_b32_e64 v14, v13, v12, s[2:3]
	v_cndmask_b32_e64 v13, v11, v13, s[2:3]
	;; [unrolled: 16-line block ×4, first 2 shown]
	v_cmp_le_i16_sdwa s[22:23], sext(v17), sext(v18) src0_sel:BYTE_0 src1_sel:BYTE_0
	s_and_b64 s[10:11], s[10:11], s[22:23]
	s_or_b64 s[8:9], s[8:9], s[10:11]
	v_cndmask_b32_e64 v3, v10, v8, s[8:9]
	v_cndmask_b32_e64 v19, v5, v6, s[8:9]
	v_add_u32_e32 v20, 1, v3
	v_add_u32_e32 v3, -1, v19
	v_min_u32_e32 v3, v20, v3
	ds_read_u8 v19, v3
	v_cndmask_b32_e64 v3, v12, v11, s[2:3]
	v_cndmask_b32_e64 v8, v8, v20, s[8:9]
	v_cndmask_b32_e32 v1, v2, v1, vcc
	v_cndmask_b32_e64 v2, v9, v7, s[0:1]
	s_waitcnt lgkmcnt(0)
	v_cndmask_b32_e64 v11, v19, v18, s[8:9]
	v_cndmask_b32_e64 v12, v17, v19, s[8:9]
	;; [unrolled: 1-line block ×3, first 2 shown]
	v_cmp_gt_u32_e64 s[0:1], s13, v8
	v_cmp_le_i16_sdwa s[2:3], sext(v12), sext(v11) src0_sel:BYTE_0 src1_sel:BYTE_0
	v_cmp_le_u32_e32 vcc, s21, v10
	s_and_b64 s[0:1], s[0:1], s[2:3]
	s_or_b64 vcc, vcc, s[0:1]
	v_cndmask_b32_e32 v7, v10, v8, vcc
	v_cndmask_b32_e32 v5, v5, v6, vcc
	v_add_u32_e32 v19, 1, v7
	v_add_u32_e32 v5, -1, v5
	v_min_u32_e32 v5, v19, v5
	ds_read_u8 v20, v5
	v_cndmask_b32_e32 v9, v11, v12, vcc
	v_cndmask_b32_e32 v8, v8, v19, vcc
	v_cndmask_b32_e32 v10, v19, v10, vcc
	v_cmp_gt_u32_e64 s[0:1], s13, v8
	s_waitcnt lgkmcnt(0)
	v_cndmask_b32_e32 v11, v20, v11, vcc
	v_cndmask_b32_e32 v12, v12, v20, vcc
	v_cmp_le_i16_sdwa s[2:3], sext(v12), sext(v11) src0_sel:BYTE_0 src1_sel:BYTE_0
	v_cmp_le_u32_e32 vcc, s21, v10
	s_and_b64 s[0:1], s[0:1], s[2:3]
	s_or_b64 vcc, vcc, s[0:1]
	v_cndmask_b32_e64 v5, v14, v13, s[4:5]
	v_cndmask_b32_e64 v6, v16, v15, s[6:7]
	;; [unrolled: 1-line block ×3, first 2 shown]
	v_cndmask_b32_e32 v11, v11, v12, vcc
.LBB147_31:
	s_or_b64 exec, exec, s[18:19]
	v_lshlrev_b16_e32 v7, 8, v7
	v_lshlrev_b16_e32 v2, 8, v2
	v_lshrrev_b32_e32 v8, 2, v0
	v_or_b32_sdwa v6, v6, v7 dst_sel:DWORD dst_unused:UNUSED_PAD src0_sel:BYTE_0 src1_sel:DWORD
	v_lshlrev_b16_e32 v7, 8, v11
	v_or_b32_sdwa v1, v1, v2 dst_sel:DWORD dst_unused:UNUSED_PAD src0_sel:BYTE_0 src1_sel:DWORD
	v_lshlrev_b16_e32 v2, 8, v5
	s_add_u32 s0, s16, s20
	v_and_b32_e32 v8, 28, v8
	v_or_b32_sdwa v7, v9, v7 dst_sel:WORD_1 dst_unused:UNUSED_PAD src0_sel:BYTE_0 src1_sel:DWORD
	v_or_b32_sdwa v2, v3, v2 dst_sel:WORD_1 dst_unused:UNUSED_PAD src0_sel:BYTE_0 src1_sel:DWORD
	s_addc_u32 s1, s17, 0
	v_add_u32_e32 v4, v8, v4
	v_or_b32_sdwa v6, v6, v7 dst_sel:DWORD dst_unused:UNUSED_PAD src0_sel:WORD_0 src1_sel:DWORD
	v_or_b32_sdwa v1, v1, v2 dst_sel:DWORD dst_unused:UNUSED_PAD src0_sel:WORD_0 src1_sel:DWORD
	s_barrier
	s_barrier
	ds_write2_b32 v4, v1, v6 offset1:1
	v_mov_b32_e32 v1, s1
	v_add_co_u32_e32 v2, vcc, s0, v0
	v_addc_co_u32_e32 v3, vcc, 0, v1, vcc
	s_and_b64 vcc, exec, s[14:15]
	v_add_u32_e32 v4, 4, v0
	v_add_u32_e32 v5, 8, v0
	;; [unrolled: 1-line block ×7, first 2 shown]
	s_waitcnt lgkmcnt(0)
	s_cbranch_vccz .LBB147_33
; %bb.32:
	s_barrier
	ds_read_u8 v11, v0
	ds_read_u8 v12, v4 offset:128
	ds_read_u8 v13, v5 offset:256
	;; [unrolled: 1-line block ×7, first 2 shown]
	s_waitcnt lgkmcnt(7)
	global_store_byte v[2:3], v11, off
	s_waitcnt lgkmcnt(6)
	global_store_byte v[2:3], v12, off offset:128
	s_waitcnt lgkmcnt(5)
	global_store_byte v[2:3], v13, off offset:256
	;; [unrolled: 2-line block ×6, first 2 shown]
	s_mov_b64 s[0:1], -1
	s_cbranch_execz .LBB147_34
	s_branch .LBB147_49
.LBB147_33:
	s_mov_b64 s[0:1], 0
                                        ; implicit-def: $vgpr1
.LBB147_34:
	s_barrier
	s_waitcnt lgkmcnt(0)
	ds_read_u8 v13, v4 offset:128
	ds_read_u8 v12, v5 offset:256
	ds_read_u8 v11, v6 offset:384
	ds_read_u8 v6, v7 offset:512
	ds_read_u8 v5, v8 offset:640
	ds_read_u8 v4, v9 offset:768
	ds_read_u8 v1, v10 offset:896
	s_sub_i32 s2, s12, s20
	v_or_b32_e32 v7, 0x80, v0
	v_cmp_gt_u32_e32 vcc, s2, v0
	s_and_saveexec_b64 s[0:1], vcc
	s_cbranch_execz .LBB147_36
; %bb.35:
	ds_read_u8 v8, v0
	s_waitcnt lgkmcnt(0)
	global_store_byte v[2:3], v8, off
.LBB147_36:
	s_or_b64 exec, exec, s[0:1]
	v_or_b32_e32 v8, 0x100, v0
	v_cmp_gt_u32_e32 vcc, s2, v7
	s_and_saveexec_b64 s[0:1], vcc
	s_cbranch_execz .LBB147_38
; %bb.37:
	s_waitcnt lgkmcnt(6)
	global_store_byte v[2:3], v13, off offset:128
.LBB147_38:
	s_or_b64 exec, exec, s[0:1]
	v_or_b32_e32 v7, 0x180, v0
	v_cmp_gt_u32_e32 vcc, s2, v8
	s_and_saveexec_b64 s[0:1], vcc
	s_cbranch_execz .LBB147_40
; %bb.39:
	s_waitcnt lgkmcnt(5)
	global_store_byte v[2:3], v12, off offset:256
.LBB147_40:
	;; [unrolled: 9-line block ×4, first 2 shown]
	s_or_b64 exec, exec, s[0:1]
	s_waitcnt lgkmcnt(3)
	v_or_b32_e32 v6, 0x300, v0
	v_cmp_gt_u32_e32 vcc, s2, v7
	s_and_saveexec_b64 s[0:1], vcc
	s_cbranch_execz .LBB147_46
; %bb.45:
	s_waitcnt lgkmcnt(2)
	global_store_byte v[2:3], v5, off offset:640
.LBB147_46:
	s_or_b64 exec, exec, s[0:1]
	v_or_b32_e32 v0, 0x380, v0
	v_cmp_gt_u32_e32 vcc, s2, v6
	s_and_saveexec_b64 s[0:1], vcc
	s_cbranch_execz .LBB147_48
; %bb.47:
	s_waitcnt lgkmcnt(1)
	global_store_byte v[2:3], v4, off offset:768
.LBB147_48:
	s_or_b64 exec, exec, s[0:1]
	v_cmp_gt_u32_e64 s[0:1], s2, v0
.LBB147_49:
	s_and_saveexec_b64 s[2:3], s[0:1]
	s_cbranch_execz .LBB147_51
; %bb.50:
	s_waitcnt lgkmcnt(0)
	global_store_byte v[2:3], v1, off offset:896
.LBB147_51:
	s_endpgm
	.section	.rodata,"a",@progbits
	.p2align	6, 0x0
	.amdhsa_kernel _ZN7rocprim17ROCPRIM_400000_NS6detail17trampoline_kernelINS0_14default_configENS1_38merge_sort_block_merge_config_selectorIaNS0_10empty_typeEEEZZNS1_27merge_sort_block_merge_implIS3_PaPS5_jNS1_19radix_merge_compareILb0ELb0EaNS0_19identity_decomposerEEEEE10hipError_tT0_T1_T2_jT3_P12ihipStream_tbPNSt15iterator_traitsISE_E10value_typeEPNSK_ISF_E10value_typeEPSG_NS1_7vsmem_tEENKUlT_SE_SF_SG_E_clIS8_S8_S9_S9_EESD_ST_SE_SF_SG_EUlST_E0_NS1_11comp_targetILNS1_3genE4ELNS1_11target_archE910ELNS1_3gpuE8ELNS1_3repE0EEENS1_38merge_mergepath_config_static_selectorELNS0_4arch9wavefront6targetE1EEEvSF_
		.amdhsa_group_segment_fixed_size 1056
		.amdhsa_private_segment_fixed_size 0
		.amdhsa_kernarg_size 320
		.amdhsa_user_sgpr_count 6
		.amdhsa_user_sgpr_private_segment_buffer 1
		.amdhsa_user_sgpr_dispatch_ptr 0
		.amdhsa_user_sgpr_queue_ptr 0
		.amdhsa_user_sgpr_kernarg_segment_ptr 1
		.amdhsa_user_sgpr_dispatch_id 0
		.amdhsa_user_sgpr_flat_scratch_init 0
		.amdhsa_user_sgpr_kernarg_preload_length 0
		.amdhsa_user_sgpr_kernarg_preload_offset 0
		.amdhsa_user_sgpr_private_segment_size 0
		.amdhsa_uses_dynamic_stack 0
		.amdhsa_system_sgpr_private_segment_wavefront_offset 0
		.amdhsa_system_sgpr_workgroup_id_x 1
		.amdhsa_system_sgpr_workgroup_id_y 1
		.amdhsa_system_sgpr_workgroup_id_z 1
		.amdhsa_system_sgpr_workgroup_info 0
		.amdhsa_system_vgpr_workitem_id 0
		.amdhsa_next_free_vgpr 28
		.amdhsa_next_free_sgpr 24
		.amdhsa_accum_offset 28
		.amdhsa_reserve_vcc 1
		.amdhsa_reserve_flat_scratch 0
		.amdhsa_float_round_mode_32 0
		.amdhsa_float_round_mode_16_64 0
		.amdhsa_float_denorm_mode_32 3
		.amdhsa_float_denorm_mode_16_64 3
		.amdhsa_dx10_clamp 1
		.amdhsa_ieee_mode 1
		.amdhsa_fp16_overflow 0
		.amdhsa_tg_split 0
		.amdhsa_exception_fp_ieee_invalid_op 0
		.amdhsa_exception_fp_denorm_src 0
		.amdhsa_exception_fp_ieee_div_zero 0
		.amdhsa_exception_fp_ieee_overflow 0
		.amdhsa_exception_fp_ieee_underflow 0
		.amdhsa_exception_fp_ieee_inexact 0
		.amdhsa_exception_int_div_zero 0
	.end_amdhsa_kernel
	.section	.text._ZN7rocprim17ROCPRIM_400000_NS6detail17trampoline_kernelINS0_14default_configENS1_38merge_sort_block_merge_config_selectorIaNS0_10empty_typeEEEZZNS1_27merge_sort_block_merge_implIS3_PaPS5_jNS1_19radix_merge_compareILb0ELb0EaNS0_19identity_decomposerEEEEE10hipError_tT0_T1_T2_jT3_P12ihipStream_tbPNSt15iterator_traitsISE_E10value_typeEPNSK_ISF_E10value_typeEPSG_NS1_7vsmem_tEENKUlT_SE_SF_SG_E_clIS8_S8_S9_S9_EESD_ST_SE_SF_SG_EUlST_E0_NS1_11comp_targetILNS1_3genE4ELNS1_11target_archE910ELNS1_3gpuE8ELNS1_3repE0EEENS1_38merge_mergepath_config_static_selectorELNS0_4arch9wavefront6targetE1EEEvSF_,"axG",@progbits,_ZN7rocprim17ROCPRIM_400000_NS6detail17trampoline_kernelINS0_14default_configENS1_38merge_sort_block_merge_config_selectorIaNS0_10empty_typeEEEZZNS1_27merge_sort_block_merge_implIS3_PaPS5_jNS1_19radix_merge_compareILb0ELb0EaNS0_19identity_decomposerEEEEE10hipError_tT0_T1_T2_jT3_P12ihipStream_tbPNSt15iterator_traitsISE_E10value_typeEPNSK_ISF_E10value_typeEPSG_NS1_7vsmem_tEENKUlT_SE_SF_SG_E_clIS8_S8_S9_S9_EESD_ST_SE_SF_SG_EUlST_E0_NS1_11comp_targetILNS1_3genE4ELNS1_11target_archE910ELNS1_3gpuE8ELNS1_3repE0EEENS1_38merge_mergepath_config_static_selectorELNS0_4arch9wavefront6targetE1EEEvSF_,comdat
.Lfunc_end147:
	.size	_ZN7rocprim17ROCPRIM_400000_NS6detail17trampoline_kernelINS0_14default_configENS1_38merge_sort_block_merge_config_selectorIaNS0_10empty_typeEEEZZNS1_27merge_sort_block_merge_implIS3_PaPS5_jNS1_19radix_merge_compareILb0ELb0EaNS0_19identity_decomposerEEEEE10hipError_tT0_T1_T2_jT3_P12ihipStream_tbPNSt15iterator_traitsISE_E10value_typeEPNSK_ISF_E10value_typeEPSG_NS1_7vsmem_tEENKUlT_SE_SF_SG_E_clIS8_S8_S9_S9_EESD_ST_SE_SF_SG_EUlST_E0_NS1_11comp_targetILNS1_3genE4ELNS1_11target_archE910ELNS1_3gpuE8ELNS1_3repE0EEENS1_38merge_mergepath_config_static_selectorELNS0_4arch9wavefront6targetE1EEEvSF_, .Lfunc_end147-_ZN7rocprim17ROCPRIM_400000_NS6detail17trampoline_kernelINS0_14default_configENS1_38merge_sort_block_merge_config_selectorIaNS0_10empty_typeEEEZZNS1_27merge_sort_block_merge_implIS3_PaPS5_jNS1_19radix_merge_compareILb0ELb0EaNS0_19identity_decomposerEEEEE10hipError_tT0_T1_T2_jT3_P12ihipStream_tbPNSt15iterator_traitsISE_E10value_typeEPNSK_ISF_E10value_typeEPSG_NS1_7vsmem_tEENKUlT_SE_SF_SG_E_clIS8_S8_S9_S9_EESD_ST_SE_SF_SG_EUlST_E0_NS1_11comp_targetILNS1_3genE4ELNS1_11target_archE910ELNS1_3gpuE8ELNS1_3repE0EEENS1_38merge_mergepath_config_static_selectorELNS0_4arch9wavefront6targetE1EEEvSF_
                                        ; -- End function
	.section	.AMDGPU.csdata,"",@progbits
; Kernel info:
; codeLenInByte = 3112
; NumSgprs: 28
; NumVgprs: 28
; NumAgprs: 0
; TotalNumVgprs: 28
; ScratchSize: 0
; MemoryBound: 0
; FloatMode: 240
; IeeeMode: 1
; LDSByteSize: 1056 bytes/workgroup (compile time only)
; SGPRBlocks: 3
; VGPRBlocks: 3
; NumSGPRsForWavesPerEU: 28
; NumVGPRsForWavesPerEU: 28
; AccumOffset: 28
; Occupancy: 8
; WaveLimiterHint : 1
; COMPUTE_PGM_RSRC2:SCRATCH_EN: 0
; COMPUTE_PGM_RSRC2:USER_SGPR: 6
; COMPUTE_PGM_RSRC2:TRAP_HANDLER: 0
; COMPUTE_PGM_RSRC2:TGID_X_EN: 1
; COMPUTE_PGM_RSRC2:TGID_Y_EN: 1
; COMPUTE_PGM_RSRC2:TGID_Z_EN: 1
; COMPUTE_PGM_RSRC2:TIDIG_COMP_CNT: 0
; COMPUTE_PGM_RSRC3_GFX90A:ACCUM_OFFSET: 6
; COMPUTE_PGM_RSRC3_GFX90A:TG_SPLIT: 0
	.section	.text._ZN7rocprim17ROCPRIM_400000_NS6detail17trampoline_kernelINS0_14default_configENS1_38merge_sort_block_merge_config_selectorIaNS0_10empty_typeEEEZZNS1_27merge_sort_block_merge_implIS3_PaPS5_jNS1_19radix_merge_compareILb0ELb0EaNS0_19identity_decomposerEEEEE10hipError_tT0_T1_T2_jT3_P12ihipStream_tbPNSt15iterator_traitsISE_E10value_typeEPNSK_ISF_E10value_typeEPSG_NS1_7vsmem_tEENKUlT_SE_SF_SG_E_clIS8_S8_S9_S9_EESD_ST_SE_SF_SG_EUlST_E0_NS1_11comp_targetILNS1_3genE3ELNS1_11target_archE908ELNS1_3gpuE7ELNS1_3repE0EEENS1_38merge_mergepath_config_static_selectorELNS0_4arch9wavefront6targetE1EEEvSF_,"axG",@progbits,_ZN7rocprim17ROCPRIM_400000_NS6detail17trampoline_kernelINS0_14default_configENS1_38merge_sort_block_merge_config_selectorIaNS0_10empty_typeEEEZZNS1_27merge_sort_block_merge_implIS3_PaPS5_jNS1_19radix_merge_compareILb0ELb0EaNS0_19identity_decomposerEEEEE10hipError_tT0_T1_T2_jT3_P12ihipStream_tbPNSt15iterator_traitsISE_E10value_typeEPNSK_ISF_E10value_typeEPSG_NS1_7vsmem_tEENKUlT_SE_SF_SG_E_clIS8_S8_S9_S9_EESD_ST_SE_SF_SG_EUlST_E0_NS1_11comp_targetILNS1_3genE3ELNS1_11target_archE908ELNS1_3gpuE7ELNS1_3repE0EEENS1_38merge_mergepath_config_static_selectorELNS0_4arch9wavefront6targetE1EEEvSF_,comdat
	.protected	_ZN7rocprim17ROCPRIM_400000_NS6detail17trampoline_kernelINS0_14default_configENS1_38merge_sort_block_merge_config_selectorIaNS0_10empty_typeEEEZZNS1_27merge_sort_block_merge_implIS3_PaPS5_jNS1_19radix_merge_compareILb0ELb0EaNS0_19identity_decomposerEEEEE10hipError_tT0_T1_T2_jT3_P12ihipStream_tbPNSt15iterator_traitsISE_E10value_typeEPNSK_ISF_E10value_typeEPSG_NS1_7vsmem_tEENKUlT_SE_SF_SG_E_clIS8_S8_S9_S9_EESD_ST_SE_SF_SG_EUlST_E0_NS1_11comp_targetILNS1_3genE3ELNS1_11target_archE908ELNS1_3gpuE7ELNS1_3repE0EEENS1_38merge_mergepath_config_static_selectorELNS0_4arch9wavefront6targetE1EEEvSF_ ; -- Begin function _ZN7rocprim17ROCPRIM_400000_NS6detail17trampoline_kernelINS0_14default_configENS1_38merge_sort_block_merge_config_selectorIaNS0_10empty_typeEEEZZNS1_27merge_sort_block_merge_implIS3_PaPS5_jNS1_19radix_merge_compareILb0ELb0EaNS0_19identity_decomposerEEEEE10hipError_tT0_T1_T2_jT3_P12ihipStream_tbPNSt15iterator_traitsISE_E10value_typeEPNSK_ISF_E10value_typeEPSG_NS1_7vsmem_tEENKUlT_SE_SF_SG_E_clIS8_S8_S9_S9_EESD_ST_SE_SF_SG_EUlST_E0_NS1_11comp_targetILNS1_3genE3ELNS1_11target_archE908ELNS1_3gpuE7ELNS1_3repE0EEENS1_38merge_mergepath_config_static_selectorELNS0_4arch9wavefront6targetE1EEEvSF_
	.globl	_ZN7rocprim17ROCPRIM_400000_NS6detail17trampoline_kernelINS0_14default_configENS1_38merge_sort_block_merge_config_selectorIaNS0_10empty_typeEEEZZNS1_27merge_sort_block_merge_implIS3_PaPS5_jNS1_19radix_merge_compareILb0ELb0EaNS0_19identity_decomposerEEEEE10hipError_tT0_T1_T2_jT3_P12ihipStream_tbPNSt15iterator_traitsISE_E10value_typeEPNSK_ISF_E10value_typeEPSG_NS1_7vsmem_tEENKUlT_SE_SF_SG_E_clIS8_S8_S9_S9_EESD_ST_SE_SF_SG_EUlST_E0_NS1_11comp_targetILNS1_3genE3ELNS1_11target_archE908ELNS1_3gpuE7ELNS1_3repE0EEENS1_38merge_mergepath_config_static_selectorELNS0_4arch9wavefront6targetE1EEEvSF_
	.p2align	8
	.type	_ZN7rocprim17ROCPRIM_400000_NS6detail17trampoline_kernelINS0_14default_configENS1_38merge_sort_block_merge_config_selectorIaNS0_10empty_typeEEEZZNS1_27merge_sort_block_merge_implIS3_PaPS5_jNS1_19radix_merge_compareILb0ELb0EaNS0_19identity_decomposerEEEEE10hipError_tT0_T1_T2_jT3_P12ihipStream_tbPNSt15iterator_traitsISE_E10value_typeEPNSK_ISF_E10value_typeEPSG_NS1_7vsmem_tEENKUlT_SE_SF_SG_E_clIS8_S8_S9_S9_EESD_ST_SE_SF_SG_EUlST_E0_NS1_11comp_targetILNS1_3genE3ELNS1_11target_archE908ELNS1_3gpuE7ELNS1_3repE0EEENS1_38merge_mergepath_config_static_selectorELNS0_4arch9wavefront6targetE1EEEvSF_,@function
_ZN7rocprim17ROCPRIM_400000_NS6detail17trampoline_kernelINS0_14default_configENS1_38merge_sort_block_merge_config_selectorIaNS0_10empty_typeEEEZZNS1_27merge_sort_block_merge_implIS3_PaPS5_jNS1_19radix_merge_compareILb0ELb0EaNS0_19identity_decomposerEEEEE10hipError_tT0_T1_T2_jT3_P12ihipStream_tbPNSt15iterator_traitsISE_E10value_typeEPNSK_ISF_E10value_typeEPSG_NS1_7vsmem_tEENKUlT_SE_SF_SG_E_clIS8_S8_S9_S9_EESD_ST_SE_SF_SG_EUlST_E0_NS1_11comp_targetILNS1_3genE3ELNS1_11target_archE908ELNS1_3gpuE7ELNS1_3repE0EEENS1_38merge_mergepath_config_static_selectorELNS0_4arch9wavefront6targetE1EEEvSF_: ; @_ZN7rocprim17ROCPRIM_400000_NS6detail17trampoline_kernelINS0_14default_configENS1_38merge_sort_block_merge_config_selectorIaNS0_10empty_typeEEEZZNS1_27merge_sort_block_merge_implIS3_PaPS5_jNS1_19radix_merge_compareILb0ELb0EaNS0_19identity_decomposerEEEEE10hipError_tT0_T1_T2_jT3_P12ihipStream_tbPNSt15iterator_traitsISE_E10value_typeEPNSK_ISF_E10value_typeEPSG_NS1_7vsmem_tEENKUlT_SE_SF_SG_E_clIS8_S8_S9_S9_EESD_ST_SE_SF_SG_EUlST_E0_NS1_11comp_targetILNS1_3genE3ELNS1_11target_archE908ELNS1_3gpuE7ELNS1_3repE0EEENS1_38merge_mergepath_config_static_selectorELNS0_4arch9wavefront6targetE1EEEvSF_
; %bb.0:
	.section	.rodata,"a",@progbits
	.p2align	6, 0x0
	.amdhsa_kernel _ZN7rocprim17ROCPRIM_400000_NS6detail17trampoline_kernelINS0_14default_configENS1_38merge_sort_block_merge_config_selectorIaNS0_10empty_typeEEEZZNS1_27merge_sort_block_merge_implIS3_PaPS5_jNS1_19radix_merge_compareILb0ELb0EaNS0_19identity_decomposerEEEEE10hipError_tT0_T1_T2_jT3_P12ihipStream_tbPNSt15iterator_traitsISE_E10value_typeEPNSK_ISF_E10value_typeEPSG_NS1_7vsmem_tEENKUlT_SE_SF_SG_E_clIS8_S8_S9_S9_EESD_ST_SE_SF_SG_EUlST_E0_NS1_11comp_targetILNS1_3genE3ELNS1_11target_archE908ELNS1_3gpuE7ELNS1_3repE0EEENS1_38merge_mergepath_config_static_selectorELNS0_4arch9wavefront6targetE1EEEvSF_
		.amdhsa_group_segment_fixed_size 0
		.amdhsa_private_segment_fixed_size 0
		.amdhsa_kernarg_size 64
		.amdhsa_user_sgpr_count 6
		.amdhsa_user_sgpr_private_segment_buffer 1
		.amdhsa_user_sgpr_dispatch_ptr 0
		.amdhsa_user_sgpr_queue_ptr 0
		.amdhsa_user_sgpr_kernarg_segment_ptr 1
		.amdhsa_user_sgpr_dispatch_id 0
		.amdhsa_user_sgpr_flat_scratch_init 0
		.amdhsa_user_sgpr_kernarg_preload_length 0
		.amdhsa_user_sgpr_kernarg_preload_offset 0
		.amdhsa_user_sgpr_private_segment_size 0
		.amdhsa_uses_dynamic_stack 0
		.amdhsa_system_sgpr_private_segment_wavefront_offset 0
		.amdhsa_system_sgpr_workgroup_id_x 1
		.amdhsa_system_sgpr_workgroup_id_y 0
		.amdhsa_system_sgpr_workgroup_id_z 0
		.amdhsa_system_sgpr_workgroup_info 0
		.amdhsa_system_vgpr_workitem_id 0
		.amdhsa_next_free_vgpr 1
		.amdhsa_next_free_sgpr 0
		.amdhsa_accum_offset 4
		.amdhsa_reserve_vcc 0
		.amdhsa_reserve_flat_scratch 0
		.amdhsa_float_round_mode_32 0
		.amdhsa_float_round_mode_16_64 0
		.amdhsa_float_denorm_mode_32 3
		.amdhsa_float_denorm_mode_16_64 3
		.amdhsa_dx10_clamp 1
		.amdhsa_ieee_mode 1
		.amdhsa_fp16_overflow 0
		.amdhsa_tg_split 0
		.amdhsa_exception_fp_ieee_invalid_op 0
		.amdhsa_exception_fp_denorm_src 0
		.amdhsa_exception_fp_ieee_div_zero 0
		.amdhsa_exception_fp_ieee_overflow 0
		.amdhsa_exception_fp_ieee_underflow 0
		.amdhsa_exception_fp_ieee_inexact 0
		.amdhsa_exception_int_div_zero 0
	.end_amdhsa_kernel
	.section	.text._ZN7rocprim17ROCPRIM_400000_NS6detail17trampoline_kernelINS0_14default_configENS1_38merge_sort_block_merge_config_selectorIaNS0_10empty_typeEEEZZNS1_27merge_sort_block_merge_implIS3_PaPS5_jNS1_19radix_merge_compareILb0ELb0EaNS0_19identity_decomposerEEEEE10hipError_tT0_T1_T2_jT3_P12ihipStream_tbPNSt15iterator_traitsISE_E10value_typeEPNSK_ISF_E10value_typeEPSG_NS1_7vsmem_tEENKUlT_SE_SF_SG_E_clIS8_S8_S9_S9_EESD_ST_SE_SF_SG_EUlST_E0_NS1_11comp_targetILNS1_3genE3ELNS1_11target_archE908ELNS1_3gpuE7ELNS1_3repE0EEENS1_38merge_mergepath_config_static_selectorELNS0_4arch9wavefront6targetE1EEEvSF_,"axG",@progbits,_ZN7rocprim17ROCPRIM_400000_NS6detail17trampoline_kernelINS0_14default_configENS1_38merge_sort_block_merge_config_selectorIaNS0_10empty_typeEEEZZNS1_27merge_sort_block_merge_implIS3_PaPS5_jNS1_19radix_merge_compareILb0ELb0EaNS0_19identity_decomposerEEEEE10hipError_tT0_T1_T2_jT3_P12ihipStream_tbPNSt15iterator_traitsISE_E10value_typeEPNSK_ISF_E10value_typeEPSG_NS1_7vsmem_tEENKUlT_SE_SF_SG_E_clIS8_S8_S9_S9_EESD_ST_SE_SF_SG_EUlST_E0_NS1_11comp_targetILNS1_3genE3ELNS1_11target_archE908ELNS1_3gpuE7ELNS1_3repE0EEENS1_38merge_mergepath_config_static_selectorELNS0_4arch9wavefront6targetE1EEEvSF_,comdat
.Lfunc_end148:
	.size	_ZN7rocprim17ROCPRIM_400000_NS6detail17trampoline_kernelINS0_14default_configENS1_38merge_sort_block_merge_config_selectorIaNS0_10empty_typeEEEZZNS1_27merge_sort_block_merge_implIS3_PaPS5_jNS1_19radix_merge_compareILb0ELb0EaNS0_19identity_decomposerEEEEE10hipError_tT0_T1_T2_jT3_P12ihipStream_tbPNSt15iterator_traitsISE_E10value_typeEPNSK_ISF_E10value_typeEPSG_NS1_7vsmem_tEENKUlT_SE_SF_SG_E_clIS8_S8_S9_S9_EESD_ST_SE_SF_SG_EUlST_E0_NS1_11comp_targetILNS1_3genE3ELNS1_11target_archE908ELNS1_3gpuE7ELNS1_3repE0EEENS1_38merge_mergepath_config_static_selectorELNS0_4arch9wavefront6targetE1EEEvSF_, .Lfunc_end148-_ZN7rocprim17ROCPRIM_400000_NS6detail17trampoline_kernelINS0_14default_configENS1_38merge_sort_block_merge_config_selectorIaNS0_10empty_typeEEEZZNS1_27merge_sort_block_merge_implIS3_PaPS5_jNS1_19radix_merge_compareILb0ELb0EaNS0_19identity_decomposerEEEEE10hipError_tT0_T1_T2_jT3_P12ihipStream_tbPNSt15iterator_traitsISE_E10value_typeEPNSK_ISF_E10value_typeEPSG_NS1_7vsmem_tEENKUlT_SE_SF_SG_E_clIS8_S8_S9_S9_EESD_ST_SE_SF_SG_EUlST_E0_NS1_11comp_targetILNS1_3genE3ELNS1_11target_archE908ELNS1_3gpuE7ELNS1_3repE0EEENS1_38merge_mergepath_config_static_selectorELNS0_4arch9wavefront6targetE1EEEvSF_
                                        ; -- End function
	.section	.AMDGPU.csdata,"",@progbits
; Kernel info:
; codeLenInByte = 0
; NumSgprs: 4
; NumVgprs: 0
; NumAgprs: 0
; TotalNumVgprs: 0
; ScratchSize: 0
; MemoryBound: 0
; FloatMode: 240
; IeeeMode: 1
; LDSByteSize: 0 bytes/workgroup (compile time only)
; SGPRBlocks: 0
; VGPRBlocks: 0
; NumSGPRsForWavesPerEU: 4
; NumVGPRsForWavesPerEU: 1
; AccumOffset: 4
; Occupancy: 8
; WaveLimiterHint : 0
; COMPUTE_PGM_RSRC2:SCRATCH_EN: 0
; COMPUTE_PGM_RSRC2:USER_SGPR: 6
; COMPUTE_PGM_RSRC2:TRAP_HANDLER: 0
; COMPUTE_PGM_RSRC2:TGID_X_EN: 1
; COMPUTE_PGM_RSRC2:TGID_Y_EN: 0
; COMPUTE_PGM_RSRC2:TGID_Z_EN: 0
; COMPUTE_PGM_RSRC2:TIDIG_COMP_CNT: 0
; COMPUTE_PGM_RSRC3_GFX90A:ACCUM_OFFSET: 0
; COMPUTE_PGM_RSRC3_GFX90A:TG_SPLIT: 0
	.section	.text._ZN7rocprim17ROCPRIM_400000_NS6detail17trampoline_kernelINS0_14default_configENS1_38merge_sort_block_merge_config_selectorIaNS0_10empty_typeEEEZZNS1_27merge_sort_block_merge_implIS3_PaPS5_jNS1_19radix_merge_compareILb0ELb0EaNS0_19identity_decomposerEEEEE10hipError_tT0_T1_T2_jT3_P12ihipStream_tbPNSt15iterator_traitsISE_E10value_typeEPNSK_ISF_E10value_typeEPSG_NS1_7vsmem_tEENKUlT_SE_SF_SG_E_clIS8_S8_S9_S9_EESD_ST_SE_SF_SG_EUlST_E0_NS1_11comp_targetILNS1_3genE2ELNS1_11target_archE906ELNS1_3gpuE6ELNS1_3repE0EEENS1_38merge_mergepath_config_static_selectorELNS0_4arch9wavefront6targetE1EEEvSF_,"axG",@progbits,_ZN7rocprim17ROCPRIM_400000_NS6detail17trampoline_kernelINS0_14default_configENS1_38merge_sort_block_merge_config_selectorIaNS0_10empty_typeEEEZZNS1_27merge_sort_block_merge_implIS3_PaPS5_jNS1_19radix_merge_compareILb0ELb0EaNS0_19identity_decomposerEEEEE10hipError_tT0_T1_T2_jT3_P12ihipStream_tbPNSt15iterator_traitsISE_E10value_typeEPNSK_ISF_E10value_typeEPSG_NS1_7vsmem_tEENKUlT_SE_SF_SG_E_clIS8_S8_S9_S9_EESD_ST_SE_SF_SG_EUlST_E0_NS1_11comp_targetILNS1_3genE2ELNS1_11target_archE906ELNS1_3gpuE6ELNS1_3repE0EEENS1_38merge_mergepath_config_static_selectorELNS0_4arch9wavefront6targetE1EEEvSF_,comdat
	.protected	_ZN7rocprim17ROCPRIM_400000_NS6detail17trampoline_kernelINS0_14default_configENS1_38merge_sort_block_merge_config_selectorIaNS0_10empty_typeEEEZZNS1_27merge_sort_block_merge_implIS3_PaPS5_jNS1_19radix_merge_compareILb0ELb0EaNS0_19identity_decomposerEEEEE10hipError_tT0_T1_T2_jT3_P12ihipStream_tbPNSt15iterator_traitsISE_E10value_typeEPNSK_ISF_E10value_typeEPSG_NS1_7vsmem_tEENKUlT_SE_SF_SG_E_clIS8_S8_S9_S9_EESD_ST_SE_SF_SG_EUlST_E0_NS1_11comp_targetILNS1_3genE2ELNS1_11target_archE906ELNS1_3gpuE6ELNS1_3repE0EEENS1_38merge_mergepath_config_static_selectorELNS0_4arch9wavefront6targetE1EEEvSF_ ; -- Begin function _ZN7rocprim17ROCPRIM_400000_NS6detail17trampoline_kernelINS0_14default_configENS1_38merge_sort_block_merge_config_selectorIaNS0_10empty_typeEEEZZNS1_27merge_sort_block_merge_implIS3_PaPS5_jNS1_19radix_merge_compareILb0ELb0EaNS0_19identity_decomposerEEEEE10hipError_tT0_T1_T2_jT3_P12ihipStream_tbPNSt15iterator_traitsISE_E10value_typeEPNSK_ISF_E10value_typeEPSG_NS1_7vsmem_tEENKUlT_SE_SF_SG_E_clIS8_S8_S9_S9_EESD_ST_SE_SF_SG_EUlST_E0_NS1_11comp_targetILNS1_3genE2ELNS1_11target_archE906ELNS1_3gpuE6ELNS1_3repE0EEENS1_38merge_mergepath_config_static_selectorELNS0_4arch9wavefront6targetE1EEEvSF_
	.globl	_ZN7rocprim17ROCPRIM_400000_NS6detail17trampoline_kernelINS0_14default_configENS1_38merge_sort_block_merge_config_selectorIaNS0_10empty_typeEEEZZNS1_27merge_sort_block_merge_implIS3_PaPS5_jNS1_19radix_merge_compareILb0ELb0EaNS0_19identity_decomposerEEEEE10hipError_tT0_T1_T2_jT3_P12ihipStream_tbPNSt15iterator_traitsISE_E10value_typeEPNSK_ISF_E10value_typeEPSG_NS1_7vsmem_tEENKUlT_SE_SF_SG_E_clIS8_S8_S9_S9_EESD_ST_SE_SF_SG_EUlST_E0_NS1_11comp_targetILNS1_3genE2ELNS1_11target_archE906ELNS1_3gpuE6ELNS1_3repE0EEENS1_38merge_mergepath_config_static_selectorELNS0_4arch9wavefront6targetE1EEEvSF_
	.p2align	8
	.type	_ZN7rocprim17ROCPRIM_400000_NS6detail17trampoline_kernelINS0_14default_configENS1_38merge_sort_block_merge_config_selectorIaNS0_10empty_typeEEEZZNS1_27merge_sort_block_merge_implIS3_PaPS5_jNS1_19radix_merge_compareILb0ELb0EaNS0_19identity_decomposerEEEEE10hipError_tT0_T1_T2_jT3_P12ihipStream_tbPNSt15iterator_traitsISE_E10value_typeEPNSK_ISF_E10value_typeEPSG_NS1_7vsmem_tEENKUlT_SE_SF_SG_E_clIS8_S8_S9_S9_EESD_ST_SE_SF_SG_EUlST_E0_NS1_11comp_targetILNS1_3genE2ELNS1_11target_archE906ELNS1_3gpuE6ELNS1_3repE0EEENS1_38merge_mergepath_config_static_selectorELNS0_4arch9wavefront6targetE1EEEvSF_,@function
_ZN7rocprim17ROCPRIM_400000_NS6detail17trampoline_kernelINS0_14default_configENS1_38merge_sort_block_merge_config_selectorIaNS0_10empty_typeEEEZZNS1_27merge_sort_block_merge_implIS3_PaPS5_jNS1_19radix_merge_compareILb0ELb0EaNS0_19identity_decomposerEEEEE10hipError_tT0_T1_T2_jT3_P12ihipStream_tbPNSt15iterator_traitsISE_E10value_typeEPNSK_ISF_E10value_typeEPSG_NS1_7vsmem_tEENKUlT_SE_SF_SG_E_clIS8_S8_S9_S9_EESD_ST_SE_SF_SG_EUlST_E0_NS1_11comp_targetILNS1_3genE2ELNS1_11target_archE906ELNS1_3gpuE6ELNS1_3repE0EEENS1_38merge_mergepath_config_static_selectorELNS0_4arch9wavefront6targetE1EEEvSF_: ; @_ZN7rocprim17ROCPRIM_400000_NS6detail17trampoline_kernelINS0_14default_configENS1_38merge_sort_block_merge_config_selectorIaNS0_10empty_typeEEEZZNS1_27merge_sort_block_merge_implIS3_PaPS5_jNS1_19radix_merge_compareILb0ELb0EaNS0_19identity_decomposerEEEEE10hipError_tT0_T1_T2_jT3_P12ihipStream_tbPNSt15iterator_traitsISE_E10value_typeEPNSK_ISF_E10value_typeEPSG_NS1_7vsmem_tEENKUlT_SE_SF_SG_E_clIS8_S8_S9_S9_EESD_ST_SE_SF_SG_EUlST_E0_NS1_11comp_targetILNS1_3genE2ELNS1_11target_archE906ELNS1_3gpuE6ELNS1_3repE0EEENS1_38merge_mergepath_config_static_selectorELNS0_4arch9wavefront6targetE1EEEvSF_
; %bb.0:
	.section	.rodata,"a",@progbits
	.p2align	6, 0x0
	.amdhsa_kernel _ZN7rocprim17ROCPRIM_400000_NS6detail17trampoline_kernelINS0_14default_configENS1_38merge_sort_block_merge_config_selectorIaNS0_10empty_typeEEEZZNS1_27merge_sort_block_merge_implIS3_PaPS5_jNS1_19radix_merge_compareILb0ELb0EaNS0_19identity_decomposerEEEEE10hipError_tT0_T1_T2_jT3_P12ihipStream_tbPNSt15iterator_traitsISE_E10value_typeEPNSK_ISF_E10value_typeEPSG_NS1_7vsmem_tEENKUlT_SE_SF_SG_E_clIS8_S8_S9_S9_EESD_ST_SE_SF_SG_EUlST_E0_NS1_11comp_targetILNS1_3genE2ELNS1_11target_archE906ELNS1_3gpuE6ELNS1_3repE0EEENS1_38merge_mergepath_config_static_selectorELNS0_4arch9wavefront6targetE1EEEvSF_
		.amdhsa_group_segment_fixed_size 0
		.amdhsa_private_segment_fixed_size 0
		.amdhsa_kernarg_size 64
		.amdhsa_user_sgpr_count 6
		.amdhsa_user_sgpr_private_segment_buffer 1
		.amdhsa_user_sgpr_dispatch_ptr 0
		.amdhsa_user_sgpr_queue_ptr 0
		.amdhsa_user_sgpr_kernarg_segment_ptr 1
		.amdhsa_user_sgpr_dispatch_id 0
		.amdhsa_user_sgpr_flat_scratch_init 0
		.amdhsa_user_sgpr_kernarg_preload_length 0
		.amdhsa_user_sgpr_kernarg_preload_offset 0
		.amdhsa_user_sgpr_private_segment_size 0
		.amdhsa_uses_dynamic_stack 0
		.amdhsa_system_sgpr_private_segment_wavefront_offset 0
		.amdhsa_system_sgpr_workgroup_id_x 1
		.amdhsa_system_sgpr_workgroup_id_y 0
		.amdhsa_system_sgpr_workgroup_id_z 0
		.amdhsa_system_sgpr_workgroup_info 0
		.amdhsa_system_vgpr_workitem_id 0
		.amdhsa_next_free_vgpr 1
		.amdhsa_next_free_sgpr 0
		.amdhsa_accum_offset 4
		.amdhsa_reserve_vcc 0
		.amdhsa_reserve_flat_scratch 0
		.amdhsa_float_round_mode_32 0
		.amdhsa_float_round_mode_16_64 0
		.amdhsa_float_denorm_mode_32 3
		.amdhsa_float_denorm_mode_16_64 3
		.amdhsa_dx10_clamp 1
		.amdhsa_ieee_mode 1
		.amdhsa_fp16_overflow 0
		.amdhsa_tg_split 0
		.amdhsa_exception_fp_ieee_invalid_op 0
		.amdhsa_exception_fp_denorm_src 0
		.amdhsa_exception_fp_ieee_div_zero 0
		.amdhsa_exception_fp_ieee_overflow 0
		.amdhsa_exception_fp_ieee_underflow 0
		.amdhsa_exception_fp_ieee_inexact 0
		.amdhsa_exception_int_div_zero 0
	.end_amdhsa_kernel
	.section	.text._ZN7rocprim17ROCPRIM_400000_NS6detail17trampoline_kernelINS0_14default_configENS1_38merge_sort_block_merge_config_selectorIaNS0_10empty_typeEEEZZNS1_27merge_sort_block_merge_implIS3_PaPS5_jNS1_19radix_merge_compareILb0ELb0EaNS0_19identity_decomposerEEEEE10hipError_tT0_T1_T2_jT3_P12ihipStream_tbPNSt15iterator_traitsISE_E10value_typeEPNSK_ISF_E10value_typeEPSG_NS1_7vsmem_tEENKUlT_SE_SF_SG_E_clIS8_S8_S9_S9_EESD_ST_SE_SF_SG_EUlST_E0_NS1_11comp_targetILNS1_3genE2ELNS1_11target_archE906ELNS1_3gpuE6ELNS1_3repE0EEENS1_38merge_mergepath_config_static_selectorELNS0_4arch9wavefront6targetE1EEEvSF_,"axG",@progbits,_ZN7rocprim17ROCPRIM_400000_NS6detail17trampoline_kernelINS0_14default_configENS1_38merge_sort_block_merge_config_selectorIaNS0_10empty_typeEEEZZNS1_27merge_sort_block_merge_implIS3_PaPS5_jNS1_19radix_merge_compareILb0ELb0EaNS0_19identity_decomposerEEEEE10hipError_tT0_T1_T2_jT3_P12ihipStream_tbPNSt15iterator_traitsISE_E10value_typeEPNSK_ISF_E10value_typeEPSG_NS1_7vsmem_tEENKUlT_SE_SF_SG_E_clIS8_S8_S9_S9_EESD_ST_SE_SF_SG_EUlST_E0_NS1_11comp_targetILNS1_3genE2ELNS1_11target_archE906ELNS1_3gpuE6ELNS1_3repE0EEENS1_38merge_mergepath_config_static_selectorELNS0_4arch9wavefront6targetE1EEEvSF_,comdat
.Lfunc_end149:
	.size	_ZN7rocprim17ROCPRIM_400000_NS6detail17trampoline_kernelINS0_14default_configENS1_38merge_sort_block_merge_config_selectorIaNS0_10empty_typeEEEZZNS1_27merge_sort_block_merge_implIS3_PaPS5_jNS1_19radix_merge_compareILb0ELb0EaNS0_19identity_decomposerEEEEE10hipError_tT0_T1_T2_jT3_P12ihipStream_tbPNSt15iterator_traitsISE_E10value_typeEPNSK_ISF_E10value_typeEPSG_NS1_7vsmem_tEENKUlT_SE_SF_SG_E_clIS8_S8_S9_S9_EESD_ST_SE_SF_SG_EUlST_E0_NS1_11comp_targetILNS1_3genE2ELNS1_11target_archE906ELNS1_3gpuE6ELNS1_3repE0EEENS1_38merge_mergepath_config_static_selectorELNS0_4arch9wavefront6targetE1EEEvSF_, .Lfunc_end149-_ZN7rocprim17ROCPRIM_400000_NS6detail17trampoline_kernelINS0_14default_configENS1_38merge_sort_block_merge_config_selectorIaNS0_10empty_typeEEEZZNS1_27merge_sort_block_merge_implIS3_PaPS5_jNS1_19radix_merge_compareILb0ELb0EaNS0_19identity_decomposerEEEEE10hipError_tT0_T1_T2_jT3_P12ihipStream_tbPNSt15iterator_traitsISE_E10value_typeEPNSK_ISF_E10value_typeEPSG_NS1_7vsmem_tEENKUlT_SE_SF_SG_E_clIS8_S8_S9_S9_EESD_ST_SE_SF_SG_EUlST_E0_NS1_11comp_targetILNS1_3genE2ELNS1_11target_archE906ELNS1_3gpuE6ELNS1_3repE0EEENS1_38merge_mergepath_config_static_selectorELNS0_4arch9wavefront6targetE1EEEvSF_
                                        ; -- End function
	.section	.AMDGPU.csdata,"",@progbits
; Kernel info:
; codeLenInByte = 0
; NumSgprs: 4
; NumVgprs: 0
; NumAgprs: 0
; TotalNumVgprs: 0
; ScratchSize: 0
; MemoryBound: 0
; FloatMode: 240
; IeeeMode: 1
; LDSByteSize: 0 bytes/workgroup (compile time only)
; SGPRBlocks: 0
; VGPRBlocks: 0
; NumSGPRsForWavesPerEU: 4
; NumVGPRsForWavesPerEU: 1
; AccumOffset: 4
; Occupancy: 8
; WaveLimiterHint : 0
; COMPUTE_PGM_RSRC2:SCRATCH_EN: 0
; COMPUTE_PGM_RSRC2:USER_SGPR: 6
; COMPUTE_PGM_RSRC2:TRAP_HANDLER: 0
; COMPUTE_PGM_RSRC2:TGID_X_EN: 1
; COMPUTE_PGM_RSRC2:TGID_Y_EN: 0
; COMPUTE_PGM_RSRC2:TGID_Z_EN: 0
; COMPUTE_PGM_RSRC2:TIDIG_COMP_CNT: 0
; COMPUTE_PGM_RSRC3_GFX90A:ACCUM_OFFSET: 0
; COMPUTE_PGM_RSRC3_GFX90A:TG_SPLIT: 0
	.section	.text._ZN7rocprim17ROCPRIM_400000_NS6detail17trampoline_kernelINS0_14default_configENS1_38merge_sort_block_merge_config_selectorIaNS0_10empty_typeEEEZZNS1_27merge_sort_block_merge_implIS3_PaPS5_jNS1_19radix_merge_compareILb0ELb0EaNS0_19identity_decomposerEEEEE10hipError_tT0_T1_T2_jT3_P12ihipStream_tbPNSt15iterator_traitsISE_E10value_typeEPNSK_ISF_E10value_typeEPSG_NS1_7vsmem_tEENKUlT_SE_SF_SG_E_clIS8_S8_S9_S9_EESD_ST_SE_SF_SG_EUlST_E0_NS1_11comp_targetILNS1_3genE9ELNS1_11target_archE1100ELNS1_3gpuE3ELNS1_3repE0EEENS1_38merge_mergepath_config_static_selectorELNS0_4arch9wavefront6targetE1EEEvSF_,"axG",@progbits,_ZN7rocprim17ROCPRIM_400000_NS6detail17trampoline_kernelINS0_14default_configENS1_38merge_sort_block_merge_config_selectorIaNS0_10empty_typeEEEZZNS1_27merge_sort_block_merge_implIS3_PaPS5_jNS1_19radix_merge_compareILb0ELb0EaNS0_19identity_decomposerEEEEE10hipError_tT0_T1_T2_jT3_P12ihipStream_tbPNSt15iterator_traitsISE_E10value_typeEPNSK_ISF_E10value_typeEPSG_NS1_7vsmem_tEENKUlT_SE_SF_SG_E_clIS8_S8_S9_S9_EESD_ST_SE_SF_SG_EUlST_E0_NS1_11comp_targetILNS1_3genE9ELNS1_11target_archE1100ELNS1_3gpuE3ELNS1_3repE0EEENS1_38merge_mergepath_config_static_selectorELNS0_4arch9wavefront6targetE1EEEvSF_,comdat
	.protected	_ZN7rocprim17ROCPRIM_400000_NS6detail17trampoline_kernelINS0_14default_configENS1_38merge_sort_block_merge_config_selectorIaNS0_10empty_typeEEEZZNS1_27merge_sort_block_merge_implIS3_PaPS5_jNS1_19radix_merge_compareILb0ELb0EaNS0_19identity_decomposerEEEEE10hipError_tT0_T1_T2_jT3_P12ihipStream_tbPNSt15iterator_traitsISE_E10value_typeEPNSK_ISF_E10value_typeEPSG_NS1_7vsmem_tEENKUlT_SE_SF_SG_E_clIS8_S8_S9_S9_EESD_ST_SE_SF_SG_EUlST_E0_NS1_11comp_targetILNS1_3genE9ELNS1_11target_archE1100ELNS1_3gpuE3ELNS1_3repE0EEENS1_38merge_mergepath_config_static_selectorELNS0_4arch9wavefront6targetE1EEEvSF_ ; -- Begin function _ZN7rocprim17ROCPRIM_400000_NS6detail17trampoline_kernelINS0_14default_configENS1_38merge_sort_block_merge_config_selectorIaNS0_10empty_typeEEEZZNS1_27merge_sort_block_merge_implIS3_PaPS5_jNS1_19radix_merge_compareILb0ELb0EaNS0_19identity_decomposerEEEEE10hipError_tT0_T1_T2_jT3_P12ihipStream_tbPNSt15iterator_traitsISE_E10value_typeEPNSK_ISF_E10value_typeEPSG_NS1_7vsmem_tEENKUlT_SE_SF_SG_E_clIS8_S8_S9_S9_EESD_ST_SE_SF_SG_EUlST_E0_NS1_11comp_targetILNS1_3genE9ELNS1_11target_archE1100ELNS1_3gpuE3ELNS1_3repE0EEENS1_38merge_mergepath_config_static_selectorELNS0_4arch9wavefront6targetE1EEEvSF_
	.globl	_ZN7rocprim17ROCPRIM_400000_NS6detail17trampoline_kernelINS0_14default_configENS1_38merge_sort_block_merge_config_selectorIaNS0_10empty_typeEEEZZNS1_27merge_sort_block_merge_implIS3_PaPS5_jNS1_19radix_merge_compareILb0ELb0EaNS0_19identity_decomposerEEEEE10hipError_tT0_T1_T2_jT3_P12ihipStream_tbPNSt15iterator_traitsISE_E10value_typeEPNSK_ISF_E10value_typeEPSG_NS1_7vsmem_tEENKUlT_SE_SF_SG_E_clIS8_S8_S9_S9_EESD_ST_SE_SF_SG_EUlST_E0_NS1_11comp_targetILNS1_3genE9ELNS1_11target_archE1100ELNS1_3gpuE3ELNS1_3repE0EEENS1_38merge_mergepath_config_static_selectorELNS0_4arch9wavefront6targetE1EEEvSF_
	.p2align	8
	.type	_ZN7rocprim17ROCPRIM_400000_NS6detail17trampoline_kernelINS0_14default_configENS1_38merge_sort_block_merge_config_selectorIaNS0_10empty_typeEEEZZNS1_27merge_sort_block_merge_implIS3_PaPS5_jNS1_19radix_merge_compareILb0ELb0EaNS0_19identity_decomposerEEEEE10hipError_tT0_T1_T2_jT3_P12ihipStream_tbPNSt15iterator_traitsISE_E10value_typeEPNSK_ISF_E10value_typeEPSG_NS1_7vsmem_tEENKUlT_SE_SF_SG_E_clIS8_S8_S9_S9_EESD_ST_SE_SF_SG_EUlST_E0_NS1_11comp_targetILNS1_3genE9ELNS1_11target_archE1100ELNS1_3gpuE3ELNS1_3repE0EEENS1_38merge_mergepath_config_static_selectorELNS0_4arch9wavefront6targetE1EEEvSF_,@function
_ZN7rocprim17ROCPRIM_400000_NS6detail17trampoline_kernelINS0_14default_configENS1_38merge_sort_block_merge_config_selectorIaNS0_10empty_typeEEEZZNS1_27merge_sort_block_merge_implIS3_PaPS5_jNS1_19radix_merge_compareILb0ELb0EaNS0_19identity_decomposerEEEEE10hipError_tT0_T1_T2_jT3_P12ihipStream_tbPNSt15iterator_traitsISE_E10value_typeEPNSK_ISF_E10value_typeEPSG_NS1_7vsmem_tEENKUlT_SE_SF_SG_E_clIS8_S8_S9_S9_EESD_ST_SE_SF_SG_EUlST_E0_NS1_11comp_targetILNS1_3genE9ELNS1_11target_archE1100ELNS1_3gpuE3ELNS1_3repE0EEENS1_38merge_mergepath_config_static_selectorELNS0_4arch9wavefront6targetE1EEEvSF_: ; @_ZN7rocprim17ROCPRIM_400000_NS6detail17trampoline_kernelINS0_14default_configENS1_38merge_sort_block_merge_config_selectorIaNS0_10empty_typeEEEZZNS1_27merge_sort_block_merge_implIS3_PaPS5_jNS1_19radix_merge_compareILb0ELb0EaNS0_19identity_decomposerEEEEE10hipError_tT0_T1_T2_jT3_P12ihipStream_tbPNSt15iterator_traitsISE_E10value_typeEPNSK_ISF_E10value_typeEPSG_NS1_7vsmem_tEENKUlT_SE_SF_SG_E_clIS8_S8_S9_S9_EESD_ST_SE_SF_SG_EUlST_E0_NS1_11comp_targetILNS1_3genE9ELNS1_11target_archE1100ELNS1_3gpuE3ELNS1_3repE0EEENS1_38merge_mergepath_config_static_selectorELNS0_4arch9wavefront6targetE1EEEvSF_
; %bb.0:
	.section	.rodata,"a",@progbits
	.p2align	6, 0x0
	.amdhsa_kernel _ZN7rocprim17ROCPRIM_400000_NS6detail17trampoline_kernelINS0_14default_configENS1_38merge_sort_block_merge_config_selectorIaNS0_10empty_typeEEEZZNS1_27merge_sort_block_merge_implIS3_PaPS5_jNS1_19radix_merge_compareILb0ELb0EaNS0_19identity_decomposerEEEEE10hipError_tT0_T1_T2_jT3_P12ihipStream_tbPNSt15iterator_traitsISE_E10value_typeEPNSK_ISF_E10value_typeEPSG_NS1_7vsmem_tEENKUlT_SE_SF_SG_E_clIS8_S8_S9_S9_EESD_ST_SE_SF_SG_EUlST_E0_NS1_11comp_targetILNS1_3genE9ELNS1_11target_archE1100ELNS1_3gpuE3ELNS1_3repE0EEENS1_38merge_mergepath_config_static_selectorELNS0_4arch9wavefront6targetE1EEEvSF_
		.amdhsa_group_segment_fixed_size 0
		.amdhsa_private_segment_fixed_size 0
		.amdhsa_kernarg_size 64
		.amdhsa_user_sgpr_count 6
		.amdhsa_user_sgpr_private_segment_buffer 1
		.amdhsa_user_sgpr_dispatch_ptr 0
		.amdhsa_user_sgpr_queue_ptr 0
		.amdhsa_user_sgpr_kernarg_segment_ptr 1
		.amdhsa_user_sgpr_dispatch_id 0
		.amdhsa_user_sgpr_flat_scratch_init 0
		.amdhsa_user_sgpr_kernarg_preload_length 0
		.amdhsa_user_sgpr_kernarg_preload_offset 0
		.amdhsa_user_sgpr_private_segment_size 0
		.amdhsa_uses_dynamic_stack 0
		.amdhsa_system_sgpr_private_segment_wavefront_offset 0
		.amdhsa_system_sgpr_workgroup_id_x 1
		.amdhsa_system_sgpr_workgroup_id_y 0
		.amdhsa_system_sgpr_workgroup_id_z 0
		.amdhsa_system_sgpr_workgroup_info 0
		.amdhsa_system_vgpr_workitem_id 0
		.amdhsa_next_free_vgpr 1
		.amdhsa_next_free_sgpr 0
		.amdhsa_accum_offset 4
		.amdhsa_reserve_vcc 0
		.amdhsa_reserve_flat_scratch 0
		.amdhsa_float_round_mode_32 0
		.amdhsa_float_round_mode_16_64 0
		.amdhsa_float_denorm_mode_32 3
		.amdhsa_float_denorm_mode_16_64 3
		.amdhsa_dx10_clamp 1
		.amdhsa_ieee_mode 1
		.amdhsa_fp16_overflow 0
		.amdhsa_tg_split 0
		.amdhsa_exception_fp_ieee_invalid_op 0
		.amdhsa_exception_fp_denorm_src 0
		.amdhsa_exception_fp_ieee_div_zero 0
		.amdhsa_exception_fp_ieee_overflow 0
		.amdhsa_exception_fp_ieee_underflow 0
		.amdhsa_exception_fp_ieee_inexact 0
		.amdhsa_exception_int_div_zero 0
	.end_amdhsa_kernel
	.section	.text._ZN7rocprim17ROCPRIM_400000_NS6detail17trampoline_kernelINS0_14default_configENS1_38merge_sort_block_merge_config_selectorIaNS0_10empty_typeEEEZZNS1_27merge_sort_block_merge_implIS3_PaPS5_jNS1_19radix_merge_compareILb0ELb0EaNS0_19identity_decomposerEEEEE10hipError_tT0_T1_T2_jT3_P12ihipStream_tbPNSt15iterator_traitsISE_E10value_typeEPNSK_ISF_E10value_typeEPSG_NS1_7vsmem_tEENKUlT_SE_SF_SG_E_clIS8_S8_S9_S9_EESD_ST_SE_SF_SG_EUlST_E0_NS1_11comp_targetILNS1_3genE9ELNS1_11target_archE1100ELNS1_3gpuE3ELNS1_3repE0EEENS1_38merge_mergepath_config_static_selectorELNS0_4arch9wavefront6targetE1EEEvSF_,"axG",@progbits,_ZN7rocprim17ROCPRIM_400000_NS6detail17trampoline_kernelINS0_14default_configENS1_38merge_sort_block_merge_config_selectorIaNS0_10empty_typeEEEZZNS1_27merge_sort_block_merge_implIS3_PaPS5_jNS1_19radix_merge_compareILb0ELb0EaNS0_19identity_decomposerEEEEE10hipError_tT0_T1_T2_jT3_P12ihipStream_tbPNSt15iterator_traitsISE_E10value_typeEPNSK_ISF_E10value_typeEPSG_NS1_7vsmem_tEENKUlT_SE_SF_SG_E_clIS8_S8_S9_S9_EESD_ST_SE_SF_SG_EUlST_E0_NS1_11comp_targetILNS1_3genE9ELNS1_11target_archE1100ELNS1_3gpuE3ELNS1_3repE0EEENS1_38merge_mergepath_config_static_selectorELNS0_4arch9wavefront6targetE1EEEvSF_,comdat
.Lfunc_end150:
	.size	_ZN7rocprim17ROCPRIM_400000_NS6detail17trampoline_kernelINS0_14default_configENS1_38merge_sort_block_merge_config_selectorIaNS0_10empty_typeEEEZZNS1_27merge_sort_block_merge_implIS3_PaPS5_jNS1_19radix_merge_compareILb0ELb0EaNS0_19identity_decomposerEEEEE10hipError_tT0_T1_T2_jT3_P12ihipStream_tbPNSt15iterator_traitsISE_E10value_typeEPNSK_ISF_E10value_typeEPSG_NS1_7vsmem_tEENKUlT_SE_SF_SG_E_clIS8_S8_S9_S9_EESD_ST_SE_SF_SG_EUlST_E0_NS1_11comp_targetILNS1_3genE9ELNS1_11target_archE1100ELNS1_3gpuE3ELNS1_3repE0EEENS1_38merge_mergepath_config_static_selectorELNS0_4arch9wavefront6targetE1EEEvSF_, .Lfunc_end150-_ZN7rocprim17ROCPRIM_400000_NS6detail17trampoline_kernelINS0_14default_configENS1_38merge_sort_block_merge_config_selectorIaNS0_10empty_typeEEEZZNS1_27merge_sort_block_merge_implIS3_PaPS5_jNS1_19radix_merge_compareILb0ELb0EaNS0_19identity_decomposerEEEEE10hipError_tT0_T1_T2_jT3_P12ihipStream_tbPNSt15iterator_traitsISE_E10value_typeEPNSK_ISF_E10value_typeEPSG_NS1_7vsmem_tEENKUlT_SE_SF_SG_E_clIS8_S8_S9_S9_EESD_ST_SE_SF_SG_EUlST_E0_NS1_11comp_targetILNS1_3genE9ELNS1_11target_archE1100ELNS1_3gpuE3ELNS1_3repE0EEENS1_38merge_mergepath_config_static_selectorELNS0_4arch9wavefront6targetE1EEEvSF_
                                        ; -- End function
	.section	.AMDGPU.csdata,"",@progbits
; Kernel info:
; codeLenInByte = 0
; NumSgprs: 4
; NumVgprs: 0
; NumAgprs: 0
; TotalNumVgprs: 0
; ScratchSize: 0
; MemoryBound: 0
; FloatMode: 240
; IeeeMode: 1
; LDSByteSize: 0 bytes/workgroup (compile time only)
; SGPRBlocks: 0
; VGPRBlocks: 0
; NumSGPRsForWavesPerEU: 4
; NumVGPRsForWavesPerEU: 1
; AccumOffset: 4
; Occupancy: 8
; WaveLimiterHint : 0
; COMPUTE_PGM_RSRC2:SCRATCH_EN: 0
; COMPUTE_PGM_RSRC2:USER_SGPR: 6
; COMPUTE_PGM_RSRC2:TRAP_HANDLER: 0
; COMPUTE_PGM_RSRC2:TGID_X_EN: 1
; COMPUTE_PGM_RSRC2:TGID_Y_EN: 0
; COMPUTE_PGM_RSRC2:TGID_Z_EN: 0
; COMPUTE_PGM_RSRC2:TIDIG_COMP_CNT: 0
; COMPUTE_PGM_RSRC3_GFX90A:ACCUM_OFFSET: 0
; COMPUTE_PGM_RSRC3_GFX90A:TG_SPLIT: 0
	.section	.text._ZN7rocprim17ROCPRIM_400000_NS6detail17trampoline_kernelINS0_14default_configENS1_38merge_sort_block_merge_config_selectorIaNS0_10empty_typeEEEZZNS1_27merge_sort_block_merge_implIS3_PaPS5_jNS1_19radix_merge_compareILb0ELb0EaNS0_19identity_decomposerEEEEE10hipError_tT0_T1_T2_jT3_P12ihipStream_tbPNSt15iterator_traitsISE_E10value_typeEPNSK_ISF_E10value_typeEPSG_NS1_7vsmem_tEENKUlT_SE_SF_SG_E_clIS8_S8_S9_S9_EESD_ST_SE_SF_SG_EUlST_E0_NS1_11comp_targetILNS1_3genE8ELNS1_11target_archE1030ELNS1_3gpuE2ELNS1_3repE0EEENS1_38merge_mergepath_config_static_selectorELNS0_4arch9wavefront6targetE1EEEvSF_,"axG",@progbits,_ZN7rocprim17ROCPRIM_400000_NS6detail17trampoline_kernelINS0_14default_configENS1_38merge_sort_block_merge_config_selectorIaNS0_10empty_typeEEEZZNS1_27merge_sort_block_merge_implIS3_PaPS5_jNS1_19radix_merge_compareILb0ELb0EaNS0_19identity_decomposerEEEEE10hipError_tT0_T1_T2_jT3_P12ihipStream_tbPNSt15iterator_traitsISE_E10value_typeEPNSK_ISF_E10value_typeEPSG_NS1_7vsmem_tEENKUlT_SE_SF_SG_E_clIS8_S8_S9_S9_EESD_ST_SE_SF_SG_EUlST_E0_NS1_11comp_targetILNS1_3genE8ELNS1_11target_archE1030ELNS1_3gpuE2ELNS1_3repE0EEENS1_38merge_mergepath_config_static_selectorELNS0_4arch9wavefront6targetE1EEEvSF_,comdat
	.protected	_ZN7rocprim17ROCPRIM_400000_NS6detail17trampoline_kernelINS0_14default_configENS1_38merge_sort_block_merge_config_selectorIaNS0_10empty_typeEEEZZNS1_27merge_sort_block_merge_implIS3_PaPS5_jNS1_19radix_merge_compareILb0ELb0EaNS0_19identity_decomposerEEEEE10hipError_tT0_T1_T2_jT3_P12ihipStream_tbPNSt15iterator_traitsISE_E10value_typeEPNSK_ISF_E10value_typeEPSG_NS1_7vsmem_tEENKUlT_SE_SF_SG_E_clIS8_S8_S9_S9_EESD_ST_SE_SF_SG_EUlST_E0_NS1_11comp_targetILNS1_3genE8ELNS1_11target_archE1030ELNS1_3gpuE2ELNS1_3repE0EEENS1_38merge_mergepath_config_static_selectorELNS0_4arch9wavefront6targetE1EEEvSF_ ; -- Begin function _ZN7rocprim17ROCPRIM_400000_NS6detail17trampoline_kernelINS0_14default_configENS1_38merge_sort_block_merge_config_selectorIaNS0_10empty_typeEEEZZNS1_27merge_sort_block_merge_implIS3_PaPS5_jNS1_19radix_merge_compareILb0ELb0EaNS0_19identity_decomposerEEEEE10hipError_tT0_T1_T2_jT3_P12ihipStream_tbPNSt15iterator_traitsISE_E10value_typeEPNSK_ISF_E10value_typeEPSG_NS1_7vsmem_tEENKUlT_SE_SF_SG_E_clIS8_S8_S9_S9_EESD_ST_SE_SF_SG_EUlST_E0_NS1_11comp_targetILNS1_3genE8ELNS1_11target_archE1030ELNS1_3gpuE2ELNS1_3repE0EEENS1_38merge_mergepath_config_static_selectorELNS0_4arch9wavefront6targetE1EEEvSF_
	.globl	_ZN7rocprim17ROCPRIM_400000_NS6detail17trampoline_kernelINS0_14default_configENS1_38merge_sort_block_merge_config_selectorIaNS0_10empty_typeEEEZZNS1_27merge_sort_block_merge_implIS3_PaPS5_jNS1_19radix_merge_compareILb0ELb0EaNS0_19identity_decomposerEEEEE10hipError_tT0_T1_T2_jT3_P12ihipStream_tbPNSt15iterator_traitsISE_E10value_typeEPNSK_ISF_E10value_typeEPSG_NS1_7vsmem_tEENKUlT_SE_SF_SG_E_clIS8_S8_S9_S9_EESD_ST_SE_SF_SG_EUlST_E0_NS1_11comp_targetILNS1_3genE8ELNS1_11target_archE1030ELNS1_3gpuE2ELNS1_3repE0EEENS1_38merge_mergepath_config_static_selectorELNS0_4arch9wavefront6targetE1EEEvSF_
	.p2align	8
	.type	_ZN7rocprim17ROCPRIM_400000_NS6detail17trampoline_kernelINS0_14default_configENS1_38merge_sort_block_merge_config_selectorIaNS0_10empty_typeEEEZZNS1_27merge_sort_block_merge_implIS3_PaPS5_jNS1_19radix_merge_compareILb0ELb0EaNS0_19identity_decomposerEEEEE10hipError_tT0_T1_T2_jT3_P12ihipStream_tbPNSt15iterator_traitsISE_E10value_typeEPNSK_ISF_E10value_typeEPSG_NS1_7vsmem_tEENKUlT_SE_SF_SG_E_clIS8_S8_S9_S9_EESD_ST_SE_SF_SG_EUlST_E0_NS1_11comp_targetILNS1_3genE8ELNS1_11target_archE1030ELNS1_3gpuE2ELNS1_3repE0EEENS1_38merge_mergepath_config_static_selectorELNS0_4arch9wavefront6targetE1EEEvSF_,@function
_ZN7rocprim17ROCPRIM_400000_NS6detail17trampoline_kernelINS0_14default_configENS1_38merge_sort_block_merge_config_selectorIaNS0_10empty_typeEEEZZNS1_27merge_sort_block_merge_implIS3_PaPS5_jNS1_19radix_merge_compareILb0ELb0EaNS0_19identity_decomposerEEEEE10hipError_tT0_T1_T2_jT3_P12ihipStream_tbPNSt15iterator_traitsISE_E10value_typeEPNSK_ISF_E10value_typeEPSG_NS1_7vsmem_tEENKUlT_SE_SF_SG_E_clIS8_S8_S9_S9_EESD_ST_SE_SF_SG_EUlST_E0_NS1_11comp_targetILNS1_3genE8ELNS1_11target_archE1030ELNS1_3gpuE2ELNS1_3repE0EEENS1_38merge_mergepath_config_static_selectorELNS0_4arch9wavefront6targetE1EEEvSF_: ; @_ZN7rocprim17ROCPRIM_400000_NS6detail17trampoline_kernelINS0_14default_configENS1_38merge_sort_block_merge_config_selectorIaNS0_10empty_typeEEEZZNS1_27merge_sort_block_merge_implIS3_PaPS5_jNS1_19radix_merge_compareILb0ELb0EaNS0_19identity_decomposerEEEEE10hipError_tT0_T1_T2_jT3_P12ihipStream_tbPNSt15iterator_traitsISE_E10value_typeEPNSK_ISF_E10value_typeEPSG_NS1_7vsmem_tEENKUlT_SE_SF_SG_E_clIS8_S8_S9_S9_EESD_ST_SE_SF_SG_EUlST_E0_NS1_11comp_targetILNS1_3genE8ELNS1_11target_archE1030ELNS1_3gpuE2ELNS1_3repE0EEENS1_38merge_mergepath_config_static_selectorELNS0_4arch9wavefront6targetE1EEEvSF_
; %bb.0:
	.section	.rodata,"a",@progbits
	.p2align	6, 0x0
	.amdhsa_kernel _ZN7rocprim17ROCPRIM_400000_NS6detail17trampoline_kernelINS0_14default_configENS1_38merge_sort_block_merge_config_selectorIaNS0_10empty_typeEEEZZNS1_27merge_sort_block_merge_implIS3_PaPS5_jNS1_19radix_merge_compareILb0ELb0EaNS0_19identity_decomposerEEEEE10hipError_tT0_T1_T2_jT3_P12ihipStream_tbPNSt15iterator_traitsISE_E10value_typeEPNSK_ISF_E10value_typeEPSG_NS1_7vsmem_tEENKUlT_SE_SF_SG_E_clIS8_S8_S9_S9_EESD_ST_SE_SF_SG_EUlST_E0_NS1_11comp_targetILNS1_3genE8ELNS1_11target_archE1030ELNS1_3gpuE2ELNS1_3repE0EEENS1_38merge_mergepath_config_static_selectorELNS0_4arch9wavefront6targetE1EEEvSF_
		.amdhsa_group_segment_fixed_size 0
		.amdhsa_private_segment_fixed_size 0
		.amdhsa_kernarg_size 64
		.amdhsa_user_sgpr_count 6
		.amdhsa_user_sgpr_private_segment_buffer 1
		.amdhsa_user_sgpr_dispatch_ptr 0
		.amdhsa_user_sgpr_queue_ptr 0
		.amdhsa_user_sgpr_kernarg_segment_ptr 1
		.amdhsa_user_sgpr_dispatch_id 0
		.amdhsa_user_sgpr_flat_scratch_init 0
		.amdhsa_user_sgpr_kernarg_preload_length 0
		.amdhsa_user_sgpr_kernarg_preload_offset 0
		.amdhsa_user_sgpr_private_segment_size 0
		.amdhsa_uses_dynamic_stack 0
		.amdhsa_system_sgpr_private_segment_wavefront_offset 0
		.amdhsa_system_sgpr_workgroup_id_x 1
		.amdhsa_system_sgpr_workgroup_id_y 0
		.amdhsa_system_sgpr_workgroup_id_z 0
		.amdhsa_system_sgpr_workgroup_info 0
		.amdhsa_system_vgpr_workitem_id 0
		.amdhsa_next_free_vgpr 1
		.amdhsa_next_free_sgpr 0
		.amdhsa_accum_offset 4
		.amdhsa_reserve_vcc 0
		.amdhsa_reserve_flat_scratch 0
		.amdhsa_float_round_mode_32 0
		.amdhsa_float_round_mode_16_64 0
		.amdhsa_float_denorm_mode_32 3
		.amdhsa_float_denorm_mode_16_64 3
		.amdhsa_dx10_clamp 1
		.amdhsa_ieee_mode 1
		.amdhsa_fp16_overflow 0
		.amdhsa_tg_split 0
		.amdhsa_exception_fp_ieee_invalid_op 0
		.amdhsa_exception_fp_denorm_src 0
		.amdhsa_exception_fp_ieee_div_zero 0
		.amdhsa_exception_fp_ieee_overflow 0
		.amdhsa_exception_fp_ieee_underflow 0
		.amdhsa_exception_fp_ieee_inexact 0
		.amdhsa_exception_int_div_zero 0
	.end_amdhsa_kernel
	.section	.text._ZN7rocprim17ROCPRIM_400000_NS6detail17trampoline_kernelINS0_14default_configENS1_38merge_sort_block_merge_config_selectorIaNS0_10empty_typeEEEZZNS1_27merge_sort_block_merge_implIS3_PaPS5_jNS1_19radix_merge_compareILb0ELb0EaNS0_19identity_decomposerEEEEE10hipError_tT0_T1_T2_jT3_P12ihipStream_tbPNSt15iterator_traitsISE_E10value_typeEPNSK_ISF_E10value_typeEPSG_NS1_7vsmem_tEENKUlT_SE_SF_SG_E_clIS8_S8_S9_S9_EESD_ST_SE_SF_SG_EUlST_E0_NS1_11comp_targetILNS1_3genE8ELNS1_11target_archE1030ELNS1_3gpuE2ELNS1_3repE0EEENS1_38merge_mergepath_config_static_selectorELNS0_4arch9wavefront6targetE1EEEvSF_,"axG",@progbits,_ZN7rocprim17ROCPRIM_400000_NS6detail17trampoline_kernelINS0_14default_configENS1_38merge_sort_block_merge_config_selectorIaNS0_10empty_typeEEEZZNS1_27merge_sort_block_merge_implIS3_PaPS5_jNS1_19radix_merge_compareILb0ELb0EaNS0_19identity_decomposerEEEEE10hipError_tT0_T1_T2_jT3_P12ihipStream_tbPNSt15iterator_traitsISE_E10value_typeEPNSK_ISF_E10value_typeEPSG_NS1_7vsmem_tEENKUlT_SE_SF_SG_E_clIS8_S8_S9_S9_EESD_ST_SE_SF_SG_EUlST_E0_NS1_11comp_targetILNS1_3genE8ELNS1_11target_archE1030ELNS1_3gpuE2ELNS1_3repE0EEENS1_38merge_mergepath_config_static_selectorELNS0_4arch9wavefront6targetE1EEEvSF_,comdat
.Lfunc_end151:
	.size	_ZN7rocprim17ROCPRIM_400000_NS6detail17trampoline_kernelINS0_14default_configENS1_38merge_sort_block_merge_config_selectorIaNS0_10empty_typeEEEZZNS1_27merge_sort_block_merge_implIS3_PaPS5_jNS1_19radix_merge_compareILb0ELb0EaNS0_19identity_decomposerEEEEE10hipError_tT0_T1_T2_jT3_P12ihipStream_tbPNSt15iterator_traitsISE_E10value_typeEPNSK_ISF_E10value_typeEPSG_NS1_7vsmem_tEENKUlT_SE_SF_SG_E_clIS8_S8_S9_S9_EESD_ST_SE_SF_SG_EUlST_E0_NS1_11comp_targetILNS1_3genE8ELNS1_11target_archE1030ELNS1_3gpuE2ELNS1_3repE0EEENS1_38merge_mergepath_config_static_selectorELNS0_4arch9wavefront6targetE1EEEvSF_, .Lfunc_end151-_ZN7rocprim17ROCPRIM_400000_NS6detail17trampoline_kernelINS0_14default_configENS1_38merge_sort_block_merge_config_selectorIaNS0_10empty_typeEEEZZNS1_27merge_sort_block_merge_implIS3_PaPS5_jNS1_19radix_merge_compareILb0ELb0EaNS0_19identity_decomposerEEEEE10hipError_tT0_T1_T2_jT3_P12ihipStream_tbPNSt15iterator_traitsISE_E10value_typeEPNSK_ISF_E10value_typeEPSG_NS1_7vsmem_tEENKUlT_SE_SF_SG_E_clIS8_S8_S9_S9_EESD_ST_SE_SF_SG_EUlST_E0_NS1_11comp_targetILNS1_3genE8ELNS1_11target_archE1030ELNS1_3gpuE2ELNS1_3repE0EEENS1_38merge_mergepath_config_static_selectorELNS0_4arch9wavefront6targetE1EEEvSF_
                                        ; -- End function
	.section	.AMDGPU.csdata,"",@progbits
; Kernel info:
; codeLenInByte = 0
; NumSgprs: 4
; NumVgprs: 0
; NumAgprs: 0
; TotalNumVgprs: 0
; ScratchSize: 0
; MemoryBound: 0
; FloatMode: 240
; IeeeMode: 1
; LDSByteSize: 0 bytes/workgroup (compile time only)
; SGPRBlocks: 0
; VGPRBlocks: 0
; NumSGPRsForWavesPerEU: 4
; NumVGPRsForWavesPerEU: 1
; AccumOffset: 4
; Occupancy: 8
; WaveLimiterHint : 0
; COMPUTE_PGM_RSRC2:SCRATCH_EN: 0
; COMPUTE_PGM_RSRC2:USER_SGPR: 6
; COMPUTE_PGM_RSRC2:TRAP_HANDLER: 0
; COMPUTE_PGM_RSRC2:TGID_X_EN: 1
; COMPUTE_PGM_RSRC2:TGID_Y_EN: 0
; COMPUTE_PGM_RSRC2:TGID_Z_EN: 0
; COMPUTE_PGM_RSRC2:TIDIG_COMP_CNT: 0
; COMPUTE_PGM_RSRC3_GFX90A:ACCUM_OFFSET: 0
; COMPUTE_PGM_RSRC3_GFX90A:TG_SPLIT: 0
	.section	.text._ZN7rocprim17ROCPRIM_400000_NS6detail17trampoline_kernelINS0_14default_configENS1_38merge_sort_block_merge_config_selectorIaNS0_10empty_typeEEEZZNS1_27merge_sort_block_merge_implIS3_PaPS5_jNS1_19radix_merge_compareILb0ELb0EaNS0_19identity_decomposerEEEEE10hipError_tT0_T1_T2_jT3_P12ihipStream_tbPNSt15iterator_traitsISE_E10value_typeEPNSK_ISF_E10value_typeEPSG_NS1_7vsmem_tEENKUlT_SE_SF_SG_E_clIS8_S8_S9_S9_EESD_ST_SE_SF_SG_EUlST_E1_NS1_11comp_targetILNS1_3genE0ELNS1_11target_archE4294967295ELNS1_3gpuE0ELNS1_3repE0EEENS1_36merge_oddeven_config_static_selectorELNS0_4arch9wavefront6targetE1EEEvSF_,"axG",@progbits,_ZN7rocprim17ROCPRIM_400000_NS6detail17trampoline_kernelINS0_14default_configENS1_38merge_sort_block_merge_config_selectorIaNS0_10empty_typeEEEZZNS1_27merge_sort_block_merge_implIS3_PaPS5_jNS1_19radix_merge_compareILb0ELb0EaNS0_19identity_decomposerEEEEE10hipError_tT0_T1_T2_jT3_P12ihipStream_tbPNSt15iterator_traitsISE_E10value_typeEPNSK_ISF_E10value_typeEPSG_NS1_7vsmem_tEENKUlT_SE_SF_SG_E_clIS8_S8_S9_S9_EESD_ST_SE_SF_SG_EUlST_E1_NS1_11comp_targetILNS1_3genE0ELNS1_11target_archE4294967295ELNS1_3gpuE0ELNS1_3repE0EEENS1_36merge_oddeven_config_static_selectorELNS0_4arch9wavefront6targetE1EEEvSF_,comdat
	.protected	_ZN7rocprim17ROCPRIM_400000_NS6detail17trampoline_kernelINS0_14default_configENS1_38merge_sort_block_merge_config_selectorIaNS0_10empty_typeEEEZZNS1_27merge_sort_block_merge_implIS3_PaPS5_jNS1_19radix_merge_compareILb0ELb0EaNS0_19identity_decomposerEEEEE10hipError_tT0_T1_T2_jT3_P12ihipStream_tbPNSt15iterator_traitsISE_E10value_typeEPNSK_ISF_E10value_typeEPSG_NS1_7vsmem_tEENKUlT_SE_SF_SG_E_clIS8_S8_S9_S9_EESD_ST_SE_SF_SG_EUlST_E1_NS1_11comp_targetILNS1_3genE0ELNS1_11target_archE4294967295ELNS1_3gpuE0ELNS1_3repE0EEENS1_36merge_oddeven_config_static_selectorELNS0_4arch9wavefront6targetE1EEEvSF_ ; -- Begin function _ZN7rocprim17ROCPRIM_400000_NS6detail17trampoline_kernelINS0_14default_configENS1_38merge_sort_block_merge_config_selectorIaNS0_10empty_typeEEEZZNS1_27merge_sort_block_merge_implIS3_PaPS5_jNS1_19radix_merge_compareILb0ELb0EaNS0_19identity_decomposerEEEEE10hipError_tT0_T1_T2_jT3_P12ihipStream_tbPNSt15iterator_traitsISE_E10value_typeEPNSK_ISF_E10value_typeEPSG_NS1_7vsmem_tEENKUlT_SE_SF_SG_E_clIS8_S8_S9_S9_EESD_ST_SE_SF_SG_EUlST_E1_NS1_11comp_targetILNS1_3genE0ELNS1_11target_archE4294967295ELNS1_3gpuE0ELNS1_3repE0EEENS1_36merge_oddeven_config_static_selectorELNS0_4arch9wavefront6targetE1EEEvSF_
	.globl	_ZN7rocprim17ROCPRIM_400000_NS6detail17trampoline_kernelINS0_14default_configENS1_38merge_sort_block_merge_config_selectorIaNS0_10empty_typeEEEZZNS1_27merge_sort_block_merge_implIS3_PaPS5_jNS1_19radix_merge_compareILb0ELb0EaNS0_19identity_decomposerEEEEE10hipError_tT0_T1_T2_jT3_P12ihipStream_tbPNSt15iterator_traitsISE_E10value_typeEPNSK_ISF_E10value_typeEPSG_NS1_7vsmem_tEENKUlT_SE_SF_SG_E_clIS8_S8_S9_S9_EESD_ST_SE_SF_SG_EUlST_E1_NS1_11comp_targetILNS1_3genE0ELNS1_11target_archE4294967295ELNS1_3gpuE0ELNS1_3repE0EEENS1_36merge_oddeven_config_static_selectorELNS0_4arch9wavefront6targetE1EEEvSF_
	.p2align	8
	.type	_ZN7rocprim17ROCPRIM_400000_NS6detail17trampoline_kernelINS0_14default_configENS1_38merge_sort_block_merge_config_selectorIaNS0_10empty_typeEEEZZNS1_27merge_sort_block_merge_implIS3_PaPS5_jNS1_19radix_merge_compareILb0ELb0EaNS0_19identity_decomposerEEEEE10hipError_tT0_T1_T2_jT3_P12ihipStream_tbPNSt15iterator_traitsISE_E10value_typeEPNSK_ISF_E10value_typeEPSG_NS1_7vsmem_tEENKUlT_SE_SF_SG_E_clIS8_S8_S9_S9_EESD_ST_SE_SF_SG_EUlST_E1_NS1_11comp_targetILNS1_3genE0ELNS1_11target_archE4294967295ELNS1_3gpuE0ELNS1_3repE0EEENS1_36merge_oddeven_config_static_selectorELNS0_4arch9wavefront6targetE1EEEvSF_,@function
_ZN7rocprim17ROCPRIM_400000_NS6detail17trampoline_kernelINS0_14default_configENS1_38merge_sort_block_merge_config_selectorIaNS0_10empty_typeEEEZZNS1_27merge_sort_block_merge_implIS3_PaPS5_jNS1_19radix_merge_compareILb0ELb0EaNS0_19identity_decomposerEEEEE10hipError_tT0_T1_T2_jT3_P12ihipStream_tbPNSt15iterator_traitsISE_E10value_typeEPNSK_ISF_E10value_typeEPSG_NS1_7vsmem_tEENKUlT_SE_SF_SG_E_clIS8_S8_S9_S9_EESD_ST_SE_SF_SG_EUlST_E1_NS1_11comp_targetILNS1_3genE0ELNS1_11target_archE4294967295ELNS1_3gpuE0ELNS1_3repE0EEENS1_36merge_oddeven_config_static_selectorELNS0_4arch9wavefront6targetE1EEEvSF_: ; @_ZN7rocprim17ROCPRIM_400000_NS6detail17trampoline_kernelINS0_14default_configENS1_38merge_sort_block_merge_config_selectorIaNS0_10empty_typeEEEZZNS1_27merge_sort_block_merge_implIS3_PaPS5_jNS1_19radix_merge_compareILb0ELb0EaNS0_19identity_decomposerEEEEE10hipError_tT0_T1_T2_jT3_P12ihipStream_tbPNSt15iterator_traitsISE_E10value_typeEPNSK_ISF_E10value_typeEPSG_NS1_7vsmem_tEENKUlT_SE_SF_SG_E_clIS8_S8_S9_S9_EESD_ST_SE_SF_SG_EUlST_E1_NS1_11comp_targetILNS1_3genE0ELNS1_11target_archE4294967295ELNS1_3gpuE0ELNS1_3repE0EEENS1_36merge_oddeven_config_static_selectorELNS0_4arch9wavefront6targetE1EEEvSF_
; %bb.0:
	.section	.rodata,"a",@progbits
	.p2align	6, 0x0
	.amdhsa_kernel _ZN7rocprim17ROCPRIM_400000_NS6detail17trampoline_kernelINS0_14default_configENS1_38merge_sort_block_merge_config_selectorIaNS0_10empty_typeEEEZZNS1_27merge_sort_block_merge_implIS3_PaPS5_jNS1_19radix_merge_compareILb0ELb0EaNS0_19identity_decomposerEEEEE10hipError_tT0_T1_T2_jT3_P12ihipStream_tbPNSt15iterator_traitsISE_E10value_typeEPNSK_ISF_E10value_typeEPSG_NS1_7vsmem_tEENKUlT_SE_SF_SG_E_clIS8_S8_S9_S9_EESD_ST_SE_SF_SG_EUlST_E1_NS1_11comp_targetILNS1_3genE0ELNS1_11target_archE4294967295ELNS1_3gpuE0ELNS1_3repE0EEENS1_36merge_oddeven_config_static_selectorELNS0_4arch9wavefront6targetE1EEEvSF_
		.amdhsa_group_segment_fixed_size 0
		.amdhsa_private_segment_fixed_size 0
		.amdhsa_kernarg_size 48
		.amdhsa_user_sgpr_count 6
		.amdhsa_user_sgpr_private_segment_buffer 1
		.amdhsa_user_sgpr_dispatch_ptr 0
		.amdhsa_user_sgpr_queue_ptr 0
		.amdhsa_user_sgpr_kernarg_segment_ptr 1
		.amdhsa_user_sgpr_dispatch_id 0
		.amdhsa_user_sgpr_flat_scratch_init 0
		.amdhsa_user_sgpr_kernarg_preload_length 0
		.amdhsa_user_sgpr_kernarg_preload_offset 0
		.amdhsa_user_sgpr_private_segment_size 0
		.amdhsa_uses_dynamic_stack 0
		.amdhsa_system_sgpr_private_segment_wavefront_offset 0
		.amdhsa_system_sgpr_workgroup_id_x 1
		.amdhsa_system_sgpr_workgroup_id_y 0
		.amdhsa_system_sgpr_workgroup_id_z 0
		.amdhsa_system_sgpr_workgroup_info 0
		.amdhsa_system_vgpr_workitem_id 0
		.amdhsa_next_free_vgpr 1
		.amdhsa_next_free_sgpr 0
		.amdhsa_accum_offset 4
		.amdhsa_reserve_vcc 0
		.amdhsa_reserve_flat_scratch 0
		.amdhsa_float_round_mode_32 0
		.amdhsa_float_round_mode_16_64 0
		.amdhsa_float_denorm_mode_32 3
		.amdhsa_float_denorm_mode_16_64 3
		.amdhsa_dx10_clamp 1
		.amdhsa_ieee_mode 1
		.amdhsa_fp16_overflow 0
		.amdhsa_tg_split 0
		.amdhsa_exception_fp_ieee_invalid_op 0
		.amdhsa_exception_fp_denorm_src 0
		.amdhsa_exception_fp_ieee_div_zero 0
		.amdhsa_exception_fp_ieee_overflow 0
		.amdhsa_exception_fp_ieee_underflow 0
		.amdhsa_exception_fp_ieee_inexact 0
		.amdhsa_exception_int_div_zero 0
	.end_amdhsa_kernel
	.section	.text._ZN7rocprim17ROCPRIM_400000_NS6detail17trampoline_kernelINS0_14default_configENS1_38merge_sort_block_merge_config_selectorIaNS0_10empty_typeEEEZZNS1_27merge_sort_block_merge_implIS3_PaPS5_jNS1_19radix_merge_compareILb0ELb0EaNS0_19identity_decomposerEEEEE10hipError_tT0_T1_T2_jT3_P12ihipStream_tbPNSt15iterator_traitsISE_E10value_typeEPNSK_ISF_E10value_typeEPSG_NS1_7vsmem_tEENKUlT_SE_SF_SG_E_clIS8_S8_S9_S9_EESD_ST_SE_SF_SG_EUlST_E1_NS1_11comp_targetILNS1_3genE0ELNS1_11target_archE4294967295ELNS1_3gpuE0ELNS1_3repE0EEENS1_36merge_oddeven_config_static_selectorELNS0_4arch9wavefront6targetE1EEEvSF_,"axG",@progbits,_ZN7rocprim17ROCPRIM_400000_NS6detail17trampoline_kernelINS0_14default_configENS1_38merge_sort_block_merge_config_selectorIaNS0_10empty_typeEEEZZNS1_27merge_sort_block_merge_implIS3_PaPS5_jNS1_19radix_merge_compareILb0ELb0EaNS0_19identity_decomposerEEEEE10hipError_tT0_T1_T2_jT3_P12ihipStream_tbPNSt15iterator_traitsISE_E10value_typeEPNSK_ISF_E10value_typeEPSG_NS1_7vsmem_tEENKUlT_SE_SF_SG_E_clIS8_S8_S9_S9_EESD_ST_SE_SF_SG_EUlST_E1_NS1_11comp_targetILNS1_3genE0ELNS1_11target_archE4294967295ELNS1_3gpuE0ELNS1_3repE0EEENS1_36merge_oddeven_config_static_selectorELNS0_4arch9wavefront6targetE1EEEvSF_,comdat
.Lfunc_end152:
	.size	_ZN7rocprim17ROCPRIM_400000_NS6detail17trampoline_kernelINS0_14default_configENS1_38merge_sort_block_merge_config_selectorIaNS0_10empty_typeEEEZZNS1_27merge_sort_block_merge_implIS3_PaPS5_jNS1_19radix_merge_compareILb0ELb0EaNS0_19identity_decomposerEEEEE10hipError_tT0_T1_T2_jT3_P12ihipStream_tbPNSt15iterator_traitsISE_E10value_typeEPNSK_ISF_E10value_typeEPSG_NS1_7vsmem_tEENKUlT_SE_SF_SG_E_clIS8_S8_S9_S9_EESD_ST_SE_SF_SG_EUlST_E1_NS1_11comp_targetILNS1_3genE0ELNS1_11target_archE4294967295ELNS1_3gpuE0ELNS1_3repE0EEENS1_36merge_oddeven_config_static_selectorELNS0_4arch9wavefront6targetE1EEEvSF_, .Lfunc_end152-_ZN7rocprim17ROCPRIM_400000_NS6detail17trampoline_kernelINS0_14default_configENS1_38merge_sort_block_merge_config_selectorIaNS0_10empty_typeEEEZZNS1_27merge_sort_block_merge_implIS3_PaPS5_jNS1_19radix_merge_compareILb0ELb0EaNS0_19identity_decomposerEEEEE10hipError_tT0_T1_T2_jT3_P12ihipStream_tbPNSt15iterator_traitsISE_E10value_typeEPNSK_ISF_E10value_typeEPSG_NS1_7vsmem_tEENKUlT_SE_SF_SG_E_clIS8_S8_S9_S9_EESD_ST_SE_SF_SG_EUlST_E1_NS1_11comp_targetILNS1_3genE0ELNS1_11target_archE4294967295ELNS1_3gpuE0ELNS1_3repE0EEENS1_36merge_oddeven_config_static_selectorELNS0_4arch9wavefront6targetE1EEEvSF_
                                        ; -- End function
	.section	.AMDGPU.csdata,"",@progbits
; Kernel info:
; codeLenInByte = 0
; NumSgprs: 4
; NumVgprs: 0
; NumAgprs: 0
; TotalNumVgprs: 0
; ScratchSize: 0
; MemoryBound: 0
; FloatMode: 240
; IeeeMode: 1
; LDSByteSize: 0 bytes/workgroup (compile time only)
; SGPRBlocks: 0
; VGPRBlocks: 0
; NumSGPRsForWavesPerEU: 4
; NumVGPRsForWavesPerEU: 1
; AccumOffset: 4
; Occupancy: 8
; WaveLimiterHint : 0
; COMPUTE_PGM_RSRC2:SCRATCH_EN: 0
; COMPUTE_PGM_RSRC2:USER_SGPR: 6
; COMPUTE_PGM_RSRC2:TRAP_HANDLER: 0
; COMPUTE_PGM_RSRC2:TGID_X_EN: 1
; COMPUTE_PGM_RSRC2:TGID_Y_EN: 0
; COMPUTE_PGM_RSRC2:TGID_Z_EN: 0
; COMPUTE_PGM_RSRC2:TIDIG_COMP_CNT: 0
; COMPUTE_PGM_RSRC3_GFX90A:ACCUM_OFFSET: 0
; COMPUTE_PGM_RSRC3_GFX90A:TG_SPLIT: 0
	.section	.text._ZN7rocprim17ROCPRIM_400000_NS6detail17trampoline_kernelINS0_14default_configENS1_38merge_sort_block_merge_config_selectorIaNS0_10empty_typeEEEZZNS1_27merge_sort_block_merge_implIS3_PaPS5_jNS1_19radix_merge_compareILb0ELb0EaNS0_19identity_decomposerEEEEE10hipError_tT0_T1_T2_jT3_P12ihipStream_tbPNSt15iterator_traitsISE_E10value_typeEPNSK_ISF_E10value_typeEPSG_NS1_7vsmem_tEENKUlT_SE_SF_SG_E_clIS8_S8_S9_S9_EESD_ST_SE_SF_SG_EUlST_E1_NS1_11comp_targetILNS1_3genE10ELNS1_11target_archE1201ELNS1_3gpuE5ELNS1_3repE0EEENS1_36merge_oddeven_config_static_selectorELNS0_4arch9wavefront6targetE1EEEvSF_,"axG",@progbits,_ZN7rocprim17ROCPRIM_400000_NS6detail17trampoline_kernelINS0_14default_configENS1_38merge_sort_block_merge_config_selectorIaNS0_10empty_typeEEEZZNS1_27merge_sort_block_merge_implIS3_PaPS5_jNS1_19radix_merge_compareILb0ELb0EaNS0_19identity_decomposerEEEEE10hipError_tT0_T1_T2_jT3_P12ihipStream_tbPNSt15iterator_traitsISE_E10value_typeEPNSK_ISF_E10value_typeEPSG_NS1_7vsmem_tEENKUlT_SE_SF_SG_E_clIS8_S8_S9_S9_EESD_ST_SE_SF_SG_EUlST_E1_NS1_11comp_targetILNS1_3genE10ELNS1_11target_archE1201ELNS1_3gpuE5ELNS1_3repE0EEENS1_36merge_oddeven_config_static_selectorELNS0_4arch9wavefront6targetE1EEEvSF_,comdat
	.protected	_ZN7rocprim17ROCPRIM_400000_NS6detail17trampoline_kernelINS0_14default_configENS1_38merge_sort_block_merge_config_selectorIaNS0_10empty_typeEEEZZNS1_27merge_sort_block_merge_implIS3_PaPS5_jNS1_19radix_merge_compareILb0ELb0EaNS0_19identity_decomposerEEEEE10hipError_tT0_T1_T2_jT3_P12ihipStream_tbPNSt15iterator_traitsISE_E10value_typeEPNSK_ISF_E10value_typeEPSG_NS1_7vsmem_tEENKUlT_SE_SF_SG_E_clIS8_S8_S9_S9_EESD_ST_SE_SF_SG_EUlST_E1_NS1_11comp_targetILNS1_3genE10ELNS1_11target_archE1201ELNS1_3gpuE5ELNS1_3repE0EEENS1_36merge_oddeven_config_static_selectorELNS0_4arch9wavefront6targetE1EEEvSF_ ; -- Begin function _ZN7rocprim17ROCPRIM_400000_NS6detail17trampoline_kernelINS0_14default_configENS1_38merge_sort_block_merge_config_selectorIaNS0_10empty_typeEEEZZNS1_27merge_sort_block_merge_implIS3_PaPS5_jNS1_19radix_merge_compareILb0ELb0EaNS0_19identity_decomposerEEEEE10hipError_tT0_T1_T2_jT3_P12ihipStream_tbPNSt15iterator_traitsISE_E10value_typeEPNSK_ISF_E10value_typeEPSG_NS1_7vsmem_tEENKUlT_SE_SF_SG_E_clIS8_S8_S9_S9_EESD_ST_SE_SF_SG_EUlST_E1_NS1_11comp_targetILNS1_3genE10ELNS1_11target_archE1201ELNS1_3gpuE5ELNS1_3repE0EEENS1_36merge_oddeven_config_static_selectorELNS0_4arch9wavefront6targetE1EEEvSF_
	.globl	_ZN7rocprim17ROCPRIM_400000_NS6detail17trampoline_kernelINS0_14default_configENS1_38merge_sort_block_merge_config_selectorIaNS0_10empty_typeEEEZZNS1_27merge_sort_block_merge_implIS3_PaPS5_jNS1_19radix_merge_compareILb0ELb0EaNS0_19identity_decomposerEEEEE10hipError_tT0_T1_T2_jT3_P12ihipStream_tbPNSt15iterator_traitsISE_E10value_typeEPNSK_ISF_E10value_typeEPSG_NS1_7vsmem_tEENKUlT_SE_SF_SG_E_clIS8_S8_S9_S9_EESD_ST_SE_SF_SG_EUlST_E1_NS1_11comp_targetILNS1_3genE10ELNS1_11target_archE1201ELNS1_3gpuE5ELNS1_3repE0EEENS1_36merge_oddeven_config_static_selectorELNS0_4arch9wavefront6targetE1EEEvSF_
	.p2align	8
	.type	_ZN7rocprim17ROCPRIM_400000_NS6detail17trampoline_kernelINS0_14default_configENS1_38merge_sort_block_merge_config_selectorIaNS0_10empty_typeEEEZZNS1_27merge_sort_block_merge_implIS3_PaPS5_jNS1_19radix_merge_compareILb0ELb0EaNS0_19identity_decomposerEEEEE10hipError_tT0_T1_T2_jT3_P12ihipStream_tbPNSt15iterator_traitsISE_E10value_typeEPNSK_ISF_E10value_typeEPSG_NS1_7vsmem_tEENKUlT_SE_SF_SG_E_clIS8_S8_S9_S9_EESD_ST_SE_SF_SG_EUlST_E1_NS1_11comp_targetILNS1_3genE10ELNS1_11target_archE1201ELNS1_3gpuE5ELNS1_3repE0EEENS1_36merge_oddeven_config_static_selectorELNS0_4arch9wavefront6targetE1EEEvSF_,@function
_ZN7rocprim17ROCPRIM_400000_NS6detail17trampoline_kernelINS0_14default_configENS1_38merge_sort_block_merge_config_selectorIaNS0_10empty_typeEEEZZNS1_27merge_sort_block_merge_implIS3_PaPS5_jNS1_19radix_merge_compareILb0ELb0EaNS0_19identity_decomposerEEEEE10hipError_tT0_T1_T2_jT3_P12ihipStream_tbPNSt15iterator_traitsISE_E10value_typeEPNSK_ISF_E10value_typeEPSG_NS1_7vsmem_tEENKUlT_SE_SF_SG_E_clIS8_S8_S9_S9_EESD_ST_SE_SF_SG_EUlST_E1_NS1_11comp_targetILNS1_3genE10ELNS1_11target_archE1201ELNS1_3gpuE5ELNS1_3repE0EEENS1_36merge_oddeven_config_static_selectorELNS0_4arch9wavefront6targetE1EEEvSF_: ; @_ZN7rocprim17ROCPRIM_400000_NS6detail17trampoline_kernelINS0_14default_configENS1_38merge_sort_block_merge_config_selectorIaNS0_10empty_typeEEEZZNS1_27merge_sort_block_merge_implIS3_PaPS5_jNS1_19radix_merge_compareILb0ELb0EaNS0_19identity_decomposerEEEEE10hipError_tT0_T1_T2_jT3_P12ihipStream_tbPNSt15iterator_traitsISE_E10value_typeEPNSK_ISF_E10value_typeEPSG_NS1_7vsmem_tEENKUlT_SE_SF_SG_E_clIS8_S8_S9_S9_EESD_ST_SE_SF_SG_EUlST_E1_NS1_11comp_targetILNS1_3genE10ELNS1_11target_archE1201ELNS1_3gpuE5ELNS1_3repE0EEENS1_36merge_oddeven_config_static_selectorELNS0_4arch9wavefront6targetE1EEEvSF_
; %bb.0:
	.section	.rodata,"a",@progbits
	.p2align	6, 0x0
	.amdhsa_kernel _ZN7rocprim17ROCPRIM_400000_NS6detail17trampoline_kernelINS0_14default_configENS1_38merge_sort_block_merge_config_selectorIaNS0_10empty_typeEEEZZNS1_27merge_sort_block_merge_implIS3_PaPS5_jNS1_19radix_merge_compareILb0ELb0EaNS0_19identity_decomposerEEEEE10hipError_tT0_T1_T2_jT3_P12ihipStream_tbPNSt15iterator_traitsISE_E10value_typeEPNSK_ISF_E10value_typeEPSG_NS1_7vsmem_tEENKUlT_SE_SF_SG_E_clIS8_S8_S9_S9_EESD_ST_SE_SF_SG_EUlST_E1_NS1_11comp_targetILNS1_3genE10ELNS1_11target_archE1201ELNS1_3gpuE5ELNS1_3repE0EEENS1_36merge_oddeven_config_static_selectorELNS0_4arch9wavefront6targetE1EEEvSF_
		.amdhsa_group_segment_fixed_size 0
		.amdhsa_private_segment_fixed_size 0
		.amdhsa_kernarg_size 48
		.amdhsa_user_sgpr_count 6
		.amdhsa_user_sgpr_private_segment_buffer 1
		.amdhsa_user_sgpr_dispatch_ptr 0
		.amdhsa_user_sgpr_queue_ptr 0
		.amdhsa_user_sgpr_kernarg_segment_ptr 1
		.amdhsa_user_sgpr_dispatch_id 0
		.amdhsa_user_sgpr_flat_scratch_init 0
		.amdhsa_user_sgpr_kernarg_preload_length 0
		.amdhsa_user_sgpr_kernarg_preload_offset 0
		.amdhsa_user_sgpr_private_segment_size 0
		.amdhsa_uses_dynamic_stack 0
		.amdhsa_system_sgpr_private_segment_wavefront_offset 0
		.amdhsa_system_sgpr_workgroup_id_x 1
		.amdhsa_system_sgpr_workgroup_id_y 0
		.amdhsa_system_sgpr_workgroup_id_z 0
		.amdhsa_system_sgpr_workgroup_info 0
		.amdhsa_system_vgpr_workitem_id 0
		.amdhsa_next_free_vgpr 1
		.amdhsa_next_free_sgpr 0
		.amdhsa_accum_offset 4
		.amdhsa_reserve_vcc 0
		.amdhsa_reserve_flat_scratch 0
		.amdhsa_float_round_mode_32 0
		.amdhsa_float_round_mode_16_64 0
		.amdhsa_float_denorm_mode_32 3
		.amdhsa_float_denorm_mode_16_64 3
		.amdhsa_dx10_clamp 1
		.amdhsa_ieee_mode 1
		.amdhsa_fp16_overflow 0
		.amdhsa_tg_split 0
		.amdhsa_exception_fp_ieee_invalid_op 0
		.amdhsa_exception_fp_denorm_src 0
		.amdhsa_exception_fp_ieee_div_zero 0
		.amdhsa_exception_fp_ieee_overflow 0
		.amdhsa_exception_fp_ieee_underflow 0
		.amdhsa_exception_fp_ieee_inexact 0
		.amdhsa_exception_int_div_zero 0
	.end_amdhsa_kernel
	.section	.text._ZN7rocprim17ROCPRIM_400000_NS6detail17trampoline_kernelINS0_14default_configENS1_38merge_sort_block_merge_config_selectorIaNS0_10empty_typeEEEZZNS1_27merge_sort_block_merge_implIS3_PaPS5_jNS1_19radix_merge_compareILb0ELb0EaNS0_19identity_decomposerEEEEE10hipError_tT0_T1_T2_jT3_P12ihipStream_tbPNSt15iterator_traitsISE_E10value_typeEPNSK_ISF_E10value_typeEPSG_NS1_7vsmem_tEENKUlT_SE_SF_SG_E_clIS8_S8_S9_S9_EESD_ST_SE_SF_SG_EUlST_E1_NS1_11comp_targetILNS1_3genE10ELNS1_11target_archE1201ELNS1_3gpuE5ELNS1_3repE0EEENS1_36merge_oddeven_config_static_selectorELNS0_4arch9wavefront6targetE1EEEvSF_,"axG",@progbits,_ZN7rocprim17ROCPRIM_400000_NS6detail17trampoline_kernelINS0_14default_configENS1_38merge_sort_block_merge_config_selectorIaNS0_10empty_typeEEEZZNS1_27merge_sort_block_merge_implIS3_PaPS5_jNS1_19radix_merge_compareILb0ELb0EaNS0_19identity_decomposerEEEEE10hipError_tT0_T1_T2_jT3_P12ihipStream_tbPNSt15iterator_traitsISE_E10value_typeEPNSK_ISF_E10value_typeEPSG_NS1_7vsmem_tEENKUlT_SE_SF_SG_E_clIS8_S8_S9_S9_EESD_ST_SE_SF_SG_EUlST_E1_NS1_11comp_targetILNS1_3genE10ELNS1_11target_archE1201ELNS1_3gpuE5ELNS1_3repE0EEENS1_36merge_oddeven_config_static_selectorELNS0_4arch9wavefront6targetE1EEEvSF_,comdat
.Lfunc_end153:
	.size	_ZN7rocprim17ROCPRIM_400000_NS6detail17trampoline_kernelINS0_14default_configENS1_38merge_sort_block_merge_config_selectorIaNS0_10empty_typeEEEZZNS1_27merge_sort_block_merge_implIS3_PaPS5_jNS1_19radix_merge_compareILb0ELb0EaNS0_19identity_decomposerEEEEE10hipError_tT0_T1_T2_jT3_P12ihipStream_tbPNSt15iterator_traitsISE_E10value_typeEPNSK_ISF_E10value_typeEPSG_NS1_7vsmem_tEENKUlT_SE_SF_SG_E_clIS8_S8_S9_S9_EESD_ST_SE_SF_SG_EUlST_E1_NS1_11comp_targetILNS1_3genE10ELNS1_11target_archE1201ELNS1_3gpuE5ELNS1_3repE0EEENS1_36merge_oddeven_config_static_selectorELNS0_4arch9wavefront6targetE1EEEvSF_, .Lfunc_end153-_ZN7rocprim17ROCPRIM_400000_NS6detail17trampoline_kernelINS0_14default_configENS1_38merge_sort_block_merge_config_selectorIaNS0_10empty_typeEEEZZNS1_27merge_sort_block_merge_implIS3_PaPS5_jNS1_19radix_merge_compareILb0ELb0EaNS0_19identity_decomposerEEEEE10hipError_tT0_T1_T2_jT3_P12ihipStream_tbPNSt15iterator_traitsISE_E10value_typeEPNSK_ISF_E10value_typeEPSG_NS1_7vsmem_tEENKUlT_SE_SF_SG_E_clIS8_S8_S9_S9_EESD_ST_SE_SF_SG_EUlST_E1_NS1_11comp_targetILNS1_3genE10ELNS1_11target_archE1201ELNS1_3gpuE5ELNS1_3repE0EEENS1_36merge_oddeven_config_static_selectorELNS0_4arch9wavefront6targetE1EEEvSF_
                                        ; -- End function
	.section	.AMDGPU.csdata,"",@progbits
; Kernel info:
; codeLenInByte = 0
; NumSgprs: 4
; NumVgprs: 0
; NumAgprs: 0
; TotalNumVgprs: 0
; ScratchSize: 0
; MemoryBound: 0
; FloatMode: 240
; IeeeMode: 1
; LDSByteSize: 0 bytes/workgroup (compile time only)
; SGPRBlocks: 0
; VGPRBlocks: 0
; NumSGPRsForWavesPerEU: 4
; NumVGPRsForWavesPerEU: 1
; AccumOffset: 4
; Occupancy: 8
; WaveLimiterHint : 0
; COMPUTE_PGM_RSRC2:SCRATCH_EN: 0
; COMPUTE_PGM_RSRC2:USER_SGPR: 6
; COMPUTE_PGM_RSRC2:TRAP_HANDLER: 0
; COMPUTE_PGM_RSRC2:TGID_X_EN: 1
; COMPUTE_PGM_RSRC2:TGID_Y_EN: 0
; COMPUTE_PGM_RSRC2:TGID_Z_EN: 0
; COMPUTE_PGM_RSRC2:TIDIG_COMP_CNT: 0
; COMPUTE_PGM_RSRC3_GFX90A:ACCUM_OFFSET: 0
; COMPUTE_PGM_RSRC3_GFX90A:TG_SPLIT: 0
	.section	.text._ZN7rocprim17ROCPRIM_400000_NS6detail17trampoline_kernelINS0_14default_configENS1_38merge_sort_block_merge_config_selectorIaNS0_10empty_typeEEEZZNS1_27merge_sort_block_merge_implIS3_PaPS5_jNS1_19radix_merge_compareILb0ELb0EaNS0_19identity_decomposerEEEEE10hipError_tT0_T1_T2_jT3_P12ihipStream_tbPNSt15iterator_traitsISE_E10value_typeEPNSK_ISF_E10value_typeEPSG_NS1_7vsmem_tEENKUlT_SE_SF_SG_E_clIS8_S8_S9_S9_EESD_ST_SE_SF_SG_EUlST_E1_NS1_11comp_targetILNS1_3genE5ELNS1_11target_archE942ELNS1_3gpuE9ELNS1_3repE0EEENS1_36merge_oddeven_config_static_selectorELNS0_4arch9wavefront6targetE1EEEvSF_,"axG",@progbits,_ZN7rocprim17ROCPRIM_400000_NS6detail17trampoline_kernelINS0_14default_configENS1_38merge_sort_block_merge_config_selectorIaNS0_10empty_typeEEEZZNS1_27merge_sort_block_merge_implIS3_PaPS5_jNS1_19radix_merge_compareILb0ELb0EaNS0_19identity_decomposerEEEEE10hipError_tT0_T1_T2_jT3_P12ihipStream_tbPNSt15iterator_traitsISE_E10value_typeEPNSK_ISF_E10value_typeEPSG_NS1_7vsmem_tEENKUlT_SE_SF_SG_E_clIS8_S8_S9_S9_EESD_ST_SE_SF_SG_EUlST_E1_NS1_11comp_targetILNS1_3genE5ELNS1_11target_archE942ELNS1_3gpuE9ELNS1_3repE0EEENS1_36merge_oddeven_config_static_selectorELNS0_4arch9wavefront6targetE1EEEvSF_,comdat
	.protected	_ZN7rocprim17ROCPRIM_400000_NS6detail17trampoline_kernelINS0_14default_configENS1_38merge_sort_block_merge_config_selectorIaNS0_10empty_typeEEEZZNS1_27merge_sort_block_merge_implIS3_PaPS5_jNS1_19radix_merge_compareILb0ELb0EaNS0_19identity_decomposerEEEEE10hipError_tT0_T1_T2_jT3_P12ihipStream_tbPNSt15iterator_traitsISE_E10value_typeEPNSK_ISF_E10value_typeEPSG_NS1_7vsmem_tEENKUlT_SE_SF_SG_E_clIS8_S8_S9_S9_EESD_ST_SE_SF_SG_EUlST_E1_NS1_11comp_targetILNS1_3genE5ELNS1_11target_archE942ELNS1_3gpuE9ELNS1_3repE0EEENS1_36merge_oddeven_config_static_selectorELNS0_4arch9wavefront6targetE1EEEvSF_ ; -- Begin function _ZN7rocprim17ROCPRIM_400000_NS6detail17trampoline_kernelINS0_14default_configENS1_38merge_sort_block_merge_config_selectorIaNS0_10empty_typeEEEZZNS1_27merge_sort_block_merge_implIS3_PaPS5_jNS1_19radix_merge_compareILb0ELb0EaNS0_19identity_decomposerEEEEE10hipError_tT0_T1_T2_jT3_P12ihipStream_tbPNSt15iterator_traitsISE_E10value_typeEPNSK_ISF_E10value_typeEPSG_NS1_7vsmem_tEENKUlT_SE_SF_SG_E_clIS8_S8_S9_S9_EESD_ST_SE_SF_SG_EUlST_E1_NS1_11comp_targetILNS1_3genE5ELNS1_11target_archE942ELNS1_3gpuE9ELNS1_3repE0EEENS1_36merge_oddeven_config_static_selectorELNS0_4arch9wavefront6targetE1EEEvSF_
	.globl	_ZN7rocprim17ROCPRIM_400000_NS6detail17trampoline_kernelINS0_14default_configENS1_38merge_sort_block_merge_config_selectorIaNS0_10empty_typeEEEZZNS1_27merge_sort_block_merge_implIS3_PaPS5_jNS1_19radix_merge_compareILb0ELb0EaNS0_19identity_decomposerEEEEE10hipError_tT0_T1_T2_jT3_P12ihipStream_tbPNSt15iterator_traitsISE_E10value_typeEPNSK_ISF_E10value_typeEPSG_NS1_7vsmem_tEENKUlT_SE_SF_SG_E_clIS8_S8_S9_S9_EESD_ST_SE_SF_SG_EUlST_E1_NS1_11comp_targetILNS1_3genE5ELNS1_11target_archE942ELNS1_3gpuE9ELNS1_3repE0EEENS1_36merge_oddeven_config_static_selectorELNS0_4arch9wavefront6targetE1EEEvSF_
	.p2align	8
	.type	_ZN7rocprim17ROCPRIM_400000_NS6detail17trampoline_kernelINS0_14default_configENS1_38merge_sort_block_merge_config_selectorIaNS0_10empty_typeEEEZZNS1_27merge_sort_block_merge_implIS3_PaPS5_jNS1_19radix_merge_compareILb0ELb0EaNS0_19identity_decomposerEEEEE10hipError_tT0_T1_T2_jT3_P12ihipStream_tbPNSt15iterator_traitsISE_E10value_typeEPNSK_ISF_E10value_typeEPSG_NS1_7vsmem_tEENKUlT_SE_SF_SG_E_clIS8_S8_S9_S9_EESD_ST_SE_SF_SG_EUlST_E1_NS1_11comp_targetILNS1_3genE5ELNS1_11target_archE942ELNS1_3gpuE9ELNS1_3repE0EEENS1_36merge_oddeven_config_static_selectorELNS0_4arch9wavefront6targetE1EEEvSF_,@function
_ZN7rocprim17ROCPRIM_400000_NS6detail17trampoline_kernelINS0_14default_configENS1_38merge_sort_block_merge_config_selectorIaNS0_10empty_typeEEEZZNS1_27merge_sort_block_merge_implIS3_PaPS5_jNS1_19radix_merge_compareILb0ELb0EaNS0_19identity_decomposerEEEEE10hipError_tT0_T1_T2_jT3_P12ihipStream_tbPNSt15iterator_traitsISE_E10value_typeEPNSK_ISF_E10value_typeEPSG_NS1_7vsmem_tEENKUlT_SE_SF_SG_E_clIS8_S8_S9_S9_EESD_ST_SE_SF_SG_EUlST_E1_NS1_11comp_targetILNS1_3genE5ELNS1_11target_archE942ELNS1_3gpuE9ELNS1_3repE0EEENS1_36merge_oddeven_config_static_selectorELNS0_4arch9wavefront6targetE1EEEvSF_: ; @_ZN7rocprim17ROCPRIM_400000_NS6detail17trampoline_kernelINS0_14default_configENS1_38merge_sort_block_merge_config_selectorIaNS0_10empty_typeEEEZZNS1_27merge_sort_block_merge_implIS3_PaPS5_jNS1_19radix_merge_compareILb0ELb0EaNS0_19identity_decomposerEEEEE10hipError_tT0_T1_T2_jT3_P12ihipStream_tbPNSt15iterator_traitsISE_E10value_typeEPNSK_ISF_E10value_typeEPSG_NS1_7vsmem_tEENKUlT_SE_SF_SG_E_clIS8_S8_S9_S9_EESD_ST_SE_SF_SG_EUlST_E1_NS1_11comp_targetILNS1_3genE5ELNS1_11target_archE942ELNS1_3gpuE9ELNS1_3repE0EEENS1_36merge_oddeven_config_static_selectorELNS0_4arch9wavefront6targetE1EEEvSF_
; %bb.0:
	.section	.rodata,"a",@progbits
	.p2align	6, 0x0
	.amdhsa_kernel _ZN7rocprim17ROCPRIM_400000_NS6detail17trampoline_kernelINS0_14default_configENS1_38merge_sort_block_merge_config_selectorIaNS0_10empty_typeEEEZZNS1_27merge_sort_block_merge_implIS3_PaPS5_jNS1_19radix_merge_compareILb0ELb0EaNS0_19identity_decomposerEEEEE10hipError_tT0_T1_T2_jT3_P12ihipStream_tbPNSt15iterator_traitsISE_E10value_typeEPNSK_ISF_E10value_typeEPSG_NS1_7vsmem_tEENKUlT_SE_SF_SG_E_clIS8_S8_S9_S9_EESD_ST_SE_SF_SG_EUlST_E1_NS1_11comp_targetILNS1_3genE5ELNS1_11target_archE942ELNS1_3gpuE9ELNS1_3repE0EEENS1_36merge_oddeven_config_static_selectorELNS0_4arch9wavefront6targetE1EEEvSF_
		.amdhsa_group_segment_fixed_size 0
		.amdhsa_private_segment_fixed_size 0
		.amdhsa_kernarg_size 48
		.amdhsa_user_sgpr_count 6
		.amdhsa_user_sgpr_private_segment_buffer 1
		.amdhsa_user_sgpr_dispatch_ptr 0
		.amdhsa_user_sgpr_queue_ptr 0
		.amdhsa_user_sgpr_kernarg_segment_ptr 1
		.amdhsa_user_sgpr_dispatch_id 0
		.amdhsa_user_sgpr_flat_scratch_init 0
		.amdhsa_user_sgpr_kernarg_preload_length 0
		.amdhsa_user_sgpr_kernarg_preload_offset 0
		.amdhsa_user_sgpr_private_segment_size 0
		.amdhsa_uses_dynamic_stack 0
		.amdhsa_system_sgpr_private_segment_wavefront_offset 0
		.amdhsa_system_sgpr_workgroup_id_x 1
		.amdhsa_system_sgpr_workgroup_id_y 0
		.amdhsa_system_sgpr_workgroup_id_z 0
		.amdhsa_system_sgpr_workgroup_info 0
		.amdhsa_system_vgpr_workitem_id 0
		.amdhsa_next_free_vgpr 1
		.amdhsa_next_free_sgpr 0
		.amdhsa_accum_offset 4
		.amdhsa_reserve_vcc 0
		.amdhsa_reserve_flat_scratch 0
		.amdhsa_float_round_mode_32 0
		.amdhsa_float_round_mode_16_64 0
		.amdhsa_float_denorm_mode_32 3
		.amdhsa_float_denorm_mode_16_64 3
		.amdhsa_dx10_clamp 1
		.amdhsa_ieee_mode 1
		.amdhsa_fp16_overflow 0
		.amdhsa_tg_split 0
		.amdhsa_exception_fp_ieee_invalid_op 0
		.amdhsa_exception_fp_denorm_src 0
		.amdhsa_exception_fp_ieee_div_zero 0
		.amdhsa_exception_fp_ieee_overflow 0
		.amdhsa_exception_fp_ieee_underflow 0
		.amdhsa_exception_fp_ieee_inexact 0
		.amdhsa_exception_int_div_zero 0
	.end_amdhsa_kernel
	.section	.text._ZN7rocprim17ROCPRIM_400000_NS6detail17trampoline_kernelINS0_14default_configENS1_38merge_sort_block_merge_config_selectorIaNS0_10empty_typeEEEZZNS1_27merge_sort_block_merge_implIS3_PaPS5_jNS1_19radix_merge_compareILb0ELb0EaNS0_19identity_decomposerEEEEE10hipError_tT0_T1_T2_jT3_P12ihipStream_tbPNSt15iterator_traitsISE_E10value_typeEPNSK_ISF_E10value_typeEPSG_NS1_7vsmem_tEENKUlT_SE_SF_SG_E_clIS8_S8_S9_S9_EESD_ST_SE_SF_SG_EUlST_E1_NS1_11comp_targetILNS1_3genE5ELNS1_11target_archE942ELNS1_3gpuE9ELNS1_3repE0EEENS1_36merge_oddeven_config_static_selectorELNS0_4arch9wavefront6targetE1EEEvSF_,"axG",@progbits,_ZN7rocprim17ROCPRIM_400000_NS6detail17trampoline_kernelINS0_14default_configENS1_38merge_sort_block_merge_config_selectorIaNS0_10empty_typeEEEZZNS1_27merge_sort_block_merge_implIS3_PaPS5_jNS1_19radix_merge_compareILb0ELb0EaNS0_19identity_decomposerEEEEE10hipError_tT0_T1_T2_jT3_P12ihipStream_tbPNSt15iterator_traitsISE_E10value_typeEPNSK_ISF_E10value_typeEPSG_NS1_7vsmem_tEENKUlT_SE_SF_SG_E_clIS8_S8_S9_S9_EESD_ST_SE_SF_SG_EUlST_E1_NS1_11comp_targetILNS1_3genE5ELNS1_11target_archE942ELNS1_3gpuE9ELNS1_3repE0EEENS1_36merge_oddeven_config_static_selectorELNS0_4arch9wavefront6targetE1EEEvSF_,comdat
.Lfunc_end154:
	.size	_ZN7rocprim17ROCPRIM_400000_NS6detail17trampoline_kernelINS0_14default_configENS1_38merge_sort_block_merge_config_selectorIaNS0_10empty_typeEEEZZNS1_27merge_sort_block_merge_implIS3_PaPS5_jNS1_19radix_merge_compareILb0ELb0EaNS0_19identity_decomposerEEEEE10hipError_tT0_T1_T2_jT3_P12ihipStream_tbPNSt15iterator_traitsISE_E10value_typeEPNSK_ISF_E10value_typeEPSG_NS1_7vsmem_tEENKUlT_SE_SF_SG_E_clIS8_S8_S9_S9_EESD_ST_SE_SF_SG_EUlST_E1_NS1_11comp_targetILNS1_3genE5ELNS1_11target_archE942ELNS1_3gpuE9ELNS1_3repE0EEENS1_36merge_oddeven_config_static_selectorELNS0_4arch9wavefront6targetE1EEEvSF_, .Lfunc_end154-_ZN7rocprim17ROCPRIM_400000_NS6detail17trampoline_kernelINS0_14default_configENS1_38merge_sort_block_merge_config_selectorIaNS0_10empty_typeEEEZZNS1_27merge_sort_block_merge_implIS3_PaPS5_jNS1_19radix_merge_compareILb0ELb0EaNS0_19identity_decomposerEEEEE10hipError_tT0_T1_T2_jT3_P12ihipStream_tbPNSt15iterator_traitsISE_E10value_typeEPNSK_ISF_E10value_typeEPSG_NS1_7vsmem_tEENKUlT_SE_SF_SG_E_clIS8_S8_S9_S9_EESD_ST_SE_SF_SG_EUlST_E1_NS1_11comp_targetILNS1_3genE5ELNS1_11target_archE942ELNS1_3gpuE9ELNS1_3repE0EEENS1_36merge_oddeven_config_static_selectorELNS0_4arch9wavefront6targetE1EEEvSF_
                                        ; -- End function
	.section	.AMDGPU.csdata,"",@progbits
; Kernel info:
; codeLenInByte = 0
; NumSgprs: 4
; NumVgprs: 0
; NumAgprs: 0
; TotalNumVgprs: 0
; ScratchSize: 0
; MemoryBound: 0
; FloatMode: 240
; IeeeMode: 1
; LDSByteSize: 0 bytes/workgroup (compile time only)
; SGPRBlocks: 0
; VGPRBlocks: 0
; NumSGPRsForWavesPerEU: 4
; NumVGPRsForWavesPerEU: 1
; AccumOffset: 4
; Occupancy: 8
; WaveLimiterHint : 0
; COMPUTE_PGM_RSRC2:SCRATCH_EN: 0
; COMPUTE_PGM_RSRC2:USER_SGPR: 6
; COMPUTE_PGM_RSRC2:TRAP_HANDLER: 0
; COMPUTE_PGM_RSRC2:TGID_X_EN: 1
; COMPUTE_PGM_RSRC2:TGID_Y_EN: 0
; COMPUTE_PGM_RSRC2:TGID_Z_EN: 0
; COMPUTE_PGM_RSRC2:TIDIG_COMP_CNT: 0
; COMPUTE_PGM_RSRC3_GFX90A:ACCUM_OFFSET: 0
; COMPUTE_PGM_RSRC3_GFX90A:TG_SPLIT: 0
	.section	.text._ZN7rocprim17ROCPRIM_400000_NS6detail17trampoline_kernelINS0_14default_configENS1_38merge_sort_block_merge_config_selectorIaNS0_10empty_typeEEEZZNS1_27merge_sort_block_merge_implIS3_PaPS5_jNS1_19radix_merge_compareILb0ELb0EaNS0_19identity_decomposerEEEEE10hipError_tT0_T1_T2_jT3_P12ihipStream_tbPNSt15iterator_traitsISE_E10value_typeEPNSK_ISF_E10value_typeEPSG_NS1_7vsmem_tEENKUlT_SE_SF_SG_E_clIS8_S8_S9_S9_EESD_ST_SE_SF_SG_EUlST_E1_NS1_11comp_targetILNS1_3genE4ELNS1_11target_archE910ELNS1_3gpuE8ELNS1_3repE0EEENS1_36merge_oddeven_config_static_selectorELNS0_4arch9wavefront6targetE1EEEvSF_,"axG",@progbits,_ZN7rocprim17ROCPRIM_400000_NS6detail17trampoline_kernelINS0_14default_configENS1_38merge_sort_block_merge_config_selectorIaNS0_10empty_typeEEEZZNS1_27merge_sort_block_merge_implIS3_PaPS5_jNS1_19radix_merge_compareILb0ELb0EaNS0_19identity_decomposerEEEEE10hipError_tT0_T1_T2_jT3_P12ihipStream_tbPNSt15iterator_traitsISE_E10value_typeEPNSK_ISF_E10value_typeEPSG_NS1_7vsmem_tEENKUlT_SE_SF_SG_E_clIS8_S8_S9_S9_EESD_ST_SE_SF_SG_EUlST_E1_NS1_11comp_targetILNS1_3genE4ELNS1_11target_archE910ELNS1_3gpuE8ELNS1_3repE0EEENS1_36merge_oddeven_config_static_selectorELNS0_4arch9wavefront6targetE1EEEvSF_,comdat
	.protected	_ZN7rocprim17ROCPRIM_400000_NS6detail17trampoline_kernelINS0_14default_configENS1_38merge_sort_block_merge_config_selectorIaNS0_10empty_typeEEEZZNS1_27merge_sort_block_merge_implIS3_PaPS5_jNS1_19radix_merge_compareILb0ELb0EaNS0_19identity_decomposerEEEEE10hipError_tT0_T1_T2_jT3_P12ihipStream_tbPNSt15iterator_traitsISE_E10value_typeEPNSK_ISF_E10value_typeEPSG_NS1_7vsmem_tEENKUlT_SE_SF_SG_E_clIS8_S8_S9_S9_EESD_ST_SE_SF_SG_EUlST_E1_NS1_11comp_targetILNS1_3genE4ELNS1_11target_archE910ELNS1_3gpuE8ELNS1_3repE0EEENS1_36merge_oddeven_config_static_selectorELNS0_4arch9wavefront6targetE1EEEvSF_ ; -- Begin function _ZN7rocprim17ROCPRIM_400000_NS6detail17trampoline_kernelINS0_14default_configENS1_38merge_sort_block_merge_config_selectorIaNS0_10empty_typeEEEZZNS1_27merge_sort_block_merge_implIS3_PaPS5_jNS1_19radix_merge_compareILb0ELb0EaNS0_19identity_decomposerEEEEE10hipError_tT0_T1_T2_jT3_P12ihipStream_tbPNSt15iterator_traitsISE_E10value_typeEPNSK_ISF_E10value_typeEPSG_NS1_7vsmem_tEENKUlT_SE_SF_SG_E_clIS8_S8_S9_S9_EESD_ST_SE_SF_SG_EUlST_E1_NS1_11comp_targetILNS1_3genE4ELNS1_11target_archE910ELNS1_3gpuE8ELNS1_3repE0EEENS1_36merge_oddeven_config_static_selectorELNS0_4arch9wavefront6targetE1EEEvSF_
	.globl	_ZN7rocprim17ROCPRIM_400000_NS6detail17trampoline_kernelINS0_14default_configENS1_38merge_sort_block_merge_config_selectorIaNS0_10empty_typeEEEZZNS1_27merge_sort_block_merge_implIS3_PaPS5_jNS1_19radix_merge_compareILb0ELb0EaNS0_19identity_decomposerEEEEE10hipError_tT0_T1_T2_jT3_P12ihipStream_tbPNSt15iterator_traitsISE_E10value_typeEPNSK_ISF_E10value_typeEPSG_NS1_7vsmem_tEENKUlT_SE_SF_SG_E_clIS8_S8_S9_S9_EESD_ST_SE_SF_SG_EUlST_E1_NS1_11comp_targetILNS1_3genE4ELNS1_11target_archE910ELNS1_3gpuE8ELNS1_3repE0EEENS1_36merge_oddeven_config_static_selectorELNS0_4arch9wavefront6targetE1EEEvSF_
	.p2align	8
	.type	_ZN7rocprim17ROCPRIM_400000_NS6detail17trampoline_kernelINS0_14default_configENS1_38merge_sort_block_merge_config_selectorIaNS0_10empty_typeEEEZZNS1_27merge_sort_block_merge_implIS3_PaPS5_jNS1_19radix_merge_compareILb0ELb0EaNS0_19identity_decomposerEEEEE10hipError_tT0_T1_T2_jT3_P12ihipStream_tbPNSt15iterator_traitsISE_E10value_typeEPNSK_ISF_E10value_typeEPSG_NS1_7vsmem_tEENKUlT_SE_SF_SG_E_clIS8_S8_S9_S9_EESD_ST_SE_SF_SG_EUlST_E1_NS1_11comp_targetILNS1_3genE4ELNS1_11target_archE910ELNS1_3gpuE8ELNS1_3repE0EEENS1_36merge_oddeven_config_static_selectorELNS0_4arch9wavefront6targetE1EEEvSF_,@function
_ZN7rocprim17ROCPRIM_400000_NS6detail17trampoline_kernelINS0_14default_configENS1_38merge_sort_block_merge_config_selectorIaNS0_10empty_typeEEEZZNS1_27merge_sort_block_merge_implIS3_PaPS5_jNS1_19radix_merge_compareILb0ELb0EaNS0_19identity_decomposerEEEEE10hipError_tT0_T1_T2_jT3_P12ihipStream_tbPNSt15iterator_traitsISE_E10value_typeEPNSK_ISF_E10value_typeEPSG_NS1_7vsmem_tEENKUlT_SE_SF_SG_E_clIS8_S8_S9_S9_EESD_ST_SE_SF_SG_EUlST_E1_NS1_11comp_targetILNS1_3genE4ELNS1_11target_archE910ELNS1_3gpuE8ELNS1_3repE0EEENS1_36merge_oddeven_config_static_selectorELNS0_4arch9wavefront6targetE1EEEvSF_: ; @_ZN7rocprim17ROCPRIM_400000_NS6detail17trampoline_kernelINS0_14default_configENS1_38merge_sort_block_merge_config_selectorIaNS0_10empty_typeEEEZZNS1_27merge_sort_block_merge_implIS3_PaPS5_jNS1_19radix_merge_compareILb0ELb0EaNS0_19identity_decomposerEEEEE10hipError_tT0_T1_T2_jT3_P12ihipStream_tbPNSt15iterator_traitsISE_E10value_typeEPNSK_ISF_E10value_typeEPSG_NS1_7vsmem_tEENKUlT_SE_SF_SG_E_clIS8_S8_S9_S9_EESD_ST_SE_SF_SG_EUlST_E1_NS1_11comp_targetILNS1_3genE4ELNS1_11target_archE910ELNS1_3gpuE8ELNS1_3repE0EEENS1_36merge_oddeven_config_static_selectorELNS0_4arch9wavefront6targetE1EEEvSF_
; %bb.0:
	s_load_dword s17, s[4:5], 0x20
	s_waitcnt lgkmcnt(0)
	s_lshr_b32 s0, s17, 8
	s_cmp_lg_u32 s6, s0
	s_cselect_b64 s[14:15], -1, 0
	s_cmp_eq_u32 s6, s0
	s_cselect_b64 s[12:13], -1, 0
	s_lshl_b32 s7, s6, 8
	s_sub_i32 s0, s17, s7
	v_cmp_gt_u32_e64 s[2:3], s0, v0
	s_or_b64 s[0:1], s[14:15], s[2:3]
	s_and_saveexec_b64 s[8:9], s[0:1]
	s_cbranch_execz .LBB155_20
; %bb.1:
	s_load_dwordx4 s[8:11], s[4:5], 0x0
	s_load_dword s18, s[4:5], 0x24
	v_add_u32_e32 v2, s7, v0
	s_waitcnt lgkmcnt(0)
	s_add_u32 s0, s8, s7
	s_addc_u32 s1, s9, 0
	global_load_sbyte v1, v0, s[0:1]
	s_lshr_b32 s0, s18, 8
	s_sub_i32 s1, 0, s0
	s_and_b32 s1, s6, s1
	s_and_b32 s0, s1, s0
	s_lshl_b32 s19, s1, 8
	s_sub_i32 s6, 0, s18
	s_cmp_eq_u32 s0, 0
	s_cselect_b64 s[0:1], -1, 0
	s_and_b64 s[4:5], s[0:1], exec
	s_cselect_b32 s16, s18, s6
	s_add_i32 s16, s16, s19
	s_cmp_lt_u32 s16, s17
	s_cbranch_scc1 .LBB155_3
; %bb.2:
	v_cmp_gt_u32_e32 vcc, s17, v2
	s_or_b64 s[4:5], vcc, s[14:15]
	s_and_b64 s[4:5], s[4:5], exec
	s_cbranch_execz .LBB155_4
	s_branch .LBB155_18
.LBB155_3:
	s_mov_b64 s[4:5], 0
.LBB155_4:
	s_min_u32 s14, s16, s17
	s_add_i32 s6, s14, s18
	s_min_u32 s15, s6, s17
	s_min_u32 s6, s19, s14
	s_add_i32 s19, s19, s14
	v_subrev_u32_e32 v0, s19, v2
	v_add_u32_e32 v0, s6, v0
	s_and_b64 vcc, exec, s[12:13]
	s_cbranch_vccz .LBB155_12
; %bb.5:
                                        ; implicit-def: $vgpr2
	s_and_saveexec_b64 s[6:7], s[2:3]
	s_cbranch_execz .LBB155_11
; %bb.6:
	s_cmp_ge_u32 s16, s15
	v_mov_b32_e32 v2, s14
	s_cbranch_scc1 .LBB155_10
; %bb.7:
	s_mov_b64 s[2:3], 0
	v_mov_b32_e32 v3, s15
	v_mov_b32_e32 v2, s14
.LBB155_8:                              ; =>This Inner Loop Header: Depth=1
	v_add_u32_e32 v4, v2, v3
	v_lshrrev_b32_e32 v4, 1, v4
	global_load_sbyte v5, v4, s[8:9]
	v_add_u32_e32 v6, 1, v4
	s_waitcnt vmcnt(0)
	v_cmp_gt_i16_e32 vcc, v1, v5
	v_cndmask_b32_e64 v7, 0, 1, vcc
	v_cmp_le_i16_e32 vcc, v5, v1
	v_cndmask_b32_e64 v5, 0, 1, vcc
	v_cndmask_b32_e64 v5, v5, v7, s[0:1]
	v_and_b32_e32 v5, 1, v5
	v_cmp_eq_u32_e32 vcc, 1, v5
	v_cndmask_b32_e32 v3, v4, v3, vcc
	v_cndmask_b32_e32 v2, v2, v6, vcc
	v_cmp_ge_u32_e32 vcc, v2, v3
	s_or_b64 s[2:3], vcc, s[2:3]
	s_andn2_b64 exec, exec, s[2:3]
	s_cbranch_execnz .LBB155_8
; %bb.9:
	s_or_b64 exec, exec, s[2:3]
.LBB155_10:
	v_add_u32_e32 v2, v2, v0
	s_or_b64 s[4:5], s[4:5], exec
.LBB155_11:
	s_or_b64 exec, exec, s[6:7]
	s_branch .LBB155_18
.LBB155_12:
                                        ; implicit-def: $vgpr2
	s_cbranch_execz .LBB155_18
; %bb.13:
	s_cmp_ge_u32 s16, s15
	v_mov_b32_e32 v2, s14
	s_cbranch_scc1 .LBB155_17
; %bb.14:
	s_mov_b64 s[2:3], 0
	v_mov_b32_e32 v3, s15
	v_mov_b32_e32 v2, s14
.LBB155_15:                             ; =>This Inner Loop Header: Depth=1
	v_add_u32_e32 v4, v2, v3
	v_lshrrev_b32_e32 v4, 1, v4
	global_load_sbyte v5, v4, s[8:9]
	v_add_u32_e32 v6, 1, v4
	s_waitcnt vmcnt(0)
	v_cmp_gt_i16_e32 vcc, v1, v5
	v_cndmask_b32_e64 v7, 0, 1, vcc
	v_cmp_le_i16_e32 vcc, v5, v1
	v_cndmask_b32_e64 v5, 0, 1, vcc
	v_cndmask_b32_e64 v5, v5, v7, s[0:1]
	v_and_b32_e32 v5, 1, v5
	v_cmp_eq_u32_e32 vcc, 1, v5
	v_cndmask_b32_e32 v3, v4, v3, vcc
	v_cndmask_b32_e32 v2, v2, v6, vcc
	v_cmp_ge_u32_e32 vcc, v2, v3
	s_or_b64 s[2:3], vcc, s[2:3]
	s_andn2_b64 exec, exec, s[2:3]
	s_cbranch_execnz .LBB155_15
; %bb.16:
	s_or_b64 exec, exec, s[2:3]
.LBB155_17:
	v_add_u32_e32 v2, v2, v0
	s_mov_b64 s[4:5], -1
.LBB155_18:
	s_and_b64 exec, exec, s[4:5]
	s_cbranch_execz .LBB155_20
; %bb.19:
	s_waitcnt vmcnt(0)
	global_store_byte v2, v1, s[10:11]
.LBB155_20:
	s_endpgm
	.section	.rodata,"a",@progbits
	.p2align	6, 0x0
	.amdhsa_kernel _ZN7rocprim17ROCPRIM_400000_NS6detail17trampoline_kernelINS0_14default_configENS1_38merge_sort_block_merge_config_selectorIaNS0_10empty_typeEEEZZNS1_27merge_sort_block_merge_implIS3_PaPS5_jNS1_19radix_merge_compareILb0ELb0EaNS0_19identity_decomposerEEEEE10hipError_tT0_T1_T2_jT3_P12ihipStream_tbPNSt15iterator_traitsISE_E10value_typeEPNSK_ISF_E10value_typeEPSG_NS1_7vsmem_tEENKUlT_SE_SF_SG_E_clIS8_S8_S9_S9_EESD_ST_SE_SF_SG_EUlST_E1_NS1_11comp_targetILNS1_3genE4ELNS1_11target_archE910ELNS1_3gpuE8ELNS1_3repE0EEENS1_36merge_oddeven_config_static_selectorELNS0_4arch9wavefront6targetE1EEEvSF_
		.amdhsa_group_segment_fixed_size 0
		.amdhsa_private_segment_fixed_size 0
		.amdhsa_kernarg_size 48
		.amdhsa_user_sgpr_count 6
		.amdhsa_user_sgpr_private_segment_buffer 1
		.amdhsa_user_sgpr_dispatch_ptr 0
		.amdhsa_user_sgpr_queue_ptr 0
		.amdhsa_user_sgpr_kernarg_segment_ptr 1
		.amdhsa_user_sgpr_dispatch_id 0
		.amdhsa_user_sgpr_flat_scratch_init 0
		.amdhsa_user_sgpr_kernarg_preload_length 0
		.amdhsa_user_sgpr_kernarg_preload_offset 0
		.amdhsa_user_sgpr_private_segment_size 0
		.amdhsa_uses_dynamic_stack 0
		.amdhsa_system_sgpr_private_segment_wavefront_offset 0
		.amdhsa_system_sgpr_workgroup_id_x 1
		.amdhsa_system_sgpr_workgroup_id_y 0
		.amdhsa_system_sgpr_workgroup_id_z 0
		.amdhsa_system_sgpr_workgroup_info 0
		.amdhsa_system_vgpr_workitem_id 0
		.amdhsa_next_free_vgpr 8
		.amdhsa_next_free_sgpr 20
		.amdhsa_accum_offset 8
		.amdhsa_reserve_vcc 1
		.amdhsa_reserve_flat_scratch 0
		.amdhsa_float_round_mode_32 0
		.amdhsa_float_round_mode_16_64 0
		.amdhsa_float_denorm_mode_32 3
		.amdhsa_float_denorm_mode_16_64 3
		.amdhsa_dx10_clamp 1
		.amdhsa_ieee_mode 1
		.amdhsa_fp16_overflow 0
		.amdhsa_tg_split 0
		.amdhsa_exception_fp_ieee_invalid_op 0
		.amdhsa_exception_fp_denorm_src 0
		.amdhsa_exception_fp_ieee_div_zero 0
		.amdhsa_exception_fp_ieee_overflow 0
		.amdhsa_exception_fp_ieee_underflow 0
		.amdhsa_exception_fp_ieee_inexact 0
		.amdhsa_exception_int_div_zero 0
	.end_amdhsa_kernel
	.section	.text._ZN7rocprim17ROCPRIM_400000_NS6detail17trampoline_kernelINS0_14default_configENS1_38merge_sort_block_merge_config_selectorIaNS0_10empty_typeEEEZZNS1_27merge_sort_block_merge_implIS3_PaPS5_jNS1_19radix_merge_compareILb0ELb0EaNS0_19identity_decomposerEEEEE10hipError_tT0_T1_T2_jT3_P12ihipStream_tbPNSt15iterator_traitsISE_E10value_typeEPNSK_ISF_E10value_typeEPSG_NS1_7vsmem_tEENKUlT_SE_SF_SG_E_clIS8_S8_S9_S9_EESD_ST_SE_SF_SG_EUlST_E1_NS1_11comp_targetILNS1_3genE4ELNS1_11target_archE910ELNS1_3gpuE8ELNS1_3repE0EEENS1_36merge_oddeven_config_static_selectorELNS0_4arch9wavefront6targetE1EEEvSF_,"axG",@progbits,_ZN7rocprim17ROCPRIM_400000_NS6detail17trampoline_kernelINS0_14default_configENS1_38merge_sort_block_merge_config_selectorIaNS0_10empty_typeEEEZZNS1_27merge_sort_block_merge_implIS3_PaPS5_jNS1_19radix_merge_compareILb0ELb0EaNS0_19identity_decomposerEEEEE10hipError_tT0_T1_T2_jT3_P12ihipStream_tbPNSt15iterator_traitsISE_E10value_typeEPNSK_ISF_E10value_typeEPSG_NS1_7vsmem_tEENKUlT_SE_SF_SG_E_clIS8_S8_S9_S9_EESD_ST_SE_SF_SG_EUlST_E1_NS1_11comp_targetILNS1_3genE4ELNS1_11target_archE910ELNS1_3gpuE8ELNS1_3repE0EEENS1_36merge_oddeven_config_static_selectorELNS0_4arch9wavefront6targetE1EEEvSF_,comdat
.Lfunc_end155:
	.size	_ZN7rocprim17ROCPRIM_400000_NS6detail17trampoline_kernelINS0_14default_configENS1_38merge_sort_block_merge_config_selectorIaNS0_10empty_typeEEEZZNS1_27merge_sort_block_merge_implIS3_PaPS5_jNS1_19radix_merge_compareILb0ELb0EaNS0_19identity_decomposerEEEEE10hipError_tT0_T1_T2_jT3_P12ihipStream_tbPNSt15iterator_traitsISE_E10value_typeEPNSK_ISF_E10value_typeEPSG_NS1_7vsmem_tEENKUlT_SE_SF_SG_E_clIS8_S8_S9_S9_EESD_ST_SE_SF_SG_EUlST_E1_NS1_11comp_targetILNS1_3genE4ELNS1_11target_archE910ELNS1_3gpuE8ELNS1_3repE0EEENS1_36merge_oddeven_config_static_selectorELNS0_4arch9wavefront6targetE1EEEvSF_, .Lfunc_end155-_ZN7rocprim17ROCPRIM_400000_NS6detail17trampoline_kernelINS0_14default_configENS1_38merge_sort_block_merge_config_selectorIaNS0_10empty_typeEEEZZNS1_27merge_sort_block_merge_implIS3_PaPS5_jNS1_19radix_merge_compareILb0ELb0EaNS0_19identity_decomposerEEEEE10hipError_tT0_T1_T2_jT3_P12ihipStream_tbPNSt15iterator_traitsISE_E10value_typeEPNSK_ISF_E10value_typeEPSG_NS1_7vsmem_tEENKUlT_SE_SF_SG_E_clIS8_S8_S9_S9_EESD_ST_SE_SF_SG_EUlST_E1_NS1_11comp_targetILNS1_3genE4ELNS1_11target_archE910ELNS1_3gpuE8ELNS1_3repE0EEENS1_36merge_oddeven_config_static_selectorELNS0_4arch9wavefront6targetE1EEEvSF_
                                        ; -- End function
	.section	.AMDGPU.csdata,"",@progbits
; Kernel info:
; codeLenInByte = 504
; NumSgprs: 24
; NumVgprs: 8
; NumAgprs: 0
; TotalNumVgprs: 8
; ScratchSize: 0
; MemoryBound: 0
; FloatMode: 240
; IeeeMode: 1
; LDSByteSize: 0 bytes/workgroup (compile time only)
; SGPRBlocks: 2
; VGPRBlocks: 0
; NumSGPRsForWavesPerEU: 24
; NumVGPRsForWavesPerEU: 8
; AccumOffset: 8
; Occupancy: 8
; WaveLimiterHint : 0
; COMPUTE_PGM_RSRC2:SCRATCH_EN: 0
; COMPUTE_PGM_RSRC2:USER_SGPR: 6
; COMPUTE_PGM_RSRC2:TRAP_HANDLER: 0
; COMPUTE_PGM_RSRC2:TGID_X_EN: 1
; COMPUTE_PGM_RSRC2:TGID_Y_EN: 0
; COMPUTE_PGM_RSRC2:TGID_Z_EN: 0
; COMPUTE_PGM_RSRC2:TIDIG_COMP_CNT: 0
; COMPUTE_PGM_RSRC3_GFX90A:ACCUM_OFFSET: 1
; COMPUTE_PGM_RSRC3_GFX90A:TG_SPLIT: 0
	.section	.text._ZN7rocprim17ROCPRIM_400000_NS6detail17trampoline_kernelINS0_14default_configENS1_38merge_sort_block_merge_config_selectorIaNS0_10empty_typeEEEZZNS1_27merge_sort_block_merge_implIS3_PaPS5_jNS1_19radix_merge_compareILb0ELb0EaNS0_19identity_decomposerEEEEE10hipError_tT0_T1_T2_jT3_P12ihipStream_tbPNSt15iterator_traitsISE_E10value_typeEPNSK_ISF_E10value_typeEPSG_NS1_7vsmem_tEENKUlT_SE_SF_SG_E_clIS8_S8_S9_S9_EESD_ST_SE_SF_SG_EUlST_E1_NS1_11comp_targetILNS1_3genE3ELNS1_11target_archE908ELNS1_3gpuE7ELNS1_3repE0EEENS1_36merge_oddeven_config_static_selectorELNS0_4arch9wavefront6targetE1EEEvSF_,"axG",@progbits,_ZN7rocprim17ROCPRIM_400000_NS6detail17trampoline_kernelINS0_14default_configENS1_38merge_sort_block_merge_config_selectorIaNS0_10empty_typeEEEZZNS1_27merge_sort_block_merge_implIS3_PaPS5_jNS1_19radix_merge_compareILb0ELb0EaNS0_19identity_decomposerEEEEE10hipError_tT0_T1_T2_jT3_P12ihipStream_tbPNSt15iterator_traitsISE_E10value_typeEPNSK_ISF_E10value_typeEPSG_NS1_7vsmem_tEENKUlT_SE_SF_SG_E_clIS8_S8_S9_S9_EESD_ST_SE_SF_SG_EUlST_E1_NS1_11comp_targetILNS1_3genE3ELNS1_11target_archE908ELNS1_3gpuE7ELNS1_3repE0EEENS1_36merge_oddeven_config_static_selectorELNS0_4arch9wavefront6targetE1EEEvSF_,comdat
	.protected	_ZN7rocprim17ROCPRIM_400000_NS6detail17trampoline_kernelINS0_14default_configENS1_38merge_sort_block_merge_config_selectorIaNS0_10empty_typeEEEZZNS1_27merge_sort_block_merge_implIS3_PaPS5_jNS1_19radix_merge_compareILb0ELb0EaNS0_19identity_decomposerEEEEE10hipError_tT0_T1_T2_jT3_P12ihipStream_tbPNSt15iterator_traitsISE_E10value_typeEPNSK_ISF_E10value_typeEPSG_NS1_7vsmem_tEENKUlT_SE_SF_SG_E_clIS8_S8_S9_S9_EESD_ST_SE_SF_SG_EUlST_E1_NS1_11comp_targetILNS1_3genE3ELNS1_11target_archE908ELNS1_3gpuE7ELNS1_3repE0EEENS1_36merge_oddeven_config_static_selectorELNS0_4arch9wavefront6targetE1EEEvSF_ ; -- Begin function _ZN7rocprim17ROCPRIM_400000_NS6detail17trampoline_kernelINS0_14default_configENS1_38merge_sort_block_merge_config_selectorIaNS0_10empty_typeEEEZZNS1_27merge_sort_block_merge_implIS3_PaPS5_jNS1_19radix_merge_compareILb0ELb0EaNS0_19identity_decomposerEEEEE10hipError_tT0_T1_T2_jT3_P12ihipStream_tbPNSt15iterator_traitsISE_E10value_typeEPNSK_ISF_E10value_typeEPSG_NS1_7vsmem_tEENKUlT_SE_SF_SG_E_clIS8_S8_S9_S9_EESD_ST_SE_SF_SG_EUlST_E1_NS1_11comp_targetILNS1_3genE3ELNS1_11target_archE908ELNS1_3gpuE7ELNS1_3repE0EEENS1_36merge_oddeven_config_static_selectorELNS0_4arch9wavefront6targetE1EEEvSF_
	.globl	_ZN7rocprim17ROCPRIM_400000_NS6detail17trampoline_kernelINS0_14default_configENS1_38merge_sort_block_merge_config_selectorIaNS0_10empty_typeEEEZZNS1_27merge_sort_block_merge_implIS3_PaPS5_jNS1_19radix_merge_compareILb0ELb0EaNS0_19identity_decomposerEEEEE10hipError_tT0_T1_T2_jT3_P12ihipStream_tbPNSt15iterator_traitsISE_E10value_typeEPNSK_ISF_E10value_typeEPSG_NS1_7vsmem_tEENKUlT_SE_SF_SG_E_clIS8_S8_S9_S9_EESD_ST_SE_SF_SG_EUlST_E1_NS1_11comp_targetILNS1_3genE3ELNS1_11target_archE908ELNS1_3gpuE7ELNS1_3repE0EEENS1_36merge_oddeven_config_static_selectorELNS0_4arch9wavefront6targetE1EEEvSF_
	.p2align	8
	.type	_ZN7rocprim17ROCPRIM_400000_NS6detail17trampoline_kernelINS0_14default_configENS1_38merge_sort_block_merge_config_selectorIaNS0_10empty_typeEEEZZNS1_27merge_sort_block_merge_implIS3_PaPS5_jNS1_19radix_merge_compareILb0ELb0EaNS0_19identity_decomposerEEEEE10hipError_tT0_T1_T2_jT3_P12ihipStream_tbPNSt15iterator_traitsISE_E10value_typeEPNSK_ISF_E10value_typeEPSG_NS1_7vsmem_tEENKUlT_SE_SF_SG_E_clIS8_S8_S9_S9_EESD_ST_SE_SF_SG_EUlST_E1_NS1_11comp_targetILNS1_3genE3ELNS1_11target_archE908ELNS1_3gpuE7ELNS1_3repE0EEENS1_36merge_oddeven_config_static_selectorELNS0_4arch9wavefront6targetE1EEEvSF_,@function
_ZN7rocprim17ROCPRIM_400000_NS6detail17trampoline_kernelINS0_14default_configENS1_38merge_sort_block_merge_config_selectorIaNS0_10empty_typeEEEZZNS1_27merge_sort_block_merge_implIS3_PaPS5_jNS1_19radix_merge_compareILb0ELb0EaNS0_19identity_decomposerEEEEE10hipError_tT0_T1_T2_jT3_P12ihipStream_tbPNSt15iterator_traitsISE_E10value_typeEPNSK_ISF_E10value_typeEPSG_NS1_7vsmem_tEENKUlT_SE_SF_SG_E_clIS8_S8_S9_S9_EESD_ST_SE_SF_SG_EUlST_E1_NS1_11comp_targetILNS1_3genE3ELNS1_11target_archE908ELNS1_3gpuE7ELNS1_3repE0EEENS1_36merge_oddeven_config_static_selectorELNS0_4arch9wavefront6targetE1EEEvSF_: ; @_ZN7rocprim17ROCPRIM_400000_NS6detail17trampoline_kernelINS0_14default_configENS1_38merge_sort_block_merge_config_selectorIaNS0_10empty_typeEEEZZNS1_27merge_sort_block_merge_implIS3_PaPS5_jNS1_19radix_merge_compareILb0ELb0EaNS0_19identity_decomposerEEEEE10hipError_tT0_T1_T2_jT3_P12ihipStream_tbPNSt15iterator_traitsISE_E10value_typeEPNSK_ISF_E10value_typeEPSG_NS1_7vsmem_tEENKUlT_SE_SF_SG_E_clIS8_S8_S9_S9_EESD_ST_SE_SF_SG_EUlST_E1_NS1_11comp_targetILNS1_3genE3ELNS1_11target_archE908ELNS1_3gpuE7ELNS1_3repE0EEENS1_36merge_oddeven_config_static_selectorELNS0_4arch9wavefront6targetE1EEEvSF_
; %bb.0:
	.section	.rodata,"a",@progbits
	.p2align	6, 0x0
	.amdhsa_kernel _ZN7rocprim17ROCPRIM_400000_NS6detail17trampoline_kernelINS0_14default_configENS1_38merge_sort_block_merge_config_selectorIaNS0_10empty_typeEEEZZNS1_27merge_sort_block_merge_implIS3_PaPS5_jNS1_19radix_merge_compareILb0ELb0EaNS0_19identity_decomposerEEEEE10hipError_tT0_T1_T2_jT3_P12ihipStream_tbPNSt15iterator_traitsISE_E10value_typeEPNSK_ISF_E10value_typeEPSG_NS1_7vsmem_tEENKUlT_SE_SF_SG_E_clIS8_S8_S9_S9_EESD_ST_SE_SF_SG_EUlST_E1_NS1_11comp_targetILNS1_3genE3ELNS1_11target_archE908ELNS1_3gpuE7ELNS1_3repE0EEENS1_36merge_oddeven_config_static_selectorELNS0_4arch9wavefront6targetE1EEEvSF_
		.amdhsa_group_segment_fixed_size 0
		.amdhsa_private_segment_fixed_size 0
		.amdhsa_kernarg_size 48
		.amdhsa_user_sgpr_count 6
		.amdhsa_user_sgpr_private_segment_buffer 1
		.amdhsa_user_sgpr_dispatch_ptr 0
		.amdhsa_user_sgpr_queue_ptr 0
		.amdhsa_user_sgpr_kernarg_segment_ptr 1
		.amdhsa_user_sgpr_dispatch_id 0
		.amdhsa_user_sgpr_flat_scratch_init 0
		.amdhsa_user_sgpr_kernarg_preload_length 0
		.amdhsa_user_sgpr_kernarg_preload_offset 0
		.amdhsa_user_sgpr_private_segment_size 0
		.amdhsa_uses_dynamic_stack 0
		.amdhsa_system_sgpr_private_segment_wavefront_offset 0
		.amdhsa_system_sgpr_workgroup_id_x 1
		.amdhsa_system_sgpr_workgroup_id_y 0
		.amdhsa_system_sgpr_workgroup_id_z 0
		.amdhsa_system_sgpr_workgroup_info 0
		.amdhsa_system_vgpr_workitem_id 0
		.amdhsa_next_free_vgpr 1
		.amdhsa_next_free_sgpr 0
		.amdhsa_accum_offset 4
		.amdhsa_reserve_vcc 0
		.amdhsa_reserve_flat_scratch 0
		.amdhsa_float_round_mode_32 0
		.amdhsa_float_round_mode_16_64 0
		.amdhsa_float_denorm_mode_32 3
		.amdhsa_float_denorm_mode_16_64 3
		.amdhsa_dx10_clamp 1
		.amdhsa_ieee_mode 1
		.amdhsa_fp16_overflow 0
		.amdhsa_tg_split 0
		.amdhsa_exception_fp_ieee_invalid_op 0
		.amdhsa_exception_fp_denorm_src 0
		.amdhsa_exception_fp_ieee_div_zero 0
		.amdhsa_exception_fp_ieee_overflow 0
		.amdhsa_exception_fp_ieee_underflow 0
		.amdhsa_exception_fp_ieee_inexact 0
		.amdhsa_exception_int_div_zero 0
	.end_amdhsa_kernel
	.section	.text._ZN7rocprim17ROCPRIM_400000_NS6detail17trampoline_kernelINS0_14default_configENS1_38merge_sort_block_merge_config_selectorIaNS0_10empty_typeEEEZZNS1_27merge_sort_block_merge_implIS3_PaPS5_jNS1_19radix_merge_compareILb0ELb0EaNS0_19identity_decomposerEEEEE10hipError_tT0_T1_T2_jT3_P12ihipStream_tbPNSt15iterator_traitsISE_E10value_typeEPNSK_ISF_E10value_typeEPSG_NS1_7vsmem_tEENKUlT_SE_SF_SG_E_clIS8_S8_S9_S9_EESD_ST_SE_SF_SG_EUlST_E1_NS1_11comp_targetILNS1_3genE3ELNS1_11target_archE908ELNS1_3gpuE7ELNS1_3repE0EEENS1_36merge_oddeven_config_static_selectorELNS0_4arch9wavefront6targetE1EEEvSF_,"axG",@progbits,_ZN7rocprim17ROCPRIM_400000_NS6detail17trampoline_kernelINS0_14default_configENS1_38merge_sort_block_merge_config_selectorIaNS0_10empty_typeEEEZZNS1_27merge_sort_block_merge_implIS3_PaPS5_jNS1_19radix_merge_compareILb0ELb0EaNS0_19identity_decomposerEEEEE10hipError_tT0_T1_T2_jT3_P12ihipStream_tbPNSt15iterator_traitsISE_E10value_typeEPNSK_ISF_E10value_typeEPSG_NS1_7vsmem_tEENKUlT_SE_SF_SG_E_clIS8_S8_S9_S9_EESD_ST_SE_SF_SG_EUlST_E1_NS1_11comp_targetILNS1_3genE3ELNS1_11target_archE908ELNS1_3gpuE7ELNS1_3repE0EEENS1_36merge_oddeven_config_static_selectorELNS0_4arch9wavefront6targetE1EEEvSF_,comdat
.Lfunc_end156:
	.size	_ZN7rocprim17ROCPRIM_400000_NS6detail17trampoline_kernelINS0_14default_configENS1_38merge_sort_block_merge_config_selectorIaNS0_10empty_typeEEEZZNS1_27merge_sort_block_merge_implIS3_PaPS5_jNS1_19radix_merge_compareILb0ELb0EaNS0_19identity_decomposerEEEEE10hipError_tT0_T1_T2_jT3_P12ihipStream_tbPNSt15iterator_traitsISE_E10value_typeEPNSK_ISF_E10value_typeEPSG_NS1_7vsmem_tEENKUlT_SE_SF_SG_E_clIS8_S8_S9_S9_EESD_ST_SE_SF_SG_EUlST_E1_NS1_11comp_targetILNS1_3genE3ELNS1_11target_archE908ELNS1_3gpuE7ELNS1_3repE0EEENS1_36merge_oddeven_config_static_selectorELNS0_4arch9wavefront6targetE1EEEvSF_, .Lfunc_end156-_ZN7rocprim17ROCPRIM_400000_NS6detail17trampoline_kernelINS0_14default_configENS1_38merge_sort_block_merge_config_selectorIaNS0_10empty_typeEEEZZNS1_27merge_sort_block_merge_implIS3_PaPS5_jNS1_19radix_merge_compareILb0ELb0EaNS0_19identity_decomposerEEEEE10hipError_tT0_T1_T2_jT3_P12ihipStream_tbPNSt15iterator_traitsISE_E10value_typeEPNSK_ISF_E10value_typeEPSG_NS1_7vsmem_tEENKUlT_SE_SF_SG_E_clIS8_S8_S9_S9_EESD_ST_SE_SF_SG_EUlST_E1_NS1_11comp_targetILNS1_3genE3ELNS1_11target_archE908ELNS1_3gpuE7ELNS1_3repE0EEENS1_36merge_oddeven_config_static_selectorELNS0_4arch9wavefront6targetE1EEEvSF_
                                        ; -- End function
	.section	.AMDGPU.csdata,"",@progbits
; Kernel info:
; codeLenInByte = 0
; NumSgprs: 4
; NumVgprs: 0
; NumAgprs: 0
; TotalNumVgprs: 0
; ScratchSize: 0
; MemoryBound: 0
; FloatMode: 240
; IeeeMode: 1
; LDSByteSize: 0 bytes/workgroup (compile time only)
; SGPRBlocks: 0
; VGPRBlocks: 0
; NumSGPRsForWavesPerEU: 4
; NumVGPRsForWavesPerEU: 1
; AccumOffset: 4
; Occupancy: 8
; WaveLimiterHint : 0
; COMPUTE_PGM_RSRC2:SCRATCH_EN: 0
; COMPUTE_PGM_RSRC2:USER_SGPR: 6
; COMPUTE_PGM_RSRC2:TRAP_HANDLER: 0
; COMPUTE_PGM_RSRC2:TGID_X_EN: 1
; COMPUTE_PGM_RSRC2:TGID_Y_EN: 0
; COMPUTE_PGM_RSRC2:TGID_Z_EN: 0
; COMPUTE_PGM_RSRC2:TIDIG_COMP_CNT: 0
; COMPUTE_PGM_RSRC3_GFX90A:ACCUM_OFFSET: 0
; COMPUTE_PGM_RSRC3_GFX90A:TG_SPLIT: 0
	.section	.text._ZN7rocprim17ROCPRIM_400000_NS6detail17trampoline_kernelINS0_14default_configENS1_38merge_sort_block_merge_config_selectorIaNS0_10empty_typeEEEZZNS1_27merge_sort_block_merge_implIS3_PaPS5_jNS1_19radix_merge_compareILb0ELb0EaNS0_19identity_decomposerEEEEE10hipError_tT0_T1_T2_jT3_P12ihipStream_tbPNSt15iterator_traitsISE_E10value_typeEPNSK_ISF_E10value_typeEPSG_NS1_7vsmem_tEENKUlT_SE_SF_SG_E_clIS8_S8_S9_S9_EESD_ST_SE_SF_SG_EUlST_E1_NS1_11comp_targetILNS1_3genE2ELNS1_11target_archE906ELNS1_3gpuE6ELNS1_3repE0EEENS1_36merge_oddeven_config_static_selectorELNS0_4arch9wavefront6targetE1EEEvSF_,"axG",@progbits,_ZN7rocprim17ROCPRIM_400000_NS6detail17trampoline_kernelINS0_14default_configENS1_38merge_sort_block_merge_config_selectorIaNS0_10empty_typeEEEZZNS1_27merge_sort_block_merge_implIS3_PaPS5_jNS1_19radix_merge_compareILb0ELb0EaNS0_19identity_decomposerEEEEE10hipError_tT0_T1_T2_jT3_P12ihipStream_tbPNSt15iterator_traitsISE_E10value_typeEPNSK_ISF_E10value_typeEPSG_NS1_7vsmem_tEENKUlT_SE_SF_SG_E_clIS8_S8_S9_S9_EESD_ST_SE_SF_SG_EUlST_E1_NS1_11comp_targetILNS1_3genE2ELNS1_11target_archE906ELNS1_3gpuE6ELNS1_3repE0EEENS1_36merge_oddeven_config_static_selectorELNS0_4arch9wavefront6targetE1EEEvSF_,comdat
	.protected	_ZN7rocprim17ROCPRIM_400000_NS6detail17trampoline_kernelINS0_14default_configENS1_38merge_sort_block_merge_config_selectorIaNS0_10empty_typeEEEZZNS1_27merge_sort_block_merge_implIS3_PaPS5_jNS1_19radix_merge_compareILb0ELb0EaNS0_19identity_decomposerEEEEE10hipError_tT0_T1_T2_jT3_P12ihipStream_tbPNSt15iterator_traitsISE_E10value_typeEPNSK_ISF_E10value_typeEPSG_NS1_7vsmem_tEENKUlT_SE_SF_SG_E_clIS8_S8_S9_S9_EESD_ST_SE_SF_SG_EUlST_E1_NS1_11comp_targetILNS1_3genE2ELNS1_11target_archE906ELNS1_3gpuE6ELNS1_3repE0EEENS1_36merge_oddeven_config_static_selectorELNS0_4arch9wavefront6targetE1EEEvSF_ ; -- Begin function _ZN7rocprim17ROCPRIM_400000_NS6detail17trampoline_kernelINS0_14default_configENS1_38merge_sort_block_merge_config_selectorIaNS0_10empty_typeEEEZZNS1_27merge_sort_block_merge_implIS3_PaPS5_jNS1_19radix_merge_compareILb0ELb0EaNS0_19identity_decomposerEEEEE10hipError_tT0_T1_T2_jT3_P12ihipStream_tbPNSt15iterator_traitsISE_E10value_typeEPNSK_ISF_E10value_typeEPSG_NS1_7vsmem_tEENKUlT_SE_SF_SG_E_clIS8_S8_S9_S9_EESD_ST_SE_SF_SG_EUlST_E1_NS1_11comp_targetILNS1_3genE2ELNS1_11target_archE906ELNS1_3gpuE6ELNS1_3repE0EEENS1_36merge_oddeven_config_static_selectorELNS0_4arch9wavefront6targetE1EEEvSF_
	.globl	_ZN7rocprim17ROCPRIM_400000_NS6detail17trampoline_kernelINS0_14default_configENS1_38merge_sort_block_merge_config_selectorIaNS0_10empty_typeEEEZZNS1_27merge_sort_block_merge_implIS3_PaPS5_jNS1_19radix_merge_compareILb0ELb0EaNS0_19identity_decomposerEEEEE10hipError_tT0_T1_T2_jT3_P12ihipStream_tbPNSt15iterator_traitsISE_E10value_typeEPNSK_ISF_E10value_typeEPSG_NS1_7vsmem_tEENKUlT_SE_SF_SG_E_clIS8_S8_S9_S9_EESD_ST_SE_SF_SG_EUlST_E1_NS1_11comp_targetILNS1_3genE2ELNS1_11target_archE906ELNS1_3gpuE6ELNS1_3repE0EEENS1_36merge_oddeven_config_static_selectorELNS0_4arch9wavefront6targetE1EEEvSF_
	.p2align	8
	.type	_ZN7rocprim17ROCPRIM_400000_NS6detail17trampoline_kernelINS0_14default_configENS1_38merge_sort_block_merge_config_selectorIaNS0_10empty_typeEEEZZNS1_27merge_sort_block_merge_implIS3_PaPS5_jNS1_19radix_merge_compareILb0ELb0EaNS0_19identity_decomposerEEEEE10hipError_tT0_T1_T2_jT3_P12ihipStream_tbPNSt15iterator_traitsISE_E10value_typeEPNSK_ISF_E10value_typeEPSG_NS1_7vsmem_tEENKUlT_SE_SF_SG_E_clIS8_S8_S9_S9_EESD_ST_SE_SF_SG_EUlST_E1_NS1_11comp_targetILNS1_3genE2ELNS1_11target_archE906ELNS1_3gpuE6ELNS1_3repE0EEENS1_36merge_oddeven_config_static_selectorELNS0_4arch9wavefront6targetE1EEEvSF_,@function
_ZN7rocprim17ROCPRIM_400000_NS6detail17trampoline_kernelINS0_14default_configENS1_38merge_sort_block_merge_config_selectorIaNS0_10empty_typeEEEZZNS1_27merge_sort_block_merge_implIS3_PaPS5_jNS1_19radix_merge_compareILb0ELb0EaNS0_19identity_decomposerEEEEE10hipError_tT0_T1_T2_jT3_P12ihipStream_tbPNSt15iterator_traitsISE_E10value_typeEPNSK_ISF_E10value_typeEPSG_NS1_7vsmem_tEENKUlT_SE_SF_SG_E_clIS8_S8_S9_S9_EESD_ST_SE_SF_SG_EUlST_E1_NS1_11comp_targetILNS1_3genE2ELNS1_11target_archE906ELNS1_3gpuE6ELNS1_3repE0EEENS1_36merge_oddeven_config_static_selectorELNS0_4arch9wavefront6targetE1EEEvSF_: ; @_ZN7rocprim17ROCPRIM_400000_NS6detail17trampoline_kernelINS0_14default_configENS1_38merge_sort_block_merge_config_selectorIaNS0_10empty_typeEEEZZNS1_27merge_sort_block_merge_implIS3_PaPS5_jNS1_19radix_merge_compareILb0ELb0EaNS0_19identity_decomposerEEEEE10hipError_tT0_T1_T2_jT3_P12ihipStream_tbPNSt15iterator_traitsISE_E10value_typeEPNSK_ISF_E10value_typeEPSG_NS1_7vsmem_tEENKUlT_SE_SF_SG_E_clIS8_S8_S9_S9_EESD_ST_SE_SF_SG_EUlST_E1_NS1_11comp_targetILNS1_3genE2ELNS1_11target_archE906ELNS1_3gpuE6ELNS1_3repE0EEENS1_36merge_oddeven_config_static_selectorELNS0_4arch9wavefront6targetE1EEEvSF_
; %bb.0:
	.section	.rodata,"a",@progbits
	.p2align	6, 0x0
	.amdhsa_kernel _ZN7rocprim17ROCPRIM_400000_NS6detail17trampoline_kernelINS0_14default_configENS1_38merge_sort_block_merge_config_selectorIaNS0_10empty_typeEEEZZNS1_27merge_sort_block_merge_implIS3_PaPS5_jNS1_19radix_merge_compareILb0ELb0EaNS0_19identity_decomposerEEEEE10hipError_tT0_T1_T2_jT3_P12ihipStream_tbPNSt15iterator_traitsISE_E10value_typeEPNSK_ISF_E10value_typeEPSG_NS1_7vsmem_tEENKUlT_SE_SF_SG_E_clIS8_S8_S9_S9_EESD_ST_SE_SF_SG_EUlST_E1_NS1_11comp_targetILNS1_3genE2ELNS1_11target_archE906ELNS1_3gpuE6ELNS1_3repE0EEENS1_36merge_oddeven_config_static_selectorELNS0_4arch9wavefront6targetE1EEEvSF_
		.amdhsa_group_segment_fixed_size 0
		.amdhsa_private_segment_fixed_size 0
		.amdhsa_kernarg_size 48
		.amdhsa_user_sgpr_count 6
		.amdhsa_user_sgpr_private_segment_buffer 1
		.amdhsa_user_sgpr_dispatch_ptr 0
		.amdhsa_user_sgpr_queue_ptr 0
		.amdhsa_user_sgpr_kernarg_segment_ptr 1
		.amdhsa_user_sgpr_dispatch_id 0
		.amdhsa_user_sgpr_flat_scratch_init 0
		.amdhsa_user_sgpr_kernarg_preload_length 0
		.amdhsa_user_sgpr_kernarg_preload_offset 0
		.amdhsa_user_sgpr_private_segment_size 0
		.amdhsa_uses_dynamic_stack 0
		.amdhsa_system_sgpr_private_segment_wavefront_offset 0
		.amdhsa_system_sgpr_workgroup_id_x 1
		.amdhsa_system_sgpr_workgroup_id_y 0
		.amdhsa_system_sgpr_workgroup_id_z 0
		.amdhsa_system_sgpr_workgroup_info 0
		.amdhsa_system_vgpr_workitem_id 0
		.amdhsa_next_free_vgpr 1
		.amdhsa_next_free_sgpr 0
		.amdhsa_accum_offset 4
		.amdhsa_reserve_vcc 0
		.amdhsa_reserve_flat_scratch 0
		.amdhsa_float_round_mode_32 0
		.amdhsa_float_round_mode_16_64 0
		.amdhsa_float_denorm_mode_32 3
		.amdhsa_float_denorm_mode_16_64 3
		.amdhsa_dx10_clamp 1
		.amdhsa_ieee_mode 1
		.amdhsa_fp16_overflow 0
		.amdhsa_tg_split 0
		.amdhsa_exception_fp_ieee_invalid_op 0
		.amdhsa_exception_fp_denorm_src 0
		.amdhsa_exception_fp_ieee_div_zero 0
		.amdhsa_exception_fp_ieee_overflow 0
		.amdhsa_exception_fp_ieee_underflow 0
		.amdhsa_exception_fp_ieee_inexact 0
		.amdhsa_exception_int_div_zero 0
	.end_amdhsa_kernel
	.section	.text._ZN7rocprim17ROCPRIM_400000_NS6detail17trampoline_kernelINS0_14default_configENS1_38merge_sort_block_merge_config_selectorIaNS0_10empty_typeEEEZZNS1_27merge_sort_block_merge_implIS3_PaPS5_jNS1_19radix_merge_compareILb0ELb0EaNS0_19identity_decomposerEEEEE10hipError_tT0_T1_T2_jT3_P12ihipStream_tbPNSt15iterator_traitsISE_E10value_typeEPNSK_ISF_E10value_typeEPSG_NS1_7vsmem_tEENKUlT_SE_SF_SG_E_clIS8_S8_S9_S9_EESD_ST_SE_SF_SG_EUlST_E1_NS1_11comp_targetILNS1_3genE2ELNS1_11target_archE906ELNS1_3gpuE6ELNS1_3repE0EEENS1_36merge_oddeven_config_static_selectorELNS0_4arch9wavefront6targetE1EEEvSF_,"axG",@progbits,_ZN7rocprim17ROCPRIM_400000_NS6detail17trampoline_kernelINS0_14default_configENS1_38merge_sort_block_merge_config_selectorIaNS0_10empty_typeEEEZZNS1_27merge_sort_block_merge_implIS3_PaPS5_jNS1_19radix_merge_compareILb0ELb0EaNS0_19identity_decomposerEEEEE10hipError_tT0_T1_T2_jT3_P12ihipStream_tbPNSt15iterator_traitsISE_E10value_typeEPNSK_ISF_E10value_typeEPSG_NS1_7vsmem_tEENKUlT_SE_SF_SG_E_clIS8_S8_S9_S9_EESD_ST_SE_SF_SG_EUlST_E1_NS1_11comp_targetILNS1_3genE2ELNS1_11target_archE906ELNS1_3gpuE6ELNS1_3repE0EEENS1_36merge_oddeven_config_static_selectorELNS0_4arch9wavefront6targetE1EEEvSF_,comdat
.Lfunc_end157:
	.size	_ZN7rocprim17ROCPRIM_400000_NS6detail17trampoline_kernelINS0_14default_configENS1_38merge_sort_block_merge_config_selectorIaNS0_10empty_typeEEEZZNS1_27merge_sort_block_merge_implIS3_PaPS5_jNS1_19radix_merge_compareILb0ELb0EaNS0_19identity_decomposerEEEEE10hipError_tT0_T1_T2_jT3_P12ihipStream_tbPNSt15iterator_traitsISE_E10value_typeEPNSK_ISF_E10value_typeEPSG_NS1_7vsmem_tEENKUlT_SE_SF_SG_E_clIS8_S8_S9_S9_EESD_ST_SE_SF_SG_EUlST_E1_NS1_11comp_targetILNS1_3genE2ELNS1_11target_archE906ELNS1_3gpuE6ELNS1_3repE0EEENS1_36merge_oddeven_config_static_selectorELNS0_4arch9wavefront6targetE1EEEvSF_, .Lfunc_end157-_ZN7rocprim17ROCPRIM_400000_NS6detail17trampoline_kernelINS0_14default_configENS1_38merge_sort_block_merge_config_selectorIaNS0_10empty_typeEEEZZNS1_27merge_sort_block_merge_implIS3_PaPS5_jNS1_19radix_merge_compareILb0ELb0EaNS0_19identity_decomposerEEEEE10hipError_tT0_T1_T2_jT3_P12ihipStream_tbPNSt15iterator_traitsISE_E10value_typeEPNSK_ISF_E10value_typeEPSG_NS1_7vsmem_tEENKUlT_SE_SF_SG_E_clIS8_S8_S9_S9_EESD_ST_SE_SF_SG_EUlST_E1_NS1_11comp_targetILNS1_3genE2ELNS1_11target_archE906ELNS1_3gpuE6ELNS1_3repE0EEENS1_36merge_oddeven_config_static_selectorELNS0_4arch9wavefront6targetE1EEEvSF_
                                        ; -- End function
	.section	.AMDGPU.csdata,"",@progbits
; Kernel info:
; codeLenInByte = 0
; NumSgprs: 4
; NumVgprs: 0
; NumAgprs: 0
; TotalNumVgprs: 0
; ScratchSize: 0
; MemoryBound: 0
; FloatMode: 240
; IeeeMode: 1
; LDSByteSize: 0 bytes/workgroup (compile time only)
; SGPRBlocks: 0
; VGPRBlocks: 0
; NumSGPRsForWavesPerEU: 4
; NumVGPRsForWavesPerEU: 1
; AccumOffset: 4
; Occupancy: 8
; WaveLimiterHint : 0
; COMPUTE_PGM_RSRC2:SCRATCH_EN: 0
; COMPUTE_PGM_RSRC2:USER_SGPR: 6
; COMPUTE_PGM_RSRC2:TRAP_HANDLER: 0
; COMPUTE_PGM_RSRC2:TGID_X_EN: 1
; COMPUTE_PGM_RSRC2:TGID_Y_EN: 0
; COMPUTE_PGM_RSRC2:TGID_Z_EN: 0
; COMPUTE_PGM_RSRC2:TIDIG_COMP_CNT: 0
; COMPUTE_PGM_RSRC3_GFX90A:ACCUM_OFFSET: 0
; COMPUTE_PGM_RSRC3_GFX90A:TG_SPLIT: 0
	.section	.text._ZN7rocprim17ROCPRIM_400000_NS6detail17trampoline_kernelINS0_14default_configENS1_38merge_sort_block_merge_config_selectorIaNS0_10empty_typeEEEZZNS1_27merge_sort_block_merge_implIS3_PaPS5_jNS1_19radix_merge_compareILb0ELb0EaNS0_19identity_decomposerEEEEE10hipError_tT0_T1_T2_jT3_P12ihipStream_tbPNSt15iterator_traitsISE_E10value_typeEPNSK_ISF_E10value_typeEPSG_NS1_7vsmem_tEENKUlT_SE_SF_SG_E_clIS8_S8_S9_S9_EESD_ST_SE_SF_SG_EUlST_E1_NS1_11comp_targetILNS1_3genE9ELNS1_11target_archE1100ELNS1_3gpuE3ELNS1_3repE0EEENS1_36merge_oddeven_config_static_selectorELNS0_4arch9wavefront6targetE1EEEvSF_,"axG",@progbits,_ZN7rocprim17ROCPRIM_400000_NS6detail17trampoline_kernelINS0_14default_configENS1_38merge_sort_block_merge_config_selectorIaNS0_10empty_typeEEEZZNS1_27merge_sort_block_merge_implIS3_PaPS5_jNS1_19radix_merge_compareILb0ELb0EaNS0_19identity_decomposerEEEEE10hipError_tT0_T1_T2_jT3_P12ihipStream_tbPNSt15iterator_traitsISE_E10value_typeEPNSK_ISF_E10value_typeEPSG_NS1_7vsmem_tEENKUlT_SE_SF_SG_E_clIS8_S8_S9_S9_EESD_ST_SE_SF_SG_EUlST_E1_NS1_11comp_targetILNS1_3genE9ELNS1_11target_archE1100ELNS1_3gpuE3ELNS1_3repE0EEENS1_36merge_oddeven_config_static_selectorELNS0_4arch9wavefront6targetE1EEEvSF_,comdat
	.protected	_ZN7rocprim17ROCPRIM_400000_NS6detail17trampoline_kernelINS0_14default_configENS1_38merge_sort_block_merge_config_selectorIaNS0_10empty_typeEEEZZNS1_27merge_sort_block_merge_implIS3_PaPS5_jNS1_19radix_merge_compareILb0ELb0EaNS0_19identity_decomposerEEEEE10hipError_tT0_T1_T2_jT3_P12ihipStream_tbPNSt15iterator_traitsISE_E10value_typeEPNSK_ISF_E10value_typeEPSG_NS1_7vsmem_tEENKUlT_SE_SF_SG_E_clIS8_S8_S9_S9_EESD_ST_SE_SF_SG_EUlST_E1_NS1_11comp_targetILNS1_3genE9ELNS1_11target_archE1100ELNS1_3gpuE3ELNS1_3repE0EEENS1_36merge_oddeven_config_static_selectorELNS0_4arch9wavefront6targetE1EEEvSF_ ; -- Begin function _ZN7rocprim17ROCPRIM_400000_NS6detail17trampoline_kernelINS0_14default_configENS1_38merge_sort_block_merge_config_selectorIaNS0_10empty_typeEEEZZNS1_27merge_sort_block_merge_implIS3_PaPS5_jNS1_19radix_merge_compareILb0ELb0EaNS0_19identity_decomposerEEEEE10hipError_tT0_T1_T2_jT3_P12ihipStream_tbPNSt15iterator_traitsISE_E10value_typeEPNSK_ISF_E10value_typeEPSG_NS1_7vsmem_tEENKUlT_SE_SF_SG_E_clIS8_S8_S9_S9_EESD_ST_SE_SF_SG_EUlST_E1_NS1_11comp_targetILNS1_3genE9ELNS1_11target_archE1100ELNS1_3gpuE3ELNS1_3repE0EEENS1_36merge_oddeven_config_static_selectorELNS0_4arch9wavefront6targetE1EEEvSF_
	.globl	_ZN7rocprim17ROCPRIM_400000_NS6detail17trampoline_kernelINS0_14default_configENS1_38merge_sort_block_merge_config_selectorIaNS0_10empty_typeEEEZZNS1_27merge_sort_block_merge_implIS3_PaPS5_jNS1_19radix_merge_compareILb0ELb0EaNS0_19identity_decomposerEEEEE10hipError_tT0_T1_T2_jT3_P12ihipStream_tbPNSt15iterator_traitsISE_E10value_typeEPNSK_ISF_E10value_typeEPSG_NS1_7vsmem_tEENKUlT_SE_SF_SG_E_clIS8_S8_S9_S9_EESD_ST_SE_SF_SG_EUlST_E1_NS1_11comp_targetILNS1_3genE9ELNS1_11target_archE1100ELNS1_3gpuE3ELNS1_3repE0EEENS1_36merge_oddeven_config_static_selectorELNS0_4arch9wavefront6targetE1EEEvSF_
	.p2align	8
	.type	_ZN7rocprim17ROCPRIM_400000_NS6detail17trampoline_kernelINS0_14default_configENS1_38merge_sort_block_merge_config_selectorIaNS0_10empty_typeEEEZZNS1_27merge_sort_block_merge_implIS3_PaPS5_jNS1_19radix_merge_compareILb0ELb0EaNS0_19identity_decomposerEEEEE10hipError_tT0_T1_T2_jT3_P12ihipStream_tbPNSt15iterator_traitsISE_E10value_typeEPNSK_ISF_E10value_typeEPSG_NS1_7vsmem_tEENKUlT_SE_SF_SG_E_clIS8_S8_S9_S9_EESD_ST_SE_SF_SG_EUlST_E1_NS1_11comp_targetILNS1_3genE9ELNS1_11target_archE1100ELNS1_3gpuE3ELNS1_3repE0EEENS1_36merge_oddeven_config_static_selectorELNS0_4arch9wavefront6targetE1EEEvSF_,@function
_ZN7rocprim17ROCPRIM_400000_NS6detail17trampoline_kernelINS0_14default_configENS1_38merge_sort_block_merge_config_selectorIaNS0_10empty_typeEEEZZNS1_27merge_sort_block_merge_implIS3_PaPS5_jNS1_19radix_merge_compareILb0ELb0EaNS0_19identity_decomposerEEEEE10hipError_tT0_T1_T2_jT3_P12ihipStream_tbPNSt15iterator_traitsISE_E10value_typeEPNSK_ISF_E10value_typeEPSG_NS1_7vsmem_tEENKUlT_SE_SF_SG_E_clIS8_S8_S9_S9_EESD_ST_SE_SF_SG_EUlST_E1_NS1_11comp_targetILNS1_3genE9ELNS1_11target_archE1100ELNS1_3gpuE3ELNS1_3repE0EEENS1_36merge_oddeven_config_static_selectorELNS0_4arch9wavefront6targetE1EEEvSF_: ; @_ZN7rocprim17ROCPRIM_400000_NS6detail17trampoline_kernelINS0_14default_configENS1_38merge_sort_block_merge_config_selectorIaNS0_10empty_typeEEEZZNS1_27merge_sort_block_merge_implIS3_PaPS5_jNS1_19radix_merge_compareILb0ELb0EaNS0_19identity_decomposerEEEEE10hipError_tT0_T1_T2_jT3_P12ihipStream_tbPNSt15iterator_traitsISE_E10value_typeEPNSK_ISF_E10value_typeEPSG_NS1_7vsmem_tEENKUlT_SE_SF_SG_E_clIS8_S8_S9_S9_EESD_ST_SE_SF_SG_EUlST_E1_NS1_11comp_targetILNS1_3genE9ELNS1_11target_archE1100ELNS1_3gpuE3ELNS1_3repE0EEENS1_36merge_oddeven_config_static_selectorELNS0_4arch9wavefront6targetE1EEEvSF_
; %bb.0:
	.section	.rodata,"a",@progbits
	.p2align	6, 0x0
	.amdhsa_kernel _ZN7rocprim17ROCPRIM_400000_NS6detail17trampoline_kernelINS0_14default_configENS1_38merge_sort_block_merge_config_selectorIaNS0_10empty_typeEEEZZNS1_27merge_sort_block_merge_implIS3_PaPS5_jNS1_19radix_merge_compareILb0ELb0EaNS0_19identity_decomposerEEEEE10hipError_tT0_T1_T2_jT3_P12ihipStream_tbPNSt15iterator_traitsISE_E10value_typeEPNSK_ISF_E10value_typeEPSG_NS1_7vsmem_tEENKUlT_SE_SF_SG_E_clIS8_S8_S9_S9_EESD_ST_SE_SF_SG_EUlST_E1_NS1_11comp_targetILNS1_3genE9ELNS1_11target_archE1100ELNS1_3gpuE3ELNS1_3repE0EEENS1_36merge_oddeven_config_static_selectorELNS0_4arch9wavefront6targetE1EEEvSF_
		.amdhsa_group_segment_fixed_size 0
		.amdhsa_private_segment_fixed_size 0
		.amdhsa_kernarg_size 48
		.amdhsa_user_sgpr_count 6
		.amdhsa_user_sgpr_private_segment_buffer 1
		.amdhsa_user_sgpr_dispatch_ptr 0
		.amdhsa_user_sgpr_queue_ptr 0
		.amdhsa_user_sgpr_kernarg_segment_ptr 1
		.amdhsa_user_sgpr_dispatch_id 0
		.amdhsa_user_sgpr_flat_scratch_init 0
		.amdhsa_user_sgpr_kernarg_preload_length 0
		.amdhsa_user_sgpr_kernarg_preload_offset 0
		.amdhsa_user_sgpr_private_segment_size 0
		.amdhsa_uses_dynamic_stack 0
		.amdhsa_system_sgpr_private_segment_wavefront_offset 0
		.amdhsa_system_sgpr_workgroup_id_x 1
		.amdhsa_system_sgpr_workgroup_id_y 0
		.amdhsa_system_sgpr_workgroup_id_z 0
		.amdhsa_system_sgpr_workgroup_info 0
		.amdhsa_system_vgpr_workitem_id 0
		.amdhsa_next_free_vgpr 1
		.amdhsa_next_free_sgpr 0
		.amdhsa_accum_offset 4
		.amdhsa_reserve_vcc 0
		.amdhsa_reserve_flat_scratch 0
		.amdhsa_float_round_mode_32 0
		.amdhsa_float_round_mode_16_64 0
		.amdhsa_float_denorm_mode_32 3
		.amdhsa_float_denorm_mode_16_64 3
		.amdhsa_dx10_clamp 1
		.amdhsa_ieee_mode 1
		.amdhsa_fp16_overflow 0
		.amdhsa_tg_split 0
		.amdhsa_exception_fp_ieee_invalid_op 0
		.amdhsa_exception_fp_denorm_src 0
		.amdhsa_exception_fp_ieee_div_zero 0
		.amdhsa_exception_fp_ieee_overflow 0
		.amdhsa_exception_fp_ieee_underflow 0
		.amdhsa_exception_fp_ieee_inexact 0
		.amdhsa_exception_int_div_zero 0
	.end_amdhsa_kernel
	.section	.text._ZN7rocprim17ROCPRIM_400000_NS6detail17trampoline_kernelINS0_14default_configENS1_38merge_sort_block_merge_config_selectorIaNS0_10empty_typeEEEZZNS1_27merge_sort_block_merge_implIS3_PaPS5_jNS1_19radix_merge_compareILb0ELb0EaNS0_19identity_decomposerEEEEE10hipError_tT0_T1_T2_jT3_P12ihipStream_tbPNSt15iterator_traitsISE_E10value_typeEPNSK_ISF_E10value_typeEPSG_NS1_7vsmem_tEENKUlT_SE_SF_SG_E_clIS8_S8_S9_S9_EESD_ST_SE_SF_SG_EUlST_E1_NS1_11comp_targetILNS1_3genE9ELNS1_11target_archE1100ELNS1_3gpuE3ELNS1_3repE0EEENS1_36merge_oddeven_config_static_selectorELNS0_4arch9wavefront6targetE1EEEvSF_,"axG",@progbits,_ZN7rocprim17ROCPRIM_400000_NS6detail17trampoline_kernelINS0_14default_configENS1_38merge_sort_block_merge_config_selectorIaNS0_10empty_typeEEEZZNS1_27merge_sort_block_merge_implIS3_PaPS5_jNS1_19radix_merge_compareILb0ELb0EaNS0_19identity_decomposerEEEEE10hipError_tT0_T1_T2_jT3_P12ihipStream_tbPNSt15iterator_traitsISE_E10value_typeEPNSK_ISF_E10value_typeEPSG_NS1_7vsmem_tEENKUlT_SE_SF_SG_E_clIS8_S8_S9_S9_EESD_ST_SE_SF_SG_EUlST_E1_NS1_11comp_targetILNS1_3genE9ELNS1_11target_archE1100ELNS1_3gpuE3ELNS1_3repE0EEENS1_36merge_oddeven_config_static_selectorELNS0_4arch9wavefront6targetE1EEEvSF_,comdat
.Lfunc_end158:
	.size	_ZN7rocprim17ROCPRIM_400000_NS6detail17trampoline_kernelINS0_14default_configENS1_38merge_sort_block_merge_config_selectorIaNS0_10empty_typeEEEZZNS1_27merge_sort_block_merge_implIS3_PaPS5_jNS1_19radix_merge_compareILb0ELb0EaNS0_19identity_decomposerEEEEE10hipError_tT0_T1_T2_jT3_P12ihipStream_tbPNSt15iterator_traitsISE_E10value_typeEPNSK_ISF_E10value_typeEPSG_NS1_7vsmem_tEENKUlT_SE_SF_SG_E_clIS8_S8_S9_S9_EESD_ST_SE_SF_SG_EUlST_E1_NS1_11comp_targetILNS1_3genE9ELNS1_11target_archE1100ELNS1_3gpuE3ELNS1_3repE0EEENS1_36merge_oddeven_config_static_selectorELNS0_4arch9wavefront6targetE1EEEvSF_, .Lfunc_end158-_ZN7rocprim17ROCPRIM_400000_NS6detail17trampoline_kernelINS0_14default_configENS1_38merge_sort_block_merge_config_selectorIaNS0_10empty_typeEEEZZNS1_27merge_sort_block_merge_implIS3_PaPS5_jNS1_19radix_merge_compareILb0ELb0EaNS0_19identity_decomposerEEEEE10hipError_tT0_T1_T2_jT3_P12ihipStream_tbPNSt15iterator_traitsISE_E10value_typeEPNSK_ISF_E10value_typeEPSG_NS1_7vsmem_tEENKUlT_SE_SF_SG_E_clIS8_S8_S9_S9_EESD_ST_SE_SF_SG_EUlST_E1_NS1_11comp_targetILNS1_3genE9ELNS1_11target_archE1100ELNS1_3gpuE3ELNS1_3repE0EEENS1_36merge_oddeven_config_static_selectorELNS0_4arch9wavefront6targetE1EEEvSF_
                                        ; -- End function
	.section	.AMDGPU.csdata,"",@progbits
; Kernel info:
; codeLenInByte = 0
; NumSgprs: 4
; NumVgprs: 0
; NumAgprs: 0
; TotalNumVgprs: 0
; ScratchSize: 0
; MemoryBound: 0
; FloatMode: 240
; IeeeMode: 1
; LDSByteSize: 0 bytes/workgroup (compile time only)
; SGPRBlocks: 0
; VGPRBlocks: 0
; NumSGPRsForWavesPerEU: 4
; NumVGPRsForWavesPerEU: 1
; AccumOffset: 4
; Occupancy: 8
; WaveLimiterHint : 0
; COMPUTE_PGM_RSRC2:SCRATCH_EN: 0
; COMPUTE_PGM_RSRC2:USER_SGPR: 6
; COMPUTE_PGM_RSRC2:TRAP_HANDLER: 0
; COMPUTE_PGM_RSRC2:TGID_X_EN: 1
; COMPUTE_PGM_RSRC2:TGID_Y_EN: 0
; COMPUTE_PGM_RSRC2:TGID_Z_EN: 0
; COMPUTE_PGM_RSRC2:TIDIG_COMP_CNT: 0
; COMPUTE_PGM_RSRC3_GFX90A:ACCUM_OFFSET: 0
; COMPUTE_PGM_RSRC3_GFX90A:TG_SPLIT: 0
	.section	.text._ZN7rocprim17ROCPRIM_400000_NS6detail17trampoline_kernelINS0_14default_configENS1_38merge_sort_block_merge_config_selectorIaNS0_10empty_typeEEEZZNS1_27merge_sort_block_merge_implIS3_PaPS5_jNS1_19radix_merge_compareILb0ELb0EaNS0_19identity_decomposerEEEEE10hipError_tT0_T1_T2_jT3_P12ihipStream_tbPNSt15iterator_traitsISE_E10value_typeEPNSK_ISF_E10value_typeEPSG_NS1_7vsmem_tEENKUlT_SE_SF_SG_E_clIS8_S8_S9_S9_EESD_ST_SE_SF_SG_EUlST_E1_NS1_11comp_targetILNS1_3genE8ELNS1_11target_archE1030ELNS1_3gpuE2ELNS1_3repE0EEENS1_36merge_oddeven_config_static_selectorELNS0_4arch9wavefront6targetE1EEEvSF_,"axG",@progbits,_ZN7rocprim17ROCPRIM_400000_NS6detail17trampoline_kernelINS0_14default_configENS1_38merge_sort_block_merge_config_selectorIaNS0_10empty_typeEEEZZNS1_27merge_sort_block_merge_implIS3_PaPS5_jNS1_19radix_merge_compareILb0ELb0EaNS0_19identity_decomposerEEEEE10hipError_tT0_T1_T2_jT3_P12ihipStream_tbPNSt15iterator_traitsISE_E10value_typeEPNSK_ISF_E10value_typeEPSG_NS1_7vsmem_tEENKUlT_SE_SF_SG_E_clIS8_S8_S9_S9_EESD_ST_SE_SF_SG_EUlST_E1_NS1_11comp_targetILNS1_3genE8ELNS1_11target_archE1030ELNS1_3gpuE2ELNS1_3repE0EEENS1_36merge_oddeven_config_static_selectorELNS0_4arch9wavefront6targetE1EEEvSF_,comdat
	.protected	_ZN7rocprim17ROCPRIM_400000_NS6detail17trampoline_kernelINS0_14default_configENS1_38merge_sort_block_merge_config_selectorIaNS0_10empty_typeEEEZZNS1_27merge_sort_block_merge_implIS3_PaPS5_jNS1_19radix_merge_compareILb0ELb0EaNS0_19identity_decomposerEEEEE10hipError_tT0_T1_T2_jT3_P12ihipStream_tbPNSt15iterator_traitsISE_E10value_typeEPNSK_ISF_E10value_typeEPSG_NS1_7vsmem_tEENKUlT_SE_SF_SG_E_clIS8_S8_S9_S9_EESD_ST_SE_SF_SG_EUlST_E1_NS1_11comp_targetILNS1_3genE8ELNS1_11target_archE1030ELNS1_3gpuE2ELNS1_3repE0EEENS1_36merge_oddeven_config_static_selectorELNS0_4arch9wavefront6targetE1EEEvSF_ ; -- Begin function _ZN7rocprim17ROCPRIM_400000_NS6detail17trampoline_kernelINS0_14default_configENS1_38merge_sort_block_merge_config_selectorIaNS0_10empty_typeEEEZZNS1_27merge_sort_block_merge_implIS3_PaPS5_jNS1_19radix_merge_compareILb0ELb0EaNS0_19identity_decomposerEEEEE10hipError_tT0_T1_T2_jT3_P12ihipStream_tbPNSt15iterator_traitsISE_E10value_typeEPNSK_ISF_E10value_typeEPSG_NS1_7vsmem_tEENKUlT_SE_SF_SG_E_clIS8_S8_S9_S9_EESD_ST_SE_SF_SG_EUlST_E1_NS1_11comp_targetILNS1_3genE8ELNS1_11target_archE1030ELNS1_3gpuE2ELNS1_3repE0EEENS1_36merge_oddeven_config_static_selectorELNS0_4arch9wavefront6targetE1EEEvSF_
	.globl	_ZN7rocprim17ROCPRIM_400000_NS6detail17trampoline_kernelINS0_14default_configENS1_38merge_sort_block_merge_config_selectorIaNS0_10empty_typeEEEZZNS1_27merge_sort_block_merge_implIS3_PaPS5_jNS1_19radix_merge_compareILb0ELb0EaNS0_19identity_decomposerEEEEE10hipError_tT0_T1_T2_jT3_P12ihipStream_tbPNSt15iterator_traitsISE_E10value_typeEPNSK_ISF_E10value_typeEPSG_NS1_7vsmem_tEENKUlT_SE_SF_SG_E_clIS8_S8_S9_S9_EESD_ST_SE_SF_SG_EUlST_E1_NS1_11comp_targetILNS1_3genE8ELNS1_11target_archE1030ELNS1_3gpuE2ELNS1_3repE0EEENS1_36merge_oddeven_config_static_selectorELNS0_4arch9wavefront6targetE1EEEvSF_
	.p2align	8
	.type	_ZN7rocprim17ROCPRIM_400000_NS6detail17trampoline_kernelINS0_14default_configENS1_38merge_sort_block_merge_config_selectorIaNS0_10empty_typeEEEZZNS1_27merge_sort_block_merge_implIS3_PaPS5_jNS1_19radix_merge_compareILb0ELb0EaNS0_19identity_decomposerEEEEE10hipError_tT0_T1_T2_jT3_P12ihipStream_tbPNSt15iterator_traitsISE_E10value_typeEPNSK_ISF_E10value_typeEPSG_NS1_7vsmem_tEENKUlT_SE_SF_SG_E_clIS8_S8_S9_S9_EESD_ST_SE_SF_SG_EUlST_E1_NS1_11comp_targetILNS1_3genE8ELNS1_11target_archE1030ELNS1_3gpuE2ELNS1_3repE0EEENS1_36merge_oddeven_config_static_selectorELNS0_4arch9wavefront6targetE1EEEvSF_,@function
_ZN7rocprim17ROCPRIM_400000_NS6detail17trampoline_kernelINS0_14default_configENS1_38merge_sort_block_merge_config_selectorIaNS0_10empty_typeEEEZZNS1_27merge_sort_block_merge_implIS3_PaPS5_jNS1_19radix_merge_compareILb0ELb0EaNS0_19identity_decomposerEEEEE10hipError_tT0_T1_T2_jT3_P12ihipStream_tbPNSt15iterator_traitsISE_E10value_typeEPNSK_ISF_E10value_typeEPSG_NS1_7vsmem_tEENKUlT_SE_SF_SG_E_clIS8_S8_S9_S9_EESD_ST_SE_SF_SG_EUlST_E1_NS1_11comp_targetILNS1_3genE8ELNS1_11target_archE1030ELNS1_3gpuE2ELNS1_3repE0EEENS1_36merge_oddeven_config_static_selectorELNS0_4arch9wavefront6targetE1EEEvSF_: ; @_ZN7rocprim17ROCPRIM_400000_NS6detail17trampoline_kernelINS0_14default_configENS1_38merge_sort_block_merge_config_selectorIaNS0_10empty_typeEEEZZNS1_27merge_sort_block_merge_implIS3_PaPS5_jNS1_19radix_merge_compareILb0ELb0EaNS0_19identity_decomposerEEEEE10hipError_tT0_T1_T2_jT3_P12ihipStream_tbPNSt15iterator_traitsISE_E10value_typeEPNSK_ISF_E10value_typeEPSG_NS1_7vsmem_tEENKUlT_SE_SF_SG_E_clIS8_S8_S9_S9_EESD_ST_SE_SF_SG_EUlST_E1_NS1_11comp_targetILNS1_3genE8ELNS1_11target_archE1030ELNS1_3gpuE2ELNS1_3repE0EEENS1_36merge_oddeven_config_static_selectorELNS0_4arch9wavefront6targetE1EEEvSF_
; %bb.0:
	.section	.rodata,"a",@progbits
	.p2align	6, 0x0
	.amdhsa_kernel _ZN7rocprim17ROCPRIM_400000_NS6detail17trampoline_kernelINS0_14default_configENS1_38merge_sort_block_merge_config_selectorIaNS0_10empty_typeEEEZZNS1_27merge_sort_block_merge_implIS3_PaPS5_jNS1_19radix_merge_compareILb0ELb0EaNS0_19identity_decomposerEEEEE10hipError_tT0_T1_T2_jT3_P12ihipStream_tbPNSt15iterator_traitsISE_E10value_typeEPNSK_ISF_E10value_typeEPSG_NS1_7vsmem_tEENKUlT_SE_SF_SG_E_clIS8_S8_S9_S9_EESD_ST_SE_SF_SG_EUlST_E1_NS1_11comp_targetILNS1_3genE8ELNS1_11target_archE1030ELNS1_3gpuE2ELNS1_3repE0EEENS1_36merge_oddeven_config_static_selectorELNS0_4arch9wavefront6targetE1EEEvSF_
		.amdhsa_group_segment_fixed_size 0
		.amdhsa_private_segment_fixed_size 0
		.amdhsa_kernarg_size 48
		.amdhsa_user_sgpr_count 6
		.amdhsa_user_sgpr_private_segment_buffer 1
		.amdhsa_user_sgpr_dispatch_ptr 0
		.amdhsa_user_sgpr_queue_ptr 0
		.amdhsa_user_sgpr_kernarg_segment_ptr 1
		.amdhsa_user_sgpr_dispatch_id 0
		.amdhsa_user_sgpr_flat_scratch_init 0
		.amdhsa_user_sgpr_kernarg_preload_length 0
		.amdhsa_user_sgpr_kernarg_preload_offset 0
		.amdhsa_user_sgpr_private_segment_size 0
		.amdhsa_uses_dynamic_stack 0
		.amdhsa_system_sgpr_private_segment_wavefront_offset 0
		.amdhsa_system_sgpr_workgroup_id_x 1
		.amdhsa_system_sgpr_workgroup_id_y 0
		.amdhsa_system_sgpr_workgroup_id_z 0
		.amdhsa_system_sgpr_workgroup_info 0
		.amdhsa_system_vgpr_workitem_id 0
		.amdhsa_next_free_vgpr 1
		.amdhsa_next_free_sgpr 0
		.amdhsa_accum_offset 4
		.amdhsa_reserve_vcc 0
		.amdhsa_reserve_flat_scratch 0
		.amdhsa_float_round_mode_32 0
		.amdhsa_float_round_mode_16_64 0
		.amdhsa_float_denorm_mode_32 3
		.amdhsa_float_denorm_mode_16_64 3
		.amdhsa_dx10_clamp 1
		.amdhsa_ieee_mode 1
		.amdhsa_fp16_overflow 0
		.amdhsa_tg_split 0
		.amdhsa_exception_fp_ieee_invalid_op 0
		.amdhsa_exception_fp_denorm_src 0
		.amdhsa_exception_fp_ieee_div_zero 0
		.amdhsa_exception_fp_ieee_overflow 0
		.amdhsa_exception_fp_ieee_underflow 0
		.amdhsa_exception_fp_ieee_inexact 0
		.amdhsa_exception_int_div_zero 0
	.end_amdhsa_kernel
	.section	.text._ZN7rocprim17ROCPRIM_400000_NS6detail17trampoline_kernelINS0_14default_configENS1_38merge_sort_block_merge_config_selectorIaNS0_10empty_typeEEEZZNS1_27merge_sort_block_merge_implIS3_PaPS5_jNS1_19radix_merge_compareILb0ELb0EaNS0_19identity_decomposerEEEEE10hipError_tT0_T1_T2_jT3_P12ihipStream_tbPNSt15iterator_traitsISE_E10value_typeEPNSK_ISF_E10value_typeEPSG_NS1_7vsmem_tEENKUlT_SE_SF_SG_E_clIS8_S8_S9_S9_EESD_ST_SE_SF_SG_EUlST_E1_NS1_11comp_targetILNS1_3genE8ELNS1_11target_archE1030ELNS1_3gpuE2ELNS1_3repE0EEENS1_36merge_oddeven_config_static_selectorELNS0_4arch9wavefront6targetE1EEEvSF_,"axG",@progbits,_ZN7rocprim17ROCPRIM_400000_NS6detail17trampoline_kernelINS0_14default_configENS1_38merge_sort_block_merge_config_selectorIaNS0_10empty_typeEEEZZNS1_27merge_sort_block_merge_implIS3_PaPS5_jNS1_19radix_merge_compareILb0ELb0EaNS0_19identity_decomposerEEEEE10hipError_tT0_T1_T2_jT3_P12ihipStream_tbPNSt15iterator_traitsISE_E10value_typeEPNSK_ISF_E10value_typeEPSG_NS1_7vsmem_tEENKUlT_SE_SF_SG_E_clIS8_S8_S9_S9_EESD_ST_SE_SF_SG_EUlST_E1_NS1_11comp_targetILNS1_3genE8ELNS1_11target_archE1030ELNS1_3gpuE2ELNS1_3repE0EEENS1_36merge_oddeven_config_static_selectorELNS0_4arch9wavefront6targetE1EEEvSF_,comdat
.Lfunc_end159:
	.size	_ZN7rocprim17ROCPRIM_400000_NS6detail17trampoline_kernelINS0_14default_configENS1_38merge_sort_block_merge_config_selectorIaNS0_10empty_typeEEEZZNS1_27merge_sort_block_merge_implIS3_PaPS5_jNS1_19radix_merge_compareILb0ELb0EaNS0_19identity_decomposerEEEEE10hipError_tT0_T1_T2_jT3_P12ihipStream_tbPNSt15iterator_traitsISE_E10value_typeEPNSK_ISF_E10value_typeEPSG_NS1_7vsmem_tEENKUlT_SE_SF_SG_E_clIS8_S8_S9_S9_EESD_ST_SE_SF_SG_EUlST_E1_NS1_11comp_targetILNS1_3genE8ELNS1_11target_archE1030ELNS1_3gpuE2ELNS1_3repE0EEENS1_36merge_oddeven_config_static_selectorELNS0_4arch9wavefront6targetE1EEEvSF_, .Lfunc_end159-_ZN7rocprim17ROCPRIM_400000_NS6detail17trampoline_kernelINS0_14default_configENS1_38merge_sort_block_merge_config_selectorIaNS0_10empty_typeEEEZZNS1_27merge_sort_block_merge_implIS3_PaPS5_jNS1_19radix_merge_compareILb0ELb0EaNS0_19identity_decomposerEEEEE10hipError_tT0_T1_T2_jT3_P12ihipStream_tbPNSt15iterator_traitsISE_E10value_typeEPNSK_ISF_E10value_typeEPSG_NS1_7vsmem_tEENKUlT_SE_SF_SG_E_clIS8_S8_S9_S9_EESD_ST_SE_SF_SG_EUlST_E1_NS1_11comp_targetILNS1_3genE8ELNS1_11target_archE1030ELNS1_3gpuE2ELNS1_3repE0EEENS1_36merge_oddeven_config_static_selectorELNS0_4arch9wavefront6targetE1EEEvSF_
                                        ; -- End function
	.section	.AMDGPU.csdata,"",@progbits
; Kernel info:
; codeLenInByte = 0
; NumSgprs: 4
; NumVgprs: 0
; NumAgprs: 0
; TotalNumVgprs: 0
; ScratchSize: 0
; MemoryBound: 0
; FloatMode: 240
; IeeeMode: 1
; LDSByteSize: 0 bytes/workgroup (compile time only)
; SGPRBlocks: 0
; VGPRBlocks: 0
; NumSGPRsForWavesPerEU: 4
; NumVGPRsForWavesPerEU: 1
; AccumOffset: 4
; Occupancy: 8
; WaveLimiterHint : 0
; COMPUTE_PGM_RSRC2:SCRATCH_EN: 0
; COMPUTE_PGM_RSRC2:USER_SGPR: 6
; COMPUTE_PGM_RSRC2:TRAP_HANDLER: 0
; COMPUTE_PGM_RSRC2:TGID_X_EN: 1
; COMPUTE_PGM_RSRC2:TGID_Y_EN: 0
; COMPUTE_PGM_RSRC2:TGID_Z_EN: 0
; COMPUTE_PGM_RSRC2:TIDIG_COMP_CNT: 0
; COMPUTE_PGM_RSRC3_GFX90A:ACCUM_OFFSET: 0
; COMPUTE_PGM_RSRC3_GFX90A:TG_SPLIT: 0
	.section	.text._ZN7rocprim17ROCPRIM_400000_NS6detail17trampoline_kernelINS0_14default_configENS1_25transform_config_selectorIaLb1EEEZNS1_14transform_implILb1ES3_S5_PaS7_NS0_8identityIaEEEE10hipError_tT2_T3_mT4_P12ihipStream_tbEUlT_E_NS1_11comp_targetILNS1_3genE0ELNS1_11target_archE4294967295ELNS1_3gpuE0ELNS1_3repE0EEENS1_30default_config_static_selectorELNS0_4arch9wavefront6targetE1EEEvT1_,"axG",@progbits,_ZN7rocprim17ROCPRIM_400000_NS6detail17trampoline_kernelINS0_14default_configENS1_25transform_config_selectorIaLb1EEEZNS1_14transform_implILb1ES3_S5_PaS7_NS0_8identityIaEEEE10hipError_tT2_T3_mT4_P12ihipStream_tbEUlT_E_NS1_11comp_targetILNS1_3genE0ELNS1_11target_archE4294967295ELNS1_3gpuE0ELNS1_3repE0EEENS1_30default_config_static_selectorELNS0_4arch9wavefront6targetE1EEEvT1_,comdat
	.protected	_ZN7rocprim17ROCPRIM_400000_NS6detail17trampoline_kernelINS0_14default_configENS1_25transform_config_selectorIaLb1EEEZNS1_14transform_implILb1ES3_S5_PaS7_NS0_8identityIaEEEE10hipError_tT2_T3_mT4_P12ihipStream_tbEUlT_E_NS1_11comp_targetILNS1_3genE0ELNS1_11target_archE4294967295ELNS1_3gpuE0ELNS1_3repE0EEENS1_30default_config_static_selectorELNS0_4arch9wavefront6targetE1EEEvT1_ ; -- Begin function _ZN7rocprim17ROCPRIM_400000_NS6detail17trampoline_kernelINS0_14default_configENS1_25transform_config_selectorIaLb1EEEZNS1_14transform_implILb1ES3_S5_PaS7_NS0_8identityIaEEEE10hipError_tT2_T3_mT4_P12ihipStream_tbEUlT_E_NS1_11comp_targetILNS1_3genE0ELNS1_11target_archE4294967295ELNS1_3gpuE0ELNS1_3repE0EEENS1_30default_config_static_selectorELNS0_4arch9wavefront6targetE1EEEvT1_
	.globl	_ZN7rocprim17ROCPRIM_400000_NS6detail17trampoline_kernelINS0_14default_configENS1_25transform_config_selectorIaLb1EEEZNS1_14transform_implILb1ES3_S5_PaS7_NS0_8identityIaEEEE10hipError_tT2_T3_mT4_P12ihipStream_tbEUlT_E_NS1_11comp_targetILNS1_3genE0ELNS1_11target_archE4294967295ELNS1_3gpuE0ELNS1_3repE0EEENS1_30default_config_static_selectorELNS0_4arch9wavefront6targetE1EEEvT1_
	.p2align	8
	.type	_ZN7rocprim17ROCPRIM_400000_NS6detail17trampoline_kernelINS0_14default_configENS1_25transform_config_selectorIaLb1EEEZNS1_14transform_implILb1ES3_S5_PaS7_NS0_8identityIaEEEE10hipError_tT2_T3_mT4_P12ihipStream_tbEUlT_E_NS1_11comp_targetILNS1_3genE0ELNS1_11target_archE4294967295ELNS1_3gpuE0ELNS1_3repE0EEENS1_30default_config_static_selectorELNS0_4arch9wavefront6targetE1EEEvT1_,@function
_ZN7rocprim17ROCPRIM_400000_NS6detail17trampoline_kernelINS0_14default_configENS1_25transform_config_selectorIaLb1EEEZNS1_14transform_implILb1ES3_S5_PaS7_NS0_8identityIaEEEE10hipError_tT2_T3_mT4_P12ihipStream_tbEUlT_E_NS1_11comp_targetILNS1_3genE0ELNS1_11target_archE4294967295ELNS1_3gpuE0ELNS1_3repE0EEENS1_30default_config_static_selectorELNS0_4arch9wavefront6targetE1EEEvT1_: ; @_ZN7rocprim17ROCPRIM_400000_NS6detail17trampoline_kernelINS0_14default_configENS1_25transform_config_selectorIaLb1EEEZNS1_14transform_implILb1ES3_S5_PaS7_NS0_8identityIaEEEE10hipError_tT2_T3_mT4_P12ihipStream_tbEUlT_E_NS1_11comp_targetILNS1_3genE0ELNS1_11target_archE4294967295ELNS1_3gpuE0ELNS1_3repE0EEENS1_30default_config_static_selectorELNS0_4arch9wavefront6targetE1EEEvT1_
; %bb.0:
	.section	.rodata,"a",@progbits
	.p2align	6, 0x0
	.amdhsa_kernel _ZN7rocprim17ROCPRIM_400000_NS6detail17trampoline_kernelINS0_14default_configENS1_25transform_config_selectorIaLb1EEEZNS1_14transform_implILb1ES3_S5_PaS7_NS0_8identityIaEEEE10hipError_tT2_T3_mT4_P12ihipStream_tbEUlT_E_NS1_11comp_targetILNS1_3genE0ELNS1_11target_archE4294967295ELNS1_3gpuE0ELNS1_3repE0EEENS1_30default_config_static_selectorELNS0_4arch9wavefront6targetE1EEEvT1_
		.amdhsa_group_segment_fixed_size 0
		.amdhsa_private_segment_fixed_size 0
		.amdhsa_kernarg_size 40
		.amdhsa_user_sgpr_count 6
		.amdhsa_user_sgpr_private_segment_buffer 1
		.amdhsa_user_sgpr_dispatch_ptr 0
		.amdhsa_user_sgpr_queue_ptr 0
		.amdhsa_user_sgpr_kernarg_segment_ptr 1
		.amdhsa_user_sgpr_dispatch_id 0
		.amdhsa_user_sgpr_flat_scratch_init 0
		.amdhsa_user_sgpr_kernarg_preload_length 0
		.amdhsa_user_sgpr_kernarg_preload_offset 0
		.amdhsa_user_sgpr_private_segment_size 0
		.amdhsa_uses_dynamic_stack 0
		.amdhsa_system_sgpr_private_segment_wavefront_offset 0
		.amdhsa_system_sgpr_workgroup_id_x 1
		.amdhsa_system_sgpr_workgroup_id_y 0
		.amdhsa_system_sgpr_workgroup_id_z 0
		.amdhsa_system_sgpr_workgroup_info 0
		.amdhsa_system_vgpr_workitem_id 0
		.amdhsa_next_free_vgpr 1
		.amdhsa_next_free_sgpr 0
		.amdhsa_accum_offset 4
		.amdhsa_reserve_vcc 0
		.amdhsa_reserve_flat_scratch 0
		.amdhsa_float_round_mode_32 0
		.amdhsa_float_round_mode_16_64 0
		.amdhsa_float_denorm_mode_32 3
		.amdhsa_float_denorm_mode_16_64 3
		.amdhsa_dx10_clamp 1
		.amdhsa_ieee_mode 1
		.amdhsa_fp16_overflow 0
		.amdhsa_tg_split 0
		.amdhsa_exception_fp_ieee_invalid_op 0
		.amdhsa_exception_fp_denorm_src 0
		.amdhsa_exception_fp_ieee_div_zero 0
		.amdhsa_exception_fp_ieee_overflow 0
		.amdhsa_exception_fp_ieee_underflow 0
		.amdhsa_exception_fp_ieee_inexact 0
		.amdhsa_exception_int_div_zero 0
	.end_amdhsa_kernel
	.section	.text._ZN7rocprim17ROCPRIM_400000_NS6detail17trampoline_kernelINS0_14default_configENS1_25transform_config_selectorIaLb1EEEZNS1_14transform_implILb1ES3_S5_PaS7_NS0_8identityIaEEEE10hipError_tT2_T3_mT4_P12ihipStream_tbEUlT_E_NS1_11comp_targetILNS1_3genE0ELNS1_11target_archE4294967295ELNS1_3gpuE0ELNS1_3repE0EEENS1_30default_config_static_selectorELNS0_4arch9wavefront6targetE1EEEvT1_,"axG",@progbits,_ZN7rocprim17ROCPRIM_400000_NS6detail17trampoline_kernelINS0_14default_configENS1_25transform_config_selectorIaLb1EEEZNS1_14transform_implILb1ES3_S5_PaS7_NS0_8identityIaEEEE10hipError_tT2_T3_mT4_P12ihipStream_tbEUlT_E_NS1_11comp_targetILNS1_3genE0ELNS1_11target_archE4294967295ELNS1_3gpuE0ELNS1_3repE0EEENS1_30default_config_static_selectorELNS0_4arch9wavefront6targetE1EEEvT1_,comdat
.Lfunc_end160:
	.size	_ZN7rocprim17ROCPRIM_400000_NS6detail17trampoline_kernelINS0_14default_configENS1_25transform_config_selectorIaLb1EEEZNS1_14transform_implILb1ES3_S5_PaS7_NS0_8identityIaEEEE10hipError_tT2_T3_mT4_P12ihipStream_tbEUlT_E_NS1_11comp_targetILNS1_3genE0ELNS1_11target_archE4294967295ELNS1_3gpuE0ELNS1_3repE0EEENS1_30default_config_static_selectorELNS0_4arch9wavefront6targetE1EEEvT1_, .Lfunc_end160-_ZN7rocprim17ROCPRIM_400000_NS6detail17trampoline_kernelINS0_14default_configENS1_25transform_config_selectorIaLb1EEEZNS1_14transform_implILb1ES3_S5_PaS7_NS0_8identityIaEEEE10hipError_tT2_T3_mT4_P12ihipStream_tbEUlT_E_NS1_11comp_targetILNS1_3genE0ELNS1_11target_archE4294967295ELNS1_3gpuE0ELNS1_3repE0EEENS1_30default_config_static_selectorELNS0_4arch9wavefront6targetE1EEEvT1_
                                        ; -- End function
	.section	.AMDGPU.csdata,"",@progbits
; Kernel info:
; codeLenInByte = 0
; NumSgprs: 4
; NumVgprs: 0
; NumAgprs: 0
; TotalNumVgprs: 0
; ScratchSize: 0
; MemoryBound: 0
; FloatMode: 240
; IeeeMode: 1
; LDSByteSize: 0 bytes/workgroup (compile time only)
; SGPRBlocks: 0
; VGPRBlocks: 0
; NumSGPRsForWavesPerEU: 4
; NumVGPRsForWavesPerEU: 1
; AccumOffset: 4
; Occupancy: 8
; WaveLimiterHint : 0
; COMPUTE_PGM_RSRC2:SCRATCH_EN: 0
; COMPUTE_PGM_RSRC2:USER_SGPR: 6
; COMPUTE_PGM_RSRC2:TRAP_HANDLER: 0
; COMPUTE_PGM_RSRC2:TGID_X_EN: 1
; COMPUTE_PGM_RSRC2:TGID_Y_EN: 0
; COMPUTE_PGM_RSRC2:TGID_Z_EN: 0
; COMPUTE_PGM_RSRC2:TIDIG_COMP_CNT: 0
; COMPUTE_PGM_RSRC3_GFX90A:ACCUM_OFFSET: 0
; COMPUTE_PGM_RSRC3_GFX90A:TG_SPLIT: 0
	.section	.text._ZN7rocprim17ROCPRIM_400000_NS6detail17trampoline_kernelINS0_14default_configENS1_25transform_config_selectorIaLb1EEEZNS1_14transform_implILb1ES3_S5_PaS7_NS0_8identityIaEEEE10hipError_tT2_T3_mT4_P12ihipStream_tbEUlT_E_NS1_11comp_targetILNS1_3genE10ELNS1_11target_archE1201ELNS1_3gpuE5ELNS1_3repE0EEENS1_30default_config_static_selectorELNS0_4arch9wavefront6targetE1EEEvT1_,"axG",@progbits,_ZN7rocprim17ROCPRIM_400000_NS6detail17trampoline_kernelINS0_14default_configENS1_25transform_config_selectorIaLb1EEEZNS1_14transform_implILb1ES3_S5_PaS7_NS0_8identityIaEEEE10hipError_tT2_T3_mT4_P12ihipStream_tbEUlT_E_NS1_11comp_targetILNS1_3genE10ELNS1_11target_archE1201ELNS1_3gpuE5ELNS1_3repE0EEENS1_30default_config_static_selectorELNS0_4arch9wavefront6targetE1EEEvT1_,comdat
	.protected	_ZN7rocprim17ROCPRIM_400000_NS6detail17trampoline_kernelINS0_14default_configENS1_25transform_config_selectorIaLb1EEEZNS1_14transform_implILb1ES3_S5_PaS7_NS0_8identityIaEEEE10hipError_tT2_T3_mT4_P12ihipStream_tbEUlT_E_NS1_11comp_targetILNS1_3genE10ELNS1_11target_archE1201ELNS1_3gpuE5ELNS1_3repE0EEENS1_30default_config_static_selectorELNS0_4arch9wavefront6targetE1EEEvT1_ ; -- Begin function _ZN7rocprim17ROCPRIM_400000_NS6detail17trampoline_kernelINS0_14default_configENS1_25transform_config_selectorIaLb1EEEZNS1_14transform_implILb1ES3_S5_PaS7_NS0_8identityIaEEEE10hipError_tT2_T3_mT4_P12ihipStream_tbEUlT_E_NS1_11comp_targetILNS1_3genE10ELNS1_11target_archE1201ELNS1_3gpuE5ELNS1_3repE0EEENS1_30default_config_static_selectorELNS0_4arch9wavefront6targetE1EEEvT1_
	.globl	_ZN7rocprim17ROCPRIM_400000_NS6detail17trampoline_kernelINS0_14default_configENS1_25transform_config_selectorIaLb1EEEZNS1_14transform_implILb1ES3_S5_PaS7_NS0_8identityIaEEEE10hipError_tT2_T3_mT4_P12ihipStream_tbEUlT_E_NS1_11comp_targetILNS1_3genE10ELNS1_11target_archE1201ELNS1_3gpuE5ELNS1_3repE0EEENS1_30default_config_static_selectorELNS0_4arch9wavefront6targetE1EEEvT1_
	.p2align	8
	.type	_ZN7rocprim17ROCPRIM_400000_NS6detail17trampoline_kernelINS0_14default_configENS1_25transform_config_selectorIaLb1EEEZNS1_14transform_implILb1ES3_S5_PaS7_NS0_8identityIaEEEE10hipError_tT2_T3_mT4_P12ihipStream_tbEUlT_E_NS1_11comp_targetILNS1_3genE10ELNS1_11target_archE1201ELNS1_3gpuE5ELNS1_3repE0EEENS1_30default_config_static_selectorELNS0_4arch9wavefront6targetE1EEEvT1_,@function
_ZN7rocprim17ROCPRIM_400000_NS6detail17trampoline_kernelINS0_14default_configENS1_25transform_config_selectorIaLb1EEEZNS1_14transform_implILb1ES3_S5_PaS7_NS0_8identityIaEEEE10hipError_tT2_T3_mT4_P12ihipStream_tbEUlT_E_NS1_11comp_targetILNS1_3genE10ELNS1_11target_archE1201ELNS1_3gpuE5ELNS1_3repE0EEENS1_30default_config_static_selectorELNS0_4arch9wavefront6targetE1EEEvT1_: ; @_ZN7rocprim17ROCPRIM_400000_NS6detail17trampoline_kernelINS0_14default_configENS1_25transform_config_selectorIaLb1EEEZNS1_14transform_implILb1ES3_S5_PaS7_NS0_8identityIaEEEE10hipError_tT2_T3_mT4_P12ihipStream_tbEUlT_E_NS1_11comp_targetILNS1_3genE10ELNS1_11target_archE1201ELNS1_3gpuE5ELNS1_3repE0EEENS1_30default_config_static_selectorELNS0_4arch9wavefront6targetE1EEEvT1_
; %bb.0:
	.section	.rodata,"a",@progbits
	.p2align	6, 0x0
	.amdhsa_kernel _ZN7rocprim17ROCPRIM_400000_NS6detail17trampoline_kernelINS0_14default_configENS1_25transform_config_selectorIaLb1EEEZNS1_14transform_implILb1ES3_S5_PaS7_NS0_8identityIaEEEE10hipError_tT2_T3_mT4_P12ihipStream_tbEUlT_E_NS1_11comp_targetILNS1_3genE10ELNS1_11target_archE1201ELNS1_3gpuE5ELNS1_3repE0EEENS1_30default_config_static_selectorELNS0_4arch9wavefront6targetE1EEEvT1_
		.amdhsa_group_segment_fixed_size 0
		.amdhsa_private_segment_fixed_size 0
		.amdhsa_kernarg_size 40
		.amdhsa_user_sgpr_count 6
		.amdhsa_user_sgpr_private_segment_buffer 1
		.amdhsa_user_sgpr_dispatch_ptr 0
		.amdhsa_user_sgpr_queue_ptr 0
		.amdhsa_user_sgpr_kernarg_segment_ptr 1
		.amdhsa_user_sgpr_dispatch_id 0
		.amdhsa_user_sgpr_flat_scratch_init 0
		.amdhsa_user_sgpr_kernarg_preload_length 0
		.amdhsa_user_sgpr_kernarg_preload_offset 0
		.amdhsa_user_sgpr_private_segment_size 0
		.amdhsa_uses_dynamic_stack 0
		.amdhsa_system_sgpr_private_segment_wavefront_offset 0
		.amdhsa_system_sgpr_workgroup_id_x 1
		.amdhsa_system_sgpr_workgroup_id_y 0
		.amdhsa_system_sgpr_workgroup_id_z 0
		.amdhsa_system_sgpr_workgroup_info 0
		.amdhsa_system_vgpr_workitem_id 0
		.amdhsa_next_free_vgpr 1
		.amdhsa_next_free_sgpr 0
		.amdhsa_accum_offset 4
		.amdhsa_reserve_vcc 0
		.amdhsa_reserve_flat_scratch 0
		.amdhsa_float_round_mode_32 0
		.amdhsa_float_round_mode_16_64 0
		.amdhsa_float_denorm_mode_32 3
		.amdhsa_float_denorm_mode_16_64 3
		.amdhsa_dx10_clamp 1
		.amdhsa_ieee_mode 1
		.amdhsa_fp16_overflow 0
		.amdhsa_tg_split 0
		.amdhsa_exception_fp_ieee_invalid_op 0
		.amdhsa_exception_fp_denorm_src 0
		.amdhsa_exception_fp_ieee_div_zero 0
		.amdhsa_exception_fp_ieee_overflow 0
		.amdhsa_exception_fp_ieee_underflow 0
		.amdhsa_exception_fp_ieee_inexact 0
		.amdhsa_exception_int_div_zero 0
	.end_amdhsa_kernel
	.section	.text._ZN7rocprim17ROCPRIM_400000_NS6detail17trampoline_kernelINS0_14default_configENS1_25transform_config_selectorIaLb1EEEZNS1_14transform_implILb1ES3_S5_PaS7_NS0_8identityIaEEEE10hipError_tT2_T3_mT4_P12ihipStream_tbEUlT_E_NS1_11comp_targetILNS1_3genE10ELNS1_11target_archE1201ELNS1_3gpuE5ELNS1_3repE0EEENS1_30default_config_static_selectorELNS0_4arch9wavefront6targetE1EEEvT1_,"axG",@progbits,_ZN7rocprim17ROCPRIM_400000_NS6detail17trampoline_kernelINS0_14default_configENS1_25transform_config_selectorIaLb1EEEZNS1_14transform_implILb1ES3_S5_PaS7_NS0_8identityIaEEEE10hipError_tT2_T3_mT4_P12ihipStream_tbEUlT_E_NS1_11comp_targetILNS1_3genE10ELNS1_11target_archE1201ELNS1_3gpuE5ELNS1_3repE0EEENS1_30default_config_static_selectorELNS0_4arch9wavefront6targetE1EEEvT1_,comdat
.Lfunc_end161:
	.size	_ZN7rocprim17ROCPRIM_400000_NS6detail17trampoline_kernelINS0_14default_configENS1_25transform_config_selectorIaLb1EEEZNS1_14transform_implILb1ES3_S5_PaS7_NS0_8identityIaEEEE10hipError_tT2_T3_mT4_P12ihipStream_tbEUlT_E_NS1_11comp_targetILNS1_3genE10ELNS1_11target_archE1201ELNS1_3gpuE5ELNS1_3repE0EEENS1_30default_config_static_selectorELNS0_4arch9wavefront6targetE1EEEvT1_, .Lfunc_end161-_ZN7rocprim17ROCPRIM_400000_NS6detail17trampoline_kernelINS0_14default_configENS1_25transform_config_selectorIaLb1EEEZNS1_14transform_implILb1ES3_S5_PaS7_NS0_8identityIaEEEE10hipError_tT2_T3_mT4_P12ihipStream_tbEUlT_E_NS1_11comp_targetILNS1_3genE10ELNS1_11target_archE1201ELNS1_3gpuE5ELNS1_3repE0EEENS1_30default_config_static_selectorELNS0_4arch9wavefront6targetE1EEEvT1_
                                        ; -- End function
	.section	.AMDGPU.csdata,"",@progbits
; Kernel info:
; codeLenInByte = 0
; NumSgprs: 4
; NumVgprs: 0
; NumAgprs: 0
; TotalNumVgprs: 0
; ScratchSize: 0
; MemoryBound: 0
; FloatMode: 240
; IeeeMode: 1
; LDSByteSize: 0 bytes/workgroup (compile time only)
; SGPRBlocks: 0
; VGPRBlocks: 0
; NumSGPRsForWavesPerEU: 4
; NumVGPRsForWavesPerEU: 1
; AccumOffset: 4
; Occupancy: 8
; WaveLimiterHint : 0
; COMPUTE_PGM_RSRC2:SCRATCH_EN: 0
; COMPUTE_PGM_RSRC2:USER_SGPR: 6
; COMPUTE_PGM_RSRC2:TRAP_HANDLER: 0
; COMPUTE_PGM_RSRC2:TGID_X_EN: 1
; COMPUTE_PGM_RSRC2:TGID_Y_EN: 0
; COMPUTE_PGM_RSRC2:TGID_Z_EN: 0
; COMPUTE_PGM_RSRC2:TIDIG_COMP_CNT: 0
; COMPUTE_PGM_RSRC3_GFX90A:ACCUM_OFFSET: 0
; COMPUTE_PGM_RSRC3_GFX90A:TG_SPLIT: 0
	.section	.text._ZN7rocprim17ROCPRIM_400000_NS6detail17trampoline_kernelINS0_14default_configENS1_25transform_config_selectorIaLb1EEEZNS1_14transform_implILb1ES3_S5_PaS7_NS0_8identityIaEEEE10hipError_tT2_T3_mT4_P12ihipStream_tbEUlT_E_NS1_11comp_targetILNS1_3genE5ELNS1_11target_archE942ELNS1_3gpuE9ELNS1_3repE0EEENS1_30default_config_static_selectorELNS0_4arch9wavefront6targetE1EEEvT1_,"axG",@progbits,_ZN7rocprim17ROCPRIM_400000_NS6detail17trampoline_kernelINS0_14default_configENS1_25transform_config_selectorIaLb1EEEZNS1_14transform_implILb1ES3_S5_PaS7_NS0_8identityIaEEEE10hipError_tT2_T3_mT4_P12ihipStream_tbEUlT_E_NS1_11comp_targetILNS1_3genE5ELNS1_11target_archE942ELNS1_3gpuE9ELNS1_3repE0EEENS1_30default_config_static_selectorELNS0_4arch9wavefront6targetE1EEEvT1_,comdat
	.protected	_ZN7rocprim17ROCPRIM_400000_NS6detail17trampoline_kernelINS0_14default_configENS1_25transform_config_selectorIaLb1EEEZNS1_14transform_implILb1ES3_S5_PaS7_NS0_8identityIaEEEE10hipError_tT2_T3_mT4_P12ihipStream_tbEUlT_E_NS1_11comp_targetILNS1_3genE5ELNS1_11target_archE942ELNS1_3gpuE9ELNS1_3repE0EEENS1_30default_config_static_selectorELNS0_4arch9wavefront6targetE1EEEvT1_ ; -- Begin function _ZN7rocprim17ROCPRIM_400000_NS6detail17trampoline_kernelINS0_14default_configENS1_25transform_config_selectorIaLb1EEEZNS1_14transform_implILb1ES3_S5_PaS7_NS0_8identityIaEEEE10hipError_tT2_T3_mT4_P12ihipStream_tbEUlT_E_NS1_11comp_targetILNS1_3genE5ELNS1_11target_archE942ELNS1_3gpuE9ELNS1_3repE0EEENS1_30default_config_static_selectorELNS0_4arch9wavefront6targetE1EEEvT1_
	.globl	_ZN7rocprim17ROCPRIM_400000_NS6detail17trampoline_kernelINS0_14default_configENS1_25transform_config_selectorIaLb1EEEZNS1_14transform_implILb1ES3_S5_PaS7_NS0_8identityIaEEEE10hipError_tT2_T3_mT4_P12ihipStream_tbEUlT_E_NS1_11comp_targetILNS1_3genE5ELNS1_11target_archE942ELNS1_3gpuE9ELNS1_3repE0EEENS1_30default_config_static_selectorELNS0_4arch9wavefront6targetE1EEEvT1_
	.p2align	8
	.type	_ZN7rocprim17ROCPRIM_400000_NS6detail17trampoline_kernelINS0_14default_configENS1_25transform_config_selectorIaLb1EEEZNS1_14transform_implILb1ES3_S5_PaS7_NS0_8identityIaEEEE10hipError_tT2_T3_mT4_P12ihipStream_tbEUlT_E_NS1_11comp_targetILNS1_3genE5ELNS1_11target_archE942ELNS1_3gpuE9ELNS1_3repE0EEENS1_30default_config_static_selectorELNS0_4arch9wavefront6targetE1EEEvT1_,@function
_ZN7rocprim17ROCPRIM_400000_NS6detail17trampoline_kernelINS0_14default_configENS1_25transform_config_selectorIaLb1EEEZNS1_14transform_implILb1ES3_S5_PaS7_NS0_8identityIaEEEE10hipError_tT2_T3_mT4_P12ihipStream_tbEUlT_E_NS1_11comp_targetILNS1_3genE5ELNS1_11target_archE942ELNS1_3gpuE9ELNS1_3repE0EEENS1_30default_config_static_selectorELNS0_4arch9wavefront6targetE1EEEvT1_: ; @_ZN7rocprim17ROCPRIM_400000_NS6detail17trampoline_kernelINS0_14default_configENS1_25transform_config_selectorIaLb1EEEZNS1_14transform_implILb1ES3_S5_PaS7_NS0_8identityIaEEEE10hipError_tT2_T3_mT4_P12ihipStream_tbEUlT_E_NS1_11comp_targetILNS1_3genE5ELNS1_11target_archE942ELNS1_3gpuE9ELNS1_3repE0EEENS1_30default_config_static_selectorELNS0_4arch9wavefront6targetE1EEEvT1_
; %bb.0:
	.section	.rodata,"a",@progbits
	.p2align	6, 0x0
	.amdhsa_kernel _ZN7rocprim17ROCPRIM_400000_NS6detail17trampoline_kernelINS0_14default_configENS1_25transform_config_selectorIaLb1EEEZNS1_14transform_implILb1ES3_S5_PaS7_NS0_8identityIaEEEE10hipError_tT2_T3_mT4_P12ihipStream_tbEUlT_E_NS1_11comp_targetILNS1_3genE5ELNS1_11target_archE942ELNS1_3gpuE9ELNS1_3repE0EEENS1_30default_config_static_selectorELNS0_4arch9wavefront6targetE1EEEvT1_
		.amdhsa_group_segment_fixed_size 0
		.amdhsa_private_segment_fixed_size 0
		.amdhsa_kernarg_size 40
		.amdhsa_user_sgpr_count 6
		.amdhsa_user_sgpr_private_segment_buffer 1
		.amdhsa_user_sgpr_dispatch_ptr 0
		.amdhsa_user_sgpr_queue_ptr 0
		.amdhsa_user_sgpr_kernarg_segment_ptr 1
		.amdhsa_user_sgpr_dispatch_id 0
		.amdhsa_user_sgpr_flat_scratch_init 0
		.amdhsa_user_sgpr_kernarg_preload_length 0
		.amdhsa_user_sgpr_kernarg_preload_offset 0
		.amdhsa_user_sgpr_private_segment_size 0
		.amdhsa_uses_dynamic_stack 0
		.amdhsa_system_sgpr_private_segment_wavefront_offset 0
		.amdhsa_system_sgpr_workgroup_id_x 1
		.amdhsa_system_sgpr_workgroup_id_y 0
		.amdhsa_system_sgpr_workgroup_id_z 0
		.amdhsa_system_sgpr_workgroup_info 0
		.amdhsa_system_vgpr_workitem_id 0
		.amdhsa_next_free_vgpr 1
		.amdhsa_next_free_sgpr 0
		.amdhsa_accum_offset 4
		.amdhsa_reserve_vcc 0
		.amdhsa_reserve_flat_scratch 0
		.amdhsa_float_round_mode_32 0
		.amdhsa_float_round_mode_16_64 0
		.amdhsa_float_denorm_mode_32 3
		.amdhsa_float_denorm_mode_16_64 3
		.amdhsa_dx10_clamp 1
		.amdhsa_ieee_mode 1
		.amdhsa_fp16_overflow 0
		.amdhsa_tg_split 0
		.amdhsa_exception_fp_ieee_invalid_op 0
		.amdhsa_exception_fp_denorm_src 0
		.amdhsa_exception_fp_ieee_div_zero 0
		.amdhsa_exception_fp_ieee_overflow 0
		.amdhsa_exception_fp_ieee_underflow 0
		.amdhsa_exception_fp_ieee_inexact 0
		.amdhsa_exception_int_div_zero 0
	.end_amdhsa_kernel
	.section	.text._ZN7rocprim17ROCPRIM_400000_NS6detail17trampoline_kernelINS0_14default_configENS1_25transform_config_selectorIaLb1EEEZNS1_14transform_implILb1ES3_S5_PaS7_NS0_8identityIaEEEE10hipError_tT2_T3_mT4_P12ihipStream_tbEUlT_E_NS1_11comp_targetILNS1_3genE5ELNS1_11target_archE942ELNS1_3gpuE9ELNS1_3repE0EEENS1_30default_config_static_selectorELNS0_4arch9wavefront6targetE1EEEvT1_,"axG",@progbits,_ZN7rocprim17ROCPRIM_400000_NS6detail17trampoline_kernelINS0_14default_configENS1_25transform_config_selectorIaLb1EEEZNS1_14transform_implILb1ES3_S5_PaS7_NS0_8identityIaEEEE10hipError_tT2_T3_mT4_P12ihipStream_tbEUlT_E_NS1_11comp_targetILNS1_3genE5ELNS1_11target_archE942ELNS1_3gpuE9ELNS1_3repE0EEENS1_30default_config_static_selectorELNS0_4arch9wavefront6targetE1EEEvT1_,comdat
.Lfunc_end162:
	.size	_ZN7rocprim17ROCPRIM_400000_NS6detail17trampoline_kernelINS0_14default_configENS1_25transform_config_selectorIaLb1EEEZNS1_14transform_implILb1ES3_S5_PaS7_NS0_8identityIaEEEE10hipError_tT2_T3_mT4_P12ihipStream_tbEUlT_E_NS1_11comp_targetILNS1_3genE5ELNS1_11target_archE942ELNS1_3gpuE9ELNS1_3repE0EEENS1_30default_config_static_selectorELNS0_4arch9wavefront6targetE1EEEvT1_, .Lfunc_end162-_ZN7rocprim17ROCPRIM_400000_NS6detail17trampoline_kernelINS0_14default_configENS1_25transform_config_selectorIaLb1EEEZNS1_14transform_implILb1ES3_S5_PaS7_NS0_8identityIaEEEE10hipError_tT2_T3_mT4_P12ihipStream_tbEUlT_E_NS1_11comp_targetILNS1_3genE5ELNS1_11target_archE942ELNS1_3gpuE9ELNS1_3repE0EEENS1_30default_config_static_selectorELNS0_4arch9wavefront6targetE1EEEvT1_
                                        ; -- End function
	.section	.AMDGPU.csdata,"",@progbits
; Kernel info:
; codeLenInByte = 0
; NumSgprs: 4
; NumVgprs: 0
; NumAgprs: 0
; TotalNumVgprs: 0
; ScratchSize: 0
; MemoryBound: 0
; FloatMode: 240
; IeeeMode: 1
; LDSByteSize: 0 bytes/workgroup (compile time only)
; SGPRBlocks: 0
; VGPRBlocks: 0
; NumSGPRsForWavesPerEU: 4
; NumVGPRsForWavesPerEU: 1
; AccumOffset: 4
; Occupancy: 8
; WaveLimiterHint : 0
; COMPUTE_PGM_RSRC2:SCRATCH_EN: 0
; COMPUTE_PGM_RSRC2:USER_SGPR: 6
; COMPUTE_PGM_RSRC2:TRAP_HANDLER: 0
; COMPUTE_PGM_RSRC2:TGID_X_EN: 1
; COMPUTE_PGM_RSRC2:TGID_Y_EN: 0
; COMPUTE_PGM_RSRC2:TGID_Z_EN: 0
; COMPUTE_PGM_RSRC2:TIDIG_COMP_CNT: 0
; COMPUTE_PGM_RSRC3_GFX90A:ACCUM_OFFSET: 0
; COMPUTE_PGM_RSRC3_GFX90A:TG_SPLIT: 0
	.section	.text._ZN7rocprim17ROCPRIM_400000_NS6detail17trampoline_kernelINS0_14default_configENS1_25transform_config_selectorIaLb1EEEZNS1_14transform_implILb1ES3_S5_PaS7_NS0_8identityIaEEEE10hipError_tT2_T3_mT4_P12ihipStream_tbEUlT_E_NS1_11comp_targetILNS1_3genE4ELNS1_11target_archE910ELNS1_3gpuE8ELNS1_3repE0EEENS1_30default_config_static_selectorELNS0_4arch9wavefront6targetE1EEEvT1_,"axG",@progbits,_ZN7rocprim17ROCPRIM_400000_NS6detail17trampoline_kernelINS0_14default_configENS1_25transform_config_selectorIaLb1EEEZNS1_14transform_implILb1ES3_S5_PaS7_NS0_8identityIaEEEE10hipError_tT2_T3_mT4_P12ihipStream_tbEUlT_E_NS1_11comp_targetILNS1_3genE4ELNS1_11target_archE910ELNS1_3gpuE8ELNS1_3repE0EEENS1_30default_config_static_selectorELNS0_4arch9wavefront6targetE1EEEvT1_,comdat
	.protected	_ZN7rocprim17ROCPRIM_400000_NS6detail17trampoline_kernelINS0_14default_configENS1_25transform_config_selectorIaLb1EEEZNS1_14transform_implILb1ES3_S5_PaS7_NS0_8identityIaEEEE10hipError_tT2_T3_mT4_P12ihipStream_tbEUlT_E_NS1_11comp_targetILNS1_3genE4ELNS1_11target_archE910ELNS1_3gpuE8ELNS1_3repE0EEENS1_30default_config_static_selectorELNS0_4arch9wavefront6targetE1EEEvT1_ ; -- Begin function _ZN7rocprim17ROCPRIM_400000_NS6detail17trampoline_kernelINS0_14default_configENS1_25transform_config_selectorIaLb1EEEZNS1_14transform_implILb1ES3_S5_PaS7_NS0_8identityIaEEEE10hipError_tT2_T3_mT4_P12ihipStream_tbEUlT_E_NS1_11comp_targetILNS1_3genE4ELNS1_11target_archE910ELNS1_3gpuE8ELNS1_3repE0EEENS1_30default_config_static_selectorELNS0_4arch9wavefront6targetE1EEEvT1_
	.globl	_ZN7rocprim17ROCPRIM_400000_NS6detail17trampoline_kernelINS0_14default_configENS1_25transform_config_selectorIaLb1EEEZNS1_14transform_implILb1ES3_S5_PaS7_NS0_8identityIaEEEE10hipError_tT2_T3_mT4_P12ihipStream_tbEUlT_E_NS1_11comp_targetILNS1_3genE4ELNS1_11target_archE910ELNS1_3gpuE8ELNS1_3repE0EEENS1_30default_config_static_selectorELNS0_4arch9wavefront6targetE1EEEvT1_
	.p2align	8
	.type	_ZN7rocprim17ROCPRIM_400000_NS6detail17trampoline_kernelINS0_14default_configENS1_25transform_config_selectorIaLb1EEEZNS1_14transform_implILb1ES3_S5_PaS7_NS0_8identityIaEEEE10hipError_tT2_T3_mT4_P12ihipStream_tbEUlT_E_NS1_11comp_targetILNS1_3genE4ELNS1_11target_archE910ELNS1_3gpuE8ELNS1_3repE0EEENS1_30default_config_static_selectorELNS0_4arch9wavefront6targetE1EEEvT1_,@function
_ZN7rocprim17ROCPRIM_400000_NS6detail17trampoline_kernelINS0_14default_configENS1_25transform_config_selectorIaLb1EEEZNS1_14transform_implILb1ES3_S5_PaS7_NS0_8identityIaEEEE10hipError_tT2_T3_mT4_P12ihipStream_tbEUlT_E_NS1_11comp_targetILNS1_3genE4ELNS1_11target_archE910ELNS1_3gpuE8ELNS1_3repE0EEENS1_30default_config_static_selectorELNS0_4arch9wavefront6targetE1EEEvT1_: ; @_ZN7rocprim17ROCPRIM_400000_NS6detail17trampoline_kernelINS0_14default_configENS1_25transform_config_selectorIaLb1EEEZNS1_14transform_implILb1ES3_S5_PaS7_NS0_8identityIaEEEE10hipError_tT2_T3_mT4_P12ihipStream_tbEUlT_E_NS1_11comp_targetILNS1_3genE4ELNS1_11target_archE910ELNS1_3gpuE8ELNS1_3repE0EEENS1_30default_config_static_selectorELNS0_4arch9wavefront6targetE1EEEvT1_
; %bb.0:
	s_load_dwordx8 s[8:15], s[4:5], 0x0
	s_load_dword s0, s[4:5], 0x28
	s_waitcnt lgkmcnt(0)
	s_add_u32 s1, s8, s10
	s_addc_u32 s2, s9, s11
	s_add_u32 s33, s14, s10
	s_addc_u32 s36, s15, s11
	s_lshl_b32 s37, s6, 14
	s_add_i32 s0, s0, -1
	s_add_u32 s30, s1, s37
	s_addc_u32 s31, s2, 0
	s_cmp_lg_u32 s6, s0
	s_mov_b64 s[0:1], -1
	s_cbranch_scc0 .LBB163_2
; %bb.1:
	v_lshlrev_b32_e32 v1, 4, v0
	global_load_dwordx4 v[2:5], v1, s[30:31]
	s_add_u32 s0, s33, s37
	s_addc_u32 s1, s36, 0
	s_waitcnt vmcnt(0)
	global_store_dwordx4 v1, v[2:5], s[0:1]
	s_mov_b64 s[0:1], 0
.LBB163_2:
	s_andn2_b64 vcc, exec, s[0:1]
	s_cbranch_vccnz .LBB163_67
; %bb.3:
	s_sub_i32 s34, s12, s37
	v_cmp_gt_u32_e32 vcc, s34, v0
                                        ; implicit-def: $vgpr1
	s_and_saveexec_b64 s[0:1], vcc
	s_cbranch_execz .LBB163_5
; %bb.4:
	global_load_ubyte v1, v0, s[30:31]
.LBB163_5:
	s_or_b64 exec, exec, s[0:1]
	v_or_b32_e32 v2, 0x400, v0
	v_cmp_gt_u32_e64 s[0:1], s34, v2
                                        ; implicit-def: $vgpr2
	s_and_saveexec_b64 s[2:3], s[0:1]
	s_cbranch_execz .LBB163_7
; %bb.6:
	global_load_ubyte v2, v0, s[30:31] offset:1024
.LBB163_7:
	s_or_b64 exec, exec, s[2:3]
	v_or_b32_e32 v3, 0x800, v0
	v_cmp_gt_u32_e64 s[2:3], s34, v3
                                        ; implicit-def: $vgpr3
	s_and_saveexec_b64 s[4:5], s[2:3]
	s_cbranch_execz .LBB163_9
; %bb.8:
	global_load_ubyte v3, v0, s[30:31] offset:2048
.LBB163_9:
	s_or_b64 exec, exec, s[4:5]
	v_or_b32_e32 v4, 0xc00, v0
	v_cmp_gt_u32_e64 s[4:5], s34, v4
                                        ; implicit-def: $vgpr4
	s_and_saveexec_b64 s[6:7], s[4:5]
	s_cbranch_execz .LBB163_11
; %bb.10:
	global_load_ubyte v4, v0, s[30:31] offset:3072
.LBB163_11:
	s_or_b64 exec, exec, s[6:7]
	v_or_b32_e32 v6, 0x1000, v0
	v_cmp_gt_u32_e64 s[6:7], s34, v6
                                        ; implicit-def: $vgpr5
	s_and_saveexec_b64 s[8:9], s[6:7]
	s_cbranch_execz .LBB163_13
; %bb.12:
	global_load_ubyte v5, v6, s[30:31]
.LBB163_13:
	s_or_b64 exec, exec, s[8:9]
	v_or_b32_e32 v7, 0x1400, v0
	v_cmp_gt_u32_e64 s[8:9], s34, v7
                                        ; implicit-def: $vgpr6
	s_and_saveexec_b64 s[10:11], s[8:9]
	s_cbranch_execz .LBB163_15
; %bb.14:
	global_load_ubyte v6, v7, s[30:31]
.LBB163_15:
	s_or_b64 exec, exec, s[10:11]
	v_or_b32_e32 v8, 0x1800, v0
	v_cmp_gt_u32_e64 s[10:11], s34, v8
                                        ; implicit-def: $vgpr7
	s_and_saveexec_b64 s[12:13], s[10:11]
	s_cbranch_execz .LBB163_17
; %bb.16:
	global_load_ubyte v7, v8, s[30:31]
.LBB163_17:
	s_or_b64 exec, exec, s[12:13]
	v_or_b32_e32 v9, 0x1c00, v0
	v_cmp_gt_u32_e64 s[12:13], s34, v9
                                        ; implicit-def: $vgpr8
	s_and_saveexec_b64 s[14:15], s[12:13]
	s_cbranch_execz .LBB163_19
; %bb.18:
	global_load_ubyte v8, v9, s[30:31]
.LBB163_19:
	s_or_b64 exec, exec, s[14:15]
	v_or_b32_e32 v10, 0x2000, v0
	v_cmp_gt_u32_e64 s[14:15], s34, v10
                                        ; implicit-def: $vgpr9
	s_and_saveexec_b64 s[16:17], s[14:15]
	s_cbranch_execz .LBB163_21
; %bb.20:
	global_load_ubyte v9, v10, s[30:31]
.LBB163_21:
	s_or_b64 exec, exec, s[16:17]
	v_or_b32_e32 v11, 0x2400, v0
	v_cmp_gt_u32_e64 s[16:17], s34, v11
                                        ; implicit-def: $vgpr10
	s_and_saveexec_b64 s[18:19], s[16:17]
	s_cbranch_execz .LBB163_23
; %bb.22:
	global_load_ubyte v10, v11, s[30:31]
.LBB163_23:
	s_or_b64 exec, exec, s[18:19]
	v_or_b32_e32 v12, 0x2800, v0
	v_cmp_gt_u32_e64 s[18:19], s34, v12
                                        ; implicit-def: $vgpr11
	s_and_saveexec_b64 s[20:21], s[18:19]
	s_cbranch_execz .LBB163_25
; %bb.24:
	global_load_ubyte v11, v12, s[30:31]
.LBB163_25:
	s_or_b64 exec, exec, s[20:21]
	v_or_b32_e32 v13, 0x2c00, v0
	v_cmp_gt_u32_e64 s[20:21], s34, v13
                                        ; implicit-def: $vgpr12
	s_and_saveexec_b64 s[22:23], s[20:21]
	s_cbranch_execz .LBB163_27
; %bb.26:
	global_load_ubyte v12, v13, s[30:31]
.LBB163_27:
	s_or_b64 exec, exec, s[22:23]
	v_or_b32_e32 v14, 0x3000, v0
	v_cmp_gt_u32_e64 s[22:23], s34, v14
                                        ; implicit-def: $vgpr13
	s_and_saveexec_b64 s[24:25], s[22:23]
	s_cbranch_execz .LBB163_29
; %bb.28:
	global_load_ubyte v13, v14, s[30:31]
.LBB163_29:
	s_or_b64 exec, exec, s[24:25]
	v_or_b32_e32 v15, 0x3400, v0
	v_cmp_gt_u32_e64 s[24:25], s34, v15
                                        ; implicit-def: $vgpr14
	s_and_saveexec_b64 s[26:27], s[24:25]
	s_cbranch_execz .LBB163_31
; %bb.30:
	global_load_ubyte v14, v15, s[30:31]
.LBB163_31:
	s_or_b64 exec, exec, s[26:27]
	v_or_b32_e32 v16, 0x3800, v0
	v_cmp_gt_u32_e64 s[26:27], s34, v16
                                        ; implicit-def: $vgpr15
	s_and_saveexec_b64 s[28:29], s[26:27]
	s_cbranch_execz .LBB163_33
; %bb.32:
	global_load_ubyte v15, v16, s[30:31]
.LBB163_33:
	s_or_b64 exec, exec, s[28:29]
	v_or_b32_e32 v17, 0x3c00, v0
	v_cmp_gt_u32_e64 s[28:29], s34, v17
                                        ; implicit-def: $vgpr16
	s_and_saveexec_b64 s[34:35], s[28:29]
	s_cbranch_execz .LBB163_35
; %bb.34:
	global_load_ubyte v16, v17, s[30:31]
.LBB163_35:
	s_or_b64 exec, exec, s[34:35]
	s_waitcnt vmcnt(0)
	v_lshlrev_b16_e32 v2, 8, v2
	v_or_b32_sdwa v1, v1, v2 dst_sel:DWORD dst_unused:UNUSED_PAD src0_sel:BYTE_0 src1_sel:DWORD
	v_lshlrev_b16_e32 v2, 8, v4
	v_or_b32_sdwa v2, v3, v2 dst_sel:WORD_1 dst_unused:UNUSED_PAD src0_sel:BYTE_0 src1_sel:DWORD
	v_or_b32_sdwa v17, v1, v2 dst_sel:DWORD dst_unused:UNUSED_PAD src0_sel:WORD_0 src1_sel:DWORD
	v_lshlrev_b16_e32 v1, 8, v6
	v_lshlrev_b16_e32 v2, 8, v8
	v_or_b32_sdwa v1, v5, v1 dst_sel:DWORD dst_unused:UNUSED_PAD src0_sel:BYTE_0 src1_sel:DWORD
	v_or_b32_sdwa v2, v7, v2 dst_sel:WORD_1 dst_unused:UNUSED_PAD src0_sel:BYTE_0 src1_sel:DWORD
	v_or_b32_sdwa v4, v1, v2 dst_sel:DWORD dst_unused:UNUSED_PAD src0_sel:WORD_0 src1_sel:DWORD
	v_lshlrev_b16_e32 v1, 8, v10
	v_lshlrev_b16_e32 v2, 8, v12
	v_or_b32_sdwa v1, v9, v1 dst_sel:DWORD dst_unused:UNUSED_PAD src0_sel:BYTE_0 src1_sel:DWORD
	v_or_b32_sdwa v2, v11, v2 dst_sel:WORD_1 dst_unused:UNUSED_PAD src0_sel:BYTE_0 src1_sel:DWORD
	v_or_b32_sdwa v3, v1, v2 dst_sel:DWORD dst_unused:UNUSED_PAD src0_sel:WORD_0 src1_sel:DWORD
	v_lshlrev_b16_e32 v1, 8, v14
	v_lshlrev_b16_e32 v2, 8, v16
	s_add_u32 s30, s33, s37
	v_or_b32_sdwa v1, v13, v1 dst_sel:DWORD dst_unused:UNUSED_PAD src0_sel:BYTE_0 src1_sel:DWORD
	v_or_b32_sdwa v2, v15, v2 dst_sel:WORD_1 dst_unused:UNUSED_PAD src0_sel:BYTE_0 src1_sel:DWORD
	s_addc_u32 s31, s36, 0
	v_or_b32_sdwa v2, v1, v2 dst_sel:DWORD dst_unused:UNUSED_PAD src0_sel:WORD_0 src1_sel:DWORD
	v_mov_b32_e32 v1, s31
	v_add_co_u32_e64 v0, s[30:31], s30, v0
	v_addc_co_u32_e64 v1, s[30:31], 0, v1, s[30:31]
	s_and_saveexec_b64 s[30:31], vcc
	s_cbranch_execz .LBB163_37
; %bb.36:
	global_store_byte v[0:1], v17, off
.LBB163_37:
	s_or_b64 exec, exec, s[30:31]
	s_and_saveexec_b64 s[30:31], s[0:1]
	s_cbranch_execz .LBB163_39
; %bb.38:
	v_lshrrev_b32_e32 v5, 8, v17
	global_store_byte v[0:1], v5, off offset:1024
.LBB163_39:
	s_or_b64 exec, exec, s[30:31]
	s_mov_b32 s0, 0x7060104
	v_perm_b32 v5, v17, v17, s0
	v_cndmask_b32_e64 v6, v5, v17, s[2:3]
	s_and_saveexec_b64 s[0:1], s[2:3]
	s_cbranch_execz .LBB163_41
; %bb.40:
	global_store_byte_d16_hi v[0:1], v6, off offset:2048
.LBB163_41:
	s_or_b64 exec, exec, s[0:1]
	s_mov_b32 s0, 0x7020504
	v_perm_b32 v5, v5, v6, s0
	v_cndmask_b32_e64 v5, v5, v17, s[4:5]
	s_and_saveexec_b64 s[0:1], s[4:5]
	s_cbranch_execz .LBB163_43
; %bb.42:
	v_lshrrev_b32_e32 v5, 24, v5
	global_store_byte v[0:1], v5, off offset:3072
.LBB163_43:
	s_or_b64 exec, exec, s[0:1]
	s_and_saveexec_b64 s[0:1], s[6:7]
	s_cbranch_execz .LBB163_45
; %bb.44:
	v_add_co_u32_e32 v6, vcc, 0x1000, v0
	v_addc_co_u32_e32 v7, vcc, 0, v1, vcc
	global_store_byte v[6:7], v4, off
.LBB163_45:
	s_or_b64 exec, exec, s[0:1]
	s_mov_b32 s0, 0x3020104
	v_perm_b32 v5, v4, v4, s0
	v_cndmask_b32_e64 v6, v5, v4, s[8:9]
	s_and_saveexec_b64 s[0:1], s[8:9]
	s_cbranch_execz .LBB163_47
; %bb.46:
	v_add_co_u32_e32 v8, vcc, 0x1000, v0
	v_lshrrev_b32_e32 v7, 8, v6
	v_addc_co_u32_e32 v9, vcc, 0, v1, vcc
	global_store_byte v[8:9], v7, off offset:1024
.LBB163_47:
	s_or_b64 exec, exec, s[0:1]
	s_mov_b32 s0, 0x7060104
	v_perm_b32 v5, v5, v6, s0
	v_cndmask_b32_e64 v6, v5, v4, s[10:11]
	s_and_saveexec_b64 s[0:1], s[10:11]
	s_cbranch_execz .LBB163_49
; %bb.48:
	v_add_co_u32_e32 v8, vcc, 0x1000, v0
	v_addc_co_u32_e32 v9, vcc, 0, v1, vcc
	global_store_byte_d16_hi v[8:9], v6, off offset:2048
.LBB163_49:
	s_or_b64 exec, exec, s[0:1]
	s_mov_b32 s0, 0x7020504
	v_perm_b32 v5, v5, v6, s0
	v_cndmask_b32_e64 v4, v5, v4, s[12:13]
	s_and_saveexec_b64 s[0:1], s[12:13]
	s_cbranch_execz .LBB163_51
; %bb.50:
	v_lshrrev_b32_e32 v6, 24, v4
	v_add_co_u32_e32 v4, vcc, 0x1000, v0
	v_addc_co_u32_e32 v5, vcc, 0, v1, vcc
	global_store_byte v[4:5], v6, off offset:3072
.LBB163_51:
	s_or_b64 exec, exec, s[0:1]
	s_and_saveexec_b64 s[0:1], s[14:15]
	s_cbranch_execz .LBB163_53
; %bb.52:
	v_add_co_u32_e32 v4, vcc, 0x2000, v0
	v_addc_co_u32_e32 v5, vcc, 0, v1, vcc
	global_store_byte v[4:5], v3, off
.LBB163_53:
	s_or_b64 exec, exec, s[0:1]
	s_mov_b32 s0, 0x3020104
	v_perm_b32 v4, v3, v3, s0
	v_cndmask_b32_e64 v5, v4, v3, s[16:17]
	s_and_saveexec_b64 s[0:1], s[16:17]
	s_cbranch_execz .LBB163_55
; %bb.54:
	v_add_co_u32_e32 v6, vcc, 0x2000, v0
	v_lshrrev_b32_e32 v8, 8, v5
	v_addc_co_u32_e32 v7, vcc, 0, v1, vcc
	global_store_byte v[6:7], v8, off offset:1024
.LBB163_55:
	s_or_b64 exec, exec, s[0:1]
	s_mov_b32 s0, 0x7060104
	v_perm_b32 v4, v4, v5, s0
	v_cndmask_b32_e64 v5, v4, v3, s[18:19]
	s_and_saveexec_b64 s[0:1], s[18:19]
	s_cbranch_execz .LBB163_57
; %bb.56:
	v_add_co_u32_e32 v6, vcc, 0x2000, v0
	v_addc_co_u32_e32 v7, vcc, 0, v1, vcc
	global_store_byte_d16_hi v[6:7], v5, off offset:2048
.LBB163_57:
	s_or_b64 exec, exec, s[0:1]
	s_mov_b32 s0, 0x7020504
	v_perm_b32 v4, v4, v5, s0
	v_cndmask_b32_e64 v3, v4, v3, s[20:21]
	s_and_saveexec_b64 s[0:1], s[20:21]
	s_cbranch_execz .LBB163_59
; %bb.58:
	v_add_co_u32_e32 v4, vcc, 0x2000, v0
	v_lshrrev_b32_e32 v3, 24, v3
	v_addc_co_u32_e32 v5, vcc, 0, v1, vcc
	global_store_byte v[4:5], v3, off offset:3072
.LBB163_59:
	s_or_b64 exec, exec, s[0:1]
	s_and_saveexec_b64 s[0:1], s[22:23]
	s_cbranch_execz .LBB163_61
; %bb.60:
	v_add_co_u32_e32 v4, vcc, 0x3000, v0
	v_addc_co_u32_e32 v5, vcc, 0, v1, vcc
	global_store_byte v[4:5], v2, off
.LBB163_61:
	s_or_b64 exec, exec, s[0:1]
	s_mov_b32 s0, 0x3020104
	v_perm_b32 v3, v2, v2, s0
	v_cndmask_b32_e64 v4, v3, v2, s[24:25]
	s_and_saveexec_b64 s[0:1], s[24:25]
	s_cbranch_execz .LBB163_63
; %bb.62:
	v_add_co_u32_e32 v6, vcc, 0x3000, v0
	v_lshrrev_b32_e32 v5, 8, v4
	v_addc_co_u32_e32 v7, vcc, 0, v1, vcc
	global_store_byte v[6:7], v5, off offset:1024
.LBB163_63:
	s_or_b64 exec, exec, s[0:1]
	s_mov_b32 s0, 0x7060104
	v_perm_b32 v3, v3, v4, s0
	s_and_saveexec_b64 s[0:1], s[26:27]
	s_cbranch_execz .LBB163_65
; %bb.64:
	v_add_co_u32_e32 v4, vcc, 0x3000, v0
	v_cndmask_b32_e64 v6, v3, v2, s[26:27]
	v_addc_co_u32_e32 v5, vcc, 0, v1, vcc
	global_store_byte_d16_hi v[4:5], v6, off offset:2048
.LBB163_65:
	s_or_b64 exec, exec, s[0:1]
	s_and_saveexec_b64 s[0:1], s[28:29]
	s_cbranch_execz .LBB163_67
; %bb.66:
	v_cndmask_b32_e64 v2, v3, v2, s[28:29]
	v_add_co_u32_e32 v0, vcc, 0x3000, v0
	v_lshrrev_b32_e32 v2, 24, v2
	v_addc_co_u32_e32 v1, vcc, 0, v1, vcc
	global_store_byte v[0:1], v2, off offset:3072
.LBB163_67:
	s_endpgm
	.section	.rodata,"a",@progbits
	.p2align	6, 0x0
	.amdhsa_kernel _ZN7rocprim17ROCPRIM_400000_NS6detail17trampoline_kernelINS0_14default_configENS1_25transform_config_selectorIaLb1EEEZNS1_14transform_implILb1ES3_S5_PaS7_NS0_8identityIaEEEE10hipError_tT2_T3_mT4_P12ihipStream_tbEUlT_E_NS1_11comp_targetILNS1_3genE4ELNS1_11target_archE910ELNS1_3gpuE8ELNS1_3repE0EEENS1_30default_config_static_selectorELNS0_4arch9wavefront6targetE1EEEvT1_
		.amdhsa_group_segment_fixed_size 0
		.amdhsa_private_segment_fixed_size 0
		.amdhsa_kernarg_size 296
		.amdhsa_user_sgpr_count 6
		.amdhsa_user_sgpr_private_segment_buffer 1
		.amdhsa_user_sgpr_dispatch_ptr 0
		.amdhsa_user_sgpr_queue_ptr 0
		.amdhsa_user_sgpr_kernarg_segment_ptr 1
		.amdhsa_user_sgpr_dispatch_id 0
		.amdhsa_user_sgpr_flat_scratch_init 0
		.amdhsa_user_sgpr_kernarg_preload_length 0
		.amdhsa_user_sgpr_kernarg_preload_offset 0
		.amdhsa_user_sgpr_private_segment_size 0
		.amdhsa_uses_dynamic_stack 0
		.amdhsa_system_sgpr_private_segment_wavefront_offset 0
		.amdhsa_system_sgpr_workgroup_id_x 1
		.amdhsa_system_sgpr_workgroup_id_y 0
		.amdhsa_system_sgpr_workgroup_id_z 0
		.amdhsa_system_sgpr_workgroup_info 0
		.amdhsa_system_vgpr_workitem_id 0
		.amdhsa_next_free_vgpr 18
		.amdhsa_next_free_sgpr 38
		.amdhsa_accum_offset 20
		.amdhsa_reserve_vcc 1
		.amdhsa_reserve_flat_scratch 0
		.amdhsa_float_round_mode_32 0
		.amdhsa_float_round_mode_16_64 0
		.amdhsa_float_denorm_mode_32 3
		.amdhsa_float_denorm_mode_16_64 3
		.amdhsa_dx10_clamp 1
		.amdhsa_ieee_mode 1
		.amdhsa_fp16_overflow 0
		.amdhsa_tg_split 0
		.amdhsa_exception_fp_ieee_invalid_op 0
		.amdhsa_exception_fp_denorm_src 0
		.amdhsa_exception_fp_ieee_div_zero 0
		.amdhsa_exception_fp_ieee_overflow 0
		.amdhsa_exception_fp_ieee_underflow 0
		.amdhsa_exception_fp_ieee_inexact 0
		.amdhsa_exception_int_div_zero 0
	.end_amdhsa_kernel
	.section	.text._ZN7rocprim17ROCPRIM_400000_NS6detail17trampoline_kernelINS0_14default_configENS1_25transform_config_selectorIaLb1EEEZNS1_14transform_implILb1ES3_S5_PaS7_NS0_8identityIaEEEE10hipError_tT2_T3_mT4_P12ihipStream_tbEUlT_E_NS1_11comp_targetILNS1_3genE4ELNS1_11target_archE910ELNS1_3gpuE8ELNS1_3repE0EEENS1_30default_config_static_selectorELNS0_4arch9wavefront6targetE1EEEvT1_,"axG",@progbits,_ZN7rocprim17ROCPRIM_400000_NS6detail17trampoline_kernelINS0_14default_configENS1_25transform_config_selectorIaLb1EEEZNS1_14transform_implILb1ES3_S5_PaS7_NS0_8identityIaEEEE10hipError_tT2_T3_mT4_P12ihipStream_tbEUlT_E_NS1_11comp_targetILNS1_3genE4ELNS1_11target_archE910ELNS1_3gpuE8ELNS1_3repE0EEENS1_30default_config_static_selectorELNS0_4arch9wavefront6targetE1EEEvT1_,comdat
.Lfunc_end163:
	.size	_ZN7rocprim17ROCPRIM_400000_NS6detail17trampoline_kernelINS0_14default_configENS1_25transform_config_selectorIaLb1EEEZNS1_14transform_implILb1ES3_S5_PaS7_NS0_8identityIaEEEE10hipError_tT2_T3_mT4_P12ihipStream_tbEUlT_E_NS1_11comp_targetILNS1_3genE4ELNS1_11target_archE910ELNS1_3gpuE8ELNS1_3repE0EEENS1_30default_config_static_selectorELNS0_4arch9wavefront6targetE1EEEvT1_, .Lfunc_end163-_ZN7rocprim17ROCPRIM_400000_NS6detail17trampoline_kernelINS0_14default_configENS1_25transform_config_selectorIaLb1EEEZNS1_14transform_implILb1ES3_S5_PaS7_NS0_8identityIaEEEE10hipError_tT2_T3_mT4_P12ihipStream_tbEUlT_E_NS1_11comp_targetILNS1_3genE4ELNS1_11target_archE910ELNS1_3gpuE8ELNS1_3repE0EEENS1_30default_config_static_selectorELNS0_4arch9wavefront6targetE1EEEvT1_
                                        ; -- End function
	.section	.AMDGPU.csdata,"",@progbits
; Kernel info:
; codeLenInByte = 1580
; NumSgprs: 42
; NumVgprs: 18
; NumAgprs: 0
; TotalNumVgprs: 18
; ScratchSize: 0
; MemoryBound: 1
; FloatMode: 240
; IeeeMode: 1
; LDSByteSize: 0 bytes/workgroup (compile time only)
; SGPRBlocks: 5
; VGPRBlocks: 2
; NumSGPRsForWavesPerEU: 42
; NumVGPRsForWavesPerEU: 18
; AccumOffset: 20
; Occupancy: 8
; WaveLimiterHint : 0
; COMPUTE_PGM_RSRC2:SCRATCH_EN: 0
; COMPUTE_PGM_RSRC2:USER_SGPR: 6
; COMPUTE_PGM_RSRC2:TRAP_HANDLER: 0
; COMPUTE_PGM_RSRC2:TGID_X_EN: 1
; COMPUTE_PGM_RSRC2:TGID_Y_EN: 0
; COMPUTE_PGM_RSRC2:TGID_Z_EN: 0
; COMPUTE_PGM_RSRC2:TIDIG_COMP_CNT: 0
; COMPUTE_PGM_RSRC3_GFX90A:ACCUM_OFFSET: 4
; COMPUTE_PGM_RSRC3_GFX90A:TG_SPLIT: 0
	.section	.text._ZN7rocprim17ROCPRIM_400000_NS6detail17trampoline_kernelINS0_14default_configENS1_25transform_config_selectorIaLb1EEEZNS1_14transform_implILb1ES3_S5_PaS7_NS0_8identityIaEEEE10hipError_tT2_T3_mT4_P12ihipStream_tbEUlT_E_NS1_11comp_targetILNS1_3genE3ELNS1_11target_archE908ELNS1_3gpuE7ELNS1_3repE0EEENS1_30default_config_static_selectorELNS0_4arch9wavefront6targetE1EEEvT1_,"axG",@progbits,_ZN7rocprim17ROCPRIM_400000_NS6detail17trampoline_kernelINS0_14default_configENS1_25transform_config_selectorIaLb1EEEZNS1_14transform_implILb1ES3_S5_PaS7_NS0_8identityIaEEEE10hipError_tT2_T3_mT4_P12ihipStream_tbEUlT_E_NS1_11comp_targetILNS1_3genE3ELNS1_11target_archE908ELNS1_3gpuE7ELNS1_3repE0EEENS1_30default_config_static_selectorELNS0_4arch9wavefront6targetE1EEEvT1_,comdat
	.protected	_ZN7rocprim17ROCPRIM_400000_NS6detail17trampoline_kernelINS0_14default_configENS1_25transform_config_selectorIaLb1EEEZNS1_14transform_implILb1ES3_S5_PaS7_NS0_8identityIaEEEE10hipError_tT2_T3_mT4_P12ihipStream_tbEUlT_E_NS1_11comp_targetILNS1_3genE3ELNS1_11target_archE908ELNS1_3gpuE7ELNS1_3repE0EEENS1_30default_config_static_selectorELNS0_4arch9wavefront6targetE1EEEvT1_ ; -- Begin function _ZN7rocprim17ROCPRIM_400000_NS6detail17trampoline_kernelINS0_14default_configENS1_25transform_config_selectorIaLb1EEEZNS1_14transform_implILb1ES3_S5_PaS7_NS0_8identityIaEEEE10hipError_tT2_T3_mT4_P12ihipStream_tbEUlT_E_NS1_11comp_targetILNS1_3genE3ELNS1_11target_archE908ELNS1_3gpuE7ELNS1_3repE0EEENS1_30default_config_static_selectorELNS0_4arch9wavefront6targetE1EEEvT1_
	.globl	_ZN7rocprim17ROCPRIM_400000_NS6detail17trampoline_kernelINS0_14default_configENS1_25transform_config_selectorIaLb1EEEZNS1_14transform_implILb1ES3_S5_PaS7_NS0_8identityIaEEEE10hipError_tT2_T3_mT4_P12ihipStream_tbEUlT_E_NS1_11comp_targetILNS1_3genE3ELNS1_11target_archE908ELNS1_3gpuE7ELNS1_3repE0EEENS1_30default_config_static_selectorELNS0_4arch9wavefront6targetE1EEEvT1_
	.p2align	8
	.type	_ZN7rocprim17ROCPRIM_400000_NS6detail17trampoline_kernelINS0_14default_configENS1_25transform_config_selectorIaLb1EEEZNS1_14transform_implILb1ES3_S5_PaS7_NS0_8identityIaEEEE10hipError_tT2_T3_mT4_P12ihipStream_tbEUlT_E_NS1_11comp_targetILNS1_3genE3ELNS1_11target_archE908ELNS1_3gpuE7ELNS1_3repE0EEENS1_30default_config_static_selectorELNS0_4arch9wavefront6targetE1EEEvT1_,@function
_ZN7rocprim17ROCPRIM_400000_NS6detail17trampoline_kernelINS0_14default_configENS1_25transform_config_selectorIaLb1EEEZNS1_14transform_implILb1ES3_S5_PaS7_NS0_8identityIaEEEE10hipError_tT2_T3_mT4_P12ihipStream_tbEUlT_E_NS1_11comp_targetILNS1_3genE3ELNS1_11target_archE908ELNS1_3gpuE7ELNS1_3repE0EEENS1_30default_config_static_selectorELNS0_4arch9wavefront6targetE1EEEvT1_: ; @_ZN7rocprim17ROCPRIM_400000_NS6detail17trampoline_kernelINS0_14default_configENS1_25transform_config_selectorIaLb1EEEZNS1_14transform_implILb1ES3_S5_PaS7_NS0_8identityIaEEEE10hipError_tT2_T3_mT4_P12ihipStream_tbEUlT_E_NS1_11comp_targetILNS1_3genE3ELNS1_11target_archE908ELNS1_3gpuE7ELNS1_3repE0EEENS1_30default_config_static_selectorELNS0_4arch9wavefront6targetE1EEEvT1_
; %bb.0:
	.section	.rodata,"a",@progbits
	.p2align	6, 0x0
	.amdhsa_kernel _ZN7rocprim17ROCPRIM_400000_NS6detail17trampoline_kernelINS0_14default_configENS1_25transform_config_selectorIaLb1EEEZNS1_14transform_implILb1ES3_S5_PaS7_NS0_8identityIaEEEE10hipError_tT2_T3_mT4_P12ihipStream_tbEUlT_E_NS1_11comp_targetILNS1_3genE3ELNS1_11target_archE908ELNS1_3gpuE7ELNS1_3repE0EEENS1_30default_config_static_selectorELNS0_4arch9wavefront6targetE1EEEvT1_
		.amdhsa_group_segment_fixed_size 0
		.amdhsa_private_segment_fixed_size 0
		.amdhsa_kernarg_size 40
		.amdhsa_user_sgpr_count 6
		.amdhsa_user_sgpr_private_segment_buffer 1
		.amdhsa_user_sgpr_dispatch_ptr 0
		.amdhsa_user_sgpr_queue_ptr 0
		.amdhsa_user_sgpr_kernarg_segment_ptr 1
		.amdhsa_user_sgpr_dispatch_id 0
		.amdhsa_user_sgpr_flat_scratch_init 0
		.amdhsa_user_sgpr_kernarg_preload_length 0
		.amdhsa_user_sgpr_kernarg_preload_offset 0
		.amdhsa_user_sgpr_private_segment_size 0
		.amdhsa_uses_dynamic_stack 0
		.amdhsa_system_sgpr_private_segment_wavefront_offset 0
		.amdhsa_system_sgpr_workgroup_id_x 1
		.amdhsa_system_sgpr_workgroup_id_y 0
		.amdhsa_system_sgpr_workgroup_id_z 0
		.amdhsa_system_sgpr_workgroup_info 0
		.amdhsa_system_vgpr_workitem_id 0
		.amdhsa_next_free_vgpr 1
		.amdhsa_next_free_sgpr 0
		.amdhsa_accum_offset 4
		.amdhsa_reserve_vcc 0
		.amdhsa_reserve_flat_scratch 0
		.amdhsa_float_round_mode_32 0
		.amdhsa_float_round_mode_16_64 0
		.amdhsa_float_denorm_mode_32 3
		.amdhsa_float_denorm_mode_16_64 3
		.amdhsa_dx10_clamp 1
		.amdhsa_ieee_mode 1
		.amdhsa_fp16_overflow 0
		.amdhsa_tg_split 0
		.amdhsa_exception_fp_ieee_invalid_op 0
		.amdhsa_exception_fp_denorm_src 0
		.amdhsa_exception_fp_ieee_div_zero 0
		.amdhsa_exception_fp_ieee_overflow 0
		.amdhsa_exception_fp_ieee_underflow 0
		.amdhsa_exception_fp_ieee_inexact 0
		.amdhsa_exception_int_div_zero 0
	.end_amdhsa_kernel
	.section	.text._ZN7rocprim17ROCPRIM_400000_NS6detail17trampoline_kernelINS0_14default_configENS1_25transform_config_selectorIaLb1EEEZNS1_14transform_implILb1ES3_S5_PaS7_NS0_8identityIaEEEE10hipError_tT2_T3_mT4_P12ihipStream_tbEUlT_E_NS1_11comp_targetILNS1_3genE3ELNS1_11target_archE908ELNS1_3gpuE7ELNS1_3repE0EEENS1_30default_config_static_selectorELNS0_4arch9wavefront6targetE1EEEvT1_,"axG",@progbits,_ZN7rocprim17ROCPRIM_400000_NS6detail17trampoline_kernelINS0_14default_configENS1_25transform_config_selectorIaLb1EEEZNS1_14transform_implILb1ES3_S5_PaS7_NS0_8identityIaEEEE10hipError_tT2_T3_mT4_P12ihipStream_tbEUlT_E_NS1_11comp_targetILNS1_3genE3ELNS1_11target_archE908ELNS1_3gpuE7ELNS1_3repE0EEENS1_30default_config_static_selectorELNS0_4arch9wavefront6targetE1EEEvT1_,comdat
.Lfunc_end164:
	.size	_ZN7rocprim17ROCPRIM_400000_NS6detail17trampoline_kernelINS0_14default_configENS1_25transform_config_selectorIaLb1EEEZNS1_14transform_implILb1ES3_S5_PaS7_NS0_8identityIaEEEE10hipError_tT2_T3_mT4_P12ihipStream_tbEUlT_E_NS1_11comp_targetILNS1_3genE3ELNS1_11target_archE908ELNS1_3gpuE7ELNS1_3repE0EEENS1_30default_config_static_selectorELNS0_4arch9wavefront6targetE1EEEvT1_, .Lfunc_end164-_ZN7rocprim17ROCPRIM_400000_NS6detail17trampoline_kernelINS0_14default_configENS1_25transform_config_selectorIaLb1EEEZNS1_14transform_implILb1ES3_S5_PaS7_NS0_8identityIaEEEE10hipError_tT2_T3_mT4_P12ihipStream_tbEUlT_E_NS1_11comp_targetILNS1_3genE3ELNS1_11target_archE908ELNS1_3gpuE7ELNS1_3repE0EEENS1_30default_config_static_selectorELNS0_4arch9wavefront6targetE1EEEvT1_
                                        ; -- End function
	.section	.AMDGPU.csdata,"",@progbits
; Kernel info:
; codeLenInByte = 0
; NumSgprs: 4
; NumVgprs: 0
; NumAgprs: 0
; TotalNumVgprs: 0
; ScratchSize: 0
; MemoryBound: 0
; FloatMode: 240
; IeeeMode: 1
; LDSByteSize: 0 bytes/workgroup (compile time only)
; SGPRBlocks: 0
; VGPRBlocks: 0
; NumSGPRsForWavesPerEU: 4
; NumVGPRsForWavesPerEU: 1
; AccumOffset: 4
; Occupancy: 8
; WaveLimiterHint : 0
; COMPUTE_PGM_RSRC2:SCRATCH_EN: 0
; COMPUTE_PGM_RSRC2:USER_SGPR: 6
; COMPUTE_PGM_RSRC2:TRAP_HANDLER: 0
; COMPUTE_PGM_RSRC2:TGID_X_EN: 1
; COMPUTE_PGM_RSRC2:TGID_Y_EN: 0
; COMPUTE_PGM_RSRC2:TGID_Z_EN: 0
; COMPUTE_PGM_RSRC2:TIDIG_COMP_CNT: 0
; COMPUTE_PGM_RSRC3_GFX90A:ACCUM_OFFSET: 0
; COMPUTE_PGM_RSRC3_GFX90A:TG_SPLIT: 0
	.section	.text._ZN7rocprim17ROCPRIM_400000_NS6detail17trampoline_kernelINS0_14default_configENS1_25transform_config_selectorIaLb1EEEZNS1_14transform_implILb1ES3_S5_PaS7_NS0_8identityIaEEEE10hipError_tT2_T3_mT4_P12ihipStream_tbEUlT_E_NS1_11comp_targetILNS1_3genE2ELNS1_11target_archE906ELNS1_3gpuE6ELNS1_3repE0EEENS1_30default_config_static_selectorELNS0_4arch9wavefront6targetE1EEEvT1_,"axG",@progbits,_ZN7rocprim17ROCPRIM_400000_NS6detail17trampoline_kernelINS0_14default_configENS1_25transform_config_selectorIaLb1EEEZNS1_14transform_implILb1ES3_S5_PaS7_NS0_8identityIaEEEE10hipError_tT2_T3_mT4_P12ihipStream_tbEUlT_E_NS1_11comp_targetILNS1_3genE2ELNS1_11target_archE906ELNS1_3gpuE6ELNS1_3repE0EEENS1_30default_config_static_selectorELNS0_4arch9wavefront6targetE1EEEvT1_,comdat
	.protected	_ZN7rocprim17ROCPRIM_400000_NS6detail17trampoline_kernelINS0_14default_configENS1_25transform_config_selectorIaLb1EEEZNS1_14transform_implILb1ES3_S5_PaS7_NS0_8identityIaEEEE10hipError_tT2_T3_mT4_P12ihipStream_tbEUlT_E_NS1_11comp_targetILNS1_3genE2ELNS1_11target_archE906ELNS1_3gpuE6ELNS1_3repE0EEENS1_30default_config_static_selectorELNS0_4arch9wavefront6targetE1EEEvT1_ ; -- Begin function _ZN7rocprim17ROCPRIM_400000_NS6detail17trampoline_kernelINS0_14default_configENS1_25transform_config_selectorIaLb1EEEZNS1_14transform_implILb1ES3_S5_PaS7_NS0_8identityIaEEEE10hipError_tT2_T3_mT4_P12ihipStream_tbEUlT_E_NS1_11comp_targetILNS1_3genE2ELNS1_11target_archE906ELNS1_3gpuE6ELNS1_3repE0EEENS1_30default_config_static_selectorELNS0_4arch9wavefront6targetE1EEEvT1_
	.globl	_ZN7rocprim17ROCPRIM_400000_NS6detail17trampoline_kernelINS0_14default_configENS1_25transform_config_selectorIaLb1EEEZNS1_14transform_implILb1ES3_S5_PaS7_NS0_8identityIaEEEE10hipError_tT2_T3_mT4_P12ihipStream_tbEUlT_E_NS1_11comp_targetILNS1_3genE2ELNS1_11target_archE906ELNS1_3gpuE6ELNS1_3repE0EEENS1_30default_config_static_selectorELNS0_4arch9wavefront6targetE1EEEvT1_
	.p2align	8
	.type	_ZN7rocprim17ROCPRIM_400000_NS6detail17trampoline_kernelINS0_14default_configENS1_25transform_config_selectorIaLb1EEEZNS1_14transform_implILb1ES3_S5_PaS7_NS0_8identityIaEEEE10hipError_tT2_T3_mT4_P12ihipStream_tbEUlT_E_NS1_11comp_targetILNS1_3genE2ELNS1_11target_archE906ELNS1_3gpuE6ELNS1_3repE0EEENS1_30default_config_static_selectorELNS0_4arch9wavefront6targetE1EEEvT1_,@function
_ZN7rocprim17ROCPRIM_400000_NS6detail17trampoline_kernelINS0_14default_configENS1_25transform_config_selectorIaLb1EEEZNS1_14transform_implILb1ES3_S5_PaS7_NS0_8identityIaEEEE10hipError_tT2_T3_mT4_P12ihipStream_tbEUlT_E_NS1_11comp_targetILNS1_3genE2ELNS1_11target_archE906ELNS1_3gpuE6ELNS1_3repE0EEENS1_30default_config_static_selectorELNS0_4arch9wavefront6targetE1EEEvT1_: ; @_ZN7rocprim17ROCPRIM_400000_NS6detail17trampoline_kernelINS0_14default_configENS1_25transform_config_selectorIaLb1EEEZNS1_14transform_implILb1ES3_S5_PaS7_NS0_8identityIaEEEE10hipError_tT2_T3_mT4_P12ihipStream_tbEUlT_E_NS1_11comp_targetILNS1_3genE2ELNS1_11target_archE906ELNS1_3gpuE6ELNS1_3repE0EEENS1_30default_config_static_selectorELNS0_4arch9wavefront6targetE1EEEvT1_
; %bb.0:
	.section	.rodata,"a",@progbits
	.p2align	6, 0x0
	.amdhsa_kernel _ZN7rocprim17ROCPRIM_400000_NS6detail17trampoline_kernelINS0_14default_configENS1_25transform_config_selectorIaLb1EEEZNS1_14transform_implILb1ES3_S5_PaS7_NS0_8identityIaEEEE10hipError_tT2_T3_mT4_P12ihipStream_tbEUlT_E_NS1_11comp_targetILNS1_3genE2ELNS1_11target_archE906ELNS1_3gpuE6ELNS1_3repE0EEENS1_30default_config_static_selectorELNS0_4arch9wavefront6targetE1EEEvT1_
		.amdhsa_group_segment_fixed_size 0
		.amdhsa_private_segment_fixed_size 0
		.amdhsa_kernarg_size 40
		.amdhsa_user_sgpr_count 6
		.amdhsa_user_sgpr_private_segment_buffer 1
		.amdhsa_user_sgpr_dispatch_ptr 0
		.amdhsa_user_sgpr_queue_ptr 0
		.amdhsa_user_sgpr_kernarg_segment_ptr 1
		.amdhsa_user_sgpr_dispatch_id 0
		.amdhsa_user_sgpr_flat_scratch_init 0
		.amdhsa_user_sgpr_kernarg_preload_length 0
		.amdhsa_user_sgpr_kernarg_preload_offset 0
		.amdhsa_user_sgpr_private_segment_size 0
		.amdhsa_uses_dynamic_stack 0
		.amdhsa_system_sgpr_private_segment_wavefront_offset 0
		.amdhsa_system_sgpr_workgroup_id_x 1
		.amdhsa_system_sgpr_workgroup_id_y 0
		.amdhsa_system_sgpr_workgroup_id_z 0
		.amdhsa_system_sgpr_workgroup_info 0
		.amdhsa_system_vgpr_workitem_id 0
		.amdhsa_next_free_vgpr 1
		.amdhsa_next_free_sgpr 0
		.amdhsa_accum_offset 4
		.amdhsa_reserve_vcc 0
		.amdhsa_reserve_flat_scratch 0
		.amdhsa_float_round_mode_32 0
		.amdhsa_float_round_mode_16_64 0
		.amdhsa_float_denorm_mode_32 3
		.amdhsa_float_denorm_mode_16_64 3
		.amdhsa_dx10_clamp 1
		.amdhsa_ieee_mode 1
		.amdhsa_fp16_overflow 0
		.amdhsa_tg_split 0
		.amdhsa_exception_fp_ieee_invalid_op 0
		.amdhsa_exception_fp_denorm_src 0
		.amdhsa_exception_fp_ieee_div_zero 0
		.amdhsa_exception_fp_ieee_overflow 0
		.amdhsa_exception_fp_ieee_underflow 0
		.amdhsa_exception_fp_ieee_inexact 0
		.amdhsa_exception_int_div_zero 0
	.end_amdhsa_kernel
	.section	.text._ZN7rocprim17ROCPRIM_400000_NS6detail17trampoline_kernelINS0_14default_configENS1_25transform_config_selectorIaLb1EEEZNS1_14transform_implILb1ES3_S5_PaS7_NS0_8identityIaEEEE10hipError_tT2_T3_mT4_P12ihipStream_tbEUlT_E_NS1_11comp_targetILNS1_3genE2ELNS1_11target_archE906ELNS1_3gpuE6ELNS1_3repE0EEENS1_30default_config_static_selectorELNS0_4arch9wavefront6targetE1EEEvT1_,"axG",@progbits,_ZN7rocprim17ROCPRIM_400000_NS6detail17trampoline_kernelINS0_14default_configENS1_25transform_config_selectorIaLb1EEEZNS1_14transform_implILb1ES3_S5_PaS7_NS0_8identityIaEEEE10hipError_tT2_T3_mT4_P12ihipStream_tbEUlT_E_NS1_11comp_targetILNS1_3genE2ELNS1_11target_archE906ELNS1_3gpuE6ELNS1_3repE0EEENS1_30default_config_static_selectorELNS0_4arch9wavefront6targetE1EEEvT1_,comdat
.Lfunc_end165:
	.size	_ZN7rocprim17ROCPRIM_400000_NS6detail17trampoline_kernelINS0_14default_configENS1_25transform_config_selectorIaLb1EEEZNS1_14transform_implILb1ES3_S5_PaS7_NS0_8identityIaEEEE10hipError_tT2_T3_mT4_P12ihipStream_tbEUlT_E_NS1_11comp_targetILNS1_3genE2ELNS1_11target_archE906ELNS1_3gpuE6ELNS1_3repE0EEENS1_30default_config_static_selectorELNS0_4arch9wavefront6targetE1EEEvT1_, .Lfunc_end165-_ZN7rocprim17ROCPRIM_400000_NS6detail17trampoline_kernelINS0_14default_configENS1_25transform_config_selectorIaLb1EEEZNS1_14transform_implILb1ES3_S5_PaS7_NS0_8identityIaEEEE10hipError_tT2_T3_mT4_P12ihipStream_tbEUlT_E_NS1_11comp_targetILNS1_3genE2ELNS1_11target_archE906ELNS1_3gpuE6ELNS1_3repE0EEENS1_30default_config_static_selectorELNS0_4arch9wavefront6targetE1EEEvT1_
                                        ; -- End function
	.section	.AMDGPU.csdata,"",@progbits
; Kernel info:
; codeLenInByte = 0
; NumSgprs: 4
; NumVgprs: 0
; NumAgprs: 0
; TotalNumVgprs: 0
; ScratchSize: 0
; MemoryBound: 0
; FloatMode: 240
; IeeeMode: 1
; LDSByteSize: 0 bytes/workgroup (compile time only)
; SGPRBlocks: 0
; VGPRBlocks: 0
; NumSGPRsForWavesPerEU: 4
; NumVGPRsForWavesPerEU: 1
; AccumOffset: 4
; Occupancy: 8
; WaveLimiterHint : 0
; COMPUTE_PGM_RSRC2:SCRATCH_EN: 0
; COMPUTE_PGM_RSRC2:USER_SGPR: 6
; COMPUTE_PGM_RSRC2:TRAP_HANDLER: 0
; COMPUTE_PGM_RSRC2:TGID_X_EN: 1
; COMPUTE_PGM_RSRC2:TGID_Y_EN: 0
; COMPUTE_PGM_RSRC2:TGID_Z_EN: 0
; COMPUTE_PGM_RSRC2:TIDIG_COMP_CNT: 0
; COMPUTE_PGM_RSRC3_GFX90A:ACCUM_OFFSET: 0
; COMPUTE_PGM_RSRC3_GFX90A:TG_SPLIT: 0
	.section	.text._ZN7rocprim17ROCPRIM_400000_NS6detail17trampoline_kernelINS0_14default_configENS1_25transform_config_selectorIaLb1EEEZNS1_14transform_implILb1ES3_S5_PaS7_NS0_8identityIaEEEE10hipError_tT2_T3_mT4_P12ihipStream_tbEUlT_E_NS1_11comp_targetILNS1_3genE9ELNS1_11target_archE1100ELNS1_3gpuE3ELNS1_3repE0EEENS1_30default_config_static_selectorELNS0_4arch9wavefront6targetE1EEEvT1_,"axG",@progbits,_ZN7rocprim17ROCPRIM_400000_NS6detail17trampoline_kernelINS0_14default_configENS1_25transform_config_selectorIaLb1EEEZNS1_14transform_implILb1ES3_S5_PaS7_NS0_8identityIaEEEE10hipError_tT2_T3_mT4_P12ihipStream_tbEUlT_E_NS1_11comp_targetILNS1_3genE9ELNS1_11target_archE1100ELNS1_3gpuE3ELNS1_3repE0EEENS1_30default_config_static_selectorELNS0_4arch9wavefront6targetE1EEEvT1_,comdat
	.protected	_ZN7rocprim17ROCPRIM_400000_NS6detail17trampoline_kernelINS0_14default_configENS1_25transform_config_selectorIaLb1EEEZNS1_14transform_implILb1ES3_S5_PaS7_NS0_8identityIaEEEE10hipError_tT2_T3_mT4_P12ihipStream_tbEUlT_E_NS1_11comp_targetILNS1_3genE9ELNS1_11target_archE1100ELNS1_3gpuE3ELNS1_3repE0EEENS1_30default_config_static_selectorELNS0_4arch9wavefront6targetE1EEEvT1_ ; -- Begin function _ZN7rocprim17ROCPRIM_400000_NS6detail17trampoline_kernelINS0_14default_configENS1_25transform_config_selectorIaLb1EEEZNS1_14transform_implILb1ES3_S5_PaS7_NS0_8identityIaEEEE10hipError_tT2_T3_mT4_P12ihipStream_tbEUlT_E_NS1_11comp_targetILNS1_3genE9ELNS1_11target_archE1100ELNS1_3gpuE3ELNS1_3repE0EEENS1_30default_config_static_selectorELNS0_4arch9wavefront6targetE1EEEvT1_
	.globl	_ZN7rocprim17ROCPRIM_400000_NS6detail17trampoline_kernelINS0_14default_configENS1_25transform_config_selectorIaLb1EEEZNS1_14transform_implILb1ES3_S5_PaS7_NS0_8identityIaEEEE10hipError_tT2_T3_mT4_P12ihipStream_tbEUlT_E_NS1_11comp_targetILNS1_3genE9ELNS1_11target_archE1100ELNS1_3gpuE3ELNS1_3repE0EEENS1_30default_config_static_selectorELNS0_4arch9wavefront6targetE1EEEvT1_
	.p2align	8
	.type	_ZN7rocprim17ROCPRIM_400000_NS6detail17trampoline_kernelINS0_14default_configENS1_25transform_config_selectorIaLb1EEEZNS1_14transform_implILb1ES3_S5_PaS7_NS0_8identityIaEEEE10hipError_tT2_T3_mT4_P12ihipStream_tbEUlT_E_NS1_11comp_targetILNS1_3genE9ELNS1_11target_archE1100ELNS1_3gpuE3ELNS1_3repE0EEENS1_30default_config_static_selectorELNS0_4arch9wavefront6targetE1EEEvT1_,@function
_ZN7rocprim17ROCPRIM_400000_NS6detail17trampoline_kernelINS0_14default_configENS1_25transform_config_selectorIaLb1EEEZNS1_14transform_implILb1ES3_S5_PaS7_NS0_8identityIaEEEE10hipError_tT2_T3_mT4_P12ihipStream_tbEUlT_E_NS1_11comp_targetILNS1_3genE9ELNS1_11target_archE1100ELNS1_3gpuE3ELNS1_3repE0EEENS1_30default_config_static_selectorELNS0_4arch9wavefront6targetE1EEEvT1_: ; @_ZN7rocprim17ROCPRIM_400000_NS6detail17trampoline_kernelINS0_14default_configENS1_25transform_config_selectorIaLb1EEEZNS1_14transform_implILb1ES3_S5_PaS7_NS0_8identityIaEEEE10hipError_tT2_T3_mT4_P12ihipStream_tbEUlT_E_NS1_11comp_targetILNS1_3genE9ELNS1_11target_archE1100ELNS1_3gpuE3ELNS1_3repE0EEENS1_30default_config_static_selectorELNS0_4arch9wavefront6targetE1EEEvT1_
; %bb.0:
	.section	.rodata,"a",@progbits
	.p2align	6, 0x0
	.amdhsa_kernel _ZN7rocprim17ROCPRIM_400000_NS6detail17trampoline_kernelINS0_14default_configENS1_25transform_config_selectorIaLb1EEEZNS1_14transform_implILb1ES3_S5_PaS7_NS0_8identityIaEEEE10hipError_tT2_T3_mT4_P12ihipStream_tbEUlT_E_NS1_11comp_targetILNS1_3genE9ELNS1_11target_archE1100ELNS1_3gpuE3ELNS1_3repE0EEENS1_30default_config_static_selectorELNS0_4arch9wavefront6targetE1EEEvT1_
		.amdhsa_group_segment_fixed_size 0
		.amdhsa_private_segment_fixed_size 0
		.amdhsa_kernarg_size 40
		.amdhsa_user_sgpr_count 6
		.amdhsa_user_sgpr_private_segment_buffer 1
		.amdhsa_user_sgpr_dispatch_ptr 0
		.amdhsa_user_sgpr_queue_ptr 0
		.amdhsa_user_sgpr_kernarg_segment_ptr 1
		.amdhsa_user_sgpr_dispatch_id 0
		.amdhsa_user_sgpr_flat_scratch_init 0
		.amdhsa_user_sgpr_kernarg_preload_length 0
		.amdhsa_user_sgpr_kernarg_preload_offset 0
		.amdhsa_user_sgpr_private_segment_size 0
		.amdhsa_uses_dynamic_stack 0
		.amdhsa_system_sgpr_private_segment_wavefront_offset 0
		.amdhsa_system_sgpr_workgroup_id_x 1
		.amdhsa_system_sgpr_workgroup_id_y 0
		.amdhsa_system_sgpr_workgroup_id_z 0
		.amdhsa_system_sgpr_workgroup_info 0
		.amdhsa_system_vgpr_workitem_id 0
		.amdhsa_next_free_vgpr 1
		.amdhsa_next_free_sgpr 0
		.amdhsa_accum_offset 4
		.amdhsa_reserve_vcc 0
		.amdhsa_reserve_flat_scratch 0
		.amdhsa_float_round_mode_32 0
		.amdhsa_float_round_mode_16_64 0
		.amdhsa_float_denorm_mode_32 3
		.amdhsa_float_denorm_mode_16_64 3
		.amdhsa_dx10_clamp 1
		.amdhsa_ieee_mode 1
		.amdhsa_fp16_overflow 0
		.amdhsa_tg_split 0
		.amdhsa_exception_fp_ieee_invalid_op 0
		.amdhsa_exception_fp_denorm_src 0
		.amdhsa_exception_fp_ieee_div_zero 0
		.amdhsa_exception_fp_ieee_overflow 0
		.amdhsa_exception_fp_ieee_underflow 0
		.amdhsa_exception_fp_ieee_inexact 0
		.amdhsa_exception_int_div_zero 0
	.end_amdhsa_kernel
	.section	.text._ZN7rocprim17ROCPRIM_400000_NS6detail17trampoline_kernelINS0_14default_configENS1_25transform_config_selectorIaLb1EEEZNS1_14transform_implILb1ES3_S5_PaS7_NS0_8identityIaEEEE10hipError_tT2_T3_mT4_P12ihipStream_tbEUlT_E_NS1_11comp_targetILNS1_3genE9ELNS1_11target_archE1100ELNS1_3gpuE3ELNS1_3repE0EEENS1_30default_config_static_selectorELNS0_4arch9wavefront6targetE1EEEvT1_,"axG",@progbits,_ZN7rocprim17ROCPRIM_400000_NS6detail17trampoline_kernelINS0_14default_configENS1_25transform_config_selectorIaLb1EEEZNS1_14transform_implILb1ES3_S5_PaS7_NS0_8identityIaEEEE10hipError_tT2_T3_mT4_P12ihipStream_tbEUlT_E_NS1_11comp_targetILNS1_3genE9ELNS1_11target_archE1100ELNS1_3gpuE3ELNS1_3repE0EEENS1_30default_config_static_selectorELNS0_4arch9wavefront6targetE1EEEvT1_,comdat
.Lfunc_end166:
	.size	_ZN7rocprim17ROCPRIM_400000_NS6detail17trampoline_kernelINS0_14default_configENS1_25transform_config_selectorIaLb1EEEZNS1_14transform_implILb1ES3_S5_PaS7_NS0_8identityIaEEEE10hipError_tT2_T3_mT4_P12ihipStream_tbEUlT_E_NS1_11comp_targetILNS1_3genE9ELNS1_11target_archE1100ELNS1_3gpuE3ELNS1_3repE0EEENS1_30default_config_static_selectorELNS0_4arch9wavefront6targetE1EEEvT1_, .Lfunc_end166-_ZN7rocprim17ROCPRIM_400000_NS6detail17trampoline_kernelINS0_14default_configENS1_25transform_config_selectorIaLb1EEEZNS1_14transform_implILb1ES3_S5_PaS7_NS0_8identityIaEEEE10hipError_tT2_T3_mT4_P12ihipStream_tbEUlT_E_NS1_11comp_targetILNS1_3genE9ELNS1_11target_archE1100ELNS1_3gpuE3ELNS1_3repE0EEENS1_30default_config_static_selectorELNS0_4arch9wavefront6targetE1EEEvT1_
                                        ; -- End function
	.section	.AMDGPU.csdata,"",@progbits
; Kernel info:
; codeLenInByte = 0
; NumSgprs: 4
; NumVgprs: 0
; NumAgprs: 0
; TotalNumVgprs: 0
; ScratchSize: 0
; MemoryBound: 0
; FloatMode: 240
; IeeeMode: 1
; LDSByteSize: 0 bytes/workgroup (compile time only)
; SGPRBlocks: 0
; VGPRBlocks: 0
; NumSGPRsForWavesPerEU: 4
; NumVGPRsForWavesPerEU: 1
; AccumOffset: 4
; Occupancy: 8
; WaveLimiterHint : 0
; COMPUTE_PGM_RSRC2:SCRATCH_EN: 0
; COMPUTE_PGM_RSRC2:USER_SGPR: 6
; COMPUTE_PGM_RSRC2:TRAP_HANDLER: 0
; COMPUTE_PGM_RSRC2:TGID_X_EN: 1
; COMPUTE_PGM_RSRC2:TGID_Y_EN: 0
; COMPUTE_PGM_RSRC2:TGID_Z_EN: 0
; COMPUTE_PGM_RSRC2:TIDIG_COMP_CNT: 0
; COMPUTE_PGM_RSRC3_GFX90A:ACCUM_OFFSET: 0
; COMPUTE_PGM_RSRC3_GFX90A:TG_SPLIT: 0
	.section	.text._ZN7rocprim17ROCPRIM_400000_NS6detail17trampoline_kernelINS0_14default_configENS1_25transform_config_selectorIaLb1EEEZNS1_14transform_implILb1ES3_S5_PaS7_NS0_8identityIaEEEE10hipError_tT2_T3_mT4_P12ihipStream_tbEUlT_E_NS1_11comp_targetILNS1_3genE8ELNS1_11target_archE1030ELNS1_3gpuE2ELNS1_3repE0EEENS1_30default_config_static_selectorELNS0_4arch9wavefront6targetE1EEEvT1_,"axG",@progbits,_ZN7rocprim17ROCPRIM_400000_NS6detail17trampoline_kernelINS0_14default_configENS1_25transform_config_selectorIaLb1EEEZNS1_14transform_implILb1ES3_S5_PaS7_NS0_8identityIaEEEE10hipError_tT2_T3_mT4_P12ihipStream_tbEUlT_E_NS1_11comp_targetILNS1_3genE8ELNS1_11target_archE1030ELNS1_3gpuE2ELNS1_3repE0EEENS1_30default_config_static_selectorELNS0_4arch9wavefront6targetE1EEEvT1_,comdat
	.protected	_ZN7rocprim17ROCPRIM_400000_NS6detail17trampoline_kernelINS0_14default_configENS1_25transform_config_selectorIaLb1EEEZNS1_14transform_implILb1ES3_S5_PaS7_NS0_8identityIaEEEE10hipError_tT2_T3_mT4_P12ihipStream_tbEUlT_E_NS1_11comp_targetILNS1_3genE8ELNS1_11target_archE1030ELNS1_3gpuE2ELNS1_3repE0EEENS1_30default_config_static_selectorELNS0_4arch9wavefront6targetE1EEEvT1_ ; -- Begin function _ZN7rocprim17ROCPRIM_400000_NS6detail17trampoline_kernelINS0_14default_configENS1_25transform_config_selectorIaLb1EEEZNS1_14transform_implILb1ES3_S5_PaS7_NS0_8identityIaEEEE10hipError_tT2_T3_mT4_P12ihipStream_tbEUlT_E_NS1_11comp_targetILNS1_3genE8ELNS1_11target_archE1030ELNS1_3gpuE2ELNS1_3repE0EEENS1_30default_config_static_selectorELNS0_4arch9wavefront6targetE1EEEvT1_
	.globl	_ZN7rocprim17ROCPRIM_400000_NS6detail17trampoline_kernelINS0_14default_configENS1_25transform_config_selectorIaLb1EEEZNS1_14transform_implILb1ES3_S5_PaS7_NS0_8identityIaEEEE10hipError_tT2_T3_mT4_P12ihipStream_tbEUlT_E_NS1_11comp_targetILNS1_3genE8ELNS1_11target_archE1030ELNS1_3gpuE2ELNS1_3repE0EEENS1_30default_config_static_selectorELNS0_4arch9wavefront6targetE1EEEvT1_
	.p2align	8
	.type	_ZN7rocprim17ROCPRIM_400000_NS6detail17trampoline_kernelINS0_14default_configENS1_25transform_config_selectorIaLb1EEEZNS1_14transform_implILb1ES3_S5_PaS7_NS0_8identityIaEEEE10hipError_tT2_T3_mT4_P12ihipStream_tbEUlT_E_NS1_11comp_targetILNS1_3genE8ELNS1_11target_archE1030ELNS1_3gpuE2ELNS1_3repE0EEENS1_30default_config_static_selectorELNS0_4arch9wavefront6targetE1EEEvT1_,@function
_ZN7rocprim17ROCPRIM_400000_NS6detail17trampoline_kernelINS0_14default_configENS1_25transform_config_selectorIaLb1EEEZNS1_14transform_implILb1ES3_S5_PaS7_NS0_8identityIaEEEE10hipError_tT2_T3_mT4_P12ihipStream_tbEUlT_E_NS1_11comp_targetILNS1_3genE8ELNS1_11target_archE1030ELNS1_3gpuE2ELNS1_3repE0EEENS1_30default_config_static_selectorELNS0_4arch9wavefront6targetE1EEEvT1_: ; @_ZN7rocprim17ROCPRIM_400000_NS6detail17trampoline_kernelINS0_14default_configENS1_25transform_config_selectorIaLb1EEEZNS1_14transform_implILb1ES3_S5_PaS7_NS0_8identityIaEEEE10hipError_tT2_T3_mT4_P12ihipStream_tbEUlT_E_NS1_11comp_targetILNS1_3genE8ELNS1_11target_archE1030ELNS1_3gpuE2ELNS1_3repE0EEENS1_30default_config_static_selectorELNS0_4arch9wavefront6targetE1EEEvT1_
; %bb.0:
	.section	.rodata,"a",@progbits
	.p2align	6, 0x0
	.amdhsa_kernel _ZN7rocprim17ROCPRIM_400000_NS6detail17trampoline_kernelINS0_14default_configENS1_25transform_config_selectorIaLb1EEEZNS1_14transform_implILb1ES3_S5_PaS7_NS0_8identityIaEEEE10hipError_tT2_T3_mT4_P12ihipStream_tbEUlT_E_NS1_11comp_targetILNS1_3genE8ELNS1_11target_archE1030ELNS1_3gpuE2ELNS1_3repE0EEENS1_30default_config_static_selectorELNS0_4arch9wavefront6targetE1EEEvT1_
		.amdhsa_group_segment_fixed_size 0
		.amdhsa_private_segment_fixed_size 0
		.amdhsa_kernarg_size 40
		.amdhsa_user_sgpr_count 6
		.amdhsa_user_sgpr_private_segment_buffer 1
		.amdhsa_user_sgpr_dispatch_ptr 0
		.amdhsa_user_sgpr_queue_ptr 0
		.amdhsa_user_sgpr_kernarg_segment_ptr 1
		.amdhsa_user_sgpr_dispatch_id 0
		.amdhsa_user_sgpr_flat_scratch_init 0
		.amdhsa_user_sgpr_kernarg_preload_length 0
		.amdhsa_user_sgpr_kernarg_preload_offset 0
		.amdhsa_user_sgpr_private_segment_size 0
		.amdhsa_uses_dynamic_stack 0
		.amdhsa_system_sgpr_private_segment_wavefront_offset 0
		.amdhsa_system_sgpr_workgroup_id_x 1
		.amdhsa_system_sgpr_workgroup_id_y 0
		.amdhsa_system_sgpr_workgroup_id_z 0
		.amdhsa_system_sgpr_workgroup_info 0
		.amdhsa_system_vgpr_workitem_id 0
		.amdhsa_next_free_vgpr 1
		.amdhsa_next_free_sgpr 0
		.amdhsa_accum_offset 4
		.amdhsa_reserve_vcc 0
		.amdhsa_reserve_flat_scratch 0
		.amdhsa_float_round_mode_32 0
		.amdhsa_float_round_mode_16_64 0
		.amdhsa_float_denorm_mode_32 3
		.amdhsa_float_denorm_mode_16_64 3
		.amdhsa_dx10_clamp 1
		.amdhsa_ieee_mode 1
		.amdhsa_fp16_overflow 0
		.amdhsa_tg_split 0
		.amdhsa_exception_fp_ieee_invalid_op 0
		.amdhsa_exception_fp_denorm_src 0
		.amdhsa_exception_fp_ieee_div_zero 0
		.amdhsa_exception_fp_ieee_overflow 0
		.amdhsa_exception_fp_ieee_underflow 0
		.amdhsa_exception_fp_ieee_inexact 0
		.amdhsa_exception_int_div_zero 0
	.end_amdhsa_kernel
	.section	.text._ZN7rocprim17ROCPRIM_400000_NS6detail17trampoline_kernelINS0_14default_configENS1_25transform_config_selectorIaLb1EEEZNS1_14transform_implILb1ES3_S5_PaS7_NS0_8identityIaEEEE10hipError_tT2_T3_mT4_P12ihipStream_tbEUlT_E_NS1_11comp_targetILNS1_3genE8ELNS1_11target_archE1030ELNS1_3gpuE2ELNS1_3repE0EEENS1_30default_config_static_selectorELNS0_4arch9wavefront6targetE1EEEvT1_,"axG",@progbits,_ZN7rocprim17ROCPRIM_400000_NS6detail17trampoline_kernelINS0_14default_configENS1_25transform_config_selectorIaLb1EEEZNS1_14transform_implILb1ES3_S5_PaS7_NS0_8identityIaEEEE10hipError_tT2_T3_mT4_P12ihipStream_tbEUlT_E_NS1_11comp_targetILNS1_3genE8ELNS1_11target_archE1030ELNS1_3gpuE2ELNS1_3repE0EEENS1_30default_config_static_selectorELNS0_4arch9wavefront6targetE1EEEvT1_,comdat
.Lfunc_end167:
	.size	_ZN7rocprim17ROCPRIM_400000_NS6detail17trampoline_kernelINS0_14default_configENS1_25transform_config_selectorIaLb1EEEZNS1_14transform_implILb1ES3_S5_PaS7_NS0_8identityIaEEEE10hipError_tT2_T3_mT4_P12ihipStream_tbEUlT_E_NS1_11comp_targetILNS1_3genE8ELNS1_11target_archE1030ELNS1_3gpuE2ELNS1_3repE0EEENS1_30default_config_static_selectorELNS0_4arch9wavefront6targetE1EEEvT1_, .Lfunc_end167-_ZN7rocprim17ROCPRIM_400000_NS6detail17trampoline_kernelINS0_14default_configENS1_25transform_config_selectorIaLb1EEEZNS1_14transform_implILb1ES3_S5_PaS7_NS0_8identityIaEEEE10hipError_tT2_T3_mT4_P12ihipStream_tbEUlT_E_NS1_11comp_targetILNS1_3genE8ELNS1_11target_archE1030ELNS1_3gpuE2ELNS1_3repE0EEENS1_30default_config_static_selectorELNS0_4arch9wavefront6targetE1EEEvT1_
                                        ; -- End function
	.section	.AMDGPU.csdata,"",@progbits
; Kernel info:
; codeLenInByte = 0
; NumSgprs: 4
; NumVgprs: 0
; NumAgprs: 0
; TotalNumVgprs: 0
; ScratchSize: 0
; MemoryBound: 0
; FloatMode: 240
; IeeeMode: 1
; LDSByteSize: 0 bytes/workgroup (compile time only)
; SGPRBlocks: 0
; VGPRBlocks: 0
; NumSGPRsForWavesPerEU: 4
; NumVGPRsForWavesPerEU: 1
; AccumOffset: 4
; Occupancy: 8
; WaveLimiterHint : 0
; COMPUTE_PGM_RSRC2:SCRATCH_EN: 0
; COMPUTE_PGM_RSRC2:USER_SGPR: 6
; COMPUTE_PGM_RSRC2:TRAP_HANDLER: 0
; COMPUTE_PGM_RSRC2:TGID_X_EN: 1
; COMPUTE_PGM_RSRC2:TGID_Y_EN: 0
; COMPUTE_PGM_RSRC2:TGID_Z_EN: 0
; COMPUTE_PGM_RSRC2:TIDIG_COMP_CNT: 0
; COMPUTE_PGM_RSRC3_GFX90A:ACCUM_OFFSET: 0
; COMPUTE_PGM_RSRC3_GFX90A:TG_SPLIT: 0
	.section	.text._ZN7rocprim17ROCPRIM_400000_NS6detail17trampoline_kernelINS0_14default_configENS1_38merge_sort_block_merge_config_selectorIaNS0_10empty_typeEEEZZNS1_27merge_sort_block_merge_implIS3_PaPS5_jNS1_19radix_merge_compareILb0ELb1EaNS0_19identity_decomposerEEEEE10hipError_tT0_T1_T2_jT3_P12ihipStream_tbPNSt15iterator_traitsISE_E10value_typeEPNSK_ISF_E10value_typeEPSG_NS1_7vsmem_tEENKUlT_SE_SF_SG_E_clIS8_S8_S9_S9_EESD_ST_SE_SF_SG_EUlST_E_NS1_11comp_targetILNS1_3genE0ELNS1_11target_archE4294967295ELNS1_3gpuE0ELNS1_3repE0EEENS1_48merge_mergepath_partition_config_static_selectorELNS0_4arch9wavefront6targetE1EEEvSF_,"axG",@progbits,_ZN7rocprim17ROCPRIM_400000_NS6detail17trampoline_kernelINS0_14default_configENS1_38merge_sort_block_merge_config_selectorIaNS0_10empty_typeEEEZZNS1_27merge_sort_block_merge_implIS3_PaPS5_jNS1_19radix_merge_compareILb0ELb1EaNS0_19identity_decomposerEEEEE10hipError_tT0_T1_T2_jT3_P12ihipStream_tbPNSt15iterator_traitsISE_E10value_typeEPNSK_ISF_E10value_typeEPSG_NS1_7vsmem_tEENKUlT_SE_SF_SG_E_clIS8_S8_S9_S9_EESD_ST_SE_SF_SG_EUlST_E_NS1_11comp_targetILNS1_3genE0ELNS1_11target_archE4294967295ELNS1_3gpuE0ELNS1_3repE0EEENS1_48merge_mergepath_partition_config_static_selectorELNS0_4arch9wavefront6targetE1EEEvSF_,comdat
	.protected	_ZN7rocprim17ROCPRIM_400000_NS6detail17trampoline_kernelINS0_14default_configENS1_38merge_sort_block_merge_config_selectorIaNS0_10empty_typeEEEZZNS1_27merge_sort_block_merge_implIS3_PaPS5_jNS1_19radix_merge_compareILb0ELb1EaNS0_19identity_decomposerEEEEE10hipError_tT0_T1_T2_jT3_P12ihipStream_tbPNSt15iterator_traitsISE_E10value_typeEPNSK_ISF_E10value_typeEPSG_NS1_7vsmem_tEENKUlT_SE_SF_SG_E_clIS8_S8_S9_S9_EESD_ST_SE_SF_SG_EUlST_E_NS1_11comp_targetILNS1_3genE0ELNS1_11target_archE4294967295ELNS1_3gpuE0ELNS1_3repE0EEENS1_48merge_mergepath_partition_config_static_selectorELNS0_4arch9wavefront6targetE1EEEvSF_ ; -- Begin function _ZN7rocprim17ROCPRIM_400000_NS6detail17trampoline_kernelINS0_14default_configENS1_38merge_sort_block_merge_config_selectorIaNS0_10empty_typeEEEZZNS1_27merge_sort_block_merge_implIS3_PaPS5_jNS1_19radix_merge_compareILb0ELb1EaNS0_19identity_decomposerEEEEE10hipError_tT0_T1_T2_jT3_P12ihipStream_tbPNSt15iterator_traitsISE_E10value_typeEPNSK_ISF_E10value_typeEPSG_NS1_7vsmem_tEENKUlT_SE_SF_SG_E_clIS8_S8_S9_S9_EESD_ST_SE_SF_SG_EUlST_E_NS1_11comp_targetILNS1_3genE0ELNS1_11target_archE4294967295ELNS1_3gpuE0ELNS1_3repE0EEENS1_48merge_mergepath_partition_config_static_selectorELNS0_4arch9wavefront6targetE1EEEvSF_
	.globl	_ZN7rocprim17ROCPRIM_400000_NS6detail17trampoline_kernelINS0_14default_configENS1_38merge_sort_block_merge_config_selectorIaNS0_10empty_typeEEEZZNS1_27merge_sort_block_merge_implIS3_PaPS5_jNS1_19radix_merge_compareILb0ELb1EaNS0_19identity_decomposerEEEEE10hipError_tT0_T1_T2_jT3_P12ihipStream_tbPNSt15iterator_traitsISE_E10value_typeEPNSK_ISF_E10value_typeEPSG_NS1_7vsmem_tEENKUlT_SE_SF_SG_E_clIS8_S8_S9_S9_EESD_ST_SE_SF_SG_EUlST_E_NS1_11comp_targetILNS1_3genE0ELNS1_11target_archE4294967295ELNS1_3gpuE0ELNS1_3repE0EEENS1_48merge_mergepath_partition_config_static_selectorELNS0_4arch9wavefront6targetE1EEEvSF_
	.p2align	8
	.type	_ZN7rocprim17ROCPRIM_400000_NS6detail17trampoline_kernelINS0_14default_configENS1_38merge_sort_block_merge_config_selectorIaNS0_10empty_typeEEEZZNS1_27merge_sort_block_merge_implIS3_PaPS5_jNS1_19radix_merge_compareILb0ELb1EaNS0_19identity_decomposerEEEEE10hipError_tT0_T1_T2_jT3_P12ihipStream_tbPNSt15iterator_traitsISE_E10value_typeEPNSK_ISF_E10value_typeEPSG_NS1_7vsmem_tEENKUlT_SE_SF_SG_E_clIS8_S8_S9_S9_EESD_ST_SE_SF_SG_EUlST_E_NS1_11comp_targetILNS1_3genE0ELNS1_11target_archE4294967295ELNS1_3gpuE0ELNS1_3repE0EEENS1_48merge_mergepath_partition_config_static_selectorELNS0_4arch9wavefront6targetE1EEEvSF_,@function
_ZN7rocprim17ROCPRIM_400000_NS6detail17trampoline_kernelINS0_14default_configENS1_38merge_sort_block_merge_config_selectorIaNS0_10empty_typeEEEZZNS1_27merge_sort_block_merge_implIS3_PaPS5_jNS1_19radix_merge_compareILb0ELb1EaNS0_19identity_decomposerEEEEE10hipError_tT0_T1_T2_jT3_P12ihipStream_tbPNSt15iterator_traitsISE_E10value_typeEPNSK_ISF_E10value_typeEPSG_NS1_7vsmem_tEENKUlT_SE_SF_SG_E_clIS8_S8_S9_S9_EESD_ST_SE_SF_SG_EUlST_E_NS1_11comp_targetILNS1_3genE0ELNS1_11target_archE4294967295ELNS1_3gpuE0ELNS1_3repE0EEENS1_48merge_mergepath_partition_config_static_selectorELNS0_4arch9wavefront6targetE1EEEvSF_: ; @_ZN7rocprim17ROCPRIM_400000_NS6detail17trampoline_kernelINS0_14default_configENS1_38merge_sort_block_merge_config_selectorIaNS0_10empty_typeEEEZZNS1_27merge_sort_block_merge_implIS3_PaPS5_jNS1_19radix_merge_compareILb0ELb1EaNS0_19identity_decomposerEEEEE10hipError_tT0_T1_T2_jT3_P12ihipStream_tbPNSt15iterator_traitsISE_E10value_typeEPNSK_ISF_E10value_typeEPSG_NS1_7vsmem_tEENKUlT_SE_SF_SG_E_clIS8_S8_S9_S9_EESD_ST_SE_SF_SG_EUlST_E_NS1_11comp_targetILNS1_3genE0ELNS1_11target_archE4294967295ELNS1_3gpuE0ELNS1_3repE0EEENS1_48merge_mergepath_partition_config_static_selectorELNS0_4arch9wavefront6targetE1EEEvSF_
; %bb.0:
	.section	.rodata,"a",@progbits
	.p2align	6, 0x0
	.amdhsa_kernel _ZN7rocprim17ROCPRIM_400000_NS6detail17trampoline_kernelINS0_14default_configENS1_38merge_sort_block_merge_config_selectorIaNS0_10empty_typeEEEZZNS1_27merge_sort_block_merge_implIS3_PaPS5_jNS1_19radix_merge_compareILb0ELb1EaNS0_19identity_decomposerEEEEE10hipError_tT0_T1_T2_jT3_P12ihipStream_tbPNSt15iterator_traitsISE_E10value_typeEPNSK_ISF_E10value_typeEPSG_NS1_7vsmem_tEENKUlT_SE_SF_SG_E_clIS8_S8_S9_S9_EESD_ST_SE_SF_SG_EUlST_E_NS1_11comp_targetILNS1_3genE0ELNS1_11target_archE4294967295ELNS1_3gpuE0ELNS1_3repE0EEENS1_48merge_mergepath_partition_config_static_selectorELNS0_4arch9wavefront6targetE1EEEvSF_
		.amdhsa_group_segment_fixed_size 0
		.amdhsa_private_segment_fixed_size 0
		.amdhsa_kernarg_size 40
		.amdhsa_user_sgpr_count 6
		.amdhsa_user_sgpr_private_segment_buffer 1
		.amdhsa_user_sgpr_dispatch_ptr 0
		.amdhsa_user_sgpr_queue_ptr 0
		.amdhsa_user_sgpr_kernarg_segment_ptr 1
		.amdhsa_user_sgpr_dispatch_id 0
		.amdhsa_user_sgpr_flat_scratch_init 0
		.amdhsa_user_sgpr_kernarg_preload_length 0
		.amdhsa_user_sgpr_kernarg_preload_offset 0
		.amdhsa_user_sgpr_private_segment_size 0
		.amdhsa_uses_dynamic_stack 0
		.amdhsa_system_sgpr_private_segment_wavefront_offset 0
		.amdhsa_system_sgpr_workgroup_id_x 1
		.amdhsa_system_sgpr_workgroup_id_y 0
		.amdhsa_system_sgpr_workgroup_id_z 0
		.amdhsa_system_sgpr_workgroup_info 0
		.amdhsa_system_vgpr_workitem_id 0
		.amdhsa_next_free_vgpr 1
		.amdhsa_next_free_sgpr 0
		.amdhsa_accum_offset 4
		.amdhsa_reserve_vcc 0
		.amdhsa_reserve_flat_scratch 0
		.amdhsa_float_round_mode_32 0
		.amdhsa_float_round_mode_16_64 0
		.amdhsa_float_denorm_mode_32 3
		.amdhsa_float_denorm_mode_16_64 3
		.amdhsa_dx10_clamp 1
		.amdhsa_ieee_mode 1
		.amdhsa_fp16_overflow 0
		.amdhsa_tg_split 0
		.amdhsa_exception_fp_ieee_invalid_op 0
		.amdhsa_exception_fp_denorm_src 0
		.amdhsa_exception_fp_ieee_div_zero 0
		.amdhsa_exception_fp_ieee_overflow 0
		.amdhsa_exception_fp_ieee_underflow 0
		.amdhsa_exception_fp_ieee_inexact 0
		.amdhsa_exception_int_div_zero 0
	.end_amdhsa_kernel
	.section	.text._ZN7rocprim17ROCPRIM_400000_NS6detail17trampoline_kernelINS0_14default_configENS1_38merge_sort_block_merge_config_selectorIaNS0_10empty_typeEEEZZNS1_27merge_sort_block_merge_implIS3_PaPS5_jNS1_19radix_merge_compareILb0ELb1EaNS0_19identity_decomposerEEEEE10hipError_tT0_T1_T2_jT3_P12ihipStream_tbPNSt15iterator_traitsISE_E10value_typeEPNSK_ISF_E10value_typeEPSG_NS1_7vsmem_tEENKUlT_SE_SF_SG_E_clIS8_S8_S9_S9_EESD_ST_SE_SF_SG_EUlST_E_NS1_11comp_targetILNS1_3genE0ELNS1_11target_archE4294967295ELNS1_3gpuE0ELNS1_3repE0EEENS1_48merge_mergepath_partition_config_static_selectorELNS0_4arch9wavefront6targetE1EEEvSF_,"axG",@progbits,_ZN7rocprim17ROCPRIM_400000_NS6detail17trampoline_kernelINS0_14default_configENS1_38merge_sort_block_merge_config_selectorIaNS0_10empty_typeEEEZZNS1_27merge_sort_block_merge_implIS3_PaPS5_jNS1_19radix_merge_compareILb0ELb1EaNS0_19identity_decomposerEEEEE10hipError_tT0_T1_T2_jT3_P12ihipStream_tbPNSt15iterator_traitsISE_E10value_typeEPNSK_ISF_E10value_typeEPSG_NS1_7vsmem_tEENKUlT_SE_SF_SG_E_clIS8_S8_S9_S9_EESD_ST_SE_SF_SG_EUlST_E_NS1_11comp_targetILNS1_3genE0ELNS1_11target_archE4294967295ELNS1_3gpuE0ELNS1_3repE0EEENS1_48merge_mergepath_partition_config_static_selectorELNS0_4arch9wavefront6targetE1EEEvSF_,comdat
.Lfunc_end168:
	.size	_ZN7rocprim17ROCPRIM_400000_NS6detail17trampoline_kernelINS0_14default_configENS1_38merge_sort_block_merge_config_selectorIaNS0_10empty_typeEEEZZNS1_27merge_sort_block_merge_implIS3_PaPS5_jNS1_19radix_merge_compareILb0ELb1EaNS0_19identity_decomposerEEEEE10hipError_tT0_T1_T2_jT3_P12ihipStream_tbPNSt15iterator_traitsISE_E10value_typeEPNSK_ISF_E10value_typeEPSG_NS1_7vsmem_tEENKUlT_SE_SF_SG_E_clIS8_S8_S9_S9_EESD_ST_SE_SF_SG_EUlST_E_NS1_11comp_targetILNS1_3genE0ELNS1_11target_archE4294967295ELNS1_3gpuE0ELNS1_3repE0EEENS1_48merge_mergepath_partition_config_static_selectorELNS0_4arch9wavefront6targetE1EEEvSF_, .Lfunc_end168-_ZN7rocprim17ROCPRIM_400000_NS6detail17trampoline_kernelINS0_14default_configENS1_38merge_sort_block_merge_config_selectorIaNS0_10empty_typeEEEZZNS1_27merge_sort_block_merge_implIS3_PaPS5_jNS1_19radix_merge_compareILb0ELb1EaNS0_19identity_decomposerEEEEE10hipError_tT0_T1_T2_jT3_P12ihipStream_tbPNSt15iterator_traitsISE_E10value_typeEPNSK_ISF_E10value_typeEPSG_NS1_7vsmem_tEENKUlT_SE_SF_SG_E_clIS8_S8_S9_S9_EESD_ST_SE_SF_SG_EUlST_E_NS1_11comp_targetILNS1_3genE0ELNS1_11target_archE4294967295ELNS1_3gpuE0ELNS1_3repE0EEENS1_48merge_mergepath_partition_config_static_selectorELNS0_4arch9wavefront6targetE1EEEvSF_
                                        ; -- End function
	.section	.AMDGPU.csdata,"",@progbits
; Kernel info:
; codeLenInByte = 0
; NumSgprs: 4
; NumVgprs: 0
; NumAgprs: 0
; TotalNumVgprs: 0
; ScratchSize: 0
; MemoryBound: 0
; FloatMode: 240
; IeeeMode: 1
; LDSByteSize: 0 bytes/workgroup (compile time only)
; SGPRBlocks: 0
; VGPRBlocks: 0
; NumSGPRsForWavesPerEU: 4
; NumVGPRsForWavesPerEU: 1
; AccumOffset: 4
; Occupancy: 8
; WaveLimiterHint : 0
; COMPUTE_PGM_RSRC2:SCRATCH_EN: 0
; COMPUTE_PGM_RSRC2:USER_SGPR: 6
; COMPUTE_PGM_RSRC2:TRAP_HANDLER: 0
; COMPUTE_PGM_RSRC2:TGID_X_EN: 1
; COMPUTE_PGM_RSRC2:TGID_Y_EN: 0
; COMPUTE_PGM_RSRC2:TGID_Z_EN: 0
; COMPUTE_PGM_RSRC2:TIDIG_COMP_CNT: 0
; COMPUTE_PGM_RSRC3_GFX90A:ACCUM_OFFSET: 0
; COMPUTE_PGM_RSRC3_GFX90A:TG_SPLIT: 0
	.section	.text._ZN7rocprim17ROCPRIM_400000_NS6detail17trampoline_kernelINS0_14default_configENS1_38merge_sort_block_merge_config_selectorIaNS0_10empty_typeEEEZZNS1_27merge_sort_block_merge_implIS3_PaPS5_jNS1_19radix_merge_compareILb0ELb1EaNS0_19identity_decomposerEEEEE10hipError_tT0_T1_T2_jT3_P12ihipStream_tbPNSt15iterator_traitsISE_E10value_typeEPNSK_ISF_E10value_typeEPSG_NS1_7vsmem_tEENKUlT_SE_SF_SG_E_clIS8_S8_S9_S9_EESD_ST_SE_SF_SG_EUlST_E_NS1_11comp_targetILNS1_3genE10ELNS1_11target_archE1201ELNS1_3gpuE5ELNS1_3repE0EEENS1_48merge_mergepath_partition_config_static_selectorELNS0_4arch9wavefront6targetE1EEEvSF_,"axG",@progbits,_ZN7rocprim17ROCPRIM_400000_NS6detail17trampoline_kernelINS0_14default_configENS1_38merge_sort_block_merge_config_selectorIaNS0_10empty_typeEEEZZNS1_27merge_sort_block_merge_implIS3_PaPS5_jNS1_19radix_merge_compareILb0ELb1EaNS0_19identity_decomposerEEEEE10hipError_tT0_T1_T2_jT3_P12ihipStream_tbPNSt15iterator_traitsISE_E10value_typeEPNSK_ISF_E10value_typeEPSG_NS1_7vsmem_tEENKUlT_SE_SF_SG_E_clIS8_S8_S9_S9_EESD_ST_SE_SF_SG_EUlST_E_NS1_11comp_targetILNS1_3genE10ELNS1_11target_archE1201ELNS1_3gpuE5ELNS1_3repE0EEENS1_48merge_mergepath_partition_config_static_selectorELNS0_4arch9wavefront6targetE1EEEvSF_,comdat
	.protected	_ZN7rocprim17ROCPRIM_400000_NS6detail17trampoline_kernelINS0_14default_configENS1_38merge_sort_block_merge_config_selectorIaNS0_10empty_typeEEEZZNS1_27merge_sort_block_merge_implIS3_PaPS5_jNS1_19radix_merge_compareILb0ELb1EaNS0_19identity_decomposerEEEEE10hipError_tT0_T1_T2_jT3_P12ihipStream_tbPNSt15iterator_traitsISE_E10value_typeEPNSK_ISF_E10value_typeEPSG_NS1_7vsmem_tEENKUlT_SE_SF_SG_E_clIS8_S8_S9_S9_EESD_ST_SE_SF_SG_EUlST_E_NS1_11comp_targetILNS1_3genE10ELNS1_11target_archE1201ELNS1_3gpuE5ELNS1_3repE0EEENS1_48merge_mergepath_partition_config_static_selectorELNS0_4arch9wavefront6targetE1EEEvSF_ ; -- Begin function _ZN7rocprim17ROCPRIM_400000_NS6detail17trampoline_kernelINS0_14default_configENS1_38merge_sort_block_merge_config_selectorIaNS0_10empty_typeEEEZZNS1_27merge_sort_block_merge_implIS3_PaPS5_jNS1_19radix_merge_compareILb0ELb1EaNS0_19identity_decomposerEEEEE10hipError_tT0_T1_T2_jT3_P12ihipStream_tbPNSt15iterator_traitsISE_E10value_typeEPNSK_ISF_E10value_typeEPSG_NS1_7vsmem_tEENKUlT_SE_SF_SG_E_clIS8_S8_S9_S9_EESD_ST_SE_SF_SG_EUlST_E_NS1_11comp_targetILNS1_3genE10ELNS1_11target_archE1201ELNS1_3gpuE5ELNS1_3repE0EEENS1_48merge_mergepath_partition_config_static_selectorELNS0_4arch9wavefront6targetE1EEEvSF_
	.globl	_ZN7rocprim17ROCPRIM_400000_NS6detail17trampoline_kernelINS0_14default_configENS1_38merge_sort_block_merge_config_selectorIaNS0_10empty_typeEEEZZNS1_27merge_sort_block_merge_implIS3_PaPS5_jNS1_19radix_merge_compareILb0ELb1EaNS0_19identity_decomposerEEEEE10hipError_tT0_T1_T2_jT3_P12ihipStream_tbPNSt15iterator_traitsISE_E10value_typeEPNSK_ISF_E10value_typeEPSG_NS1_7vsmem_tEENKUlT_SE_SF_SG_E_clIS8_S8_S9_S9_EESD_ST_SE_SF_SG_EUlST_E_NS1_11comp_targetILNS1_3genE10ELNS1_11target_archE1201ELNS1_3gpuE5ELNS1_3repE0EEENS1_48merge_mergepath_partition_config_static_selectorELNS0_4arch9wavefront6targetE1EEEvSF_
	.p2align	8
	.type	_ZN7rocprim17ROCPRIM_400000_NS6detail17trampoline_kernelINS0_14default_configENS1_38merge_sort_block_merge_config_selectorIaNS0_10empty_typeEEEZZNS1_27merge_sort_block_merge_implIS3_PaPS5_jNS1_19radix_merge_compareILb0ELb1EaNS0_19identity_decomposerEEEEE10hipError_tT0_T1_T2_jT3_P12ihipStream_tbPNSt15iterator_traitsISE_E10value_typeEPNSK_ISF_E10value_typeEPSG_NS1_7vsmem_tEENKUlT_SE_SF_SG_E_clIS8_S8_S9_S9_EESD_ST_SE_SF_SG_EUlST_E_NS1_11comp_targetILNS1_3genE10ELNS1_11target_archE1201ELNS1_3gpuE5ELNS1_3repE0EEENS1_48merge_mergepath_partition_config_static_selectorELNS0_4arch9wavefront6targetE1EEEvSF_,@function
_ZN7rocprim17ROCPRIM_400000_NS6detail17trampoline_kernelINS0_14default_configENS1_38merge_sort_block_merge_config_selectorIaNS0_10empty_typeEEEZZNS1_27merge_sort_block_merge_implIS3_PaPS5_jNS1_19radix_merge_compareILb0ELb1EaNS0_19identity_decomposerEEEEE10hipError_tT0_T1_T2_jT3_P12ihipStream_tbPNSt15iterator_traitsISE_E10value_typeEPNSK_ISF_E10value_typeEPSG_NS1_7vsmem_tEENKUlT_SE_SF_SG_E_clIS8_S8_S9_S9_EESD_ST_SE_SF_SG_EUlST_E_NS1_11comp_targetILNS1_3genE10ELNS1_11target_archE1201ELNS1_3gpuE5ELNS1_3repE0EEENS1_48merge_mergepath_partition_config_static_selectorELNS0_4arch9wavefront6targetE1EEEvSF_: ; @_ZN7rocprim17ROCPRIM_400000_NS6detail17trampoline_kernelINS0_14default_configENS1_38merge_sort_block_merge_config_selectorIaNS0_10empty_typeEEEZZNS1_27merge_sort_block_merge_implIS3_PaPS5_jNS1_19radix_merge_compareILb0ELb1EaNS0_19identity_decomposerEEEEE10hipError_tT0_T1_T2_jT3_P12ihipStream_tbPNSt15iterator_traitsISE_E10value_typeEPNSK_ISF_E10value_typeEPSG_NS1_7vsmem_tEENKUlT_SE_SF_SG_E_clIS8_S8_S9_S9_EESD_ST_SE_SF_SG_EUlST_E_NS1_11comp_targetILNS1_3genE10ELNS1_11target_archE1201ELNS1_3gpuE5ELNS1_3repE0EEENS1_48merge_mergepath_partition_config_static_selectorELNS0_4arch9wavefront6targetE1EEEvSF_
; %bb.0:
	.section	.rodata,"a",@progbits
	.p2align	6, 0x0
	.amdhsa_kernel _ZN7rocprim17ROCPRIM_400000_NS6detail17trampoline_kernelINS0_14default_configENS1_38merge_sort_block_merge_config_selectorIaNS0_10empty_typeEEEZZNS1_27merge_sort_block_merge_implIS3_PaPS5_jNS1_19radix_merge_compareILb0ELb1EaNS0_19identity_decomposerEEEEE10hipError_tT0_T1_T2_jT3_P12ihipStream_tbPNSt15iterator_traitsISE_E10value_typeEPNSK_ISF_E10value_typeEPSG_NS1_7vsmem_tEENKUlT_SE_SF_SG_E_clIS8_S8_S9_S9_EESD_ST_SE_SF_SG_EUlST_E_NS1_11comp_targetILNS1_3genE10ELNS1_11target_archE1201ELNS1_3gpuE5ELNS1_3repE0EEENS1_48merge_mergepath_partition_config_static_selectorELNS0_4arch9wavefront6targetE1EEEvSF_
		.amdhsa_group_segment_fixed_size 0
		.amdhsa_private_segment_fixed_size 0
		.amdhsa_kernarg_size 40
		.amdhsa_user_sgpr_count 6
		.amdhsa_user_sgpr_private_segment_buffer 1
		.amdhsa_user_sgpr_dispatch_ptr 0
		.amdhsa_user_sgpr_queue_ptr 0
		.amdhsa_user_sgpr_kernarg_segment_ptr 1
		.amdhsa_user_sgpr_dispatch_id 0
		.amdhsa_user_sgpr_flat_scratch_init 0
		.amdhsa_user_sgpr_kernarg_preload_length 0
		.amdhsa_user_sgpr_kernarg_preload_offset 0
		.amdhsa_user_sgpr_private_segment_size 0
		.amdhsa_uses_dynamic_stack 0
		.amdhsa_system_sgpr_private_segment_wavefront_offset 0
		.amdhsa_system_sgpr_workgroup_id_x 1
		.amdhsa_system_sgpr_workgroup_id_y 0
		.amdhsa_system_sgpr_workgroup_id_z 0
		.amdhsa_system_sgpr_workgroup_info 0
		.amdhsa_system_vgpr_workitem_id 0
		.amdhsa_next_free_vgpr 1
		.amdhsa_next_free_sgpr 0
		.amdhsa_accum_offset 4
		.amdhsa_reserve_vcc 0
		.amdhsa_reserve_flat_scratch 0
		.amdhsa_float_round_mode_32 0
		.amdhsa_float_round_mode_16_64 0
		.amdhsa_float_denorm_mode_32 3
		.amdhsa_float_denorm_mode_16_64 3
		.amdhsa_dx10_clamp 1
		.amdhsa_ieee_mode 1
		.amdhsa_fp16_overflow 0
		.amdhsa_tg_split 0
		.amdhsa_exception_fp_ieee_invalid_op 0
		.amdhsa_exception_fp_denorm_src 0
		.amdhsa_exception_fp_ieee_div_zero 0
		.amdhsa_exception_fp_ieee_overflow 0
		.amdhsa_exception_fp_ieee_underflow 0
		.amdhsa_exception_fp_ieee_inexact 0
		.amdhsa_exception_int_div_zero 0
	.end_amdhsa_kernel
	.section	.text._ZN7rocprim17ROCPRIM_400000_NS6detail17trampoline_kernelINS0_14default_configENS1_38merge_sort_block_merge_config_selectorIaNS0_10empty_typeEEEZZNS1_27merge_sort_block_merge_implIS3_PaPS5_jNS1_19radix_merge_compareILb0ELb1EaNS0_19identity_decomposerEEEEE10hipError_tT0_T1_T2_jT3_P12ihipStream_tbPNSt15iterator_traitsISE_E10value_typeEPNSK_ISF_E10value_typeEPSG_NS1_7vsmem_tEENKUlT_SE_SF_SG_E_clIS8_S8_S9_S9_EESD_ST_SE_SF_SG_EUlST_E_NS1_11comp_targetILNS1_3genE10ELNS1_11target_archE1201ELNS1_3gpuE5ELNS1_3repE0EEENS1_48merge_mergepath_partition_config_static_selectorELNS0_4arch9wavefront6targetE1EEEvSF_,"axG",@progbits,_ZN7rocprim17ROCPRIM_400000_NS6detail17trampoline_kernelINS0_14default_configENS1_38merge_sort_block_merge_config_selectorIaNS0_10empty_typeEEEZZNS1_27merge_sort_block_merge_implIS3_PaPS5_jNS1_19radix_merge_compareILb0ELb1EaNS0_19identity_decomposerEEEEE10hipError_tT0_T1_T2_jT3_P12ihipStream_tbPNSt15iterator_traitsISE_E10value_typeEPNSK_ISF_E10value_typeEPSG_NS1_7vsmem_tEENKUlT_SE_SF_SG_E_clIS8_S8_S9_S9_EESD_ST_SE_SF_SG_EUlST_E_NS1_11comp_targetILNS1_3genE10ELNS1_11target_archE1201ELNS1_3gpuE5ELNS1_3repE0EEENS1_48merge_mergepath_partition_config_static_selectorELNS0_4arch9wavefront6targetE1EEEvSF_,comdat
.Lfunc_end169:
	.size	_ZN7rocprim17ROCPRIM_400000_NS6detail17trampoline_kernelINS0_14default_configENS1_38merge_sort_block_merge_config_selectorIaNS0_10empty_typeEEEZZNS1_27merge_sort_block_merge_implIS3_PaPS5_jNS1_19radix_merge_compareILb0ELb1EaNS0_19identity_decomposerEEEEE10hipError_tT0_T1_T2_jT3_P12ihipStream_tbPNSt15iterator_traitsISE_E10value_typeEPNSK_ISF_E10value_typeEPSG_NS1_7vsmem_tEENKUlT_SE_SF_SG_E_clIS8_S8_S9_S9_EESD_ST_SE_SF_SG_EUlST_E_NS1_11comp_targetILNS1_3genE10ELNS1_11target_archE1201ELNS1_3gpuE5ELNS1_3repE0EEENS1_48merge_mergepath_partition_config_static_selectorELNS0_4arch9wavefront6targetE1EEEvSF_, .Lfunc_end169-_ZN7rocprim17ROCPRIM_400000_NS6detail17trampoline_kernelINS0_14default_configENS1_38merge_sort_block_merge_config_selectorIaNS0_10empty_typeEEEZZNS1_27merge_sort_block_merge_implIS3_PaPS5_jNS1_19radix_merge_compareILb0ELb1EaNS0_19identity_decomposerEEEEE10hipError_tT0_T1_T2_jT3_P12ihipStream_tbPNSt15iterator_traitsISE_E10value_typeEPNSK_ISF_E10value_typeEPSG_NS1_7vsmem_tEENKUlT_SE_SF_SG_E_clIS8_S8_S9_S9_EESD_ST_SE_SF_SG_EUlST_E_NS1_11comp_targetILNS1_3genE10ELNS1_11target_archE1201ELNS1_3gpuE5ELNS1_3repE0EEENS1_48merge_mergepath_partition_config_static_selectorELNS0_4arch9wavefront6targetE1EEEvSF_
                                        ; -- End function
	.section	.AMDGPU.csdata,"",@progbits
; Kernel info:
; codeLenInByte = 0
; NumSgprs: 4
; NumVgprs: 0
; NumAgprs: 0
; TotalNumVgprs: 0
; ScratchSize: 0
; MemoryBound: 0
; FloatMode: 240
; IeeeMode: 1
; LDSByteSize: 0 bytes/workgroup (compile time only)
; SGPRBlocks: 0
; VGPRBlocks: 0
; NumSGPRsForWavesPerEU: 4
; NumVGPRsForWavesPerEU: 1
; AccumOffset: 4
; Occupancy: 8
; WaveLimiterHint : 0
; COMPUTE_PGM_RSRC2:SCRATCH_EN: 0
; COMPUTE_PGM_RSRC2:USER_SGPR: 6
; COMPUTE_PGM_RSRC2:TRAP_HANDLER: 0
; COMPUTE_PGM_RSRC2:TGID_X_EN: 1
; COMPUTE_PGM_RSRC2:TGID_Y_EN: 0
; COMPUTE_PGM_RSRC2:TGID_Z_EN: 0
; COMPUTE_PGM_RSRC2:TIDIG_COMP_CNT: 0
; COMPUTE_PGM_RSRC3_GFX90A:ACCUM_OFFSET: 0
; COMPUTE_PGM_RSRC3_GFX90A:TG_SPLIT: 0
	.section	.text._ZN7rocprim17ROCPRIM_400000_NS6detail17trampoline_kernelINS0_14default_configENS1_38merge_sort_block_merge_config_selectorIaNS0_10empty_typeEEEZZNS1_27merge_sort_block_merge_implIS3_PaPS5_jNS1_19radix_merge_compareILb0ELb1EaNS0_19identity_decomposerEEEEE10hipError_tT0_T1_T2_jT3_P12ihipStream_tbPNSt15iterator_traitsISE_E10value_typeEPNSK_ISF_E10value_typeEPSG_NS1_7vsmem_tEENKUlT_SE_SF_SG_E_clIS8_S8_S9_S9_EESD_ST_SE_SF_SG_EUlST_E_NS1_11comp_targetILNS1_3genE5ELNS1_11target_archE942ELNS1_3gpuE9ELNS1_3repE0EEENS1_48merge_mergepath_partition_config_static_selectorELNS0_4arch9wavefront6targetE1EEEvSF_,"axG",@progbits,_ZN7rocprim17ROCPRIM_400000_NS6detail17trampoline_kernelINS0_14default_configENS1_38merge_sort_block_merge_config_selectorIaNS0_10empty_typeEEEZZNS1_27merge_sort_block_merge_implIS3_PaPS5_jNS1_19radix_merge_compareILb0ELb1EaNS0_19identity_decomposerEEEEE10hipError_tT0_T1_T2_jT3_P12ihipStream_tbPNSt15iterator_traitsISE_E10value_typeEPNSK_ISF_E10value_typeEPSG_NS1_7vsmem_tEENKUlT_SE_SF_SG_E_clIS8_S8_S9_S9_EESD_ST_SE_SF_SG_EUlST_E_NS1_11comp_targetILNS1_3genE5ELNS1_11target_archE942ELNS1_3gpuE9ELNS1_3repE0EEENS1_48merge_mergepath_partition_config_static_selectorELNS0_4arch9wavefront6targetE1EEEvSF_,comdat
	.protected	_ZN7rocprim17ROCPRIM_400000_NS6detail17trampoline_kernelINS0_14default_configENS1_38merge_sort_block_merge_config_selectorIaNS0_10empty_typeEEEZZNS1_27merge_sort_block_merge_implIS3_PaPS5_jNS1_19radix_merge_compareILb0ELb1EaNS0_19identity_decomposerEEEEE10hipError_tT0_T1_T2_jT3_P12ihipStream_tbPNSt15iterator_traitsISE_E10value_typeEPNSK_ISF_E10value_typeEPSG_NS1_7vsmem_tEENKUlT_SE_SF_SG_E_clIS8_S8_S9_S9_EESD_ST_SE_SF_SG_EUlST_E_NS1_11comp_targetILNS1_3genE5ELNS1_11target_archE942ELNS1_3gpuE9ELNS1_3repE0EEENS1_48merge_mergepath_partition_config_static_selectorELNS0_4arch9wavefront6targetE1EEEvSF_ ; -- Begin function _ZN7rocprim17ROCPRIM_400000_NS6detail17trampoline_kernelINS0_14default_configENS1_38merge_sort_block_merge_config_selectorIaNS0_10empty_typeEEEZZNS1_27merge_sort_block_merge_implIS3_PaPS5_jNS1_19radix_merge_compareILb0ELb1EaNS0_19identity_decomposerEEEEE10hipError_tT0_T1_T2_jT3_P12ihipStream_tbPNSt15iterator_traitsISE_E10value_typeEPNSK_ISF_E10value_typeEPSG_NS1_7vsmem_tEENKUlT_SE_SF_SG_E_clIS8_S8_S9_S9_EESD_ST_SE_SF_SG_EUlST_E_NS1_11comp_targetILNS1_3genE5ELNS1_11target_archE942ELNS1_3gpuE9ELNS1_3repE0EEENS1_48merge_mergepath_partition_config_static_selectorELNS0_4arch9wavefront6targetE1EEEvSF_
	.globl	_ZN7rocprim17ROCPRIM_400000_NS6detail17trampoline_kernelINS0_14default_configENS1_38merge_sort_block_merge_config_selectorIaNS0_10empty_typeEEEZZNS1_27merge_sort_block_merge_implIS3_PaPS5_jNS1_19radix_merge_compareILb0ELb1EaNS0_19identity_decomposerEEEEE10hipError_tT0_T1_T2_jT3_P12ihipStream_tbPNSt15iterator_traitsISE_E10value_typeEPNSK_ISF_E10value_typeEPSG_NS1_7vsmem_tEENKUlT_SE_SF_SG_E_clIS8_S8_S9_S9_EESD_ST_SE_SF_SG_EUlST_E_NS1_11comp_targetILNS1_3genE5ELNS1_11target_archE942ELNS1_3gpuE9ELNS1_3repE0EEENS1_48merge_mergepath_partition_config_static_selectorELNS0_4arch9wavefront6targetE1EEEvSF_
	.p2align	8
	.type	_ZN7rocprim17ROCPRIM_400000_NS6detail17trampoline_kernelINS0_14default_configENS1_38merge_sort_block_merge_config_selectorIaNS0_10empty_typeEEEZZNS1_27merge_sort_block_merge_implIS3_PaPS5_jNS1_19radix_merge_compareILb0ELb1EaNS0_19identity_decomposerEEEEE10hipError_tT0_T1_T2_jT3_P12ihipStream_tbPNSt15iterator_traitsISE_E10value_typeEPNSK_ISF_E10value_typeEPSG_NS1_7vsmem_tEENKUlT_SE_SF_SG_E_clIS8_S8_S9_S9_EESD_ST_SE_SF_SG_EUlST_E_NS1_11comp_targetILNS1_3genE5ELNS1_11target_archE942ELNS1_3gpuE9ELNS1_3repE0EEENS1_48merge_mergepath_partition_config_static_selectorELNS0_4arch9wavefront6targetE1EEEvSF_,@function
_ZN7rocprim17ROCPRIM_400000_NS6detail17trampoline_kernelINS0_14default_configENS1_38merge_sort_block_merge_config_selectorIaNS0_10empty_typeEEEZZNS1_27merge_sort_block_merge_implIS3_PaPS5_jNS1_19radix_merge_compareILb0ELb1EaNS0_19identity_decomposerEEEEE10hipError_tT0_T1_T2_jT3_P12ihipStream_tbPNSt15iterator_traitsISE_E10value_typeEPNSK_ISF_E10value_typeEPSG_NS1_7vsmem_tEENKUlT_SE_SF_SG_E_clIS8_S8_S9_S9_EESD_ST_SE_SF_SG_EUlST_E_NS1_11comp_targetILNS1_3genE5ELNS1_11target_archE942ELNS1_3gpuE9ELNS1_3repE0EEENS1_48merge_mergepath_partition_config_static_selectorELNS0_4arch9wavefront6targetE1EEEvSF_: ; @_ZN7rocprim17ROCPRIM_400000_NS6detail17trampoline_kernelINS0_14default_configENS1_38merge_sort_block_merge_config_selectorIaNS0_10empty_typeEEEZZNS1_27merge_sort_block_merge_implIS3_PaPS5_jNS1_19radix_merge_compareILb0ELb1EaNS0_19identity_decomposerEEEEE10hipError_tT0_T1_T2_jT3_P12ihipStream_tbPNSt15iterator_traitsISE_E10value_typeEPNSK_ISF_E10value_typeEPSG_NS1_7vsmem_tEENKUlT_SE_SF_SG_E_clIS8_S8_S9_S9_EESD_ST_SE_SF_SG_EUlST_E_NS1_11comp_targetILNS1_3genE5ELNS1_11target_archE942ELNS1_3gpuE9ELNS1_3repE0EEENS1_48merge_mergepath_partition_config_static_selectorELNS0_4arch9wavefront6targetE1EEEvSF_
; %bb.0:
	.section	.rodata,"a",@progbits
	.p2align	6, 0x0
	.amdhsa_kernel _ZN7rocprim17ROCPRIM_400000_NS6detail17trampoline_kernelINS0_14default_configENS1_38merge_sort_block_merge_config_selectorIaNS0_10empty_typeEEEZZNS1_27merge_sort_block_merge_implIS3_PaPS5_jNS1_19radix_merge_compareILb0ELb1EaNS0_19identity_decomposerEEEEE10hipError_tT0_T1_T2_jT3_P12ihipStream_tbPNSt15iterator_traitsISE_E10value_typeEPNSK_ISF_E10value_typeEPSG_NS1_7vsmem_tEENKUlT_SE_SF_SG_E_clIS8_S8_S9_S9_EESD_ST_SE_SF_SG_EUlST_E_NS1_11comp_targetILNS1_3genE5ELNS1_11target_archE942ELNS1_3gpuE9ELNS1_3repE0EEENS1_48merge_mergepath_partition_config_static_selectorELNS0_4arch9wavefront6targetE1EEEvSF_
		.amdhsa_group_segment_fixed_size 0
		.amdhsa_private_segment_fixed_size 0
		.amdhsa_kernarg_size 40
		.amdhsa_user_sgpr_count 6
		.amdhsa_user_sgpr_private_segment_buffer 1
		.amdhsa_user_sgpr_dispatch_ptr 0
		.amdhsa_user_sgpr_queue_ptr 0
		.amdhsa_user_sgpr_kernarg_segment_ptr 1
		.amdhsa_user_sgpr_dispatch_id 0
		.amdhsa_user_sgpr_flat_scratch_init 0
		.amdhsa_user_sgpr_kernarg_preload_length 0
		.amdhsa_user_sgpr_kernarg_preload_offset 0
		.amdhsa_user_sgpr_private_segment_size 0
		.amdhsa_uses_dynamic_stack 0
		.amdhsa_system_sgpr_private_segment_wavefront_offset 0
		.amdhsa_system_sgpr_workgroup_id_x 1
		.amdhsa_system_sgpr_workgroup_id_y 0
		.amdhsa_system_sgpr_workgroup_id_z 0
		.amdhsa_system_sgpr_workgroup_info 0
		.amdhsa_system_vgpr_workitem_id 0
		.amdhsa_next_free_vgpr 1
		.amdhsa_next_free_sgpr 0
		.amdhsa_accum_offset 4
		.amdhsa_reserve_vcc 0
		.amdhsa_reserve_flat_scratch 0
		.amdhsa_float_round_mode_32 0
		.amdhsa_float_round_mode_16_64 0
		.amdhsa_float_denorm_mode_32 3
		.amdhsa_float_denorm_mode_16_64 3
		.amdhsa_dx10_clamp 1
		.amdhsa_ieee_mode 1
		.amdhsa_fp16_overflow 0
		.amdhsa_tg_split 0
		.amdhsa_exception_fp_ieee_invalid_op 0
		.amdhsa_exception_fp_denorm_src 0
		.amdhsa_exception_fp_ieee_div_zero 0
		.amdhsa_exception_fp_ieee_overflow 0
		.amdhsa_exception_fp_ieee_underflow 0
		.amdhsa_exception_fp_ieee_inexact 0
		.amdhsa_exception_int_div_zero 0
	.end_amdhsa_kernel
	.section	.text._ZN7rocprim17ROCPRIM_400000_NS6detail17trampoline_kernelINS0_14default_configENS1_38merge_sort_block_merge_config_selectorIaNS0_10empty_typeEEEZZNS1_27merge_sort_block_merge_implIS3_PaPS5_jNS1_19radix_merge_compareILb0ELb1EaNS0_19identity_decomposerEEEEE10hipError_tT0_T1_T2_jT3_P12ihipStream_tbPNSt15iterator_traitsISE_E10value_typeEPNSK_ISF_E10value_typeEPSG_NS1_7vsmem_tEENKUlT_SE_SF_SG_E_clIS8_S8_S9_S9_EESD_ST_SE_SF_SG_EUlST_E_NS1_11comp_targetILNS1_3genE5ELNS1_11target_archE942ELNS1_3gpuE9ELNS1_3repE0EEENS1_48merge_mergepath_partition_config_static_selectorELNS0_4arch9wavefront6targetE1EEEvSF_,"axG",@progbits,_ZN7rocprim17ROCPRIM_400000_NS6detail17trampoline_kernelINS0_14default_configENS1_38merge_sort_block_merge_config_selectorIaNS0_10empty_typeEEEZZNS1_27merge_sort_block_merge_implIS3_PaPS5_jNS1_19radix_merge_compareILb0ELb1EaNS0_19identity_decomposerEEEEE10hipError_tT0_T1_T2_jT3_P12ihipStream_tbPNSt15iterator_traitsISE_E10value_typeEPNSK_ISF_E10value_typeEPSG_NS1_7vsmem_tEENKUlT_SE_SF_SG_E_clIS8_S8_S9_S9_EESD_ST_SE_SF_SG_EUlST_E_NS1_11comp_targetILNS1_3genE5ELNS1_11target_archE942ELNS1_3gpuE9ELNS1_3repE0EEENS1_48merge_mergepath_partition_config_static_selectorELNS0_4arch9wavefront6targetE1EEEvSF_,comdat
.Lfunc_end170:
	.size	_ZN7rocprim17ROCPRIM_400000_NS6detail17trampoline_kernelINS0_14default_configENS1_38merge_sort_block_merge_config_selectorIaNS0_10empty_typeEEEZZNS1_27merge_sort_block_merge_implIS3_PaPS5_jNS1_19radix_merge_compareILb0ELb1EaNS0_19identity_decomposerEEEEE10hipError_tT0_T1_T2_jT3_P12ihipStream_tbPNSt15iterator_traitsISE_E10value_typeEPNSK_ISF_E10value_typeEPSG_NS1_7vsmem_tEENKUlT_SE_SF_SG_E_clIS8_S8_S9_S9_EESD_ST_SE_SF_SG_EUlST_E_NS1_11comp_targetILNS1_3genE5ELNS1_11target_archE942ELNS1_3gpuE9ELNS1_3repE0EEENS1_48merge_mergepath_partition_config_static_selectorELNS0_4arch9wavefront6targetE1EEEvSF_, .Lfunc_end170-_ZN7rocprim17ROCPRIM_400000_NS6detail17trampoline_kernelINS0_14default_configENS1_38merge_sort_block_merge_config_selectorIaNS0_10empty_typeEEEZZNS1_27merge_sort_block_merge_implIS3_PaPS5_jNS1_19radix_merge_compareILb0ELb1EaNS0_19identity_decomposerEEEEE10hipError_tT0_T1_T2_jT3_P12ihipStream_tbPNSt15iterator_traitsISE_E10value_typeEPNSK_ISF_E10value_typeEPSG_NS1_7vsmem_tEENKUlT_SE_SF_SG_E_clIS8_S8_S9_S9_EESD_ST_SE_SF_SG_EUlST_E_NS1_11comp_targetILNS1_3genE5ELNS1_11target_archE942ELNS1_3gpuE9ELNS1_3repE0EEENS1_48merge_mergepath_partition_config_static_selectorELNS0_4arch9wavefront6targetE1EEEvSF_
                                        ; -- End function
	.section	.AMDGPU.csdata,"",@progbits
; Kernel info:
; codeLenInByte = 0
; NumSgprs: 4
; NumVgprs: 0
; NumAgprs: 0
; TotalNumVgprs: 0
; ScratchSize: 0
; MemoryBound: 0
; FloatMode: 240
; IeeeMode: 1
; LDSByteSize: 0 bytes/workgroup (compile time only)
; SGPRBlocks: 0
; VGPRBlocks: 0
; NumSGPRsForWavesPerEU: 4
; NumVGPRsForWavesPerEU: 1
; AccumOffset: 4
; Occupancy: 8
; WaveLimiterHint : 0
; COMPUTE_PGM_RSRC2:SCRATCH_EN: 0
; COMPUTE_PGM_RSRC2:USER_SGPR: 6
; COMPUTE_PGM_RSRC2:TRAP_HANDLER: 0
; COMPUTE_PGM_RSRC2:TGID_X_EN: 1
; COMPUTE_PGM_RSRC2:TGID_Y_EN: 0
; COMPUTE_PGM_RSRC2:TGID_Z_EN: 0
; COMPUTE_PGM_RSRC2:TIDIG_COMP_CNT: 0
; COMPUTE_PGM_RSRC3_GFX90A:ACCUM_OFFSET: 0
; COMPUTE_PGM_RSRC3_GFX90A:TG_SPLIT: 0
	.section	.text._ZN7rocprim17ROCPRIM_400000_NS6detail17trampoline_kernelINS0_14default_configENS1_38merge_sort_block_merge_config_selectorIaNS0_10empty_typeEEEZZNS1_27merge_sort_block_merge_implIS3_PaPS5_jNS1_19radix_merge_compareILb0ELb1EaNS0_19identity_decomposerEEEEE10hipError_tT0_T1_T2_jT3_P12ihipStream_tbPNSt15iterator_traitsISE_E10value_typeEPNSK_ISF_E10value_typeEPSG_NS1_7vsmem_tEENKUlT_SE_SF_SG_E_clIS8_S8_S9_S9_EESD_ST_SE_SF_SG_EUlST_E_NS1_11comp_targetILNS1_3genE4ELNS1_11target_archE910ELNS1_3gpuE8ELNS1_3repE0EEENS1_48merge_mergepath_partition_config_static_selectorELNS0_4arch9wavefront6targetE1EEEvSF_,"axG",@progbits,_ZN7rocprim17ROCPRIM_400000_NS6detail17trampoline_kernelINS0_14default_configENS1_38merge_sort_block_merge_config_selectorIaNS0_10empty_typeEEEZZNS1_27merge_sort_block_merge_implIS3_PaPS5_jNS1_19radix_merge_compareILb0ELb1EaNS0_19identity_decomposerEEEEE10hipError_tT0_T1_T2_jT3_P12ihipStream_tbPNSt15iterator_traitsISE_E10value_typeEPNSK_ISF_E10value_typeEPSG_NS1_7vsmem_tEENKUlT_SE_SF_SG_E_clIS8_S8_S9_S9_EESD_ST_SE_SF_SG_EUlST_E_NS1_11comp_targetILNS1_3genE4ELNS1_11target_archE910ELNS1_3gpuE8ELNS1_3repE0EEENS1_48merge_mergepath_partition_config_static_selectorELNS0_4arch9wavefront6targetE1EEEvSF_,comdat
	.protected	_ZN7rocprim17ROCPRIM_400000_NS6detail17trampoline_kernelINS0_14default_configENS1_38merge_sort_block_merge_config_selectorIaNS0_10empty_typeEEEZZNS1_27merge_sort_block_merge_implIS3_PaPS5_jNS1_19radix_merge_compareILb0ELb1EaNS0_19identity_decomposerEEEEE10hipError_tT0_T1_T2_jT3_P12ihipStream_tbPNSt15iterator_traitsISE_E10value_typeEPNSK_ISF_E10value_typeEPSG_NS1_7vsmem_tEENKUlT_SE_SF_SG_E_clIS8_S8_S9_S9_EESD_ST_SE_SF_SG_EUlST_E_NS1_11comp_targetILNS1_3genE4ELNS1_11target_archE910ELNS1_3gpuE8ELNS1_3repE0EEENS1_48merge_mergepath_partition_config_static_selectorELNS0_4arch9wavefront6targetE1EEEvSF_ ; -- Begin function _ZN7rocprim17ROCPRIM_400000_NS6detail17trampoline_kernelINS0_14default_configENS1_38merge_sort_block_merge_config_selectorIaNS0_10empty_typeEEEZZNS1_27merge_sort_block_merge_implIS3_PaPS5_jNS1_19radix_merge_compareILb0ELb1EaNS0_19identity_decomposerEEEEE10hipError_tT0_T1_T2_jT3_P12ihipStream_tbPNSt15iterator_traitsISE_E10value_typeEPNSK_ISF_E10value_typeEPSG_NS1_7vsmem_tEENKUlT_SE_SF_SG_E_clIS8_S8_S9_S9_EESD_ST_SE_SF_SG_EUlST_E_NS1_11comp_targetILNS1_3genE4ELNS1_11target_archE910ELNS1_3gpuE8ELNS1_3repE0EEENS1_48merge_mergepath_partition_config_static_selectorELNS0_4arch9wavefront6targetE1EEEvSF_
	.globl	_ZN7rocprim17ROCPRIM_400000_NS6detail17trampoline_kernelINS0_14default_configENS1_38merge_sort_block_merge_config_selectorIaNS0_10empty_typeEEEZZNS1_27merge_sort_block_merge_implIS3_PaPS5_jNS1_19radix_merge_compareILb0ELb1EaNS0_19identity_decomposerEEEEE10hipError_tT0_T1_T2_jT3_P12ihipStream_tbPNSt15iterator_traitsISE_E10value_typeEPNSK_ISF_E10value_typeEPSG_NS1_7vsmem_tEENKUlT_SE_SF_SG_E_clIS8_S8_S9_S9_EESD_ST_SE_SF_SG_EUlST_E_NS1_11comp_targetILNS1_3genE4ELNS1_11target_archE910ELNS1_3gpuE8ELNS1_3repE0EEENS1_48merge_mergepath_partition_config_static_selectorELNS0_4arch9wavefront6targetE1EEEvSF_
	.p2align	8
	.type	_ZN7rocprim17ROCPRIM_400000_NS6detail17trampoline_kernelINS0_14default_configENS1_38merge_sort_block_merge_config_selectorIaNS0_10empty_typeEEEZZNS1_27merge_sort_block_merge_implIS3_PaPS5_jNS1_19radix_merge_compareILb0ELb1EaNS0_19identity_decomposerEEEEE10hipError_tT0_T1_T2_jT3_P12ihipStream_tbPNSt15iterator_traitsISE_E10value_typeEPNSK_ISF_E10value_typeEPSG_NS1_7vsmem_tEENKUlT_SE_SF_SG_E_clIS8_S8_S9_S9_EESD_ST_SE_SF_SG_EUlST_E_NS1_11comp_targetILNS1_3genE4ELNS1_11target_archE910ELNS1_3gpuE8ELNS1_3repE0EEENS1_48merge_mergepath_partition_config_static_selectorELNS0_4arch9wavefront6targetE1EEEvSF_,@function
_ZN7rocprim17ROCPRIM_400000_NS6detail17trampoline_kernelINS0_14default_configENS1_38merge_sort_block_merge_config_selectorIaNS0_10empty_typeEEEZZNS1_27merge_sort_block_merge_implIS3_PaPS5_jNS1_19radix_merge_compareILb0ELb1EaNS0_19identity_decomposerEEEEE10hipError_tT0_T1_T2_jT3_P12ihipStream_tbPNSt15iterator_traitsISE_E10value_typeEPNSK_ISF_E10value_typeEPSG_NS1_7vsmem_tEENKUlT_SE_SF_SG_E_clIS8_S8_S9_S9_EESD_ST_SE_SF_SG_EUlST_E_NS1_11comp_targetILNS1_3genE4ELNS1_11target_archE910ELNS1_3gpuE8ELNS1_3repE0EEENS1_48merge_mergepath_partition_config_static_selectorELNS0_4arch9wavefront6targetE1EEEvSF_: ; @_ZN7rocprim17ROCPRIM_400000_NS6detail17trampoline_kernelINS0_14default_configENS1_38merge_sort_block_merge_config_selectorIaNS0_10empty_typeEEEZZNS1_27merge_sort_block_merge_implIS3_PaPS5_jNS1_19radix_merge_compareILb0ELb1EaNS0_19identity_decomposerEEEEE10hipError_tT0_T1_T2_jT3_P12ihipStream_tbPNSt15iterator_traitsISE_E10value_typeEPNSK_ISF_E10value_typeEPSG_NS1_7vsmem_tEENKUlT_SE_SF_SG_E_clIS8_S8_S9_S9_EESD_ST_SE_SF_SG_EUlST_E_NS1_11comp_targetILNS1_3genE4ELNS1_11target_archE910ELNS1_3gpuE8ELNS1_3repE0EEENS1_48merge_mergepath_partition_config_static_selectorELNS0_4arch9wavefront6targetE1EEEvSF_
; %bb.0:
	s_load_dword s0, s[4:5], 0x0
	v_lshl_or_b32 v0, s6, 7, v0
	s_waitcnt lgkmcnt(0)
	v_cmp_gt_u32_e32 vcc, s0, v0
	s_and_saveexec_b64 s[0:1], vcc
	s_cbranch_execz .LBB171_6
; %bb.1:
	s_load_dwordx2 s[2:3], s[4:5], 0x4
	s_load_dwordx2 s[0:1], s[4:5], 0x20
	s_waitcnt lgkmcnt(0)
	s_lshr_b32 s6, s2, 9
	s_and_b32 s6, s6, 0x7ffffe
	s_add_i32 s7, s6, -1
	s_sub_i32 s6, 0, s6
	v_and_b32_e32 v1, s6, v0
	v_lshlrev_b32_e32 v3, 10, v1
	v_min_u32_e32 v1, s3, v3
	v_add_u32_e32 v3, s2, v3
	v_min_u32_e32 v7, s3, v3
	v_add_u32_e32 v3, s2, v7
	v_and_b32_e32 v2, s7, v0
	v_min_u32_e32 v4, s3, v3
	v_sub_u32_e32 v3, v4, v1
	v_lshlrev_b32_e32 v2, 10, v2
	v_min_u32_e32 v3, v3, v2
	v_sub_u32_e32 v5, v7, v1
	v_sub_u32_e32 v2, v4, v7
	v_sub_u32_e64 v2, v3, v2 clamp
	v_min_u32_e32 v4, v3, v5
	v_cmp_lt_u32_e32 vcc, v2, v4
	s_and_saveexec_b64 s[2:3], vcc
	s_cbranch_execz .LBB171_5
; %bb.2:
	s_load_dwordx2 s[8:9], s[4:5], 0x10
	s_load_dword s6, s[4:5], 0x18
	s_mov_b64 s[4:5], 0
	s_waitcnt lgkmcnt(0)
	v_mov_b32_e32 v8, s9
	v_add_co_u32_e32 v5, vcc, s8, v1
	v_addc_co_u32_e32 v6, vcc, 0, v8, vcc
	v_add_co_u32_e32 v7, vcc, s8, v7
	v_addc_co_u32_e32 v8, vcc, 0, v8, vcc
.LBB171_3:                              ; =>This Inner Loop Header: Depth=1
	v_add_u32_e32 v9, v4, v2
	v_lshrrev_b32_e32 v9, 1, v9
	v_add_co_u32_e32 v10, vcc, v5, v9
	v_xad_u32 v12, v9, -1, v3
	v_addc_co_u32_e32 v11, vcc, 0, v6, vcc
	v_add_co_u32_e32 v12, vcc, v7, v12
	v_addc_co_u32_e32 v13, vcc, 0, v8, vcc
	global_load_ubyte v14, v[10:11], off
	global_load_ubyte v15, v[12:13], off
	v_add_u32_e32 v10, 1, v9
	s_waitcnt vmcnt(1)
	v_and_b32_e32 v11, s6, v14
	s_waitcnt vmcnt(0)
	v_and_b32_e32 v12, s6, v15
	v_cmp_gt_i16_sdwa vcc, sext(v11), sext(v12) src0_sel:BYTE_0 src1_sel:BYTE_0
	v_cndmask_b32_e32 v4, v4, v9, vcc
	v_cndmask_b32_e32 v2, v10, v2, vcc
	v_cmp_ge_u32_e32 vcc, v2, v4
	s_or_b64 s[4:5], vcc, s[4:5]
	s_andn2_b64 exec, exec, s[4:5]
	s_cbranch_execnz .LBB171_3
; %bb.4:
	s_or_b64 exec, exec, s[4:5]
.LBB171_5:
	s_or_b64 exec, exec, s[2:3]
	v_add_u32_e32 v2, v2, v1
	v_mov_b32_e32 v1, 0
	v_lshlrev_b64 v[0:1], 2, v[0:1]
	v_mov_b32_e32 v3, s1
	v_add_co_u32_e32 v0, vcc, s0, v0
	v_addc_co_u32_e32 v1, vcc, v3, v1, vcc
	global_store_dword v[0:1], v2, off
.LBB171_6:
	s_endpgm
	.section	.rodata,"a",@progbits
	.p2align	6, 0x0
	.amdhsa_kernel _ZN7rocprim17ROCPRIM_400000_NS6detail17trampoline_kernelINS0_14default_configENS1_38merge_sort_block_merge_config_selectorIaNS0_10empty_typeEEEZZNS1_27merge_sort_block_merge_implIS3_PaPS5_jNS1_19radix_merge_compareILb0ELb1EaNS0_19identity_decomposerEEEEE10hipError_tT0_T1_T2_jT3_P12ihipStream_tbPNSt15iterator_traitsISE_E10value_typeEPNSK_ISF_E10value_typeEPSG_NS1_7vsmem_tEENKUlT_SE_SF_SG_E_clIS8_S8_S9_S9_EESD_ST_SE_SF_SG_EUlST_E_NS1_11comp_targetILNS1_3genE4ELNS1_11target_archE910ELNS1_3gpuE8ELNS1_3repE0EEENS1_48merge_mergepath_partition_config_static_selectorELNS0_4arch9wavefront6targetE1EEEvSF_
		.amdhsa_group_segment_fixed_size 0
		.amdhsa_private_segment_fixed_size 0
		.amdhsa_kernarg_size 40
		.amdhsa_user_sgpr_count 6
		.amdhsa_user_sgpr_private_segment_buffer 1
		.amdhsa_user_sgpr_dispatch_ptr 0
		.amdhsa_user_sgpr_queue_ptr 0
		.amdhsa_user_sgpr_kernarg_segment_ptr 1
		.amdhsa_user_sgpr_dispatch_id 0
		.amdhsa_user_sgpr_flat_scratch_init 0
		.amdhsa_user_sgpr_kernarg_preload_length 0
		.amdhsa_user_sgpr_kernarg_preload_offset 0
		.amdhsa_user_sgpr_private_segment_size 0
		.amdhsa_uses_dynamic_stack 0
		.amdhsa_system_sgpr_private_segment_wavefront_offset 0
		.amdhsa_system_sgpr_workgroup_id_x 1
		.amdhsa_system_sgpr_workgroup_id_y 0
		.amdhsa_system_sgpr_workgroup_id_z 0
		.amdhsa_system_sgpr_workgroup_info 0
		.amdhsa_system_vgpr_workitem_id 0
		.amdhsa_next_free_vgpr 16
		.amdhsa_next_free_sgpr 10
		.amdhsa_accum_offset 16
		.amdhsa_reserve_vcc 1
		.amdhsa_reserve_flat_scratch 0
		.amdhsa_float_round_mode_32 0
		.amdhsa_float_round_mode_16_64 0
		.amdhsa_float_denorm_mode_32 3
		.amdhsa_float_denorm_mode_16_64 3
		.amdhsa_dx10_clamp 1
		.amdhsa_ieee_mode 1
		.amdhsa_fp16_overflow 0
		.amdhsa_tg_split 0
		.amdhsa_exception_fp_ieee_invalid_op 0
		.amdhsa_exception_fp_denorm_src 0
		.amdhsa_exception_fp_ieee_div_zero 0
		.amdhsa_exception_fp_ieee_overflow 0
		.amdhsa_exception_fp_ieee_underflow 0
		.amdhsa_exception_fp_ieee_inexact 0
		.amdhsa_exception_int_div_zero 0
	.end_amdhsa_kernel
	.section	.text._ZN7rocprim17ROCPRIM_400000_NS6detail17trampoline_kernelINS0_14default_configENS1_38merge_sort_block_merge_config_selectorIaNS0_10empty_typeEEEZZNS1_27merge_sort_block_merge_implIS3_PaPS5_jNS1_19radix_merge_compareILb0ELb1EaNS0_19identity_decomposerEEEEE10hipError_tT0_T1_T2_jT3_P12ihipStream_tbPNSt15iterator_traitsISE_E10value_typeEPNSK_ISF_E10value_typeEPSG_NS1_7vsmem_tEENKUlT_SE_SF_SG_E_clIS8_S8_S9_S9_EESD_ST_SE_SF_SG_EUlST_E_NS1_11comp_targetILNS1_3genE4ELNS1_11target_archE910ELNS1_3gpuE8ELNS1_3repE0EEENS1_48merge_mergepath_partition_config_static_selectorELNS0_4arch9wavefront6targetE1EEEvSF_,"axG",@progbits,_ZN7rocprim17ROCPRIM_400000_NS6detail17trampoline_kernelINS0_14default_configENS1_38merge_sort_block_merge_config_selectorIaNS0_10empty_typeEEEZZNS1_27merge_sort_block_merge_implIS3_PaPS5_jNS1_19radix_merge_compareILb0ELb1EaNS0_19identity_decomposerEEEEE10hipError_tT0_T1_T2_jT3_P12ihipStream_tbPNSt15iterator_traitsISE_E10value_typeEPNSK_ISF_E10value_typeEPSG_NS1_7vsmem_tEENKUlT_SE_SF_SG_E_clIS8_S8_S9_S9_EESD_ST_SE_SF_SG_EUlST_E_NS1_11comp_targetILNS1_3genE4ELNS1_11target_archE910ELNS1_3gpuE8ELNS1_3repE0EEENS1_48merge_mergepath_partition_config_static_selectorELNS0_4arch9wavefront6targetE1EEEvSF_,comdat
.Lfunc_end171:
	.size	_ZN7rocprim17ROCPRIM_400000_NS6detail17trampoline_kernelINS0_14default_configENS1_38merge_sort_block_merge_config_selectorIaNS0_10empty_typeEEEZZNS1_27merge_sort_block_merge_implIS3_PaPS5_jNS1_19radix_merge_compareILb0ELb1EaNS0_19identity_decomposerEEEEE10hipError_tT0_T1_T2_jT3_P12ihipStream_tbPNSt15iterator_traitsISE_E10value_typeEPNSK_ISF_E10value_typeEPSG_NS1_7vsmem_tEENKUlT_SE_SF_SG_E_clIS8_S8_S9_S9_EESD_ST_SE_SF_SG_EUlST_E_NS1_11comp_targetILNS1_3genE4ELNS1_11target_archE910ELNS1_3gpuE8ELNS1_3repE0EEENS1_48merge_mergepath_partition_config_static_selectorELNS0_4arch9wavefront6targetE1EEEvSF_, .Lfunc_end171-_ZN7rocprim17ROCPRIM_400000_NS6detail17trampoline_kernelINS0_14default_configENS1_38merge_sort_block_merge_config_selectorIaNS0_10empty_typeEEEZZNS1_27merge_sort_block_merge_implIS3_PaPS5_jNS1_19radix_merge_compareILb0ELb1EaNS0_19identity_decomposerEEEEE10hipError_tT0_T1_T2_jT3_P12ihipStream_tbPNSt15iterator_traitsISE_E10value_typeEPNSK_ISF_E10value_typeEPSG_NS1_7vsmem_tEENKUlT_SE_SF_SG_E_clIS8_S8_S9_S9_EESD_ST_SE_SF_SG_EUlST_E_NS1_11comp_targetILNS1_3genE4ELNS1_11target_archE910ELNS1_3gpuE8ELNS1_3repE0EEENS1_48merge_mergepath_partition_config_static_selectorELNS0_4arch9wavefront6targetE1EEEvSF_
                                        ; -- End function
	.section	.AMDGPU.csdata,"",@progbits
; Kernel info:
; codeLenInByte = 340
; NumSgprs: 14
; NumVgprs: 16
; NumAgprs: 0
; TotalNumVgprs: 16
; ScratchSize: 0
; MemoryBound: 0
; FloatMode: 240
; IeeeMode: 1
; LDSByteSize: 0 bytes/workgroup (compile time only)
; SGPRBlocks: 1
; VGPRBlocks: 1
; NumSGPRsForWavesPerEU: 14
; NumVGPRsForWavesPerEU: 16
; AccumOffset: 16
; Occupancy: 8
; WaveLimiterHint : 0
; COMPUTE_PGM_RSRC2:SCRATCH_EN: 0
; COMPUTE_PGM_RSRC2:USER_SGPR: 6
; COMPUTE_PGM_RSRC2:TRAP_HANDLER: 0
; COMPUTE_PGM_RSRC2:TGID_X_EN: 1
; COMPUTE_PGM_RSRC2:TGID_Y_EN: 0
; COMPUTE_PGM_RSRC2:TGID_Z_EN: 0
; COMPUTE_PGM_RSRC2:TIDIG_COMP_CNT: 0
; COMPUTE_PGM_RSRC3_GFX90A:ACCUM_OFFSET: 3
; COMPUTE_PGM_RSRC3_GFX90A:TG_SPLIT: 0
	.section	.text._ZN7rocprim17ROCPRIM_400000_NS6detail17trampoline_kernelINS0_14default_configENS1_38merge_sort_block_merge_config_selectorIaNS0_10empty_typeEEEZZNS1_27merge_sort_block_merge_implIS3_PaPS5_jNS1_19radix_merge_compareILb0ELb1EaNS0_19identity_decomposerEEEEE10hipError_tT0_T1_T2_jT3_P12ihipStream_tbPNSt15iterator_traitsISE_E10value_typeEPNSK_ISF_E10value_typeEPSG_NS1_7vsmem_tEENKUlT_SE_SF_SG_E_clIS8_S8_S9_S9_EESD_ST_SE_SF_SG_EUlST_E_NS1_11comp_targetILNS1_3genE3ELNS1_11target_archE908ELNS1_3gpuE7ELNS1_3repE0EEENS1_48merge_mergepath_partition_config_static_selectorELNS0_4arch9wavefront6targetE1EEEvSF_,"axG",@progbits,_ZN7rocprim17ROCPRIM_400000_NS6detail17trampoline_kernelINS0_14default_configENS1_38merge_sort_block_merge_config_selectorIaNS0_10empty_typeEEEZZNS1_27merge_sort_block_merge_implIS3_PaPS5_jNS1_19radix_merge_compareILb0ELb1EaNS0_19identity_decomposerEEEEE10hipError_tT0_T1_T2_jT3_P12ihipStream_tbPNSt15iterator_traitsISE_E10value_typeEPNSK_ISF_E10value_typeEPSG_NS1_7vsmem_tEENKUlT_SE_SF_SG_E_clIS8_S8_S9_S9_EESD_ST_SE_SF_SG_EUlST_E_NS1_11comp_targetILNS1_3genE3ELNS1_11target_archE908ELNS1_3gpuE7ELNS1_3repE0EEENS1_48merge_mergepath_partition_config_static_selectorELNS0_4arch9wavefront6targetE1EEEvSF_,comdat
	.protected	_ZN7rocprim17ROCPRIM_400000_NS6detail17trampoline_kernelINS0_14default_configENS1_38merge_sort_block_merge_config_selectorIaNS0_10empty_typeEEEZZNS1_27merge_sort_block_merge_implIS3_PaPS5_jNS1_19radix_merge_compareILb0ELb1EaNS0_19identity_decomposerEEEEE10hipError_tT0_T1_T2_jT3_P12ihipStream_tbPNSt15iterator_traitsISE_E10value_typeEPNSK_ISF_E10value_typeEPSG_NS1_7vsmem_tEENKUlT_SE_SF_SG_E_clIS8_S8_S9_S9_EESD_ST_SE_SF_SG_EUlST_E_NS1_11comp_targetILNS1_3genE3ELNS1_11target_archE908ELNS1_3gpuE7ELNS1_3repE0EEENS1_48merge_mergepath_partition_config_static_selectorELNS0_4arch9wavefront6targetE1EEEvSF_ ; -- Begin function _ZN7rocprim17ROCPRIM_400000_NS6detail17trampoline_kernelINS0_14default_configENS1_38merge_sort_block_merge_config_selectorIaNS0_10empty_typeEEEZZNS1_27merge_sort_block_merge_implIS3_PaPS5_jNS1_19radix_merge_compareILb0ELb1EaNS0_19identity_decomposerEEEEE10hipError_tT0_T1_T2_jT3_P12ihipStream_tbPNSt15iterator_traitsISE_E10value_typeEPNSK_ISF_E10value_typeEPSG_NS1_7vsmem_tEENKUlT_SE_SF_SG_E_clIS8_S8_S9_S9_EESD_ST_SE_SF_SG_EUlST_E_NS1_11comp_targetILNS1_3genE3ELNS1_11target_archE908ELNS1_3gpuE7ELNS1_3repE0EEENS1_48merge_mergepath_partition_config_static_selectorELNS0_4arch9wavefront6targetE1EEEvSF_
	.globl	_ZN7rocprim17ROCPRIM_400000_NS6detail17trampoline_kernelINS0_14default_configENS1_38merge_sort_block_merge_config_selectorIaNS0_10empty_typeEEEZZNS1_27merge_sort_block_merge_implIS3_PaPS5_jNS1_19radix_merge_compareILb0ELb1EaNS0_19identity_decomposerEEEEE10hipError_tT0_T1_T2_jT3_P12ihipStream_tbPNSt15iterator_traitsISE_E10value_typeEPNSK_ISF_E10value_typeEPSG_NS1_7vsmem_tEENKUlT_SE_SF_SG_E_clIS8_S8_S9_S9_EESD_ST_SE_SF_SG_EUlST_E_NS1_11comp_targetILNS1_3genE3ELNS1_11target_archE908ELNS1_3gpuE7ELNS1_3repE0EEENS1_48merge_mergepath_partition_config_static_selectorELNS0_4arch9wavefront6targetE1EEEvSF_
	.p2align	8
	.type	_ZN7rocprim17ROCPRIM_400000_NS6detail17trampoline_kernelINS0_14default_configENS1_38merge_sort_block_merge_config_selectorIaNS0_10empty_typeEEEZZNS1_27merge_sort_block_merge_implIS3_PaPS5_jNS1_19radix_merge_compareILb0ELb1EaNS0_19identity_decomposerEEEEE10hipError_tT0_T1_T2_jT3_P12ihipStream_tbPNSt15iterator_traitsISE_E10value_typeEPNSK_ISF_E10value_typeEPSG_NS1_7vsmem_tEENKUlT_SE_SF_SG_E_clIS8_S8_S9_S9_EESD_ST_SE_SF_SG_EUlST_E_NS1_11comp_targetILNS1_3genE3ELNS1_11target_archE908ELNS1_3gpuE7ELNS1_3repE0EEENS1_48merge_mergepath_partition_config_static_selectorELNS0_4arch9wavefront6targetE1EEEvSF_,@function
_ZN7rocprim17ROCPRIM_400000_NS6detail17trampoline_kernelINS0_14default_configENS1_38merge_sort_block_merge_config_selectorIaNS0_10empty_typeEEEZZNS1_27merge_sort_block_merge_implIS3_PaPS5_jNS1_19radix_merge_compareILb0ELb1EaNS0_19identity_decomposerEEEEE10hipError_tT0_T1_T2_jT3_P12ihipStream_tbPNSt15iterator_traitsISE_E10value_typeEPNSK_ISF_E10value_typeEPSG_NS1_7vsmem_tEENKUlT_SE_SF_SG_E_clIS8_S8_S9_S9_EESD_ST_SE_SF_SG_EUlST_E_NS1_11comp_targetILNS1_3genE3ELNS1_11target_archE908ELNS1_3gpuE7ELNS1_3repE0EEENS1_48merge_mergepath_partition_config_static_selectorELNS0_4arch9wavefront6targetE1EEEvSF_: ; @_ZN7rocprim17ROCPRIM_400000_NS6detail17trampoline_kernelINS0_14default_configENS1_38merge_sort_block_merge_config_selectorIaNS0_10empty_typeEEEZZNS1_27merge_sort_block_merge_implIS3_PaPS5_jNS1_19radix_merge_compareILb0ELb1EaNS0_19identity_decomposerEEEEE10hipError_tT0_T1_T2_jT3_P12ihipStream_tbPNSt15iterator_traitsISE_E10value_typeEPNSK_ISF_E10value_typeEPSG_NS1_7vsmem_tEENKUlT_SE_SF_SG_E_clIS8_S8_S9_S9_EESD_ST_SE_SF_SG_EUlST_E_NS1_11comp_targetILNS1_3genE3ELNS1_11target_archE908ELNS1_3gpuE7ELNS1_3repE0EEENS1_48merge_mergepath_partition_config_static_selectorELNS0_4arch9wavefront6targetE1EEEvSF_
; %bb.0:
	.section	.rodata,"a",@progbits
	.p2align	6, 0x0
	.amdhsa_kernel _ZN7rocprim17ROCPRIM_400000_NS6detail17trampoline_kernelINS0_14default_configENS1_38merge_sort_block_merge_config_selectorIaNS0_10empty_typeEEEZZNS1_27merge_sort_block_merge_implIS3_PaPS5_jNS1_19radix_merge_compareILb0ELb1EaNS0_19identity_decomposerEEEEE10hipError_tT0_T1_T2_jT3_P12ihipStream_tbPNSt15iterator_traitsISE_E10value_typeEPNSK_ISF_E10value_typeEPSG_NS1_7vsmem_tEENKUlT_SE_SF_SG_E_clIS8_S8_S9_S9_EESD_ST_SE_SF_SG_EUlST_E_NS1_11comp_targetILNS1_3genE3ELNS1_11target_archE908ELNS1_3gpuE7ELNS1_3repE0EEENS1_48merge_mergepath_partition_config_static_selectorELNS0_4arch9wavefront6targetE1EEEvSF_
		.amdhsa_group_segment_fixed_size 0
		.amdhsa_private_segment_fixed_size 0
		.amdhsa_kernarg_size 40
		.amdhsa_user_sgpr_count 6
		.amdhsa_user_sgpr_private_segment_buffer 1
		.amdhsa_user_sgpr_dispatch_ptr 0
		.amdhsa_user_sgpr_queue_ptr 0
		.amdhsa_user_sgpr_kernarg_segment_ptr 1
		.amdhsa_user_sgpr_dispatch_id 0
		.amdhsa_user_sgpr_flat_scratch_init 0
		.amdhsa_user_sgpr_kernarg_preload_length 0
		.amdhsa_user_sgpr_kernarg_preload_offset 0
		.amdhsa_user_sgpr_private_segment_size 0
		.amdhsa_uses_dynamic_stack 0
		.amdhsa_system_sgpr_private_segment_wavefront_offset 0
		.amdhsa_system_sgpr_workgroup_id_x 1
		.amdhsa_system_sgpr_workgroup_id_y 0
		.amdhsa_system_sgpr_workgroup_id_z 0
		.amdhsa_system_sgpr_workgroup_info 0
		.amdhsa_system_vgpr_workitem_id 0
		.amdhsa_next_free_vgpr 1
		.amdhsa_next_free_sgpr 0
		.amdhsa_accum_offset 4
		.amdhsa_reserve_vcc 0
		.amdhsa_reserve_flat_scratch 0
		.amdhsa_float_round_mode_32 0
		.amdhsa_float_round_mode_16_64 0
		.amdhsa_float_denorm_mode_32 3
		.amdhsa_float_denorm_mode_16_64 3
		.amdhsa_dx10_clamp 1
		.amdhsa_ieee_mode 1
		.amdhsa_fp16_overflow 0
		.amdhsa_tg_split 0
		.amdhsa_exception_fp_ieee_invalid_op 0
		.amdhsa_exception_fp_denorm_src 0
		.amdhsa_exception_fp_ieee_div_zero 0
		.amdhsa_exception_fp_ieee_overflow 0
		.amdhsa_exception_fp_ieee_underflow 0
		.amdhsa_exception_fp_ieee_inexact 0
		.amdhsa_exception_int_div_zero 0
	.end_amdhsa_kernel
	.section	.text._ZN7rocprim17ROCPRIM_400000_NS6detail17trampoline_kernelINS0_14default_configENS1_38merge_sort_block_merge_config_selectorIaNS0_10empty_typeEEEZZNS1_27merge_sort_block_merge_implIS3_PaPS5_jNS1_19radix_merge_compareILb0ELb1EaNS0_19identity_decomposerEEEEE10hipError_tT0_T1_T2_jT3_P12ihipStream_tbPNSt15iterator_traitsISE_E10value_typeEPNSK_ISF_E10value_typeEPSG_NS1_7vsmem_tEENKUlT_SE_SF_SG_E_clIS8_S8_S9_S9_EESD_ST_SE_SF_SG_EUlST_E_NS1_11comp_targetILNS1_3genE3ELNS1_11target_archE908ELNS1_3gpuE7ELNS1_3repE0EEENS1_48merge_mergepath_partition_config_static_selectorELNS0_4arch9wavefront6targetE1EEEvSF_,"axG",@progbits,_ZN7rocprim17ROCPRIM_400000_NS6detail17trampoline_kernelINS0_14default_configENS1_38merge_sort_block_merge_config_selectorIaNS0_10empty_typeEEEZZNS1_27merge_sort_block_merge_implIS3_PaPS5_jNS1_19radix_merge_compareILb0ELb1EaNS0_19identity_decomposerEEEEE10hipError_tT0_T1_T2_jT3_P12ihipStream_tbPNSt15iterator_traitsISE_E10value_typeEPNSK_ISF_E10value_typeEPSG_NS1_7vsmem_tEENKUlT_SE_SF_SG_E_clIS8_S8_S9_S9_EESD_ST_SE_SF_SG_EUlST_E_NS1_11comp_targetILNS1_3genE3ELNS1_11target_archE908ELNS1_3gpuE7ELNS1_3repE0EEENS1_48merge_mergepath_partition_config_static_selectorELNS0_4arch9wavefront6targetE1EEEvSF_,comdat
.Lfunc_end172:
	.size	_ZN7rocprim17ROCPRIM_400000_NS6detail17trampoline_kernelINS0_14default_configENS1_38merge_sort_block_merge_config_selectorIaNS0_10empty_typeEEEZZNS1_27merge_sort_block_merge_implIS3_PaPS5_jNS1_19radix_merge_compareILb0ELb1EaNS0_19identity_decomposerEEEEE10hipError_tT0_T1_T2_jT3_P12ihipStream_tbPNSt15iterator_traitsISE_E10value_typeEPNSK_ISF_E10value_typeEPSG_NS1_7vsmem_tEENKUlT_SE_SF_SG_E_clIS8_S8_S9_S9_EESD_ST_SE_SF_SG_EUlST_E_NS1_11comp_targetILNS1_3genE3ELNS1_11target_archE908ELNS1_3gpuE7ELNS1_3repE0EEENS1_48merge_mergepath_partition_config_static_selectorELNS0_4arch9wavefront6targetE1EEEvSF_, .Lfunc_end172-_ZN7rocprim17ROCPRIM_400000_NS6detail17trampoline_kernelINS0_14default_configENS1_38merge_sort_block_merge_config_selectorIaNS0_10empty_typeEEEZZNS1_27merge_sort_block_merge_implIS3_PaPS5_jNS1_19radix_merge_compareILb0ELb1EaNS0_19identity_decomposerEEEEE10hipError_tT0_T1_T2_jT3_P12ihipStream_tbPNSt15iterator_traitsISE_E10value_typeEPNSK_ISF_E10value_typeEPSG_NS1_7vsmem_tEENKUlT_SE_SF_SG_E_clIS8_S8_S9_S9_EESD_ST_SE_SF_SG_EUlST_E_NS1_11comp_targetILNS1_3genE3ELNS1_11target_archE908ELNS1_3gpuE7ELNS1_3repE0EEENS1_48merge_mergepath_partition_config_static_selectorELNS0_4arch9wavefront6targetE1EEEvSF_
                                        ; -- End function
	.section	.AMDGPU.csdata,"",@progbits
; Kernel info:
; codeLenInByte = 0
; NumSgprs: 4
; NumVgprs: 0
; NumAgprs: 0
; TotalNumVgprs: 0
; ScratchSize: 0
; MemoryBound: 0
; FloatMode: 240
; IeeeMode: 1
; LDSByteSize: 0 bytes/workgroup (compile time only)
; SGPRBlocks: 0
; VGPRBlocks: 0
; NumSGPRsForWavesPerEU: 4
; NumVGPRsForWavesPerEU: 1
; AccumOffset: 4
; Occupancy: 8
; WaveLimiterHint : 0
; COMPUTE_PGM_RSRC2:SCRATCH_EN: 0
; COMPUTE_PGM_RSRC2:USER_SGPR: 6
; COMPUTE_PGM_RSRC2:TRAP_HANDLER: 0
; COMPUTE_PGM_RSRC2:TGID_X_EN: 1
; COMPUTE_PGM_RSRC2:TGID_Y_EN: 0
; COMPUTE_PGM_RSRC2:TGID_Z_EN: 0
; COMPUTE_PGM_RSRC2:TIDIG_COMP_CNT: 0
; COMPUTE_PGM_RSRC3_GFX90A:ACCUM_OFFSET: 0
; COMPUTE_PGM_RSRC3_GFX90A:TG_SPLIT: 0
	.section	.text._ZN7rocprim17ROCPRIM_400000_NS6detail17trampoline_kernelINS0_14default_configENS1_38merge_sort_block_merge_config_selectorIaNS0_10empty_typeEEEZZNS1_27merge_sort_block_merge_implIS3_PaPS5_jNS1_19radix_merge_compareILb0ELb1EaNS0_19identity_decomposerEEEEE10hipError_tT0_T1_T2_jT3_P12ihipStream_tbPNSt15iterator_traitsISE_E10value_typeEPNSK_ISF_E10value_typeEPSG_NS1_7vsmem_tEENKUlT_SE_SF_SG_E_clIS8_S8_S9_S9_EESD_ST_SE_SF_SG_EUlST_E_NS1_11comp_targetILNS1_3genE2ELNS1_11target_archE906ELNS1_3gpuE6ELNS1_3repE0EEENS1_48merge_mergepath_partition_config_static_selectorELNS0_4arch9wavefront6targetE1EEEvSF_,"axG",@progbits,_ZN7rocprim17ROCPRIM_400000_NS6detail17trampoline_kernelINS0_14default_configENS1_38merge_sort_block_merge_config_selectorIaNS0_10empty_typeEEEZZNS1_27merge_sort_block_merge_implIS3_PaPS5_jNS1_19radix_merge_compareILb0ELb1EaNS0_19identity_decomposerEEEEE10hipError_tT0_T1_T2_jT3_P12ihipStream_tbPNSt15iterator_traitsISE_E10value_typeEPNSK_ISF_E10value_typeEPSG_NS1_7vsmem_tEENKUlT_SE_SF_SG_E_clIS8_S8_S9_S9_EESD_ST_SE_SF_SG_EUlST_E_NS1_11comp_targetILNS1_3genE2ELNS1_11target_archE906ELNS1_3gpuE6ELNS1_3repE0EEENS1_48merge_mergepath_partition_config_static_selectorELNS0_4arch9wavefront6targetE1EEEvSF_,comdat
	.protected	_ZN7rocprim17ROCPRIM_400000_NS6detail17trampoline_kernelINS0_14default_configENS1_38merge_sort_block_merge_config_selectorIaNS0_10empty_typeEEEZZNS1_27merge_sort_block_merge_implIS3_PaPS5_jNS1_19radix_merge_compareILb0ELb1EaNS0_19identity_decomposerEEEEE10hipError_tT0_T1_T2_jT3_P12ihipStream_tbPNSt15iterator_traitsISE_E10value_typeEPNSK_ISF_E10value_typeEPSG_NS1_7vsmem_tEENKUlT_SE_SF_SG_E_clIS8_S8_S9_S9_EESD_ST_SE_SF_SG_EUlST_E_NS1_11comp_targetILNS1_3genE2ELNS1_11target_archE906ELNS1_3gpuE6ELNS1_3repE0EEENS1_48merge_mergepath_partition_config_static_selectorELNS0_4arch9wavefront6targetE1EEEvSF_ ; -- Begin function _ZN7rocprim17ROCPRIM_400000_NS6detail17trampoline_kernelINS0_14default_configENS1_38merge_sort_block_merge_config_selectorIaNS0_10empty_typeEEEZZNS1_27merge_sort_block_merge_implIS3_PaPS5_jNS1_19radix_merge_compareILb0ELb1EaNS0_19identity_decomposerEEEEE10hipError_tT0_T1_T2_jT3_P12ihipStream_tbPNSt15iterator_traitsISE_E10value_typeEPNSK_ISF_E10value_typeEPSG_NS1_7vsmem_tEENKUlT_SE_SF_SG_E_clIS8_S8_S9_S9_EESD_ST_SE_SF_SG_EUlST_E_NS1_11comp_targetILNS1_3genE2ELNS1_11target_archE906ELNS1_3gpuE6ELNS1_3repE0EEENS1_48merge_mergepath_partition_config_static_selectorELNS0_4arch9wavefront6targetE1EEEvSF_
	.globl	_ZN7rocprim17ROCPRIM_400000_NS6detail17trampoline_kernelINS0_14default_configENS1_38merge_sort_block_merge_config_selectorIaNS0_10empty_typeEEEZZNS1_27merge_sort_block_merge_implIS3_PaPS5_jNS1_19radix_merge_compareILb0ELb1EaNS0_19identity_decomposerEEEEE10hipError_tT0_T1_T2_jT3_P12ihipStream_tbPNSt15iterator_traitsISE_E10value_typeEPNSK_ISF_E10value_typeEPSG_NS1_7vsmem_tEENKUlT_SE_SF_SG_E_clIS8_S8_S9_S9_EESD_ST_SE_SF_SG_EUlST_E_NS1_11comp_targetILNS1_3genE2ELNS1_11target_archE906ELNS1_3gpuE6ELNS1_3repE0EEENS1_48merge_mergepath_partition_config_static_selectorELNS0_4arch9wavefront6targetE1EEEvSF_
	.p2align	8
	.type	_ZN7rocprim17ROCPRIM_400000_NS6detail17trampoline_kernelINS0_14default_configENS1_38merge_sort_block_merge_config_selectorIaNS0_10empty_typeEEEZZNS1_27merge_sort_block_merge_implIS3_PaPS5_jNS1_19radix_merge_compareILb0ELb1EaNS0_19identity_decomposerEEEEE10hipError_tT0_T1_T2_jT3_P12ihipStream_tbPNSt15iterator_traitsISE_E10value_typeEPNSK_ISF_E10value_typeEPSG_NS1_7vsmem_tEENKUlT_SE_SF_SG_E_clIS8_S8_S9_S9_EESD_ST_SE_SF_SG_EUlST_E_NS1_11comp_targetILNS1_3genE2ELNS1_11target_archE906ELNS1_3gpuE6ELNS1_3repE0EEENS1_48merge_mergepath_partition_config_static_selectorELNS0_4arch9wavefront6targetE1EEEvSF_,@function
_ZN7rocprim17ROCPRIM_400000_NS6detail17trampoline_kernelINS0_14default_configENS1_38merge_sort_block_merge_config_selectorIaNS0_10empty_typeEEEZZNS1_27merge_sort_block_merge_implIS3_PaPS5_jNS1_19radix_merge_compareILb0ELb1EaNS0_19identity_decomposerEEEEE10hipError_tT0_T1_T2_jT3_P12ihipStream_tbPNSt15iterator_traitsISE_E10value_typeEPNSK_ISF_E10value_typeEPSG_NS1_7vsmem_tEENKUlT_SE_SF_SG_E_clIS8_S8_S9_S9_EESD_ST_SE_SF_SG_EUlST_E_NS1_11comp_targetILNS1_3genE2ELNS1_11target_archE906ELNS1_3gpuE6ELNS1_3repE0EEENS1_48merge_mergepath_partition_config_static_selectorELNS0_4arch9wavefront6targetE1EEEvSF_: ; @_ZN7rocprim17ROCPRIM_400000_NS6detail17trampoline_kernelINS0_14default_configENS1_38merge_sort_block_merge_config_selectorIaNS0_10empty_typeEEEZZNS1_27merge_sort_block_merge_implIS3_PaPS5_jNS1_19radix_merge_compareILb0ELb1EaNS0_19identity_decomposerEEEEE10hipError_tT0_T1_T2_jT3_P12ihipStream_tbPNSt15iterator_traitsISE_E10value_typeEPNSK_ISF_E10value_typeEPSG_NS1_7vsmem_tEENKUlT_SE_SF_SG_E_clIS8_S8_S9_S9_EESD_ST_SE_SF_SG_EUlST_E_NS1_11comp_targetILNS1_3genE2ELNS1_11target_archE906ELNS1_3gpuE6ELNS1_3repE0EEENS1_48merge_mergepath_partition_config_static_selectorELNS0_4arch9wavefront6targetE1EEEvSF_
; %bb.0:
	.section	.rodata,"a",@progbits
	.p2align	6, 0x0
	.amdhsa_kernel _ZN7rocprim17ROCPRIM_400000_NS6detail17trampoline_kernelINS0_14default_configENS1_38merge_sort_block_merge_config_selectorIaNS0_10empty_typeEEEZZNS1_27merge_sort_block_merge_implIS3_PaPS5_jNS1_19radix_merge_compareILb0ELb1EaNS0_19identity_decomposerEEEEE10hipError_tT0_T1_T2_jT3_P12ihipStream_tbPNSt15iterator_traitsISE_E10value_typeEPNSK_ISF_E10value_typeEPSG_NS1_7vsmem_tEENKUlT_SE_SF_SG_E_clIS8_S8_S9_S9_EESD_ST_SE_SF_SG_EUlST_E_NS1_11comp_targetILNS1_3genE2ELNS1_11target_archE906ELNS1_3gpuE6ELNS1_3repE0EEENS1_48merge_mergepath_partition_config_static_selectorELNS0_4arch9wavefront6targetE1EEEvSF_
		.amdhsa_group_segment_fixed_size 0
		.amdhsa_private_segment_fixed_size 0
		.amdhsa_kernarg_size 40
		.amdhsa_user_sgpr_count 6
		.amdhsa_user_sgpr_private_segment_buffer 1
		.amdhsa_user_sgpr_dispatch_ptr 0
		.amdhsa_user_sgpr_queue_ptr 0
		.amdhsa_user_sgpr_kernarg_segment_ptr 1
		.amdhsa_user_sgpr_dispatch_id 0
		.amdhsa_user_sgpr_flat_scratch_init 0
		.amdhsa_user_sgpr_kernarg_preload_length 0
		.amdhsa_user_sgpr_kernarg_preload_offset 0
		.amdhsa_user_sgpr_private_segment_size 0
		.amdhsa_uses_dynamic_stack 0
		.amdhsa_system_sgpr_private_segment_wavefront_offset 0
		.amdhsa_system_sgpr_workgroup_id_x 1
		.amdhsa_system_sgpr_workgroup_id_y 0
		.amdhsa_system_sgpr_workgroup_id_z 0
		.amdhsa_system_sgpr_workgroup_info 0
		.amdhsa_system_vgpr_workitem_id 0
		.amdhsa_next_free_vgpr 1
		.amdhsa_next_free_sgpr 0
		.amdhsa_accum_offset 4
		.amdhsa_reserve_vcc 0
		.amdhsa_reserve_flat_scratch 0
		.amdhsa_float_round_mode_32 0
		.amdhsa_float_round_mode_16_64 0
		.amdhsa_float_denorm_mode_32 3
		.amdhsa_float_denorm_mode_16_64 3
		.amdhsa_dx10_clamp 1
		.amdhsa_ieee_mode 1
		.amdhsa_fp16_overflow 0
		.amdhsa_tg_split 0
		.amdhsa_exception_fp_ieee_invalid_op 0
		.amdhsa_exception_fp_denorm_src 0
		.amdhsa_exception_fp_ieee_div_zero 0
		.amdhsa_exception_fp_ieee_overflow 0
		.amdhsa_exception_fp_ieee_underflow 0
		.amdhsa_exception_fp_ieee_inexact 0
		.amdhsa_exception_int_div_zero 0
	.end_amdhsa_kernel
	.section	.text._ZN7rocprim17ROCPRIM_400000_NS6detail17trampoline_kernelINS0_14default_configENS1_38merge_sort_block_merge_config_selectorIaNS0_10empty_typeEEEZZNS1_27merge_sort_block_merge_implIS3_PaPS5_jNS1_19radix_merge_compareILb0ELb1EaNS0_19identity_decomposerEEEEE10hipError_tT0_T1_T2_jT3_P12ihipStream_tbPNSt15iterator_traitsISE_E10value_typeEPNSK_ISF_E10value_typeEPSG_NS1_7vsmem_tEENKUlT_SE_SF_SG_E_clIS8_S8_S9_S9_EESD_ST_SE_SF_SG_EUlST_E_NS1_11comp_targetILNS1_3genE2ELNS1_11target_archE906ELNS1_3gpuE6ELNS1_3repE0EEENS1_48merge_mergepath_partition_config_static_selectorELNS0_4arch9wavefront6targetE1EEEvSF_,"axG",@progbits,_ZN7rocprim17ROCPRIM_400000_NS6detail17trampoline_kernelINS0_14default_configENS1_38merge_sort_block_merge_config_selectorIaNS0_10empty_typeEEEZZNS1_27merge_sort_block_merge_implIS3_PaPS5_jNS1_19radix_merge_compareILb0ELb1EaNS0_19identity_decomposerEEEEE10hipError_tT0_T1_T2_jT3_P12ihipStream_tbPNSt15iterator_traitsISE_E10value_typeEPNSK_ISF_E10value_typeEPSG_NS1_7vsmem_tEENKUlT_SE_SF_SG_E_clIS8_S8_S9_S9_EESD_ST_SE_SF_SG_EUlST_E_NS1_11comp_targetILNS1_3genE2ELNS1_11target_archE906ELNS1_3gpuE6ELNS1_3repE0EEENS1_48merge_mergepath_partition_config_static_selectorELNS0_4arch9wavefront6targetE1EEEvSF_,comdat
.Lfunc_end173:
	.size	_ZN7rocprim17ROCPRIM_400000_NS6detail17trampoline_kernelINS0_14default_configENS1_38merge_sort_block_merge_config_selectorIaNS0_10empty_typeEEEZZNS1_27merge_sort_block_merge_implIS3_PaPS5_jNS1_19radix_merge_compareILb0ELb1EaNS0_19identity_decomposerEEEEE10hipError_tT0_T1_T2_jT3_P12ihipStream_tbPNSt15iterator_traitsISE_E10value_typeEPNSK_ISF_E10value_typeEPSG_NS1_7vsmem_tEENKUlT_SE_SF_SG_E_clIS8_S8_S9_S9_EESD_ST_SE_SF_SG_EUlST_E_NS1_11comp_targetILNS1_3genE2ELNS1_11target_archE906ELNS1_3gpuE6ELNS1_3repE0EEENS1_48merge_mergepath_partition_config_static_selectorELNS0_4arch9wavefront6targetE1EEEvSF_, .Lfunc_end173-_ZN7rocprim17ROCPRIM_400000_NS6detail17trampoline_kernelINS0_14default_configENS1_38merge_sort_block_merge_config_selectorIaNS0_10empty_typeEEEZZNS1_27merge_sort_block_merge_implIS3_PaPS5_jNS1_19radix_merge_compareILb0ELb1EaNS0_19identity_decomposerEEEEE10hipError_tT0_T1_T2_jT3_P12ihipStream_tbPNSt15iterator_traitsISE_E10value_typeEPNSK_ISF_E10value_typeEPSG_NS1_7vsmem_tEENKUlT_SE_SF_SG_E_clIS8_S8_S9_S9_EESD_ST_SE_SF_SG_EUlST_E_NS1_11comp_targetILNS1_3genE2ELNS1_11target_archE906ELNS1_3gpuE6ELNS1_3repE0EEENS1_48merge_mergepath_partition_config_static_selectorELNS0_4arch9wavefront6targetE1EEEvSF_
                                        ; -- End function
	.section	.AMDGPU.csdata,"",@progbits
; Kernel info:
; codeLenInByte = 0
; NumSgprs: 4
; NumVgprs: 0
; NumAgprs: 0
; TotalNumVgprs: 0
; ScratchSize: 0
; MemoryBound: 0
; FloatMode: 240
; IeeeMode: 1
; LDSByteSize: 0 bytes/workgroup (compile time only)
; SGPRBlocks: 0
; VGPRBlocks: 0
; NumSGPRsForWavesPerEU: 4
; NumVGPRsForWavesPerEU: 1
; AccumOffset: 4
; Occupancy: 8
; WaveLimiterHint : 0
; COMPUTE_PGM_RSRC2:SCRATCH_EN: 0
; COMPUTE_PGM_RSRC2:USER_SGPR: 6
; COMPUTE_PGM_RSRC2:TRAP_HANDLER: 0
; COMPUTE_PGM_RSRC2:TGID_X_EN: 1
; COMPUTE_PGM_RSRC2:TGID_Y_EN: 0
; COMPUTE_PGM_RSRC2:TGID_Z_EN: 0
; COMPUTE_PGM_RSRC2:TIDIG_COMP_CNT: 0
; COMPUTE_PGM_RSRC3_GFX90A:ACCUM_OFFSET: 0
; COMPUTE_PGM_RSRC3_GFX90A:TG_SPLIT: 0
	.section	.text._ZN7rocprim17ROCPRIM_400000_NS6detail17trampoline_kernelINS0_14default_configENS1_38merge_sort_block_merge_config_selectorIaNS0_10empty_typeEEEZZNS1_27merge_sort_block_merge_implIS3_PaPS5_jNS1_19radix_merge_compareILb0ELb1EaNS0_19identity_decomposerEEEEE10hipError_tT0_T1_T2_jT3_P12ihipStream_tbPNSt15iterator_traitsISE_E10value_typeEPNSK_ISF_E10value_typeEPSG_NS1_7vsmem_tEENKUlT_SE_SF_SG_E_clIS8_S8_S9_S9_EESD_ST_SE_SF_SG_EUlST_E_NS1_11comp_targetILNS1_3genE9ELNS1_11target_archE1100ELNS1_3gpuE3ELNS1_3repE0EEENS1_48merge_mergepath_partition_config_static_selectorELNS0_4arch9wavefront6targetE1EEEvSF_,"axG",@progbits,_ZN7rocprim17ROCPRIM_400000_NS6detail17trampoline_kernelINS0_14default_configENS1_38merge_sort_block_merge_config_selectorIaNS0_10empty_typeEEEZZNS1_27merge_sort_block_merge_implIS3_PaPS5_jNS1_19radix_merge_compareILb0ELb1EaNS0_19identity_decomposerEEEEE10hipError_tT0_T1_T2_jT3_P12ihipStream_tbPNSt15iterator_traitsISE_E10value_typeEPNSK_ISF_E10value_typeEPSG_NS1_7vsmem_tEENKUlT_SE_SF_SG_E_clIS8_S8_S9_S9_EESD_ST_SE_SF_SG_EUlST_E_NS1_11comp_targetILNS1_3genE9ELNS1_11target_archE1100ELNS1_3gpuE3ELNS1_3repE0EEENS1_48merge_mergepath_partition_config_static_selectorELNS0_4arch9wavefront6targetE1EEEvSF_,comdat
	.protected	_ZN7rocprim17ROCPRIM_400000_NS6detail17trampoline_kernelINS0_14default_configENS1_38merge_sort_block_merge_config_selectorIaNS0_10empty_typeEEEZZNS1_27merge_sort_block_merge_implIS3_PaPS5_jNS1_19radix_merge_compareILb0ELb1EaNS0_19identity_decomposerEEEEE10hipError_tT0_T1_T2_jT3_P12ihipStream_tbPNSt15iterator_traitsISE_E10value_typeEPNSK_ISF_E10value_typeEPSG_NS1_7vsmem_tEENKUlT_SE_SF_SG_E_clIS8_S8_S9_S9_EESD_ST_SE_SF_SG_EUlST_E_NS1_11comp_targetILNS1_3genE9ELNS1_11target_archE1100ELNS1_3gpuE3ELNS1_3repE0EEENS1_48merge_mergepath_partition_config_static_selectorELNS0_4arch9wavefront6targetE1EEEvSF_ ; -- Begin function _ZN7rocprim17ROCPRIM_400000_NS6detail17trampoline_kernelINS0_14default_configENS1_38merge_sort_block_merge_config_selectorIaNS0_10empty_typeEEEZZNS1_27merge_sort_block_merge_implIS3_PaPS5_jNS1_19radix_merge_compareILb0ELb1EaNS0_19identity_decomposerEEEEE10hipError_tT0_T1_T2_jT3_P12ihipStream_tbPNSt15iterator_traitsISE_E10value_typeEPNSK_ISF_E10value_typeEPSG_NS1_7vsmem_tEENKUlT_SE_SF_SG_E_clIS8_S8_S9_S9_EESD_ST_SE_SF_SG_EUlST_E_NS1_11comp_targetILNS1_3genE9ELNS1_11target_archE1100ELNS1_3gpuE3ELNS1_3repE0EEENS1_48merge_mergepath_partition_config_static_selectorELNS0_4arch9wavefront6targetE1EEEvSF_
	.globl	_ZN7rocprim17ROCPRIM_400000_NS6detail17trampoline_kernelINS0_14default_configENS1_38merge_sort_block_merge_config_selectorIaNS0_10empty_typeEEEZZNS1_27merge_sort_block_merge_implIS3_PaPS5_jNS1_19radix_merge_compareILb0ELb1EaNS0_19identity_decomposerEEEEE10hipError_tT0_T1_T2_jT3_P12ihipStream_tbPNSt15iterator_traitsISE_E10value_typeEPNSK_ISF_E10value_typeEPSG_NS1_7vsmem_tEENKUlT_SE_SF_SG_E_clIS8_S8_S9_S9_EESD_ST_SE_SF_SG_EUlST_E_NS1_11comp_targetILNS1_3genE9ELNS1_11target_archE1100ELNS1_3gpuE3ELNS1_3repE0EEENS1_48merge_mergepath_partition_config_static_selectorELNS0_4arch9wavefront6targetE1EEEvSF_
	.p2align	8
	.type	_ZN7rocprim17ROCPRIM_400000_NS6detail17trampoline_kernelINS0_14default_configENS1_38merge_sort_block_merge_config_selectorIaNS0_10empty_typeEEEZZNS1_27merge_sort_block_merge_implIS3_PaPS5_jNS1_19radix_merge_compareILb0ELb1EaNS0_19identity_decomposerEEEEE10hipError_tT0_T1_T2_jT3_P12ihipStream_tbPNSt15iterator_traitsISE_E10value_typeEPNSK_ISF_E10value_typeEPSG_NS1_7vsmem_tEENKUlT_SE_SF_SG_E_clIS8_S8_S9_S9_EESD_ST_SE_SF_SG_EUlST_E_NS1_11comp_targetILNS1_3genE9ELNS1_11target_archE1100ELNS1_3gpuE3ELNS1_3repE0EEENS1_48merge_mergepath_partition_config_static_selectorELNS0_4arch9wavefront6targetE1EEEvSF_,@function
_ZN7rocprim17ROCPRIM_400000_NS6detail17trampoline_kernelINS0_14default_configENS1_38merge_sort_block_merge_config_selectorIaNS0_10empty_typeEEEZZNS1_27merge_sort_block_merge_implIS3_PaPS5_jNS1_19radix_merge_compareILb0ELb1EaNS0_19identity_decomposerEEEEE10hipError_tT0_T1_T2_jT3_P12ihipStream_tbPNSt15iterator_traitsISE_E10value_typeEPNSK_ISF_E10value_typeEPSG_NS1_7vsmem_tEENKUlT_SE_SF_SG_E_clIS8_S8_S9_S9_EESD_ST_SE_SF_SG_EUlST_E_NS1_11comp_targetILNS1_3genE9ELNS1_11target_archE1100ELNS1_3gpuE3ELNS1_3repE0EEENS1_48merge_mergepath_partition_config_static_selectorELNS0_4arch9wavefront6targetE1EEEvSF_: ; @_ZN7rocprim17ROCPRIM_400000_NS6detail17trampoline_kernelINS0_14default_configENS1_38merge_sort_block_merge_config_selectorIaNS0_10empty_typeEEEZZNS1_27merge_sort_block_merge_implIS3_PaPS5_jNS1_19radix_merge_compareILb0ELb1EaNS0_19identity_decomposerEEEEE10hipError_tT0_T1_T2_jT3_P12ihipStream_tbPNSt15iterator_traitsISE_E10value_typeEPNSK_ISF_E10value_typeEPSG_NS1_7vsmem_tEENKUlT_SE_SF_SG_E_clIS8_S8_S9_S9_EESD_ST_SE_SF_SG_EUlST_E_NS1_11comp_targetILNS1_3genE9ELNS1_11target_archE1100ELNS1_3gpuE3ELNS1_3repE0EEENS1_48merge_mergepath_partition_config_static_selectorELNS0_4arch9wavefront6targetE1EEEvSF_
; %bb.0:
	.section	.rodata,"a",@progbits
	.p2align	6, 0x0
	.amdhsa_kernel _ZN7rocprim17ROCPRIM_400000_NS6detail17trampoline_kernelINS0_14default_configENS1_38merge_sort_block_merge_config_selectorIaNS0_10empty_typeEEEZZNS1_27merge_sort_block_merge_implIS3_PaPS5_jNS1_19radix_merge_compareILb0ELb1EaNS0_19identity_decomposerEEEEE10hipError_tT0_T1_T2_jT3_P12ihipStream_tbPNSt15iterator_traitsISE_E10value_typeEPNSK_ISF_E10value_typeEPSG_NS1_7vsmem_tEENKUlT_SE_SF_SG_E_clIS8_S8_S9_S9_EESD_ST_SE_SF_SG_EUlST_E_NS1_11comp_targetILNS1_3genE9ELNS1_11target_archE1100ELNS1_3gpuE3ELNS1_3repE0EEENS1_48merge_mergepath_partition_config_static_selectorELNS0_4arch9wavefront6targetE1EEEvSF_
		.amdhsa_group_segment_fixed_size 0
		.amdhsa_private_segment_fixed_size 0
		.amdhsa_kernarg_size 40
		.amdhsa_user_sgpr_count 6
		.amdhsa_user_sgpr_private_segment_buffer 1
		.amdhsa_user_sgpr_dispatch_ptr 0
		.amdhsa_user_sgpr_queue_ptr 0
		.amdhsa_user_sgpr_kernarg_segment_ptr 1
		.amdhsa_user_sgpr_dispatch_id 0
		.amdhsa_user_sgpr_flat_scratch_init 0
		.amdhsa_user_sgpr_kernarg_preload_length 0
		.amdhsa_user_sgpr_kernarg_preload_offset 0
		.amdhsa_user_sgpr_private_segment_size 0
		.amdhsa_uses_dynamic_stack 0
		.amdhsa_system_sgpr_private_segment_wavefront_offset 0
		.amdhsa_system_sgpr_workgroup_id_x 1
		.amdhsa_system_sgpr_workgroup_id_y 0
		.amdhsa_system_sgpr_workgroup_id_z 0
		.amdhsa_system_sgpr_workgroup_info 0
		.amdhsa_system_vgpr_workitem_id 0
		.amdhsa_next_free_vgpr 1
		.amdhsa_next_free_sgpr 0
		.amdhsa_accum_offset 4
		.amdhsa_reserve_vcc 0
		.amdhsa_reserve_flat_scratch 0
		.amdhsa_float_round_mode_32 0
		.amdhsa_float_round_mode_16_64 0
		.amdhsa_float_denorm_mode_32 3
		.amdhsa_float_denorm_mode_16_64 3
		.amdhsa_dx10_clamp 1
		.amdhsa_ieee_mode 1
		.amdhsa_fp16_overflow 0
		.amdhsa_tg_split 0
		.amdhsa_exception_fp_ieee_invalid_op 0
		.amdhsa_exception_fp_denorm_src 0
		.amdhsa_exception_fp_ieee_div_zero 0
		.amdhsa_exception_fp_ieee_overflow 0
		.amdhsa_exception_fp_ieee_underflow 0
		.amdhsa_exception_fp_ieee_inexact 0
		.amdhsa_exception_int_div_zero 0
	.end_amdhsa_kernel
	.section	.text._ZN7rocprim17ROCPRIM_400000_NS6detail17trampoline_kernelINS0_14default_configENS1_38merge_sort_block_merge_config_selectorIaNS0_10empty_typeEEEZZNS1_27merge_sort_block_merge_implIS3_PaPS5_jNS1_19radix_merge_compareILb0ELb1EaNS0_19identity_decomposerEEEEE10hipError_tT0_T1_T2_jT3_P12ihipStream_tbPNSt15iterator_traitsISE_E10value_typeEPNSK_ISF_E10value_typeEPSG_NS1_7vsmem_tEENKUlT_SE_SF_SG_E_clIS8_S8_S9_S9_EESD_ST_SE_SF_SG_EUlST_E_NS1_11comp_targetILNS1_3genE9ELNS1_11target_archE1100ELNS1_3gpuE3ELNS1_3repE0EEENS1_48merge_mergepath_partition_config_static_selectorELNS0_4arch9wavefront6targetE1EEEvSF_,"axG",@progbits,_ZN7rocprim17ROCPRIM_400000_NS6detail17trampoline_kernelINS0_14default_configENS1_38merge_sort_block_merge_config_selectorIaNS0_10empty_typeEEEZZNS1_27merge_sort_block_merge_implIS3_PaPS5_jNS1_19radix_merge_compareILb0ELb1EaNS0_19identity_decomposerEEEEE10hipError_tT0_T1_T2_jT3_P12ihipStream_tbPNSt15iterator_traitsISE_E10value_typeEPNSK_ISF_E10value_typeEPSG_NS1_7vsmem_tEENKUlT_SE_SF_SG_E_clIS8_S8_S9_S9_EESD_ST_SE_SF_SG_EUlST_E_NS1_11comp_targetILNS1_3genE9ELNS1_11target_archE1100ELNS1_3gpuE3ELNS1_3repE0EEENS1_48merge_mergepath_partition_config_static_selectorELNS0_4arch9wavefront6targetE1EEEvSF_,comdat
.Lfunc_end174:
	.size	_ZN7rocprim17ROCPRIM_400000_NS6detail17trampoline_kernelINS0_14default_configENS1_38merge_sort_block_merge_config_selectorIaNS0_10empty_typeEEEZZNS1_27merge_sort_block_merge_implIS3_PaPS5_jNS1_19radix_merge_compareILb0ELb1EaNS0_19identity_decomposerEEEEE10hipError_tT0_T1_T2_jT3_P12ihipStream_tbPNSt15iterator_traitsISE_E10value_typeEPNSK_ISF_E10value_typeEPSG_NS1_7vsmem_tEENKUlT_SE_SF_SG_E_clIS8_S8_S9_S9_EESD_ST_SE_SF_SG_EUlST_E_NS1_11comp_targetILNS1_3genE9ELNS1_11target_archE1100ELNS1_3gpuE3ELNS1_3repE0EEENS1_48merge_mergepath_partition_config_static_selectorELNS0_4arch9wavefront6targetE1EEEvSF_, .Lfunc_end174-_ZN7rocprim17ROCPRIM_400000_NS6detail17trampoline_kernelINS0_14default_configENS1_38merge_sort_block_merge_config_selectorIaNS0_10empty_typeEEEZZNS1_27merge_sort_block_merge_implIS3_PaPS5_jNS1_19radix_merge_compareILb0ELb1EaNS0_19identity_decomposerEEEEE10hipError_tT0_T1_T2_jT3_P12ihipStream_tbPNSt15iterator_traitsISE_E10value_typeEPNSK_ISF_E10value_typeEPSG_NS1_7vsmem_tEENKUlT_SE_SF_SG_E_clIS8_S8_S9_S9_EESD_ST_SE_SF_SG_EUlST_E_NS1_11comp_targetILNS1_3genE9ELNS1_11target_archE1100ELNS1_3gpuE3ELNS1_3repE0EEENS1_48merge_mergepath_partition_config_static_selectorELNS0_4arch9wavefront6targetE1EEEvSF_
                                        ; -- End function
	.section	.AMDGPU.csdata,"",@progbits
; Kernel info:
; codeLenInByte = 0
; NumSgprs: 4
; NumVgprs: 0
; NumAgprs: 0
; TotalNumVgprs: 0
; ScratchSize: 0
; MemoryBound: 0
; FloatMode: 240
; IeeeMode: 1
; LDSByteSize: 0 bytes/workgroup (compile time only)
; SGPRBlocks: 0
; VGPRBlocks: 0
; NumSGPRsForWavesPerEU: 4
; NumVGPRsForWavesPerEU: 1
; AccumOffset: 4
; Occupancy: 8
; WaveLimiterHint : 0
; COMPUTE_PGM_RSRC2:SCRATCH_EN: 0
; COMPUTE_PGM_RSRC2:USER_SGPR: 6
; COMPUTE_PGM_RSRC2:TRAP_HANDLER: 0
; COMPUTE_PGM_RSRC2:TGID_X_EN: 1
; COMPUTE_PGM_RSRC2:TGID_Y_EN: 0
; COMPUTE_PGM_RSRC2:TGID_Z_EN: 0
; COMPUTE_PGM_RSRC2:TIDIG_COMP_CNT: 0
; COMPUTE_PGM_RSRC3_GFX90A:ACCUM_OFFSET: 0
; COMPUTE_PGM_RSRC3_GFX90A:TG_SPLIT: 0
	.section	.text._ZN7rocprim17ROCPRIM_400000_NS6detail17trampoline_kernelINS0_14default_configENS1_38merge_sort_block_merge_config_selectorIaNS0_10empty_typeEEEZZNS1_27merge_sort_block_merge_implIS3_PaPS5_jNS1_19radix_merge_compareILb0ELb1EaNS0_19identity_decomposerEEEEE10hipError_tT0_T1_T2_jT3_P12ihipStream_tbPNSt15iterator_traitsISE_E10value_typeEPNSK_ISF_E10value_typeEPSG_NS1_7vsmem_tEENKUlT_SE_SF_SG_E_clIS8_S8_S9_S9_EESD_ST_SE_SF_SG_EUlST_E_NS1_11comp_targetILNS1_3genE8ELNS1_11target_archE1030ELNS1_3gpuE2ELNS1_3repE0EEENS1_48merge_mergepath_partition_config_static_selectorELNS0_4arch9wavefront6targetE1EEEvSF_,"axG",@progbits,_ZN7rocprim17ROCPRIM_400000_NS6detail17trampoline_kernelINS0_14default_configENS1_38merge_sort_block_merge_config_selectorIaNS0_10empty_typeEEEZZNS1_27merge_sort_block_merge_implIS3_PaPS5_jNS1_19radix_merge_compareILb0ELb1EaNS0_19identity_decomposerEEEEE10hipError_tT0_T1_T2_jT3_P12ihipStream_tbPNSt15iterator_traitsISE_E10value_typeEPNSK_ISF_E10value_typeEPSG_NS1_7vsmem_tEENKUlT_SE_SF_SG_E_clIS8_S8_S9_S9_EESD_ST_SE_SF_SG_EUlST_E_NS1_11comp_targetILNS1_3genE8ELNS1_11target_archE1030ELNS1_3gpuE2ELNS1_3repE0EEENS1_48merge_mergepath_partition_config_static_selectorELNS0_4arch9wavefront6targetE1EEEvSF_,comdat
	.protected	_ZN7rocprim17ROCPRIM_400000_NS6detail17trampoline_kernelINS0_14default_configENS1_38merge_sort_block_merge_config_selectorIaNS0_10empty_typeEEEZZNS1_27merge_sort_block_merge_implIS3_PaPS5_jNS1_19radix_merge_compareILb0ELb1EaNS0_19identity_decomposerEEEEE10hipError_tT0_T1_T2_jT3_P12ihipStream_tbPNSt15iterator_traitsISE_E10value_typeEPNSK_ISF_E10value_typeEPSG_NS1_7vsmem_tEENKUlT_SE_SF_SG_E_clIS8_S8_S9_S9_EESD_ST_SE_SF_SG_EUlST_E_NS1_11comp_targetILNS1_3genE8ELNS1_11target_archE1030ELNS1_3gpuE2ELNS1_3repE0EEENS1_48merge_mergepath_partition_config_static_selectorELNS0_4arch9wavefront6targetE1EEEvSF_ ; -- Begin function _ZN7rocprim17ROCPRIM_400000_NS6detail17trampoline_kernelINS0_14default_configENS1_38merge_sort_block_merge_config_selectorIaNS0_10empty_typeEEEZZNS1_27merge_sort_block_merge_implIS3_PaPS5_jNS1_19radix_merge_compareILb0ELb1EaNS0_19identity_decomposerEEEEE10hipError_tT0_T1_T2_jT3_P12ihipStream_tbPNSt15iterator_traitsISE_E10value_typeEPNSK_ISF_E10value_typeEPSG_NS1_7vsmem_tEENKUlT_SE_SF_SG_E_clIS8_S8_S9_S9_EESD_ST_SE_SF_SG_EUlST_E_NS1_11comp_targetILNS1_3genE8ELNS1_11target_archE1030ELNS1_3gpuE2ELNS1_3repE0EEENS1_48merge_mergepath_partition_config_static_selectorELNS0_4arch9wavefront6targetE1EEEvSF_
	.globl	_ZN7rocprim17ROCPRIM_400000_NS6detail17trampoline_kernelINS0_14default_configENS1_38merge_sort_block_merge_config_selectorIaNS0_10empty_typeEEEZZNS1_27merge_sort_block_merge_implIS3_PaPS5_jNS1_19radix_merge_compareILb0ELb1EaNS0_19identity_decomposerEEEEE10hipError_tT0_T1_T2_jT3_P12ihipStream_tbPNSt15iterator_traitsISE_E10value_typeEPNSK_ISF_E10value_typeEPSG_NS1_7vsmem_tEENKUlT_SE_SF_SG_E_clIS8_S8_S9_S9_EESD_ST_SE_SF_SG_EUlST_E_NS1_11comp_targetILNS1_3genE8ELNS1_11target_archE1030ELNS1_3gpuE2ELNS1_3repE0EEENS1_48merge_mergepath_partition_config_static_selectorELNS0_4arch9wavefront6targetE1EEEvSF_
	.p2align	8
	.type	_ZN7rocprim17ROCPRIM_400000_NS6detail17trampoline_kernelINS0_14default_configENS1_38merge_sort_block_merge_config_selectorIaNS0_10empty_typeEEEZZNS1_27merge_sort_block_merge_implIS3_PaPS5_jNS1_19radix_merge_compareILb0ELb1EaNS0_19identity_decomposerEEEEE10hipError_tT0_T1_T2_jT3_P12ihipStream_tbPNSt15iterator_traitsISE_E10value_typeEPNSK_ISF_E10value_typeEPSG_NS1_7vsmem_tEENKUlT_SE_SF_SG_E_clIS8_S8_S9_S9_EESD_ST_SE_SF_SG_EUlST_E_NS1_11comp_targetILNS1_3genE8ELNS1_11target_archE1030ELNS1_3gpuE2ELNS1_3repE0EEENS1_48merge_mergepath_partition_config_static_selectorELNS0_4arch9wavefront6targetE1EEEvSF_,@function
_ZN7rocprim17ROCPRIM_400000_NS6detail17trampoline_kernelINS0_14default_configENS1_38merge_sort_block_merge_config_selectorIaNS0_10empty_typeEEEZZNS1_27merge_sort_block_merge_implIS3_PaPS5_jNS1_19radix_merge_compareILb0ELb1EaNS0_19identity_decomposerEEEEE10hipError_tT0_T1_T2_jT3_P12ihipStream_tbPNSt15iterator_traitsISE_E10value_typeEPNSK_ISF_E10value_typeEPSG_NS1_7vsmem_tEENKUlT_SE_SF_SG_E_clIS8_S8_S9_S9_EESD_ST_SE_SF_SG_EUlST_E_NS1_11comp_targetILNS1_3genE8ELNS1_11target_archE1030ELNS1_3gpuE2ELNS1_3repE0EEENS1_48merge_mergepath_partition_config_static_selectorELNS0_4arch9wavefront6targetE1EEEvSF_: ; @_ZN7rocprim17ROCPRIM_400000_NS6detail17trampoline_kernelINS0_14default_configENS1_38merge_sort_block_merge_config_selectorIaNS0_10empty_typeEEEZZNS1_27merge_sort_block_merge_implIS3_PaPS5_jNS1_19radix_merge_compareILb0ELb1EaNS0_19identity_decomposerEEEEE10hipError_tT0_T1_T2_jT3_P12ihipStream_tbPNSt15iterator_traitsISE_E10value_typeEPNSK_ISF_E10value_typeEPSG_NS1_7vsmem_tEENKUlT_SE_SF_SG_E_clIS8_S8_S9_S9_EESD_ST_SE_SF_SG_EUlST_E_NS1_11comp_targetILNS1_3genE8ELNS1_11target_archE1030ELNS1_3gpuE2ELNS1_3repE0EEENS1_48merge_mergepath_partition_config_static_selectorELNS0_4arch9wavefront6targetE1EEEvSF_
; %bb.0:
	.section	.rodata,"a",@progbits
	.p2align	6, 0x0
	.amdhsa_kernel _ZN7rocprim17ROCPRIM_400000_NS6detail17trampoline_kernelINS0_14default_configENS1_38merge_sort_block_merge_config_selectorIaNS0_10empty_typeEEEZZNS1_27merge_sort_block_merge_implIS3_PaPS5_jNS1_19radix_merge_compareILb0ELb1EaNS0_19identity_decomposerEEEEE10hipError_tT0_T1_T2_jT3_P12ihipStream_tbPNSt15iterator_traitsISE_E10value_typeEPNSK_ISF_E10value_typeEPSG_NS1_7vsmem_tEENKUlT_SE_SF_SG_E_clIS8_S8_S9_S9_EESD_ST_SE_SF_SG_EUlST_E_NS1_11comp_targetILNS1_3genE8ELNS1_11target_archE1030ELNS1_3gpuE2ELNS1_3repE0EEENS1_48merge_mergepath_partition_config_static_selectorELNS0_4arch9wavefront6targetE1EEEvSF_
		.amdhsa_group_segment_fixed_size 0
		.amdhsa_private_segment_fixed_size 0
		.amdhsa_kernarg_size 40
		.amdhsa_user_sgpr_count 6
		.amdhsa_user_sgpr_private_segment_buffer 1
		.amdhsa_user_sgpr_dispatch_ptr 0
		.amdhsa_user_sgpr_queue_ptr 0
		.amdhsa_user_sgpr_kernarg_segment_ptr 1
		.amdhsa_user_sgpr_dispatch_id 0
		.amdhsa_user_sgpr_flat_scratch_init 0
		.amdhsa_user_sgpr_kernarg_preload_length 0
		.amdhsa_user_sgpr_kernarg_preload_offset 0
		.amdhsa_user_sgpr_private_segment_size 0
		.amdhsa_uses_dynamic_stack 0
		.amdhsa_system_sgpr_private_segment_wavefront_offset 0
		.amdhsa_system_sgpr_workgroup_id_x 1
		.amdhsa_system_sgpr_workgroup_id_y 0
		.amdhsa_system_sgpr_workgroup_id_z 0
		.amdhsa_system_sgpr_workgroup_info 0
		.amdhsa_system_vgpr_workitem_id 0
		.amdhsa_next_free_vgpr 1
		.amdhsa_next_free_sgpr 0
		.amdhsa_accum_offset 4
		.amdhsa_reserve_vcc 0
		.amdhsa_reserve_flat_scratch 0
		.amdhsa_float_round_mode_32 0
		.amdhsa_float_round_mode_16_64 0
		.amdhsa_float_denorm_mode_32 3
		.amdhsa_float_denorm_mode_16_64 3
		.amdhsa_dx10_clamp 1
		.amdhsa_ieee_mode 1
		.amdhsa_fp16_overflow 0
		.amdhsa_tg_split 0
		.amdhsa_exception_fp_ieee_invalid_op 0
		.amdhsa_exception_fp_denorm_src 0
		.amdhsa_exception_fp_ieee_div_zero 0
		.amdhsa_exception_fp_ieee_overflow 0
		.amdhsa_exception_fp_ieee_underflow 0
		.amdhsa_exception_fp_ieee_inexact 0
		.amdhsa_exception_int_div_zero 0
	.end_amdhsa_kernel
	.section	.text._ZN7rocprim17ROCPRIM_400000_NS6detail17trampoline_kernelINS0_14default_configENS1_38merge_sort_block_merge_config_selectorIaNS0_10empty_typeEEEZZNS1_27merge_sort_block_merge_implIS3_PaPS5_jNS1_19radix_merge_compareILb0ELb1EaNS0_19identity_decomposerEEEEE10hipError_tT0_T1_T2_jT3_P12ihipStream_tbPNSt15iterator_traitsISE_E10value_typeEPNSK_ISF_E10value_typeEPSG_NS1_7vsmem_tEENKUlT_SE_SF_SG_E_clIS8_S8_S9_S9_EESD_ST_SE_SF_SG_EUlST_E_NS1_11comp_targetILNS1_3genE8ELNS1_11target_archE1030ELNS1_3gpuE2ELNS1_3repE0EEENS1_48merge_mergepath_partition_config_static_selectorELNS0_4arch9wavefront6targetE1EEEvSF_,"axG",@progbits,_ZN7rocprim17ROCPRIM_400000_NS6detail17trampoline_kernelINS0_14default_configENS1_38merge_sort_block_merge_config_selectorIaNS0_10empty_typeEEEZZNS1_27merge_sort_block_merge_implIS3_PaPS5_jNS1_19radix_merge_compareILb0ELb1EaNS0_19identity_decomposerEEEEE10hipError_tT0_T1_T2_jT3_P12ihipStream_tbPNSt15iterator_traitsISE_E10value_typeEPNSK_ISF_E10value_typeEPSG_NS1_7vsmem_tEENKUlT_SE_SF_SG_E_clIS8_S8_S9_S9_EESD_ST_SE_SF_SG_EUlST_E_NS1_11comp_targetILNS1_3genE8ELNS1_11target_archE1030ELNS1_3gpuE2ELNS1_3repE0EEENS1_48merge_mergepath_partition_config_static_selectorELNS0_4arch9wavefront6targetE1EEEvSF_,comdat
.Lfunc_end175:
	.size	_ZN7rocprim17ROCPRIM_400000_NS6detail17trampoline_kernelINS0_14default_configENS1_38merge_sort_block_merge_config_selectorIaNS0_10empty_typeEEEZZNS1_27merge_sort_block_merge_implIS3_PaPS5_jNS1_19radix_merge_compareILb0ELb1EaNS0_19identity_decomposerEEEEE10hipError_tT0_T1_T2_jT3_P12ihipStream_tbPNSt15iterator_traitsISE_E10value_typeEPNSK_ISF_E10value_typeEPSG_NS1_7vsmem_tEENKUlT_SE_SF_SG_E_clIS8_S8_S9_S9_EESD_ST_SE_SF_SG_EUlST_E_NS1_11comp_targetILNS1_3genE8ELNS1_11target_archE1030ELNS1_3gpuE2ELNS1_3repE0EEENS1_48merge_mergepath_partition_config_static_selectorELNS0_4arch9wavefront6targetE1EEEvSF_, .Lfunc_end175-_ZN7rocprim17ROCPRIM_400000_NS6detail17trampoline_kernelINS0_14default_configENS1_38merge_sort_block_merge_config_selectorIaNS0_10empty_typeEEEZZNS1_27merge_sort_block_merge_implIS3_PaPS5_jNS1_19radix_merge_compareILb0ELb1EaNS0_19identity_decomposerEEEEE10hipError_tT0_T1_T2_jT3_P12ihipStream_tbPNSt15iterator_traitsISE_E10value_typeEPNSK_ISF_E10value_typeEPSG_NS1_7vsmem_tEENKUlT_SE_SF_SG_E_clIS8_S8_S9_S9_EESD_ST_SE_SF_SG_EUlST_E_NS1_11comp_targetILNS1_3genE8ELNS1_11target_archE1030ELNS1_3gpuE2ELNS1_3repE0EEENS1_48merge_mergepath_partition_config_static_selectorELNS0_4arch9wavefront6targetE1EEEvSF_
                                        ; -- End function
	.section	.AMDGPU.csdata,"",@progbits
; Kernel info:
; codeLenInByte = 0
; NumSgprs: 4
; NumVgprs: 0
; NumAgprs: 0
; TotalNumVgprs: 0
; ScratchSize: 0
; MemoryBound: 0
; FloatMode: 240
; IeeeMode: 1
; LDSByteSize: 0 bytes/workgroup (compile time only)
; SGPRBlocks: 0
; VGPRBlocks: 0
; NumSGPRsForWavesPerEU: 4
; NumVGPRsForWavesPerEU: 1
; AccumOffset: 4
; Occupancy: 8
; WaveLimiterHint : 0
; COMPUTE_PGM_RSRC2:SCRATCH_EN: 0
; COMPUTE_PGM_RSRC2:USER_SGPR: 6
; COMPUTE_PGM_RSRC2:TRAP_HANDLER: 0
; COMPUTE_PGM_RSRC2:TGID_X_EN: 1
; COMPUTE_PGM_RSRC2:TGID_Y_EN: 0
; COMPUTE_PGM_RSRC2:TGID_Z_EN: 0
; COMPUTE_PGM_RSRC2:TIDIG_COMP_CNT: 0
; COMPUTE_PGM_RSRC3_GFX90A:ACCUM_OFFSET: 0
; COMPUTE_PGM_RSRC3_GFX90A:TG_SPLIT: 0
	.section	.text._ZN7rocprim17ROCPRIM_400000_NS6detail17trampoline_kernelINS0_14default_configENS1_38merge_sort_block_merge_config_selectorIaNS0_10empty_typeEEEZZNS1_27merge_sort_block_merge_implIS3_PaPS5_jNS1_19radix_merge_compareILb0ELb1EaNS0_19identity_decomposerEEEEE10hipError_tT0_T1_T2_jT3_P12ihipStream_tbPNSt15iterator_traitsISE_E10value_typeEPNSK_ISF_E10value_typeEPSG_NS1_7vsmem_tEENKUlT_SE_SF_SG_E_clIS8_S8_S9_S9_EESD_ST_SE_SF_SG_EUlST_E0_NS1_11comp_targetILNS1_3genE0ELNS1_11target_archE4294967295ELNS1_3gpuE0ELNS1_3repE0EEENS1_38merge_mergepath_config_static_selectorELNS0_4arch9wavefront6targetE1EEEvSF_,"axG",@progbits,_ZN7rocprim17ROCPRIM_400000_NS6detail17trampoline_kernelINS0_14default_configENS1_38merge_sort_block_merge_config_selectorIaNS0_10empty_typeEEEZZNS1_27merge_sort_block_merge_implIS3_PaPS5_jNS1_19radix_merge_compareILb0ELb1EaNS0_19identity_decomposerEEEEE10hipError_tT0_T1_T2_jT3_P12ihipStream_tbPNSt15iterator_traitsISE_E10value_typeEPNSK_ISF_E10value_typeEPSG_NS1_7vsmem_tEENKUlT_SE_SF_SG_E_clIS8_S8_S9_S9_EESD_ST_SE_SF_SG_EUlST_E0_NS1_11comp_targetILNS1_3genE0ELNS1_11target_archE4294967295ELNS1_3gpuE0ELNS1_3repE0EEENS1_38merge_mergepath_config_static_selectorELNS0_4arch9wavefront6targetE1EEEvSF_,comdat
	.protected	_ZN7rocprim17ROCPRIM_400000_NS6detail17trampoline_kernelINS0_14default_configENS1_38merge_sort_block_merge_config_selectorIaNS0_10empty_typeEEEZZNS1_27merge_sort_block_merge_implIS3_PaPS5_jNS1_19radix_merge_compareILb0ELb1EaNS0_19identity_decomposerEEEEE10hipError_tT0_T1_T2_jT3_P12ihipStream_tbPNSt15iterator_traitsISE_E10value_typeEPNSK_ISF_E10value_typeEPSG_NS1_7vsmem_tEENKUlT_SE_SF_SG_E_clIS8_S8_S9_S9_EESD_ST_SE_SF_SG_EUlST_E0_NS1_11comp_targetILNS1_3genE0ELNS1_11target_archE4294967295ELNS1_3gpuE0ELNS1_3repE0EEENS1_38merge_mergepath_config_static_selectorELNS0_4arch9wavefront6targetE1EEEvSF_ ; -- Begin function _ZN7rocprim17ROCPRIM_400000_NS6detail17trampoline_kernelINS0_14default_configENS1_38merge_sort_block_merge_config_selectorIaNS0_10empty_typeEEEZZNS1_27merge_sort_block_merge_implIS3_PaPS5_jNS1_19radix_merge_compareILb0ELb1EaNS0_19identity_decomposerEEEEE10hipError_tT0_T1_T2_jT3_P12ihipStream_tbPNSt15iterator_traitsISE_E10value_typeEPNSK_ISF_E10value_typeEPSG_NS1_7vsmem_tEENKUlT_SE_SF_SG_E_clIS8_S8_S9_S9_EESD_ST_SE_SF_SG_EUlST_E0_NS1_11comp_targetILNS1_3genE0ELNS1_11target_archE4294967295ELNS1_3gpuE0ELNS1_3repE0EEENS1_38merge_mergepath_config_static_selectorELNS0_4arch9wavefront6targetE1EEEvSF_
	.globl	_ZN7rocprim17ROCPRIM_400000_NS6detail17trampoline_kernelINS0_14default_configENS1_38merge_sort_block_merge_config_selectorIaNS0_10empty_typeEEEZZNS1_27merge_sort_block_merge_implIS3_PaPS5_jNS1_19radix_merge_compareILb0ELb1EaNS0_19identity_decomposerEEEEE10hipError_tT0_T1_T2_jT3_P12ihipStream_tbPNSt15iterator_traitsISE_E10value_typeEPNSK_ISF_E10value_typeEPSG_NS1_7vsmem_tEENKUlT_SE_SF_SG_E_clIS8_S8_S9_S9_EESD_ST_SE_SF_SG_EUlST_E0_NS1_11comp_targetILNS1_3genE0ELNS1_11target_archE4294967295ELNS1_3gpuE0ELNS1_3repE0EEENS1_38merge_mergepath_config_static_selectorELNS0_4arch9wavefront6targetE1EEEvSF_
	.p2align	8
	.type	_ZN7rocprim17ROCPRIM_400000_NS6detail17trampoline_kernelINS0_14default_configENS1_38merge_sort_block_merge_config_selectorIaNS0_10empty_typeEEEZZNS1_27merge_sort_block_merge_implIS3_PaPS5_jNS1_19radix_merge_compareILb0ELb1EaNS0_19identity_decomposerEEEEE10hipError_tT0_T1_T2_jT3_P12ihipStream_tbPNSt15iterator_traitsISE_E10value_typeEPNSK_ISF_E10value_typeEPSG_NS1_7vsmem_tEENKUlT_SE_SF_SG_E_clIS8_S8_S9_S9_EESD_ST_SE_SF_SG_EUlST_E0_NS1_11comp_targetILNS1_3genE0ELNS1_11target_archE4294967295ELNS1_3gpuE0ELNS1_3repE0EEENS1_38merge_mergepath_config_static_selectorELNS0_4arch9wavefront6targetE1EEEvSF_,@function
_ZN7rocprim17ROCPRIM_400000_NS6detail17trampoline_kernelINS0_14default_configENS1_38merge_sort_block_merge_config_selectorIaNS0_10empty_typeEEEZZNS1_27merge_sort_block_merge_implIS3_PaPS5_jNS1_19radix_merge_compareILb0ELb1EaNS0_19identity_decomposerEEEEE10hipError_tT0_T1_T2_jT3_P12ihipStream_tbPNSt15iterator_traitsISE_E10value_typeEPNSK_ISF_E10value_typeEPSG_NS1_7vsmem_tEENKUlT_SE_SF_SG_E_clIS8_S8_S9_S9_EESD_ST_SE_SF_SG_EUlST_E0_NS1_11comp_targetILNS1_3genE0ELNS1_11target_archE4294967295ELNS1_3gpuE0ELNS1_3repE0EEENS1_38merge_mergepath_config_static_selectorELNS0_4arch9wavefront6targetE1EEEvSF_: ; @_ZN7rocprim17ROCPRIM_400000_NS6detail17trampoline_kernelINS0_14default_configENS1_38merge_sort_block_merge_config_selectorIaNS0_10empty_typeEEEZZNS1_27merge_sort_block_merge_implIS3_PaPS5_jNS1_19radix_merge_compareILb0ELb1EaNS0_19identity_decomposerEEEEE10hipError_tT0_T1_T2_jT3_P12ihipStream_tbPNSt15iterator_traitsISE_E10value_typeEPNSK_ISF_E10value_typeEPSG_NS1_7vsmem_tEENKUlT_SE_SF_SG_E_clIS8_S8_S9_S9_EESD_ST_SE_SF_SG_EUlST_E0_NS1_11comp_targetILNS1_3genE0ELNS1_11target_archE4294967295ELNS1_3gpuE0ELNS1_3repE0EEENS1_38merge_mergepath_config_static_selectorELNS0_4arch9wavefront6targetE1EEEvSF_
; %bb.0:
	.section	.rodata,"a",@progbits
	.p2align	6, 0x0
	.amdhsa_kernel _ZN7rocprim17ROCPRIM_400000_NS6detail17trampoline_kernelINS0_14default_configENS1_38merge_sort_block_merge_config_selectorIaNS0_10empty_typeEEEZZNS1_27merge_sort_block_merge_implIS3_PaPS5_jNS1_19radix_merge_compareILb0ELb1EaNS0_19identity_decomposerEEEEE10hipError_tT0_T1_T2_jT3_P12ihipStream_tbPNSt15iterator_traitsISE_E10value_typeEPNSK_ISF_E10value_typeEPSG_NS1_7vsmem_tEENKUlT_SE_SF_SG_E_clIS8_S8_S9_S9_EESD_ST_SE_SF_SG_EUlST_E0_NS1_11comp_targetILNS1_3genE0ELNS1_11target_archE4294967295ELNS1_3gpuE0ELNS1_3repE0EEENS1_38merge_mergepath_config_static_selectorELNS0_4arch9wavefront6targetE1EEEvSF_
		.amdhsa_group_segment_fixed_size 0
		.amdhsa_private_segment_fixed_size 0
		.amdhsa_kernarg_size 64
		.amdhsa_user_sgpr_count 6
		.amdhsa_user_sgpr_private_segment_buffer 1
		.amdhsa_user_sgpr_dispatch_ptr 0
		.amdhsa_user_sgpr_queue_ptr 0
		.amdhsa_user_sgpr_kernarg_segment_ptr 1
		.amdhsa_user_sgpr_dispatch_id 0
		.amdhsa_user_sgpr_flat_scratch_init 0
		.amdhsa_user_sgpr_kernarg_preload_length 0
		.amdhsa_user_sgpr_kernarg_preload_offset 0
		.amdhsa_user_sgpr_private_segment_size 0
		.amdhsa_uses_dynamic_stack 0
		.amdhsa_system_sgpr_private_segment_wavefront_offset 0
		.amdhsa_system_sgpr_workgroup_id_x 1
		.amdhsa_system_sgpr_workgroup_id_y 0
		.amdhsa_system_sgpr_workgroup_id_z 0
		.amdhsa_system_sgpr_workgroup_info 0
		.amdhsa_system_vgpr_workitem_id 0
		.amdhsa_next_free_vgpr 1
		.amdhsa_next_free_sgpr 0
		.amdhsa_accum_offset 4
		.amdhsa_reserve_vcc 0
		.amdhsa_reserve_flat_scratch 0
		.amdhsa_float_round_mode_32 0
		.amdhsa_float_round_mode_16_64 0
		.amdhsa_float_denorm_mode_32 3
		.amdhsa_float_denorm_mode_16_64 3
		.amdhsa_dx10_clamp 1
		.amdhsa_ieee_mode 1
		.amdhsa_fp16_overflow 0
		.amdhsa_tg_split 0
		.amdhsa_exception_fp_ieee_invalid_op 0
		.amdhsa_exception_fp_denorm_src 0
		.amdhsa_exception_fp_ieee_div_zero 0
		.amdhsa_exception_fp_ieee_overflow 0
		.amdhsa_exception_fp_ieee_underflow 0
		.amdhsa_exception_fp_ieee_inexact 0
		.amdhsa_exception_int_div_zero 0
	.end_amdhsa_kernel
	.section	.text._ZN7rocprim17ROCPRIM_400000_NS6detail17trampoline_kernelINS0_14default_configENS1_38merge_sort_block_merge_config_selectorIaNS0_10empty_typeEEEZZNS1_27merge_sort_block_merge_implIS3_PaPS5_jNS1_19radix_merge_compareILb0ELb1EaNS0_19identity_decomposerEEEEE10hipError_tT0_T1_T2_jT3_P12ihipStream_tbPNSt15iterator_traitsISE_E10value_typeEPNSK_ISF_E10value_typeEPSG_NS1_7vsmem_tEENKUlT_SE_SF_SG_E_clIS8_S8_S9_S9_EESD_ST_SE_SF_SG_EUlST_E0_NS1_11comp_targetILNS1_3genE0ELNS1_11target_archE4294967295ELNS1_3gpuE0ELNS1_3repE0EEENS1_38merge_mergepath_config_static_selectorELNS0_4arch9wavefront6targetE1EEEvSF_,"axG",@progbits,_ZN7rocprim17ROCPRIM_400000_NS6detail17trampoline_kernelINS0_14default_configENS1_38merge_sort_block_merge_config_selectorIaNS0_10empty_typeEEEZZNS1_27merge_sort_block_merge_implIS3_PaPS5_jNS1_19radix_merge_compareILb0ELb1EaNS0_19identity_decomposerEEEEE10hipError_tT0_T1_T2_jT3_P12ihipStream_tbPNSt15iterator_traitsISE_E10value_typeEPNSK_ISF_E10value_typeEPSG_NS1_7vsmem_tEENKUlT_SE_SF_SG_E_clIS8_S8_S9_S9_EESD_ST_SE_SF_SG_EUlST_E0_NS1_11comp_targetILNS1_3genE0ELNS1_11target_archE4294967295ELNS1_3gpuE0ELNS1_3repE0EEENS1_38merge_mergepath_config_static_selectorELNS0_4arch9wavefront6targetE1EEEvSF_,comdat
.Lfunc_end176:
	.size	_ZN7rocprim17ROCPRIM_400000_NS6detail17trampoline_kernelINS0_14default_configENS1_38merge_sort_block_merge_config_selectorIaNS0_10empty_typeEEEZZNS1_27merge_sort_block_merge_implIS3_PaPS5_jNS1_19radix_merge_compareILb0ELb1EaNS0_19identity_decomposerEEEEE10hipError_tT0_T1_T2_jT3_P12ihipStream_tbPNSt15iterator_traitsISE_E10value_typeEPNSK_ISF_E10value_typeEPSG_NS1_7vsmem_tEENKUlT_SE_SF_SG_E_clIS8_S8_S9_S9_EESD_ST_SE_SF_SG_EUlST_E0_NS1_11comp_targetILNS1_3genE0ELNS1_11target_archE4294967295ELNS1_3gpuE0ELNS1_3repE0EEENS1_38merge_mergepath_config_static_selectorELNS0_4arch9wavefront6targetE1EEEvSF_, .Lfunc_end176-_ZN7rocprim17ROCPRIM_400000_NS6detail17trampoline_kernelINS0_14default_configENS1_38merge_sort_block_merge_config_selectorIaNS0_10empty_typeEEEZZNS1_27merge_sort_block_merge_implIS3_PaPS5_jNS1_19radix_merge_compareILb0ELb1EaNS0_19identity_decomposerEEEEE10hipError_tT0_T1_T2_jT3_P12ihipStream_tbPNSt15iterator_traitsISE_E10value_typeEPNSK_ISF_E10value_typeEPSG_NS1_7vsmem_tEENKUlT_SE_SF_SG_E_clIS8_S8_S9_S9_EESD_ST_SE_SF_SG_EUlST_E0_NS1_11comp_targetILNS1_3genE0ELNS1_11target_archE4294967295ELNS1_3gpuE0ELNS1_3repE0EEENS1_38merge_mergepath_config_static_selectorELNS0_4arch9wavefront6targetE1EEEvSF_
                                        ; -- End function
	.section	.AMDGPU.csdata,"",@progbits
; Kernel info:
; codeLenInByte = 0
; NumSgprs: 4
; NumVgprs: 0
; NumAgprs: 0
; TotalNumVgprs: 0
; ScratchSize: 0
; MemoryBound: 0
; FloatMode: 240
; IeeeMode: 1
; LDSByteSize: 0 bytes/workgroup (compile time only)
; SGPRBlocks: 0
; VGPRBlocks: 0
; NumSGPRsForWavesPerEU: 4
; NumVGPRsForWavesPerEU: 1
; AccumOffset: 4
; Occupancy: 8
; WaveLimiterHint : 0
; COMPUTE_PGM_RSRC2:SCRATCH_EN: 0
; COMPUTE_PGM_RSRC2:USER_SGPR: 6
; COMPUTE_PGM_RSRC2:TRAP_HANDLER: 0
; COMPUTE_PGM_RSRC2:TGID_X_EN: 1
; COMPUTE_PGM_RSRC2:TGID_Y_EN: 0
; COMPUTE_PGM_RSRC2:TGID_Z_EN: 0
; COMPUTE_PGM_RSRC2:TIDIG_COMP_CNT: 0
; COMPUTE_PGM_RSRC3_GFX90A:ACCUM_OFFSET: 0
; COMPUTE_PGM_RSRC3_GFX90A:TG_SPLIT: 0
	.section	.text._ZN7rocprim17ROCPRIM_400000_NS6detail17trampoline_kernelINS0_14default_configENS1_38merge_sort_block_merge_config_selectorIaNS0_10empty_typeEEEZZNS1_27merge_sort_block_merge_implIS3_PaPS5_jNS1_19radix_merge_compareILb0ELb1EaNS0_19identity_decomposerEEEEE10hipError_tT0_T1_T2_jT3_P12ihipStream_tbPNSt15iterator_traitsISE_E10value_typeEPNSK_ISF_E10value_typeEPSG_NS1_7vsmem_tEENKUlT_SE_SF_SG_E_clIS8_S8_S9_S9_EESD_ST_SE_SF_SG_EUlST_E0_NS1_11comp_targetILNS1_3genE10ELNS1_11target_archE1201ELNS1_3gpuE5ELNS1_3repE0EEENS1_38merge_mergepath_config_static_selectorELNS0_4arch9wavefront6targetE1EEEvSF_,"axG",@progbits,_ZN7rocprim17ROCPRIM_400000_NS6detail17trampoline_kernelINS0_14default_configENS1_38merge_sort_block_merge_config_selectorIaNS0_10empty_typeEEEZZNS1_27merge_sort_block_merge_implIS3_PaPS5_jNS1_19radix_merge_compareILb0ELb1EaNS0_19identity_decomposerEEEEE10hipError_tT0_T1_T2_jT3_P12ihipStream_tbPNSt15iterator_traitsISE_E10value_typeEPNSK_ISF_E10value_typeEPSG_NS1_7vsmem_tEENKUlT_SE_SF_SG_E_clIS8_S8_S9_S9_EESD_ST_SE_SF_SG_EUlST_E0_NS1_11comp_targetILNS1_3genE10ELNS1_11target_archE1201ELNS1_3gpuE5ELNS1_3repE0EEENS1_38merge_mergepath_config_static_selectorELNS0_4arch9wavefront6targetE1EEEvSF_,comdat
	.protected	_ZN7rocprim17ROCPRIM_400000_NS6detail17trampoline_kernelINS0_14default_configENS1_38merge_sort_block_merge_config_selectorIaNS0_10empty_typeEEEZZNS1_27merge_sort_block_merge_implIS3_PaPS5_jNS1_19radix_merge_compareILb0ELb1EaNS0_19identity_decomposerEEEEE10hipError_tT0_T1_T2_jT3_P12ihipStream_tbPNSt15iterator_traitsISE_E10value_typeEPNSK_ISF_E10value_typeEPSG_NS1_7vsmem_tEENKUlT_SE_SF_SG_E_clIS8_S8_S9_S9_EESD_ST_SE_SF_SG_EUlST_E0_NS1_11comp_targetILNS1_3genE10ELNS1_11target_archE1201ELNS1_3gpuE5ELNS1_3repE0EEENS1_38merge_mergepath_config_static_selectorELNS0_4arch9wavefront6targetE1EEEvSF_ ; -- Begin function _ZN7rocprim17ROCPRIM_400000_NS6detail17trampoline_kernelINS0_14default_configENS1_38merge_sort_block_merge_config_selectorIaNS0_10empty_typeEEEZZNS1_27merge_sort_block_merge_implIS3_PaPS5_jNS1_19radix_merge_compareILb0ELb1EaNS0_19identity_decomposerEEEEE10hipError_tT0_T1_T2_jT3_P12ihipStream_tbPNSt15iterator_traitsISE_E10value_typeEPNSK_ISF_E10value_typeEPSG_NS1_7vsmem_tEENKUlT_SE_SF_SG_E_clIS8_S8_S9_S9_EESD_ST_SE_SF_SG_EUlST_E0_NS1_11comp_targetILNS1_3genE10ELNS1_11target_archE1201ELNS1_3gpuE5ELNS1_3repE0EEENS1_38merge_mergepath_config_static_selectorELNS0_4arch9wavefront6targetE1EEEvSF_
	.globl	_ZN7rocprim17ROCPRIM_400000_NS6detail17trampoline_kernelINS0_14default_configENS1_38merge_sort_block_merge_config_selectorIaNS0_10empty_typeEEEZZNS1_27merge_sort_block_merge_implIS3_PaPS5_jNS1_19radix_merge_compareILb0ELb1EaNS0_19identity_decomposerEEEEE10hipError_tT0_T1_T2_jT3_P12ihipStream_tbPNSt15iterator_traitsISE_E10value_typeEPNSK_ISF_E10value_typeEPSG_NS1_7vsmem_tEENKUlT_SE_SF_SG_E_clIS8_S8_S9_S9_EESD_ST_SE_SF_SG_EUlST_E0_NS1_11comp_targetILNS1_3genE10ELNS1_11target_archE1201ELNS1_3gpuE5ELNS1_3repE0EEENS1_38merge_mergepath_config_static_selectorELNS0_4arch9wavefront6targetE1EEEvSF_
	.p2align	8
	.type	_ZN7rocprim17ROCPRIM_400000_NS6detail17trampoline_kernelINS0_14default_configENS1_38merge_sort_block_merge_config_selectorIaNS0_10empty_typeEEEZZNS1_27merge_sort_block_merge_implIS3_PaPS5_jNS1_19radix_merge_compareILb0ELb1EaNS0_19identity_decomposerEEEEE10hipError_tT0_T1_T2_jT3_P12ihipStream_tbPNSt15iterator_traitsISE_E10value_typeEPNSK_ISF_E10value_typeEPSG_NS1_7vsmem_tEENKUlT_SE_SF_SG_E_clIS8_S8_S9_S9_EESD_ST_SE_SF_SG_EUlST_E0_NS1_11comp_targetILNS1_3genE10ELNS1_11target_archE1201ELNS1_3gpuE5ELNS1_3repE0EEENS1_38merge_mergepath_config_static_selectorELNS0_4arch9wavefront6targetE1EEEvSF_,@function
_ZN7rocprim17ROCPRIM_400000_NS6detail17trampoline_kernelINS0_14default_configENS1_38merge_sort_block_merge_config_selectorIaNS0_10empty_typeEEEZZNS1_27merge_sort_block_merge_implIS3_PaPS5_jNS1_19radix_merge_compareILb0ELb1EaNS0_19identity_decomposerEEEEE10hipError_tT0_T1_T2_jT3_P12ihipStream_tbPNSt15iterator_traitsISE_E10value_typeEPNSK_ISF_E10value_typeEPSG_NS1_7vsmem_tEENKUlT_SE_SF_SG_E_clIS8_S8_S9_S9_EESD_ST_SE_SF_SG_EUlST_E0_NS1_11comp_targetILNS1_3genE10ELNS1_11target_archE1201ELNS1_3gpuE5ELNS1_3repE0EEENS1_38merge_mergepath_config_static_selectorELNS0_4arch9wavefront6targetE1EEEvSF_: ; @_ZN7rocprim17ROCPRIM_400000_NS6detail17trampoline_kernelINS0_14default_configENS1_38merge_sort_block_merge_config_selectorIaNS0_10empty_typeEEEZZNS1_27merge_sort_block_merge_implIS3_PaPS5_jNS1_19radix_merge_compareILb0ELb1EaNS0_19identity_decomposerEEEEE10hipError_tT0_T1_T2_jT3_P12ihipStream_tbPNSt15iterator_traitsISE_E10value_typeEPNSK_ISF_E10value_typeEPSG_NS1_7vsmem_tEENKUlT_SE_SF_SG_E_clIS8_S8_S9_S9_EESD_ST_SE_SF_SG_EUlST_E0_NS1_11comp_targetILNS1_3genE10ELNS1_11target_archE1201ELNS1_3gpuE5ELNS1_3repE0EEENS1_38merge_mergepath_config_static_selectorELNS0_4arch9wavefront6targetE1EEEvSF_
; %bb.0:
	.section	.rodata,"a",@progbits
	.p2align	6, 0x0
	.amdhsa_kernel _ZN7rocprim17ROCPRIM_400000_NS6detail17trampoline_kernelINS0_14default_configENS1_38merge_sort_block_merge_config_selectorIaNS0_10empty_typeEEEZZNS1_27merge_sort_block_merge_implIS3_PaPS5_jNS1_19radix_merge_compareILb0ELb1EaNS0_19identity_decomposerEEEEE10hipError_tT0_T1_T2_jT3_P12ihipStream_tbPNSt15iterator_traitsISE_E10value_typeEPNSK_ISF_E10value_typeEPSG_NS1_7vsmem_tEENKUlT_SE_SF_SG_E_clIS8_S8_S9_S9_EESD_ST_SE_SF_SG_EUlST_E0_NS1_11comp_targetILNS1_3genE10ELNS1_11target_archE1201ELNS1_3gpuE5ELNS1_3repE0EEENS1_38merge_mergepath_config_static_selectorELNS0_4arch9wavefront6targetE1EEEvSF_
		.amdhsa_group_segment_fixed_size 0
		.amdhsa_private_segment_fixed_size 0
		.amdhsa_kernarg_size 64
		.amdhsa_user_sgpr_count 6
		.amdhsa_user_sgpr_private_segment_buffer 1
		.amdhsa_user_sgpr_dispatch_ptr 0
		.amdhsa_user_sgpr_queue_ptr 0
		.amdhsa_user_sgpr_kernarg_segment_ptr 1
		.amdhsa_user_sgpr_dispatch_id 0
		.amdhsa_user_sgpr_flat_scratch_init 0
		.amdhsa_user_sgpr_kernarg_preload_length 0
		.amdhsa_user_sgpr_kernarg_preload_offset 0
		.amdhsa_user_sgpr_private_segment_size 0
		.amdhsa_uses_dynamic_stack 0
		.amdhsa_system_sgpr_private_segment_wavefront_offset 0
		.amdhsa_system_sgpr_workgroup_id_x 1
		.amdhsa_system_sgpr_workgroup_id_y 0
		.amdhsa_system_sgpr_workgroup_id_z 0
		.amdhsa_system_sgpr_workgroup_info 0
		.amdhsa_system_vgpr_workitem_id 0
		.amdhsa_next_free_vgpr 1
		.amdhsa_next_free_sgpr 0
		.amdhsa_accum_offset 4
		.amdhsa_reserve_vcc 0
		.amdhsa_reserve_flat_scratch 0
		.amdhsa_float_round_mode_32 0
		.amdhsa_float_round_mode_16_64 0
		.amdhsa_float_denorm_mode_32 3
		.amdhsa_float_denorm_mode_16_64 3
		.amdhsa_dx10_clamp 1
		.amdhsa_ieee_mode 1
		.amdhsa_fp16_overflow 0
		.amdhsa_tg_split 0
		.amdhsa_exception_fp_ieee_invalid_op 0
		.amdhsa_exception_fp_denorm_src 0
		.amdhsa_exception_fp_ieee_div_zero 0
		.amdhsa_exception_fp_ieee_overflow 0
		.amdhsa_exception_fp_ieee_underflow 0
		.amdhsa_exception_fp_ieee_inexact 0
		.amdhsa_exception_int_div_zero 0
	.end_amdhsa_kernel
	.section	.text._ZN7rocprim17ROCPRIM_400000_NS6detail17trampoline_kernelINS0_14default_configENS1_38merge_sort_block_merge_config_selectorIaNS0_10empty_typeEEEZZNS1_27merge_sort_block_merge_implIS3_PaPS5_jNS1_19radix_merge_compareILb0ELb1EaNS0_19identity_decomposerEEEEE10hipError_tT0_T1_T2_jT3_P12ihipStream_tbPNSt15iterator_traitsISE_E10value_typeEPNSK_ISF_E10value_typeEPSG_NS1_7vsmem_tEENKUlT_SE_SF_SG_E_clIS8_S8_S9_S9_EESD_ST_SE_SF_SG_EUlST_E0_NS1_11comp_targetILNS1_3genE10ELNS1_11target_archE1201ELNS1_3gpuE5ELNS1_3repE0EEENS1_38merge_mergepath_config_static_selectorELNS0_4arch9wavefront6targetE1EEEvSF_,"axG",@progbits,_ZN7rocprim17ROCPRIM_400000_NS6detail17trampoline_kernelINS0_14default_configENS1_38merge_sort_block_merge_config_selectorIaNS0_10empty_typeEEEZZNS1_27merge_sort_block_merge_implIS3_PaPS5_jNS1_19radix_merge_compareILb0ELb1EaNS0_19identity_decomposerEEEEE10hipError_tT0_T1_T2_jT3_P12ihipStream_tbPNSt15iterator_traitsISE_E10value_typeEPNSK_ISF_E10value_typeEPSG_NS1_7vsmem_tEENKUlT_SE_SF_SG_E_clIS8_S8_S9_S9_EESD_ST_SE_SF_SG_EUlST_E0_NS1_11comp_targetILNS1_3genE10ELNS1_11target_archE1201ELNS1_3gpuE5ELNS1_3repE0EEENS1_38merge_mergepath_config_static_selectorELNS0_4arch9wavefront6targetE1EEEvSF_,comdat
.Lfunc_end177:
	.size	_ZN7rocprim17ROCPRIM_400000_NS6detail17trampoline_kernelINS0_14default_configENS1_38merge_sort_block_merge_config_selectorIaNS0_10empty_typeEEEZZNS1_27merge_sort_block_merge_implIS3_PaPS5_jNS1_19radix_merge_compareILb0ELb1EaNS0_19identity_decomposerEEEEE10hipError_tT0_T1_T2_jT3_P12ihipStream_tbPNSt15iterator_traitsISE_E10value_typeEPNSK_ISF_E10value_typeEPSG_NS1_7vsmem_tEENKUlT_SE_SF_SG_E_clIS8_S8_S9_S9_EESD_ST_SE_SF_SG_EUlST_E0_NS1_11comp_targetILNS1_3genE10ELNS1_11target_archE1201ELNS1_3gpuE5ELNS1_3repE0EEENS1_38merge_mergepath_config_static_selectorELNS0_4arch9wavefront6targetE1EEEvSF_, .Lfunc_end177-_ZN7rocprim17ROCPRIM_400000_NS6detail17trampoline_kernelINS0_14default_configENS1_38merge_sort_block_merge_config_selectorIaNS0_10empty_typeEEEZZNS1_27merge_sort_block_merge_implIS3_PaPS5_jNS1_19radix_merge_compareILb0ELb1EaNS0_19identity_decomposerEEEEE10hipError_tT0_T1_T2_jT3_P12ihipStream_tbPNSt15iterator_traitsISE_E10value_typeEPNSK_ISF_E10value_typeEPSG_NS1_7vsmem_tEENKUlT_SE_SF_SG_E_clIS8_S8_S9_S9_EESD_ST_SE_SF_SG_EUlST_E0_NS1_11comp_targetILNS1_3genE10ELNS1_11target_archE1201ELNS1_3gpuE5ELNS1_3repE0EEENS1_38merge_mergepath_config_static_selectorELNS0_4arch9wavefront6targetE1EEEvSF_
                                        ; -- End function
	.section	.AMDGPU.csdata,"",@progbits
; Kernel info:
; codeLenInByte = 0
; NumSgprs: 4
; NumVgprs: 0
; NumAgprs: 0
; TotalNumVgprs: 0
; ScratchSize: 0
; MemoryBound: 0
; FloatMode: 240
; IeeeMode: 1
; LDSByteSize: 0 bytes/workgroup (compile time only)
; SGPRBlocks: 0
; VGPRBlocks: 0
; NumSGPRsForWavesPerEU: 4
; NumVGPRsForWavesPerEU: 1
; AccumOffset: 4
; Occupancy: 8
; WaveLimiterHint : 0
; COMPUTE_PGM_RSRC2:SCRATCH_EN: 0
; COMPUTE_PGM_RSRC2:USER_SGPR: 6
; COMPUTE_PGM_RSRC2:TRAP_HANDLER: 0
; COMPUTE_PGM_RSRC2:TGID_X_EN: 1
; COMPUTE_PGM_RSRC2:TGID_Y_EN: 0
; COMPUTE_PGM_RSRC2:TGID_Z_EN: 0
; COMPUTE_PGM_RSRC2:TIDIG_COMP_CNT: 0
; COMPUTE_PGM_RSRC3_GFX90A:ACCUM_OFFSET: 0
; COMPUTE_PGM_RSRC3_GFX90A:TG_SPLIT: 0
	.section	.text._ZN7rocprim17ROCPRIM_400000_NS6detail17trampoline_kernelINS0_14default_configENS1_38merge_sort_block_merge_config_selectorIaNS0_10empty_typeEEEZZNS1_27merge_sort_block_merge_implIS3_PaPS5_jNS1_19radix_merge_compareILb0ELb1EaNS0_19identity_decomposerEEEEE10hipError_tT0_T1_T2_jT3_P12ihipStream_tbPNSt15iterator_traitsISE_E10value_typeEPNSK_ISF_E10value_typeEPSG_NS1_7vsmem_tEENKUlT_SE_SF_SG_E_clIS8_S8_S9_S9_EESD_ST_SE_SF_SG_EUlST_E0_NS1_11comp_targetILNS1_3genE5ELNS1_11target_archE942ELNS1_3gpuE9ELNS1_3repE0EEENS1_38merge_mergepath_config_static_selectorELNS0_4arch9wavefront6targetE1EEEvSF_,"axG",@progbits,_ZN7rocprim17ROCPRIM_400000_NS6detail17trampoline_kernelINS0_14default_configENS1_38merge_sort_block_merge_config_selectorIaNS0_10empty_typeEEEZZNS1_27merge_sort_block_merge_implIS3_PaPS5_jNS1_19radix_merge_compareILb0ELb1EaNS0_19identity_decomposerEEEEE10hipError_tT0_T1_T2_jT3_P12ihipStream_tbPNSt15iterator_traitsISE_E10value_typeEPNSK_ISF_E10value_typeEPSG_NS1_7vsmem_tEENKUlT_SE_SF_SG_E_clIS8_S8_S9_S9_EESD_ST_SE_SF_SG_EUlST_E0_NS1_11comp_targetILNS1_3genE5ELNS1_11target_archE942ELNS1_3gpuE9ELNS1_3repE0EEENS1_38merge_mergepath_config_static_selectorELNS0_4arch9wavefront6targetE1EEEvSF_,comdat
	.protected	_ZN7rocprim17ROCPRIM_400000_NS6detail17trampoline_kernelINS0_14default_configENS1_38merge_sort_block_merge_config_selectorIaNS0_10empty_typeEEEZZNS1_27merge_sort_block_merge_implIS3_PaPS5_jNS1_19radix_merge_compareILb0ELb1EaNS0_19identity_decomposerEEEEE10hipError_tT0_T1_T2_jT3_P12ihipStream_tbPNSt15iterator_traitsISE_E10value_typeEPNSK_ISF_E10value_typeEPSG_NS1_7vsmem_tEENKUlT_SE_SF_SG_E_clIS8_S8_S9_S9_EESD_ST_SE_SF_SG_EUlST_E0_NS1_11comp_targetILNS1_3genE5ELNS1_11target_archE942ELNS1_3gpuE9ELNS1_3repE0EEENS1_38merge_mergepath_config_static_selectorELNS0_4arch9wavefront6targetE1EEEvSF_ ; -- Begin function _ZN7rocprim17ROCPRIM_400000_NS6detail17trampoline_kernelINS0_14default_configENS1_38merge_sort_block_merge_config_selectorIaNS0_10empty_typeEEEZZNS1_27merge_sort_block_merge_implIS3_PaPS5_jNS1_19radix_merge_compareILb0ELb1EaNS0_19identity_decomposerEEEEE10hipError_tT0_T1_T2_jT3_P12ihipStream_tbPNSt15iterator_traitsISE_E10value_typeEPNSK_ISF_E10value_typeEPSG_NS1_7vsmem_tEENKUlT_SE_SF_SG_E_clIS8_S8_S9_S9_EESD_ST_SE_SF_SG_EUlST_E0_NS1_11comp_targetILNS1_3genE5ELNS1_11target_archE942ELNS1_3gpuE9ELNS1_3repE0EEENS1_38merge_mergepath_config_static_selectorELNS0_4arch9wavefront6targetE1EEEvSF_
	.globl	_ZN7rocprim17ROCPRIM_400000_NS6detail17trampoline_kernelINS0_14default_configENS1_38merge_sort_block_merge_config_selectorIaNS0_10empty_typeEEEZZNS1_27merge_sort_block_merge_implIS3_PaPS5_jNS1_19radix_merge_compareILb0ELb1EaNS0_19identity_decomposerEEEEE10hipError_tT0_T1_T2_jT3_P12ihipStream_tbPNSt15iterator_traitsISE_E10value_typeEPNSK_ISF_E10value_typeEPSG_NS1_7vsmem_tEENKUlT_SE_SF_SG_E_clIS8_S8_S9_S9_EESD_ST_SE_SF_SG_EUlST_E0_NS1_11comp_targetILNS1_3genE5ELNS1_11target_archE942ELNS1_3gpuE9ELNS1_3repE0EEENS1_38merge_mergepath_config_static_selectorELNS0_4arch9wavefront6targetE1EEEvSF_
	.p2align	8
	.type	_ZN7rocprim17ROCPRIM_400000_NS6detail17trampoline_kernelINS0_14default_configENS1_38merge_sort_block_merge_config_selectorIaNS0_10empty_typeEEEZZNS1_27merge_sort_block_merge_implIS3_PaPS5_jNS1_19radix_merge_compareILb0ELb1EaNS0_19identity_decomposerEEEEE10hipError_tT0_T1_T2_jT3_P12ihipStream_tbPNSt15iterator_traitsISE_E10value_typeEPNSK_ISF_E10value_typeEPSG_NS1_7vsmem_tEENKUlT_SE_SF_SG_E_clIS8_S8_S9_S9_EESD_ST_SE_SF_SG_EUlST_E0_NS1_11comp_targetILNS1_3genE5ELNS1_11target_archE942ELNS1_3gpuE9ELNS1_3repE0EEENS1_38merge_mergepath_config_static_selectorELNS0_4arch9wavefront6targetE1EEEvSF_,@function
_ZN7rocprim17ROCPRIM_400000_NS6detail17trampoline_kernelINS0_14default_configENS1_38merge_sort_block_merge_config_selectorIaNS0_10empty_typeEEEZZNS1_27merge_sort_block_merge_implIS3_PaPS5_jNS1_19radix_merge_compareILb0ELb1EaNS0_19identity_decomposerEEEEE10hipError_tT0_T1_T2_jT3_P12ihipStream_tbPNSt15iterator_traitsISE_E10value_typeEPNSK_ISF_E10value_typeEPSG_NS1_7vsmem_tEENKUlT_SE_SF_SG_E_clIS8_S8_S9_S9_EESD_ST_SE_SF_SG_EUlST_E0_NS1_11comp_targetILNS1_3genE5ELNS1_11target_archE942ELNS1_3gpuE9ELNS1_3repE0EEENS1_38merge_mergepath_config_static_selectorELNS0_4arch9wavefront6targetE1EEEvSF_: ; @_ZN7rocprim17ROCPRIM_400000_NS6detail17trampoline_kernelINS0_14default_configENS1_38merge_sort_block_merge_config_selectorIaNS0_10empty_typeEEEZZNS1_27merge_sort_block_merge_implIS3_PaPS5_jNS1_19radix_merge_compareILb0ELb1EaNS0_19identity_decomposerEEEEE10hipError_tT0_T1_T2_jT3_P12ihipStream_tbPNSt15iterator_traitsISE_E10value_typeEPNSK_ISF_E10value_typeEPSG_NS1_7vsmem_tEENKUlT_SE_SF_SG_E_clIS8_S8_S9_S9_EESD_ST_SE_SF_SG_EUlST_E0_NS1_11comp_targetILNS1_3genE5ELNS1_11target_archE942ELNS1_3gpuE9ELNS1_3repE0EEENS1_38merge_mergepath_config_static_selectorELNS0_4arch9wavefront6targetE1EEEvSF_
; %bb.0:
	.section	.rodata,"a",@progbits
	.p2align	6, 0x0
	.amdhsa_kernel _ZN7rocprim17ROCPRIM_400000_NS6detail17trampoline_kernelINS0_14default_configENS1_38merge_sort_block_merge_config_selectorIaNS0_10empty_typeEEEZZNS1_27merge_sort_block_merge_implIS3_PaPS5_jNS1_19radix_merge_compareILb0ELb1EaNS0_19identity_decomposerEEEEE10hipError_tT0_T1_T2_jT3_P12ihipStream_tbPNSt15iterator_traitsISE_E10value_typeEPNSK_ISF_E10value_typeEPSG_NS1_7vsmem_tEENKUlT_SE_SF_SG_E_clIS8_S8_S9_S9_EESD_ST_SE_SF_SG_EUlST_E0_NS1_11comp_targetILNS1_3genE5ELNS1_11target_archE942ELNS1_3gpuE9ELNS1_3repE0EEENS1_38merge_mergepath_config_static_selectorELNS0_4arch9wavefront6targetE1EEEvSF_
		.amdhsa_group_segment_fixed_size 0
		.amdhsa_private_segment_fixed_size 0
		.amdhsa_kernarg_size 64
		.amdhsa_user_sgpr_count 6
		.amdhsa_user_sgpr_private_segment_buffer 1
		.amdhsa_user_sgpr_dispatch_ptr 0
		.amdhsa_user_sgpr_queue_ptr 0
		.amdhsa_user_sgpr_kernarg_segment_ptr 1
		.amdhsa_user_sgpr_dispatch_id 0
		.amdhsa_user_sgpr_flat_scratch_init 0
		.amdhsa_user_sgpr_kernarg_preload_length 0
		.amdhsa_user_sgpr_kernarg_preload_offset 0
		.amdhsa_user_sgpr_private_segment_size 0
		.amdhsa_uses_dynamic_stack 0
		.amdhsa_system_sgpr_private_segment_wavefront_offset 0
		.amdhsa_system_sgpr_workgroup_id_x 1
		.amdhsa_system_sgpr_workgroup_id_y 0
		.amdhsa_system_sgpr_workgroup_id_z 0
		.amdhsa_system_sgpr_workgroup_info 0
		.amdhsa_system_vgpr_workitem_id 0
		.amdhsa_next_free_vgpr 1
		.amdhsa_next_free_sgpr 0
		.amdhsa_accum_offset 4
		.amdhsa_reserve_vcc 0
		.amdhsa_reserve_flat_scratch 0
		.amdhsa_float_round_mode_32 0
		.amdhsa_float_round_mode_16_64 0
		.amdhsa_float_denorm_mode_32 3
		.amdhsa_float_denorm_mode_16_64 3
		.amdhsa_dx10_clamp 1
		.amdhsa_ieee_mode 1
		.amdhsa_fp16_overflow 0
		.amdhsa_tg_split 0
		.amdhsa_exception_fp_ieee_invalid_op 0
		.amdhsa_exception_fp_denorm_src 0
		.amdhsa_exception_fp_ieee_div_zero 0
		.amdhsa_exception_fp_ieee_overflow 0
		.amdhsa_exception_fp_ieee_underflow 0
		.amdhsa_exception_fp_ieee_inexact 0
		.amdhsa_exception_int_div_zero 0
	.end_amdhsa_kernel
	.section	.text._ZN7rocprim17ROCPRIM_400000_NS6detail17trampoline_kernelINS0_14default_configENS1_38merge_sort_block_merge_config_selectorIaNS0_10empty_typeEEEZZNS1_27merge_sort_block_merge_implIS3_PaPS5_jNS1_19radix_merge_compareILb0ELb1EaNS0_19identity_decomposerEEEEE10hipError_tT0_T1_T2_jT3_P12ihipStream_tbPNSt15iterator_traitsISE_E10value_typeEPNSK_ISF_E10value_typeEPSG_NS1_7vsmem_tEENKUlT_SE_SF_SG_E_clIS8_S8_S9_S9_EESD_ST_SE_SF_SG_EUlST_E0_NS1_11comp_targetILNS1_3genE5ELNS1_11target_archE942ELNS1_3gpuE9ELNS1_3repE0EEENS1_38merge_mergepath_config_static_selectorELNS0_4arch9wavefront6targetE1EEEvSF_,"axG",@progbits,_ZN7rocprim17ROCPRIM_400000_NS6detail17trampoline_kernelINS0_14default_configENS1_38merge_sort_block_merge_config_selectorIaNS0_10empty_typeEEEZZNS1_27merge_sort_block_merge_implIS3_PaPS5_jNS1_19radix_merge_compareILb0ELb1EaNS0_19identity_decomposerEEEEE10hipError_tT0_T1_T2_jT3_P12ihipStream_tbPNSt15iterator_traitsISE_E10value_typeEPNSK_ISF_E10value_typeEPSG_NS1_7vsmem_tEENKUlT_SE_SF_SG_E_clIS8_S8_S9_S9_EESD_ST_SE_SF_SG_EUlST_E0_NS1_11comp_targetILNS1_3genE5ELNS1_11target_archE942ELNS1_3gpuE9ELNS1_3repE0EEENS1_38merge_mergepath_config_static_selectorELNS0_4arch9wavefront6targetE1EEEvSF_,comdat
.Lfunc_end178:
	.size	_ZN7rocprim17ROCPRIM_400000_NS6detail17trampoline_kernelINS0_14default_configENS1_38merge_sort_block_merge_config_selectorIaNS0_10empty_typeEEEZZNS1_27merge_sort_block_merge_implIS3_PaPS5_jNS1_19radix_merge_compareILb0ELb1EaNS0_19identity_decomposerEEEEE10hipError_tT0_T1_T2_jT3_P12ihipStream_tbPNSt15iterator_traitsISE_E10value_typeEPNSK_ISF_E10value_typeEPSG_NS1_7vsmem_tEENKUlT_SE_SF_SG_E_clIS8_S8_S9_S9_EESD_ST_SE_SF_SG_EUlST_E0_NS1_11comp_targetILNS1_3genE5ELNS1_11target_archE942ELNS1_3gpuE9ELNS1_3repE0EEENS1_38merge_mergepath_config_static_selectorELNS0_4arch9wavefront6targetE1EEEvSF_, .Lfunc_end178-_ZN7rocprim17ROCPRIM_400000_NS6detail17trampoline_kernelINS0_14default_configENS1_38merge_sort_block_merge_config_selectorIaNS0_10empty_typeEEEZZNS1_27merge_sort_block_merge_implIS3_PaPS5_jNS1_19radix_merge_compareILb0ELb1EaNS0_19identity_decomposerEEEEE10hipError_tT0_T1_T2_jT3_P12ihipStream_tbPNSt15iterator_traitsISE_E10value_typeEPNSK_ISF_E10value_typeEPSG_NS1_7vsmem_tEENKUlT_SE_SF_SG_E_clIS8_S8_S9_S9_EESD_ST_SE_SF_SG_EUlST_E0_NS1_11comp_targetILNS1_3genE5ELNS1_11target_archE942ELNS1_3gpuE9ELNS1_3repE0EEENS1_38merge_mergepath_config_static_selectorELNS0_4arch9wavefront6targetE1EEEvSF_
                                        ; -- End function
	.section	.AMDGPU.csdata,"",@progbits
; Kernel info:
; codeLenInByte = 0
; NumSgprs: 4
; NumVgprs: 0
; NumAgprs: 0
; TotalNumVgprs: 0
; ScratchSize: 0
; MemoryBound: 0
; FloatMode: 240
; IeeeMode: 1
; LDSByteSize: 0 bytes/workgroup (compile time only)
; SGPRBlocks: 0
; VGPRBlocks: 0
; NumSGPRsForWavesPerEU: 4
; NumVGPRsForWavesPerEU: 1
; AccumOffset: 4
; Occupancy: 8
; WaveLimiterHint : 0
; COMPUTE_PGM_RSRC2:SCRATCH_EN: 0
; COMPUTE_PGM_RSRC2:USER_SGPR: 6
; COMPUTE_PGM_RSRC2:TRAP_HANDLER: 0
; COMPUTE_PGM_RSRC2:TGID_X_EN: 1
; COMPUTE_PGM_RSRC2:TGID_Y_EN: 0
; COMPUTE_PGM_RSRC2:TGID_Z_EN: 0
; COMPUTE_PGM_RSRC2:TIDIG_COMP_CNT: 0
; COMPUTE_PGM_RSRC3_GFX90A:ACCUM_OFFSET: 0
; COMPUTE_PGM_RSRC3_GFX90A:TG_SPLIT: 0
	.section	.text._ZN7rocprim17ROCPRIM_400000_NS6detail17trampoline_kernelINS0_14default_configENS1_38merge_sort_block_merge_config_selectorIaNS0_10empty_typeEEEZZNS1_27merge_sort_block_merge_implIS3_PaPS5_jNS1_19radix_merge_compareILb0ELb1EaNS0_19identity_decomposerEEEEE10hipError_tT0_T1_T2_jT3_P12ihipStream_tbPNSt15iterator_traitsISE_E10value_typeEPNSK_ISF_E10value_typeEPSG_NS1_7vsmem_tEENKUlT_SE_SF_SG_E_clIS8_S8_S9_S9_EESD_ST_SE_SF_SG_EUlST_E0_NS1_11comp_targetILNS1_3genE4ELNS1_11target_archE910ELNS1_3gpuE8ELNS1_3repE0EEENS1_38merge_mergepath_config_static_selectorELNS0_4arch9wavefront6targetE1EEEvSF_,"axG",@progbits,_ZN7rocprim17ROCPRIM_400000_NS6detail17trampoline_kernelINS0_14default_configENS1_38merge_sort_block_merge_config_selectorIaNS0_10empty_typeEEEZZNS1_27merge_sort_block_merge_implIS3_PaPS5_jNS1_19radix_merge_compareILb0ELb1EaNS0_19identity_decomposerEEEEE10hipError_tT0_T1_T2_jT3_P12ihipStream_tbPNSt15iterator_traitsISE_E10value_typeEPNSK_ISF_E10value_typeEPSG_NS1_7vsmem_tEENKUlT_SE_SF_SG_E_clIS8_S8_S9_S9_EESD_ST_SE_SF_SG_EUlST_E0_NS1_11comp_targetILNS1_3genE4ELNS1_11target_archE910ELNS1_3gpuE8ELNS1_3repE0EEENS1_38merge_mergepath_config_static_selectorELNS0_4arch9wavefront6targetE1EEEvSF_,comdat
	.protected	_ZN7rocprim17ROCPRIM_400000_NS6detail17trampoline_kernelINS0_14default_configENS1_38merge_sort_block_merge_config_selectorIaNS0_10empty_typeEEEZZNS1_27merge_sort_block_merge_implIS3_PaPS5_jNS1_19radix_merge_compareILb0ELb1EaNS0_19identity_decomposerEEEEE10hipError_tT0_T1_T2_jT3_P12ihipStream_tbPNSt15iterator_traitsISE_E10value_typeEPNSK_ISF_E10value_typeEPSG_NS1_7vsmem_tEENKUlT_SE_SF_SG_E_clIS8_S8_S9_S9_EESD_ST_SE_SF_SG_EUlST_E0_NS1_11comp_targetILNS1_3genE4ELNS1_11target_archE910ELNS1_3gpuE8ELNS1_3repE0EEENS1_38merge_mergepath_config_static_selectorELNS0_4arch9wavefront6targetE1EEEvSF_ ; -- Begin function _ZN7rocprim17ROCPRIM_400000_NS6detail17trampoline_kernelINS0_14default_configENS1_38merge_sort_block_merge_config_selectorIaNS0_10empty_typeEEEZZNS1_27merge_sort_block_merge_implIS3_PaPS5_jNS1_19radix_merge_compareILb0ELb1EaNS0_19identity_decomposerEEEEE10hipError_tT0_T1_T2_jT3_P12ihipStream_tbPNSt15iterator_traitsISE_E10value_typeEPNSK_ISF_E10value_typeEPSG_NS1_7vsmem_tEENKUlT_SE_SF_SG_E_clIS8_S8_S9_S9_EESD_ST_SE_SF_SG_EUlST_E0_NS1_11comp_targetILNS1_3genE4ELNS1_11target_archE910ELNS1_3gpuE8ELNS1_3repE0EEENS1_38merge_mergepath_config_static_selectorELNS0_4arch9wavefront6targetE1EEEvSF_
	.globl	_ZN7rocprim17ROCPRIM_400000_NS6detail17trampoline_kernelINS0_14default_configENS1_38merge_sort_block_merge_config_selectorIaNS0_10empty_typeEEEZZNS1_27merge_sort_block_merge_implIS3_PaPS5_jNS1_19radix_merge_compareILb0ELb1EaNS0_19identity_decomposerEEEEE10hipError_tT0_T1_T2_jT3_P12ihipStream_tbPNSt15iterator_traitsISE_E10value_typeEPNSK_ISF_E10value_typeEPSG_NS1_7vsmem_tEENKUlT_SE_SF_SG_E_clIS8_S8_S9_S9_EESD_ST_SE_SF_SG_EUlST_E0_NS1_11comp_targetILNS1_3genE4ELNS1_11target_archE910ELNS1_3gpuE8ELNS1_3repE0EEENS1_38merge_mergepath_config_static_selectorELNS0_4arch9wavefront6targetE1EEEvSF_
	.p2align	8
	.type	_ZN7rocprim17ROCPRIM_400000_NS6detail17trampoline_kernelINS0_14default_configENS1_38merge_sort_block_merge_config_selectorIaNS0_10empty_typeEEEZZNS1_27merge_sort_block_merge_implIS3_PaPS5_jNS1_19radix_merge_compareILb0ELb1EaNS0_19identity_decomposerEEEEE10hipError_tT0_T1_T2_jT3_P12ihipStream_tbPNSt15iterator_traitsISE_E10value_typeEPNSK_ISF_E10value_typeEPSG_NS1_7vsmem_tEENKUlT_SE_SF_SG_E_clIS8_S8_S9_S9_EESD_ST_SE_SF_SG_EUlST_E0_NS1_11comp_targetILNS1_3genE4ELNS1_11target_archE910ELNS1_3gpuE8ELNS1_3repE0EEENS1_38merge_mergepath_config_static_selectorELNS0_4arch9wavefront6targetE1EEEvSF_,@function
_ZN7rocprim17ROCPRIM_400000_NS6detail17trampoline_kernelINS0_14default_configENS1_38merge_sort_block_merge_config_selectorIaNS0_10empty_typeEEEZZNS1_27merge_sort_block_merge_implIS3_PaPS5_jNS1_19radix_merge_compareILb0ELb1EaNS0_19identity_decomposerEEEEE10hipError_tT0_T1_T2_jT3_P12ihipStream_tbPNSt15iterator_traitsISE_E10value_typeEPNSK_ISF_E10value_typeEPSG_NS1_7vsmem_tEENKUlT_SE_SF_SG_E_clIS8_S8_S9_S9_EESD_ST_SE_SF_SG_EUlST_E0_NS1_11comp_targetILNS1_3genE4ELNS1_11target_archE910ELNS1_3gpuE8ELNS1_3repE0EEENS1_38merge_mergepath_config_static_selectorELNS0_4arch9wavefront6targetE1EEEvSF_: ; @_ZN7rocprim17ROCPRIM_400000_NS6detail17trampoline_kernelINS0_14default_configENS1_38merge_sort_block_merge_config_selectorIaNS0_10empty_typeEEEZZNS1_27merge_sort_block_merge_implIS3_PaPS5_jNS1_19radix_merge_compareILb0ELb1EaNS0_19identity_decomposerEEEEE10hipError_tT0_T1_T2_jT3_P12ihipStream_tbPNSt15iterator_traitsISE_E10value_typeEPNSK_ISF_E10value_typeEPSG_NS1_7vsmem_tEENKUlT_SE_SF_SG_E_clIS8_S8_S9_S9_EESD_ST_SE_SF_SG_EUlST_E0_NS1_11comp_targetILNS1_3genE4ELNS1_11target_archE910ELNS1_3gpuE8ELNS1_3repE0EEENS1_38merge_mergepath_config_static_selectorELNS0_4arch9wavefront6targetE1EEEvSF_
; %bb.0:
	s_load_dwordx2 s[10:11], s[4:5], 0x40
	s_load_dword s1, s[4:5], 0x30
	s_add_u32 s2, s4, 64
	s_addc_u32 s3, s5, 0
	s_waitcnt lgkmcnt(0)
	s_mul_i32 s0, s11, s8
	s_add_i32 s0, s0, s7
	s_mul_i32 s0, s0, s10
	s_add_i32 s0, s0, s6
	s_cmp_ge_u32 s0, s1
	s_cbranch_scc1 .LBB179_51
; %bb.1:
	s_load_dwordx2 s[12:13], s[4:5], 0x28
	s_load_dwordx2 s[8:9], s[4:5], 0x38
	;; [unrolled: 1-line block ×3, first 2 shown]
	s_mov_b32 s1, 0
	v_mov_b32_e32 v1, 0
	s_waitcnt lgkmcnt(0)
	s_lshr_b32 s21, s12, 10
	s_cmp_lg_u32 s0, s21
	s_cselect_b64 s[14:15], -1, 0
	s_lshl_b64 s[18:19], s[0:1], 2
	s_add_u32 s8, s8, s18
	s_addc_u32 s9, s9, s19
	s_lshr_b32 s1, s13, 9
	s_and_b32 s1, s1, 0x7ffffe
	s_load_dwordx2 s[8:9], s[8:9], 0x0
	s_sub_i32 s1, 0, s1
	s_and_b32 s7, s0, s1
	s_lshl_b32 s11, s7, 10
	s_lshl_b32 s20, s0, 10
	;; [unrolled: 1-line block ×3, first 2 shown]
	s_sub_i32 s18, s20, s11
	s_add_i32 s7, s7, s13
	s_add_i32 s18, s7, s18
	s_waitcnt lgkmcnt(0)
	s_sub_i32 s19, s18, s8
	s_sub_i32 s18, s18, s9
	;; [unrolled: 1-line block ×3, first 2 shown]
	s_min_u32 s19, s12, s19
	s_addk_i32 s18, 0x400
	s_or_b32 s1, s0, s1
	s_min_u32 s11, s12, s7
	s_add_i32 s7, s7, s13
	s_cmp_eq_u32 s1, -1
	s_cselect_b32 s1, s7, s18
	s_cselect_b32 s7, s11, s9
	s_min_u32 s1, s1, s12
	s_sub_i32 s13, s7, s8
	s_sub_i32 s7, s1, s19
	s_add_u32 s11, s16, s8
	s_addc_u32 s18, s17, 0
	s_add_u32 s8, s16, s19
	s_addc_u32 s9, s17, 0
	s_cmp_lt_u32 s6, s10
	s_cselect_b32 s1, 12, 18
	global_load_dword v2, v1, s[2:3] offset:14
	s_add_u32 s2, s2, s1
	s_addc_u32 s3, s3, 0
	global_load_ushort v1, v1, s[2:3]
	s_cmp_eq_u32 s0, s21
	s_waitcnt vmcnt(1)
	v_lshrrev_b32_e32 v3, 16, v2
	v_and_b32_e32 v2, 0xffff, v2
	v_mul_lo_u32 v2, v2, v3
	s_waitcnt vmcnt(0)
	v_mul_lo_u32 v4, v2, v1
	v_add_u32_e32 v10, v4, v0
	v_add_u32_e32 v9, v10, v4
	s_cbranch_scc1 .LBB179_3
; %bb.2:
	v_mov_b32_e32 v1, s18
	v_add_co_u32_e32 v2, vcc, s11, v0
	v_addc_co_u32_e32 v1, vcc, 0, v1, vcc
	v_subrev_u32_e32 v3, s13, v0
	v_mov_b32_e32 v5, s9
	v_add_co_u32_e32 v3, vcc, s8, v3
	v_addc_co_u32_e32 v5, vcc, 0, v5, vcc
	v_cmp_gt_u32_e32 vcc, s13, v0
	v_cndmask_b32_e32 v13, v5, v1, vcc
	v_cndmask_b32_e32 v12, v3, v2, vcc
	v_mov_b32_e32 v1, s18
	v_add_co_u32_e32 v2, vcc, s11, v10
	v_addc_co_u32_e32 v1, vcc, 0, v1, vcc
	v_subrev_u32_e32 v3, s13, v10
	v_mov_b32_e32 v5, s9
	v_add_co_u32_e32 v3, vcc, s8, v3
	v_addc_co_u32_e32 v5, vcc, 0, v5, vcc
	v_cmp_gt_u32_e32 vcc, s13, v10
	v_cndmask_b32_e32 v15, v5, v1, vcc
	v_cndmask_b32_e32 v14, v3, v2, vcc
	v_mov_b32_e32 v1, s18
	v_add_co_u32_e32 v2, vcc, s11, v9
	v_addc_co_u32_e32 v1, vcc, 0, v1, vcc
	v_subrev_u32_e32 v3, s13, v9
	v_mov_b32_e32 v5, s9
	v_add_co_u32_e32 v3, vcc, s8, v3
	v_addc_co_u32_e32 v5, vcc, 0, v5, vcc
	v_cmp_gt_u32_e32 vcc, s13, v9
	v_cndmask_b32_e32 v17, v5, v1, vcc
	v_add_u32_e32 v1, v9, v4
	v_cndmask_b32_e32 v16, v3, v2, vcc
	v_mov_b32_e32 v2, s18
	v_add_co_u32_e32 v3, vcc, s11, v1
	v_addc_co_u32_e32 v2, vcc, 0, v2, vcc
	v_subrev_u32_e32 v5, s13, v1
	v_mov_b32_e32 v6, s9
	v_add_co_u32_e32 v5, vcc, s8, v5
	v_addc_co_u32_e32 v6, vcc, 0, v6, vcc
	v_cmp_gt_u32_e32 vcc, s13, v1
	v_add_u32_e32 v1, v1, v4
	v_cndmask_b32_e32 v19, v6, v2, vcc
	v_cndmask_b32_e32 v18, v5, v3, vcc
	v_mov_b32_e32 v2, s18
	v_add_co_u32_e32 v3, vcc, s11, v1
	v_addc_co_u32_e32 v2, vcc, 0, v2, vcc
	v_subrev_u32_e32 v5, s13, v1
	v_mov_b32_e32 v6, s9
	v_add_co_u32_e32 v5, vcc, s8, v5
	v_addc_co_u32_e32 v6, vcc, 0, v6, vcc
	v_cmp_gt_u32_e32 vcc, s13, v1
	v_add_u32_e32 v1, v1, v4
	v_cndmask_b32_e32 v21, v6, v2, vcc
	;; [unrolled: 11-line block ×4, first 2 shown]
	v_cndmask_b32_e32 v24, v5, v3, vcc
	v_mov_b32_e32 v2, s18
	v_add_co_u32_e32 v3, vcc, s11, v1
	v_addc_co_u32_e32 v2, vcc, 0, v2, vcc
	v_subrev_u32_e32 v5, s13, v1
	v_mov_b32_e32 v6, s9
	v_add_co_u32_e32 v5, vcc, s8, v5
	v_addc_co_u32_e32 v6, vcc, 0, v6, vcc
	v_cmp_gt_u32_e32 vcc, s13, v1
	v_cndmask_b32_e32 v27, v6, v2, vcc
	v_cndmask_b32_e32 v26, v5, v3, vcc
	global_load_ubyte v1, v[12:13], off
	global_load_ubyte v2, v[14:15], off
	;; [unrolled: 1-line block ×8, first 2 shown]
	s_add_i32 s21, s7, s13
	s_load_dwordx2 s[16:17], s[4:5], 0x10
	s_cbranch_execz .LBB179_4
	s_branch .LBB179_21
.LBB179_3:
                                        ; implicit-def: $vgpr1
                                        ; implicit-def: $vgpr2
                                        ; implicit-def: $vgpr3
                                        ; implicit-def: $vgpr5
                                        ; implicit-def: $vgpr6
                                        ; implicit-def: $vgpr7
                                        ; implicit-def: $vgpr8
                                        ; implicit-def: $vgpr11
                                        ; implicit-def: $sgpr21
	s_load_dwordx2 s[16:17], s[4:5], 0x10
.LBB179_4:
	s_add_i32 s21, s7, s13
	v_cmp_gt_u32_e32 vcc, s21, v0
                                        ; implicit-def: $vgpr1
	s_and_saveexec_b64 s[0:1], vcc
	s_cbranch_execz .LBB179_6
; %bb.5:
	s_waitcnt vmcnt(7)
	v_mov_b32_e32 v1, s18
	s_waitcnt vmcnt(6)
	v_add_co_u32_e32 v2, vcc, s11, v0
	v_addc_co_u32_e32 v1, vcc, 0, v1, vcc
	s_waitcnt vmcnt(5)
	v_subrev_u32_e32 v3, s13, v0
	s_waitcnt vmcnt(4)
	v_mov_b32_e32 v5, s9
	s_waitcnt vmcnt(3)
	v_add_co_u32_e32 v6, vcc, s8, v3
	v_addc_co_u32_e32 v3, vcc, 0, v5, vcc
	v_cmp_gt_u32_e32 vcc, s13, v0
	v_cndmask_b32_e32 v3, v3, v1, vcc
	v_cndmask_b32_e32 v2, v6, v2, vcc
	global_load_ubyte v1, v[2:3], off
.LBB179_6:
	s_or_b64 exec, exec, s[0:1]
	v_cmp_gt_u32_e32 vcc, s21, v10
                                        ; implicit-def: $vgpr2
	s_and_saveexec_b64 s[0:1], vcc
	s_cbranch_execz .LBB179_8
; %bb.7:
	s_waitcnt vmcnt(6)
	v_mov_b32_e32 v2, s18
	s_waitcnt vmcnt(4)
	v_add_co_u32_e32 v5, vcc, s11, v10
	v_addc_co_u32_e32 v2, vcc, 0, v2, vcc
	v_subrev_u32_e32 v3, s13, v10
	s_waitcnt vmcnt(3)
	v_mov_b32_e32 v6, s9
	s_waitcnt vmcnt(2)
	v_add_co_u32_e32 v7, vcc, s8, v3
	v_addc_co_u32_e32 v3, vcc, 0, v6, vcc
	v_cmp_gt_u32_e32 vcc, s13, v10
	v_cndmask_b32_e32 v3, v3, v2, vcc
	v_cndmask_b32_e32 v2, v7, v5, vcc
	global_load_ubyte v2, v[2:3], off
.LBB179_8:
	s_or_b64 exec, exec, s[0:1]
	v_cmp_gt_u32_e32 vcc, s21, v9
                                        ; implicit-def: $vgpr3
	s_and_saveexec_b64 s[0:1], vcc
	s_cbranch_execz .LBB179_10
; %bb.9:
	s_waitcnt vmcnt(5)
	v_mov_b32_e32 v3, s18
	s_waitcnt vmcnt(4)
	v_add_co_u32_e32 v5, vcc, s11, v9
	v_addc_co_u32_e32 v3, vcc, 0, v3, vcc
	s_waitcnt vmcnt(3)
	v_subrev_u32_e32 v6, s13, v9
	s_waitcnt vmcnt(2)
	v_mov_b32_e32 v7, s9
	v_add_co_u32_e32 v6, vcc, s8, v6
	v_addc_co_u32_e32 v7, vcc, 0, v7, vcc
	v_cmp_gt_u32_e32 vcc, s13, v9
	v_cndmask_b32_e32 v7, v7, v3, vcc
	v_cndmask_b32_e32 v6, v6, v5, vcc
	global_load_ubyte v3, v[6:7], off
.LBB179_10:
	s_or_b64 exec, exec, s[0:1]
	s_waitcnt vmcnt(3)
	v_add_u32_e32 v6, v9, v4
	v_cmp_gt_u32_e32 vcc, s21, v6
                                        ; implicit-def: $vgpr5
	s_and_saveexec_b64 s[0:1], vcc
	s_cbranch_execz .LBB179_12
; %bb.11:
	v_mov_b32_e32 v5, s18
	s_waitcnt vmcnt(2)
	v_add_co_u32_e32 v7, vcc, s11, v6
	v_addc_co_u32_e32 v5, vcc, 0, v5, vcc
	s_waitcnt vmcnt(1)
	v_subrev_u32_e32 v8, s13, v6
	v_mov_b32_e32 v9, s9
	v_add_co_u32_e32 v8, vcc, s8, v8
	v_addc_co_u32_e32 v9, vcc, 0, v9, vcc
	v_cmp_gt_u32_e32 vcc, s13, v6
	v_cndmask_b32_e32 v9, v9, v5, vcc
	v_cndmask_b32_e32 v8, v8, v7, vcc
	global_load_ubyte v5, v[8:9], off
.LBB179_12:
	s_or_b64 exec, exec, s[0:1]
	s_waitcnt vmcnt(2)
	v_add_u32_e32 v7, v6, v4
	v_cmp_gt_u32_e32 vcc, s21, v7
                                        ; implicit-def: $vgpr6
	s_and_saveexec_b64 s[0:1], vcc
	s_cbranch_execz .LBB179_14
; %bb.13:
	v_mov_b32_e32 v6, s18
	s_waitcnt vmcnt(1)
	v_add_co_u32_e32 v8, vcc, s11, v7
	v_addc_co_u32_e32 v6, vcc, 0, v6, vcc
	v_subrev_u32_e32 v9, s13, v7
	v_mov_b32_e32 v10, s9
	s_waitcnt vmcnt(0)
	v_add_co_u32_e32 v11, vcc, s8, v9
	v_addc_co_u32_e32 v9, vcc, 0, v10, vcc
	v_cmp_gt_u32_e32 vcc, s13, v7
	v_cndmask_b32_e32 v9, v9, v6, vcc
	v_cndmask_b32_e32 v8, v11, v8, vcc
	global_load_ubyte v6, v[8:9], off
.LBB179_14:
	s_or_b64 exec, exec, s[0:1]
	s_waitcnt vmcnt(1)
	v_add_u32_e32 v8, v7, v4
	v_cmp_gt_u32_e32 vcc, s21, v8
                                        ; implicit-def: $vgpr7
	s_and_saveexec_b64 s[0:1], vcc
	s_cbranch_execz .LBB179_16
; %bb.15:
	v_mov_b32_e32 v7, s18
	v_add_co_u32_e32 v9, vcc, s11, v8
	v_addc_co_u32_e32 v7, vcc, 0, v7, vcc
	v_subrev_u32_e32 v10, s13, v8
	s_waitcnt vmcnt(0)
	v_mov_b32_e32 v11, s9
	v_add_co_u32_e32 v10, vcc, s8, v10
	v_addc_co_u32_e32 v11, vcc, 0, v11, vcc
	v_cmp_gt_u32_e32 vcc, s13, v8
	v_cndmask_b32_e32 v11, v11, v7, vcc
	v_cndmask_b32_e32 v10, v10, v9, vcc
	global_load_ubyte v7, v[10:11], off
.LBB179_16:
	s_or_b64 exec, exec, s[0:1]
	v_add_u32_e32 v9, v8, v4
	v_cmp_gt_u32_e32 vcc, s21, v9
                                        ; implicit-def: $vgpr8
	s_and_saveexec_b64 s[0:1], vcc
	s_cbranch_execz .LBB179_18
; %bb.17:
	v_mov_b32_e32 v8, s18
	v_add_co_u32_e32 v10, vcc, s11, v9
	v_addc_co_u32_e32 v8, vcc, 0, v8, vcc
	s_waitcnt vmcnt(0)
	v_subrev_u32_e32 v11, s13, v9
	v_mov_b32_e32 v12, s9
	v_add_co_u32_e32 v13, vcc, s8, v11
	v_addc_co_u32_e32 v11, vcc, 0, v12, vcc
	v_cmp_gt_u32_e32 vcc, s13, v9
	v_cndmask_b32_e32 v11, v11, v8, vcc
	v_cndmask_b32_e32 v10, v13, v10, vcc
	global_load_ubyte v8, v[10:11], off
.LBB179_18:
	s_or_b64 exec, exec, s[0:1]
	v_add_u32_e32 v4, v9, v4
	v_cmp_gt_u32_e32 vcc, s21, v4
                                        ; implicit-def: $vgpr11
	s_and_saveexec_b64 s[0:1], vcc
	s_cbranch_execz .LBB179_20
; %bb.19:
	v_mov_b32_e32 v9, s18
	v_add_co_u32_e32 v10, vcc, s11, v4
	v_addc_co_u32_e32 v9, vcc, 0, v9, vcc
	s_waitcnt vmcnt(0)
	v_subrev_u32_e32 v11, s13, v4
	v_mov_b32_e32 v12, s9
	v_add_co_u32_e32 v13, vcc, s8, v11
	v_addc_co_u32_e32 v11, vcc, 0, v12, vcc
	v_cmp_gt_u32_e32 vcc, s13, v4
	v_cndmask_b32_e32 v11, v11, v9, vcc
	v_cndmask_b32_e32 v10, v13, v10, vcc
	global_load_ubyte v11, v[10:11], off
.LBB179_20:
	s_or_b64 exec, exec, s[0:1]
.LBB179_21:
	s_load_dword s22, s[4:5], 0x34
	v_lshlrev_b32_e32 v4, 3, v0
	v_min_u32_e32 v10, s21, v4
	v_sub_u32_e64 v9, v10, s7 clamp
	v_min_u32_e32 v12, s13, v10
	v_cmp_lt_u32_e32 vcc, v9, v12
	s_waitcnt vmcnt(0)
	ds_write_b8 v0, v1
	ds_write_b8 v0, v2 offset:128
	ds_write_b8 v0, v3 offset:256
	;; [unrolled: 1-line block ×7, first 2 shown]
	s_waitcnt lgkmcnt(0)
	s_barrier
	s_and_saveexec_b64 s[0:1], vcc
	s_cbranch_execz .LBB179_25
; %bb.22:
	v_add_u32_e32 v13, s13, v10
	s_mov_b64 s[2:3], 0
.LBB179_23:                             ; =>This Inner Loop Header: Depth=1
	v_add_u32_e32 v14, v12, v9
	v_lshrrev_b32_e32 v14, 1, v14
	v_xad_u32 v15, v14, -1, v13
	ds_read_u8 v16, v14
	ds_read_u8 v15, v15
	v_add_u32_e32 v17, 1, v14
	s_waitcnt lgkmcnt(1)
	v_and_b32_e32 v16, s22, v16
	s_waitcnt lgkmcnt(0)
	v_and_b32_e32 v15, s22, v15
	v_cmp_gt_i16_sdwa vcc, sext(v16), sext(v15) src0_sel:BYTE_0 src1_sel:BYTE_0
	v_cndmask_b32_e32 v12, v12, v14, vcc
	v_cndmask_b32_e32 v9, v17, v9, vcc
	v_cmp_ge_u32_e32 vcc, v9, v12
	s_or_b64 s[2:3], vcc, s[2:3]
	s_andn2_b64 exec, exec, s[2:3]
	s_cbranch_execnz .LBB179_23
; %bb.24:
	s_or_b64 exec, exec, s[2:3]
.LBB179_25:
	s_or_b64 exec, exec, s[0:1]
	v_sub_u32_e32 v10, v10, v9
	v_add_u32_e32 v10, s13, v10
	v_cmp_ge_u32_e32 vcc, s13, v9
	v_cmp_ge_u32_e64 s[0:1], s21, v10
	s_or_b64 s[0:1], vcc, s[0:1]
	s_and_saveexec_b64 s[18:19], s[0:1]
	s_cbranch_execz .LBB179_31
; %bb.26:
	v_cmp_gt_u32_e32 vcc, s13, v9
                                        ; implicit-def: $vgpr1
	s_and_saveexec_b64 s[0:1], vcc
	s_cbranch_execz .LBB179_28
; %bb.27:
	ds_read_u8 v1, v9
.LBB179_28:
	s_or_b64 exec, exec, s[0:1]
	v_cmp_le_u32_e64 s[0:1], s21, v10
	v_cmp_gt_u32_e64 s[2:3], s21, v10
                                        ; implicit-def: $vgpr2
	s_and_saveexec_b64 s[4:5], s[2:3]
	s_cbranch_execz .LBB179_30
; %bb.29:
	ds_read_u8 v2, v10
.LBB179_30:
	s_or_b64 exec, exec, s[4:5]
	s_waitcnt lgkmcnt(0)
	v_and_b32_e32 v3, s22, v2
	v_and_b32_e32 v5, s22, v1
	v_cmp_le_i16_sdwa s[2:3], sext(v5), sext(v3) src0_sel:BYTE_0 src1_sel:BYTE_0
	s_and_b64 s[2:3], vcc, s[2:3]
	s_or_b64 vcc, s[0:1], s[2:3]
	v_mov_b32_e32 v5, s21
	v_mov_b32_e32 v6, s13
	v_cndmask_b32_e32 v3, v10, v9, vcc
	v_cndmask_b32_e32 v7, v5, v6, vcc
	v_add_u32_e32 v3, 1, v3
	v_add_u32_e32 v7, -1, v7
	v_min_u32_e32 v7, v3, v7
	ds_read_u8 v7, v7
	v_cndmask_b32_e32 v10, v3, v10, vcc
	v_cndmask_b32_e32 v3, v9, v3, vcc
	v_cmp_gt_u32_e64 s[2:3], s13, v3
	v_cmp_le_u32_e64 s[0:1], s21, v10
	s_waitcnt lgkmcnt(0)
	v_cndmask_b32_e32 v8, v7, v2, vcc
	v_cndmask_b32_e32 v7, v1, v7, vcc
	v_and_b32_e32 v9, s22, v8
	v_and_b32_e32 v11, s22, v7
	v_cmp_le_i16_sdwa s[4:5], sext(v11), sext(v9) src0_sel:BYTE_0 src1_sel:BYTE_0
	s_and_b64 s[2:3], s[2:3], s[4:5]
	s_or_b64 s[0:1], s[0:1], s[2:3]
	v_cndmask_b32_e64 v9, v10, v3, s[0:1]
	v_cndmask_b32_e64 v11, v5, v6, s[0:1]
	v_add_u32_e32 v9, 1, v9
	v_add_u32_e32 v11, -1, v11
	v_min_u32_e32 v11, v9, v11
	ds_read_u8 v11, v11
	v_cndmask_b32_e64 v10, v9, v10, s[0:1]
	v_cndmask_b32_e64 v3, v3, v9, s[0:1]
	v_cmp_gt_u32_e64 s[4:5], s13, v3
	v_cmp_le_u32_e64 s[2:3], s21, v10
	s_waitcnt lgkmcnt(0)
	v_cndmask_b32_e64 v12, v11, v8, s[0:1]
	v_cndmask_b32_e64 v11, v7, v11, s[0:1]
	v_and_b32_e32 v9, s22, v12
	v_and_b32_e32 v13, s22, v11
	v_cmp_le_i16_sdwa s[6:7], sext(v13), sext(v9) src0_sel:BYTE_0 src1_sel:BYTE_0
	s_and_b64 s[4:5], s[4:5], s[6:7]
	s_or_b64 s[2:3], s[2:3], s[4:5]
	v_cndmask_b32_e64 v9, v10, v3, s[2:3]
	v_cndmask_b32_e64 v13, v5, v6, s[2:3]
	v_add_u32_e32 v9, 1, v9
	v_add_u32_e32 v13, -1, v13
	v_min_u32_e32 v13, v9, v13
	ds_read_u8 v13, v13
	v_cndmask_b32_e64 v10, v9, v10, s[2:3]
	v_cndmask_b32_e64 v3, v3, v9, s[2:3]
	v_cmp_gt_u32_e64 s[6:7], s13, v3
	v_cmp_le_u32_e64 s[4:5], s21, v10
	s_waitcnt lgkmcnt(0)
	v_cndmask_b32_e64 v14, v13, v12, s[2:3]
	v_cndmask_b32_e64 v13, v11, v13, s[2:3]
	;; [unrolled: 18-line block ×4, first 2 shown]
	v_and_b32_e32 v3, s22, v18
	v_and_b32_e32 v19, s22, v17
	v_cmp_le_i16_sdwa s[24:25], sext(v19), sext(v3) src0_sel:BYTE_0 src1_sel:BYTE_0
	s_and_b64 s[10:11], s[10:11], s[24:25]
	s_or_b64 s[8:9], s[8:9], s[10:11]
	v_cndmask_b32_e64 v3, v10, v9, s[8:9]
	v_cndmask_b32_e64 v19, v5, v6, s[8:9]
	v_add_u32_e32 v20, 1, v3
	v_add_u32_e32 v3, -1, v19
	v_min_u32_e32 v3, v20, v3
	ds_read_u8 v19, v3
	v_cndmask_b32_e64 v3, v12, v11, s[2:3]
	v_cndmask_b32_e32 v1, v2, v1, vcc
	v_cndmask_b32_e64 v2, v8, v7, s[0:1]
	v_cndmask_b32_e64 v9, v9, v20, s[8:9]
	s_waitcnt lgkmcnt(0)
	v_cndmask_b32_e64 v11, v19, v18, s[8:9]
	v_cndmask_b32_e64 v12, v17, v19, s[8:9]
	v_and_b32_e32 v7, s22, v11
	v_and_b32_e32 v8, s22, v12
	v_cndmask_b32_e64 v10, v20, v10, s[8:9]
	v_cmp_gt_u32_e64 s[0:1], s13, v9
	v_cmp_le_i16_sdwa s[2:3], sext(v8), sext(v7) src0_sel:BYTE_0 src1_sel:BYTE_0
	v_cmp_le_u32_e32 vcc, s21, v10
	s_and_b64 s[0:1], s[0:1], s[2:3]
	s_or_b64 vcc, vcc, s[0:1]
	v_cndmask_b32_e32 v7, v10, v9, vcc
	v_cndmask_b32_e32 v5, v5, v6, vcc
	v_add_u32_e32 v19, 1, v7
	v_add_u32_e32 v5, -1, v5
	v_min_u32_e32 v5, v19, v5
	ds_read_u8 v20, v5
	v_cndmask_b32_e32 v8, v11, v12, vcc
	v_cndmask_b32_e32 v10, v19, v10, vcc
	;; [unrolled: 1-line block ×3, first 2 shown]
	v_cmp_gt_u32_e64 s[0:1], s13, v9
	s_waitcnt lgkmcnt(0)
	v_cndmask_b32_e32 v11, v20, v11, vcc
	v_cndmask_b32_e32 v12, v12, v20, vcc
	v_cmp_le_u32_e32 vcc, s21, v10
	v_and_b32_e32 v9, s22, v11
	v_and_b32_e32 v10, s22, v12
	v_cmp_le_i16_sdwa s[2:3], sext(v10), sext(v9) src0_sel:BYTE_0 src1_sel:BYTE_0
	s_and_b64 s[0:1], s[0:1], s[2:3]
	s_or_b64 vcc, vcc, s[0:1]
	v_cndmask_b32_e64 v5, v14, v13, s[4:5]
	v_cndmask_b32_e64 v6, v16, v15, s[6:7]
	;; [unrolled: 1-line block ×3, first 2 shown]
	v_cndmask_b32_e32 v11, v11, v12, vcc
.LBB179_31:
	s_or_b64 exec, exec, s[18:19]
	v_lshlrev_b16_e32 v7, 8, v7
	v_lshlrev_b16_e32 v2, 8, v2
	v_lshrrev_b32_e32 v9, 2, v0
	v_or_b32_sdwa v6, v6, v7 dst_sel:DWORD dst_unused:UNUSED_PAD src0_sel:BYTE_0 src1_sel:DWORD
	v_lshlrev_b16_e32 v7, 8, v11
	v_or_b32_sdwa v1, v1, v2 dst_sel:DWORD dst_unused:UNUSED_PAD src0_sel:BYTE_0 src1_sel:DWORD
	v_lshlrev_b16_e32 v2, 8, v5
	s_add_u32 s0, s16, s20
	v_and_b32_e32 v9, 28, v9
	v_or_b32_sdwa v7, v8, v7 dst_sel:WORD_1 dst_unused:UNUSED_PAD src0_sel:BYTE_0 src1_sel:DWORD
	v_or_b32_sdwa v2, v3, v2 dst_sel:WORD_1 dst_unused:UNUSED_PAD src0_sel:BYTE_0 src1_sel:DWORD
	s_addc_u32 s1, s17, 0
	v_add_u32_e32 v4, v9, v4
	v_or_b32_sdwa v6, v6, v7 dst_sel:DWORD dst_unused:UNUSED_PAD src0_sel:WORD_0 src1_sel:DWORD
	v_or_b32_sdwa v1, v1, v2 dst_sel:DWORD dst_unused:UNUSED_PAD src0_sel:WORD_0 src1_sel:DWORD
	s_barrier
	s_barrier
	ds_write2_b32 v4, v1, v6 offset1:1
	v_mov_b32_e32 v1, s1
	v_add_co_u32_e32 v2, vcc, s0, v0
	v_addc_co_u32_e32 v3, vcc, 0, v1, vcc
	s_and_b64 vcc, exec, s[14:15]
	v_add_u32_e32 v4, 4, v0
	v_add_u32_e32 v5, 8, v0
	;; [unrolled: 1-line block ×7, first 2 shown]
	s_waitcnt lgkmcnt(0)
	s_cbranch_vccz .LBB179_33
; %bb.32:
	s_barrier
	ds_read_u8 v11, v0
	ds_read_u8 v12, v4 offset:128
	ds_read_u8 v13, v5 offset:256
	;; [unrolled: 1-line block ×7, first 2 shown]
	s_waitcnt lgkmcnt(7)
	global_store_byte v[2:3], v11, off
	s_waitcnt lgkmcnt(6)
	global_store_byte v[2:3], v12, off offset:128
	s_waitcnt lgkmcnt(5)
	global_store_byte v[2:3], v13, off offset:256
	;; [unrolled: 2-line block ×6, first 2 shown]
	s_mov_b64 s[0:1], -1
	s_cbranch_execz .LBB179_34
	s_branch .LBB179_49
.LBB179_33:
	s_mov_b64 s[0:1], 0
                                        ; implicit-def: $vgpr1
.LBB179_34:
	s_barrier
	s_waitcnt lgkmcnt(0)
	ds_read_u8 v13, v4 offset:128
	ds_read_u8 v12, v5 offset:256
	;; [unrolled: 1-line block ×7, first 2 shown]
	s_sub_i32 s2, s12, s20
	v_or_b32_e32 v7, 0x80, v0
	v_cmp_gt_u32_e32 vcc, s2, v0
	s_and_saveexec_b64 s[0:1], vcc
	s_cbranch_execz .LBB179_36
; %bb.35:
	ds_read_u8 v8, v0
	s_waitcnt lgkmcnt(0)
	global_store_byte v[2:3], v8, off
.LBB179_36:
	s_or_b64 exec, exec, s[0:1]
	v_or_b32_e32 v8, 0x100, v0
	v_cmp_gt_u32_e32 vcc, s2, v7
	s_and_saveexec_b64 s[0:1], vcc
	s_cbranch_execz .LBB179_38
; %bb.37:
	s_waitcnt lgkmcnt(6)
	global_store_byte v[2:3], v13, off offset:128
.LBB179_38:
	s_or_b64 exec, exec, s[0:1]
	v_or_b32_e32 v7, 0x180, v0
	v_cmp_gt_u32_e32 vcc, s2, v8
	s_and_saveexec_b64 s[0:1], vcc
	s_cbranch_execz .LBB179_40
; %bb.39:
	s_waitcnt lgkmcnt(5)
	global_store_byte v[2:3], v12, off offset:256
.LBB179_40:
	;; [unrolled: 9-line block ×4, first 2 shown]
	s_or_b64 exec, exec, s[0:1]
	s_waitcnt lgkmcnt(3)
	v_or_b32_e32 v6, 0x300, v0
	v_cmp_gt_u32_e32 vcc, s2, v7
	s_and_saveexec_b64 s[0:1], vcc
	s_cbranch_execz .LBB179_46
; %bb.45:
	s_waitcnt lgkmcnt(2)
	global_store_byte v[2:3], v5, off offset:640
.LBB179_46:
	s_or_b64 exec, exec, s[0:1]
	v_or_b32_e32 v0, 0x380, v0
	v_cmp_gt_u32_e32 vcc, s2, v6
	s_and_saveexec_b64 s[0:1], vcc
	s_cbranch_execz .LBB179_48
; %bb.47:
	s_waitcnt lgkmcnt(1)
	global_store_byte v[2:3], v4, off offset:768
.LBB179_48:
	s_or_b64 exec, exec, s[0:1]
	v_cmp_gt_u32_e64 s[0:1], s2, v0
.LBB179_49:
	s_and_saveexec_b64 s[2:3], s[0:1]
	s_cbranch_execz .LBB179_51
; %bb.50:
	s_waitcnt lgkmcnt(0)
	global_store_byte v[2:3], v1, off offset:896
.LBB179_51:
	s_endpgm
	.section	.rodata,"a",@progbits
	.p2align	6, 0x0
	.amdhsa_kernel _ZN7rocprim17ROCPRIM_400000_NS6detail17trampoline_kernelINS0_14default_configENS1_38merge_sort_block_merge_config_selectorIaNS0_10empty_typeEEEZZNS1_27merge_sort_block_merge_implIS3_PaPS5_jNS1_19radix_merge_compareILb0ELb1EaNS0_19identity_decomposerEEEEE10hipError_tT0_T1_T2_jT3_P12ihipStream_tbPNSt15iterator_traitsISE_E10value_typeEPNSK_ISF_E10value_typeEPSG_NS1_7vsmem_tEENKUlT_SE_SF_SG_E_clIS8_S8_S9_S9_EESD_ST_SE_SF_SG_EUlST_E0_NS1_11comp_targetILNS1_3genE4ELNS1_11target_archE910ELNS1_3gpuE8ELNS1_3repE0EEENS1_38merge_mergepath_config_static_selectorELNS0_4arch9wavefront6targetE1EEEvSF_
		.amdhsa_group_segment_fixed_size 1056
		.amdhsa_private_segment_fixed_size 0
		.amdhsa_kernarg_size 320
		.amdhsa_user_sgpr_count 6
		.amdhsa_user_sgpr_private_segment_buffer 1
		.amdhsa_user_sgpr_dispatch_ptr 0
		.amdhsa_user_sgpr_queue_ptr 0
		.amdhsa_user_sgpr_kernarg_segment_ptr 1
		.amdhsa_user_sgpr_dispatch_id 0
		.amdhsa_user_sgpr_flat_scratch_init 0
		.amdhsa_user_sgpr_kernarg_preload_length 0
		.amdhsa_user_sgpr_kernarg_preload_offset 0
		.amdhsa_user_sgpr_private_segment_size 0
		.amdhsa_uses_dynamic_stack 0
		.amdhsa_system_sgpr_private_segment_wavefront_offset 0
		.amdhsa_system_sgpr_workgroup_id_x 1
		.amdhsa_system_sgpr_workgroup_id_y 1
		.amdhsa_system_sgpr_workgroup_id_z 1
		.amdhsa_system_sgpr_workgroup_info 0
		.amdhsa_system_vgpr_workitem_id 0
		.amdhsa_next_free_vgpr 28
		.amdhsa_next_free_sgpr 26
		.amdhsa_accum_offset 28
		.amdhsa_reserve_vcc 1
		.amdhsa_reserve_flat_scratch 0
		.amdhsa_float_round_mode_32 0
		.amdhsa_float_round_mode_16_64 0
		.amdhsa_float_denorm_mode_32 3
		.amdhsa_float_denorm_mode_16_64 3
		.amdhsa_dx10_clamp 1
		.amdhsa_ieee_mode 1
		.amdhsa_fp16_overflow 0
		.amdhsa_tg_split 0
		.amdhsa_exception_fp_ieee_invalid_op 0
		.amdhsa_exception_fp_denorm_src 0
		.amdhsa_exception_fp_ieee_div_zero 0
		.amdhsa_exception_fp_ieee_overflow 0
		.amdhsa_exception_fp_ieee_underflow 0
		.amdhsa_exception_fp_ieee_inexact 0
		.amdhsa_exception_int_div_zero 0
	.end_amdhsa_kernel
	.section	.text._ZN7rocprim17ROCPRIM_400000_NS6detail17trampoline_kernelINS0_14default_configENS1_38merge_sort_block_merge_config_selectorIaNS0_10empty_typeEEEZZNS1_27merge_sort_block_merge_implIS3_PaPS5_jNS1_19radix_merge_compareILb0ELb1EaNS0_19identity_decomposerEEEEE10hipError_tT0_T1_T2_jT3_P12ihipStream_tbPNSt15iterator_traitsISE_E10value_typeEPNSK_ISF_E10value_typeEPSG_NS1_7vsmem_tEENKUlT_SE_SF_SG_E_clIS8_S8_S9_S9_EESD_ST_SE_SF_SG_EUlST_E0_NS1_11comp_targetILNS1_3genE4ELNS1_11target_archE910ELNS1_3gpuE8ELNS1_3repE0EEENS1_38merge_mergepath_config_static_selectorELNS0_4arch9wavefront6targetE1EEEvSF_,"axG",@progbits,_ZN7rocprim17ROCPRIM_400000_NS6detail17trampoline_kernelINS0_14default_configENS1_38merge_sort_block_merge_config_selectorIaNS0_10empty_typeEEEZZNS1_27merge_sort_block_merge_implIS3_PaPS5_jNS1_19radix_merge_compareILb0ELb1EaNS0_19identity_decomposerEEEEE10hipError_tT0_T1_T2_jT3_P12ihipStream_tbPNSt15iterator_traitsISE_E10value_typeEPNSK_ISF_E10value_typeEPSG_NS1_7vsmem_tEENKUlT_SE_SF_SG_E_clIS8_S8_S9_S9_EESD_ST_SE_SF_SG_EUlST_E0_NS1_11comp_targetILNS1_3genE4ELNS1_11target_archE910ELNS1_3gpuE8ELNS1_3repE0EEENS1_38merge_mergepath_config_static_selectorELNS0_4arch9wavefront6targetE1EEEvSF_,comdat
.Lfunc_end179:
	.size	_ZN7rocprim17ROCPRIM_400000_NS6detail17trampoline_kernelINS0_14default_configENS1_38merge_sort_block_merge_config_selectorIaNS0_10empty_typeEEEZZNS1_27merge_sort_block_merge_implIS3_PaPS5_jNS1_19radix_merge_compareILb0ELb1EaNS0_19identity_decomposerEEEEE10hipError_tT0_T1_T2_jT3_P12ihipStream_tbPNSt15iterator_traitsISE_E10value_typeEPNSK_ISF_E10value_typeEPSG_NS1_7vsmem_tEENKUlT_SE_SF_SG_E_clIS8_S8_S9_S9_EESD_ST_SE_SF_SG_EUlST_E0_NS1_11comp_targetILNS1_3genE4ELNS1_11target_archE910ELNS1_3gpuE8ELNS1_3repE0EEENS1_38merge_mergepath_config_static_selectorELNS0_4arch9wavefront6targetE1EEEvSF_, .Lfunc_end179-_ZN7rocprim17ROCPRIM_400000_NS6detail17trampoline_kernelINS0_14default_configENS1_38merge_sort_block_merge_config_selectorIaNS0_10empty_typeEEEZZNS1_27merge_sort_block_merge_implIS3_PaPS5_jNS1_19radix_merge_compareILb0ELb1EaNS0_19identity_decomposerEEEEE10hipError_tT0_T1_T2_jT3_P12ihipStream_tbPNSt15iterator_traitsISE_E10value_typeEPNSK_ISF_E10value_typeEPSG_NS1_7vsmem_tEENKUlT_SE_SF_SG_E_clIS8_S8_S9_S9_EESD_ST_SE_SF_SG_EUlST_E0_NS1_11comp_targetILNS1_3genE4ELNS1_11target_archE910ELNS1_3gpuE8ELNS1_3repE0EEENS1_38merge_mergepath_config_static_selectorELNS0_4arch9wavefront6targetE1EEEvSF_
                                        ; -- End function
	.section	.AMDGPU.csdata,"",@progbits
; Kernel info:
; codeLenInByte = 3196
; NumSgprs: 30
; NumVgprs: 28
; NumAgprs: 0
; TotalNumVgprs: 28
; ScratchSize: 0
; MemoryBound: 0
; FloatMode: 240
; IeeeMode: 1
; LDSByteSize: 1056 bytes/workgroup (compile time only)
; SGPRBlocks: 3
; VGPRBlocks: 3
; NumSGPRsForWavesPerEU: 30
; NumVGPRsForWavesPerEU: 28
; AccumOffset: 28
; Occupancy: 8
; WaveLimiterHint : 1
; COMPUTE_PGM_RSRC2:SCRATCH_EN: 0
; COMPUTE_PGM_RSRC2:USER_SGPR: 6
; COMPUTE_PGM_RSRC2:TRAP_HANDLER: 0
; COMPUTE_PGM_RSRC2:TGID_X_EN: 1
; COMPUTE_PGM_RSRC2:TGID_Y_EN: 1
; COMPUTE_PGM_RSRC2:TGID_Z_EN: 1
; COMPUTE_PGM_RSRC2:TIDIG_COMP_CNT: 0
; COMPUTE_PGM_RSRC3_GFX90A:ACCUM_OFFSET: 6
; COMPUTE_PGM_RSRC3_GFX90A:TG_SPLIT: 0
	.section	.text._ZN7rocprim17ROCPRIM_400000_NS6detail17trampoline_kernelINS0_14default_configENS1_38merge_sort_block_merge_config_selectorIaNS0_10empty_typeEEEZZNS1_27merge_sort_block_merge_implIS3_PaPS5_jNS1_19radix_merge_compareILb0ELb1EaNS0_19identity_decomposerEEEEE10hipError_tT0_T1_T2_jT3_P12ihipStream_tbPNSt15iterator_traitsISE_E10value_typeEPNSK_ISF_E10value_typeEPSG_NS1_7vsmem_tEENKUlT_SE_SF_SG_E_clIS8_S8_S9_S9_EESD_ST_SE_SF_SG_EUlST_E0_NS1_11comp_targetILNS1_3genE3ELNS1_11target_archE908ELNS1_3gpuE7ELNS1_3repE0EEENS1_38merge_mergepath_config_static_selectorELNS0_4arch9wavefront6targetE1EEEvSF_,"axG",@progbits,_ZN7rocprim17ROCPRIM_400000_NS6detail17trampoline_kernelINS0_14default_configENS1_38merge_sort_block_merge_config_selectorIaNS0_10empty_typeEEEZZNS1_27merge_sort_block_merge_implIS3_PaPS5_jNS1_19radix_merge_compareILb0ELb1EaNS0_19identity_decomposerEEEEE10hipError_tT0_T1_T2_jT3_P12ihipStream_tbPNSt15iterator_traitsISE_E10value_typeEPNSK_ISF_E10value_typeEPSG_NS1_7vsmem_tEENKUlT_SE_SF_SG_E_clIS8_S8_S9_S9_EESD_ST_SE_SF_SG_EUlST_E0_NS1_11comp_targetILNS1_3genE3ELNS1_11target_archE908ELNS1_3gpuE7ELNS1_3repE0EEENS1_38merge_mergepath_config_static_selectorELNS0_4arch9wavefront6targetE1EEEvSF_,comdat
	.protected	_ZN7rocprim17ROCPRIM_400000_NS6detail17trampoline_kernelINS0_14default_configENS1_38merge_sort_block_merge_config_selectorIaNS0_10empty_typeEEEZZNS1_27merge_sort_block_merge_implIS3_PaPS5_jNS1_19radix_merge_compareILb0ELb1EaNS0_19identity_decomposerEEEEE10hipError_tT0_T1_T2_jT3_P12ihipStream_tbPNSt15iterator_traitsISE_E10value_typeEPNSK_ISF_E10value_typeEPSG_NS1_7vsmem_tEENKUlT_SE_SF_SG_E_clIS8_S8_S9_S9_EESD_ST_SE_SF_SG_EUlST_E0_NS1_11comp_targetILNS1_3genE3ELNS1_11target_archE908ELNS1_3gpuE7ELNS1_3repE0EEENS1_38merge_mergepath_config_static_selectorELNS0_4arch9wavefront6targetE1EEEvSF_ ; -- Begin function _ZN7rocprim17ROCPRIM_400000_NS6detail17trampoline_kernelINS0_14default_configENS1_38merge_sort_block_merge_config_selectorIaNS0_10empty_typeEEEZZNS1_27merge_sort_block_merge_implIS3_PaPS5_jNS1_19radix_merge_compareILb0ELb1EaNS0_19identity_decomposerEEEEE10hipError_tT0_T1_T2_jT3_P12ihipStream_tbPNSt15iterator_traitsISE_E10value_typeEPNSK_ISF_E10value_typeEPSG_NS1_7vsmem_tEENKUlT_SE_SF_SG_E_clIS8_S8_S9_S9_EESD_ST_SE_SF_SG_EUlST_E0_NS1_11comp_targetILNS1_3genE3ELNS1_11target_archE908ELNS1_3gpuE7ELNS1_3repE0EEENS1_38merge_mergepath_config_static_selectorELNS0_4arch9wavefront6targetE1EEEvSF_
	.globl	_ZN7rocprim17ROCPRIM_400000_NS6detail17trampoline_kernelINS0_14default_configENS1_38merge_sort_block_merge_config_selectorIaNS0_10empty_typeEEEZZNS1_27merge_sort_block_merge_implIS3_PaPS5_jNS1_19radix_merge_compareILb0ELb1EaNS0_19identity_decomposerEEEEE10hipError_tT0_T1_T2_jT3_P12ihipStream_tbPNSt15iterator_traitsISE_E10value_typeEPNSK_ISF_E10value_typeEPSG_NS1_7vsmem_tEENKUlT_SE_SF_SG_E_clIS8_S8_S9_S9_EESD_ST_SE_SF_SG_EUlST_E0_NS1_11comp_targetILNS1_3genE3ELNS1_11target_archE908ELNS1_3gpuE7ELNS1_3repE0EEENS1_38merge_mergepath_config_static_selectorELNS0_4arch9wavefront6targetE1EEEvSF_
	.p2align	8
	.type	_ZN7rocprim17ROCPRIM_400000_NS6detail17trampoline_kernelINS0_14default_configENS1_38merge_sort_block_merge_config_selectorIaNS0_10empty_typeEEEZZNS1_27merge_sort_block_merge_implIS3_PaPS5_jNS1_19radix_merge_compareILb0ELb1EaNS0_19identity_decomposerEEEEE10hipError_tT0_T1_T2_jT3_P12ihipStream_tbPNSt15iterator_traitsISE_E10value_typeEPNSK_ISF_E10value_typeEPSG_NS1_7vsmem_tEENKUlT_SE_SF_SG_E_clIS8_S8_S9_S9_EESD_ST_SE_SF_SG_EUlST_E0_NS1_11comp_targetILNS1_3genE3ELNS1_11target_archE908ELNS1_3gpuE7ELNS1_3repE0EEENS1_38merge_mergepath_config_static_selectorELNS0_4arch9wavefront6targetE1EEEvSF_,@function
_ZN7rocprim17ROCPRIM_400000_NS6detail17trampoline_kernelINS0_14default_configENS1_38merge_sort_block_merge_config_selectorIaNS0_10empty_typeEEEZZNS1_27merge_sort_block_merge_implIS3_PaPS5_jNS1_19radix_merge_compareILb0ELb1EaNS0_19identity_decomposerEEEEE10hipError_tT0_T1_T2_jT3_P12ihipStream_tbPNSt15iterator_traitsISE_E10value_typeEPNSK_ISF_E10value_typeEPSG_NS1_7vsmem_tEENKUlT_SE_SF_SG_E_clIS8_S8_S9_S9_EESD_ST_SE_SF_SG_EUlST_E0_NS1_11comp_targetILNS1_3genE3ELNS1_11target_archE908ELNS1_3gpuE7ELNS1_3repE0EEENS1_38merge_mergepath_config_static_selectorELNS0_4arch9wavefront6targetE1EEEvSF_: ; @_ZN7rocprim17ROCPRIM_400000_NS6detail17trampoline_kernelINS0_14default_configENS1_38merge_sort_block_merge_config_selectorIaNS0_10empty_typeEEEZZNS1_27merge_sort_block_merge_implIS3_PaPS5_jNS1_19radix_merge_compareILb0ELb1EaNS0_19identity_decomposerEEEEE10hipError_tT0_T1_T2_jT3_P12ihipStream_tbPNSt15iterator_traitsISE_E10value_typeEPNSK_ISF_E10value_typeEPSG_NS1_7vsmem_tEENKUlT_SE_SF_SG_E_clIS8_S8_S9_S9_EESD_ST_SE_SF_SG_EUlST_E0_NS1_11comp_targetILNS1_3genE3ELNS1_11target_archE908ELNS1_3gpuE7ELNS1_3repE0EEENS1_38merge_mergepath_config_static_selectorELNS0_4arch9wavefront6targetE1EEEvSF_
; %bb.0:
	.section	.rodata,"a",@progbits
	.p2align	6, 0x0
	.amdhsa_kernel _ZN7rocprim17ROCPRIM_400000_NS6detail17trampoline_kernelINS0_14default_configENS1_38merge_sort_block_merge_config_selectorIaNS0_10empty_typeEEEZZNS1_27merge_sort_block_merge_implIS3_PaPS5_jNS1_19radix_merge_compareILb0ELb1EaNS0_19identity_decomposerEEEEE10hipError_tT0_T1_T2_jT3_P12ihipStream_tbPNSt15iterator_traitsISE_E10value_typeEPNSK_ISF_E10value_typeEPSG_NS1_7vsmem_tEENKUlT_SE_SF_SG_E_clIS8_S8_S9_S9_EESD_ST_SE_SF_SG_EUlST_E0_NS1_11comp_targetILNS1_3genE3ELNS1_11target_archE908ELNS1_3gpuE7ELNS1_3repE0EEENS1_38merge_mergepath_config_static_selectorELNS0_4arch9wavefront6targetE1EEEvSF_
		.amdhsa_group_segment_fixed_size 0
		.amdhsa_private_segment_fixed_size 0
		.amdhsa_kernarg_size 64
		.amdhsa_user_sgpr_count 6
		.amdhsa_user_sgpr_private_segment_buffer 1
		.amdhsa_user_sgpr_dispatch_ptr 0
		.amdhsa_user_sgpr_queue_ptr 0
		.amdhsa_user_sgpr_kernarg_segment_ptr 1
		.amdhsa_user_sgpr_dispatch_id 0
		.amdhsa_user_sgpr_flat_scratch_init 0
		.amdhsa_user_sgpr_kernarg_preload_length 0
		.amdhsa_user_sgpr_kernarg_preload_offset 0
		.amdhsa_user_sgpr_private_segment_size 0
		.amdhsa_uses_dynamic_stack 0
		.amdhsa_system_sgpr_private_segment_wavefront_offset 0
		.amdhsa_system_sgpr_workgroup_id_x 1
		.amdhsa_system_sgpr_workgroup_id_y 0
		.amdhsa_system_sgpr_workgroup_id_z 0
		.amdhsa_system_sgpr_workgroup_info 0
		.amdhsa_system_vgpr_workitem_id 0
		.amdhsa_next_free_vgpr 1
		.amdhsa_next_free_sgpr 0
		.amdhsa_accum_offset 4
		.amdhsa_reserve_vcc 0
		.amdhsa_reserve_flat_scratch 0
		.amdhsa_float_round_mode_32 0
		.amdhsa_float_round_mode_16_64 0
		.amdhsa_float_denorm_mode_32 3
		.amdhsa_float_denorm_mode_16_64 3
		.amdhsa_dx10_clamp 1
		.amdhsa_ieee_mode 1
		.amdhsa_fp16_overflow 0
		.amdhsa_tg_split 0
		.amdhsa_exception_fp_ieee_invalid_op 0
		.amdhsa_exception_fp_denorm_src 0
		.amdhsa_exception_fp_ieee_div_zero 0
		.amdhsa_exception_fp_ieee_overflow 0
		.amdhsa_exception_fp_ieee_underflow 0
		.amdhsa_exception_fp_ieee_inexact 0
		.amdhsa_exception_int_div_zero 0
	.end_amdhsa_kernel
	.section	.text._ZN7rocprim17ROCPRIM_400000_NS6detail17trampoline_kernelINS0_14default_configENS1_38merge_sort_block_merge_config_selectorIaNS0_10empty_typeEEEZZNS1_27merge_sort_block_merge_implIS3_PaPS5_jNS1_19radix_merge_compareILb0ELb1EaNS0_19identity_decomposerEEEEE10hipError_tT0_T1_T2_jT3_P12ihipStream_tbPNSt15iterator_traitsISE_E10value_typeEPNSK_ISF_E10value_typeEPSG_NS1_7vsmem_tEENKUlT_SE_SF_SG_E_clIS8_S8_S9_S9_EESD_ST_SE_SF_SG_EUlST_E0_NS1_11comp_targetILNS1_3genE3ELNS1_11target_archE908ELNS1_3gpuE7ELNS1_3repE0EEENS1_38merge_mergepath_config_static_selectorELNS0_4arch9wavefront6targetE1EEEvSF_,"axG",@progbits,_ZN7rocprim17ROCPRIM_400000_NS6detail17trampoline_kernelINS0_14default_configENS1_38merge_sort_block_merge_config_selectorIaNS0_10empty_typeEEEZZNS1_27merge_sort_block_merge_implIS3_PaPS5_jNS1_19radix_merge_compareILb0ELb1EaNS0_19identity_decomposerEEEEE10hipError_tT0_T1_T2_jT3_P12ihipStream_tbPNSt15iterator_traitsISE_E10value_typeEPNSK_ISF_E10value_typeEPSG_NS1_7vsmem_tEENKUlT_SE_SF_SG_E_clIS8_S8_S9_S9_EESD_ST_SE_SF_SG_EUlST_E0_NS1_11comp_targetILNS1_3genE3ELNS1_11target_archE908ELNS1_3gpuE7ELNS1_3repE0EEENS1_38merge_mergepath_config_static_selectorELNS0_4arch9wavefront6targetE1EEEvSF_,comdat
.Lfunc_end180:
	.size	_ZN7rocprim17ROCPRIM_400000_NS6detail17trampoline_kernelINS0_14default_configENS1_38merge_sort_block_merge_config_selectorIaNS0_10empty_typeEEEZZNS1_27merge_sort_block_merge_implIS3_PaPS5_jNS1_19radix_merge_compareILb0ELb1EaNS0_19identity_decomposerEEEEE10hipError_tT0_T1_T2_jT3_P12ihipStream_tbPNSt15iterator_traitsISE_E10value_typeEPNSK_ISF_E10value_typeEPSG_NS1_7vsmem_tEENKUlT_SE_SF_SG_E_clIS8_S8_S9_S9_EESD_ST_SE_SF_SG_EUlST_E0_NS1_11comp_targetILNS1_3genE3ELNS1_11target_archE908ELNS1_3gpuE7ELNS1_3repE0EEENS1_38merge_mergepath_config_static_selectorELNS0_4arch9wavefront6targetE1EEEvSF_, .Lfunc_end180-_ZN7rocprim17ROCPRIM_400000_NS6detail17trampoline_kernelINS0_14default_configENS1_38merge_sort_block_merge_config_selectorIaNS0_10empty_typeEEEZZNS1_27merge_sort_block_merge_implIS3_PaPS5_jNS1_19radix_merge_compareILb0ELb1EaNS0_19identity_decomposerEEEEE10hipError_tT0_T1_T2_jT3_P12ihipStream_tbPNSt15iterator_traitsISE_E10value_typeEPNSK_ISF_E10value_typeEPSG_NS1_7vsmem_tEENKUlT_SE_SF_SG_E_clIS8_S8_S9_S9_EESD_ST_SE_SF_SG_EUlST_E0_NS1_11comp_targetILNS1_3genE3ELNS1_11target_archE908ELNS1_3gpuE7ELNS1_3repE0EEENS1_38merge_mergepath_config_static_selectorELNS0_4arch9wavefront6targetE1EEEvSF_
                                        ; -- End function
	.section	.AMDGPU.csdata,"",@progbits
; Kernel info:
; codeLenInByte = 0
; NumSgprs: 4
; NumVgprs: 0
; NumAgprs: 0
; TotalNumVgprs: 0
; ScratchSize: 0
; MemoryBound: 0
; FloatMode: 240
; IeeeMode: 1
; LDSByteSize: 0 bytes/workgroup (compile time only)
; SGPRBlocks: 0
; VGPRBlocks: 0
; NumSGPRsForWavesPerEU: 4
; NumVGPRsForWavesPerEU: 1
; AccumOffset: 4
; Occupancy: 8
; WaveLimiterHint : 0
; COMPUTE_PGM_RSRC2:SCRATCH_EN: 0
; COMPUTE_PGM_RSRC2:USER_SGPR: 6
; COMPUTE_PGM_RSRC2:TRAP_HANDLER: 0
; COMPUTE_PGM_RSRC2:TGID_X_EN: 1
; COMPUTE_PGM_RSRC2:TGID_Y_EN: 0
; COMPUTE_PGM_RSRC2:TGID_Z_EN: 0
; COMPUTE_PGM_RSRC2:TIDIG_COMP_CNT: 0
; COMPUTE_PGM_RSRC3_GFX90A:ACCUM_OFFSET: 0
; COMPUTE_PGM_RSRC3_GFX90A:TG_SPLIT: 0
	.section	.text._ZN7rocprim17ROCPRIM_400000_NS6detail17trampoline_kernelINS0_14default_configENS1_38merge_sort_block_merge_config_selectorIaNS0_10empty_typeEEEZZNS1_27merge_sort_block_merge_implIS3_PaPS5_jNS1_19radix_merge_compareILb0ELb1EaNS0_19identity_decomposerEEEEE10hipError_tT0_T1_T2_jT3_P12ihipStream_tbPNSt15iterator_traitsISE_E10value_typeEPNSK_ISF_E10value_typeEPSG_NS1_7vsmem_tEENKUlT_SE_SF_SG_E_clIS8_S8_S9_S9_EESD_ST_SE_SF_SG_EUlST_E0_NS1_11comp_targetILNS1_3genE2ELNS1_11target_archE906ELNS1_3gpuE6ELNS1_3repE0EEENS1_38merge_mergepath_config_static_selectorELNS0_4arch9wavefront6targetE1EEEvSF_,"axG",@progbits,_ZN7rocprim17ROCPRIM_400000_NS6detail17trampoline_kernelINS0_14default_configENS1_38merge_sort_block_merge_config_selectorIaNS0_10empty_typeEEEZZNS1_27merge_sort_block_merge_implIS3_PaPS5_jNS1_19radix_merge_compareILb0ELb1EaNS0_19identity_decomposerEEEEE10hipError_tT0_T1_T2_jT3_P12ihipStream_tbPNSt15iterator_traitsISE_E10value_typeEPNSK_ISF_E10value_typeEPSG_NS1_7vsmem_tEENKUlT_SE_SF_SG_E_clIS8_S8_S9_S9_EESD_ST_SE_SF_SG_EUlST_E0_NS1_11comp_targetILNS1_3genE2ELNS1_11target_archE906ELNS1_3gpuE6ELNS1_3repE0EEENS1_38merge_mergepath_config_static_selectorELNS0_4arch9wavefront6targetE1EEEvSF_,comdat
	.protected	_ZN7rocprim17ROCPRIM_400000_NS6detail17trampoline_kernelINS0_14default_configENS1_38merge_sort_block_merge_config_selectorIaNS0_10empty_typeEEEZZNS1_27merge_sort_block_merge_implIS3_PaPS5_jNS1_19radix_merge_compareILb0ELb1EaNS0_19identity_decomposerEEEEE10hipError_tT0_T1_T2_jT3_P12ihipStream_tbPNSt15iterator_traitsISE_E10value_typeEPNSK_ISF_E10value_typeEPSG_NS1_7vsmem_tEENKUlT_SE_SF_SG_E_clIS8_S8_S9_S9_EESD_ST_SE_SF_SG_EUlST_E0_NS1_11comp_targetILNS1_3genE2ELNS1_11target_archE906ELNS1_3gpuE6ELNS1_3repE0EEENS1_38merge_mergepath_config_static_selectorELNS0_4arch9wavefront6targetE1EEEvSF_ ; -- Begin function _ZN7rocprim17ROCPRIM_400000_NS6detail17trampoline_kernelINS0_14default_configENS1_38merge_sort_block_merge_config_selectorIaNS0_10empty_typeEEEZZNS1_27merge_sort_block_merge_implIS3_PaPS5_jNS1_19radix_merge_compareILb0ELb1EaNS0_19identity_decomposerEEEEE10hipError_tT0_T1_T2_jT3_P12ihipStream_tbPNSt15iterator_traitsISE_E10value_typeEPNSK_ISF_E10value_typeEPSG_NS1_7vsmem_tEENKUlT_SE_SF_SG_E_clIS8_S8_S9_S9_EESD_ST_SE_SF_SG_EUlST_E0_NS1_11comp_targetILNS1_3genE2ELNS1_11target_archE906ELNS1_3gpuE6ELNS1_3repE0EEENS1_38merge_mergepath_config_static_selectorELNS0_4arch9wavefront6targetE1EEEvSF_
	.globl	_ZN7rocprim17ROCPRIM_400000_NS6detail17trampoline_kernelINS0_14default_configENS1_38merge_sort_block_merge_config_selectorIaNS0_10empty_typeEEEZZNS1_27merge_sort_block_merge_implIS3_PaPS5_jNS1_19radix_merge_compareILb0ELb1EaNS0_19identity_decomposerEEEEE10hipError_tT0_T1_T2_jT3_P12ihipStream_tbPNSt15iterator_traitsISE_E10value_typeEPNSK_ISF_E10value_typeEPSG_NS1_7vsmem_tEENKUlT_SE_SF_SG_E_clIS8_S8_S9_S9_EESD_ST_SE_SF_SG_EUlST_E0_NS1_11comp_targetILNS1_3genE2ELNS1_11target_archE906ELNS1_3gpuE6ELNS1_3repE0EEENS1_38merge_mergepath_config_static_selectorELNS0_4arch9wavefront6targetE1EEEvSF_
	.p2align	8
	.type	_ZN7rocprim17ROCPRIM_400000_NS6detail17trampoline_kernelINS0_14default_configENS1_38merge_sort_block_merge_config_selectorIaNS0_10empty_typeEEEZZNS1_27merge_sort_block_merge_implIS3_PaPS5_jNS1_19radix_merge_compareILb0ELb1EaNS0_19identity_decomposerEEEEE10hipError_tT0_T1_T2_jT3_P12ihipStream_tbPNSt15iterator_traitsISE_E10value_typeEPNSK_ISF_E10value_typeEPSG_NS1_7vsmem_tEENKUlT_SE_SF_SG_E_clIS8_S8_S9_S9_EESD_ST_SE_SF_SG_EUlST_E0_NS1_11comp_targetILNS1_3genE2ELNS1_11target_archE906ELNS1_3gpuE6ELNS1_3repE0EEENS1_38merge_mergepath_config_static_selectorELNS0_4arch9wavefront6targetE1EEEvSF_,@function
_ZN7rocprim17ROCPRIM_400000_NS6detail17trampoline_kernelINS0_14default_configENS1_38merge_sort_block_merge_config_selectorIaNS0_10empty_typeEEEZZNS1_27merge_sort_block_merge_implIS3_PaPS5_jNS1_19radix_merge_compareILb0ELb1EaNS0_19identity_decomposerEEEEE10hipError_tT0_T1_T2_jT3_P12ihipStream_tbPNSt15iterator_traitsISE_E10value_typeEPNSK_ISF_E10value_typeEPSG_NS1_7vsmem_tEENKUlT_SE_SF_SG_E_clIS8_S8_S9_S9_EESD_ST_SE_SF_SG_EUlST_E0_NS1_11comp_targetILNS1_3genE2ELNS1_11target_archE906ELNS1_3gpuE6ELNS1_3repE0EEENS1_38merge_mergepath_config_static_selectorELNS0_4arch9wavefront6targetE1EEEvSF_: ; @_ZN7rocprim17ROCPRIM_400000_NS6detail17trampoline_kernelINS0_14default_configENS1_38merge_sort_block_merge_config_selectorIaNS0_10empty_typeEEEZZNS1_27merge_sort_block_merge_implIS3_PaPS5_jNS1_19radix_merge_compareILb0ELb1EaNS0_19identity_decomposerEEEEE10hipError_tT0_T1_T2_jT3_P12ihipStream_tbPNSt15iterator_traitsISE_E10value_typeEPNSK_ISF_E10value_typeEPSG_NS1_7vsmem_tEENKUlT_SE_SF_SG_E_clIS8_S8_S9_S9_EESD_ST_SE_SF_SG_EUlST_E0_NS1_11comp_targetILNS1_3genE2ELNS1_11target_archE906ELNS1_3gpuE6ELNS1_3repE0EEENS1_38merge_mergepath_config_static_selectorELNS0_4arch9wavefront6targetE1EEEvSF_
; %bb.0:
	.section	.rodata,"a",@progbits
	.p2align	6, 0x0
	.amdhsa_kernel _ZN7rocprim17ROCPRIM_400000_NS6detail17trampoline_kernelINS0_14default_configENS1_38merge_sort_block_merge_config_selectorIaNS0_10empty_typeEEEZZNS1_27merge_sort_block_merge_implIS3_PaPS5_jNS1_19radix_merge_compareILb0ELb1EaNS0_19identity_decomposerEEEEE10hipError_tT0_T1_T2_jT3_P12ihipStream_tbPNSt15iterator_traitsISE_E10value_typeEPNSK_ISF_E10value_typeEPSG_NS1_7vsmem_tEENKUlT_SE_SF_SG_E_clIS8_S8_S9_S9_EESD_ST_SE_SF_SG_EUlST_E0_NS1_11comp_targetILNS1_3genE2ELNS1_11target_archE906ELNS1_3gpuE6ELNS1_3repE0EEENS1_38merge_mergepath_config_static_selectorELNS0_4arch9wavefront6targetE1EEEvSF_
		.amdhsa_group_segment_fixed_size 0
		.amdhsa_private_segment_fixed_size 0
		.amdhsa_kernarg_size 64
		.amdhsa_user_sgpr_count 6
		.amdhsa_user_sgpr_private_segment_buffer 1
		.amdhsa_user_sgpr_dispatch_ptr 0
		.amdhsa_user_sgpr_queue_ptr 0
		.amdhsa_user_sgpr_kernarg_segment_ptr 1
		.amdhsa_user_sgpr_dispatch_id 0
		.amdhsa_user_sgpr_flat_scratch_init 0
		.amdhsa_user_sgpr_kernarg_preload_length 0
		.amdhsa_user_sgpr_kernarg_preload_offset 0
		.amdhsa_user_sgpr_private_segment_size 0
		.amdhsa_uses_dynamic_stack 0
		.amdhsa_system_sgpr_private_segment_wavefront_offset 0
		.amdhsa_system_sgpr_workgroup_id_x 1
		.amdhsa_system_sgpr_workgroup_id_y 0
		.amdhsa_system_sgpr_workgroup_id_z 0
		.amdhsa_system_sgpr_workgroup_info 0
		.amdhsa_system_vgpr_workitem_id 0
		.amdhsa_next_free_vgpr 1
		.amdhsa_next_free_sgpr 0
		.amdhsa_accum_offset 4
		.amdhsa_reserve_vcc 0
		.amdhsa_reserve_flat_scratch 0
		.amdhsa_float_round_mode_32 0
		.amdhsa_float_round_mode_16_64 0
		.amdhsa_float_denorm_mode_32 3
		.amdhsa_float_denorm_mode_16_64 3
		.amdhsa_dx10_clamp 1
		.amdhsa_ieee_mode 1
		.amdhsa_fp16_overflow 0
		.amdhsa_tg_split 0
		.amdhsa_exception_fp_ieee_invalid_op 0
		.amdhsa_exception_fp_denorm_src 0
		.amdhsa_exception_fp_ieee_div_zero 0
		.amdhsa_exception_fp_ieee_overflow 0
		.amdhsa_exception_fp_ieee_underflow 0
		.amdhsa_exception_fp_ieee_inexact 0
		.amdhsa_exception_int_div_zero 0
	.end_amdhsa_kernel
	.section	.text._ZN7rocprim17ROCPRIM_400000_NS6detail17trampoline_kernelINS0_14default_configENS1_38merge_sort_block_merge_config_selectorIaNS0_10empty_typeEEEZZNS1_27merge_sort_block_merge_implIS3_PaPS5_jNS1_19radix_merge_compareILb0ELb1EaNS0_19identity_decomposerEEEEE10hipError_tT0_T1_T2_jT3_P12ihipStream_tbPNSt15iterator_traitsISE_E10value_typeEPNSK_ISF_E10value_typeEPSG_NS1_7vsmem_tEENKUlT_SE_SF_SG_E_clIS8_S8_S9_S9_EESD_ST_SE_SF_SG_EUlST_E0_NS1_11comp_targetILNS1_3genE2ELNS1_11target_archE906ELNS1_3gpuE6ELNS1_3repE0EEENS1_38merge_mergepath_config_static_selectorELNS0_4arch9wavefront6targetE1EEEvSF_,"axG",@progbits,_ZN7rocprim17ROCPRIM_400000_NS6detail17trampoline_kernelINS0_14default_configENS1_38merge_sort_block_merge_config_selectorIaNS0_10empty_typeEEEZZNS1_27merge_sort_block_merge_implIS3_PaPS5_jNS1_19radix_merge_compareILb0ELb1EaNS0_19identity_decomposerEEEEE10hipError_tT0_T1_T2_jT3_P12ihipStream_tbPNSt15iterator_traitsISE_E10value_typeEPNSK_ISF_E10value_typeEPSG_NS1_7vsmem_tEENKUlT_SE_SF_SG_E_clIS8_S8_S9_S9_EESD_ST_SE_SF_SG_EUlST_E0_NS1_11comp_targetILNS1_3genE2ELNS1_11target_archE906ELNS1_3gpuE6ELNS1_3repE0EEENS1_38merge_mergepath_config_static_selectorELNS0_4arch9wavefront6targetE1EEEvSF_,comdat
.Lfunc_end181:
	.size	_ZN7rocprim17ROCPRIM_400000_NS6detail17trampoline_kernelINS0_14default_configENS1_38merge_sort_block_merge_config_selectorIaNS0_10empty_typeEEEZZNS1_27merge_sort_block_merge_implIS3_PaPS5_jNS1_19radix_merge_compareILb0ELb1EaNS0_19identity_decomposerEEEEE10hipError_tT0_T1_T2_jT3_P12ihipStream_tbPNSt15iterator_traitsISE_E10value_typeEPNSK_ISF_E10value_typeEPSG_NS1_7vsmem_tEENKUlT_SE_SF_SG_E_clIS8_S8_S9_S9_EESD_ST_SE_SF_SG_EUlST_E0_NS1_11comp_targetILNS1_3genE2ELNS1_11target_archE906ELNS1_3gpuE6ELNS1_3repE0EEENS1_38merge_mergepath_config_static_selectorELNS0_4arch9wavefront6targetE1EEEvSF_, .Lfunc_end181-_ZN7rocprim17ROCPRIM_400000_NS6detail17trampoline_kernelINS0_14default_configENS1_38merge_sort_block_merge_config_selectorIaNS0_10empty_typeEEEZZNS1_27merge_sort_block_merge_implIS3_PaPS5_jNS1_19radix_merge_compareILb0ELb1EaNS0_19identity_decomposerEEEEE10hipError_tT0_T1_T2_jT3_P12ihipStream_tbPNSt15iterator_traitsISE_E10value_typeEPNSK_ISF_E10value_typeEPSG_NS1_7vsmem_tEENKUlT_SE_SF_SG_E_clIS8_S8_S9_S9_EESD_ST_SE_SF_SG_EUlST_E0_NS1_11comp_targetILNS1_3genE2ELNS1_11target_archE906ELNS1_3gpuE6ELNS1_3repE0EEENS1_38merge_mergepath_config_static_selectorELNS0_4arch9wavefront6targetE1EEEvSF_
                                        ; -- End function
	.section	.AMDGPU.csdata,"",@progbits
; Kernel info:
; codeLenInByte = 0
; NumSgprs: 4
; NumVgprs: 0
; NumAgprs: 0
; TotalNumVgprs: 0
; ScratchSize: 0
; MemoryBound: 0
; FloatMode: 240
; IeeeMode: 1
; LDSByteSize: 0 bytes/workgroup (compile time only)
; SGPRBlocks: 0
; VGPRBlocks: 0
; NumSGPRsForWavesPerEU: 4
; NumVGPRsForWavesPerEU: 1
; AccumOffset: 4
; Occupancy: 8
; WaveLimiterHint : 0
; COMPUTE_PGM_RSRC2:SCRATCH_EN: 0
; COMPUTE_PGM_RSRC2:USER_SGPR: 6
; COMPUTE_PGM_RSRC2:TRAP_HANDLER: 0
; COMPUTE_PGM_RSRC2:TGID_X_EN: 1
; COMPUTE_PGM_RSRC2:TGID_Y_EN: 0
; COMPUTE_PGM_RSRC2:TGID_Z_EN: 0
; COMPUTE_PGM_RSRC2:TIDIG_COMP_CNT: 0
; COMPUTE_PGM_RSRC3_GFX90A:ACCUM_OFFSET: 0
; COMPUTE_PGM_RSRC3_GFX90A:TG_SPLIT: 0
	.section	.text._ZN7rocprim17ROCPRIM_400000_NS6detail17trampoline_kernelINS0_14default_configENS1_38merge_sort_block_merge_config_selectorIaNS0_10empty_typeEEEZZNS1_27merge_sort_block_merge_implIS3_PaPS5_jNS1_19radix_merge_compareILb0ELb1EaNS0_19identity_decomposerEEEEE10hipError_tT0_T1_T2_jT3_P12ihipStream_tbPNSt15iterator_traitsISE_E10value_typeEPNSK_ISF_E10value_typeEPSG_NS1_7vsmem_tEENKUlT_SE_SF_SG_E_clIS8_S8_S9_S9_EESD_ST_SE_SF_SG_EUlST_E0_NS1_11comp_targetILNS1_3genE9ELNS1_11target_archE1100ELNS1_3gpuE3ELNS1_3repE0EEENS1_38merge_mergepath_config_static_selectorELNS0_4arch9wavefront6targetE1EEEvSF_,"axG",@progbits,_ZN7rocprim17ROCPRIM_400000_NS6detail17trampoline_kernelINS0_14default_configENS1_38merge_sort_block_merge_config_selectorIaNS0_10empty_typeEEEZZNS1_27merge_sort_block_merge_implIS3_PaPS5_jNS1_19radix_merge_compareILb0ELb1EaNS0_19identity_decomposerEEEEE10hipError_tT0_T1_T2_jT3_P12ihipStream_tbPNSt15iterator_traitsISE_E10value_typeEPNSK_ISF_E10value_typeEPSG_NS1_7vsmem_tEENKUlT_SE_SF_SG_E_clIS8_S8_S9_S9_EESD_ST_SE_SF_SG_EUlST_E0_NS1_11comp_targetILNS1_3genE9ELNS1_11target_archE1100ELNS1_3gpuE3ELNS1_3repE0EEENS1_38merge_mergepath_config_static_selectorELNS0_4arch9wavefront6targetE1EEEvSF_,comdat
	.protected	_ZN7rocprim17ROCPRIM_400000_NS6detail17trampoline_kernelINS0_14default_configENS1_38merge_sort_block_merge_config_selectorIaNS0_10empty_typeEEEZZNS1_27merge_sort_block_merge_implIS3_PaPS5_jNS1_19radix_merge_compareILb0ELb1EaNS0_19identity_decomposerEEEEE10hipError_tT0_T1_T2_jT3_P12ihipStream_tbPNSt15iterator_traitsISE_E10value_typeEPNSK_ISF_E10value_typeEPSG_NS1_7vsmem_tEENKUlT_SE_SF_SG_E_clIS8_S8_S9_S9_EESD_ST_SE_SF_SG_EUlST_E0_NS1_11comp_targetILNS1_3genE9ELNS1_11target_archE1100ELNS1_3gpuE3ELNS1_3repE0EEENS1_38merge_mergepath_config_static_selectorELNS0_4arch9wavefront6targetE1EEEvSF_ ; -- Begin function _ZN7rocprim17ROCPRIM_400000_NS6detail17trampoline_kernelINS0_14default_configENS1_38merge_sort_block_merge_config_selectorIaNS0_10empty_typeEEEZZNS1_27merge_sort_block_merge_implIS3_PaPS5_jNS1_19radix_merge_compareILb0ELb1EaNS0_19identity_decomposerEEEEE10hipError_tT0_T1_T2_jT3_P12ihipStream_tbPNSt15iterator_traitsISE_E10value_typeEPNSK_ISF_E10value_typeEPSG_NS1_7vsmem_tEENKUlT_SE_SF_SG_E_clIS8_S8_S9_S9_EESD_ST_SE_SF_SG_EUlST_E0_NS1_11comp_targetILNS1_3genE9ELNS1_11target_archE1100ELNS1_3gpuE3ELNS1_3repE0EEENS1_38merge_mergepath_config_static_selectorELNS0_4arch9wavefront6targetE1EEEvSF_
	.globl	_ZN7rocprim17ROCPRIM_400000_NS6detail17trampoline_kernelINS0_14default_configENS1_38merge_sort_block_merge_config_selectorIaNS0_10empty_typeEEEZZNS1_27merge_sort_block_merge_implIS3_PaPS5_jNS1_19radix_merge_compareILb0ELb1EaNS0_19identity_decomposerEEEEE10hipError_tT0_T1_T2_jT3_P12ihipStream_tbPNSt15iterator_traitsISE_E10value_typeEPNSK_ISF_E10value_typeEPSG_NS1_7vsmem_tEENKUlT_SE_SF_SG_E_clIS8_S8_S9_S9_EESD_ST_SE_SF_SG_EUlST_E0_NS1_11comp_targetILNS1_3genE9ELNS1_11target_archE1100ELNS1_3gpuE3ELNS1_3repE0EEENS1_38merge_mergepath_config_static_selectorELNS0_4arch9wavefront6targetE1EEEvSF_
	.p2align	8
	.type	_ZN7rocprim17ROCPRIM_400000_NS6detail17trampoline_kernelINS0_14default_configENS1_38merge_sort_block_merge_config_selectorIaNS0_10empty_typeEEEZZNS1_27merge_sort_block_merge_implIS3_PaPS5_jNS1_19radix_merge_compareILb0ELb1EaNS0_19identity_decomposerEEEEE10hipError_tT0_T1_T2_jT3_P12ihipStream_tbPNSt15iterator_traitsISE_E10value_typeEPNSK_ISF_E10value_typeEPSG_NS1_7vsmem_tEENKUlT_SE_SF_SG_E_clIS8_S8_S9_S9_EESD_ST_SE_SF_SG_EUlST_E0_NS1_11comp_targetILNS1_3genE9ELNS1_11target_archE1100ELNS1_3gpuE3ELNS1_3repE0EEENS1_38merge_mergepath_config_static_selectorELNS0_4arch9wavefront6targetE1EEEvSF_,@function
_ZN7rocprim17ROCPRIM_400000_NS6detail17trampoline_kernelINS0_14default_configENS1_38merge_sort_block_merge_config_selectorIaNS0_10empty_typeEEEZZNS1_27merge_sort_block_merge_implIS3_PaPS5_jNS1_19radix_merge_compareILb0ELb1EaNS0_19identity_decomposerEEEEE10hipError_tT0_T1_T2_jT3_P12ihipStream_tbPNSt15iterator_traitsISE_E10value_typeEPNSK_ISF_E10value_typeEPSG_NS1_7vsmem_tEENKUlT_SE_SF_SG_E_clIS8_S8_S9_S9_EESD_ST_SE_SF_SG_EUlST_E0_NS1_11comp_targetILNS1_3genE9ELNS1_11target_archE1100ELNS1_3gpuE3ELNS1_3repE0EEENS1_38merge_mergepath_config_static_selectorELNS0_4arch9wavefront6targetE1EEEvSF_: ; @_ZN7rocprim17ROCPRIM_400000_NS6detail17trampoline_kernelINS0_14default_configENS1_38merge_sort_block_merge_config_selectorIaNS0_10empty_typeEEEZZNS1_27merge_sort_block_merge_implIS3_PaPS5_jNS1_19radix_merge_compareILb0ELb1EaNS0_19identity_decomposerEEEEE10hipError_tT0_T1_T2_jT3_P12ihipStream_tbPNSt15iterator_traitsISE_E10value_typeEPNSK_ISF_E10value_typeEPSG_NS1_7vsmem_tEENKUlT_SE_SF_SG_E_clIS8_S8_S9_S9_EESD_ST_SE_SF_SG_EUlST_E0_NS1_11comp_targetILNS1_3genE9ELNS1_11target_archE1100ELNS1_3gpuE3ELNS1_3repE0EEENS1_38merge_mergepath_config_static_selectorELNS0_4arch9wavefront6targetE1EEEvSF_
; %bb.0:
	.section	.rodata,"a",@progbits
	.p2align	6, 0x0
	.amdhsa_kernel _ZN7rocprim17ROCPRIM_400000_NS6detail17trampoline_kernelINS0_14default_configENS1_38merge_sort_block_merge_config_selectorIaNS0_10empty_typeEEEZZNS1_27merge_sort_block_merge_implIS3_PaPS5_jNS1_19radix_merge_compareILb0ELb1EaNS0_19identity_decomposerEEEEE10hipError_tT0_T1_T2_jT3_P12ihipStream_tbPNSt15iterator_traitsISE_E10value_typeEPNSK_ISF_E10value_typeEPSG_NS1_7vsmem_tEENKUlT_SE_SF_SG_E_clIS8_S8_S9_S9_EESD_ST_SE_SF_SG_EUlST_E0_NS1_11comp_targetILNS1_3genE9ELNS1_11target_archE1100ELNS1_3gpuE3ELNS1_3repE0EEENS1_38merge_mergepath_config_static_selectorELNS0_4arch9wavefront6targetE1EEEvSF_
		.amdhsa_group_segment_fixed_size 0
		.amdhsa_private_segment_fixed_size 0
		.amdhsa_kernarg_size 64
		.amdhsa_user_sgpr_count 6
		.amdhsa_user_sgpr_private_segment_buffer 1
		.amdhsa_user_sgpr_dispatch_ptr 0
		.amdhsa_user_sgpr_queue_ptr 0
		.amdhsa_user_sgpr_kernarg_segment_ptr 1
		.amdhsa_user_sgpr_dispatch_id 0
		.amdhsa_user_sgpr_flat_scratch_init 0
		.amdhsa_user_sgpr_kernarg_preload_length 0
		.amdhsa_user_sgpr_kernarg_preload_offset 0
		.amdhsa_user_sgpr_private_segment_size 0
		.amdhsa_uses_dynamic_stack 0
		.amdhsa_system_sgpr_private_segment_wavefront_offset 0
		.amdhsa_system_sgpr_workgroup_id_x 1
		.amdhsa_system_sgpr_workgroup_id_y 0
		.amdhsa_system_sgpr_workgroup_id_z 0
		.amdhsa_system_sgpr_workgroup_info 0
		.amdhsa_system_vgpr_workitem_id 0
		.amdhsa_next_free_vgpr 1
		.amdhsa_next_free_sgpr 0
		.amdhsa_accum_offset 4
		.amdhsa_reserve_vcc 0
		.amdhsa_reserve_flat_scratch 0
		.amdhsa_float_round_mode_32 0
		.amdhsa_float_round_mode_16_64 0
		.amdhsa_float_denorm_mode_32 3
		.amdhsa_float_denorm_mode_16_64 3
		.amdhsa_dx10_clamp 1
		.amdhsa_ieee_mode 1
		.amdhsa_fp16_overflow 0
		.amdhsa_tg_split 0
		.amdhsa_exception_fp_ieee_invalid_op 0
		.amdhsa_exception_fp_denorm_src 0
		.amdhsa_exception_fp_ieee_div_zero 0
		.amdhsa_exception_fp_ieee_overflow 0
		.amdhsa_exception_fp_ieee_underflow 0
		.amdhsa_exception_fp_ieee_inexact 0
		.amdhsa_exception_int_div_zero 0
	.end_amdhsa_kernel
	.section	.text._ZN7rocprim17ROCPRIM_400000_NS6detail17trampoline_kernelINS0_14default_configENS1_38merge_sort_block_merge_config_selectorIaNS0_10empty_typeEEEZZNS1_27merge_sort_block_merge_implIS3_PaPS5_jNS1_19radix_merge_compareILb0ELb1EaNS0_19identity_decomposerEEEEE10hipError_tT0_T1_T2_jT3_P12ihipStream_tbPNSt15iterator_traitsISE_E10value_typeEPNSK_ISF_E10value_typeEPSG_NS1_7vsmem_tEENKUlT_SE_SF_SG_E_clIS8_S8_S9_S9_EESD_ST_SE_SF_SG_EUlST_E0_NS1_11comp_targetILNS1_3genE9ELNS1_11target_archE1100ELNS1_3gpuE3ELNS1_3repE0EEENS1_38merge_mergepath_config_static_selectorELNS0_4arch9wavefront6targetE1EEEvSF_,"axG",@progbits,_ZN7rocprim17ROCPRIM_400000_NS6detail17trampoline_kernelINS0_14default_configENS1_38merge_sort_block_merge_config_selectorIaNS0_10empty_typeEEEZZNS1_27merge_sort_block_merge_implIS3_PaPS5_jNS1_19radix_merge_compareILb0ELb1EaNS0_19identity_decomposerEEEEE10hipError_tT0_T1_T2_jT3_P12ihipStream_tbPNSt15iterator_traitsISE_E10value_typeEPNSK_ISF_E10value_typeEPSG_NS1_7vsmem_tEENKUlT_SE_SF_SG_E_clIS8_S8_S9_S9_EESD_ST_SE_SF_SG_EUlST_E0_NS1_11comp_targetILNS1_3genE9ELNS1_11target_archE1100ELNS1_3gpuE3ELNS1_3repE0EEENS1_38merge_mergepath_config_static_selectorELNS0_4arch9wavefront6targetE1EEEvSF_,comdat
.Lfunc_end182:
	.size	_ZN7rocprim17ROCPRIM_400000_NS6detail17trampoline_kernelINS0_14default_configENS1_38merge_sort_block_merge_config_selectorIaNS0_10empty_typeEEEZZNS1_27merge_sort_block_merge_implIS3_PaPS5_jNS1_19radix_merge_compareILb0ELb1EaNS0_19identity_decomposerEEEEE10hipError_tT0_T1_T2_jT3_P12ihipStream_tbPNSt15iterator_traitsISE_E10value_typeEPNSK_ISF_E10value_typeEPSG_NS1_7vsmem_tEENKUlT_SE_SF_SG_E_clIS8_S8_S9_S9_EESD_ST_SE_SF_SG_EUlST_E0_NS1_11comp_targetILNS1_3genE9ELNS1_11target_archE1100ELNS1_3gpuE3ELNS1_3repE0EEENS1_38merge_mergepath_config_static_selectorELNS0_4arch9wavefront6targetE1EEEvSF_, .Lfunc_end182-_ZN7rocprim17ROCPRIM_400000_NS6detail17trampoline_kernelINS0_14default_configENS1_38merge_sort_block_merge_config_selectorIaNS0_10empty_typeEEEZZNS1_27merge_sort_block_merge_implIS3_PaPS5_jNS1_19radix_merge_compareILb0ELb1EaNS0_19identity_decomposerEEEEE10hipError_tT0_T1_T2_jT3_P12ihipStream_tbPNSt15iterator_traitsISE_E10value_typeEPNSK_ISF_E10value_typeEPSG_NS1_7vsmem_tEENKUlT_SE_SF_SG_E_clIS8_S8_S9_S9_EESD_ST_SE_SF_SG_EUlST_E0_NS1_11comp_targetILNS1_3genE9ELNS1_11target_archE1100ELNS1_3gpuE3ELNS1_3repE0EEENS1_38merge_mergepath_config_static_selectorELNS0_4arch9wavefront6targetE1EEEvSF_
                                        ; -- End function
	.section	.AMDGPU.csdata,"",@progbits
; Kernel info:
; codeLenInByte = 0
; NumSgprs: 4
; NumVgprs: 0
; NumAgprs: 0
; TotalNumVgprs: 0
; ScratchSize: 0
; MemoryBound: 0
; FloatMode: 240
; IeeeMode: 1
; LDSByteSize: 0 bytes/workgroup (compile time only)
; SGPRBlocks: 0
; VGPRBlocks: 0
; NumSGPRsForWavesPerEU: 4
; NumVGPRsForWavesPerEU: 1
; AccumOffset: 4
; Occupancy: 8
; WaveLimiterHint : 0
; COMPUTE_PGM_RSRC2:SCRATCH_EN: 0
; COMPUTE_PGM_RSRC2:USER_SGPR: 6
; COMPUTE_PGM_RSRC2:TRAP_HANDLER: 0
; COMPUTE_PGM_RSRC2:TGID_X_EN: 1
; COMPUTE_PGM_RSRC2:TGID_Y_EN: 0
; COMPUTE_PGM_RSRC2:TGID_Z_EN: 0
; COMPUTE_PGM_RSRC2:TIDIG_COMP_CNT: 0
; COMPUTE_PGM_RSRC3_GFX90A:ACCUM_OFFSET: 0
; COMPUTE_PGM_RSRC3_GFX90A:TG_SPLIT: 0
	.section	.text._ZN7rocprim17ROCPRIM_400000_NS6detail17trampoline_kernelINS0_14default_configENS1_38merge_sort_block_merge_config_selectorIaNS0_10empty_typeEEEZZNS1_27merge_sort_block_merge_implIS3_PaPS5_jNS1_19radix_merge_compareILb0ELb1EaNS0_19identity_decomposerEEEEE10hipError_tT0_T1_T2_jT3_P12ihipStream_tbPNSt15iterator_traitsISE_E10value_typeEPNSK_ISF_E10value_typeEPSG_NS1_7vsmem_tEENKUlT_SE_SF_SG_E_clIS8_S8_S9_S9_EESD_ST_SE_SF_SG_EUlST_E0_NS1_11comp_targetILNS1_3genE8ELNS1_11target_archE1030ELNS1_3gpuE2ELNS1_3repE0EEENS1_38merge_mergepath_config_static_selectorELNS0_4arch9wavefront6targetE1EEEvSF_,"axG",@progbits,_ZN7rocprim17ROCPRIM_400000_NS6detail17trampoline_kernelINS0_14default_configENS1_38merge_sort_block_merge_config_selectorIaNS0_10empty_typeEEEZZNS1_27merge_sort_block_merge_implIS3_PaPS5_jNS1_19radix_merge_compareILb0ELb1EaNS0_19identity_decomposerEEEEE10hipError_tT0_T1_T2_jT3_P12ihipStream_tbPNSt15iterator_traitsISE_E10value_typeEPNSK_ISF_E10value_typeEPSG_NS1_7vsmem_tEENKUlT_SE_SF_SG_E_clIS8_S8_S9_S9_EESD_ST_SE_SF_SG_EUlST_E0_NS1_11comp_targetILNS1_3genE8ELNS1_11target_archE1030ELNS1_3gpuE2ELNS1_3repE0EEENS1_38merge_mergepath_config_static_selectorELNS0_4arch9wavefront6targetE1EEEvSF_,comdat
	.protected	_ZN7rocprim17ROCPRIM_400000_NS6detail17trampoline_kernelINS0_14default_configENS1_38merge_sort_block_merge_config_selectorIaNS0_10empty_typeEEEZZNS1_27merge_sort_block_merge_implIS3_PaPS5_jNS1_19radix_merge_compareILb0ELb1EaNS0_19identity_decomposerEEEEE10hipError_tT0_T1_T2_jT3_P12ihipStream_tbPNSt15iterator_traitsISE_E10value_typeEPNSK_ISF_E10value_typeEPSG_NS1_7vsmem_tEENKUlT_SE_SF_SG_E_clIS8_S8_S9_S9_EESD_ST_SE_SF_SG_EUlST_E0_NS1_11comp_targetILNS1_3genE8ELNS1_11target_archE1030ELNS1_3gpuE2ELNS1_3repE0EEENS1_38merge_mergepath_config_static_selectorELNS0_4arch9wavefront6targetE1EEEvSF_ ; -- Begin function _ZN7rocprim17ROCPRIM_400000_NS6detail17trampoline_kernelINS0_14default_configENS1_38merge_sort_block_merge_config_selectorIaNS0_10empty_typeEEEZZNS1_27merge_sort_block_merge_implIS3_PaPS5_jNS1_19radix_merge_compareILb0ELb1EaNS0_19identity_decomposerEEEEE10hipError_tT0_T1_T2_jT3_P12ihipStream_tbPNSt15iterator_traitsISE_E10value_typeEPNSK_ISF_E10value_typeEPSG_NS1_7vsmem_tEENKUlT_SE_SF_SG_E_clIS8_S8_S9_S9_EESD_ST_SE_SF_SG_EUlST_E0_NS1_11comp_targetILNS1_3genE8ELNS1_11target_archE1030ELNS1_3gpuE2ELNS1_3repE0EEENS1_38merge_mergepath_config_static_selectorELNS0_4arch9wavefront6targetE1EEEvSF_
	.globl	_ZN7rocprim17ROCPRIM_400000_NS6detail17trampoline_kernelINS0_14default_configENS1_38merge_sort_block_merge_config_selectorIaNS0_10empty_typeEEEZZNS1_27merge_sort_block_merge_implIS3_PaPS5_jNS1_19radix_merge_compareILb0ELb1EaNS0_19identity_decomposerEEEEE10hipError_tT0_T1_T2_jT3_P12ihipStream_tbPNSt15iterator_traitsISE_E10value_typeEPNSK_ISF_E10value_typeEPSG_NS1_7vsmem_tEENKUlT_SE_SF_SG_E_clIS8_S8_S9_S9_EESD_ST_SE_SF_SG_EUlST_E0_NS1_11comp_targetILNS1_3genE8ELNS1_11target_archE1030ELNS1_3gpuE2ELNS1_3repE0EEENS1_38merge_mergepath_config_static_selectorELNS0_4arch9wavefront6targetE1EEEvSF_
	.p2align	8
	.type	_ZN7rocprim17ROCPRIM_400000_NS6detail17trampoline_kernelINS0_14default_configENS1_38merge_sort_block_merge_config_selectorIaNS0_10empty_typeEEEZZNS1_27merge_sort_block_merge_implIS3_PaPS5_jNS1_19radix_merge_compareILb0ELb1EaNS0_19identity_decomposerEEEEE10hipError_tT0_T1_T2_jT3_P12ihipStream_tbPNSt15iterator_traitsISE_E10value_typeEPNSK_ISF_E10value_typeEPSG_NS1_7vsmem_tEENKUlT_SE_SF_SG_E_clIS8_S8_S9_S9_EESD_ST_SE_SF_SG_EUlST_E0_NS1_11comp_targetILNS1_3genE8ELNS1_11target_archE1030ELNS1_3gpuE2ELNS1_3repE0EEENS1_38merge_mergepath_config_static_selectorELNS0_4arch9wavefront6targetE1EEEvSF_,@function
_ZN7rocprim17ROCPRIM_400000_NS6detail17trampoline_kernelINS0_14default_configENS1_38merge_sort_block_merge_config_selectorIaNS0_10empty_typeEEEZZNS1_27merge_sort_block_merge_implIS3_PaPS5_jNS1_19radix_merge_compareILb0ELb1EaNS0_19identity_decomposerEEEEE10hipError_tT0_T1_T2_jT3_P12ihipStream_tbPNSt15iterator_traitsISE_E10value_typeEPNSK_ISF_E10value_typeEPSG_NS1_7vsmem_tEENKUlT_SE_SF_SG_E_clIS8_S8_S9_S9_EESD_ST_SE_SF_SG_EUlST_E0_NS1_11comp_targetILNS1_3genE8ELNS1_11target_archE1030ELNS1_3gpuE2ELNS1_3repE0EEENS1_38merge_mergepath_config_static_selectorELNS0_4arch9wavefront6targetE1EEEvSF_: ; @_ZN7rocprim17ROCPRIM_400000_NS6detail17trampoline_kernelINS0_14default_configENS1_38merge_sort_block_merge_config_selectorIaNS0_10empty_typeEEEZZNS1_27merge_sort_block_merge_implIS3_PaPS5_jNS1_19radix_merge_compareILb0ELb1EaNS0_19identity_decomposerEEEEE10hipError_tT0_T1_T2_jT3_P12ihipStream_tbPNSt15iterator_traitsISE_E10value_typeEPNSK_ISF_E10value_typeEPSG_NS1_7vsmem_tEENKUlT_SE_SF_SG_E_clIS8_S8_S9_S9_EESD_ST_SE_SF_SG_EUlST_E0_NS1_11comp_targetILNS1_3genE8ELNS1_11target_archE1030ELNS1_3gpuE2ELNS1_3repE0EEENS1_38merge_mergepath_config_static_selectorELNS0_4arch9wavefront6targetE1EEEvSF_
; %bb.0:
	.section	.rodata,"a",@progbits
	.p2align	6, 0x0
	.amdhsa_kernel _ZN7rocprim17ROCPRIM_400000_NS6detail17trampoline_kernelINS0_14default_configENS1_38merge_sort_block_merge_config_selectorIaNS0_10empty_typeEEEZZNS1_27merge_sort_block_merge_implIS3_PaPS5_jNS1_19radix_merge_compareILb0ELb1EaNS0_19identity_decomposerEEEEE10hipError_tT0_T1_T2_jT3_P12ihipStream_tbPNSt15iterator_traitsISE_E10value_typeEPNSK_ISF_E10value_typeEPSG_NS1_7vsmem_tEENKUlT_SE_SF_SG_E_clIS8_S8_S9_S9_EESD_ST_SE_SF_SG_EUlST_E0_NS1_11comp_targetILNS1_3genE8ELNS1_11target_archE1030ELNS1_3gpuE2ELNS1_3repE0EEENS1_38merge_mergepath_config_static_selectorELNS0_4arch9wavefront6targetE1EEEvSF_
		.amdhsa_group_segment_fixed_size 0
		.amdhsa_private_segment_fixed_size 0
		.amdhsa_kernarg_size 64
		.amdhsa_user_sgpr_count 6
		.amdhsa_user_sgpr_private_segment_buffer 1
		.amdhsa_user_sgpr_dispatch_ptr 0
		.amdhsa_user_sgpr_queue_ptr 0
		.amdhsa_user_sgpr_kernarg_segment_ptr 1
		.amdhsa_user_sgpr_dispatch_id 0
		.amdhsa_user_sgpr_flat_scratch_init 0
		.amdhsa_user_sgpr_kernarg_preload_length 0
		.amdhsa_user_sgpr_kernarg_preload_offset 0
		.amdhsa_user_sgpr_private_segment_size 0
		.amdhsa_uses_dynamic_stack 0
		.amdhsa_system_sgpr_private_segment_wavefront_offset 0
		.amdhsa_system_sgpr_workgroup_id_x 1
		.amdhsa_system_sgpr_workgroup_id_y 0
		.amdhsa_system_sgpr_workgroup_id_z 0
		.amdhsa_system_sgpr_workgroup_info 0
		.amdhsa_system_vgpr_workitem_id 0
		.amdhsa_next_free_vgpr 1
		.amdhsa_next_free_sgpr 0
		.amdhsa_accum_offset 4
		.amdhsa_reserve_vcc 0
		.amdhsa_reserve_flat_scratch 0
		.amdhsa_float_round_mode_32 0
		.amdhsa_float_round_mode_16_64 0
		.amdhsa_float_denorm_mode_32 3
		.amdhsa_float_denorm_mode_16_64 3
		.amdhsa_dx10_clamp 1
		.amdhsa_ieee_mode 1
		.amdhsa_fp16_overflow 0
		.amdhsa_tg_split 0
		.amdhsa_exception_fp_ieee_invalid_op 0
		.amdhsa_exception_fp_denorm_src 0
		.amdhsa_exception_fp_ieee_div_zero 0
		.amdhsa_exception_fp_ieee_overflow 0
		.amdhsa_exception_fp_ieee_underflow 0
		.amdhsa_exception_fp_ieee_inexact 0
		.amdhsa_exception_int_div_zero 0
	.end_amdhsa_kernel
	.section	.text._ZN7rocprim17ROCPRIM_400000_NS6detail17trampoline_kernelINS0_14default_configENS1_38merge_sort_block_merge_config_selectorIaNS0_10empty_typeEEEZZNS1_27merge_sort_block_merge_implIS3_PaPS5_jNS1_19radix_merge_compareILb0ELb1EaNS0_19identity_decomposerEEEEE10hipError_tT0_T1_T2_jT3_P12ihipStream_tbPNSt15iterator_traitsISE_E10value_typeEPNSK_ISF_E10value_typeEPSG_NS1_7vsmem_tEENKUlT_SE_SF_SG_E_clIS8_S8_S9_S9_EESD_ST_SE_SF_SG_EUlST_E0_NS1_11comp_targetILNS1_3genE8ELNS1_11target_archE1030ELNS1_3gpuE2ELNS1_3repE0EEENS1_38merge_mergepath_config_static_selectorELNS0_4arch9wavefront6targetE1EEEvSF_,"axG",@progbits,_ZN7rocprim17ROCPRIM_400000_NS6detail17trampoline_kernelINS0_14default_configENS1_38merge_sort_block_merge_config_selectorIaNS0_10empty_typeEEEZZNS1_27merge_sort_block_merge_implIS3_PaPS5_jNS1_19radix_merge_compareILb0ELb1EaNS0_19identity_decomposerEEEEE10hipError_tT0_T1_T2_jT3_P12ihipStream_tbPNSt15iterator_traitsISE_E10value_typeEPNSK_ISF_E10value_typeEPSG_NS1_7vsmem_tEENKUlT_SE_SF_SG_E_clIS8_S8_S9_S9_EESD_ST_SE_SF_SG_EUlST_E0_NS1_11comp_targetILNS1_3genE8ELNS1_11target_archE1030ELNS1_3gpuE2ELNS1_3repE0EEENS1_38merge_mergepath_config_static_selectorELNS0_4arch9wavefront6targetE1EEEvSF_,comdat
.Lfunc_end183:
	.size	_ZN7rocprim17ROCPRIM_400000_NS6detail17trampoline_kernelINS0_14default_configENS1_38merge_sort_block_merge_config_selectorIaNS0_10empty_typeEEEZZNS1_27merge_sort_block_merge_implIS3_PaPS5_jNS1_19radix_merge_compareILb0ELb1EaNS0_19identity_decomposerEEEEE10hipError_tT0_T1_T2_jT3_P12ihipStream_tbPNSt15iterator_traitsISE_E10value_typeEPNSK_ISF_E10value_typeEPSG_NS1_7vsmem_tEENKUlT_SE_SF_SG_E_clIS8_S8_S9_S9_EESD_ST_SE_SF_SG_EUlST_E0_NS1_11comp_targetILNS1_3genE8ELNS1_11target_archE1030ELNS1_3gpuE2ELNS1_3repE0EEENS1_38merge_mergepath_config_static_selectorELNS0_4arch9wavefront6targetE1EEEvSF_, .Lfunc_end183-_ZN7rocprim17ROCPRIM_400000_NS6detail17trampoline_kernelINS0_14default_configENS1_38merge_sort_block_merge_config_selectorIaNS0_10empty_typeEEEZZNS1_27merge_sort_block_merge_implIS3_PaPS5_jNS1_19radix_merge_compareILb0ELb1EaNS0_19identity_decomposerEEEEE10hipError_tT0_T1_T2_jT3_P12ihipStream_tbPNSt15iterator_traitsISE_E10value_typeEPNSK_ISF_E10value_typeEPSG_NS1_7vsmem_tEENKUlT_SE_SF_SG_E_clIS8_S8_S9_S9_EESD_ST_SE_SF_SG_EUlST_E0_NS1_11comp_targetILNS1_3genE8ELNS1_11target_archE1030ELNS1_3gpuE2ELNS1_3repE0EEENS1_38merge_mergepath_config_static_selectorELNS0_4arch9wavefront6targetE1EEEvSF_
                                        ; -- End function
	.section	.AMDGPU.csdata,"",@progbits
; Kernel info:
; codeLenInByte = 0
; NumSgprs: 4
; NumVgprs: 0
; NumAgprs: 0
; TotalNumVgprs: 0
; ScratchSize: 0
; MemoryBound: 0
; FloatMode: 240
; IeeeMode: 1
; LDSByteSize: 0 bytes/workgroup (compile time only)
; SGPRBlocks: 0
; VGPRBlocks: 0
; NumSGPRsForWavesPerEU: 4
; NumVGPRsForWavesPerEU: 1
; AccumOffset: 4
; Occupancy: 8
; WaveLimiterHint : 0
; COMPUTE_PGM_RSRC2:SCRATCH_EN: 0
; COMPUTE_PGM_RSRC2:USER_SGPR: 6
; COMPUTE_PGM_RSRC2:TRAP_HANDLER: 0
; COMPUTE_PGM_RSRC2:TGID_X_EN: 1
; COMPUTE_PGM_RSRC2:TGID_Y_EN: 0
; COMPUTE_PGM_RSRC2:TGID_Z_EN: 0
; COMPUTE_PGM_RSRC2:TIDIG_COMP_CNT: 0
; COMPUTE_PGM_RSRC3_GFX90A:ACCUM_OFFSET: 0
; COMPUTE_PGM_RSRC3_GFX90A:TG_SPLIT: 0
	.section	.text._ZN7rocprim17ROCPRIM_400000_NS6detail17trampoline_kernelINS0_14default_configENS1_38merge_sort_block_merge_config_selectorIaNS0_10empty_typeEEEZZNS1_27merge_sort_block_merge_implIS3_PaPS5_jNS1_19radix_merge_compareILb0ELb1EaNS0_19identity_decomposerEEEEE10hipError_tT0_T1_T2_jT3_P12ihipStream_tbPNSt15iterator_traitsISE_E10value_typeEPNSK_ISF_E10value_typeEPSG_NS1_7vsmem_tEENKUlT_SE_SF_SG_E_clIS8_S8_S9_S9_EESD_ST_SE_SF_SG_EUlST_E1_NS1_11comp_targetILNS1_3genE0ELNS1_11target_archE4294967295ELNS1_3gpuE0ELNS1_3repE0EEENS1_36merge_oddeven_config_static_selectorELNS0_4arch9wavefront6targetE1EEEvSF_,"axG",@progbits,_ZN7rocprim17ROCPRIM_400000_NS6detail17trampoline_kernelINS0_14default_configENS1_38merge_sort_block_merge_config_selectorIaNS0_10empty_typeEEEZZNS1_27merge_sort_block_merge_implIS3_PaPS5_jNS1_19radix_merge_compareILb0ELb1EaNS0_19identity_decomposerEEEEE10hipError_tT0_T1_T2_jT3_P12ihipStream_tbPNSt15iterator_traitsISE_E10value_typeEPNSK_ISF_E10value_typeEPSG_NS1_7vsmem_tEENKUlT_SE_SF_SG_E_clIS8_S8_S9_S9_EESD_ST_SE_SF_SG_EUlST_E1_NS1_11comp_targetILNS1_3genE0ELNS1_11target_archE4294967295ELNS1_3gpuE0ELNS1_3repE0EEENS1_36merge_oddeven_config_static_selectorELNS0_4arch9wavefront6targetE1EEEvSF_,comdat
	.protected	_ZN7rocprim17ROCPRIM_400000_NS6detail17trampoline_kernelINS0_14default_configENS1_38merge_sort_block_merge_config_selectorIaNS0_10empty_typeEEEZZNS1_27merge_sort_block_merge_implIS3_PaPS5_jNS1_19radix_merge_compareILb0ELb1EaNS0_19identity_decomposerEEEEE10hipError_tT0_T1_T2_jT3_P12ihipStream_tbPNSt15iterator_traitsISE_E10value_typeEPNSK_ISF_E10value_typeEPSG_NS1_7vsmem_tEENKUlT_SE_SF_SG_E_clIS8_S8_S9_S9_EESD_ST_SE_SF_SG_EUlST_E1_NS1_11comp_targetILNS1_3genE0ELNS1_11target_archE4294967295ELNS1_3gpuE0ELNS1_3repE0EEENS1_36merge_oddeven_config_static_selectorELNS0_4arch9wavefront6targetE1EEEvSF_ ; -- Begin function _ZN7rocprim17ROCPRIM_400000_NS6detail17trampoline_kernelINS0_14default_configENS1_38merge_sort_block_merge_config_selectorIaNS0_10empty_typeEEEZZNS1_27merge_sort_block_merge_implIS3_PaPS5_jNS1_19radix_merge_compareILb0ELb1EaNS0_19identity_decomposerEEEEE10hipError_tT0_T1_T2_jT3_P12ihipStream_tbPNSt15iterator_traitsISE_E10value_typeEPNSK_ISF_E10value_typeEPSG_NS1_7vsmem_tEENKUlT_SE_SF_SG_E_clIS8_S8_S9_S9_EESD_ST_SE_SF_SG_EUlST_E1_NS1_11comp_targetILNS1_3genE0ELNS1_11target_archE4294967295ELNS1_3gpuE0ELNS1_3repE0EEENS1_36merge_oddeven_config_static_selectorELNS0_4arch9wavefront6targetE1EEEvSF_
	.globl	_ZN7rocprim17ROCPRIM_400000_NS6detail17trampoline_kernelINS0_14default_configENS1_38merge_sort_block_merge_config_selectorIaNS0_10empty_typeEEEZZNS1_27merge_sort_block_merge_implIS3_PaPS5_jNS1_19radix_merge_compareILb0ELb1EaNS0_19identity_decomposerEEEEE10hipError_tT0_T1_T2_jT3_P12ihipStream_tbPNSt15iterator_traitsISE_E10value_typeEPNSK_ISF_E10value_typeEPSG_NS1_7vsmem_tEENKUlT_SE_SF_SG_E_clIS8_S8_S9_S9_EESD_ST_SE_SF_SG_EUlST_E1_NS1_11comp_targetILNS1_3genE0ELNS1_11target_archE4294967295ELNS1_3gpuE0ELNS1_3repE0EEENS1_36merge_oddeven_config_static_selectorELNS0_4arch9wavefront6targetE1EEEvSF_
	.p2align	8
	.type	_ZN7rocprim17ROCPRIM_400000_NS6detail17trampoline_kernelINS0_14default_configENS1_38merge_sort_block_merge_config_selectorIaNS0_10empty_typeEEEZZNS1_27merge_sort_block_merge_implIS3_PaPS5_jNS1_19radix_merge_compareILb0ELb1EaNS0_19identity_decomposerEEEEE10hipError_tT0_T1_T2_jT3_P12ihipStream_tbPNSt15iterator_traitsISE_E10value_typeEPNSK_ISF_E10value_typeEPSG_NS1_7vsmem_tEENKUlT_SE_SF_SG_E_clIS8_S8_S9_S9_EESD_ST_SE_SF_SG_EUlST_E1_NS1_11comp_targetILNS1_3genE0ELNS1_11target_archE4294967295ELNS1_3gpuE0ELNS1_3repE0EEENS1_36merge_oddeven_config_static_selectorELNS0_4arch9wavefront6targetE1EEEvSF_,@function
_ZN7rocprim17ROCPRIM_400000_NS6detail17trampoline_kernelINS0_14default_configENS1_38merge_sort_block_merge_config_selectorIaNS0_10empty_typeEEEZZNS1_27merge_sort_block_merge_implIS3_PaPS5_jNS1_19radix_merge_compareILb0ELb1EaNS0_19identity_decomposerEEEEE10hipError_tT0_T1_T2_jT3_P12ihipStream_tbPNSt15iterator_traitsISE_E10value_typeEPNSK_ISF_E10value_typeEPSG_NS1_7vsmem_tEENKUlT_SE_SF_SG_E_clIS8_S8_S9_S9_EESD_ST_SE_SF_SG_EUlST_E1_NS1_11comp_targetILNS1_3genE0ELNS1_11target_archE4294967295ELNS1_3gpuE0ELNS1_3repE0EEENS1_36merge_oddeven_config_static_selectorELNS0_4arch9wavefront6targetE1EEEvSF_: ; @_ZN7rocprim17ROCPRIM_400000_NS6detail17trampoline_kernelINS0_14default_configENS1_38merge_sort_block_merge_config_selectorIaNS0_10empty_typeEEEZZNS1_27merge_sort_block_merge_implIS3_PaPS5_jNS1_19radix_merge_compareILb0ELb1EaNS0_19identity_decomposerEEEEE10hipError_tT0_T1_T2_jT3_P12ihipStream_tbPNSt15iterator_traitsISE_E10value_typeEPNSK_ISF_E10value_typeEPSG_NS1_7vsmem_tEENKUlT_SE_SF_SG_E_clIS8_S8_S9_S9_EESD_ST_SE_SF_SG_EUlST_E1_NS1_11comp_targetILNS1_3genE0ELNS1_11target_archE4294967295ELNS1_3gpuE0ELNS1_3repE0EEENS1_36merge_oddeven_config_static_selectorELNS0_4arch9wavefront6targetE1EEEvSF_
; %bb.0:
	.section	.rodata,"a",@progbits
	.p2align	6, 0x0
	.amdhsa_kernel _ZN7rocprim17ROCPRIM_400000_NS6detail17trampoline_kernelINS0_14default_configENS1_38merge_sort_block_merge_config_selectorIaNS0_10empty_typeEEEZZNS1_27merge_sort_block_merge_implIS3_PaPS5_jNS1_19radix_merge_compareILb0ELb1EaNS0_19identity_decomposerEEEEE10hipError_tT0_T1_T2_jT3_P12ihipStream_tbPNSt15iterator_traitsISE_E10value_typeEPNSK_ISF_E10value_typeEPSG_NS1_7vsmem_tEENKUlT_SE_SF_SG_E_clIS8_S8_S9_S9_EESD_ST_SE_SF_SG_EUlST_E1_NS1_11comp_targetILNS1_3genE0ELNS1_11target_archE4294967295ELNS1_3gpuE0ELNS1_3repE0EEENS1_36merge_oddeven_config_static_selectorELNS0_4arch9wavefront6targetE1EEEvSF_
		.amdhsa_group_segment_fixed_size 0
		.amdhsa_private_segment_fixed_size 0
		.amdhsa_kernarg_size 48
		.amdhsa_user_sgpr_count 6
		.amdhsa_user_sgpr_private_segment_buffer 1
		.amdhsa_user_sgpr_dispatch_ptr 0
		.amdhsa_user_sgpr_queue_ptr 0
		.amdhsa_user_sgpr_kernarg_segment_ptr 1
		.amdhsa_user_sgpr_dispatch_id 0
		.amdhsa_user_sgpr_flat_scratch_init 0
		.amdhsa_user_sgpr_kernarg_preload_length 0
		.amdhsa_user_sgpr_kernarg_preload_offset 0
		.amdhsa_user_sgpr_private_segment_size 0
		.amdhsa_uses_dynamic_stack 0
		.amdhsa_system_sgpr_private_segment_wavefront_offset 0
		.amdhsa_system_sgpr_workgroup_id_x 1
		.amdhsa_system_sgpr_workgroup_id_y 0
		.amdhsa_system_sgpr_workgroup_id_z 0
		.amdhsa_system_sgpr_workgroup_info 0
		.amdhsa_system_vgpr_workitem_id 0
		.amdhsa_next_free_vgpr 1
		.amdhsa_next_free_sgpr 0
		.amdhsa_accum_offset 4
		.amdhsa_reserve_vcc 0
		.amdhsa_reserve_flat_scratch 0
		.amdhsa_float_round_mode_32 0
		.amdhsa_float_round_mode_16_64 0
		.amdhsa_float_denorm_mode_32 3
		.amdhsa_float_denorm_mode_16_64 3
		.amdhsa_dx10_clamp 1
		.amdhsa_ieee_mode 1
		.amdhsa_fp16_overflow 0
		.amdhsa_tg_split 0
		.amdhsa_exception_fp_ieee_invalid_op 0
		.amdhsa_exception_fp_denorm_src 0
		.amdhsa_exception_fp_ieee_div_zero 0
		.amdhsa_exception_fp_ieee_overflow 0
		.amdhsa_exception_fp_ieee_underflow 0
		.amdhsa_exception_fp_ieee_inexact 0
		.amdhsa_exception_int_div_zero 0
	.end_amdhsa_kernel
	.section	.text._ZN7rocprim17ROCPRIM_400000_NS6detail17trampoline_kernelINS0_14default_configENS1_38merge_sort_block_merge_config_selectorIaNS0_10empty_typeEEEZZNS1_27merge_sort_block_merge_implIS3_PaPS5_jNS1_19radix_merge_compareILb0ELb1EaNS0_19identity_decomposerEEEEE10hipError_tT0_T1_T2_jT3_P12ihipStream_tbPNSt15iterator_traitsISE_E10value_typeEPNSK_ISF_E10value_typeEPSG_NS1_7vsmem_tEENKUlT_SE_SF_SG_E_clIS8_S8_S9_S9_EESD_ST_SE_SF_SG_EUlST_E1_NS1_11comp_targetILNS1_3genE0ELNS1_11target_archE4294967295ELNS1_3gpuE0ELNS1_3repE0EEENS1_36merge_oddeven_config_static_selectorELNS0_4arch9wavefront6targetE1EEEvSF_,"axG",@progbits,_ZN7rocprim17ROCPRIM_400000_NS6detail17trampoline_kernelINS0_14default_configENS1_38merge_sort_block_merge_config_selectorIaNS0_10empty_typeEEEZZNS1_27merge_sort_block_merge_implIS3_PaPS5_jNS1_19radix_merge_compareILb0ELb1EaNS0_19identity_decomposerEEEEE10hipError_tT0_T1_T2_jT3_P12ihipStream_tbPNSt15iterator_traitsISE_E10value_typeEPNSK_ISF_E10value_typeEPSG_NS1_7vsmem_tEENKUlT_SE_SF_SG_E_clIS8_S8_S9_S9_EESD_ST_SE_SF_SG_EUlST_E1_NS1_11comp_targetILNS1_3genE0ELNS1_11target_archE4294967295ELNS1_3gpuE0ELNS1_3repE0EEENS1_36merge_oddeven_config_static_selectorELNS0_4arch9wavefront6targetE1EEEvSF_,comdat
.Lfunc_end184:
	.size	_ZN7rocprim17ROCPRIM_400000_NS6detail17trampoline_kernelINS0_14default_configENS1_38merge_sort_block_merge_config_selectorIaNS0_10empty_typeEEEZZNS1_27merge_sort_block_merge_implIS3_PaPS5_jNS1_19radix_merge_compareILb0ELb1EaNS0_19identity_decomposerEEEEE10hipError_tT0_T1_T2_jT3_P12ihipStream_tbPNSt15iterator_traitsISE_E10value_typeEPNSK_ISF_E10value_typeEPSG_NS1_7vsmem_tEENKUlT_SE_SF_SG_E_clIS8_S8_S9_S9_EESD_ST_SE_SF_SG_EUlST_E1_NS1_11comp_targetILNS1_3genE0ELNS1_11target_archE4294967295ELNS1_3gpuE0ELNS1_3repE0EEENS1_36merge_oddeven_config_static_selectorELNS0_4arch9wavefront6targetE1EEEvSF_, .Lfunc_end184-_ZN7rocprim17ROCPRIM_400000_NS6detail17trampoline_kernelINS0_14default_configENS1_38merge_sort_block_merge_config_selectorIaNS0_10empty_typeEEEZZNS1_27merge_sort_block_merge_implIS3_PaPS5_jNS1_19radix_merge_compareILb0ELb1EaNS0_19identity_decomposerEEEEE10hipError_tT0_T1_T2_jT3_P12ihipStream_tbPNSt15iterator_traitsISE_E10value_typeEPNSK_ISF_E10value_typeEPSG_NS1_7vsmem_tEENKUlT_SE_SF_SG_E_clIS8_S8_S9_S9_EESD_ST_SE_SF_SG_EUlST_E1_NS1_11comp_targetILNS1_3genE0ELNS1_11target_archE4294967295ELNS1_3gpuE0ELNS1_3repE0EEENS1_36merge_oddeven_config_static_selectorELNS0_4arch9wavefront6targetE1EEEvSF_
                                        ; -- End function
	.section	.AMDGPU.csdata,"",@progbits
; Kernel info:
; codeLenInByte = 0
; NumSgprs: 4
; NumVgprs: 0
; NumAgprs: 0
; TotalNumVgprs: 0
; ScratchSize: 0
; MemoryBound: 0
; FloatMode: 240
; IeeeMode: 1
; LDSByteSize: 0 bytes/workgroup (compile time only)
; SGPRBlocks: 0
; VGPRBlocks: 0
; NumSGPRsForWavesPerEU: 4
; NumVGPRsForWavesPerEU: 1
; AccumOffset: 4
; Occupancy: 8
; WaveLimiterHint : 0
; COMPUTE_PGM_RSRC2:SCRATCH_EN: 0
; COMPUTE_PGM_RSRC2:USER_SGPR: 6
; COMPUTE_PGM_RSRC2:TRAP_HANDLER: 0
; COMPUTE_PGM_RSRC2:TGID_X_EN: 1
; COMPUTE_PGM_RSRC2:TGID_Y_EN: 0
; COMPUTE_PGM_RSRC2:TGID_Z_EN: 0
; COMPUTE_PGM_RSRC2:TIDIG_COMP_CNT: 0
; COMPUTE_PGM_RSRC3_GFX90A:ACCUM_OFFSET: 0
; COMPUTE_PGM_RSRC3_GFX90A:TG_SPLIT: 0
	.section	.text._ZN7rocprim17ROCPRIM_400000_NS6detail17trampoline_kernelINS0_14default_configENS1_38merge_sort_block_merge_config_selectorIaNS0_10empty_typeEEEZZNS1_27merge_sort_block_merge_implIS3_PaPS5_jNS1_19radix_merge_compareILb0ELb1EaNS0_19identity_decomposerEEEEE10hipError_tT0_T1_T2_jT3_P12ihipStream_tbPNSt15iterator_traitsISE_E10value_typeEPNSK_ISF_E10value_typeEPSG_NS1_7vsmem_tEENKUlT_SE_SF_SG_E_clIS8_S8_S9_S9_EESD_ST_SE_SF_SG_EUlST_E1_NS1_11comp_targetILNS1_3genE10ELNS1_11target_archE1201ELNS1_3gpuE5ELNS1_3repE0EEENS1_36merge_oddeven_config_static_selectorELNS0_4arch9wavefront6targetE1EEEvSF_,"axG",@progbits,_ZN7rocprim17ROCPRIM_400000_NS6detail17trampoline_kernelINS0_14default_configENS1_38merge_sort_block_merge_config_selectorIaNS0_10empty_typeEEEZZNS1_27merge_sort_block_merge_implIS3_PaPS5_jNS1_19radix_merge_compareILb0ELb1EaNS0_19identity_decomposerEEEEE10hipError_tT0_T1_T2_jT3_P12ihipStream_tbPNSt15iterator_traitsISE_E10value_typeEPNSK_ISF_E10value_typeEPSG_NS1_7vsmem_tEENKUlT_SE_SF_SG_E_clIS8_S8_S9_S9_EESD_ST_SE_SF_SG_EUlST_E1_NS1_11comp_targetILNS1_3genE10ELNS1_11target_archE1201ELNS1_3gpuE5ELNS1_3repE0EEENS1_36merge_oddeven_config_static_selectorELNS0_4arch9wavefront6targetE1EEEvSF_,comdat
	.protected	_ZN7rocprim17ROCPRIM_400000_NS6detail17trampoline_kernelINS0_14default_configENS1_38merge_sort_block_merge_config_selectorIaNS0_10empty_typeEEEZZNS1_27merge_sort_block_merge_implIS3_PaPS5_jNS1_19radix_merge_compareILb0ELb1EaNS0_19identity_decomposerEEEEE10hipError_tT0_T1_T2_jT3_P12ihipStream_tbPNSt15iterator_traitsISE_E10value_typeEPNSK_ISF_E10value_typeEPSG_NS1_7vsmem_tEENKUlT_SE_SF_SG_E_clIS8_S8_S9_S9_EESD_ST_SE_SF_SG_EUlST_E1_NS1_11comp_targetILNS1_3genE10ELNS1_11target_archE1201ELNS1_3gpuE5ELNS1_3repE0EEENS1_36merge_oddeven_config_static_selectorELNS0_4arch9wavefront6targetE1EEEvSF_ ; -- Begin function _ZN7rocprim17ROCPRIM_400000_NS6detail17trampoline_kernelINS0_14default_configENS1_38merge_sort_block_merge_config_selectorIaNS0_10empty_typeEEEZZNS1_27merge_sort_block_merge_implIS3_PaPS5_jNS1_19radix_merge_compareILb0ELb1EaNS0_19identity_decomposerEEEEE10hipError_tT0_T1_T2_jT3_P12ihipStream_tbPNSt15iterator_traitsISE_E10value_typeEPNSK_ISF_E10value_typeEPSG_NS1_7vsmem_tEENKUlT_SE_SF_SG_E_clIS8_S8_S9_S9_EESD_ST_SE_SF_SG_EUlST_E1_NS1_11comp_targetILNS1_3genE10ELNS1_11target_archE1201ELNS1_3gpuE5ELNS1_3repE0EEENS1_36merge_oddeven_config_static_selectorELNS0_4arch9wavefront6targetE1EEEvSF_
	.globl	_ZN7rocprim17ROCPRIM_400000_NS6detail17trampoline_kernelINS0_14default_configENS1_38merge_sort_block_merge_config_selectorIaNS0_10empty_typeEEEZZNS1_27merge_sort_block_merge_implIS3_PaPS5_jNS1_19radix_merge_compareILb0ELb1EaNS0_19identity_decomposerEEEEE10hipError_tT0_T1_T2_jT3_P12ihipStream_tbPNSt15iterator_traitsISE_E10value_typeEPNSK_ISF_E10value_typeEPSG_NS1_7vsmem_tEENKUlT_SE_SF_SG_E_clIS8_S8_S9_S9_EESD_ST_SE_SF_SG_EUlST_E1_NS1_11comp_targetILNS1_3genE10ELNS1_11target_archE1201ELNS1_3gpuE5ELNS1_3repE0EEENS1_36merge_oddeven_config_static_selectorELNS0_4arch9wavefront6targetE1EEEvSF_
	.p2align	8
	.type	_ZN7rocprim17ROCPRIM_400000_NS6detail17trampoline_kernelINS0_14default_configENS1_38merge_sort_block_merge_config_selectorIaNS0_10empty_typeEEEZZNS1_27merge_sort_block_merge_implIS3_PaPS5_jNS1_19radix_merge_compareILb0ELb1EaNS0_19identity_decomposerEEEEE10hipError_tT0_T1_T2_jT3_P12ihipStream_tbPNSt15iterator_traitsISE_E10value_typeEPNSK_ISF_E10value_typeEPSG_NS1_7vsmem_tEENKUlT_SE_SF_SG_E_clIS8_S8_S9_S9_EESD_ST_SE_SF_SG_EUlST_E1_NS1_11comp_targetILNS1_3genE10ELNS1_11target_archE1201ELNS1_3gpuE5ELNS1_3repE0EEENS1_36merge_oddeven_config_static_selectorELNS0_4arch9wavefront6targetE1EEEvSF_,@function
_ZN7rocprim17ROCPRIM_400000_NS6detail17trampoline_kernelINS0_14default_configENS1_38merge_sort_block_merge_config_selectorIaNS0_10empty_typeEEEZZNS1_27merge_sort_block_merge_implIS3_PaPS5_jNS1_19radix_merge_compareILb0ELb1EaNS0_19identity_decomposerEEEEE10hipError_tT0_T1_T2_jT3_P12ihipStream_tbPNSt15iterator_traitsISE_E10value_typeEPNSK_ISF_E10value_typeEPSG_NS1_7vsmem_tEENKUlT_SE_SF_SG_E_clIS8_S8_S9_S9_EESD_ST_SE_SF_SG_EUlST_E1_NS1_11comp_targetILNS1_3genE10ELNS1_11target_archE1201ELNS1_3gpuE5ELNS1_3repE0EEENS1_36merge_oddeven_config_static_selectorELNS0_4arch9wavefront6targetE1EEEvSF_: ; @_ZN7rocprim17ROCPRIM_400000_NS6detail17trampoline_kernelINS0_14default_configENS1_38merge_sort_block_merge_config_selectorIaNS0_10empty_typeEEEZZNS1_27merge_sort_block_merge_implIS3_PaPS5_jNS1_19radix_merge_compareILb0ELb1EaNS0_19identity_decomposerEEEEE10hipError_tT0_T1_T2_jT3_P12ihipStream_tbPNSt15iterator_traitsISE_E10value_typeEPNSK_ISF_E10value_typeEPSG_NS1_7vsmem_tEENKUlT_SE_SF_SG_E_clIS8_S8_S9_S9_EESD_ST_SE_SF_SG_EUlST_E1_NS1_11comp_targetILNS1_3genE10ELNS1_11target_archE1201ELNS1_3gpuE5ELNS1_3repE0EEENS1_36merge_oddeven_config_static_selectorELNS0_4arch9wavefront6targetE1EEEvSF_
; %bb.0:
	.section	.rodata,"a",@progbits
	.p2align	6, 0x0
	.amdhsa_kernel _ZN7rocprim17ROCPRIM_400000_NS6detail17trampoline_kernelINS0_14default_configENS1_38merge_sort_block_merge_config_selectorIaNS0_10empty_typeEEEZZNS1_27merge_sort_block_merge_implIS3_PaPS5_jNS1_19radix_merge_compareILb0ELb1EaNS0_19identity_decomposerEEEEE10hipError_tT0_T1_T2_jT3_P12ihipStream_tbPNSt15iterator_traitsISE_E10value_typeEPNSK_ISF_E10value_typeEPSG_NS1_7vsmem_tEENKUlT_SE_SF_SG_E_clIS8_S8_S9_S9_EESD_ST_SE_SF_SG_EUlST_E1_NS1_11comp_targetILNS1_3genE10ELNS1_11target_archE1201ELNS1_3gpuE5ELNS1_3repE0EEENS1_36merge_oddeven_config_static_selectorELNS0_4arch9wavefront6targetE1EEEvSF_
		.amdhsa_group_segment_fixed_size 0
		.amdhsa_private_segment_fixed_size 0
		.amdhsa_kernarg_size 48
		.amdhsa_user_sgpr_count 6
		.amdhsa_user_sgpr_private_segment_buffer 1
		.amdhsa_user_sgpr_dispatch_ptr 0
		.amdhsa_user_sgpr_queue_ptr 0
		.amdhsa_user_sgpr_kernarg_segment_ptr 1
		.amdhsa_user_sgpr_dispatch_id 0
		.amdhsa_user_sgpr_flat_scratch_init 0
		.amdhsa_user_sgpr_kernarg_preload_length 0
		.amdhsa_user_sgpr_kernarg_preload_offset 0
		.amdhsa_user_sgpr_private_segment_size 0
		.amdhsa_uses_dynamic_stack 0
		.amdhsa_system_sgpr_private_segment_wavefront_offset 0
		.amdhsa_system_sgpr_workgroup_id_x 1
		.amdhsa_system_sgpr_workgroup_id_y 0
		.amdhsa_system_sgpr_workgroup_id_z 0
		.amdhsa_system_sgpr_workgroup_info 0
		.amdhsa_system_vgpr_workitem_id 0
		.amdhsa_next_free_vgpr 1
		.amdhsa_next_free_sgpr 0
		.amdhsa_accum_offset 4
		.amdhsa_reserve_vcc 0
		.amdhsa_reserve_flat_scratch 0
		.amdhsa_float_round_mode_32 0
		.amdhsa_float_round_mode_16_64 0
		.amdhsa_float_denorm_mode_32 3
		.amdhsa_float_denorm_mode_16_64 3
		.amdhsa_dx10_clamp 1
		.amdhsa_ieee_mode 1
		.amdhsa_fp16_overflow 0
		.amdhsa_tg_split 0
		.amdhsa_exception_fp_ieee_invalid_op 0
		.amdhsa_exception_fp_denorm_src 0
		.amdhsa_exception_fp_ieee_div_zero 0
		.amdhsa_exception_fp_ieee_overflow 0
		.amdhsa_exception_fp_ieee_underflow 0
		.amdhsa_exception_fp_ieee_inexact 0
		.amdhsa_exception_int_div_zero 0
	.end_amdhsa_kernel
	.section	.text._ZN7rocprim17ROCPRIM_400000_NS6detail17trampoline_kernelINS0_14default_configENS1_38merge_sort_block_merge_config_selectorIaNS0_10empty_typeEEEZZNS1_27merge_sort_block_merge_implIS3_PaPS5_jNS1_19radix_merge_compareILb0ELb1EaNS0_19identity_decomposerEEEEE10hipError_tT0_T1_T2_jT3_P12ihipStream_tbPNSt15iterator_traitsISE_E10value_typeEPNSK_ISF_E10value_typeEPSG_NS1_7vsmem_tEENKUlT_SE_SF_SG_E_clIS8_S8_S9_S9_EESD_ST_SE_SF_SG_EUlST_E1_NS1_11comp_targetILNS1_3genE10ELNS1_11target_archE1201ELNS1_3gpuE5ELNS1_3repE0EEENS1_36merge_oddeven_config_static_selectorELNS0_4arch9wavefront6targetE1EEEvSF_,"axG",@progbits,_ZN7rocprim17ROCPRIM_400000_NS6detail17trampoline_kernelINS0_14default_configENS1_38merge_sort_block_merge_config_selectorIaNS0_10empty_typeEEEZZNS1_27merge_sort_block_merge_implIS3_PaPS5_jNS1_19radix_merge_compareILb0ELb1EaNS0_19identity_decomposerEEEEE10hipError_tT0_T1_T2_jT3_P12ihipStream_tbPNSt15iterator_traitsISE_E10value_typeEPNSK_ISF_E10value_typeEPSG_NS1_7vsmem_tEENKUlT_SE_SF_SG_E_clIS8_S8_S9_S9_EESD_ST_SE_SF_SG_EUlST_E1_NS1_11comp_targetILNS1_3genE10ELNS1_11target_archE1201ELNS1_3gpuE5ELNS1_3repE0EEENS1_36merge_oddeven_config_static_selectorELNS0_4arch9wavefront6targetE1EEEvSF_,comdat
.Lfunc_end185:
	.size	_ZN7rocprim17ROCPRIM_400000_NS6detail17trampoline_kernelINS0_14default_configENS1_38merge_sort_block_merge_config_selectorIaNS0_10empty_typeEEEZZNS1_27merge_sort_block_merge_implIS3_PaPS5_jNS1_19radix_merge_compareILb0ELb1EaNS0_19identity_decomposerEEEEE10hipError_tT0_T1_T2_jT3_P12ihipStream_tbPNSt15iterator_traitsISE_E10value_typeEPNSK_ISF_E10value_typeEPSG_NS1_7vsmem_tEENKUlT_SE_SF_SG_E_clIS8_S8_S9_S9_EESD_ST_SE_SF_SG_EUlST_E1_NS1_11comp_targetILNS1_3genE10ELNS1_11target_archE1201ELNS1_3gpuE5ELNS1_3repE0EEENS1_36merge_oddeven_config_static_selectorELNS0_4arch9wavefront6targetE1EEEvSF_, .Lfunc_end185-_ZN7rocprim17ROCPRIM_400000_NS6detail17trampoline_kernelINS0_14default_configENS1_38merge_sort_block_merge_config_selectorIaNS0_10empty_typeEEEZZNS1_27merge_sort_block_merge_implIS3_PaPS5_jNS1_19radix_merge_compareILb0ELb1EaNS0_19identity_decomposerEEEEE10hipError_tT0_T1_T2_jT3_P12ihipStream_tbPNSt15iterator_traitsISE_E10value_typeEPNSK_ISF_E10value_typeEPSG_NS1_7vsmem_tEENKUlT_SE_SF_SG_E_clIS8_S8_S9_S9_EESD_ST_SE_SF_SG_EUlST_E1_NS1_11comp_targetILNS1_3genE10ELNS1_11target_archE1201ELNS1_3gpuE5ELNS1_3repE0EEENS1_36merge_oddeven_config_static_selectorELNS0_4arch9wavefront6targetE1EEEvSF_
                                        ; -- End function
	.section	.AMDGPU.csdata,"",@progbits
; Kernel info:
; codeLenInByte = 0
; NumSgprs: 4
; NumVgprs: 0
; NumAgprs: 0
; TotalNumVgprs: 0
; ScratchSize: 0
; MemoryBound: 0
; FloatMode: 240
; IeeeMode: 1
; LDSByteSize: 0 bytes/workgroup (compile time only)
; SGPRBlocks: 0
; VGPRBlocks: 0
; NumSGPRsForWavesPerEU: 4
; NumVGPRsForWavesPerEU: 1
; AccumOffset: 4
; Occupancy: 8
; WaveLimiterHint : 0
; COMPUTE_PGM_RSRC2:SCRATCH_EN: 0
; COMPUTE_PGM_RSRC2:USER_SGPR: 6
; COMPUTE_PGM_RSRC2:TRAP_HANDLER: 0
; COMPUTE_PGM_RSRC2:TGID_X_EN: 1
; COMPUTE_PGM_RSRC2:TGID_Y_EN: 0
; COMPUTE_PGM_RSRC2:TGID_Z_EN: 0
; COMPUTE_PGM_RSRC2:TIDIG_COMP_CNT: 0
; COMPUTE_PGM_RSRC3_GFX90A:ACCUM_OFFSET: 0
; COMPUTE_PGM_RSRC3_GFX90A:TG_SPLIT: 0
	.section	.text._ZN7rocprim17ROCPRIM_400000_NS6detail17trampoline_kernelINS0_14default_configENS1_38merge_sort_block_merge_config_selectorIaNS0_10empty_typeEEEZZNS1_27merge_sort_block_merge_implIS3_PaPS5_jNS1_19radix_merge_compareILb0ELb1EaNS0_19identity_decomposerEEEEE10hipError_tT0_T1_T2_jT3_P12ihipStream_tbPNSt15iterator_traitsISE_E10value_typeEPNSK_ISF_E10value_typeEPSG_NS1_7vsmem_tEENKUlT_SE_SF_SG_E_clIS8_S8_S9_S9_EESD_ST_SE_SF_SG_EUlST_E1_NS1_11comp_targetILNS1_3genE5ELNS1_11target_archE942ELNS1_3gpuE9ELNS1_3repE0EEENS1_36merge_oddeven_config_static_selectorELNS0_4arch9wavefront6targetE1EEEvSF_,"axG",@progbits,_ZN7rocprim17ROCPRIM_400000_NS6detail17trampoline_kernelINS0_14default_configENS1_38merge_sort_block_merge_config_selectorIaNS0_10empty_typeEEEZZNS1_27merge_sort_block_merge_implIS3_PaPS5_jNS1_19radix_merge_compareILb0ELb1EaNS0_19identity_decomposerEEEEE10hipError_tT0_T1_T2_jT3_P12ihipStream_tbPNSt15iterator_traitsISE_E10value_typeEPNSK_ISF_E10value_typeEPSG_NS1_7vsmem_tEENKUlT_SE_SF_SG_E_clIS8_S8_S9_S9_EESD_ST_SE_SF_SG_EUlST_E1_NS1_11comp_targetILNS1_3genE5ELNS1_11target_archE942ELNS1_3gpuE9ELNS1_3repE0EEENS1_36merge_oddeven_config_static_selectorELNS0_4arch9wavefront6targetE1EEEvSF_,comdat
	.protected	_ZN7rocprim17ROCPRIM_400000_NS6detail17trampoline_kernelINS0_14default_configENS1_38merge_sort_block_merge_config_selectorIaNS0_10empty_typeEEEZZNS1_27merge_sort_block_merge_implIS3_PaPS5_jNS1_19radix_merge_compareILb0ELb1EaNS0_19identity_decomposerEEEEE10hipError_tT0_T1_T2_jT3_P12ihipStream_tbPNSt15iterator_traitsISE_E10value_typeEPNSK_ISF_E10value_typeEPSG_NS1_7vsmem_tEENKUlT_SE_SF_SG_E_clIS8_S8_S9_S9_EESD_ST_SE_SF_SG_EUlST_E1_NS1_11comp_targetILNS1_3genE5ELNS1_11target_archE942ELNS1_3gpuE9ELNS1_3repE0EEENS1_36merge_oddeven_config_static_selectorELNS0_4arch9wavefront6targetE1EEEvSF_ ; -- Begin function _ZN7rocprim17ROCPRIM_400000_NS6detail17trampoline_kernelINS0_14default_configENS1_38merge_sort_block_merge_config_selectorIaNS0_10empty_typeEEEZZNS1_27merge_sort_block_merge_implIS3_PaPS5_jNS1_19radix_merge_compareILb0ELb1EaNS0_19identity_decomposerEEEEE10hipError_tT0_T1_T2_jT3_P12ihipStream_tbPNSt15iterator_traitsISE_E10value_typeEPNSK_ISF_E10value_typeEPSG_NS1_7vsmem_tEENKUlT_SE_SF_SG_E_clIS8_S8_S9_S9_EESD_ST_SE_SF_SG_EUlST_E1_NS1_11comp_targetILNS1_3genE5ELNS1_11target_archE942ELNS1_3gpuE9ELNS1_3repE0EEENS1_36merge_oddeven_config_static_selectorELNS0_4arch9wavefront6targetE1EEEvSF_
	.globl	_ZN7rocprim17ROCPRIM_400000_NS6detail17trampoline_kernelINS0_14default_configENS1_38merge_sort_block_merge_config_selectorIaNS0_10empty_typeEEEZZNS1_27merge_sort_block_merge_implIS3_PaPS5_jNS1_19radix_merge_compareILb0ELb1EaNS0_19identity_decomposerEEEEE10hipError_tT0_T1_T2_jT3_P12ihipStream_tbPNSt15iterator_traitsISE_E10value_typeEPNSK_ISF_E10value_typeEPSG_NS1_7vsmem_tEENKUlT_SE_SF_SG_E_clIS8_S8_S9_S9_EESD_ST_SE_SF_SG_EUlST_E1_NS1_11comp_targetILNS1_3genE5ELNS1_11target_archE942ELNS1_3gpuE9ELNS1_3repE0EEENS1_36merge_oddeven_config_static_selectorELNS0_4arch9wavefront6targetE1EEEvSF_
	.p2align	8
	.type	_ZN7rocprim17ROCPRIM_400000_NS6detail17trampoline_kernelINS0_14default_configENS1_38merge_sort_block_merge_config_selectorIaNS0_10empty_typeEEEZZNS1_27merge_sort_block_merge_implIS3_PaPS5_jNS1_19radix_merge_compareILb0ELb1EaNS0_19identity_decomposerEEEEE10hipError_tT0_T1_T2_jT3_P12ihipStream_tbPNSt15iterator_traitsISE_E10value_typeEPNSK_ISF_E10value_typeEPSG_NS1_7vsmem_tEENKUlT_SE_SF_SG_E_clIS8_S8_S9_S9_EESD_ST_SE_SF_SG_EUlST_E1_NS1_11comp_targetILNS1_3genE5ELNS1_11target_archE942ELNS1_3gpuE9ELNS1_3repE0EEENS1_36merge_oddeven_config_static_selectorELNS0_4arch9wavefront6targetE1EEEvSF_,@function
_ZN7rocprim17ROCPRIM_400000_NS6detail17trampoline_kernelINS0_14default_configENS1_38merge_sort_block_merge_config_selectorIaNS0_10empty_typeEEEZZNS1_27merge_sort_block_merge_implIS3_PaPS5_jNS1_19radix_merge_compareILb0ELb1EaNS0_19identity_decomposerEEEEE10hipError_tT0_T1_T2_jT3_P12ihipStream_tbPNSt15iterator_traitsISE_E10value_typeEPNSK_ISF_E10value_typeEPSG_NS1_7vsmem_tEENKUlT_SE_SF_SG_E_clIS8_S8_S9_S9_EESD_ST_SE_SF_SG_EUlST_E1_NS1_11comp_targetILNS1_3genE5ELNS1_11target_archE942ELNS1_3gpuE9ELNS1_3repE0EEENS1_36merge_oddeven_config_static_selectorELNS0_4arch9wavefront6targetE1EEEvSF_: ; @_ZN7rocprim17ROCPRIM_400000_NS6detail17trampoline_kernelINS0_14default_configENS1_38merge_sort_block_merge_config_selectorIaNS0_10empty_typeEEEZZNS1_27merge_sort_block_merge_implIS3_PaPS5_jNS1_19radix_merge_compareILb0ELb1EaNS0_19identity_decomposerEEEEE10hipError_tT0_T1_T2_jT3_P12ihipStream_tbPNSt15iterator_traitsISE_E10value_typeEPNSK_ISF_E10value_typeEPSG_NS1_7vsmem_tEENKUlT_SE_SF_SG_E_clIS8_S8_S9_S9_EESD_ST_SE_SF_SG_EUlST_E1_NS1_11comp_targetILNS1_3genE5ELNS1_11target_archE942ELNS1_3gpuE9ELNS1_3repE0EEENS1_36merge_oddeven_config_static_selectorELNS0_4arch9wavefront6targetE1EEEvSF_
; %bb.0:
	.section	.rodata,"a",@progbits
	.p2align	6, 0x0
	.amdhsa_kernel _ZN7rocprim17ROCPRIM_400000_NS6detail17trampoline_kernelINS0_14default_configENS1_38merge_sort_block_merge_config_selectorIaNS0_10empty_typeEEEZZNS1_27merge_sort_block_merge_implIS3_PaPS5_jNS1_19radix_merge_compareILb0ELb1EaNS0_19identity_decomposerEEEEE10hipError_tT0_T1_T2_jT3_P12ihipStream_tbPNSt15iterator_traitsISE_E10value_typeEPNSK_ISF_E10value_typeEPSG_NS1_7vsmem_tEENKUlT_SE_SF_SG_E_clIS8_S8_S9_S9_EESD_ST_SE_SF_SG_EUlST_E1_NS1_11comp_targetILNS1_3genE5ELNS1_11target_archE942ELNS1_3gpuE9ELNS1_3repE0EEENS1_36merge_oddeven_config_static_selectorELNS0_4arch9wavefront6targetE1EEEvSF_
		.amdhsa_group_segment_fixed_size 0
		.amdhsa_private_segment_fixed_size 0
		.amdhsa_kernarg_size 48
		.amdhsa_user_sgpr_count 6
		.amdhsa_user_sgpr_private_segment_buffer 1
		.amdhsa_user_sgpr_dispatch_ptr 0
		.amdhsa_user_sgpr_queue_ptr 0
		.amdhsa_user_sgpr_kernarg_segment_ptr 1
		.amdhsa_user_sgpr_dispatch_id 0
		.amdhsa_user_sgpr_flat_scratch_init 0
		.amdhsa_user_sgpr_kernarg_preload_length 0
		.amdhsa_user_sgpr_kernarg_preload_offset 0
		.amdhsa_user_sgpr_private_segment_size 0
		.amdhsa_uses_dynamic_stack 0
		.amdhsa_system_sgpr_private_segment_wavefront_offset 0
		.amdhsa_system_sgpr_workgroup_id_x 1
		.amdhsa_system_sgpr_workgroup_id_y 0
		.amdhsa_system_sgpr_workgroup_id_z 0
		.amdhsa_system_sgpr_workgroup_info 0
		.amdhsa_system_vgpr_workitem_id 0
		.amdhsa_next_free_vgpr 1
		.amdhsa_next_free_sgpr 0
		.amdhsa_accum_offset 4
		.amdhsa_reserve_vcc 0
		.amdhsa_reserve_flat_scratch 0
		.amdhsa_float_round_mode_32 0
		.amdhsa_float_round_mode_16_64 0
		.amdhsa_float_denorm_mode_32 3
		.amdhsa_float_denorm_mode_16_64 3
		.amdhsa_dx10_clamp 1
		.amdhsa_ieee_mode 1
		.amdhsa_fp16_overflow 0
		.amdhsa_tg_split 0
		.amdhsa_exception_fp_ieee_invalid_op 0
		.amdhsa_exception_fp_denorm_src 0
		.amdhsa_exception_fp_ieee_div_zero 0
		.amdhsa_exception_fp_ieee_overflow 0
		.amdhsa_exception_fp_ieee_underflow 0
		.amdhsa_exception_fp_ieee_inexact 0
		.amdhsa_exception_int_div_zero 0
	.end_amdhsa_kernel
	.section	.text._ZN7rocprim17ROCPRIM_400000_NS6detail17trampoline_kernelINS0_14default_configENS1_38merge_sort_block_merge_config_selectorIaNS0_10empty_typeEEEZZNS1_27merge_sort_block_merge_implIS3_PaPS5_jNS1_19radix_merge_compareILb0ELb1EaNS0_19identity_decomposerEEEEE10hipError_tT0_T1_T2_jT3_P12ihipStream_tbPNSt15iterator_traitsISE_E10value_typeEPNSK_ISF_E10value_typeEPSG_NS1_7vsmem_tEENKUlT_SE_SF_SG_E_clIS8_S8_S9_S9_EESD_ST_SE_SF_SG_EUlST_E1_NS1_11comp_targetILNS1_3genE5ELNS1_11target_archE942ELNS1_3gpuE9ELNS1_3repE0EEENS1_36merge_oddeven_config_static_selectorELNS0_4arch9wavefront6targetE1EEEvSF_,"axG",@progbits,_ZN7rocprim17ROCPRIM_400000_NS6detail17trampoline_kernelINS0_14default_configENS1_38merge_sort_block_merge_config_selectorIaNS0_10empty_typeEEEZZNS1_27merge_sort_block_merge_implIS3_PaPS5_jNS1_19radix_merge_compareILb0ELb1EaNS0_19identity_decomposerEEEEE10hipError_tT0_T1_T2_jT3_P12ihipStream_tbPNSt15iterator_traitsISE_E10value_typeEPNSK_ISF_E10value_typeEPSG_NS1_7vsmem_tEENKUlT_SE_SF_SG_E_clIS8_S8_S9_S9_EESD_ST_SE_SF_SG_EUlST_E1_NS1_11comp_targetILNS1_3genE5ELNS1_11target_archE942ELNS1_3gpuE9ELNS1_3repE0EEENS1_36merge_oddeven_config_static_selectorELNS0_4arch9wavefront6targetE1EEEvSF_,comdat
.Lfunc_end186:
	.size	_ZN7rocprim17ROCPRIM_400000_NS6detail17trampoline_kernelINS0_14default_configENS1_38merge_sort_block_merge_config_selectorIaNS0_10empty_typeEEEZZNS1_27merge_sort_block_merge_implIS3_PaPS5_jNS1_19radix_merge_compareILb0ELb1EaNS0_19identity_decomposerEEEEE10hipError_tT0_T1_T2_jT3_P12ihipStream_tbPNSt15iterator_traitsISE_E10value_typeEPNSK_ISF_E10value_typeEPSG_NS1_7vsmem_tEENKUlT_SE_SF_SG_E_clIS8_S8_S9_S9_EESD_ST_SE_SF_SG_EUlST_E1_NS1_11comp_targetILNS1_3genE5ELNS1_11target_archE942ELNS1_3gpuE9ELNS1_3repE0EEENS1_36merge_oddeven_config_static_selectorELNS0_4arch9wavefront6targetE1EEEvSF_, .Lfunc_end186-_ZN7rocprim17ROCPRIM_400000_NS6detail17trampoline_kernelINS0_14default_configENS1_38merge_sort_block_merge_config_selectorIaNS0_10empty_typeEEEZZNS1_27merge_sort_block_merge_implIS3_PaPS5_jNS1_19radix_merge_compareILb0ELb1EaNS0_19identity_decomposerEEEEE10hipError_tT0_T1_T2_jT3_P12ihipStream_tbPNSt15iterator_traitsISE_E10value_typeEPNSK_ISF_E10value_typeEPSG_NS1_7vsmem_tEENKUlT_SE_SF_SG_E_clIS8_S8_S9_S9_EESD_ST_SE_SF_SG_EUlST_E1_NS1_11comp_targetILNS1_3genE5ELNS1_11target_archE942ELNS1_3gpuE9ELNS1_3repE0EEENS1_36merge_oddeven_config_static_selectorELNS0_4arch9wavefront6targetE1EEEvSF_
                                        ; -- End function
	.section	.AMDGPU.csdata,"",@progbits
; Kernel info:
; codeLenInByte = 0
; NumSgprs: 4
; NumVgprs: 0
; NumAgprs: 0
; TotalNumVgprs: 0
; ScratchSize: 0
; MemoryBound: 0
; FloatMode: 240
; IeeeMode: 1
; LDSByteSize: 0 bytes/workgroup (compile time only)
; SGPRBlocks: 0
; VGPRBlocks: 0
; NumSGPRsForWavesPerEU: 4
; NumVGPRsForWavesPerEU: 1
; AccumOffset: 4
; Occupancy: 8
; WaveLimiterHint : 0
; COMPUTE_PGM_RSRC2:SCRATCH_EN: 0
; COMPUTE_PGM_RSRC2:USER_SGPR: 6
; COMPUTE_PGM_RSRC2:TRAP_HANDLER: 0
; COMPUTE_PGM_RSRC2:TGID_X_EN: 1
; COMPUTE_PGM_RSRC2:TGID_Y_EN: 0
; COMPUTE_PGM_RSRC2:TGID_Z_EN: 0
; COMPUTE_PGM_RSRC2:TIDIG_COMP_CNT: 0
; COMPUTE_PGM_RSRC3_GFX90A:ACCUM_OFFSET: 0
; COMPUTE_PGM_RSRC3_GFX90A:TG_SPLIT: 0
	.section	.text._ZN7rocprim17ROCPRIM_400000_NS6detail17trampoline_kernelINS0_14default_configENS1_38merge_sort_block_merge_config_selectorIaNS0_10empty_typeEEEZZNS1_27merge_sort_block_merge_implIS3_PaPS5_jNS1_19radix_merge_compareILb0ELb1EaNS0_19identity_decomposerEEEEE10hipError_tT0_T1_T2_jT3_P12ihipStream_tbPNSt15iterator_traitsISE_E10value_typeEPNSK_ISF_E10value_typeEPSG_NS1_7vsmem_tEENKUlT_SE_SF_SG_E_clIS8_S8_S9_S9_EESD_ST_SE_SF_SG_EUlST_E1_NS1_11comp_targetILNS1_3genE4ELNS1_11target_archE910ELNS1_3gpuE8ELNS1_3repE0EEENS1_36merge_oddeven_config_static_selectorELNS0_4arch9wavefront6targetE1EEEvSF_,"axG",@progbits,_ZN7rocprim17ROCPRIM_400000_NS6detail17trampoline_kernelINS0_14default_configENS1_38merge_sort_block_merge_config_selectorIaNS0_10empty_typeEEEZZNS1_27merge_sort_block_merge_implIS3_PaPS5_jNS1_19radix_merge_compareILb0ELb1EaNS0_19identity_decomposerEEEEE10hipError_tT0_T1_T2_jT3_P12ihipStream_tbPNSt15iterator_traitsISE_E10value_typeEPNSK_ISF_E10value_typeEPSG_NS1_7vsmem_tEENKUlT_SE_SF_SG_E_clIS8_S8_S9_S9_EESD_ST_SE_SF_SG_EUlST_E1_NS1_11comp_targetILNS1_3genE4ELNS1_11target_archE910ELNS1_3gpuE8ELNS1_3repE0EEENS1_36merge_oddeven_config_static_selectorELNS0_4arch9wavefront6targetE1EEEvSF_,comdat
	.protected	_ZN7rocprim17ROCPRIM_400000_NS6detail17trampoline_kernelINS0_14default_configENS1_38merge_sort_block_merge_config_selectorIaNS0_10empty_typeEEEZZNS1_27merge_sort_block_merge_implIS3_PaPS5_jNS1_19radix_merge_compareILb0ELb1EaNS0_19identity_decomposerEEEEE10hipError_tT0_T1_T2_jT3_P12ihipStream_tbPNSt15iterator_traitsISE_E10value_typeEPNSK_ISF_E10value_typeEPSG_NS1_7vsmem_tEENKUlT_SE_SF_SG_E_clIS8_S8_S9_S9_EESD_ST_SE_SF_SG_EUlST_E1_NS1_11comp_targetILNS1_3genE4ELNS1_11target_archE910ELNS1_3gpuE8ELNS1_3repE0EEENS1_36merge_oddeven_config_static_selectorELNS0_4arch9wavefront6targetE1EEEvSF_ ; -- Begin function _ZN7rocprim17ROCPRIM_400000_NS6detail17trampoline_kernelINS0_14default_configENS1_38merge_sort_block_merge_config_selectorIaNS0_10empty_typeEEEZZNS1_27merge_sort_block_merge_implIS3_PaPS5_jNS1_19radix_merge_compareILb0ELb1EaNS0_19identity_decomposerEEEEE10hipError_tT0_T1_T2_jT3_P12ihipStream_tbPNSt15iterator_traitsISE_E10value_typeEPNSK_ISF_E10value_typeEPSG_NS1_7vsmem_tEENKUlT_SE_SF_SG_E_clIS8_S8_S9_S9_EESD_ST_SE_SF_SG_EUlST_E1_NS1_11comp_targetILNS1_3genE4ELNS1_11target_archE910ELNS1_3gpuE8ELNS1_3repE0EEENS1_36merge_oddeven_config_static_selectorELNS0_4arch9wavefront6targetE1EEEvSF_
	.globl	_ZN7rocprim17ROCPRIM_400000_NS6detail17trampoline_kernelINS0_14default_configENS1_38merge_sort_block_merge_config_selectorIaNS0_10empty_typeEEEZZNS1_27merge_sort_block_merge_implIS3_PaPS5_jNS1_19radix_merge_compareILb0ELb1EaNS0_19identity_decomposerEEEEE10hipError_tT0_T1_T2_jT3_P12ihipStream_tbPNSt15iterator_traitsISE_E10value_typeEPNSK_ISF_E10value_typeEPSG_NS1_7vsmem_tEENKUlT_SE_SF_SG_E_clIS8_S8_S9_S9_EESD_ST_SE_SF_SG_EUlST_E1_NS1_11comp_targetILNS1_3genE4ELNS1_11target_archE910ELNS1_3gpuE8ELNS1_3repE0EEENS1_36merge_oddeven_config_static_selectorELNS0_4arch9wavefront6targetE1EEEvSF_
	.p2align	8
	.type	_ZN7rocprim17ROCPRIM_400000_NS6detail17trampoline_kernelINS0_14default_configENS1_38merge_sort_block_merge_config_selectorIaNS0_10empty_typeEEEZZNS1_27merge_sort_block_merge_implIS3_PaPS5_jNS1_19radix_merge_compareILb0ELb1EaNS0_19identity_decomposerEEEEE10hipError_tT0_T1_T2_jT3_P12ihipStream_tbPNSt15iterator_traitsISE_E10value_typeEPNSK_ISF_E10value_typeEPSG_NS1_7vsmem_tEENKUlT_SE_SF_SG_E_clIS8_S8_S9_S9_EESD_ST_SE_SF_SG_EUlST_E1_NS1_11comp_targetILNS1_3genE4ELNS1_11target_archE910ELNS1_3gpuE8ELNS1_3repE0EEENS1_36merge_oddeven_config_static_selectorELNS0_4arch9wavefront6targetE1EEEvSF_,@function
_ZN7rocprim17ROCPRIM_400000_NS6detail17trampoline_kernelINS0_14default_configENS1_38merge_sort_block_merge_config_selectorIaNS0_10empty_typeEEEZZNS1_27merge_sort_block_merge_implIS3_PaPS5_jNS1_19radix_merge_compareILb0ELb1EaNS0_19identity_decomposerEEEEE10hipError_tT0_T1_T2_jT3_P12ihipStream_tbPNSt15iterator_traitsISE_E10value_typeEPNSK_ISF_E10value_typeEPSG_NS1_7vsmem_tEENKUlT_SE_SF_SG_E_clIS8_S8_S9_S9_EESD_ST_SE_SF_SG_EUlST_E1_NS1_11comp_targetILNS1_3genE4ELNS1_11target_archE910ELNS1_3gpuE8ELNS1_3repE0EEENS1_36merge_oddeven_config_static_selectorELNS0_4arch9wavefront6targetE1EEEvSF_: ; @_ZN7rocprim17ROCPRIM_400000_NS6detail17trampoline_kernelINS0_14default_configENS1_38merge_sort_block_merge_config_selectorIaNS0_10empty_typeEEEZZNS1_27merge_sort_block_merge_implIS3_PaPS5_jNS1_19radix_merge_compareILb0ELb1EaNS0_19identity_decomposerEEEEE10hipError_tT0_T1_T2_jT3_P12ihipStream_tbPNSt15iterator_traitsISE_E10value_typeEPNSK_ISF_E10value_typeEPSG_NS1_7vsmem_tEENKUlT_SE_SF_SG_E_clIS8_S8_S9_S9_EESD_ST_SE_SF_SG_EUlST_E1_NS1_11comp_targetILNS1_3genE4ELNS1_11target_archE910ELNS1_3gpuE8ELNS1_3repE0EEENS1_36merge_oddeven_config_static_selectorELNS0_4arch9wavefront6targetE1EEEvSF_
; %bb.0:
	s_load_dword s17, s[4:5], 0x20
	s_waitcnt lgkmcnt(0)
	s_lshr_b32 s0, s17, 8
	s_cmp_lg_u32 s6, s0
	s_cselect_b64 s[14:15], -1, 0
	s_cmp_eq_u32 s6, s0
	s_cselect_b64 s[12:13], -1, 0
	s_lshl_b32 s7, s6, 8
	s_sub_i32 s0, s17, s7
	v_cmp_gt_u32_e64 s[2:3], s0, v0
	s_or_b64 s[0:1], s[14:15], s[2:3]
	s_and_saveexec_b64 s[8:9], s[0:1]
	s_cbranch_execz .LBB187_20
; %bb.1:
	s_load_dwordx4 s[8:11], s[4:5], 0x0
	s_load_dword s18, s[4:5], 0x24
	v_add_u32_e32 v2, s7, v0
	s_waitcnt lgkmcnt(0)
	s_add_u32 s0, s8, s7
	s_addc_u32 s1, s9, 0
	global_load_ubyte v1, v0, s[0:1]
	s_lshr_b32 s0, s18, 8
	s_sub_i32 s1, 0, s0
	s_and_b32 s1, s6, s1
	s_and_b32 s0, s1, s0
	s_lshl_b32 s19, s1, 8
	s_sub_i32 s6, 0, s18
	s_cmp_eq_u32 s0, 0
	s_cselect_b64 s[0:1], -1, 0
	s_and_b64 s[20:21], s[0:1], exec
	s_cselect_b32 s16, s18, s6
	s_add_i32 s16, s16, s19
	s_cmp_lt_u32 s16, s17
	s_cbranch_scc1 .LBB187_3
; %bb.2:
	v_cmp_gt_u32_e32 vcc, s17, v2
	s_or_b64 s[6:7], vcc, s[14:15]
	s_and_b64 s[6:7], s[6:7], exec
	s_cbranch_execz .LBB187_4
	s_branch .LBB187_18
.LBB187_3:
	s_mov_b64 s[6:7], 0
.LBB187_4:
	s_load_dword s14, s[4:5], 0x28
	s_min_u32 s15, s16, s17
	s_add_i32 s4, s15, s18
	s_min_u32 s17, s4, s17
	s_min_u32 s4, s19, s15
	s_add_i32 s19, s19, s15
	v_subrev_u32_e32 v0, s19, v2
	v_add_u32_e32 v0, s4, v0
	s_and_b64 vcc, exec, s[12:13]
	s_cbranch_vccz .LBB187_12
; %bb.5:
                                        ; implicit-def: $vgpr2
	s_and_saveexec_b64 s[4:5], s[2:3]
	s_cbranch_execz .LBB187_11
; %bb.6:
	s_cmp_ge_u32 s16, s17
	v_mov_b32_e32 v2, s15
	s_cbranch_scc1 .LBB187_10
; %bb.7:
	s_waitcnt vmcnt(0) lgkmcnt(0)
	v_and_b32_e32 v3, s14, v1
	s_mov_b64 s[2:3], 0
	v_mov_b32_e32 v4, s17
	v_mov_b32_e32 v2, s15
.LBB187_8:                              ; =>This Inner Loop Header: Depth=1
	v_add_u32_e32 v5, v2, v4
	v_lshrrev_b32_e32 v5, 1, v5
	global_load_ubyte v6, v5, s[8:9]
	v_add_u32_e32 v7, 1, v5
	s_waitcnt vmcnt(0)
	v_and_b32_e32 v6, s14, v6
	v_bfe_i32 v6, v6, 0, 8
	v_cmp_gt_i16_sdwa s[12:13], sext(v3), v6 src0_sel:BYTE_0 src1_sel:DWORD
	v_cndmask_b32_e64 v8, 0, 1, s[12:13]
	v_cmp_le_i16_sdwa s[12:13], v6, sext(v3) src0_sel:DWORD src1_sel:BYTE_0
	v_cndmask_b32_e64 v6, 0, 1, s[12:13]
	v_cndmask_b32_e64 v6, v6, v8, s[0:1]
	v_and_b32_e32 v6, 1, v6
	v_cmp_eq_u32_e32 vcc, 1, v6
	v_cndmask_b32_e32 v4, v5, v4, vcc
	v_cndmask_b32_e32 v2, v2, v7, vcc
	v_cmp_ge_u32_e32 vcc, v2, v4
	s_or_b64 s[2:3], vcc, s[2:3]
	s_andn2_b64 exec, exec, s[2:3]
	s_cbranch_execnz .LBB187_8
; %bb.9:
	s_or_b64 exec, exec, s[2:3]
.LBB187_10:
	v_add_u32_e32 v2, v2, v0
	s_or_b64 s[6:7], s[6:7], exec
.LBB187_11:
	s_or_b64 exec, exec, s[4:5]
	s_branch .LBB187_18
.LBB187_12:
                                        ; implicit-def: $vgpr2
	s_cbranch_execz .LBB187_18
; %bb.13:
	s_cmp_ge_u32 s16, s17
	v_mov_b32_e32 v2, s15
	s_cbranch_scc1 .LBB187_17
; %bb.14:
	s_waitcnt vmcnt(0) lgkmcnt(0)
	v_and_b32_e32 v3, s14, v1
	s_mov_b64 s[2:3], 0
	v_mov_b32_e32 v4, s17
	v_mov_b32_e32 v2, s15
.LBB187_15:                             ; =>This Inner Loop Header: Depth=1
	v_add_u32_e32 v5, v2, v4
	v_lshrrev_b32_e32 v5, 1, v5
	global_load_ubyte v6, v5, s[8:9]
	v_add_u32_e32 v7, 1, v5
	s_waitcnt vmcnt(0)
	v_and_b32_e32 v6, s14, v6
	v_bfe_i32 v6, v6, 0, 8
	v_cmp_gt_i16_sdwa s[4:5], sext(v3), v6 src0_sel:BYTE_0 src1_sel:DWORD
	v_cndmask_b32_e64 v8, 0, 1, s[4:5]
	v_cmp_le_i16_sdwa s[4:5], v6, sext(v3) src0_sel:DWORD src1_sel:BYTE_0
	v_cndmask_b32_e64 v6, 0, 1, s[4:5]
	v_cndmask_b32_e64 v6, v6, v8, s[0:1]
	v_and_b32_e32 v6, 1, v6
	v_cmp_eq_u32_e32 vcc, 1, v6
	v_cndmask_b32_e32 v4, v5, v4, vcc
	v_cndmask_b32_e32 v2, v2, v7, vcc
	v_cmp_ge_u32_e32 vcc, v2, v4
	s_or_b64 s[2:3], vcc, s[2:3]
	s_andn2_b64 exec, exec, s[2:3]
	s_cbranch_execnz .LBB187_15
; %bb.16:
	s_or_b64 exec, exec, s[2:3]
.LBB187_17:
	v_add_u32_e32 v2, v2, v0
	s_mov_b64 s[6:7], -1
.LBB187_18:
	s_and_b64 exec, exec, s[6:7]
	s_cbranch_execz .LBB187_20
; %bb.19:
	s_waitcnt vmcnt(0)
	global_store_byte v2, v1, s[10:11]
.LBB187_20:
	s_endpgm
	.section	.rodata,"a",@progbits
	.p2align	6, 0x0
	.amdhsa_kernel _ZN7rocprim17ROCPRIM_400000_NS6detail17trampoline_kernelINS0_14default_configENS1_38merge_sort_block_merge_config_selectorIaNS0_10empty_typeEEEZZNS1_27merge_sort_block_merge_implIS3_PaPS5_jNS1_19radix_merge_compareILb0ELb1EaNS0_19identity_decomposerEEEEE10hipError_tT0_T1_T2_jT3_P12ihipStream_tbPNSt15iterator_traitsISE_E10value_typeEPNSK_ISF_E10value_typeEPSG_NS1_7vsmem_tEENKUlT_SE_SF_SG_E_clIS8_S8_S9_S9_EESD_ST_SE_SF_SG_EUlST_E1_NS1_11comp_targetILNS1_3genE4ELNS1_11target_archE910ELNS1_3gpuE8ELNS1_3repE0EEENS1_36merge_oddeven_config_static_selectorELNS0_4arch9wavefront6targetE1EEEvSF_
		.amdhsa_group_segment_fixed_size 0
		.amdhsa_private_segment_fixed_size 0
		.amdhsa_kernarg_size 48
		.amdhsa_user_sgpr_count 6
		.amdhsa_user_sgpr_private_segment_buffer 1
		.amdhsa_user_sgpr_dispatch_ptr 0
		.amdhsa_user_sgpr_queue_ptr 0
		.amdhsa_user_sgpr_kernarg_segment_ptr 1
		.amdhsa_user_sgpr_dispatch_id 0
		.amdhsa_user_sgpr_flat_scratch_init 0
		.amdhsa_user_sgpr_kernarg_preload_length 0
		.amdhsa_user_sgpr_kernarg_preload_offset 0
		.amdhsa_user_sgpr_private_segment_size 0
		.amdhsa_uses_dynamic_stack 0
		.amdhsa_system_sgpr_private_segment_wavefront_offset 0
		.amdhsa_system_sgpr_workgroup_id_x 1
		.amdhsa_system_sgpr_workgroup_id_y 0
		.amdhsa_system_sgpr_workgroup_id_z 0
		.amdhsa_system_sgpr_workgroup_info 0
		.amdhsa_system_vgpr_workitem_id 0
		.amdhsa_next_free_vgpr 9
		.amdhsa_next_free_sgpr 22
		.amdhsa_accum_offset 12
		.amdhsa_reserve_vcc 1
		.amdhsa_reserve_flat_scratch 0
		.amdhsa_float_round_mode_32 0
		.amdhsa_float_round_mode_16_64 0
		.amdhsa_float_denorm_mode_32 3
		.amdhsa_float_denorm_mode_16_64 3
		.amdhsa_dx10_clamp 1
		.amdhsa_ieee_mode 1
		.amdhsa_fp16_overflow 0
		.amdhsa_tg_split 0
		.amdhsa_exception_fp_ieee_invalid_op 0
		.amdhsa_exception_fp_denorm_src 0
		.amdhsa_exception_fp_ieee_div_zero 0
		.amdhsa_exception_fp_ieee_overflow 0
		.amdhsa_exception_fp_ieee_underflow 0
		.amdhsa_exception_fp_ieee_inexact 0
		.amdhsa_exception_int_div_zero 0
	.end_amdhsa_kernel
	.section	.text._ZN7rocprim17ROCPRIM_400000_NS6detail17trampoline_kernelINS0_14default_configENS1_38merge_sort_block_merge_config_selectorIaNS0_10empty_typeEEEZZNS1_27merge_sort_block_merge_implIS3_PaPS5_jNS1_19radix_merge_compareILb0ELb1EaNS0_19identity_decomposerEEEEE10hipError_tT0_T1_T2_jT3_P12ihipStream_tbPNSt15iterator_traitsISE_E10value_typeEPNSK_ISF_E10value_typeEPSG_NS1_7vsmem_tEENKUlT_SE_SF_SG_E_clIS8_S8_S9_S9_EESD_ST_SE_SF_SG_EUlST_E1_NS1_11comp_targetILNS1_3genE4ELNS1_11target_archE910ELNS1_3gpuE8ELNS1_3repE0EEENS1_36merge_oddeven_config_static_selectorELNS0_4arch9wavefront6targetE1EEEvSF_,"axG",@progbits,_ZN7rocprim17ROCPRIM_400000_NS6detail17trampoline_kernelINS0_14default_configENS1_38merge_sort_block_merge_config_selectorIaNS0_10empty_typeEEEZZNS1_27merge_sort_block_merge_implIS3_PaPS5_jNS1_19radix_merge_compareILb0ELb1EaNS0_19identity_decomposerEEEEE10hipError_tT0_T1_T2_jT3_P12ihipStream_tbPNSt15iterator_traitsISE_E10value_typeEPNSK_ISF_E10value_typeEPSG_NS1_7vsmem_tEENKUlT_SE_SF_SG_E_clIS8_S8_S9_S9_EESD_ST_SE_SF_SG_EUlST_E1_NS1_11comp_targetILNS1_3genE4ELNS1_11target_archE910ELNS1_3gpuE8ELNS1_3repE0EEENS1_36merge_oddeven_config_static_selectorELNS0_4arch9wavefront6targetE1EEEvSF_,comdat
.Lfunc_end187:
	.size	_ZN7rocprim17ROCPRIM_400000_NS6detail17trampoline_kernelINS0_14default_configENS1_38merge_sort_block_merge_config_selectorIaNS0_10empty_typeEEEZZNS1_27merge_sort_block_merge_implIS3_PaPS5_jNS1_19radix_merge_compareILb0ELb1EaNS0_19identity_decomposerEEEEE10hipError_tT0_T1_T2_jT3_P12ihipStream_tbPNSt15iterator_traitsISE_E10value_typeEPNSK_ISF_E10value_typeEPSG_NS1_7vsmem_tEENKUlT_SE_SF_SG_E_clIS8_S8_S9_S9_EESD_ST_SE_SF_SG_EUlST_E1_NS1_11comp_targetILNS1_3genE4ELNS1_11target_archE910ELNS1_3gpuE8ELNS1_3repE0EEENS1_36merge_oddeven_config_static_selectorELNS0_4arch9wavefront6targetE1EEEvSF_, .Lfunc_end187-_ZN7rocprim17ROCPRIM_400000_NS6detail17trampoline_kernelINS0_14default_configENS1_38merge_sort_block_merge_config_selectorIaNS0_10empty_typeEEEZZNS1_27merge_sort_block_merge_implIS3_PaPS5_jNS1_19radix_merge_compareILb0ELb1EaNS0_19identity_decomposerEEEEE10hipError_tT0_T1_T2_jT3_P12ihipStream_tbPNSt15iterator_traitsISE_E10value_typeEPNSK_ISF_E10value_typeEPSG_NS1_7vsmem_tEENKUlT_SE_SF_SG_E_clIS8_S8_S9_S9_EESD_ST_SE_SF_SG_EUlST_E1_NS1_11comp_targetILNS1_3genE4ELNS1_11target_archE910ELNS1_3gpuE8ELNS1_3repE0EEENS1_36merge_oddeven_config_static_selectorELNS0_4arch9wavefront6targetE1EEEvSF_
                                        ; -- End function
	.section	.AMDGPU.csdata,"",@progbits
; Kernel info:
; codeLenInByte = 568
; NumSgprs: 26
; NumVgprs: 9
; NumAgprs: 0
; TotalNumVgprs: 9
; ScratchSize: 0
; MemoryBound: 0
; FloatMode: 240
; IeeeMode: 1
; LDSByteSize: 0 bytes/workgroup (compile time only)
; SGPRBlocks: 3
; VGPRBlocks: 1
; NumSGPRsForWavesPerEU: 26
; NumVGPRsForWavesPerEU: 9
; AccumOffset: 12
; Occupancy: 8
; WaveLimiterHint : 0
; COMPUTE_PGM_RSRC2:SCRATCH_EN: 0
; COMPUTE_PGM_RSRC2:USER_SGPR: 6
; COMPUTE_PGM_RSRC2:TRAP_HANDLER: 0
; COMPUTE_PGM_RSRC2:TGID_X_EN: 1
; COMPUTE_PGM_RSRC2:TGID_Y_EN: 0
; COMPUTE_PGM_RSRC2:TGID_Z_EN: 0
; COMPUTE_PGM_RSRC2:TIDIG_COMP_CNT: 0
; COMPUTE_PGM_RSRC3_GFX90A:ACCUM_OFFSET: 2
; COMPUTE_PGM_RSRC3_GFX90A:TG_SPLIT: 0
	.section	.text._ZN7rocprim17ROCPRIM_400000_NS6detail17trampoline_kernelINS0_14default_configENS1_38merge_sort_block_merge_config_selectorIaNS0_10empty_typeEEEZZNS1_27merge_sort_block_merge_implIS3_PaPS5_jNS1_19radix_merge_compareILb0ELb1EaNS0_19identity_decomposerEEEEE10hipError_tT0_T1_T2_jT3_P12ihipStream_tbPNSt15iterator_traitsISE_E10value_typeEPNSK_ISF_E10value_typeEPSG_NS1_7vsmem_tEENKUlT_SE_SF_SG_E_clIS8_S8_S9_S9_EESD_ST_SE_SF_SG_EUlST_E1_NS1_11comp_targetILNS1_3genE3ELNS1_11target_archE908ELNS1_3gpuE7ELNS1_3repE0EEENS1_36merge_oddeven_config_static_selectorELNS0_4arch9wavefront6targetE1EEEvSF_,"axG",@progbits,_ZN7rocprim17ROCPRIM_400000_NS6detail17trampoline_kernelINS0_14default_configENS1_38merge_sort_block_merge_config_selectorIaNS0_10empty_typeEEEZZNS1_27merge_sort_block_merge_implIS3_PaPS5_jNS1_19radix_merge_compareILb0ELb1EaNS0_19identity_decomposerEEEEE10hipError_tT0_T1_T2_jT3_P12ihipStream_tbPNSt15iterator_traitsISE_E10value_typeEPNSK_ISF_E10value_typeEPSG_NS1_7vsmem_tEENKUlT_SE_SF_SG_E_clIS8_S8_S9_S9_EESD_ST_SE_SF_SG_EUlST_E1_NS1_11comp_targetILNS1_3genE3ELNS1_11target_archE908ELNS1_3gpuE7ELNS1_3repE0EEENS1_36merge_oddeven_config_static_selectorELNS0_4arch9wavefront6targetE1EEEvSF_,comdat
	.protected	_ZN7rocprim17ROCPRIM_400000_NS6detail17trampoline_kernelINS0_14default_configENS1_38merge_sort_block_merge_config_selectorIaNS0_10empty_typeEEEZZNS1_27merge_sort_block_merge_implIS3_PaPS5_jNS1_19radix_merge_compareILb0ELb1EaNS0_19identity_decomposerEEEEE10hipError_tT0_T1_T2_jT3_P12ihipStream_tbPNSt15iterator_traitsISE_E10value_typeEPNSK_ISF_E10value_typeEPSG_NS1_7vsmem_tEENKUlT_SE_SF_SG_E_clIS8_S8_S9_S9_EESD_ST_SE_SF_SG_EUlST_E1_NS1_11comp_targetILNS1_3genE3ELNS1_11target_archE908ELNS1_3gpuE7ELNS1_3repE0EEENS1_36merge_oddeven_config_static_selectorELNS0_4arch9wavefront6targetE1EEEvSF_ ; -- Begin function _ZN7rocprim17ROCPRIM_400000_NS6detail17trampoline_kernelINS0_14default_configENS1_38merge_sort_block_merge_config_selectorIaNS0_10empty_typeEEEZZNS1_27merge_sort_block_merge_implIS3_PaPS5_jNS1_19radix_merge_compareILb0ELb1EaNS0_19identity_decomposerEEEEE10hipError_tT0_T1_T2_jT3_P12ihipStream_tbPNSt15iterator_traitsISE_E10value_typeEPNSK_ISF_E10value_typeEPSG_NS1_7vsmem_tEENKUlT_SE_SF_SG_E_clIS8_S8_S9_S9_EESD_ST_SE_SF_SG_EUlST_E1_NS1_11comp_targetILNS1_3genE3ELNS1_11target_archE908ELNS1_3gpuE7ELNS1_3repE0EEENS1_36merge_oddeven_config_static_selectorELNS0_4arch9wavefront6targetE1EEEvSF_
	.globl	_ZN7rocprim17ROCPRIM_400000_NS6detail17trampoline_kernelINS0_14default_configENS1_38merge_sort_block_merge_config_selectorIaNS0_10empty_typeEEEZZNS1_27merge_sort_block_merge_implIS3_PaPS5_jNS1_19radix_merge_compareILb0ELb1EaNS0_19identity_decomposerEEEEE10hipError_tT0_T1_T2_jT3_P12ihipStream_tbPNSt15iterator_traitsISE_E10value_typeEPNSK_ISF_E10value_typeEPSG_NS1_7vsmem_tEENKUlT_SE_SF_SG_E_clIS8_S8_S9_S9_EESD_ST_SE_SF_SG_EUlST_E1_NS1_11comp_targetILNS1_3genE3ELNS1_11target_archE908ELNS1_3gpuE7ELNS1_3repE0EEENS1_36merge_oddeven_config_static_selectorELNS0_4arch9wavefront6targetE1EEEvSF_
	.p2align	8
	.type	_ZN7rocprim17ROCPRIM_400000_NS6detail17trampoline_kernelINS0_14default_configENS1_38merge_sort_block_merge_config_selectorIaNS0_10empty_typeEEEZZNS1_27merge_sort_block_merge_implIS3_PaPS5_jNS1_19radix_merge_compareILb0ELb1EaNS0_19identity_decomposerEEEEE10hipError_tT0_T1_T2_jT3_P12ihipStream_tbPNSt15iterator_traitsISE_E10value_typeEPNSK_ISF_E10value_typeEPSG_NS1_7vsmem_tEENKUlT_SE_SF_SG_E_clIS8_S8_S9_S9_EESD_ST_SE_SF_SG_EUlST_E1_NS1_11comp_targetILNS1_3genE3ELNS1_11target_archE908ELNS1_3gpuE7ELNS1_3repE0EEENS1_36merge_oddeven_config_static_selectorELNS0_4arch9wavefront6targetE1EEEvSF_,@function
_ZN7rocprim17ROCPRIM_400000_NS6detail17trampoline_kernelINS0_14default_configENS1_38merge_sort_block_merge_config_selectorIaNS0_10empty_typeEEEZZNS1_27merge_sort_block_merge_implIS3_PaPS5_jNS1_19radix_merge_compareILb0ELb1EaNS0_19identity_decomposerEEEEE10hipError_tT0_T1_T2_jT3_P12ihipStream_tbPNSt15iterator_traitsISE_E10value_typeEPNSK_ISF_E10value_typeEPSG_NS1_7vsmem_tEENKUlT_SE_SF_SG_E_clIS8_S8_S9_S9_EESD_ST_SE_SF_SG_EUlST_E1_NS1_11comp_targetILNS1_3genE3ELNS1_11target_archE908ELNS1_3gpuE7ELNS1_3repE0EEENS1_36merge_oddeven_config_static_selectorELNS0_4arch9wavefront6targetE1EEEvSF_: ; @_ZN7rocprim17ROCPRIM_400000_NS6detail17trampoline_kernelINS0_14default_configENS1_38merge_sort_block_merge_config_selectorIaNS0_10empty_typeEEEZZNS1_27merge_sort_block_merge_implIS3_PaPS5_jNS1_19radix_merge_compareILb0ELb1EaNS0_19identity_decomposerEEEEE10hipError_tT0_T1_T2_jT3_P12ihipStream_tbPNSt15iterator_traitsISE_E10value_typeEPNSK_ISF_E10value_typeEPSG_NS1_7vsmem_tEENKUlT_SE_SF_SG_E_clIS8_S8_S9_S9_EESD_ST_SE_SF_SG_EUlST_E1_NS1_11comp_targetILNS1_3genE3ELNS1_11target_archE908ELNS1_3gpuE7ELNS1_3repE0EEENS1_36merge_oddeven_config_static_selectorELNS0_4arch9wavefront6targetE1EEEvSF_
; %bb.0:
	.section	.rodata,"a",@progbits
	.p2align	6, 0x0
	.amdhsa_kernel _ZN7rocprim17ROCPRIM_400000_NS6detail17trampoline_kernelINS0_14default_configENS1_38merge_sort_block_merge_config_selectorIaNS0_10empty_typeEEEZZNS1_27merge_sort_block_merge_implIS3_PaPS5_jNS1_19radix_merge_compareILb0ELb1EaNS0_19identity_decomposerEEEEE10hipError_tT0_T1_T2_jT3_P12ihipStream_tbPNSt15iterator_traitsISE_E10value_typeEPNSK_ISF_E10value_typeEPSG_NS1_7vsmem_tEENKUlT_SE_SF_SG_E_clIS8_S8_S9_S9_EESD_ST_SE_SF_SG_EUlST_E1_NS1_11comp_targetILNS1_3genE3ELNS1_11target_archE908ELNS1_3gpuE7ELNS1_3repE0EEENS1_36merge_oddeven_config_static_selectorELNS0_4arch9wavefront6targetE1EEEvSF_
		.amdhsa_group_segment_fixed_size 0
		.amdhsa_private_segment_fixed_size 0
		.amdhsa_kernarg_size 48
		.amdhsa_user_sgpr_count 6
		.amdhsa_user_sgpr_private_segment_buffer 1
		.amdhsa_user_sgpr_dispatch_ptr 0
		.amdhsa_user_sgpr_queue_ptr 0
		.amdhsa_user_sgpr_kernarg_segment_ptr 1
		.amdhsa_user_sgpr_dispatch_id 0
		.amdhsa_user_sgpr_flat_scratch_init 0
		.amdhsa_user_sgpr_kernarg_preload_length 0
		.amdhsa_user_sgpr_kernarg_preload_offset 0
		.amdhsa_user_sgpr_private_segment_size 0
		.amdhsa_uses_dynamic_stack 0
		.amdhsa_system_sgpr_private_segment_wavefront_offset 0
		.amdhsa_system_sgpr_workgroup_id_x 1
		.amdhsa_system_sgpr_workgroup_id_y 0
		.amdhsa_system_sgpr_workgroup_id_z 0
		.amdhsa_system_sgpr_workgroup_info 0
		.amdhsa_system_vgpr_workitem_id 0
		.amdhsa_next_free_vgpr 1
		.amdhsa_next_free_sgpr 0
		.amdhsa_accum_offset 4
		.amdhsa_reserve_vcc 0
		.amdhsa_reserve_flat_scratch 0
		.amdhsa_float_round_mode_32 0
		.amdhsa_float_round_mode_16_64 0
		.amdhsa_float_denorm_mode_32 3
		.amdhsa_float_denorm_mode_16_64 3
		.amdhsa_dx10_clamp 1
		.amdhsa_ieee_mode 1
		.amdhsa_fp16_overflow 0
		.amdhsa_tg_split 0
		.amdhsa_exception_fp_ieee_invalid_op 0
		.amdhsa_exception_fp_denorm_src 0
		.amdhsa_exception_fp_ieee_div_zero 0
		.amdhsa_exception_fp_ieee_overflow 0
		.amdhsa_exception_fp_ieee_underflow 0
		.amdhsa_exception_fp_ieee_inexact 0
		.amdhsa_exception_int_div_zero 0
	.end_amdhsa_kernel
	.section	.text._ZN7rocprim17ROCPRIM_400000_NS6detail17trampoline_kernelINS0_14default_configENS1_38merge_sort_block_merge_config_selectorIaNS0_10empty_typeEEEZZNS1_27merge_sort_block_merge_implIS3_PaPS5_jNS1_19radix_merge_compareILb0ELb1EaNS0_19identity_decomposerEEEEE10hipError_tT0_T1_T2_jT3_P12ihipStream_tbPNSt15iterator_traitsISE_E10value_typeEPNSK_ISF_E10value_typeEPSG_NS1_7vsmem_tEENKUlT_SE_SF_SG_E_clIS8_S8_S9_S9_EESD_ST_SE_SF_SG_EUlST_E1_NS1_11comp_targetILNS1_3genE3ELNS1_11target_archE908ELNS1_3gpuE7ELNS1_3repE0EEENS1_36merge_oddeven_config_static_selectorELNS0_4arch9wavefront6targetE1EEEvSF_,"axG",@progbits,_ZN7rocprim17ROCPRIM_400000_NS6detail17trampoline_kernelINS0_14default_configENS1_38merge_sort_block_merge_config_selectorIaNS0_10empty_typeEEEZZNS1_27merge_sort_block_merge_implIS3_PaPS5_jNS1_19radix_merge_compareILb0ELb1EaNS0_19identity_decomposerEEEEE10hipError_tT0_T1_T2_jT3_P12ihipStream_tbPNSt15iterator_traitsISE_E10value_typeEPNSK_ISF_E10value_typeEPSG_NS1_7vsmem_tEENKUlT_SE_SF_SG_E_clIS8_S8_S9_S9_EESD_ST_SE_SF_SG_EUlST_E1_NS1_11comp_targetILNS1_3genE3ELNS1_11target_archE908ELNS1_3gpuE7ELNS1_3repE0EEENS1_36merge_oddeven_config_static_selectorELNS0_4arch9wavefront6targetE1EEEvSF_,comdat
.Lfunc_end188:
	.size	_ZN7rocprim17ROCPRIM_400000_NS6detail17trampoline_kernelINS0_14default_configENS1_38merge_sort_block_merge_config_selectorIaNS0_10empty_typeEEEZZNS1_27merge_sort_block_merge_implIS3_PaPS5_jNS1_19radix_merge_compareILb0ELb1EaNS0_19identity_decomposerEEEEE10hipError_tT0_T1_T2_jT3_P12ihipStream_tbPNSt15iterator_traitsISE_E10value_typeEPNSK_ISF_E10value_typeEPSG_NS1_7vsmem_tEENKUlT_SE_SF_SG_E_clIS8_S8_S9_S9_EESD_ST_SE_SF_SG_EUlST_E1_NS1_11comp_targetILNS1_3genE3ELNS1_11target_archE908ELNS1_3gpuE7ELNS1_3repE0EEENS1_36merge_oddeven_config_static_selectorELNS0_4arch9wavefront6targetE1EEEvSF_, .Lfunc_end188-_ZN7rocprim17ROCPRIM_400000_NS6detail17trampoline_kernelINS0_14default_configENS1_38merge_sort_block_merge_config_selectorIaNS0_10empty_typeEEEZZNS1_27merge_sort_block_merge_implIS3_PaPS5_jNS1_19radix_merge_compareILb0ELb1EaNS0_19identity_decomposerEEEEE10hipError_tT0_T1_T2_jT3_P12ihipStream_tbPNSt15iterator_traitsISE_E10value_typeEPNSK_ISF_E10value_typeEPSG_NS1_7vsmem_tEENKUlT_SE_SF_SG_E_clIS8_S8_S9_S9_EESD_ST_SE_SF_SG_EUlST_E1_NS1_11comp_targetILNS1_3genE3ELNS1_11target_archE908ELNS1_3gpuE7ELNS1_3repE0EEENS1_36merge_oddeven_config_static_selectorELNS0_4arch9wavefront6targetE1EEEvSF_
                                        ; -- End function
	.section	.AMDGPU.csdata,"",@progbits
; Kernel info:
; codeLenInByte = 0
; NumSgprs: 4
; NumVgprs: 0
; NumAgprs: 0
; TotalNumVgprs: 0
; ScratchSize: 0
; MemoryBound: 0
; FloatMode: 240
; IeeeMode: 1
; LDSByteSize: 0 bytes/workgroup (compile time only)
; SGPRBlocks: 0
; VGPRBlocks: 0
; NumSGPRsForWavesPerEU: 4
; NumVGPRsForWavesPerEU: 1
; AccumOffset: 4
; Occupancy: 8
; WaveLimiterHint : 0
; COMPUTE_PGM_RSRC2:SCRATCH_EN: 0
; COMPUTE_PGM_RSRC2:USER_SGPR: 6
; COMPUTE_PGM_RSRC2:TRAP_HANDLER: 0
; COMPUTE_PGM_RSRC2:TGID_X_EN: 1
; COMPUTE_PGM_RSRC2:TGID_Y_EN: 0
; COMPUTE_PGM_RSRC2:TGID_Z_EN: 0
; COMPUTE_PGM_RSRC2:TIDIG_COMP_CNT: 0
; COMPUTE_PGM_RSRC3_GFX90A:ACCUM_OFFSET: 0
; COMPUTE_PGM_RSRC3_GFX90A:TG_SPLIT: 0
	.section	.text._ZN7rocprim17ROCPRIM_400000_NS6detail17trampoline_kernelINS0_14default_configENS1_38merge_sort_block_merge_config_selectorIaNS0_10empty_typeEEEZZNS1_27merge_sort_block_merge_implIS3_PaPS5_jNS1_19radix_merge_compareILb0ELb1EaNS0_19identity_decomposerEEEEE10hipError_tT0_T1_T2_jT3_P12ihipStream_tbPNSt15iterator_traitsISE_E10value_typeEPNSK_ISF_E10value_typeEPSG_NS1_7vsmem_tEENKUlT_SE_SF_SG_E_clIS8_S8_S9_S9_EESD_ST_SE_SF_SG_EUlST_E1_NS1_11comp_targetILNS1_3genE2ELNS1_11target_archE906ELNS1_3gpuE6ELNS1_3repE0EEENS1_36merge_oddeven_config_static_selectorELNS0_4arch9wavefront6targetE1EEEvSF_,"axG",@progbits,_ZN7rocprim17ROCPRIM_400000_NS6detail17trampoline_kernelINS0_14default_configENS1_38merge_sort_block_merge_config_selectorIaNS0_10empty_typeEEEZZNS1_27merge_sort_block_merge_implIS3_PaPS5_jNS1_19radix_merge_compareILb0ELb1EaNS0_19identity_decomposerEEEEE10hipError_tT0_T1_T2_jT3_P12ihipStream_tbPNSt15iterator_traitsISE_E10value_typeEPNSK_ISF_E10value_typeEPSG_NS1_7vsmem_tEENKUlT_SE_SF_SG_E_clIS8_S8_S9_S9_EESD_ST_SE_SF_SG_EUlST_E1_NS1_11comp_targetILNS1_3genE2ELNS1_11target_archE906ELNS1_3gpuE6ELNS1_3repE0EEENS1_36merge_oddeven_config_static_selectorELNS0_4arch9wavefront6targetE1EEEvSF_,comdat
	.protected	_ZN7rocprim17ROCPRIM_400000_NS6detail17trampoline_kernelINS0_14default_configENS1_38merge_sort_block_merge_config_selectorIaNS0_10empty_typeEEEZZNS1_27merge_sort_block_merge_implIS3_PaPS5_jNS1_19radix_merge_compareILb0ELb1EaNS0_19identity_decomposerEEEEE10hipError_tT0_T1_T2_jT3_P12ihipStream_tbPNSt15iterator_traitsISE_E10value_typeEPNSK_ISF_E10value_typeEPSG_NS1_7vsmem_tEENKUlT_SE_SF_SG_E_clIS8_S8_S9_S9_EESD_ST_SE_SF_SG_EUlST_E1_NS1_11comp_targetILNS1_3genE2ELNS1_11target_archE906ELNS1_3gpuE6ELNS1_3repE0EEENS1_36merge_oddeven_config_static_selectorELNS0_4arch9wavefront6targetE1EEEvSF_ ; -- Begin function _ZN7rocprim17ROCPRIM_400000_NS6detail17trampoline_kernelINS0_14default_configENS1_38merge_sort_block_merge_config_selectorIaNS0_10empty_typeEEEZZNS1_27merge_sort_block_merge_implIS3_PaPS5_jNS1_19radix_merge_compareILb0ELb1EaNS0_19identity_decomposerEEEEE10hipError_tT0_T1_T2_jT3_P12ihipStream_tbPNSt15iterator_traitsISE_E10value_typeEPNSK_ISF_E10value_typeEPSG_NS1_7vsmem_tEENKUlT_SE_SF_SG_E_clIS8_S8_S9_S9_EESD_ST_SE_SF_SG_EUlST_E1_NS1_11comp_targetILNS1_3genE2ELNS1_11target_archE906ELNS1_3gpuE6ELNS1_3repE0EEENS1_36merge_oddeven_config_static_selectorELNS0_4arch9wavefront6targetE1EEEvSF_
	.globl	_ZN7rocprim17ROCPRIM_400000_NS6detail17trampoline_kernelINS0_14default_configENS1_38merge_sort_block_merge_config_selectorIaNS0_10empty_typeEEEZZNS1_27merge_sort_block_merge_implIS3_PaPS5_jNS1_19radix_merge_compareILb0ELb1EaNS0_19identity_decomposerEEEEE10hipError_tT0_T1_T2_jT3_P12ihipStream_tbPNSt15iterator_traitsISE_E10value_typeEPNSK_ISF_E10value_typeEPSG_NS1_7vsmem_tEENKUlT_SE_SF_SG_E_clIS8_S8_S9_S9_EESD_ST_SE_SF_SG_EUlST_E1_NS1_11comp_targetILNS1_3genE2ELNS1_11target_archE906ELNS1_3gpuE6ELNS1_3repE0EEENS1_36merge_oddeven_config_static_selectorELNS0_4arch9wavefront6targetE1EEEvSF_
	.p2align	8
	.type	_ZN7rocprim17ROCPRIM_400000_NS6detail17trampoline_kernelINS0_14default_configENS1_38merge_sort_block_merge_config_selectorIaNS0_10empty_typeEEEZZNS1_27merge_sort_block_merge_implIS3_PaPS5_jNS1_19radix_merge_compareILb0ELb1EaNS0_19identity_decomposerEEEEE10hipError_tT0_T1_T2_jT3_P12ihipStream_tbPNSt15iterator_traitsISE_E10value_typeEPNSK_ISF_E10value_typeEPSG_NS1_7vsmem_tEENKUlT_SE_SF_SG_E_clIS8_S8_S9_S9_EESD_ST_SE_SF_SG_EUlST_E1_NS1_11comp_targetILNS1_3genE2ELNS1_11target_archE906ELNS1_3gpuE6ELNS1_3repE0EEENS1_36merge_oddeven_config_static_selectorELNS0_4arch9wavefront6targetE1EEEvSF_,@function
_ZN7rocprim17ROCPRIM_400000_NS6detail17trampoline_kernelINS0_14default_configENS1_38merge_sort_block_merge_config_selectorIaNS0_10empty_typeEEEZZNS1_27merge_sort_block_merge_implIS3_PaPS5_jNS1_19radix_merge_compareILb0ELb1EaNS0_19identity_decomposerEEEEE10hipError_tT0_T1_T2_jT3_P12ihipStream_tbPNSt15iterator_traitsISE_E10value_typeEPNSK_ISF_E10value_typeEPSG_NS1_7vsmem_tEENKUlT_SE_SF_SG_E_clIS8_S8_S9_S9_EESD_ST_SE_SF_SG_EUlST_E1_NS1_11comp_targetILNS1_3genE2ELNS1_11target_archE906ELNS1_3gpuE6ELNS1_3repE0EEENS1_36merge_oddeven_config_static_selectorELNS0_4arch9wavefront6targetE1EEEvSF_: ; @_ZN7rocprim17ROCPRIM_400000_NS6detail17trampoline_kernelINS0_14default_configENS1_38merge_sort_block_merge_config_selectorIaNS0_10empty_typeEEEZZNS1_27merge_sort_block_merge_implIS3_PaPS5_jNS1_19radix_merge_compareILb0ELb1EaNS0_19identity_decomposerEEEEE10hipError_tT0_T1_T2_jT3_P12ihipStream_tbPNSt15iterator_traitsISE_E10value_typeEPNSK_ISF_E10value_typeEPSG_NS1_7vsmem_tEENKUlT_SE_SF_SG_E_clIS8_S8_S9_S9_EESD_ST_SE_SF_SG_EUlST_E1_NS1_11comp_targetILNS1_3genE2ELNS1_11target_archE906ELNS1_3gpuE6ELNS1_3repE0EEENS1_36merge_oddeven_config_static_selectorELNS0_4arch9wavefront6targetE1EEEvSF_
; %bb.0:
	.section	.rodata,"a",@progbits
	.p2align	6, 0x0
	.amdhsa_kernel _ZN7rocprim17ROCPRIM_400000_NS6detail17trampoline_kernelINS0_14default_configENS1_38merge_sort_block_merge_config_selectorIaNS0_10empty_typeEEEZZNS1_27merge_sort_block_merge_implIS3_PaPS5_jNS1_19radix_merge_compareILb0ELb1EaNS0_19identity_decomposerEEEEE10hipError_tT0_T1_T2_jT3_P12ihipStream_tbPNSt15iterator_traitsISE_E10value_typeEPNSK_ISF_E10value_typeEPSG_NS1_7vsmem_tEENKUlT_SE_SF_SG_E_clIS8_S8_S9_S9_EESD_ST_SE_SF_SG_EUlST_E1_NS1_11comp_targetILNS1_3genE2ELNS1_11target_archE906ELNS1_3gpuE6ELNS1_3repE0EEENS1_36merge_oddeven_config_static_selectorELNS0_4arch9wavefront6targetE1EEEvSF_
		.amdhsa_group_segment_fixed_size 0
		.amdhsa_private_segment_fixed_size 0
		.amdhsa_kernarg_size 48
		.amdhsa_user_sgpr_count 6
		.amdhsa_user_sgpr_private_segment_buffer 1
		.amdhsa_user_sgpr_dispatch_ptr 0
		.amdhsa_user_sgpr_queue_ptr 0
		.amdhsa_user_sgpr_kernarg_segment_ptr 1
		.amdhsa_user_sgpr_dispatch_id 0
		.amdhsa_user_sgpr_flat_scratch_init 0
		.amdhsa_user_sgpr_kernarg_preload_length 0
		.amdhsa_user_sgpr_kernarg_preload_offset 0
		.amdhsa_user_sgpr_private_segment_size 0
		.amdhsa_uses_dynamic_stack 0
		.amdhsa_system_sgpr_private_segment_wavefront_offset 0
		.amdhsa_system_sgpr_workgroup_id_x 1
		.amdhsa_system_sgpr_workgroup_id_y 0
		.amdhsa_system_sgpr_workgroup_id_z 0
		.amdhsa_system_sgpr_workgroup_info 0
		.amdhsa_system_vgpr_workitem_id 0
		.amdhsa_next_free_vgpr 1
		.amdhsa_next_free_sgpr 0
		.amdhsa_accum_offset 4
		.amdhsa_reserve_vcc 0
		.amdhsa_reserve_flat_scratch 0
		.amdhsa_float_round_mode_32 0
		.amdhsa_float_round_mode_16_64 0
		.amdhsa_float_denorm_mode_32 3
		.amdhsa_float_denorm_mode_16_64 3
		.amdhsa_dx10_clamp 1
		.amdhsa_ieee_mode 1
		.amdhsa_fp16_overflow 0
		.amdhsa_tg_split 0
		.amdhsa_exception_fp_ieee_invalid_op 0
		.amdhsa_exception_fp_denorm_src 0
		.amdhsa_exception_fp_ieee_div_zero 0
		.amdhsa_exception_fp_ieee_overflow 0
		.amdhsa_exception_fp_ieee_underflow 0
		.amdhsa_exception_fp_ieee_inexact 0
		.amdhsa_exception_int_div_zero 0
	.end_amdhsa_kernel
	.section	.text._ZN7rocprim17ROCPRIM_400000_NS6detail17trampoline_kernelINS0_14default_configENS1_38merge_sort_block_merge_config_selectorIaNS0_10empty_typeEEEZZNS1_27merge_sort_block_merge_implIS3_PaPS5_jNS1_19radix_merge_compareILb0ELb1EaNS0_19identity_decomposerEEEEE10hipError_tT0_T1_T2_jT3_P12ihipStream_tbPNSt15iterator_traitsISE_E10value_typeEPNSK_ISF_E10value_typeEPSG_NS1_7vsmem_tEENKUlT_SE_SF_SG_E_clIS8_S8_S9_S9_EESD_ST_SE_SF_SG_EUlST_E1_NS1_11comp_targetILNS1_3genE2ELNS1_11target_archE906ELNS1_3gpuE6ELNS1_3repE0EEENS1_36merge_oddeven_config_static_selectorELNS0_4arch9wavefront6targetE1EEEvSF_,"axG",@progbits,_ZN7rocprim17ROCPRIM_400000_NS6detail17trampoline_kernelINS0_14default_configENS1_38merge_sort_block_merge_config_selectorIaNS0_10empty_typeEEEZZNS1_27merge_sort_block_merge_implIS3_PaPS5_jNS1_19radix_merge_compareILb0ELb1EaNS0_19identity_decomposerEEEEE10hipError_tT0_T1_T2_jT3_P12ihipStream_tbPNSt15iterator_traitsISE_E10value_typeEPNSK_ISF_E10value_typeEPSG_NS1_7vsmem_tEENKUlT_SE_SF_SG_E_clIS8_S8_S9_S9_EESD_ST_SE_SF_SG_EUlST_E1_NS1_11comp_targetILNS1_3genE2ELNS1_11target_archE906ELNS1_3gpuE6ELNS1_3repE0EEENS1_36merge_oddeven_config_static_selectorELNS0_4arch9wavefront6targetE1EEEvSF_,comdat
.Lfunc_end189:
	.size	_ZN7rocprim17ROCPRIM_400000_NS6detail17trampoline_kernelINS0_14default_configENS1_38merge_sort_block_merge_config_selectorIaNS0_10empty_typeEEEZZNS1_27merge_sort_block_merge_implIS3_PaPS5_jNS1_19radix_merge_compareILb0ELb1EaNS0_19identity_decomposerEEEEE10hipError_tT0_T1_T2_jT3_P12ihipStream_tbPNSt15iterator_traitsISE_E10value_typeEPNSK_ISF_E10value_typeEPSG_NS1_7vsmem_tEENKUlT_SE_SF_SG_E_clIS8_S8_S9_S9_EESD_ST_SE_SF_SG_EUlST_E1_NS1_11comp_targetILNS1_3genE2ELNS1_11target_archE906ELNS1_3gpuE6ELNS1_3repE0EEENS1_36merge_oddeven_config_static_selectorELNS0_4arch9wavefront6targetE1EEEvSF_, .Lfunc_end189-_ZN7rocprim17ROCPRIM_400000_NS6detail17trampoline_kernelINS0_14default_configENS1_38merge_sort_block_merge_config_selectorIaNS0_10empty_typeEEEZZNS1_27merge_sort_block_merge_implIS3_PaPS5_jNS1_19radix_merge_compareILb0ELb1EaNS0_19identity_decomposerEEEEE10hipError_tT0_T1_T2_jT3_P12ihipStream_tbPNSt15iterator_traitsISE_E10value_typeEPNSK_ISF_E10value_typeEPSG_NS1_7vsmem_tEENKUlT_SE_SF_SG_E_clIS8_S8_S9_S9_EESD_ST_SE_SF_SG_EUlST_E1_NS1_11comp_targetILNS1_3genE2ELNS1_11target_archE906ELNS1_3gpuE6ELNS1_3repE0EEENS1_36merge_oddeven_config_static_selectorELNS0_4arch9wavefront6targetE1EEEvSF_
                                        ; -- End function
	.section	.AMDGPU.csdata,"",@progbits
; Kernel info:
; codeLenInByte = 0
; NumSgprs: 4
; NumVgprs: 0
; NumAgprs: 0
; TotalNumVgprs: 0
; ScratchSize: 0
; MemoryBound: 0
; FloatMode: 240
; IeeeMode: 1
; LDSByteSize: 0 bytes/workgroup (compile time only)
; SGPRBlocks: 0
; VGPRBlocks: 0
; NumSGPRsForWavesPerEU: 4
; NumVGPRsForWavesPerEU: 1
; AccumOffset: 4
; Occupancy: 8
; WaveLimiterHint : 0
; COMPUTE_PGM_RSRC2:SCRATCH_EN: 0
; COMPUTE_PGM_RSRC2:USER_SGPR: 6
; COMPUTE_PGM_RSRC2:TRAP_HANDLER: 0
; COMPUTE_PGM_RSRC2:TGID_X_EN: 1
; COMPUTE_PGM_RSRC2:TGID_Y_EN: 0
; COMPUTE_PGM_RSRC2:TGID_Z_EN: 0
; COMPUTE_PGM_RSRC2:TIDIG_COMP_CNT: 0
; COMPUTE_PGM_RSRC3_GFX90A:ACCUM_OFFSET: 0
; COMPUTE_PGM_RSRC3_GFX90A:TG_SPLIT: 0
	.section	.text._ZN7rocprim17ROCPRIM_400000_NS6detail17trampoline_kernelINS0_14default_configENS1_38merge_sort_block_merge_config_selectorIaNS0_10empty_typeEEEZZNS1_27merge_sort_block_merge_implIS3_PaPS5_jNS1_19radix_merge_compareILb0ELb1EaNS0_19identity_decomposerEEEEE10hipError_tT0_T1_T2_jT3_P12ihipStream_tbPNSt15iterator_traitsISE_E10value_typeEPNSK_ISF_E10value_typeEPSG_NS1_7vsmem_tEENKUlT_SE_SF_SG_E_clIS8_S8_S9_S9_EESD_ST_SE_SF_SG_EUlST_E1_NS1_11comp_targetILNS1_3genE9ELNS1_11target_archE1100ELNS1_3gpuE3ELNS1_3repE0EEENS1_36merge_oddeven_config_static_selectorELNS0_4arch9wavefront6targetE1EEEvSF_,"axG",@progbits,_ZN7rocprim17ROCPRIM_400000_NS6detail17trampoline_kernelINS0_14default_configENS1_38merge_sort_block_merge_config_selectorIaNS0_10empty_typeEEEZZNS1_27merge_sort_block_merge_implIS3_PaPS5_jNS1_19radix_merge_compareILb0ELb1EaNS0_19identity_decomposerEEEEE10hipError_tT0_T1_T2_jT3_P12ihipStream_tbPNSt15iterator_traitsISE_E10value_typeEPNSK_ISF_E10value_typeEPSG_NS1_7vsmem_tEENKUlT_SE_SF_SG_E_clIS8_S8_S9_S9_EESD_ST_SE_SF_SG_EUlST_E1_NS1_11comp_targetILNS1_3genE9ELNS1_11target_archE1100ELNS1_3gpuE3ELNS1_3repE0EEENS1_36merge_oddeven_config_static_selectorELNS0_4arch9wavefront6targetE1EEEvSF_,comdat
	.protected	_ZN7rocprim17ROCPRIM_400000_NS6detail17trampoline_kernelINS0_14default_configENS1_38merge_sort_block_merge_config_selectorIaNS0_10empty_typeEEEZZNS1_27merge_sort_block_merge_implIS3_PaPS5_jNS1_19radix_merge_compareILb0ELb1EaNS0_19identity_decomposerEEEEE10hipError_tT0_T1_T2_jT3_P12ihipStream_tbPNSt15iterator_traitsISE_E10value_typeEPNSK_ISF_E10value_typeEPSG_NS1_7vsmem_tEENKUlT_SE_SF_SG_E_clIS8_S8_S9_S9_EESD_ST_SE_SF_SG_EUlST_E1_NS1_11comp_targetILNS1_3genE9ELNS1_11target_archE1100ELNS1_3gpuE3ELNS1_3repE0EEENS1_36merge_oddeven_config_static_selectorELNS0_4arch9wavefront6targetE1EEEvSF_ ; -- Begin function _ZN7rocprim17ROCPRIM_400000_NS6detail17trampoline_kernelINS0_14default_configENS1_38merge_sort_block_merge_config_selectorIaNS0_10empty_typeEEEZZNS1_27merge_sort_block_merge_implIS3_PaPS5_jNS1_19radix_merge_compareILb0ELb1EaNS0_19identity_decomposerEEEEE10hipError_tT0_T1_T2_jT3_P12ihipStream_tbPNSt15iterator_traitsISE_E10value_typeEPNSK_ISF_E10value_typeEPSG_NS1_7vsmem_tEENKUlT_SE_SF_SG_E_clIS8_S8_S9_S9_EESD_ST_SE_SF_SG_EUlST_E1_NS1_11comp_targetILNS1_3genE9ELNS1_11target_archE1100ELNS1_3gpuE3ELNS1_3repE0EEENS1_36merge_oddeven_config_static_selectorELNS0_4arch9wavefront6targetE1EEEvSF_
	.globl	_ZN7rocprim17ROCPRIM_400000_NS6detail17trampoline_kernelINS0_14default_configENS1_38merge_sort_block_merge_config_selectorIaNS0_10empty_typeEEEZZNS1_27merge_sort_block_merge_implIS3_PaPS5_jNS1_19radix_merge_compareILb0ELb1EaNS0_19identity_decomposerEEEEE10hipError_tT0_T1_T2_jT3_P12ihipStream_tbPNSt15iterator_traitsISE_E10value_typeEPNSK_ISF_E10value_typeEPSG_NS1_7vsmem_tEENKUlT_SE_SF_SG_E_clIS8_S8_S9_S9_EESD_ST_SE_SF_SG_EUlST_E1_NS1_11comp_targetILNS1_3genE9ELNS1_11target_archE1100ELNS1_3gpuE3ELNS1_3repE0EEENS1_36merge_oddeven_config_static_selectorELNS0_4arch9wavefront6targetE1EEEvSF_
	.p2align	8
	.type	_ZN7rocprim17ROCPRIM_400000_NS6detail17trampoline_kernelINS0_14default_configENS1_38merge_sort_block_merge_config_selectorIaNS0_10empty_typeEEEZZNS1_27merge_sort_block_merge_implIS3_PaPS5_jNS1_19radix_merge_compareILb0ELb1EaNS0_19identity_decomposerEEEEE10hipError_tT0_T1_T2_jT3_P12ihipStream_tbPNSt15iterator_traitsISE_E10value_typeEPNSK_ISF_E10value_typeEPSG_NS1_7vsmem_tEENKUlT_SE_SF_SG_E_clIS8_S8_S9_S9_EESD_ST_SE_SF_SG_EUlST_E1_NS1_11comp_targetILNS1_3genE9ELNS1_11target_archE1100ELNS1_3gpuE3ELNS1_3repE0EEENS1_36merge_oddeven_config_static_selectorELNS0_4arch9wavefront6targetE1EEEvSF_,@function
_ZN7rocprim17ROCPRIM_400000_NS6detail17trampoline_kernelINS0_14default_configENS1_38merge_sort_block_merge_config_selectorIaNS0_10empty_typeEEEZZNS1_27merge_sort_block_merge_implIS3_PaPS5_jNS1_19radix_merge_compareILb0ELb1EaNS0_19identity_decomposerEEEEE10hipError_tT0_T1_T2_jT3_P12ihipStream_tbPNSt15iterator_traitsISE_E10value_typeEPNSK_ISF_E10value_typeEPSG_NS1_7vsmem_tEENKUlT_SE_SF_SG_E_clIS8_S8_S9_S9_EESD_ST_SE_SF_SG_EUlST_E1_NS1_11comp_targetILNS1_3genE9ELNS1_11target_archE1100ELNS1_3gpuE3ELNS1_3repE0EEENS1_36merge_oddeven_config_static_selectorELNS0_4arch9wavefront6targetE1EEEvSF_: ; @_ZN7rocprim17ROCPRIM_400000_NS6detail17trampoline_kernelINS0_14default_configENS1_38merge_sort_block_merge_config_selectorIaNS0_10empty_typeEEEZZNS1_27merge_sort_block_merge_implIS3_PaPS5_jNS1_19radix_merge_compareILb0ELb1EaNS0_19identity_decomposerEEEEE10hipError_tT0_T1_T2_jT3_P12ihipStream_tbPNSt15iterator_traitsISE_E10value_typeEPNSK_ISF_E10value_typeEPSG_NS1_7vsmem_tEENKUlT_SE_SF_SG_E_clIS8_S8_S9_S9_EESD_ST_SE_SF_SG_EUlST_E1_NS1_11comp_targetILNS1_3genE9ELNS1_11target_archE1100ELNS1_3gpuE3ELNS1_3repE0EEENS1_36merge_oddeven_config_static_selectorELNS0_4arch9wavefront6targetE1EEEvSF_
; %bb.0:
	.section	.rodata,"a",@progbits
	.p2align	6, 0x0
	.amdhsa_kernel _ZN7rocprim17ROCPRIM_400000_NS6detail17trampoline_kernelINS0_14default_configENS1_38merge_sort_block_merge_config_selectorIaNS0_10empty_typeEEEZZNS1_27merge_sort_block_merge_implIS3_PaPS5_jNS1_19radix_merge_compareILb0ELb1EaNS0_19identity_decomposerEEEEE10hipError_tT0_T1_T2_jT3_P12ihipStream_tbPNSt15iterator_traitsISE_E10value_typeEPNSK_ISF_E10value_typeEPSG_NS1_7vsmem_tEENKUlT_SE_SF_SG_E_clIS8_S8_S9_S9_EESD_ST_SE_SF_SG_EUlST_E1_NS1_11comp_targetILNS1_3genE9ELNS1_11target_archE1100ELNS1_3gpuE3ELNS1_3repE0EEENS1_36merge_oddeven_config_static_selectorELNS0_4arch9wavefront6targetE1EEEvSF_
		.amdhsa_group_segment_fixed_size 0
		.amdhsa_private_segment_fixed_size 0
		.amdhsa_kernarg_size 48
		.amdhsa_user_sgpr_count 6
		.amdhsa_user_sgpr_private_segment_buffer 1
		.amdhsa_user_sgpr_dispatch_ptr 0
		.amdhsa_user_sgpr_queue_ptr 0
		.amdhsa_user_sgpr_kernarg_segment_ptr 1
		.amdhsa_user_sgpr_dispatch_id 0
		.amdhsa_user_sgpr_flat_scratch_init 0
		.amdhsa_user_sgpr_kernarg_preload_length 0
		.amdhsa_user_sgpr_kernarg_preload_offset 0
		.amdhsa_user_sgpr_private_segment_size 0
		.amdhsa_uses_dynamic_stack 0
		.amdhsa_system_sgpr_private_segment_wavefront_offset 0
		.amdhsa_system_sgpr_workgroup_id_x 1
		.amdhsa_system_sgpr_workgroup_id_y 0
		.amdhsa_system_sgpr_workgroup_id_z 0
		.amdhsa_system_sgpr_workgroup_info 0
		.amdhsa_system_vgpr_workitem_id 0
		.amdhsa_next_free_vgpr 1
		.amdhsa_next_free_sgpr 0
		.amdhsa_accum_offset 4
		.amdhsa_reserve_vcc 0
		.amdhsa_reserve_flat_scratch 0
		.amdhsa_float_round_mode_32 0
		.amdhsa_float_round_mode_16_64 0
		.amdhsa_float_denorm_mode_32 3
		.amdhsa_float_denorm_mode_16_64 3
		.amdhsa_dx10_clamp 1
		.amdhsa_ieee_mode 1
		.amdhsa_fp16_overflow 0
		.amdhsa_tg_split 0
		.amdhsa_exception_fp_ieee_invalid_op 0
		.amdhsa_exception_fp_denorm_src 0
		.amdhsa_exception_fp_ieee_div_zero 0
		.amdhsa_exception_fp_ieee_overflow 0
		.amdhsa_exception_fp_ieee_underflow 0
		.amdhsa_exception_fp_ieee_inexact 0
		.amdhsa_exception_int_div_zero 0
	.end_amdhsa_kernel
	.section	.text._ZN7rocprim17ROCPRIM_400000_NS6detail17trampoline_kernelINS0_14default_configENS1_38merge_sort_block_merge_config_selectorIaNS0_10empty_typeEEEZZNS1_27merge_sort_block_merge_implIS3_PaPS5_jNS1_19radix_merge_compareILb0ELb1EaNS0_19identity_decomposerEEEEE10hipError_tT0_T1_T2_jT3_P12ihipStream_tbPNSt15iterator_traitsISE_E10value_typeEPNSK_ISF_E10value_typeEPSG_NS1_7vsmem_tEENKUlT_SE_SF_SG_E_clIS8_S8_S9_S9_EESD_ST_SE_SF_SG_EUlST_E1_NS1_11comp_targetILNS1_3genE9ELNS1_11target_archE1100ELNS1_3gpuE3ELNS1_3repE0EEENS1_36merge_oddeven_config_static_selectorELNS0_4arch9wavefront6targetE1EEEvSF_,"axG",@progbits,_ZN7rocprim17ROCPRIM_400000_NS6detail17trampoline_kernelINS0_14default_configENS1_38merge_sort_block_merge_config_selectorIaNS0_10empty_typeEEEZZNS1_27merge_sort_block_merge_implIS3_PaPS5_jNS1_19radix_merge_compareILb0ELb1EaNS0_19identity_decomposerEEEEE10hipError_tT0_T1_T2_jT3_P12ihipStream_tbPNSt15iterator_traitsISE_E10value_typeEPNSK_ISF_E10value_typeEPSG_NS1_7vsmem_tEENKUlT_SE_SF_SG_E_clIS8_S8_S9_S9_EESD_ST_SE_SF_SG_EUlST_E1_NS1_11comp_targetILNS1_3genE9ELNS1_11target_archE1100ELNS1_3gpuE3ELNS1_3repE0EEENS1_36merge_oddeven_config_static_selectorELNS0_4arch9wavefront6targetE1EEEvSF_,comdat
.Lfunc_end190:
	.size	_ZN7rocprim17ROCPRIM_400000_NS6detail17trampoline_kernelINS0_14default_configENS1_38merge_sort_block_merge_config_selectorIaNS0_10empty_typeEEEZZNS1_27merge_sort_block_merge_implIS3_PaPS5_jNS1_19radix_merge_compareILb0ELb1EaNS0_19identity_decomposerEEEEE10hipError_tT0_T1_T2_jT3_P12ihipStream_tbPNSt15iterator_traitsISE_E10value_typeEPNSK_ISF_E10value_typeEPSG_NS1_7vsmem_tEENKUlT_SE_SF_SG_E_clIS8_S8_S9_S9_EESD_ST_SE_SF_SG_EUlST_E1_NS1_11comp_targetILNS1_3genE9ELNS1_11target_archE1100ELNS1_3gpuE3ELNS1_3repE0EEENS1_36merge_oddeven_config_static_selectorELNS0_4arch9wavefront6targetE1EEEvSF_, .Lfunc_end190-_ZN7rocprim17ROCPRIM_400000_NS6detail17trampoline_kernelINS0_14default_configENS1_38merge_sort_block_merge_config_selectorIaNS0_10empty_typeEEEZZNS1_27merge_sort_block_merge_implIS3_PaPS5_jNS1_19radix_merge_compareILb0ELb1EaNS0_19identity_decomposerEEEEE10hipError_tT0_T1_T2_jT3_P12ihipStream_tbPNSt15iterator_traitsISE_E10value_typeEPNSK_ISF_E10value_typeEPSG_NS1_7vsmem_tEENKUlT_SE_SF_SG_E_clIS8_S8_S9_S9_EESD_ST_SE_SF_SG_EUlST_E1_NS1_11comp_targetILNS1_3genE9ELNS1_11target_archE1100ELNS1_3gpuE3ELNS1_3repE0EEENS1_36merge_oddeven_config_static_selectorELNS0_4arch9wavefront6targetE1EEEvSF_
                                        ; -- End function
	.section	.AMDGPU.csdata,"",@progbits
; Kernel info:
; codeLenInByte = 0
; NumSgprs: 4
; NumVgprs: 0
; NumAgprs: 0
; TotalNumVgprs: 0
; ScratchSize: 0
; MemoryBound: 0
; FloatMode: 240
; IeeeMode: 1
; LDSByteSize: 0 bytes/workgroup (compile time only)
; SGPRBlocks: 0
; VGPRBlocks: 0
; NumSGPRsForWavesPerEU: 4
; NumVGPRsForWavesPerEU: 1
; AccumOffset: 4
; Occupancy: 8
; WaveLimiterHint : 0
; COMPUTE_PGM_RSRC2:SCRATCH_EN: 0
; COMPUTE_PGM_RSRC2:USER_SGPR: 6
; COMPUTE_PGM_RSRC2:TRAP_HANDLER: 0
; COMPUTE_PGM_RSRC2:TGID_X_EN: 1
; COMPUTE_PGM_RSRC2:TGID_Y_EN: 0
; COMPUTE_PGM_RSRC2:TGID_Z_EN: 0
; COMPUTE_PGM_RSRC2:TIDIG_COMP_CNT: 0
; COMPUTE_PGM_RSRC3_GFX90A:ACCUM_OFFSET: 0
; COMPUTE_PGM_RSRC3_GFX90A:TG_SPLIT: 0
	.section	.text._ZN7rocprim17ROCPRIM_400000_NS6detail17trampoline_kernelINS0_14default_configENS1_38merge_sort_block_merge_config_selectorIaNS0_10empty_typeEEEZZNS1_27merge_sort_block_merge_implIS3_PaPS5_jNS1_19radix_merge_compareILb0ELb1EaNS0_19identity_decomposerEEEEE10hipError_tT0_T1_T2_jT3_P12ihipStream_tbPNSt15iterator_traitsISE_E10value_typeEPNSK_ISF_E10value_typeEPSG_NS1_7vsmem_tEENKUlT_SE_SF_SG_E_clIS8_S8_S9_S9_EESD_ST_SE_SF_SG_EUlST_E1_NS1_11comp_targetILNS1_3genE8ELNS1_11target_archE1030ELNS1_3gpuE2ELNS1_3repE0EEENS1_36merge_oddeven_config_static_selectorELNS0_4arch9wavefront6targetE1EEEvSF_,"axG",@progbits,_ZN7rocprim17ROCPRIM_400000_NS6detail17trampoline_kernelINS0_14default_configENS1_38merge_sort_block_merge_config_selectorIaNS0_10empty_typeEEEZZNS1_27merge_sort_block_merge_implIS3_PaPS5_jNS1_19radix_merge_compareILb0ELb1EaNS0_19identity_decomposerEEEEE10hipError_tT0_T1_T2_jT3_P12ihipStream_tbPNSt15iterator_traitsISE_E10value_typeEPNSK_ISF_E10value_typeEPSG_NS1_7vsmem_tEENKUlT_SE_SF_SG_E_clIS8_S8_S9_S9_EESD_ST_SE_SF_SG_EUlST_E1_NS1_11comp_targetILNS1_3genE8ELNS1_11target_archE1030ELNS1_3gpuE2ELNS1_3repE0EEENS1_36merge_oddeven_config_static_selectorELNS0_4arch9wavefront6targetE1EEEvSF_,comdat
	.protected	_ZN7rocprim17ROCPRIM_400000_NS6detail17trampoline_kernelINS0_14default_configENS1_38merge_sort_block_merge_config_selectorIaNS0_10empty_typeEEEZZNS1_27merge_sort_block_merge_implIS3_PaPS5_jNS1_19radix_merge_compareILb0ELb1EaNS0_19identity_decomposerEEEEE10hipError_tT0_T1_T2_jT3_P12ihipStream_tbPNSt15iterator_traitsISE_E10value_typeEPNSK_ISF_E10value_typeEPSG_NS1_7vsmem_tEENKUlT_SE_SF_SG_E_clIS8_S8_S9_S9_EESD_ST_SE_SF_SG_EUlST_E1_NS1_11comp_targetILNS1_3genE8ELNS1_11target_archE1030ELNS1_3gpuE2ELNS1_3repE0EEENS1_36merge_oddeven_config_static_selectorELNS0_4arch9wavefront6targetE1EEEvSF_ ; -- Begin function _ZN7rocprim17ROCPRIM_400000_NS6detail17trampoline_kernelINS0_14default_configENS1_38merge_sort_block_merge_config_selectorIaNS0_10empty_typeEEEZZNS1_27merge_sort_block_merge_implIS3_PaPS5_jNS1_19radix_merge_compareILb0ELb1EaNS0_19identity_decomposerEEEEE10hipError_tT0_T1_T2_jT3_P12ihipStream_tbPNSt15iterator_traitsISE_E10value_typeEPNSK_ISF_E10value_typeEPSG_NS1_7vsmem_tEENKUlT_SE_SF_SG_E_clIS8_S8_S9_S9_EESD_ST_SE_SF_SG_EUlST_E1_NS1_11comp_targetILNS1_3genE8ELNS1_11target_archE1030ELNS1_3gpuE2ELNS1_3repE0EEENS1_36merge_oddeven_config_static_selectorELNS0_4arch9wavefront6targetE1EEEvSF_
	.globl	_ZN7rocprim17ROCPRIM_400000_NS6detail17trampoline_kernelINS0_14default_configENS1_38merge_sort_block_merge_config_selectorIaNS0_10empty_typeEEEZZNS1_27merge_sort_block_merge_implIS3_PaPS5_jNS1_19radix_merge_compareILb0ELb1EaNS0_19identity_decomposerEEEEE10hipError_tT0_T1_T2_jT3_P12ihipStream_tbPNSt15iterator_traitsISE_E10value_typeEPNSK_ISF_E10value_typeEPSG_NS1_7vsmem_tEENKUlT_SE_SF_SG_E_clIS8_S8_S9_S9_EESD_ST_SE_SF_SG_EUlST_E1_NS1_11comp_targetILNS1_3genE8ELNS1_11target_archE1030ELNS1_3gpuE2ELNS1_3repE0EEENS1_36merge_oddeven_config_static_selectorELNS0_4arch9wavefront6targetE1EEEvSF_
	.p2align	8
	.type	_ZN7rocprim17ROCPRIM_400000_NS6detail17trampoline_kernelINS0_14default_configENS1_38merge_sort_block_merge_config_selectorIaNS0_10empty_typeEEEZZNS1_27merge_sort_block_merge_implIS3_PaPS5_jNS1_19radix_merge_compareILb0ELb1EaNS0_19identity_decomposerEEEEE10hipError_tT0_T1_T2_jT3_P12ihipStream_tbPNSt15iterator_traitsISE_E10value_typeEPNSK_ISF_E10value_typeEPSG_NS1_7vsmem_tEENKUlT_SE_SF_SG_E_clIS8_S8_S9_S9_EESD_ST_SE_SF_SG_EUlST_E1_NS1_11comp_targetILNS1_3genE8ELNS1_11target_archE1030ELNS1_3gpuE2ELNS1_3repE0EEENS1_36merge_oddeven_config_static_selectorELNS0_4arch9wavefront6targetE1EEEvSF_,@function
_ZN7rocprim17ROCPRIM_400000_NS6detail17trampoline_kernelINS0_14default_configENS1_38merge_sort_block_merge_config_selectorIaNS0_10empty_typeEEEZZNS1_27merge_sort_block_merge_implIS3_PaPS5_jNS1_19radix_merge_compareILb0ELb1EaNS0_19identity_decomposerEEEEE10hipError_tT0_T1_T2_jT3_P12ihipStream_tbPNSt15iterator_traitsISE_E10value_typeEPNSK_ISF_E10value_typeEPSG_NS1_7vsmem_tEENKUlT_SE_SF_SG_E_clIS8_S8_S9_S9_EESD_ST_SE_SF_SG_EUlST_E1_NS1_11comp_targetILNS1_3genE8ELNS1_11target_archE1030ELNS1_3gpuE2ELNS1_3repE0EEENS1_36merge_oddeven_config_static_selectorELNS0_4arch9wavefront6targetE1EEEvSF_: ; @_ZN7rocprim17ROCPRIM_400000_NS6detail17trampoline_kernelINS0_14default_configENS1_38merge_sort_block_merge_config_selectorIaNS0_10empty_typeEEEZZNS1_27merge_sort_block_merge_implIS3_PaPS5_jNS1_19radix_merge_compareILb0ELb1EaNS0_19identity_decomposerEEEEE10hipError_tT0_T1_T2_jT3_P12ihipStream_tbPNSt15iterator_traitsISE_E10value_typeEPNSK_ISF_E10value_typeEPSG_NS1_7vsmem_tEENKUlT_SE_SF_SG_E_clIS8_S8_S9_S9_EESD_ST_SE_SF_SG_EUlST_E1_NS1_11comp_targetILNS1_3genE8ELNS1_11target_archE1030ELNS1_3gpuE2ELNS1_3repE0EEENS1_36merge_oddeven_config_static_selectorELNS0_4arch9wavefront6targetE1EEEvSF_
; %bb.0:
	.section	.rodata,"a",@progbits
	.p2align	6, 0x0
	.amdhsa_kernel _ZN7rocprim17ROCPRIM_400000_NS6detail17trampoline_kernelINS0_14default_configENS1_38merge_sort_block_merge_config_selectorIaNS0_10empty_typeEEEZZNS1_27merge_sort_block_merge_implIS3_PaPS5_jNS1_19radix_merge_compareILb0ELb1EaNS0_19identity_decomposerEEEEE10hipError_tT0_T1_T2_jT3_P12ihipStream_tbPNSt15iterator_traitsISE_E10value_typeEPNSK_ISF_E10value_typeEPSG_NS1_7vsmem_tEENKUlT_SE_SF_SG_E_clIS8_S8_S9_S9_EESD_ST_SE_SF_SG_EUlST_E1_NS1_11comp_targetILNS1_3genE8ELNS1_11target_archE1030ELNS1_3gpuE2ELNS1_3repE0EEENS1_36merge_oddeven_config_static_selectorELNS0_4arch9wavefront6targetE1EEEvSF_
		.amdhsa_group_segment_fixed_size 0
		.amdhsa_private_segment_fixed_size 0
		.amdhsa_kernarg_size 48
		.amdhsa_user_sgpr_count 6
		.amdhsa_user_sgpr_private_segment_buffer 1
		.amdhsa_user_sgpr_dispatch_ptr 0
		.amdhsa_user_sgpr_queue_ptr 0
		.amdhsa_user_sgpr_kernarg_segment_ptr 1
		.amdhsa_user_sgpr_dispatch_id 0
		.amdhsa_user_sgpr_flat_scratch_init 0
		.amdhsa_user_sgpr_kernarg_preload_length 0
		.amdhsa_user_sgpr_kernarg_preload_offset 0
		.amdhsa_user_sgpr_private_segment_size 0
		.amdhsa_uses_dynamic_stack 0
		.amdhsa_system_sgpr_private_segment_wavefront_offset 0
		.amdhsa_system_sgpr_workgroup_id_x 1
		.amdhsa_system_sgpr_workgroup_id_y 0
		.amdhsa_system_sgpr_workgroup_id_z 0
		.amdhsa_system_sgpr_workgroup_info 0
		.amdhsa_system_vgpr_workitem_id 0
		.amdhsa_next_free_vgpr 1
		.amdhsa_next_free_sgpr 0
		.amdhsa_accum_offset 4
		.amdhsa_reserve_vcc 0
		.amdhsa_reserve_flat_scratch 0
		.amdhsa_float_round_mode_32 0
		.amdhsa_float_round_mode_16_64 0
		.amdhsa_float_denorm_mode_32 3
		.amdhsa_float_denorm_mode_16_64 3
		.amdhsa_dx10_clamp 1
		.amdhsa_ieee_mode 1
		.amdhsa_fp16_overflow 0
		.amdhsa_tg_split 0
		.amdhsa_exception_fp_ieee_invalid_op 0
		.amdhsa_exception_fp_denorm_src 0
		.amdhsa_exception_fp_ieee_div_zero 0
		.amdhsa_exception_fp_ieee_overflow 0
		.amdhsa_exception_fp_ieee_underflow 0
		.amdhsa_exception_fp_ieee_inexact 0
		.amdhsa_exception_int_div_zero 0
	.end_amdhsa_kernel
	.section	.text._ZN7rocprim17ROCPRIM_400000_NS6detail17trampoline_kernelINS0_14default_configENS1_38merge_sort_block_merge_config_selectorIaNS0_10empty_typeEEEZZNS1_27merge_sort_block_merge_implIS3_PaPS5_jNS1_19radix_merge_compareILb0ELb1EaNS0_19identity_decomposerEEEEE10hipError_tT0_T1_T2_jT3_P12ihipStream_tbPNSt15iterator_traitsISE_E10value_typeEPNSK_ISF_E10value_typeEPSG_NS1_7vsmem_tEENKUlT_SE_SF_SG_E_clIS8_S8_S9_S9_EESD_ST_SE_SF_SG_EUlST_E1_NS1_11comp_targetILNS1_3genE8ELNS1_11target_archE1030ELNS1_3gpuE2ELNS1_3repE0EEENS1_36merge_oddeven_config_static_selectorELNS0_4arch9wavefront6targetE1EEEvSF_,"axG",@progbits,_ZN7rocprim17ROCPRIM_400000_NS6detail17trampoline_kernelINS0_14default_configENS1_38merge_sort_block_merge_config_selectorIaNS0_10empty_typeEEEZZNS1_27merge_sort_block_merge_implIS3_PaPS5_jNS1_19radix_merge_compareILb0ELb1EaNS0_19identity_decomposerEEEEE10hipError_tT0_T1_T2_jT3_P12ihipStream_tbPNSt15iterator_traitsISE_E10value_typeEPNSK_ISF_E10value_typeEPSG_NS1_7vsmem_tEENKUlT_SE_SF_SG_E_clIS8_S8_S9_S9_EESD_ST_SE_SF_SG_EUlST_E1_NS1_11comp_targetILNS1_3genE8ELNS1_11target_archE1030ELNS1_3gpuE2ELNS1_3repE0EEENS1_36merge_oddeven_config_static_selectorELNS0_4arch9wavefront6targetE1EEEvSF_,comdat
.Lfunc_end191:
	.size	_ZN7rocprim17ROCPRIM_400000_NS6detail17trampoline_kernelINS0_14default_configENS1_38merge_sort_block_merge_config_selectorIaNS0_10empty_typeEEEZZNS1_27merge_sort_block_merge_implIS3_PaPS5_jNS1_19radix_merge_compareILb0ELb1EaNS0_19identity_decomposerEEEEE10hipError_tT0_T1_T2_jT3_P12ihipStream_tbPNSt15iterator_traitsISE_E10value_typeEPNSK_ISF_E10value_typeEPSG_NS1_7vsmem_tEENKUlT_SE_SF_SG_E_clIS8_S8_S9_S9_EESD_ST_SE_SF_SG_EUlST_E1_NS1_11comp_targetILNS1_3genE8ELNS1_11target_archE1030ELNS1_3gpuE2ELNS1_3repE0EEENS1_36merge_oddeven_config_static_selectorELNS0_4arch9wavefront6targetE1EEEvSF_, .Lfunc_end191-_ZN7rocprim17ROCPRIM_400000_NS6detail17trampoline_kernelINS0_14default_configENS1_38merge_sort_block_merge_config_selectorIaNS0_10empty_typeEEEZZNS1_27merge_sort_block_merge_implIS3_PaPS5_jNS1_19radix_merge_compareILb0ELb1EaNS0_19identity_decomposerEEEEE10hipError_tT0_T1_T2_jT3_P12ihipStream_tbPNSt15iterator_traitsISE_E10value_typeEPNSK_ISF_E10value_typeEPSG_NS1_7vsmem_tEENKUlT_SE_SF_SG_E_clIS8_S8_S9_S9_EESD_ST_SE_SF_SG_EUlST_E1_NS1_11comp_targetILNS1_3genE8ELNS1_11target_archE1030ELNS1_3gpuE2ELNS1_3repE0EEENS1_36merge_oddeven_config_static_selectorELNS0_4arch9wavefront6targetE1EEEvSF_
                                        ; -- End function
	.section	.AMDGPU.csdata,"",@progbits
; Kernel info:
; codeLenInByte = 0
; NumSgprs: 4
; NumVgprs: 0
; NumAgprs: 0
; TotalNumVgprs: 0
; ScratchSize: 0
; MemoryBound: 0
; FloatMode: 240
; IeeeMode: 1
; LDSByteSize: 0 bytes/workgroup (compile time only)
; SGPRBlocks: 0
; VGPRBlocks: 0
; NumSGPRsForWavesPerEU: 4
; NumVGPRsForWavesPerEU: 1
; AccumOffset: 4
; Occupancy: 8
; WaveLimiterHint : 0
; COMPUTE_PGM_RSRC2:SCRATCH_EN: 0
; COMPUTE_PGM_RSRC2:USER_SGPR: 6
; COMPUTE_PGM_RSRC2:TRAP_HANDLER: 0
; COMPUTE_PGM_RSRC2:TGID_X_EN: 1
; COMPUTE_PGM_RSRC2:TGID_Y_EN: 0
; COMPUTE_PGM_RSRC2:TGID_Z_EN: 0
; COMPUTE_PGM_RSRC2:TIDIG_COMP_CNT: 0
; COMPUTE_PGM_RSRC3_GFX90A:ACCUM_OFFSET: 0
; COMPUTE_PGM_RSRC3_GFX90A:TG_SPLIT: 0
	.section	.text._ZN7rocprim17ROCPRIM_400000_NS6detail17trampoline_kernelINS0_14default_configENS1_35radix_sort_onesweep_config_selectorIaNS0_10empty_typeEEEZNS1_34radix_sort_onesweep_global_offsetsIS3_Lb0EPaPS5_mNS0_19identity_decomposerEEE10hipError_tT1_T2_PT3_SE_jT4_jjP12ihipStream_tbEUlT_E_NS1_11comp_targetILNS1_3genE0ELNS1_11target_archE4294967295ELNS1_3gpuE0ELNS1_3repE0EEENS1_52radix_sort_onesweep_histogram_config_static_selectorELNS0_4arch9wavefront6targetE1EEEvSC_,"axG",@progbits,_ZN7rocprim17ROCPRIM_400000_NS6detail17trampoline_kernelINS0_14default_configENS1_35radix_sort_onesweep_config_selectorIaNS0_10empty_typeEEEZNS1_34radix_sort_onesweep_global_offsetsIS3_Lb0EPaPS5_mNS0_19identity_decomposerEEE10hipError_tT1_T2_PT3_SE_jT4_jjP12ihipStream_tbEUlT_E_NS1_11comp_targetILNS1_3genE0ELNS1_11target_archE4294967295ELNS1_3gpuE0ELNS1_3repE0EEENS1_52radix_sort_onesweep_histogram_config_static_selectorELNS0_4arch9wavefront6targetE1EEEvSC_,comdat
	.protected	_ZN7rocprim17ROCPRIM_400000_NS6detail17trampoline_kernelINS0_14default_configENS1_35radix_sort_onesweep_config_selectorIaNS0_10empty_typeEEEZNS1_34radix_sort_onesweep_global_offsetsIS3_Lb0EPaPS5_mNS0_19identity_decomposerEEE10hipError_tT1_T2_PT3_SE_jT4_jjP12ihipStream_tbEUlT_E_NS1_11comp_targetILNS1_3genE0ELNS1_11target_archE4294967295ELNS1_3gpuE0ELNS1_3repE0EEENS1_52radix_sort_onesweep_histogram_config_static_selectorELNS0_4arch9wavefront6targetE1EEEvSC_ ; -- Begin function _ZN7rocprim17ROCPRIM_400000_NS6detail17trampoline_kernelINS0_14default_configENS1_35radix_sort_onesweep_config_selectorIaNS0_10empty_typeEEEZNS1_34radix_sort_onesweep_global_offsetsIS3_Lb0EPaPS5_mNS0_19identity_decomposerEEE10hipError_tT1_T2_PT3_SE_jT4_jjP12ihipStream_tbEUlT_E_NS1_11comp_targetILNS1_3genE0ELNS1_11target_archE4294967295ELNS1_3gpuE0ELNS1_3repE0EEENS1_52radix_sort_onesweep_histogram_config_static_selectorELNS0_4arch9wavefront6targetE1EEEvSC_
	.globl	_ZN7rocprim17ROCPRIM_400000_NS6detail17trampoline_kernelINS0_14default_configENS1_35radix_sort_onesweep_config_selectorIaNS0_10empty_typeEEEZNS1_34radix_sort_onesweep_global_offsetsIS3_Lb0EPaPS5_mNS0_19identity_decomposerEEE10hipError_tT1_T2_PT3_SE_jT4_jjP12ihipStream_tbEUlT_E_NS1_11comp_targetILNS1_3genE0ELNS1_11target_archE4294967295ELNS1_3gpuE0ELNS1_3repE0EEENS1_52radix_sort_onesweep_histogram_config_static_selectorELNS0_4arch9wavefront6targetE1EEEvSC_
	.p2align	8
	.type	_ZN7rocprim17ROCPRIM_400000_NS6detail17trampoline_kernelINS0_14default_configENS1_35radix_sort_onesweep_config_selectorIaNS0_10empty_typeEEEZNS1_34radix_sort_onesweep_global_offsetsIS3_Lb0EPaPS5_mNS0_19identity_decomposerEEE10hipError_tT1_T2_PT3_SE_jT4_jjP12ihipStream_tbEUlT_E_NS1_11comp_targetILNS1_3genE0ELNS1_11target_archE4294967295ELNS1_3gpuE0ELNS1_3repE0EEENS1_52radix_sort_onesweep_histogram_config_static_selectorELNS0_4arch9wavefront6targetE1EEEvSC_,@function
_ZN7rocprim17ROCPRIM_400000_NS6detail17trampoline_kernelINS0_14default_configENS1_35radix_sort_onesweep_config_selectorIaNS0_10empty_typeEEEZNS1_34radix_sort_onesweep_global_offsetsIS3_Lb0EPaPS5_mNS0_19identity_decomposerEEE10hipError_tT1_T2_PT3_SE_jT4_jjP12ihipStream_tbEUlT_E_NS1_11comp_targetILNS1_3genE0ELNS1_11target_archE4294967295ELNS1_3gpuE0ELNS1_3repE0EEENS1_52radix_sort_onesweep_histogram_config_static_selectorELNS0_4arch9wavefront6targetE1EEEvSC_: ; @_ZN7rocprim17ROCPRIM_400000_NS6detail17trampoline_kernelINS0_14default_configENS1_35radix_sort_onesweep_config_selectorIaNS0_10empty_typeEEEZNS1_34radix_sort_onesweep_global_offsetsIS3_Lb0EPaPS5_mNS0_19identity_decomposerEEE10hipError_tT1_T2_PT3_SE_jT4_jjP12ihipStream_tbEUlT_E_NS1_11comp_targetILNS1_3genE0ELNS1_11target_archE4294967295ELNS1_3gpuE0ELNS1_3repE0EEENS1_52radix_sort_onesweep_histogram_config_static_selectorELNS0_4arch9wavefront6targetE1EEEvSC_
; %bb.0:
	.section	.rodata,"a",@progbits
	.p2align	6, 0x0
	.amdhsa_kernel _ZN7rocprim17ROCPRIM_400000_NS6detail17trampoline_kernelINS0_14default_configENS1_35radix_sort_onesweep_config_selectorIaNS0_10empty_typeEEEZNS1_34radix_sort_onesweep_global_offsetsIS3_Lb0EPaPS5_mNS0_19identity_decomposerEEE10hipError_tT1_T2_PT3_SE_jT4_jjP12ihipStream_tbEUlT_E_NS1_11comp_targetILNS1_3genE0ELNS1_11target_archE4294967295ELNS1_3gpuE0ELNS1_3repE0EEENS1_52radix_sort_onesweep_histogram_config_static_selectorELNS0_4arch9wavefront6targetE1EEEvSC_
		.amdhsa_group_segment_fixed_size 0
		.amdhsa_private_segment_fixed_size 0
		.amdhsa_kernarg_size 48
		.amdhsa_user_sgpr_count 6
		.amdhsa_user_sgpr_private_segment_buffer 1
		.amdhsa_user_sgpr_dispatch_ptr 0
		.amdhsa_user_sgpr_queue_ptr 0
		.amdhsa_user_sgpr_kernarg_segment_ptr 1
		.amdhsa_user_sgpr_dispatch_id 0
		.amdhsa_user_sgpr_flat_scratch_init 0
		.amdhsa_user_sgpr_kernarg_preload_length 0
		.amdhsa_user_sgpr_kernarg_preload_offset 0
		.amdhsa_user_sgpr_private_segment_size 0
		.amdhsa_uses_dynamic_stack 0
		.amdhsa_system_sgpr_private_segment_wavefront_offset 0
		.amdhsa_system_sgpr_workgroup_id_x 1
		.amdhsa_system_sgpr_workgroup_id_y 0
		.amdhsa_system_sgpr_workgroup_id_z 0
		.amdhsa_system_sgpr_workgroup_info 0
		.amdhsa_system_vgpr_workitem_id 0
		.amdhsa_next_free_vgpr 1
		.amdhsa_next_free_sgpr 0
		.amdhsa_accum_offset 4
		.amdhsa_reserve_vcc 0
		.amdhsa_reserve_flat_scratch 0
		.amdhsa_float_round_mode_32 0
		.amdhsa_float_round_mode_16_64 0
		.amdhsa_float_denorm_mode_32 3
		.amdhsa_float_denorm_mode_16_64 3
		.amdhsa_dx10_clamp 1
		.amdhsa_ieee_mode 1
		.amdhsa_fp16_overflow 0
		.amdhsa_tg_split 0
		.amdhsa_exception_fp_ieee_invalid_op 0
		.amdhsa_exception_fp_denorm_src 0
		.amdhsa_exception_fp_ieee_div_zero 0
		.amdhsa_exception_fp_ieee_overflow 0
		.amdhsa_exception_fp_ieee_underflow 0
		.amdhsa_exception_fp_ieee_inexact 0
		.amdhsa_exception_int_div_zero 0
	.end_amdhsa_kernel
	.section	.text._ZN7rocprim17ROCPRIM_400000_NS6detail17trampoline_kernelINS0_14default_configENS1_35radix_sort_onesweep_config_selectorIaNS0_10empty_typeEEEZNS1_34radix_sort_onesweep_global_offsetsIS3_Lb0EPaPS5_mNS0_19identity_decomposerEEE10hipError_tT1_T2_PT3_SE_jT4_jjP12ihipStream_tbEUlT_E_NS1_11comp_targetILNS1_3genE0ELNS1_11target_archE4294967295ELNS1_3gpuE0ELNS1_3repE0EEENS1_52radix_sort_onesweep_histogram_config_static_selectorELNS0_4arch9wavefront6targetE1EEEvSC_,"axG",@progbits,_ZN7rocprim17ROCPRIM_400000_NS6detail17trampoline_kernelINS0_14default_configENS1_35radix_sort_onesweep_config_selectorIaNS0_10empty_typeEEEZNS1_34radix_sort_onesweep_global_offsetsIS3_Lb0EPaPS5_mNS0_19identity_decomposerEEE10hipError_tT1_T2_PT3_SE_jT4_jjP12ihipStream_tbEUlT_E_NS1_11comp_targetILNS1_3genE0ELNS1_11target_archE4294967295ELNS1_3gpuE0ELNS1_3repE0EEENS1_52radix_sort_onesweep_histogram_config_static_selectorELNS0_4arch9wavefront6targetE1EEEvSC_,comdat
.Lfunc_end192:
	.size	_ZN7rocprim17ROCPRIM_400000_NS6detail17trampoline_kernelINS0_14default_configENS1_35radix_sort_onesweep_config_selectorIaNS0_10empty_typeEEEZNS1_34radix_sort_onesweep_global_offsetsIS3_Lb0EPaPS5_mNS0_19identity_decomposerEEE10hipError_tT1_T2_PT3_SE_jT4_jjP12ihipStream_tbEUlT_E_NS1_11comp_targetILNS1_3genE0ELNS1_11target_archE4294967295ELNS1_3gpuE0ELNS1_3repE0EEENS1_52radix_sort_onesweep_histogram_config_static_selectorELNS0_4arch9wavefront6targetE1EEEvSC_, .Lfunc_end192-_ZN7rocprim17ROCPRIM_400000_NS6detail17trampoline_kernelINS0_14default_configENS1_35radix_sort_onesweep_config_selectorIaNS0_10empty_typeEEEZNS1_34radix_sort_onesweep_global_offsetsIS3_Lb0EPaPS5_mNS0_19identity_decomposerEEE10hipError_tT1_T2_PT3_SE_jT4_jjP12ihipStream_tbEUlT_E_NS1_11comp_targetILNS1_3genE0ELNS1_11target_archE4294967295ELNS1_3gpuE0ELNS1_3repE0EEENS1_52radix_sort_onesweep_histogram_config_static_selectorELNS0_4arch9wavefront6targetE1EEEvSC_
                                        ; -- End function
	.section	.AMDGPU.csdata,"",@progbits
; Kernel info:
; codeLenInByte = 0
; NumSgprs: 4
; NumVgprs: 0
; NumAgprs: 0
; TotalNumVgprs: 0
; ScratchSize: 0
; MemoryBound: 0
; FloatMode: 240
; IeeeMode: 1
; LDSByteSize: 0 bytes/workgroup (compile time only)
; SGPRBlocks: 0
; VGPRBlocks: 0
; NumSGPRsForWavesPerEU: 4
; NumVGPRsForWavesPerEU: 1
; AccumOffset: 4
; Occupancy: 8
; WaveLimiterHint : 0
; COMPUTE_PGM_RSRC2:SCRATCH_EN: 0
; COMPUTE_PGM_RSRC2:USER_SGPR: 6
; COMPUTE_PGM_RSRC2:TRAP_HANDLER: 0
; COMPUTE_PGM_RSRC2:TGID_X_EN: 1
; COMPUTE_PGM_RSRC2:TGID_Y_EN: 0
; COMPUTE_PGM_RSRC2:TGID_Z_EN: 0
; COMPUTE_PGM_RSRC2:TIDIG_COMP_CNT: 0
; COMPUTE_PGM_RSRC3_GFX90A:ACCUM_OFFSET: 0
; COMPUTE_PGM_RSRC3_GFX90A:TG_SPLIT: 0
	.section	.text._ZN7rocprim17ROCPRIM_400000_NS6detail17trampoline_kernelINS0_14default_configENS1_35radix_sort_onesweep_config_selectorIaNS0_10empty_typeEEEZNS1_34radix_sort_onesweep_global_offsetsIS3_Lb0EPaPS5_mNS0_19identity_decomposerEEE10hipError_tT1_T2_PT3_SE_jT4_jjP12ihipStream_tbEUlT_E_NS1_11comp_targetILNS1_3genE6ELNS1_11target_archE950ELNS1_3gpuE13ELNS1_3repE0EEENS1_52radix_sort_onesweep_histogram_config_static_selectorELNS0_4arch9wavefront6targetE1EEEvSC_,"axG",@progbits,_ZN7rocprim17ROCPRIM_400000_NS6detail17trampoline_kernelINS0_14default_configENS1_35radix_sort_onesweep_config_selectorIaNS0_10empty_typeEEEZNS1_34radix_sort_onesweep_global_offsetsIS3_Lb0EPaPS5_mNS0_19identity_decomposerEEE10hipError_tT1_T2_PT3_SE_jT4_jjP12ihipStream_tbEUlT_E_NS1_11comp_targetILNS1_3genE6ELNS1_11target_archE950ELNS1_3gpuE13ELNS1_3repE0EEENS1_52radix_sort_onesweep_histogram_config_static_selectorELNS0_4arch9wavefront6targetE1EEEvSC_,comdat
	.protected	_ZN7rocprim17ROCPRIM_400000_NS6detail17trampoline_kernelINS0_14default_configENS1_35radix_sort_onesweep_config_selectorIaNS0_10empty_typeEEEZNS1_34radix_sort_onesweep_global_offsetsIS3_Lb0EPaPS5_mNS0_19identity_decomposerEEE10hipError_tT1_T2_PT3_SE_jT4_jjP12ihipStream_tbEUlT_E_NS1_11comp_targetILNS1_3genE6ELNS1_11target_archE950ELNS1_3gpuE13ELNS1_3repE0EEENS1_52radix_sort_onesweep_histogram_config_static_selectorELNS0_4arch9wavefront6targetE1EEEvSC_ ; -- Begin function _ZN7rocprim17ROCPRIM_400000_NS6detail17trampoline_kernelINS0_14default_configENS1_35radix_sort_onesweep_config_selectorIaNS0_10empty_typeEEEZNS1_34radix_sort_onesweep_global_offsetsIS3_Lb0EPaPS5_mNS0_19identity_decomposerEEE10hipError_tT1_T2_PT3_SE_jT4_jjP12ihipStream_tbEUlT_E_NS1_11comp_targetILNS1_3genE6ELNS1_11target_archE950ELNS1_3gpuE13ELNS1_3repE0EEENS1_52radix_sort_onesweep_histogram_config_static_selectorELNS0_4arch9wavefront6targetE1EEEvSC_
	.globl	_ZN7rocprim17ROCPRIM_400000_NS6detail17trampoline_kernelINS0_14default_configENS1_35radix_sort_onesweep_config_selectorIaNS0_10empty_typeEEEZNS1_34radix_sort_onesweep_global_offsetsIS3_Lb0EPaPS5_mNS0_19identity_decomposerEEE10hipError_tT1_T2_PT3_SE_jT4_jjP12ihipStream_tbEUlT_E_NS1_11comp_targetILNS1_3genE6ELNS1_11target_archE950ELNS1_3gpuE13ELNS1_3repE0EEENS1_52radix_sort_onesweep_histogram_config_static_selectorELNS0_4arch9wavefront6targetE1EEEvSC_
	.p2align	8
	.type	_ZN7rocprim17ROCPRIM_400000_NS6detail17trampoline_kernelINS0_14default_configENS1_35radix_sort_onesweep_config_selectorIaNS0_10empty_typeEEEZNS1_34radix_sort_onesweep_global_offsetsIS3_Lb0EPaPS5_mNS0_19identity_decomposerEEE10hipError_tT1_T2_PT3_SE_jT4_jjP12ihipStream_tbEUlT_E_NS1_11comp_targetILNS1_3genE6ELNS1_11target_archE950ELNS1_3gpuE13ELNS1_3repE0EEENS1_52radix_sort_onesweep_histogram_config_static_selectorELNS0_4arch9wavefront6targetE1EEEvSC_,@function
_ZN7rocprim17ROCPRIM_400000_NS6detail17trampoline_kernelINS0_14default_configENS1_35radix_sort_onesweep_config_selectorIaNS0_10empty_typeEEEZNS1_34radix_sort_onesweep_global_offsetsIS3_Lb0EPaPS5_mNS0_19identity_decomposerEEE10hipError_tT1_T2_PT3_SE_jT4_jjP12ihipStream_tbEUlT_E_NS1_11comp_targetILNS1_3genE6ELNS1_11target_archE950ELNS1_3gpuE13ELNS1_3repE0EEENS1_52radix_sort_onesweep_histogram_config_static_selectorELNS0_4arch9wavefront6targetE1EEEvSC_: ; @_ZN7rocprim17ROCPRIM_400000_NS6detail17trampoline_kernelINS0_14default_configENS1_35radix_sort_onesweep_config_selectorIaNS0_10empty_typeEEEZNS1_34radix_sort_onesweep_global_offsetsIS3_Lb0EPaPS5_mNS0_19identity_decomposerEEE10hipError_tT1_T2_PT3_SE_jT4_jjP12ihipStream_tbEUlT_E_NS1_11comp_targetILNS1_3genE6ELNS1_11target_archE950ELNS1_3gpuE13ELNS1_3repE0EEENS1_52radix_sort_onesweep_histogram_config_static_selectorELNS0_4arch9wavefront6targetE1EEEvSC_
; %bb.0:
	.section	.rodata,"a",@progbits
	.p2align	6, 0x0
	.amdhsa_kernel _ZN7rocprim17ROCPRIM_400000_NS6detail17trampoline_kernelINS0_14default_configENS1_35radix_sort_onesweep_config_selectorIaNS0_10empty_typeEEEZNS1_34radix_sort_onesweep_global_offsetsIS3_Lb0EPaPS5_mNS0_19identity_decomposerEEE10hipError_tT1_T2_PT3_SE_jT4_jjP12ihipStream_tbEUlT_E_NS1_11comp_targetILNS1_3genE6ELNS1_11target_archE950ELNS1_3gpuE13ELNS1_3repE0EEENS1_52radix_sort_onesweep_histogram_config_static_selectorELNS0_4arch9wavefront6targetE1EEEvSC_
		.amdhsa_group_segment_fixed_size 0
		.amdhsa_private_segment_fixed_size 0
		.amdhsa_kernarg_size 48
		.amdhsa_user_sgpr_count 6
		.amdhsa_user_sgpr_private_segment_buffer 1
		.amdhsa_user_sgpr_dispatch_ptr 0
		.amdhsa_user_sgpr_queue_ptr 0
		.amdhsa_user_sgpr_kernarg_segment_ptr 1
		.amdhsa_user_sgpr_dispatch_id 0
		.amdhsa_user_sgpr_flat_scratch_init 0
		.amdhsa_user_sgpr_kernarg_preload_length 0
		.amdhsa_user_sgpr_kernarg_preload_offset 0
		.amdhsa_user_sgpr_private_segment_size 0
		.amdhsa_uses_dynamic_stack 0
		.amdhsa_system_sgpr_private_segment_wavefront_offset 0
		.amdhsa_system_sgpr_workgroup_id_x 1
		.amdhsa_system_sgpr_workgroup_id_y 0
		.amdhsa_system_sgpr_workgroup_id_z 0
		.amdhsa_system_sgpr_workgroup_info 0
		.amdhsa_system_vgpr_workitem_id 0
		.amdhsa_next_free_vgpr 1
		.amdhsa_next_free_sgpr 0
		.amdhsa_accum_offset 4
		.amdhsa_reserve_vcc 0
		.amdhsa_reserve_flat_scratch 0
		.amdhsa_float_round_mode_32 0
		.amdhsa_float_round_mode_16_64 0
		.amdhsa_float_denorm_mode_32 3
		.amdhsa_float_denorm_mode_16_64 3
		.amdhsa_dx10_clamp 1
		.amdhsa_ieee_mode 1
		.amdhsa_fp16_overflow 0
		.amdhsa_tg_split 0
		.amdhsa_exception_fp_ieee_invalid_op 0
		.amdhsa_exception_fp_denorm_src 0
		.amdhsa_exception_fp_ieee_div_zero 0
		.amdhsa_exception_fp_ieee_overflow 0
		.amdhsa_exception_fp_ieee_underflow 0
		.amdhsa_exception_fp_ieee_inexact 0
		.amdhsa_exception_int_div_zero 0
	.end_amdhsa_kernel
	.section	.text._ZN7rocprim17ROCPRIM_400000_NS6detail17trampoline_kernelINS0_14default_configENS1_35radix_sort_onesweep_config_selectorIaNS0_10empty_typeEEEZNS1_34radix_sort_onesweep_global_offsetsIS3_Lb0EPaPS5_mNS0_19identity_decomposerEEE10hipError_tT1_T2_PT3_SE_jT4_jjP12ihipStream_tbEUlT_E_NS1_11comp_targetILNS1_3genE6ELNS1_11target_archE950ELNS1_3gpuE13ELNS1_3repE0EEENS1_52radix_sort_onesweep_histogram_config_static_selectorELNS0_4arch9wavefront6targetE1EEEvSC_,"axG",@progbits,_ZN7rocprim17ROCPRIM_400000_NS6detail17trampoline_kernelINS0_14default_configENS1_35radix_sort_onesweep_config_selectorIaNS0_10empty_typeEEEZNS1_34radix_sort_onesweep_global_offsetsIS3_Lb0EPaPS5_mNS0_19identity_decomposerEEE10hipError_tT1_T2_PT3_SE_jT4_jjP12ihipStream_tbEUlT_E_NS1_11comp_targetILNS1_3genE6ELNS1_11target_archE950ELNS1_3gpuE13ELNS1_3repE0EEENS1_52radix_sort_onesweep_histogram_config_static_selectorELNS0_4arch9wavefront6targetE1EEEvSC_,comdat
.Lfunc_end193:
	.size	_ZN7rocprim17ROCPRIM_400000_NS6detail17trampoline_kernelINS0_14default_configENS1_35radix_sort_onesweep_config_selectorIaNS0_10empty_typeEEEZNS1_34radix_sort_onesweep_global_offsetsIS3_Lb0EPaPS5_mNS0_19identity_decomposerEEE10hipError_tT1_T2_PT3_SE_jT4_jjP12ihipStream_tbEUlT_E_NS1_11comp_targetILNS1_3genE6ELNS1_11target_archE950ELNS1_3gpuE13ELNS1_3repE0EEENS1_52radix_sort_onesweep_histogram_config_static_selectorELNS0_4arch9wavefront6targetE1EEEvSC_, .Lfunc_end193-_ZN7rocprim17ROCPRIM_400000_NS6detail17trampoline_kernelINS0_14default_configENS1_35radix_sort_onesweep_config_selectorIaNS0_10empty_typeEEEZNS1_34radix_sort_onesweep_global_offsetsIS3_Lb0EPaPS5_mNS0_19identity_decomposerEEE10hipError_tT1_T2_PT3_SE_jT4_jjP12ihipStream_tbEUlT_E_NS1_11comp_targetILNS1_3genE6ELNS1_11target_archE950ELNS1_3gpuE13ELNS1_3repE0EEENS1_52radix_sort_onesweep_histogram_config_static_selectorELNS0_4arch9wavefront6targetE1EEEvSC_
                                        ; -- End function
	.section	.AMDGPU.csdata,"",@progbits
; Kernel info:
; codeLenInByte = 0
; NumSgprs: 4
; NumVgprs: 0
; NumAgprs: 0
; TotalNumVgprs: 0
; ScratchSize: 0
; MemoryBound: 0
; FloatMode: 240
; IeeeMode: 1
; LDSByteSize: 0 bytes/workgroup (compile time only)
; SGPRBlocks: 0
; VGPRBlocks: 0
; NumSGPRsForWavesPerEU: 4
; NumVGPRsForWavesPerEU: 1
; AccumOffset: 4
; Occupancy: 8
; WaveLimiterHint : 0
; COMPUTE_PGM_RSRC2:SCRATCH_EN: 0
; COMPUTE_PGM_RSRC2:USER_SGPR: 6
; COMPUTE_PGM_RSRC2:TRAP_HANDLER: 0
; COMPUTE_PGM_RSRC2:TGID_X_EN: 1
; COMPUTE_PGM_RSRC2:TGID_Y_EN: 0
; COMPUTE_PGM_RSRC2:TGID_Z_EN: 0
; COMPUTE_PGM_RSRC2:TIDIG_COMP_CNT: 0
; COMPUTE_PGM_RSRC3_GFX90A:ACCUM_OFFSET: 0
; COMPUTE_PGM_RSRC3_GFX90A:TG_SPLIT: 0
	.section	.text._ZN7rocprim17ROCPRIM_400000_NS6detail17trampoline_kernelINS0_14default_configENS1_35radix_sort_onesweep_config_selectorIaNS0_10empty_typeEEEZNS1_34radix_sort_onesweep_global_offsetsIS3_Lb0EPaPS5_mNS0_19identity_decomposerEEE10hipError_tT1_T2_PT3_SE_jT4_jjP12ihipStream_tbEUlT_E_NS1_11comp_targetILNS1_3genE5ELNS1_11target_archE942ELNS1_3gpuE9ELNS1_3repE0EEENS1_52radix_sort_onesweep_histogram_config_static_selectorELNS0_4arch9wavefront6targetE1EEEvSC_,"axG",@progbits,_ZN7rocprim17ROCPRIM_400000_NS6detail17trampoline_kernelINS0_14default_configENS1_35radix_sort_onesweep_config_selectorIaNS0_10empty_typeEEEZNS1_34radix_sort_onesweep_global_offsetsIS3_Lb0EPaPS5_mNS0_19identity_decomposerEEE10hipError_tT1_T2_PT3_SE_jT4_jjP12ihipStream_tbEUlT_E_NS1_11comp_targetILNS1_3genE5ELNS1_11target_archE942ELNS1_3gpuE9ELNS1_3repE0EEENS1_52radix_sort_onesweep_histogram_config_static_selectorELNS0_4arch9wavefront6targetE1EEEvSC_,comdat
	.protected	_ZN7rocprim17ROCPRIM_400000_NS6detail17trampoline_kernelINS0_14default_configENS1_35radix_sort_onesweep_config_selectorIaNS0_10empty_typeEEEZNS1_34radix_sort_onesweep_global_offsetsIS3_Lb0EPaPS5_mNS0_19identity_decomposerEEE10hipError_tT1_T2_PT3_SE_jT4_jjP12ihipStream_tbEUlT_E_NS1_11comp_targetILNS1_3genE5ELNS1_11target_archE942ELNS1_3gpuE9ELNS1_3repE0EEENS1_52radix_sort_onesweep_histogram_config_static_selectorELNS0_4arch9wavefront6targetE1EEEvSC_ ; -- Begin function _ZN7rocprim17ROCPRIM_400000_NS6detail17trampoline_kernelINS0_14default_configENS1_35radix_sort_onesweep_config_selectorIaNS0_10empty_typeEEEZNS1_34radix_sort_onesweep_global_offsetsIS3_Lb0EPaPS5_mNS0_19identity_decomposerEEE10hipError_tT1_T2_PT3_SE_jT4_jjP12ihipStream_tbEUlT_E_NS1_11comp_targetILNS1_3genE5ELNS1_11target_archE942ELNS1_3gpuE9ELNS1_3repE0EEENS1_52radix_sort_onesweep_histogram_config_static_selectorELNS0_4arch9wavefront6targetE1EEEvSC_
	.globl	_ZN7rocprim17ROCPRIM_400000_NS6detail17trampoline_kernelINS0_14default_configENS1_35radix_sort_onesweep_config_selectorIaNS0_10empty_typeEEEZNS1_34radix_sort_onesweep_global_offsetsIS3_Lb0EPaPS5_mNS0_19identity_decomposerEEE10hipError_tT1_T2_PT3_SE_jT4_jjP12ihipStream_tbEUlT_E_NS1_11comp_targetILNS1_3genE5ELNS1_11target_archE942ELNS1_3gpuE9ELNS1_3repE0EEENS1_52radix_sort_onesweep_histogram_config_static_selectorELNS0_4arch9wavefront6targetE1EEEvSC_
	.p2align	8
	.type	_ZN7rocprim17ROCPRIM_400000_NS6detail17trampoline_kernelINS0_14default_configENS1_35radix_sort_onesweep_config_selectorIaNS0_10empty_typeEEEZNS1_34radix_sort_onesweep_global_offsetsIS3_Lb0EPaPS5_mNS0_19identity_decomposerEEE10hipError_tT1_T2_PT3_SE_jT4_jjP12ihipStream_tbEUlT_E_NS1_11comp_targetILNS1_3genE5ELNS1_11target_archE942ELNS1_3gpuE9ELNS1_3repE0EEENS1_52radix_sort_onesweep_histogram_config_static_selectorELNS0_4arch9wavefront6targetE1EEEvSC_,@function
_ZN7rocprim17ROCPRIM_400000_NS6detail17trampoline_kernelINS0_14default_configENS1_35radix_sort_onesweep_config_selectorIaNS0_10empty_typeEEEZNS1_34radix_sort_onesweep_global_offsetsIS3_Lb0EPaPS5_mNS0_19identity_decomposerEEE10hipError_tT1_T2_PT3_SE_jT4_jjP12ihipStream_tbEUlT_E_NS1_11comp_targetILNS1_3genE5ELNS1_11target_archE942ELNS1_3gpuE9ELNS1_3repE0EEENS1_52radix_sort_onesweep_histogram_config_static_selectorELNS0_4arch9wavefront6targetE1EEEvSC_: ; @_ZN7rocprim17ROCPRIM_400000_NS6detail17trampoline_kernelINS0_14default_configENS1_35radix_sort_onesweep_config_selectorIaNS0_10empty_typeEEEZNS1_34radix_sort_onesweep_global_offsetsIS3_Lb0EPaPS5_mNS0_19identity_decomposerEEE10hipError_tT1_T2_PT3_SE_jT4_jjP12ihipStream_tbEUlT_E_NS1_11comp_targetILNS1_3genE5ELNS1_11target_archE942ELNS1_3gpuE9ELNS1_3repE0EEENS1_52radix_sort_onesweep_histogram_config_static_selectorELNS0_4arch9wavefront6targetE1EEEvSC_
; %bb.0:
	.section	.rodata,"a",@progbits
	.p2align	6, 0x0
	.amdhsa_kernel _ZN7rocprim17ROCPRIM_400000_NS6detail17trampoline_kernelINS0_14default_configENS1_35radix_sort_onesweep_config_selectorIaNS0_10empty_typeEEEZNS1_34radix_sort_onesweep_global_offsetsIS3_Lb0EPaPS5_mNS0_19identity_decomposerEEE10hipError_tT1_T2_PT3_SE_jT4_jjP12ihipStream_tbEUlT_E_NS1_11comp_targetILNS1_3genE5ELNS1_11target_archE942ELNS1_3gpuE9ELNS1_3repE0EEENS1_52radix_sort_onesweep_histogram_config_static_selectorELNS0_4arch9wavefront6targetE1EEEvSC_
		.amdhsa_group_segment_fixed_size 0
		.amdhsa_private_segment_fixed_size 0
		.amdhsa_kernarg_size 48
		.amdhsa_user_sgpr_count 6
		.amdhsa_user_sgpr_private_segment_buffer 1
		.amdhsa_user_sgpr_dispatch_ptr 0
		.amdhsa_user_sgpr_queue_ptr 0
		.amdhsa_user_sgpr_kernarg_segment_ptr 1
		.amdhsa_user_sgpr_dispatch_id 0
		.amdhsa_user_sgpr_flat_scratch_init 0
		.amdhsa_user_sgpr_kernarg_preload_length 0
		.amdhsa_user_sgpr_kernarg_preload_offset 0
		.amdhsa_user_sgpr_private_segment_size 0
		.amdhsa_uses_dynamic_stack 0
		.amdhsa_system_sgpr_private_segment_wavefront_offset 0
		.amdhsa_system_sgpr_workgroup_id_x 1
		.amdhsa_system_sgpr_workgroup_id_y 0
		.amdhsa_system_sgpr_workgroup_id_z 0
		.amdhsa_system_sgpr_workgroup_info 0
		.amdhsa_system_vgpr_workitem_id 0
		.amdhsa_next_free_vgpr 1
		.amdhsa_next_free_sgpr 0
		.amdhsa_accum_offset 4
		.amdhsa_reserve_vcc 0
		.amdhsa_reserve_flat_scratch 0
		.amdhsa_float_round_mode_32 0
		.amdhsa_float_round_mode_16_64 0
		.amdhsa_float_denorm_mode_32 3
		.amdhsa_float_denorm_mode_16_64 3
		.amdhsa_dx10_clamp 1
		.amdhsa_ieee_mode 1
		.amdhsa_fp16_overflow 0
		.amdhsa_tg_split 0
		.amdhsa_exception_fp_ieee_invalid_op 0
		.amdhsa_exception_fp_denorm_src 0
		.amdhsa_exception_fp_ieee_div_zero 0
		.amdhsa_exception_fp_ieee_overflow 0
		.amdhsa_exception_fp_ieee_underflow 0
		.amdhsa_exception_fp_ieee_inexact 0
		.amdhsa_exception_int_div_zero 0
	.end_amdhsa_kernel
	.section	.text._ZN7rocprim17ROCPRIM_400000_NS6detail17trampoline_kernelINS0_14default_configENS1_35radix_sort_onesweep_config_selectorIaNS0_10empty_typeEEEZNS1_34radix_sort_onesweep_global_offsetsIS3_Lb0EPaPS5_mNS0_19identity_decomposerEEE10hipError_tT1_T2_PT3_SE_jT4_jjP12ihipStream_tbEUlT_E_NS1_11comp_targetILNS1_3genE5ELNS1_11target_archE942ELNS1_3gpuE9ELNS1_3repE0EEENS1_52radix_sort_onesweep_histogram_config_static_selectorELNS0_4arch9wavefront6targetE1EEEvSC_,"axG",@progbits,_ZN7rocprim17ROCPRIM_400000_NS6detail17trampoline_kernelINS0_14default_configENS1_35radix_sort_onesweep_config_selectorIaNS0_10empty_typeEEEZNS1_34radix_sort_onesweep_global_offsetsIS3_Lb0EPaPS5_mNS0_19identity_decomposerEEE10hipError_tT1_T2_PT3_SE_jT4_jjP12ihipStream_tbEUlT_E_NS1_11comp_targetILNS1_3genE5ELNS1_11target_archE942ELNS1_3gpuE9ELNS1_3repE0EEENS1_52radix_sort_onesweep_histogram_config_static_selectorELNS0_4arch9wavefront6targetE1EEEvSC_,comdat
.Lfunc_end194:
	.size	_ZN7rocprim17ROCPRIM_400000_NS6detail17trampoline_kernelINS0_14default_configENS1_35radix_sort_onesweep_config_selectorIaNS0_10empty_typeEEEZNS1_34radix_sort_onesweep_global_offsetsIS3_Lb0EPaPS5_mNS0_19identity_decomposerEEE10hipError_tT1_T2_PT3_SE_jT4_jjP12ihipStream_tbEUlT_E_NS1_11comp_targetILNS1_3genE5ELNS1_11target_archE942ELNS1_3gpuE9ELNS1_3repE0EEENS1_52radix_sort_onesweep_histogram_config_static_selectorELNS0_4arch9wavefront6targetE1EEEvSC_, .Lfunc_end194-_ZN7rocprim17ROCPRIM_400000_NS6detail17trampoline_kernelINS0_14default_configENS1_35radix_sort_onesweep_config_selectorIaNS0_10empty_typeEEEZNS1_34radix_sort_onesweep_global_offsetsIS3_Lb0EPaPS5_mNS0_19identity_decomposerEEE10hipError_tT1_T2_PT3_SE_jT4_jjP12ihipStream_tbEUlT_E_NS1_11comp_targetILNS1_3genE5ELNS1_11target_archE942ELNS1_3gpuE9ELNS1_3repE0EEENS1_52radix_sort_onesweep_histogram_config_static_selectorELNS0_4arch9wavefront6targetE1EEEvSC_
                                        ; -- End function
	.section	.AMDGPU.csdata,"",@progbits
; Kernel info:
; codeLenInByte = 0
; NumSgprs: 4
; NumVgprs: 0
; NumAgprs: 0
; TotalNumVgprs: 0
; ScratchSize: 0
; MemoryBound: 0
; FloatMode: 240
; IeeeMode: 1
; LDSByteSize: 0 bytes/workgroup (compile time only)
; SGPRBlocks: 0
; VGPRBlocks: 0
; NumSGPRsForWavesPerEU: 4
; NumVGPRsForWavesPerEU: 1
; AccumOffset: 4
; Occupancy: 8
; WaveLimiterHint : 0
; COMPUTE_PGM_RSRC2:SCRATCH_EN: 0
; COMPUTE_PGM_RSRC2:USER_SGPR: 6
; COMPUTE_PGM_RSRC2:TRAP_HANDLER: 0
; COMPUTE_PGM_RSRC2:TGID_X_EN: 1
; COMPUTE_PGM_RSRC2:TGID_Y_EN: 0
; COMPUTE_PGM_RSRC2:TGID_Z_EN: 0
; COMPUTE_PGM_RSRC2:TIDIG_COMP_CNT: 0
; COMPUTE_PGM_RSRC3_GFX90A:ACCUM_OFFSET: 0
; COMPUTE_PGM_RSRC3_GFX90A:TG_SPLIT: 0
	.section	.text._ZN7rocprim17ROCPRIM_400000_NS6detail17trampoline_kernelINS0_14default_configENS1_35radix_sort_onesweep_config_selectorIaNS0_10empty_typeEEEZNS1_34radix_sort_onesweep_global_offsetsIS3_Lb0EPaPS5_mNS0_19identity_decomposerEEE10hipError_tT1_T2_PT3_SE_jT4_jjP12ihipStream_tbEUlT_E_NS1_11comp_targetILNS1_3genE2ELNS1_11target_archE906ELNS1_3gpuE6ELNS1_3repE0EEENS1_52radix_sort_onesweep_histogram_config_static_selectorELNS0_4arch9wavefront6targetE1EEEvSC_,"axG",@progbits,_ZN7rocprim17ROCPRIM_400000_NS6detail17trampoline_kernelINS0_14default_configENS1_35radix_sort_onesweep_config_selectorIaNS0_10empty_typeEEEZNS1_34radix_sort_onesweep_global_offsetsIS3_Lb0EPaPS5_mNS0_19identity_decomposerEEE10hipError_tT1_T2_PT3_SE_jT4_jjP12ihipStream_tbEUlT_E_NS1_11comp_targetILNS1_3genE2ELNS1_11target_archE906ELNS1_3gpuE6ELNS1_3repE0EEENS1_52radix_sort_onesweep_histogram_config_static_selectorELNS0_4arch9wavefront6targetE1EEEvSC_,comdat
	.protected	_ZN7rocprim17ROCPRIM_400000_NS6detail17trampoline_kernelINS0_14default_configENS1_35radix_sort_onesweep_config_selectorIaNS0_10empty_typeEEEZNS1_34radix_sort_onesweep_global_offsetsIS3_Lb0EPaPS5_mNS0_19identity_decomposerEEE10hipError_tT1_T2_PT3_SE_jT4_jjP12ihipStream_tbEUlT_E_NS1_11comp_targetILNS1_3genE2ELNS1_11target_archE906ELNS1_3gpuE6ELNS1_3repE0EEENS1_52radix_sort_onesweep_histogram_config_static_selectorELNS0_4arch9wavefront6targetE1EEEvSC_ ; -- Begin function _ZN7rocprim17ROCPRIM_400000_NS6detail17trampoline_kernelINS0_14default_configENS1_35radix_sort_onesweep_config_selectorIaNS0_10empty_typeEEEZNS1_34radix_sort_onesweep_global_offsetsIS3_Lb0EPaPS5_mNS0_19identity_decomposerEEE10hipError_tT1_T2_PT3_SE_jT4_jjP12ihipStream_tbEUlT_E_NS1_11comp_targetILNS1_3genE2ELNS1_11target_archE906ELNS1_3gpuE6ELNS1_3repE0EEENS1_52radix_sort_onesweep_histogram_config_static_selectorELNS0_4arch9wavefront6targetE1EEEvSC_
	.globl	_ZN7rocprim17ROCPRIM_400000_NS6detail17trampoline_kernelINS0_14default_configENS1_35radix_sort_onesweep_config_selectorIaNS0_10empty_typeEEEZNS1_34radix_sort_onesweep_global_offsetsIS3_Lb0EPaPS5_mNS0_19identity_decomposerEEE10hipError_tT1_T2_PT3_SE_jT4_jjP12ihipStream_tbEUlT_E_NS1_11comp_targetILNS1_3genE2ELNS1_11target_archE906ELNS1_3gpuE6ELNS1_3repE0EEENS1_52radix_sort_onesweep_histogram_config_static_selectorELNS0_4arch9wavefront6targetE1EEEvSC_
	.p2align	8
	.type	_ZN7rocprim17ROCPRIM_400000_NS6detail17trampoline_kernelINS0_14default_configENS1_35radix_sort_onesweep_config_selectorIaNS0_10empty_typeEEEZNS1_34radix_sort_onesweep_global_offsetsIS3_Lb0EPaPS5_mNS0_19identity_decomposerEEE10hipError_tT1_T2_PT3_SE_jT4_jjP12ihipStream_tbEUlT_E_NS1_11comp_targetILNS1_3genE2ELNS1_11target_archE906ELNS1_3gpuE6ELNS1_3repE0EEENS1_52radix_sort_onesweep_histogram_config_static_selectorELNS0_4arch9wavefront6targetE1EEEvSC_,@function
_ZN7rocprim17ROCPRIM_400000_NS6detail17trampoline_kernelINS0_14default_configENS1_35radix_sort_onesweep_config_selectorIaNS0_10empty_typeEEEZNS1_34radix_sort_onesweep_global_offsetsIS3_Lb0EPaPS5_mNS0_19identity_decomposerEEE10hipError_tT1_T2_PT3_SE_jT4_jjP12ihipStream_tbEUlT_E_NS1_11comp_targetILNS1_3genE2ELNS1_11target_archE906ELNS1_3gpuE6ELNS1_3repE0EEENS1_52radix_sort_onesweep_histogram_config_static_selectorELNS0_4arch9wavefront6targetE1EEEvSC_: ; @_ZN7rocprim17ROCPRIM_400000_NS6detail17trampoline_kernelINS0_14default_configENS1_35radix_sort_onesweep_config_selectorIaNS0_10empty_typeEEEZNS1_34radix_sort_onesweep_global_offsetsIS3_Lb0EPaPS5_mNS0_19identity_decomposerEEE10hipError_tT1_T2_PT3_SE_jT4_jjP12ihipStream_tbEUlT_E_NS1_11comp_targetILNS1_3genE2ELNS1_11target_archE906ELNS1_3gpuE6ELNS1_3repE0EEENS1_52radix_sort_onesweep_histogram_config_static_selectorELNS0_4arch9wavefront6targetE1EEEvSC_
; %bb.0:
	.section	.rodata,"a",@progbits
	.p2align	6, 0x0
	.amdhsa_kernel _ZN7rocprim17ROCPRIM_400000_NS6detail17trampoline_kernelINS0_14default_configENS1_35radix_sort_onesweep_config_selectorIaNS0_10empty_typeEEEZNS1_34radix_sort_onesweep_global_offsetsIS3_Lb0EPaPS5_mNS0_19identity_decomposerEEE10hipError_tT1_T2_PT3_SE_jT4_jjP12ihipStream_tbEUlT_E_NS1_11comp_targetILNS1_3genE2ELNS1_11target_archE906ELNS1_3gpuE6ELNS1_3repE0EEENS1_52radix_sort_onesweep_histogram_config_static_selectorELNS0_4arch9wavefront6targetE1EEEvSC_
		.amdhsa_group_segment_fixed_size 0
		.amdhsa_private_segment_fixed_size 0
		.amdhsa_kernarg_size 48
		.amdhsa_user_sgpr_count 6
		.amdhsa_user_sgpr_private_segment_buffer 1
		.amdhsa_user_sgpr_dispatch_ptr 0
		.amdhsa_user_sgpr_queue_ptr 0
		.amdhsa_user_sgpr_kernarg_segment_ptr 1
		.amdhsa_user_sgpr_dispatch_id 0
		.amdhsa_user_sgpr_flat_scratch_init 0
		.amdhsa_user_sgpr_kernarg_preload_length 0
		.amdhsa_user_sgpr_kernarg_preload_offset 0
		.amdhsa_user_sgpr_private_segment_size 0
		.amdhsa_uses_dynamic_stack 0
		.amdhsa_system_sgpr_private_segment_wavefront_offset 0
		.amdhsa_system_sgpr_workgroup_id_x 1
		.amdhsa_system_sgpr_workgroup_id_y 0
		.amdhsa_system_sgpr_workgroup_id_z 0
		.amdhsa_system_sgpr_workgroup_info 0
		.amdhsa_system_vgpr_workitem_id 0
		.amdhsa_next_free_vgpr 1
		.amdhsa_next_free_sgpr 0
		.amdhsa_accum_offset 4
		.amdhsa_reserve_vcc 0
		.amdhsa_reserve_flat_scratch 0
		.amdhsa_float_round_mode_32 0
		.amdhsa_float_round_mode_16_64 0
		.amdhsa_float_denorm_mode_32 3
		.amdhsa_float_denorm_mode_16_64 3
		.amdhsa_dx10_clamp 1
		.amdhsa_ieee_mode 1
		.amdhsa_fp16_overflow 0
		.amdhsa_tg_split 0
		.amdhsa_exception_fp_ieee_invalid_op 0
		.amdhsa_exception_fp_denorm_src 0
		.amdhsa_exception_fp_ieee_div_zero 0
		.amdhsa_exception_fp_ieee_overflow 0
		.amdhsa_exception_fp_ieee_underflow 0
		.amdhsa_exception_fp_ieee_inexact 0
		.amdhsa_exception_int_div_zero 0
	.end_amdhsa_kernel
	.section	.text._ZN7rocprim17ROCPRIM_400000_NS6detail17trampoline_kernelINS0_14default_configENS1_35radix_sort_onesweep_config_selectorIaNS0_10empty_typeEEEZNS1_34radix_sort_onesweep_global_offsetsIS3_Lb0EPaPS5_mNS0_19identity_decomposerEEE10hipError_tT1_T2_PT3_SE_jT4_jjP12ihipStream_tbEUlT_E_NS1_11comp_targetILNS1_3genE2ELNS1_11target_archE906ELNS1_3gpuE6ELNS1_3repE0EEENS1_52radix_sort_onesweep_histogram_config_static_selectorELNS0_4arch9wavefront6targetE1EEEvSC_,"axG",@progbits,_ZN7rocprim17ROCPRIM_400000_NS6detail17trampoline_kernelINS0_14default_configENS1_35radix_sort_onesweep_config_selectorIaNS0_10empty_typeEEEZNS1_34radix_sort_onesweep_global_offsetsIS3_Lb0EPaPS5_mNS0_19identity_decomposerEEE10hipError_tT1_T2_PT3_SE_jT4_jjP12ihipStream_tbEUlT_E_NS1_11comp_targetILNS1_3genE2ELNS1_11target_archE906ELNS1_3gpuE6ELNS1_3repE0EEENS1_52radix_sort_onesweep_histogram_config_static_selectorELNS0_4arch9wavefront6targetE1EEEvSC_,comdat
.Lfunc_end195:
	.size	_ZN7rocprim17ROCPRIM_400000_NS6detail17trampoline_kernelINS0_14default_configENS1_35radix_sort_onesweep_config_selectorIaNS0_10empty_typeEEEZNS1_34radix_sort_onesweep_global_offsetsIS3_Lb0EPaPS5_mNS0_19identity_decomposerEEE10hipError_tT1_T2_PT3_SE_jT4_jjP12ihipStream_tbEUlT_E_NS1_11comp_targetILNS1_3genE2ELNS1_11target_archE906ELNS1_3gpuE6ELNS1_3repE0EEENS1_52radix_sort_onesweep_histogram_config_static_selectorELNS0_4arch9wavefront6targetE1EEEvSC_, .Lfunc_end195-_ZN7rocprim17ROCPRIM_400000_NS6detail17trampoline_kernelINS0_14default_configENS1_35radix_sort_onesweep_config_selectorIaNS0_10empty_typeEEEZNS1_34radix_sort_onesweep_global_offsetsIS3_Lb0EPaPS5_mNS0_19identity_decomposerEEE10hipError_tT1_T2_PT3_SE_jT4_jjP12ihipStream_tbEUlT_E_NS1_11comp_targetILNS1_3genE2ELNS1_11target_archE906ELNS1_3gpuE6ELNS1_3repE0EEENS1_52radix_sort_onesweep_histogram_config_static_selectorELNS0_4arch9wavefront6targetE1EEEvSC_
                                        ; -- End function
	.section	.AMDGPU.csdata,"",@progbits
; Kernel info:
; codeLenInByte = 0
; NumSgprs: 4
; NumVgprs: 0
; NumAgprs: 0
; TotalNumVgprs: 0
; ScratchSize: 0
; MemoryBound: 0
; FloatMode: 240
; IeeeMode: 1
; LDSByteSize: 0 bytes/workgroup (compile time only)
; SGPRBlocks: 0
; VGPRBlocks: 0
; NumSGPRsForWavesPerEU: 4
; NumVGPRsForWavesPerEU: 1
; AccumOffset: 4
; Occupancy: 8
; WaveLimiterHint : 0
; COMPUTE_PGM_RSRC2:SCRATCH_EN: 0
; COMPUTE_PGM_RSRC2:USER_SGPR: 6
; COMPUTE_PGM_RSRC2:TRAP_HANDLER: 0
; COMPUTE_PGM_RSRC2:TGID_X_EN: 1
; COMPUTE_PGM_RSRC2:TGID_Y_EN: 0
; COMPUTE_PGM_RSRC2:TGID_Z_EN: 0
; COMPUTE_PGM_RSRC2:TIDIG_COMP_CNT: 0
; COMPUTE_PGM_RSRC3_GFX90A:ACCUM_OFFSET: 0
; COMPUTE_PGM_RSRC3_GFX90A:TG_SPLIT: 0
	.section	.text._ZN7rocprim17ROCPRIM_400000_NS6detail17trampoline_kernelINS0_14default_configENS1_35radix_sort_onesweep_config_selectorIaNS0_10empty_typeEEEZNS1_34radix_sort_onesweep_global_offsetsIS3_Lb0EPaPS5_mNS0_19identity_decomposerEEE10hipError_tT1_T2_PT3_SE_jT4_jjP12ihipStream_tbEUlT_E_NS1_11comp_targetILNS1_3genE4ELNS1_11target_archE910ELNS1_3gpuE8ELNS1_3repE0EEENS1_52radix_sort_onesweep_histogram_config_static_selectorELNS0_4arch9wavefront6targetE1EEEvSC_,"axG",@progbits,_ZN7rocprim17ROCPRIM_400000_NS6detail17trampoline_kernelINS0_14default_configENS1_35radix_sort_onesweep_config_selectorIaNS0_10empty_typeEEEZNS1_34radix_sort_onesweep_global_offsetsIS3_Lb0EPaPS5_mNS0_19identity_decomposerEEE10hipError_tT1_T2_PT3_SE_jT4_jjP12ihipStream_tbEUlT_E_NS1_11comp_targetILNS1_3genE4ELNS1_11target_archE910ELNS1_3gpuE8ELNS1_3repE0EEENS1_52radix_sort_onesweep_histogram_config_static_selectorELNS0_4arch9wavefront6targetE1EEEvSC_,comdat
	.protected	_ZN7rocprim17ROCPRIM_400000_NS6detail17trampoline_kernelINS0_14default_configENS1_35radix_sort_onesweep_config_selectorIaNS0_10empty_typeEEEZNS1_34radix_sort_onesweep_global_offsetsIS3_Lb0EPaPS5_mNS0_19identity_decomposerEEE10hipError_tT1_T2_PT3_SE_jT4_jjP12ihipStream_tbEUlT_E_NS1_11comp_targetILNS1_3genE4ELNS1_11target_archE910ELNS1_3gpuE8ELNS1_3repE0EEENS1_52radix_sort_onesweep_histogram_config_static_selectorELNS0_4arch9wavefront6targetE1EEEvSC_ ; -- Begin function _ZN7rocprim17ROCPRIM_400000_NS6detail17trampoline_kernelINS0_14default_configENS1_35radix_sort_onesweep_config_selectorIaNS0_10empty_typeEEEZNS1_34radix_sort_onesweep_global_offsetsIS3_Lb0EPaPS5_mNS0_19identity_decomposerEEE10hipError_tT1_T2_PT3_SE_jT4_jjP12ihipStream_tbEUlT_E_NS1_11comp_targetILNS1_3genE4ELNS1_11target_archE910ELNS1_3gpuE8ELNS1_3repE0EEENS1_52radix_sort_onesweep_histogram_config_static_selectorELNS0_4arch9wavefront6targetE1EEEvSC_
	.globl	_ZN7rocprim17ROCPRIM_400000_NS6detail17trampoline_kernelINS0_14default_configENS1_35radix_sort_onesweep_config_selectorIaNS0_10empty_typeEEEZNS1_34radix_sort_onesweep_global_offsetsIS3_Lb0EPaPS5_mNS0_19identity_decomposerEEE10hipError_tT1_T2_PT3_SE_jT4_jjP12ihipStream_tbEUlT_E_NS1_11comp_targetILNS1_3genE4ELNS1_11target_archE910ELNS1_3gpuE8ELNS1_3repE0EEENS1_52radix_sort_onesweep_histogram_config_static_selectorELNS0_4arch9wavefront6targetE1EEEvSC_
	.p2align	8
	.type	_ZN7rocprim17ROCPRIM_400000_NS6detail17trampoline_kernelINS0_14default_configENS1_35radix_sort_onesweep_config_selectorIaNS0_10empty_typeEEEZNS1_34radix_sort_onesweep_global_offsetsIS3_Lb0EPaPS5_mNS0_19identity_decomposerEEE10hipError_tT1_T2_PT3_SE_jT4_jjP12ihipStream_tbEUlT_E_NS1_11comp_targetILNS1_3genE4ELNS1_11target_archE910ELNS1_3gpuE8ELNS1_3repE0EEENS1_52radix_sort_onesweep_histogram_config_static_selectorELNS0_4arch9wavefront6targetE1EEEvSC_,@function
_ZN7rocprim17ROCPRIM_400000_NS6detail17trampoline_kernelINS0_14default_configENS1_35radix_sort_onesweep_config_selectorIaNS0_10empty_typeEEEZNS1_34radix_sort_onesweep_global_offsetsIS3_Lb0EPaPS5_mNS0_19identity_decomposerEEE10hipError_tT1_T2_PT3_SE_jT4_jjP12ihipStream_tbEUlT_E_NS1_11comp_targetILNS1_3genE4ELNS1_11target_archE910ELNS1_3gpuE8ELNS1_3repE0EEENS1_52radix_sort_onesweep_histogram_config_static_selectorELNS0_4arch9wavefront6targetE1EEEvSC_: ; @_ZN7rocprim17ROCPRIM_400000_NS6detail17trampoline_kernelINS0_14default_configENS1_35radix_sort_onesweep_config_selectorIaNS0_10empty_typeEEEZNS1_34radix_sort_onesweep_global_offsetsIS3_Lb0EPaPS5_mNS0_19identity_decomposerEEE10hipError_tT1_T2_PT3_SE_jT4_jjP12ihipStream_tbEUlT_E_NS1_11comp_targetILNS1_3genE4ELNS1_11target_archE910ELNS1_3gpuE8ELNS1_3repE0EEENS1_52radix_sort_onesweep_histogram_config_static_selectorELNS0_4arch9wavefront6targetE1EEEvSC_
; %bb.0:
	s_load_dwordx4 s[8:11], s[4:5], 0x0
	s_load_dwordx2 s[0:1], s[4:5], 0x18
	s_load_dwordx2 s[12:13], s[4:5], 0x24
	v_mov_b32_e32 v2, s6
	v_mov_b32_e32 v3, 0
	s_mul_hi_u32 s3, s6, 0x2c00
	s_mulk_i32 s6, 0x2c00
	s_waitcnt lgkmcnt(0)
	v_cmp_le_u64_e32 vcc, s[0:1], v[2:3]
	s_add_u32 s2, s8, s6
	s_addc_u32 s3, s9, s3
	v_and_b32_e32 v1, 3, v0
	s_mov_b64 s[6:7], -1
	s_cbranch_vccz .LBB196_207
; %bb.1:
	s_load_dword s14, s[4:5], 0x10
	s_mulk_i32 s0, 0xd400
                                        ; implicit-def: $vgpr44
	s_waitcnt lgkmcnt(0)
	s_add_i32 s14, s14, s0
	v_cmp_gt_u32_e32 vcc, s14, v0
	s_and_saveexec_b64 s[0:1], vcc
	s_cbranch_execz .LBB196_3
; %bb.2:
	global_load_ubyte v44, v0, s[2:3]
.LBB196_3:
	s_or_b64 exec, exec, s[0:1]
	v_or_b32_e32 v42, 0x200, v0
	v_cmp_gt_u32_e32 vcc, s14, v42
                                        ; implicit-def: $vgpr43
	s_and_saveexec_b64 s[0:1], vcc
	s_cbranch_execz .LBB196_5
; %bb.4:
	global_load_ubyte v43, v0, s[2:3] offset:512
.LBB196_5:
	s_or_b64 exec, exec, s[0:1]
	v_or_b32_e32 v40, 0x400, v0
	v_cmp_gt_u32_e32 vcc, s14, v40
                                        ; implicit-def: $vgpr41
	s_and_saveexec_b64 s[0:1], vcc
	s_cbranch_execz .LBB196_7
; %bb.6:
	global_load_ubyte v41, v0, s[2:3] offset:1024
.LBB196_7:
	s_or_b64 exec, exec, s[0:1]
	v_or_b32_e32 v38, 0x600, v0
	v_cmp_gt_u32_e32 vcc, s14, v38
                                        ; implicit-def: $vgpr39
	s_and_saveexec_b64 s[0:1], vcc
	s_cbranch_execz .LBB196_9
; %bb.8:
	global_load_ubyte v39, v0, s[2:3] offset:1536
.LBB196_9:
	s_or_b64 exec, exec, s[0:1]
	v_or_b32_e32 v36, 0x800, v0
	v_cmp_gt_u32_e32 vcc, s14, v36
                                        ; implicit-def: $vgpr37
	s_and_saveexec_b64 s[0:1], vcc
	s_cbranch_execz .LBB196_11
; %bb.10:
	global_load_ubyte v37, v0, s[2:3] offset:2048
.LBB196_11:
	s_or_b64 exec, exec, s[0:1]
	v_or_b32_e32 v34, 0xa00, v0
	v_cmp_gt_u32_e32 vcc, s14, v34
                                        ; implicit-def: $vgpr35
	s_and_saveexec_b64 s[0:1], vcc
	s_cbranch_execz .LBB196_13
; %bb.12:
	global_load_ubyte v35, v0, s[2:3] offset:2560
.LBB196_13:
	s_or_b64 exec, exec, s[0:1]
	v_or_b32_e32 v32, 0xc00, v0
	v_cmp_gt_u32_e32 vcc, s14, v32
                                        ; implicit-def: $vgpr33
	s_and_saveexec_b64 s[0:1], vcc
	s_cbranch_execz .LBB196_15
; %bb.14:
	global_load_ubyte v33, v0, s[2:3] offset:3072
.LBB196_15:
	s_or_b64 exec, exec, s[0:1]
	v_or_b32_e32 v30, 0xe00, v0
	v_cmp_gt_u32_e32 vcc, s14, v30
                                        ; implicit-def: $vgpr31
	s_and_saveexec_b64 s[0:1], vcc
	s_cbranch_execz .LBB196_17
; %bb.16:
	global_load_ubyte v31, v0, s[2:3] offset:3584
.LBB196_17:
	s_or_b64 exec, exec, s[0:1]
	v_or_b32_e32 v28, 0x1000, v0
	v_cmp_gt_u32_e32 vcc, s14, v28
                                        ; implicit-def: $vgpr29
	s_and_saveexec_b64 s[0:1], vcc
	s_cbranch_execz .LBB196_19
; %bb.18:
	global_load_ubyte v29, v28, s[2:3]
.LBB196_19:
	s_or_b64 exec, exec, s[0:1]
	v_or_b32_e32 v26, 0x1200, v0
	v_cmp_gt_u32_e32 vcc, s14, v26
                                        ; implicit-def: $vgpr27
	s_and_saveexec_b64 s[0:1], vcc
	s_cbranch_execz .LBB196_21
; %bb.20:
	global_load_ubyte v27, v26, s[2:3]
.LBB196_21:
	s_or_b64 exec, exec, s[0:1]
	v_or_b32_e32 v24, 0x1400, v0
	v_cmp_gt_u32_e32 vcc, s14, v24
                                        ; implicit-def: $vgpr25
	s_and_saveexec_b64 s[0:1], vcc
	s_cbranch_execz .LBB196_23
; %bb.22:
	global_load_ubyte v25, v24, s[2:3]
.LBB196_23:
	s_or_b64 exec, exec, s[0:1]
	v_or_b32_e32 v22, 0x1600, v0
	v_cmp_gt_u32_e32 vcc, s14, v22
                                        ; implicit-def: $vgpr23
	s_and_saveexec_b64 s[0:1], vcc
	s_cbranch_execz .LBB196_25
; %bb.24:
	global_load_ubyte v23, v22, s[2:3]
.LBB196_25:
	s_or_b64 exec, exec, s[0:1]
	v_or_b32_e32 v20, 0x1800, v0
	v_cmp_gt_u32_e32 vcc, s14, v20
                                        ; implicit-def: $vgpr21
	s_and_saveexec_b64 s[0:1], vcc
	s_cbranch_execz .LBB196_27
; %bb.26:
	global_load_ubyte v21, v20, s[2:3]
.LBB196_27:
	s_or_b64 exec, exec, s[0:1]
	v_or_b32_e32 v18, 0x1a00, v0
	v_cmp_gt_u32_e32 vcc, s14, v18
                                        ; implicit-def: $vgpr19
	s_and_saveexec_b64 s[0:1], vcc
	s_cbranch_execz .LBB196_29
; %bb.28:
	global_load_ubyte v19, v18, s[2:3]
.LBB196_29:
	s_or_b64 exec, exec, s[0:1]
	v_or_b32_e32 v16, 0x1c00, v0
	v_cmp_gt_u32_e32 vcc, s14, v16
                                        ; implicit-def: $vgpr17
	s_and_saveexec_b64 s[0:1], vcc
	s_cbranch_execz .LBB196_31
; %bb.30:
	global_load_ubyte v17, v16, s[2:3]
.LBB196_31:
	s_or_b64 exec, exec, s[0:1]
	v_or_b32_e32 v14, 0x1e00, v0
	v_cmp_gt_u32_e32 vcc, s14, v14
                                        ; implicit-def: $vgpr15
	s_and_saveexec_b64 s[0:1], vcc
	s_cbranch_execz .LBB196_33
; %bb.32:
	global_load_ubyte v15, v14, s[2:3]
.LBB196_33:
	s_or_b64 exec, exec, s[0:1]
	v_or_b32_e32 v12, 0x2000, v0
	v_cmp_gt_u32_e32 vcc, s14, v12
                                        ; implicit-def: $vgpr13
	s_and_saveexec_b64 s[0:1], vcc
	s_cbranch_execz .LBB196_35
; %bb.34:
	global_load_ubyte v13, v12, s[2:3]
.LBB196_35:
	s_or_b64 exec, exec, s[0:1]
	v_or_b32_e32 v10, 0x2200, v0
	v_cmp_gt_u32_e32 vcc, s14, v10
                                        ; implicit-def: $vgpr11
	s_and_saveexec_b64 s[0:1], vcc
	s_cbranch_execz .LBB196_37
; %bb.36:
	global_load_ubyte v11, v10, s[2:3]
.LBB196_37:
	s_or_b64 exec, exec, s[0:1]
	v_or_b32_e32 v8, 0x2400, v0
	v_cmp_gt_u32_e32 vcc, s14, v8
                                        ; implicit-def: $vgpr9
	s_and_saveexec_b64 s[0:1], vcc
	s_cbranch_execz .LBB196_39
; %bb.38:
	global_load_ubyte v9, v8, s[2:3]
.LBB196_39:
	s_or_b64 exec, exec, s[0:1]
	v_or_b32_e32 v6, 0x2600, v0
	v_cmp_gt_u32_e32 vcc, s14, v6
                                        ; implicit-def: $vgpr7
	s_and_saveexec_b64 s[0:1], vcc
	s_cbranch_execz .LBB196_41
; %bb.40:
	global_load_ubyte v7, v6, s[2:3]
.LBB196_41:
	s_or_b64 exec, exec, s[0:1]
	v_or_b32_e32 v4, 0x2800, v0
	v_cmp_gt_u32_e32 vcc, s14, v4
                                        ; implicit-def: $vgpr5
	s_and_saveexec_b64 s[0:1], vcc
	s_cbranch_execz .LBB196_43
; %bb.42:
	global_load_ubyte v5, v4, s[2:3]
.LBB196_43:
	s_or_b64 exec, exec, s[0:1]
	v_or_b32_e32 v2, 0x2a00, v0
	v_cmp_gt_u32_e32 vcc, s14, v2
                                        ; implicit-def: $vgpr3
	s_and_saveexec_b64 s[0:1], vcc
	s_cbranch_execz .LBB196_45
; %bb.44:
	global_load_ubyte v3, v2, s[2:3]
.LBB196_45:
	s_or_b64 exec, exec, s[0:1]
	s_movk_i32 s0, 0x80
	v_cmp_gt_u32_e32 vcc, s0, v0
	s_and_saveexec_b64 s[0:1], vcc
	s_cbranch_execz .LBB196_47
; %bb.46:
	v_lshlrev_b32_e32 v45, 2, v0
	v_mov_b32_e32 v46, 0
	ds_write_b32 v45, v46
.LBB196_47:
	s_or_b64 exec, exec, s[0:1]
	s_cmp_le_u32 s13, s12
	s_cselect_b64 s[4:5], -1, 0
	v_cmp_le_u32_e32 vcc, s14, v0
	s_and_b64 s[0:1], s[4:5], exec
	s_cselect_b32 s15, 8, 10
	s_or_b64 s[0:1], s[4:5], vcc
	s_waitcnt vmcnt(0)
	v_xor_b32_e32 v44, 0xffffff80, v44
	s_xor_b64 s[6:7], s[0:1], -1
	v_mov_b32_e32 v45, s15
	s_waitcnt lgkmcnt(0)
	s_barrier
	s_and_saveexec_b64 s[0:1], s[6:7]
	s_cbranch_execz .LBB196_49
; %bb.48:
	s_sub_i32 s6, s13, s12
	s_min_u32 s6, s6, 4
	v_lshrrev_b32_sdwa v45, s12, v44 dst_sel:DWORD dst_unused:UNUSED_PAD src0_sel:DWORD src1_sel:BYTE_0
	v_bfe_u32 v45, v45, 0, s6
	v_lshlrev_b32_e32 v46, 2, v1
	v_lshl_or_b32 v45, v45, 4, v46
	v_mov_b32_e32 v46, 1
	ds_add_u32 v45, v46
	v_mov_b32_e32 v45, 0
.LBB196_49:
	s_or_b64 exec, exec, s[0:1]
	v_cmp_gt_i32_e64 s[0:1], 10, v45
	s_mov_b64 s[6:7], -1
	s_and_saveexec_b64 s[8:9], s[0:1]
; %bb.50:
	v_cmp_eq_u32_e64 s[0:1], 0, v45
	s_orn2_b64 s[6:7], s[0:1], exec
; %bb.51:
	s_or_b64 exec, exec, s[8:9]
	s_and_saveexec_b64 s[0:1], s[6:7]
	s_cbranch_execz .LBB196_54
; %bb.52:
	s_add_i32 s6, s12, 4
	s_cmp_gt_u32 s13, s6
	s_cselect_b64 s[8:9], -1, 0
	s_xor_b64 s[16:17], vcc, -1
	s_and_b64 s[8:9], s[8:9], s[16:17]
	s_and_b64 exec, exec, s[8:9]
	s_cbranch_execz .LBB196_54
; %bb.53:
	s_sub_i32 s7, s13, s6
	s_min_u32 s7, s7, 4
	v_lshrrev_b32_sdwa v44, s6, v44 dst_sel:DWORD dst_unused:UNUSED_PAD src0_sel:DWORD src1_sel:BYTE_0
	v_bfe_u32 v44, v44, 0, s7
	v_lshlrev_b32_e32 v45, 2, v1
	v_lshl_or_b32 v44, v44, 4, v45
	v_mov_b32_e32 v45, 1
	ds_add_u32 v44, v45 offset:256
.LBB196_54:
	s_or_b64 exec, exec, s[0:1]
	v_cmp_le_u32_e32 vcc, s14, v42
	s_or_b64 s[0:1], s[4:5], vcc
	v_xor_b32_e32 v43, 0xffffff80, v43
	s_xor_b64 s[6:7], s[0:1], -1
	v_mov_b32_e32 v42, s15
	s_and_saveexec_b64 s[0:1], s[6:7]
	s_cbranch_execz .LBB196_56
; %bb.55:
	s_sub_i32 s6, s13, s12
	s_min_u32 s6, s6, 4
	v_lshrrev_b32_sdwa v42, s12, v43 dst_sel:DWORD dst_unused:UNUSED_PAD src0_sel:DWORD src1_sel:BYTE_0
	v_bfe_u32 v42, v42, 0, s6
	v_lshlrev_b32_e32 v44, 2, v1
	v_lshl_or_b32 v42, v42, 4, v44
	v_mov_b32_e32 v44, 1
	ds_add_u32 v42, v44
	v_mov_b32_e32 v42, 0
.LBB196_56:
	s_or_b64 exec, exec, s[0:1]
	v_cmp_gt_i32_e64 s[0:1], 10, v42
	s_mov_b64 s[6:7], -1
	s_and_saveexec_b64 s[8:9], s[0:1]
; %bb.57:
	v_cmp_eq_u32_e64 s[0:1], 0, v42
	s_orn2_b64 s[6:7], s[0:1], exec
; %bb.58:
	s_or_b64 exec, exec, s[8:9]
	s_and_saveexec_b64 s[0:1], s[6:7]
	s_cbranch_execz .LBB196_61
; %bb.59:
	s_add_i32 s6, s12, 4
	s_cmp_gt_u32 s13, s6
	s_cselect_b64 s[8:9], -1, 0
	s_xor_b64 s[16:17], vcc, -1
	s_and_b64 s[8:9], s[8:9], s[16:17]
	s_and_b64 exec, exec, s[8:9]
	s_cbranch_execz .LBB196_61
; %bb.60:
	s_sub_i32 s7, s13, s6
	s_min_u32 s7, s7, 4
	v_lshrrev_b32_sdwa v42, s6, v43 dst_sel:DWORD dst_unused:UNUSED_PAD src0_sel:DWORD src1_sel:BYTE_0
	v_bfe_u32 v42, v42, 0, s7
	v_lshlrev_b32_e32 v43, 2, v1
	v_lshl_or_b32 v42, v42, 4, v43
	v_mov_b32_e32 v43, 1
	ds_add_u32 v42, v43 offset:256
.LBB196_61:
	s_or_b64 exec, exec, s[0:1]
	v_cmp_le_u32_e32 vcc, s14, v40
	s_or_b64 s[0:1], s[4:5], vcc
	v_xor_b32_e32 v41, 0xffffff80, v41
	s_xor_b64 s[6:7], s[0:1], -1
	v_mov_b32_e32 v40, s15
	;; [unrolled: 48-line block ×21, first 2 shown]
	s_and_saveexec_b64 s[0:1], s[4:5]
	s_cbranch_execz .LBB196_196
; %bb.195:
	s_sub_i32 s4, s13, s12
	s_min_u32 s4, s4, 4
	v_lshrrev_b32_sdwa v2, s12, v3 dst_sel:DWORD dst_unused:UNUSED_PAD src0_sel:DWORD src1_sel:BYTE_0
	v_bfe_u32 v2, v2, 0, s4
	v_lshlrev_b32_e32 v4, 2, v1
	v_lshl_or_b32 v2, v2, 4, v4
	v_mov_b32_e32 v4, 1
	ds_add_u32 v2, v4
	v_mov_b32_e32 v2, 0
.LBB196_196:
	s_or_b64 exec, exec, s[0:1]
	v_cmp_gt_i32_e64 s[0:1], 10, v2
	s_mov_b64 s[4:5], -1
	s_and_saveexec_b64 s[6:7], s[0:1]
; %bb.197:
	v_cmp_eq_u32_e64 s[0:1], 0, v2
	s_orn2_b64 s[4:5], s[0:1], exec
; %bb.198:
	s_or_b64 exec, exec, s[6:7]
	s_and_saveexec_b64 s[0:1], s[4:5]
	s_cbranch_execz .LBB196_201
; %bb.199:
	s_add_i32 s4, s12, 4
	s_cmp_gt_u32 s13, s4
	s_cselect_b64 s[6:7], -1, 0
	s_xor_b64 s[8:9], vcc, -1
	s_and_b64 s[6:7], s[6:7], s[8:9]
	s_and_b64 exec, exec, s[6:7]
	s_cbranch_execz .LBB196_201
; %bb.200:
	s_sub_i32 s5, s13, s4
	s_min_u32 s5, s5, 4
	v_lshrrev_b32_sdwa v2, s4, v3 dst_sel:DWORD dst_unused:UNUSED_PAD src0_sel:DWORD src1_sel:BYTE_0
	v_bfe_u32 v2, v2, 0, s5
	v_lshlrev_b32_e32 v3, 2, v1
	v_lshl_or_b32 v2, v2, 4, v3
	v_mov_b32_e32 v3, 1
	ds_add_u32 v2, v3 offset:256
.LBB196_201:
	s_or_b64 exec, exec, s[0:1]
	s_cmp_gt_u32 s13, s12
	s_waitcnt lgkmcnt(0)
	s_barrier
	s_cbranch_scc0 .LBB196_206
; %bb.202:
	v_cmp_gt_u32_e32 vcc, 16, v0
	v_lshlrev_b32_e32 v4, 4, v0
	v_mov_b32_e32 v3, 0
	v_mov_b32_e32 v2, v0
	s_mov_b32 s6, s12
	s_branch .LBB196_204
.LBB196_203:                            ;   in Loop: Header=BB196_204 Depth=1
	s_or_b64 exec, exec, s[4:5]
	s_add_i32 s6, s6, 4
	v_add_u32_e32 v2, 16, v2
	s_cmp_lt_u32 s6, s13
	v_add_u32_e32 v4, 0x100, v4
	s_cbranch_scc0 .LBB196_206
.LBB196_204:                            ; =>This Inner Loop Header: Depth=1
	s_and_saveexec_b64 s[4:5], vcc
	s_cbranch_execz .LBB196_203
; %bb.205:                              ;   in Loop: Header=BB196_204 Depth=1
	ds_read2_b32 v[6:7], v4 offset1:1
	ds_read2_b32 v[8:9], v4 offset0:2 offset1:3
	v_lshlrev_b64 v[10:11], 3, v[2:3]
	v_mov_b32_e32 v5, s11
	s_waitcnt lgkmcnt(1)
	v_add_u32_e32 v6, v7, v6
	s_waitcnt lgkmcnt(0)
	v_add3_u32 v6, v6, v8, v9
	v_add_co_u32_e64 v8, s[0:1], s10, v10
	v_addc_co_u32_e64 v9, s[0:1], v5, v11, s[0:1]
	v_mov_b32_e32 v7, v3
	global_atomic_add_x2 v[8:9], v[6:7], off
	s_branch .LBB196_203
.LBB196_206:
	s_mov_b64 s[6:7], 0
.LBB196_207:
	s_and_b64 vcc, exec, s[6:7]
	s_cbranch_vccz .LBB196_267
; %bb.208:
	v_mov_b32_e32 v2, s3
	v_add_co_u32_e32 v19, vcc, s2, v0
	v_addc_co_u32_e32 v20, vcc, 0, v2, vcc
	s_movk_i32 s0, 0x1000
	v_add_co_u32_e32 v2, vcc, s0, v19
	v_addc_co_u32_e32 v3, vcc, 0, v20, vcc
	global_load_ubyte v4, v0, s[2:3] offset:512
	global_load_ubyte v5, v0, s[2:3] offset:1024
	;; [unrolled: 1-line block ×7, first 2 shown]
	global_load_ubyte v11, v[2:3], off
	global_load_ubyte v12, v[2:3], off offset:512
	global_load_ubyte v13, v[2:3], off offset:1024
	;; [unrolled: 1-line block ×7, first 2 shown]
	v_add_co_u32_e32 v2, vcc, 0x2000, v19
	v_addc_co_u32_e32 v3, vcc, 0, v20, vcc
	global_load_ubyte v19, v[2:3], off
	global_load_ubyte v20, v[2:3], off offset:512
	global_load_ubyte v21, v[2:3], off offset:1024
	;; [unrolled: 1-line block ×4, first 2 shown]
	global_load_ubyte v25, v0, s[2:3]
	global_load_ubyte v24, v[2:3], off offset:2560
	s_cmp_lg_u32 s12, 0
	s_cselect_b64 s[0:1], -1, 0
	s_cmp_lg_u32 s13, 8
	s_cselect_b64 s[2:3], -1, 0
	s_or_b64 s[4:5], s[0:1], s[2:3]
	s_movk_i32 s0, 0x80
	v_cmp_gt_u32_e64 s[0:1], s0, v0
	s_mov_b64 s[2:3], -1
	s_and_b64 vcc, exec, s[4:5]
	s_cbranch_vccz .LBB196_262
; %bb.209:
	s_and_saveexec_b64 s[2:3], s[0:1]
	s_cbranch_execz .LBB196_211
; %bb.210:
	v_lshlrev_b32_e32 v2, 2, v0
	v_mov_b32_e32 v3, 0
	ds_write_b32 v2, v3
.LBB196_211:
	s_or_b64 exec, exec, s[2:3]
	s_cmp_gt_u32 s13, s12
	s_cselect_b64 s[4:5], -1, 0
	s_and_b64 vcc, exec, s[4:5]
	s_waitcnt lgkmcnt(0)
	s_barrier
	s_cbranch_vccz .LBB196_256
; %bb.212:
	s_sub_i32 s2, s13, s12
	s_min_u32 s2, s2, 4
	s_waitcnt vmcnt(1)
	v_xor_b32_e32 v26, 0x80, v25
	s_lshl_b32 s2, -1, s2
	s_not_b32 s9, s2
	v_lshrrev_b32_sdwa v2, s12, v26 dst_sel:DWORD dst_unused:UNUSED_PAD src0_sel:DWORD src1_sel:BYTE_0
	v_and_b32_e32 v3, s9, v2
	v_lshlrev_b32_e32 v2, 2, v1
	v_lshl_or_b32 v27, v3, 4, v2
	v_mov_b32_e32 v3, 1
	ds_add_u32 v27, v3
	s_add_i32 s8, s12, 4
	s_cmp_gt_u32 s13, s8
	s_cselect_b64 s[6:7], -1, 0
	s_cmp_le_u32 s13, s8
	s_cbranch_scc1 .LBB196_214
; %bb.213:
	s_sub_i32 s2, s13, s8
	s_min_u32 s2, s2, 4
	v_lshrrev_b32_sdwa v26, s8, v26 dst_sel:DWORD dst_unused:UNUSED_PAD src0_sel:DWORD src1_sel:BYTE_0
	v_bfe_u32 v26, v26, 0, s2
	v_lshl_or_b32 v26, v26, 4, v2
	ds_add_u32 v26, v3 offset:256
.LBB196_214:
	v_xor_b32_e32 v26, 0x80, v4
	v_lshrrev_b32_sdwa v27, s12, v26 dst_sel:DWORD dst_unused:UNUSED_PAD src0_sel:DWORD src1_sel:BYTE_0
	v_and_b32_e32 v27, s9, v27
	v_lshl_or_b32 v27, v27, 4, v2
	ds_add_u32 v27, v3
	v_cndmask_b32_e64 v3, 0, 1, s[6:7]
	v_cmp_ne_u32_e64 s[2:3], 1, v3
	s_andn2_b64 vcc, exec, s[6:7]
	s_cbranch_vccnz .LBB196_216
; %bb.215:
	s_sub_i32 s6, s13, s8
	s_min_u32 s6, s6, 4
	v_lshrrev_b32_sdwa v3, s8, v26 dst_sel:DWORD dst_unused:UNUSED_PAD src0_sel:DWORD src1_sel:BYTE_0
	v_bfe_u32 v3, v3, 0, s6
	v_lshl_or_b32 v3, v3, 4, v2
	v_mov_b32_e32 v26, 1
	ds_add_u32 v3, v26 offset:256
.LBB196_216:
	v_xor_b32_e32 v26, 0x80, v5
	v_lshrrev_b32_sdwa v3, s12, v26 dst_sel:DWORD dst_unused:UNUSED_PAD src0_sel:DWORD src1_sel:BYTE_0
	v_and_b32_e32 v3, s9, v3
	v_lshl_or_b32 v27, v3, 4, v2
	v_mov_b32_e32 v3, 1
	ds_add_u32 v27, v3
	s_and_b64 vcc, exec, s[2:3]
	s_cbranch_vccnz .LBB196_218
; %bb.217:
	s_sub_i32 s6, s13, s8
	s_min_u32 s6, s6, 4
	v_lshrrev_b32_sdwa v26, s8, v26 dst_sel:DWORD dst_unused:UNUSED_PAD src0_sel:DWORD src1_sel:BYTE_0
	v_bfe_u32 v26, v26, 0, s6
	v_lshl_or_b32 v26, v26, 4, v2
	ds_add_u32 v26, v3 offset:256
.LBB196_218:
	v_xor_b32_e32 v26, 0x80, v6
	v_lshrrev_b32_sdwa v27, s12, v26 dst_sel:DWORD dst_unused:UNUSED_PAD src0_sel:DWORD src1_sel:BYTE_0
	v_and_b32_e32 v27, s9, v27
	v_lshl_or_b32 v27, v27, 4, v2
	ds_add_u32 v27, v3
	s_and_b64 vcc, exec, s[2:3]
	s_cbranch_vccnz .LBB196_220
; %bb.219:
	s_sub_i32 s6, s13, s8
	s_min_u32 s6, s6, 4
	v_lshrrev_b32_sdwa v3, s8, v26 dst_sel:DWORD dst_unused:UNUSED_PAD src0_sel:DWORD src1_sel:BYTE_0
	v_bfe_u32 v3, v3, 0, s6
	v_lshl_or_b32 v3, v3, 4, v2
	v_mov_b32_e32 v26, 1
	ds_add_u32 v3, v26 offset:256
.LBB196_220:
	v_xor_b32_e32 v26, 0x80, v7
	v_lshrrev_b32_sdwa v3, s12, v26 dst_sel:DWORD dst_unused:UNUSED_PAD src0_sel:DWORD src1_sel:BYTE_0
	v_and_b32_e32 v3, s9, v3
	v_lshl_or_b32 v27, v3, 4, v2
	v_mov_b32_e32 v3, 1
	ds_add_u32 v27, v3
	s_and_b64 vcc, exec, s[2:3]
	s_cbranch_vccnz .LBB196_222
; %bb.221:
	s_sub_i32 s6, s13, s8
	s_min_u32 s6, s6, 4
	v_lshrrev_b32_sdwa v26, s8, v26 dst_sel:DWORD dst_unused:UNUSED_PAD src0_sel:DWORD src1_sel:BYTE_0
	v_bfe_u32 v26, v26, 0, s6
	v_lshl_or_b32 v26, v26, 4, v2
	ds_add_u32 v26, v3 offset:256
.LBB196_222:
	v_xor_b32_e32 v26, 0x80, v8
	v_lshrrev_b32_sdwa v27, s12, v26 dst_sel:DWORD dst_unused:UNUSED_PAD src0_sel:DWORD src1_sel:BYTE_0
	v_and_b32_e32 v27, s9, v27
	v_lshl_or_b32 v27, v27, 4, v2
	ds_add_u32 v27, v3
	s_and_b64 vcc, exec, s[2:3]
	s_cbranch_vccnz .LBB196_224
; %bb.223:
	s_sub_i32 s6, s13, s8
	s_min_u32 s6, s6, 4
	v_lshrrev_b32_sdwa v3, s8, v26 dst_sel:DWORD dst_unused:UNUSED_PAD src0_sel:DWORD src1_sel:BYTE_0
	v_bfe_u32 v3, v3, 0, s6
	v_lshl_or_b32 v3, v3, 4, v2
	v_mov_b32_e32 v26, 1
	ds_add_u32 v3, v26 offset:256
.LBB196_224:
	v_xor_b32_e32 v26, 0x80, v9
	v_lshrrev_b32_sdwa v3, s12, v26 dst_sel:DWORD dst_unused:UNUSED_PAD src0_sel:DWORD src1_sel:BYTE_0
	v_and_b32_e32 v3, s9, v3
	v_lshl_or_b32 v27, v3, 4, v2
	v_mov_b32_e32 v3, 1
	ds_add_u32 v27, v3
	s_and_b64 vcc, exec, s[2:3]
	s_cbranch_vccnz .LBB196_226
; %bb.225:
	s_sub_i32 s6, s13, s8
	s_min_u32 s6, s6, 4
	v_lshrrev_b32_sdwa v26, s8, v26 dst_sel:DWORD dst_unused:UNUSED_PAD src0_sel:DWORD src1_sel:BYTE_0
	v_bfe_u32 v26, v26, 0, s6
	v_lshl_or_b32 v26, v26, 4, v2
	ds_add_u32 v26, v3 offset:256
.LBB196_226:
	v_xor_b32_e32 v26, 0x80, v10
	v_lshrrev_b32_sdwa v27, s12, v26 dst_sel:DWORD dst_unused:UNUSED_PAD src0_sel:DWORD src1_sel:BYTE_0
	v_and_b32_e32 v27, s9, v27
	v_lshl_or_b32 v27, v27, 4, v2
	ds_add_u32 v27, v3
	s_and_b64 vcc, exec, s[2:3]
	s_cbranch_vccnz .LBB196_228
; %bb.227:
	s_sub_i32 s6, s13, s8
	s_min_u32 s6, s6, 4
	v_lshrrev_b32_sdwa v3, s8, v26 dst_sel:DWORD dst_unused:UNUSED_PAD src0_sel:DWORD src1_sel:BYTE_0
	v_bfe_u32 v3, v3, 0, s6
	v_lshl_or_b32 v3, v3, 4, v2
	v_mov_b32_e32 v26, 1
	ds_add_u32 v3, v26 offset:256
.LBB196_228:
	v_xor_b32_e32 v26, 0x80, v11
	v_lshrrev_b32_sdwa v3, s12, v26 dst_sel:DWORD dst_unused:UNUSED_PAD src0_sel:DWORD src1_sel:BYTE_0
	v_and_b32_e32 v3, s9, v3
	v_lshl_or_b32 v27, v3, 4, v2
	v_mov_b32_e32 v3, 1
	ds_add_u32 v27, v3
	s_and_b64 vcc, exec, s[2:3]
	s_cbranch_vccnz .LBB196_230
; %bb.229:
	s_sub_i32 s6, s13, s8
	s_min_u32 s6, s6, 4
	v_lshrrev_b32_sdwa v26, s8, v26 dst_sel:DWORD dst_unused:UNUSED_PAD src0_sel:DWORD src1_sel:BYTE_0
	v_bfe_u32 v26, v26, 0, s6
	v_lshl_or_b32 v26, v26, 4, v2
	ds_add_u32 v26, v3 offset:256
.LBB196_230:
	v_xor_b32_e32 v26, 0x80, v12
	v_lshrrev_b32_sdwa v27, s12, v26 dst_sel:DWORD dst_unused:UNUSED_PAD src0_sel:DWORD src1_sel:BYTE_0
	v_and_b32_e32 v27, s9, v27
	v_lshl_or_b32 v27, v27, 4, v2
	ds_add_u32 v27, v3
	s_and_b64 vcc, exec, s[2:3]
	s_cbranch_vccnz .LBB196_232
; %bb.231:
	s_sub_i32 s6, s13, s8
	s_min_u32 s6, s6, 4
	v_lshrrev_b32_sdwa v3, s8, v26 dst_sel:DWORD dst_unused:UNUSED_PAD src0_sel:DWORD src1_sel:BYTE_0
	v_bfe_u32 v3, v3, 0, s6
	v_lshl_or_b32 v3, v3, 4, v2
	v_mov_b32_e32 v26, 1
	ds_add_u32 v3, v26 offset:256
.LBB196_232:
	v_xor_b32_e32 v26, 0x80, v13
	v_lshrrev_b32_sdwa v3, s12, v26 dst_sel:DWORD dst_unused:UNUSED_PAD src0_sel:DWORD src1_sel:BYTE_0
	v_and_b32_e32 v3, s9, v3
	v_lshl_or_b32 v27, v3, 4, v2
	v_mov_b32_e32 v3, 1
	ds_add_u32 v27, v3
	s_and_b64 vcc, exec, s[2:3]
	s_cbranch_vccnz .LBB196_234
; %bb.233:
	s_sub_i32 s6, s13, s8
	s_min_u32 s6, s6, 4
	v_lshrrev_b32_sdwa v26, s8, v26 dst_sel:DWORD dst_unused:UNUSED_PAD src0_sel:DWORD src1_sel:BYTE_0
	v_bfe_u32 v26, v26, 0, s6
	v_lshl_or_b32 v26, v26, 4, v2
	ds_add_u32 v26, v3 offset:256
.LBB196_234:
	v_xor_b32_e32 v26, 0x80, v14
	v_lshrrev_b32_sdwa v27, s12, v26 dst_sel:DWORD dst_unused:UNUSED_PAD src0_sel:DWORD src1_sel:BYTE_0
	v_and_b32_e32 v27, s9, v27
	v_lshl_or_b32 v27, v27, 4, v2
	ds_add_u32 v27, v3
	s_and_b64 vcc, exec, s[2:3]
	s_cbranch_vccnz .LBB196_236
; %bb.235:
	s_sub_i32 s6, s13, s8
	s_min_u32 s6, s6, 4
	v_lshrrev_b32_sdwa v3, s8, v26 dst_sel:DWORD dst_unused:UNUSED_PAD src0_sel:DWORD src1_sel:BYTE_0
	v_bfe_u32 v3, v3, 0, s6
	v_lshl_or_b32 v3, v3, 4, v2
	v_mov_b32_e32 v26, 1
	ds_add_u32 v3, v26 offset:256
.LBB196_236:
	v_xor_b32_e32 v26, 0x80, v15
	v_lshrrev_b32_sdwa v3, s12, v26 dst_sel:DWORD dst_unused:UNUSED_PAD src0_sel:DWORD src1_sel:BYTE_0
	v_and_b32_e32 v3, s9, v3
	v_lshl_or_b32 v27, v3, 4, v2
	v_mov_b32_e32 v3, 1
	ds_add_u32 v27, v3
	s_and_b64 vcc, exec, s[2:3]
	s_cbranch_vccnz .LBB196_238
; %bb.237:
	s_sub_i32 s6, s13, s8
	s_min_u32 s6, s6, 4
	v_lshrrev_b32_sdwa v26, s8, v26 dst_sel:DWORD dst_unused:UNUSED_PAD src0_sel:DWORD src1_sel:BYTE_0
	v_bfe_u32 v26, v26, 0, s6
	v_lshl_or_b32 v26, v26, 4, v2
	ds_add_u32 v26, v3 offset:256
.LBB196_238:
	v_xor_b32_e32 v26, 0x80, v16
	v_lshrrev_b32_sdwa v27, s12, v26 dst_sel:DWORD dst_unused:UNUSED_PAD src0_sel:DWORD src1_sel:BYTE_0
	v_and_b32_e32 v27, s9, v27
	v_lshl_or_b32 v27, v27, 4, v2
	ds_add_u32 v27, v3
	s_and_b64 vcc, exec, s[2:3]
	s_cbranch_vccnz .LBB196_240
; %bb.239:
	s_sub_i32 s6, s13, s8
	s_min_u32 s6, s6, 4
	v_lshrrev_b32_sdwa v3, s8, v26 dst_sel:DWORD dst_unused:UNUSED_PAD src0_sel:DWORD src1_sel:BYTE_0
	v_bfe_u32 v3, v3, 0, s6
	v_lshl_or_b32 v3, v3, 4, v2
	v_mov_b32_e32 v26, 1
	ds_add_u32 v3, v26 offset:256
.LBB196_240:
	v_xor_b32_e32 v26, 0x80, v17
	v_lshrrev_b32_sdwa v3, s12, v26 dst_sel:DWORD dst_unused:UNUSED_PAD src0_sel:DWORD src1_sel:BYTE_0
	v_and_b32_e32 v3, s9, v3
	v_lshl_or_b32 v27, v3, 4, v2
	v_mov_b32_e32 v3, 1
	ds_add_u32 v27, v3
	s_and_b64 vcc, exec, s[2:3]
	s_cbranch_vccnz .LBB196_242
; %bb.241:
	s_sub_i32 s6, s13, s8
	s_min_u32 s6, s6, 4
	v_lshrrev_b32_sdwa v26, s8, v26 dst_sel:DWORD dst_unused:UNUSED_PAD src0_sel:DWORD src1_sel:BYTE_0
	v_bfe_u32 v26, v26, 0, s6
	v_lshl_or_b32 v26, v26, 4, v2
	ds_add_u32 v26, v3 offset:256
.LBB196_242:
	v_xor_b32_e32 v26, 0x80, v18
	v_lshrrev_b32_sdwa v27, s12, v26 dst_sel:DWORD dst_unused:UNUSED_PAD src0_sel:DWORD src1_sel:BYTE_0
	v_and_b32_e32 v27, s9, v27
	v_lshl_or_b32 v27, v27, 4, v2
	ds_add_u32 v27, v3
	s_and_b64 vcc, exec, s[2:3]
	s_cbranch_vccnz .LBB196_244
; %bb.243:
	s_sub_i32 s6, s13, s8
	s_min_u32 s6, s6, 4
	v_lshrrev_b32_sdwa v3, s8, v26 dst_sel:DWORD dst_unused:UNUSED_PAD src0_sel:DWORD src1_sel:BYTE_0
	v_bfe_u32 v3, v3, 0, s6
	v_lshl_or_b32 v3, v3, 4, v2
	v_mov_b32_e32 v26, 1
	ds_add_u32 v3, v26 offset:256
.LBB196_244:
	v_xor_b32_e32 v26, 0x80, v19
	v_lshrrev_b32_sdwa v3, s12, v26 dst_sel:DWORD dst_unused:UNUSED_PAD src0_sel:DWORD src1_sel:BYTE_0
	v_and_b32_e32 v3, s9, v3
	v_lshl_or_b32 v27, v3, 4, v2
	v_mov_b32_e32 v3, 1
	ds_add_u32 v27, v3
	s_and_b64 vcc, exec, s[2:3]
	s_cbranch_vccnz .LBB196_246
; %bb.245:
	s_sub_i32 s6, s13, s8
	s_min_u32 s6, s6, 4
	v_lshrrev_b32_sdwa v26, s8, v26 dst_sel:DWORD dst_unused:UNUSED_PAD src0_sel:DWORD src1_sel:BYTE_0
	v_bfe_u32 v26, v26, 0, s6
	v_lshl_or_b32 v26, v26, 4, v2
	ds_add_u32 v26, v3 offset:256
.LBB196_246:
	v_xor_b32_e32 v26, 0x80, v20
	v_lshrrev_b32_sdwa v27, s12, v26 dst_sel:DWORD dst_unused:UNUSED_PAD src0_sel:DWORD src1_sel:BYTE_0
	v_and_b32_e32 v27, s9, v27
	v_lshl_or_b32 v27, v27, 4, v2
	ds_add_u32 v27, v3
	s_and_b64 vcc, exec, s[2:3]
	s_cbranch_vccnz .LBB196_248
; %bb.247:
	s_sub_i32 s6, s13, s8
	s_min_u32 s6, s6, 4
	v_lshrrev_b32_sdwa v3, s8, v26 dst_sel:DWORD dst_unused:UNUSED_PAD src0_sel:DWORD src1_sel:BYTE_0
	v_bfe_u32 v3, v3, 0, s6
	v_lshl_or_b32 v3, v3, 4, v2
	v_mov_b32_e32 v26, 1
	ds_add_u32 v3, v26 offset:256
.LBB196_248:
	v_xor_b32_e32 v26, 0x80, v21
	v_lshrrev_b32_sdwa v3, s12, v26 dst_sel:DWORD dst_unused:UNUSED_PAD src0_sel:DWORD src1_sel:BYTE_0
	v_and_b32_e32 v3, s9, v3
	v_lshl_or_b32 v27, v3, 4, v2
	v_mov_b32_e32 v3, 1
	ds_add_u32 v27, v3
	s_and_b64 vcc, exec, s[2:3]
	s_cbranch_vccnz .LBB196_250
; %bb.249:
	s_sub_i32 s6, s13, s8
	s_min_u32 s6, s6, 4
	v_lshrrev_b32_sdwa v26, s8, v26 dst_sel:DWORD dst_unused:UNUSED_PAD src0_sel:DWORD src1_sel:BYTE_0
	v_bfe_u32 v26, v26, 0, s6
	v_lshl_or_b32 v26, v26, 4, v2
	ds_add_u32 v26, v3 offset:256
.LBB196_250:
	v_xor_b32_e32 v26, 0x80, v22
	v_lshrrev_b32_sdwa v27, s12, v26 dst_sel:DWORD dst_unused:UNUSED_PAD src0_sel:DWORD src1_sel:BYTE_0
	v_and_b32_e32 v27, s9, v27
	v_lshl_or_b32 v27, v27, 4, v2
	ds_add_u32 v27, v3
	s_and_b64 vcc, exec, s[2:3]
	s_cbranch_vccnz .LBB196_252
; %bb.251:
	s_sub_i32 s6, s13, s8
	s_min_u32 s6, s6, 4
	v_lshrrev_b32_sdwa v3, s8, v26 dst_sel:DWORD dst_unused:UNUSED_PAD src0_sel:DWORD src1_sel:BYTE_0
	v_bfe_u32 v3, v3, 0, s6
	v_lshl_or_b32 v3, v3, 4, v2
	v_mov_b32_e32 v26, 1
	ds_add_u32 v3, v26 offset:256
.LBB196_252:
	v_xor_b32_e32 v26, 0x80, v23
	v_lshrrev_b32_sdwa v3, s12, v26 dst_sel:DWORD dst_unused:UNUSED_PAD src0_sel:DWORD src1_sel:BYTE_0
	v_and_b32_e32 v3, s9, v3
	v_lshl_or_b32 v27, v3, 4, v2
	v_mov_b32_e32 v3, 1
	ds_add_u32 v27, v3
	s_and_b64 vcc, exec, s[2:3]
	s_cbranch_vccnz .LBB196_254
; %bb.253:
	s_sub_i32 s6, s13, s8
	s_min_u32 s6, s6, 4
	v_lshrrev_b32_sdwa v26, s8, v26 dst_sel:DWORD dst_unused:UNUSED_PAD src0_sel:DWORD src1_sel:BYTE_0
	v_bfe_u32 v26, v26, 0, s6
	v_lshl_or_b32 v26, v26, 4, v2
	ds_add_u32 v26, v3 offset:256
.LBB196_254:
	s_waitcnt vmcnt(0)
	v_xor_b32_e32 v26, 0x80, v24
	v_lshrrev_b32_sdwa v27, s12, v26 dst_sel:DWORD dst_unused:UNUSED_PAD src0_sel:DWORD src1_sel:BYTE_0
	v_and_b32_e32 v27, s9, v27
	v_lshl_or_b32 v27, v27, 4, v2
	ds_add_u32 v27, v3
	s_and_b64 vcc, exec, s[2:3]
	s_cbranch_vccnz .LBB196_256
; %bb.255:
	s_sub_i32 s2, s13, s8
	s_min_u32 s2, s2, 4
	v_lshrrev_b32_sdwa v3, s8, v26 dst_sel:DWORD dst_unused:UNUSED_PAD src0_sel:DWORD src1_sel:BYTE_0
	v_bfe_u32 v3, v3, 0, s2
	v_lshl_or_b32 v2, v3, 4, v2
	v_mov_b32_e32 v3, 1
	ds_add_u32 v2, v3 offset:256
.LBB196_256:
	s_and_b64 vcc, exec, s[4:5]
	s_waitcnt lgkmcnt(0)
	s_barrier
	s_cbranch_vccz .LBB196_261
; %bb.257:
	v_cmp_gt_u32_e32 vcc, 16, v0
	v_lshlrev_b32_e32 v26, 4, v0
	v_mov_b32_e32 v3, 0
	v_mov_b32_e32 v2, v0
	s_branch .LBB196_259
.LBB196_258:                            ;   in Loop: Header=BB196_259 Depth=1
	s_or_b64 exec, exec, s[4:5]
	s_add_i32 s12, s12, 4
	v_add_u32_e32 v2, 16, v2
	s_cmp_ge_u32 s12, s13
	v_add_u32_e32 v26, 0x100, v26
	s_cbranch_scc1 .LBB196_261
.LBB196_259:                            ; =>This Inner Loop Header: Depth=1
	s_and_saveexec_b64 s[4:5], vcc
	s_cbranch_execz .LBB196_258
; %bb.260:                              ;   in Loop: Header=BB196_259 Depth=1
	ds_read2_b32 v[28:29], v26 offset1:1
	ds_read2_b32 v[30:31], v26 offset0:2 offset1:3
	v_lshlrev_b64 v[32:33], 3, v[2:3]
	v_mov_b32_e32 v27, s11
	s_waitcnt lgkmcnt(1)
	v_add_u32_e32 v28, v29, v28
	s_waitcnt lgkmcnt(0)
	v_add3_u32 v28, v28, v30, v31
	v_add_co_u32_e64 v30, s[2:3], s10, v32
	v_addc_co_u32_e64 v31, s[2:3], v27, v33, s[2:3]
	v_mov_b32_e32 v29, v3
	global_atomic_add_x2 v[30:31], v[28:29], off
	s_branch .LBB196_258
.LBB196_261:
	s_mov_b64 s[2:3], 0
.LBB196_262:
	s_and_b64 vcc, exec, s[2:3]
	s_cbranch_vccz .LBB196_267
; %bb.263:
	s_and_saveexec_b64 s[2:3], s[0:1]
	s_cbranch_execz .LBB196_265
; %bb.264:
	v_lshlrev_b32_e32 v2, 2, v0
	v_mov_b32_e32 v3, 0
	ds_write_b32 v2, v3
.LBB196_265:
	s_or_b64 exec, exec, s[2:3]
	s_waitcnt vmcnt(1)
	v_xor_b32_e32 v2, 0x80, v25
	v_xor_b32_e32 v3, 0x80, v4
	;; [unrolled: 1-line block ×21, first 2 shown]
	s_waitcnt vmcnt(0)
	v_xor_b32_e32 v23, 0x80, v24
	v_lshlrev_b32_e32 v24, 2, v2
	v_and_or_b32 v24, v24, 60, v1
	v_lshrrev_b32_e32 v2, 2, v2
	v_lshlrev_b32_e32 v24, 2, v24
	v_mov_b32_e32 v25, 1
	v_and_or_b32 v2, v2, 60, v1
	s_waitcnt lgkmcnt(0)
	s_barrier
	ds_add_u32 v24, v25
	v_lshlrev_b32_e32 v2, 2, v2
	ds_add_u32 v2, v25 offset:256
	v_lshlrev_b32_e32 v2, 2, v3
	v_and_or_b32 v2, v2, 60, v1
	v_lshlrev_b32_e32 v2, 2, v2
	ds_add_u32 v2, v25
	v_lshrrev_b32_e32 v2, 2, v3
	v_and_or_b32 v2, v2, 60, v1
	v_lshlrev_b32_e32 v2, 2, v2
	ds_add_u32 v2, v25 offset:256
	v_lshlrev_b32_e32 v2, 2, v4
	v_and_or_b32 v2, v2, 60, v1
	v_lshlrev_b32_e32 v2, 2, v2
	ds_add_u32 v2, v25
	v_lshrrev_b32_e32 v2, 2, v4
	v_and_or_b32 v2, v2, 60, v1
	;; [unrolled: 8-line block ×21, first 2 shown]
	v_lshlrev_b32_e32 v1, 2, v1
	ds_add_u32 v1, v25 offset:256
	v_cmp_gt_u32_e32 vcc, 16, v0
	s_waitcnt lgkmcnt(0)
	s_barrier
	s_and_saveexec_b64 s[0:1], vcc
	s_cbranch_execz .LBB196_267
; %bb.266:
	v_lshlrev_b32_e32 v6, 4, v0
	ds_read2_b32 v[2:3], v6 offset1:1
	ds_read2_b32 v[4:5], v6 offset0:2 offset1:3
	v_lshlrev_b32_e32 v7, 3, v0
	v_mov_b32_e32 v1, 0
	s_waitcnt lgkmcnt(1)
	v_add_u32_e32 v0, v3, v2
	s_waitcnt lgkmcnt(0)
	v_add3_u32 v0, v0, v4, v5
	global_atomic_add_x2 v7, v[0:1], s[10:11]
	ds_read2_b32 v[2:3], v6 offset0:64 offset1:65
	ds_read2_b32 v[4:5], v6 offset0:66 offset1:67
	s_waitcnt lgkmcnt(1)
	v_add_u32_e32 v0, v3, v2
	s_waitcnt lgkmcnt(0)
	v_add3_u32 v0, v0, v4, v5
	global_atomic_add_x2 v7, v[0:1], s[10:11] offset:128
.LBB196_267:
	s_endpgm
	.section	.rodata,"a",@progbits
	.p2align	6, 0x0
	.amdhsa_kernel _ZN7rocprim17ROCPRIM_400000_NS6detail17trampoline_kernelINS0_14default_configENS1_35radix_sort_onesweep_config_selectorIaNS0_10empty_typeEEEZNS1_34radix_sort_onesweep_global_offsetsIS3_Lb0EPaPS5_mNS0_19identity_decomposerEEE10hipError_tT1_T2_PT3_SE_jT4_jjP12ihipStream_tbEUlT_E_NS1_11comp_targetILNS1_3genE4ELNS1_11target_archE910ELNS1_3gpuE8ELNS1_3repE0EEENS1_52radix_sort_onesweep_histogram_config_static_selectorELNS0_4arch9wavefront6targetE1EEEvSC_
		.amdhsa_group_segment_fixed_size 512
		.amdhsa_private_segment_fixed_size 0
		.amdhsa_kernarg_size 48
		.amdhsa_user_sgpr_count 6
		.amdhsa_user_sgpr_private_segment_buffer 1
		.amdhsa_user_sgpr_dispatch_ptr 0
		.amdhsa_user_sgpr_queue_ptr 0
		.amdhsa_user_sgpr_kernarg_segment_ptr 1
		.amdhsa_user_sgpr_dispatch_id 0
		.amdhsa_user_sgpr_flat_scratch_init 0
		.amdhsa_user_sgpr_kernarg_preload_length 0
		.amdhsa_user_sgpr_kernarg_preload_offset 0
		.amdhsa_user_sgpr_private_segment_size 0
		.amdhsa_uses_dynamic_stack 0
		.amdhsa_system_sgpr_private_segment_wavefront_offset 0
		.amdhsa_system_sgpr_workgroup_id_x 1
		.amdhsa_system_sgpr_workgroup_id_y 0
		.amdhsa_system_sgpr_workgroup_id_z 0
		.amdhsa_system_sgpr_workgroup_info 0
		.amdhsa_system_vgpr_workitem_id 0
		.amdhsa_next_free_vgpr 47
		.amdhsa_next_free_sgpr 18
		.amdhsa_accum_offset 48
		.amdhsa_reserve_vcc 1
		.amdhsa_reserve_flat_scratch 0
		.amdhsa_float_round_mode_32 0
		.amdhsa_float_round_mode_16_64 0
		.amdhsa_float_denorm_mode_32 3
		.amdhsa_float_denorm_mode_16_64 3
		.amdhsa_dx10_clamp 1
		.amdhsa_ieee_mode 1
		.amdhsa_fp16_overflow 0
		.amdhsa_tg_split 0
		.amdhsa_exception_fp_ieee_invalid_op 0
		.amdhsa_exception_fp_denorm_src 0
		.amdhsa_exception_fp_ieee_div_zero 0
		.amdhsa_exception_fp_ieee_overflow 0
		.amdhsa_exception_fp_ieee_underflow 0
		.amdhsa_exception_fp_ieee_inexact 0
		.amdhsa_exception_int_div_zero 0
	.end_amdhsa_kernel
	.section	.text._ZN7rocprim17ROCPRIM_400000_NS6detail17trampoline_kernelINS0_14default_configENS1_35radix_sort_onesweep_config_selectorIaNS0_10empty_typeEEEZNS1_34radix_sort_onesweep_global_offsetsIS3_Lb0EPaPS5_mNS0_19identity_decomposerEEE10hipError_tT1_T2_PT3_SE_jT4_jjP12ihipStream_tbEUlT_E_NS1_11comp_targetILNS1_3genE4ELNS1_11target_archE910ELNS1_3gpuE8ELNS1_3repE0EEENS1_52radix_sort_onesweep_histogram_config_static_selectorELNS0_4arch9wavefront6targetE1EEEvSC_,"axG",@progbits,_ZN7rocprim17ROCPRIM_400000_NS6detail17trampoline_kernelINS0_14default_configENS1_35radix_sort_onesweep_config_selectorIaNS0_10empty_typeEEEZNS1_34radix_sort_onesweep_global_offsetsIS3_Lb0EPaPS5_mNS0_19identity_decomposerEEE10hipError_tT1_T2_PT3_SE_jT4_jjP12ihipStream_tbEUlT_E_NS1_11comp_targetILNS1_3genE4ELNS1_11target_archE910ELNS1_3gpuE8ELNS1_3repE0EEENS1_52radix_sort_onesweep_histogram_config_static_selectorELNS0_4arch9wavefront6targetE1EEEvSC_,comdat
.Lfunc_end196:
	.size	_ZN7rocprim17ROCPRIM_400000_NS6detail17trampoline_kernelINS0_14default_configENS1_35radix_sort_onesweep_config_selectorIaNS0_10empty_typeEEEZNS1_34radix_sort_onesweep_global_offsetsIS3_Lb0EPaPS5_mNS0_19identity_decomposerEEE10hipError_tT1_T2_PT3_SE_jT4_jjP12ihipStream_tbEUlT_E_NS1_11comp_targetILNS1_3genE4ELNS1_11target_archE910ELNS1_3gpuE8ELNS1_3repE0EEENS1_52radix_sort_onesweep_histogram_config_static_selectorELNS0_4arch9wavefront6targetE1EEEvSC_, .Lfunc_end196-_ZN7rocprim17ROCPRIM_400000_NS6detail17trampoline_kernelINS0_14default_configENS1_35radix_sort_onesweep_config_selectorIaNS0_10empty_typeEEEZNS1_34radix_sort_onesweep_global_offsetsIS3_Lb0EPaPS5_mNS0_19identity_decomposerEEE10hipError_tT1_T2_PT3_SE_jT4_jjP12ihipStream_tbEUlT_E_NS1_11comp_targetILNS1_3genE4ELNS1_11target_archE910ELNS1_3gpuE8ELNS1_3repE0EEENS1_52radix_sort_onesweep_histogram_config_static_selectorELNS0_4arch9wavefront6targetE1EEEvSC_
                                        ; -- End function
	.section	.AMDGPU.csdata,"",@progbits
; Kernel info:
; codeLenInByte = 9464
; NumSgprs: 22
; NumVgprs: 47
; NumAgprs: 0
; TotalNumVgprs: 47
; ScratchSize: 0
; MemoryBound: 0
; FloatMode: 240
; IeeeMode: 1
; LDSByteSize: 512 bytes/workgroup (compile time only)
; SGPRBlocks: 2
; VGPRBlocks: 5
; NumSGPRsForWavesPerEU: 22
; NumVGPRsForWavesPerEU: 47
; AccumOffset: 48
; Occupancy: 8
; WaveLimiterHint : 1
; COMPUTE_PGM_RSRC2:SCRATCH_EN: 0
; COMPUTE_PGM_RSRC2:USER_SGPR: 6
; COMPUTE_PGM_RSRC2:TRAP_HANDLER: 0
; COMPUTE_PGM_RSRC2:TGID_X_EN: 1
; COMPUTE_PGM_RSRC2:TGID_Y_EN: 0
; COMPUTE_PGM_RSRC2:TGID_Z_EN: 0
; COMPUTE_PGM_RSRC2:TIDIG_COMP_CNT: 0
; COMPUTE_PGM_RSRC3_GFX90A:ACCUM_OFFSET: 11
; COMPUTE_PGM_RSRC3_GFX90A:TG_SPLIT: 0
	.section	.text._ZN7rocprim17ROCPRIM_400000_NS6detail17trampoline_kernelINS0_14default_configENS1_35radix_sort_onesweep_config_selectorIaNS0_10empty_typeEEEZNS1_34radix_sort_onesweep_global_offsetsIS3_Lb0EPaPS5_mNS0_19identity_decomposerEEE10hipError_tT1_T2_PT3_SE_jT4_jjP12ihipStream_tbEUlT_E_NS1_11comp_targetILNS1_3genE3ELNS1_11target_archE908ELNS1_3gpuE7ELNS1_3repE0EEENS1_52radix_sort_onesweep_histogram_config_static_selectorELNS0_4arch9wavefront6targetE1EEEvSC_,"axG",@progbits,_ZN7rocprim17ROCPRIM_400000_NS6detail17trampoline_kernelINS0_14default_configENS1_35radix_sort_onesweep_config_selectorIaNS0_10empty_typeEEEZNS1_34radix_sort_onesweep_global_offsetsIS3_Lb0EPaPS5_mNS0_19identity_decomposerEEE10hipError_tT1_T2_PT3_SE_jT4_jjP12ihipStream_tbEUlT_E_NS1_11comp_targetILNS1_3genE3ELNS1_11target_archE908ELNS1_3gpuE7ELNS1_3repE0EEENS1_52radix_sort_onesweep_histogram_config_static_selectorELNS0_4arch9wavefront6targetE1EEEvSC_,comdat
	.protected	_ZN7rocprim17ROCPRIM_400000_NS6detail17trampoline_kernelINS0_14default_configENS1_35radix_sort_onesweep_config_selectorIaNS0_10empty_typeEEEZNS1_34radix_sort_onesweep_global_offsetsIS3_Lb0EPaPS5_mNS0_19identity_decomposerEEE10hipError_tT1_T2_PT3_SE_jT4_jjP12ihipStream_tbEUlT_E_NS1_11comp_targetILNS1_3genE3ELNS1_11target_archE908ELNS1_3gpuE7ELNS1_3repE0EEENS1_52radix_sort_onesweep_histogram_config_static_selectorELNS0_4arch9wavefront6targetE1EEEvSC_ ; -- Begin function _ZN7rocprim17ROCPRIM_400000_NS6detail17trampoline_kernelINS0_14default_configENS1_35radix_sort_onesweep_config_selectorIaNS0_10empty_typeEEEZNS1_34radix_sort_onesweep_global_offsetsIS3_Lb0EPaPS5_mNS0_19identity_decomposerEEE10hipError_tT1_T2_PT3_SE_jT4_jjP12ihipStream_tbEUlT_E_NS1_11comp_targetILNS1_3genE3ELNS1_11target_archE908ELNS1_3gpuE7ELNS1_3repE0EEENS1_52radix_sort_onesweep_histogram_config_static_selectorELNS0_4arch9wavefront6targetE1EEEvSC_
	.globl	_ZN7rocprim17ROCPRIM_400000_NS6detail17trampoline_kernelINS0_14default_configENS1_35radix_sort_onesweep_config_selectorIaNS0_10empty_typeEEEZNS1_34radix_sort_onesweep_global_offsetsIS3_Lb0EPaPS5_mNS0_19identity_decomposerEEE10hipError_tT1_T2_PT3_SE_jT4_jjP12ihipStream_tbEUlT_E_NS1_11comp_targetILNS1_3genE3ELNS1_11target_archE908ELNS1_3gpuE7ELNS1_3repE0EEENS1_52radix_sort_onesweep_histogram_config_static_selectorELNS0_4arch9wavefront6targetE1EEEvSC_
	.p2align	8
	.type	_ZN7rocprim17ROCPRIM_400000_NS6detail17trampoline_kernelINS0_14default_configENS1_35radix_sort_onesweep_config_selectorIaNS0_10empty_typeEEEZNS1_34radix_sort_onesweep_global_offsetsIS3_Lb0EPaPS5_mNS0_19identity_decomposerEEE10hipError_tT1_T2_PT3_SE_jT4_jjP12ihipStream_tbEUlT_E_NS1_11comp_targetILNS1_3genE3ELNS1_11target_archE908ELNS1_3gpuE7ELNS1_3repE0EEENS1_52radix_sort_onesweep_histogram_config_static_selectorELNS0_4arch9wavefront6targetE1EEEvSC_,@function
_ZN7rocprim17ROCPRIM_400000_NS6detail17trampoline_kernelINS0_14default_configENS1_35radix_sort_onesweep_config_selectorIaNS0_10empty_typeEEEZNS1_34radix_sort_onesweep_global_offsetsIS3_Lb0EPaPS5_mNS0_19identity_decomposerEEE10hipError_tT1_T2_PT3_SE_jT4_jjP12ihipStream_tbEUlT_E_NS1_11comp_targetILNS1_3genE3ELNS1_11target_archE908ELNS1_3gpuE7ELNS1_3repE0EEENS1_52radix_sort_onesweep_histogram_config_static_selectorELNS0_4arch9wavefront6targetE1EEEvSC_: ; @_ZN7rocprim17ROCPRIM_400000_NS6detail17trampoline_kernelINS0_14default_configENS1_35radix_sort_onesweep_config_selectorIaNS0_10empty_typeEEEZNS1_34radix_sort_onesweep_global_offsetsIS3_Lb0EPaPS5_mNS0_19identity_decomposerEEE10hipError_tT1_T2_PT3_SE_jT4_jjP12ihipStream_tbEUlT_E_NS1_11comp_targetILNS1_3genE3ELNS1_11target_archE908ELNS1_3gpuE7ELNS1_3repE0EEENS1_52radix_sort_onesweep_histogram_config_static_selectorELNS0_4arch9wavefront6targetE1EEEvSC_
; %bb.0:
	.section	.rodata,"a",@progbits
	.p2align	6, 0x0
	.amdhsa_kernel _ZN7rocprim17ROCPRIM_400000_NS6detail17trampoline_kernelINS0_14default_configENS1_35radix_sort_onesweep_config_selectorIaNS0_10empty_typeEEEZNS1_34radix_sort_onesweep_global_offsetsIS3_Lb0EPaPS5_mNS0_19identity_decomposerEEE10hipError_tT1_T2_PT3_SE_jT4_jjP12ihipStream_tbEUlT_E_NS1_11comp_targetILNS1_3genE3ELNS1_11target_archE908ELNS1_3gpuE7ELNS1_3repE0EEENS1_52radix_sort_onesweep_histogram_config_static_selectorELNS0_4arch9wavefront6targetE1EEEvSC_
		.amdhsa_group_segment_fixed_size 0
		.amdhsa_private_segment_fixed_size 0
		.amdhsa_kernarg_size 48
		.amdhsa_user_sgpr_count 6
		.amdhsa_user_sgpr_private_segment_buffer 1
		.amdhsa_user_sgpr_dispatch_ptr 0
		.amdhsa_user_sgpr_queue_ptr 0
		.amdhsa_user_sgpr_kernarg_segment_ptr 1
		.amdhsa_user_sgpr_dispatch_id 0
		.amdhsa_user_sgpr_flat_scratch_init 0
		.amdhsa_user_sgpr_kernarg_preload_length 0
		.amdhsa_user_sgpr_kernarg_preload_offset 0
		.amdhsa_user_sgpr_private_segment_size 0
		.amdhsa_uses_dynamic_stack 0
		.amdhsa_system_sgpr_private_segment_wavefront_offset 0
		.amdhsa_system_sgpr_workgroup_id_x 1
		.amdhsa_system_sgpr_workgroup_id_y 0
		.amdhsa_system_sgpr_workgroup_id_z 0
		.amdhsa_system_sgpr_workgroup_info 0
		.amdhsa_system_vgpr_workitem_id 0
		.amdhsa_next_free_vgpr 1
		.amdhsa_next_free_sgpr 0
		.amdhsa_accum_offset 4
		.amdhsa_reserve_vcc 0
		.amdhsa_reserve_flat_scratch 0
		.amdhsa_float_round_mode_32 0
		.amdhsa_float_round_mode_16_64 0
		.amdhsa_float_denorm_mode_32 3
		.amdhsa_float_denorm_mode_16_64 3
		.amdhsa_dx10_clamp 1
		.amdhsa_ieee_mode 1
		.amdhsa_fp16_overflow 0
		.amdhsa_tg_split 0
		.amdhsa_exception_fp_ieee_invalid_op 0
		.amdhsa_exception_fp_denorm_src 0
		.amdhsa_exception_fp_ieee_div_zero 0
		.amdhsa_exception_fp_ieee_overflow 0
		.amdhsa_exception_fp_ieee_underflow 0
		.amdhsa_exception_fp_ieee_inexact 0
		.amdhsa_exception_int_div_zero 0
	.end_amdhsa_kernel
	.section	.text._ZN7rocprim17ROCPRIM_400000_NS6detail17trampoline_kernelINS0_14default_configENS1_35radix_sort_onesweep_config_selectorIaNS0_10empty_typeEEEZNS1_34radix_sort_onesweep_global_offsetsIS3_Lb0EPaPS5_mNS0_19identity_decomposerEEE10hipError_tT1_T2_PT3_SE_jT4_jjP12ihipStream_tbEUlT_E_NS1_11comp_targetILNS1_3genE3ELNS1_11target_archE908ELNS1_3gpuE7ELNS1_3repE0EEENS1_52radix_sort_onesweep_histogram_config_static_selectorELNS0_4arch9wavefront6targetE1EEEvSC_,"axG",@progbits,_ZN7rocprim17ROCPRIM_400000_NS6detail17trampoline_kernelINS0_14default_configENS1_35radix_sort_onesweep_config_selectorIaNS0_10empty_typeEEEZNS1_34radix_sort_onesweep_global_offsetsIS3_Lb0EPaPS5_mNS0_19identity_decomposerEEE10hipError_tT1_T2_PT3_SE_jT4_jjP12ihipStream_tbEUlT_E_NS1_11comp_targetILNS1_3genE3ELNS1_11target_archE908ELNS1_3gpuE7ELNS1_3repE0EEENS1_52radix_sort_onesweep_histogram_config_static_selectorELNS0_4arch9wavefront6targetE1EEEvSC_,comdat
.Lfunc_end197:
	.size	_ZN7rocprim17ROCPRIM_400000_NS6detail17trampoline_kernelINS0_14default_configENS1_35radix_sort_onesweep_config_selectorIaNS0_10empty_typeEEEZNS1_34radix_sort_onesweep_global_offsetsIS3_Lb0EPaPS5_mNS0_19identity_decomposerEEE10hipError_tT1_T2_PT3_SE_jT4_jjP12ihipStream_tbEUlT_E_NS1_11comp_targetILNS1_3genE3ELNS1_11target_archE908ELNS1_3gpuE7ELNS1_3repE0EEENS1_52radix_sort_onesweep_histogram_config_static_selectorELNS0_4arch9wavefront6targetE1EEEvSC_, .Lfunc_end197-_ZN7rocprim17ROCPRIM_400000_NS6detail17trampoline_kernelINS0_14default_configENS1_35radix_sort_onesweep_config_selectorIaNS0_10empty_typeEEEZNS1_34radix_sort_onesweep_global_offsetsIS3_Lb0EPaPS5_mNS0_19identity_decomposerEEE10hipError_tT1_T2_PT3_SE_jT4_jjP12ihipStream_tbEUlT_E_NS1_11comp_targetILNS1_3genE3ELNS1_11target_archE908ELNS1_3gpuE7ELNS1_3repE0EEENS1_52radix_sort_onesweep_histogram_config_static_selectorELNS0_4arch9wavefront6targetE1EEEvSC_
                                        ; -- End function
	.section	.AMDGPU.csdata,"",@progbits
; Kernel info:
; codeLenInByte = 0
; NumSgprs: 4
; NumVgprs: 0
; NumAgprs: 0
; TotalNumVgprs: 0
; ScratchSize: 0
; MemoryBound: 0
; FloatMode: 240
; IeeeMode: 1
; LDSByteSize: 0 bytes/workgroup (compile time only)
; SGPRBlocks: 0
; VGPRBlocks: 0
; NumSGPRsForWavesPerEU: 4
; NumVGPRsForWavesPerEU: 1
; AccumOffset: 4
; Occupancy: 8
; WaveLimiterHint : 0
; COMPUTE_PGM_RSRC2:SCRATCH_EN: 0
; COMPUTE_PGM_RSRC2:USER_SGPR: 6
; COMPUTE_PGM_RSRC2:TRAP_HANDLER: 0
; COMPUTE_PGM_RSRC2:TGID_X_EN: 1
; COMPUTE_PGM_RSRC2:TGID_Y_EN: 0
; COMPUTE_PGM_RSRC2:TGID_Z_EN: 0
; COMPUTE_PGM_RSRC2:TIDIG_COMP_CNT: 0
; COMPUTE_PGM_RSRC3_GFX90A:ACCUM_OFFSET: 0
; COMPUTE_PGM_RSRC3_GFX90A:TG_SPLIT: 0
	.section	.text._ZN7rocprim17ROCPRIM_400000_NS6detail17trampoline_kernelINS0_14default_configENS1_35radix_sort_onesweep_config_selectorIaNS0_10empty_typeEEEZNS1_34radix_sort_onesweep_global_offsetsIS3_Lb0EPaPS5_mNS0_19identity_decomposerEEE10hipError_tT1_T2_PT3_SE_jT4_jjP12ihipStream_tbEUlT_E_NS1_11comp_targetILNS1_3genE10ELNS1_11target_archE1201ELNS1_3gpuE5ELNS1_3repE0EEENS1_52radix_sort_onesweep_histogram_config_static_selectorELNS0_4arch9wavefront6targetE1EEEvSC_,"axG",@progbits,_ZN7rocprim17ROCPRIM_400000_NS6detail17trampoline_kernelINS0_14default_configENS1_35radix_sort_onesweep_config_selectorIaNS0_10empty_typeEEEZNS1_34radix_sort_onesweep_global_offsetsIS3_Lb0EPaPS5_mNS0_19identity_decomposerEEE10hipError_tT1_T2_PT3_SE_jT4_jjP12ihipStream_tbEUlT_E_NS1_11comp_targetILNS1_3genE10ELNS1_11target_archE1201ELNS1_3gpuE5ELNS1_3repE0EEENS1_52radix_sort_onesweep_histogram_config_static_selectorELNS0_4arch9wavefront6targetE1EEEvSC_,comdat
	.protected	_ZN7rocprim17ROCPRIM_400000_NS6detail17trampoline_kernelINS0_14default_configENS1_35radix_sort_onesweep_config_selectorIaNS0_10empty_typeEEEZNS1_34radix_sort_onesweep_global_offsetsIS3_Lb0EPaPS5_mNS0_19identity_decomposerEEE10hipError_tT1_T2_PT3_SE_jT4_jjP12ihipStream_tbEUlT_E_NS1_11comp_targetILNS1_3genE10ELNS1_11target_archE1201ELNS1_3gpuE5ELNS1_3repE0EEENS1_52radix_sort_onesweep_histogram_config_static_selectorELNS0_4arch9wavefront6targetE1EEEvSC_ ; -- Begin function _ZN7rocprim17ROCPRIM_400000_NS6detail17trampoline_kernelINS0_14default_configENS1_35radix_sort_onesweep_config_selectorIaNS0_10empty_typeEEEZNS1_34radix_sort_onesweep_global_offsetsIS3_Lb0EPaPS5_mNS0_19identity_decomposerEEE10hipError_tT1_T2_PT3_SE_jT4_jjP12ihipStream_tbEUlT_E_NS1_11comp_targetILNS1_3genE10ELNS1_11target_archE1201ELNS1_3gpuE5ELNS1_3repE0EEENS1_52radix_sort_onesweep_histogram_config_static_selectorELNS0_4arch9wavefront6targetE1EEEvSC_
	.globl	_ZN7rocprim17ROCPRIM_400000_NS6detail17trampoline_kernelINS0_14default_configENS1_35radix_sort_onesweep_config_selectorIaNS0_10empty_typeEEEZNS1_34radix_sort_onesweep_global_offsetsIS3_Lb0EPaPS5_mNS0_19identity_decomposerEEE10hipError_tT1_T2_PT3_SE_jT4_jjP12ihipStream_tbEUlT_E_NS1_11comp_targetILNS1_3genE10ELNS1_11target_archE1201ELNS1_3gpuE5ELNS1_3repE0EEENS1_52radix_sort_onesweep_histogram_config_static_selectorELNS0_4arch9wavefront6targetE1EEEvSC_
	.p2align	8
	.type	_ZN7rocprim17ROCPRIM_400000_NS6detail17trampoline_kernelINS0_14default_configENS1_35radix_sort_onesweep_config_selectorIaNS0_10empty_typeEEEZNS1_34radix_sort_onesweep_global_offsetsIS3_Lb0EPaPS5_mNS0_19identity_decomposerEEE10hipError_tT1_T2_PT3_SE_jT4_jjP12ihipStream_tbEUlT_E_NS1_11comp_targetILNS1_3genE10ELNS1_11target_archE1201ELNS1_3gpuE5ELNS1_3repE0EEENS1_52radix_sort_onesweep_histogram_config_static_selectorELNS0_4arch9wavefront6targetE1EEEvSC_,@function
_ZN7rocprim17ROCPRIM_400000_NS6detail17trampoline_kernelINS0_14default_configENS1_35radix_sort_onesweep_config_selectorIaNS0_10empty_typeEEEZNS1_34radix_sort_onesweep_global_offsetsIS3_Lb0EPaPS5_mNS0_19identity_decomposerEEE10hipError_tT1_T2_PT3_SE_jT4_jjP12ihipStream_tbEUlT_E_NS1_11comp_targetILNS1_3genE10ELNS1_11target_archE1201ELNS1_3gpuE5ELNS1_3repE0EEENS1_52radix_sort_onesweep_histogram_config_static_selectorELNS0_4arch9wavefront6targetE1EEEvSC_: ; @_ZN7rocprim17ROCPRIM_400000_NS6detail17trampoline_kernelINS0_14default_configENS1_35radix_sort_onesweep_config_selectorIaNS0_10empty_typeEEEZNS1_34radix_sort_onesweep_global_offsetsIS3_Lb0EPaPS5_mNS0_19identity_decomposerEEE10hipError_tT1_T2_PT3_SE_jT4_jjP12ihipStream_tbEUlT_E_NS1_11comp_targetILNS1_3genE10ELNS1_11target_archE1201ELNS1_3gpuE5ELNS1_3repE0EEENS1_52radix_sort_onesweep_histogram_config_static_selectorELNS0_4arch9wavefront6targetE1EEEvSC_
; %bb.0:
	.section	.rodata,"a",@progbits
	.p2align	6, 0x0
	.amdhsa_kernel _ZN7rocprim17ROCPRIM_400000_NS6detail17trampoline_kernelINS0_14default_configENS1_35radix_sort_onesweep_config_selectorIaNS0_10empty_typeEEEZNS1_34radix_sort_onesweep_global_offsetsIS3_Lb0EPaPS5_mNS0_19identity_decomposerEEE10hipError_tT1_T2_PT3_SE_jT4_jjP12ihipStream_tbEUlT_E_NS1_11comp_targetILNS1_3genE10ELNS1_11target_archE1201ELNS1_3gpuE5ELNS1_3repE0EEENS1_52radix_sort_onesweep_histogram_config_static_selectorELNS0_4arch9wavefront6targetE1EEEvSC_
		.amdhsa_group_segment_fixed_size 0
		.amdhsa_private_segment_fixed_size 0
		.amdhsa_kernarg_size 48
		.amdhsa_user_sgpr_count 6
		.amdhsa_user_sgpr_private_segment_buffer 1
		.amdhsa_user_sgpr_dispatch_ptr 0
		.amdhsa_user_sgpr_queue_ptr 0
		.amdhsa_user_sgpr_kernarg_segment_ptr 1
		.amdhsa_user_sgpr_dispatch_id 0
		.amdhsa_user_sgpr_flat_scratch_init 0
		.amdhsa_user_sgpr_kernarg_preload_length 0
		.amdhsa_user_sgpr_kernarg_preload_offset 0
		.amdhsa_user_sgpr_private_segment_size 0
		.amdhsa_uses_dynamic_stack 0
		.amdhsa_system_sgpr_private_segment_wavefront_offset 0
		.amdhsa_system_sgpr_workgroup_id_x 1
		.amdhsa_system_sgpr_workgroup_id_y 0
		.amdhsa_system_sgpr_workgroup_id_z 0
		.amdhsa_system_sgpr_workgroup_info 0
		.amdhsa_system_vgpr_workitem_id 0
		.amdhsa_next_free_vgpr 1
		.amdhsa_next_free_sgpr 0
		.amdhsa_accum_offset 4
		.amdhsa_reserve_vcc 0
		.amdhsa_reserve_flat_scratch 0
		.amdhsa_float_round_mode_32 0
		.amdhsa_float_round_mode_16_64 0
		.amdhsa_float_denorm_mode_32 3
		.amdhsa_float_denorm_mode_16_64 3
		.amdhsa_dx10_clamp 1
		.amdhsa_ieee_mode 1
		.amdhsa_fp16_overflow 0
		.amdhsa_tg_split 0
		.amdhsa_exception_fp_ieee_invalid_op 0
		.amdhsa_exception_fp_denorm_src 0
		.amdhsa_exception_fp_ieee_div_zero 0
		.amdhsa_exception_fp_ieee_overflow 0
		.amdhsa_exception_fp_ieee_underflow 0
		.amdhsa_exception_fp_ieee_inexact 0
		.amdhsa_exception_int_div_zero 0
	.end_amdhsa_kernel
	.section	.text._ZN7rocprim17ROCPRIM_400000_NS6detail17trampoline_kernelINS0_14default_configENS1_35radix_sort_onesweep_config_selectorIaNS0_10empty_typeEEEZNS1_34radix_sort_onesweep_global_offsetsIS3_Lb0EPaPS5_mNS0_19identity_decomposerEEE10hipError_tT1_T2_PT3_SE_jT4_jjP12ihipStream_tbEUlT_E_NS1_11comp_targetILNS1_3genE10ELNS1_11target_archE1201ELNS1_3gpuE5ELNS1_3repE0EEENS1_52radix_sort_onesweep_histogram_config_static_selectorELNS0_4arch9wavefront6targetE1EEEvSC_,"axG",@progbits,_ZN7rocprim17ROCPRIM_400000_NS6detail17trampoline_kernelINS0_14default_configENS1_35radix_sort_onesweep_config_selectorIaNS0_10empty_typeEEEZNS1_34radix_sort_onesweep_global_offsetsIS3_Lb0EPaPS5_mNS0_19identity_decomposerEEE10hipError_tT1_T2_PT3_SE_jT4_jjP12ihipStream_tbEUlT_E_NS1_11comp_targetILNS1_3genE10ELNS1_11target_archE1201ELNS1_3gpuE5ELNS1_3repE0EEENS1_52radix_sort_onesweep_histogram_config_static_selectorELNS0_4arch9wavefront6targetE1EEEvSC_,comdat
.Lfunc_end198:
	.size	_ZN7rocprim17ROCPRIM_400000_NS6detail17trampoline_kernelINS0_14default_configENS1_35radix_sort_onesweep_config_selectorIaNS0_10empty_typeEEEZNS1_34radix_sort_onesweep_global_offsetsIS3_Lb0EPaPS5_mNS0_19identity_decomposerEEE10hipError_tT1_T2_PT3_SE_jT4_jjP12ihipStream_tbEUlT_E_NS1_11comp_targetILNS1_3genE10ELNS1_11target_archE1201ELNS1_3gpuE5ELNS1_3repE0EEENS1_52radix_sort_onesweep_histogram_config_static_selectorELNS0_4arch9wavefront6targetE1EEEvSC_, .Lfunc_end198-_ZN7rocprim17ROCPRIM_400000_NS6detail17trampoline_kernelINS0_14default_configENS1_35radix_sort_onesweep_config_selectorIaNS0_10empty_typeEEEZNS1_34radix_sort_onesweep_global_offsetsIS3_Lb0EPaPS5_mNS0_19identity_decomposerEEE10hipError_tT1_T2_PT3_SE_jT4_jjP12ihipStream_tbEUlT_E_NS1_11comp_targetILNS1_3genE10ELNS1_11target_archE1201ELNS1_3gpuE5ELNS1_3repE0EEENS1_52radix_sort_onesweep_histogram_config_static_selectorELNS0_4arch9wavefront6targetE1EEEvSC_
                                        ; -- End function
	.section	.AMDGPU.csdata,"",@progbits
; Kernel info:
; codeLenInByte = 0
; NumSgprs: 4
; NumVgprs: 0
; NumAgprs: 0
; TotalNumVgprs: 0
; ScratchSize: 0
; MemoryBound: 0
; FloatMode: 240
; IeeeMode: 1
; LDSByteSize: 0 bytes/workgroup (compile time only)
; SGPRBlocks: 0
; VGPRBlocks: 0
; NumSGPRsForWavesPerEU: 4
; NumVGPRsForWavesPerEU: 1
; AccumOffset: 4
; Occupancy: 8
; WaveLimiterHint : 0
; COMPUTE_PGM_RSRC2:SCRATCH_EN: 0
; COMPUTE_PGM_RSRC2:USER_SGPR: 6
; COMPUTE_PGM_RSRC2:TRAP_HANDLER: 0
; COMPUTE_PGM_RSRC2:TGID_X_EN: 1
; COMPUTE_PGM_RSRC2:TGID_Y_EN: 0
; COMPUTE_PGM_RSRC2:TGID_Z_EN: 0
; COMPUTE_PGM_RSRC2:TIDIG_COMP_CNT: 0
; COMPUTE_PGM_RSRC3_GFX90A:ACCUM_OFFSET: 0
; COMPUTE_PGM_RSRC3_GFX90A:TG_SPLIT: 0
	.section	.text._ZN7rocprim17ROCPRIM_400000_NS6detail17trampoline_kernelINS0_14default_configENS1_35radix_sort_onesweep_config_selectorIaNS0_10empty_typeEEEZNS1_34radix_sort_onesweep_global_offsetsIS3_Lb0EPaPS5_mNS0_19identity_decomposerEEE10hipError_tT1_T2_PT3_SE_jT4_jjP12ihipStream_tbEUlT_E_NS1_11comp_targetILNS1_3genE9ELNS1_11target_archE1100ELNS1_3gpuE3ELNS1_3repE0EEENS1_52radix_sort_onesweep_histogram_config_static_selectorELNS0_4arch9wavefront6targetE1EEEvSC_,"axG",@progbits,_ZN7rocprim17ROCPRIM_400000_NS6detail17trampoline_kernelINS0_14default_configENS1_35radix_sort_onesweep_config_selectorIaNS0_10empty_typeEEEZNS1_34radix_sort_onesweep_global_offsetsIS3_Lb0EPaPS5_mNS0_19identity_decomposerEEE10hipError_tT1_T2_PT3_SE_jT4_jjP12ihipStream_tbEUlT_E_NS1_11comp_targetILNS1_3genE9ELNS1_11target_archE1100ELNS1_3gpuE3ELNS1_3repE0EEENS1_52radix_sort_onesweep_histogram_config_static_selectorELNS0_4arch9wavefront6targetE1EEEvSC_,comdat
	.protected	_ZN7rocprim17ROCPRIM_400000_NS6detail17trampoline_kernelINS0_14default_configENS1_35radix_sort_onesweep_config_selectorIaNS0_10empty_typeEEEZNS1_34radix_sort_onesweep_global_offsetsIS3_Lb0EPaPS5_mNS0_19identity_decomposerEEE10hipError_tT1_T2_PT3_SE_jT4_jjP12ihipStream_tbEUlT_E_NS1_11comp_targetILNS1_3genE9ELNS1_11target_archE1100ELNS1_3gpuE3ELNS1_3repE0EEENS1_52radix_sort_onesweep_histogram_config_static_selectorELNS0_4arch9wavefront6targetE1EEEvSC_ ; -- Begin function _ZN7rocprim17ROCPRIM_400000_NS6detail17trampoline_kernelINS0_14default_configENS1_35radix_sort_onesweep_config_selectorIaNS0_10empty_typeEEEZNS1_34radix_sort_onesweep_global_offsetsIS3_Lb0EPaPS5_mNS0_19identity_decomposerEEE10hipError_tT1_T2_PT3_SE_jT4_jjP12ihipStream_tbEUlT_E_NS1_11comp_targetILNS1_3genE9ELNS1_11target_archE1100ELNS1_3gpuE3ELNS1_3repE0EEENS1_52radix_sort_onesweep_histogram_config_static_selectorELNS0_4arch9wavefront6targetE1EEEvSC_
	.globl	_ZN7rocprim17ROCPRIM_400000_NS6detail17trampoline_kernelINS0_14default_configENS1_35radix_sort_onesweep_config_selectorIaNS0_10empty_typeEEEZNS1_34radix_sort_onesweep_global_offsetsIS3_Lb0EPaPS5_mNS0_19identity_decomposerEEE10hipError_tT1_T2_PT3_SE_jT4_jjP12ihipStream_tbEUlT_E_NS1_11comp_targetILNS1_3genE9ELNS1_11target_archE1100ELNS1_3gpuE3ELNS1_3repE0EEENS1_52radix_sort_onesweep_histogram_config_static_selectorELNS0_4arch9wavefront6targetE1EEEvSC_
	.p2align	8
	.type	_ZN7rocprim17ROCPRIM_400000_NS6detail17trampoline_kernelINS0_14default_configENS1_35radix_sort_onesweep_config_selectorIaNS0_10empty_typeEEEZNS1_34radix_sort_onesweep_global_offsetsIS3_Lb0EPaPS5_mNS0_19identity_decomposerEEE10hipError_tT1_T2_PT3_SE_jT4_jjP12ihipStream_tbEUlT_E_NS1_11comp_targetILNS1_3genE9ELNS1_11target_archE1100ELNS1_3gpuE3ELNS1_3repE0EEENS1_52radix_sort_onesweep_histogram_config_static_selectorELNS0_4arch9wavefront6targetE1EEEvSC_,@function
_ZN7rocprim17ROCPRIM_400000_NS6detail17trampoline_kernelINS0_14default_configENS1_35radix_sort_onesweep_config_selectorIaNS0_10empty_typeEEEZNS1_34radix_sort_onesweep_global_offsetsIS3_Lb0EPaPS5_mNS0_19identity_decomposerEEE10hipError_tT1_T2_PT3_SE_jT4_jjP12ihipStream_tbEUlT_E_NS1_11comp_targetILNS1_3genE9ELNS1_11target_archE1100ELNS1_3gpuE3ELNS1_3repE0EEENS1_52radix_sort_onesweep_histogram_config_static_selectorELNS0_4arch9wavefront6targetE1EEEvSC_: ; @_ZN7rocprim17ROCPRIM_400000_NS6detail17trampoline_kernelINS0_14default_configENS1_35radix_sort_onesweep_config_selectorIaNS0_10empty_typeEEEZNS1_34radix_sort_onesweep_global_offsetsIS3_Lb0EPaPS5_mNS0_19identity_decomposerEEE10hipError_tT1_T2_PT3_SE_jT4_jjP12ihipStream_tbEUlT_E_NS1_11comp_targetILNS1_3genE9ELNS1_11target_archE1100ELNS1_3gpuE3ELNS1_3repE0EEENS1_52radix_sort_onesweep_histogram_config_static_selectorELNS0_4arch9wavefront6targetE1EEEvSC_
; %bb.0:
	.section	.rodata,"a",@progbits
	.p2align	6, 0x0
	.amdhsa_kernel _ZN7rocprim17ROCPRIM_400000_NS6detail17trampoline_kernelINS0_14default_configENS1_35radix_sort_onesweep_config_selectorIaNS0_10empty_typeEEEZNS1_34radix_sort_onesweep_global_offsetsIS3_Lb0EPaPS5_mNS0_19identity_decomposerEEE10hipError_tT1_T2_PT3_SE_jT4_jjP12ihipStream_tbEUlT_E_NS1_11comp_targetILNS1_3genE9ELNS1_11target_archE1100ELNS1_3gpuE3ELNS1_3repE0EEENS1_52radix_sort_onesweep_histogram_config_static_selectorELNS0_4arch9wavefront6targetE1EEEvSC_
		.amdhsa_group_segment_fixed_size 0
		.amdhsa_private_segment_fixed_size 0
		.amdhsa_kernarg_size 48
		.amdhsa_user_sgpr_count 6
		.amdhsa_user_sgpr_private_segment_buffer 1
		.amdhsa_user_sgpr_dispatch_ptr 0
		.amdhsa_user_sgpr_queue_ptr 0
		.amdhsa_user_sgpr_kernarg_segment_ptr 1
		.amdhsa_user_sgpr_dispatch_id 0
		.amdhsa_user_sgpr_flat_scratch_init 0
		.amdhsa_user_sgpr_kernarg_preload_length 0
		.amdhsa_user_sgpr_kernarg_preload_offset 0
		.amdhsa_user_sgpr_private_segment_size 0
		.amdhsa_uses_dynamic_stack 0
		.amdhsa_system_sgpr_private_segment_wavefront_offset 0
		.amdhsa_system_sgpr_workgroup_id_x 1
		.amdhsa_system_sgpr_workgroup_id_y 0
		.amdhsa_system_sgpr_workgroup_id_z 0
		.amdhsa_system_sgpr_workgroup_info 0
		.amdhsa_system_vgpr_workitem_id 0
		.amdhsa_next_free_vgpr 1
		.amdhsa_next_free_sgpr 0
		.amdhsa_accum_offset 4
		.amdhsa_reserve_vcc 0
		.amdhsa_reserve_flat_scratch 0
		.amdhsa_float_round_mode_32 0
		.amdhsa_float_round_mode_16_64 0
		.amdhsa_float_denorm_mode_32 3
		.amdhsa_float_denorm_mode_16_64 3
		.amdhsa_dx10_clamp 1
		.amdhsa_ieee_mode 1
		.amdhsa_fp16_overflow 0
		.amdhsa_tg_split 0
		.amdhsa_exception_fp_ieee_invalid_op 0
		.amdhsa_exception_fp_denorm_src 0
		.amdhsa_exception_fp_ieee_div_zero 0
		.amdhsa_exception_fp_ieee_overflow 0
		.amdhsa_exception_fp_ieee_underflow 0
		.amdhsa_exception_fp_ieee_inexact 0
		.amdhsa_exception_int_div_zero 0
	.end_amdhsa_kernel
	.section	.text._ZN7rocprim17ROCPRIM_400000_NS6detail17trampoline_kernelINS0_14default_configENS1_35radix_sort_onesweep_config_selectorIaNS0_10empty_typeEEEZNS1_34radix_sort_onesweep_global_offsetsIS3_Lb0EPaPS5_mNS0_19identity_decomposerEEE10hipError_tT1_T2_PT3_SE_jT4_jjP12ihipStream_tbEUlT_E_NS1_11comp_targetILNS1_3genE9ELNS1_11target_archE1100ELNS1_3gpuE3ELNS1_3repE0EEENS1_52radix_sort_onesweep_histogram_config_static_selectorELNS0_4arch9wavefront6targetE1EEEvSC_,"axG",@progbits,_ZN7rocprim17ROCPRIM_400000_NS6detail17trampoline_kernelINS0_14default_configENS1_35radix_sort_onesweep_config_selectorIaNS0_10empty_typeEEEZNS1_34radix_sort_onesweep_global_offsetsIS3_Lb0EPaPS5_mNS0_19identity_decomposerEEE10hipError_tT1_T2_PT3_SE_jT4_jjP12ihipStream_tbEUlT_E_NS1_11comp_targetILNS1_3genE9ELNS1_11target_archE1100ELNS1_3gpuE3ELNS1_3repE0EEENS1_52radix_sort_onesweep_histogram_config_static_selectorELNS0_4arch9wavefront6targetE1EEEvSC_,comdat
.Lfunc_end199:
	.size	_ZN7rocprim17ROCPRIM_400000_NS6detail17trampoline_kernelINS0_14default_configENS1_35radix_sort_onesweep_config_selectorIaNS0_10empty_typeEEEZNS1_34radix_sort_onesweep_global_offsetsIS3_Lb0EPaPS5_mNS0_19identity_decomposerEEE10hipError_tT1_T2_PT3_SE_jT4_jjP12ihipStream_tbEUlT_E_NS1_11comp_targetILNS1_3genE9ELNS1_11target_archE1100ELNS1_3gpuE3ELNS1_3repE0EEENS1_52radix_sort_onesweep_histogram_config_static_selectorELNS0_4arch9wavefront6targetE1EEEvSC_, .Lfunc_end199-_ZN7rocprim17ROCPRIM_400000_NS6detail17trampoline_kernelINS0_14default_configENS1_35radix_sort_onesweep_config_selectorIaNS0_10empty_typeEEEZNS1_34radix_sort_onesweep_global_offsetsIS3_Lb0EPaPS5_mNS0_19identity_decomposerEEE10hipError_tT1_T2_PT3_SE_jT4_jjP12ihipStream_tbEUlT_E_NS1_11comp_targetILNS1_3genE9ELNS1_11target_archE1100ELNS1_3gpuE3ELNS1_3repE0EEENS1_52radix_sort_onesweep_histogram_config_static_selectorELNS0_4arch9wavefront6targetE1EEEvSC_
                                        ; -- End function
	.section	.AMDGPU.csdata,"",@progbits
; Kernel info:
; codeLenInByte = 0
; NumSgprs: 4
; NumVgprs: 0
; NumAgprs: 0
; TotalNumVgprs: 0
; ScratchSize: 0
; MemoryBound: 0
; FloatMode: 240
; IeeeMode: 1
; LDSByteSize: 0 bytes/workgroup (compile time only)
; SGPRBlocks: 0
; VGPRBlocks: 0
; NumSGPRsForWavesPerEU: 4
; NumVGPRsForWavesPerEU: 1
; AccumOffset: 4
; Occupancy: 8
; WaveLimiterHint : 0
; COMPUTE_PGM_RSRC2:SCRATCH_EN: 0
; COMPUTE_PGM_RSRC2:USER_SGPR: 6
; COMPUTE_PGM_RSRC2:TRAP_HANDLER: 0
; COMPUTE_PGM_RSRC2:TGID_X_EN: 1
; COMPUTE_PGM_RSRC2:TGID_Y_EN: 0
; COMPUTE_PGM_RSRC2:TGID_Z_EN: 0
; COMPUTE_PGM_RSRC2:TIDIG_COMP_CNT: 0
; COMPUTE_PGM_RSRC3_GFX90A:ACCUM_OFFSET: 0
; COMPUTE_PGM_RSRC3_GFX90A:TG_SPLIT: 0
	.section	.text._ZN7rocprim17ROCPRIM_400000_NS6detail17trampoline_kernelINS0_14default_configENS1_35radix_sort_onesweep_config_selectorIaNS0_10empty_typeEEEZNS1_34radix_sort_onesweep_global_offsetsIS3_Lb0EPaPS5_mNS0_19identity_decomposerEEE10hipError_tT1_T2_PT3_SE_jT4_jjP12ihipStream_tbEUlT_E_NS1_11comp_targetILNS1_3genE8ELNS1_11target_archE1030ELNS1_3gpuE2ELNS1_3repE0EEENS1_52radix_sort_onesweep_histogram_config_static_selectorELNS0_4arch9wavefront6targetE1EEEvSC_,"axG",@progbits,_ZN7rocprim17ROCPRIM_400000_NS6detail17trampoline_kernelINS0_14default_configENS1_35radix_sort_onesweep_config_selectorIaNS0_10empty_typeEEEZNS1_34radix_sort_onesweep_global_offsetsIS3_Lb0EPaPS5_mNS0_19identity_decomposerEEE10hipError_tT1_T2_PT3_SE_jT4_jjP12ihipStream_tbEUlT_E_NS1_11comp_targetILNS1_3genE8ELNS1_11target_archE1030ELNS1_3gpuE2ELNS1_3repE0EEENS1_52radix_sort_onesweep_histogram_config_static_selectorELNS0_4arch9wavefront6targetE1EEEvSC_,comdat
	.protected	_ZN7rocprim17ROCPRIM_400000_NS6detail17trampoline_kernelINS0_14default_configENS1_35radix_sort_onesweep_config_selectorIaNS0_10empty_typeEEEZNS1_34radix_sort_onesweep_global_offsetsIS3_Lb0EPaPS5_mNS0_19identity_decomposerEEE10hipError_tT1_T2_PT3_SE_jT4_jjP12ihipStream_tbEUlT_E_NS1_11comp_targetILNS1_3genE8ELNS1_11target_archE1030ELNS1_3gpuE2ELNS1_3repE0EEENS1_52radix_sort_onesweep_histogram_config_static_selectorELNS0_4arch9wavefront6targetE1EEEvSC_ ; -- Begin function _ZN7rocprim17ROCPRIM_400000_NS6detail17trampoline_kernelINS0_14default_configENS1_35radix_sort_onesweep_config_selectorIaNS0_10empty_typeEEEZNS1_34radix_sort_onesweep_global_offsetsIS3_Lb0EPaPS5_mNS0_19identity_decomposerEEE10hipError_tT1_T2_PT3_SE_jT4_jjP12ihipStream_tbEUlT_E_NS1_11comp_targetILNS1_3genE8ELNS1_11target_archE1030ELNS1_3gpuE2ELNS1_3repE0EEENS1_52radix_sort_onesweep_histogram_config_static_selectorELNS0_4arch9wavefront6targetE1EEEvSC_
	.globl	_ZN7rocprim17ROCPRIM_400000_NS6detail17trampoline_kernelINS0_14default_configENS1_35radix_sort_onesweep_config_selectorIaNS0_10empty_typeEEEZNS1_34radix_sort_onesweep_global_offsetsIS3_Lb0EPaPS5_mNS0_19identity_decomposerEEE10hipError_tT1_T2_PT3_SE_jT4_jjP12ihipStream_tbEUlT_E_NS1_11comp_targetILNS1_3genE8ELNS1_11target_archE1030ELNS1_3gpuE2ELNS1_3repE0EEENS1_52radix_sort_onesweep_histogram_config_static_selectorELNS0_4arch9wavefront6targetE1EEEvSC_
	.p2align	8
	.type	_ZN7rocprim17ROCPRIM_400000_NS6detail17trampoline_kernelINS0_14default_configENS1_35radix_sort_onesweep_config_selectorIaNS0_10empty_typeEEEZNS1_34radix_sort_onesweep_global_offsetsIS3_Lb0EPaPS5_mNS0_19identity_decomposerEEE10hipError_tT1_T2_PT3_SE_jT4_jjP12ihipStream_tbEUlT_E_NS1_11comp_targetILNS1_3genE8ELNS1_11target_archE1030ELNS1_3gpuE2ELNS1_3repE0EEENS1_52radix_sort_onesweep_histogram_config_static_selectorELNS0_4arch9wavefront6targetE1EEEvSC_,@function
_ZN7rocprim17ROCPRIM_400000_NS6detail17trampoline_kernelINS0_14default_configENS1_35radix_sort_onesweep_config_selectorIaNS0_10empty_typeEEEZNS1_34radix_sort_onesweep_global_offsetsIS3_Lb0EPaPS5_mNS0_19identity_decomposerEEE10hipError_tT1_T2_PT3_SE_jT4_jjP12ihipStream_tbEUlT_E_NS1_11comp_targetILNS1_3genE8ELNS1_11target_archE1030ELNS1_3gpuE2ELNS1_3repE0EEENS1_52radix_sort_onesweep_histogram_config_static_selectorELNS0_4arch9wavefront6targetE1EEEvSC_: ; @_ZN7rocprim17ROCPRIM_400000_NS6detail17trampoline_kernelINS0_14default_configENS1_35radix_sort_onesweep_config_selectorIaNS0_10empty_typeEEEZNS1_34radix_sort_onesweep_global_offsetsIS3_Lb0EPaPS5_mNS0_19identity_decomposerEEE10hipError_tT1_T2_PT3_SE_jT4_jjP12ihipStream_tbEUlT_E_NS1_11comp_targetILNS1_3genE8ELNS1_11target_archE1030ELNS1_3gpuE2ELNS1_3repE0EEENS1_52radix_sort_onesweep_histogram_config_static_selectorELNS0_4arch9wavefront6targetE1EEEvSC_
; %bb.0:
	.section	.rodata,"a",@progbits
	.p2align	6, 0x0
	.amdhsa_kernel _ZN7rocprim17ROCPRIM_400000_NS6detail17trampoline_kernelINS0_14default_configENS1_35radix_sort_onesweep_config_selectorIaNS0_10empty_typeEEEZNS1_34radix_sort_onesweep_global_offsetsIS3_Lb0EPaPS5_mNS0_19identity_decomposerEEE10hipError_tT1_T2_PT3_SE_jT4_jjP12ihipStream_tbEUlT_E_NS1_11comp_targetILNS1_3genE8ELNS1_11target_archE1030ELNS1_3gpuE2ELNS1_3repE0EEENS1_52radix_sort_onesweep_histogram_config_static_selectorELNS0_4arch9wavefront6targetE1EEEvSC_
		.amdhsa_group_segment_fixed_size 0
		.amdhsa_private_segment_fixed_size 0
		.amdhsa_kernarg_size 48
		.amdhsa_user_sgpr_count 6
		.amdhsa_user_sgpr_private_segment_buffer 1
		.amdhsa_user_sgpr_dispatch_ptr 0
		.amdhsa_user_sgpr_queue_ptr 0
		.amdhsa_user_sgpr_kernarg_segment_ptr 1
		.amdhsa_user_sgpr_dispatch_id 0
		.amdhsa_user_sgpr_flat_scratch_init 0
		.amdhsa_user_sgpr_kernarg_preload_length 0
		.amdhsa_user_sgpr_kernarg_preload_offset 0
		.amdhsa_user_sgpr_private_segment_size 0
		.amdhsa_uses_dynamic_stack 0
		.amdhsa_system_sgpr_private_segment_wavefront_offset 0
		.amdhsa_system_sgpr_workgroup_id_x 1
		.amdhsa_system_sgpr_workgroup_id_y 0
		.amdhsa_system_sgpr_workgroup_id_z 0
		.amdhsa_system_sgpr_workgroup_info 0
		.amdhsa_system_vgpr_workitem_id 0
		.amdhsa_next_free_vgpr 1
		.amdhsa_next_free_sgpr 0
		.amdhsa_accum_offset 4
		.amdhsa_reserve_vcc 0
		.amdhsa_reserve_flat_scratch 0
		.amdhsa_float_round_mode_32 0
		.amdhsa_float_round_mode_16_64 0
		.amdhsa_float_denorm_mode_32 3
		.amdhsa_float_denorm_mode_16_64 3
		.amdhsa_dx10_clamp 1
		.amdhsa_ieee_mode 1
		.amdhsa_fp16_overflow 0
		.amdhsa_tg_split 0
		.amdhsa_exception_fp_ieee_invalid_op 0
		.amdhsa_exception_fp_denorm_src 0
		.amdhsa_exception_fp_ieee_div_zero 0
		.amdhsa_exception_fp_ieee_overflow 0
		.amdhsa_exception_fp_ieee_underflow 0
		.amdhsa_exception_fp_ieee_inexact 0
		.amdhsa_exception_int_div_zero 0
	.end_amdhsa_kernel
	.section	.text._ZN7rocprim17ROCPRIM_400000_NS6detail17trampoline_kernelINS0_14default_configENS1_35radix_sort_onesweep_config_selectorIaNS0_10empty_typeEEEZNS1_34radix_sort_onesweep_global_offsetsIS3_Lb0EPaPS5_mNS0_19identity_decomposerEEE10hipError_tT1_T2_PT3_SE_jT4_jjP12ihipStream_tbEUlT_E_NS1_11comp_targetILNS1_3genE8ELNS1_11target_archE1030ELNS1_3gpuE2ELNS1_3repE0EEENS1_52radix_sort_onesweep_histogram_config_static_selectorELNS0_4arch9wavefront6targetE1EEEvSC_,"axG",@progbits,_ZN7rocprim17ROCPRIM_400000_NS6detail17trampoline_kernelINS0_14default_configENS1_35radix_sort_onesweep_config_selectorIaNS0_10empty_typeEEEZNS1_34radix_sort_onesweep_global_offsetsIS3_Lb0EPaPS5_mNS0_19identity_decomposerEEE10hipError_tT1_T2_PT3_SE_jT4_jjP12ihipStream_tbEUlT_E_NS1_11comp_targetILNS1_3genE8ELNS1_11target_archE1030ELNS1_3gpuE2ELNS1_3repE0EEENS1_52radix_sort_onesweep_histogram_config_static_selectorELNS0_4arch9wavefront6targetE1EEEvSC_,comdat
.Lfunc_end200:
	.size	_ZN7rocprim17ROCPRIM_400000_NS6detail17trampoline_kernelINS0_14default_configENS1_35radix_sort_onesweep_config_selectorIaNS0_10empty_typeEEEZNS1_34radix_sort_onesweep_global_offsetsIS3_Lb0EPaPS5_mNS0_19identity_decomposerEEE10hipError_tT1_T2_PT3_SE_jT4_jjP12ihipStream_tbEUlT_E_NS1_11comp_targetILNS1_3genE8ELNS1_11target_archE1030ELNS1_3gpuE2ELNS1_3repE0EEENS1_52radix_sort_onesweep_histogram_config_static_selectorELNS0_4arch9wavefront6targetE1EEEvSC_, .Lfunc_end200-_ZN7rocprim17ROCPRIM_400000_NS6detail17trampoline_kernelINS0_14default_configENS1_35radix_sort_onesweep_config_selectorIaNS0_10empty_typeEEEZNS1_34radix_sort_onesweep_global_offsetsIS3_Lb0EPaPS5_mNS0_19identity_decomposerEEE10hipError_tT1_T2_PT3_SE_jT4_jjP12ihipStream_tbEUlT_E_NS1_11comp_targetILNS1_3genE8ELNS1_11target_archE1030ELNS1_3gpuE2ELNS1_3repE0EEENS1_52radix_sort_onesweep_histogram_config_static_selectorELNS0_4arch9wavefront6targetE1EEEvSC_
                                        ; -- End function
	.section	.AMDGPU.csdata,"",@progbits
; Kernel info:
; codeLenInByte = 0
; NumSgprs: 4
; NumVgprs: 0
; NumAgprs: 0
; TotalNumVgprs: 0
; ScratchSize: 0
; MemoryBound: 0
; FloatMode: 240
; IeeeMode: 1
; LDSByteSize: 0 bytes/workgroup (compile time only)
; SGPRBlocks: 0
; VGPRBlocks: 0
; NumSGPRsForWavesPerEU: 4
; NumVGPRsForWavesPerEU: 1
; AccumOffset: 4
; Occupancy: 8
; WaveLimiterHint : 0
; COMPUTE_PGM_RSRC2:SCRATCH_EN: 0
; COMPUTE_PGM_RSRC2:USER_SGPR: 6
; COMPUTE_PGM_RSRC2:TRAP_HANDLER: 0
; COMPUTE_PGM_RSRC2:TGID_X_EN: 1
; COMPUTE_PGM_RSRC2:TGID_Y_EN: 0
; COMPUTE_PGM_RSRC2:TGID_Z_EN: 0
; COMPUTE_PGM_RSRC2:TIDIG_COMP_CNT: 0
; COMPUTE_PGM_RSRC3_GFX90A:ACCUM_OFFSET: 0
; COMPUTE_PGM_RSRC3_GFX90A:TG_SPLIT: 0
	.section	.text._ZN7rocprim17ROCPRIM_400000_NS6detail17trampoline_kernelINS0_14default_configENS1_35radix_sort_onesweep_config_selectorIaNS0_10empty_typeEEEZNS1_34radix_sort_onesweep_global_offsetsIS3_Lb0EPaPS5_mNS0_19identity_decomposerEEE10hipError_tT1_T2_PT3_SE_jT4_jjP12ihipStream_tbEUlT_E0_NS1_11comp_targetILNS1_3genE0ELNS1_11target_archE4294967295ELNS1_3gpuE0ELNS1_3repE0EEENS1_52radix_sort_onesweep_histogram_config_static_selectorELNS0_4arch9wavefront6targetE1EEEvSC_,"axG",@progbits,_ZN7rocprim17ROCPRIM_400000_NS6detail17trampoline_kernelINS0_14default_configENS1_35radix_sort_onesweep_config_selectorIaNS0_10empty_typeEEEZNS1_34radix_sort_onesweep_global_offsetsIS3_Lb0EPaPS5_mNS0_19identity_decomposerEEE10hipError_tT1_T2_PT3_SE_jT4_jjP12ihipStream_tbEUlT_E0_NS1_11comp_targetILNS1_3genE0ELNS1_11target_archE4294967295ELNS1_3gpuE0ELNS1_3repE0EEENS1_52radix_sort_onesweep_histogram_config_static_selectorELNS0_4arch9wavefront6targetE1EEEvSC_,comdat
	.protected	_ZN7rocprim17ROCPRIM_400000_NS6detail17trampoline_kernelINS0_14default_configENS1_35radix_sort_onesweep_config_selectorIaNS0_10empty_typeEEEZNS1_34radix_sort_onesweep_global_offsetsIS3_Lb0EPaPS5_mNS0_19identity_decomposerEEE10hipError_tT1_T2_PT3_SE_jT4_jjP12ihipStream_tbEUlT_E0_NS1_11comp_targetILNS1_3genE0ELNS1_11target_archE4294967295ELNS1_3gpuE0ELNS1_3repE0EEENS1_52radix_sort_onesweep_histogram_config_static_selectorELNS0_4arch9wavefront6targetE1EEEvSC_ ; -- Begin function _ZN7rocprim17ROCPRIM_400000_NS6detail17trampoline_kernelINS0_14default_configENS1_35radix_sort_onesweep_config_selectorIaNS0_10empty_typeEEEZNS1_34radix_sort_onesweep_global_offsetsIS3_Lb0EPaPS5_mNS0_19identity_decomposerEEE10hipError_tT1_T2_PT3_SE_jT4_jjP12ihipStream_tbEUlT_E0_NS1_11comp_targetILNS1_3genE0ELNS1_11target_archE4294967295ELNS1_3gpuE0ELNS1_3repE0EEENS1_52radix_sort_onesweep_histogram_config_static_selectorELNS0_4arch9wavefront6targetE1EEEvSC_
	.globl	_ZN7rocprim17ROCPRIM_400000_NS6detail17trampoline_kernelINS0_14default_configENS1_35radix_sort_onesweep_config_selectorIaNS0_10empty_typeEEEZNS1_34radix_sort_onesweep_global_offsetsIS3_Lb0EPaPS5_mNS0_19identity_decomposerEEE10hipError_tT1_T2_PT3_SE_jT4_jjP12ihipStream_tbEUlT_E0_NS1_11comp_targetILNS1_3genE0ELNS1_11target_archE4294967295ELNS1_3gpuE0ELNS1_3repE0EEENS1_52radix_sort_onesweep_histogram_config_static_selectorELNS0_4arch9wavefront6targetE1EEEvSC_
	.p2align	8
	.type	_ZN7rocprim17ROCPRIM_400000_NS6detail17trampoline_kernelINS0_14default_configENS1_35radix_sort_onesweep_config_selectorIaNS0_10empty_typeEEEZNS1_34radix_sort_onesweep_global_offsetsIS3_Lb0EPaPS5_mNS0_19identity_decomposerEEE10hipError_tT1_T2_PT3_SE_jT4_jjP12ihipStream_tbEUlT_E0_NS1_11comp_targetILNS1_3genE0ELNS1_11target_archE4294967295ELNS1_3gpuE0ELNS1_3repE0EEENS1_52radix_sort_onesweep_histogram_config_static_selectorELNS0_4arch9wavefront6targetE1EEEvSC_,@function
_ZN7rocprim17ROCPRIM_400000_NS6detail17trampoline_kernelINS0_14default_configENS1_35radix_sort_onesweep_config_selectorIaNS0_10empty_typeEEEZNS1_34radix_sort_onesweep_global_offsetsIS3_Lb0EPaPS5_mNS0_19identity_decomposerEEE10hipError_tT1_T2_PT3_SE_jT4_jjP12ihipStream_tbEUlT_E0_NS1_11comp_targetILNS1_3genE0ELNS1_11target_archE4294967295ELNS1_3gpuE0ELNS1_3repE0EEENS1_52radix_sort_onesweep_histogram_config_static_selectorELNS0_4arch9wavefront6targetE1EEEvSC_: ; @_ZN7rocprim17ROCPRIM_400000_NS6detail17trampoline_kernelINS0_14default_configENS1_35radix_sort_onesweep_config_selectorIaNS0_10empty_typeEEEZNS1_34radix_sort_onesweep_global_offsetsIS3_Lb0EPaPS5_mNS0_19identity_decomposerEEE10hipError_tT1_T2_PT3_SE_jT4_jjP12ihipStream_tbEUlT_E0_NS1_11comp_targetILNS1_3genE0ELNS1_11target_archE4294967295ELNS1_3gpuE0ELNS1_3repE0EEENS1_52radix_sort_onesweep_histogram_config_static_selectorELNS0_4arch9wavefront6targetE1EEEvSC_
; %bb.0:
	.section	.rodata,"a",@progbits
	.p2align	6, 0x0
	.amdhsa_kernel _ZN7rocprim17ROCPRIM_400000_NS6detail17trampoline_kernelINS0_14default_configENS1_35radix_sort_onesweep_config_selectorIaNS0_10empty_typeEEEZNS1_34radix_sort_onesweep_global_offsetsIS3_Lb0EPaPS5_mNS0_19identity_decomposerEEE10hipError_tT1_T2_PT3_SE_jT4_jjP12ihipStream_tbEUlT_E0_NS1_11comp_targetILNS1_3genE0ELNS1_11target_archE4294967295ELNS1_3gpuE0ELNS1_3repE0EEENS1_52radix_sort_onesweep_histogram_config_static_selectorELNS0_4arch9wavefront6targetE1EEEvSC_
		.amdhsa_group_segment_fixed_size 0
		.amdhsa_private_segment_fixed_size 0
		.amdhsa_kernarg_size 8
		.amdhsa_user_sgpr_count 6
		.amdhsa_user_sgpr_private_segment_buffer 1
		.amdhsa_user_sgpr_dispatch_ptr 0
		.amdhsa_user_sgpr_queue_ptr 0
		.amdhsa_user_sgpr_kernarg_segment_ptr 1
		.amdhsa_user_sgpr_dispatch_id 0
		.amdhsa_user_sgpr_flat_scratch_init 0
		.amdhsa_user_sgpr_kernarg_preload_length 0
		.amdhsa_user_sgpr_kernarg_preload_offset 0
		.amdhsa_user_sgpr_private_segment_size 0
		.amdhsa_uses_dynamic_stack 0
		.amdhsa_system_sgpr_private_segment_wavefront_offset 0
		.amdhsa_system_sgpr_workgroup_id_x 1
		.amdhsa_system_sgpr_workgroup_id_y 0
		.amdhsa_system_sgpr_workgroup_id_z 0
		.amdhsa_system_sgpr_workgroup_info 0
		.amdhsa_system_vgpr_workitem_id 0
		.amdhsa_next_free_vgpr 1
		.amdhsa_next_free_sgpr 0
		.amdhsa_accum_offset 4
		.amdhsa_reserve_vcc 0
		.amdhsa_reserve_flat_scratch 0
		.amdhsa_float_round_mode_32 0
		.amdhsa_float_round_mode_16_64 0
		.amdhsa_float_denorm_mode_32 3
		.amdhsa_float_denorm_mode_16_64 3
		.amdhsa_dx10_clamp 1
		.amdhsa_ieee_mode 1
		.amdhsa_fp16_overflow 0
		.amdhsa_tg_split 0
		.amdhsa_exception_fp_ieee_invalid_op 0
		.amdhsa_exception_fp_denorm_src 0
		.amdhsa_exception_fp_ieee_div_zero 0
		.amdhsa_exception_fp_ieee_overflow 0
		.amdhsa_exception_fp_ieee_underflow 0
		.amdhsa_exception_fp_ieee_inexact 0
		.amdhsa_exception_int_div_zero 0
	.end_amdhsa_kernel
	.section	.text._ZN7rocprim17ROCPRIM_400000_NS6detail17trampoline_kernelINS0_14default_configENS1_35radix_sort_onesweep_config_selectorIaNS0_10empty_typeEEEZNS1_34radix_sort_onesweep_global_offsetsIS3_Lb0EPaPS5_mNS0_19identity_decomposerEEE10hipError_tT1_T2_PT3_SE_jT4_jjP12ihipStream_tbEUlT_E0_NS1_11comp_targetILNS1_3genE0ELNS1_11target_archE4294967295ELNS1_3gpuE0ELNS1_3repE0EEENS1_52radix_sort_onesweep_histogram_config_static_selectorELNS0_4arch9wavefront6targetE1EEEvSC_,"axG",@progbits,_ZN7rocprim17ROCPRIM_400000_NS6detail17trampoline_kernelINS0_14default_configENS1_35radix_sort_onesweep_config_selectorIaNS0_10empty_typeEEEZNS1_34radix_sort_onesweep_global_offsetsIS3_Lb0EPaPS5_mNS0_19identity_decomposerEEE10hipError_tT1_T2_PT3_SE_jT4_jjP12ihipStream_tbEUlT_E0_NS1_11comp_targetILNS1_3genE0ELNS1_11target_archE4294967295ELNS1_3gpuE0ELNS1_3repE0EEENS1_52radix_sort_onesweep_histogram_config_static_selectorELNS0_4arch9wavefront6targetE1EEEvSC_,comdat
.Lfunc_end201:
	.size	_ZN7rocprim17ROCPRIM_400000_NS6detail17trampoline_kernelINS0_14default_configENS1_35radix_sort_onesweep_config_selectorIaNS0_10empty_typeEEEZNS1_34radix_sort_onesweep_global_offsetsIS3_Lb0EPaPS5_mNS0_19identity_decomposerEEE10hipError_tT1_T2_PT3_SE_jT4_jjP12ihipStream_tbEUlT_E0_NS1_11comp_targetILNS1_3genE0ELNS1_11target_archE4294967295ELNS1_3gpuE0ELNS1_3repE0EEENS1_52radix_sort_onesweep_histogram_config_static_selectorELNS0_4arch9wavefront6targetE1EEEvSC_, .Lfunc_end201-_ZN7rocprim17ROCPRIM_400000_NS6detail17trampoline_kernelINS0_14default_configENS1_35radix_sort_onesweep_config_selectorIaNS0_10empty_typeEEEZNS1_34radix_sort_onesweep_global_offsetsIS3_Lb0EPaPS5_mNS0_19identity_decomposerEEE10hipError_tT1_T2_PT3_SE_jT4_jjP12ihipStream_tbEUlT_E0_NS1_11comp_targetILNS1_3genE0ELNS1_11target_archE4294967295ELNS1_3gpuE0ELNS1_3repE0EEENS1_52radix_sort_onesweep_histogram_config_static_selectorELNS0_4arch9wavefront6targetE1EEEvSC_
                                        ; -- End function
	.section	.AMDGPU.csdata,"",@progbits
; Kernel info:
; codeLenInByte = 0
; NumSgprs: 4
; NumVgprs: 0
; NumAgprs: 0
; TotalNumVgprs: 0
; ScratchSize: 0
; MemoryBound: 0
; FloatMode: 240
; IeeeMode: 1
; LDSByteSize: 0 bytes/workgroup (compile time only)
; SGPRBlocks: 0
; VGPRBlocks: 0
; NumSGPRsForWavesPerEU: 4
; NumVGPRsForWavesPerEU: 1
; AccumOffset: 4
; Occupancy: 8
; WaveLimiterHint : 0
; COMPUTE_PGM_RSRC2:SCRATCH_EN: 0
; COMPUTE_PGM_RSRC2:USER_SGPR: 6
; COMPUTE_PGM_RSRC2:TRAP_HANDLER: 0
; COMPUTE_PGM_RSRC2:TGID_X_EN: 1
; COMPUTE_PGM_RSRC2:TGID_Y_EN: 0
; COMPUTE_PGM_RSRC2:TGID_Z_EN: 0
; COMPUTE_PGM_RSRC2:TIDIG_COMP_CNT: 0
; COMPUTE_PGM_RSRC3_GFX90A:ACCUM_OFFSET: 0
; COMPUTE_PGM_RSRC3_GFX90A:TG_SPLIT: 0
	.section	.text._ZN7rocprim17ROCPRIM_400000_NS6detail17trampoline_kernelINS0_14default_configENS1_35radix_sort_onesweep_config_selectorIaNS0_10empty_typeEEEZNS1_34radix_sort_onesweep_global_offsetsIS3_Lb0EPaPS5_mNS0_19identity_decomposerEEE10hipError_tT1_T2_PT3_SE_jT4_jjP12ihipStream_tbEUlT_E0_NS1_11comp_targetILNS1_3genE6ELNS1_11target_archE950ELNS1_3gpuE13ELNS1_3repE0EEENS1_52radix_sort_onesweep_histogram_config_static_selectorELNS0_4arch9wavefront6targetE1EEEvSC_,"axG",@progbits,_ZN7rocprim17ROCPRIM_400000_NS6detail17trampoline_kernelINS0_14default_configENS1_35radix_sort_onesweep_config_selectorIaNS0_10empty_typeEEEZNS1_34radix_sort_onesweep_global_offsetsIS3_Lb0EPaPS5_mNS0_19identity_decomposerEEE10hipError_tT1_T2_PT3_SE_jT4_jjP12ihipStream_tbEUlT_E0_NS1_11comp_targetILNS1_3genE6ELNS1_11target_archE950ELNS1_3gpuE13ELNS1_3repE0EEENS1_52radix_sort_onesweep_histogram_config_static_selectorELNS0_4arch9wavefront6targetE1EEEvSC_,comdat
	.protected	_ZN7rocprim17ROCPRIM_400000_NS6detail17trampoline_kernelINS0_14default_configENS1_35radix_sort_onesweep_config_selectorIaNS0_10empty_typeEEEZNS1_34radix_sort_onesweep_global_offsetsIS3_Lb0EPaPS5_mNS0_19identity_decomposerEEE10hipError_tT1_T2_PT3_SE_jT4_jjP12ihipStream_tbEUlT_E0_NS1_11comp_targetILNS1_3genE6ELNS1_11target_archE950ELNS1_3gpuE13ELNS1_3repE0EEENS1_52radix_sort_onesweep_histogram_config_static_selectorELNS0_4arch9wavefront6targetE1EEEvSC_ ; -- Begin function _ZN7rocprim17ROCPRIM_400000_NS6detail17trampoline_kernelINS0_14default_configENS1_35radix_sort_onesweep_config_selectorIaNS0_10empty_typeEEEZNS1_34radix_sort_onesweep_global_offsetsIS3_Lb0EPaPS5_mNS0_19identity_decomposerEEE10hipError_tT1_T2_PT3_SE_jT4_jjP12ihipStream_tbEUlT_E0_NS1_11comp_targetILNS1_3genE6ELNS1_11target_archE950ELNS1_3gpuE13ELNS1_3repE0EEENS1_52radix_sort_onesweep_histogram_config_static_selectorELNS0_4arch9wavefront6targetE1EEEvSC_
	.globl	_ZN7rocprim17ROCPRIM_400000_NS6detail17trampoline_kernelINS0_14default_configENS1_35radix_sort_onesweep_config_selectorIaNS0_10empty_typeEEEZNS1_34radix_sort_onesweep_global_offsetsIS3_Lb0EPaPS5_mNS0_19identity_decomposerEEE10hipError_tT1_T2_PT3_SE_jT4_jjP12ihipStream_tbEUlT_E0_NS1_11comp_targetILNS1_3genE6ELNS1_11target_archE950ELNS1_3gpuE13ELNS1_3repE0EEENS1_52radix_sort_onesweep_histogram_config_static_selectorELNS0_4arch9wavefront6targetE1EEEvSC_
	.p2align	8
	.type	_ZN7rocprim17ROCPRIM_400000_NS6detail17trampoline_kernelINS0_14default_configENS1_35radix_sort_onesweep_config_selectorIaNS0_10empty_typeEEEZNS1_34radix_sort_onesweep_global_offsetsIS3_Lb0EPaPS5_mNS0_19identity_decomposerEEE10hipError_tT1_T2_PT3_SE_jT4_jjP12ihipStream_tbEUlT_E0_NS1_11comp_targetILNS1_3genE6ELNS1_11target_archE950ELNS1_3gpuE13ELNS1_3repE0EEENS1_52radix_sort_onesweep_histogram_config_static_selectorELNS0_4arch9wavefront6targetE1EEEvSC_,@function
_ZN7rocprim17ROCPRIM_400000_NS6detail17trampoline_kernelINS0_14default_configENS1_35radix_sort_onesweep_config_selectorIaNS0_10empty_typeEEEZNS1_34radix_sort_onesweep_global_offsetsIS3_Lb0EPaPS5_mNS0_19identity_decomposerEEE10hipError_tT1_T2_PT3_SE_jT4_jjP12ihipStream_tbEUlT_E0_NS1_11comp_targetILNS1_3genE6ELNS1_11target_archE950ELNS1_3gpuE13ELNS1_3repE0EEENS1_52radix_sort_onesweep_histogram_config_static_selectorELNS0_4arch9wavefront6targetE1EEEvSC_: ; @_ZN7rocprim17ROCPRIM_400000_NS6detail17trampoline_kernelINS0_14default_configENS1_35radix_sort_onesweep_config_selectorIaNS0_10empty_typeEEEZNS1_34radix_sort_onesweep_global_offsetsIS3_Lb0EPaPS5_mNS0_19identity_decomposerEEE10hipError_tT1_T2_PT3_SE_jT4_jjP12ihipStream_tbEUlT_E0_NS1_11comp_targetILNS1_3genE6ELNS1_11target_archE950ELNS1_3gpuE13ELNS1_3repE0EEENS1_52radix_sort_onesweep_histogram_config_static_selectorELNS0_4arch9wavefront6targetE1EEEvSC_
; %bb.0:
	.section	.rodata,"a",@progbits
	.p2align	6, 0x0
	.amdhsa_kernel _ZN7rocprim17ROCPRIM_400000_NS6detail17trampoline_kernelINS0_14default_configENS1_35radix_sort_onesweep_config_selectorIaNS0_10empty_typeEEEZNS1_34radix_sort_onesweep_global_offsetsIS3_Lb0EPaPS5_mNS0_19identity_decomposerEEE10hipError_tT1_T2_PT3_SE_jT4_jjP12ihipStream_tbEUlT_E0_NS1_11comp_targetILNS1_3genE6ELNS1_11target_archE950ELNS1_3gpuE13ELNS1_3repE0EEENS1_52radix_sort_onesweep_histogram_config_static_selectorELNS0_4arch9wavefront6targetE1EEEvSC_
		.amdhsa_group_segment_fixed_size 0
		.amdhsa_private_segment_fixed_size 0
		.amdhsa_kernarg_size 8
		.amdhsa_user_sgpr_count 6
		.amdhsa_user_sgpr_private_segment_buffer 1
		.amdhsa_user_sgpr_dispatch_ptr 0
		.amdhsa_user_sgpr_queue_ptr 0
		.amdhsa_user_sgpr_kernarg_segment_ptr 1
		.amdhsa_user_sgpr_dispatch_id 0
		.amdhsa_user_sgpr_flat_scratch_init 0
		.amdhsa_user_sgpr_kernarg_preload_length 0
		.amdhsa_user_sgpr_kernarg_preload_offset 0
		.amdhsa_user_sgpr_private_segment_size 0
		.amdhsa_uses_dynamic_stack 0
		.amdhsa_system_sgpr_private_segment_wavefront_offset 0
		.amdhsa_system_sgpr_workgroup_id_x 1
		.amdhsa_system_sgpr_workgroup_id_y 0
		.amdhsa_system_sgpr_workgroup_id_z 0
		.amdhsa_system_sgpr_workgroup_info 0
		.amdhsa_system_vgpr_workitem_id 0
		.amdhsa_next_free_vgpr 1
		.amdhsa_next_free_sgpr 0
		.amdhsa_accum_offset 4
		.amdhsa_reserve_vcc 0
		.amdhsa_reserve_flat_scratch 0
		.amdhsa_float_round_mode_32 0
		.amdhsa_float_round_mode_16_64 0
		.amdhsa_float_denorm_mode_32 3
		.amdhsa_float_denorm_mode_16_64 3
		.amdhsa_dx10_clamp 1
		.amdhsa_ieee_mode 1
		.amdhsa_fp16_overflow 0
		.amdhsa_tg_split 0
		.amdhsa_exception_fp_ieee_invalid_op 0
		.amdhsa_exception_fp_denorm_src 0
		.amdhsa_exception_fp_ieee_div_zero 0
		.amdhsa_exception_fp_ieee_overflow 0
		.amdhsa_exception_fp_ieee_underflow 0
		.amdhsa_exception_fp_ieee_inexact 0
		.amdhsa_exception_int_div_zero 0
	.end_amdhsa_kernel
	.section	.text._ZN7rocprim17ROCPRIM_400000_NS6detail17trampoline_kernelINS0_14default_configENS1_35radix_sort_onesweep_config_selectorIaNS0_10empty_typeEEEZNS1_34radix_sort_onesweep_global_offsetsIS3_Lb0EPaPS5_mNS0_19identity_decomposerEEE10hipError_tT1_T2_PT3_SE_jT4_jjP12ihipStream_tbEUlT_E0_NS1_11comp_targetILNS1_3genE6ELNS1_11target_archE950ELNS1_3gpuE13ELNS1_3repE0EEENS1_52radix_sort_onesweep_histogram_config_static_selectorELNS0_4arch9wavefront6targetE1EEEvSC_,"axG",@progbits,_ZN7rocprim17ROCPRIM_400000_NS6detail17trampoline_kernelINS0_14default_configENS1_35radix_sort_onesweep_config_selectorIaNS0_10empty_typeEEEZNS1_34radix_sort_onesweep_global_offsetsIS3_Lb0EPaPS5_mNS0_19identity_decomposerEEE10hipError_tT1_T2_PT3_SE_jT4_jjP12ihipStream_tbEUlT_E0_NS1_11comp_targetILNS1_3genE6ELNS1_11target_archE950ELNS1_3gpuE13ELNS1_3repE0EEENS1_52radix_sort_onesweep_histogram_config_static_selectorELNS0_4arch9wavefront6targetE1EEEvSC_,comdat
.Lfunc_end202:
	.size	_ZN7rocprim17ROCPRIM_400000_NS6detail17trampoline_kernelINS0_14default_configENS1_35radix_sort_onesweep_config_selectorIaNS0_10empty_typeEEEZNS1_34radix_sort_onesweep_global_offsetsIS3_Lb0EPaPS5_mNS0_19identity_decomposerEEE10hipError_tT1_T2_PT3_SE_jT4_jjP12ihipStream_tbEUlT_E0_NS1_11comp_targetILNS1_3genE6ELNS1_11target_archE950ELNS1_3gpuE13ELNS1_3repE0EEENS1_52radix_sort_onesweep_histogram_config_static_selectorELNS0_4arch9wavefront6targetE1EEEvSC_, .Lfunc_end202-_ZN7rocprim17ROCPRIM_400000_NS6detail17trampoline_kernelINS0_14default_configENS1_35radix_sort_onesweep_config_selectorIaNS0_10empty_typeEEEZNS1_34radix_sort_onesweep_global_offsetsIS3_Lb0EPaPS5_mNS0_19identity_decomposerEEE10hipError_tT1_T2_PT3_SE_jT4_jjP12ihipStream_tbEUlT_E0_NS1_11comp_targetILNS1_3genE6ELNS1_11target_archE950ELNS1_3gpuE13ELNS1_3repE0EEENS1_52radix_sort_onesweep_histogram_config_static_selectorELNS0_4arch9wavefront6targetE1EEEvSC_
                                        ; -- End function
	.section	.AMDGPU.csdata,"",@progbits
; Kernel info:
; codeLenInByte = 0
; NumSgprs: 4
; NumVgprs: 0
; NumAgprs: 0
; TotalNumVgprs: 0
; ScratchSize: 0
; MemoryBound: 0
; FloatMode: 240
; IeeeMode: 1
; LDSByteSize: 0 bytes/workgroup (compile time only)
; SGPRBlocks: 0
; VGPRBlocks: 0
; NumSGPRsForWavesPerEU: 4
; NumVGPRsForWavesPerEU: 1
; AccumOffset: 4
; Occupancy: 8
; WaveLimiterHint : 0
; COMPUTE_PGM_RSRC2:SCRATCH_EN: 0
; COMPUTE_PGM_RSRC2:USER_SGPR: 6
; COMPUTE_PGM_RSRC2:TRAP_HANDLER: 0
; COMPUTE_PGM_RSRC2:TGID_X_EN: 1
; COMPUTE_PGM_RSRC2:TGID_Y_EN: 0
; COMPUTE_PGM_RSRC2:TGID_Z_EN: 0
; COMPUTE_PGM_RSRC2:TIDIG_COMP_CNT: 0
; COMPUTE_PGM_RSRC3_GFX90A:ACCUM_OFFSET: 0
; COMPUTE_PGM_RSRC3_GFX90A:TG_SPLIT: 0
	.section	.text._ZN7rocprim17ROCPRIM_400000_NS6detail17trampoline_kernelINS0_14default_configENS1_35radix_sort_onesweep_config_selectorIaNS0_10empty_typeEEEZNS1_34radix_sort_onesweep_global_offsetsIS3_Lb0EPaPS5_mNS0_19identity_decomposerEEE10hipError_tT1_T2_PT3_SE_jT4_jjP12ihipStream_tbEUlT_E0_NS1_11comp_targetILNS1_3genE5ELNS1_11target_archE942ELNS1_3gpuE9ELNS1_3repE0EEENS1_52radix_sort_onesweep_histogram_config_static_selectorELNS0_4arch9wavefront6targetE1EEEvSC_,"axG",@progbits,_ZN7rocprim17ROCPRIM_400000_NS6detail17trampoline_kernelINS0_14default_configENS1_35radix_sort_onesweep_config_selectorIaNS0_10empty_typeEEEZNS1_34radix_sort_onesweep_global_offsetsIS3_Lb0EPaPS5_mNS0_19identity_decomposerEEE10hipError_tT1_T2_PT3_SE_jT4_jjP12ihipStream_tbEUlT_E0_NS1_11comp_targetILNS1_3genE5ELNS1_11target_archE942ELNS1_3gpuE9ELNS1_3repE0EEENS1_52radix_sort_onesweep_histogram_config_static_selectorELNS0_4arch9wavefront6targetE1EEEvSC_,comdat
	.protected	_ZN7rocprim17ROCPRIM_400000_NS6detail17trampoline_kernelINS0_14default_configENS1_35radix_sort_onesweep_config_selectorIaNS0_10empty_typeEEEZNS1_34radix_sort_onesweep_global_offsetsIS3_Lb0EPaPS5_mNS0_19identity_decomposerEEE10hipError_tT1_T2_PT3_SE_jT4_jjP12ihipStream_tbEUlT_E0_NS1_11comp_targetILNS1_3genE5ELNS1_11target_archE942ELNS1_3gpuE9ELNS1_3repE0EEENS1_52radix_sort_onesweep_histogram_config_static_selectorELNS0_4arch9wavefront6targetE1EEEvSC_ ; -- Begin function _ZN7rocprim17ROCPRIM_400000_NS6detail17trampoline_kernelINS0_14default_configENS1_35radix_sort_onesweep_config_selectorIaNS0_10empty_typeEEEZNS1_34radix_sort_onesweep_global_offsetsIS3_Lb0EPaPS5_mNS0_19identity_decomposerEEE10hipError_tT1_T2_PT3_SE_jT4_jjP12ihipStream_tbEUlT_E0_NS1_11comp_targetILNS1_3genE5ELNS1_11target_archE942ELNS1_3gpuE9ELNS1_3repE0EEENS1_52radix_sort_onesweep_histogram_config_static_selectorELNS0_4arch9wavefront6targetE1EEEvSC_
	.globl	_ZN7rocprim17ROCPRIM_400000_NS6detail17trampoline_kernelINS0_14default_configENS1_35radix_sort_onesweep_config_selectorIaNS0_10empty_typeEEEZNS1_34radix_sort_onesweep_global_offsetsIS3_Lb0EPaPS5_mNS0_19identity_decomposerEEE10hipError_tT1_T2_PT3_SE_jT4_jjP12ihipStream_tbEUlT_E0_NS1_11comp_targetILNS1_3genE5ELNS1_11target_archE942ELNS1_3gpuE9ELNS1_3repE0EEENS1_52radix_sort_onesweep_histogram_config_static_selectorELNS0_4arch9wavefront6targetE1EEEvSC_
	.p2align	8
	.type	_ZN7rocprim17ROCPRIM_400000_NS6detail17trampoline_kernelINS0_14default_configENS1_35radix_sort_onesweep_config_selectorIaNS0_10empty_typeEEEZNS1_34radix_sort_onesweep_global_offsetsIS3_Lb0EPaPS5_mNS0_19identity_decomposerEEE10hipError_tT1_T2_PT3_SE_jT4_jjP12ihipStream_tbEUlT_E0_NS1_11comp_targetILNS1_3genE5ELNS1_11target_archE942ELNS1_3gpuE9ELNS1_3repE0EEENS1_52radix_sort_onesweep_histogram_config_static_selectorELNS0_4arch9wavefront6targetE1EEEvSC_,@function
_ZN7rocprim17ROCPRIM_400000_NS6detail17trampoline_kernelINS0_14default_configENS1_35radix_sort_onesweep_config_selectorIaNS0_10empty_typeEEEZNS1_34radix_sort_onesweep_global_offsetsIS3_Lb0EPaPS5_mNS0_19identity_decomposerEEE10hipError_tT1_T2_PT3_SE_jT4_jjP12ihipStream_tbEUlT_E0_NS1_11comp_targetILNS1_3genE5ELNS1_11target_archE942ELNS1_3gpuE9ELNS1_3repE0EEENS1_52radix_sort_onesweep_histogram_config_static_selectorELNS0_4arch9wavefront6targetE1EEEvSC_: ; @_ZN7rocprim17ROCPRIM_400000_NS6detail17trampoline_kernelINS0_14default_configENS1_35radix_sort_onesweep_config_selectorIaNS0_10empty_typeEEEZNS1_34radix_sort_onesweep_global_offsetsIS3_Lb0EPaPS5_mNS0_19identity_decomposerEEE10hipError_tT1_T2_PT3_SE_jT4_jjP12ihipStream_tbEUlT_E0_NS1_11comp_targetILNS1_3genE5ELNS1_11target_archE942ELNS1_3gpuE9ELNS1_3repE0EEENS1_52radix_sort_onesweep_histogram_config_static_selectorELNS0_4arch9wavefront6targetE1EEEvSC_
; %bb.0:
	.section	.rodata,"a",@progbits
	.p2align	6, 0x0
	.amdhsa_kernel _ZN7rocprim17ROCPRIM_400000_NS6detail17trampoline_kernelINS0_14default_configENS1_35radix_sort_onesweep_config_selectorIaNS0_10empty_typeEEEZNS1_34radix_sort_onesweep_global_offsetsIS3_Lb0EPaPS5_mNS0_19identity_decomposerEEE10hipError_tT1_T2_PT3_SE_jT4_jjP12ihipStream_tbEUlT_E0_NS1_11comp_targetILNS1_3genE5ELNS1_11target_archE942ELNS1_3gpuE9ELNS1_3repE0EEENS1_52radix_sort_onesweep_histogram_config_static_selectorELNS0_4arch9wavefront6targetE1EEEvSC_
		.amdhsa_group_segment_fixed_size 0
		.amdhsa_private_segment_fixed_size 0
		.amdhsa_kernarg_size 8
		.amdhsa_user_sgpr_count 6
		.amdhsa_user_sgpr_private_segment_buffer 1
		.amdhsa_user_sgpr_dispatch_ptr 0
		.amdhsa_user_sgpr_queue_ptr 0
		.amdhsa_user_sgpr_kernarg_segment_ptr 1
		.amdhsa_user_sgpr_dispatch_id 0
		.amdhsa_user_sgpr_flat_scratch_init 0
		.amdhsa_user_sgpr_kernarg_preload_length 0
		.amdhsa_user_sgpr_kernarg_preload_offset 0
		.amdhsa_user_sgpr_private_segment_size 0
		.amdhsa_uses_dynamic_stack 0
		.amdhsa_system_sgpr_private_segment_wavefront_offset 0
		.amdhsa_system_sgpr_workgroup_id_x 1
		.amdhsa_system_sgpr_workgroup_id_y 0
		.amdhsa_system_sgpr_workgroup_id_z 0
		.amdhsa_system_sgpr_workgroup_info 0
		.amdhsa_system_vgpr_workitem_id 0
		.amdhsa_next_free_vgpr 1
		.amdhsa_next_free_sgpr 0
		.amdhsa_accum_offset 4
		.amdhsa_reserve_vcc 0
		.amdhsa_reserve_flat_scratch 0
		.amdhsa_float_round_mode_32 0
		.amdhsa_float_round_mode_16_64 0
		.amdhsa_float_denorm_mode_32 3
		.amdhsa_float_denorm_mode_16_64 3
		.amdhsa_dx10_clamp 1
		.amdhsa_ieee_mode 1
		.amdhsa_fp16_overflow 0
		.amdhsa_tg_split 0
		.amdhsa_exception_fp_ieee_invalid_op 0
		.amdhsa_exception_fp_denorm_src 0
		.amdhsa_exception_fp_ieee_div_zero 0
		.amdhsa_exception_fp_ieee_overflow 0
		.amdhsa_exception_fp_ieee_underflow 0
		.amdhsa_exception_fp_ieee_inexact 0
		.amdhsa_exception_int_div_zero 0
	.end_amdhsa_kernel
	.section	.text._ZN7rocprim17ROCPRIM_400000_NS6detail17trampoline_kernelINS0_14default_configENS1_35radix_sort_onesweep_config_selectorIaNS0_10empty_typeEEEZNS1_34radix_sort_onesweep_global_offsetsIS3_Lb0EPaPS5_mNS0_19identity_decomposerEEE10hipError_tT1_T2_PT3_SE_jT4_jjP12ihipStream_tbEUlT_E0_NS1_11comp_targetILNS1_3genE5ELNS1_11target_archE942ELNS1_3gpuE9ELNS1_3repE0EEENS1_52radix_sort_onesweep_histogram_config_static_selectorELNS0_4arch9wavefront6targetE1EEEvSC_,"axG",@progbits,_ZN7rocprim17ROCPRIM_400000_NS6detail17trampoline_kernelINS0_14default_configENS1_35radix_sort_onesweep_config_selectorIaNS0_10empty_typeEEEZNS1_34radix_sort_onesweep_global_offsetsIS3_Lb0EPaPS5_mNS0_19identity_decomposerEEE10hipError_tT1_T2_PT3_SE_jT4_jjP12ihipStream_tbEUlT_E0_NS1_11comp_targetILNS1_3genE5ELNS1_11target_archE942ELNS1_3gpuE9ELNS1_3repE0EEENS1_52radix_sort_onesweep_histogram_config_static_selectorELNS0_4arch9wavefront6targetE1EEEvSC_,comdat
.Lfunc_end203:
	.size	_ZN7rocprim17ROCPRIM_400000_NS6detail17trampoline_kernelINS0_14default_configENS1_35radix_sort_onesweep_config_selectorIaNS0_10empty_typeEEEZNS1_34radix_sort_onesweep_global_offsetsIS3_Lb0EPaPS5_mNS0_19identity_decomposerEEE10hipError_tT1_T2_PT3_SE_jT4_jjP12ihipStream_tbEUlT_E0_NS1_11comp_targetILNS1_3genE5ELNS1_11target_archE942ELNS1_3gpuE9ELNS1_3repE0EEENS1_52radix_sort_onesweep_histogram_config_static_selectorELNS0_4arch9wavefront6targetE1EEEvSC_, .Lfunc_end203-_ZN7rocprim17ROCPRIM_400000_NS6detail17trampoline_kernelINS0_14default_configENS1_35radix_sort_onesweep_config_selectorIaNS0_10empty_typeEEEZNS1_34radix_sort_onesweep_global_offsetsIS3_Lb0EPaPS5_mNS0_19identity_decomposerEEE10hipError_tT1_T2_PT3_SE_jT4_jjP12ihipStream_tbEUlT_E0_NS1_11comp_targetILNS1_3genE5ELNS1_11target_archE942ELNS1_3gpuE9ELNS1_3repE0EEENS1_52radix_sort_onesweep_histogram_config_static_selectorELNS0_4arch9wavefront6targetE1EEEvSC_
                                        ; -- End function
	.section	.AMDGPU.csdata,"",@progbits
; Kernel info:
; codeLenInByte = 0
; NumSgprs: 4
; NumVgprs: 0
; NumAgprs: 0
; TotalNumVgprs: 0
; ScratchSize: 0
; MemoryBound: 0
; FloatMode: 240
; IeeeMode: 1
; LDSByteSize: 0 bytes/workgroup (compile time only)
; SGPRBlocks: 0
; VGPRBlocks: 0
; NumSGPRsForWavesPerEU: 4
; NumVGPRsForWavesPerEU: 1
; AccumOffset: 4
; Occupancy: 8
; WaveLimiterHint : 0
; COMPUTE_PGM_RSRC2:SCRATCH_EN: 0
; COMPUTE_PGM_RSRC2:USER_SGPR: 6
; COMPUTE_PGM_RSRC2:TRAP_HANDLER: 0
; COMPUTE_PGM_RSRC2:TGID_X_EN: 1
; COMPUTE_PGM_RSRC2:TGID_Y_EN: 0
; COMPUTE_PGM_RSRC2:TGID_Z_EN: 0
; COMPUTE_PGM_RSRC2:TIDIG_COMP_CNT: 0
; COMPUTE_PGM_RSRC3_GFX90A:ACCUM_OFFSET: 0
; COMPUTE_PGM_RSRC3_GFX90A:TG_SPLIT: 0
	.section	.text._ZN7rocprim17ROCPRIM_400000_NS6detail17trampoline_kernelINS0_14default_configENS1_35radix_sort_onesweep_config_selectorIaNS0_10empty_typeEEEZNS1_34radix_sort_onesweep_global_offsetsIS3_Lb0EPaPS5_mNS0_19identity_decomposerEEE10hipError_tT1_T2_PT3_SE_jT4_jjP12ihipStream_tbEUlT_E0_NS1_11comp_targetILNS1_3genE2ELNS1_11target_archE906ELNS1_3gpuE6ELNS1_3repE0EEENS1_52radix_sort_onesweep_histogram_config_static_selectorELNS0_4arch9wavefront6targetE1EEEvSC_,"axG",@progbits,_ZN7rocprim17ROCPRIM_400000_NS6detail17trampoline_kernelINS0_14default_configENS1_35radix_sort_onesweep_config_selectorIaNS0_10empty_typeEEEZNS1_34radix_sort_onesweep_global_offsetsIS3_Lb0EPaPS5_mNS0_19identity_decomposerEEE10hipError_tT1_T2_PT3_SE_jT4_jjP12ihipStream_tbEUlT_E0_NS1_11comp_targetILNS1_3genE2ELNS1_11target_archE906ELNS1_3gpuE6ELNS1_3repE0EEENS1_52radix_sort_onesweep_histogram_config_static_selectorELNS0_4arch9wavefront6targetE1EEEvSC_,comdat
	.protected	_ZN7rocprim17ROCPRIM_400000_NS6detail17trampoline_kernelINS0_14default_configENS1_35radix_sort_onesweep_config_selectorIaNS0_10empty_typeEEEZNS1_34radix_sort_onesweep_global_offsetsIS3_Lb0EPaPS5_mNS0_19identity_decomposerEEE10hipError_tT1_T2_PT3_SE_jT4_jjP12ihipStream_tbEUlT_E0_NS1_11comp_targetILNS1_3genE2ELNS1_11target_archE906ELNS1_3gpuE6ELNS1_3repE0EEENS1_52radix_sort_onesweep_histogram_config_static_selectorELNS0_4arch9wavefront6targetE1EEEvSC_ ; -- Begin function _ZN7rocprim17ROCPRIM_400000_NS6detail17trampoline_kernelINS0_14default_configENS1_35radix_sort_onesweep_config_selectorIaNS0_10empty_typeEEEZNS1_34radix_sort_onesweep_global_offsetsIS3_Lb0EPaPS5_mNS0_19identity_decomposerEEE10hipError_tT1_T2_PT3_SE_jT4_jjP12ihipStream_tbEUlT_E0_NS1_11comp_targetILNS1_3genE2ELNS1_11target_archE906ELNS1_3gpuE6ELNS1_3repE0EEENS1_52radix_sort_onesweep_histogram_config_static_selectorELNS0_4arch9wavefront6targetE1EEEvSC_
	.globl	_ZN7rocprim17ROCPRIM_400000_NS6detail17trampoline_kernelINS0_14default_configENS1_35radix_sort_onesweep_config_selectorIaNS0_10empty_typeEEEZNS1_34radix_sort_onesweep_global_offsetsIS3_Lb0EPaPS5_mNS0_19identity_decomposerEEE10hipError_tT1_T2_PT3_SE_jT4_jjP12ihipStream_tbEUlT_E0_NS1_11comp_targetILNS1_3genE2ELNS1_11target_archE906ELNS1_3gpuE6ELNS1_3repE0EEENS1_52radix_sort_onesweep_histogram_config_static_selectorELNS0_4arch9wavefront6targetE1EEEvSC_
	.p2align	8
	.type	_ZN7rocprim17ROCPRIM_400000_NS6detail17trampoline_kernelINS0_14default_configENS1_35radix_sort_onesweep_config_selectorIaNS0_10empty_typeEEEZNS1_34radix_sort_onesweep_global_offsetsIS3_Lb0EPaPS5_mNS0_19identity_decomposerEEE10hipError_tT1_T2_PT3_SE_jT4_jjP12ihipStream_tbEUlT_E0_NS1_11comp_targetILNS1_3genE2ELNS1_11target_archE906ELNS1_3gpuE6ELNS1_3repE0EEENS1_52radix_sort_onesweep_histogram_config_static_selectorELNS0_4arch9wavefront6targetE1EEEvSC_,@function
_ZN7rocprim17ROCPRIM_400000_NS6detail17trampoline_kernelINS0_14default_configENS1_35radix_sort_onesweep_config_selectorIaNS0_10empty_typeEEEZNS1_34radix_sort_onesweep_global_offsetsIS3_Lb0EPaPS5_mNS0_19identity_decomposerEEE10hipError_tT1_T2_PT3_SE_jT4_jjP12ihipStream_tbEUlT_E0_NS1_11comp_targetILNS1_3genE2ELNS1_11target_archE906ELNS1_3gpuE6ELNS1_3repE0EEENS1_52radix_sort_onesweep_histogram_config_static_selectorELNS0_4arch9wavefront6targetE1EEEvSC_: ; @_ZN7rocprim17ROCPRIM_400000_NS6detail17trampoline_kernelINS0_14default_configENS1_35radix_sort_onesweep_config_selectorIaNS0_10empty_typeEEEZNS1_34radix_sort_onesweep_global_offsetsIS3_Lb0EPaPS5_mNS0_19identity_decomposerEEE10hipError_tT1_T2_PT3_SE_jT4_jjP12ihipStream_tbEUlT_E0_NS1_11comp_targetILNS1_3genE2ELNS1_11target_archE906ELNS1_3gpuE6ELNS1_3repE0EEENS1_52radix_sort_onesweep_histogram_config_static_selectorELNS0_4arch9wavefront6targetE1EEEvSC_
; %bb.0:
	.section	.rodata,"a",@progbits
	.p2align	6, 0x0
	.amdhsa_kernel _ZN7rocprim17ROCPRIM_400000_NS6detail17trampoline_kernelINS0_14default_configENS1_35radix_sort_onesweep_config_selectorIaNS0_10empty_typeEEEZNS1_34radix_sort_onesweep_global_offsetsIS3_Lb0EPaPS5_mNS0_19identity_decomposerEEE10hipError_tT1_T2_PT3_SE_jT4_jjP12ihipStream_tbEUlT_E0_NS1_11comp_targetILNS1_3genE2ELNS1_11target_archE906ELNS1_3gpuE6ELNS1_3repE0EEENS1_52radix_sort_onesweep_histogram_config_static_selectorELNS0_4arch9wavefront6targetE1EEEvSC_
		.amdhsa_group_segment_fixed_size 0
		.amdhsa_private_segment_fixed_size 0
		.amdhsa_kernarg_size 8
		.amdhsa_user_sgpr_count 6
		.amdhsa_user_sgpr_private_segment_buffer 1
		.amdhsa_user_sgpr_dispatch_ptr 0
		.amdhsa_user_sgpr_queue_ptr 0
		.amdhsa_user_sgpr_kernarg_segment_ptr 1
		.amdhsa_user_sgpr_dispatch_id 0
		.amdhsa_user_sgpr_flat_scratch_init 0
		.amdhsa_user_sgpr_kernarg_preload_length 0
		.amdhsa_user_sgpr_kernarg_preload_offset 0
		.amdhsa_user_sgpr_private_segment_size 0
		.amdhsa_uses_dynamic_stack 0
		.amdhsa_system_sgpr_private_segment_wavefront_offset 0
		.amdhsa_system_sgpr_workgroup_id_x 1
		.amdhsa_system_sgpr_workgroup_id_y 0
		.amdhsa_system_sgpr_workgroup_id_z 0
		.amdhsa_system_sgpr_workgroup_info 0
		.amdhsa_system_vgpr_workitem_id 0
		.amdhsa_next_free_vgpr 1
		.amdhsa_next_free_sgpr 0
		.amdhsa_accum_offset 4
		.amdhsa_reserve_vcc 0
		.amdhsa_reserve_flat_scratch 0
		.amdhsa_float_round_mode_32 0
		.amdhsa_float_round_mode_16_64 0
		.amdhsa_float_denorm_mode_32 3
		.amdhsa_float_denorm_mode_16_64 3
		.amdhsa_dx10_clamp 1
		.amdhsa_ieee_mode 1
		.amdhsa_fp16_overflow 0
		.amdhsa_tg_split 0
		.amdhsa_exception_fp_ieee_invalid_op 0
		.amdhsa_exception_fp_denorm_src 0
		.amdhsa_exception_fp_ieee_div_zero 0
		.amdhsa_exception_fp_ieee_overflow 0
		.amdhsa_exception_fp_ieee_underflow 0
		.amdhsa_exception_fp_ieee_inexact 0
		.amdhsa_exception_int_div_zero 0
	.end_amdhsa_kernel
	.section	.text._ZN7rocprim17ROCPRIM_400000_NS6detail17trampoline_kernelINS0_14default_configENS1_35radix_sort_onesweep_config_selectorIaNS0_10empty_typeEEEZNS1_34radix_sort_onesweep_global_offsetsIS3_Lb0EPaPS5_mNS0_19identity_decomposerEEE10hipError_tT1_T2_PT3_SE_jT4_jjP12ihipStream_tbEUlT_E0_NS1_11comp_targetILNS1_3genE2ELNS1_11target_archE906ELNS1_3gpuE6ELNS1_3repE0EEENS1_52radix_sort_onesweep_histogram_config_static_selectorELNS0_4arch9wavefront6targetE1EEEvSC_,"axG",@progbits,_ZN7rocprim17ROCPRIM_400000_NS6detail17trampoline_kernelINS0_14default_configENS1_35radix_sort_onesweep_config_selectorIaNS0_10empty_typeEEEZNS1_34radix_sort_onesweep_global_offsetsIS3_Lb0EPaPS5_mNS0_19identity_decomposerEEE10hipError_tT1_T2_PT3_SE_jT4_jjP12ihipStream_tbEUlT_E0_NS1_11comp_targetILNS1_3genE2ELNS1_11target_archE906ELNS1_3gpuE6ELNS1_3repE0EEENS1_52radix_sort_onesweep_histogram_config_static_selectorELNS0_4arch9wavefront6targetE1EEEvSC_,comdat
.Lfunc_end204:
	.size	_ZN7rocprim17ROCPRIM_400000_NS6detail17trampoline_kernelINS0_14default_configENS1_35radix_sort_onesweep_config_selectorIaNS0_10empty_typeEEEZNS1_34radix_sort_onesweep_global_offsetsIS3_Lb0EPaPS5_mNS0_19identity_decomposerEEE10hipError_tT1_T2_PT3_SE_jT4_jjP12ihipStream_tbEUlT_E0_NS1_11comp_targetILNS1_3genE2ELNS1_11target_archE906ELNS1_3gpuE6ELNS1_3repE0EEENS1_52radix_sort_onesweep_histogram_config_static_selectorELNS0_4arch9wavefront6targetE1EEEvSC_, .Lfunc_end204-_ZN7rocprim17ROCPRIM_400000_NS6detail17trampoline_kernelINS0_14default_configENS1_35radix_sort_onesweep_config_selectorIaNS0_10empty_typeEEEZNS1_34radix_sort_onesweep_global_offsetsIS3_Lb0EPaPS5_mNS0_19identity_decomposerEEE10hipError_tT1_T2_PT3_SE_jT4_jjP12ihipStream_tbEUlT_E0_NS1_11comp_targetILNS1_3genE2ELNS1_11target_archE906ELNS1_3gpuE6ELNS1_3repE0EEENS1_52radix_sort_onesweep_histogram_config_static_selectorELNS0_4arch9wavefront6targetE1EEEvSC_
                                        ; -- End function
	.section	.AMDGPU.csdata,"",@progbits
; Kernel info:
; codeLenInByte = 0
; NumSgprs: 4
; NumVgprs: 0
; NumAgprs: 0
; TotalNumVgprs: 0
; ScratchSize: 0
; MemoryBound: 0
; FloatMode: 240
; IeeeMode: 1
; LDSByteSize: 0 bytes/workgroup (compile time only)
; SGPRBlocks: 0
; VGPRBlocks: 0
; NumSGPRsForWavesPerEU: 4
; NumVGPRsForWavesPerEU: 1
; AccumOffset: 4
; Occupancy: 8
; WaveLimiterHint : 0
; COMPUTE_PGM_RSRC2:SCRATCH_EN: 0
; COMPUTE_PGM_RSRC2:USER_SGPR: 6
; COMPUTE_PGM_RSRC2:TRAP_HANDLER: 0
; COMPUTE_PGM_RSRC2:TGID_X_EN: 1
; COMPUTE_PGM_RSRC2:TGID_Y_EN: 0
; COMPUTE_PGM_RSRC2:TGID_Z_EN: 0
; COMPUTE_PGM_RSRC2:TIDIG_COMP_CNT: 0
; COMPUTE_PGM_RSRC3_GFX90A:ACCUM_OFFSET: 0
; COMPUTE_PGM_RSRC3_GFX90A:TG_SPLIT: 0
	.section	.text._ZN7rocprim17ROCPRIM_400000_NS6detail17trampoline_kernelINS0_14default_configENS1_35radix_sort_onesweep_config_selectorIaNS0_10empty_typeEEEZNS1_34radix_sort_onesweep_global_offsetsIS3_Lb0EPaPS5_mNS0_19identity_decomposerEEE10hipError_tT1_T2_PT3_SE_jT4_jjP12ihipStream_tbEUlT_E0_NS1_11comp_targetILNS1_3genE4ELNS1_11target_archE910ELNS1_3gpuE8ELNS1_3repE0EEENS1_52radix_sort_onesweep_histogram_config_static_selectorELNS0_4arch9wavefront6targetE1EEEvSC_,"axG",@progbits,_ZN7rocprim17ROCPRIM_400000_NS6detail17trampoline_kernelINS0_14default_configENS1_35radix_sort_onesweep_config_selectorIaNS0_10empty_typeEEEZNS1_34radix_sort_onesweep_global_offsetsIS3_Lb0EPaPS5_mNS0_19identity_decomposerEEE10hipError_tT1_T2_PT3_SE_jT4_jjP12ihipStream_tbEUlT_E0_NS1_11comp_targetILNS1_3genE4ELNS1_11target_archE910ELNS1_3gpuE8ELNS1_3repE0EEENS1_52radix_sort_onesweep_histogram_config_static_selectorELNS0_4arch9wavefront6targetE1EEEvSC_,comdat
	.protected	_ZN7rocprim17ROCPRIM_400000_NS6detail17trampoline_kernelINS0_14default_configENS1_35radix_sort_onesweep_config_selectorIaNS0_10empty_typeEEEZNS1_34radix_sort_onesweep_global_offsetsIS3_Lb0EPaPS5_mNS0_19identity_decomposerEEE10hipError_tT1_T2_PT3_SE_jT4_jjP12ihipStream_tbEUlT_E0_NS1_11comp_targetILNS1_3genE4ELNS1_11target_archE910ELNS1_3gpuE8ELNS1_3repE0EEENS1_52radix_sort_onesweep_histogram_config_static_selectorELNS0_4arch9wavefront6targetE1EEEvSC_ ; -- Begin function _ZN7rocprim17ROCPRIM_400000_NS6detail17trampoline_kernelINS0_14default_configENS1_35radix_sort_onesweep_config_selectorIaNS0_10empty_typeEEEZNS1_34radix_sort_onesweep_global_offsetsIS3_Lb0EPaPS5_mNS0_19identity_decomposerEEE10hipError_tT1_T2_PT3_SE_jT4_jjP12ihipStream_tbEUlT_E0_NS1_11comp_targetILNS1_3genE4ELNS1_11target_archE910ELNS1_3gpuE8ELNS1_3repE0EEENS1_52radix_sort_onesweep_histogram_config_static_selectorELNS0_4arch9wavefront6targetE1EEEvSC_
	.globl	_ZN7rocprim17ROCPRIM_400000_NS6detail17trampoline_kernelINS0_14default_configENS1_35radix_sort_onesweep_config_selectorIaNS0_10empty_typeEEEZNS1_34radix_sort_onesweep_global_offsetsIS3_Lb0EPaPS5_mNS0_19identity_decomposerEEE10hipError_tT1_T2_PT3_SE_jT4_jjP12ihipStream_tbEUlT_E0_NS1_11comp_targetILNS1_3genE4ELNS1_11target_archE910ELNS1_3gpuE8ELNS1_3repE0EEENS1_52radix_sort_onesweep_histogram_config_static_selectorELNS0_4arch9wavefront6targetE1EEEvSC_
	.p2align	8
	.type	_ZN7rocprim17ROCPRIM_400000_NS6detail17trampoline_kernelINS0_14default_configENS1_35radix_sort_onesweep_config_selectorIaNS0_10empty_typeEEEZNS1_34radix_sort_onesweep_global_offsetsIS3_Lb0EPaPS5_mNS0_19identity_decomposerEEE10hipError_tT1_T2_PT3_SE_jT4_jjP12ihipStream_tbEUlT_E0_NS1_11comp_targetILNS1_3genE4ELNS1_11target_archE910ELNS1_3gpuE8ELNS1_3repE0EEENS1_52radix_sort_onesweep_histogram_config_static_selectorELNS0_4arch9wavefront6targetE1EEEvSC_,@function
_ZN7rocprim17ROCPRIM_400000_NS6detail17trampoline_kernelINS0_14default_configENS1_35radix_sort_onesweep_config_selectorIaNS0_10empty_typeEEEZNS1_34radix_sort_onesweep_global_offsetsIS3_Lb0EPaPS5_mNS0_19identity_decomposerEEE10hipError_tT1_T2_PT3_SE_jT4_jjP12ihipStream_tbEUlT_E0_NS1_11comp_targetILNS1_3genE4ELNS1_11target_archE910ELNS1_3gpuE8ELNS1_3repE0EEENS1_52radix_sort_onesweep_histogram_config_static_selectorELNS0_4arch9wavefront6targetE1EEEvSC_: ; @_ZN7rocprim17ROCPRIM_400000_NS6detail17trampoline_kernelINS0_14default_configENS1_35radix_sort_onesweep_config_selectorIaNS0_10empty_typeEEEZNS1_34radix_sort_onesweep_global_offsetsIS3_Lb0EPaPS5_mNS0_19identity_decomposerEEE10hipError_tT1_T2_PT3_SE_jT4_jjP12ihipStream_tbEUlT_E0_NS1_11comp_targetILNS1_3genE4ELNS1_11target_archE910ELNS1_3gpuE8ELNS1_3repE0EEENS1_52radix_sort_onesweep_histogram_config_static_selectorELNS0_4arch9wavefront6targetE1EEEvSC_
; %bb.0:
	s_load_dwordx2 s[0:1], s[4:5], 0x0
	s_lshl_b32 s2, s6, 4
	s_mov_b32 s3, 0
	s_lshl_b64 s[2:3], s[2:3], 3
	v_cmp_gt_u32_e32 vcc, 16, v0
	s_waitcnt lgkmcnt(0)
	s_add_u32 s6, s0, s2
	s_addc_u32 s7, s1, s3
	v_lshlrev_b32_e32 v6, 3, v0
                                        ; implicit-def: $vgpr2_vgpr3
	s_and_saveexec_b64 s[0:1], vcc
	s_cbranch_execz .LBB205_2
; %bb.1:
	global_load_dwordx2 v[2:3], v6, s[6:7]
.LBB205_2:
	s_or_b64 exec, exec, s[0:1]
	s_waitcnt vmcnt(0)
	v_mov_b32_dpp v4, v2 row_shr:1 row_mask:0xf bank_mask:0xf
	v_add_co_u32_e64 v4, s[0:1], v2, v4
	v_mbcnt_lo_u32_b32 v1, -1, 0
	v_addc_co_u32_e64 v8, s[0:1], 0, v3, s[0:1]
	v_mbcnt_hi_u32_b32 v7, -1, v1
	v_mov_b32_dpp v5, v3 row_shr:1 row_mask:0xf bank_mask:0xf
	v_add_co_u32_e64 v9, s[0:1], 0, v4
	v_and_b32_e32 v1, 15, v7
	v_addc_co_u32_e64 v5, s[0:1], v5, v8, s[0:1]
	v_cmp_eq_u32_e64 s[0:1], 0, v1
	v_cndmask_b32_e64 v4, v4, v2, s[0:1]
	v_cndmask_b32_e64 v5, v5, v3, s[0:1]
	v_cndmask_b32_e64 v8, v9, v2, s[0:1]
	v_mov_b32_dpp v9, v4 row_shr:2 row_mask:0xf bank_mask:0xf
	v_mov_b32_dpp v10, v5 row_shr:2 row_mask:0xf bank_mask:0xf
	v_add_co_u32_e64 v9, s[0:1], v9, v8
	v_addc_co_u32_e64 v10, s[0:1], v10, v5, s[0:1]
	v_cmp_lt_u32_e64 s[0:1], 1, v1
	v_cndmask_b32_e64 v4, v4, v9, s[0:1]
	v_cndmask_b32_e64 v5, v5, v10, s[0:1]
	v_cndmask_b32_e64 v8, v8, v9, s[0:1]
	v_mov_b32_dpp v9, v4 row_shr:4 row_mask:0xf bank_mask:0xf
	v_mov_b32_dpp v10, v5 row_shr:4 row_mask:0xf bank_mask:0xf
	v_add_co_u32_e64 v9, s[0:1], v9, v8
	v_addc_co_u32_e64 v10, s[0:1], v10, v5, s[0:1]
	v_cmp_lt_u32_e64 s[0:1], 3, v1
	;; [unrolled: 8-line block ×3, first 2 shown]
	v_cndmask_b32_e64 v11, v4, v9, s[0:1]
	v_cndmask_b32_e64 v1, v5, v10, s[0:1]
	;; [unrolled: 1-line block ×3, first 2 shown]
	v_mov_b32_dpp v5, v11 row_bcast:15 row_mask:0xf bank_mask:0xf
	v_mov_b32_dpp v8, v1 row_bcast:15 row_mask:0xf bank_mask:0xf
	v_and_b32_e32 v10, 16, v7
	v_add_co_u32_e64 v5, s[0:1], v5, v4
	v_addc_co_u32_e64 v9, s[0:1], v8, v1, s[0:1]
	v_cmp_eq_u32_e64 s[2:3], 0, v10
	v_cndmask_b32_e64 v10, v9, v1, s[2:3]
	v_cndmask_b32_e64 v8, v5, v11, s[2:3]
	v_cmp_eq_u32_e64 s[0:1], 0, v7
	v_mov_b32_dpp v10, v10 row_bcast:31 row_mask:0xf bank_mask:0xf
	v_mov_b32_dpp v8, v8 row_bcast:31 row_mask:0xf bank_mask:0xf
	v_cmp_ne_u32_e64 s[4:5], 0, v7
	s_and_saveexec_b64 s[8:9], s[4:5]
; %bb.3:
	v_cndmask_b32_e64 v1, v9, v1, s[2:3]
	v_cndmask_b32_e64 v2, v5, v4, s[2:3]
	v_cmp_lt_u32_e64 s[2:3], 31, v7
	v_cndmask_b32_e64 v4, 0, v8, s[2:3]
	v_cndmask_b32_e64 v3, 0, v10, s[2:3]
	v_add_co_u32_e64 v2, s[2:3], v4, v2
	v_addc_co_u32_e64 v3, s[2:3], v3, v1, s[2:3]
; %bb.4:
	s_or_b64 exec, exec, s[8:9]
	v_or_b32_e32 v1, 63, v0
	v_lshrrev_b32_e32 v8, 6, v0
	v_cmp_eq_u32_e64 s[2:3], v1, v0
	s_and_saveexec_b64 s[4:5], s[2:3]
	s_cbranch_execz .LBB205_6
; %bb.5:
	v_lshlrev_b32_e32 v1, 3, v8
	ds_write_b64 v1, v[2:3]
.LBB205_6:
	s_or_b64 exec, exec, s[4:5]
	v_cmp_gt_u32_e64 s[2:3], 8, v0
	s_waitcnt lgkmcnt(0)
	s_barrier
	s_and_saveexec_b64 s[8:9], s[2:3]
	s_cbranch_execz .LBB205_10
; %bb.7:
	ds_read_b64 v[4:5], v6
	v_and_b32_e32 v1, 7, v7
	v_cmp_ne_u32_e64 s[4:5], 0, v1
	s_waitcnt lgkmcnt(0)
	v_mov_b32_dpp v9, v4 row_shr:1 row_mask:0xf bank_mask:0xf
	v_add_co_u32_e64 v11, s[2:3], v4, v9
	v_addc_co_u32_e64 v12, s[2:3], 0, v5, s[2:3]
	v_mov_b32_dpp v10, v5 row_shr:1 row_mask:0xf bank_mask:0xf
	v_add_co_u32_e64 v9, s[2:3], 0, v11
	v_addc_co_u32_e64 v10, s[2:3], v10, v12, s[2:3]
	v_cmp_eq_u32_e64 s[2:3], 0, v1
	v_cndmask_b32_e64 v12, v11, v4, s[2:3]
	v_cndmask_b32_e64 v14, v10, v5, s[2:3]
	;; [unrolled: 1-line block ×3, first 2 shown]
	v_mov_b32_dpp v13, v12 row_shr:2 row_mask:0xf bank_mask:0xf
	v_mov_b32_dpp v15, v14 row_shr:2 row_mask:0xf bank_mask:0xf
	v_add_co_u32_e64 v11, s[2:3], v13, v11
	v_addc_co_u32_e64 v13, s[2:3], v15, v14, s[2:3]
	v_cmp_lt_u32_e64 s[2:3], 1, v1
	v_cndmask_b32_e64 v14, v14, v13, s[2:3]
	v_cndmask_b32_e64 v12, v12, v11, s[2:3]
	s_nop 0
	v_mov_b32_dpp v14, v14 row_shr:4 row_mask:0xf bank_mask:0xf
	v_mov_b32_dpp v12, v12 row_shr:4 row_mask:0xf bank_mask:0xf
	s_and_saveexec_b64 s[10:11], s[4:5]
; %bb.8:
	v_cndmask_b32_e64 v5, v10, v13, s[2:3]
	v_cndmask_b32_e64 v4, v9, v11, s[2:3]
	v_cmp_lt_u32_e64 s[2:3], 3, v1
	v_cndmask_b32_e64 v9, 0, v12, s[2:3]
	v_cndmask_b32_e64 v1, 0, v14, s[2:3]
	v_add_co_u32_e64 v4, s[2:3], v9, v4
	v_addc_co_u32_e64 v5, s[2:3], v1, v5, s[2:3]
; %bb.9:
	s_or_b64 exec, exec, s[10:11]
	ds_write_b64 v6, v[4:5]
.LBB205_10:
	s_or_b64 exec, exec, s[8:9]
	v_cmp_lt_u32_e64 s[2:3], 63, v0
	v_pk_mov_b32 v[0:1], 0, 0
	s_waitcnt lgkmcnt(0)
	s_barrier
	s_and_saveexec_b64 s[4:5], s[2:3]
	s_cbranch_execz .LBB205_12
; %bb.11:
	v_lshl_add_u32 v0, v8, 3, -8
	ds_read_b64 v[0:1], v0
.LBB205_12:
	s_or_b64 exec, exec, s[4:5]
	s_waitcnt lgkmcnt(0)
	v_add_co_u32_e64 v2, s[2:3], v0, v2
	v_addc_co_u32_e64 v3, s[2:3], v1, v3, s[2:3]
	v_add_u32_e32 v4, -1, v7
	v_and_b32_e32 v5, 64, v7
	v_cmp_lt_i32_e64 s[2:3], v4, v5
	v_cndmask_b32_e64 v4, v4, v7, s[2:3]
	v_lshlrev_b32_e32 v4, 2, v4
	ds_bpermute_b32 v2, v4, v2
	ds_bpermute_b32 v3, v4, v3
	s_and_saveexec_b64 s[2:3], vcc
	s_cbranch_execz .LBB205_14
; %bb.13:
	s_waitcnt lgkmcnt(0)
	v_cndmask_b32_e64 v1, v3, v1, s[0:1]
	v_cndmask_b32_e64 v0, v2, v0, s[0:1]
	global_store_dwordx2 v6, v[0:1], s[6:7]
.LBB205_14:
	s_endpgm
	.section	.rodata,"a",@progbits
	.p2align	6, 0x0
	.amdhsa_kernel _ZN7rocprim17ROCPRIM_400000_NS6detail17trampoline_kernelINS0_14default_configENS1_35radix_sort_onesweep_config_selectorIaNS0_10empty_typeEEEZNS1_34radix_sort_onesweep_global_offsetsIS3_Lb0EPaPS5_mNS0_19identity_decomposerEEE10hipError_tT1_T2_PT3_SE_jT4_jjP12ihipStream_tbEUlT_E0_NS1_11comp_targetILNS1_3genE4ELNS1_11target_archE910ELNS1_3gpuE8ELNS1_3repE0EEENS1_52radix_sort_onesweep_histogram_config_static_selectorELNS0_4arch9wavefront6targetE1EEEvSC_
		.amdhsa_group_segment_fixed_size 64
		.amdhsa_private_segment_fixed_size 0
		.amdhsa_kernarg_size 8
		.amdhsa_user_sgpr_count 6
		.amdhsa_user_sgpr_private_segment_buffer 1
		.amdhsa_user_sgpr_dispatch_ptr 0
		.amdhsa_user_sgpr_queue_ptr 0
		.amdhsa_user_sgpr_kernarg_segment_ptr 1
		.amdhsa_user_sgpr_dispatch_id 0
		.amdhsa_user_sgpr_flat_scratch_init 0
		.amdhsa_user_sgpr_kernarg_preload_length 0
		.amdhsa_user_sgpr_kernarg_preload_offset 0
		.amdhsa_user_sgpr_private_segment_size 0
		.amdhsa_uses_dynamic_stack 0
		.amdhsa_system_sgpr_private_segment_wavefront_offset 0
		.amdhsa_system_sgpr_workgroup_id_x 1
		.amdhsa_system_sgpr_workgroup_id_y 0
		.amdhsa_system_sgpr_workgroup_id_z 0
		.amdhsa_system_sgpr_workgroup_info 0
		.amdhsa_system_vgpr_workitem_id 0
		.amdhsa_next_free_vgpr 16
		.amdhsa_next_free_sgpr 12
		.amdhsa_accum_offset 16
		.amdhsa_reserve_vcc 1
		.amdhsa_reserve_flat_scratch 0
		.amdhsa_float_round_mode_32 0
		.amdhsa_float_round_mode_16_64 0
		.amdhsa_float_denorm_mode_32 3
		.amdhsa_float_denorm_mode_16_64 3
		.amdhsa_dx10_clamp 1
		.amdhsa_ieee_mode 1
		.amdhsa_fp16_overflow 0
		.amdhsa_tg_split 0
		.amdhsa_exception_fp_ieee_invalid_op 0
		.amdhsa_exception_fp_denorm_src 0
		.amdhsa_exception_fp_ieee_div_zero 0
		.amdhsa_exception_fp_ieee_overflow 0
		.amdhsa_exception_fp_ieee_underflow 0
		.amdhsa_exception_fp_ieee_inexact 0
		.amdhsa_exception_int_div_zero 0
	.end_amdhsa_kernel
	.section	.text._ZN7rocprim17ROCPRIM_400000_NS6detail17trampoline_kernelINS0_14default_configENS1_35radix_sort_onesweep_config_selectorIaNS0_10empty_typeEEEZNS1_34radix_sort_onesweep_global_offsetsIS3_Lb0EPaPS5_mNS0_19identity_decomposerEEE10hipError_tT1_T2_PT3_SE_jT4_jjP12ihipStream_tbEUlT_E0_NS1_11comp_targetILNS1_3genE4ELNS1_11target_archE910ELNS1_3gpuE8ELNS1_3repE0EEENS1_52radix_sort_onesweep_histogram_config_static_selectorELNS0_4arch9wavefront6targetE1EEEvSC_,"axG",@progbits,_ZN7rocprim17ROCPRIM_400000_NS6detail17trampoline_kernelINS0_14default_configENS1_35radix_sort_onesweep_config_selectorIaNS0_10empty_typeEEEZNS1_34radix_sort_onesweep_global_offsetsIS3_Lb0EPaPS5_mNS0_19identity_decomposerEEE10hipError_tT1_T2_PT3_SE_jT4_jjP12ihipStream_tbEUlT_E0_NS1_11comp_targetILNS1_3genE4ELNS1_11target_archE910ELNS1_3gpuE8ELNS1_3repE0EEENS1_52radix_sort_onesweep_histogram_config_static_selectorELNS0_4arch9wavefront6targetE1EEEvSC_,comdat
.Lfunc_end205:
	.size	_ZN7rocprim17ROCPRIM_400000_NS6detail17trampoline_kernelINS0_14default_configENS1_35radix_sort_onesweep_config_selectorIaNS0_10empty_typeEEEZNS1_34radix_sort_onesweep_global_offsetsIS3_Lb0EPaPS5_mNS0_19identity_decomposerEEE10hipError_tT1_T2_PT3_SE_jT4_jjP12ihipStream_tbEUlT_E0_NS1_11comp_targetILNS1_3genE4ELNS1_11target_archE910ELNS1_3gpuE8ELNS1_3repE0EEENS1_52radix_sort_onesweep_histogram_config_static_selectorELNS0_4arch9wavefront6targetE1EEEvSC_, .Lfunc_end205-_ZN7rocprim17ROCPRIM_400000_NS6detail17trampoline_kernelINS0_14default_configENS1_35radix_sort_onesweep_config_selectorIaNS0_10empty_typeEEEZNS1_34radix_sort_onesweep_global_offsetsIS3_Lb0EPaPS5_mNS0_19identity_decomposerEEE10hipError_tT1_T2_PT3_SE_jT4_jjP12ihipStream_tbEUlT_E0_NS1_11comp_targetILNS1_3genE4ELNS1_11target_archE910ELNS1_3gpuE8ELNS1_3repE0EEENS1_52radix_sort_onesweep_histogram_config_static_selectorELNS0_4arch9wavefront6targetE1EEEvSC_
                                        ; -- End function
	.section	.AMDGPU.csdata,"",@progbits
; Kernel info:
; codeLenInByte = 988
; NumSgprs: 16
; NumVgprs: 16
; NumAgprs: 0
; TotalNumVgprs: 16
; ScratchSize: 0
; MemoryBound: 0
; FloatMode: 240
; IeeeMode: 1
; LDSByteSize: 64 bytes/workgroup (compile time only)
; SGPRBlocks: 1
; VGPRBlocks: 1
; NumSGPRsForWavesPerEU: 16
; NumVGPRsForWavesPerEU: 16
; AccumOffset: 16
; Occupancy: 8
; WaveLimiterHint : 0
; COMPUTE_PGM_RSRC2:SCRATCH_EN: 0
; COMPUTE_PGM_RSRC2:USER_SGPR: 6
; COMPUTE_PGM_RSRC2:TRAP_HANDLER: 0
; COMPUTE_PGM_RSRC2:TGID_X_EN: 1
; COMPUTE_PGM_RSRC2:TGID_Y_EN: 0
; COMPUTE_PGM_RSRC2:TGID_Z_EN: 0
; COMPUTE_PGM_RSRC2:TIDIG_COMP_CNT: 0
; COMPUTE_PGM_RSRC3_GFX90A:ACCUM_OFFSET: 3
; COMPUTE_PGM_RSRC3_GFX90A:TG_SPLIT: 0
	.section	.text._ZN7rocprim17ROCPRIM_400000_NS6detail17trampoline_kernelINS0_14default_configENS1_35radix_sort_onesweep_config_selectorIaNS0_10empty_typeEEEZNS1_34radix_sort_onesweep_global_offsetsIS3_Lb0EPaPS5_mNS0_19identity_decomposerEEE10hipError_tT1_T2_PT3_SE_jT4_jjP12ihipStream_tbEUlT_E0_NS1_11comp_targetILNS1_3genE3ELNS1_11target_archE908ELNS1_3gpuE7ELNS1_3repE0EEENS1_52radix_sort_onesweep_histogram_config_static_selectorELNS0_4arch9wavefront6targetE1EEEvSC_,"axG",@progbits,_ZN7rocprim17ROCPRIM_400000_NS6detail17trampoline_kernelINS0_14default_configENS1_35radix_sort_onesweep_config_selectorIaNS0_10empty_typeEEEZNS1_34radix_sort_onesweep_global_offsetsIS3_Lb0EPaPS5_mNS0_19identity_decomposerEEE10hipError_tT1_T2_PT3_SE_jT4_jjP12ihipStream_tbEUlT_E0_NS1_11comp_targetILNS1_3genE3ELNS1_11target_archE908ELNS1_3gpuE7ELNS1_3repE0EEENS1_52radix_sort_onesweep_histogram_config_static_selectorELNS0_4arch9wavefront6targetE1EEEvSC_,comdat
	.protected	_ZN7rocprim17ROCPRIM_400000_NS6detail17trampoline_kernelINS0_14default_configENS1_35radix_sort_onesweep_config_selectorIaNS0_10empty_typeEEEZNS1_34radix_sort_onesweep_global_offsetsIS3_Lb0EPaPS5_mNS0_19identity_decomposerEEE10hipError_tT1_T2_PT3_SE_jT4_jjP12ihipStream_tbEUlT_E0_NS1_11comp_targetILNS1_3genE3ELNS1_11target_archE908ELNS1_3gpuE7ELNS1_3repE0EEENS1_52radix_sort_onesweep_histogram_config_static_selectorELNS0_4arch9wavefront6targetE1EEEvSC_ ; -- Begin function _ZN7rocprim17ROCPRIM_400000_NS6detail17trampoline_kernelINS0_14default_configENS1_35radix_sort_onesweep_config_selectorIaNS0_10empty_typeEEEZNS1_34radix_sort_onesweep_global_offsetsIS3_Lb0EPaPS5_mNS0_19identity_decomposerEEE10hipError_tT1_T2_PT3_SE_jT4_jjP12ihipStream_tbEUlT_E0_NS1_11comp_targetILNS1_3genE3ELNS1_11target_archE908ELNS1_3gpuE7ELNS1_3repE0EEENS1_52radix_sort_onesweep_histogram_config_static_selectorELNS0_4arch9wavefront6targetE1EEEvSC_
	.globl	_ZN7rocprim17ROCPRIM_400000_NS6detail17trampoline_kernelINS0_14default_configENS1_35radix_sort_onesweep_config_selectorIaNS0_10empty_typeEEEZNS1_34radix_sort_onesweep_global_offsetsIS3_Lb0EPaPS5_mNS0_19identity_decomposerEEE10hipError_tT1_T2_PT3_SE_jT4_jjP12ihipStream_tbEUlT_E0_NS1_11comp_targetILNS1_3genE3ELNS1_11target_archE908ELNS1_3gpuE7ELNS1_3repE0EEENS1_52radix_sort_onesweep_histogram_config_static_selectorELNS0_4arch9wavefront6targetE1EEEvSC_
	.p2align	8
	.type	_ZN7rocprim17ROCPRIM_400000_NS6detail17trampoline_kernelINS0_14default_configENS1_35radix_sort_onesweep_config_selectorIaNS0_10empty_typeEEEZNS1_34radix_sort_onesweep_global_offsetsIS3_Lb0EPaPS5_mNS0_19identity_decomposerEEE10hipError_tT1_T2_PT3_SE_jT4_jjP12ihipStream_tbEUlT_E0_NS1_11comp_targetILNS1_3genE3ELNS1_11target_archE908ELNS1_3gpuE7ELNS1_3repE0EEENS1_52radix_sort_onesweep_histogram_config_static_selectorELNS0_4arch9wavefront6targetE1EEEvSC_,@function
_ZN7rocprim17ROCPRIM_400000_NS6detail17trampoline_kernelINS0_14default_configENS1_35radix_sort_onesweep_config_selectorIaNS0_10empty_typeEEEZNS1_34radix_sort_onesweep_global_offsetsIS3_Lb0EPaPS5_mNS0_19identity_decomposerEEE10hipError_tT1_T2_PT3_SE_jT4_jjP12ihipStream_tbEUlT_E0_NS1_11comp_targetILNS1_3genE3ELNS1_11target_archE908ELNS1_3gpuE7ELNS1_3repE0EEENS1_52radix_sort_onesweep_histogram_config_static_selectorELNS0_4arch9wavefront6targetE1EEEvSC_: ; @_ZN7rocprim17ROCPRIM_400000_NS6detail17trampoline_kernelINS0_14default_configENS1_35radix_sort_onesweep_config_selectorIaNS0_10empty_typeEEEZNS1_34radix_sort_onesweep_global_offsetsIS3_Lb0EPaPS5_mNS0_19identity_decomposerEEE10hipError_tT1_T2_PT3_SE_jT4_jjP12ihipStream_tbEUlT_E0_NS1_11comp_targetILNS1_3genE3ELNS1_11target_archE908ELNS1_3gpuE7ELNS1_3repE0EEENS1_52radix_sort_onesweep_histogram_config_static_selectorELNS0_4arch9wavefront6targetE1EEEvSC_
; %bb.0:
	.section	.rodata,"a",@progbits
	.p2align	6, 0x0
	.amdhsa_kernel _ZN7rocprim17ROCPRIM_400000_NS6detail17trampoline_kernelINS0_14default_configENS1_35radix_sort_onesweep_config_selectorIaNS0_10empty_typeEEEZNS1_34radix_sort_onesweep_global_offsetsIS3_Lb0EPaPS5_mNS0_19identity_decomposerEEE10hipError_tT1_T2_PT3_SE_jT4_jjP12ihipStream_tbEUlT_E0_NS1_11comp_targetILNS1_3genE3ELNS1_11target_archE908ELNS1_3gpuE7ELNS1_3repE0EEENS1_52radix_sort_onesweep_histogram_config_static_selectorELNS0_4arch9wavefront6targetE1EEEvSC_
		.amdhsa_group_segment_fixed_size 0
		.amdhsa_private_segment_fixed_size 0
		.amdhsa_kernarg_size 8
		.amdhsa_user_sgpr_count 6
		.amdhsa_user_sgpr_private_segment_buffer 1
		.amdhsa_user_sgpr_dispatch_ptr 0
		.amdhsa_user_sgpr_queue_ptr 0
		.amdhsa_user_sgpr_kernarg_segment_ptr 1
		.amdhsa_user_sgpr_dispatch_id 0
		.amdhsa_user_sgpr_flat_scratch_init 0
		.amdhsa_user_sgpr_kernarg_preload_length 0
		.amdhsa_user_sgpr_kernarg_preload_offset 0
		.amdhsa_user_sgpr_private_segment_size 0
		.amdhsa_uses_dynamic_stack 0
		.amdhsa_system_sgpr_private_segment_wavefront_offset 0
		.amdhsa_system_sgpr_workgroup_id_x 1
		.amdhsa_system_sgpr_workgroup_id_y 0
		.amdhsa_system_sgpr_workgroup_id_z 0
		.amdhsa_system_sgpr_workgroup_info 0
		.amdhsa_system_vgpr_workitem_id 0
		.amdhsa_next_free_vgpr 1
		.amdhsa_next_free_sgpr 0
		.amdhsa_accum_offset 4
		.amdhsa_reserve_vcc 0
		.amdhsa_reserve_flat_scratch 0
		.amdhsa_float_round_mode_32 0
		.amdhsa_float_round_mode_16_64 0
		.amdhsa_float_denorm_mode_32 3
		.amdhsa_float_denorm_mode_16_64 3
		.amdhsa_dx10_clamp 1
		.amdhsa_ieee_mode 1
		.amdhsa_fp16_overflow 0
		.amdhsa_tg_split 0
		.amdhsa_exception_fp_ieee_invalid_op 0
		.amdhsa_exception_fp_denorm_src 0
		.amdhsa_exception_fp_ieee_div_zero 0
		.amdhsa_exception_fp_ieee_overflow 0
		.amdhsa_exception_fp_ieee_underflow 0
		.amdhsa_exception_fp_ieee_inexact 0
		.amdhsa_exception_int_div_zero 0
	.end_amdhsa_kernel
	.section	.text._ZN7rocprim17ROCPRIM_400000_NS6detail17trampoline_kernelINS0_14default_configENS1_35radix_sort_onesweep_config_selectorIaNS0_10empty_typeEEEZNS1_34radix_sort_onesweep_global_offsetsIS3_Lb0EPaPS5_mNS0_19identity_decomposerEEE10hipError_tT1_T2_PT3_SE_jT4_jjP12ihipStream_tbEUlT_E0_NS1_11comp_targetILNS1_3genE3ELNS1_11target_archE908ELNS1_3gpuE7ELNS1_3repE0EEENS1_52radix_sort_onesweep_histogram_config_static_selectorELNS0_4arch9wavefront6targetE1EEEvSC_,"axG",@progbits,_ZN7rocprim17ROCPRIM_400000_NS6detail17trampoline_kernelINS0_14default_configENS1_35radix_sort_onesweep_config_selectorIaNS0_10empty_typeEEEZNS1_34radix_sort_onesweep_global_offsetsIS3_Lb0EPaPS5_mNS0_19identity_decomposerEEE10hipError_tT1_T2_PT3_SE_jT4_jjP12ihipStream_tbEUlT_E0_NS1_11comp_targetILNS1_3genE3ELNS1_11target_archE908ELNS1_3gpuE7ELNS1_3repE0EEENS1_52radix_sort_onesweep_histogram_config_static_selectorELNS0_4arch9wavefront6targetE1EEEvSC_,comdat
.Lfunc_end206:
	.size	_ZN7rocprim17ROCPRIM_400000_NS6detail17trampoline_kernelINS0_14default_configENS1_35radix_sort_onesweep_config_selectorIaNS0_10empty_typeEEEZNS1_34radix_sort_onesweep_global_offsetsIS3_Lb0EPaPS5_mNS0_19identity_decomposerEEE10hipError_tT1_T2_PT3_SE_jT4_jjP12ihipStream_tbEUlT_E0_NS1_11comp_targetILNS1_3genE3ELNS1_11target_archE908ELNS1_3gpuE7ELNS1_3repE0EEENS1_52radix_sort_onesweep_histogram_config_static_selectorELNS0_4arch9wavefront6targetE1EEEvSC_, .Lfunc_end206-_ZN7rocprim17ROCPRIM_400000_NS6detail17trampoline_kernelINS0_14default_configENS1_35radix_sort_onesweep_config_selectorIaNS0_10empty_typeEEEZNS1_34radix_sort_onesweep_global_offsetsIS3_Lb0EPaPS5_mNS0_19identity_decomposerEEE10hipError_tT1_T2_PT3_SE_jT4_jjP12ihipStream_tbEUlT_E0_NS1_11comp_targetILNS1_3genE3ELNS1_11target_archE908ELNS1_3gpuE7ELNS1_3repE0EEENS1_52radix_sort_onesweep_histogram_config_static_selectorELNS0_4arch9wavefront6targetE1EEEvSC_
                                        ; -- End function
	.section	.AMDGPU.csdata,"",@progbits
; Kernel info:
; codeLenInByte = 0
; NumSgprs: 4
; NumVgprs: 0
; NumAgprs: 0
; TotalNumVgprs: 0
; ScratchSize: 0
; MemoryBound: 0
; FloatMode: 240
; IeeeMode: 1
; LDSByteSize: 0 bytes/workgroup (compile time only)
; SGPRBlocks: 0
; VGPRBlocks: 0
; NumSGPRsForWavesPerEU: 4
; NumVGPRsForWavesPerEU: 1
; AccumOffset: 4
; Occupancy: 8
; WaveLimiterHint : 0
; COMPUTE_PGM_RSRC2:SCRATCH_EN: 0
; COMPUTE_PGM_RSRC2:USER_SGPR: 6
; COMPUTE_PGM_RSRC2:TRAP_HANDLER: 0
; COMPUTE_PGM_RSRC2:TGID_X_EN: 1
; COMPUTE_PGM_RSRC2:TGID_Y_EN: 0
; COMPUTE_PGM_RSRC2:TGID_Z_EN: 0
; COMPUTE_PGM_RSRC2:TIDIG_COMP_CNT: 0
; COMPUTE_PGM_RSRC3_GFX90A:ACCUM_OFFSET: 0
; COMPUTE_PGM_RSRC3_GFX90A:TG_SPLIT: 0
	.section	.text._ZN7rocprim17ROCPRIM_400000_NS6detail17trampoline_kernelINS0_14default_configENS1_35radix_sort_onesweep_config_selectorIaNS0_10empty_typeEEEZNS1_34radix_sort_onesweep_global_offsetsIS3_Lb0EPaPS5_mNS0_19identity_decomposerEEE10hipError_tT1_T2_PT3_SE_jT4_jjP12ihipStream_tbEUlT_E0_NS1_11comp_targetILNS1_3genE10ELNS1_11target_archE1201ELNS1_3gpuE5ELNS1_3repE0EEENS1_52radix_sort_onesweep_histogram_config_static_selectorELNS0_4arch9wavefront6targetE1EEEvSC_,"axG",@progbits,_ZN7rocprim17ROCPRIM_400000_NS6detail17trampoline_kernelINS0_14default_configENS1_35radix_sort_onesweep_config_selectorIaNS0_10empty_typeEEEZNS1_34radix_sort_onesweep_global_offsetsIS3_Lb0EPaPS5_mNS0_19identity_decomposerEEE10hipError_tT1_T2_PT3_SE_jT4_jjP12ihipStream_tbEUlT_E0_NS1_11comp_targetILNS1_3genE10ELNS1_11target_archE1201ELNS1_3gpuE5ELNS1_3repE0EEENS1_52radix_sort_onesweep_histogram_config_static_selectorELNS0_4arch9wavefront6targetE1EEEvSC_,comdat
	.protected	_ZN7rocprim17ROCPRIM_400000_NS6detail17trampoline_kernelINS0_14default_configENS1_35radix_sort_onesweep_config_selectorIaNS0_10empty_typeEEEZNS1_34radix_sort_onesweep_global_offsetsIS3_Lb0EPaPS5_mNS0_19identity_decomposerEEE10hipError_tT1_T2_PT3_SE_jT4_jjP12ihipStream_tbEUlT_E0_NS1_11comp_targetILNS1_3genE10ELNS1_11target_archE1201ELNS1_3gpuE5ELNS1_3repE0EEENS1_52radix_sort_onesweep_histogram_config_static_selectorELNS0_4arch9wavefront6targetE1EEEvSC_ ; -- Begin function _ZN7rocprim17ROCPRIM_400000_NS6detail17trampoline_kernelINS0_14default_configENS1_35radix_sort_onesweep_config_selectorIaNS0_10empty_typeEEEZNS1_34radix_sort_onesweep_global_offsetsIS3_Lb0EPaPS5_mNS0_19identity_decomposerEEE10hipError_tT1_T2_PT3_SE_jT4_jjP12ihipStream_tbEUlT_E0_NS1_11comp_targetILNS1_3genE10ELNS1_11target_archE1201ELNS1_3gpuE5ELNS1_3repE0EEENS1_52radix_sort_onesweep_histogram_config_static_selectorELNS0_4arch9wavefront6targetE1EEEvSC_
	.globl	_ZN7rocprim17ROCPRIM_400000_NS6detail17trampoline_kernelINS0_14default_configENS1_35radix_sort_onesweep_config_selectorIaNS0_10empty_typeEEEZNS1_34radix_sort_onesweep_global_offsetsIS3_Lb0EPaPS5_mNS0_19identity_decomposerEEE10hipError_tT1_T2_PT3_SE_jT4_jjP12ihipStream_tbEUlT_E0_NS1_11comp_targetILNS1_3genE10ELNS1_11target_archE1201ELNS1_3gpuE5ELNS1_3repE0EEENS1_52radix_sort_onesweep_histogram_config_static_selectorELNS0_4arch9wavefront6targetE1EEEvSC_
	.p2align	8
	.type	_ZN7rocprim17ROCPRIM_400000_NS6detail17trampoline_kernelINS0_14default_configENS1_35radix_sort_onesweep_config_selectorIaNS0_10empty_typeEEEZNS1_34radix_sort_onesweep_global_offsetsIS3_Lb0EPaPS5_mNS0_19identity_decomposerEEE10hipError_tT1_T2_PT3_SE_jT4_jjP12ihipStream_tbEUlT_E0_NS1_11comp_targetILNS1_3genE10ELNS1_11target_archE1201ELNS1_3gpuE5ELNS1_3repE0EEENS1_52radix_sort_onesweep_histogram_config_static_selectorELNS0_4arch9wavefront6targetE1EEEvSC_,@function
_ZN7rocprim17ROCPRIM_400000_NS6detail17trampoline_kernelINS0_14default_configENS1_35radix_sort_onesweep_config_selectorIaNS0_10empty_typeEEEZNS1_34radix_sort_onesweep_global_offsetsIS3_Lb0EPaPS5_mNS0_19identity_decomposerEEE10hipError_tT1_T2_PT3_SE_jT4_jjP12ihipStream_tbEUlT_E0_NS1_11comp_targetILNS1_3genE10ELNS1_11target_archE1201ELNS1_3gpuE5ELNS1_3repE0EEENS1_52radix_sort_onesweep_histogram_config_static_selectorELNS0_4arch9wavefront6targetE1EEEvSC_: ; @_ZN7rocprim17ROCPRIM_400000_NS6detail17trampoline_kernelINS0_14default_configENS1_35radix_sort_onesweep_config_selectorIaNS0_10empty_typeEEEZNS1_34radix_sort_onesweep_global_offsetsIS3_Lb0EPaPS5_mNS0_19identity_decomposerEEE10hipError_tT1_T2_PT3_SE_jT4_jjP12ihipStream_tbEUlT_E0_NS1_11comp_targetILNS1_3genE10ELNS1_11target_archE1201ELNS1_3gpuE5ELNS1_3repE0EEENS1_52radix_sort_onesweep_histogram_config_static_selectorELNS0_4arch9wavefront6targetE1EEEvSC_
; %bb.0:
	.section	.rodata,"a",@progbits
	.p2align	6, 0x0
	.amdhsa_kernel _ZN7rocprim17ROCPRIM_400000_NS6detail17trampoline_kernelINS0_14default_configENS1_35radix_sort_onesweep_config_selectorIaNS0_10empty_typeEEEZNS1_34radix_sort_onesweep_global_offsetsIS3_Lb0EPaPS5_mNS0_19identity_decomposerEEE10hipError_tT1_T2_PT3_SE_jT4_jjP12ihipStream_tbEUlT_E0_NS1_11comp_targetILNS1_3genE10ELNS1_11target_archE1201ELNS1_3gpuE5ELNS1_3repE0EEENS1_52radix_sort_onesweep_histogram_config_static_selectorELNS0_4arch9wavefront6targetE1EEEvSC_
		.amdhsa_group_segment_fixed_size 0
		.amdhsa_private_segment_fixed_size 0
		.amdhsa_kernarg_size 8
		.amdhsa_user_sgpr_count 6
		.amdhsa_user_sgpr_private_segment_buffer 1
		.amdhsa_user_sgpr_dispatch_ptr 0
		.amdhsa_user_sgpr_queue_ptr 0
		.amdhsa_user_sgpr_kernarg_segment_ptr 1
		.amdhsa_user_sgpr_dispatch_id 0
		.amdhsa_user_sgpr_flat_scratch_init 0
		.amdhsa_user_sgpr_kernarg_preload_length 0
		.amdhsa_user_sgpr_kernarg_preload_offset 0
		.amdhsa_user_sgpr_private_segment_size 0
		.amdhsa_uses_dynamic_stack 0
		.amdhsa_system_sgpr_private_segment_wavefront_offset 0
		.amdhsa_system_sgpr_workgroup_id_x 1
		.amdhsa_system_sgpr_workgroup_id_y 0
		.amdhsa_system_sgpr_workgroup_id_z 0
		.amdhsa_system_sgpr_workgroup_info 0
		.amdhsa_system_vgpr_workitem_id 0
		.amdhsa_next_free_vgpr 1
		.amdhsa_next_free_sgpr 0
		.amdhsa_accum_offset 4
		.amdhsa_reserve_vcc 0
		.amdhsa_reserve_flat_scratch 0
		.amdhsa_float_round_mode_32 0
		.amdhsa_float_round_mode_16_64 0
		.amdhsa_float_denorm_mode_32 3
		.amdhsa_float_denorm_mode_16_64 3
		.amdhsa_dx10_clamp 1
		.amdhsa_ieee_mode 1
		.amdhsa_fp16_overflow 0
		.amdhsa_tg_split 0
		.amdhsa_exception_fp_ieee_invalid_op 0
		.amdhsa_exception_fp_denorm_src 0
		.amdhsa_exception_fp_ieee_div_zero 0
		.amdhsa_exception_fp_ieee_overflow 0
		.amdhsa_exception_fp_ieee_underflow 0
		.amdhsa_exception_fp_ieee_inexact 0
		.amdhsa_exception_int_div_zero 0
	.end_amdhsa_kernel
	.section	.text._ZN7rocprim17ROCPRIM_400000_NS6detail17trampoline_kernelINS0_14default_configENS1_35radix_sort_onesweep_config_selectorIaNS0_10empty_typeEEEZNS1_34radix_sort_onesweep_global_offsetsIS3_Lb0EPaPS5_mNS0_19identity_decomposerEEE10hipError_tT1_T2_PT3_SE_jT4_jjP12ihipStream_tbEUlT_E0_NS1_11comp_targetILNS1_3genE10ELNS1_11target_archE1201ELNS1_3gpuE5ELNS1_3repE0EEENS1_52radix_sort_onesweep_histogram_config_static_selectorELNS0_4arch9wavefront6targetE1EEEvSC_,"axG",@progbits,_ZN7rocprim17ROCPRIM_400000_NS6detail17trampoline_kernelINS0_14default_configENS1_35radix_sort_onesweep_config_selectorIaNS0_10empty_typeEEEZNS1_34radix_sort_onesweep_global_offsetsIS3_Lb0EPaPS5_mNS0_19identity_decomposerEEE10hipError_tT1_T2_PT3_SE_jT4_jjP12ihipStream_tbEUlT_E0_NS1_11comp_targetILNS1_3genE10ELNS1_11target_archE1201ELNS1_3gpuE5ELNS1_3repE0EEENS1_52radix_sort_onesweep_histogram_config_static_selectorELNS0_4arch9wavefront6targetE1EEEvSC_,comdat
.Lfunc_end207:
	.size	_ZN7rocprim17ROCPRIM_400000_NS6detail17trampoline_kernelINS0_14default_configENS1_35radix_sort_onesweep_config_selectorIaNS0_10empty_typeEEEZNS1_34radix_sort_onesweep_global_offsetsIS3_Lb0EPaPS5_mNS0_19identity_decomposerEEE10hipError_tT1_T2_PT3_SE_jT4_jjP12ihipStream_tbEUlT_E0_NS1_11comp_targetILNS1_3genE10ELNS1_11target_archE1201ELNS1_3gpuE5ELNS1_3repE0EEENS1_52radix_sort_onesweep_histogram_config_static_selectorELNS0_4arch9wavefront6targetE1EEEvSC_, .Lfunc_end207-_ZN7rocprim17ROCPRIM_400000_NS6detail17trampoline_kernelINS0_14default_configENS1_35radix_sort_onesweep_config_selectorIaNS0_10empty_typeEEEZNS1_34radix_sort_onesweep_global_offsetsIS3_Lb0EPaPS5_mNS0_19identity_decomposerEEE10hipError_tT1_T2_PT3_SE_jT4_jjP12ihipStream_tbEUlT_E0_NS1_11comp_targetILNS1_3genE10ELNS1_11target_archE1201ELNS1_3gpuE5ELNS1_3repE0EEENS1_52radix_sort_onesweep_histogram_config_static_selectorELNS0_4arch9wavefront6targetE1EEEvSC_
                                        ; -- End function
	.section	.AMDGPU.csdata,"",@progbits
; Kernel info:
; codeLenInByte = 0
; NumSgprs: 4
; NumVgprs: 0
; NumAgprs: 0
; TotalNumVgprs: 0
; ScratchSize: 0
; MemoryBound: 0
; FloatMode: 240
; IeeeMode: 1
; LDSByteSize: 0 bytes/workgroup (compile time only)
; SGPRBlocks: 0
; VGPRBlocks: 0
; NumSGPRsForWavesPerEU: 4
; NumVGPRsForWavesPerEU: 1
; AccumOffset: 4
; Occupancy: 8
; WaveLimiterHint : 0
; COMPUTE_PGM_RSRC2:SCRATCH_EN: 0
; COMPUTE_PGM_RSRC2:USER_SGPR: 6
; COMPUTE_PGM_RSRC2:TRAP_HANDLER: 0
; COMPUTE_PGM_RSRC2:TGID_X_EN: 1
; COMPUTE_PGM_RSRC2:TGID_Y_EN: 0
; COMPUTE_PGM_RSRC2:TGID_Z_EN: 0
; COMPUTE_PGM_RSRC2:TIDIG_COMP_CNT: 0
; COMPUTE_PGM_RSRC3_GFX90A:ACCUM_OFFSET: 0
; COMPUTE_PGM_RSRC3_GFX90A:TG_SPLIT: 0
	.section	.text._ZN7rocprim17ROCPRIM_400000_NS6detail17trampoline_kernelINS0_14default_configENS1_35radix_sort_onesweep_config_selectorIaNS0_10empty_typeEEEZNS1_34radix_sort_onesweep_global_offsetsIS3_Lb0EPaPS5_mNS0_19identity_decomposerEEE10hipError_tT1_T2_PT3_SE_jT4_jjP12ihipStream_tbEUlT_E0_NS1_11comp_targetILNS1_3genE9ELNS1_11target_archE1100ELNS1_3gpuE3ELNS1_3repE0EEENS1_52radix_sort_onesweep_histogram_config_static_selectorELNS0_4arch9wavefront6targetE1EEEvSC_,"axG",@progbits,_ZN7rocprim17ROCPRIM_400000_NS6detail17trampoline_kernelINS0_14default_configENS1_35radix_sort_onesweep_config_selectorIaNS0_10empty_typeEEEZNS1_34radix_sort_onesweep_global_offsetsIS3_Lb0EPaPS5_mNS0_19identity_decomposerEEE10hipError_tT1_T2_PT3_SE_jT4_jjP12ihipStream_tbEUlT_E0_NS1_11comp_targetILNS1_3genE9ELNS1_11target_archE1100ELNS1_3gpuE3ELNS1_3repE0EEENS1_52radix_sort_onesweep_histogram_config_static_selectorELNS0_4arch9wavefront6targetE1EEEvSC_,comdat
	.protected	_ZN7rocprim17ROCPRIM_400000_NS6detail17trampoline_kernelINS0_14default_configENS1_35radix_sort_onesweep_config_selectorIaNS0_10empty_typeEEEZNS1_34radix_sort_onesweep_global_offsetsIS3_Lb0EPaPS5_mNS0_19identity_decomposerEEE10hipError_tT1_T2_PT3_SE_jT4_jjP12ihipStream_tbEUlT_E0_NS1_11comp_targetILNS1_3genE9ELNS1_11target_archE1100ELNS1_3gpuE3ELNS1_3repE0EEENS1_52radix_sort_onesweep_histogram_config_static_selectorELNS0_4arch9wavefront6targetE1EEEvSC_ ; -- Begin function _ZN7rocprim17ROCPRIM_400000_NS6detail17trampoline_kernelINS0_14default_configENS1_35radix_sort_onesweep_config_selectorIaNS0_10empty_typeEEEZNS1_34radix_sort_onesweep_global_offsetsIS3_Lb0EPaPS5_mNS0_19identity_decomposerEEE10hipError_tT1_T2_PT3_SE_jT4_jjP12ihipStream_tbEUlT_E0_NS1_11comp_targetILNS1_3genE9ELNS1_11target_archE1100ELNS1_3gpuE3ELNS1_3repE0EEENS1_52radix_sort_onesweep_histogram_config_static_selectorELNS0_4arch9wavefront6targetE1EEEvSC_
	.globl	_ZN7rocprim17ROCPRIM_400000_NS6detail17trampoline_kernelINS0_14default_configENS1_35radix_sort_onesweep_config_selectorIaNS0_10empty_typeEEEZNS1_34radix_sort_onesweep_global_offsetsIS3_Lb0EPaPS5_mNS0_19identity_decomposerEEE10hipError_tT1_T2_PT3_SE_jT4_jjP12ihipStream_tbEUlT_E0_NS1_11comp_targetILNS1_3genE9ELNS1_11target_archE1100ELNS1_3gpuE3ELNS1_3repE0EEENS1_52radix_sort_onesweep_histogram_config_static_selectorELNS0_4arch9wavefront6targetE1EEEvSC_
	.p2align	8
	.type	_ZN7rocprim17ROCPRIM_400000_NS6detail17trampoline_kernelINS0_14default_configENS1_35radix_sort_onesweep_config_selectorIaNS0_10empty_typeEEEZNS1_34radix_sort_onesweep_global_offsetsIS3_Lb0EPaPS5_mNS0_19identity_decomposerEEE10hipError_tT1_T2_PT3_SE_jT4_jjP12ihipStream_tbEUlT_E0_NS1_11comp_targetILNS1_3genE9ELNS1_11target_archE1100ELNS1_3gpuE3ELNS1_3repE0EEENS1_52radix_sort_onesweep_histogram_config_static_selectorELNS0_4arch9wavefront6targetE1EEEvSC_,@function
_ZN7rocprim17ROCPRIM_400000_NS6detail17trampoline_kernelINS0_14default_configENS1_35radix_sort_onesweep_config_selectorIaNS0_10empty_typeEEEZNS1_34radix_sort_onesweep_global_offsetsIS3_Lb0EPaPS5_mNS0_19identity_decomposerEEE10hipError_tT1_T2_PT3_SE_jT4_jjP12ihipStream_tbEUlT_E0_NS1_11comp_targetILNS1_3genE9ELNS1_11target_archE1100ELNS1_3gpuE3ELNS1_3repE0EEENS1_52radix_sort_onesweep_histogram_config_static_selectorELNS0_4arch9wavefront6targetE1EEEvSC_: ; @_ZN7rocprim17ROCPRIM_400000_NS6detail17trampoline_kernelINS0_14default_configENS1_35radix_sort_onesweep_config_selectorIaNS0_10empty_typeEEEZNS1_34radix_sort_onesweep_global_offsetsIS3_Lb0EPaPS5_mNS0_19identity_decomposerEEE10hipError_tT1_T2_PT3_SE_jT4_jjP12ihipStream_tbEUlT_E0_NS1_11comp_targetILNS1_3genE9ELNS1_11target_archE1100ELNS1_3gpuE3ELNS1_3repE0EEENS1_52radix_sort_onesweep_histogram_config_static_selectorELNS0_4arch9wavefront6targetE1EEEvSC_
; %bb.0:
	.section	.rodata,"a",@progbits
	.p2align	6, 0x0
	.amdhsa_kernel _ZN7rocprim17ROCPRIM_400000_NS6detail17trampoline_kernelINS0_14default_configENS1_35radix_sort_onesweep_config_selectorIaNS0_10empty_typeEEEZNS1_34radix_sort_onesweep_global_offsetsIS3_Lb0EPaPS5_mNS0_19identity_decomposerEEE10hipError_tT1_T2_PT3_SE_jT4_jjP12ihipStream_tbEUlT_E0_NS1_11comp_targetILNS1_3genE9ELNS1_11target_archE1100ELNS1_3gpuE3ELNS1_3repE0EEENS1_52radix_sort_onesweep_histogram_config_static_selectorELNS0_4arch9wavefront6targetE1EEEvSC_
		.amdhsa_group_segment_fixed_size 0
		.amdhsa_private_segment_fixed_size 0
		.amdhsa_kernarg_size 8
		.amdhsa_user_sgpr_count 6
		.amdhsa_user_sgpr_private_segment_buffer 1
		.amdhsa_user_sgpr_dispatch_ptr 0
		.amdhsa_user_sgpr_queue_ptr 0
		.amdhsa_user_sgpr_kernarg_segment_ptr 1
		.amdhsa_user_sgpr_dispatch_id 0
		.amdhsa_user_sgpr_flat_scratch_init 0
		.amdhsa_user_sgpr_kernarg_preload_length 0
		.amdhsa_user_sgpr_kernarg_preload_offset 0
		.amdhsa_user_sgpr_private_segment_size 0
		.amdhsa_uses_dynamic_stack 0
		.amdhsa_system_sgpr_private_segment_wavefront_offset 0
		.amdhsa_system_sgpr_workgroup_id_x 1
		.amdhsa_system_sgpr_workgroup_id_y 0
		.amdhsa_system_sgpr_workgroup_id_z 0
		.amdhsa_system_sgpr_workgroup_info 0
		.amdhsa_system_vgpr_workitem_id 0
		.amdhsa_next_free_vgpr 1
		.amdhsa_next_free_sgpr 0
		.amdhsa_accum_offset 4
		.amdhsa_reserve_vcc 0
		.amdhsa_reserve_flat_scratch 0
		.amdhsa_float_round_mode_32 0
		.amdhsa_float_round_mode_16_64 0
		.amdhsa_float_denorm_mode_32 3
		.amdhsa_float_denorm_mode_16_64 3
		.amdhsa_dx10_clamp 1
		.amdhsa_ieee_mode 1
		.amdhsa_fp16_overflow 0
		.amdhsa_tg_split 0
		.amdhsa_exception_fp_ieee_invalid_op 0
		.amdhsa_exception_fp_denorm_src 0
		.amdhsa_exception_fp_ieee_div_zero 0
		.amdhsa_exception_fp_ieee_overflow 0
		.amdhsa_exception_fp_ieee_underflow 0
		.amdhsa_exception_fp_ieee_inexact 0
		.amdhsa_exception_int_div_zero 0
	.end_amdhsa_kernel
	.section	.text._ZN7rocprim17ROCPRIM_400000_NS6detail17trampoline_kernelINS0_14default_configENS1_35radix_sort_onesweep_config_selectorIaNS0_10empty_typeEEEZNS1_34radix_sort_onesweep_global_offsetsIS3_Lb0EPaPS5_mNS0_19identity_decomposerEEE10hipError_tT1_T2_PT3_SE_jT4_jjP12ihipStream_tbEUlT_E0_NS1_11comp_targetILNS1_3genE9ELNS1_11target_archE1100ELNS1_3gpuE3ELNS1_3repE0EEENS1_52radix_sort_onesweep_histogram_config_static_selectorELNS0_4arch9wavefront6targetE1EEEvSC_,"axG",@progbits,_ZN7rocprim17ROCPRIM_400000_NS6detail17trampoline_kernelINS0_14default_configENS1_35radix_sort_onesweep_config_selectorIaNS0_10empty_typeEEEZNS1_34radix_sort_onesweep_global_offsetsIS3_Lb0EPaPS5_mNS0_19identity_decomposerEEE10hipError_tT1_T2_PT3_SE_jT4_jjP12ihipStream_tbEUlT_E0_NS1_11comp_targetILNS1_3genE9ELNS1_11target_archE1100ELNS1_3gpuE3ELNS1_3repE0EEENS1_52radix_sort_onesweep_histogram_config_static_selectorELNS0_4arch9wavefront6targetE1EEEvSC_,comdat
.Lfunc_end208:
	.size	_ZN7rocprim17ROCPRIM_400000_NS6detail17trampoline_kernelINS0_14default_configENS1_35radix_sort_onesweep_config_selectorIaNS0_10empty_typeEEEZNS1_34radix_sort_onesweep_global_offsetsIS3_Lb0EPaPS5_mNS0_19identity_decomposerEEE10hipError_tT1_T2_PT3_SE_jT4_jjP12ihipStream_tbEUlT_E0_NS1_11comp_targetILNS1_3genE9ELNS1_11target_archE1100ELNS1_3gpuE3ELNS1_3repE0EEENS1_52radix_sort_onesweep_histogram_config_static_selectorELNS0_4arch9wavefront6targetE1EEEvSC_, .Lfunc_end208-_ZN7rocprim17ROCPRIM_400000_NS6detail17trampoline_kernelINS0_14default_configENS1_35radix_sort_onesweep_config_selectorIaNS0_10empty_typeEEEZNS1_34radix_sort_onesweep_global_offsetsIS3_Lb0EPaPS5_mNS0_19identity_decomposerEEE10hipError_tT1_T2_PT3_SE_jT4_jjP12ihipStream_tbEUlT_E0_NS1_11comp_targetILNS1_3genE9ELNS1_11target_archE1100ELNS1_3gpuE3ELNS1_3repE0EEENS1_52radix_sort_onesweep_histogram_config_static_selectorELNS0_4arch9wavefront6targetE1EEEvSC_
                                        ; -- End function
	.section	.AMDGPU.csdata,"",@progbits
; Kernel info:
; codeLenInByte = 0
; NumSgprs: 4
; NumVgprs: 0
; NumAgprs: 0
; TotalNumVgprs: 0
; ScratchSize: 0
; MemoryBound: 0
; FloatMode: 240
; IeeeMode: 1
; LDSByteSize: 0 bytes/workgroup (compile time only)
; SGPRBlocks: 0
; VGPRBlocks: 0
; NumSGPRsForWavesPerEU: 4
; NumVGPRsForWavesPerEU: 1
; AccumOffset: 4
; Occupancy: 8
; WaveLimiterHint : 0
; COMPUTE_PGM_RSRC2:SCRATCH_EN: 0
; COMPUTE_PGM_RSRC2:USER_SGPR: 6
; COMPUTE_PGM_RSRC2:TRAP_HANDLER: 0
; COMPUTE_PGM_RSRC2:TGID_X_EN: 1
; COMPUTE_PGM_RSRC2:TGID_Y_EN: 0
; COMPUTE_PGM_RSRC2:TGID_Z_EN: 0
; COMPUTE_PGM_RSRC2:TIDIG_COMP_CNT: 0
; COMPUTE_PGM_RSRC3_GFX90A:ACCUM_OFFSET: 0
; COMPUTE_PGM_RSRC3_GFX90A:TG_SPLIT: 0
	.section	.text._ZN7rocprim17ROCPRIM_400000_NS6detail17trampoline_kernelINS0_14default_configENS1_35radix_sort_onesweep_config_selectorIaNS0_10empty_typeEEEZNS1_34radix_sort_onesweep_global_offsetsIS3_Lb0EPaPS5_mNS0_19identity_decomposerEEE10hipError_tT1_T2_PT3_SE_jT4_jjP12ihipStream_tbEUlT_E0_NS1_11comp_targetILNS1_3genE8ELNS1_11target_archE1030ELNS1_3gpuE2ELNS1_3repE0EEENS1_52radix_sort_onesweep_histogram_config_static_selectorELNS0_4arch9wavefront6targetE1EEEvSC_,"axG",@progbits,_ZN7rocprim17ROCPRIM_400000_NS6detail17trampoline_kernelINS0_14default_configENS1_35radix_sort_onesweep_config_selectorIaNS0_10empty_typeEEEZNS1_34radix_sort_onesweep_global_offsetsIS3_Lb0EPaPS5_mNS0_19identity_decomposerEEE10hipError_tT1_T2_PT3_SE_jT4_jjP12ihipStream_tbEUlT_E0_NS1_11comp_targetILNS1_3genE8ELNS1_11target_archE1030ELNS1_3gpuE2ELNS1_3repE0EEENS1_52radix_sort_onesweep_histogram_config_static_selectorELNS0_4arch9wavefront6targetE1EEEvSC_,comdat
	.protected	_ZN7rocprim17ROCPRIM_400000_NS6detail17trampoline_kernelINS0_14default_configENS1_35radix_sort_onesweep_config_selectorIaNS0_10empty_typeEEEZNS1_34radix_sort_onesweep_global_offsetsIS3_Lb0EPaPS5_mNS0_19identity_decomposerEEE10hipError_tT1_T2_PT3_SE_jT4_jjP12ihipStream_tbEUlT_E0_NS1_11comp_targetILNS1_3genE8ELNS1_11target_archE1030ELNS1_3gpuE2ELNS1_3repE0EEENS1_52radix_sort_onesweep_histogram_config_static_selectorELNS0_4arch9wavefront6targetE1EEEvSC_ ; -- Begin function _ZN7rocprim17ROCPRIM_400000_NS6detail17trampoline_kernelINS0_14default_configENS1_35radix_sort_onesweep_config_selectorIaNS0_10empty_typeEEEZNS1_34radix_sort_onesweep_global_offsetsIS3_Lb0EPaPS5_mNS0_19identity_decomposerEEE10hipError_tT1_T2_PT3_SE_jT4_jjP12ihipStream_tbEUlT_E0_NS1_11comp_targetILNS1_3genE8ELNS1_11target_archE1030ELNS1_3gpuE2ELNS1_3repE0EEENS1_52radix_sort_onesweep_histogram_config_static_selectorELNS0_4arch9wavefront6targetE1EEEvSC_
	.globl	_ZN7rocprim17ROCPRIM_400000_NS6detail17trampoline_kernelINS0_14default_configENS1_35radix_sort_onesweep_config_selectorIaNS0_10empty_typeEEEZNS1_34radix_sort_onesweep_global_offsetsIS3_Lb0EPaPS5_mNS0_19identity_decomposerEEE10hipError_tT1_T2_PT3_SE_jT4_jjP12ihipStream_tbEUlT_E0_NS1_11comp_targetILNS1_3genE8ELNS1_11target_archE1030ELNS1_3gpuE2ELNS1_3repE0EEENS1_52radix_sort_onesweep_histogram_config_static_selectorELNS0_4arch9wavefront6targetE1EEEvSC_
	.p2align	8
	.type	_ZN7rocprim17ROCPRIM_400000_NS6detail17trampoline_kernelINS0_14default_configENS1_35radix_sort_onesweep_config_selectorIaNS0_10empty_typeEEEZNS1_34radix_sort_onesweep_global_offsetsIS3_Lb0EPaPS5_mNS0_19identity_decomposerEEE10hipError_tT1_T2_PT3_SE_jT4_jjP12ihipStream_tbEUlT_E0_NS1_11comp_targetILNS1_3genE8ELNS1_11target_archE1030ELNS1_3gpuE2ELNS1_3repE0EEENS1_52radix_sort_onesweep_histogram_config_static_selectorELNS0_4arch9wavefront6targetE1EEEvSC_,@function
_ZN7rocprim17ROCPRIM_400000_NS6detail17trampoline_kernelINS0_14default_configENS1_35radix_sort_onesweep_config_selectorIaNS0_10empty_typeEEEZNS1_34radix_sort_onesweep_global_offsetsIS3_Lb0EPaPS5_mNS0_19identity_decomposerEEE10hipError_tT1_T2_PT3_SE_jT4_jjP12ihipStream_tbEUlT_E0_NS1_11comp_targetILNS1_3genE8ELNS1_11target_archE1030ELNS1_3gpuE2ELNS1_3repE0EEENS1_52radix_sort_onesweep_histogram_config_static_selectorELNS0_4arch9wavefront6targetE1EEEvSC_: ; @_ZN7rocprim17ROCPRIM_400000_NS6detail17trampoline_kernelINS0_14default_configENS1_35radix_sort_onesweep_config_selectorIaNS0_10empty_typeEEEZNS1_34radix_sort_onesweep_global_offsetsIS3_Lb0EPaPS5_mNS0_19identity_decomposerEEE10hipError_tT1_T2_PT3_SE_jT4_jjP12ihipStream_tbEUlT_E0_NS1_11comp_targetILNS1_3genE8ELNS1_11target_archE1030ELNS1_3gpuE2ELNS1_3repE0EEENS1_52radix_sort_onesweep_histogram_config_static_selectorELNS0_4arch9wavefront6targetE1EEEvSC_
; %bb.0:
	.section	.rodata,"a",@progbits
	.p2align	6, 0x0
	.amdhsa_kernel _ZN7rocprim17ROCPRIM_400000_NS6detail17trampoline_kernelINS0_14default_configENS1_35radix_sort_onesweep_config_selectorIaNS0_10empty_typeEEEZNS1_34radix_sort_onesweep_global_offsetsIS3_Lb0EPaPS5_mNS0_19identity_decomposerEEE10hipError_tT1_T2_PT3_SE_jT4_jjP12ihipStream_tbEUlT_E0_NS1_11comp_targetILNS1_3genE8ELNS1_11target_archE1030ELNS1_3gpuE2ELNS1_3repE0EEENS1_52radix_sort_onesweep_histogram_config_static_selectorELNS0_4arch9wavefront6targetE1EEEvSC_
		.amdhsa_group_segment_fixed_size 0
		.amdhsa_private_segment_fixed_size 0
		.amdhsa_kernarg_size 8
		.amdhsa_user_sgpr_count 6
		.amdhsa_user_sgpr_private_segment_buffer 1
		.amdhsa_user_sgpr_dispatch_ptr 0
		.amdhsa_user_sgpr_queue_ptr 0
		.amdhsa_user_sgpr_kernarg_segment_ptr 1
		.amdhsa_user_sgpr_dispatch_id 0
		.amdhsa_user_sgpr_flat_scratch_init 0
		.amdhsa_user_sgpr_kernarg_preload_length 0
		.amdhsa_user_sgpr_kernarg_preload_offset 0
		.amdhsa_user_sgpr_private_segment_size 0
		.amdhsa_uses_dynamic_stack 0
		.amdhsa_system_sgpr_private_segment_wavefront_offset 0
		.amdhsa_system_sgpr_workgroup_id_x 1
		.amdhsa_system_sgpr_workgroup_id_y 0
		.amdhsa_system_sgpr_workgroup_id_z 0
		.amdhsa_system_sgpr_workgroup_info 0
		.amdhsa_system_vgpr_workitem_id 0
		.amdhsa_next_free_vgpr 1
		.amdhsa_next_free_sgpr 0
		.amdhsa_accum_offset 4
		.amdhsa_reserve_vcc 0
		.amdhsa_reserve_flat_scratch 0
		.amdhsa_float_round_mode_32 0
		.amdhsa_float_round_mode_16_64 0
		.amdhsa_float_denorm_mode_32 3
		.amdhsa_float_denorm_mode_16_64 3
		.amdhsa_dx10_clamp 1
		.amdhsa_ieee_mode 1
		.amdhsa_fp16_overflow 0
		.amdhsa_tg_split 0
		.amdhsa_exception_fp_ieee_invalid_op 0
		.amdhsa_exception_fp_denorm_src 0
		.amdhsa_exception_fp_ieee_div_zero 0
		.amdhsa_exception_fp_ieee_overflow 0
		.amdhsa_exception_fp_ieee_underflow 0
		.amdhsa_exception_fp_ieee_inexact 0
		.amdhsa_exception_int_div_zero 0
	.end_amdhsa_kernel
	.section	.text._ZN7rocprim17ROCPRIM_400000_NS6detail17trampoline_kernelINS0_14default_configENS1_35radix_sort_onesweep_config_selectorIaNS0_10empty_typeEEEZNS1_34radix_sort_onesweep_global_offsetsIS3_Lb0EPaPS5_mNS0_19identity_decomposerEEE10hipError_tT1_T2_PT3_SE_jT4_jjP12ihipStream_tbEUlT_E0_NS1_11comp_targetILNS1_3genE8ELNS1_11target_archE1030ELNS1_3gpuE2ELNS1_3repE0EEENS1_52radix_sort_onesweep_histogram_config_static_selectorELNS0_4arch9wavefront6targetE1EEEvSC_,"axG",@progbits,_ZN7rocprim17ROCPRIM_400000_NS6detail17trampoline_kernelINS0_14default_configENS1_35radix_sort_onesweep_config_selectorIaNS0_10empty_typeEEEZNS1_34radix_sort_onesweep_global_offsetsIS3_Lb0EPaPS5_mNS0_19identity_decomposerEEE10hipError_tT1_T2_PT3_SE_jT4_jjP12ihipStream_tbEUlT_E0_NS1_11comp_targetILNS1_3genE8ELNS1_11target_archE1030ELNS1_3gpuE2ELNS1_3repE0EEENS1_52radix_sort_onesweep_histogram_config_static_selectorELNS0_4arch9wavefront6targetE1EEEvSC_,comdat
.Lfunc_end209:
	.size	_ZN7rocprim17ROCPRIM_400000_NS6detail17trampoline_kernelINS0_14default_configENS1_35radix_sort_onesweep_config_selectorIaNS0_10empty_typeEEEZNS1_34radix_sort_onesweep_global_offsetsIS3_Lb0EPaPS5_mNS0_19identity_decomposerEEE10hipError_tT1_T2_PT3_SE_jT4_jjP12ihipStream_tbEUlT_E0_NS1_11comp_targetILNS1_3genE8ELNS1_11target_archE1030ELNS1_3gpuE2ELNS1_3repE0EEENS1_52radix_sort_onesweep_histogram_config_static_selectorELNS0_4arch9wavefront6targetE1EEEvSC_, .Lfunc_end209-_ZN7rocprim17ROCPRIM_400000_NS6detail17trampoline_kernelINS0_14default_configENS1_35radix_sort_onesweep_config_selectorIaNS0_10empty_typeEEEZNS1_34radix_sort_onesweep_global_offsetsIS3_Lb0EPaPS5_mNS0_19identity_decomposerEEE10hipError_tT1_T2_PT3_SE_jT4_jjP12ihipStream_tbEUlT_E0_NS1_11comp_targetILNS1_3genE8ELNS1_11target_archE1030ELNS1_3gpuE2ELNS1_3repE0EEENS1_52radix_sort_onesweep_histogram_config_static_selectorELNS0_4arch9wavefront6targetE1EEEvSC_
                                        ; -- End function
	.section	.AMDGPU.csdata,"",@progbits
; Kernel info:
; codeLenInByte = 0
; NumSgprs: 4
; NumVgprs: 0
; NumAgprs: 0
; TotalNumVgprs: 0
; ScratchSize: 0
; MemoryBound: 0
; FloatMode: 240
; IeeeMode: 1
; LDSByteSize: 0 bytes/workgroup (compile time only)
; SGPRBlocks: 0
; VGPRBlocks: 0
; NumSGPRsForWavesPerEU: 4
; NumVGPRsForWavesPerEU: 1
; AccumOffset: 4
; Occupancy: 8
; WaveLimiterHint : 0
; COMPUTE_PGM_RSRC2:SCRATCH_EN: 0
; COMPUTE_PGM_RSRC2:USER_SGPR: 6
; COMPUTE_PGM_RSRC2:TRAP_HANDLER: 0
; COMPUTE_PGM_RSRC2:TGID_X_EN: 1
; COMPUTE_PGM_RSRC2:TGID_Y_EN: 0
; COMPUTE_PGM_RSRC2:TGID_Z_EN: 0
; COMPUTE_PGM_RSRC2:TIDIG_COMP_CNT: 0
; COMPUTE_PGM_RSRC3_GFX90A:ACCUM_OFFSET: 0
; COMPUTE_PGM_RSRC3_GFX90A:TG_SPLIT: 0
	.section	.text._ZN7rocprim17ROCPRIM_400000_NS6detail17trampoline_kernelINS0_14default_configENS1_35radix_sort_onesweep_config_selectorIaNS0_10empty_typeEEEZZNS1_29radix_sort_onesweep_iterationIS3_Lb0EPaS8_PS5_S9_mNS0_19identity_decomposerENS1_16block_id_wrapperIjLb1EEEEE10hipError_tT1_PNSt15iterator_traitsISE_E10value_typeET2_T3_PNSF_ISK_E10value_typeET4_T5_PSP_SQ_PNS1_23onesweep_lookback_stateEbbT6_jjT7_P12ihipStream_tbENKUlT_T0_SE_SJ_E_clIS8_S8_S9_S9_EEDaSX_SY_SE_SJ_EUlSX_E_NS1_11comp_targetILNS1_3genE0ELNS1_11target_archE4294967295ELNS1_3gpuE0ELNS1_3repE0EEENS1_47radix_sort_onesweep_sort_config_static_selectorELNS0_4arch9wavefront6targetE1EEEvSE_,"axG",@progbits,_ZN7rocprim17ROCPRIM_400000_NS6detail17trampoline_kernelINS0_14default_configENS1_35radix_sort_onesweep_config_selectorIaNS0_10empty_typeEEEZZNS1_29radix_sort_onesweep_iterationIS3_Lb0EPaS8_PS5_S9_mNS0_19identity_decomposerENS1_16block_id_wrapperIjLb1EEEEE10hipError_tT1_PNSt15iterator_traitsISE_E10value_typeET2_T3_PNSF_ISK_E10value_typeET4_T5_PSP_SQ_PNS1_23onesweep_lookback_stateEbbT6_jjT7_P12ihipStream_tbENKUlT_T0_SE_SJ_E_clIS8_S8_S9_S9_EEDaSX_SY_SE_SJ_EUlSX_E_NS1_11comp_targetILNS1_3genE0ELNS1_11target_archE4294967295ELNS1_3gpuE0ELNS1_3repE0EEENS1_47radix_sort_onesweep_sort_config_static_selectorELNS0_4arch9wavefront6targetE1EEEvSE_,comdat
	.protected	_ZN7rocprim17ROCPRIM_400000_NS6detail17trampoline_kernelINS0_14default_configENS1_35radix_sort_onesweep_config_selectorIaNS0_10empty_typeEEEZZNS1_29radix_sort_onesweep_iterationIS3_Lb0EPaS8_PS5_S9_mNS0_19identity_decomposerENS1_16block_id_wrapperIjLb1EEEEE10hipError_tT1_PNSt15iterator_traitsISE_E10value_typeET2_T3_PNSF_ISK_E10value_typeET4_T5_PSP_SQ_PNS1_23onesweep_lookback_stateEbbT6_jjT7_P12ihipStream_tbENKUlT_T0_SE_SJ_E_clIS8_S8_S9_S9_EEDaSX_SY_SE_SJ_EUlSX_E_NS1_11comp_targetILNS1_3genE0ELNS1_11target_archE4294967295ELNS1_3gpuE0ELNS1_3repE0EEENS1_47radix_sort_onesweep_sort_config_static_selectorELNS0_4arch9wavefront6targetE1EEEvSE_ ; -- Begin function _ZN7rocprim17ROCPRIM_400000_NS6detail17trampoline_kernelINS0_14default_configENS1_35radix_sort_onesweep_config_selectorIaNS0_10empty_typeEEEZZNS1_29radix_sort_onesweep_iterationIS3_Lb0EPaS8_PS5_S9_mNS0_19identity_decomposerENS1_16block_id_wrapperIjLb1EEEEE10hipError_tT1_PNSt15iterator_traitsISE_E10value_typeET2_T3_PNSF_ISK_E10value_typeET4_T5_PSP_SQ_PNS1_23onesweep_lookback_stateEbbT6_jjT7_P12ihipStream_tbENKUlT_T0_SE_SJ_E_clIS8_S8_S9_S9_EEDaSX_SY_SE_SJ_EUlSX_E_NS1_11comp_targetILNS1_3genE0ELNS1_11target_archE4294967295ELNS1_3gpuE0ELNS1_3repE0EEENS1_47radix_sort_onesweep_sort_config_static_selectorELNS0_4arch9wavefront6targetE1EEEvSE_
	.globl	_ZN7rocprim17ROCPRIM_400000_NS6detail17trampoline_kernelINS0_14default_configENS1_35radix_sort_onesweep_config_selectorIaNS0_10empty_typeEEEZZNS1_29radix_sort_onesweep_iterationIS3_Lb0EPaS8_PS5_S9_mNS0_19identity_decomposerENS1_16block_id_wrapperIjLb1EEEEE10hipError_tT1_PNSt15iterator_traitsISE_E10value_typeET2_T3_PNSF_ISK_E10value_typeET4_T5_PSP_SQ_PNS1_23onesweep_lookback_stateEbbT6_jjT7_P12ihipStream_tbENKUlT_T0_SE_SJ_E_clIS8_S8_S9_S9_EEDaSX_SY_SE_SJ_EUlSX_E_NS1_11comp_targetILNS1_3genE0ELNS1_11target_archE4294967295ELNS1_3gpuE0ELNS1_3repE0EEENS1_47radix_sort_onesweep_sort_config_static_selectorELNS0_4arch9wavefront6targetE1EEEvSE_
	.p2align	8
	.type	_ZN7rocprim17ROCPRIM_400000_NS6detail17trampoline_kernelINS0_14default_configENS1_35radix_sort_onesweep_config_selectorIaNS0_10empty_typeEEEZZNS1_29radix_sort_onesweep_iterationIS3_Lb0EPaS8_PS5_S9_mNS0_19identity_decomposerENS1_16block_id_wrapperIjLb1EEEEE10hipError_tT1_PNSt15iterator_traitsISE_E10value_typeET2_T3_PNSF_ISK_E10value_typeET4_T5_PSP_SQ_PNS1_23onesweep_lookback_stateEbbT6_jjT7_P12ihipStream_tbENKUlT_T0_SE_SJ_E_clIS8_S8_S9_S9_EEDaSX_SY_SE_SJ_EUlSX_E_NS1_11comp_targetILNS1_3genE0ELNS1_11target_archE4294967295ELNS1_3gpuE0ELNS1_3repE0EEENS1_47radix_sort_onesweep_sort_config_static_selectorELNS0_4arch9wavefront6targetE1EEEvSE_,@function
_ZN7rocprim17ROCPRIM_400000_NS6detail17trampoline_kernelINS0_14default_configENS1_35radix_sort_onesweep_config_selectorIaNS0_10empty_typeEEEZZNS1_29radix_sort_onesweep_iterationIS3_Lb0EPaS8_PS5_S9_mNS0_19identity_decomposerENS1_16block_id_wrapperIjLb1EEEEE10hipError_tT1_PNSt15iterator_traitsISE_E10value_typeET2_T3_PNSF_ISK_E10value_typeET4_T5_PSP_SQ_PNS1_23onesweep_lookback_stateEbbT6_jjT7_P12ihipStream_tbENKUlT_T0_SE_SJ_E_clIS8_S8_S9_S9_EEDaSX_SY_SE_SJ_EUlSX_E_NS1_11comp_targetILNS1_3genE0ELNS1_11target_archE4294967295ELNS1_3gpuE0ELNS1_3repE0EEENS1_47radix_sort_onesweep_sort_config_static_selectorELNS0_4arch9wavefront6targetE1EEEvSE_: ; @_ZN7rocprim17ROCPRIM_400000_NS6detail17trampoline_kernelINS0_14default_configENS1_35radix_sort_onesweep_config_selectorIaNS0_10empty_typeEEEZZNS1_29radix_sort_onesweep_iterationIS3_Lb0EPaS8_PS5_S9_mNS0_19identity_decomposerENS1_16block_id_wrapperIjLb1EEEEE10hipError_tT1_PNSt15iterator_traitsISE_E10value_typeET2_T3_PNSF_ISK_E10value_typeET4_T5_PSP_SQ_PNS1_23onesweep_lookback_stateEbbT6_jjT7_P12ihipStream_tbENKUlT_T0_SE_SJ_E_clIS8_S8_S9_S9_EEDaSX_SY_SE_SJ_EUlSX_E_NS1_11comp_targetILNS1_3genE0ELNS1_11target_archE4294967295ELNS1_3gpuE0ELNS1_3repE0EEENS1_47radix_sort_onesweep_sort_config_static_selectorELNS0_4arch9wavefront6targetE1EEEvSE_
; %bb.0:
	.section	.rodata,"a",@progbits
	.p2align	6, 0x0
	.amdhsa_kernel _ZN7rocprim17ROCPRIM_400000_NS6detail17trampoline_kernelINS0_14default_configENS1_35radix_sort_onesweep_config_selectorIaNS0_10empty_typeEEEZZNS1_29radix_sort_onesweep_iterationIS3_Lb0EPaS8_PS5_S9_mNS0_19identity_decomposerENS1_16block_id_wrapperIjLb1EEEEE10hipError_tT1_PNSt15iterator_traitsISE_E10value_typeET2_T3_PNSF_ISK_E10value_typeET4_T5_PSP_SQ_PNS1_23onesweep_lookback_stateEbbT6_jjT7_P12ihipStream_tbENKUlT_T0_SE_SJ_E_clIS8_S8_S9_S9_EEDaSX_SY_SE_SJ_EUlSX_E_NS1_11comp_targetILNS1_3genE0ELNS1_11target_archE4294967295ELNS1_3gpuE0ELNS1_3repE0EEENS1_47radix_sort_onesweep_sort_config_static_selectorELNS0_4arch9wavefront6targetE1EEEvSE_
		.amdhsa_group_segment_fixed_size 0
		.amdhsa_private_segment_fixed_size 0
		.amdhsa_kernarg_size 88
		.amdhsa_user_sgpr_count 6
		.amdhsa_user_sgpr_private_segment_buffer 1
		.amdhsa_user_sgpr_dispatch_ptr 0
		.amdhsa_user_sgpr_queue_ptr 0
		.amdhsa_user_sgpr_kernarg_segment_ptr 1
		.amdhsa_user_sgpr_dispatch_id 0
		.amdhsa_user_sgpr_flat_scratch_init 0
		.amdhsa_user_sgpr_kernarg_preload_length 0
		.amdhsa_user_sgpr_kernarg_preload_offset 0
		.amdhsa_user_sgpr_private_segment_size 0
		.amdhsa_uses_dynamic_stack 0
		.amdhsa_system_sgpr_private_segment_wavefront_offset 0
		.amdhsa_system_sgpr_workgroup_id_x 1
		.amdhsa_system_sgpr_workgroup_id_y 0
		.amdhsa_system_sgpr_workgroup_id_z 0
		.amdhsa_system_sgpr_workgroup_info 0
		.amdhsa_system_vgpr_workitem_id 0
		.amdhsa_next_free_vgpr 1
		.amdhsa_next_free_sgpr 0
		.amdhsa_accum_offset 4
		.amdhsa_reserve_vcc 0
		.amdhsa_reserve_flat_scratch 0
		.amdhsa_float_round_mode_32 0
		.amdhsa_float_round_mode_16_64 0
		.amdhsa_float_denorm_mode_32 3
		.amdhsa_float_denorm_mode_16_64 3
		.amdhsa_dx10_clamp 1
		.amdhsa_ieee_mode 1
		.amdhsa_fp16_overflow 0
		.amdhsa_tg_split 0
		.amdhsa_exception_fp_ieee_invalid_op 0
		.amdhsa_exception_fp_denorm_src 0
		.amdhsa_exception_fp_ieee_div_zero 0
		.amdhsa_exception_fp_ieee_overflow 0
		.amdhsa_exception_fp_ieee_underflow 0
		.amdhsa_exception_fp_ieee_inexact 0
		.amdhsa_exception_int_div_zero 0
	.end_amdhsa_kernel
	.section	.text._ZN7rocprim17ROCPRIM_400000_NS6detail17trampoline_kernelINS0_14default_configENS1_35radix_sort_onesweep_config_selectorIaNS0_10empty_typeEEEZZNS1_29radix_sort_onesweep_iterationIS3_Lb0EPaS8_PS5_S9_mNS0_19identity_decomposerENS1_16block_id_wrapperIjLb1EEEEE10hipError_tT1_PNSt15iterator_traitsISE_E10value_typeET2_T3_PNSF_ISK_E10value_typeET4_T5_PSP_SQ_PNS1_23onesweep_lookback_stateEbbT6_jjT7_P12ihipStream_tbENKUlT_T0_SE_SJ_E_clIS8_S8_S9_S9_EEDaSX_SY_SE_SJ_EUlSX_E_NS1_11comp_targetILNS1_3genE0ELNS1_11target_archE4294967295ELNS1_3gpuE0ELNS1_3repE0EEENS1_47radix_sort_onesweep_sort_config_static_selectorELNS0_4arch9wavefront6targetE1EEEvSE_,"axG",@progbits,_ZN7rocprim17ROCPRIM_400000_NS6detail17trampoline_kernelINS0_14default_configENS1_35radix_sort_onesweep_config_selectorIaNS0_10empty_typeEEEZZNS1_29radix_sort_onesweep_iterationIS3_Lb0EPaS8_PS5_S9_mNS0_19identity_decomposerENS1_16block_id_wrapperIjLb1EEEEE10hipError_tT1_PNSt15iterator_traitsISE_E10value_typeET2_T3_PNSF_ISK_E10value_typeET4_T5_PSP_SQ_PNS1_23onesweep_lookback_stateEbbT6_jjT7_P12ihipStream_tbENKUlT_T0_SE_SJ_E_clIS8_S8_S9_S9_EEDaSX_SY_SE_SJ_EUlSX_E_NS1_11comp_targetILNS1_3genE0ELNS1_11target_archE4294967295ELNS1_3gpuE0ELNS1_3repE0EEENS1_47radix_sort_onesweep_sort_config_static_selectorELNS0_4arch9wavefront6targetE1EEEvSE_,comdat
.Lfunc_end210:
	.size	_ZN7rocprim17ROCPRIM_400000_NS6detail17trampoline_kernelINS0_14default_configENS1_35radix_sort_onesweep_config_selectorIaNS0_10empty_typeEEEZZNS1_29radix_sort_onesweep_iterationIS3_Lb0EPaS8_PS5_S9_mNS0_19identity_decomposerENS1_16block_id_wrapperIjLb1EEEEE10hipError_tT1_PNSt15iterator_traitsISE_E10value_typeET2_T3_PNSF_ISK_E10value_typeET4_T5_PSP_SQ_PNS1_23onesweep_lookback_stateEbbT6_jjT7_P12ihipStream_tbENKUlT_T0_SE_SJ_E_clIS8_S8_S9_S9_EEDaSX_SY_SE_SJ_EUlSX_E_NS1_11comp_targetILNS1_3genE0ELNS1_11target_archE4294967295ELNS1_3gpuE0ELNS1_3repE0EEENS1_47radix_sort_onesweep_sort_config_static_selectorELNS0_4arch9wavefront6targetE1EEEvSE_, .Lfunc_end210-_ZN7rocprim17ROCPRIM_400000_NS6detail17trampoline_kernelINS0_14default_configENS1_35radix_sort_onesweep_config_selectorIaNS0_10empty_typeEEEZZNS1_29radix_sort_onesweep_iterationIS3_Lb0EPaS8_PS5_S9_mNS0_19identity_decomposerENS1_16block_id_wrapperIjLb1EEEEE10hipError_tT1_PNSt15iterator_traitsISE_E10value_typeET2_T3_PNSF_ISK_E10value_typeET4_T5_PSP_SQ_PNS1_23onesweep_lookback_stateEbbT6_jjT7_P12ihipStream_tbENKUlT_T0_SE_SJ_E_clIS8_S8_S9_S9_EEDaSX_SY_SE_SJ_EUlSX_E_NS1_11comp_targetILNS1_3genE0ELNS1_11target_archE4294967295ELNS1_3gpuE0ELNS1_3repE0EEENS1_47radix_sort_onesweep_sort_config_static_selectorELNS0_4arch9wavefront6targetE1EEEvSE_
                                        ; -- End function
	.section	.AMDGPU.csdata,"",@progbits
; Kernel info:
; codeLenInByte = 0
; NumSgprs: 4
; NumVgprs: 0
; NumAgprs: 0
; TotalNumVgprs: 0
; ScratchSize: 0
; MemoryBound: 0
; FloatMode: 240
; IeeeMode: 1
; LDSByteSize: 0 bytes/workgroup (compile time only)
; SGPRBlocks: 0
; VGPRBlocks: 0
; NumSGPRsForWavesPerEU: 4
; NumVGPRsForWavesPerEU: 1
; AccumOffset: 4
; Occupancy: 8
; WaveLimiterHint : 0
; COMPUTE_PGM_RSRC2:SCRATCH_EN: 0
; COMPUTE_PGM_RSRC2:USER_SGPR: 6
; COMPUTE_PGM_RSRC2:TRAP_HANDLER: 0
; COMPUTE_PGM_RSRC2:TGID_X_EN: 1
; COMPUTE_PGM_RSRC2:TGID_Y_EN: 0
; COMPUTE_PGM_RSRC2:TGID_Z_EN: 0
; COMPUTE_PGM_RSRC2:TIDIG_COMP_CNT: 0
; COMPUTE_PGM_RSRC3_GFX90A:ACCUM_OFFSET: 0
; COMPUTE_PGM_RSRC3_GFX90A:TG_SPLIT: 0
	.section	.text._ZN7rocprim17ROCPRIM_400000_NS6detail17trampoline_kernelINS0_14default_configENS1_35radix_sort_onesweep_config_selectorIaNS0_10empty_typeEEEZZNS1_29radix_sort_onesweep_iterationIS3_Lb0EPaS8_PS5_S9_mNS0_19identity_decomposerENS1_16block_id_wrapperIjLb1EEEEE10hipError_tT1_PNSt15iterator_traitsISE_E10value_typeET2_T3_PNSF_ISK_E10value_typeET4_T5_PSP_SQ_PNS1_23onesweep_lookback_stateEbbT6_jjT7_P12ihipStream_tbENKUlT_T0_SE_SJ_E_clIS8_S8_S9_S9_EEDaSX_SY_SE_SJ_EUlSX_E_NS1_11comp_targetILNS1_3genE6ELNS1_11target_archE950ELNS1_3gpuE13ELNS1_3repE0EEENS1_47radix_sort_onesweep_sort_config_static_selectorELNS0_4arch9wavefront6targetE1EEEvSE_,"axG",@progbits,_ZN7rocprim17ROCPRIM_400000_NS6detail17trampoline_kernelINS0_14default_configENS1_35radix_sort_onesweep_config_selectorIaNS0_10empty_typeEEEZZNS1_29radix_sort_onesweep_iterationIS3_Lb0EPaS8_PS5_S9_mNS0_19identity_decomposerENS1_16block_id_wrapperIjLb1EEEEE10hipError_tT1_PNSt15iterator_traitsISE_E10value_typeET2_T3_PNSF_ISK_E10value_typeET4_T5_PSP_SQ_PNS1_23onesweep_lookback_stateEbbT6_jjT7_P12ihipStream_tbENKUlT_T0_SE_SJ_E_clIS8_S8_S9_S9_EEDaSX_SY_SE_SJ_EUlSX_E_NS1_11comp_targetILNS1_3genE6ELNS1_11target_archE950ELNS1_3gpuE13ELNS1_3repE0EEENS1_47radix_sort_onesweep_sort_config_static_selectorELNS0_4arch9wavefront6targetE1EEEvSE_,comdat
	.protected	_ZN7rocprim17ROCPRIM_400000_NS6detail17trampoline_kernelINS0_14default_configENS1_35radix_sort_onesweep_config_selectorIaNS0_10empty_typeEEEZZNS1_29radix_sort_onesweep_iterationIS3_Lb0EPaS8_PS5_S9_mNS0_19identity_decomposerENS1_16block_id_wrapperIjLb1EEEEE10hipError_tT1_PNSt15iterator_traitsISE_E10value_typeET2_T3_PNSF_ISK_E10value_typeET4_T5_PSP_SQ_PNS1_23onesweep_lookback_stateEbbT6_jjT7_P12ihipStream_tbENKUlT_T0_SE_SJ_E_clIS8_S8_S9_S9_EEDaSX_SY_SE_SJ_EUlSX_E_NS1_11comp_targetILNS1_3genE6ELNS1_11target_archE950ELNS1_3gpuE13ELNS1_3repE0EEENS1_47radix_sort_onesweep_sort_config_static_selectorELNS0_4arch9wavefront6targetE1EEEvSE_ ; -- Begin function _ZN7rocprim17ROCPRIM_400000_NS6detail17trampoline_kernelINS0_14default_configENS1_35radix_sort_onesweep_config_selectorIaNS0_10empty_typeEEEZZNS1_29radix_sort_onesweep_iterationIS3_Lb0EPaS8_PS5_S9_mNS0_19identity_decomposerENS1_16block_id_wrapperIjLb1EEEEE10hipError_tT1_PNSt15iterator_traitsISE_E10value_typeET2_T3_PNSF_ISK_E10value_typeET4_T5_PSP_SQ_PNS1_23onesweep_lookback_stateEbbT6_jjT7_P12ihipStream_tbENKUlT_T0_SE_SJ_E_clIS8_S8_S9_S9_EEDaSX_SY_SE_SJ_EUlSX_E_NS1_11comp_targetILNS1_3genE6ELNS1_11target_archE950ELNS1_3gpuE13ELNS1_3repE0EEENS1_47radix_sort_onesweep_sort_config_static_selectorELNS0_4arch9wavefront6targetE1EEEvSE_
	.globl	_ZN7rocprim17ROCPRIM_400000_NS6detail17trampoline_kernelINS0_14default_configENS1_35radix_sort_onesweep_config_selectorIaNS0_10empty_typeEEEZZNS1_29radix_sort_onesweep_iterationIS3_Lb0EPaS8_PS5_S9_mNS0_19identity_decomposerENS1_16block_id_wrapperIjLb1EEEEE10hipError_tT1_PNSt15iterator_traitsISE_E10value_typeET2_T3_PNSF_ISK_E10value_typeET4_T5_PSP_SQ_PNS1_23onesweep_lookback_stateEbbT6_jjT7_P12ihipStream_tbENKUlT_T0_SE_SJ_E_clIS8_S8_S9_S9_EEDaSX_SY_SE_SJ_EUlSX_E_NS1_11comp_targetILNS1_3genE6ELNS1_11target_archE950ELNS1_3gpuE13ELNS1_3repE0EEENS1_47radix_sort_onesweep_sort_config_static_selectorELNS0_4arch9wavefront6targetE1EEEvSE_
	.p2align	8
	.type	_ZN7rocprim17ROCPRIM_400000_NS6detail17trampoline_kernelINS0_14default_configENS1_35radix_sort_onesweep_config_selectorIaNS0_10empty_typeEEEZZNS1_29radix_sort_onesweep_iterationIS3_Lb0EPaS8_PS5_S9_mNS0_19identity_decomposerENS1_16block_id_wrapperIjLb1EEEEE10hipError_tT1_PNSt15iterator_traitsISE_E10value_typeET2_T3_PNSF_ISK_E10value_typeET4_T5_PSP_SQ_PNS1_23onesweep_lookback_stateEbbT6_jjT7_P12ihipStream_tbENKUlT_T0_SE_SJ_E_clIS8_S8_S9_S9_EEDaSX_SY_SE_SJ_EUlSX_E_NS1_11comp_targetILNS1_3genE6ELNS1_11target_archE950ELNS1_3gpuE13ELNS1_3repE0EEENS1_47radix_sort_onesweep_sort_config_static_selectorELNS0_4arch9wavefront6targetE1EEEvSE_,@function
_ZN7rocprim17ROCPRIM_400000_NS6detail17trampoline_kernelINS0_14default_configENS1_35radix_sort_onesweep_config_selectorIaNS0_10empty_typeEEEZZNS1_29radix_sort_onesweep_iterationIS3_Lb0EPaS8_PS5_S9_mNS0_19identity_decomposerENS1_16block_id_wrapperIjLb1EEEEE10hipError_tT1_PNSt15iterator_traitsISE_E10value_typeET2_T3_PNSF_ISK_E10value_typeET4_T5_PSP_SQ_PNS1_23onesweep_lookback_stateEbbT6_jjT7_P12ihipStream_tbENKUlT_T0_SE_SJ_E_clIS8_S8_S9_S9_EEDaSX_SY_SE_SJ_EUlSX_E_NS1_11comp_targetILNS1_3genE6ELNS1_11target_archE950ELNS1_3gpuE13ELNS1_3repE0EEENS1_47radix_sort_onesweep_sort_config_static_selectorELNS0_4arch9wavefront6targetE1EEEvSE_: ; @_ZN7rocprim17ROCPRIM_400000_NS6detail17trampoline_kernelINS0_14default_configENS1_35radix_sort_onesweep_config_selectorIaNS0_10empty_typeEEEZZNS1_29radix_sort_onesweep_iterationIS3_Lb0EPaS8_PS5_S9_mNS0_19identity_decomposerENS1_16block_id_wrapperIjLb1EEEEE10hipError_tT1_PNSt15iterator_traitsISE_E10value_typeET2_T3_PNSF_ISK_E10value_typeET4_T5_PSP_SQ_PNS1_23onesweep_lookback_stateEbbT6_jjT7_P12ihipStream_tbENKUlT_T0_SE_SJ_E_clIS8_S8_S9_S9_EEDaSX_SY_SE_SJ_EUlSX_E_NS1_11comp_targetILNS1_3genE6ELNS1_11target_archE950ELNS1_3gpuE13ELNS1_3repE0EEENS1_47radix_sort_onesweep_sort_config_static_selectorELNS0_4arch9wavefront6targetE1EEEvSE_
; %bb.0:
	.section	.rodata,"a",@progbits
	.p2align	6, 0x0
	.amdhsa_kernel _ZN7rocprim17ROCPRIM_400000_NS6detail17trampoline_kernelINS0_14default_configENS1_35radix_sort_onesweep_config_selectorIaNS0_10empty_typeEEEZZNS1_29radix_sort_onesweep_iterationIS3_Lb0EPaS8_PS5_S9_mNS0_19identity_decomposerENS1_16block_id_wrapperIjLb1EEEEE10hipError_tT1_PNSt15iterator_traitsISE_E10value_typeET2_T3_PNSF_ISK_E10value_typeET4_T5_PSP_SQ_PNS1_23onesweep_lookback_stateEbbT6_jjT7_P12ihipStream_tbENKUlT_T0_SE_SJ_E_clIS8_S8_S9_S9_EEDaSX_SY_SE_SJ_EUlSX_E_NS1_11comp_targetILNS1_3genE6ELNS1_11target_archE950ELNS1_3gpuE13ELNS1_3repE0EEENS1_47radix_sort_onesweep_sort_config_static_selectorELNS0_4arch9wavefront6targetE1EEEvSE_
		.amdhsa_group_segment_fixed_size 0
		.amdhsa_private_segment_fixed_size 0
		.amdhsa_kernarg_size 88
		.amdhsa_user_sgpr_count 6
		.amdhsa_user_sgpr_private_segment_buffer 1
		.amdhsa_user_sgpr_dispatch_ptr 0
		.amdhsa_user_sgpr_queue_ptr 0
		.amdhsa_user_sgpr_kernarg_segment_ptr 1
		.amdhsa_user_sgpr_dispatch_id 0
		.amdhsa_user_sgpr_flat_scratch_init 0
		.amdhsa_user_sgpr_kernarg_preload_length 0
		.amdhsa_user_sgpr_kernarg_preload_offset 0
		.amdhsa_user_sgpr_private_segment_size 0
		.amdhsa_uses_dynamic_stack 0
		.amdhsa_system_sgpr_private_segment_wavefront_offset 0
		.amdhsa_system_sgpr_workgroup_id_x 1
		.amdhsa_system_sgpr_workgroup_id_y 0
		.amdhsa_system_sgpr_workgroup_id_z 0
		.amdhsa_system_sgpr_workgroup_info 0
		.amdhsa_system_vgpr_workitem_id 0
		.amdhsa_next_free_vgpr 1
		.amdhsa_next_free_sgpr 0
		.amdhsa_accum_offset 4
		.amdhsa_reserve_vcc 0
		.amdhsa_reserve_flat_scratch 0
		.amdhsa_float_round_mode_32 0
		.amdhsa_float_round_mode_16_64 0
		.amdhsa_float_denorm_mode_32 3
		.amdhsa_float_denorm_mode_16_64 3
		.amdhsa_dx10_clamp 1
		.amdhsa_ieee_mode 1
		.amdhsa_fp16_overflow 0
		.amdhsa_tg_split 0
		.amdhsa_exception_fp_ieee_invalid_op 0
		.amdhsa_exception_fp_denorm_src 0
		.amdhsa_exception_fp_ieee_div_zero 0
		.amdhsa_exception_fp_ieee_overflow 0
		.amdhsa_exception_fp_ieee_underflow 0
		.amdhsa_exception_fp_ieee_inexact 0
		.amdhsa_exception_int_div_zero 0
	.end_amdhsa_kernel
	.section	.text._ZN7rocprim17ROCPRIM_400000_NS6detail17trampoline_kernelINS0_14default_configENS1_35radix_sort_onesweep_config_selectorIaNS0_10empty_typeEEEZZNS1_29radix_sort_onesweep_iterationIS3_Lb0EPaS8_PS5_S9_mNS0_19identity_decomposerENS1_16block_id_wrapperIjLb1EEEEE10hipError_tT1_PNSt15iterator_traitsISE_E10value_typeET2_T3_PNSF_ISK_E10value_typeET4_T5_PSP_SQ_PNS1_23onesweep_lookback_stateEbbT6_jjT7_P12ihipStream_tbENKUlT_T0_SE_SJ_E_clIS8_S8_S9_S9_EEDaSX_SY_SE_SJ_EUlSX_E_NS1_11comp_targetILNS1_3genE6ELNS1_11target_archE950ELNS1_3gpuE13ELNS1_3repE0EEENS1_47radix_sort_onesweep_sort_config_static_selectorELNS0_4arch9wavefront6targetE1EEEvSE_,"axG",@progbits,_ZN7rocprim17ROCPRIM_400000_NS6detail17trampoline_kernelINS0_14default_configENS1_35radix_sort_onesweep_config_selectorIaNS0_10empty_typeEEEZZNS1_29radix_sort_onesweep_iterationIS3_Lb0EPaS8_PS5_S9_mNS0_19identity_decomposerENS1_16block_id_wrapperIjLb1EEEEE10hipError_tT1_PNSt15iterator_traitsISE_E10value_typeET2_T3_PNSF_ISK_E10value_typeET4_T5_PSP_SQ_PNS1_23onesweep_lookback_stateEbbT6_jjT7_P12ihipStream_tbENKUlT_T0_SE_SJ_E_clIS8_S8_S9_S9_EEDaSX_SY_SE_SJ_EUlSX_E_NS1_11comp_targetILNS1_3genE6ELNS1_11target_archE950ELNS1_3gpuE13ELNS1_3repE0EEENS1_47radix_sort_onesweep_sort_config_static_selectorELNS0_4arch9wavefront6targetE1EEEvSE_,comdat
.Lfunc_end211:
	.size	_ZN7rocprim17ROCPRIM_400000_NS6detail17trampoline_kernelINS0_14default_configENS1_35radix_sort_onesweep_config_selectorIaNS0_10empty_typeEEEZZNS1_29radix_sort_onesweep_iterationIS3_Lb0EPaS8_PS5_S9_mNS0_19identity_decomposerENS1_16block_id_wrapperIjLb1EEEEE10hipError_tT1_PNSt15iterator_traitsISE_E10value_typeET2_T3_PNSF_ISK_E10value_typeET4_T5_PSP_SQ_PNS1_23onesweep_lookback_stateEbbT6_jjT7_P12ihipStream_tbENKUlT_T0_SE_SJ_E_clIS8_S8_S9_S9_EEDaSX_SY_SE_SJ_EUlSX_E_NS1_11comp_targetILNS1_3genE6ELNS1_11target_archE950ELNS1_3gpuE13ELNS1_3repE0EEENS1_47radix_sort_onesweep_sort_config_static_selectorELNS0_4arch9wavefront6targetE1EEEvSE_, .Lfunc_end211-_ZN7rocprim17ROCPRIM_400000_NS6detail17trampoline_kernelINS0_14default_configENS1_35radix_sort_onesweep_config_selectorIaNS0_10empty_typeEEEZZNS1_29radix_sort_onesweep_iterationIS3_Lb0EPaS8_PS5_S9_mNS0_19identity_decomposerENS1_16block_id_wrapperIjLb1EEEEE10hipError_tT1_PNSt15iterator_traitsISE_E10value_typeET2_T3_PNSF_ISK_E10value_typeET4_T5_PSP_SQ_PNS1_23onesweep_lookback_stateEbbT6_jjT7_P12ihipStream_tbENKUlT_T0_SE_SJ_E_clIS8_S8_S9_S9_EEDaSX_SY_SE_SJ_EUlSX_E_NS1_11comp_targetILNS1_3genE6ELNS1_11target_archE950ELNS1_3gpuE13ELNS1_3repE0EEENS1_47radix_sort_onesweep_sort_config_static_selectorELNS0_4arch9wavefront6targetE1EEEvSE_
                                        ; -- End function
	.section	.AMDGPU.csdata,"",@progbits
; Kernel info:
; codeLenInByte = 0
; NumSgprs: 4
; NumVgprs: 0
; NumAgprs: 0
; TotalNumVgprs: 0
; ScratchSize: 0
; MemoryBound: 0
; FloatMode: 240
; IeeeMode: 1
; LDSByteSize: 0 bytes/workgroup (compile time only)
; SGPRBlocks: 0
; VGPRBlocks: 0
; NumSGPRsForWavesPerEU: 4
; NumVGPRsForWavesPerEU: 1
; AccumOffset: 4
; Occupancy: 8
; WaveLimiterHint : 0
; COMPUTE_PGM_RSRC2:SCRATCH_EN: 0
; COMPUTE_PGM_RSRC2:USER_SGPR: 6
; COMPUTE_PGM_RSRC2:TRAP_HANDLER: 0
; COMPUTE_PGM_RSRC2:TGID_X_EN: 1
; COMPUTE_PGM_RSRC2:TGID_Y_EN: 0
; COMPUTE_PGM_RSRC2:TGID_Z_EN: 0
; COMPUTE_PGM_RSRC2:TIDIG_COMP_CNT: 0
; COMPUTE_PGM_RSRC3_GFX90A:ACCUM_OFFSET: 0
; COMPUTE_PGM_RSRC3_GFX90A:TG_SPLIT: 0
	.section	.text._ZN7rocprim17ROCPRIM_400000_NS6detail17trampoline_kernelINS0_14default_configENS1_35radix_sort_onesweep_config_selectorIaNS0_10empty_typeEEEZZNS1_29radix_sort_onesweep_iterationIS3_Lb0EPaS8_PS5_S9_mNS0_19identity_decomposerENS1_16block_id_wrapperIjLb1EEEEE10hipError_tT1_PNSt15iterator_traitsISE_E10value_typeET2_T3_PNSF_ISK_E10value_typeET4_T5_PSP_SQ_PNS1_23onesweep_lookback_stateEbbT6_jjT7_P12ihipStream_tbENKUlT_T0_SE_SJ_E_clIS8_S8_S9_S9_EEDaSX_SY_SE_SJ_EUlSX_E_NS1_11comp_targetILNS1_3genE5ELNS1_11target_archE942ELNS1_3gpuE9ELNS1_3repE0EEENS1_47radix_sort_onesweep_sort_config_static_selectorELNS0_4arch9wavefront6targetE1EEEvSE_,"axG",@progbits,_ZN7rocprim17ROCPRIM_400000_NS6detail17trampoline_kernelINS0_14default_configENS1_35radix_sort_onesweep_config_selectorIaNS0_10empty_typeEEEZZNS1_29radix_sort_onesweep_iterationIS3_Lb0EPaS8_PS5_S9_mNS0_19identity_decomposerENS1_16block_id_wrapperIjLb1EEEEE10hipError_tT1_PNSt15iterator_traitsISE_E10value_typeET2_T3_PNSF_ISK_E10value_typeET4_T5_PSP_SQ_PNS1_23onesweep_lookback_stateEbbT6_jjT7_P12ihipStream_tbENKUlT_T0_SE_SJ_E_clIS8_S8_S9_S9_EEDaSX_SY_SE_SJ_EUlSX_E_NS1_11comp_targetILNS1_3genE5ELNS1_11target_archE942ELNS1_3gpuE9ELNS1_3repE0EEENS1_47radix_sort_onesweep_sort_config_static_selectorELNS0_4arch9wavefront6targetE1EEEvSE_,comdat
	.protected	_ZN7rocprim17ROCPRIM_400000_NS6detail17trampoline_kernelINS0_14default_configENS1_35radix_sort_onesweep_config_selectorIaNS0_10empty_typeEEEZZNS1_29radix_sort_onesweep_iterationIS3_Lb0EPaS8_PS5_S9_mNS0_19identity_decomposerENS1_16block_id_wrapperIjLb1EEEEE10hipError_tT1_PNSt15iterator_traitsISE_E10value_typeET2_T3_PNSF_ISK_E10value_typeET4_T5_PSP_SQ_PNS1_23onesweep_lookback_stateEbbT6_jjT7_P12ihipStream_tbENKUlT_T0_SE_SJ_E_clIS8_S8_S9_S9_EEDaSX_SY_SE_SJ_EUlSX_E_NS1_11comp_targetILNS1_3genE5ELNS1_11target_archE942ELNS1_3gpuE9ELNS1_3repE0EEENS1_47radix_sort_onesweep_sort_config_static_selectorELNS0_4arch9wavefront6targetE1EEEvSE_ ; -- Begin function _ZN7rocprim17ROCPRIM_400000_NS6detail17trampoline_kernelINS0_14default_configENS1_35radix_sort_onesweep_config_selectorIaNS0_10empty_typeEEEZZNS1_29radix_sort_onesweep_iterationIS3_Lb0EPaS8_PS5_S9_mNS0_19identity_decomposerENS1_16block_id_wrapperIjLb1EEEEE10hipError_tT1_PNSt15iterator_traitsISE_E10value_typeET2_T3_PNSF_ISK_E10value_typeET4_T5_PSP_SQ_PNS1_23onesweep_lookback_stateEbbT6_jjT7_P12ihipStream_tbENKUlT_T0_SE_SJ_E_clIS8_S8_S9_S9_EEDaSX_SY_SE_SJ_EUlSX_E_NS1_11comp_targetILNS1_3genE5ELNS1_11target_archE942ELNS1_3gpuE9ELNS1_3repE0EEENS1_47radix_sort_onesweep_sort_config_static_selectorELNS0_4arch9wavefront6targetE1EEEvSE_
	.globl	_ZN7rocprim17ROCPRIM_400000_NS6detail17trampoline_kernelINS0_14default_configENS1_35radix_sort_onesweep_config_selectorIaNS0_10empty_typeEEEZZNS1_29radix_sort_onesweep_iterationIS3_Lb0EPaS8_PS5_S9_mNS0_19identity_decomposerENS1_16block_id_wrapperIjLb1EEEEE10hipError_tT1_PNSt15iterator_traitsISE_E10value_typeET2_T3_PNSF_ISK_E10value_typeET4_T5_PSP_SQ_PNS1_23onesweep_lookback_stateEbbT6_jjT7_P12ihipStream_tbENKUlT_T0_SE_SJ_E_clIS8_S8_S9_S9_EEDaSX_SY_SE_SJ_EUlSX_E_NS1_11comp_targetILNS1_3genE5ELNS1_11target_archE942ELNS1_3gpuE9ELNS1_3repE0EEENS1_47radix_sort_onesweep_sort_config_static_selectorELNS0_4arch9wavefront6targetE1EEEvSE_
	.p2align	8
	.type	_ZN7rocprim17ROCPRIM_400000_NS6detail17trampoline_kernelINS0_14default_configENS1_35radix_sort_onesweep_config_selectorIaNS0_10empty_typeEEEZZNS1_29radix_sort_onesweep_iterationIS3_Lb0EPaS8_PS5_S9_mNS0_19identity_decomposerENS1_16block_id_wrapperIjLb1EEEEE10hipError_tT1_PNSt15iterator_traitsISE_E10value_typeET2_T3_PNSF_ISK_E10value_typeET4_T5_PSP_SQ_PNS1_23onesweep_lookback_stateEbbT6_jjT7_P12ihipStream_tbENKUlT_T0_SE_SJ_E_clIS8_S8_S9_S9_EEDaSX_SY_SE_SJ_EUlSX_E_NS1_11comp_targetILNS1_3genE5ELNS1_11target_archE942ELNS1_3gpuE9ELNS1_3repE0EEENS1_47radix_sort_onesweep_sort_config_static_selectorELNS0_4arch9wavefront6targetE1EEEvSE_,@function
_ZN7rocprim17ROCPRIM_400000_NS6detail17trampoline_kernelINS0_14default_configENS1_35radix_sort_onesweep_config_selectorIaNS0_10empty_typeEEEZZNS1_29radix_sort_onesweep_iterationIS3_Lb0EPaS8_PS5_S9_mNS0_19identity_decomposerENS1_16block_id_wrapperIjLb1EEEEE10hipError_tT1_PNSt15iterator_traitsISE_E10value_typeET2_T3_PNSF_ISK_E10value_typeET4_T5_PSP_SQ_PNS1_23onesweep_lookback_stateEbbT6_jjT7_P12ihipStream_tbENKUlT_T0_SE_SJ_E_clIS8_S8_S9_S9_EEDaSX_SY_SE_SJ_EUlSX_E_NS1_11comp_targetILNS1_3genE5ELNS1_11target_archE942ELNS1_3gpuE9ELNS1_3repE0EEENS1_47radix_sort_onesweep_sort_config_static_selectorELNS0_4arch9wavefront6targetE1EEEvSE_: ; @_ZN7rocprim17ROCPRIM_400000_NS6detail17trampoline_kernelINS0_14default_configENS1_35radix_sort_onesweep_config_selectorIaNS0_10empty_typeEEEZZNS1_29radix_sort_onesweep_iterationIS3_Lb0EPaS8_PS5_S9_mNS0_19identity_decomposerENS1_16block_id_wrapperIjLb1EEEEE10hipError_tT1_PNSt15iterator_traitsISE_E10value_typeET2_T3_PNSF_ISK_E10value_typeET4_T5_PSP_SQ_PNS1_23onesweep_lookback_stateEbbT6_jjT7_P12ihipStream_tbENKUlT_T0_SE_SJ_E_clIS8_S8_S9_S9_EEDaSX_SY_SE_SJ_EUlSX_E_NS1_11comp_targetILNS1_3genE5ELNS1_11target_archE942ELNS1_3gpuE9ELNS1_3repE0EEENS1_47radix_sort_onesweep_sort_config_static_selectorELNS0_4arch9wavefront6targetE1EEEvSE_
; %bb.0:
	.section	.rodata,"a",@progbits
	.p2align	6, 0x0
	.amdhsa_kernel _ZN7rocprim17ROCPRIM_400000_NS6detail17trampoline_kernelINS0_14default_configENS1_35radix_sort_onesweep_config_selectorIaNS0_10empty_typeEEEZZNS1_29radix_sort_onesweep_iterationIS3_Lb0EPaS8_PS5_S9_mNS0_19identity_decomposerENS1_16block_id_wrapperIjLb1EEEEE10hipError_tT1_PNSt15iterator_traitsISE_E10value_typeET2_T3_PNSF_ISK_E10value_typeET4_T5_PSP_SQ_PNS1_23onesweep_lookback_stateEbbT6_jjT7_P12ihipStream_tbENKUlT_T0_SE_SJ_E_clIS8_S8_S9_S9_EEDaSX_SY_SE_SJ_EUlSX_E_NS1_11comp_targetILNS1_3genE5ELNS1_11target_archE942ELNS1_3gpuE9ELNS1_3repE0EEENS1_47radix_sort_onesweep_sort_config_static_selectorELNS0_4arch9wavefront6targetE1EEEvSE_
		.amdhsa_group_segment_fixed_size 0
		.amdhsa_private_segment_fixed_size 0
		.amdhsa_kernarg_size 88
		.amdhsa_user_sgpr_count 6
		.amdhsa_user_sgpr_private_segment_buffer 1
		.amdhsa_user_sgpr_dispatch_ptr 0
		.amdhsa_user_sgpr_queue_ptr 0
		.amdhsa_user_sgpr_kernarg_segment_ptr 1
		.amdhsa_user_sgpr_dispatch_id 0
		.amdhsa_user_sgpr_flat_scratch_init 0
		.amdhsa_user_sgpr_kernarg_preload_length 0
		.amdhsa_user_sgpr_kernarg_preload_offset 0
		.amdhsa_user_sgpr_private_segment_size 0
		.amdhsa_uses_dynamic_stack 0
		.amdhsa_system_sgpr_private_segment_wavefront_offset 0
		.amdhsa_system_sgpr_workgroup_id_x 1
		.amdhsa_system_sgpr_workgroup_id_y 0
		.amdhsa_system_sgpr_workgroup_id_z 0
		.amdhsa_system_sgpr_workgroup_info 0
		.amdhsa_system_vgpr_workitem_id 0
		.amdhsa_next_free_vgpr 1
		.amdhsa_next_free_sgpr 0
		.amdhsa_accum_offset 4
		.amdhsa_reserve_vcc 0
		.amdhsa_reserve_flat_scratch 0
		.amdhsa_float_round_mode_32 0
		.amdhsa_float_round_mode_16_64 0
		.amdhsa_float_denorm_mode_32 3
		.amdhsa_float_denorm_mode_16_64 3
		.amdhsa_dx10_clamp 1
		.amdhsa_ieee_mode 1
		.amdhsa_fp16_overflow 0
		.amdhsa_tg_split 0
		.amdhsa_exception_fp_ieee_invalid_op 0
		.amdhsa_exception_fp_denorm_src 0
		.amdhsa_exception_fp_ieee_div_zero 0
		.amdhsa_exception_fp_ieee_overflow 0
		.amdhsa_exception_fp_ieee_underflow 0
		.amdhsa_exception_fp_ieee_inexact 0
		.amdhsa_exception_int_div_zero 0
	.end_amdhsa_kernel
	.section	.text._ZN7rocprim17ROCPRIM_400000_NS6detail17trampoline_kernelINS0_14default_configENS1_35radix_sort_onesweep_config_selectorIaNS0_10empty_typeEEEZZNS1_29radix_sort_onesweep_iterationIS3_Lb0EPaS8_PS5_S9_mNS0_19identity_decomposerENS1_16block_id_wrapperIjLb1EEEEE10hipError_tT1_PNSt15iterator_traitsISE_E10value_typeET2_T3_PNSF_ISK_E10value_typeET4_T5_PSP_SQ_PNS1_23onesweep_lookback_stateEbbT6_jjT7_P12ihipStream_tbENKUlT_T0_SE_SJ_E_clIS8_S8_S9_S9_EEDaSX_SY_SE_SJ_EUlSX_E_NS1_11comp_targetILNS1_3genE5ELNS1_11target_archE942ELNS1_3gpuE9ELNS1_3repE0EEENS1_47radix_sort_onesweep_sort_config_static_selectorELNS0_4arch9wavefront6targetE1EEEvSE_,"axG",@progbits,_ZN7rocprim17ROCPRIM_400000_NS6detail17trampoline_kernelINS0_14default_configENS1_35radix_sort_onesweep_config_selectorIaNS0_10empty_typeEEEZZNS1_29radix_sort_onesweep_iterationIS3_Lb0EPaS8_PS5_S9_mNS0_19identity_decomposerENS1_16block_id_wrapperIjLb1EEEEE10hipError_tT1_PNSt15iterator_traitsISE_E10value_typeET2_T3_PNSF_ISK_E10value_typeET4_T5_PSP_SQ_PNS1_23onesweep_lookback_stateEbbT6_jjT7_P12ihipStream_tbENKUlT_T0_SE_SJ_E_clIS8_S8_S9_S9_EEDaSX_SY_SE_SJ_EUlSX_E_NS1_11comp_targetILNS1_3genE5ELNS1_11target_archE942ELNS1_3gpuE9ELNS1_3repE0EEENS1_47radix_sort_onesweep_sort_config_static_selectorELNS0_4arch9wavefront6targetE1EEEvSE_,comdat
.Lfunc_end212:
	.size	_ZN7rocprim17ROCPRIM_400000_NS6detail17trampoline_kernelINS0_14default_configENS1_35radix_sort_onesweep_config_selectorIaNS0_10empty_typeEEEZZNS1_29radix_sort_onesweep_iterationIS3_Lb0EPaS8_PS5_S9_mNS0_19identity_decomposerENS1_16block_id_wrapperIjLb1EEEEE10hipError_tT1_PNSt15iterator_traitsISE_E10value_typeET2_T3_PNSF_ISK_E10value_typeET4_T5_PSP_SQ_PNS1_23onesweep_lookback_stateEbbT6_jjT7_P12ihipStream_tbENKUlT_T0_SE_SJ_E_clIS8_S8_S9_S9_EEDaSX_SY_SE_SJ_EUlSX_E_NS1_11comp_targetILNS1_3genE5ELNS1_11target_archE942ELNS1_3gpuE9ELNS1_3repE0EEENS1_47radix_sort_onesweep_sort_config_static_selectorELNS0_4arch9wavefront6targetE1EEEvSE_, .Lfunc_end212-_ZN7rocprim17ROCPRIM_400000_NS6detail17trampoline_kernelINS0_14default_configENS1_35radix_sort_onesweep_config_selectorIaNS0_10empty_typeEEEZZNS1_29radix_sort_onesweep_iterationIS3_Lb0EPaS8_PS5_S9_mNS0_19identity_decomposerENS1_16block_id_wrapperIjLb1EEEEE10hipError_tT1_PNSt15iterator_traitsISE_E10value_typeET2_T3_PNSF_ISK_E10value_typeET4_T5_PSP_SQ_PNS1_23onesweep_lookback_stateEbbT6_jjT7_P12ihipStream_tbENKUlT_T0_SE_SJ_E_clIS8_S8_S9_S9_EEDaSX_SY_SE_SJ_EUlSX_E_NS1_11comp_targetILNS1_3genE5ELNS1_11target_archE942ELNS1_3gpuE9ELNS1_3repE0EEENS1_47radix_sort_onesweep_sort_config_static_selectorELNS0_4arch9wavefront6targetE1EEEvSE_
                                        ; -- End function
	.section	.AMDGPU.csdata,"",@progbits
; Kernel info:
; codeLenInByte = 0
; NumSgprs: 4
; NumVgprs: 0
; NumAgprs: 0
; TotalNumVgprs: 0
; ScratchSize: 0
; MemoryBound: 0
; FloatMode: 240
; IeeeMode: 1
; LDSByteSize: 0 bytes/workgroup (compile time only)
; SGPRBlocks: 0
; VGPRBlocks: 0
; NumSGPRsForWavesPerEU: 4
; NumVGPRsForWavesPerEU: 1
; AccumOffset: 4
; Occupancy: 8
; WaveLimiterHint : 0
; COMPUTE_PGM_RSRC2:SCRATCH_EN: 0
; COMPUTE_PGM_RSRC2:USER_SGPR: 6
; COMPUTE_PGM_RSRC2:TRAP_HANDLER: 0
; COMPUTE_PGM_RSRC2:TGID_X_EN: 1
; COMPUTE_PGM_RSRC2:TGID_Y_EN: 0
; COMPUTE_PGM_RSRC2:TGID_Z_EN: 0
; COMPUTE_PGM_RSRC2:TIDIG_COMP_CNT: 0
; COMPUTE_PGM_RSRC3_GFX90A:ACCUM_OFFSET: 0
; COMPUTE_PGM_RSRC3_GFX90A:TG_SPLIT: 0
	.section	.text._ZN7rocprim17ROCPRIM_400000_NS6detail17trampoline_kernelINS0_14default_configENS1_35radix_sort_onesweep_config_selectorIaNS0_10empty_typeEEEZZNS1_29radix_sort_onesweep_iterationIS3_Lb0EPaS8_PS5_S9_mNS0_19identity_decomposerENS1_16block_id_wrapperIjLb1EEEEE10hipError_tT1_PNSt15iterator_traitsISE_E10value_typeET2_T3_PNSF_ISK_E10value_typeET4_T5_PSP_SQ_PNS1_23onesweep_lookback_stateEbbT6_jjT7_P12ihipStream_tbENKUlT_T0_SE_SJ_E_clIS8_S8_S9_S9_EEDaSX_SY_SE_SJ_EUlSX_E_NS1_11comp_targetILNS1_3genE2ELNS1_11target_archE906ELNS1_3gpuE6ELNS1_3repE0EEENS1_47radix_sort_onesweep_sort_config_static_selectorELNS0_4arch9wavefront6targetE1EEEvSE_,"axG",@progbits,_ZN7rocprim17ROCPRIM_400000_NS6detail17trampoline_kernelINS0_14default_configENS1_35radix_sort_onesweep_config_selectorIaNS0_10empty_typeEEEZZNS1_29radix_sort_onesweep_iterationIS3_Lb0EPaS8_PS5_S9_mNS0_19identity_decomposerENS1_16block_id_wrapperIjLb1EEEEE10hipError_tT1_PNSt15iterator_traitsISE_E10value_typeET2_T3_PNSF_ISK_E10value_typeET4_T5_PSP_SQ_PNS1_23onesweep_lookback_stateEbbT6_jjT7_P12ihipStream_tbENKUlT_T0_SE_SJ_E_clIS8_S8_S9_S9_EEDaSX_SY_SE_SJ_EUlSX_E_NS1_11comp_targetILNS1_3genE2ELNS1_11target_archE906ELNS1_3gpuE6ELNS1_3repE0EEENS1_47radix_sort_onesweep_sort_config_static_selectorELNS0_4arch9wavefront6targetE1EEEvSE_,comdat
	.protected	_ZN7rocprim17ROCPRIM_400000_NS6detail17trampoline_kernelINS0_14default_configENS1_35radix_sort_onesweep_config_selectorIaNS0_10empty_typeEEEZZNS1_29radix_sort_onesweep_iterationIS3_Lb0EPaS8_PS5_S9_mNS0_19identity_decomposerENS1_16block_id_wrapperIjLb1EEEEE10hipError_tT1_PNSt15iterator_traitsISE_E10value_typeET2_T3_PNSF_ISK_E10value_typeET4_T5_PSP_SQ_PNS1_23onesweep_lookback_stateEbbT6_jjT7_P12ihipStream_tbENKUlT_T0_SE_SJ_E_clIS8_S8_S9_S9_EEDaSX_SY_SE_SJ_EUlSX_E_NS1_11comp_targetILNS1_3genE2ELNS1_11target_archE906ELNS1_3gpuE6ELNS1_3repE0EEENS1_47radix_sort_onesweep_sort_config_static_selectorELNS0_4arch9wavefront6targetE1EEEvSE_ ; -- Begin function _ZN7rocprim17ROCPRIM_400000_NS6detail17trampoline_kernelINS0_14default_configENS1_35radix_sort_onesweep_config_selectorIaNS0_10empty_typeEEEZZNS1_29radix_sort_onesweep_iterationIS3_Lb0EPaS8_PS5_S9_mNS0_19identity_decomposerENS1_16block_id_wrapperIjLb1EEEEE10hipError_tT1_PNSt15iterator_traitsISE_E10value_typeET2_T3_PNSF_ISK_E10value_typeET4_T5_PSP_SQ_PNS1_23onesweep_lookback_stateEbbT6_jjT7_P12ihipStream_tbENKUlT_T0_SE_SJ_E_clIS8_S8_S9_S9_EEDaSX_SY_SE_SJ_EUlSX_E_NS1_11comp_targetILNS1_3genE2ELNS1_11target_archE906ELNS1_3gpuE6ELNS1_3repE0EEENS1_47radix_sort_onesweep_sort_config_static_selectorELNS0_4arch9wavefront6targetE1EEEvSE_
	.globl	_ZN7rocprim17ROCPRIM_400000_NS6detail17trampoline_kernelINS0_14default_configENS1_35radix_sort_onesweep_config_selectorIaNS0_10empty_typeEEEZZNS1_29radix_sort_onesweep_iterationIS3_Lb0EPaS8_PS5_S9_mNS0_19identity_decomposerENS1_16block_id_wrapperIjLb1EEEEE10hipError_tT1_PNSt15iterator_traitsISE_E10value_typeET2_T3_PNSF_ISK_E10value_typeET4_T5_PSP_SQ_PNS1_23onesweep_lookback_stateEbbT6_jjT7_P12ihipStream_tbENKUlT_T0_SE_SJ_E_clIS8_S8_S9_S9_EEDaSX_SY_SE_SJ_EUlSX_E_NS1_11comp_targetILNS1_3genE2ELNS1_11target_archE906ELNS1_3gpuE6ELNS1_3repE0EEENS1_47radix_sort_onesweep_sort_config_static_selectorELNS0_4arch9wavefront6targetE1EEEvSE_
	.p2align	8
	.type	_ZN7rocprim17ROCPRIM_400000_NS6detail17trampoline_kernelINS0_14default_configENS1_35radix_sort_onesweep_config_selectorIaNS0_10empty_typeEEEZZNS1_29radix_sort_onesweep_iterationIS3_Lb0EPaS8_PS5_S9_mNS0_19identity_decomposerENS1_16block_id_wrapperIjLb1EEEEE10hipError_tT1_PNSt15iterator_traitsISE_E10value_typeET2_T3_PNSF_ISK_E10value_typeET4_T5_PSP_SQ_PNS1_23onesweep_lookback_stateEbbT6_jjT7_P12ihipStream_tbENKUlT_T0_SE_SJ_E_clIS8_S8_S9_S9_EEDaSX_SY_SE_SJ_EUlSX_E_NS1_11comp_targetILNS1_3genE2ELNS1_11target_archE906ELNS1_3gpuE6ELNS1_3repE0EEENS1_47radix_sort_onesweep_sort_config_static_selectorELNS0_4arch9wavefront6targetE1EEEvSE_,@function
_ZN7rocprim17ROCPRIM_400000_NS6detail17trampoline_kernelINS0_14default_configENS1_35radix_sort_onesweep_config_selectorIaNS0_10empty_typeEEEZZNS1_29radix_sort_onesweep_iterationIS3_Lb0EPaS8_PS5_S9_mNS0_19identity_decomposerENS1_16block_id_wrapperIjLb1EEEEE10hipError_tT1_PNSt15iterator_traitsISE_E10value_typeET2_T3_PNSF_ISK_E10value_typeET4_T5_PSP_SQ_PNS1_23onesweep_lookback_stateEbbT6_jjT7_P12ihipStream_tbENKUlT_T0_SE_SJ_E_clIS8_S8_S9_S9_EEDaSX_SY_SE_SJ_EUlSX_E_NS1_11comp_targetILNS1_3genE2ELNS1_11target_archE906ELNS1_3gpuE6ELNS1_3repE0EEENS1_47radix_sort_onesweep_sort_config_static_selectorELNS0_4arch9wavefront6targetE1EEEvSE_: ; @_ZN7rocprim17ROCPRIM_400000_NS6detail17trampoline_kernelINS0_14default_configENS1_35radix_sort_onesweep_config_selectorIaNS0_10empty_typeEEEZZNS1_29radix_sort_onesweep_iterationIS3_Lb0EPaS8_PS5_S9_mNS0_19identity_decomposerENS1_16block_id_wrapperIjLb1EEEEE10hipError_tT1_PNSt15iterator_traitsISE_E10value_typeET2_T3_PNSF_ISK_E10value_typeET4_T5_PSP_SQ_PNS1_23onesweep_lookback_stateEbbT6_jjT7_P12ihipStream_tbENKUlT_T0_SE_SJ_E_clIS8_S8_S9_S9_EEDaSX_SY_SE_SJ_EUlSX_E_NS1_11comp_targetILNS1_3genE2ELNS1_11target_archE906ELNS1_3gpuE6ELNS1_3repE0EEENS1_47radix_sort_onesweep_sort_config_static_selectorELNS0_4arch9wavefront6targetE1EEEvSE_
; %bb.0:
	.section	.rodata,"a",@progbits
	.p2align	6, 0x0
	.amdhsa_kernel _ZN7rocprim17ROCPRIM_400000_NS6detail17trampoline_kernelINS0_14default_configENS1_35radix_sort_onesweep_config_selectorIaNS0_10empty_typeEEEZZNS1_29radix_sort_onesweep_iterationIS3_Lb0EPaS8_PS5_S9_mNS0_19identity_decomposerENS1_16block_id_wrapperIjLb1EEEEE10hipError_tT1_PNSt15iterator_traitsISE_E10value_typeET2_T3_PNSF_ISK_E10value_typeET4_T5_PSP_SQ_PNS1_23onesweep_lookback_stateEbbT6_jjT7_P12ihipStream_tbENKUlT_T0_SE_SJ_E_clIS8_S8_S9_S9_EEDaSX_SY_SE_SJ_EUlSX_E_NS1_11comp_targetILNS1_3genE2ELNS1_11target_archE906ELNS1_3gpuE6ELNS1_3repE0EEENS1_47radix_sort_onesweep_sort_config_static_selectorELNS0_4arch9wavefront6targetE1EEEvSE_
		.amdhsa_group_segment_fixed_size 0
		.amdhsa_private_segment_fixed_size 0
		.amdhsa_kernarg_size 88
		.amdhsa_user_sgpr_count 6
		.amdhsa_user_sgpr_private_segment_buffer 1
		.amdhsa_user_sgpr_dispatch_ptr 0
		.amdhsa_user_sgpr_queue_ptr 0
		.amdhsa_user_sgpr_kernarg_segment_ptr 1
		.amdhsa_user_sgpr_dispatch_id 0
		.amdhsa_user_sgpr_flat_scratch_init 0
		.amdhsa_user_sgpr_kernarg_preload_length 0
		.amdhsa_user_sgpr_kernarg_preload_offset 0
		.amdhsa_user_sgpr_private_segment_size 0
		.amdhsa_uses_dynamic_stack 0
		.amdhsa_system_sgpr_private_segment_wavefront_offset 0
		.amdhsa_system_sgpr_workgroup_id_x 1
		.amdhsa_system_sgpr_workgroup_id_y 0
		.amdhsa_system_sgpr_workgroup_id_z 0
		.amdhsa_system_sgpr_workgroup_info 0
		.amdhsa_system_vgpr_workitem_id 0
		.amdhsa_next_free_vgpr 1
		.amdhsa_next_free_sgpr 0
		.amdhsa_accum_offset 4
		.amdhsa_reserve_vcc 0
		.amdhsa_reserve_flat_scratch 0
		.amdhsa_float_round_mode_32 0
		.amdhsa_float_round_mode_16_64 0
		.amdhsa_float_denorm_mode_32 3
		.amdhsa_float_denorm_mode_16_64 3
		.amdhsa_dx10_clamp 1
		.amdhsa_ieee_mode 1
		.amdhsa_fp16_overflow 0
		.amdhsa_tg_split 0
		.amdhsa_exception_fp_ieee_invalid_op 0
		.amdhsa_exception_fp_denorm_src 0
		.amdhsa_exception_fp_ieee_div_zero 0
		.amdhsa_exception_fp_ieee_overflow 0
		.amdhsa_exception_fp_ieee_underflow 0
		.amdhsa_exception_fp_ieee_inexact 0
		.amdhsa_exception_int_div_zero 0
	.end_amdhsa_kernel
	.section	.text._ZN7rocprim17ROCPRIM_400000_NS6detail17trampoline_kernelINS0_14default_configENS1_35radix_sort_onesweep_config_selectorIaNS0_10empty_typeEEEZZNS1_29radix_sort_onesweep_iterationIS3_Lb0EPaS8_PS5_S9_mNS0_19identity_decomposerENS1_16block_id_wrapperIjLb1EEEEE10hipError_tT1_PNSt15iterator_traitsISE_E10value_typeET2_T3_PNSF_ISK_E10value_typeET4_T5_PSP_SQ_PNS1_23onesweep_lookback_stateEbbT6_jjT7_P12ihipStream_tbENKUlT_T0_SE_SJ_E_clIS8_S8_S9_S9_EEDaSX_SY_SE_SJ_EUlSX_E_NS1_11comp_targetILNS1_3genE2ELNS1_11target_archE906ELNS1_3gpuE6ELNS1_3repE0EEENS1_47radix_sort_onesweep_sort_config_static_selectorELNS0_4arch9wavefront6targetE1EEEvSE_,"axG",@progbits,_ZN7rocprim17ROCPRIM_400000_NS6detail17trampoline_kernelINS0_14default_configENS1_35radix_sort_onesweep_config_selectorIaNS0_10empty_typeEEEZZNS1_29radix_sort_onesweep_iterationIS3_Lb0EPaS8_PS5_S9_mNS0_19identity_decomposerENS1_16block_id_wrapperIjLb1EEEEE10hipError_tT1_PNSt15iterator_traitsISE_E10value_typeET2_T3_PNSF_ISK_E10value_typeET4_T5_PSP_SQ_PNS1_23onesweep_lookback_stateEbbT6_jjT7_P12ihipStream_tbENKUlT_T0_SE_SJ_E_clIS8_S8_S9_S9_EEDaSX_SY_SE_SJ_EUlSX_E_NS1_11comp_targetILNS1_3genE2ELNS1_11target_archE906ELNS1_3gpuE6ELNS1_3repE0EEENS1_47radix_sort_onesweep_sort_config_static_selectorELNS0_4arch9wavefront6targetE1EEEvSE_,comdat
.Lfunc_end213:
	.size	_ZN7rocprim17ROCPRIM_400000_NS6detail17trampoline_kernelINS0_14default_configENS1_35radix_sort_onesweep_config_selectorIaNS0_10empty_typeEEEZZNS1_29radix_sort_onesweep_iterationIS3_Lb0EPaS8_PS5_S9_mNS0_19identity_decomposerENS1_16block_id_wrapperIjLb1EEEEE10hipError_tT1_PNSt15iterator_traitsISE_E10value_typeET2_T3_PNSF_ISK_E10value_typeET4_T5_PSP_SQ_PNS1_23onesweep_lookback_stateEbbT6_jjT7_P12ihipStream_tbENKUlT_T0_SE_SJ_E_clIS8_S8_S9_S9_EEDaSX_SY_SE_SJ_EUlSX_E_NS1_11comp_targetILNS1_3genE2ELNS1_11target_archE906ELNS1_3gpuE6ELNS1_3repE0EEENS1_47radix_sort_onesweep_sort_config_static_selectorELNS0_4arch9wavefront6targetE1EEEvSE_, .Lfunc_end213-_ZN7rocprim17ROCPRIM_400000_NS6detail17trampoline_kernelINS0_14default_configENS1_35radix_sort_onesweep_config_selectorIaNS0_10empty_typeEEEZZNS1_29radix_sort_onesweep_iterationIS3_Lb0EPaS8_PS5_S9_mNS0_19identity_decomposerENS1_16block_id_wrapperIjLb1EEEEE10hipError_tT1_PNSt15iterator_traitsISE_E10value_typeET2_T3_PNSF_ISK_E10value_typeET4_T5_PSP_SQ_PNS1_23onesweep_lookback_stateEbbT6_jjT7_P12ihipStream_tbENKUlT_T0_SE_SJ_E_clIS8_S8_S9_S9_EEDaSX_SY_SE_SJ_EUlSX_E_NS1_11comp_targetILNS1_3genE2ELNS1_11target_archE906ELNS1_3gpuE6ELNS1_3repE0EEENS1_47radix_sort_onesweep_sort_config_static_selectorELNS0_4arch9wavefront6targetE1EEEvSE_
                                        ; -- End function
	.section	.AMDGPU.csdata,"",@progbits
; Kernel info:
; codeLenInByte = 0
; NumSgprs: 4
; NumVgprs: 0
; NumAgprs: 0
; TotalNumVgprs: 0
; ScratchSize: 0
; MemoryBound: 0
; FloatMode: 240
; IeeeMode: 1
; LDSByteSize: 0 bytes/workgroup (compile time only)
; SGPRBlocks: 0
; VGPRBlocks: 0
; NumSGPRsForWavesPerEU: 4
; NumVGPRsForWavesPerEU: 1
; AccumOffset: 4
; Occupancy: 8
; WaveLimiterHint : 0
; COMPUTE_PGM_RSRC2:SCRATCH_EN: 0
; COMPUTE_PGM_RSRC2:USER_SGPR: 6
; COMPUTE_PGM_RSRC2:TRAP_HANDLER: 0
; COMPUTE_PGM_RSRC2:TGID_X_EN: 1
; COMPUTE_PGM_RSRC2:TGID_Y_EN: 0
; COMPUTE_PGM_RSRC2:TGID_Z_EN: 0
; COMPUTE_PGM_RSRC2:TIDIG_COMP_CNT: 0
; COMPUTE_PGM_RSRC3_GFX90A:ACCUM_OFFSET: 0
; COMPUTE_PGM_RSRC3_GFX90A:TG_SPLIT: 0
	.section	.text._ZN7rocprim17ROCPRIM_400000_NS6detail17trampoline_kernelINS0_14default_configENS1_35radix_sort_onesweep_config_selectorIaNS0_10empty_typeEEEZZNS1_29radix_sort_onesweep_iterationIS3_Lb0EPaS8_PS5_S9_mNS0_19identity_decomposerENS1_16block_id_wrapperIjLb1EEEEE10hipError_tT1_PNSt15iterator_traitsISE_E10value_typeET2_T3_PNSF_ISK_E10value_typeET4_T5_PSP_SQ_PNS1_23onesweep_lookback_stateEbbT6_jjT7_P12ihipStream_tbENKUlT_T0_SE_SJ_E_clIS8_S8_S9_S9_EEDaSX_SY_SE_SJ_EUlSX_E_NS1_11comp_targetILNS1_3genE4ELNS1_11target_archE910ELNS1_3gpuE8ELNS1_3repE0EEENS1_47radix_sort_onesweep_sort_config_static_selectorELNS0_4arch9wavefront6targetE1EEEvSE_,"axG",@progbits,_ZN7rocprim17ROCPRIM_400000_NS6detail17trampoline_kernelINS0_14default_configENS1_35radix_sort_onesweep_config_selectorIaNS0_10empty_typeEEEZZNS1_29radix_sort_onesweep_iterationIS3_Lb0EPaS8_PS5_S9_mNS0_19identity_decomposerENS1_16block_id_wrapperIjLb1EEEEE10hipError_tT1_PNSt15iterator_traitsISE_E10value_typeET2_T3_PNSF_ISK_E10value_typeET4_T5_PSP_SQ_PNS1_23onesweep_lookback_stateEbbT6_jjT7_P12ihipStream_tbENKUlT_T0_SE_SJ_E_clIS8_S8_S9_S9_EEDaSX_SY_SE_SJ_EUlSX_E_NS1_11comp_targetILNS1_3genE4ELNS1_11target_archE910ELNS1_3gpuE8ELNS1_3repE0EEENS1_47radix_sort_onesweep_sort_config_static_selectorELNS0_4arch9wavefront6targetE1EEEvSE_,comdat
	.protected	_ZN7rocprim17ROCPRIM_400000_NS6detail17trampoline_kernelINS0_14default_configENS1_35radix_sort_onesweep_config_selectorIaNS0_10empty_typeEEEZZNS1_29radix_sort_onesweep_iterationIS3_Lb0EPaS8_PS5_S9_mNS0_19identity_decomposerENS1_16block_id_wrapperIjLb1EEEEE10hipError_tT1_PNSt15iterator_traitsISE_E10value_typeET2_T3_PNSF_ISK_E10value_typeET4_T5_PSP_SQ_PNS1_23onesweep_lookback_stateEbbT6_jjT7_P12ihipStream_tbENKUlT_T0_SE_SJ_E_clIS8_S8_S9_S9_EEDaSX_SY_SE_SJ_EUlSX_E_NS1_11comp_targetILNS1_3genE4ELNS1_11target_archE910ELNS1_3gpuE8ELNS1_3repE0EEENS1_47radix_sort_onesweep_sort_config_static_selectorELNS0_4arch9wavefront6targetE1EEEvSE_ ; -- Begin function _ZN7rocprim17ROCPRIM_400000_NS6detail17trampoline_kernelINS0_14default_configENS1_35radix_sort_onesweep_config_selectorIaNS0_10empty_typeEEEZZNS1_29radix_sort_onesweep_iterationIS3_Lb0EPaS8_PS5_S9_mNS0_19identity_decomposerENS1_16block_id_wrapperIjLb1EEEEE10hipError_tT1_PNSt15iterator_traitsISE_E10value_typeET2_T3_PNSF_ISK_E10value_typeET4_T5_PSP_SQ_PNS1_23onesweep_lookback_stateEbbT6_jjT7_P12ihipStream_tbENKUlT_T0_SE_SJ_E_clIS8_S8_S9_S9_EEDaSX_SY_SE_SJ_EUlSX_E_NS1_11comp_targetILNS1_3genE4ELNS1_11target_archE910ELNS1_3gpuE8ELNS1_3repE0EEENS1_47radix_sort_onesweep_sort_config_static_selectorELNS0_4arch9wavefront6targetE1EEEvSE_
	.globl	_ZN7rocprim17ROCPRIM_400000_NS6detail17trampoline_kernelINS0_14default_configENS1_35radix_sort_onesweep_config_selectorIaNS0_10empty_typeEEEZZNS1_29radix_sort_onesweep_iterationIS3_Lb0EPaS8_PS5_S9_mNS0_19identity_decomposerENS1_16block_id_wrapperIjLb1EEEEE10hipError_tT1_PNSt15iterator_traitsISE_E10value_typeET2_T3_PNSF_ISK_E10value_typeET4_T5_PSP_SQ_PNS1_23onesweep_lookback_stateEbbT6_jjT7_P12ihipStream_tbENKUlT_T0_SE_SJ_E_clIS8_S8_S9_S9_EEDaSX_SY_SE_SJ_EUlSX_E_NS1_11comp_targetILNS1_3genE4ELNS1_11target_archE910ELNS1_3gpuE8ELNS1_3repE0EEENS1_47radix_sort_onesweep_sort_config_static_selectorELNS0_4arch9wavefront6targetE1EEEvSE_
	.p2align	8
	.type	_ZN7rocprim17ROCPRIM_400000_NS6detail17trampoline_kernelINS0_14default_configENS1_35radix_sort_onesweep_config_selectorIaNS0_10empty_typeEEEZZNS1_29radix_sort_onesweep_iterationIS3_Lb0EPaS8_PS5_S9_mNS0_19identity_decomposerENS1_16block_id_wrapperIjLb1EEEEE10hipError_tT1_PNSt15iterator_traitsISE_E10value_typeET2_T3_PNSF_ISK_E10value_typeET4_T5_PSP_SQ_PNS1_23onesweep_lookback_stateEbbT6_jjT7_P12ihipStream_tbENKUlT_T0_SE_SJ_E_clIS8_S8_S9_S9_EEDaSX_SY_SE_SJ_EUlSX_E_NS1_11comp_targetILNS1_3genE4ELNS1_11target_archE910ELNS1_3gpuE8ELNS1_3repE0EEENS1_47radix_sort_onesweep_sort_config_static_selectorELNS0_4arch9wavefront6targetE1EEEvSE_,@function
_ZN7rocprim17ROCPRIM_400000_NS6detail17trampoline_kernelINS0_14default_configENS1_35radix_sort_onesweep_config_selectorIaNS0_10empty_typeEEEZZNS1_29radix_sort_onesweep_iterationIS3_Lb0EPaS8_PS5_S9_mNS0_19identity_decomposerENS1_16block_id_wrapperIjLb1EEEEE10hipError_tT1_PNSt15iterator_traitsISE_E10value_typeET2_T3_PNSF_ISK_E10value_typeET4_T5_PSP_SQ_PNS1_23onesweep_lookback_stateEbbT6_jjT7_P12ihipStream_tbENKUlT_T0_SE_SJ_E_clIS8_S8_S9_S9_EEDaSX_SY_SE_SJ_EUlSX_E_NS1_11comp_targetILNS1_3genE4ELNS1_11target_archE910ELNS1_3gpuE8ELNS1_3repE0EEENS1_47radix_sort_onesweep_sort_config_static_selectorELNS0_4arch9wavefront6targetE1EEEvSE_: ; @_ZN7rocprim17ROCPRIM_400000_NS6detail17trampoline_kernelINS0_14default_configENS1_35radix_sort_onesweep_config_selectorIaNS0_10empty_typeEEEZZNS1_29radix_sort_onesweep_iterationIS3_Lb0EPaS8_PS5_S9_mNS0_19identity_decomposerENS1_16block_id_wrapperIjLb1EEEEE10hipError_tT1_PNSt15iterator_traitsISE_E10value_typeET2_T3_PNSF_ISK_E10value_typeET4_T5_PSP_SQ_PNS1_23onesweep_lookback_stateEbbT6_jjT7_P12ihipStream_tbENKUlT_T0_SE_SJ_E_clIS8_S8_S9_S9_EEDaSX_SY_SE_SJ_EUlSX_E_NS1_11comp_targetILNS1_3genE4ELNS1_11target_archE910ELNS1_3gpuE8ELNS1_3repE0EEENS1_47radix_sort_onesweep_sort_config_static_selectorELNS0_4arch9wavefront6targetE1EEEvSE_
; %bb.0:
	s_load_dwordx4 s[8:11], s[4:5], 0x28
	s_load_dwordx2 s[6:7], s[4:5], 0x38
	s_load_dwordx4 s[16:19], s[4:5], 0x44
	v_cmp_eq_u32_e32 vcc, 0, v0
	s_and_saveexec_b64 s[0:1], vcc
	s_cbranch_execz .LBB214_4
; %bb.1:
	s_mov_b64 s[12:13], exec
	v_mbcnt_lo_u32_b32 v1, s12, 0
	v_mbcnt_hi_u32_b32 v1, s13, v1
	v_cmp_eq_u32_e32 vcc, 0, v1
                                        ; implicit-def: $vgpr2
	s_and_saveexec_b64 s[2:3], vcc
	s_cbranch_execz .LBB214_3
; %bb.2:
	s_load_dwordx2 s[14:15], s[4:5], 0x50
	s_bcnt1_i32_b64 s12, s[12:13]
	v_mov_b32_e32 v2, 0
	v_mov_b32_e32 v3, s12
	s_waitcnt lgkmcnt(0)
	global_atomic_add v2, v2, v3, s[14:15] glc
.LBB214_3:
	s_or_b64 exec, exec, s[2:3]
	s_waitcnt vmcnt(0)
	v_readfirstlane_b32 s2, v2
	v_add_u32_e32 v1, s2, v1
	v_mov_b32_e32 v2, 0
	ds_write_b32 v2, v1 offset:16416
.LBB214_4:
	s_or_b64 exec, exec, s[0:1]
	v_mov_b32_e32 v1, 0
	s_load_dwordx4 s[12:15], s[4:5], 0x0
	s_load_dword s0, s[4:5], 0x20
	s_waitcnt lgkmcnt(0)
	s_barrier
	ds_read_b32 v1, v1 offset:16416
	v_mul_u32_u24_e32 v10, 22, v0
	s_waitcnt lgkmcnt(0)
	s_barrier
	v_readfirstlane_b32 s24, v1
	v_cmp_le_u32_e32 vcc, s18, v1
	s_mul_i32 s25, s24, 0x2c00
	s_cbranch_vccz .LBB214_124
; %bb.5:
	s_mul_i32 s26, s18, 0xffffd400
	s_add_i32 s26, s26, s0
	s_add_u32 s0, s12, s25
	s_addc_u32 s1, s13, 0
	v_mov_b32_e32 v1, s1
	v_add_co_u32_e32 v2, vcc, s0, v10
	v_addc_co_u32_e32 v3, vcc, 0, v1, vcc
	v_cmp_gt_u32_e32 vcc, s26, v10
	v_mov_b32_e32 v4, 0x7f
	v_mov_b32_e32 v1, 0x7f
	s_and_saveexec_b64 s[0:1], vcc
	s_cbranch_execz .LBB214_7
; %bb.6:
	global_load_ubyte v1, v[2:3], off
.LBB214_7:
	s_or_b64 exec, exec, s[0:1]
	v_or_b32_e32 v5, 1, v10
	v_cmp_gt_u32_e32 vcc, s26, v5
	s_and_saveexec_b64 s[0:1], vcc
	s_cbranch_execz .LBB214_9
; %bb.8:
	global_load_ubyte v4, v[2:3], off offset:1
.LBB214_9:
	s_or_b64 exec, exec, s[0:1]
	v_add_u32_e32 v5, 2, v10
	v_cmp_gt_u32_e32 vcc, s26, v5
	v_mov_b32_e32 v6, 0x7f
	v_mov_b32_e32 v5, 0x7f
	s_and_saveexec_b64 s[0:1], vcc
	s_cbranch_execz .LBB214_11
; %bb.10:
	global_load_ubyte v5, v[2:3], off offset:2
.LBB214_11:
	s_or_b64 exec, exec, s[0:1]
	v_add_u32_e32 v7, 3, v10
	v_cmp_gt_u32_e32 vcc, s26, v7
	s_and_saveexec_b64 s[0:1], vcc
	s_cbranch_execz .LBB214_13
; %bb.12:
	global_load_ubyte v6, v[2:3], off offset:3
.LBB214_13:
	s_or_b64 exec, exec, s[0:1]
	v_add_u32_e32 v7, 4, v10
	v_cmp_gt_u32_e32 vcc, s26, v7
	v_mov_b32_e32 v11, 0x7f
	v_mov_b32_e32 v8, 0x7f
	s_and_saveexec_b64 s[0:1], vcc
	s_cbranch_execz .LBB214_15
; %bb.14:
	global_load_ubyte v8, v[2:3], off offset:4
.LBB214_15:
	s_or_b64 exec, exec, s[0:1]
	v_add_u32_e32 v7, 5, v10
	;; [unrolled: 18-line block ×10, first 2 shown]
	v_cmp_gt_u32_e32 vcc, s26, v7
	s_and_saveexec_b64 s[0:1], vcc
	s_cbranch_execz .LBB214_49
; %bb.48:
	global_load_ubyte v40, v[2:3], off offset:21
.LBB214_49:
	s_or_b64 exec, exec, s[0:1]
	v_lshlrev_b32_e32 v2, 2, v0
	v_mov_b32_e32 v3, 0
	s_mov_b64 s[0:1], -1
	ds_write2st64_b32 v2, v3, v3 offset1:8
	ds_write2st64_b32 v2, v3, v3 offset0:16 offset1:24
	s_and_saveexec_b64 s[2:3], s[0:1]
	s_cbranch_execz .LBB214_51
; %bb.50:
	ds_write_b32 v2, v3 offset:8192
.LBB214_51:
	s_or_b64 exec, exec, s[2:3]
	s_and_saveexec_b64 s[2:3], s[0:1]
	s_cbranch_execz .LBB214_53
; %bb.52:
	v_mov_b32_e32 v3, 0
	ds_write_b32 v2, v3 offset:10240
.LBB214_53:
	s_or_b64 exec, exec, s[2:3]
	v_cmp_gt_u32_e64 s[0:1], 7, 6
	v_cmp_gt_u32_e64 s[18:19], 7, 5
	s_and_saveexec_b64 s[2:3], s[18:19]
	s_cbranch_execz .LBB214_55
; %bb.54:
	v_mov_b32_e32 v3, 0
	ds_write_b32 v2, v3 offset:12288
.LBB214_55:
	s_or_b64 exec, exec, s[2:3]
	s_and_saveexec_b64 s[2:3], s[0:1]
	s_cbranch_execz .LBB214_57
; %bb.56:
	v_mov_b32_e32 v3, 0
	ds_write_b32 v2, v3 offset:14336
.LBB214_57:
	s_or_b64 exec, exec, s[2:3]
	s_waitcnt vmcnt(0)
	v_xor_b32_e32 v1, 0xffffff80, v1
	s_lshl_b32 s0, -1, s17
	s_not_b32 s27, s0
	v_lshrrev_b32_sdwa v2, s16, v1 dst_sel:DWORD dst_unused:UNUSED_PAD src0_sel:DWORD src1_sel:BYTE_0
	v_and_b32_e32 v2, s27, v2
	v_lshrrev_b32_e32 v3, 3, v2
	v_lshlrev_b32_e32 v2, 9, v2
	s_movk_i32 s0, 0xe00
	v_and_or_b32 v2, v2, s0, v0
	v_lshlrev_b32_e32 v2, 1, v2
	v_add_lshl_u32 v2, v2, v3, 1
	ds_read_u16 v7, v2
	v_xor_b32_e32 v4, 0xffffff80, v4
	v_xor_b32_e32 v5, 0xffffff80, v5
	v_xor_b32_e32 v6, 0xffffff80, v6
	v_xor_b32_e32 v8, 0xffffff80, v8
	s_waitcnt lgkmcnt(0)
	v_add_u16_e32 v3, 1, v7
	ds_write_b16 v2, v3
	v_lshrrev_b32_sdwa v3, s16, v4 dst_sel:DWORD dst_unused:UNUSED_PAD src0_sel:DWORD src1_sel:BYTE_0
	v_and_b32_e32 v3, s27, v3
	v_lshrrev_b32_e32 v9, 3, v3
	v_lshlrev_b32_e32 v3, 9, v3
	v_and_or_b32 v3, v3, s0, v0
	v_lshlrev_b32_e32 v3, 1, v3
	v_add_lshl_u32 v3, v3, v9, 1
	ds_read_u16 v9, v3
	v_xor_b32_e32 v14, 0xffffff80, v14
	v_xor_b32_e32 v16, 0xffffff80, v16
	v_xor_b32_e32 v18, 0xffffff80, v18
	v_xor_b32_e32 v20, 0xffffff80, v20
	s_waitcnt lgkmcnt(0)
	v_add_u16_e32 v12, 1, v9
	ds_write_b16 v3, v12
	v_lshrrev_b32_sdwa v12, s16, v5 dst_sel:DWORD dst_unused:UNUSED_PAD src0_sel:DWORD src1_sel:BYTE_0
	v_and_b32_e32 v12, s27, v12
	v_lshrrev_b32_e32 v13, 3, v12
	v_lshlrev_b32_e32 v12, 9, v12
	;; [unrolled: 15-line block ×5, first 2 shown]
	v_and_or_b32 v11, v11, s0, v0
	v_lshlrev_b32_e32 v11, 1, v11
	v_add_lshl_u32 v11, v11, v19, 1
	ds_read_u16 v19, v11
	v_xor_b32_e32 v40, 0xffffff80, v40
	s_waitcnt lgkmcnt(0)
	v_add_u16_e32 v21, 1, v19
	ds_write_b16 v11, v21
	v_lshrrev_b32_sdwa v21, s16, v14 dst_sel:DWORD dst_unused:UNUSED_PAD src0_sel:DWORD src1_sel:BYTE_0
	v_and_b32_e32 v21, s27, v21
	v_lshrrev_b32_e32 v23, 3, v21
	v_lshlrev_b32_e32 v21, 9, v21
	v_and_or_b32 v21, v21, s0, v0
	v_lshlrev_b32_e32 v21, 1, v21
	v_add_lshl_u32 v43, v21, v23, 1
	ds_read_u16 v21, v43
	s_waitcnt lgkmcnt(0)
	v_add_u16_e32 v23, 1, v21
	ds_write_b16 v43, v23
	v_lshrrev_b32_sdwa v23, s16, v16 dst_sel:DWORD dst_unused:UNUSED_PAD src0_sel:DWORD src1_sel:BYTE_0
	v_and_b32_e32 v23, s27, v23
	v_lshrrev_b32_e32 v25, 3, v23
	v_lshlrev_b32_e32 v23, 9, v23
	v_and_or_b32 v23, v23, s0, v0
	v_lshlrev_b32_e32 v23, 1, v23
	v_add_lshl_u32 v46, v23, v25, 1
	ds_read_u16 v23, v46
	;; [unrolled: 11-line block ×16, first 2 shown]
	s_waitcnt lgkmcnt(0)
	v_add_u16_e32 v68, 1, v59
	ds_write_b16 v67, v68
	v_lshlrev_b32_e32 v68, 5, v0
	s_waitcnt lgkmcnt(0)
	s_barrier
	ds_read2_b64 v[70:73], v68 offset1:1
	ds_read2_b64 v[74:77], v68 offset0:2 offset1:3
	s_waitcnt lgkmcnt(1)
	v_add_u32_e32 v69, v71, v70
	v_add3_u32 v69, v69, v72, v73
	s_waitcnt lgkmcnt(0)
	v_add3_u32 v69, v69, v74, v75
	v_add3_u32 v70, v69, v76, v77
	v_mbcnt_lo_u32_b32 v69, -1, 0
	v_mbcnt_hi_u32_b32 v69, -1, v69
	v_and_b32_e32 v71, 15, v69
	v_mov_b32_dpp v72, v70 row_shr:1 row_mask:0xf bank_mask:0xf
	v_cmp_ne_u32_e32 vcc, 0, v71
	v_cndmask_b32_e32 v72, 0, v72, vcc
	v_add_u32_e32 v70, v72, v70
	v_cmp_lt_u32_e32 vcc, 1, v71
	s_nop 0
	v_mov_b32_dpp v72, v70 row_shr:2 row_mask:0xf bank_mask:0xf
	v_cndmask_b32_e32 v72, 0, v72, vcc
	v_add_u32_e32 v70, v70, v72
	v_cmp_lt_u32_e32 vcc, 3, v71
	s_nop 0
	v_mov_b32_dpp v72, v70 row_shr:4 row_mask:0xf bank_mask:0xf
	;; [unrolled: 5-line block ×3, first 2 shown]
	v_cndmask_b32_e32 v71, 0, v72, vcc
	v_add_u32_e32 v70, v70, v71
	v_bfe_i32 v72, v69, 4, 1
	v_cmp_lt_u32_e32 vcc, 31, v69
	v_mov_b32_dpp v71, v70 row_bcast:15 row_mask:0xf bank_mask:0xf
	v_and_b32_e32 v71, v72, v71
	v_add_u32_e32 v70, v70, v71
	v_or_b32_e32 v72, 63, v0
	s_nop 0
	v_mov_b32_dpp v71, v70 row_bcast:31 row_mask:0xf bank_mask:0xf
	v_cndmask_b32_e32 v71, 0, v71, vcc
	v_add_u32_e32 v70, v70, v71
	v_lshrrev_b32_e32 v71, 6, v0
	v_cmp_eq_u32_e32 vcc, v72, v0
	v_lshlrev_b32_e32 v71, 2, v71
	s_and_saveexec_b64 s[0:1], vcc
	s_cbranch_execz .LBB214_59
; %bb.58:
	ds_write_b32 v71, v70 offset:16384
.LBB214_59:
	s_or_b64 exec, exec, s[0:1]
	v_cmp_gt_u32_e32 vcc, 8, v0
	s_waitcnt lgkmcnt(0)
	s_barrier
	s_and_saveexec_b64 s[0:1], vcc
	s_cbranch_execz .LBB214_61
; %bb.60:
	s_movk_i32 s2, 0xffe4
	v_mad_i32_i24 v72, v0, s2, v68
	ds_read_b32 v73, v72 offset:16384
	v_and_b32_e32 v74, 7, v69
	v_cmp_ne_u32_e32 vcc, 0, v74
	s_waitcnt lgkmcnt(0)
	v_mov_b32_dpp v75, v73 row_shr:1 row_mask:0xf bank_mask:0xf
	v_cndmask_b32_e32 v75, 0, v75, vcc
	v_add_u32_e32 v73, v75, v73
	v_cmp_lt_u32_e32 vcc, 1, v74
	s_nop 0
	v_mov_b32_dpp v75, v73 row_shr:2 row_mask:0xf bank_mask:0xf
	v_cndmask_b32_e32 v75, 0, v75, vcc
	v_add_u32_e32 v73, v73, v75
	v_cmp_lt_u32_e32 vcc, 3, v74
	s_nop 0
	v_mov_b32_dpp v75, v73 row_shr:4 row_mask:0xf bank_mask:0xf
	v_cndmask_b32_e32 v74, 0, v75, vcc
	v_add_u32_e32 v73, v73, v74
	ds_write_b32 v72, v73 offset:16384
.LBB214_61:
	s_or_b64 exec, exec, s[0:1]
	v_cmp_lt_u32_e32 vcc, 63, v0
	v_mov_b32_e32 v73, 0
	v_mov_b32_e32 v72, 0
	s_waitcnt lgkmcnt(0)
	s_barrier
	s_and_saveexec_b64 s[0:1], vcc
	s_cbranch_execz .LBB214_63
; %bb.62:
	ds_read_b32 v72, v71 offset:16380
.LBB214_63:
	s_or_b64 exec, exec, s[0:1]
	v_add_u32_e32 v71, -1, v69
	v_and_b32_e32 v74, 64, v69
	v_cmp_lt_i32_e32 vcc, v71, v74
	v_cndmask_b32_e32 v71, v71, v69, vcc
	s_waitcnt lgkmcnt(0)
	v_add_u32_e32 v70, v72, v70
	v_lshlrev_b32_e32 v71, 2, v71
	ds_bpermute_b32 v70, v71, v70
	ds_read_b32 v71, v73 offset:16412
	ds_read2_b64 v[74:77], v68 offset1:1
	v_cmp_eq_u32_e32 vcc, 0, v69
	ds_read_b32 v78, v68 offset:24
	s_waitcnt lgkmcnt(3)
	v_cndmask_b32_e32 v69, v70, v72, vcc
	ds_read_b64 v[72:73], v68 offset:16
	s_waitcnt lgkmcnt(3)
	v_lshl_add_u32 v70, v71, 16, v69
	s_waitcnt lgkmcnt(2)
	v_add_u32_e32 v71, v70, v74
	v_add_u32_e32 v74, v75, v71
	;; [unrolled: 1-line block ×3, first 2 shown]
	ds_write2_b64 v68, v[70:71], v[74:75] offset1:1
	v_add_u32_e32 v70, v77, v75
	s_waitcnt lgkmcnt(1)
	v_add_u32_e32 v71, v72, v70
	v_add_u32_e32 v72, v73, v71
	;; [unrolled: 1-line block ×3, first 2 shown]
	ds_write2_b64 v68, v[70:71], v[72:73] offset0:2 offset1:3
	s_waitcnt lgkmcnt(0)
	s_barrier
	ds_read_u16 v68, v2
	ds_read_u16 v69, v3
	;; [unrolled: 1-line block ×22, first 2 shown]
	v_cmp_gt_u32_e32 vcc, 16, v0
	v_pk_mov_b32 v[2:3], 0, 0
                                        ; implicit-def: $vgpr11
	s_and_saveexec_b64 s[2:3], vcc
	s_cbranch_execz .LBB214_67
; %bb.64:
	v_lshrrev_b32_e32 v2, 3, v0
	v_lshlrev_b32_e32 v3, 10, v0
	s_movk_i32 s20, 0x1c00
	v_and_or_b32 v2, v3, s20, v2
	v_lshlrev_b32_e32 v2, 1, v2
	ds_read_u16 v2, v2
	v_add_u32_e32 v11, 1, v0
	v_cmp_ne_u32_e64 s[0:1], 16, v11
	v_mov_b32_e32 v3, 0x2c00
	s_and_saveexec_b64 s[18:19], s[0:1]
	s_cbranch_execz .LBB214_66
; %bb.65:
	v_lshlrev_b32_e32 v3, 10, v11
	v_lshrrev_b32_e32 v11, 3, v11
	v_and_or_b32 v3, v3, s20, v11
	v_lshlrev_b32_e32 v3, 1, v3
	ds_read_u16 v3, v3
.LBB214_66:
	s_or_b64 exec, exec, s[18:19]
	s_waitcnt lgkmcnt(0)
	v_and_b32_e32 v2, 0xffff, v2
	s_mov_b32 s0, 0
	v_sub_u32_e32 v11, v3, v2
	v_mov_b32_e32 v3, s0
.LBB214_67:
	s_or_b64 exec, exec, s[2:3]
	s_waitcnt lgkmcnt(14)
	v_add_u32_sdwa v7, v68, v7 dst_sel:DWORD dst_unused:UNUSED_PAD src0_sel:WORD_0 src1_sel:WORD_0
	v_add_u32_sdwa v9, v69, v9 dst_sel:DWORD dst_unused:UNUSED_PAD src0_sel:WORD_0 src1_sel:WORD_0
	;; [unrolled: 1-line block ×8, first 2 shown]
	s_waitcnt lgkmcnt(13)
	v_add_u32_sdwa v25, v48, v25 dst_sel:DWORD dst_unused:UNUSED_PAD src0_sel:WORD_0 src1_sel:WORD_0
	s_waitcnt lgkmcnt(12)
	v_add_u32_sdwa v27, v50, v27 dst_sel:DWORD dst_unused:UNUSED_PAD src0_sel:WORD_0 src1_sel:WORD_0
	;; [unrolled: 2-line block ×14, first 2 shown]
	s_barrier
	ds_write_b8 v7, v1 offset:128
	ds_write_b8 v9, v4 offset:128
	;; [unrolled: 1-line block ×22, first 2 shown]
	s_and_saveexec_b64 s[2:3], vcc
	s_cbranch_execz .LBB214_77
; %bb.68:
	v_lshl_or_b32 v4, s24, 4, v0
	v_mov_b32_e32 v5, 0
	v_lshlrev_b64 v[6:7], 2, v[4:5]
	v_mov_b32_e32 v1, s7
	v_add_co_u32_e64 v6, s[0:1], s6, v6
	v_addc_co_u32_e64 v7, s[0:1], v1, v7, s[0:1]
	v_or_b32_e32 v4, 2.0, v11
	s_mov_b64 s[18:19], 0
	s_brev_b32 s28, 1
	s_mov_b32 s29, s24
	v_mov_b32_e32 v12, 0
	global_store_dword v[6:7], v4, off
                                        ; implicit-def: $sgpr0_sgpr1
	s_branch .LBB214_70
.LBB214_69:                             ;   in Loop: Header=BB214_70 Depth=1
	s_or_b64 exec, exec, s[20:21]
	v_and_b32_e32 v8, 0x3fffffff, v13
	v_add_u32_e32 v12, v8, v12
	v_cmp_eq_u32_e64 s[0:1], s28, v4
	s_and_b64 s[20:21], exec, s[0:1]
	s_or_b64 s[18:19], s[20:21], s[18:19]
	s_andn2_b64 exec, exec, s[18:19]
	s_cbranch_execz .LBB214_76
.LBB214_70:                             ; =>This Loop Header: Depth=1
                                        ;     Child Loop BB214_73 Depth 2
	s_or_b64 s[0:1], s[0:1], exec
	s_cmp_eq_u32 s29, 0
	s_cbranch_scc1 .LBB214_75
; %bb.71:                               ;   in Loop: Header=BB214_70 Depth=1
	s_add_i32 s29, s29, -1
	v_lshl_or_b32 v4, s29, 4, v0
	v_lshlrev_b64 v[8:9], 2, v[4:5]
	v_add_co_u32_e64 v8, s[0:1], s6, v8
	v_addc_co_u32_e64 v9, s[0:1], v1, v9, s[0:1]
	global_load_dword v13, v[8:9], off glc
	s_waitcnt vmcnt(0)
	v_and_b32_e32 v4, -2.0, v13
	v_cmp_eq_u32_e64 s[0:1], 0, v4
	s_and_saveexec_b64 s[20:21], s[0:1]
	s_cbranch_execz .LBB214_69
; %bb.72:                               ;   in Loop: Header=BB214_70 Depth=1
	s_mov_b64 s[22:23], 0
.LBB214_73:                             ;   Parent Loop BB214_70 Depth=1
                                        ; =>  This Inner Loop Header: Depth=2
	global_load_dword v13, v[8:9], off glc
	s_waitcnt vmcnt(0)
	v_and_b32_e32 v4, -2.0, v13
	v_cmp_ne_u32_e64 s[0:1], 0, v4
	s_or_b64 s[22:23], s[0:1], s[22:23]
	s_andn2_b64 exec, exec, s[22:23]
	s_cbranch_execnz .LBB214_73
; %bb.74:                               ;   in Loop: Header=BB214_70 Depth=1
	s_or_b64 exec, exec, s[22:23]
	s_branch .LBB214_69
.LBB214_75:                             ;   in Loop: Header=BB214_70 Depth=1
                                        ; implicit-def: $sgpr29
	s_and_b64 s[20:21], exec, s[0:1]
	s_or_b64 s[18:19], s[20:21], s[18:19]
	s_andn2_b64 exec, exec, s[18:19]
	s_cbranch_execnz .LBB214_70
.LBB214_76:
	s_or_b64 exec, exec, s[18:19]
	v_add_u32_e32 v1, v12, v11
	v_or_b32_e32 v1, 0x80000000, v1
	global_store_dword v[6:7], v1, off
	v_lshlrev_b32_e32 v1, 3, v0
	global_load_dwordx2 v[4:5], v1, s[8:9]
	v_sub_co_u32_e64 v6, s[0:1], v12, v2
	v_subb_co_u32_e64 v7, s[0:1], 0, v3, s[0:1]
	s_waitcnt vmcnt(0)
	v_add_co_u32_e64 v4, s[0:1], v6, v4
	v_addc_co_u32_e64 v5, s[0:1], v7, v5, s[0:1]
	ds_write_b64 v1, v[4:5]
.LBB214_77:
	s_or_b64 exec, exec, s[2:3]
	v_cmp_gt_u32_e64 s[0:1], s26, v0
	s_waitcnt lgkmcnt(0)
	s_barrier
	s_and_saveexec_b64 s[2:3], s[0:1]
	s_cbranch_execz .LBB214_79
; %bb.78:
	ds_read_u8 v1, v0 offset:128
	v_mov_b32_e32 v6, s15
	s_waitcnt lgkmcnt(0)
	v_lshrrev_b32_sdwa v4, s16, v1 dst_sel:DWORD dst_unused:UNUSED_PAD src0_sel:DWORD src1_sel:BYTE_0
	v_and_b32_e32 v4, s27, v4
	v_lshlrev_b32_e32 v4, 3, v4
	ds_read_b64 v[4:5], v4
	v_xor_b32_e32 v1, 0x80, v1
	s_waitcnt lgkmcnt(0)
	v_add_co_u32_e64 v4, s[0:1], s14, v4
	v_addc_co_u32_e64 v5, s[0:1], v6, v5, s[0:1]
	v_add_co_u32_e64 v4, s[0:1], v4, v0
	v_addc_co_u32_e64 v5, s[0:1], 0, v5, s[0:1]
	global_store_byte v[4:5], v1, off
.LBB214_79:
	s_or_b64 exec, exec, s[2:3]
	v_or_b32_e32 v1, 0x200, v0
	v_cmp_gt_u32_e64 s[0:1], s26, v1
	s_and_saveexec_b64 s[2:3], s[0:1]
	s_cbranch_execz .LBB214_81
; %bb.80:
	ds_read_u8 v1, v0 offset:640
	v_mov_b32_e32 v6, s15
	s_waitcnt lgkmcnt(0)
	v_lshrrev_b32_sdwa v4, s16, v1 dst_sel:DWORD dst_unused:UNUSED_PAD src0_sel:DWORD src1_sel:BYTE_0
	v_and_b32_e32 v4, s27, v4
	v_lshlrev_b32_e32 v4, 3, v4
	ds_read_b64 v[4:5], v4
	v_xor_b32_e32 v1, 0x80, v1
	s_waitcnt lgkmcnt(0)
	v_add_co_u32_e64 v4, s[0:1], s14, v4
	v_addc_co_u32_e64 v5, s[0:1], v6, v5, s[0:1]
	v_add_co_u32_e64 v4, s[0:1], v4, v0
	v_addc_co_u32_e64 v5, s[0:1], 0, v5, s[0:1]
	global_store_byte v[4:5], v1, off offset:512
.LBB214_81:
	s_or_b64 exec, exec, s[2:3]
	v_or_b32_e32 v1, 0x400, v0
	v_cmp_gt_u32_e64 s[0:1], s26, v1
	s_and_saveexec_b64 s[2:3], s[0:1]
	s_cbranch_execz .LBB214_83
; %bb.82:
	ds_read_u8 v1, v0 offset:1152
	v_mov_b32_e32 v6, s15
	s_waitcnt lgkmcnt(0)
	v_lshrrev_b32_sdwa v4, s16, v1 dst_sel:DWORD dst_unused:UNUSED_PAD src0_sel:DWORD src1_sel:BYTE_0
	v_and_b32_e32 v4, s27, v4
	v_lshlrev_b32_e32 v4, 3, v4
	ds_read_b64 v[4:5], v4
	v_xor_b32_e32 v1, 0x80, v1
	s_waitcnt lgkmcnt(0)
	v_add_co_u32_e64 v4, s[0:1], s14, v4
	v_addc_co_u32_e64 v5, s[0:1], v6, v5, s[0:1]
	v_add_co_u32_e64 v4, s[0:1], v4, v0
	v_addc_co_u32_e64 v5, s[0:1], 0, v5, s[0:1]
	global_store_byte v[4:5], v1, off offset:1024
.LBB214_83:
	;; [unrolled: 21-line block ×7, first 2 shown]
	s_or_b64 exec, exec, s[2:3]
	v_or_b32_e32 v1, 0x1000, v0
	v_cmp_gt_u32_e64 s[0:1], s26, v1
	s_and_saveexec_b64 s[2:3], s[0:1]
	s_cbranch_execz .LBB214_95
; %bb.94:
	ds_read_u8 v6, v0 offset:4224
	v_mov_b32_e32 v7, s15
	s_waitcnt lgkmcnt(0)
	v_lshrrev_b32_sdwa v4, s16, v6 dst_sel:DWORD dst_unused:UNUSED_PAD src0_sel:DWORD src1_sel:BYTE_0
	v_and_b32_e32 v4, s27, v4
	v_lshlrev_b32_e32 v4, 3, v4
	ds_read_b64 v[4:5], v4
	v_xor_b32_e32 v6, 0x80, v6
	s_waitcnt lgkmcnt(0)
	v_add_co_u32_e64 v4, s[0:1], s14, v4
	v_addc_co_u32_e64 v5, s[0:1], v7, v5, s[0:1]
	v_add_co_u32_e64 v4, s[0:1], v4, v1
	v_addc_co_u32_e64 v5, s[0:1], 0, v5, s[0:1]
	global_store_byte v[4:5], v6, off
.LBB214_95:
	s_or_b64 exec, exec, s[2:3]
	v_or_b32_e32 v1, 0x1200, v0
	v_cmp_gt_u32_e64 s[0:1], s26, v1
	s_and_saveexec_b64 s[2:3], s[0:1]
	s_cbranch_execz .LBB214_97
; %bb.96:
	ds_read_u8 v6, v0 offset:4736
	v_mov_b32_e32 v7, s15
	s_waitcnt lgkmcnt(0)
	v_lshrrev_b32_sdwa v4, s16, v6 dst_sel:DWORD dst_unused:UNUSED_PAD src0_sel:DWORD src1_sel:BYTE_0
	v_and_b32_e32 v4, s27, v4
	v_lshlrev_b32_e32 v4, 3, v4
	ds_read_b64 v[4:5], v4
	v_xor_b32_e32 v6, 0x80, v6
	s_waitcnt lgkmcnt(0)
	v_add_co_u32_e64 v4, s[0:1], s14, v4
	v_addc_co_u32_e64 v5, s[0:1], v7, v5, s[0:1]
	v_add_co_u32_e64 v4, s[0:1], v4, v1
	v_addc_co_u32_e64 v5, s[0:1], 0, v5, s[0:1]
	global_store_byte v[4:5], v6, off
.LBB214_97:
	;; [unrolled: 21-line block ×14, first 2 shown]
	s_or_b64 exec, exec, s[2:3]
	s_load_dword s2, s[4:5], 0x58
	s_mov_b64 s[0:1], 0
	s_mov_b64 s[18:19], 0
                                        ; implicit-def: $vgpr4_vgpr5
	s_waitcnt lgkmcnt(0)
	s_add_i32 s2, s2, -1
	s_cmp_eq_u32 s2, s24
	s_cselect_b64 s[2:3], -1, 0
	s_and_b64 s[2:3], vcc, s[2:3]
	s_and_saveexec_b64 s[20:21], s[2:3]
	s_xor_b64 s[2:3], exec, s[20:21]
; %bb.122:
	v_add_co_u32_e32 v4, vcc, v2, v11
	s_mov_b64 s[18:19], exec
	v_mov_b32_e32 v1, 0
	v_addc_co_u32_e32 v5, vcc, 0, v3, vcc
; %bb.123:
	s_or_b64 exec, exec, s[2:3]
	s_and_b64 vcc, exec, s[0:1]
	s_cbranch_vccnz .LBB214_125
	s_branch .LBB214_158
.LBB214_124:
	s_mov_b64 s[18:19], 0
                                        ; implicit-def: $vgpr4_vgpr5
	s_cbranch_execz .LBB214_158
.LBB214_125:
	s_add_u32 s0, s12, s25
	s_addc_u32 s1, s13, 0
	global_load_ushort v7, v10, s[0:1] offset:20
	global_load_dwordx4 v[2:5], v10, s[0:1]
	global_load_dword v6, v10, s[0:1] offset:16
	v_mov_b32_e32 v9, 8
	s_mov_b32 s12, 0x3020104
	v_lshlrev_b32_e32 v1, 2, v0
	v_mov_b32_e32 v8, 0
	s_mov_b64 s[0:1], -1
	ds_write2st64_b32 v1, v8, v8 offset1:8
	ds_write2st64_b32 v1, v8, v8 offset0:16 offset1:24
	s_waitcnt vmcnt(2)
	v_lshrrev_b32_sdwa v9, v9, v7 dst_sel:BYTE_1 dst_unused:UNUSED_PAD src0_sel:DWORD src1_sel:DWORD
	v_or_b32_sdwa v7, v7, v9 dst_sel:DWORD dst_unused:UNUSED_PAD src0_sel:BYTE_0 src1_sel:DWORD
	s_and_saveexec_b64 s[2:3], s[0:1]
	s_cbranch_execz .LBB214_127
; %bb.126:
	ds_write_b32 v1, v8 offset:8192
.LBB214_127:
	s_or_b64 exec, exec, s[2:3]
	v_and_b32_e32 v7, 0xffff, v7
	s_waitcnt vmcnt(0)
	v_perm_b32 v6, v6, v6, s12
	s_and_saveexec_b64 s[2:3], s[0:1]
	s_cbranch_execz .LBB214_129
; %bb.128:
	v_mov_b32_e32 v8, 0
	ds_write_b32 v1, v8 offset:10240
.LBB214_129:
	s_or_b64 exec, exec, s[2:3]
	v_cmp_gt_u32_e64 s[0:1], 7, 6
	v_cmp_gt_u32_e64 s[12:13], 7, 5
	s_and_saveexec_b64 s[2:3], s[12:13]
	s_cbranch_execz .LBB214_131
; %bb.130:
	v_mov_b32_e32 v8, 0
	ds_write_b32 v1, v8 offset:12288
.LBB214_131:
	s_or_b64 exec, exec, s[2:3]
	s_and_saveexec_b64 s[2:3], s[0:1]
	s_cbranch_execz .LBB214_133
; %bb.132:
	v_mov_b32_e32 v8, 0
	ds_write_b32 v1, v8 offset:14336
.LBB214_133:
	s_or_b64 exec, exec, s[2:3]
	v_xor_b32_e32 v1, 0xffffff80, v2
	s_lshl_b32 s0, -1, s17
	s_not_b32 s17, s0
	v_lshrrev_b32_sdwa v8, s16, v1 dst_sel:DWORD dst_unused:UNUSED_PAD src0_sel:DWORD src1_sel:BYTE_0
	v_and_b32_e32 v8, s17, v8
	v_lshrrev_b32_e32 v9, 3, v8
	v_lshlrev_b32_e32 v8, 9, v8
	s_movk_i32 s0, 0xe00
	v_and_or_b32 v8, v8, s0, v0
	v_lshlrev_b32_e32 v8, 1, v8
	v_add_lshl_u32 v10, v8, v9, 1
	ds_read_u16 v12, v10
	v_lshrrev_b32_e32 v8, 8, v2
	v_xor_b32_e32 v8, 0xffffff80, v8
	s_movk_i32 s1, 0xff80
	v_lshrrev_b64 v[18:19], 24, v[2:3]
	s_waitcnt lgkmcnt(0)
	v_add_u16_e32 v9, 1, v12
	ds_write_b16 v10, v9
	v_lshrrev_b32_sdwa v9, s16, v8 dst_sel:DWORD dst_unused:UNUSED_PAD src0_sel:DWORD src1_sel:BYTE_0
	v_and_b32_e32 v9, s17, v9
	v_lshrrev_b32_e32 v11, 3, v9
	v_lshlrev_b32_e32 v9, 9, v9
	v_and_or_b32 v9, v9, s0, v0
	v_lshlrev_b32_e32 v9, 1, v9
	v_add_lshl_u32 v27, v9, v11, 1
	ds_read_u16 v14, v27
	v_xor_b32_sdwa v9, v2, s1 dst_sel:DWORD dst_unused:UNUSED_PAD src0_sel:WORD_1 src1_sel:DWORD
	v_lshrrev_b64 v[36:37], 24, v[4:5]
	v_lshrrev_b64 v[64:65], 24, v[6:7]
	s_waitcnt lgkmcnt(0)
	v_add_u16_e32 v11, 1, v14
	ds_write_b16 v27, v11
	v_lshrrev_b32_sdwa v11, s16, v9 dst_sel:DWORD dst_unused:UNUSED_PAD src0_sel:DWORD src1_sel:BYTE_0
	v_and_b32_e32 v11, s17, v11
	v_lshrrev_b32_e32 v13, 3, v11
	v_lshlrev_b32_e32 v11, 9, v11
	v_and_or_b32 v11, v11, s0, v0
	v_lshlrev_b32_e32 v11, 1, v11
	v_add_lshl_u32 v30, v11, v13, 1
	ds_read_u16 v16, v30
	v_xor_b32_e32 v11, 0xffffff80, v18
	s_waitcnt lgkmcnt(0)
	v_add_u16_e32 v2, 1, v16
	ds_write_b16 v30, v2
	v_lshrrev_b32_sdwa v2, s16, v11 dst_sel:DWORD dst_unused:UNUSED_PAD src0_sel:DWORD src1_sel:BYTE_0
	v_and_b32_e32 v2, s17, v2
	v_lshrrev_b32_e32 v13, 3, v2
	v_lshlrev_b32_e32 v2, 9, v2
	v_and_or_b32 v2, v2, s0, v0
	v_lshlrev_b32_e32 v2, 1, v2
	v_add_lshl_u32 v2, v2, v13, 1
	ds_read_u16 v18, v2
	v_xor_b32_e32 v13, 0xffffff80, v3
	s_waitcnt lgkmcnt(0)
	v_add_u16_e32 v15, 1, v18
	ds_write_b16 v2, v15
	v_lshrrev_b32_sdwa v15, s16, v13 dst_sel:DWORD dst_unused:UNUSED_PAD src0_sel:DWORD src1_sel:BYTE_0
	v_and_b32_e32 v15, s17, v15
	v_lshrrev_b32_e32 v17, 3, v15
	v_lshlrev_b32_e32 v15, 9, v15
	v_and_or_b32 v15, v15, s0, v0
	v_lshlrev_b32_e32 v15, 1, v15
	v_add_lshl_u32 v35, v15, v17, 1
	ds_read_u16 v20, v35
	v_lshrrev_b32_e32 v15, 8, v3
	v_xor_b32_e32 v15, 0xffffff80, v15
	s_waitcnt lgkmcnt(0)
	v_add_u16_e32 v17, 1, v20
	ds_write_b16 v35, v17
	v_lshrrev_b32_sdwa v17, s16, v15 dst_sel:DWORD dst_unused:UNUSED_PAD src0_sel:DWORD src1_sel:BYTE_0
	v_and_b32_e32 v17, s17, v17
	v_lshrrev_b32_e32 v19, 3, v17
	v_lshlrev_b32_e32 v17, 9, v17
	v_and_or_b32 v17, v17, s0, v0
	v_lshlrev_b32_e32 v17, 1, v17
	v_add_lshl_u32 v38, v17, v19, 1
	ds_read_u16 v22, v38
	v_xor_b32_sdwa v17, v3, s1 dst_sel:DWORD dst_unused:UNUSED_PAD src0_sel:WORD_1 src1_sel:DWORD
	s_waitcnt lgkmcnt(0)
	v_add_u16_e32 v19, 1, v22
	ds_write_b16 v38, v19
	v_lshrrev_b32_sdwa v19, s16, v17 dst_sel:DWORD dst_unused:UNUSED_PAD src0_sel:DWORD src1_sel:BYTE_0
	v_and_b32_e32 v19, s17, v19
	v_lshrrev_b32_e32 v21, 3, v19
	v_lshlrev_b32_e32 v19, 9, v19
	v_and_or_b32 v19, v19, s0, v0
	v_lshlrev_b32_e32 v19, 1, v19
	v_add_lshl_u32 v40, v19, v21, 1
	ds_read_u16 v24, v40
	v_xor_b32_sdwa v19, v3, s1 dst_sel:DWORD dst_unused:UNUSED_PAD src0_sel:BYTE_3 src1_sel:DWORD
	s_waitcnt lgkmcnt(0)
	v_add_u16_e32 v3, 1, v24
	ds_write_b16 v40, v3
	v_lshrrev_b32_sdwa v3, s16, v19 dst_sel:DWORD dst_unused:UNUSED_PAD src0_sel:DWORD src1_sel:BYTE_0
	v_and_b32_e32 v3, s17, v3
	v_lshrrev_b32_e32 v21, 3, v3
	v_lshlrev_b32_e32 v3, 9, v3
	v_and_or_b32 v3, v3, s0, v0
	v_lshlrev_b32_e32 v3, 1, v3
	v_add_lshl_u32 v3, v3, v21, 1
	ds_read_u16 v26, v3
	v_xor_b32_e32 v21, 0xffffff80, v4
	s_waitcnt lgkmcnt(0)
	v_add_u16_e32 v23, 1, v26
	ds_write_b16 v3, v23
	v_lshrrev_b32_sdwa v23, s16, v21 dst_sel:DWORD dst_unused:UNUSED_PAD src0_sel:DWORD src1_sel:BYTE_0
	v_and_b32_e32 v23, s17, v23
	v_lshrrev_b32_e32 v25, 3, v23
	v_lshlrev_b32_e32 v23, 9, v23
	v_and_or_b32 v23, v23, s0, v0
	v_lshlrev_b32_e32 v23, 1, v23
	v_add_lshl_u32 v45, v23, v25, 1
	ds_read_u16 v28, v45
	v_lshrrev_b32_e32 v23, 8, v4
	v_xor_b32_e32 v23, 0xffffff80, v23
	s_waitcnt lgkmcnt(0)
	v_add_u16_e32 v25, 1, v28
	ds_write_b16 v45, v25
	v_lshrrev_b32_sdwa v25, s16, v23 dst_sel:DWORD dst_unused:UNUSED_PAD src0_sel:DWORD src1_sel:BYTE_0
	v_and_b32_e32 v25, s17, v25
	v_lshrrev_b32_e32 v29, 3, v25
	v_lshlrev_b32_e32 v25, 9, v25
	v_and_or_b32 v25, v25, s0, v0
	v_lshlrev_b32_e32 v25, 1, v25
	v_add_lshl_u32 v48, v25, v29, 1
	ds_read_u16 v31, v48
	v_xor_b32_sdwa v25, v4, s1 dst_sel:DWORD dst_unused:UNUSED_PAD src0_sel:WORD_1 src1_sel:DWORD
	v_xor_b32_e32 v4, 0xffffff80, v36
	s_waitcnt lgkmcnt(0)
	v_add_u16_e32 v29, 1, v31
	ds_write_b16 v48, v29
	v_lshrrev_b32_sdwa v29, s16, v25 dst_sel:DWORD dst_unused:UNUSED_PAD src0_sel:DWORD src1_sel:BYTE_0
	v_and_b32_e32 v29, s17, v29
	v_lshrrev_b32_e32 v32, 3, v29
	v_lshlrev_b32_e32 v29, 9, v29
	v_and_or_b32 v29, v29, s0, v0
	v_lshlrev_b32_e32 v29, 1, v29
	v_add_lshl_u32 v50, v29, v32, 1
	ds_read_u16 v33, v50
	s_waitcnt lgkmcnt(0)
	v_add_u16_e32 v29, 1, v33
	ds_write_b16 v50, v29
	v_lshrrev_b32_sdwa v29, s16, v4 dst_sel:DWORD dst_unused:UNUSED_PAD src0_sel:DWORD src1_sel:BYTE_0
	v_and_b32_e32 v29, s17, v29
	v_lshrrev_b32_e32 v32, 3, v29
	v_lshlrev_b32_e32 v29, 9, v29
	v_and_or_b32 v29, v29, s0, v0
	v_lshlrev_b32_e32 v29, 1, v29
	v_add_lshl_u32 v53, v29, v32, 1
	ds_read_u16 v36, v53
	v_xor_b32_e32 v29, 0xffffff80, v5
	s_waitcnt lgkmcnt(0)
	v_add_u16_e32 v32, 1, v36
	ds_write_b16 v53, v32
	v_lshrrev_b32_sdwa v32, s16, v29 dst_sel:DWORD dst_unused:UNUSED_PAD src0_sel:DWORD src1_sel:BYTE_0
	v_and_b32_e32 v32, s17, v32
	v_lshrrev_b32_e32 v34, 3, v32
	v_lshlrev_b32_e32 v32, 9, v32
	v_and_or_b32 v32, v32, s0, v0
	v_lshlrev_b32_e32 v32, 1, v32
	v_add_lshl_u32 v54, v32, v34, 1
	ds_read_u16 v37, v54
	v_lshrrev_b32_e32 v32, 8, v5
	v_xor_b32_e32 v32, 0xffffff80, v32
	s_waitcnt lgkmcnt(0)
	v_add_u16_e32 v34, 1, v37
	ds_write_b16 v54, v34
	v_lshrrev_b32_sdwa v34, s16, v32 dst_sel:DWORD dst_unused:UNUSED_PAD src0_sel:DWORD src1_sel:BYTE_0
	v_and_b32_e32 v34, s17, v34
	v_lshrrev_b32_e32 v39, 3, v34
	v_lshlrev_b32_e32 v34, 9, v34
	v_and_or_b32 v34, v34, s0, v0
	v_lshlrev_b32_e32 v34, 1, v34
	v_add_lshl_u32 v57, v34, v39, 1
	ds_read_u16 v41, v57
	v_xor_b32_sdwa v34, v5, s1 dst_sel:DWORD dst_unused:UNUSED_PAD src0_sel:WORD_1 src1_sel:DWORD
	v_xor_b32_sdwa v5, v5, s1 dst_sel:DWORD dst_unused:UNUSED_PAD src0_sel:BYTE_3 src1_sel:DWORD
	s_waitcnt lgkmcnt(0)
	v_add_u16_e32 v39, 1, v41
	ds_write_b16 v57, v39
	v_lshrrev_b32_sdwa v39, s16, v34 dst_sel:DWORD dst_unused:UNUSED_PAD src0_sel:DWORD src1_sel:BYTE_0
	v_and_b32_e32 v39, s17, v39
	v_lshrrev_b32_e32 v42, 3, v39
	v_lshlrev_b32_e32 v39, 9, v39
	v_and_or_b32 v39, v39, s0, v0
	v_lshlrev_b32_e32 v39, 1, v39
	v_add_lshl_u32 v58, v39, v42, 1
	ds_read_u16 v43, v58
	s_waitcnt lgkmcnt(0)
	v_add_u16_e32 v39, 1, v43
	ds_write_b16 v58, v39
	v_lshrrev_b32_sdwa v39, s16, v5 dst_sel:DWORD dst_unused:UNUSED_PAD src0_sel:DWORD src1_sel:BYTE_0
	v_and_b32_e32 v39, s17, v39
	v_lshrrev_b32_e32 v42, 3, v39
	v_lshlrev_b32_e32 v39, 9, v39
	v_and_or_b32 v39, v39, s0, v0
	v_lshlrev_b32_e32 v39, 1, v39
	v_add_lshl_u32 v60, v39, v42, 1
	ds_read_u16 v46, v60
	v_xor_b32_e32 v39, 0xffffff80, v6
	s_waitcnt lgkmcnt(0)
	v_add_u16_e32 v42, 1, v46
	ds_write_b16 v60, v42
	v_lshrrev_b32_sdwa v42, s16, v39 dst_sel:DWORD dst_unused:UNUSED_PAD src0_sel:DWORD src1_sel:BYTE_0
	v_and_b32_e32 v42, s17, v42
	v_lshrrev_b32_e32 v44, 3, v42
	v_lshlrev_b32_e32 v42, 9, v42
	v_and_or_b32 v42, v42, s0, v0
	v_lshlrev_b32_e32 v42, 1, v42
	v_add_lshl_u32 v61, v42, v44, 1
	ds_read_u16 v47, v61
	v_lshrrev_b32_e32 v42, 8, v6
	v_xor_b32_e32 v42, 0xffffff80, v42
	s_waitcnt lgkmcnt(0)
	v_add_u16_e32 v44, 1, v47
	ds_write_b16 v61, v44
	v_lshrrev_b32_sdwa v44, s16, v42 dst_sel:DWORD dst_unused:UNUSED_PAD src0_sel:DWORD src1_sel:BYTE_0
	v_and_b32_e32 v44, s17, v44
	v_lshrrev_b32_e32 v49, 3, v44
	v_lshlrev_b32_e32 v44, 9, v44
	v_and_or_b32 v44, v44, s0, v0
	v_lshlrev_b32_e32 v44, 1, v44
	v_add_lshl_u32 v62, v44, v49, 1
	ds_read_u16 v51, v62
	v_xor_b32_sdwa v44, v6, s1 dst_sel:DWORD dst_unused:UNUSED_PAD src0_sel:WORD_1 src1_sel:DWORD
	v_xor_b32_e32 v6, 0xffffff80, v64
	s_waitcnt lgkmcnt(0)
	v_add_u16_e32 v49, 1, v51
	ds_write_b16 v62, v49
	v_lshrrev_b32_sdwa v49, s16, v44 dst_sel:DWORD dst_unused:UNUSED_PAD src0_sel:DWORD src1_sel:BYTE_0
	v_and_b32_e32 v49, s17, v49
	v_lshrrev_b32_e32 v52, 3, v49
	v_lshlrev_b32_e32 v49, 9, v49
	v_and_or_b32 v49, v49, s0, v0
	v_lshlrev_b32_e32 v49, 1, v49
	v_add_lshl_u32 v63, v49, v52, 1
	ds_read_u16 v52, v63
	s_waitcnt lgkmcnt(0)
	v_add_u16_e32 v49, 1, v52
	ds_write_b16 v63, v49
	v_lshrrev_b32_sdwa v49, s16, v6 dst_sel:DWORD dst_unused:UNUSED_PAD src0_sel:DWORD src1_sel:BYTE_0
	v_and_b32_e32 v49, s17, v49
	v_lshrrev_b32_e32 v55, 3, v49
	v_lshlrev_b32_e32 v49, 9, v49
	v_and_or_b32 v49, v49, s0, v0
	v_lshlrev_b32_e32 v49, 1, v49
	v_add_lshl_u32 v64, v49, v55, 1
	ds_read_u16 v55, v64
	v_xor_b32_e32 v49, 0xffffff80, v7
	v_lshrrev_b32_e32 v7, 8, v7
	v_xor_b32_e32 v7, 0xffffff80, v7
	s_waitcnt lgkmcnt(0)
	v_add_u16_e32 v56, 1, v55
	ds_write_b16 v64, v56
	v_lshrrev_b32_sdwa v56, s16, v49 dst_sel:DWORD dst_unused:UNUSED_PAD src0_sel:DWORD src1_sel:BYTE_0
	v_and_b32_e32 v56, s17, v56
	v_lshrrev_b32_e32 v59, 3, v56
	v_lshlrev_b32_e32 v56, 9, v56
	v_and_or_b32 v56, v56, s0, v0
	v_lshlrev_b32_e32 v56, 1, v56
	v_add_lshl_u32 v65, v56, v59, 1
	ds_read_u16 v56, v65
	s_waitcnt lgkmcnt(0)
	v_add_u16_e32 v59, 1, v56
	ds_write_b16 v65, v59
	v_lshrrev_b32_sdwa v59, s16, v7 dst_sel:DWORD dst_unused:UNUSED_PAD src0_sel:DWORD src1_sel:BYTE_0
	v_and_b32_e32 v59, s17, v59
	v_lshrrev_b32_e32 v66, 3, v59
	v_lshlrev_b32_e32 v59, 9, v59
	v_and_or_b32 v59, v59, s0, v0
	v_lshlrev_b32_e32 v59, 1, v59
	v_add_lshl_u32 v66, v59, v66, 1
	ds_read_u16 v59, v66
	s_waitcnt lgkmcnt(0)
	v_add_u16_e32 v67, 1, v59
	ds_write_b16 v66, v67
	v_lshlrev_b32_e32 v67, 5, v0
	s_waitcnt lgkmcnt(0)
	s_barrier
	ds_read2_b64 v[68:71], v67 offset1:1
	ds_read2_b64 v[72:75], v67 offset0:2 offset1:3
	s_waitcnt lgkmcnt(1)
	v_add_u32_e32 v68, v69, v68
	v_add3_u32 v68, v68, v70, v71
	s_waitcnt lgkmcnt(0)
	v_add3_u32 v68, v68, v72, v73
	v_add3_u32 v69, v68, v74, v75
	v_mbcnt_lo_u32_b32 v68, -1, 0
	v_mbcnt_hi_u32_b32 v68, -1, v68
	v_and_b32_e32 v70, 15, v68
	v_mov_b32_dpp v71, v69 row_shr:1 row_mask:0xf bank_mask:0xf
	v_cmp_ne_u32_e32 vcc, 0, v70
	v_cndmask_b32_e32 v71, 0, v71, vcc
	v_add_u32_e32 v69, v71, v69
	v_cmp_lt_u32_e32 vcc, 1, v70
	s_nop 0
	v_mov_b32_dpp v71, v69 row_shr:2 row_mask:0xf bank_mask:0xf
	v_cndmask_b32_e32 v71, 0, v71, vcc
	v_add_u32_e32 v69, v69, v71
	v_cmp_lt_u32_e32 vcc, 3, v70
	s_nop 0
	v_mov_b32_dpp v71, v69 row_shr:4 row_mask:0xf bank_mask:0xf
	;; [unrolled: 5-line block ×3, first 2 shown]
	v_cndmask_b32_e32 v70, 0, v71, vcc
	v_add_u32_e32 v69, v69, v70
	v_bfe_i32 v71, v68, 4, 1
	v_cmp_lt_u32_e32 vcc, 31, v68
	v_mov_b32_dpp v70, v69 row_bcast:15 row_mask:0xf bank_mask:0xf
	v_and_b32_e32 v70, v71, v70
	v_add_u32_e32 v69, v69, v70
	v_or_b32_e32 v71, 63, v0
	s_nop 0
	v_mov_b32_dpp v70, v69 row_bcast:31 row_mask:0xf bank_mask:0xf
	v_cndmask_b32_e32 v70, 0, v70, vcc
	v_add_u32_e32 v69, v69, v70
	v_lshrrev_b32_e32 v70, 6, v0
	v_cmp_eq_u32_e32 vcc, v71, v0
	v_lshlrev_b32_e32 v70, 2, v70
	s_and_saveexec_b64 s[0:1], vcc
	s_cbranch_execz .LBB214_135
; %bb.134:
	ds_write_b32 v70, v69 offset:16384
.LBB214_135:
	s_or_b64 exec, exec, s[0:1]
	v_cmp_gt_u32_e32 vcc, 8, v0
	s_waitcnt lgkmcnt(0)
	s_barrier
	s_and_saveexec_b64 s[0:1], vcc
	s_cbranch_execz .LBB214_137
; %bb.136:
	s_movk_i32 s2, 0xffe4
	v_mad_i32_i24 v71, v0, s2, v67
	ds_read_b32 v72, v71 offset:16384
	v_and_b32_e32 v73, 7, v68
	v_cmp_ne_u32_e32 vcc, 0, v73
	s_waitcnt lgkmcnt(0)
	v_mov_b32_dpp v74, v72 row_shr:1 row_mask:0xf bank_mask:0xf
	v_cndmask_b32_e32 v74, 0, v74, vcc
	v_add_u32_e32 v72, v74, v72
	v_cmp_lt_u32_e32 vcc, 1, v73
	s_nop 0
	v_mov_b32_dpp v74, v72 row_shr:2 row_mask:0xf bank_mask:0xf
	v_cndmask_b32_e32 v74, 0, v74, vcc
	v_add_u32_e32 v72, v72, v74
	v_cmp_lt_u32_e32 vcc, 3, v73
	s_nop 0
	v_mov_b32_dpp v74, v72 row_shr:4 row_mask:0xf bank_mask:0xf
	v_cndmask_b32_e32 v73, 0, v74, vcc
	v_add_u32_e32 v72, v72, v73
	ds_write_b32 v71, v72 offset:16384
.LBB214_137:
	s_or_b64 exec, exec, s[0:1]
	v_cmp_lt_u32_e32 vcc, 63, v0
	v_mov_b32_e32 v72, 0
	v_mov_b32_e32 v71, 0
	s_waitcnt lgkmcnt(0)
	s_barrier
	s_and_saveexec_b64 s[0:1], vcc
	s_cbranch_execz .LBB214_139
; %bb.138:
	ds_read_b32 v71, v70 offset:16380
.LBB214_139:
	s_or_b64 exec, exec, s[0:1]
	v_add_u32_e32 v70, -1, v68
	v_and_b32_e32 v73, 64, v68
	v_cmp_lt_i32_e32 vcc, v70, v73
	v_cndmask_b32_e32 v70, v70, v68, vcc
	s_waitcnt lgkmcnt(0)
	v_add_u32_e32 v69, v71, v69
	v_lshlrev_b32_e32 v70, 2, v70
	ds_bpermute_b32 v69, v70, v69
	ds_read_b32 v70, v72 offset:16412
	ds_read2_b64 v[72:75], v67 offset1:1
	v_cmp_eq_u32_e32 vcc, 0, v68
	ds_read_b32 v76, v67 offset:24
	v_cmp_lt_u32_e64 s[0:1], 15, v0
	s_waitcnt lgkmcnt(3)
	v_cndmask_b32_e32 v68, v69, v71, vcc
	s_waitcnt lgkmcnt(2)
	v_lshl_add_u32 v68, v70, 16, v68
	ds_read_b64 v[70:71], v67 offset:16
	s_waitcnt lgkmcnt(2)
	v_add_u32_e32 v69, v68, v72
	v_add_u32_e32 v72, v73, v69
	;; [unrolled: 1-line block ×3, first 2 shown]
	ds_write2_b64 v67, v[68:69], v[72:73] offset1:1
	v_add_u32_e32 v68, v75, v73
	s_waitcnt lgkmcnt(1)
	v_add_u32_e32 v69, v70, v68
	v_add_u32_e32 v70, v71, v69
	;; [unrolled: 1-line block ×3, first 2 shown]
	ds_write2_b64 v67, v[68:69], v[70:71] offset0:2 offset1:3
	s_waitcnt lgkmcnt(0)
	s_barrier
	ds_read_u16 v67, v10
	ds_read_u16 v27, v27
	;; [unrolled: 1-line block ×22, first 2 shown]
	v_cmp_gt_u32_e32 vcc, 16, v0
	v_pk_mov_b32 v[2:3], 0, 0
                                        ; implicit-def: $vgpr10
	s_and_saveexec_b64 s[12:13], vcc
	s_cbranch_execz .LBB214_143
; %bb.140:
	v_lshrrev_b32_e32 v2, 3, v0
	v_lshlrev_b32_e32 v3, 10, v0
	s_movk_i32 s22, 0x1c00
	v_and_or_b32 v2, v3, s22, v2
	v_lshlrev_b32_e32 v2, 1, v2
	ds_read_u16 v2, v2
	v_add_u32_e32 v10, 1, v0
	v_cmp_ne_u32_e64 s[2:3], 16, v10
	v_mov_b32_e32 v3, 0x2c00
	s_and_saveexec_b64 s[20:21], s[2:3]
	s_cbranch_execz .LBB214_142
; %bb.141:
	v_lshlrev_b32_e32 v3, 10, v10
	v_lshrrev_b32_e32 v10, 3, v10
	v_and_or_b32 v3, v3, s22, v10
	v_lshlrev_b32_e32 v3, 1, v3
	ds_read_u16 v3, v3
.LBB214_142:
	s_or_b64 exec, exec, s[20:21]
	s_waitcnt lgkmcnt(0)
	v_and_b32_e32 v2, 0xffff, v2
	s_mov_b32 s2, 0
	v_sub_u32_e32 v10, v3, v2
	v_mov_b32_e32 v3, s2
.LBB214_143:
	s_or_b64 exec, exec, s[12:13]
	s_waitcnt lgkmcnt(14)
	v_add_u32_sdwa v12, v67, v12 dst_sel:DWORD dst_unused:UNUSED_PAD src0_sel:WORD_0 src1_sel:WORD_0
	v_add_u32_sdwa v14, v27, v14 dst_sel:DWORD dst_unused:UNUSED_PAD src0_sel:WORD_0 src1_sel:WORD_0
	;; [unrolled: 1-line block ×8, first 2 shown]
	s_waitcnt lgkmcnt(13)
	v_add_u32_sdwa v27, v45, v28 dst_sel:DWORD dst_unused:UNUSED_PAD src0_sel:WORD_0 src1_sel:WORD_0
	s_waitcnt lgkmcnt(12)
	v_add_u32_sdwa v28, v48, v31 dst_sel:DWORD dst_unused:UNUSED_PAD src0_sel:WORD_0 src1_sel:WORD_0
	;; [unrolled: 2-line block ×14, first 2 shown]
	s_barrier
	ds_write_b8 v12, v1 offset:128
	ds_write_b8 v14, v8 offset:128
	;; [unrolled: 1-line block ×22, first 2 shown]
	s_and_saveexec_b64 s[2:3], s[0:1]
	s_xor_b64 s[0:1], exec, s[2:3]
; %bb.144:
	v_mov_b32_e32 v1, 0
; %bb.145:
	s_andn2_saveexec_b64 s[2:3], s[0:1]
	s_cbranch_execz .LBB214_155
; %bb.146:
	v_lshl_or_b32 v4, s24, 4, v0
	v_mov_b32_e32 v5, 0
	v_lshlrev_b64 v[6:7], 2, v[4:5]
	v_mov_b32_e32 v1, s7
	v_add_co_u32_e64 v6, s[0:1], s6, v6
	v_addc_co_u32_e64 v7, s[0:1], v1, v7, s[0:1]
	v_or_b32_e32 v4, 2.0, v10
	s_mov_b64 s[12:13], 0
	s_brev_b32 s7, 1
	s_mov_b32 s25, s24
	v_mov_b32_e32 v11, 0
	global_store_dword v[6:7], v4, off
                                        ; implicit-def: $sgpr0_sgpr1
	s_branch .LBB214_149
.LBB214_147:                            ;   in Loop: Header=BB214_149 Depth=1
	s_or_b64 exec, exec, s[22:23]
.LBB214_148:                            ;   in Loop: Header=BB214_149 Depth=1
	s_or_b64 exec, exec, s[20:21]
	v_and_b32_e32 v8, 0x3fffffff, v12
	v_add_u32_e32 v11, v8, v11
	v_cmp_eq_u32_e64 s[0:1], s7, v4
	s_and_b64 s[20:21], exec, s[0:1]
	s_or_b64 s[12:13], s[20:21], s[12:13]
	s_andn2_b64 exec, exec, s[12:13]
	s_cbranch_execz .LBB214_154
.LBB214_149:                            ; =>This Loop Header: Depth=1
                                        ;     Child Loop BB214_152 Depth 2
	s_or_b64 s[0:1], s[0:1], exec
	s_cmp_eq_u32 s25, 0
	s_cbranch_scc1 .LBB214_153
; %bb.150:                              ;   in Loop: Header=BB214_149 Depth=1
	s_add_i32 s25, s25, -1
	v_lshl_or_b32 v4, s25, 4, v0
	v_lshlrev_b64 v[8:9], 2, v[4:5]
	v_add_co_u32_e64 v8, s[0:1], s6, v8
	v_addc_co_u32_e64 v9, s[0:1], v1, v9, s[0:1]
	global_load_dword v12, v[8:9], off glc
	s_waitcnt vmcnt(0)
	v_and_b32_e32 v4, -2.0, v12
	v_cmp_eq_u32_e64 s[0:1], 0, v4
	s_and_saveexec_b64 s[20:21], s[0:1]
	s_cbranch_execz .LBB214_148
; %bb.151:                              ;   in Loop: Header=BB214_149 Depth=1
	s_mov_b64 s[22:23], 0
.LBB214_152:                            ;   Parent Loop BB214_149 Depth=1
                                        ; =>  This Inner Loop Header: Depth=2
	global_load_dword v12, v[8:9], off glc
	s_waitcnt vmcnt(0)
	v_and_b32_e32 v4, -2.0, v12
	v_cmp_ne_u32_e64 s[0:1], 0, v4
	s_or_b64 s[22:23], s[0:1], s[22:23]
	s_andn2_b64 exec, exec, s[22:23]
	s_cbranch_execnz .LBB214_152
	s_branch .LBB214_147
.LBB214_153:                            ;   in Loop: Header=BB214_149 Depth=1
                                        ; implicit-def: $sgpr25
	s_and_b64 s[20:21], exec, s[0:1]
	s_or_b64 s[12:13], s[20:21], s[12:13]
	s_andn2_b64 exec, exec, s[12:13]
	s_cbranch_execnz .LBB214_149
.LBB214_154:
	s_or_b64 exec, exec, s[12:13]
	v_add_u32_e32 v1, v11, v10
	v_or_b32_e32 v1, 0x80000000, v1
	global_store_dword v[6:7], v1, off
	v_lshlrev_b32_e32 v6, 3, v0
	global_load_dwordx2 v[4:5], v6, s[8:9]
	v_sub_co_u32_e64 v7, s[0:1], v11, v2
	v_subb_co_u32_e64 v8, s[0:1], 0, v3, s[0:1]
	v_mov_b32_e32 v1, 0
	s_waitcnt vmcnt(0)
	v_add_co_u32_e64 v4, s[0:1], v7, v4
	v_addc_co_u32_e64 v5, s[0:1], v8, v5, s[0:1]
	ds_write_b64 v6, v[4:5]
.LBB214_155:
	s_or_b64 exec, exec, s[2:3]
	s_waitcnt lgkmcnt(0)
	s_barrier
	ds_read_u8 v11, v0 offset:10368
	ds_read_u8 v18, v0 offset:9344
	;; [unrolled: 1-line block ×5, first 2 shown]
	s_waitcnt lgkmcnt(4)
	v_lshrrev_b32_sdwa v4, s16, v11 dst_sel:DWORD dst_unused:UNUSED_PAD src0_sel:DWORD src1_sel:BYTE_0
	v_and_b32_e32 v4, s17, v4
	v_lshlrev_b32_e32 v4, 3, v4
	ds_read_b64 v[6:7], v4
	ds_read_u8 v8, v0 offset:128
	s_waitcnt lgkmcnt(2)
	v_lshrrev_b32_sdwa v4, s16, v21 dst_sel:DWORD dst_unused:UNUSED_PAD src0_sel:DWORD src1_sel:BYTE_0
	v_and_b32_e32 v4, s17, v4
	v_lshlrev_b32_e32 v4, 3, v4
	ds_read_b64 v[4:5], v4
	s_waitcnt lgkmcnt(1)
	v_lshrrev_b32_sdwa v9, s16, v8 dst_sel:DWORD dst_unused:UNUSED_PAD src0_sel:DWORD src1_sel:BYTE_0
	v_and_b32_e32 v9, s17, v9
	v_xor_b32_e32 v22, 0x80, v8
	v_lshlrev_b32_e32 v8, 3, v9
	v_lshrrev_b32_sdwa v9, s16, v20 dst_sel:DWORD dst_unused:UNUSED_PAD src0_sel:DWORD src1_sel:BYTE_0
	v_and_b32_e32 v9, s17, v9
	v_lshlrev_b32_e32 v12, 3, v9
	ds_read_u8 v24, v0 offset:1152
	ds_read_u8 v25, v0 offset:1664
	;; [unrolled: 1-line block ×8, first 2 shown]
	s_waitcnt lgkmcnt(7)
	v_lshrrev_b32_sdwa v9, s16, v24 dst_sel:DWORD dst_unused:UNUSED_PAD src0_sel:DWORD src1_sel:BYTE_0
	v_and_b32_e32 v9, s17, v9
	v_lshlrev_b32_e32 v14, 3, v9
	s_waitcnt lgkmcnt(6)
	v_lshrrev_b32_sdwa v9, s16, v25 dst_sel:DWORD dst_unused:UNUSED_PAD src0_sel:DWORD src1_sel:BYTE_0
	v_and_b32_e32 v9, s17, v9
	v_lshlrev_b32_e32 v16, 3, v9
	ds_read_b64 v[8:9], v8
	ds_read_b64 v[12:13], v12
	;; [unrolled: 1-line block ×4, first 2 shown]
	v_mov_b32_e32 v23, s15
	s_waitcnt lgkmcnt(3)
	v_add_co_u32_e64 v8, s[0:1], s14, v8
	v_addc_co_u32_e64 v9, s[0:1], v23, v9, s[0:1]
	v_add_co_u32_e64 v8, s[0:1], v8, v0
	v_addc_co_u32_e64 v9, s[0:1], v9, v1, s[0:1]
	global_store_byte v[8:9], v22, off
	v_mov_b32_e32 v8, s15
	s_waitcnt lgkmcnt(2)
	v_add_co_u32_e64 v9, s[0:1], s14, v12
	v_addc_co_u32_e64 v12, s[0:1], v8, v13, s[0:1]
	v_add_co_u32_e64 v8, s[0:1], v9, v0
	v_xor_b32_e32 v20, 0x80, v20
	v_addc_co_u32_e64 v9, s[0:1], v12, v1, s[0:1]
	global_store_byte v[8:9], v20, off offset:512
	v_mov_b32_e32 v8, s15
	s_waitcnt lgkmcnt(1)
	v_add_co_u32_e64 v9, s[0:1], s14, v14
	v_addc_co_u32_e64 v13, s[0:1], v8, v15, s[0:1]
	v_add_co_u32_e64 v8, s[0:1], v9, v0
	v_xor_b32_e32 v12, 0x80, v24
	v_addc_co_u32_e64 v9, s[0:1], v13, v1, s[0:1]
	global_store_byte v[8:9], v12, off offset:1024
	;; [unrolled: 8-line block ×3, first 2 shown]
	v_lshrrev_b32_sdwa v9, s16, v27 dst_sel:DWORD dst_unused:UNUSED_PAD src0_sel:DWORD src1_sel:BYTE_0
	v_and_b32_e32 v9, s17, v9
	v_lshlrev_b32_e32 v12, 3, v9
	v_lshrrev_b32_sdwa v9, s16, v28 dst_sel:DWORD dst_unused:UNUSED_PAD src0_sel:DWORD src1_sel:BYTE_0
	v_and_b32_e32 v9, s17, v9
	v_lshrrev_b32_sdwa v8, s16, v26 dst_sel:DWORD dst_unused:UNUSED_PAD src0_sel:DWORD src1_sel:BYTE_0
	v_lshlrev_b32_e32 v14, 3, v9
	v_lshrrev_b32_sdwa v9, s16, v29 dst_sel:DWORD dst_unused:UNUSED_PAD src0_sel:DWORD src1_sel:BYTE_0
	v_and_b32_e32 v8, s17, v8
	v_and_b32_e32 v9, s17, v9
	v_lshlrev_b32_e32 v8, 3, v8
	v_lshlrev_b32_e32 v16, 3, v9
	ds_read_b64 v[8:9], v8
	ds_read_b64 v[12:13], v12
	;; [unrolled: 1-line block ×4, first 2 shown]
	v_mov_b32_e32 v22, s15
	s_waitcnt lgkmcnt(3)
	v_add_co_u32_e64 v8, s[0:1], s14, v8
	v_addc_co_u32_e64 v9, s[0:1], v22, v9, s[0:1]
	v_add_co_u32_e64 v8, s[0:1], v8, v0
	v_xor_b32_e32 v20, 0x80, v26
	v_addc_co_u32_e64 v9, s[0:1], v9, v1, s[0:1]
	global_store_byte v[8:9], v20, off offset:2048
	v_mov_b32_e32 v8, s15
	s_waitcnt lgkmcnt(2)
	v_add_co_u32_e64 v9, s[0:1], s14, v12
	v_addc_co_u32_e64 v12, s[0:1], v8, v13, s[0:1]
	v_add_co_u32_e64 v8, s[0:1], v9, v0
	v_xor_b32_e32 v20, 0x80, v27
	v_addc_co_u32_e64 v9, s[0:1], v12, v1, s[0:1]
	global_store_byte v[8:9], v20, off offset:2560
	;; [unrolled: 8-line block ×4, first 2 shown]
	v_lshrrev_b32_sdwa v9, s16, v31 dst_sel:DWORD dst_unused:UNUSED_PAD src0_sel:DWORD src1_sel:BYTE_0
	v_and_b32_e32 v9, s17, v9
	v_lshrrev_b32_sdwa v8, s16, v30 dst_sel:DWORD dst_unused:UNUSED_PAD src0_sel:DWORD src1_sel:BYTE_0
	v_xor_b32_e32 v22, 0x80, v30
	v_lshlrev_b32_e32 v12, 3, v9
	ds_read_u8 v24, v0 offset:5248
	ds_read_u8 v25, v0 offset:5760
	ds_read_u8 v26, v0 offset:6272
	ds_read_u8 v27, v0 offset:6784
	ds_read_u8 v28, v0 offset:7296
	ds_read_u8 v29, v0 offset:7808
	ds_read_u8 v30, v0 offset:8320
	ds_read_u8 v32, v0 offset:8832
	s_waitcnt lgkmcnt(7)
	v_lshrrev_b32_sdwa v9, s16, v24 dst_sel:DWORD dst_unused:UNUSED_PAD src0_sel:DWORD src1_sel:BYTE_0
	v_and_b32_e32 v9, s17, v9
	v_lshlrev_b32_e32 v14, 3, v9
	s_waitcnt lgkmcnt(6)
	v_lshrrev_b32_sdwa v9, s16, v25 dst_sel:DWORD dst_unused:UNUSED_PAD src0_sel:DWORD src1_sel:BYTE_0
	v_and_b32_e32 v8, s17, v8
	v_and_b32_e32 v9, s17, v9
	v_lshlrev_b32_e32 v8, 3, v8
	v_lshlrev_b32_e32 v16, 3, v9
	ds_read_b64 v[8:9], v8
	ds_read_b64 v[12:13], v12
	;; [unrolled: 1-line block ×4, first 2 shown]
	v_or_b32_e32 v20, 0x1000, v0
	s_waitcnt lgkmcnt(3)
	v_add_co_u32_e64 v8, s[0:1], s14, v8
	v_addc_co_u32_e64 v9, s[0:1], v23, v9, s[0:1]
	v_add_co_u32_e64 v8, s[0:1], v8, v20
	v_addc_co_u32_e64 v9, s[0:1], 0, v9, s[0:1]
	global_store_byte v[8:9], v22, off
	v_mov_b32_e32 v9, s15
	s_waitcnt lgkmcnt(2)
	v_add_co_u32_e64 v12, s[0:1], s14, v12
	v_or_b32_e32 v8, 0x1200, v0
	v_addc_co_u32_e64 v9, s[0:1], v9, v13, s[0:1]
	v_add_co_u32_e64 v8, s[0:1], v12, v8
	v_xor_b32_e32 v20, 0x80, v31
	v_addc_co_u32_e64 v9, s[0:1], 0, v9, s[0:1]
	global_store_byte v[8:9], v20, off
	v_mov_b32_e32 v9, s15
	s_waitcnt lgkmcnt(1)
	v_add_co_u32_e64 v13, s[0:1], s14, v14
	v_or_b32_e32 v8, 0x1400, v0
	v_addc_co_u32_e64 v9, s[0:1], v9, v15, s[0:1]
	v_add_co_u32_e64 v8, s[0:1], v13, v8
	v_xor_b32_e32 v12, 0x80, v24
	;; [unrolled: 9-line block ×3, first 2 shown]
	v_addc_co_u32_e64 v9, s[0:1], 0, v9, s[0:1]
	global_store_byte v[8:9], v12, off
	v_lshrrev_b32_sdwa v9, s16, v27 dst_sel:DWORD dst_unused:UNUSED_PAD src0_sel:DWORD src1_sel:BYTE_0
	v_and_b32_e32 v9, s17, v9
	v_lshlrev_b32_e32 v12, 3, v9
	v_lshrrev_b32_sdwa v9, s16, v28 dst_sel:DWORD dst_unused:UNUSED_PAD src0_sel:DWORD src1_sel:BYTE_0
	v_and_b32_e32 v9, s17, v9
	v_lshrrev_b32_sdwa v8, s16, v26 dst_sel:DWORD dst_unused:UNUSED_PAD src0_sel:DWORD src1_sel:BYTE_0
	v_lshlrev_b32_e32 v14, 3, v9
	v_lshrrev_b32_sdwa v9, s16, v29 dst_sel:DWORD dst_unused:UNUSED_PAD src0_sel:DWORD src1_sel:BYTE_0
	v_and_b32_e32 v8, s17, v8
	v_and_b32_e32 v9, s17, v9
	v_lshlrev_b32_e32 v8, 3, v8
	v_lshlrev_b32_e32 v16, 3, v9
	ds_read_b64 v[8:9], v8
	ds_read_b64 v[12:13], v12
	;; [unrolled: 1-line block ×4, first 2 shown]
	v_or_b32_e32 v20, 0x1800, v0
	s_waitcnt lgkmcnt(3)
	v_add_co_u32_e64 v8, s[0:1], s14, v8
	v_addc_co_u32_e64 v9, s[0:1], v23, v9, s[0:1]
	v_add_co_u32_e64 v8, s[0:1], v8, v20
	v_xor_b32_e32 v22, 0x80, v26
	v_addc_co_u32_e64 v9, s[0:1], 0, v9, s[0:1]
	global_store_byte v[8:9], v22, off
	v_mov_b32_e32 v9, s15
	s_waitcnt lgkmcnt(2)
	v_add_co_u32_e64 v12, s[0:1], s14, v12
	v_or_b32_e32 v8, 0x1a00, v0
	v_addc_co_u32_e64 v9, s[0:1], v9, v13, s[0:1]
	v_add_co_u32_e64 v8, s[0:1], v12, v8
	v_xor_b32_e32 v20, 0x80, v27
	v_addc_co_u32_e64 v9, s[0:1], 0, v9, s[0:1]
	global_store_byte v[8:9], v20, off
	v_mov_b32_e32 v9, s15
	s_waitcnt lgkmcnt(1)
	v_add_co_u32_e64 v13, s[0:1], s14, v14
	v_or_b32_e32 v8, 0x1c00, v0
	v_addc_co_u32_e64 v9, s[0:1], v9, v15, s[0:1]
	v_add_co_u32_e64 v8, s[0:1], v13, v8
	v_xor_b32_e32 v12, 0x80, v28
	v_addc_co_u32_e64 v9, s[0:1], 0, v9, s[0:1]
	global_store_byte v[8:9], v12, off
	v_mov_b32_e32 v9, s15
	s_waitcnt lgkmcnt(0)
	v_add_co_u32_e64 v13, s[0:1], s14, v16
	v_or_b32_e32 v8, 0x1e00, v0
	v_addc_co_u32_e64 v9, s[0:1], v9, v17, s[0:1]
	v_add_co_u32_e64 v8, s[0:1], v13, v8
	v_xor_b32_e32 v12, 0x80, v29
	v_addc_co_u32_e64 v9, s[0:1], 0, v9, s[0:1]
	global_store_byte v[8:9], v12, off
	v_lshrrev_b32_sdwa v9, s16, v32 dst_sel:DWORD dst_unused:UNUSED_PAD src0_sel:DWORD src1_sel:BYTE_0
	v_and_b32_e32 v9, s17, v9
	v_lshlrev_b32_e32 v12, 3, v9
	v_lshrrev_b32_sdwa v9, s16, v18 dst_sel:DWORD dst_unused:UNUSED_PAD src0_sel:DWORD src1_sel:BYTE_0
	v_and_b32_e32 v9, s17, v9
	v_lshrrev_b32_sdwa v8, s16, v30 dst_sel:DWORD dst_unused:UNUSED_PAD src0_sel:DWORD src1_sel:BYTE_0
	v_lshlrev_b32_e32 v14, 3, v9
	v_lshrrev_b32_sdwa v9, s16, v19 dst_sel:DWORD dst_unused:UNUSED_PAD src0_sel:DWORD src1_sel:BYTE_0
	v_and_b32_e32 v8, s17, v8
	v_and_b32_e32 v9, s17, v9
	v_lshlrev_b32_e32 v8, 3, v8
	v_lshlrev_b32_e32 v16, 3, v9
	ds_read_b64 v[8:9], v8
	ds_read_b64 v[12:13], v12
	;; [unrolled: 1-line block ×4, first 2 shown]
	v_or_b32_e32 v20, 0x2000, v0
	s_waitcnt lgkmcnt(3)
	v_add_co_u32_e64 v8, s[0:1], s14, v8
	v_addc_co_u32_e64 v9, s[0:1], v23, v9, s[0:1]
	v_add_co_u32_e64 v8, s[0:1], v8, v20
	v_xor_b32_e32 v22, 0x80, v30
	v_addc_co_u32_e64 v9, s[0:1], 0, v9, s[0:1]
	global_store_byte v[8:9], v22, off
	v_mov_b32_e32 v9, s15
	s_waitcnt lgkmcnt(2)
	v_add_co_u32_e64 v12, s[0:1], s14, v12
	v_or_b32_e32 v8, 0x2200, v0
	v_addc_co_u32_e64 v9, s[0:1], v9, v13, s[0:1]
	v_add_co_u32_e64 v8, s[0:1], v12, v8
	v_xor_b32_e32 v20, 0x80, v32
	v_addc_co_u32_e64 v9, s[0:1], 0, v9, s[0:1]
	global_store_byte v[8:9], v20, off
	v_mov_b32_e32 v9, s15
	s_waitcnt lgkmcnt(1)
	v_add_co_u32_e64 v13, s[0:1], s14, v14
	v_or_b32_e32 v8, 0x2400, v0
	;; [unrolled: 9-line block ×3, first 2 shown]
	v_addc_co_u32_e64 v9, s[0:1], v9, v17, s[0:1]
	v_add_co_u32_e64 v8, s[0:1], v13, v8
	v_xor_b32_e32 v12, 0x80, v19
	v_addc_co_u32_e64 v9, s[0:1], 0, v9, s[0:1]
	global_store_byte v[8:9], v12, off
	v_xor_b32_e32 v9, 0x80, v11
	v_mov_b32_e32 v11, s15
	v_add_co_u32_e64 v6, s[0:1], s14, v6
	v_or_b32_e32 v8, 0x2800, v0
	v_addc_co_u32_e64 v7, s[0:1], v11, v7, s[0:1]
	v_add_co_u32_e64 v6, s[0:1], v6, v8
	v_addc_co_u32_e64 v7, s[0:1], 0, v7, s[0:1]
	v_mov_b32_e32 v8, s15
	v_add_co_u32_e64 v4, s[0:1], s14, v4
	global_store_byte v[6:7], v9, off
	v_or_b32_e32 v6, 0x2a00, v0
	v_addc_co_u32_e64 v5, s[0:1], v8, v5, s[0:1]
	v_add_co_u32_e64 v4, s[0:1], v4, v6
	v_xor_b32_e32 v7, 0x80, v21
	v_addc_co_u32_e64 v5, s[0:1], 0, v5, s[0:1]
	global_store_byte v[4:5], v7, off
	s_load_dword s0, s[4:5], 0x58
                                        ; implicit-def: $vgpr4_vgpr5
	s_waitcnt lgkmcnt(0)
	s_add_i32 s0, s0, -1
	s_cmp_eq_u32 s0, s24
	s_cselect_b64 s[0:1], -1, 0
	s_and_b64 s[2:3], vcc, s[0:1]
	s_and_saveexec_b64 s[0:1], s[2:3]
; %bb.156:
	v_add_co_u32_e32 v4, vcc, v2, v10
	v_addc_co_u32_e32 v5, vcc, 0, v3, vcc
	s_or_b64 s[18:19], s[18:19], exec
; %bb.157:
	s_or_b64 exec, exec, s[0:1]
.LBB214_158:
	s_and_saveexec_b64 s[0:1], s[18:19]
	s_cbranch_execnz .LBB214_160
; %bb.159:
	s_endpgm
.LBB214_160:
	v_lshlrev_b32_e32 v2, 3, v0
	ds_read_b64 v[2:3], v2
	v_lshlrev_b64 v[0:1], 3, v[0:1]
	v_mov_b32_e32 v6, s11
	v_add_co_u32_e32 v0, vcc, s10, v0
	v_addc_co_u32_e32 v1, vcc, v6, v1, vcc
	s_waitcnt lgkmcnt(0)
	v_add_co_u32_e32 v2, vcc, v2, v4
	v_addc_co_u32_e32 v3, vcc, v3, v5, vcc
	global_store_dwordx2 v[0:1], v[2:3], off
	s_endpgm
	.section	.rodata,"a",@progbits
	.p2align	6, 0x0
	.amdhsa_kernel _ZN7rocprim17ROCPRIM_400000_NS6detail17trampoline_kernelINS0_14default_configENS1_35radix_sort_onesweep_config_selectorIaNS0_10empty_typeEEEZZNS1_29radix_sort_onesweep_iterationIS3_Lb0EPaS8_PS5_S9_mNS0_19identity_decomposerENS1_16block_id_wrapperIjLb1EEEEE10hipError_tT1_PNSt15iterator_traitsISE_E10value_typeET2_T3_PNSF_ISK_E10value_typeET4_T5_PSP_SQ_PNS1_23onesweep_lookback_stateEbbT6_jjT7_P12ihipStream_tbENKUlT_T0_SE_SJ_E_clIS8_S8_S9_S9_EEDaSX_SY_SE_SJ_EUlSX_E_NS1_11comp_targetILNS1_3genE4ELNS1_11target_archE910ELNS1_3gpuE8ELNS1_3repE0EEENS1_47radix_sort_onesweep_sort_config_static_selectorELNS0_4arch9wavefront6targetE1EEEvSE_
		.amdhsa_group_segment_fixed_size 16424
		.amdhsa_private_segment_fixed_size 0
		.amdhsa_kernarg_size 344
		.amdhsa_user_sgpr_count 6
		.amdhsa_user_sgpr_private_segment_buffer 1
		.amdhsa_user_sgpr_dispatch_ptr 0
		.amdhsa_user_sgpr_queue_ptr 0
		.amdhsa_user_sgpr_kernarg_segment_ptr 1
		.amdhsa_user_sgpr_dispatch_id 0
		.amdhsa_user_sgpr_flat_scratch_init 0
		.amdhsa_user_sgpr_kernarg_preload_length 0
		.amdhsa_user_sgpr_kernarg_preload_offset 0
		.amdhsa_user_sgpr_private_segment_size 0
		.amdhsa_uses_dynamic_stack 0
		.amdhsa_system_sgpr_private_segment_wavefront_offset 0
		.amdhsa_system_sgpr_workgroup_id_x 1
		.amdhsa_system_sgpr_workgroup_id_y 0
		.amdhsa_system_sgpr_workgroup_id_z 0
		.amdhsa_system_sgpr_workgroup_info 0
		.amdhsa_system_vgpr_workitem_id 0
		.amdhsa_next_free_vgpr 79
		.amdhsa_next_free_sgpr 30
		.amdhsa_accum_offset 80
		.amdhsa_reserve_vcc 1
		.amdhsa_reserve_flat_scratch 0
		.amdhsa_float_round_mode_32 0
		.amdhsa_float_round_mode_16_64 0
		.amdhsa_float_denorm_mode_32 3
		.amdhsa_float_denorm_mode_16_64 3
		.amdhsa_dx10_clamp 1
		.amdhsa_ieee_mode 1
		.amdhsa_fp16_overflow 0
		.amdhsa_tg_split 0
		.amdhsa_exception_fp_ieee_invalid_op 0
		.amdhsa_exception_fp_denorm_src 0
		.amdhsa_exception_fp_ieee_div_zero 0
		.amdhsa_exception_fp_ieee_overflow 0
		.amdhsa_exception_fp_ieee_underflow 0
		.amdhsa_exception_fp_ieee_inexact 0
		.amdhsa_exception_int_div_zero 0
	.end_amdhsa_kernel
	.section	.text._ZN7rocprim17ROCPRIM_400000_NS6detail17trampoline_kernelINS0_14default_configENS1_35radix_sort_onesweep_config_selectorIaNS0_10empty_typeEEEZZNS1_29radix_sort_onesweep_iterationIS3_Lb0EPaS8_PS5_S9_mNS0_19identity_decomposerENS1_16block_id_wrapperIjLb1EEEEE10hipError_tT1_PNSt15iterator_traitsISE_E10value_typeET2_T3_PNSF_ISK_E10value_typeET4_T5_PSP_SQ_PNS1_23onesweep_lookback_stateEbbT6_jjT7_P12ihipStream_tbENKUlT_T0_SE_SJ_E_clIS8_S8_S9_S9_EEDaSX_SY_SE_SJ_EUlSX_E_NS1_11comp_targetILNS1_3genE4ELNS1_11target_archE910ELNS1_3gpuE8ELNS1_3repE0EEENS1_47radix_sort_onesweep_sort_config_static_selectorELNS0_4arch9wavefront6targetE1EEEvSE_,"axG",@progbits,_ZN7rocprim17ROCPRIM_400000_NS6detail17trampoline_kernelINS0_14default_configENS1_35radix_sort_onesweep_config_selectorIaNS0_10empty_typeEEEZZNS1_29radix_sort_onesweep_iterationIS3_Lb0EPaS8_PS5_S9_mNS0_19identity_decomposerENS1_16block_id_wrapperIjLb1EEEEE10hipError_tT1_PNSt15iterator_traitsISE_E10value_typeET2_T3_PNSF_ISK_E10value_typeET4_T5_PSP_SQ_PNS1_23onesweep_lookback_stateEbbT6_jjT7_P12ihipStream_tbENKUlT_T0_SE_SJ_E_clIS8_S8_S9_S9_EEDaSX_SY_SE_SJ_EUlSX_E_NS1_11comp_targetILNS1_3genE4ELNS1_11target_archE910ELNS1_3gpuE8ELNS1_3repE0EEENS1_47radix_sort_onesweep_sort_config_static_selectorELNS0_4arch9wavefront6targetE1EEEvSE_,comdat
.Lfunc_end214:
	.size	_ZN7rocprim17ROCPRIM_400000_NS6detail17trampoline_kernelINS0_14default_configENS1_35radix_sort_onesweep_config_selectorIaNS0_10empty_typeEEEZZNS1_29radix_sort_onesweep_iterationIS3_Lb0EPaS8_PS5_S9_mNS0_19identity_decomposerENS1_16block_id_wrapperIjLb1EEEEE10hipError_tT1_PNSt15iterator_traitsISE_E10value_typeET2_T3_PNSF_ISK_E10value_typeET4_T5_PSP_SQ_PNS1_23onesweep_lookback_stateEbbT6_jjT7_P12ihipStream_tbENKUlT_T0_SE_SJ_E_clIS8_S8_S9_S9_EEDaSX_SY_SE_SJ_EUlSX_E_NS1_11comp_targetILNS1_3genE4ELNS1_11target_archE910ELNS1_3gpuE8ELNS1_3repE0EEENS1_47radix_sort_onesweep_sort_config_static_selectorELNS0_4arch9wavefront6targetE1EEEvSE_, .Lfunc_end214-_ZN7rocprim17ROCPRIM_400000_NS6detail17trampoline_kernelINS0_14default_configENS1_35radix_sort_onesweep_config_selectorIaNS0_10empty_typeEEEZZNS1_29radix_sort_onesweep_iterationIS3_Lb0EPaS8_PS5_S9_mNS0_19identity_decomposerENS1_16block_id_wrapperIjLb1EEEEE10hipError_tT1_PNSt15iterator_traitsISE_E10value_typeET2_T3_PNSF_ISK_E10value_typeET4_T5_PSP_SQ_PNS1_23onesweep_lookback_stateEbbT6_jjT7_P12ihipStream_tbENKUlT_T0_SE_SJ_E_clIS8_S8_S9_S9_EEDaSX_SY_SE_SJ_EUlSX_E_NS1_11comp_targetILNS1_3genE4ELNS1_11target_archE910ELNS1_3gpuE8ELNS1_3repE0EEENS1_47radix_sort_onesweep_sort_config_static_selectorELNS0_4arch9wavefront6targetE1EEEvSE_
                                        ; -- End function
	.section	.AMDGPU.csdata,"",@progbits
; Kernel info:
; codeLenInByte = 12872
; NumSgprs: 34
; NumVgprs: 79
; NumAgprs: 0
; TotalNumVgprs: 79
; ScratchSize: 0
; MemoryBound: 0
; FloatMode: 240
; IeeeMode: 1
; LDSByteSize: 16424 bytes/workgroup (compile time only)
; SGPRBlocks: 4
; VGPRBlocks: 9
; NumSGPRsForWavesPerEU: 34
; NumVGPRsForWavesPerEU: 79
; AccumOffset: 80
; Occupancy: 6
; WaveLimiterHint : 0
; COMPUTE_PGM_RSRC2:SCRATCH_EN: 0
; COMPUTE_PGM_RSRC2:USER_SGPR: 6
; COMPUTE_PGM_RSRC2:TRAP_HANDLER: 0
; COMPUTE_PGM_RSRC2:TGID_X_EN: 1
; COMPUTE_PGM_RSRC2:TGID_Y_EN: 0
; COMPUTE_PGM_RSRC2:TGID_Z_EN: 0
; COMPUTE_PGM_RSRC2:TIDIG_COMP_CNT: 0
; COMPUTE_PGM_RSRC3_GFX90A:ACCUM_OFFSET: 19
; COMPUTE_PGM_RSRC3_GFX90A:TG_SPLIT: 0
	.section	.text._ZN7rocprim17ROCPRIM_400000_NS6detail17trampoline_kernelINS0_14default_configENS1_35radix_sort_onesweep_config_selectorIaNS0_10empty_typeEEEZZNS1_29radix_sort_onesweep_iterationIS3_Lb0EPaS8_PS5_S9_mNS0_19identity_decomposerENS1_16block_id_wrapperIjLb1EEEEE10hipError_tT1_PNSt15iterator_traitsISE_E10value_typeET2_T3_PNSF_ISK_E10value_typeET4_T5_PSP_SQ_PNS1_23onesweep_lookback_stateEbbT6_jjT7_P12ihipStream_tbENKUlT_T0_SE_SJ_E_clIS8_S8_S9_S9_EEDaSX_SY_SE_SJ_EUlSX_E_NS1_11comp_targetILNS1_3genE3ELNS1_11target_archE908ELNS1_3gpuE7ELNS1_3repE0EEENS1_47radix_sort_onesweep_sort_config_static_selectorELNS0_4arch9wavefront6targetE1EEEvSE_,"axG",@progbits,_ZN7rocprim17ROCPRIM_400000_NS6detail17trampoline_kernelINS0_14default_configENS1_35radix_sort_onesweep_config_selectorIaNS0_10empty_typeEEEZZNS1_29radix_sort_onesweep_iterationIS3_Lb0EPaS8_PS5_S9_mNS0_19identity_decomposerENS1_16block_id_wrapperIjLb1EEEEE10hipError_tT1_PNSt15iterator_traitsISE_E10value_typeET2_T3_PNSF_ISK_E10value_typeET4_T5_PSP_SQ_PNS1_23onesweep_lookback_stateEbbT6_jjT7_P12ihipStream_tbENKUlT_T0_SE_SJ_E_clIS8_S8_S9_S9_EEDaSX_SY_SE_SJ_EUlSX_E_NS1_11comp_targetILNS1_3genE3ELNS1_11target_archE908ELNS1_3gpuE7ELNS1_3repE0EEENS1_47radix_sort_onesweep_sort_config_static_selectorELNS0_4arch9wavefront6targetE1EEEvSE_,comdat
	.protected	_ZN7rocprim17ROCPRIM_400000_NS6detail17trampoline_kernelINS0_14default_configENS1_35radix_sort_onesweep_config_selectorIaNS0_10empty_typeEEEZZNS1_29radix_sort_onesweep_iterationIS3_Lb0EPaS8_PS5_S9_mNS0_19identity_decomposerENS1_16block_id_wrapperIjLb1EEEEE10hipError_tT1_PNSt15iterator_traitsISE_E10value_typeET2_T3_PNSF_ISK_E10value_typeET4_T5_PSP_SQ_PNS1_23onesweep_lookback_stateEbbT6_jjT7_P12ihipStream_tbENKUlT_T0_SE_SJ_E_clIS8_S8_S9_S9_EEDaSX_SY_SE_SJ_EUlSX_E_NS1_11comp_targetILNS1_3genE3ELNS1_11target_archE908ELNS1_3gpuE7ELNS1_3repE0EEENS1_47radix_sort_onesweep_sort_config_static_selectorELNS0_4arch9wavefront6targetE1EEEvSE_ ; -- Begin function _ZN7rocprim17ROCPRIM_400000_NS6detail17trampoline_kernelINS0_14default_configENS1_35radix_sort_onesweep_config_selectorIaNS0_10empty_typeEEEZZNS1_29radix_sort_onesweep_iterationIS3_Lb0EPaS8_PS5_S9_mNS0_19identity_decomposerENS1_16block_id_wrapperIjLb1EEEEE10hipError_tT1_PNSt15iterator_traitsISE_E10value_typeET2_T3_PNSF_ISK_E10value_typeET4_T5_PSP_SQ_PNS1_23onesweep_lookback_stateEbbT6_jjT7_P12ihipStream_tbENKUlT_T0_SE_SJ_E_clIS8_S8_S9_S9_EEDaSX_SY_SE_SJ_EUlSX_E_NS1_11comp_targetILNS1_3genE3ELNS1_11target_archE908ELNS1_3gpuE7ELNS1_3repE0EEENS1_47radix_sort_onesweep_sort_config_static_selectorELNS0_4arch9wavefront6targetE1EEEvSE_
	.globl	_ZN7rocprim17ROCPRIM_400000_NS6detail17trampoline_kernelINS0_14default_configENS1_35radix_sort_onesweep_config_selectorIaNS0_10empty_typeEEEZZNS1_29radix_sort_onesweep_iterationIS3_Lb0EPaS8_PS5_S9_mNS0_19identity_decomposerENS1_16block_id_wrapperIjLb1EEEEE10hipError_tT1_PNSt15iterator_traitsISE_E10value_typeET2_T3_PNSF_ISK_E10value_typeET4_T5_PSP_SQ_PNS1_23onesweep_lookback_stateEbbT6_jjT7_P12ihipStream_tbENKUlT_T0_SE_SJ_E_clIS8_S8_S9_S9_EEDaSX_SY_SE_SJ_EUlSX_E_NS1_11comp_targetILNS1_3genE3ELNS1_11target_archE908ELNS1_3gpuE7ELNS1_3repE0EEENS1_47radix_sort_onesweep_sort_config_static_selectorELNS0_4arch9wavefront6targetE1EEEvSE_
	.p2align	8
	.type	_ZN7rocprim17ROCPRIM_400000_NS6detail17trampoline_kernelINS0_14default_configENS1_35radix_sort_onesweep_config_selectorIaNS0_10empty_typeEEEZZNS1_29radix_sort_onesweep_iterationIS3_Lb0EPaS8_PS5_S9_mNS0_19identity_decomposerENS1_16block_id_wrapperIjLb1EEEEE10hipError_tT1_PNSt15iterator_traitsISE_E10value_typeET2_T3_PNSF_ISK_E10value_typeET4_T5_PSP_SQ_PNS1_23onesweep_lookback_stateEbbT6_jjT7_P12ihipStream_tbENKUlT_T0_SE_SJ_E_clIS8_S8_S9_S9_EEDaSX_SY_SE_SJ_EUlSX_E_NS1_11comp_targetILNS1_3genE3ELNS1_11target_archE908ELNS1_3gpuE7ELNS1_3repE0EEENS1_47radix_sort_onesweep_sort_config_static_selectorELNS0_4arch9wavefront6targetE1EEEvSE_,@function
_ZN7rocprim17ROCPRIM_400000_NS6detail17trampoline_kernelINS0_14default_configENS1_35radix_sort_onesweep_config_selectorIaNS0_10empty_typeEEEZZNS1_29radix_sort_onesweep_iterationIS3_Lb0EPaS8_PS5_S9_mNS0_19identity_decomposerENS1_16block_id_wrapperIjLb1EEEEE10hipError_tT1_PNSt15iterator_traitsISE_E10value_typeET2_T3_PNSF_ISK_E10value_typeET4_T5_PSP_SQ_PNS1_23onesweep_lookback_stateEbbT6_jjT7_P12ihipStream_tbENKUlT_T0_SE_SJ_E_clIS8_S8_S9_S9_EEDaSX_SY_SE_SJ_EUlSX_E_NS1_11comp_targetILNS1_3genE3ELNS1_11target_archE908ELNS1_3gpuE7ELNS1_3repE0EEENS1_47radix_sort_onesweep_sort_config_static_selectorELNS0_4arch9wavefront6targetE1EEEvSE_: ; @_ZN7rocprim17ROCPRIM_400000_NS6detail17trampoline_kernelINS0_14default_configENS1_35radix_sort_onesweep_config_selectorIaNS0_10empty_typeEEEZZNS1_29radix_sort_onesweep_iterationIS3_Lb0EPaS8_PS5_S9_mNS0_19identity_decomposerENS1_16block_id_wrapperIjLb1EEEEE10hipError_tT1_PNSt15iterator_traitsISE_E10value_typeET2_T3_PNSF_ISK_E10value_typeET4_T5_PSP_SQ_PNS1_23onesweep_lookback_stateEbbT6_jjT7_P12ihipStream_tbENKUlT_T0_SE_SJ_E_clIS8_S8_S9_S9_EEDaSX_SY_SE_SJ_EUlSX_E_NS1_11comp_targetILNS1_3genE3ELNS1_11target_archE908ELNS1_3gpuE7ELNS1_3repE0EEENS1_47radix_sort_onesweep_sort_config_static_selectorELNS0_4arch9wavefront6targetE1EEEvSE_
; %bb.0:
	.section	.rodata,"a",@progbits
	.p2align	6, 0x0
	.amdhsa_kernel _ZN7rocprim17ROCPRIM_400000_NS6detail17trampoline_kernelINS0_14default_configENS1_35radix_sort_onesweep_config_selectorIaNS0_10empty_typeEEEZZNS1_29radix_sort_onesweep_iterationIS3_Lb0EPaS8_PS5_S9_mNS0_19identity_decomposerENS1_16block_id_wrapperIjLb1EEEEE10hipError_tT1_PNSt15iterator_traitsISE_E10value_typeET2_T3_PNSF_ISK_E10value_typeET4_T5_PSP_SQ_PNS1_23onesweep_lookback_stateEbbT6_jjT7_P12ihipStream_tbENKUlT_T0_SE_SJ_E_clIS8_S8_S9_S9_EEDaSX_SY_SE_SJ_EUlSX_E_NS1_11comp_targetILNS1_3genE3ELNS1_11target_archE908ELNS1_3gpuE7ELNS1_3repE0EEENS1_47radix_sort_onesweep_sort_config_static_selectorELNS0_4arch9wavefront6targetE1EEEvSE_
		.amdhsa_group_segment_fixed_size 0
		.amdhsa_private_segment_fixed_size 0
		.amdhsa_kernarg_size 88
		.amdhsa_user_sgpr_count 6
		.amdhsa_user_sgpr_private_segment_buffer 1
		.amdhsa_user_sgpr_dispatch_ptr 0
		.amdhsa_user_sgpr_queue_ptr 0
		.amdhsa_user_sgpr_kernarg_segment_ptr 1
		.amdhsa_user_sgpr_dispatch_id 0
		.amdhsa_user_sgpr_flat_scratch_init 0
		.amdhsa_user_sgpr_kernarg_preload_length 0
		.amdhsa_user_sgpr_kernarg_preload_offset 0
		.amdhsa_user_sgpr_private_segment_size 0
		.amdhsa_uses_dynamic_stack 0
		.amdhsa_system_sgpr_private_segment_wavefront_offset 0
		.amdhsa_system_sgpr_workgroup_id_x 1
		.amdhsa_system_sgpr_workgroup_id_y 0
		.amdhsa_system_sgpr_workgroup_id_z 0
		.amdhsa_system_sgpr_workgroup_info 0
		.amdhsa_system_vgpr_workitem_id 0
		.amdhsa_next_free_vgpr 1
		.amdhsa_next_free_sgpr 0
		.amdhsa_accum_offset 4
		.amdhsa_reserve_vcc 0
		.amdhsa_reserve_flat_scratch 0
		.amdhsa_float_round_mode_32 0
		.amdhsa_float_round_mode_16_64 0
		.amdhsa_float_denorm_mode_32 3
		.amdhsa_float_denorm_mode_16_64 3
		.amdhsa_dx10_clamp 1
		.amdhsa_ieee_mode 1
		.amdhsa_fp16_overflow 0
		.amdhsa_tg_split 0
		.amdhsa_exception_fp_ieee_invalid_op 0
		.amdhsa_exception_fp_denorm_src 0
		.amdhsa_exception_fp_ieee_div_zero 0
		.amdhsa_exception_fp_ieee_overflow 0
		.amdhsa_exception_fp_ieee_underflow 0
		.amdhsa_exception_fp_ieee_inexact 0
		.amdhsa_exception_int_div_zero 0
	.end_amdhsa_kernel
	.section	.text._ZN7rocprim17ROCPRIM_400000_NS6detail17trampoline_kernelINS0_14default_configENS1_35radix_sort_onesweep_config_selectorIaNS0_10empty_typeEEEZZNS1_29radix_sort_onesweep_iterationIS3_Lb0EPaS8_PS5_S9_mNS0_19identity_decomposerENS1_16block_id_wrapperIjLb1EEEEE10hipError_tT1_PNSt15iterator_traitsISE_E10value_typeET2_T3_PNSF_ISK_E10value_typeET4_T5_PSP_SQ_PNS1_23onesweep_lookback_stateEbbT6_jjT7_P12ihipStream_tbENKUlT_T0_SE_SJ_E_clIS8_S8_S9_S9_EEDaSX_SY_SE_SJ_EUlSX_E_NS1_11comp_targetILNS1_3genE3ELNS1_11target_archE908ELNS1_3gpuE7ELNS1_3repE0EEENS1_47radix_sort_onesweep_sort_config_static_selectorELNS0_4arch9wavefront6targetE1EEEvSE_,"axG",@progbits,_ZN7rocprim17ROCPRIM_400000_NS6detail17trampoline_kernelINS0_14default_configENS1_35radix_sort_onesweep_config_selectorIaNS0_10empty_typeEEEZZNS1_29radix_sort_onesweep_iterationIS3_Lb0EPaS8_PS5_S9_mNS0_19identity_decomposerENS1_16block_id_wrapperIjLb1EEEEE10hipError_tT1_PNSt15iterator_traitsISE_E10value_typeET2_T3_PNSF_ISK_E10value_typeET4_T5_PSP_SQ_PNS1_23onesweep_lookback_stateEbbT6_jjT7_P12ihipStream_tbENKUlT_T0_SE_SJ_E_clIS8_S8_S9_S9_EEDaSX_SY_SE_SJ_EUlSX_E_NS1_11comp_targetILNS1_3genE3ELNS1_11target_archE908ELNS1_3gpuE7ELNS1_3repE0EEENS1_47radix_sort_onesweep_sort_config_static_selectorELNS0_4arch9wavefront6targetE1EEEvSE_,comdat
.Lfunc_end215:
	.size	_ZN7rocprim17ROCPRIM_400000_NS6detail17trampoline_kernelINS0_14default_configENS1_35radix_sort_onesweep_config_selectorIaNS0_10empty_typeEEEZZNS1_29radix_sort_onesweep_iterationIS3_Lb0EPaS8_PS5_S9_mNS0_19identity_decomposerENS1_16block_id_wrapperIjLb1EEEEE10hipError_tT1_PNSt15iterator_traitsISE_E10value_typeET2_T3_PNSF_ISK_E10value_typeET4_T5_PSP_SQ_PNS1_23onesweep_lookback_stateEbbT6_jjT7_P12ihipStream_tbENKUlT_T0_SE_SJ_E_clIS8_S8_S9_S9_EEDaSX_SY_SE_SJ_EUlSX_E_NS1_11comp_targetILNS1_3genE3ELNS1_11target_archE908ELNS1_3gpuE7ELNS1_3repE0EEENS1_47radix_sort_onesweep_sort_config_static_selectorELNS0_4arch9wavefront6targetE1EEEvSE_, .Lfunc_end215-_ZN7rocprim17ROCPRIM_400000_NS6detail17trampoline_kernelINS0_14default_configENS1_35radix_sort_onesweep_config_selectorIaNS0_10empty_typeEEEZZNS1_29radix_sort_onesweep_iterationIS3_Lb0EPaS8_PS5_S9_mNS0_19identity_decomposerENS1_16block_id_wrapperIjLb1EEEEE10hipError_tT1_PNSt15iterator_traitsISE_E10value_typeET2_T3_PNSF_ISK_E10value_typeET4_T5_PSP_SQ_PNS1_23onesweep_lookback_stateEbbT6_jjT7_P12ihipStream_tbENKUlT_T0_SE_SJ_E_clIS8_S8_S9_S9_EEDaSX_SY_SE_SJ_EUlSX_E_NS1_11comp_targetILNS1_3genE3ELNS1_11target_archE908ELNS1_3gpuE7ELNS1_3repE0EEENS1_47radix_sort_onesweep_sort_config_static_selectorELNS0_4arch9wavefront6targetE1EEEvSE_
                                        ; -- End function
	.section	.AMDGPU.csdata,"",@progbits
; Kernel info:
; codeLenInByte = 0
; NumSgprs: 4
; NumVgprs: 0
; NumAgprs: 0
; TotalNumVgprs: 0
; ScratchSize: 0
; MemoryBound: 0
; FloatMode: 240
; IeeeMode: 1
; LDSByteSize: 0 bytes/workgroup (compile time only)
; SGPRBlocks: 0
; VGPRBlocks: 0
; NumSGPRsForWavesPerEU: 4
; NumVGPRsForWavesPerEU: 1
; AccumOffset: 4
; Occupancy: 8
; WaveLimiterHint : 0
; COMPUTE_PGM_RSRC2:SCRATCH_EN: 0
; COMPUTE_PGM_RSRC2:USER_SGPR: 6
; COMPUTE_PGM_RSRC2:TRAP_HANDLER: 0
; COMPUTE_PGM_RSRC2:TGID_X_EN: 1
; COMPUTE_PGM_RSRC2:TGID_Y_EN: 0
; COMPUTE_PGM_RSRC2:TGID_Z_EN: 0
; COMPUTE_PGM_RSRC2:TIDIG_COMP_CNT: 0
; COMPUTE_PGM_RSRC3_GFX90A:ACCUM_OFFSET: 0
; COMPUTE_PGM_RSRC3_GFX90A:TG_SPLIT: 0
	.section	.text._ZN7rocprim17ROCPRIM_400000_NS6detail17trampoline_kernelINS0_14default_configENS1_35radix_sort_onesweep_config_selectorIaNS0_10empty_typeEEEZZNS1_29radix_sort_onesweep_iterationIS3_Lb0EPaS8_PS5_S9_mNS0_19identity_decomposerENS1_16block_id_wrapperIjLb1EEEEE10hipError_tT1_PNSt15iterator_traitsISE_E10value_typeET2_T3_PNSF_ISK_E10value_typeET4_T5_PSP_SQ_PNS1_23onesweep_lookback_stateEbbT6_jjT7_P12ihipStream_tbENKUlT_T0_SE_SJ_E_clIS8_S8_S9_S9_EEDaSX_SY_SE_SJ_EUlSX_E_NS1_11comp_targetILNS1_3genE10ELNS1_11target_archE1201ELNS1_3gpuE5ELNS1_3repE0EEENS1_47radix_sort_onesweep_sort_config_static_selectorELNS0_4arch9wavefront6targetE1EEEvSE_,"axG",@progbits,_ZN7rocprim17ROCPRIM_400000_NS6detail17trampoline_kernelINS0_14default_configENS1_35radix_sort_onesweep_config_selectorIaNS0_10empty_typeEEEZZNS1_29radix_sort_onesweep_iterationIS3_Lb0EPaS8_PS5_S9_mNS0_19identity_decomposerENS1_16block_id_wrapperIjLb1EEEEE10hipError_tT1_PNSt15iterator_traitsISE_E10value_typeET2_T3_PNSF_ISK_E10value_typeET4_T5_PSP_SQ_PNS1_23onesweep_lookback_stateEbbT6_jjT7_P12ihipStream_tbENKUlT_T0_SE_SJ_E_clIS8_S8_S9_S9_EEDaSX_SY_SE_SJ_EUlSX_E_NS1_11comp_targetILNS1_3genE10ELNS1_11target_archE1201ELNS1_3gpuE5ELNS1_3repE0EEENS1_47radix_sort_onesweep_sort_config_static_selectorELNS0_4arch9wavefront6targetE1EEEvSE_,comdat
	.protected	_ZN7rocprim17ROCPRIM_400000_NS6detail17trampoline_kernelINS0_14default_configENS1_35radix_sort_onesweep_config_selectorIaNS0_10empty_typeEEEZZNS1_29radix_sort_onesweep_iterationIS3_Lb0EPaS8_PS5_S9_mNS0_19identity_decomposerENS1_16block_id_wrapperIjLb1EEEEE10hipError_tT1_PNSt15iterator_traitsISE_E10value_typeET2_T3_PNSF_ISK_E10value_typeET4_T5_PSP_SQ_PNS1_23onesweep_lookback_stateEbbT6_jjT7_P12ihipStream_tbENKUlT_T0_SE_SJ_E_clIS8_S8_S9_S9_EEDaSX_SY_SE_SJ_EUlSX_E_NS1_11comp_targetILNS1_3genE10ELNS1_11target_archE1201ELNS1_3gpuE5ELNS1_3repE0EEENS1_47radix_sort_onesweep_sort_config_static_selectorELNS0_4arch9wavefront6targetE1EEEvSE_ ; -- Begin function _ZN7rocprim17ROCPRIM_400000_NS6detail17trampoline_kernelINS0_14default_configENS1_35radix_sort_onesweep_config_selectorIaNS0_10empty_typeEEEZZNS1_29radix_sort_onesweep_iterationIS3_Lb0EPaS8_PS5_S9_mNS0_19identity_decomposerENS1_16block_id_wrapperIjLb1EEEEE10hipError_tT1_PNSt15iterator_traitsISE_E10value_typeET2_T3_PNSF_ISK_E10value_typeET4_T5_PSP_SQ_PNS1_23onesweep_lookback_stateEbbT6_jjT7_P12ihipStream_tbENKUlT_T0_SE_SJ_E_clIS8_S8_S9_S9_EEDaSX_SY_SE_SJ_EUlSX_E_NS1_11comp_targetILNS1_3genE10ELNS1_11target_archE1201ELNS1_3gpuE5ELNS1_3repE0EEENS1_47radix_sort_onesweep_sort_config_static_selectorELNS0_4arch9wavefront6targetE1EEEvSE_
	.globl	_ZN7rocprim17ROCPRIM_400000_NS6detail17trampoline_kernelINS0_14default_configENS1_35radix_sort_onesweep_config_selectorIaNS0_10empty_typeEEEZZNS1_29radix_sort_onesweep_iterationIS3_Lb0EPaS8_PS5_S9_mNS0_19identity_decomposerENS1_16block_id_wrapperIjLb1EEEEE10hipError_tT1_PNSt15iterator_traitsISE_E10value_typeET2_T3_PNSF_ISK_E10value_typeET4_T5_PSP_SQ_PNS1_23onesweep_lookback_stateEbbT6_jjT7_P12ihipStream_tbENKUlT_T0_SE_SJ_E_clIS8_S8_S9_S9_EEDaSX_SY_SE_SJ_EUlSX_E_NS1_11comp_targetILNS1_3genE10ELNS1_11target_archE1201ELNS1_3gpuE5ELNS1_3repE0EEENS1_47radix_sort_onesweep_sort_config_static_selectorELNS0_4arch9wavefront6targetE1EEEvSE_
	.p2align	8
	.type	_ZN7rocprim17ROCPRIM_400000_NS6detail17trampoline_kernelINS0_14default_configENS1_35radix_sort_onesweep_config_selectorIaNS0_10empty_typeEEEZZNS1_29radix_sort_onesweep_iterationIS3_Lb0EPaS8_PS5_S9_mNS0_19identity_decomposerENS1_16block_id_wrapperIjLb1EEEEE10hipError_tT1_PNSt15iterator_traitsISE_E10value_typeET2_T3_PNSF_ISK_E10value_typeET4_T5_PSP_SQ_PNS1_23onesweep_lookback_stateEbbT6_jjT7_P12ihipStream_tbENKUlT_T0_SE_SJ_E_clIS8_S8_S9_S9_EEDaSX_SY_SE_SJ_EUlSX_E_NS1_11comp_targetILNS1_3genE10ELNS1_11target_archE1201ELNS1_3gpuE5ELNS1_3repE0EEENS1_47radix_sort_onesweep_sort_config_static_selectorELNS0_4arch9wavefront6targetE1EEEvSE_,@function
_ZN7rocprim17ROCPRIM_400000_NS6detail17trampoline_kernelINS0_14default_configENS1_35radix_sort_onesweep_config_selectorIaNS0_10empty_typeEEEZZNS1_29radix_sort_onesweep_iterationIS3_Lb0EPaS8_PS5_S9_mNS0_19identity_decomposerENS1_16block_id_wrapperIjLb1EEEEE10hipError_tT1_PNSt15iterator_traitsISE_E10value_typeET2_T3_PNSF_ISK_E10value_typeET4_T5_PSP_SQ_PNS1_23onesweep_lookback_stateEbbT6_jjT7_P12ihipStream_tbENKUlT_T0_SE_SJ_E_clIS8_S8_S9_S9_EEDaSX_SY_SE_SJ_EUlSX_E_NS1_11comp_targetILNS1_3genE10ELNS1_11target_archE1201ELNS1_3gpuE5ELNS1_3repE0EEENS1_47radix_sort_onesweep_sort_config_static_selectorELNS0_4arch9wavefront6targetE1EEEvSE_: ; @_ZN7rocprim17ROCPRIM_400000_NS6detail17trampoline_kernelINS0_14default_configENS1_35radix_sort_onesweep_config_selectorIaNS0_10empty_typeEEEZZNS1_29radix_sort_onesweep_iterationIS3_Lb0EPaS8_PS5_S9_mNS0_19identity_decomposerENS1_16block_id_wrapperIjLb1EEEEE10hipError_tT1_PNSt15iterator_traitsISE_E10value_typeET2_T3_PNSF_ISK_E10value_typeET4_T5_PSP_SQ_PNS1_23onesweep_lookback_stateEbbT6_jjT7_P12ihipStream_tbENKUlT_T0_SE_SJ_E_clIS8_S8_S9_S9_EEDaSX_SY_SE_SJ_EUlSX_E_NS1_11comp_targetILNS1_3genE10ELNS1_11target_archE1201ELNS1_3gpuE5ELNS1_3repE0EEENS1_47radix_sort_onesweep_sort_config_static_selectorELNS0_4arch9wavefront6targetE1EEEvSE_
; %bb.0:
	.section	.rodata,"a",@progbits
	.p2align	6, 0x0
	.amdhsa_kernel _ZN7rocprim17ROCPRIM_400000_NS6detail17trampoline_kernelINS0_14default_configENS1_35radix_sort_onesweep_config_selectorIaNS0_10empty_typeEEEZZNS1_29radix_sort_onesweep_iterationIS3_Lb0EPaS8_PS5_S9_mNS0_19identity_decomposerENS1_16block_id_wrapperIjLb1EEEEE10hipError_tT1_PNSt15iterator_traitsISE_E10value_typeET2_T3_PNSF_ISK_E10value_typeET4_T5_PSP_SQ_PNS1_23onesweep_lookback_stateEbbT6_jjT7_P12ihipStream_tbENKUlT_T0_SE_SJ_E_clIS8_S8_S9_S9_EEDaSX_SY_SE_SJ_EUlSX_E_NS1_11comp_targetILNS1_3genE10ELNS1_11target_archE1201ELNS1_3gpuE5ELNS1_3repE0EEENS1_47radix_sort_onesweep_sort_config_static_selectorELNS0_4arch9wavefront6targetE1EEEvSE_
		.amdhsa_group_segment_fixed_size 0
		.amdhsa_private_segment_fixed_size 0
		.amdhsa_kernarg_size 88
		.amdhsa_user_sgpr_count 6
		.amdhsa_user_sgpr_private_segment_buffer 1
		.amdhsa_user_sgpr_dispatch_ptr 0
		.amdhsa_user_sgpr_queue_ptr 0
		.amdhsa_user_sgpr_kernarg_segment_ptr 1
		.amdhsa_user_sgpr_dispatch_id 0
		.amdhsa_user_sgpr_flat_scratch_init 0
		.amdhsa_user_sgpr_kernarg_preload_length 0
		.amdhsa_user_sgpr_kernarg_preload_offset 0
		.amdhsa_user_sgpr_private_segment_size 0
		.amdhsa_uses_dynamic_stack 0
		.amdhsa_system_sgpr_private_segment_wavefront_offset 0
		.amdhsa_system_sgpr_workgroup_id_x 1
		.amdhsa_system_sgpr_workgroup_id_y 0
		.amdhsa_system_sgpr_workgroup_id_z 0
		.amdhsa_system_sgpr_workgroup_info 0
		.amdhsa_system_vgpr_workitem_id 0
		.amdhsa_next_free_vgpr 1
		.amdhsa_next_free_sgpr 0
		.amdhsa_accum_offset 4
		.amdhsa_reserve_vcc 0
		.amdhsa_reserve_flat_scratch 0
		.amdhsa_float_round_mode_32 0
		.amdhsa_float_round_mode_16_64 0
		.amdhsa_float_denorm_mode_32 3
		.amdhsa_float_denorm_mode_16_64 3
		.amdhsa_dx10_clamp 1
		.amdhsa_ieee_mode 1
		.amdhsa_fp16_overflow 0
		.amdhsa_tg_split 0
		.amdhsa_exception_fp_ieee_invalid_op 0
		.amdhsa_exception_fp_denorm_src 0
		.amdhsa_exception_fp_ieee_div_zero 0
		.amdhsa_exception_fp_ieee_overflow 0
		.amdhsa_exception_fp_ieee_underflow 0
		.amdhsa_exception_fp_ieee_inexact 0
		.amdhsa_exception_int_div_zero 0
	.end_amdhsa_kernel
	.section	.text._ZN7rocprim17ROCPRIM_400000_NS6detail17trampoline_kernelINS0_14default_configENS1_35radix_sort_onesweep_config_selectorIaNS0_10empty_typeEEEZZNS1_29radix_sort_onesweep_iterationIS3_Lb0EPaS8_PS5_S9_mNS0_19identity_decomposerENS1_16block_id_wrapperIjLb1EEEEE10hipError_tT1_PNSt15iterator_traitsISE_E10value_typeET2_T3_PNSF_ISK_E10value_typeET4_T5_PSP_SQ_PNS1_23onesweep_lookback_stateEbbT6_jjT7_P12ihipStream_tbENKUlT_T0_SE_SJ_E_clIS8_S8_S9_S9_EEDaSX_SY_SE_SJ_EUlSX_E_NS1_11comp_targetILNS1_3genE10ELNS1_11target_archE1201ELNS1_3gpuE5ELNS1_3repE0EEENS1_47radix_sort_onesweep_sort_config_static_selectorELNS0_4arch9wavefront6targetE1EEEvSE_,"axG",@progbits,_ZN7rocprim17ROCPRIM_400000_NS6detail17trampoline_kernelINS0_14default_configENS1_35radix_sort_onesweep_config_selectorIaNS0_10empty_typeEEEZZNS1_29radix_sort_onesweep_iterationIS3_Lb0EPaS8_PS5_S9_mNS0_19identity_decomposerENS1_16block_id_wrapperIjLb1EEEEE10hipError_tT1_PNSt15iterator_traitsISE_E10value_typeET2_T3_PNSF_ISK_E10value_typeET4_T5_PSP_SQ_PNS1_23onesweep_lookback_stateEbbT6_jjT7_P12ihipStream_tbENKUlT_T0_SE_SJ_E_clIS8_S8_S9_S9_EEDaSX_SY_SE_SJ_EUlSX_E_NS1_11comp_targetILNS1_3genE10ELNS1_11target_archE1201ELNS1_3gpuE5ELNS1_3repE0EEENS1_47radix_sort_onesweep_sort_config_static_selectorELNS0_4arch9wavefront6targetE1EEEvSE_,comdat
.Lfunc_end216:
	.size	_ZN7rocprim17ROCPRIM_400000_NS6detail17trampoline_kernelINS0_14default_configENS1_35radix_sort_onesweep_config_selectorIaNS0_10empty_typeEEEZZNS1_29radix_sort_onesweep_iterationIS3_Lb0EPaS8_PS5_S9_mNS0_19identity_decomposerENS1_16block_id_wrapperIjLb1EEEEE10hipError_tT1_PNSt15iterator_traitsISE_E10value_typeET2_T3_PNSF_ISK_E10value_typeET4_T5_PSP_SQ_PNS1_23onesweep_lookback_stateEbbT6_jjT7_P12ihipStream_tbENKUlT_T0_SE_SJ_E_clIS8_S8_S9_S9_EEDaSX_SY_SE_SJ_EUlSX_E_NS1_11comp_targetILNS1_3genE10ELNS1_11target_archE1201ELNS1_3gpuE5ELNS1_3repE0EEENS1_47radix_sort_onesweep_sort_config_static_selectorELNS0_4arch9wavefront6targetE1EEEvSE_, .Lfunc_end216-_ZN7rocprim17ROCPRIM_400000_NS6detail17trampoline_kernelINS0_14default_configENS1_35radix_sort_onesweep_config_selectorIaNS0_10empty_typeEEEZZNS1_29radix_sort_onesweep_iterationIS3_Lb0EPaS8_PS5_S9_mNS0_19identity_decomposerENS1_16block_id_wrapperIjLb1EEEEE10hipError_tT1_PNSt15iterator_traitsISE_E10value_typeET2_T3_PNSF_ISK_E10value_typeET4_T5_PSP_SQ_PNS1_23onesweep_lookback_stateEbbT6_jjT7_P12ihipStream_tbENKUlT_T0_SE_SJ_E_clIS8_S8_S9_S9_EEDaSX_SY_SE_SJ_EUlSX_E_NS1_11comp_targetILNS1_3genE10ELNS1_11target_archE1201ELNS1_3gpuE5ELNS1_3repE0EEENS1_47radix_sort_onesweep_sort_config_static_selectorELNS0_4arch9wavefront6targetE1EEEvSE_
                                        ; -- End function
	.section	.AMDGPU.csdata,"",@progbits
; Kernel info:
; codeLenInByte = 0
; NumSgprs: 4
; NumVgprs: 0
; NumAgprs: 0
; TotalNumVgprs: 0
; ScratchSize: 0
; MemoryBound: 0
; FloatMode: 240
; IeeeMode: 1
; LDSByteSize: 0 bytes/workgroup (compile time only)
; SGPRBlocks: 0
; VGPRBlocks: 0
; NumSGPRsForWavesPerEU: 4
; NumVGPRsForWavesPerEU: 1
; AccumOffset: 4
; Occupancy: 8
; WaveLimiterHint : 0
; COMPUTE_PGM_RSRC2:SCRATCH_EN: 0
; COMPUTE_PGM_RSRC2:USER_SGPR: 6
; COMPUTE_PGM_RSRC2:TRAP_HANDLER: 0
; COMPUTE_PGM_RSRC2:TGID_X_EN: 1
; COMPUTE_PGM_RSRC2:TGID_Y_EN: 0
; COMPUTE_PGM_RSRC2:TGID_Z_EN: 0
; COMPUTE_PGM_RSRC2:TIDIG_COMP_CNT: 0
; COMPUTE_PGM_RSRC3_GFX90A:ACCUM_OFFSET: 0
; COMPUTE_PGM_RSRC3_GFX90A:TG_SPLIT: 0
	.section	.text._ZN7rocprim17ROCPRIM_400000_NS6detail17trampoline_kernelINS0_14default_configENS1_35radix_sort_onesweep_config_selectorIaNS0_10empty_typeEEEZZNS1_29radix_sort_onesweep_iterationIS3_Lb0EPaS8_PS5_S9_mNS0_19identity_decomposerENS1_16block_id_wrapperIjLb1EEEEE10hipError_tT1_PNSt15iterator_traitsISE_E10value_typeET2_T3_PNSF_ISK_E10value_typeET4_T5_PSP_SQ_PNS1_23onesweep_lookback_stateEbbT6_jjT7_P12ihipStream_tbENKUlT_T0_SE_SJ_E_clIS8_S8_S9_S9_EEDaSX_SY_SE_SJ_EUlSX_E_NS1_11comp_targetILNS1_3genE9ELNS1_11target_archE1100ELNS1_3gpuE3ELNS1_3repE0EEENS1_47radix_sort_onesweep_sort_config_static_selectorELNS0_4arch9wavefront6targetE1EEEvSE_,"axG",@progbits,_ZN7rocprim17ROCPRIM_400000_NS6detail17trampoline_kernelINS0_14default_configENS1_35radix_sort_onesweep_config_selectorIaNS0_10empty_typeEEEZZNS1_29radix_sort_onesweep_iterationIS3_Lb0EPaS8_PS5_S9_mNS0_19identity_decomposerENS1_16block_id_wrapperIjLb1EEEEE10hipError_tT1_PNSt15iterator_traitsISE_E10value_typeET2_T3_PNSF_ISK_E10value_typeET4_T5_PSP_SQ_PNS1_23onesweep_lookback_stateEbbT6_jjT7_P12ihipStream_tbENKUlT_T0_SE_SJ_E_clIS8_S8_S9_S9_EEDaSX_SY_SE_SJ_EUlSX_E_NS1_11comp_targetILNS1_3genE9ELNS1_11target_archE1100ELNS1_3gpuE3ELNS1_3repE0EEENS1_47radix_sort_onesweep_sort_config_static_selectorELNS0_4arch9wavefront6targetE1EEEvSE_,comdat
	.protected	_ZN7rocprim17ROCPRIM_400000_NS6detail17trampoline_kernelINS0_14default_configENS1_35radix_sort_onesweep_config_selectorIaNS0_10empty_typeEEEZZNS1_29radix_sort_onesweep_iterationIS3_Lb0EPaS8_PS5_S9_mNS0_19identity_decomposerENS1_16block_id_wrapperIjLb1EEEEE10hipError_tT1_PNSt15iterator_traitsISE_E10value_typeET2_T3_PNSF_ISK_E10value_typeET4_T5_PSP_SQ_PNS1_23onesweep_lookback_stateEbbT6_jjT7_P12ihipStream_tbENKUlT_T0_SE_SJ_E_clIS8_S8_S9_S9_EEDaSX_SY_SE_SJ_EUlSX_E_NS1_11comp_targetILNS1_3genE9ELNS1_11target_archE1100ELNS1_3gpuE3ELNS1_3repE0EEENS1_47radix_sort_onesweep_sort_config_static_selectorELNS0_4arch9wavefront6targetE1EEEvSE_ ; -- Begin function _ZN7rocprim17ROCPRIM_400000_NS6detail17trampoline_kernelINS0_14default_configENS1_35radix_sort_onesweep_config_selectorIaNS0_10empty_typeEEEZZNS1_29radix_sort_onesweep_iterationIS3_Lb0EPaS8_PS5_S9_mNS0_19identity_decomposerENS1_16block_id_wrapperIjLb1EEEEE10hipError_tT1_PNSt15iterator_traitsISE_E10value_typeET2_T3_PNSF_ISK_E10value_typeET4_T5_PSP_SQ_PNS1_23onesweep_lookback_stateEbbT6_jjT7_P12ihipStream_tbENKUlT_T0_SE_SJ_E_clIS8_S8_S9_S9_EEDaSX_SY_SE_SJ_EUlSX_E_NS1_11comp_targetILNS1_3genE9ELNS1_11target_archE1100ELNS1_3gpuE3ELNS1_3repE0EEENS1_47radix_sort_onesweep_sort_config_static_selectorELNS0_4arch9wavefront6targetE1EEEvSE_
	.globl	_ZN7rocprim17ROCPRIM_400000_NS6detail17trampoline_kernelINS0_14default_configENS1_35radix_sort_onesweep_config_selectorIaNS0_10empty_typeEEEZZNS1_29radix_sort_onesweep_iterationIS3_Lb0EPaS8_PS5_S9_mNS0_19identity_decomposerENS1_16block_id_wrapperIjLb1EEEEE10hipError_tT1_PNSt15iterator_traitsISE_E10value_typeET2_T3_PNSF_ISK_E10value_typeET4_T5_PSP_SQ_PNS1_23onesweep_lookback_stateEbbT6_jjT7_P12ihipStream_tbENKUlT_T0_SE_SJ_E_clIS8_S8_S9_S9_EEDaSX_SY_SE_SJ_EUlSX_E_NS1_11comp_targetILNS1_3genE9ELNS1_11target_archE1100ELNS1_3gpuE3ELNS1_3repE0EEENS1_47radix_sort_onesweep_sort_config_static_selectorELNS0_4arch9wavefront6targetE1EEEvSE_
	.p2align	8
	.type	_ZN7rocprim17ROCPRIM_400000_NS6detail17trampoline_kernelINS0_14default_configENS1_35radix_sort_onesweep_config_selectorIaNS0_10empty_typeEEEZZNS1_29radix_sort_onesweep_iterationIS3_Lb0EPaS8_PS5_S9_mNS0_19identity_decomposerENS1_16block_id_wrapperIjLb1EEEEE10hipError_tT1_PNSt15iterator_traitsISE_E10value_typeET2_T3_PNSF_ISK_E10value_typeET4_T5_PSP_SQ_PNS1_23onesweep_lookback_stateEbbT6_jjT7_P12ihipStream_tbENKUlT_T0_SE_SJ_E_clIS8_S8_S9_S9_EEDaSX_SY_SE_SJ_EUlSX_E_NS1_11comp_targetILNS1_3genE9ELNS1_11target_archE1100ELNS1_3gpuE3ELNS1_3repE0EEENS1_47radix_sort_onesweep_sort_config_static_selectorELNS0_4arch9wavefront6targetE1EEEvSE_,@function
_ZN7rocprim17ROCPRIM_400000_NS6detail17trampoline_kernelINS0_14default_configENS1_35radix_sort_onesweep_config_selectorIaNS0_10empty_typeEEEZZNS1_29radix_sort_onesweep_iterationIS3_Lb0EPaS8_PS5_S9_mNS0_19identity_decomposerENS1_16block_id_wrapperIjLb1EEEEE10hipError_tT1_PNSt15iterator_traitsISE_E10value_typeET2_T3_PNSF_ISK_E10value_typeET4_T5_PSP_SQ_PNS1_23onesweep_lookback_stateEbbT6_jjT7_P12ihipStream_tbENKUlT_T0_SE_SJ_E_clIS8_S8_S9_S9_EEDaSX_SY_SE_SJ_EUlSX_E_NS1_11comp_targetILNS1_3genE9ELNS1_11target_archE1100ELNS1_3gpuE3ELNS1_3repE0EEENS1_47radix_sort_onesweep_sort_config_static_selectorELNS0_4arch9wavefront6targetE1EEEvSE_: ; @_ZN7rocprim17ROCPRIM_400000_NS6detail17trampoline_kernelINS0_14default_configENS1_35radix_sort_onesweep_config_selectorIaNS0_10empty_typeEEEZZNS1_29radix_sort_onesweep_iterationIS3_Lb0EPaS8_PS5_S9_mNS0_19identity_decomposerENS1_16block_id_wrapperIjLb1EEEEE10hipError_tT1_PNSt15iterator_traitsISE_E10value_typeET2_T3_PNSF_ISK_E10value_typeET4_T5_PSP_SQ_PNS1_23onesweep_lookback_stateEbbT6_jjT7_P12ihipStream_tbENKUlT_T0_SE_SJ_E_clIS8_S8_S9_S9_EEDaSX_SY_SE_SJ_EUlSX_E_NS1_11comp_targetILNS1_3genE9ELNS1_11target_archE1100ELNS1_3gpuE3ELNS1_3repE0EEENS1_47radix_sort_onesweep_sort_config_static_selectorELNS0_4arch9wavefront6targetE1EEEvSE_
; %bb.0:
	.section	.rodata,"a",@progbits
	.p2align	6, 0x0
	.amdhsa_kernel _ZN7rocprim17ROCPRIM_400000_NS6detail17trampoline_kernelINS0_14default_configENS1_35radix_sort_onesweep_config_selectorIaNS0_10empty_typeEEEZZNS1_29radix_sort_onesweep_iterationIS3_Lb0EPaS8_PS5_S9_mNS0_19identity_decomposerENS1_16block_id_wrapperIjLb1EEEEE10hipError_tT1_PNSt15iterator_traitsISE_E10value_typeET2_T3_PNSF_ISK_E10value_typeET4_T5_PSP_SQ_PNS1_23onesweep_lookback_stateEbbT6_jjT7_P12ihipStream_tbENKUlT_T0_SE_SJ_E_clIS8_S8_S9_S9_EEDaSX_SY_SE_SJ_EUlSX_E_NS1_11comp_targetILNS1_3genE9ELNS1_11target_archE1100ELNS1_3gpuE3ELNS1_3repE0EEENS1_47radix_sort_onesweep_sort_config_static_selectorELNS0_4arch9wavefront6targetE1EEEvSE_
		.amdhsa_group_segment_fixed_size 0
		.amdhsa_private_segment_fixed_size 0
		.amdhsa_kernarg_size 88
		.amdhsa_user_sgpr_count 6
		.amdhsa_user_sgpr_private_segment_buffer 1
		.amdhsa_user_sgpr_dispatch_ptr 0
		.amdhsa_user_sgpr_queue_ptr 0
		.amdhsa_user_sgpr_kernarg_segment_ptr 1
		.amdhsa_user_sgpr_dispatch_id 0
		.amdhsa_user_sgpr_flat_scratch_init 0
		.amdhsa_user_sgpr_kernarg_preload_length 0
		.amdhsa_user_sgpr_kernarg_preload_offset 0
		.amdhsa_user_sgpr_private_segment_size 0
		.amdhsa_uses_dynamic_stack 0
		.amdhsa_system_sgpr_private_segment_wavefront_offset 0
		.amdhsa_system_sgpr_workgroup_id_x 1
		.amdhsa_system_sgpr_workgroup_id_y 0
		.amdhsa_system_sgpr_workgroup_id_z 0
		.amdhsa_system_sgpr_workgroup_info 0
		.amdhsa_system_vgpr_workitem_id 0
		.amdhsa_next_free_vgpr 1
		.amdhsa_next_free_sgpr 0
		.amdhsa_accum_offset 4
		.amdhsa_reserve_vcc 0
		.amdhsa_reserve_flat_scratch 0
		.amdhsa_float_round_mode_32 0
		.amdhsa_float_round_mode_16_64 0
		.amdhsa_float_denorm_mode_32 3
		.amdhsa_float_denorm_mode_16_64 3
		.amdhsa_dx10_clamp 1
		.amdhsa_ieee_mode 1
		.amdhsa_fp16_overflow 0
		.amdhsa_tg_split 0
		.amdhsa_exception_fp_ieee_invalid_op 0
		.amdhsa_exception_fp_denorm_src 0
		.amdhsa_exception_fp_ieee_div_zero 0
		.amdhsa_exception_fp_ieee_overflow 0
		.amdhsa_exception_fp_ieee_underflow 0
		.amdhsa_exception_fp_ieee_inexact 0
		.amdhsa_exception_int_div_zero 0
	.end_amdhsa_kernel
	.section	.text._ZN7rocprim17ROCPRIM_400000_NS6detail17trampoline_kernelINS0_14default_configENS1_35radix_sort_onesweep_config_selectorIaNS0_10empty_typeEEEZZNS1_29radix_sort_onesweep_iterationIS3_Lb0EPaS8_PS5_S9_mNS0_19identity_decomposerENS1_16block_id_wrapperIjLb1EEEEE10hipError_tT1_PNSt15iterator_traitsISE_E10value_typeET2_T3_PNSF_ISK_E10value_typeET4_T5_PSP_SQ_PNS1_23onesweep_lookback_stateEbbT6_jjT7_P12ihipStream_tbENKUlT_T0_SE_SJ_E_clIS8_S8_S9_S9_EEDaSX_SY_SE_SJ_EUlSX_E_NS1_11comp_targetILNS1_3genE9ELNS1_11target_archE1100ELNS1_3gpuE3ELNS1_3repE0EEENS1_47radix_sort_onesweep_sort_config_static_selectorELNS0_4arch9wavefront6targetE1EEEvSE_,"axG",@progbits,_ZN7rocprim17ROCPRIM_400000_NS6detail17trampoline_kernelINS0_14default_configENS1_35radix_sort_onesweep_config_selectorIaNS0_10empty_typeEEEZZNS1_29radix_sort_onesweep_iterationIS3_Lb0EPaS8_PS5_S9_mNS0_19identity_decomposerENS1_16block_id_wrapperIjLb1EEEEE10hipError_tT1_PNSt15iterator_traitsISE_E10value_typeET2_T3_PNSF_ISK_E10value_typeET4_T5_PSP_SQ_PNS1_23onesweep_lookback_stateEbbT6_jjT7_P12ihipStream_tbENKUlT_T0_SE_SJ_E_clIS8_S8_S9_S9_EEDaSX_SY_SE_SJ_EUlSX_E_NS1_11comp_targetILNS1_3genE9ELNS1_11target_archE1100ELNS1_3gpuE3ELNS1_3repE0EEENS1_47radix_sort_onesweep_sort_config_static_selectorELNS0_4arch9wavefront6targetE1EEEvSE_,comdat
.Lfunc_end217:
	.size	_ZN7rocprim17ROCPRIM_400000_NS6detail17trampoline_kernelINS0_14default_configENS1_35radix_sort_onesweep_config_selectorIaNS0_10empty_typeEEEZZNS1_29radix_sort_onesweep_iterationIS3_Lb0EPaS8_PS5_S9_mNS0_19identity_decomposerENS1_16block_id_wrapperIjLb1EEEEE10hipError_tT1_PNSt15iterator_traitsISE_E10value_typeET2_T3_PNSF_ISK_E10value_typeET4_T5_PSP_SQ_PNS1_23onesweep_lookback_stateEbbT6_jjT7_P12ihipStream_tbENKUlT_T0_SE_SJ_E_clIS8_S8_S9_S9_EEDaSX_SY_SE_SJ_EUlSX_E_NS1_11comp_targetILNS1_3genE9ELNS1_11target_archE1100ELNS1_3gpuE3ELNS1_3repE0EEENS1_47radix_sort_onesweep_sort_config_static_selectorELNS0_4arch9wavefront6targetE1EEEvSE_, .Lfunc_end217-_ZN7rocprim17ROCPRIM_400000_NS6detail17trampoline_kernelINS0_14default_configENS1_35radix_sort_onesweep_config_selectorIaNS0_10empty_typeEEEZZNS1_29radix_sort_onesweep_iterationIS3_Lb0EPaS8_PS5_S9_mNS0_19identity_decomposerENS1_16block_id_wrapperIjLb1EEEEE10hipError_tT1_PNSt15iterator_traitsISE_E10value_typeET2_T3_PNSF_ISK_E10value_typeET4_T5_PSP_SQ_PNS1_23onesweep_lookback_stateEbbT6_jjT7_P12ihipStream_tbENKUlT_T0_SE_SJ_E_clIS8_S8_S9_S9_EEDaSX_SY_SE_SJ_EUlSX_E_NS1_11comp_targetILNS1_3genE9ELNS1_11target_archE1100ELNS1_3gpuE3ELNS1_3repE0EEENS1_47radix_sort_onesweep_sort_config_static_selectorELNS0_4arch9wavefront6targetE1EEEvSE_
                                        ; -- End function
	.section	.AMDGPU.csdata,"",@progbits
; Kernel info:
; codeLenInByte = 0
; NumSgprs: 4
; NumVgprs: 0
; NumAgprs: 0
; TotalNumVgprs: 0
; ScratchSize: 0
; MemoryBound: 0
; FloatMode: 240
; IeeeMode: 1
; LDSByteSize: 0 bytes/workgroup (compile time only)
; SGPRBlocks: 0
; VGPRBlocks: 0
; NumSGPRsForWavesPerEU: 4
; NumVGPRsForWavesPerEU: 1
; AccumOffset: 4
; Occupancy: 8
; WaveLimiterHint : 0
; COMPUTE_PGM_RSRC2:SCRATCH_EN: 0
; COMPUTE_PGM_RSRC2:USER_SGPR: 6
; COMPUTE_PGM_RSRC2:TRAP_HANDLER: 0
; COMPUTE_PGM_RSRC2:TGID_X_EN: 1
; COMPUTE_PGM_RSRC2:TGID_Y_EN: 0
; COMPUTE_PGM_RSRC2:TGID_Z_EN: 0
; COMPUTE_PGM_RSRC2:TIDIG_COMP_CNT: 0
; COMPUTE_PGM_RSRC3_GFX90A:ACCUM_OFFSET: 0
; COMPUTE_PGM_RSRC3_GFX90A:TG_SPLIT: 0
	.section	.text._ZN7rocprim17ROCPRIM_400000_NS6detail17trampoline_kernelINS0_14default_configENS1_35radix_sort_onesweep_config_selectorIaNS0_10empty_typeEEEZZNS1_29radix_sort_onesweep_iterationIS3_Lb0EPaS8_PS5_S9_mNS0_19identity_decomposerENS1_16block_id_wrapperIjLb1EEEEE10hipError_tT1_PNSt15iterator_traitsISE_E10value_typeET2_T3_PNSF_ISK_E10value_typeET4_T5_PSP_SQ_PNS1_23onesweep_lookback_stateEbbT6_jjT7_P12ihipStream_tbENKUlT_T0_SE_SJ_E_clIS8_S8_S9_S9_EEDaSX_SY_SE_SJ_EUlSX_E_NS1_11comp_targetILNS1_3genE8ELNS1_11target_archE1030ELNS1_3gpuE2ELNS1_3repE0EEENS1_47radix_sort_onesweep_sort_config_static_selectorELNS0_4arch9wavefront6targetE1EEEvSE_,"axG",@progbits,_ZN7rocprim17ROCPRIM_400000_NS6detail17trampoline_kernelINS0_14default_configENS1_35radix_sort_onesweep_config_selectorIaNS0_10empty_typeEEEZZNS1_29radix_sort_onesweep_iterationIS3_Lb0EPaS8_PS5_S9_mNS0_19identity_decomposerENS1_16block_id_wrapperIjLb1EEEEE10hipError_tT1_PNSt15iterator_traitsISE_E10value_typeET2_T3_PNSF_ISK_E10value_typeET4_T5_PSP_SQ_PNS1_23onesweep_lookback_stateEbbT6_jjT7_P12ihipStream_tbENKUlT_T0_SE_SJ_E_clIS8_S8_S9_S9_EEDaSX_SY_SE_SJ_EUlSX_E_NS1_11comp_targetILNS1_3genE8ELNS1_11target_archE1030ELNS1_3gpuE2ELNS1_3repE0EEENS1_47radix_sort_onesweep_sort_config_static_selectorELNS0_4arch9wavefront6targetE1EEEvSE_,comdat
	.protected	_ZN7rocprim17ROCPRIM_400000_NS6detail17trampoline_kernelINS0_14default_configENS1_35radix_sort_onesweep_config_selectorIaNS0_10empty_typeEEEZZNS1_29radix_sort_onesweep_iterationIS3_Lb0EPaS8_PS5_S9_mNS0_19identity_decomposerENS1_16block_id_wrapperIjLb1EEEEE10hipError_tT1_PNSt15iterator_traitsISE_E10value_typeET2_T3_PNSF_ISK_E10value_typeET4_T5_PSP_SQ_PNS1_23onesweep_lookback_stateEbbT6_jjT7_P12ihipStream_tbENKUlT_T0_SE_SJ_E_clIS8_S8_S9_S9_EEDaSX_SY_SE_SJ_EUlSX_E_NS1_11comp_targetILNS1_3genE8ELNS1_11target_archE1030ELNS1_3gpuE2ELNS1_3repE0EEENS1_47radix_sort_onesweep_sort_config_static_selectorELNS0_4arch9wavefront6targetE1EEEvSE_ ; -- Begin function _ZN7rocprim17ROCPRIM_400000_NS6detail17trampoline_kernelINS0_14default_configENS1_35radix_sort_onesweep_config_selectorIaNS0_10empty_typeEEEZZNS1_29radix_sort_onesweep_iterationIS3_Lb0EPaS8_PS5_S9_mNS0_19identity_decomposerENS1_16block_id_wrapperIjLb1EEEEE10hipError_tT1_PNSt15iterator_traitsISE_E10value_typeET2_T3_PNSF_ISK_E10value_typeET4_T5_PSP_SQ_PNS1_23onesweep_lookback_stateEbbT6_jjT7_P12ihipStream_tbENKUlT_T0_SE_SJ_E_clIS8_S8_S9_S9_EEDaSX_SY_SE_SJ_EUlSX_E_NS1_11comp_targetILNS1_3genE8ELNS1_11target_archE1030ELNS1_3gpuE2ELNS1_3repE0EEENS1_47radix_sort_onesweep_sort_config_static_selectorELNS0_4arch9wavefront6targetE1EEEvSE_
	.globl	_ZN7rocprim17ROCPRIM_400000_NS6detail17trampoline_kernelINS0_14default_configENS1_35radix_sort_onesweep_config_selectorIaNS0_10empty_typeEEEZZNS1_29radix_sort_onesweep_iterationIS3_Lb0EPaS8_PS5_S9_mNS0_19identity_decomposerENS1_16block_id_wrapperIjLb1EEEEE10hipError_tT1_PNSt15iterator_traitsISE_E10value_typeET2_T3_PNSF_ISK_E10value_typeET4_T5_PSP_SQ_PNS1_23onesweep_lookback_stateEbbT6_jjT7_P12ihipStream_tbENKUlT_T0_SE_SJ_E_clIS8_S8_S9_S9_EEDaSX_SY_SE_SJ_EUlSX_E_NS1_11comp_targetILNS1_3genE8ELNS1_11target_archE1030ELNS1_3gpuE2ELNS1_3repE0EEENS1_47radix_sort_onesweep_sort_config_static_selectorELNS0_4arch9wavefront6targetE1EEEvSE_
	.p2align	8
	.type	_ZN7rocprim17ROCPRIM_400000_NS6detail17trampoline_kernelINS0_14default_configENS1_35radix_sort_onesweep_config_selectorIaNS0_10empty_typeEEEZZNS1_29radix_sort_onesweep_iterationIS3_Lb0EPaS8_PS5_S9_mNS0_19identity_decomposerENS1_16block_id_wrapperIjLb1EEEEE10hipError_tT1_PNSt15iterator_traitsISE_E10value_typeET2_T3_PNSF_ISK_E10value_typeET4_T5_PSP_SQ_PNS1_23onesweep_lookback_stateEbbT6_jjT7_P12ihipStream_tbENKUlT_T0_SE_SJ_E_clIS8_S8_S9_S9_EEDaSX_SY_SE_SJ_EUlSX_E_NS1_11comp_targetILNS1_3genE8ELNS1_11target_archE1030ELNS1_3gpuE2ELNS1_3repE0EEENS1_47radix_sort_onesweep_sort_config_static_selectorELNS0_4arch9wavefront6targetE1EEEvSE_,@function
_ZN7rocprim17ROCPRIM_400000_NS6detail17trampoline_kernelINS0_14default_configENS1_35radix_sort_onesweep_config_selectorIaNS0_10empty_typeEEEZZNS1_29radix_sort_onesweep_iterationIS3_Lb0EPaS8_PS5_S9_mNS0_19identity_decomposerENS1_16block_id_wrapperIjLb1EEEEE10hipError_tT1_PNSt15iterator_traitsISE_E10value_typeET2_T3_PNSF_ISK_E10value_typeET4_T5_PSP_SQ_PNS1_23onesweep_lookback_stateEbbT6_jjT7_P12ihipStream_tbENKUlT_T0_SE_SJ_E_clIS8_S8_S9_S9_EEDaSX_SY_SE_SJ_EUlSX_E_NS1_11comp_targetILNS1_3genE8ELNS1_11target_archE1030ELNS1_3gpuE2ELNS1_3repE0EEENS1_47radix_sort_onesweep_sort_config_static_selectorELNS0_4arch9wavefront6targetE1EEEvSE_: ; @_ZN7rocprim17ROCPRIM_400000_NS6detail17trampoline_kernelINS0_14default_configENS1_35radix_sort_onesweep_config_selectorIaNS0_10empty_typeEEEZZNS1_29radix_sort_onesweep_iterationIS3_Lb0EPaS8_PS5_S9_mNS0_19identity_decomposerENS1_16block_id_wrapperIjLb1EEEEE10hipError_tT1_PNSt15iterator_traitsISE_E10value_typeET2_T3_PNSF_ISK_E10value_typeET4_T5_PSP_SQ_PNS1_23onesweep_lookback_stateEbbT6_jjT7_P12ihipStream_tbENKUlT_T0_SE_SJ_E_clIS8_S8_S9_S9_EEDaSX_SY_SE_SJ_EUlSX_E_NS1_11comp_targetILNS1_3genE8ELNS1_11target_archE1030ELNS1_3gpuE2ELNS1_3repE0EEENS1_47radix_sort_onesweep_sort_config_static_selectorELNS0_4arch9wavefront6targetE1EEEvSE_
; %bb.0:
	.section	.rodata,"a",@progbits
	.p2align	6, 0x0
	.amdhsa_kernel _ZN7rocprim17ROCPRIM_400000_NS6detail17trampoline_kernelINS0_14default_configENS1_35radix_sort_onesweep_config_selectorIaNS0_10empty_typeEEEZZNS1_29radix_sort_onesweep_iterationIS3_Lb0EPaS8_PS5_S9_mNS0_19identity_decomposerENS1_16block_id_wrapperIjLb1EEEEE10hipError_tT1_PNSt15iterator_traitsISE_E10value_typeET2_T3_PNSF_ISK_E10value_typeET4_T5_PSP_SQ_PNS1_23onesweep_lookback_stateEbbT6_jjT7_P12ihipStream_tbENKUlT_T0_SE_SJ_E_clIS8_S8_S9_S9_EEDaSX_SY_SE_SJ_EUlSX_E_NS1_11comp_targetILNS1_3genE8ELNS1_11target_archE1030ELNS1_3gpuE2ELNS1_3repE0EEENS1_47radix_sort_onesweep_sort_config_static_selectorELNS0_4arch9wavefront6targetE1EEEvSE_
		.amdhsa_group_segment_fixed_size 0
		.amdhsa_private_segment_fixed_size 0
		.amdhsa_kernarg_size 88
		.amdhsa_user_sgpr_count 6
		.amdhsa_user_sgpr_private_segment_buffer 1
		.amdhsa_user_sgpr_dispatch_ptr 0
		.amdhsa_user_sgpr_queue_ptr 0
		.amdhsa_user_sgpr_kernarg_segment_ptr 1
		.amdhsa_user_sgpr_dispatch_id 0
		.amdhsa_user_sgpr_flat_scratch_init 0
		.amdhsa_user_sgpr_kernarg_preload_length 0
		.amdhsa_user_sgpr_kernarg_preload_offset 0
		.amdhsa_user_sgpr_private_segment_size 0
		.amdhsa_uses_dynamic_stack 0
		.amdhsa_system_sgpr_private_segment_wavefront_offset 0
		.amdhsa_system_sgpr_workgroup_id_x 1
		.amdhsa_system_sgpr_workgroup_id_y 0
		.amdhsa_system_sgpr_workgroup_id_z 0
		.amdhsa_system_sgpr_workgroup_info 0
		.amdhsa_system_vgpr_workitem_id 0
		.amdhsa_next_free_vgpr 1
		.amdhsa_next_free_sgpr 0
		.amdhsa_accum_offset 4
		.amdhsa_reserve_vcc 0
		.amdhsa_reserve_flat_scratch 0
		.amdhsa_float_round_mode_32 0
		.amdhsa_float_round_mode_16_64 0
		.amdhsa_float_denorm_mode_32 3
		.amdhsa_float_denorm_mode_16_64 3
		.amdhsa_dx10_clamp 1
		.amdhsa_ieee_mode 1
		.amdhsa_fp16_overflow 0
		.amdhsa_tg_split 0
		.amdhsa_exception_fp_ieee_invalid_op 0
		.amdhsa_exception_fp_denorm_src 0
		.amdhsa_exception_fp_ieee_div_zero 0
		.amdhsa_exception_fp_ieee_overflow 0
		.amdhsa_exception_fp_ieee_underflow 0
		.amdhsa_exception_fp_ieee_inexact 0
		.amdhsa_exception_int_div_zero 0
	.end_amdhsa_kernel
	.section	.text._ZN7rocprim17ROCPRIM_400000_NS6detail17trampoline_kernelINS0_14default_configENS1_35radix_sort_onesweep_config_selectorIaNS0_10empty_typeEEEZZNS1_29radix_sort_onesweep_iterationIS3_Lb0EPaS8_PS5_S9_mNS0_19identity_decomposerENS1_16block_id_wrapperIjLb1EEEEE10hipError_tT1_PNSt15iterator_traitsISE_E10value_typeET2_T3_PNSF_ISK_E10value_typeET4_T5_PSP_SQ_PNS1_23onesweep_lookback_stateEbbT6_jjT7_P12ihipStream_tbENKUlT_T0_SE_SJ_E_clIS8_S8_S9_S9_EEDaSX_SY_SE_SJ_EUlSX_E_NS1_11comp_targetILNS1_3genE8ELNS1_11target_archE1030ELNS1_3gpuE2ELNS1_3repE0EEENS1_47radix_sort_onesweep_sort_config_static_selectorELNS0_4arch9wavefront6targetE1EEEvSE_,"axG",@progbits,_ZN7rocprim17ROCPRIM_400000_NS6detail17trampoline_kernelINS0_14default_configENS1_35radix_sort_onesweep_config_selectorIaNS0_10empty_typeEEEZZNS1_29radix_sort_onesweep_iterationIS3_Lb0EPaS8_PS5_S9_mNS0_19identity_decomposerENS1_16block_id_wrapperIjLb1EEEEE10hipError_tT1_PNSt15iterator_traitsISE_E10value_typeET2_T3_PNSF_ISK_E10value_typeET4_T5_PSP_SQ_PNS1_23onesweep_lookback_stateEbbT6_jjT7_P12ihipStream_tbENKUlT_T0_SE_SJ_E_clIS8_S8_S9_S9_EEDaSX_SY_SE_SJ_EUlSX_E_NS1_11comp_targetILNS1_3genE8ELNS1_11target_archE1030ELNS1_3gpuE2ELNS1_3repE0EEENS1_47radix_sort_onesweep_sort_config_static_selectorELNS0_4arch9wavefront6targetE1EEEvSE_,comdat
.Lfunc_end218:
	.size	_ZN7rocprim17ROCPRIM_400000_NS6detail17trampoline_kernelINS0_14default_configENS1_35radix_sort_onesweep_config_selectorIaNS0_10empty_typeEEEZZNS1_29radix_sort_onesweep_iterationIS3_Lb0EPaS8_PS5_S9_mNS0_19identity_decomposerENS1_16block_id_wrapperIjLb1EEEEE10hipError_tT1_PNSt15iterator_traitsISE_E10value_typeET2_T3_PNSF_ISK_E10value_typeET4_T5_PSP_SQ_PNS1_23onesweep_lookback_stateEbbT6_jjT7_P12ihipStream_tbENKUlT_T0_SE_SJ_E_clIS8_S8_S9_S9_EEDaSX_SY_SE_SJ_EUlSX_E_NS1_11comp_targetILNS1_3genE8ELNS1_11target_archE1030ELNS1_3gpuE2ELNS1_3repE0EEENS1_47radix_sort_onesweep_sort_config_static_selectorELNS0_4arch9wavefront6targetE1EEEvSE_, .Lfunc_end218-_ZN7rocprim17ROCPRIM_400000_NS6detail17trampoline_kernelINS0_14default_configENS1_35radix_sort_onesweep_config_selectorIaNS0_10empty_typeEEEZZNS1_29radix_sort_onesweep_iterationIS3_Lb0EPaS8_PS5_S9_mNS0_19identity_decomposerENS1_16block_id_wrapperIjLb1EEEEE10hipError_tT1_PNSt15iterator_traitsISE_E10value_typeET2_T3_PNSF_ISK_E10value_typeET4_T5_PSP_SQ_PNS1_23onesweep_lookback_stateEbbT6_jjT7_P12ihipStream_tbENKUlT_T0_SE_SJ_E_clIS8_S8_S9_S9_EEDaSX_SY_SE_SJ_EUlSX_E_NS1_11comp_targetILNS1_3genE8ELNS1_11target_archE1030ELNS1_3gpuE2ELNS1_3repE0EEENS1_47radix_sort_onesweep_sort_config_static_selectorELNS0_4arch9wavefront6targetE1EEEvSE_
                                        ; -- End function
	.section	.AMDGPU.csdata,"",@progbits
; Kernel info:
; codeLenInByte = 0
; NumSgprs: 4
; NumVgprs: 0
; NumAgprs: 0
; TotalNumVgprs: 0
; ScratchSize: 0
; MemoryBound: 0
; FloatMode: 240
; IeeeMode: 1
; LDSByteSize: 0 bytes/workgroup (compile time only)
; SGPRBlocks: 0
; VGPRBlocks: 0
; NumSGPRsForWavesPerEU: 4
; NumVGPRsForWavesPerEU: 1
; AccumOffset: 4
; Occupancy: 8
; WaveLimiterHint : 0
; COMPUTE_PGM_RSRC2:SCRATCH_EN: 0
; COMPUTE_PGM_RSRC2:USER_SGPR: 6
; COMPUTE_PGM_RSRC2:TRAP_HANDLER: 0
; COMPUTE_PGM_RSRC2:TGID_X_EN: 1
; COMPUTE_PGM_RSRC2:TGID_Y_EN: 0
; COMPUTE_PGM_RSRC2:TGID_Z_EN: 0
; COMPUTE_PGM_RSRC2:TIDIG_COMP_CNT: 0
; COMPUTE_PGM_RSRC3_GFX90A:ACCUM_OFFSET: 0
; COMPUTE_PGM_RSRC3_GFX90A:TG_SPLIT: 0
	.section	.text._ZN7rocprim17ROCPRIM_400000_NS6detail17trampoline_kernelINS0_14default_configENS1_35radix_sort_onesweep_config_selectorIaNS0_10empty_typeEEEZZNS1_29radix_sort_onesweep_iterationIS3_Lb0EPaS8_PS5_S9_mNS0_19identity_decomposerENS1_16block_id_wrapperIjLb0EEEEE10hipError_tT1_PNSt15iterator_traitsISE_E10value_typeET2_T3_PNSF_ISK_E10value_typeET4_T5_PSP_SQ_PNS1_23onesweep_lookback_stateEbbT6_jjT7_P12ihipStream_tbENKUlT_T0_SE_SJ_E_clIS8_S8_S9_S9_EEDaSX_SY_SE_SJ_EUlSX_E_NS1_11comp_targetILNS1_3genE0ELNS1_11target_archE4294967295ELNS1_3gpuE0ELNS1_3repE0EEENS1_47radix_sort_onesweep_sort_config_static_selectorELNS0_4arch9wavefront6targetE1EEEvSE_,"axG",@progbits,_ZN7rocprim17ROCPRIM_400000_NS6detail17trampoline_kernelINS0_14default_configENS1_35radix_sort_onesweep_config_selectorIaNS0_10empty_typeEEEZZNS1_29radix_sort_onesweep_iterationIS3_Lb0EPaS8_PS5_S9_mNS0_19identity_decomposerENS1_16block_id_wrapperIjLb0EEEEE10hipError_tT1_PNSt15iterator_traitsISE_E10value_typeET2_T3_PNSF_ISK_E10value_typeET4_T5_PSP_SQ_PNS1_23onesweep_lookback_stateEbbT6_jjT7_P12ihipStream_tbENKUlT_T0_SE_SJ_E_clIS8_S8_S9_S9_EEDaSX_SY_SE_SJ_EUlSX_E_NS1_11comp_targetILNS1_3genE0ELNS1_11target_archE4294967295ELNS1_3gpuE0ELNS1_3repE0EEENS1_47radix_sort_onesweep_sort_config_static_selectorELNS0_4arch9wavefront6targetE1EEEvSE_,comdat
	.protected	_ZN7rocprim17ROCPRIM_400000_NS6detail17trampoline_kernelINS0_14default_configENS1_35radix_sort_onesweep_config_selectorIaNS0_10empty_typeEEEZZNS1_29radix_sort_onesweep_iterationIS3_Lb0EPaS8_PS5_S9_mNS0_19identity_decomposerENS1_16block_id_wrapperIjLb0EEEEE10hipError_tT1_PNSt15iterator_traitsISE_E10value_typeET2_T3_PNSF_ISK_E10value_typeET4_T5_PSP_SQ_PNS1_23onesweep_lookback_stateEbbT6_jjT7_P12ihipStream_tbENKUlT_T0_SE_SJ_E_clIS8_S8_S9_S9_EEDaSX_SY_SE_SJ_EUlSX_E_NS1_11comp_targetILNS1_3genE0ELNS1_11target_archE4294967295ELNS1_3gpuE0ELNS1_3repE0EEENS1_47radix_sort_onesweep_sort_config_static_selectorELNS0_4arch9wavefront6targetE1EEEvSE_ ; -- Begin function _ZN7rocprim17ROCPRIM_400000_NS6detail17trampoline_kernelINS0_14default_configENS1_35radix_sort_onesweep_config_selectorIaNS0_10empty_typeEEEZZNS1_29radix_sort_onesweep_iterationIS3_Lb0EPaS8_PS5_S9_mNS0_19identity_decomposerENS1_16block_id_wrapperIjLb0EEEEE10hipError_tT1_PNSt15iterator_traitsISE_E10value_typeET2_T3_PNSF_ISK_E10value_typeET4_T5_PSP_SQ_PNS1_23onesweep_lookback_stateEbbT6_jjT7_P12ihipStream_tbENKUlT_T0_SE_SJ_E_clIS8_S8_S9_S9_EEDaSX_SY_SE_SJ_EUlSX_E_NS1_11comp_targetILNS1_3genE0ELNS1_11target_archE4294967295ELNS1_3gpuE0ELNS1_3repE0EEENS1_47radix_sort_onesweep_sort_config_static_selectorELNS0_4arch9wavefront6targetE1EEEvSE_
	.globl	_ZN7rocprim17ROCPRIM_400000_NS6detail17trampoline_kernelINS0_14default_configENS1_35radix_sort_onesweep_config_selectorIaNS0_10empty_typeEEEZZNS1_29radix_sort_onesweep_iterationIS3_Lb0EPaS8_PS5_S9_mNS0_19identity_decomposerENS1_16block_id_wrapperIjLb0EEEEE10hipError_tT1_PNSt15iterator_traitsISE_E10value_typeET2_T3_PNSF_ISK_E10value_typeET4_T5_PSP_SQ_PNS1_23onesweep_lookback_stateEbbT6_jjT7_P12ihipStream_tbENKUlT_T0_SE_SJ_E_clIS8_S8_S9_S9_EEDaSX_SY_SE_SJ_EUlSX_E_NS1_11comp_targetILNS1_3genE0ELNS1_11target_archE4294967295ELNS1_3gpuE0ELNS1_3repE0EEENS1_47radix_sort_onesweep_sort_config_static_selectorELNS0_4arch9wavefront6targetE1EEEvSE_
	.p2align	8
	.type	_ZN7rocprim17ROCPRIM_400000_NS6detail17trampoline_kernelINS0_14default_configENS1_35radix_sort_onesweep_config_selectorIaNS0_10empty_typeEEEZZNS1_29radix_sort_onesweep_iterationIS3_Lb0EPaS8_PS5_S9_mNS0_19identity_decomposerENS1_16block_id_wrapperIjLb0EEEEE10hipError_tT1_PNSt15iterator_traitsISE_E10value_typeET2_T3_PNSF_ISK_E10value_typeET4_T5_PSP_SQ_PNS1_23onesweep_lookback_stateEbbT6_jjT7_P12ihipStream_tbENKUlT_T0_SE_SJ_E_clIS8_S8_S9_S9_EEDaSX_SY_SE_SJ_EUlSX_E_NS1_11comp_targetILNS1_3genE0ELNS1_11target_archE4294967295ELNS1_3gpuE0ELNS1_3repE0EEENS1_47radix_sort_onesweep_sort_config_static_selectorELNS0_4arch9wavefront6targetE1EEEvSE_,@function
_ZN7rocprim17ROCPRIM_400000_NS6detail17trampoline_kernelINS0_14default_configENS1_35radix_sort_onesweep_config_selectorIaNS0_10empty_typeEEEZZNS1_29radix_sort_onesweep_iterationIS3_Lb0EPaS8_PS5_S9_mNS0_19identity_decomposerENS1_16block_id_wrapperIjLb0EEEEE10hipError_tT1_PNSt15iterator_traitsISE_E10value_typeET2_T3_PNSF_ISK_E10value_typeET4_T5_PSP_SQ_PNS1_23onesweep_lookback_stateEbbT6_jjT7_P12ihipStream_tbENKUlT_T0_SE_SJ_E_clIS8_S8_S9_S9_EEDaSX_SY_SE_SJ_EUlSX_E_NS1_11comp_targetILNS1_3genE0ELNS1_11target_archE4294967295ELNS1_3gpuE0ELNS1_3repE0EEENS1_47radix_sort_onesweep_sort_config_static_selectorELNS0_4arch9wavefront6targetE1EEEvSE_: ; @_ZN7rocprim17ROCPRIM_400000_NS6detail17trampoline_kernelINS0_14default_configENS1_35radix_sort_onesweep_config_selectorIaNS0_10empty_typeEEEZZNS1_29radix_sort_onesweep_iterationIS3_Lb0EPaS8_PS5_S9_mNS0_19identity_decomposerENS1_16block_id_wrapperIjLb0EEEEE10hipError_tT1_PNSt15iterator_traitsISE_E10value_typeET2_T3_PNSF_ISK_E10value_typeET4_T5_PSP_SQ_PNS1_23onesweep_lookback_stateEbbT6_jjT7_P12ihipStream_tbENKUlT_T0_SE_SJ_E_clIS8_S8_S9_S9_EEDaSX_SY_SE_SJ_EUlSX_E_NS1_11comp_targetILNS1_3genE0ELNS1_11target_archE4294967295ELNS1_3gpuE0ELNS1_3repE0EEENS1_47radix_sort_onesweep_sort_config_static_selectorELNS0_4arch9wavefront6targetE1EEEvSE_
; %bb.0:
	.section	.rodata,"a",@progbits
	.p2align	6, 0x0
	.amdhsa_kernel _ZN7rocprim17ROCPRIM_400000_NS6detail17trampoline_kernelINS0_14default_configENS1_35radix_sort_onesweep_config_selectorIaNS0_10empty_typeEEEZZNS1_29radix_sort_onesweep_iterationIS3_Lb0EPaS8_PS5_S9_mNS0_19identity_decomposerENS1_16block_id_wrapperIjLb0EEEEE10hipError_tT1_PNSt15iterator_traitsISE_E10value_typeET2_T3_PNSF_ISK_E10value_typeET4_T5_PSP_SQ_PNS1_23onesweep_lookback_stateEbbT6_jjT7_P12ihipStream_tbENKUlT_T0_SE_SJ_E_clIS8_S8_S9_S9_EEDaSX_SY_SE_SJ_EUlSX_E_NS1_11comp_targetILNS1_3genE0ELNS1_11target_archE4294967295ELNS1_3gpuE0ELNS1_3repE0EEENS1_47radix_sort_onesweep_sort_config_static_selectorELNS0_4arch9wavefront6targetE1EEEvSE_
		.amdhsa_group_segment_fixed_size 0
		.amdhsa_private_segment_fixed_size 0
		.amdhsa_kernarg_size 88
		.amdhsa_user_sgpr_count 6
		.amdhsa_user_sgpr_private_segment_buffer 1
		.amdhsa_user_sgpr_dispatch_ptr 0
		.amdhsa_user_sgpr_queue_ptr 0
		.amdhsa_user_sgpr_kernarg_segment_ptr 1
		.amdhsa_user_sgpr_dispatch_id 0
		.amdhsa_user_sgpr_flat_scratch_init 0
		.amdhsa_user_sgpr_kernarg_preload_length 0
		.amdhsa_user_sgpr_kernarg_preload_offset 0
		.amdhsa_user_sgpr_private_segment_size 0
		.amdhsa_uses_dynamic_stack 0
		.amdhsa_system_sgpr_private_segment_wavefront_offset 0
		.amdhsa_system_sgpr_workgroup_id_x 1
		.amdhsa_system_sgpr_workgroup_id_y 0
		.amdhsa_system_sgpr_workgroup_id_z 0
		.amdhsa_system_sgpr_workgroup_info 0
		.amdhsa_system_vgpr_workitem_id 0
		.amdhsa_next_free_vgpr 1
		.amdhsa_next_free_sgpr 0
		.amdhsa_accum_offset 4
		.amdhsa_reserve_vcc 0
		.amdhsa_reserve_flat_scratch 0
		.amdhsa_float_round_mode_32 0
		.amdhsa_float_round_mode_16_64 0
		.amdhsa_float_denorm_mode_32 3
		.amdhsa_float_denorm_mode_16_64 3
		.amdhsa_dx10_clamp 1
		.amdhsa_ieee_mode 1
		.amdhsa_fp16_overflow 0
		.amdhsa_tg_split 0
		.amdhsa_exception_fp_ieee_invalid_op 0
		.amdhsa_exception_fp_denorm_src 0
		.amdhsa_exception_fp_ieee_div_zero 0
		.amdhsa_exception_fp_ieee_overflow 0
		.amdhsa_exception_fp_ieee_underflow 0
		.amdhsa_exception_fp_ieee_inexact 0
		.amdhsa_exception_int_div_zero 0
	.end_amdhsa_kernel
	.section	.text._ZN7rocprim17ROCPRIM_400000_NS6detail17trampoline_kernelINS0_14default_configENS1_35radix_sort_onesweep_config_selectorIaNS0_10empty_typeEEEZZNS1_29radix_sort_onesweep_iterationIS3_Lb0EPaS8_PS5_S9_mNS0_19identity_decomposerENS1_16block_id_wrapperIjLb0EEEEE10hipError_tT1_PNSt15iterator_traitsISE_E10value_typeET2_T3_PNSF_ISK_E10value_typeET4_T5_PSP_SQ_PNS1_23onesweep_lookback_stateEbbT6_jjT7_P12ihipStream_tbENKUlT_T0_SE_SJ_E_clIS8_S8_S9_S9_EEDaSX_SY_SE_SJ_EUlSX_E_NS1_11comp_targetILNS1_3genE0ELNS1_11target_archE4294967295ELNS1_3gpuE0ELNS1_3repE0EEENS1_47radix_sort_onesweep_sort_config_static_selectorELNS0_4arch9wavefront6targetE1EEEvSE_,"axG",@progbits,_ZN7rocprim17ROCPRIM_400000_NS6detail17trampoline_kernelINS0_14default_configENS1_35radix_sort_onesweep_config_selectorIaNS0_10empty_typeEEEZZNS1_29radix_sort_onesweep_iterationIS3_Lb0EPaS8_PS5_S9_mNS0_19identity_decomposerENS1_16block_id_wrapperIjLb0EEEEE10hipError_tT1_PNSt15iterator_traitsISE_E10value_typeET2_T3_PNSF_ISK_E10value_typeET4_T5_PSP_SQ_PNS1_23onesweep_lookback_stateEbbT6_jjT7_P12ihipStream_tbENKUlT_T0_SE_SJ_E_clIS8_S8_S9_S9_EEDaSX_SY_SE_SJ_EUlSX_E_NS1_11comp_targetILNS1_3genE0ELNS1_11target_archE4294967295ELNS1_3gpuE0ELNS1_3repE0EEENS1_47radix_sort_onesweep_sort_config_static_selectorELNS0_4arch9wavefront6targetE1EEEvSE_,comdat
.Lfunc_end219:
	.size	_ZN7rocprim17ROCPRIM_400000_NS6detail17trampoline_kernelINS0_14default_configENS1_35radix_sort_onesweep_config_selectorIaNS0_10empty_typeEEEZZNS1_29radix_sort_onesweep_iterationIS3_Lb0EPaS8_PS5_S9_mNS0_19identity_decomposerENS1_16block_id_wrapperIjLb0EEEEE10hipError_tT1_PNSt15iterator_traitsISE_E10value_typeET2_T3_PNSF_ISK_E10value_typeET4_T5_PSP_SQ_PNS1_23onesweep_lookback_stateEbbT6_jjT7_P12ihipStream_tbENKUlT_T0_SE_SJ_E_clIS8_S8_S9_S9_EEDaSX_SY_SE_SJ_EUlSX_E_NS1_11comp_targetILNS1_3genE0ELNS1_11target_archE4294967295ELNS1_3gpuE0ELNS1_3repE0EEENS1_47radix_sort_onesweep_sort_config_static_selectorELNS0_4arch9wavefront6targetE1EEEvSE_, .Lfunc_end219-_ZN7rocprim17ROCPRIM_400000_NS6detail17trampoline_kernelINS0_14default_configENS1_35radix_sort_onesweep_config_selectorIaNS0_10empty_typeEEEZZNS1_29radix_sort_onesweep_iterationIS3_Lb0EPaS8_PS5_S9_mNS0_19identity_decomposerENS1_16block_id_wrapperIjLb0EEEEE10hipError_tT1_PNSt15iterator_traitsISE_E10value_typeET2_T3_PNSF_ISK_E10value_typeET4_T5_PSP_SQ_PNS1_23onesweep_lookback_stateEbbT6_jjT7_P12ihipStream_tbENKUlT_T0_SE_SJ_E_clIS8_S8_S9_S9_EEDaSX_SY_SE_SJ_EUlSX_E_NS1_11comp_targetILNS1_3genE0ELNS1_11target_archE4294967295ELNS1_3gpuE0ELNS1_3repE0EEENS1_47radix_sort_onesweep_sort_config_static_selectorELNS0_4arch9wavefront6targetE1EEEvSE_
                                        ; -- End function
	.section	.AMDGPU.csdata,"",@progbits
; Kernel info:
; codeLenInByte = 0
; NumSgprs: 4
; NumVgprs: 0
; NumAgprs: 0
; TotalNumVgprs: 0
; ScratchSize: 0
; MemoryBound: 0
; FloatMode: 240
; IeeeMode: 1
; LDSByteSize: 0 bytes/workgroup (compile time only)
; SGPRBlocks: 0
; VGPRBlocks: 0
; NumSGPRsForWavesPerEU: 4
; NumVGPRsForWavesPerEU: 1
; AccumOffset: 4
; Occupancy: 8
; WaveLimiterHint : 0
; COMPUTE_PGM_RSRC2:SCRATCH_EN: 0
; COMPUTE_PGM_RSRC2:USER_SGPR: 6
; COMPUTE_PGM_RSRC2:TRAP_HANDLER: 0
; COMPUTE_PGM_RSRC2:TGID_X_EN: 1
; COMPUTE_PGM_RSRC2:TGID_Y_EN: 0
; COMPUTE_PGM_RSRC2:TGID_Z_EN: 0
; COMPUTE_PGM_RSRC2:TIDIG_COMP_CNT: 0
; COMPUTE_PGM_RSRC3_GFX90A:ACCUM_OFFSET: 0
; COMPUTE_PGM_RSRC3_GFX90A:TG_SPLIT: 0
	.section	.text._ZN7rocprim17ROCPRIM_400000_NS6detail17trampoline_kernelINS0_14default_configENS1_35radix_sort_onesweep_config_selectorIaNS0_10empty_typeEEEZZNS1_29radix_sort_onesweep_iterationIS3_Lb0EPaS8_PS5_S9_mNS0_19identity_decomposerENS1_16block_id_wrapperIjLb0EEEEE10hipError_tT1_PNSt15iterator_traitsISE_E10value_typeET2_T3_PNSF_ISK_E10value_typeET4_T5_PSP_SQ_PNS1_23onesweep_lookback_stateEbbT6_jjT7_P12ihipStream_tbENKUlT_T0_SE_SJ_E_clIS8_S8_S9_S9_EEDaSX_SY_SE_SJ_EUlSX_E_NS1_11comp_targetILNS1_3genE6ELNS1_11target_archE950ELNS1_3gpuE13ELNS1_3repE0EEENS1_47radix_sort_onesweep_sort_config_static_selectorELNS0_4arch9wavefront6targetE1EEEvSE_,"axG",@progbits,_ZN7rocprim17ROCPRIM_400000_NS6detail17trampoline_kernelINS0_14default_configENS1_35radix_sort_onesweep_config_selectorIaNS0_10empty_typeEEEZZNS1_29radix_sort_onesweep_iterationIS3_Lb0EPaS8_PS5_S9_mNS0_19identity_decomposerENS1_16block_id_wrapperIjLb0EEEEE10hipError_tT1_PNSt15iterator_traitsISE_E10value_typeET2_T3_PNSF_ISK_E10value_typeET4_T5_PSP_SQ_PNS1_23onesweep_lookback_stateEbbT6_jjT7_P12ihipStream_tbENKUlT_T0_SE_SJ_E_clIS8_S8_S9_S9_EEDaSX_SY_SE_SJ_EUlSX_E_NS1_11comp_targetILNS1_3genE6ELNS1_11target_archE950ELNS1_3gpuE13ELNS1_3repE0EEENS1_47radix_sort_onesweep_sort_config_static_selectorELNS0_4arch9wavefront6targetE1EEEvSE_,comdat
	.protected	_ZN7rocprim17ROCPRIM_400000_NS6detail17trampoline_kernelINS0_14default_configENS1_35radix_sort_onesweep_config_selectorIaNS0_10empty_typeEEEZZNS1_29radix_sort_onesweep_iterationIS3_Lb0EPaS8_PS5_S9_mNS0_19identity_decomposerENS1_16block_id_wrapperIjLb0EEEEE10hipError_tT1_PNSt15iterator_traitsISE_E10value_typeET2_T3_PNSF_ISK_E10value_typeET4_T5_PSP_SQ_PNS1_23onesweep_lookback_stateEbbT6_jjT7_P12ihipStream_tbENKUlT_T0_SE_SJ_E_clIS8_S8_S9_S9_EEDaSX_SY_SE_SJ_EUlSX_E_NS1_11comp_targetILNS1_3genE6ELNS1_11target_archE950ELNS1_3gpuE13ELNS1_3repE0EEENS1_47radix_sort_onesweep_sort_config_static_selectorELNS0_4arch9wavefront6targetE1EEEvSE_ ; -- Begin function _ZN7rocprim17ROCPRIM_400000_NS6detail17trampoline_kernelINS0_14default_configENS1_35radix_sort_onesweep_config_selectorIaNS0_10empty_typeEEEZZNS1_29radix_sort_onesweep_iterationIS3_Lb0EPaS8_PS5_S9_mNS0_19identity_decomposerENS1_16block_id_wrapperIjLb0EEEEE10hipError_tT1_PNSt15iterator_traitsISE_E10value_typeET2_T3_PNSF_ISK_E10value_typeET4_T5_PSP_SQ_PNS1_23onesweep_lookback_stateEbbT6_jjT7_P12ihipStream_tbENKUlT_T0_SE_SJ_E_clIS8_S8_S9_S9_EEDaSX_SY_SE_SJ_EUlSX_E_NS1_11comp_targetILNS1_3genE6ELNS1_11target_archE950ELNS1_3gpuE13ELNS1_3repE0EEENS1_47radix_sort_onesweep_sort_config_static_selectorELNS0_4arch9wavefront6targetE1EEEvSE_
	.globl	_ZN7rocprim17ROCPRIM_400000_NS6detail17trampoline_kernelINS0_14default_configENS1_35radix_sort_onesweep_config_selectorIaNS0_10empty_typeEEEZZNS1_29radix_sort_onesweep_iterationIS3_Lb0EPaS8_PS5_S9_mNS0_19identity_decomposerENS1_16block_id_wrapperIjLb0EEEEE10hipError_tT1_PNSt15iterator_traitsISE_E10value_typeET2_T3_PNSF_ISK_E10value_typeET4_T5_PSP_SQ_PNS1_23onesweep_lookback_stateEbbT6_jjT7_P12ihipStream_tbENKUlT_T0_SE_SJ_E_clIS8_S8_S9_S9_EEDaSX_SY_SE_SJ_EUlSX_E_NS1_11comp_targetILNS1_3genE6ELNS1_11target_archE950ELNS1_3gpuE13ELNS1_3repE0EEENS1_47radix_sort_onesweep_sort_config_static_selectorELNS0_4arch9wavefront6targetE1EEEvSE_
	.p2align	8
	.type	_ZN7rocprim17ROCPRIM_400000_NS6detail17trampoline_kernelINS0_14default_configENS1_35radix_sort_onesweep_config_selectorIaNS0_10empty_typeEEEZZNS1_29radix_sort_onesweep_iterationIS3_Lb0EPaS8_PS5_S9_mNS0_19identity_decomposerENS1_16block_id_wrapperIjLb0EEEEE10hipError_tT1_PNSt15iterator_traitsISE_E10value_typeET2_T3_PNSF_ISK_E10value_typeET4_T5_PSP_SQ_PNS1_23onesweep_lookback_stateEbbT6_jjT7_P12ihipStream_tbENKUlT_T0_SE_SJ_E_clIS8_S8_S9_S9_EEDaSX_SY_SE_SJ_EUlSX_E_NS1_11comp_targetILNS1_3genE6ELNS1_11target_archE950ELNS1_3gpuE13ELNS1_3repE0EEENS1_47radix_sort_onesweep_sort_config_static_selectorELNS0_4arch9wavefront6targetE1EEEvSE_,@function
_ZN7rocprim17ROCPRIM_400000_NS6detail17trampoline_kernelINS0_14default_configENS1_35radix_sort_onesweep_config_selectorIaNS0_10empty_typeEEEZZNS1_29radix_sort_onesweep_iterationIS3_Lb0EPaS8_PS5_S9_mNS0_19identity_decomposerENS1_16block_id_wrapperIjLb0EEEEE10hipError_tT1_PNSt15iterator_traitsISE_E10value_typeET2_T3_PNSF_ISK_E10value_typeET4_T5_PSP_SQ_PNS1_23onesweep_lookback_stateEbbT6_jjT7_P12ihipStream_tbENKUlT_T0_SE_SJ_E_clIS8_S8_S9_S9_EEDaSX_SY_SE_SJ_EUlSX_E_NS1_11comp_targetILNS1_3genE6ELNS1_11target_archE950ELNS1_3gpuE13ELNS1_3repE0EEENS1_47radix_sort_onesweep_sort_config_static_selectorELNS0_4arch9wavefront6targetE1EEEvSE_: ; @_ZN7rocprim17ROCPRIM_400000_NS6detail17trampoline_kernelINS0_14default_configENS1_35radix_sort_onesweep_config_selectorIaNS0_10empty_typeEEEZZNS1_29radix_sort_onesweep_iterationIS3_Lb0EPaS8_PS5_S9_mNS0_19identity_decomposerENS1_16block_id_wrapperIjLb0EEEEE10hipError_tT1_PNSt15iterator_traitsISE_E10value_typeET2_T3_PNSF_ISK_E10value_typeET4_T5_PSP_SQ_PNS1_23onesweep_lookback_stateEbbT6_jjT7_P12ihipStream_tbENKUlT_T0_SE_SJ_E_clIS8_S8_S9_S9_EEDaSX_SY_SE_SJ_EUlSX_E_NS1_11comp_targetILNS1_3genE6ELNS1_11target_archE950ELNS1_3gpuE13ELNS1_3repE0EEENS1_47radix_sort_onesweep_sort_config_static_selectorELNS0_4arch9wavefront6targetE1EEEvSE_
; %bb.0:
	.section	.rodata,"a",@progbits
	.p2align	6, 0x0
	.amdhsa_kernel _ZN7rocprim17ROCPRIM_400000_NS6detail17trampoline_kernelINS0_14default_configENS1_35radix_sort_onesweep_config_selectorIaNS0_10empty_typeEEEZZNS1_29radix_sort_onesweep_iterationIS3_Lb0EPaS8_PS5_S9_mNS0_19identity_decomposerENS1_16block_id_wrapperIjLb0EEEEE10hipError_tT1_PNSt15iterator_traitsISE_E10value_typeET2_T3_PNSF_ISK_E10value_typeET4_T5_PSP_SQ_PNS1_23onesweep_lookback_stateEbbT6_jjT7_P12ihipStream_tbENKUlT_T0_SE_SJ_E_clIS8_S8_S9_S9_EEDaSX_SY_SE_SJ_EUlSX_E_NS1_11comp_targetILNS1_3genE6ELNS1_11target_archE950ELNS1_3gpuE13ELNS1_3repE0EEENS1_47radix_sort_onesweep_sort_config_static_selectorELNS0_4arch9wavefront6targetE1EEEvSE_
		.amdhsa_group_segment_fixed_size 0
		.amdhsa_private_segment_fixed_size 0
		.amdhsa_kernarg_size 88
		.amdhsa_user_sgpr_count 6
		.amdhsa_user_sgpr_private_segment_buffer 1
		.amdhsa_user_sgpr_dispatch_ptr 0
		.amdhsa_user_sgpr_queue_ptr 0
		.amdhsa_user_sgpr_kernarg_segment_ptr 1
		.amdhsa_user_sgpr_dispatch_id 0
		.amdhsa_user_sgpr_flat_scratch_init 0
		.amdhsa_user_sgpr_kernarg_preload_length 0
		.amdhsa_user_sgpr_kernarg_preload_offset 0
		.amdhsa_user_sgpr_private_segment_size 0
		.amdhsa_uses_dynamic_stack 0
		.amdhsa_system_sgpr_private_segment_wavefront_offset 0
		.amdhsa_system_sgpr_workgroup_id_x 1
		.amdhsa_system_sgpr_workgroup_id_y 0
		.amdhsa_system_sgpr_workgroup_id_z 0
		.amdhsa_system_sgpr_workgroup_info 0
		.amdhsa_system_vgpr_workitem_id 0
		.amdhsa_next_free_vgpr 1
		.amdhsa_next_free_sgpr 0
		.amdhsa_accum_offset 4
		.amdhsa_reserve_vcc 0
		.amdhsa_reserve_flat_scratch 0
		.amdhsa_float_round_mode_32 0
		.amdhsa_float_round_mode_16_64 0
		.amdhsa_float_denorm_mode_32 3
		.amdhsa_float_denorm_mode_16_64 3
		.amdhsa_dx10_clamp 1
		.amdhsa_ieee_mode 1
		.amdhsa_fp16_overflow 0
		.amdhsa_tg_split 0
		.amdhsa_exception_fp_ieee_invalid_op 0
		.amdhsa_exception_fp_denorm_src 0
		.amdhsa_exception_fp_ieee_div_zero 0
		.amdhsa_exception_fp_ieee_overflow 0
		.amdhsa_exception_fp_ieee_underflow 0
		.amdhsa_exception_fp_ieee_inexact 0
		.amdhsa_exception_int_div_zero 0
	.end_amdhsa_kernel
	.section	.text._ZN7rocprim17ROCPRIM_400000_NS6detail17trampoline_kernelINS0_14default_configENS1_35radix_sort_onesweep_config_selectorIaNS0_10empty_typeEEEZZNS1_29radix_sort_onesweep_iterationIS3_Lb0EPaS8_PS5_S9_mNS0_19identity_decomposerENS1_16block_id_wrapperIjLb0EEEEE10hipError_tT1_PNSt15iterator_traitsISE_E10value_typeET2_T3_PNSF_ISK_E10value_typeET4_T5_PSP_SQ_PNS1_23onesweep_lookback_stateEbbT6_jjT7_P12ihipStream_tbENKUlT_T0_SE_SJ_E_clIS8_S8_S9_S9_EEDaSX_SY_SE_SJ_EUlSX_E_NS1_11comp_targetILNS1_3genE6ELNS1_11target_archE950ELNS1_3gpuE13ELNS1_3repE0EEENS1_47radix_sort_onesweep_sort_config_static_selectorELNS0_4arch9wavefront6targetE1EEEvSE_,"axG",@progbits,_ZN7rocprim17ROCPRIM_400000_NS6detail17trampoline_kernelINS0_14default_configENS1_35radix_sort_onesweep_config_selectorIaNS0_10empty_typeEEEZZNS1_29radix_sort_onesweep_iterationIS3_Lb0EPaS8_PS5_S9_mNS0_19identity_decomposerENS1_16block_id_wrapperIjLb0EEEEE10hipError_tT1_PNSt15iterator_traitsISE_E10value_typeET2_T3_PNSF_ISK_E10value_typeET4_T5_PSP_SQ_PNS1_23onesweep_lookback_stateEbbT6_jjT7_P12ihipStream_tbENKUlT_T0_SE_SJ_E_clIS8_S8_S9_S9_EEDaSX_SY_SE_SJ_EUlSX_E_NS1_11comp_targetILNS1_3genE6ELNS1_11target_archE950ELNS1_3gpuE13ELNS1_3repE0EEENS1_47radix_sort_onesweep_sort_config_static_selectorELNS0_4arch9wavefront6targetE1EEEvSE_,comdat
.Lfunc_end220:
	.size	_ZN7rocprim17ROCPRIM_400000_NS6detail17trampoline_kernelINS0_14default_configENS1_35radix_sort_onesweep_config_selectorIaNS0_10empty_typeEEEZZNS1_29radix_sort_onesweep_iterationIS3_Lb0EPaS8_PS5_S9_mNS0_19identity_decomposerENS1_16block_id_wrapperIjLb0EEEEE10hipError_tT1_PNSt15iterator_traitsISE_E10value_typeET2_T3_PNSF_ISK_E10value_typeET4_T5_PSP_SQ_PNS1_23onesweep_lookback_stateEbbT6_jjT7_P12ihipStream_tbENKUlT_T0_SE_SJ_E_clIS8_S8_S9_S9_EEDaSX_SY_SE_SJ_EUlSX_E_NS1_11comp_targetILNS1_3genE6ELNS1_11target_archE950ELNS1_3gpuE13ELNS1_3repE0EEENS1_47radix_sort_onesweep_sort_config_static_selectorELNS0_4arch9wavefront6targetE1EEEvSE_, .Lfunc_end220-_ZN7rocprim17ROCPRIM_400000_NS6detail17trampoline_kernelINS0_14default_configENS1_35radix_sort_onesweep_config_selectorIaNS0_10empty_typeEEEZZNS1_29radix_sort_onesweep_iterationIS3_Lb0EPaS8_PS5_S9_mNS0_19identity_decomposerENS1_16block_id_wrapperIjLb0EEEEE10hipError_tT1_PNSt15iterator_traitsISE_E10value_typeET2_T3_PNSF_ISK_E10value_typeET4_T5_PSP_SQ_PNS1_23onesweep_lookback_stateEbbT6_jjT7_P12ihipStream_tbENKUlT_T0_SE_SJ_E_clIS8_S8_S9_S9_EEDaSX_SY_SE_SJ_EUlSX_E_NS1_11comp_targetILNS1_3genE6ELNS1_11target_archE950ELNS1_3gpuE13ELNS1_3repE0EEENS1_47radix_sort_onesweep_sort_config_static_selectorELNS0_4arch9wavefront6targetE1EEEvSE_
                                        ; -- End function
	.section	.AMDGPU.csdata,"",@progbits
; Kernel info:
; codeLenInByte = 0
; NumSgprs: 4
; NumVgprs: 0
; NumAgprs: 0
; TotalNumVgprs: 0
; ScratchSize: 0
; MemoryBound: 0
; FloatMode: 240
; IeeeMode: 1
; LDSByteSize: 0 bytes/workgroup (compile time only)
; SGPRBlocks: 0
; VGPRBlocks: 0
; NumSGPRsForWavesPerEU: 4
; NumVGPRsForWavesPerEU: 1
; AccumOffset: 4
; Occupancy: 8
; WaveLimiterHint : 0
; COMPUTE_PGM_RSRC2:SCRATCH_EN: 0
; COMPUTE_PGM_RSRC2:USER_SGPR: 6
; COMPUTE_PGM_RSRC2:TRAP_HANDLER: 0
; COMPUTE_PGM_RSRC2:TGID_X_EN: 1
; COMPUTE_PGM_RSRC2:TGID_Y_EN: 0
; COMPUTE_PGM_RSRC2:TGID_Z_EN: 0
; COMPUTE_PGM_RSRC2:TIDIG_COMP_CNT: 0
; COMPUTE_PGM_RSRC3_GFX90A:ACCUM_OFFSET: 0
; COMPUTE_PGM_RSRC3_GFX90A:TG_SPLIT: 0
	.section	.text._ZN7rocprim17ROCPRIM_400000_NS6detail17trampoline_kernelINS0_14default_configENS1_35radix_sort_onesweep_config_selectorIaNS0_10empty_typeEEEZZNS1_29radix_sort_onesweep_iterationIS3_Lb0EPaS8_PS5_S9_mNS0_19identity_decomposerENS1_16block_id_wrapperIjLb0EEEEE10hipError_tT1_PNSt15iterator_traitsISE_E10value_typeET2_T3_PNSF_ISK_E10value_typeET4_T5_PSP_SQ_PNS1_23onesweep_lookback_stateEbbT6_jjT7_P12ihipStream_tbENKUlT_T0_SE_SJ_E_clIS8_S8_S9_S9_EEDaSX_SY_SE_SJ_EUlSX_E_NS1_11comp_targetILNS1_3genE5ELNS1_11target_archE942ELNS1_3gpuE9ELNS1_3repE0EEENS1_47radix_sort_onesweep_sort_config_static_selectorELNS0_4arch9wavefront6targetE1EEEvSE_,"axG",@progbits,_ZN7rocprim17ROCPRIM_400000_NS6detail17trampoline_kernelINS0_14default_configENS1_35radix_sort_onesweep_config_selectorIaNS0_10empty_typeEEEZZNS1_29radix_sort_onesweep_iterationIS3_Lb0EPaS8_PS5_S9_mNS0_19identity_decomposerENS1_16block_id_wrapperIjLb0EEEEE10hipError_tT1_PNSt15iterator_traitsISE_E10value_typeET2_T3_PNSF_ISK_E10value_typeET4_T5_PSP_SQ_PNS1_23onesweep_lookback_stateEbbT6_jjT7_P12ihipStream_tbENKUlT_T0_SE_SJ_E_clIS8_S8_S9_S9_EEDaSX_SY_SE_SJ_EUlSX_E_NS1_11comp_targetILNS1_3genE5ELNS1_11target_archE942ELNS1_3gpuE9ELNS1_3repE0EEENS1_47radix_sort_onesweep_sort_config_static_selectorELNS0_4arch9wavefront6targetE1EEEvSE_,comdat
	.protected	_ZN7rocprim17ROCPRIM_400000_NS6detail17trampoline_kernelINS0_14default_configENS1_35radix_sort_onesweep_config_selectorIaNS0_10empty_typeEEEZZNS1_29radix_sort_onesweep_iterationIS3_Lb0EPaS8_PS5_S9_mNS0_19identity_decomposerENS1_16block_id_wrapperIjLb0EEEEE10hipError_tT1_PNSt15iterator_traitsISE_E10value_typeET2_T3_PNSF_ISK_E10value_typeET4_T5_PSP_SQ_PNS1_23onesweep_lookback_stateEbbT6_jjT7_P12ihipStream_tbENKUlT_T0_SE_SJ_E_clIS8_S8_S9_S9_EEDaSX_SY_SE_SJ_EUlSX_E_NS1_11comp_targetILNS1_3genE5ELNS1_11target_archE942ELNS1_3gpuE9ELNS1_3repE0EEENS1_47radix_sort_onesweep_sort_config_static_selectorELNS0_4arch9wavefront6targetE1EEEvSE_ ; -- Begin function _ZN7rocprim17ROCPRIM_400000_NS6detail17trampoline_kernelINS0_14default_configENS1_35radix_sort_onesweep_config_selectorIaNS0_10empty_typeEEEZZNS1_29radix_sort_onesweep_iterationIS3_Lb0EPaS8_PS5_S9_mNS0_19identity_decomposerENS1_16block_id_wrapperIjLb0EEEEE10hipError_tT1_PNSt15iterator_traitsISE_E10value_typeET2_T3_PNSF_ISK_E10value_typeET4_T5_PSP_SQ_PNS1_23onesweep_lookback_stateEbbT6_jjT7_P12ihipStream_tbENKUlT_T0_SE_SJ_E_clIS8_S8_S9_S9_EEDaSX_SY_SE_SJ_EUlSX_E_NS1_11comp_targetILNS1_3genE5ELNS1_11target_archE942ELNS1_3gpuE9ELNS1_3repE0EEENS1_47radix_sort_onesweep_sort_config_static_selectorELNS0_4arch9wavefront6targetE1EEEvSE_
	.globl	_ZN7rocprim17ROCPRIM_400000_NS6detail17trampoline_kernelINS0_14default_configENS1_35radix_sort_onesweep_config_selectorIaNS0_10empty_typeEEEZZNS1_29radix_sort_onesweep_iterationIS3_Lb0EPaS8_PS5_S9_mNS0_19identity_decomposerENS1_16block_id_wrapperIjLb0EEEEE10hipError_tT1_PNSt15iterator_traitsISE_E10value_typeET2_T3_PNSF_ISK_E10value_typeET4_T5_PSP_SQ_PNS1_23onesweep_lookback_stateEbbT6_jjT7_P12ihipStream_tbENKUlT_T0_SE_SJ_E_clIS8_S8_S9_S9_EEDaSX_SY_SE_SJ_EUlSX_E_NS1_11comp_targetILNS1_3genE5ELNS1_11target_archE942ELNS1_3gpuE9ELNS1_3repE0EEENS1_47radix_sort_onesweep_sort_config_static_selectorELNS0_4arch9wavefront6targetE1EEEvSE_
	.p2align	8
	.type	_ZN7rocprim17ROCPRIM_400000_NS6detail17trampoline_kernelINS0_14default_configENS1_35radix_sort_onesweep_config_selectorIaNS0_10empty_typeEEEZZNS1_29radix_sort_onesweep_iterationIS3_Lb0EPaS8_PS5_S9_mNS0_19identity_decomposerENS1_16block_id_wrapperIjLb0EEEEE10hipError_tT1_PNSt15iterator_traitsISE_E10value_typeET2_T3_PNSF_ISK_E10value_typeET4_T5_PSP_SQ_PNS1_23onesweep_lookback_stateEbbT6_jjT7_P12ihipStream_tbENKUlT_T0_SE_SJ_E_clIS8_S8_S9_S9_EEDaSX_SY_SE_SJ_EUlSX_E_NS1_11comp_targetILNS1_3genE5ELNS1_11target_archE942ELNS1_3gpuE9ELNS1_3repE0EEENS1_47radix_sort_onesweep_sort_config_static_selectorELNS0_4arch9wavefront6targetE1EEEvSE_,@function
_ZN7rocprim17ROCPRIM_400000_NS6detail17trampoline_kernelINS0_14default_configENS1_35radix_sort_onesweep_config_selectorIaNS0_10empty_typeEEEZZNS1_29radix_sort_onesweep_iterationIS3_Lb0EPaS8_PS5_S9_mNS0_19identity_decomposerENS1_16block_id_wrapperIjLb0EEEEE10hipError_tT1_PNSt15iterator_traitsISE_E10value_typeET2_T3_PNSF_ISK_E10value_typeET4_T5_PSP_SQ_PNS1_23onesweep_lookback_stateEbbT6_jjT7_P12ihipStream_tbENKUlT_T0_SE_SJ_E_clIS8_S8_S9_S9_EEDaSX_SY_SE_SJ_EUlSX_E_NS1_11comp_targetILNS1_3genE5ELNS1_11target_archE942ELNS1_3gpuE9ELNS1_3repE0EEENS1_47radix_sort_onesweep_sort_config_static_selectorELNS0_4arch9wavefront6targetE1EEEvSE_: ; @_ZN7rocprim17ROCPRIM_400000_NS6detail17trampoline_kernelINS0_14default_configENS1_35radix_sort_onesweep_config_selectorIaNS0_10empty_typeEEEZZNS1_29radix_sort_onesweep_iterationIS3_Lb0EPaS8_PS5_S9_mNS0_19identity_decomposerENS1_16block_id_wrapperIjLb0EEEEE10hipError_tT1_PNSt15iterator_traitsISE_E10value_typeET2_T3_PNSF_ISK_E10value_typeET4_T5_PSP_SQ_PNS1_23onesweep_lookback_stateEbbT6_jjT7_P12ihipStream_tbENKUlT_T0_SE_SJ_E_clIS8_S8_S9_S9_EEDaSX_SY_SE_SJ_EUlSX_E_NS1_11comp_targetILNS1_3genE5ELNS1_11target_archE942ELNS1_3gpuE9ELNS1_3repE0EEENS1_47radix_sort_onesweep_sort_config_static_selectorELNS0_4arch9wavefront6targetE1EEEvSE_
; %bb.0:
	.section	.rodata,"a",@progbits
	.p2align	6, 0x0
	.amdhsa_kernel _ZN7rocprim17ROCPRIM_400000_NS6detail17trampoline_kernelINS0_14default_configENS1_35radix_sort_onesweep_config_selectorIaNS0_10empty_typeEEEZZNS1_29radix_sort_onesweep_iterationIS3_Lb0EPaS8_PS5_S9_mNS0_19identity_decomposerENS1_16block_id_wrapperIjLb0EEEEE10hipError_tT1_PNSt15iterator_traitsISE_E10value_typeET2_T3_PNSF_ISK_E10value_typeET4_T5_PSP_SQ_PNS1_23onesweep_lookback_stateEbbT6_jjT7_P12ihipStream_tbENKUlT_T0_SE_SJ_E_clIS8_S8_S9_S9_EEDaSX_SY_SE_SJ_EUlSX_E_NS1_11comp_targetILNS1_3genE5ELNS1_11target_archE942ELNS1_3gpuE9ELNS1_3repE0EEENS1_47radix_sort_onesweep_sort_config_static_selectorELNS0_4arch9wavefront6targetE1EEEvSE_
		.amdhsa_group_segment_fixed_size 0
		.amdhsa_private_segment_fixed_size 0
		.amdhsa_kernarg_size 88
		.amdhsa_user_sgpr_count 6
		.amdhsa_user_sgpr_private_segment_buffer 1
		.amdhsa_user_sgpr_dispatch_ptr 0
		.amdhsa_user_sgpr_queue_ptr 0
		.amdhsa_user_sgpr_kernarg_segment_ptr 1
		.amdhsa_user_sgpr_dispatch_id 0
		.amdhsa_user_sgpr_flat_scratch_init 0
		.amdhsa_user_sgpr_kernarg_preload_length 0
		.amdhsa_user_sgpr_kernarg_preload_offset 0
		.amdhsa_user_sgpr_private_segment_size 0
		.amdhsa_uses_dynamic_stack 0
		.amdhsa_system_sgpr_private_segment_wavefront_offset 0
		.amdhsa_system_sgpr_workgroup_id_x 1
		.amdhsa_system_sgpr_workgroup_id_y 0
		.amdhsa_system_sgpr_workgroup_id_z 0
		.amdhsa_system_sgpr_workgroup_info 0
		.amdhsa_system_vgpr_workitem_id 0
		.amdhsa_next_free_vgpr 1
		.amdhsa_next_free_sgpr 0
		.amdhsa_accum_offset 4
		.amdhsa_reserve_vcc 0
		.amdhsa_reserve_flat_scratch 0
		.amdhsa_float_round_mode_32 0
		.amdhsa_float_round_mode_16_64 0
		.amdhsa_float_denorm_mode_32 3
		.amdhsa_float_denorm_mode_16_64 3
		.amdhsa_dx10_clamp 1
		.amdhsa_ieee_mode 1
		.amdhsa_fp16_overflow 0
		.amdhsa_tg_split 0
		.amdhsa_exception_fp_ieee_invalid_op 0
		.amdhsa_exception_fp_denorm_src 0
		.amdhsa_exception_fp_ieee_div_zero 0
		.amdhsa_exception_fp_ieee_overflow 0
		.amdhsa_exception_fp_ieee_underflow 0
		.amdhsa_exception_fp_ieee_inexact 0
		.amdhsa_exception_int_div_zero 0
	.end_amdhsa_kernel
	.section	.text._ZN7rocprim17ROCPRIM_400000_NS6detail17trampoline_kernelINS0_14default_configENS1_35radix_sort_onesweep_config_selectorIaNS0_10empty_typeEEEZZNS1_29radix_sort_onesweep_iterationIS3_Lb0EPaS8_PS5_S9_mNS0_19identity_decomposerENS1_16block_id_wrapperIjLb0EEEEE10hipError_tT1_PNSt15iterator_traitsISE_E10value_typeET2_T3_PNSF_ISK_E10value_typeET4_T5_PSP_SQ_PNS1_23onesweep_lookback_stateEbbT6_jjT7_P12ihipStream_tbENKUlT_T0_SE_SJ_E_clIS8_S8_S9_S9_EEDaSX_SY_SE_SJ_EUlSX_E_NS1_11comp_targetILNS1_3genE5ELNS1_11target_archE942ELNS1_3gpuE9ELNS1_3repE0EEENS1_47radix_sort_onesweep_sort_config_static_selectorELNS0_4arch9wavefront6targetE1EEEvSE_,"axG",@progbits,_ZN7rocprim17ROCPRIM_400000_NS6detail17trampoline_kernelINS0_14default_configENS1_35radix_sort_onesweep_config_selectorIaNS0_10empty_typeEEEZZNS1_29radix_sort_onesweep_iterationIS3_Lb0EPaS8_PS5_S9_mNS0_19identity_decomposerENS1_16block_id_wrapperIjLb0EEEEE10hipError_tT1_PNSt15iterator_traitsISE_E10value_typeET2_T3_PNSF_ISK_E10value_typeET4_T5_PSP_SQ_PNS1_23onesweep_lookback_stateEbbT6_jjT7_P12ihipStream_tbENKUlT_T0_SE_SJ_E_clIS8_S8_S9_S9_EEDaSX_SY_SE_SJ_EUlSX_E_NS1_11comp_targetILNS1_3genE5ELNS1_11target_archE942ELNS1_3gpuE9ELNS1_3repE0EEENS1_47radix_sort_onesweep_sort_config_static_selectorELNS0_4arch9wavefront6targetE1EEEvSE_,comdat
.Lfunc_end221:
	.size	_ZN7rocprim17ROCPRIM_400000_NS6detail17trampoline_kernelINS0_14default_configENS1_35radix_sort_onesweep_config_selectorIaNS0_10empty_typeEEEZZNS1_29radix_sort_onesweep_iterationIS3_Lb0EPaS8_PS5_S9_mNS0_19identity_decomposerENS1_16block_id_wrapperIjLb0EEEEE10hipError_tT1_PNSt15iterator_traitsISE_E10value_typeET2_T3_PNSF_ISK_E10value_typeET4_T5_PSP_SQ_PNS1_23onesweep_lookback_stateEbbT6_jjT7_P12ihipStream_tbENKUlT_T0_SE_SJ_E_clIS8_S8_S9_S9_EEDaSX_SY_SE_SJ_EUlSX_E_NS1_11comp_targetILNS1_3genE5ELNS1_11target_archE942ELNS1_3gpuE9ELNS1_3repE0EEENS1_47radix_sort_onesweep_sort_config_static_selectorELNS0_4arch9wavefront6targetE1EEEvSE_, .Lfunc_end221-_ZN7rocprim17ROCPRIM_400000_NS6detail17trampoline_kernelINS0_14default_configENS1_35radix_sort_onesweep_config_selectorIaNS0_10empty_typeEEEZZNS1_29radix_sort_onesweep_iterationIS3_Lb0EPaS8_PS5_S9_mNS0_19identity_decomposerENS1_16block_id_wrapperIjLb0EEEEE10hipError_tT1_PNSt15iterator_traitsISE_E10value_typeET2_T3_PNSF_ISK_E10value_typeET4_T5_PSP_SQ_PNS1_23onesweep_lookback_stateEbbT6_jjT7_P12ihipStream_tbENKUlT_T0_SE_SJ_E_clIS8_S8_S9_S9_EEDaSX_SY_SE_SJ_EUlSX_E_NS1_11comp_targetILNS1_3genE5ELNS1_11target_archE942ELNS1_3gpuE9ELNS1_3repE0EEENS1_47radix_sort_onesweep_sort_config_static_selectorELNS0_4arch9wavefront6targetE1EEEvSE_
                                        ; -- End function
	.section	.AMDGPU.csdata,"",@progbits
; Kernel info:
; codeLenInByte = 0
; NumSgprs: 4
; NumVgprs: 0
; NumAgprs: 0
; TotalNumVgprs: 0
; ScratchSize: 0
; MemoryBound: 0
; FloatMode: 240
; IeeeMode: 1
; LDSByteSize: 0 bytes/workgroup (compile time only)
; SGPRBlocks: 0
; VGPRBlocks: 0
; NumSGPRsForWavesPerEU: 4
; NumVGPRsForWavesPerEU: 1
; AccumOffset: 4
; Occupancy: 8
; WaveLimiterHint : 0
; COMPUTE_PGM_RSRC2:SCRATCH_EN: 0
; COMPUTE_PGM_RSRC2:USER_SGPR: 6
; COMPUTE_PGM_RSRC2:TRAP_HANDLER: 0
; COMPUTE_PGM_RSRC2:TGID_X_EN: 1
; COMPUTE_PGM_RSRC2:TGID_Y_EN: 0
; COMPUTE_PGM_RSRC2:TGID_Z_EN: 0
; COMPUTE_PGM_RSRC2:TIDIG_COMP_CNT: 0
; COMPUTE_PGM_RSRC3_GFX90A:ACCUM_OFFSET: 0
; COMPUTE_PGM_RSRC3_GFX90A:TG_SPLIT: 0
	.section	.text._ZN7rocprim17ROCPRIM_400000_NS6detail17trampoline_kernelINS0_14default_configENS1_35radix_sort_onesweep_config_selectorIaNS0_10empty_typeEEEZZNS1_29radix_sort_onesweep_iterationIS3_Lb0EPaS8_PS5_S9_mNS0_19identity_decomposerENS1_16block_id_wrapperIjLb0EEEEE10hipError_tT1_PNSt15iterator_traitsISE_E10value_typeET2_T3_PNSF_ISK_E10value_typeET4_T5_PSP_SQ_PNS1_23onesweep_lookback_stateEbbT6_jjT7_P12ihipStream_tbENKUlT_T0_SE_SJ_E_clIS8_S8_S9_S9_EEDaSX_SY_SE_SJ_EUlSX_E_NS1_11comp_targetILNS1_3genE2ELNS1_11target_archE906ELNS1_3gpuE6ELNS1_3repE0EEENS1_47radix_sort_onesweep_sort_config_static_selectorELNS0_4arch9wavefront6targetE1EEEvSE_,"axG",@progbits,_ZN7rocprim17ROCPRIM_400000_NS6detail17trampoline_kernelINS0_14default_configENS1_35radix_sort_onesweep_config_selectorIaNS0_10empty_typeEEEZZNS1_29radix_sort_onesweep_iterationIS3_Lb0EPaS8_PS5_S9_mNS0_19identity_decomposerENS1_16block_id_wrapperIjLb0EEEEE10hipError_tT1_PNSt15iterator_traitsISE_E10value_typeET2_T3_PNSF_ISK_E10value_typeET4_T5_PSP_SQ_PNS1_23onesweep_lookback_stateEbbT6_jjT7_P12ihipStream_tbENKUlT_T0_SE_SJ_E_clIS8_S8_S9_S9_EEDaSX_SY_SE_SJ_EUlSX_E_NS1_11comp_targetILNS1_3genE2ELNS1_11target_archE906ELNS1_3gpuE6ELNS1_3repE0EEENS1_47radix_sort_onesweep_sort_config_static_selectorELNS0_4arch9wavefront6targetE1EEEvSE_,comdat
	.protected	_ZN7rocprim17ROCPRIM_400000_NS6detail17trampoline_kernelINS0_14default_configENS1_35radix_sort_onesweep_config_selectorIaNS0_10empty_typeEEEZZNS1_29radix_sort_onesweep_iterationIS3_Lb0EPaS8_PS5_S9_mNS0_19identity_decomposerENS1_16block_id_wrapperIjLb0EEEEE10hipError_tT1_PNSt15iterator_traitsISE_E10value_typeET2_T3_PNSF_ISK_E10value_typeET4_T5_PSP_SQ_PNS1_23onesweep_lookback_stateEbbT6_jjT7_P12ihipStream_tbENKUlT_T0_SE_SJ_E_clIS8_S8_S9_S9_EEDaSX_SY_SE_SJ_EUlSX_E_NS1_11comp_targetILNS1_3genE2ELNS1_11target_archE906ELNS1_3gpuE6ELNS1_3repE0EEENS1_47radix_sort_onesweep_sort_config_static_selectorELNS0_4arch9wavefront6targetE1EEEvSE_ ; -- Begin function _ZN7rocprim17ROCPRIM_400000_NS6detail17trampoline_kernelINS0_14default_configENS1_35radix_sort_onesweep_config_selectorIaNS0_10empty_typeEEEZZNS1_29radix_sort_onesweep_iterationIS3_Lb0EPaS8_PS5_S9_mNS0_19identity_decomposerENS1_16block_id_wrapperIjLb0EEEEE10hipError_tT1_PNSt15iterator_traitsISE_E10value_typeET2_T3_PNSF_ISK_E10value_typeET4_T5_PSP_SQ_PNS1_23onesweep_lookback_stateEbbT6_jjT7_P12ihipStream_tbENKUlT_T0_SE_SJ_E_clIS8_S8_S9_S9_EEDaSX_SY_SE_SJ_EUlSX_E_NS1_11comp_targetILNS1_3genE2ELNS1_11target_archE906ELNS1_3gpuE6ELNS1_3repE0EEENS1_47radix_sort_onesweep_sort_config_static_selectorELNS0_4arch9wavefront6targetE1EEEvSE_
	.globl	_ZN7rocprim17ROCPRIM_400000_NS6detail17trampoline_kernelINS0_14default_configENS1_35radix_sort_onesweep_config_selectorIaNS0_10empty_typeEEEZZNS1_29radix_sort_onesweep_iterationIS3_Lb0EPaS8_PS5_S9_mNS0_19identity_decomposerENS1_16block_id_wrapperIjLb0EEEEE10hipError_tT1_PNSt15iterator_traitsISE_E10value_typeET2_T3_PNSF_ISK_E10value_typeET4_T5_PSP_SQ_PNS1_23onesweep_lookback_stateEbbT6_jjT7_P12ihipStream_tbENKUlT_T0_SE_SJ_E_clIS8_S8_S9_S9_EEDaSX_SY_SE_SJ_EUlSX_E_NS1_11comp_targetILNS1_3genE2ELNS1_11target_archE906ELNS1_3gpuE6ELNS1_3repE0EEENS1_47radix_sort_onesweep_sort_config_static_selectorELNS0_4arch9wavefront6targetE1EEEvSE_
	.p2align	8
	.type	_ZN7rocprim17ROCPRIM_400000_NS6detail17trampoline_kernelINS0_14default_configENS1_35radix_sort_onesweep_config_selectorIaNS0_10empty_typeEEEZZNS1_29radix_sort_onesweep_iterationIS3_Lb0EPaS8_PS5_S9_mNS0_19identity_decomposerENS1_16block_id_wrapperIjLb0EEEEE10hipError_tT1_PNSt15iterator_traitsISE_E10value_typeET2_T3_PNSF_ISK_E10value_typeET4_T5_PSP_SQ_PNS1_23onesweep_lookback_stateEbbT6_jjT7_P12ihipStream_tbENKUlT_T0_SE_SJ_E_clIS8_S8_S9_S9_EEDaSX_SY_SE_SJ_EUlSX_E_NS1_11comp_targetILNS1_3genE2ELNS1_11target_archE906ELNS1_3gpuE6ELNS1_3repE0EEENS1_47radix_sort_onesweep_sort_config_static_selectorELNS0_4arch9wavefront6targetE1EEEvSE_,@function
_ZN7rocprim17ROCPRIM_400000_NS6detail17trampoline_kernelINS0_14default_configENS1_35radix_sort_onesweep_config_selectorIaNS0_10empty_typeEEEZZNS1_29radix_sort_onesweep_iterationIS3_Lb0EPaS8_PS5_S9_mNS0_19identity_decomposerENS1_16block_id_wrapperIjLb0EEEEE10hipError_tT1_PNSt15iterator_traitsISE_E10value_typeET2_T3_PNSF_ISK_E10value_typeET4_T5_PSP_SQ_PNS1_23onesweep_lookback_stateEbbT6_jjT7_P12ihipStream_tbENKUlT_T0_SE_SJ_E_clIS8_S8_S9_S9_EEDaSX_SY_SE_SJ_EUlSX_E_NS1_11comp_targetILNS1_3genE2ELNS1_11target_archE906ELNS1_3gpuE6ELNS1_3repE0EEENS1_47radix_sort_onesweep_sort_config_static_selectorELNS0_4arch9wavefront6targetE1EEEvSE_: ; @_ZN7rocprim17ROCPRIM_400000_NS6detail17trampoline_kernelINS0_14default_configENS1_35radix_sort_onesweep_config_selectorIaNS0_10empty_typeEEEZZNS1_29radix_sort_onesweep_iterationIS3_Lb0EPaS8_PS5_S9_mNS0_19identity_decomposerENS1_16block_id_wrapperIjLb0EEEEE10hipError_tT1_PNSt15iterator_traitsISE_E10value_typeET2_T3_PNSF_ISK_E10value_typeET4_T5_PSP_SQ_PNS1_23onesweep_lookback_stateEbbT6_jjT7_P12ihipStream_tbENKUlT_T0_SE_SJ_E_clIS8_S8_S9_S9_EEDaSX_SY_SE_SJ_EUlSX_E_NS1_11comp_targetILNS1_3genE2ELNS1_11target_archE906ELNS1_3gpuE6ELNS1_3repE0EEENS1_47radix_sort_onesweep_sort_config_static_selectorELNS0_4arch9wavefront6targetE1EEEvSE_
; %bb.0:
	.section	.rodata,"a",@progbits
	.p2align	6, 0x0
	.amdhsa_kernel _ZN7rocprim17ROCPRIM_400000_NS6detail17trampoline_kernelINS0_14default_configENS1_35radix_sort_onesweep_config_selectorIaNS0_10empty_typeEEEZZNS1_29radix_sort_onesweep_iterationIS3_Lb0EPaS8_PS5_S9_mNS0_19identity_decomposerENS1_16block_id_wrapperIjLb0EEEEE10hipError_tT1_PNSt15iterator_traitsISE_E10value_typeET2_T3_PNSF_ISK_E10value_typeET4_T5_PSP_SQ_PNS1_23onesweep_lookback_stateEbbT6_jjT7_P12ihipStream_tbENKUlT_T0_SE_SJ_E_clIS8_S8_S9_S9_EEDaSX_SY_SE_SJ_EUlSX_E_NS1_11comp_targetILNS1_3genE2ELNS1_11target_archE906ELNS1_3gpuE6ELNS1_3repE0EEENS1_47radix_sort_onesweep_sort_config_static_selectorELNS0_4arch9wavefront6targetE1EEEvSE_
		.amdhsa_group_segment_fixed_size 0
		.amdhsa_private_segment_fixed_size 0
		.amdhsa_kernarg_size 88
		.amdhsa_user_sgpr_count 6
		.amdhsa_user_sgpr_private_segment_buffer 1
		.amdhsa_user_sgpr_dispatch_ptr 0
		.amdhsa_user_sgpr_queue_ptr 0
		.amdhsa_user_sgpr_kernarg_segment_ptr 1
		.amdhsa_user_sgpr_dispatch_id 0
		.amdhsa_user_sgpr_flat_scratch_init 0
		.amdhsa_user_sgpr_kernarg_preload_length 0
		.amdhsa_user_sgpr_kernarg_preload_offset 0
		.amdhsa_user_sgpr_private_segment_size 0
		.amdhsa_uses_dynamic_stack 0
		.amdhsa_system_sgpr_private_segment_wavefront_offset 0
		.amdhsa_system_sgpr_workgroup_id_x 1
		.amdhsa_system_sgpr_workgroup_id_y 0
		.amdhsa_system_sgpr_workgroup_id_z 0
		.amdhsa_system_sgpr_workgroup_info 0
		.amdhsa_system_vgpr_workitem_id 0
		.amdhsa_next_free_vgpr 1
		.amdhsa_next_free_sgpr 0
		.amdhsa_accum_offset 4
		.amdhsa_reserve_vcc 0
		.amdhsa_reserve_flat_scratch 0
		.amdhsa_float_round_mode_32 0
		.amdhsa_float_round_mode_16_64 0
		.amdhsa_float_denorm_mode_32 3
		.amdhsa_float_denorm_mode_16_64 3
		.amdhsa_dx10_clamp 1
		.amdhsa_ieee_mode 1
		.amdhsa_fp16_overflow 0
		.amdhsa_tg_split 0
		.amdhsa_exception_fp_ieee_invalid_op 0
		.amdhsa_exception_fp_denorm_src 0
		.amdhsa_exception_fp_ieee_div_zero 0
		.amdhsa_exception_fp_ieee_overflow 0
		.amdhsa_exception_fp_ieee_underflow 0
		.amdhsa_exception_fp_ieee_inexact 0
		.amdhsa_exception_int_div_zero 0
	.end_amdhsa_kernel
	.section	.text._ZN7rocprim17ROCPRIM_400000_NS6detail17trampoline_kernelINS0_14default_configENS1_35radix_sort_onesweep_config_selectorIaNS0_10empty_typeEEEZZNS1_29radix_sort_onesweep_iterationIS3_Lb0EPaS8_PS5_S9_mNS0_19identity_decomposerENS1_16block_id_wrapperIjLb0EEEEE10hipError_tT1_PNSt15iterator_traitsISE_E10value_typeET2_T3_PNSF_ISK_E10value_typeET4_T5_PSP_SQ_PNS1_23onesweep_lookback_stateEbbT6_jjT7_P12ihipStream_tbENKUlT_T0_SE_SJ_E_clIS8_S8_S9_S9_EEDaSX_SY_SE_SJ_EUlSX_E_NS1_11comp_targetILNS1_3genE2ELNS1_11target_archE906ELNS1_3gpuE6ELNS1_3repE0EEENS1_47radix_sort_onesweep_sort_config_static_selectorELNS0_4arch9wavefront6targetE1EEEvSE_,"axG",@progbits,_ZN7rocprim17ROCPRIM_400000_NS6detail17trampoline_kernelINS0_14default_configENS1_35radix_sort_onesweep_config_selectorIaNS0_10empty_typeEEEZZNS1_29radix_sort_onesweep_iterationIS3_Lb0EPaS8_PS5_S9_mNS0_19identity_decomposerENS1_16block_id_wrapperIjLb0EEEEE10hipError_tT1_PNSt15iterator_traitsISE_E10value_typeET2_T3_PNSF_ISK_E10value_typeET4_T5_PSP_SQ_PNS1_23onesweep_lookback_stateEbbT6_jjT7_P12ihipStream_tbENKUlT_T0_SE_SJ_E_clIS8_S8_S9_S9_EEDaSX_SY_SE_SJ_EUlSX_E_NS1_11comp_targetILNS1_3genE2ELNS1_11target_archE906ELNS1_3gpuE6ELNS1_3repE0EEENS1_47radix_sort_onesweep_sort_config_static_selectorELNS0_4arch9wavefront6targetE1EEEvSE_,comdat
.Lfunc_end222:
	.size	_ZN7rocprim17ROCPRIM_400000_NS6detail17trampoline_kernelINS0_14default_configENS1_35radix_sort_onesweep_config_selectorIaNS0_10empty_typeEEEZZNS1_29radix_sort_onesweep_iterationIS3_Lb0EPaS8_PS5_S9_mNS0_19identity_decomposerENS1_16block_id_wrapperIjLb0EEEEE10hipError_tT1_PNSt15iterator_traitsISE_E10value_typeET2_T3_PNSF_ISK_E10value_typeET4_T5_PSP_SQ_PNS1_23onesweep_lookback_stateEbbT6_jjT7_P12ihipStream_tbENKUlT_T0_SE_SJ_E_clIS8_S8_S9_S9_EEDaSX_SY_SE_SJ_EUlSX_E_NS1_11comp_targetILNS1_3genE2ELNS1_11target_archE906ELNS1_3gpuE6ELNS1_3repE0EEENS1_47radix_sort_onesweep_sort_config_static_selectorELNS0_4arch9wavefront6targetE1EEEvSE_, .Lfunc_end222-_ZN7rocprim17ROCPRIM_400000_NS6detail17trampoline_kernelINS0_14default_configENS1_35radix_sort_onesweep_config_selectorIaNS0_10empty_typeEEEZZNS1_29radix_sort_onesweep_iterationIS3_Lb0EPaS8_PS5_S9_mNS0_19identity_decomposerENS1_16block_id_wrapperIjLb0EEEEE10hipError_tT1_PNSt15iterator_traitsISE_E10value_typeET2_T3_PNSF_ISK_E10value_typeET4_T5_PSP_SQ_PNS1_23onesweep_lookback_stateEbbT6_jjT7_P12ihipStream_tbENKUlT_T0_SE_SJ_E_clIS8_S8_S9_S9_EEDaSX_SY_SE_SJ_EUlSX_E_NS1_11comp_targetILNS1_3genE2ELNS1_11target_archE906ELNS1_3gpuE6ELNS1_3repE0EEENS1_47radix_sort_onesweep_sort_config_static_selectorELNS0_4arch9wavefront6targetE1EEEvSE_
                                        ; -- End function
	.section	.AMDGPU.csdata,"",@progbits
; Kernel info:
; codeLenInByte = 0
; NumSgprs: 4
; NumVgprs: 0
; NumAgprs: 0
; TotalNumVgprs: 0
; ScratchSize: 0
; MemoryBound: 0
; FloatMode: 240
; IeeeMode: 1
; LDSByteSize: 0 bytes/workgroup (compile time only)
; SGPRBlocks: 0
; VGPRBlocks: 0
; NumSGPRsForWavesPerEU: 4
; NumVGPRsForWavesPerEU: 1
; AccumOffset: 4
; Occupancy: 8
; WaveLimiterHint : 0
; COMPUTE_PGM_RSRC2:SCRATCH_EN: 0
; COMPUTE_PGM_RSRC2:USER_SGPR: 6
; COMPUTE_PGM_RSRC2:TRAP_HANDLER: 0
; COMPUTE_PGM_RSRC2:TGID_X_EN: 1
; COMPUTE_PGM_RSRC2:TGID_Y_EN: 0
; COMPUTE_PGM_RSRC2:TGID_Z_EN: 0
; COMPUTE_PGM_RSRC2:TIDIG_COMP_CNT: 0
; COMPUTE_PGM_RSRC3_GFX90A:ACCUM_OFFSET: 0
; COMPUTE_PGM_RSRC3_GFX90A:TG_SPLIT: 0
	.section	.text._ZN7rocprim17ROCPRIM_400000_NS6detail17trampoline_kernelINS0_14default_configENS1_35radix_sort_onesweep_config_selectorIaNS0_10empty_typeEEEZZNS1_29radix_sort_onesweep_iterationIS3_Lb0EPaS8_PS5_S9_mNS0_19identity_decomposerENS1_16block_id_wrapperIjLb0EEEEE10hipError_tT1_PNSt15iterator_traitsISE_E10value_typeET2_T3_PNSF_ISK_E10value_typeET4_T5_PSP_SQ_PNS1_23onesweep_lookback_stateEbbT6_jjT7_P12ihipStream_tbENKUlT_T0_SE_SJ_E_clIS8_S8_S9_S9_EEDaSX_SY_SE_SJ_EUlSX_E_NS1_11comp_targetILNS1_3genE4ELNS1_11target_archE910ELNS1_3gpuE8ELNS1_3repE0EEENS1_47radix_sort_onesweep_sort_config_static_selectorELNS0_4arch9wavefront6targetE1EEEvSE_,"axG",@progbits,_ZN7rocprim17ROCPRIM_400000_NS6detail17trampoline_kernelINS0_14default_configENS1_35radix_sort_onesweep_config_selectorIaNS0_10empty_typeEEEZZNS1_29radix_sort_onesweep_iterationIS3_Lb0EPaS8_PS5_S9_mNS0_19identity_decomposerENS1_16block_id_wrapperIjLb0EEEEE10hipError_tT1_PNSt15iterator_traitsISE_E10value_typeET2_T3_PNSF_ISK_E10value_typeET4_T5_PSP_SQ_PNS1_23onesweep_lookback_stateEbbT6_jjT7_P12ihipStream_tbENKUlT_T0_SE_SJ_E_clIS8_S8_S9_S9_EEDaSX_SY_SE_SJ_EUlSX_E_NS1_11comp_targetILNS1_3genE4ELNS1_11target_archE910ELNS1_3gpuE8ELNS1_3repE0EEENS1_47radix_sort_onesweep_sort_config_static_selectorELNS0_4arch9wavefront6targetE1EEEvSE_,comdat
	.protected	_ZN7rocprim17ROCPRIM_400000_NS6detail17trampoline_kernelINS0_14default_configENS1_35radix_sort_onesweep_config_selectorIaNS0_10empty_typeEEEZZNS1_29radix_sort_onesweep_iterationIS3_Lb0EPaS8_PS5_S9_mNS0_19identity_decomposerENS1_16block_id_wrapperIjLb0EEEEE10hipError_tT1_PNSt15iterator_traitsISE_E10value_typeET2_T3_PNSF_ISK_E10value_typeET4_T5_PSP_SQ_PNS1_23onesweep_lookback_stateEbbT6_jjT7_P12ihipStream_tbENKUlT_T0_SE_SJ_E_clIS8_S8_S9_S9_EEDaSX_SY_SE_SJ_EUlSX_E_NS1_11comp_targetILNS1_3genE4ELNS1_11target_archE910ELNS1_3gpuE8ELNS1_3repE0EEENS1_47radix_sort_onesweep_sort_config_static_selectorELNS0_4arch9wavefront6targetE1EEEvSE_ ; -- Begin function _ZN7rocprim17ROCPRIM_400000_NS6detail17trampoline_kernelINS0_14default_configENS1_35radix_sort_onesweep_config_selectorIaNS0_10empty_typeEEEZZNS1_29radix_sort_onesweep_iterationIS3_Lb0EPaS8_PS5_S9_mNS0_19identity_decomposerENS1_16block_id_wrapperIjLb0EEEEE10hipError_tT1_PNSt15iterator_traitsISE_E10value_typeET2_T3_PNSF_ISK_E10value_typeET4_T5_PSP_SQ_PNS1_23onesweep_lookback_stateEbbT6_jjT7_P12ihipStream_tbENKUlT_T0_SE_SJ_E_clIS8_S8_S9_S9_EEDaSX_SY_SE_SJ_EUlSX_E_NS1_11comp_targetILNS1_3genE4ELNS1_11target_archE910ELNS1_3gpuE8ELNS1_3repE0EEENS1_47radix_sort_onesweep_sort_config_static_selectorELNS0_4arch9wavefront6targetE1EEEvSE_
	.globl	_ZN7rocprim17ROCPRIM_400000_NS6detail17trampoline_kernelINS0_14default_configENS1_35radix_sort_onesweep_config_selectorIaNS0_10empty_typeEEEZZNS1_29radix_sort_onesweep_iterationIS3_Lb0EPaS8_PS5_S9_mNS0_19identity_decomposerENS1_16block_id_wrapperIjLb0EEEEE10hipError_tT1_PNSt15iterator_traitsISE_E10value_typeET2_T3_PNSF_ISK_E10value_typeET4_T5_PSP_SQ_PNS1_23onesweep_lookback_stateEbbT6_jjT7_P12ihipStream_tbENKUlT_T0_SE_SJ_E_clIS8_S8_S9_S9_EEDaSX_SY_SE_SJ_EUlSX_E_NS1_11comp_targetILNS1_3genE4ELNS1_11target_archE910ELNS1_3gpuE8ELNS1_3repE0EEENS1_47radix_sort_onesweep_sort_config_static_selectorELNS0_4arch9wavefront6targetE1EEEvSE_
	.p2align	8
	.type	_ZN7rocprim17ROCPRIM_400000_NS6detail17trampoline_kernelINS0_14default_configENS1_35radix_sort_onesweep_config_selectorIaNS0_10empty_typeEEEZZNS1_29radix_sort_onesweep_iterationIS3_Lb0EPaS8_PS5_S9_mNS0_19identity_decomposerENS1_16block_id_wrapperIjLb0EEEEE10hipError_tT1_PNSt15iterator_traitsISE_E10value_typeET2_T3_PNSF_ISK_E10value_typeET4_T5_PSP_SQ_PNS1_23onesweep_lookback_stateEbbT6_jjT7_P12ihipStream_tbENKUlT_T0_SE_SJ_E_clIS8_S8_S9_S9_EEDaSX_SY_SE_SJ_EUlSX_E_NS1_11comp_targetILNS1_3genE4ELNS1_11target_archE910ELNS1_3gpuE8ELNS1_3repE0EEENS1_47radix_sort_onesweep_sort_config_static_selectorELNS0_4arch9wavefront6targetE1EEEvSE_,@function
_ZN7rocprim17ROCPRIM_400000_NS6detail17trampoline_kernelINS0_14default_configENS1_35radix_sort_onesweep_config_selectorIaNS0_10empty_typeEEEZZNS1_29radix_sort_onesweep_iterationIS3_Lb0EPaS8_PS5_S9_mNS0_19identity_decomposerENS1_16block_id_wrapperIjLb0EEEEE10hipError_tT1_PNSt15iterator_traitsISE_E10value_typeET2_T3_PNSF_ISK_E10value_typeET4_T5_PSP_SQ_PNS1_23onesweep_lookback_stateEbbT6_jjT7_P12ihipStream_tbENKUlT_T0_SE_SJ_E_clIS8_S8_S9_S9_EEDaSX_SY_SE_SJ_EUlSX_E_NS1_11comp_targetILNS1_3genE4ELNS1_11target_archE910ELNS1_3gpuE8ELNS1_3repE0EEENS1_47radix_sort_onesweep_sort_config_static_selectorELNS0_4arch9wavefront6targetE1EEEvSE_: ; @_ZN7rocprim17ROCPRIM_400000_NS6detail17trampoline_kernelINS0_14default_configENS1_35radix_sort_onesweep_config_selectorIaNS0_10empty_typeEEEZZNS1_29radix_sort_onesweep_iterationIS3_Lb0EPaS8_PS5_S9_mNS0_19identity_decomposerENS1_16block_id_wrapperIjLb0EEEEE10hipError_tT1_PNSt15iterator_traitsISE_E10value_typeET2_T3_PNSF_ISK_E10value_typeET4_T5_PSP_SQ_PNS1_23onesweep_lookback_stateEbbT6_jjT7_P12ihipStream_tbENKUlT_T0_SE_SJ_E_clIS8_S8_S9_S9_EEDaSX_SY_SE_SJ_EUlSX_E_NS1_11comp_targetILNS1_3genE4ELNS1_11target_archE910ELNS1_3gpuE8ELNS1_3repE0EEENS1_47radix_sort_onesweep_sort_config_static_selectorELNS0_4arch9wavefront6targetE1EEEvSE_
; %bb.0:
	s_load_dwordx4 s[16:19], s[4:5], 0x44
	s_load_dwordx2 s[20:21], s[4:5], 0x38
	s_load_dwordx4 s[12:15], s[4:5], 0x0
	s_load_dwordx4 s[8:11], s[4:5], 0x28
	s_mul_i32 s7, s6, 0x2c00
	s_waitcnt lgkmcnt(0)
	s_cmp_ge_u32 s6, s18
	v_mul_u32_u24_e32 v10, 22, v0
	s_cbranch_scc0 .LBB223_120
; %bb.1:
	s_load_dword s26, s[4:5], 0x20
	s_mul_i32 s0, s18, 0xffffd400
	v_mov_b32_e32 v4, 0x7f
	s_waitcnt lgkmcnt(0)
	s_add_i32 s26, s26, s0
	s_add_u32 s0, s12, s7
	s_addc_u32 s1, s13, 0
	v_mov_b32_e32 v1, s1
	v_add_co_u32_e32 v2, vcc, s0, v10
	v_addc_co_u32_e32 v3, vcc, 0, v1, vcc
	v_cmp_gt_u32_e32 vcc, s26, v10
	v_mov_b32_e32 v1, 0x7f
	s_and_saveexec_b64 s[0:1], vcc
	s_cbranch_execz .LBB223_3
; %bb.2:
	global_load_ubyte v1, v[2:3], off
.LBB223_3:
	s_or_b64 exec, exec, s[0:1]
	v_or_b32_e32 v5, 1, v10
	v_cmp_gt_u32_e32 vcc, s26, v5
	s_and_saveexec_b64 s[0:1], vcc
	s_cbranch_execz .LBB223_5
; %bb.4:
	global_load_ubyte v4, v[2:3], off offset:1
.LBB223_5:
	s_or_b64 exec, exec, s[0:1]
	v_add_u32_e32 v5, 2, v10
	v_cmp_gt_u32_e32 vcc, s26, v5
	v_mov_b32_e32 v6, 0x7f
	v_mov_b32_e32 v5, 0x7f
	s_and_saveexec_b64 s[0:1], vcc
	s_cbranch_execz .LBB223_7
; %bb.6:
	global_load_ubyte v5, v[2:3], off offset:2
.LBB223_7:
	s_or_b64 exec, exec, s[0:1]
	v_add_u32_e32 v7, 3, v10
	v_cmp_gt_u32_e32 vcc, s26, v7
	s_and_saveexec_b64 s[0:1], vcc
	s_cbranch_execz .LBB223_9
; %bb.8:
	global_load_ubyte v6, v[2:3], off offset:3
.LBB223_9:
	s_or_b64 exec, exec, s[0:1]
	v_add_u32_e32 v7, 4, v10
	v_cmp_gt_u32_e32 vcc, s26, v7
	v_mov_b32_e32 v11, 0x7f
	v_mov_b32_e32 v8, 0x7f
	s_and_saveexec_b64 s[0:1], vcc
	s_cbranch_execz .LBB223_11
; %bb.10:
	global_load_ubyte v8, v[2:3], off offset:4
.LBB223_11:
	s_or_b64 exec, exec, s[0:1]
	v_add_u32_e32 v7, 5, v10
	;; [unrolled: 18-line block ×10, first 2 shown]
	v_cmp_gt_u32_e32 vcc, s26, v7
	s_and_saveexec_b64 s[0:1], vcc
	s_cbranch_execz .LBB223_45
; %bb.44:
	global_load_ubyte v40, v[2:3], off offset:21
.LBB223_45:
	s_or_b64 exec, exec, s[0:1]
	v_lshlrev_b32_e32 v2, 2, v0
	v_mov_b32_e32 v3, 0
	s_mov_b64 s[0:1], -1
	ds_write2st64_b32 v2, v3, v3 offset1:8
	ds_write2st64_b32 v2, v3, v3 offset0:16 offset1:24
	s_and_saveexec_b64 s[2:3], s[0:1]
	s_cbranch_execz .LBB223_47
; %bb.46:
	ds_write_b32 v2, v3 offset:8192
.LBB223_47:
	s_or_b64 exec, exec, s[2:3]
	s_and_saveexec_b64 s[2:3], s[0:1]
	s_cbranch_execz .LBB223_49
; %bb.48:
	v_mov_b32_e32 v3, 0
	ds_write_b32 v2, v3 offset:10240
.LBB223_49:
	s_or_b64 exec, exec, s[2:3]
	v_cmp_gt_u32_e64 s[0:1], 7, 6
	v_cmp_gt_u32_e64 s[18:19], 7, 5
	s_and_saveexec_b64 s[2:3], s[18:19]
	s_cbranch_execz .LBB223_51
; %bb.50:
	v_mov_b32_e32 v3, 0
	ds_write_b32 v2, v3 offset:12288
.LBB223_51:
	s_or_b64 exec, exec, s[2:3]
	s_and_saveexec_b64 s[2:3], s[0:1]
	s_cbranch_execz .LBB223_53
; %bb.52:
	v_mov_b32_e32 v3, 0
	ds_write_b32 v2, v3 offset:14336
.LBB223_53:
	s_or_b64 exec, exec, s[2:3]
	s_waitcnt vmcnt(0)
	v_xor_b32_e32 v1, 0xffffff80, v1
	s_lshl_b32 s0, -1, s17
	s_not_b32 s27, s0
	v_lshrrev_b32_sdwa v2, s16, v1 dst_sel:DWORD dst_unused:UNUSED_PAD src0_sel:DWORD src1_sel:BYTE_0
	v_and_b32_e32 v2, s27, v2
	v_lshrrev_b32_e32 v3, 3, v2
	v_lshlrev_b32_e32 v2, 9, v2
	s_movk_i32 s0, 0xe00
	v_and_or_b32 v2, v2, s0, v0
	v_lshlrev_b32_e32 v2, 1, v2
	v_add_lshl_u32 v2, v2, v3, 1
	ds_read_u16 v7, v2
	v_xor_b32_e32 v4, 0xffffff80, v4
	v_xor_b32_e32 v5, 0xffffff80, v5
	v_xor_b32_e32 v6, 0xffffff80, v6
	v_xor_b32_e32 v8, 0xffffff80, v8
	s_waitcnt lgkmcnt(0)
	v_add_u16_e32 v3, 1, v7
	ds_write_b16 v2, v3
	v_lshrrev_b32_sdwa v3, s16, v4 dst_sel:DWORD dst_unused:UNUSED_PAD src0_sel:DWORD src1_sel:BYTE_0
	v_and_b32_e32 v3, s27, v3
	v_lshrrev_b32_e32 v9, 3, v3
	v_lshlrev_b32_e32 v3, 9, v3
	v_and_or_b32 v3, v3, s0, v0
	v_lshlrev_b32_e32 v3, 1, v3
	v_add_lshl_u32 v3, v3, v9, 1
	ds_read_u16 v9, v3
	v_xor_b32_e32 v14, 0xffffff80, v14
	v_xor_b32_e32 v16, 0xffffff80, v16
	v_xor_b32_e32 v18, 0xffffff80, v18
	v_xor_b32_e32 v20, 0xffffff80, v20
	s_waitcnt lgkmcnt(0)
	v_add_u16_e32 v12, 1, v9
	ds_write_b16 v3, v12
	v_lshrrev_b32_sdwa v12, s16, v5 dst_sel:DWORD dst_unused:UNUSED_PAD src0_sel:DWORD src1_sel:BYTE_0
	v_and_b32_e32 v12, s27, v12
	v_lshrrev_b32_e32 v13, 3, v12
	v_lshlrev_b32_e32 v12, 9, v12
	;; [unrolled: 15-line block ×5, first 2 shown]
	v_and_or_b32 v11, v11, s0, v0
	v_lshlrev_b32_e32 v11, 1, v11
	v_add_lshl_u32 v11, v11, v19, 1
	ds_read_u16 v19, v11
	v_xor_b32_e32 v40, 0xffffff80, v40
	s_waitcnt lgkmcnt(0)
	v_add_u16_e32 v21, 1, v19
	ds_write_b16 v11, v21
	v_lshrrev_b32_sdwa v21, s16, v14 dst_sel:DWORD dst_unused:UNUSED_PAD src0_sel:DWORD src1_sel:BYTE_0
	v_and_b32_e32 v21, s27, v21
	v_lshrrev_b32_e32 v23, 3, v21
	v_lshlrev_b32_e32 v21, 9, v21
	v_and_or_b32 v21, v21, s0, v0
	v_lshlrev_b32_e32 v21, 1, v21
	v_add_lshl_u32 v43, v21, v23, 1
	ds_read_u16 v21, v43
	s_waitcnt lgkmcnt(0)
	v_add_u16_e32 v23, 1, v21
	ds_write_b16 v43, v23
	v_lshrrev_b32_sdwa v23, s16, v16 dst_sel:DWORD dst_unused:UNUSED_PAD src0_sel:DWORD src1_sel:BYTE_0
	v_and_b32_e32 v23, s27, v23
	v_lshrrev_b32_e32 v25, 3, v23
	v_lshlrev_b32_e32 v23, 9, v23
	v_and_or_b32 v23, v23, s0, v0
	v_lshlrev_b32_e32 v23, 1, v23
	v_add_lshl_u32 v46, v23, v25, 1
	ds_read_u16 v23, v46
	;; [unrolled: 11-line block ×16, first 2 shown]
	s_waitcnt lgkmcnt(0)
	v_add_u16_e32 v68, 1, v59
	ds_write_b16 v67, v68
	v_lshlrev_b32_e32 v68, 5, v0
	s_waitcnt lgkmcnt(0)
	s_barrier
	ds_read2_b64 v[70:73], v68 offset1:1
	ds_read2_b64 v[74:77], v68 offset0:2 offset1:3
	s_waitcnt lgkmcnt(1)
	v_add_u32_e32 v69, v71, v70
	v_add3_u32 v69, v69, v72, v73
	s_waitcnt lgkmcnt(0)
	v_add3_u32 v69, v69, v74, v75
	v_add3_u32 v70, v69, v76, v77
	v_mbcnt_lo_u32_b32 v69, -1, 0
	v_mbcnt_hi_u32_b32 v69, -1, v69
	v_and_b32_e32 v71, 15, v69
	v_mov_b32_dpp v72, v70 row_shr:1 row_mask:0xf bank_mask:0xf
	v_cmp_ne_u32_e32 vcc, 0, v71
	v_cndmask_b32_e32 v72, 0, v72, vcc
	v_add_u32_e32 v70, v72, v70
	v_cmp_lt_u32_e32 vcc, 1, v71
	s_nop 0
	v_mov_b32_dpp v72, v70 row_shr:2 row_mask:0xf bank_mask:0xf
	v_cndmask_b32_e32 v72, 0, v72, vcc
	v_add_u32_e32 v70, v70, v72
	v_cmp_lt_u32_e32 vcc, 3, v71
	s_nop 0
	v_mov_b32_dpp v72, v70 row_shr:4 row_mask:0xf bank_mask:0xf
	;; [unrolled: 5-line block ×3, first 2 shown]
	v_cndmask_b32_e32 v71, 0, v72, vcc
	v_add_u32_e32 v70, v70, v71
	v_bfe_i32 v72, v69, 4, 1
	v_cmp_lt_u32_e32 vcc, 31, v69
	v_mov_b32_dpp v71, v70 row_bcast:15 row_mask:0xf bank_mask:0xf
	v_and_b32_e32 v71, v72, v71
	v_add_u32_e32 v70, v70, v71
	v_or_b32_e32 v72, 63, v0
	s_nop 0
	v_mov_b32_dpp v71, v70 row_bcast:31 row_mask:0xf bank_mask:0xf
	v_cndmask_b32_e32 v71, 0, v71, vcc
	v_add_u32_e32 v70, v70, v71
	v_lshrrev_b32_e32 v71, 6, v0
	v_cmp_eq_u32_e32 vcc, v72, v0
	v_lshlrev_b32_e32 v71, 2, v71
	s_and_saveexec_b64 s[0:1], vcc
	s_cbranch_execz .LBB223_55
; %bb.54:
	ds_write_b32 v71, v70 offset:16384
.LBB223_55:
	s_or_b64 exec, exec, s[0:1]
	v_cmp_gt_u32_e32 vcc, 8, v0
	s_waitcnt lgkmcnt(0)
	s_barrier
	s_and_saveexec_b64 s[0:1], vcc
	s_cbranch_execz .LBB223_57
; %bb.56:
	s_movk_i32 s2, 0xffe4
	v_mad_i32_i24 v72, v0, s2, v68
	ds_read_b32 v73, v72 offset:16384
	v_and_b32_e32 v74, 7, v69
	v_cmp_ne_u32_e32 vcc, 0, v74
	s_waitcnt lgkmcnt(0)
	v_mov_b32_dpp v75, v73 row_shr:1 row_mask:0xf bank_mask:0xf
	v_cndmask_b32_e32 v75, 0, v75, vcc
	v_add_u32_e32 v73, v75, v73
	v_cmp_lt_u32_e32 vcc, 1, v74
	s_nop 0
	v_mov_b32_dpp v75, v73 row_shr:2 row_mask:0xf bank_mask:0xf
	v_cndmask_b32_e32 v75, 0, v75, vcc
	v_add_u32_e32 v73, v73, v75
	v_cmp_lt_u32_e32 vcc, 3, v74
	s_nop 0
	v_mov_b32_dpp v75, v73 row_shr:4 row_mask:0xf bank_mask:0xf
	v_cndmask_b32_e32 v74, 0, v75, vcc
	v_add_u32_e32 v73, v73, v74
	ds_write_b32 v72, v73 offset:16384
.LBB223_57:
	s_or_b64 exec, exec, s[0:1]
	v_cmp_lt_u32_e32 vcc, 63, v0
	v_mov_b32_e32 v73, 0
	v_mov_b32_e32 v72, 0
	s_waitcnt lgkmcnt(0)
	s_barrier
	s_and_saveexec_b64 s[0:1], vcc
	s_cbranch_execz .LBB223_59
; %bb.58:
	ds_read_b32 v72, v71 offset:16380
.LBB223_59:
	s_or_b64 exec, exec, s[0:1]
	v_add_u32_e32 v71, -1, v69
	v_and_b32_e32 v74, 64, v69
	v_cmp_lt_i32_e32 vcc, v71, v74
	v_cndmask_b32_e32 v71, v71, v69, vcc
	s_waitcnt lgkmcnt(0)
	v_add_u32_e32 v70, v72, v70
	v_lshlrev_b32_e32 v71, 2, v71
	ds_bpermute_b32 v70, v71, v70
	ds_read_b32 v71, v73 offset:16412
	ds_read2_b64 v[74:77], v68 offset1:1
	v_cmp_eq_u32_e32 vcc, 0, v69
	ds_read_b32 v78, v68 offset:24
	s_waitcnt lgkmcnt(3)
	v_cndmask_b32_e32 v69, v70, v72, vcc
	ds_read_b64 v[72:73], v68 offset:16
	s_waitcnt lgkmcnt(3)
	v_lshl_add_u32 v70, v71, 16, v69
	s_waitcnt lgkmcnt(2)
	v_add_u32_e32 v71, v70, v74
	v_add_u32_e32 v74, v75, v71
	v_add_u32_e32 v75, v76, v74
	ds_write2_b64 v68, v[70:71], v[74:75] offset1:1
	v_add_u32_e32 v70, v77, v75
	s_waitcnt lgkmcnt(1)
	v_add_u32_e32 v71, v72, v70
	v_add_u32_e32 v72, v73, v71
	;; [unrolled: 1-line block ×3, first 2 shown]
	ds_write2_b64 v68, v[70:71], v[72:73] offset0:2 offset1:3
	s_waitcnt lgkmcnt(0)
	s_barrier
	ds_read_u16 v68, v2
	ds_read_u16 v69, v3
	;; [unrolled: 1-line block ×22, first 2 shown]
	v_cmp_gt_u32_e32 vcc, 16, v0
	v_pk_mov_b32 v[2:3], 0, 0
                                        ; implicit-def: $vgpr11
	s_and_saveexec_b64 s[2:3], vcc
	s_cbranch_execz .LBB223_63
; %bb.60:
	v_lshrrev_b32_e32 v2, 3, v0
	v_lshlrev_b32_e32 v3, 10, v0
	s_movk_i32 s22, 0x1c00
	v_and_or_b32 v2, v3, s22, v2
	v_lshlrev_b32_e32 v2, 1, v2
	ds_read_u16 v2, v2
	v_add_u32_e32 v11, 1, v0
	v_cmp_ne_u32_e64 s[0:1], 16, v11
	v_mov_b32_e32 v3, 0x2c00
	s_and_saveexec_b64 s[18:19], s[0:1]
	s_cbranch_execz .LBB223_62
; %bb.61:
	v_lshlrev_b32_e32 v3, 10, v11
	v_lshrrev_b32_e32 v11, 3, v11
	v_and_or_b32 v3, v3, s22, v11
	v_lshlrev_b32_e32 v3, 1, v3
	ds_read_u16 v3, v3
.LBB223_62:
	s_or_b64 exec, exec, s[18:19]
	s_waitcnt lgkmcnt(0)
	v_and_b32_e32 v2, 0xffff, v2
	s_mov_b32 s0, 0
	v_sub_u32_e32 v11, v3, v2
	v_mov_b32_e32 v3, s0
.LBB223_63:
	s_or_b64 exec, exec, s[2:3]
	s_waitcnt lgkmcnt(14)
	v_add_u32_sdwa v7, v68, v7 dst_sel:DWORD dst_unused:UNUSED_PAD src0_sel:WORD_0 src1_sel:WORD_0
	v_add_u32_sdwa v9, v69, v9 dst_sel:DWORD dst_unused:UNUSED_PAD src0_sel:WORD_0 src1_sel:WORD_0
	;; [unrolled: 1-line block ×8, first 2 shown]
	s_waitcnt lgkmcnt(13)
	v_add_u32_sdwa v25, v48, v25 dst_sel:DWORD dst_unused:UNUSED_PAD src0_sel:WORD_0 src1_sel:WORD_0
	s_waitcnt lgkmcnt(12)
	v_add_u32_sdwa v27, v50, v27 dst_sel:DWORD dst_unused:UNUSED_PAD src0_sel:WORD_0 src1_sel:WORD_0
	;; [unrolled: 2-line block ×14, first 2 shown]
	s_barrier
	ds_write_b8 v7, v1 offset:128
	ds_write_b8 v9, v4 offset:128
	;; [unrolled: 1-line block ×22, first 2 shown]
	s_and_saveexec_b64 s[2:3], vcc
	s_cbranch_execz .LBB223_73
; %bb.64:
	v_lshl_or_b32 v4, s6, 4, v0
	v_mov_b32_e32 v5, 0
	v_lshlrev_b64 v[6:7], 2, v[4:5]
	v_mov_b32_e32 v1, s21
	v_add_co_u32_e64 v6, s[0:1], s20, v6
	v_addc_co_u32_e64 v7, s[0:1], v1, v7, s[0:1]
	v_or_b32_e32 v4, 2.0, v11
	s_mov_b64 s[18:19], 0
	s_brev_b32 s28, 1
	s_mov_b32 s29, s6
	v_mov_b32_e32 v12, 0
	global_store_dword v[6:7], v4, off
                                        ; implicit-def: $sgpr0_sgpr1
	s_branch .LBB223_66
.LBB223_65:                             ;   in Loop: Header=BB223_66 Depth=1
	s_or_b64 exec, exec, s[22:23]
	v_and_b32_e32 v8, 0x3fffffff, v13
	v_add_u32_e32 v12, v8, v12
	v_cmp_eq_u32_e64 s[0:1], s28, v4
	s_and_b64 s[22:23], exec, s[0:1]
	s_or_b64 s[18:19], s[22:23], s[18:19]
	s_andn2_b64 exec, exec, s[18:19]
	s_cbranch_execz .LBB223_72
.LBB223_66:                             ; =>This Loop Header: Depth=1
                                        ;     Child Loop BB223_69 Depth 2
	s_or_b64 s[0:1], s[0:1], exec
	s_cmp_eq_u32 s29, 0
	s_cbranch_scc1 .LBB223_71
; %bb.67:                               ;   in Loop: Header=BB223_66 Depth=1
	s_add_i32 s29, s29, -1
	v_lshl_or_b32 v4, s29, 4, v0
	v_lshlrev_b64 v[8:9], 2, v[4:5]
	v_add_co_u32_e64 v8, s[0:1], s20, v8
	v_addc_co_u32_e64 v9, s[0:1], v1, v9, s[0:1]
	global_load_dword v13, v[8:9], off glc
	s_waitcnt vmcnt(0)
	v_and_b32_e32 v4, -2.0, v13
	v_cmp_eq_u32_e64 s[0:1], 0, v4
	s_and_saveexec_b64 s[22:23], s[0:1]
	s_cbranch_execz .LBB223_65
; %bb.68:                               ;   in Loop: Header=BB223_66 Depth=1
	s_mov_b64 s[24:25], 0
.LBB223_69:                             ;   Parent Loop BB223_66 Depth=1
                                        ; =>  This Inner Loop Header: Depth=2
	global_load_dword v13, v[8:9], off glc
	s_waitcnt vmcnt(0)
	v_and_b32_e32 v4, -2.0, v13
	v_cmp_ne_u32_e64 s[0:1], 0, v4
	s_or_b64 s[24:25], s[0:1], s[24:25]
	s_andn2_b64 exec, exec, s[24:25]
	s_cbranch_execnz .LBB223_69
; %bb.70:                               ;   in Loop: Header=BB223_66 Depth=1
	s_or_b64 exec, exec, s[24:25]
	s_branch .LBB223_65
.LBB223_71:                             ;   in Loop: Header=BB223_66 Depth=1
                                        ; implicit-def: $sgpr29
	s_and_b64 s[22:23], exec, s[0:1]
	s_or_b64 s[18:19], s[22:23], s[18:19]
	s_andn2_b64 exec, exec, s[18:19]
	s_cbranch_execnz .LBB223_66
.LBB223_72:
	s_or_b64 exec, exec, s[18:19]
	v_add_u32_e32 v1, v12, v11
	v_or_b32_e32 v1, 0x80000000, v1
	global_store_dword v[6:7], v1, off
	v_lshlrev_b32_e32 v1, 3, v0
	global_load_dwordx2 v[4:5], v1, s[8:9]
	v_sub_co_u32_e64 v6, s[0:1], v12, v2
	v_subb_co_u32_e64 v7, s[0:1], 0, v3, s[0:1]
	s_waitcnt vmcnt(0)
	v_add_co_u32_e64 v4, s[0:1], v6, v4
	v_addc_co_u32_e64 v5, s[0:1], v7, v5, s[0:1]
	ds_write_b64 v1, v[4:5]
.LBB223_73:
	s_or_b64 exec, exec, s[2:3]
	v_cmp_gt_u32_e64 s[0:1], s26, v0
	s_waitcnt lgkmcnt(0)
	s_barrier
	s_and_saveexec_b64 s[2:3], s[0:1]
	s_cbranch_execz .LBB223_75
; %bb.74:
	ds_read_u8 v1, v0 offset:128
	v_mov_b32_e32 v6, s15
	s_waitcnt lgkmcnt(0)
	v_lshrrev_b32_sdwa v4, s16, v1 dst_sel:DWORD dst_unused:UNUSED_PAD src0_sel:DWORD src1_sel:BYTE_0
	v_and_b32_e32 v4, s27, v4
	v_lshlrev_b32_e32 v4, 3, v4
	ds_read_b64 v[4:5], v4
	v_xor_b32_e32 v1, 0x80, v1
	s_waitcnt lgkmcnt(0)
	v_add_co_u32_e64 v4, s[0:1], s14, v4
	v_addc_co_u32_e64 v5, s[0:1], v6, v5, s[0:1]
	v_add_co_u32_e64 v4, s[0:1], v4, v0
	v_addc_co_u32_e64 v5, s[0:1], 0, v5, s[0:1]
	global_store_byte v[4:5], v1, off
.LBB223_75:
	s_or_b64 exec, exec, s[2:3]
	v_or_b32_e32 v1, 0x200, v0
	v_cmp_gt_u32_e64 s[0:1], s26, v1
	s_and_saveexec_b64 s[2:3], s[0:1]
	s_cbranch_execz .LBB223_77
; %bb.76:
	ds_read_u8 v1, v0 offset:640
	v_mov_b32_e32 v6, s15
	s_waitcnt lgkmcnt(0)
	v_lshrrev_b32_sdwa v4, s16, v1 dst_sel:DWORD dst_unused:UNUSED_PAD src0_sel:DWORD src1_sel:BYTE_0
	v_and_b32_e32 v4, s27, v4
	v_lshlrev_b32_e32 v4, 3, v4
	ds_read_b64 v[4:5], v4
	v_xor_b32_e32 v1, 0x80, v1
	s_waitcnt lgkmcnt(0)
	v_add_co_u32_e64 v4, s[0:1], s14, v4
	v_addc_co_u32_e64 v5, s[0:1], v6, v5, s[0:1]
	v_add_co_u32_e64 v4, s[0:1], v4, v0
	v_addc_co_u32_e64 v5, s[0:1], 0, v5, s[0:1]
	global_store_byte v[4:5], v1, off offset:512
.LBB223_77:
	s_or_b64 exec, exec, s[2:3]
	v_or_b32_e32 v1, 0x400, v0
	v_cmp_gt_u32_e64 s[0:1], s26, v1
	s_and_saveexec_b64 s[2:3], s[0:1]
	s_cbranch_execz .LBB223_79
; %bb.78:
	ds_read_u8 v1, v0 offset:1152
	v_mov_b32_e32 v6, s15
	s_waitcnt lgkmcnt(0)
	v_lshrrev_b32_sdwa v4, s16, v1 dst_sel:DWORD dst_unused:UNUSED_PAD src0_sel:DWORD src1_sel:BYTE_0
	v_and_b32_e32 v4, s27, v4
	v_lshlrev_b32_e32 v4, 3, v4
	ds_read_b64 v[4:5], v4
	v_xor_b32_e32 v1, 0x80, v1
	s_waitcnt lgkmcnt(0)
	v_add_co_u32_e64 v4, s[0:1], s14, v4
	v_addc_co_u32_e64 v5, s[0:1], v6, v5, s[0:1]
	v_add_co_u32_e64 v4, s[0:1], v4, v0
	v_addc_co_u32_e64 v5, s[0:1], 0, v5, s[0:1]
	global_store_byte v[4:5], v1, off offset:1024
.LBB223_79:
	;; [unrolled: 21-line block ×7, first 2 shown]
	s_or_b64 exec, exec, s[2:3]
	v_or_b32_e32 v1, 0x1000, v0
	v_cmp_gt_u32_e64 s[0:1], s26, v1
	s_and_saveexec_b64 s[2:3], s[0:1]
	s_cbranch_execz .LBB223_91
; %bb.90:
	ds_read_u8 v6, v0 offset:4224
	v_mov_b32_e32 v7, s15
	s_waitcnt lgkmcnt(0)
	v_lshrrev_b32_sdwa v4, s16, v6 dst_sel:DWORD dst_unused:UNUSED_PAD src0_sel:DWORD src1_sel:BYTE_0
	v_and_b32_e32 v4, s27, v4
	v_lshlrev_b32_e32 v4, 3, v4
	ds_read_b64 v[4:5], v4
	v_xor_b32_e32 v6, 0x80, v6
	s_waitcnt lgkmcnt(0)
	v_add_co_u32_e64 v4, s[0:1], s14, v4
	v_addc_co_u32_e64 v5, s[0:1], v7, v5, s[0:1]
	v_add_co_u32_e64 v4, s[0:1], v4, v1
	v_addc_co_u32_e64 v5, s[0:1], 0, v5, s[0:1]
	global_store_byte v[4:5], v6, off
.LBB223_91:
	s_or_b64 exec, exec, s[2:3]
	v_or_b32_e32 v1, 0x1200, v0
	v_cmp_gt_u32_e64 s[0:1], s26, v1
	s_and_saveexec_b64 s[2:3], s[0:1]
	s_cbranch_execz .LBB223_93
; %bb.92:
	ds_read_u8 v6, v0 offset:4736
	v_mov_b32_e32 v7, s15
	s_waitcnt lgkmcnt(0)
	v_lshrrev_b32_sdwa v4, s16, v6 dst_sel:DWORD dst_unused:UNUSED_PAD src0_sel:DWORD src1_sel:BYTE_0
	v_and_b32_e32 v4, s27, v4
	v_lshlrev_b32_e32 v4, 3, v4
	ds_read_b64 v[4:5], v4
	v_xor_b32_e32 v6, 0x80, v6
	s_waitcnt lgkmcnt(0)
	v_add_co_u32_e64 v4, s[0:1], s14, v4
	v_addc_co_u32_e64 v5, s[0:1], v7, v5, s[0:1]
	v_add_co_u32_e64 v4, s[0:1], v4, v1
	v_addc_co_u32_e64 v5, s[0:1], 0, v5, s[0:1]
	global_store_byte v[4:5], v6, off
.LBB223_93:
	;; [unrolled: 21-line block ×14, first 2 shown]
	s_or_b64 exec, exec, s[2:3]
	s_load_dword s2, s[4:5], 0x58
	s_mov_b64 s[0:1], 0
	s_mov_b64 s[18:19], 0
                                        ; implicit-def: $vgpr4_vgpr5
	s_waitcnt lgkmcnt(0)
	s_add_i32 s2, s2, -1
	s_cmp_eq_u32 s2, s6
	s_cselect_b64 s[2:3], -1, 0
	s_and_b64 s[2:3], vcc, s[2:3]
	s_and_saveexec_b64 s[22:23], s[2:3]
	s_xor_b64 s[2:3], exec, s[22:23]
; %bb.118:
	v_add_co_u32_e32 v4, vcc, v2, v11
	s_mov_b64 s[18:19], exec
	v_mov_b32_e32 v1, 0
	v_addc_co_u32_e32 v5, vcc, 0, v3, vcc
; %bb.119:
	s_or_b64 exec, exec, s[2:3]
	s_and_b64 vcc, exec, s[0:1]
	s_cbranch_vccnz .LBB223_121
	s_branch .LBB223_154
.LBB223_120:
	s_mov_b64 s[18:19], 0
                                        ; implicit-def: $vgpr4_vgpr5
	s_cbranch_execz .LBB223_154
.LBB223_121:
	s_add_u32 s0, s12, s7
	s_addc_u32 s1, s13, 0
	global_load_ushort v7, v10, s[0:1] offset:20
	global_load_dwordx4 v[2:5], v10, s[0:1]
	global_load_dword v6, v10, s[0:1] offset:16
	v_mov_b32_e32 v9, 8
	s_mov_b32 s7, 0x3020104
	v_lshlrev_b32_e32 v1, 2, v0
	v_mov_b32_e32 v8, 0
	s_mov_b64 s[0:1], -1
	ds_write2st64_b32 v1, v8, v8 offset1:8
	ds_write2st64_b32 v1, v8, v8 offset0:16 offset1:24
	s_waitcnt vmcnt(2)
	v_lshrrev_b32_sdwa v9, v9, v7 dst_sel:BYTE_1 dst_unused:UNUSED_PAD src0_sel:DWORD src1_sel:DWORD
	v_or_b32_sdwa v7, v7, v9 dst_sel:DWORD dst_unused:UNUSED_PAD src0_sel:BYTE_0 src1_sel:DWORD
	s_and_saveexec_b64 s[2:3], s[0:1]
	s_cbranch_execz .LBB223_123
; %bb.122:
	ds_write_b32 v1, v8 offset:8192
.LBB223_123:
	s_or_b64 exec, exec, s[2:3]
	v_and_b32_e32 v7, 0xffff, v7
	s_waitcnt vmcnt(0)
	v_perm_b32 v6, v6, v6, s7
	s_and_saveexec_b64 s[2:3], s[0:1]
	s_cbranch_execz .LBB223_125
; %bb.124:
	v_mov_b32_e32 v8, 0
	ds_write_b32 v1, v8 offset:10240
.LBB223_125:
	s_or_b64 exec, exec, s[2:3]
	v_cmp_gt_u32_e64 s[0:1], 7, 6
	v_cmp_gt_u32_e64 s[12:13], 7, 5
	s_and_saveexec_b64 s[2:3], s[12:13]
	s_cbranch_execz .LBB223_127
; %bb.126:
	v_mov_b32_e32 v8, 0
	ds_write_b32 v1, v8 offset:12288
.LBB223_127:
	s_or_b64 exec, exec, s[2:3]
	s_and_saveexec_b64 s[2:3], s[0:1]
	s_cbranch_execz .LBB223_129
; %bb.128:
	v_mov_b32_e32 v8, 0
	ds_write_b32 v1, v8 offset:14336
.LBB223_129:
	s_or_b64 exec, exec, s[2:3]
	v_xor_b32_e32 v1, 0xffffff80, v2
	s_lshl_b32 s0, -1, s17
	s_not_b32 s7, s0
	v_lshrrev_b32_sdwa v8, s16, v1 dst_sel:DWORD dst_unused:UNUSED_PAD src0_sel:DWORD src1_sel:BYTE_0
	v_and_b32_e32 v8, s7, v8
	v_lshrrev_b32_e32 v9, 3, v8
	v_lshlrev_b32_e32 v8, 9, v8
	s_movk_i32 s0, 0xe00
	v_and_or_b32 v8, v8, s0, v0
	v_lshlrev_b32_e32 v8, 1, v8
	v_add_lshl_u32 v10, v8, v9, 1
	ds_read_u16 v12, v10
	v_lshrrev_b32_e32 v8, 8, v2
	v_xor_b32_e32 v8, 0xffffff80, v8
	s_movk_i32 s1, 0xff80
	v_lshrrev_b64 v[18:19], 24, v[2:3]
	s_waitcnt lgkmcnt(0)
	v_add_u16_e32 v9, 1, v12
	ds_write_b16 v10, v9
	v_lshrrev_b32_sdwa v9, s16, v8 dst_sel:DWORD dst_unused:UNUSED_PAD src0_sel:DWORD src1_sel:BYTE_0
	v_and_b32_e32 v9, s7, v9
	v_lshrrev_b32_e32 v11, 3, v9
	v_lshlrev_b32_e32 v9, 9, v9
	v_and_or_b32 v9, v9, s0, v0
	v_lshlrev_b32_e32 v9, 1, v9
	v_add_lshl_u32 v28, v9, v11, 1
	ds_read_u16 v14, v28
	v_xor_b32_sdwa v9, v2, s1 dst_sel:DWORD dst_unused:UNUSED_PAD src0_sel:WORD_1 src1_sel:DWORD
	v_lshrrev_b64 v[34:35], 24, v[4:5]
	v_lshrrev_b64 v[64:65], 24, v[6:7]
	s_waitcnt lgkmcnt(0)
	v_add_u16_e32 v11, 1, v14
	ds_write_b16 v28, v11
	v_lshrrev_b32_sdwa v11, s16, v9 dst_sel:DWORD dst_unused:UNUSED_PAD src0_sel:DWORD src1_sel:BYTE_0
	v_and_b32_e32 v11, s7, v11
	v_lshrrev_b32_e32 v13, 3, v11
	v_lshlrev_b32_e32 v11, 9, v11
	v_and_or_b32 v11, v11, s0, v0
	v_lshlrev_b32_e32 v11, 1, v11
	v_add_lshl_u32 v31, v11, v13, 1
	ds_read_u16 v16, v31
	v_xor_b32_e32 v11, 0xffffff80, v18
	s_waitcnt lgkmcnt(0)
	v_add_u16_e32 v2, 1, v16
	ds_write_b16 v31, v2
	v_lshrrev_b32_sdwa v2, s16, v11 dst_sel:DWORD dst_unused:UNUSED_PAD src0_sel:DWORD src1_sel:BYTE_0
	v_and_b32_e32 v2, s7, v2
	v_lshrrev_b32_e32 v13, 3, v2
	v_lshlrev_b32_e32 v2, 9, v2
	v_and_or_b32 v2, v2, s0, v0
	v_lshlrev_b32_e32 v2, 1, v2
	v_add_lshl_u32 v2, v2, v13, 1
	ds_read_u16 v18, v2
	v_xor_b32_e32 v13, 0xffffff80, v3
	s_waitcnt lgkmcnt(0)
	v_add_u16_e32 v15, 1, v18
	ds_write_b16 v2, v15
	v_lshrrev_b32_sdwa v15, s16, v13 dst_sel:DWORD dst_unused:UNUSED_PAD src0_sel:DWORD src1_sel:BYTE_0
	v_and_b32_e32 v15, s7, v15
	v_lshrrev_b32_e32 v17, 3, v15
	v_lshlrev_b32_e32 v15, 9, v15
	v_and_or_b32 v15, v15, s0, v0
	v_lshlrev_b32_e32 v15, 1, v15
	v_add_lshl_u32 v36, v15, v17, 1
	ds_read_u16 v20, v36
	v_lshrrev_b32_e32 v15, 8, v3
	v_xor_b32_e32 v15, 0xffffff80, v15
	s_waitcnt lgkmcnt(0)
	v_add_u16_e32 v17, 1, v20
	ds_write_b16 v36, v17
	v_lshrrev_b32_sdwa v17, s16, v15 dst_sel:DWORD dst_unused:UNUSED_PAD src0_sel:DWORD src1_sel:BYTE_0
	v_and_b32_e32 v17, s7, v17
	v_lshrrev_b32_e32 v19, 3, v17
	v_lshlrev_b32_e32 v17, 9, v17
	v_and_or_b32 v17, v17, s0, v0
	v_lshlrev_b32_e32 v17, 1, v17
	v_add_lshl_u32 v38, v17, v19, 1
	ds_read_u16 v22, v38
	v_xor_b32_sdwa v17, v3, s1 dst_sel:DWORD dst_unused:UNUSED_PAD src0_sel:WORD_1 src1_sel:DWORD
	s_waitcnt lgkmcnt(0)
	v_add_u16_e32 v19, 1, v22
	ds_write_b16 v38, v19
	v_lshrrev_b32_sdwa v19, s16, v17 dst_sel:DWORD dst_unused:UNUSED_PAD src0_sel:DWORD src1_sel:BYTE_0
	v_and_b32_e32 v19, s7, v19
	v_lshrrev_b32_e32 v21, 3, v19
	v_lshlrev_b32_e32 v19, 9, v19
	v_and_or_b32 v19, v19, s0, v0
	v_lshlrev_b32_e32 v19, 1, v19
	v_add_lshl_u32 v41, v19, v21, 1
	ds_read_u16 v24, v41
	v_xor_b32_sdwa v19, v3, s1 dst_sel:DWORD dst_unused:UNUSED_PAD src0_sel:BYTE_3 src1_sel:DWORD
	s_waitcnt lgkmcnt(0)
	v_add_u16_e32 v3, 1, v24
	ds_write_b16 v41, v3
	v_lshrrev_b32_sdwa v3, s16, v19 dst_sel:DWORD dst_unused:UNUSED_PAD src0_sel:DWORD src1_sel:BYTE_0
	v_and_b32_e32 v3, s7, v3
	v_lshrrev_b32_e32 v21, 3, v3
	v_lshlrev_b32_e32 v3, 9, v3
	v_and_or_b32 v3, v3, s0, v0
	v_lshlrev_b32_e32 v3, 1, v3
	v_add_lshl_u32 v3, v3, v21, 1
	ds_read_u16 v26, v3
	v_xor_b32_e32 v21, 0xffffff80, v4
	s_waitcnt lgkmcnt(0)
	v_add_u16_e32 v23, 1, v26
	ds_write_b16 v3, v23
	v_lshrrev_b32_sdwa v23, s16, v21 dst_sel:DWORD dst_unused:UNUSED_PAD src0_sel:DWORD src1_sel:BYTE_0
	v_and_b32_e32 v23, s7, v23
	v_lshrrev_b32_e32 v25, 3, v23
	v_lshlrev_b32_e32 v23, 9, v23
	v_and_or_b32 v23, v23, s0, v0
	v_lshlrev_b32_e32 v23, 1, v23
	v_add_lshl_u32 v46, v23, v25, 1
	ds_read_u16 v27, v46
	v_lshrrev_b32_e32 v23, 8, v4
	v_xor_b32_e32 v23, 0xffffff80, v23
	s_waitcnt lgkmcnt(0)
	v_add_u16_e32 v25, 1, v27
	ds_write_b16 v46, v25
	v_lshrrev_b32_sdwa v25, s16, v23 dst_sel:DWORD dst_unused:UNUSED_PAD src0_sel:DWORD src1_sel:BYTE_0
	v_and_b32_e32 v25, s7, v25
	v_lshrrev_b32_e32 v29, 3, v25
	v_lshlrev_b32_e32 v25, 9, v25
	v_and_or_b32 v25, v25, s0, v0
	v_lshlrev_b32_e32 v25, 1, v25
	v_add_lshl_u32 v48, v25, v29, 1
	ds_read_u16 v30, v48
	v_xor_b32_sdwa v25, v4, s1 dst_sel:DWORD dst_unused:UNUSED_PAD src0_sel:WORD_1 src1_sel:DWORD
	v_xor_b32_e32 v4, 0xffffff80, v34
	s_waitcnt lgkmcnt(0)
	v_add_u16_e32 v29, 1, v30
	ds_write_b16 v48, v29
	v_lshrrev_b32_sdwa v29, s16, v25 dst_sel:DWORD dst_unused:UNUSED_PAD src0_sel:DWORD src1_sel:BYTE_0
	v_and_b32_e32 v29, s7, v29
	v_lshrrev_b32_e32 v32, 3, v29
	v_lshlrev_b32_e32 v29, 9, v29
	v_and_or_b32 v29, v29, s0, v0
	v_lshlrev_b32_e32 v29, 1, v29
	v_add_lshl_u32 v51, v29, v32, 1
	ds_read_u16 v33, v51
	s_waitcnt lgkmcnt(0)
	v_add_u16_e32 v29, 1, v33
	ds_write_b16 v51, v29
	v_lshrrev_b32_sdwa v29, s16, v4 dst_sel:DWORD dst_unused:UNUSED_PAD src0_sel:DWORD src1_sel:BYTE_0
	v_and_b32_e32 v29, s7, v29
	v_lshrrev_b32_e32 v32, 3, v29
	v_lshlrev_b32_e32 v29, 9, v29
	v_and_or_b32 v29, v29, s0, v0
	v_lshlrev_b32_e32 v29, 1, v29
	v_add_lshl_u32 v53, v29, v32, 1
	ds_read_u16 v35, v53
	v_xor_b32_e32 v29, 0xffffff80, v5
	s_waitcnt lgkmcnt(0)
	v_add_u16_e32 v32, 1, v35
	ds_write_b16 v53, v32
	v_lshrrev_b32_sdwa v32, s16, v29 dst_sel:DWORD dst_unused:UNUSED_PAD src0_sel:DWORD src1_sel:BYTE_0
	v_and_b32_e32 v32, s7, v32
	v_lshrrev_b32_e32 v34, 3, v32
	v_lshlrev_b32_e32 v32, 9, v32
	v_and_or_b32 v32, v32, s0, v0
	v_lshlrev_b32_e32 v32, 1, v32
	v_add_lshl_u32 v55, v32, v34, 1
	ds_read_u16 v37, v55
	v_lshrrev_b32_e32 v32, 8, v5
	v_xor_b32_e32 v32, 0xffffff80, v32
	s_waitcnt lgkmcnt(0)
	v_add_u16_e32 v34, 1, v37
	ds_write_b16 v55, v34
	v_lshrrev_b32_sdwa v34, s16, v32 dst_sel:DWORD dst_unused:UNUSED_PAD src0_sel:DWORD src1_sel:BYTE_0
	v_and_b32_e32 v34, s7, v34
	v_lshrrev_b32_e32 v39, 3, v34
	v_lshlrev_b32_e32 v34, 9, v34
	v_and_or_b32 v34, v34, s0, v0
	v_lshlrev_b32_e32 v34, 1, v34
	v_add_lshl_u32 v57, v34, v39, 1
	ds_read_u16 v40, v57
	v_xor_b32_sdwa v34, v5, s1 dst_sel:DWORD dst_unused:UNUSED_PAD src0_sel:WORD_1 src1_sel:DWORD
	v_xor_b32_sdwa v5, v5, s1 dst_sel:DWORD dst_unused:UNUSED_PAD src0_sel:BYTE_3 src1_sel:DWORD
	s_waitcnt lgkmcnt(0)
	v_add_u16_e32 v39, 1, v40
	ds_write_b16 v57, v39
	v_lshrrev_b32_sdwa v39, s16, v34 dst_sel:DWORD dst_unused:UNUSED_PAD src0_sel:DWORD src1_sel:BYTE_0
	v_and_b32_e32 v39, s7, v39
	v_lshrrev_b32_e32 v42, 3, v39
	v_lshlrev_b32_e32 v39, 9, v39
	v_and_or_b32 v39, v39, s0, v0
	v_lshlrev_b32_e32 v39, 1, v39
	v_add_lshl_u32 v59, v39, v42, 1
	ds_read_u16 v43, v59
	s_waitcnt lgkmcnt(0)
	v_add_u16_e32 v39, 1, v43
	ds_write_b16 v59, v39
	v_lshrrev_b32_sdwa v39, s16, v5 dst_sel:DWORD dst_unused:UNUSED_PAD src0_sel:DWORD src1_sel:BYTE_0
	v_and_b32_e32 v39, s7, v39
	v_lshrrev_b32_e32 v42, 3, v39
	v_lshlrev_b32_e32 v39, 9, v39
	v_and_or_b32 v39, v39, s0, v0
	v_lshlrev_b32_e32 v39, 1, v39
	v_add_lshl_u32 v60, v39, v42, 1
	ds_read_u16 v45, v60
	v_xor_b32_e32 v39, 0xffffff80, v6
	s_waitcnt lgkmcnt(0)
	v_add_u16_e32 v42, 1, v45
	ds_write_b16 v60, v42
	v_lshrrev_b32_sdwa v42, s16, v39 dst_sel:DWORD dst_unused:UNUSED_PAD src0_sel:DWORD src1_sel:BYTE_0
	v_and_b32_e32 v42, s7, v42
	v_lshrrev_b32_e32 v44, 3, v42
	v_lshlrev_b32_e32 v42, 9, v42
	v_and_or_b32 v42, v42, s0, v0
	v_lshlrev_b32_e32 v42, 1, v42
	v_add_lshl_u32 v61, v42, v44, 1
	ds_read_u16 v47, v61
	v_lshrrev_b32_e32 v42, 8, v6
	v_xor_b32_e32 v42, 0xffffff80, v42
	s_waitcnt lgkmcnt(0)
	v_add_u16_e32 v44, 1, v47
	ds_write_b16 v61, v44
	v_lshrrev_b32_sdwa v44, s16, v42 dst_sel:DWORD dst_unused:UNUSED_PAD src0_sel:DWORD src1_sel:BYTE_0
	v_and_b32_e32 v44, s7, v44
	v_lshrrev_b32_e32 v49, 3, v44
	v_lshlrev_b32_e32 v44, 9, v44
	v_and_or_b32 v44, v44, s0, v0
	v_lshlrev_b32_e32 v44, 1, v44
	v_add_lshl_u32 v62, v44, v49, 1
	ds_read_u16 v50, v62
	v_xor_b32_sdwa v44, v6, s1 dst_sel:DWORD dst_unused:UNUSED_PAD src0_sel:WORD_1 src1_sel:DWORD
	v_xor_b32_e32 v6, 0xffffff80, v64
	s_waitcnt lgkmcnt(0)
	v_add_u16_e32 v49, 1, v50
	ds_write_b16 v62, v49
	v_lshrrev_b32_sdwa v49, s16, v44 dst_sel:DWORD dst_unused:UNUSED_PAD src0_sel:DWORD src1_sel:BYTE_0
	v_and_b32_e32 v49, s7, v49
	v_lshrrev_b32_e32 v52, 3, v49
	v_lshlrev_b32_e32 v49, 9, v49
	v_and_or_b32 v49, v49, s0, v0
	v_lshlrev_b32_e32 v49, 1, v49
	v_add_lshl_u32 v63, v49, v52, 1
	ds_read_u16 v52, v63
	s_waitcnt lgkmcnt(0)
	v_add_u16_e32 v49, 1, v52
	ds_write_b16 v63, v49
	v_lshrrev_b32_sdwa v49, s16, v6 dst_sel:DWORD dst_unused:UNUSED_PAD src0_sel:DWORD src1_sel:BYTE_0
	v_and_b32_e32 v49, s7, v49
	v_lshrrev_b32_e32 v54, 3, v49
	v_lshlrev_b32_e32 v49, 9, v49
	v_and_or_b32 v49, v49, s0, v0
	v_lshlrev_b32_e32 v49, 1, v49
	v_add_lshl_u32 v64, v49, v54, 1
	ds_read_u16 v54, v64
	v_xor_b32_e32 v49, 0xffffff80, v7
	v_lshrrev_b32_e32 v7, 8, v7
	v_xor_b32_e32 v7, 0xffffff80, v7
	s_waitcnt lgkmcnt(0)
	v_add_u16_e32 v56, 1, v54
	ds_write_b16 v64, v56
	v_lshrrev_b32_sdwa v56, s16, v49 dst_sel:DWORD dst_unused:UNUSED_PAD src0_sel:DWORD src1_sel:BYTE_0
	v_and_b32_e32 v56, s7, v56
	v_lshrrev_b32_e32 v58, 3, v56
	v_lshlrev_b32_e32 v56, 9, v56
	v_and_or_b32 v56, v56, s0, v0
	v_lshlrev_b32_e32 v56, 1, v56
	v_add_lshl_u32 v65, v56, v58, 1
	ds_read_u16 v56, v65
	s_waitcnt lgkmcnt(0)
	v_add_u16_e32 v58, 1, v56
	ds_write_b16 v65, v58
	v_lshrrev_b32_sdwa v58, s16, v7 dst_sel:DWORD dst_unused:UNUSED_PAD src0_sel:DWORD src1_sel:BYTE_0
	v_and_b32_e32 v58, s7, v58
	v_lshrrev_b32_e32 v66, 3, v58
	v_lshlrev_b32_e32 v58, 9, v58
	v_and_or_b32 v58, v58, s0, v0
	v_lshlrev_b32_e32 v58, 1, v58
	v_add_lshl_u32 v66, v58, v66, 1
	ds_read_u16 v58, v66
	s_waitcnt lgkmcnt(0)
	v_add_u16_e32 v67, 1, v58
	ds_write_b16 v66, v67
	v_lshlrev_b32_e32 v67, 5, v0
	s_waitcnt lgkmcnt(0)
	s_barrier
	ds_read2_b64 v[68:71], v67 offset1:1
	ds_read2_b64 v[72:75], v67 offset0:2 offset1:3
	s_waitcnt lgkmcnt(1)
	v_add_u32_e32 v68, v69, v68
	v_add3_u32 v68, v68, v70, v71
	s_waitcnt lgkmcnt(0)
	v_add3_u32 v68, v68, v72, v73
	v_add3_u32 v69, v68, v74, v75
	v_mbcnt_lo_u32_b32 v68, -1, 0
	v_mbcnt_hi_u32_b32 v68, -1, v68
	v_and_b32_e32 v70, 15, v68
	v_mov_b32_dpp v71, v69 row_shr:1 row_mask:0xf bank_mask:0xf
	v_cmp_ne_u32_e32 vcc, 0, v70
	v_cndmask_b32_e32 v71, 0, v71, vcc
	v_add_u32_e32 v69, v71, v69
	v_cmp_lt_u32_e32 vcc, 1, v70
	s_nop 0
	v_mov_b32_dpp v71, v69 row_shr:2 row_mask:0xf bank_mask:0xf
	v_cndmask_b32_e32 v71, 0, v71, vcc
	v_add_u32_e32 v69, v69, v71
	v_cmp_lt_u32_e32 vcc, 3, v70
	s_nop 0
	v_mov_b32_dpp v71, v69 row_shr:4 row_mask:0xf bank_mask:0xf
	v_cndmask_b32_e32 v71, 0, v71, vcc
	v_add_u32_e32 v69, v69, v71
	v_cmp_lt_u32_e32 vcc, 7, v70
	s_nop 0
	v_mov_b32_dpp v71, v69 row_shr:8 row_mask:0xf bank_mask:0xf
	v_cndmask_b32_e32 v70, 0, v71, vcc
	v_add_u32_e32 v69, v69, v70
	v_bfe_i32 v71, v68, 4, 1
	v_cmp_lt_u32_e32 vcc, 31, v68
	v_mov_b32_dpp v70, v69 row_bcast:15 row_mask:0xf bank_mask:0xf
	v_and_b32_e32 v70, v71, v70
	v_add_u32_e32 v69, v69, v70
	v_or_b32_e32 v71, 63, v0
	s_nop 0
	v_mov_b32_dpp v70, v69 row_bcast:31 row_mask:0xf bank_mask:0xf
	v_cndmask_b32_e32 v70, 0, v70, vcc
	v_add_u32_e32 v69, v69, v70
	v_lshrrev_b32_e32 v70, 6, v0
	v_cmp_eq_u32_e32 vcc, v71, v0
	v_lshlrev_b32_e32 v70, 2, v70
	s_and_saveexec_b64 s[0:1], vcc
	s_cbranch_execz .LBB223_131
; %bb.130:
	ds_write_b32 v70, v69 offset:16384
.LBB223_131:
	s_or_b64 exec, exec, s[0:1]
	v_cmp_gt_u32_e32 vcc, 8, v0
	s_waitcnt lgkmcnt(0)
	s_barrier
	s_and_saveexec_b64 s[0:1], vcc
	s_cbranch_execz .LBB223_133
; %bb.132:
	s_movk_i32 s2, 0xffe4
	v_mad_i32_i24 v71, v0, s2, v67
	ds_read_b32 v72, v71 offset:16384
	v_and_b32_e32 v73, 7, v68
	v_cmp_ne_u32_e32 vcc, 0, v73
	s_waitcnt lgkmcnt(0)
	v_mov_b32_dpp v74, v72 row_shr:1 row_mask:0xf bank_mask:0xf
	v_cndmask_b32_e32 v74, 0, v74, vcc
	v_add_u32_e32 v72, v74, v72
	v_cmp_lt_u32_e32 vcc, 1, v73
	s_nop 0
	v_mov_b32_dpp v74, v72 row_shr:2 row_mask:0xf bank_mask:0xf
	v_cndmask_b32_e32 v74, 0, v74, vcc
	v_add_u32_e32 v72, v72, v74
	v_cmp_lt_u32_e32 vcc, 3, v73
	s_nop 0
	v_mov_b32_dpp v74, v72 row_shr:4 row_mask:0xf bank_mask:0xf
	v_cndmask_b32_e32 v73, 0, v74, vcc
	v_add_u32_e32 v72, v72, v73
	ds_write_b32 v71, v72 offset:16384
.LBB223_133:
	s_or_b64 exec, exec, s[0:1]
	v_cmp_lt_u32_e32 vcc, 63, v0
	v_mov_b32_e32 v72, 0
	v_mov_b32_e32 v71, 0
	s_waitcnt lgkmcnt(0)
	s_barrier
	s_and_saveexec_b64 s[0:1], vcc
	s_cbranch_execz .LBB223_135
; %bb.134:
	ds_read_b32 v71, v70 offset:16380
.LBB223_135:
	s_or_b64 exec, exec, s[0:1]
	v_add_u32_e32 v70, -1, v68
	v_and_b32_e32 v73, 64, v68
	v_cmp_lt_i32_e32 vcc, v70, v73
	v_cndmask_b32_e32 v70, v70, v68, vcc
	s_waitcnt lgkmcnt(0)
	v_add_u32_e32 v69, v71, v69
	v_lshlrev_b32_e32 v70, 2, v70
	ds_bpermute_b32 v69, v70, v69
	ds_read_b32 v70, v72 offset:16412
	ds_read2_b64 v[72:75], v67 offset1:1
	v_cmp_eq_u32_e32 vcc, 0, v68
	ds_read_b32 v76, v67 offset:24
	v_cmp_lt_u32_e64 s[0:1], 15, v0
	s_waitcnt lgkmcnt(3)
	v_cndmask_b32_e32 v68, v69, v71, vcc
	s_waitcnt lgkmcnt(2)
	v_lshl_add_u32 v68, v70, 16, v68
	ds_read_b64 v[70:71], v67 offset:16
	s_waitcnt lgkmcnt(2)
	v_add_u32_e32 v69, v68, v72
	v_add_u32_e32 v72, v73, v69
	v_add_u32_e32 v73, v74, v72
	ds_write2_b64 v67, v[68:69], v[72:73] offset1:1
	v_add_u32_e32 v68, v75, v73
	s_waitcnt lgkmcnt(1)
	v_add_u32_e32 v69, v70, v68
	v_add_u32_e32 v70, v71, v69
	;; [unrolled: 1-line block ×3, first 2 shown]
	ds_write2_b64 v67, v[68:69], v[70:71] offset0:2 offset1:3
	s_waitcnt lgkmcnt(0)
	s_barrier
	ds_read_u16 v67, v10
	ds_read_u16 v28, v28
	;; [unrolled: 1-line block ×22, first 2 shown]
	v_cmp_gt_u32_e32 vcc, 16, v0
	v_pk_mov_b32 v[2:3], 0, 0
                                        ; implicit-def: $vgpr10
	s_and_saveexec_b64 s[12:13], vcc
	s_cbranch_execz .LBB223_139
; %bb.136:
	v_lshrrev_b32_e32 v2, 3, v0
	v_lshlrev_b32_e32 v3, 10, v0
	s_movk_i32 s17, 0x1c00
	v_and_or_b32 v2, v3, s17, v2
	v_lshlrev_b32_e32 v2, 1, v2
	ds_read_u16 v2, v2
	v_add_u32_e32 v10, 1, v0
	v_cmp_ne_u32_e64 s[2:3], 16, v10
	v_mov_b32_e32 v3, 0x2c00
	s_and_saveexec_b64 s[22:23], s[2:3]
	s_cbranch_execz .LBB223_138
; %bb.137:
	v_lshlrev_b32_e32 v3, 10, v10
	v_lshrrev_b32_e32 v10, 3, v10
	v_and_or_b32 v3, v3, s17, v10
	v_lshlrev_b32_e32 v3, 1, v3
	ds_read_u16 v3, v3
.LBB223_138:
	s_or_b64 exec, exec, s[22:23]
	s_waitcnt lgkmcnt(0)
	v_and_b32_e32 v2, 0xffff, v2
	s_mov_b32 s2, 0
	v_sub_u32_e32 v10, v3, v2
	v_mov_b32_e32 v3, s2
.LBB223_139:
	s_or_b64 exec, exec, s[12:13]
	s_waitcnt lgkmcnt(14)
	v_add_u32_sdwa v12, v67, v12 dst_sel:DWORD dst_unused:UNUSED_PAD src0_sel:WORD_0 src1_sel:WORD_0
	v_add_u32_sdwa v14, v28, v14 dst_sel:DWORD dst_unused:UNUSED_PAD src0_sel:WORD_0 src1_sel:WORD_0
	v_add_u32_sdwa v16, v31, v16 dst_sel:DWORD dst_unused:UNUSED_PAD src0_sel:WORD_0 src1_sel:WORD_0
	v_add_u32_sdwa v18, v68, v18 dst_sel:DWORD dst_unused:UNUSED_PAD src0_sel:WORD_0 src1_sel:WORD_0
	v_add_u32_sdwa v20, v36, v20 dst_sel:DWORD dst_unused:UNUSED_PAD src0_sel:WORD_0 src1_sel:WORD_0
	v_add_u32_sdwa v22, v38, v22 dst_sel:DWORD dst_unused:UNUSED_PAD src0_sel:WORD_0 src1_sel:WORD_0
	v_add_u32_sdwa v24, v41, v24 dst_sel:DWORD dst_unused:UNUSED_PAD src0_sel:WORD_0 src1_sel:WORD_0
	v_add_u32_sdwa v26, v69, v26 dst_sel:DWORD dst_unused:UNUSED_PAD src0_sel:WORD_0 src1_sel:WORD_0
	s_waitcnt lgkmcnt(13)
	v_add_u32_sdwa v27, v46, v27 dst_sel:DWORD dst_unused:UNUSED_PAD src0_sel:WORD_0 src1_sel:WORD_0
	s_waitcnt lgkmcnt(12)
	v_add_u32_sdwa v28, v48, v30 dst_sel:DWORD dst_unused:UNUSED_PAD src0_sel:WORD_0 src1_sel:WORD_0
	;; [unrolled: 2-line block ×14, first 2 shown]
	s_barrier
	ds_write_b8 v12, v1 offset:128
	ds_write_b8 v14, v8 offset:128
	;; [unrolled: 1-line block ×22, first 2 shown]
	s_and_saveexec_b64 s[2:3], s[0:1]
	s_xor_b64 s[0:1], exec, s[2:3]
; %bb.140:
	v_mov_b32_e32 v1, 0
; %bb.141:
	s_andn2_saveexec_b64 s[2:3], s[0:1]
	s_cbranch_execz .LBB223_151
; %bb.142:
	v_lshl_or_b32 v4, s6, 4, v0
	v_mov_b32_e32 v5, 0
	v_lshlrev_b64 v[6:7], 2, v[4:5]
	v_mov_b32_e32 v1, s21
	v_add_co_u32_e64 v6, s[0:1], s20, v6
	v_addc_co_u32_e64 v7, s[0:1], v1, v7, s[0:1]
	v_or_b32_e32 v4, 2.0, v10
	s_mov_b64 s[12:13], 0
	s_brev_b32 s17, 1
	s_mov_b32 s21, s6
	v_mov_b32_e32 v11, 0
	global_store_dword v[6:7], v4, off
                                        ; implicit-def: $sgpr0_sgpr1
	s_branch .LBB223_145
.LBB223_143:                            ;   in Loop: Header=BB223_145 Depth=1
	s_or_b64 exec, exec, s[24:25]
.LBB223_144:                            ;   in Loop: Header=BB223_145 Depth=1
	s_or_b64 exec, exec, s[22:23]
	v_and_b32_e32 v8, 0x3fffffff, v12
	v_add_u32_e32 v11, v8, v11
	v_cmp_eq_u32_e64 s[0:1], s17, v4
	s_and_b64 s[22:23], exec, s[0:1]
	s_or_b64 s[12:13], s[22:23], s[12:13]
	s_andn2_b64 exec, exec, s[12:13]
	s_cbranch_execz .LBB223_150
.LBB223_145:                            ; =>This Loop Header: Depth=1
                                        ;     Child Loop BB223_148 Depth 2
	s_or_b64 s[0:1], s[0:1], exec
	s_cmp_eq_u32 s21, 0
	s_cbranch_scc1 .LBB223_149
; %bb.146:                              ;   in Loop: Header=BB223_145 Depth=1
	s_add_i32 s21, s21, -1
	v_lshl_or_b32 v4, s21, 4, v0
	v_lshlrev_b64 v[8:9], 2, v[4:5]
	v_add_co_u32_e64 v8, s[0:1], s20, v8
	v_addc_co_u32_e64 v9, s[0:1], v1, v9, s[0:1]
	global_load_dword v12, v[8:9], off glc
	s_waitcnt vmcnt(0)
	v_and_b32_e32 v4, -2.0, v12
	v_cmp_eq_u32_e64 s[0:1], 0, v4
	s_and_saveexec_b64 s[22:23], s[0:1]
	s_cbranch_execz .LBB223_144
; %bb.147:                              ;   in Loop: Header=BB223_145 Depth=1
	s_mov_b64 s[24:25], 0
.LBB223_148:                            ;   Parent Loop BB223_145 Depth=1
                                        ; =>  This Inner Loop Header: Depth=2
	global_load_dword v12, v[8:9], off glc
	s_waitcnt vmcnt(0)
	v_and_b32_e32 v4, -2.0, v12
	v_cmp_ne_u32_e64 s[0:1], 0, v4
	s_or_b64 s[24:25], s[0:1], s[24:25]
	s_andn2_b64 exec, exec, s[24:25]
	s_cbranch_execnz .LBB223_148
	s_branch .LBB223_143
.LBB223_149:                            ;   in Loop: Header=BB223_145 Depth=1
                                        ; implicit-def: $sgpr21
	s_and_b64 s[22:23], exec, s[0:1]
	s_or_b64 s[12:13], s[22:23], s[12:13]
	s_andn2_b64 exec, exec, s[12:13]
	s_cbranch_execnz .LBB223_145
.LBB223_150:
	s_or_b64 exec, exec, s[12:13]
	v_add_u32_e32 v1, v11, v10
	v_or_b32_e32 v1, 0x80000000, v1
	global_store_dword v[6:7], v1, off
	v_lshlrev_b32_e32 v6, 3, v0
	global_load_dwordx2 v[4:5], v6, s[8:9]
	v_sub_co_u32_e64 v7, s[0:1], v11, v2
	v_subb_co_u32_e64 v8, s[0:1], 0, v3, s[0:1]
	v_mov_b32_e32 v1, 0
	s_waitcnt vmcnt(0)
	v_add_co_u32_e64 v4, s[0:1], v7, v4
	v_addc_co_u32_e64 v5, s[0:1], v8, v5, s[0:1]
	ds_write_b64 v6, v[4:5]
.LBB223_151:
	s_or_b64 exec, exec, s[2:3]
	s_waitcnt lgkmcnt(0)
	s_barrier
	ds_read_u8 v11, v0 offset:10368
	ds_read_u8 v18, v0 offset:9344
	;; [unrolled: 1-line block ×5, first 2 shown]
	s_waitcnt lgkmcnt(4)
	v_lshrrev_b32_sdwa v4, s16, v11 dst_sel:DWORD dst_unused:UNUSED_PAD src0_sel:DWORD src1_sel:BYTE_0
	v_and_b32_e32 v4, s7, v4
	v_lshlrev_b32_e32 v4, 3, v4
	ds_read_b64 v[6:7], v4
	ds_read_u8 v8, v0 offset:128
	s_waitcnt lgkmcnt(2)
	v_lshrrev_b32_sdwa v4, s16, v21 dst_sel:DWORD dst_unused:UNUSED_PAD src0_sel:DWORD src1_sel:BYTE_0
	v_and_b32_e32 v4, s7, v4
	v_lshlrev_b32_e32 v4, 3, v4
	ds_read_b64 v[4:5], v4
	s_waitcnt lgkmcnt(1)
	v_lshrrev_b32_sdwa v9, s16, v8 dst_sel:DWORD dst_unused:UNUSED_PAD src0_sel:DWORD src1_sel:BYTE_0
	v_and_b32_e32 v9, s7, v9
	v_xor_b32_e32 v22, 0x80, v8
	v_lshlrev_b32_e32 v8, 3, v9
	v_lshrrev_b32_sdwa v9, s16, v20 dst_sel:DWORD dst_unused:UNUSED_PAD src0_sel:DWORD src1_sel:BYTE_0
	v_and_b32_e32 v9, s7, v9
	v_lshlrev_b32_e32 v12, 3, v9
	ds_read_u8 v24, v0 offset:1152
	ds_read_u8 v25, v0 offset:1664
	ds_read_u8 v26, v0 offset:2176
	ds_read_u8 v27, v0 offset:2688
	ds_read_u8 v28, v0 offset:3200
	ds_read_u8 v29, v0 offset:3712
	ds_read_u8 v30, v0 offset:4224
	ds_read_u8 v31, v0 offset:4736
	s_waitcnt lgkmcnt(7)
	v_lshrrev_b32_sdwa v9, s16, v24 dst_sel:DWORD dst_unused:UNUSED_PAD src0_sel:DWORD src1_sel:BYTE_0
	v_and_b32_e32 v9, s7, v9
	v_lshlrev_b32_e32 v14, 3, v9
	s_waitcnt lgkmcnt(6)
	v_lshrrev_b32_sdwa v9, s16, v25 dst_sel:DWORD dst_unused:UNUSED_PAD src0_sel:DWORD src1_sel:BYTE_0
	v_and_b32_e32 v9, s7, v9
	v_lshlrev_b32_e32 v16, 3, v9
	ds_read_b64 v[8:9], v8
	ds_read_b64 v[12:13], v12
	;; [unrolled: 1-line block ×4, first 2 shown]
	v_mov_b32_e32 v23, s15
	s_waitcnt lgkmcnt(3)
	v_add_co_u32_e64 v8, s[0:1], s14, v8
	v_addc_co_u32_e64 v9, s[0:1], v23, v9, s[0:1]
	v_add_co_u32_e64 v8, s[0:1], v8, v0
	v_addc_co_u32_e64 v9, s[0:1], v9, v1, s[0:1]
	global_store_byte v[8:9], v22, off
	v_mov_b32_e32 v8, s15
	s_waitcnt lgkmcnt(2)
	v_add_co_u32_e64 v9, s[0:1], s14, v12
	v_addc_co_u32_e64 v12, s[0:1], v8, v13, s[0:1]
	v_add_co_u32_e64 v8, s[0:1], v9, v0
	v_xor_b32_e32 v20, 0x80, v20
	v_addc_co_u32_e64 v9, s[0:1], v12, v1, s[0:1]
	global_store_byte v[8:9], v20, off offset:512
	v_mov_b32_e32 v8, s15
	s_waitcnt lgkmcnt(1)
	v_add_co_u32_e64 v9, s[0:1], s14, v14
	v_addc_co_u32_e64 v13, s[0:1], v8, v15, s[0:1]
	v_add_co_u32_e64 v8, s[0:1], v9, v0
	v_xor_b32_e32 v12, 0x80, v24
	v_addc_co_u32_e64 v9, s[0:1], v13, v1, s[0:1]
	global_store_byte v[8:9], v12, off offset:1024
	;; [unrolled: 8-line block ×3, first 2 shown]
	v_lshrrev_b32_sdwa v9, s16, v27 dst_sel:DWORD dst_unused:UNUSED_PAD src0_sel:DWORD src1_sel:BYTE_0
	v_and_b32_e32 v9, s7, v9
	v_lshlrev_b32_e32 v12, 3, v9
	v_lshrrev_b32_sdwa v9, s16, v28 dst_sel:DWORD dst_unused:UNUSED_PAD src0_sel:DWORD src1_sel:BYTE_0
	v_and_b32_e32 v9, s7, v9
	v_lshrrev_b32_sdwa v8, s16, v26 dst_sel:DWORD dst_unused:UNUSED_PAD src0_sel:DWORD src1_sel:BYTE_0
	v_lshlrev_b32_e32 v14, 3, v9
	v_lshrrev_b32_sdwa v9, s16, v29 dst_sel:DWORD dst_unused:UNUSED_PAD src0_sel:DWORD src1_sel:BYTE_0
	v_and_b32_e32 v8, s7, v8
	v_and_b32_e32 v9, s7, v9
	v_lshlrev_b32_e32 v8, 3, v8
	v_lshlrev_b32_e32 v16, 3, v9
	ds_read_b64 v[8:9], v8
	ds_read_b64 v[12:13], v12
	;; [unrolled: 1-line block ×4, first 2 shown]
	v_mov_b32_e32 v22, s15
	s_waitcnt lgkmcnt(3)
	v_add_co_u32_e64 v8, s[0:1], s14, v8
	v_addc_co_u32_e64 v9, s[0:1], v22, v9, s[0:1]
	v_add_co_u32_e64 v8, s[0:1], v8, v0
	v_xor_b32_e32 v20, 0x80, v26
	v_addc_co_u32_e64 v9, s[0:1], v9, v1, s[0:1]
	global_store_byte v[8:9], v20, off offset:2048
	v_mov_b32_e32 v8, s15
	s_waitcnt lgkmcnt(2)
	v_add_co_u32_e64 v9, s[0:1], s14, v12
	v_addc_co_u32_e64 v12, s[0:1], v8, v13, s[0:1]
	v_add_co_u32_e64 v8, s[0:1], v9, v0
	v_xor_b32_e32 v20, 0x80, v27
	v_addc_co_u32_e64 v9, s[0:1], v12, v1, s[0:1]
	global_store_byte v[8:9], v20, off offset:2560
	;; [unrolled: 8-line block ×4, first 2 shown]
	v_lshrrev_b32_sdwa v9, s16, v31 dst_sel:DWORD dst_unused:UNUSED_PAD src0_sel:DWORD src1_sel:BYTE_0
	v_and_b32_e32 v9, s7, v9
	v_lshrrev_b32_sdwa v8, s16, v30 dst_sel:DWORD dst_unused:UNUSED_PAD src0_sel:DWORD src1_sel:BYTE_0
	v_xor_b32_e32 v22, 0x80, v30
	v_lshlrev_b32_e32 v12, 3, v9
	ds_read_u8 v24, v0 offset:5248
	ds_read_u8 v25, v0 offset:5760
	;; [unrolled: 1-line block ×8, first 2 shown]
	s_waitcnt lgkmcnt(7)
	v_lshrrev_b32_sdwa v9, s16, v24 dst_sel:DWORD dst_unused:UNUSED_PAD src0_sel:DWORD src1_sel:BYTE_0
	v_and_b32_e32 v9, s7, v9
	v_lshlrev_b32_e32 v14, 3, v9
	s_waitcnt lgkmcnt(6)
	v_lshrrev_b32_sdwa v9, s16, v25 dst_sel:DWORD dst_unused:UNUSED_PAD src0_sel:DWORD src1_sel:BYTE_0
	v_and_b32_e32 v8, s7, v8
	v_and_b32_e32 v9, s7, v9
	v_lshlrev_b32_e32 v8, 3, v8
	v_lshlrev_b32_e32 v16, 3, v9
	ds_read_b64 v[8:9], v8
	ds_read_b64 v[12:13], v12
	ds_read_b64 v[14:15], v14
	ds_read_b64 v[16:17], v16
	v_or_b32_e32 v20, 0x1000, v0
	s_waitcnt lgkmcnt(3)
	v_add_co_u32_e64 v8, s[0:1], s14, v8
	v_addc_co_u32_e64 v9, s[0:1], v23, v9, s[0:1]
	v_add_co_u32_e64 v8, s[0:1], v8, v20
	v_addc_co_u32_e64 v9, s[0:1], 0, v9, s[0:1]
	global_store_byte v[8:9], v22, off
	v_mov_b32_e32 v9, s15
	s_waitcnt lgkmcnt(2)
	v_add_co_u32_e64 v12, s[0:1], s14, v12
	v_or_b32_e32 v8, 0x1200, v0
	v_addc_co_u32_e64 v9, s[0:1], v9, v13, s[0:1]
	v_add_co_u32_e64 v8, s[0:1], v12, v8
	v_xor_b32_e32 v20, 0x80, v31
	v_addc_co_u32_e64 v9, s[0:1], 0, v9, s[0:1]
	global_store_byte v[8:9], v20, off
	v_mov_b32_e32 v9, s15
	s_waitcnt lgkmcnt(1)
	v_add_co_u32_e64 v13, s[0:1], s14, v14
	v_or_b32_e32 v8, 0x1400, v0
	v_addc_co_u32_e64 v9, s[0:1], v9, v15, s[0:1]
	v_add_co_u32_e64 v8, s[0:1], v13, v8
	v_xor_b32_e32 v12, 0x80, v24
	;; [unrolled: 9-line block ×3, first 2 shown]
	v_addc_co_u32_e64 v9, s[0:1], 0, v9, s[0:1]
	global_store_byte v[8:9], v12, off
	v_lshrrev_b32_sdwa v9, s16, v27 dst_sel:DWORD dst_unused:UNUSED_PAD src0_sel:DWORD src1_sel:BYTE_0
	v_and_b32_e32 v9, s7, v9
	v_lshlrev_b32_e32 v12, 3, v9
	v_lshrrev_b32_sdwa v9, s16, v28 dst_sel:DWORD dst_unused:UNUSED_PAD src0_sel:DWORD src1_sel:BYTE_0
	v_and_b32_e32 v9, s7, v9
	v_lshrrev_b32_sdwa v8, s16, v26 dst_sel:DWORD dst_unused:UNUSED_PAD src0_sel:DWORD src1_sel:BYTE_0
	v_lshlrev_b32_e32 v14, 3, v9
	v_lshrrev_b32_sdwa v9, s16, v29 dst_sel:DWORD dst_unused:UNUSED_PAD src0_sel:DWORD src1_sel:BYTE_0
	v_and_b32_e32 v8, s7, v8
	v_and_b32_e32 v9, s7, v9
	v_lshlrev_b32_e32 v8, 3, v8
	v_lshlrev_b32_e32 v16, 3, v9
	ds_read_b64 v[8:9], v8
	ds_read_b64 v[12:13], v12
	;; [unrolled: 1-line block ×4, first 2 shown]
	v_or_b32_e32 v20, 0x1800, v0
	s_waitcnt lgkmcnt(3)
	v_add_co_u32_e64 v8, s[0:1], s14, v8
	v_addc_co_u32_e64 v9, s[0:1], v23, v9, s[0:1]
	v_add_co_u32_e64 v8, s[0:1], v8, v20
	v_xor_b32_e32 v22, 0x80, v26
	v_addc_co_u32_e64 v9, s[0:1], 0, v9, s[0:1]
	global_store_byte v[8:9], v22, off
	v_mov_b32_e32 v9, s15
	s_waitcnt lgkmcnt(2)
	v_add_co_u32_e64 v12, s[0:1], s14, v12
	v_or_b32_e32 v8, 0x1a00, v0
	v_addc_co_u32_e64 v9, s[0:1], v9, v13, s[0:1]
	v_add_co_u32_e64 v8, s[0:1], v12, v8
	v_xor_b32_e32 v20, 0x80, v27
	v_addc_co_u32_e64 v9, s[0:1], 0, v9, s[0:1]
	global_store_byte v[8:9], v20, off
	v_mov_b32_e32 v9, s15
	s_waitcnt lgkmcnt(1)
	v_add_co_u32_e64 v13, s[0:1], s14, v14
	v_or_b32_e32 v8, 0x1c00, v0
	;; [unrolled: 9-line block ×3, first 2 shown]
	v_addc_co_u32_e64 v9, s[0:1], v9, v17, s[0:1]
	v_add_co_u32_e64 v8, s[0:1], v13, v8
	v_xor_b32_e32 v12, 0x80, v29
	v_addc_co_u32_e64 v9, s[0:1], 0, v9, s[0:1]
	global_store_byte v[8:9], v12, off
	v_lshrrev_b32_sdwa v9, s16, v32 dst_sel:DWORD dst_unused:UNUSED_PAD src0_sel:DWORD src1_sel:BYTE_0
	v_and_b32_e32 v9, s7, v9
	v_lshlrev_b32_e32 v12, 3, v9
	v_lshrrev_b32_sdwa v9, s16, v18 dst_sel:DWORD dst_unused:UNUSED_PAD src0_sel:DWORD src1_sel:BYTE_0
	v_and_b32_e32 v9, s7, v9
	v_lshrrev_b32_sdwa v8, s16, v30 dst_sel:DWORD dst_unused:UNUSED_PAD src0_sel:DWORD src1_sel:BYTE_0
	v_lshlrev_b32_e32 v14, 3, v9
	v_lshrrev_b32_sdwa v9, s16, v19 dst_sel:DWORD dst_unused:UNUSED_PAD src0_sel:DWORD src1_sel:BYTE_0
	v_and_b32_e32 v8, s7, v8
	v_and_b32_e32 v9, s7, v9
	v_lshlrev_b32_e32 v8, 3, v8
	v_lshlrev_b32_e32 v16, 3, v9
	ds_read_b64 v[8:9], v8
	ds_read_b64 v[12:13], v12
	;; [unrolled: 1-line block ×4, first 2 shown]
	v_or_b32_e32 v20, 0x2000, v0
	s_waitcnt lgkmcnt(3)
	v_add_co_u32_e64 v8, s[0:1], s14, v8
	v_addc_co_u32_e64 v9, s[0:1], v23, v9, s[0:1]
	v_add_co_u32_e64 v8, s[0:1], v8, v20
	v_xor_b32_e32 v22, 0x80, v30
	v_addc_co_u32_e64 v9, s[0:1], 0, v9, s[0:1]
	global_store_byte v[8:9], v22, off
	v_mov_b32_e32 v9, s15
	s_waitcnt lgkmcnt(2)
	v_add_co_u32_e64 v12, s[0:1], s14, v12
	v_or_b32_e32 v8, 0x2200, v0
	v_addc_co_u32_e64 v9, s[0:1], v9, v13, s[0:1]
	v_add_co_u32_e64 v8, s[0:1], v12, v8
	v_xor_b32_e32 v20, 0x80, v32
	v_addc_co_u32_e64 v9, s[0:1], 0, v9, s[0:1]
	global_store_byte v[8:9], v20, off
	v_mov_b32_e32 v9, s15
	s_waitcnt lgkmcnt(1)
	v_add_co_u32_e64 v13, s[0:1], s14, v14
	v_or_b32_e32 v8, 0x2400, v0
	;; [unrolled: 9-line block ×3, first 2 shown]
	v_addc_co_u32_e64 v9, s[0:1], v9, v17, s[0:1]
	v_add_co_u32_e64 v8, s[0:1], v13, v8
	v_xor_b32_e32 v12, 0x80, v19
	v_addc_co_u32_e64 v9, s[0:1], 0, v9, s[0:1]
	global_store_byte v[8:9], v12, off
	v_xor_b32_e32 v9, 0x80, v11
	v_mov_b32_e32 v11, s15
	v_add_co_u32_e64 v6, s[0:1], s14, v6
	v_or_b32_e32 v8, 0x2800, v0
	v_addc_co_u32_e64 v7, s[0:1], v11, v7, s[0:1]
	v_add_co_u32_e64 v6, s[0:1], v6, v8
	v_addc_co_u32_e64 v7, s[0:1], 0, v7, s[0:1]
	v_mov_b32_e32 v8, s15
	v_add_co_u32_e64 v4, s[0:1], s14, v4
	global_store_byte v[6:7], v9, off
	v_or_b32_e32 v6, 0x2a00, v0
	v_addc_co_u32_e64 v5, s[0:1], v8, v5, s[0:1]
	v_add_co_u32_e64 v4, s[0:1], v4, v6
	v_xor_b32_e32 v7, 0x80, v21
	v_addc_co_u32_e64 v5, s[0:1], 0, v5, s[0:1]
	global_store_byte v[4:5], v7, off
	s_load_dword s0, s[4:5], 0x58
                                        ; implicit-def: $vgpr4_vgpr5
	s_waitcnt lgkmcnt(0)
	s_add_i32 s0, s0, -1
	s_cmp_eq_u32 s0, s6
	s_cselect_b64 s[0:1], -1, 0
	s_and_b64 s[2:3], vcc, s[0:1]
	s_and_saveexec_b64 s[0:1], s[2:3]
; %bb.152:
	v_add_co_u32_e32 v4, vcc, v2, v10
	v_addc_co_u32_e32 v5, vcc, 0, v3, vcc
	s_or_b64 s[18:19], s[18:19], exec
; %bb.153:
	s_or_b64 exec, exec, s[0:1]
.LBB223_154:
	s_and_saveexec_b64 s[0:1], s[18:19]
	s_cbranch_execnz .LBB223_156
; %bb.155:
	s_endpgm
.LBB223_156:
	v_lshlrev_b32_e32 v2, 3, v0
	ds_read_b64 v[2:3], v2
	v_lshlrev_b64 v[0:1], 3, v[0:1]
	v_mov_b32_e32 v6, s11
	v_add_co_u32_e32 v0, vcc, s10, v0
	v_addc_co_u32_e32 v1, vcc, v6, v1, vcc
	s_waitcnt lgkmcnt(0)
	v_add_co_u32_e32 v2, vcc, v2, v4
	v_addc_co_u32_e32 v3, vcc, v3, v5, vcc
	global_store_dwordx2 v[0:1], v[2:3], off
	s_endpgm
	.section	.rodata,"a",@progbits
	.p2align	6, 0x0
	.amdhsa_kernel _ZN7rocprim17ROCPRIM_400000_NS6detail17trampoline_kernelINS0_14default_configENS1_35radix_sort_onesweep_config_selectorIaNS0_10empty_typeEEEZZNS1_29radix_sort_onesweep_iterationIS3_Lb0EPaS8_PS5_S9_mNS0_19identity_decomposerENS1_16block_id_wrapperIjLb0EEEEE10hipError_tT1_PNSt15iterator_traitsISE_E10value_typeET2_T3_PNSF_ISK_E10value_typeET4_T5_PSP_SQ_PNS1_23onesweep_lookback_stateEbbT6_jjT7_P12ihipStream_tbENKUlT_T0_SE_SJ_E_clIS8_S8_S9_S9_EEDaSX_SY_SE_SJ_EUlSX_E_NS1_11comp_targetILNS1_3genE4ELNS1_11target_archE910ELNS1_3gpuE8ELNS1_3repE0EEENS1_47radix_sort_onesweep_sort_config_static_selectorELNS0_4arch9wavefront6targetE1EEEvSE_
		.amdhsa_group_segment_fixed_size 16424
		.amdhsa_private_segment_fixed_size 0
		.amdhsa_kernarg_size 344
		.amdhsa_user_sgpr_count 6
		.amdhsa_user_sgpr_private_segment_buffer 1
		.amdhsa_user_sgpr_dispatch_ptr 0
		.amdhsa_user_sgpr_queue_ptr 0
		.amdhsa_user_sgpr_kernarg_segment_ptr 1
		.amdhsa_user_sgpr_dispatch_id 0
		.amdhsa_user_sgpr_flat_scratch_init 0
		.amdhsa_user_sgpr_kernarg_preload_length 0
		.amdhsa_user_sgpr_kernarg_preload_offset 0
		.amdhsa_user_sgpr_private_segment_size 0
		.amdhsa_uses_dynamic_stack 0
		.amdhsa_system_sgpr_private_segment_wavefront_offset 0
		.amdhsa_system_sgpr_workgroup_id_x 1
		.amdhsa_system_sgpr_workgroup_id_y 0
		.amdhsa_system_sgpr_workgroup_id_z 0
		.amdhsa_system_sgpr_workgroup_info 0
		.amdhsa_system_vgpr_workitem_id 0
		.amdhsa_next_free_vgpr 79
		.amdhsa_next_free_sgpr 30
		.amdhsa_accum_offset 80
		.amdhsa_reserve_vcc 1
		.amdhsa_reserve_flat_scratch 0
		.amdhsa_float_round_mode_32 0
		.amdhsa_float_round_mode_16_64 0
		.amdhsa_float_denorm_mode_32 3
		.amdhsa_float_denorm_mode_16_64 3
		.amdhsa_dx10_clamp 1
		.amdhsa_ieee_mode 1
		.amdhsa_fp16_overflow 0
		.amdhsa_tg_split 0
		.amdhsa_exception_fp_ieee_invalid_op 0
		.amdhsa_exception_fp_denorm_src 0
		.amdhsa_exception_fp_ieee_div_zero 0
		.amdhsa_exception_fp_ieee_overflow 0
		.amdhsa_exception_fp_ieee_underflow 0
		.amdhsa_exception_fp_ieee_inexact 0
		.amdhsa_exception_int_div_zero 0
	.end_amdhsa_kernel
	.section	.text._ZN7rocprim17ROCPRIM_400000_NS6detail17trampoline_kernelINS0_14default_configENS1_35radix_sort_onesweep_config_selectorIaNS0_10empty_typeEEEZZNS1_29radix_sort_onesweep_iterationIS3_Lb0EPaS8_PS5_S9_mNS0_19identity_decomposerENS1_16block_id_wrapperIjLb0EEEEE10hipError_tT1_PNSt15iterator_traitsISE_E10value_typeET2_T3_PNSF_ISK_E10value_typeET4_T5_PSP_SQ_PNS1_23onesweep_lookback_stateEbbT6_jjT7_P12ihipStream_tbENKUlT_T0_SE_SJ_E_clIS8_S8_S9_S9_EEDaSX_SY_SE_SJ_EUlSX_E_NS1_11comp_targetILNS1_3genE4ELNS1_11target_archE910ELNS1_3gpuE8ELNS1_3repE0EEENS1_47radix_sort_onesweep_sort_config_static_selectorELNS0_4arch9wavefront6targetE1EEEvSE_,"axG",@progbits,_ZN7rocprim17ROCPRIM_400000_NS6detail17trampoline_kernelINS0_14default_configENS1_35radix_sort_onesweep_config_selectorIaNS0_10empty_typeEEEZZNS1_29radix_sort_onesweep_iterationIS3_Lb0EPaS8_PS5_S9_mNS0_19identity_decomposerENS1_16block_id_wrapperIjLb0EEEEE10hipError_tT1_PNSt15iterator_traitsISE_E10value_typeET2_T3_PNSF_ISK_E10value_typeET4_T5_PSP_SQ_PNS1_23onesweep_lookback_stateEbbT6_jjT7_P12ihipStream_tbENKUlT_T0_SE_SJ_E_clIS8_S8_S9_S9_EEDaSX_SY_SE_SJ_EUlSX_E_NS1_11comp_targetILNS1_3genE4ELNS1_11target_archE910ELNS1_3gpuE8ELNS1_3repE0EEENS1_47radix_sort_onesweep_sort_config_static_selectorELNS0_4arch9wavefront6targetE1EEEvSE_,comdat
.Lfunc_end223:
	.size	_ZN7rocprim17ROCPRIM_400000_NS6detail17trampoline_kernelINS0_14default_configENS1_35radix_sort_onesweep_config_selectorIaNS0_10empty_typeEEEZZNS1_29radix_sort_onesweep_iterationIS3_Lb0EPaS8_PS5_S9_mNS0_19identity_decomposerENS1_16block_id_wrapperIjLb0EEEEE10hipError_tT1_PNSt15iterator_traitsISE_E10value_typeET2_T3_PNSF_ISK_E10value_typeET4_T5_PSP_SQ_PNS1_23onesweep_lookback_stateEbbT6_jjT7_P12ihipStream_tbENKUlT_T0_SE_SJ_E_clIS8_S8_S9_S9_EEDaSX_SY_SE_SJ_EUlSX_E_NS1_11comp_targetILNS1_3genE4ELNS1_11target_archE910ELNS1_3gpuE8ELNS1_3repE0EEENS1_47radix_sort_onesweep_sort_config_static_selectorELNS0_4arch9wavefront6targetE1EEEvSE_, .Lfunc_end223-_ZN7rocprim17ROCPRIM_400000_NS6detail17trampoline_kernelINS0_14default_configENS1_35radix_sort_onesweep_config_selectorIaNS0_10empty_typeEEEZZNS1_29radix_sort_onesweep_iterationIS3_Lb0EPaS8_PS5_S9_mNS0_19identity_decomposerENS1_16block_id_wrapperIjLb0EEEEE10hipError_tT1_PNSt15iterator_traitsISE_E10value_typeET2_T3_PNSF_ISK_E10value_typeET4_T5_PSP_SQ_PNS1_23onesweep_lookback_stateEbbT6_jjT7_P12ihipStream_tbENKUlT_T0_SE_SJ_E_clIS8_S8_S9_S9_EEDaSX_SY_SE_SJ_EUlSX_E_NS1_11comp_targetILNS1_3genE4ELNS1_11target_archE910ELNS1_3gpuE8ELNS1_3repE0EEENS1_47radix_sort_onesweep_sort_config_static_selectorELNS0_4arch9wavefront6targetE1EEEvSE_
                                        ; -- End function
	.section	.AMDGPU.csdata,"",@progbits
; Kernel info:
; codeLenInByte = 12740
; NumSgprs: 34
; NumVgprs: 79
; NumAgprs: 0
; TotalNumVgprs: 79
; ScratchSize: 0
; MemoryBound: 0
; FloatMode: 240
; IeeeMode: 1
; LDSByteSize: 16424 bytes/workgroup (compile time only)
; SGPRBlocks: 4
; VGPRBlocks: 9
; NumSGPRsForWavesPerEU: 34
; NumVGPRsForWavesPerEU: 79
; AccumOffset: 80
; Occupancy: 6
; WaveLimiterHint : 0
; COMPUTE_PGM_RSRC2:SCRATCH_EN: 0
; COMPUTE_PGM_RSRC2:USER_SGPR: 6
; COMPUTE_PGM_RSRC2:TRAP_HANDLER: 0
; COMPUTE_PGM_RSRC2:TGID_X_EN: 1
; COMPUTE_PGM_RSRC2:TGID_Y_EN: 0
; COMPUTE_PGM_RSRC2:TGID_Z_EN: 0
; COMPUTE_PGM_RSRC2:TIDIG_COMP_CNT: 0
; COMPUTE_PGM_RSRC3_GFX90A:ACCUM_OFFSET: 19
; COMPUTE_PGM_RSRC3_GFX90A:TG_SPLIT: 0
	.section	.text._ZN7rocprim17ROCPRIM_400000_NS6detail17trampoline_kernelINS0_14default_configENS1_35radix_sort_onesweep_config_selectorIaNS0_10empty_typeEEEZZNS1_29radix_sort_onesweep_iterationIS3_Lb0EPaS8_PS5_S9_mNS0_19identity_decomposerENS1_16block_id_wrapperIjLb0EEEEE10hipError_tT1_PNSt15iterator_traitsISE_E10value_typeET2_T3_PNSF_ISK_E10value_typeET4_T5_PSP_SQ_PNS1_23onesweep_lookback_stateEbbT6_jjT7_P12ihipStream_tbENKUlT_T0_SE_SJ_E_clIS8_S8_S9_S9_EEDaSX_SY_SE_SJ_EUlSX_E_NS1_11comp_targetILNS1_3genE3ELNS1_11target_archE908ELNS1_3gpuE7ELNS1_3repE0EEENS1_47radix_sort_onesweep_sort_config_static_selectorELNS0_4arch9wavefront6targetE1EEEvSE_,"axG",@progbits,_ZN7rocprim17ROCPRIM_400000_NS6detail17trampoline_kernelINS0_14default_configENS1_35radix_sort_onesweep_config_selectorIaNS0_10empty_typeEEEZZNS1_29radix_sort_onesweep_iterationIS3_Lb0EPaS8_PS5_S9_mNS0_19identity_decomposerENS1_16block_id_wrapperIjLb0EEEEE10hipError_tT1_PNSt15iterator_traitsISE_E10value_typeET2_T3_PNSF_ISK_E10value_typeET4_T5_PSP_SQ_PNS1_23onesweep_lookback_stateEbbT6_jjT7_P12ihipStream_tbENKUlT_T0_SE_SJ_E_clIS8_S8_S9_S9_EEDaSX_SY_SE_SJ_EUlSX_E_NS1_11comp_targetILNS1_3genE3ELNS1_11target_archE908ELNS1_3gpuE7ELNS1_3repE0EEENS1_47radix_sort_onesweep_sort_config_static_selectorELNS0_4arch9wavefront6targetE1EEEvSE_,comdat
	.protected	_ZN7rocprim17ROCPRIM_400000_NS6detail17trampoline_kernelINS0_14default_configENS1_35radix_sort_onesweep_config_selectorIaNS0_10empty_typeEEEZZNS1_29radix_sort_onesweep_iterationIS3_Lb0EPaS8_PS5_S9_mNS0_19identity_decomposerENS1_16block_id_wrapperIjLb0EEEEE10hipError_tT1_PNSt15iterator_traitsISE_E10value_typeET2_T3_PNSF_ISK_E10value_typeET4_T5_PSP_SQ_PNS1_23onesweep_lookback_stateEbbT6_jjT7_P12ihipStream_tbENKUlT_T0_SE_SJ_E_clIS8_S8_S9_S9_EEDaSX_SY_SE_SJ_EUlSX_E_NS1_11comp_targetILNS1_3genE3ELNS1_11target_archE908ELNS1_3gpuE7ELNS1_3repE0EEENS1_47radix_sort_onesweep_sort_config_static_selectorELNS0_4arch9wavefront6targetE1EEEvSE_ ; -- Begin function _ZN7rocprim17ROCPRIM_400000_NS6detail17trampoline_kernelINS0_14default_configENS1_35radix_sort_onesweep_config_selectorIaNS0_10empty_typeEEEZZNS1_29radix_sort_onesweep_iterationIS3_Lb0EPaS8_PS5_S9_mNS0_19identity_decomposerENS1_16block_id_wrapperIjLb0EEEEE10hipError_tT1_PNSt15iterator_traitsISE_E10value_typeET2_T3_PNSF_ISK_E10value_typeET4_T5_PSP_SQ_PNS1_23onesweep_lookback_stateEbbT6_jjT7_P12ihipStream_tbENKUlT_T0_SE_SJ_E_clIS8_S8_S9_S9_EEDaSX_SY_SE_SJ_EUlSX_E_NS1_11comp_targetILNS1_3genE3ELNS1_11target_archE908ELNS1_3gpuE7ELNS1_3repE0EEENS1_47radix_sort_onesweep_sort_config_static_selectorELNS0_4arch9wavefront6targetE1EEEvSE_
	.globl	_ZN7rocprim17ROCPRIM_400000_NS6detail17trampoline_kernelINS0_14default_configENS1_35radix_sort_onesweep_config_selectorIaNS0_10empty_typeEEEZZNS1_29radix_sort_onesweep_iterationIS3_Lb0EPaS8_PS5_S9_mNS0_19identity_decomposerENS1_16block_id_wrapperIjLb0EEEEE10hipError_tT1_PNSt15iterator_traitsISE_E10value_typeET2_T3_PNSF_ISK_E10value_typeET4_T5_PSP_SQ_PNS1_23onesweep_lookback_stateEbbT6_jjT7_P12ihipStream_tbENKUlT_T0_SE_SJ_E_clIS8_S8_S9_S9_EEDaSX_SY_SE_SJ_EUlSX_E_NS1_11comp_targetILNS1_3genE3ELNS1_11target_archE908ELNS1_3gpuE7ELNS1_3repE0EEENS1_47radix_sort_onesweep_sort_config_static_selectorELNS0_4arch9wavefront6targetE1EEEvSE_
	.p2align	8
	.type	_ZN7rocprim17ROCPRIM_400000_NS6detail17trampoline_kernelINS0_14default_configENS1_35radix_sort_onesweep_config_selectorIaNS0_10empty_typeEEEZZNS1_29radix_sort_onesweep_iterationIS3_Lb0EPaS8_PS5_S9_mNS0_19identity_decomposerENS1_16block_id_wrapperIjLb0EEEEE10hipError_tT1_PNSt15iterator_traitsISE_E10value_typeET2_T3_PNSF_ISK_E10value_typeET4_T5_PSP_SQ_PNS1_23onesweep_lookback_stateEbbT6_jjT7_P12ihipStream_tbENKUlT_T0_SE_SJ_E_clIS8_S8_S9_S9_EEDaSX_SY_SE_SJ_EUlSX_E_NS1_11comp_targetILNS1_3genE3ELNS1_11target_archE908ELNS1_3gpuE7ELNS1_3repE0EEENS1_47radix_sort_onesweep_sort_config_static_selectorELNS0_4arch9wavefront6targetE1EEEvSE_,@function
_ZN7rocprim17ROCPRIM_400000_NS6detail17trampoline_kernelINS0_14default_configENS1_35radix_sort_onesweep_config_selectorIaNS0_10empty_typeEEEZZNS1_29radix_sort_onesweep_iterationIS3_Lb0EPaS8_PS5_S9_mNS0_19identity_decomposerENS1_16block_id_wrapperIjLb0EEEEE10hipError_tT1_PNSt15iterator_traitsISE_E10value_typeET2_T3_PNSF_ISK_E10value_typeET4_T5_PSP_SQ_PNS1_23onesweep_lookback_stateEbbT6_jjT7_P12ihipStream_tbENKUlT_T0_SE_SJ_E_clIS8_S8_S9_S9_EEDaSX_SY_SE_SJ_EUlSX_E_NS1_11comp_targetILNS1_3genE3ELNS1_11target_archE908ELNS1_3gpuE7ELNS1_3repE0EEENS1_47radix_sort_onesweep_sort_config_static_selectorELNS0_4arch9wavefront6targetE1EEEvSE_: ; @_ZN7rocprim17ROCPRIM_400000_NS6detail17trampoline_kernelINS0_14default_configENS1_35radix_sort_onesweep_config_selectorIaNS0_10empty_typeEEEZZNS1_29radix_sort_onesweep_iterationIS3_Lb0EPaS8_PS5_S9_mNS0_19identity_decomposerENS1_16block_id_wrapperIjLb0EEEEE10hipError_tT1_PNSt15iterator_traitsISE_E10value_typeET2_T3_PNSF_ISK_E10value_typeET4_T5_PSP_SQ_PNS1_23onesweep_lookback_stateEbbT6_jjT7_P12ihipStream_tbENKUlT_T0_SE_SJ_E_clIS8_S8_S9_S9_EEDaSX_SY_SE_SJ_EUlSX_E_NS1_11comp_targetILNS1_3genE3ELNS1_11target_archE908ELNS1_3gpuE7ELNS1_3repE0EEENS1_47radix_sort_onesweep_sort_config_static_selectorELNS0_4arch9wavefront6targetE1EEEvSE_
; %bb.0:
	.section	.rodata,"a",@progbits
	.p2align	6, 0x0
	.amdhsa_kernel _ZN7rocprim17ROCPRIM_400000_NS6detail17trampoline_kernelINS0_14default_configENS1_35radix_sort_onesweep_config_selectorIaNS0_10empty_typeEEEZZNS1_29radix_sort_onesweep_iterationIS3_Lb0EPaS8_PS5_S9_mNS0_19identity_decomposerENS1_16block_id_wrapperIjLb0EEEEE10hipError_tT1_PNSt15iterator_traitsISE_E10value_typeET2_T3_PNSF_ISK_E10value_typeET4_T5_PSP_SQ_PNS1_23onesweep_lookback_stateEbbT6_jjT7_P12ihipStream_tbENKUlT_T0_SE_SJ_E_clIS8_S8_S9_S9_EEDaSX_SY_SE_SJ_EUlSX_E_NS1_11comp_targetILNS1_3genE3ELNS1_11target_archE908ELNS1_3gpuE7ELNS1_3repE0EEENS1_47radix_sort_onesweep_sort_config_static_selectorELNS0_4arch9wavefront6targetE1EEEvSE_
		.amdhsa_group_segment_fixed_size 0
		.amdhsa_private_segment_fixed_size 0
		.amdhsa_kernarg_size 88
		.amdhsa_user_sgpr_count 6
		.amdhsa_user_sgpr_private_segment_buffer 1
		.amdhsa_user_sgpr_dispatch_ptr 0
		.amdhsa_user_sgpr_queue_ptr 0
		.amdhsa_user_sgpr_kernarg_segment_ptr 1
		.amdhsa_user_sgpr_dispatch_id 0
		.amdhsa_user_sgpr_flat_scratch_init 0
		.amdhsa_user_sgpr_kernarg_preload_length 0
		.amdhsa_user_sgpr_kernarg_preload_offset 0
		.amdhsa_user_sgpr_private_segment_size 0
		.amdhsa_uses_dynamic_stack 0
		.amdhsa_system_sgpr_private_segment_wavefront_offset 0
		.amdhsa_system_sgpr_workgroup_id_x 1
		.amdhsa_system_sgpr_workgroup_id_y 0
		.amdhsa_system_sgpr_workgroup_id_z 0
		.amdhsa_system_sgpr_workgroup_info 0
		.amdhsa_system_vgpr_workitem_id 0
		.amdhsa_next_free_vgpr 1
		.amdhsa_next_free_sgpr 0
		.amdhsa_accum_offset 4
		.amdhsa_reserve_vcc 0
		.amdhsa_reserve_flat_scratch 0
		.amdhsa_float_round_mode_32 0
		.amdhsa_float_round_mode_16_64 0
		.amdhsa_float_denorm_mode_32 3
		.amdhsa_float_denorm_mode_16_64 3
		.amdhsa_dx10_clamp 1
		.amdhsa_ieee_mode 1
		.amdhsa_fp16_overflow 0
		.amdhsa_tg_split 0
		.amdhsa_exception_fp_ieee_invalid_op 0
		.amdhsa_exception_fp_denorm_src 0
		.amdhsa_exception_fp_ieee_div_zero 0
		.amdhsa_exception_fp_ieee_overflow 0
		.amdhsa_exception_fp_ieee_underflow 0
		.amdhsa_exception_fp_ieee_inexact 0
		.amdhsa_exception_int_div_zero 0
	.end_amdhsa_kernel
	.section	.text._ZN7rocprim17ROCPRIM_400000_NS6detail17trampoline_kernelINS0_14default_configENS1_35radix_sort_onesweep_config_selectorIaNS0_10empty_typeEEEZZNS1_29radix_sort_onesweep_iterationIS3_Lb0EPaS8_PS5_S9_mNS0_19identity_decomposerENS1_16block_id_wrapperIjLb0EEEEE10hipError_tT1_PNSt15iterator_traitsISE_E10value_typeET2_T3_PNSF_ISK_E10value_typeET4_T5_PSP_SQ_PNS1_23onesweep_lookback_stateEbbT6_jjT7_P12ihipStream_tbENKUlT_T0_SE_SJ_E_clIS8_S8_S9_S9_EEDaSX_SY_SE_SJ_EUlSX_E_NS1_11comp_targetILNS1_3genE3ELNS1_11target_archE908ELNS1_3gpuE7ELNS1_3repE0EEENS1_47radix_sort_onesweep_sort_config_static_selectorELNS0_4arch9wavefront6targetE1EEEvSE_,"axG",@progbits,_ZN7rocprim17ROCPRIM_400000_NS6detail17trampoline_kernelINS0_14default_configENS1_35radix_sort_onesweep_config_selectorIaNS0_10empty_typeEEEZZNS1_29radix_sort_onesweep_iterationIS3_Lb0EPaS8_PS5_S9_mNS0_19identity_decomposerENS1_16block_id_wrapperIjLb0EEEEE10hipError_tT1_PNSt15iterator_traitsISE_E10value_typeET2_T3_PNSF_ISK_E10value_typeET4_T5_PSP_SQ_PNS1_23onesweep_lookback_stateEbbT6_jjT7_P12ihipStream_tbENKUlT_T0_SE_SJ_E_clIS8_S8_S9_S9_EEDaSX_SY_SE_SJ_EUlSX_E_NS1_11comp_targetILNS1_3genE3ELNS1_11target_archE908ELNS1_3gpuE7ELNS1_3repE0EEENS1_47radix_sort_onesweep_sort_config_static_selectorELNS0_4arch9wavefront6targetE1EEEvSE_,comdat
.Lfunc_end224:
	.size	_ZN7rocprim17ROCPRIM_400000_NS6detail17trampoline_kernelINS0_14default_configENS1_35radix_sort_onesweep_config_selectorIaNS0_10empty_typeEEEZZNS1_29radix_sort_onesweep_iterationIS3_Lb0EPaS8_PS5_S9_mNS0_19identity_decomposerENS1_16block_id_wrapperIjLb0EEEEE10hipError_tT1_PNSt15iterator_traitsISE_E10value_typeET2_T3_PNSF_ISK_E10value_typeET4_T5_PSP_SQ_PNS1_23onesweep_lookback_stateEbbT6_jjT7_P12ihipStream_tbENKUlT_T0_SE_SJ_E_clIS8_S8_S9_S9_EEDaSX_SY_SE_SJ_EUlSX_E_NS1_11comp_targetILNS1_3genE3ELNS1_11target_archE908ELNS1_3gpuE7ELNS1_3repE0EEENS1_47radix_sort_onesweep_sort_config_static_selectorELNS0_4arch9wavefront6targetE1EEEvSE_, .Lfunc_end224-_ZN7rocprim17ROCPRIM_400000_NS6detail17trampoline_kernelINS0_14default_configENS1_35radix_sort_onesweep_config_selectorIaNS0_10empty_typeEEEZZNS1_29radix_sort_onesweep_iterationIS3_Lb0EPaS8_PS5_S9_mNS0_19identity_decomposerENS1_16block_id_wrapperIjLb0EEEEE10hipError_tT1_PNSt15iterator_traitsISE_E10value_typeET2_T3_PNSF_ISK_E10value_typeET4_T5_PSP_SQ_PNS1_23onesweep_lookback_stateEbbT6_jjT7_P12ihipStream_tbENKUlT_T0_SE_SJ_E_clIS8_S8_S9_S9_EEDaSX_SY_SE_SJ_EUlSX_E_NS1_11comp_targetILNS1_3genE3ELNS1_11target_archE908ELNS1_3gpuE7ELNS1_3repE0EEENS1_47radix_sort_onesweep_sort_config_static_selectorELNS0_4arch9wavefront6targetE1EEEvSE_
                                        ; -- End function
	.section	.AMDGPU.csdata,"",@progbits
; Kernel info:
; codeLenInByte = 0
; NumSgprs: 4
; NumVgprs: 0
; NumAgprs: 0
; TotalNumVgprs: 0
; ScratchSize: 0
; MemoryBound: 0
; FloatMode: 240
; IeeeMode: 1
; LDSByteSize: 0 bytes/workgroup (compile time only)
; SGPRBlocks: 0
; VGPRBlocks: 0
; NumSGPRsForWavesPerEU: 4
; NumVGPRsForWavesPerEU: 1
; AccumOffset: 4
; Occupancy: 8
; WaveLimiterHint : 0
; COMPUTE_PGM_RSRC2:SCRATCH_EN: 0
; COMPUTE_PGM_RSRC2:USER_SGPR: 6
; COMPUTE_PGM_RSRC2:TRAP_HANDLER: 0
; COMPUTE_PGM_RSRC2:TGID_X_EN: 1
; COMPUTE_PGM_RSRC2:TGID_Y_EN: 0
; COMPUTE_PGM_RSRC2:TGID_Z_EN: 0
; COMPUTE_PGM_RSRC2:TIDIG_COMP_CNT: 0
; COMPUTE_PGM_RSRC3_GFX90A:ACCUM_OFFSET: 0
; COMPUTE_PGM_RSRC3_GFX90A:TG_SPLIT: 0
	.section	.text._ZN7rocprim17ROCPRIM_400000_NS6detail17trampoline_kernelINS0_14default_configENS1_35radix_sort_onesweep_config_selectorIaNS0_10empty_typeEEEZZNS1_29radix_sort_onesweep_iterationIS3_Lb0EPaS8_PS5_S9_mNS0_19identity_decomposerENS1_16block_id_wrapperIjLb0EEEEE10hipError_tT1_PNSt15iterator_traitsISE_E10value_typeET2_T3_PNSF_ISK_E10value_typeET4_T5_PSP_SQ_PNS1_23onesweep_lookback_stateEbbT6_jjT7_P12ihipStream_tbENKUlT_T0_SE_SJ_E_clIS8_S8_S9_S9_EEDaSX_SY_SE_SJ_EUlSX_E_NS1_11comp_targetILNS1_3genE10ELNS1_11target_archE1201ELNS1_3gpuE5ELNS1_3repE0EEENS1_47radix_sort_onesweep_sort_config_static_selectorELNS0_4arch9wavefront6targetE1EEEvSE_,"axG",@progbits,_ZN7rocprim17ROCPRIM_400000_NS6detail17trampoline_kernelINS0_14default_configENS1_35radix_sort_onesweep_config_selectorIaNS0_10empty_typeEEEZZNS1_29radix_sort_onesweep_iterationIS3_Lb0EPaS8_PS5_S9_mNS0_19identity_decomposerENS1_16block_id_wrapperIjLb0EEEEE10hipError_tT1_PNSt15iterator_traitsISE_E10value_typeET2_T3_PNSF_ISK_E10value_typeET4_T5_PSP_SQ_PNS1_23onesweep_lookback_stateEbbT6_jjT7_P12ihipStream_tbENKUlT_T0_SE_SJ_E_clIS8_S8_S9_S9_EEDaSX_SY_SE_SJ_EUlSX_E_NS1_11comp_targetILNS1_3genE10ELNS1_11target_archE1201ELNS1_3gpuE5ELNS1_3repE0EEENS1_47radix_sort_onesweep_sort_config_static_selectorELNS0_4arch9wavefront6targetE1EEEvSE_,comdat
	.protected	_ZN7rocprim17ROCPRIM_400000_NS6detail17trampoline_kernelINS0_14default_configENS1_35radix_sort_onesweep_config_selectorIaNS0_10empty_typeEEEZZNS1_29radix_sort_onesweep_iterationIS3_Lb0EPaS8_PS5_S9_mNS0_19identity_decomposerENS1_16block_id_wrapperIjLb0EEEEE10hipError_tT1_PNSt15iterator_traitsISE_E10value_typeET2_T3_PNSF_ISK_E10value_typeET4_T5_PSP_SQ_PNS1_23onesweep_lookback_stateEbbT6_jjT7_P12ihipStream_tbENKUlT_T0_SE_SJ_E_clIS8_S8_S9_S9_EEDaSX_SY_SE_SJ_EUlSX_E_NS1_11comp_targetILNS1_3genE10ELNS1_11target_archE1201ELNS1_3gpuE5ELNS1_3repE0EEENS1_47radix_sort_onesweep_sort_config_static_selectorELNS0_4arch9wavefront6targetE1EEEvSE_ ; -- Begin function _ZN7rocprim17ROCPRIM_400000_NS6detail17trampoline_kernelINS0_14default_configENS1_35radix_sort_onesweep_config_selectorIaNS0_10empty_typeEEEZZNS1_29radix_sort_onesweep_iterationIS3_Lb0EPaS8_PS5_S9_mNS0_19identity_decomposerENS1_16block_id_wrapperIjLb0EEEEE10hipError_tT1_PNSt15iterator_traitsISE_E10value_typeET2_T3_PNSF_ISK_E10value_typeET4_T5_PSP_SQ_PNS1_23onesweep_lookback_stateEbbT6_jjT7_P12ihipStream_tbENKUlT_T0_SE_SJ_E_clIS8_S8_S9_S9_EEDaSX_SY_SE_SJ_EUlSX_E_NS1_11comp_targetILNS1_3genE10ELNS1_11target_archE1201ELNS1_3gpuE5ELNS1_3repE0EEENS1_47radix_sort_onesweep_sort_config_static_selectorELNS0_4arch9wavefront6targetE1EEEvSE_
	.globl	_ZN7rocprim17ROCPRIM_400000_NS6detail17trampoline_kernelINS0_14default_configENS1_35radix_sort_onesweep_config_selectorIaNS0_10empty_typeEEEZZNS1_29radix_sort_onesweep_iterationIS3_Lb0EPaS8_PS5_S9_mNS0_19identity_decomposerENS1_16block_id_wrapperIjLb0EEEEE10hipError_tT1_PNSt15iterator_traitsISE_E10value_typeET2_T3_PNSF_ISK_E10value_typeET4_T5_PSP_SQ_PNS1_23onesweep_lookback_stateEbbT6_jjT7_P12ihipStream_tbENKUlT_T0_SE_SJ_E_clIS8_S8_S9_S9_EEDaSX_SY_SE_SJ_EUlSX_E_NS1_11comp_targetILNS1_3genE10ELNS1_11target_archE1201ELNS1_3gpuE5ELNS1_3repE0EEENS1_47radix_sort_onesweep_sort_config_static_selectorELNS0_4arch9wavefront6targetE1EEEvSE_
	.p2align	8
	.type	_ZN7rocprim17ROCPRIM_400000_NS6detail17trampoline_kernelINS0_14default_configENS1_35radix_sort_onesweep_config_selectorIaNS0_10empty_typeEEEZZNS1_29radix_sort_onesweep_iterationIS3_Lb0EPaS8_PS5_S9_mNS0_19identity_decomposerENS1_16block_id_wrapperIjLb0EEEEE10hipError_tT1_PNSt15iterator_traitsISE_E10value_typeET2_T3_PNSF_ISK_E10value_typeET4_T5_PSP_SQ_PNS1_23onesweep_lookback_stateEbbT6_jjT7_P12ihipStream_tbENKUlT_T0_SE_SJ_E_clIS8_S8_S9_S9_EEDaSX_SY_SE_SJ_EUlSX_E_NS1_11comp_targetILNS1_3genE10ELNS1_11target_archE1201ELNS1_3gpuE5ELNS1_3repE0EEENS1_47radix_sort_onesweep_sort_config_static_selectorELNS0_4arch9wavefront6targetE1EEEvSE_,@function
_ZN7rocprim17ROCPRIM_400000_NS6detail17trampoline_kernelINS0_14default_configENS1_35radix_sort_onesweep_config_selectorIaNS0_10empty_typeEEEZZNS1_29radix_sort_onesweep_iterationIS3_Lb0EPaS8_PS5_S9_mNS0_19identity_decomposerENS1_16block_id_wrapperIjLb0EEEEE10hipError_tT1_PNSt15iterator_traitsISE_E10value_typeET2_T3_PNSF_ISK_E10value_typeET4_T5_PSP_SQ_PNS1_23onesweep_lookback_stateEbbT6_jjT7_P12ihipStream_tbENKUlT_T0_SE_SJ_E_clIS8_S8_S9_S9_EEDaSX_SY_SE_SJ_EUlSX_E_NS1_11comp_targetILNS1_3genE10ELNS1_11target_archE1201ELNS1_3gpuE5ELNS1_3repE0EEENS1_47radix_sort_onesweep_sort_config_static_selectorELNS0_4arch9wavefront6targetE1EEEvSE_: ; @_ZN7rocprim17ROCPRIM_400000_NS6detail17trampoline_kernelINS0_14default_configENS1_35radix_sort_onesweep_config_selectorIaNS0_10empty_typeEEEZZNS1_29radix_sort_onesweep_iterationIS3_Lb0EPaS8_PS5_S9_mNS0_19identity_decomposerENS1_16block_id_wrapperIjLb0EEEEE10hipError_tT1_PNSt15iterator_traitsISE_E10value_typeET2_T3_PNSF_ISK_E10value_typeET4_T5_PSP_SQ_PNS1_23onesweep_lookback_stateEbbT6_jjT7_P12ihipStream_tbENKUlT_T0_SE_SJ_E_clIS8_S8_S9_S9_EEDaSX_SY_SE_SJ_EUlSX_E_NS1_11comp_targetILNS1_3genE10ELNS1_11target_archE1201ELNS1_3gpuE5ELNS1_3repE0EEENS1_47radix_sort_onesweep_sort_config_static_selectorELNS0_4arch9wavefront6targetE1EEEvSE_
; %bb.0:
	.section	.rodata,"a",@progbits
	.p2align	6, 0x0
	.amdhsa_kernel _ZN7rocprim17ROCPRIM_400000_NS6detail17trampoline_kernelINS0_14default_configENS1_35radix_sort_onesweep_config_selectorIaNS0_10empty_typeEEEZZNS1_29radix_sort_onesweep_iterationIS3_Lb0EPaS8_PS5_S9_mNS0_19identity_decomposerENS1_16block_id_wrapperIjLb0EEEEE10hipError_tT1_PNSt15iterator_traitsISE_E10value_typeET2_T3_PNSF_ISK_E10value_typeET4_T5_PSP_SQ_PNS1_23onesweep_lookback_stateEbbT6_jjT7_P12ihipStream_tbENKUlT_T0_SE_SJ_E_clIS8_S8_S9_S9_EEDaSX_SY_SE_SJ_EUlSX_E_NS1_11comp_targetILNS1_3genE10ELNS1_11target_archE1201ELNS1_3gpuE5ELNS1_3repE0EEENS1_47radix_sort_onesweep_sort_config_static_selectorELNS0_4arch9wavefront6targetE1EEEvSE_
		.amdhsa_group_segment_fixed_size 0
		.amdhsa_private_segment_fixed_size 0
		.amdhsa_kernarg_size 88
		.amdhsa_user_sgpr_count 6
		.amdhsa_user_sgpr_private_segment_buffer 1
		.amdhsa_user_sgpr_dispatch_ptr 0
		.amdhsa_user_sgpr_queue_ptr 0
		.amdhsa_user_sgpr_kernarg_segment_ptr 1
		.amdhsa_user_sgpr_dispatch_id 0
		.amdhsa_user_sgpr_flat_scratch_init 0
		.amdhsa_user_sgpr_kernarg_preload_length 0
		.amdhsa_user_sgpr_kernarg_preload_offset 0
		.amdhsa_user_sgpr_private_segment_size 0
		.amdhsa_uses_dynamic_stack 0
		.amdhsa_system_sgpr_private_segment_wavefront_offset 0
		.amdhsa_system_sgpr_workgroup_id_x 1
		.amdhsa_system_sgpr_workgroup_id_y 0
		.amdhsa_system_sgpr_workgroup_id_z 0
		.amdhsa_system_sgpr_workgroup_info 0
		.amdhsa_system_vgpr_workitem_id 0
		.amdhsa_next_free_vgpr 1
		.amdhsa_next_free_sgpr 0
		.amdhsa_accum_offset 4
		.amdhsa_reserve_vcc 0
		.amdhsa_reserve_flat_scratch 0
		.amdhsa_float_round_mode_32 0
		.amdhsa_float_round_mode_16_64 0
		.amdhsa_float_denorm_mode_32 3
		.amdhsa_float_denorm_mode_16_64 3
		.amdhsa_dx10_clamp 1
		.amdhsa_ieee_mode 1
		.amdhsa_fp16_overflow 0
		.amdhsa_tg_split 0
		.amdhsa_exception_fp_ieee_invalid_op 0
		.amdhsa_exception_fp_denorm_src 0
		.amdhsa_exception_fp_ieee_div_zero 0
		.amdhsa_exception_fp_ieee_overflow 0
		.amdhsa_exception_fp_ieee_underflow 0
		.amdhsa_exception_fp_ieee_inexact 0
		.amdhsa_exception_int_div_zero 0
	.end_amdhsa_kernel
	.section	.text._ZN7rocprim17ROCPRIM_400000_NS6detail17trampoline_kernelINS0_14default_configENS1_35radix_sort_onesweep_config_selectorIaNS0_10empty_typeEEEZZNS1_29radix_sort_onesweep_iterationIS3_Lb0EPaS8_PS5_S9_mNS0_19identity_decomposerENS1_16block_id_wrapperIjLb0EEEEE10hipError_tT1_PNSt15iterator_traitsISE_E10value_typeET2_T3_PNSF_ISK_E10value_typeET4_T5_PSP_SQ_PNS1_23onesweep_lookback_stateEbbT6_jjT7_P12ihipStream_tbENKUlT_T0_SE_SJ_E_clIS8_S8_S9_S9_EEDaSX_SY_SE_SJ_EUlSX_E_NS1_11comp_targetILNS1_3genE10ELNS1_11target_archE1201ELNS1_3gpuE5ELNS1_3repE0EEENS1_47radix_sort_onesweep_sort_config_static_selectorELNS0_4arch9wavefront6targetE1EEEvSE_,"axG",@progbits,_ZN7rocprim17ROCPRIM_400000_NS6detail17trampoline_kernelINS0_14default_configENS1_35radix_sort_onesweep_config_selectorIaNS0_10empty_typeEEEZZNS1_29radix_sort_onesweep_iterationIS3_Lb0EPaS8_PS5_S9_mNS0_19identity_decomposerENS1_16block_id_wrapperIjLb0EEEEE10hipError_tT1_PNSt15iterator_traitsISE_E10value_typeET2_T3_PNSF_ISK_E10value_typeET4_T5_PSP_SQ_PNS1_23onesweep_lookback_stateEbbT6_jjT7_P12ihipStream_tbENKUlT_T0_SE_SJ_E_clIS8_S8_S9_S9_EEDaSX_SY_SE_SJ_EUlSX_E_NS1_11comp_targetILNS1_3genE10ELNS1_11target_archE1201ELNS1_3gpuE5ELNS1_3repE0EEENS1_47radix_sort_onesweep_sort_config_static_selectorELNS0_4arch9wavefront6targetE1EEEvSE_,comdat
.Lfunc_end225:
	.size	_ZN7rocprim17ROCPRIM_400000_NS6detail17trampoline_kernelINS0_14default_configENS1_35radix_sort_onesweep_config_selectorIaNS0_10empty_typeEEEZZNS1_29radix_sort_onesweep_iterationIS3_Lb0EPaS8_PS5_S9_mNS0_19identity_decomposerENS1_16block_id_wrapperIjLb0EEEEE10hipError_tT1_PNSt15iterator_traitsISE_E10value_typeET2_T3_PNSF_ISK_E10value_typeET4_T5_PSP_SQ_PNS1_23onesweep_lookback_stateEbbT6_jjT7_P12ihipStream_tbENKUlT_T0_SE_SJ_E_clIS8_S8_S9_S9_EEDaSX_SY_SE_SJ_EUlSX_E_NS1_11comp_targetILNS1_3genE10ELNS1_11target_archE1201ELNS1_3gpuE5ELNS1_3repE0EEENS1_47radix_sort_onesweep_sort_config_static_selectorELNS0_4arch9wavefront6targetE1EEEvSE_, .Lfunc_end225-_ZN7rocprim17ROCPRIM_400000_NS6detail17trampoline_kernelINS0_14default_configENS1_35radix_sort_onesweep_config_selectorIaNS0_10empty_typeEEEZZNS1_29radix_sort_onesweep_iterationIS3_Lb0EPaS8_PS5_S9_mNS0_19identity_decomposerENS1_16block_id_wrapperIjLb0EEEEE10hipError_tT1_PNSt15iterator_traitsISE_E10value_typeET2_T3_PNSF_ISK_E10value_typeET4_T5_PSP_SQ_PNS1_23onesweep_lookback_stateEbbT6_jjT7_P12ihipStream_tbENKUlT_T0_SE_SJ_E_clIS8_S8_S9_S9_EEDaSX_SY_SE_SJ_EUlSX_E_NS1_11comp_targetILNS1_3genE10ELNS1_11target_archE1201ELNS1_3gpuE5ELNS1_3repE0EEENS1_47radix_sort_onesweep_sort_config_static_selectorELNS0_4arch9wavefront6targetE1EEEvSE_
                                        ; -- End function
	.section	.AMDGPU.csdata,"",@progbits
; Kernel info:
; codeLenInByte = 0
; NumSgprs: 4
; NumVgprs: 0
; NumAgprs: 0
; TotalNumVgprs: 0
; ScratchSize: 0
; MemoryBound: 0
; FloatMode: 240
; IeeeMode: 1
; LDSByteSize: 0 bytes/workgroup (compile time only)
; SGPRBlocks: 0
; VGPRBlocks: 0
; NumSGPRsForWavesPerEU: 4
; NumVGPRsForWavesPerEU: 1
; AccumOffset: 4
; Occupancy: 8
; WaveLimiterHint : 0
; COMPUTE_PGM_RSRC2:SCRATCH_EN: 0
; COMPUTE_PGM_RSRC2:USER_SGPR: 6
; COMPUTE_PGM_RSRC2:TRAP_HANDLER: 0
; COMPUTE_PGM_RSRC2:TGID_X_EN: 1
; COMPUTE_PGM_RSRC2:TGID_Y_EN: 0
; COMPUTE_PGM_RSRC2:TGID_Z_EN: 0
; COMPUTE_PGM_RSRC2:TIDIG_COMP_CNT: 0
; COMPUTE_PGM_RSRC3_GFX90A:ACCUM_OFFSET: 0
; COMPUTE_PGM_RSRC3_GFX90A:TG_SPLIT: 0
	.section	.text._ZN7rocprim17ROCPRIM_400000_NS6detail17trampoline_kernelINS0_14default_configENS1_35radix_sort_onesweep_config_selectorIaNS0_10empty_typeEEEZZNS1_29radix_sort_onesweep_iterationIS3_Lb0EPaS8_PS5_S9_mNS0_19identity_decomposerENS1_16block_id_wrapperIjLb0EEEEE10hipError_tT1_PNSt15iterator_traitsISE_E10value_typeET2_T3_PNSF_ISK_E10value_typeET4_T5_PSP_SQ_PNS1_23onesweep_lookback_stateEbbT6_jjT7_P12ihipStream_tbENKUlT_T0_SE_SJ_E_clIS8_S8_S9_S9_EEDaSX_SY_SE_SJ_EUlSX_E_NS1_11comp_targetILNS1_3genE9ELNS1_11target_archE1100ELNS1_3gpuE3ELNS1_3repE0EEENS1_47radix_sort_onesweep_sort_config_static_selectorELNS0_4arch9wavefront6targetE1EEEvSE_,"axG",@progbits,_ZN7rocprim17ROCPRIM_400000_NS6detail17trampoline_kernelINS0_14default_configENS1_35radix_sort_onesweep_config_selectorIaNS0_10empty_typeEEEZZNS1_29radix_sort_onesweep_iterationIS3_Lb0EPaS8_PS5_S9_mNS0_19identity_decomposerENS1_16block_id_wrapperIjLb0EEEEE10hipError_tT1_PNSt15iterator_traitsISE_E10value_typeET2_T3_PNSF_ISK_E10value_typeET4_T5_PSP_SQ_PNS1_23onesweep_lookback_stateEbbT6_jjT7_P12ihipStream_tbENKUlT_T0_SE_SJ_E_clIS8_S8_S9_S9_EEDaSX_SY_SE_SJ_EUlSX_E_NS1_11comp_targetILNS1_3genE9ELNS1_11target_archE1100ELNS1_3gpuE3ELNS1_3repE0EEENS1_47radix_sort_onesweep_sort_config_static_selectorELNS0_4arch9wavefront6targetE1EEEvSE_,comdat
	.protected	_ZN7rocprim17ROCPRIM_400000_NS6detail17trampoline_kernelINS0_14default_configENS1_35radix_sort_onesweep_config_selectorIaNS0_10empty_typeEEEZZNS1_29radix_sort_onesweep_iterationIS3_Lb0EPaS8_PS5_S9_mNS0_19identity_decomposerENS1_16block_id_wrapperIjLb0EEEEE10hipError_tT1_PNSt15iterator_traitsISE_E10value_typeET2_T3_PNSF_ISK_E10value_typeET4_T5_PSP_SQ_PNS1_23onesweep_lookback_stateEbbT6_jjT7_P12ihipStream_tbENKUlT_T0_SE_SJ_E_clIS8_S8_S9_S9_EEDaSX_SY_SE_SJ_EUlSX_E_NS1_11comp_targetILNS1_3genE9ELNS1_11target_archE1100ELNS1_3gpuE3ELNS1_3repE0EEENS1_47radix_sort_onesweep_sort_config_static_selectorELNS0_4arch9wavefront6targetE1EEEvSE_ ; -- Begin function _ZN7rocprim17ROCPRIM_400000_NS6detail17trampoline_kernelINS0_14default_configENS1_35radix_sort_onesweep_config_selectorIaNS0_10empty_typeEEEZZNS1_29radix_sort_onesweep_iterationIS3_Lb0EPaS8_PS5_S9_mNS0_19identity_decomposerENS1_16block_id_wrapperIjLb0EEEEE10hipError_tT1_PNSt15iterator_traitsISE_E10value_typeET2_T3_PNSF_ISK_E10value_typeET4_T5_PSP_SQ_PNS1_23onesweep_lookback_stateEbbT6_jjT7_P12ihipStream_tbENKUlT_T0_SE_SJ_E_clIS8_S8_S9_S9_EEDaSX_SY_SE_SJ_EUlSX_E_NS1_11comp_targetILNS1_3genE9ELNS1_11target_archE1100ELNS1_3gpuE3ELNS1_3repE0EEENS1_47radix_sort_onesweep_sort_config_static_selectorELNS0_4arch9wavefront6targetE1EEEvSE_
	.globl	_ZN7rocprim17ROCPRIM_400000_NS6detail17trampoline_kernelINS0_14default_configENS1_35radix_sort_onesweep_config_selectorIaNS0_10empty_typeEEEZZNS1_29radix_sort_onesweep_iterationIS3_Lb0EPaS8_PS5_S9_mNS0_19identity_decomposerENS1_16block_id_wrapperIjLb0EEEEE10hipError_tT1_PNSt15iterator_traitsISE_E10value_typeET2_T3_PNSF_ISK_E10value_typeET4_T5_PSP_SQ_PNS1_23onesweep_lookback_stateEbbT6_jjT7_P12ihipStream_tbENKUlT_T0_SE_SJ_E_clIS8_S8_S9_S9_EEDaSX_SY_SE_SJ_EUlSX_E_NS1_11comp_targetILNS1_3genE9ELNS1_11target_archE1100ELNS1_3gpuE3ELNS1_3repE0EEENS1_47radix_sort_onesweep_sort_config_static_selectorELNS0_4arch9wavefront6targetE1EEEvSE_
	.p2align	8
	.type	_ZN7rocprim17ROCPRIM_400000_NS6detail17trampoline_kernelINS0_14default_configENS1_35radix_sort_onesweep_config_selectorIaNS0_10empty_typeEEEZZNS1_29radix_sort_onesweep_iterationIS3_Lb0EPaS8_PS5_S9_mNS0_19identity_decomposerENS1_16block_id_wrapperIjLb0EEEEE10hipError_tT1_PNSt15iterator_traitsISE_E10value_typeET2_T3_PNSF_ISK_E10value_typeET4_T5_PSP_SQ_PNS1_23onesweep_lookback_stateEbbT6_jjT7_P12ihipStream_tbENKUlT_T0_SE_SJ_E_clIS8_S8_S9_S9_EEDaSX_SY_SE_SJ_EUlSX_E_NS1_11comp_targetILNS1_3genE9ELNS1_11target_archE1100ELNS1_3gpuE3ELNS1_3repE0EEENS1_47radix_sort_onesweep_sort_config_static_selectorELNS0_4arch9wavefront6targetE1EEEvSE_,@function
_ZN7rocprim17ROCPRIM_400000_NS6detail17trampoline_kernelINS0_14default_configENS1_35radix_sort_onesweep_config_selectorIaNS0_10empty_typeEEEZZNS1_29radix_sort_onesweep_iterationIS3_Lb0EPaS8_PS5_S9_mNS0_19identity_decomposerENS1_16block_id_wrapperIjLb0EEEEE10hipError_tT1_PNSt15iterator_traitsISE_E10value_typeET2_T3_PNSF_ISK_E10value_typeET4_T5_PSP_SQ_PNS1_23onesweep_lookback_stateEbbT6_jjT7_P12ihipStream_tbENKUlT_T0_SE_SJ_E_clIS8_S8_S9_S9_EEDaSX_SY_SE_SJ_EUlSX_E_NS1_11comp_targetILNS1_3genE9ELNS1_11target_archE1100ELNS1_3gpuE3ELNS1_3repE0EEENS1_47radix_sort_onesweep_sort_config_static_selectorELNS0_4arch9wavefront6targetE1EEEvSE_: ; @_ZN7rocprim17ROCPRIM_400000_NS6detail17trampoline_kernelINS0_14default_configENS1_35radix_sort_onesweep_config_selectorIaNS0_10empty_typeEEEZZNS1_29radix_sort_onesweep_iterationIS3_Lb0EPaS8_PS5_S9_mNS0_19identity_decomposerENS1_16block_id_wrapperIjLb0EEEEE10hipError_tT1_PNSt15iterator_traitsISE_E10value_typeET2_T3_PNSF_ISK_E10value_typeET4_T5_PSP_SQ_PNS1_23onesweep_lookback_stateEbbT6_jjT7_P12ihipStream_tbENKUlT_T0_SE_SJ_E_clIS8_S8_S9_S9_EEDaSX_SY_SE_SJ_EUlSX_E_NS1_11comp_targetILNS1_3genE9ELNS1_11target_archE1100ELNS1_3gpuE3ELNS1_3repE0EEENS1_47radix_sort_onesweep_sort_config_static_selectorELNS0_4arch9wavefront6targetE1EEEvSE_
; %bb.0:
	.section	.rodata,"a",@progbits
	.p2align	6, 0x0
	.amdhsa_kernel _ZN7rocprim17ROCPRIM_400000_NS6detail17trampoline_kernelINS0_14default_configENS1_35radix_sort_onesweep_config_selectorIaNS0_10empty_typeEEEZZNS1_29radix_sort_onesweep_iterationIS3_Lb0EPaS8_PS5_S9_mNS0_19identity_decomposerENS1_16block_id_wrapperIjLb0EEEEE10hipError_tT1_PNSt15iterator_traitsISE_E10value_typeET2_T3_PNSF_ISK_E10value_typeET4_T5_PSP_SQ_PNS1_23onesweep_lookback_stateEbbT6_jjT7_P12ihipStream_tbENKUlT_T0_SE_SJ_E_clIS8_S8_S9_S9_EEDaSX_SY_SE_SJ_EUlSX_E_NS1_11comp_targetILNS1_3genE9ELNS1_11target_archE1100ELNS1_3gpuE3ELNS1_3repE0EEENS1_47radix_sort_onesweep_sort_config_static_selectorELNS0_4arch9wavefront6targetE1EEEvSE_
		.amdhsa_group_segment_fixed_size 0
		.amdhsa_private_segment_fixed_size 0
		.amdhsa_kernarg_size 88
		.amdhsa_user_sgpr_count 6
		.amdhsa_user_sgpr_private_segment_buffer 1
		.amdhsa_user_sgpr_dispatch_ptr 0
		.amdhsa_user_sgpr_queue_ptr 0
		.amdhsa_user_sgpr_kernarg_segment_ptr 1
		.amdhsa_user_sgpr_dispatch_id 0
		.amdhsa_user_sgpr_flat_scratch_init 0
		.amdhsa_user_sgpr_kernarg_preload_length 0
		.amdhsa_user_sgpr_kernarg_preload_offset 0
		.amdhsa_user_sgpr_private_segment_size 0
		.amdhsa_uses_dynamic_stack 0
		.amdhsa_system_sgpr_private_segment_wavefront_offset 0
		.amdhsa_system_sgpr_workgroup_id_x 1
		.amdhsa_system_sgpr_workgroup_id_y 0
		.amdhsa_system_sgpr_workgroup_id_z 0
		.amdhsa_system_sgpr_workgroup_info 0
		.amdhsa_system_vgpr_workitem_id 0
		.amdhsa_next_free_vgpr 1
		.amdhsa_next_free_sgpr 0
		.amdhsa_accum_offset 4
		.amdhsa_reserve_vcc 0
		.amdhsa_reserve_flat_scratch 0
		.amdhsa_float_round_mode_32 0
		.amdhsa_float_round_mode_16_64 0
		.amdhsa_float_denorm_mode_32 3
		.amdhsa_float_denorm_mode_16_64 3
		.amdhsa_dx10_clamp 1
		.amdhsa_ieee_mode 1
		.amdhsa_fp16_overflow 0
		.amdhsa_tg_split 0
		.amdhsa_exception_fp_ieee_invalid_op 0
		.amdhsa_exception_fp_denorm_src 0
		.amdhsa_exception_fp_ieee_div_zero 0
		.amdhsa_exception_fp_ieee_overflow 0
		.amdhsa_exception_fp_ieee_underflow 0
		.amdhsa_exception_fp_ieee_inexact 0
		.amdhsa_exception_int_div_zero 0
	.end_amdhsa_kernel
	.section	.text._ZN7rocprim17ROCPRIM_400000_NS6detail17trampoline_kernelINS0_14default_configENS1_35radix_sort_onesweep_config_selectorIaNS0_10empty_typeEEEZZNS1_29radix_sort_onesweep_iterationIS3_Lb0EPaS8_PS5_S9_mNS0_19identity_decomposerENS1_16block_id_wrapperIjLb0EEEEE10hipError_tT1_PNSt15iterator_traitsISE_E10value_typeET2_T3_PNSF_ISK_E10value_typeET4_T5_PSP_SQ_PNS1_23onesweep_lookback_stateEbbT6_jjT7_P12ihipStream_tbENKUlT_T0_SE_SJ_E_clIS8_S8_S9_S9_EEDaSX_SY_SE_SJ_EUlSX_E_NS1_11comp_targetILNS1_3genE9ELNS1_11target_archE1100ELNS1_3gpuE3ELNS1_3repE0EEENS1_47radix_sort_onesweep_sort_config_static_selectorELNS0_4arch9wavefront6targetE1EEEvSE_,"axG",@progbits,_ZN7rocprim17ROCPRIM_400000_NS6detail17trampoline_kernelINS0_14default_configENS1_35radix_sort_onesweep_config_selectorIaNS0_10empty_typeEEEZZNS1_29radix_sort_onesweep_iterationIS3_Lb0EPaS8_PS5_S9_mNS0_19identity_decomposerENS1_16block_id_wrapperIjLb0EEEEE10hipError_tT1_PNSt15iterator_traitsISE_E10value_typeET2_T3_PNSF_ISK_E10value_typeET4_T5_PSP_SQ_PNS1_23onesweep_lookback_stateEbbT6_jjT7_P12ihipStream_tbENKUlT_T0_SE_SJ_E_clIS8_S8_S9_S9_EEDaSX_SY_SE_SJ_EUlSX_E_NS1_11comp_targetILNS1_3genE9ELNS1_11target_archE1100ELNS1_3gpuE3ELNS1_3repE0EEENS1_47radix_sort_onesweep_sort_config_static_selectorELNS0_4arch9wavefront6targetE1EEEvSE_,comdat
.Lfunc_end226:
	.size	_ZN7rocprim17ROCPRIM_400000_NS6detail17trampoline_kernelINS0_14default_configENS1_35radix_sort_onesweep_config_selectorIaNS0_10empty_typeEEEZZNS1_29radix_sort_onesweep_iterationIS3_Lb0EPaS8_PS5_S9_mNS0_19identity_decomposerENS1_16block_id_wrapperIjLb0EEEEE10hipError_tT1_PNSt15iterator_traitsISE_E10value_typeET2_T3_PNSF_ISK_E10value_typeET4_T5_PSP_SQ_PNS1_23onesweep_lookback_stateEbbT6_jjT7_P12ihipStream_tbENKUlT_T0_SE_SJ_E_clIS8_S8_S9_S9_EEDaSX_SY_SE_SJ_EUlSX_E_NS1_11comp_targetILNS1_3genE9ELNS1_11target_archE1100ELNS1_3gpuE3ELNS1_3repE0EEENS1_47radix_sort_onesweep_sort_config_static_selectorELNS0_4arch9wavefront6targetE1EEEvSE_, .Lfunc_end226-_ZN7rocprim17ROCPRIM_400000_NS6detail17trampoline_kernelINS0_14default_configENS1_35radix_sort_onesweep_config_selectorIaNS0_10empty_typeEEEZZNS1_29radix_sort_onesweep_iterationIS3_Lb0EPaS8_PS5_S9_mNS0_19identity_decomposerENS1_16block_id_wrapperIjLb0EEEEE10hipError_tT1_PNSt15iterator_traitsISE_E10value_typeET2_T3_PNSF_ISK_E10value_typeET4_T5_PSP_SQ_PNS1_23onesweep_lookback_stateEbbT6_jjT7_P12ihipStream_tbENKUlT_T0_SE_SJ_E_clIS8_S8_S9_S9_EEDaSX_SY_SE_SJ_EUlSX_E_NS1_11comp_targetILNS1_3genE9ELNS1_11target_archE1100ELNS1_3gpuE3ELNS1_3repE0EEENS1_47radix_sort_onesweep_sort_config_static_selectorELNS0_4arch9wavefront6targetE1EEEvSE_
                                        ; -- End function
	.section	.AMDGPU.csdata,"",@progbits
; Kernel info:
; codeLenInByte = 0
; NumSgprs: 4
; NumVgprs: 0
; NumAgprs: 0
; TotalNumVgprs: 0
; ScratchSize: 0
; MemoryBound: 0
; FloatMode: 240
; IeeeMode: 1
; LDSByteSize: 0 bytes/workgroup (compile time only)
; SGPRBlocks: 0
; VGPRBlocks: 0
; NumSGPRsForWavesPerEU: 4
; NumVGPRsForWavesPerEU: 1
; AccumOffset: 4
; Occupancy: 8
; WaveLimiterHint : 0
; COMPUTE_PGM_RSRC2:SCRATCH_EN: 0
; COMPUTE_PGM_RSRC2:USER_SGPR: 6
; COMPUTE_PGM_RSRC2:TRAP_HANDLER: 0
; COMPUTE_PGM_RSRC2:TGID_X_EN: 1
; COMPUTE_PGM_RSRC2:TGID_Y_EN: 0
; COMPUTE_PGM_RSRC2:TGID_Z_EN: 0
; COMPUTE_PGM_RSRC2:TIDIG_COMP_CNT: 0
; COMPUTE_PGM_RSRC3_GFX90A:ACCUM_OFFSET: 0
; COMPUTE_PGM_RSRC3_GFX90A:TG_SPLIT: 0
	.section	.text._ZN7rocprim17ROCPRIM_400000_NS6detail17trampoline_kernelINS0_14default_configENS1_35radix_sort_onesweep_config_selectorIaNS0_10empty_typeEEEZZNS1_29radix_sort_onesweep_iterationIS3_Lb0EPaS8_PS5_S9_mNS0_19identity_decomposerENS1_16block_id_wrapperIjLb0EEEEE10hipError_tT1_PNSt15iterator_traitsISE_E10value_typeET2_T3_PNSF_ISK_E10value_typeET4_T5_PSP_SQ_PNS1_23onesweep_lookback_stateEbbT6_jjT7_P12ihipStream_tbENKUlT_T0_SE_SJ_E_clIS8_S8_S9_S9_EEDaSX_SY_SE_SJ_EUlSX_E_NS1_11comp_targetILNS1_3genE8ELNS1_11target_archE1030ELNS1_3gpuE2ELNS1_3repE0EEENS1_47radix_sort_onesweep_sort_config_static_selectorELNS0_4arch9wavefront6targetE1EEEvSE_,"axG",@progbits,_ZN7rocprim17ROCPRIM_400000_NS6detail17trampoline_kernelINS0_14default_configENS1_35radix_sort_onesweep_config_selectorIaNS0_10empty_typeEEEZZNS1_29radix_sort_onesweep_iterationIS3_Lb0EPaS8_PS5_S9_mNS0_19identity_decomposerENS1_16block_id_wrapperIjLb0EEEEE10hipError_tT1_PNSt15iterator_traitsISE_E10value_typeET2_T3_PNSF_ISK_E10value_typeET4_T5_PSP_SQ_PNS1_23onesweep_lookback_stateEbbT6_jjT7_P12ihipStream_tbENKUlT_T0_SE_SJ_E_clIS8_S8_S9_S9_EEDaSX_SY_SE_SJ_EUlSX_E_NS1_11comp_targetILNS1_3genE8ELNS1_11target_archE1030ELNS1_3gpuE2ELNS1_3repE0EEENS1_47radix_sort_onesweep_sort_config_static_selectorELNS0_4arch9wavefront6targetE1EEEvSE_,comdat
	.protected	_ZN7rocprim17ROCPRIM_400000_NS6detail17trampoline_kernelINS0_14default_configENS1_35radix_sort_onesweep_config_selectorIaNS0_10empty_typeEEEZZNS1_29radix_sort_onesweep_iterationIS3_Lb0EPaS8_PS5_S9_mNS0_19identity_decomposerENS1_16block_id_wrapperIjLb0EEEEE10hipError_tT1_PNSt15iterator_traitsISE_E10value_typeET2_T3_PNSF_ISK_E10value_typeET4_T5_PSP_SQ_PNS1_23onesweep_lookback_stateEbbT6_jjT7_P12ihipStream_tbENKUlT_T0_SE_SJ_E_clIS8_S8_S9_S9_EEDaSX_SY_SE_SJ_EUlSX_E_NS1_11comp_targetILNS1_3genE8ELNS1_11target_archE1030ELNS1_3gpuE2ELNS1_3repE0EEENS1_47radix_sort_onesweep_sort_config_static_selectorELNS0_4arch9wavefront6targetE1EEEvSE_ ; -- Begin function _ZN7rocprim17ROCPRIM_400000_NS6detail17trampoline_kernelINS0_14default_configENS1_35radix_sort_onesweep_config_selectorIaNS0_10empty_typeEEEZZNS1_29radix_sort_onesweep_iterationIS3_Lb0EPaS8_PS5_S9_mNS0_19identity_decomposerENS1_16block_id_wrapperIjLb0EEEEE10hipError_tT1_PNSt15iterator_traitsISE_E10value_typeET2_T3_PNSF_ISK_E10value_typeET4_T5_PSP_SQ_PNS1_23onesweep_lookback_stateEbbT6_jjT7_P12ihipStream_tbENKUlT_T0_SE_SJ_E_clIS8_S8_S9_S9_EEDaSX_SY_SE_SJ_EUlSX_E_NS1_11comp_targetILNS1_3genE8ELNS1_11target_archE1030ELNS1_3gpuE2ELNS1_3repE0EEENS1_47radix_sort_onesweep_sort_config_static_selectorELNS0_4arch9wavefront6targetE1EEEvSE_
	.globl	_ZN7rocprim17ROCPRIM_400000_NS6detail17trampoline_kernelINS0_14default_configENS1_35radix_sort_onesweep_config_selectorIaNS0_10empty_typeEEEZZNS1_29radix_sort_onesweep_iterationIS3_Lb0EPaS8_PS5_S9_mNS0_19identity_decomposerENS1_16block_id_wrapperIjLb0EEEEE10hipError_tT1_PNSt15iterator_traitsISE_E10value_typeET2_T3_PNSF_ISK_E10value_typeET4_T5_PSP_SQ_PNS1_23onesweep_lookback_stateEbbT6_jjT7_P12ihipStream_tbENKUlT_T0_SE_SJ_E_clIS8_S8_S9_S9_EEDaSX_SY_SE_SJ_EUlSX_E_NS1_11comp_targetILNS1_3genE8ELNS1_11target_archE1030ELNS1_3gpuE2ELNS1_3repE0EEENS1_47radix_sort_onesweep_sort_config_static_selectorELNS0_4arch9wavefront6targetE1EEEvSE_
	.p2align	8
	.type	_ZN7rocprim17ROCPRIM_400000_NS6detail17trampoline_kernelINS0_14default_configENS1_35radix_sort_onesweep_config_selectorIaNS0_10empty_typeEEEZZNS1_29radix_sort_onesweep_iterationIS3_Lb0EPaS8_PS5_S9_mNS0_19identity_decomposerENS1_16block_id_wrapperIjLb0EEEEE10hipError_tT1_PNSt15iterator_traitsISE_E10value_typeET2_T3_PNSF_ISK_E10value_typeET4_T5_PSP_SQ_PNS1_23onesweep_lookback_stateEbbT6_jjT7_P12ihipStream_tbENKUlT_T0_SE_SJ_E_clIS8_S8_S9_S9_EEDaSX_SY_SE_SJ_EUlSX_E_NS1_11comp_targetILNS1_3genE8ELNS1_11target_archE1030ELNS1_3gpuE2ELNS1_3repE0EEENS1_47radix_sort_onesweep_sort_config_static_selectorELNS0_4arch9wavefront6targetE1EEEvSE_,@function
_ZN7rocprim17ROCPRIM_400000_NS6detail17trampoline_kernelINS0_14default_configENS1_35radix_sort_onesweep_config_selectorIaNS0_10empty_typeEEEZZNS1_29radix_sort_onesweep_iterationIS3_Lb0EPaS8_PS5_S9_mNS0_19identity_decomposerENS1_16block_id_wrapperIjLb0EEEEE10hipError_tT1_PNSt15iterator_traitsISE_E10value_typeET2_T3_PNSF_ISK_E10value_typeET4_T5_PSP_SQ_PNS1_23onesweep_lookback_stateEbbT6_jjT7_P12ihipStream_tbENKUlT_T0_SE_SJ_E_clIS8_S8_S9_S9_EEDaSX_SY_SE_SJ_EUlSX_E_NS1_11comp_targetILNS1_3genE8ELNS1_11target_archE1030ELNS1_3gpuE2ELNS1_3repE0EEENS1_47radix_sort_onesweep_sort_config_static_selectorELNS0_4arch9wavefront6targetE1EEEvSE_: ; @_ZN7rocprim17ROCPRIM_400000_NS6detail17trampoline_kernelINS0_14default_configENS1_35radix_sort_onesweep_config_selectorIaNS0_10empty_typeEEEZZNS1_29radix_sort_onesweep_iterationIS3_Lb0EPaS8_PS5_S9_mNS0_19identity_decomposerENS1_16block_id_wrapperIjLb0EEEEE10hipError_tT1_PNSt15iterator_traitsISE_E10value_typeET2_T3_PNSF_ISK_E10value_typeET4_T5_PSP_SQ_PNS1_23onesweep_lookback_stateEbbT6_jjT7_P12ihipStream_tbENKUlT_T0_SE_SJ_E_clIS8_S8_S9_S9_EEDaSX_SY_SE_SJ_EUlSX_E_NS1_11comp_targetILNS1_3genE8ELNS1_11target_archE1030ELNS1_3gpuE2ELNS1_3repE0EEENS1_47radix_sort_onesweep_sort_config_static_selectorELNS0_4arch9wavefront6targetE1EEEvSE_
; %bb.0:
	.section	.rodata,"a",@progbits
	.p2align	6, 0x0
	.amdhsa_kernel _ZN7rocprim17ROCPRIM_400000_NS6detail17trampoline_kernelINS0_14default_configENS1_35radix_sort_onesweep_config_selectorIaNS0_10empty_typeEEEZZNS1_29radix_sort_onesweep_iterationIS3_Lb0EPaS8_PS5_S9_mNS0_19identity_decomposerENS1_16block_id_wrapperIjLb0EEEEE10hipError_tT1_PNSt15iterator_traitsISE_E10value_typeET2_T3_PNSF_ISK_E10value_typeET4_T5_PSP_SQ_PNS1_23onesweep_lookback_stateEbbT6_jjT7_P12ihipStream_tbENKUlT_T0_SE_SJ_E_clIS8_S8_S9_S9_EEDaSX_SY_SE_SJ_EUlSX_E_NS1_11comp_targetILNS1_3genE8ELNS1_11target_archE1030ELNS1_3gpuE2ELNS1_3repE0EEENS1_47radix_sort_onesweep_sort_config_static_selectorELNS0_4arch9wavefront6targetE1EEEvSE_
		.amdhsa_group_segment_fixed_size 0
		.amdhsa_private_segment_fixed_size 0
		.amdhsa_kernarg_size 88
		.amdhsa_user_sgpr_count 6
		.amdhsa_user_sgpr_private_segment_buffer 1
		.amdhsa_user_sgpr_dispatch_ptr 0
		.amdhsa_user_sgpr_queue_ptr 0
		.amdhsa_user_sgpr_kernarg_segment_ptr 1
		.amdhsa_user_sgpr_dispatch_id 0
		.amdhsa_user_sgpr_flat_scratch_init 0
		.amdhsa_user_sgpr_kernarg_preload_length 0
		.amdhsa_user_sgpr_kernarg_preload_offset 0
		.amdhsa_user_sgpr_private_segment_size 0
		.amdhsa_uses_dynamic_stack 0
		.amdhsa_system_sgpr_private_segment_wavefront_offset 0
		.amdhsa_system_sgpr_workgroup_id_x 1
		.amdhsa_system_sgpr_workgroup_id_y 0
		.amdhsa_system_sgpr_workgroup_id_z 0
		.amdhsa_system_sgpr_workgroup_info 0
		.amdhsa_system_vgpr_workitem_id 0
		.amdhsa_next_free_vgpr 1
		.amdhsa_next_free_sgpr 0
		.amdhsa_accum_offset 4
		.amdhsa_reserve_vcc 0
		.amdhsa_reserve_flat_scratch 0
		.amdhsa_float_round_mode_32 0
		.amdhsa_float_round_mode_16_64 0
		.amdhsa_float_denorm_mode_32 3
		.amdhsa_float_denorm_mode_16_64 3
		.amdhsa_dx10_clamp 1
		.amdhsa_ieee_mode 1
		.amdhsa_fp16_overflow 0
		.amdhsa_tg_split 0
		.amdhsa_exception_fp_ieee_invalid_op 0
		.amdhsa_exception_fp_denorm_src 0
		.amdhsa_exception_fp_ieee_div_zero 0
		.amdhsa_exception_fp_ieee_overflow 0
		.amdhsa_exception_fp_ieee_underflow 0
		.amdhsa_exception_fp_ieee_inexact 0
		.amdhsa_exception_int_div_zero 0
	.end_amdhsa_kernel
	.section	.text._ZN7rocprim17ROCPRIM_400000_NS6detail17trampoline_kernelINS0_14default_configENS1_35radix_sort_onesweep_config_selectorIaNS0_10empty_typeEEEZZNS1_29radix_sort_onesweep_iterationIS3_Lb0EPaS8_PS5_S9_mNS0_19identity_decomposerENS1_16block_id_wrapperIjLb0EEEEE10hipError_tT1_PNSt15iterator_traitsISE_E10value_typeET2_T3_PNSF_ISK_E10value_typeET4_T5_PSP_SQ_PNS1_23onesweep_lookback_stateEbbT6_jjT7_P12ihipStream_tbENKUlT_T0_SE_SJ_E_clIS8_S8_S9_S9_EEDaSX_SY_SE_SJ_EUlSX_E_NS1_11comp_targetILNS1_3genE8ELNS1_11target_archE1030ELNS1_3gpuE2ELNS1_3repE0EEENS1_47radix_sort_onesweep_sort_config_static_selectorELNS0_4arch9wavefront6targetE1EEEvSE_,"axG",@progbits,_ZN7rocprim17ROCPRIM_400000_NS6detail17trampoline_kernelINS0_14default_configENS1_35radix_sort_onesweep_config_selectorIaNS0_10empty_typeEEEZZNS1_29radix_sort_onesweep_iterationIS3_Lb0EPaS8_PS5_S9_mNS0_19identity_decomposerENS1_16block_id_wrapperIjLb0EEEEE10hipError_tT1_PNSt15iterator_traitsISE_E10value_typeET2_T3_PNSF_ISK_E10value_typeET4_T5_PSP_SQ_PNS1_23onesweep_lookback_stateEbbT6_jjT7_P12ihipStream_tbENKUlT_T0_SE_SJ_E_clIS8_S8_S9_S9_EEDaSX_SY_SE_SJ_EUlSX_E_NS1_11comp_targetILNS1_3genE8ELNS1_11target_archE1030ELNS1_3gpuE2ELNS1_3repE0EEENS1_47radix_sort_onesweep_sort_config_static_selectorELNS0_4arch9wavefront6targetE1EEEvSE_,comdat
.Lfunc_end227:
	.size	_ZN7rocprim17ROCPRIM_400000_NS6detail17trampoline_kernelINS0_14default_configENS1_35radix_sort_onesweep_config_selectorIaNS0_10empty_typeEEEZZNS1_29radix_sort_onesweep_iterationIS3_Lb0EPaS8_PS5_S9_mNS0_19identity_decomposerENS1_16block_id_wrapperIjLb0EEEEE10hipError_tT1_PNSt15iterator_traitsISE_E10value_typeET2_T3_PNSF_ISK_E10value_typeET4_T5_PSP_SQ_PNS1_23onesweep_lookback_stateEbbT6_jjT7_P12ihipStream_tbENKUlT_T0_SE_SJ_E_clIS8_S8_S9_S9_EEDaSX_SY_SE_SJ_EUlSX_E_NS1_11comp_targetILNS1_3genE8ELNS1_11target_archE1030ELNS1_3gpuE2ELNS1_3repE0EEENS1_47radix_sort_onesweep_sort_config_static_selectorELNS0_4arch9wavefront6targetE1EEEvSE_, .Lfunc_end227-_ZN7rocprim17ROCPRIM_400000_NS6detail17trampoline_kernelINS0_14default_configENS1_35radix_sort_onesweep_config_selectorIaNS0_10empty_typeEEEZZNS1_29radix_sort_onesweep_iterationIS3_Lb0EPaS8_PS5_S9_mNS0_19identity_decomposerENS1_16block_id_wrapperIjLb0EEEEE10hipError_tT1_PNSt15iterator_traitsISE_E10value_typeET2_T3_PNSF_ISK_E10value_typeET4_T5_PSP_SQ_PNS1_23onesweep_lookback_stateEbbT6_jjT7_P12ihipStream_tbENKUlT_T0_SE_SJ_E_clIS8_S8_S9_S9_EEDaSX_SY_SE_SJ_EUlSX_E_NS1_11comp_targetILNS1_3genE8ELNS1_11target_archE1030ELNS1_3gpuE2ELNS1_3repE0EEENS1_47radix_sort_onesweep_sort_config_static_selectorELNS0_4arch9wavefront6targetE1EEEvSE_
                                        ; -- End function
	.section	.AMDGPU.csdata,"",@progbits
; Kernel info:
; codeLenInByte = 0
; NumSgprs: 4
; NumVgprs: 0
; NumAgprs: 0
; TotalNumVgprs: 0
; ScratchSize: 0
; MemoryBound: 0
; FloatMode: 240
; IeeeMode: 1
; LDSByteSize: 0 bytes/workgroup (compile time only)
; SGPRBlocks: 0
; VGPRBlocks: 0
; NumSGPRsForWavesPerEU: 4
; NumVGPRsForWavesPerEU: 1
; AccumOffset: 4
; Occupancy: 8
; WaveLimiterHint : 0
; COMPUTE_PGM_RSRC2:SCRATCH_EN: 0
; COMPUTE_PGM_RSRC2:USER_SGPR: 6
; COMPUTE_PGM_RSRC2:TRAP_HANDLER: 0
; COMPUTE_PGM_RSRC2:TGID_X_EN: 1
; COMPUTE_PGM_RSRC2:TGID_Y_EN: 0
; COMPUTE_PGM_RSRC2:TGID_Z_EN: 0
; COMPUTE_PGM_RSRC2:TIDIG_COMP_CNT: 0
; COMPUTE_PGM_RSRC3_GFX90A:ACCUM_OFFSET: 0
; COMPUTE_PGM_RSRC3_GFX90A:TG_SPLIT: 0
	.section	.text._ZN7rocprim17ROCPRIM_400000_NS6detail17trampoline_kernelINS0_13kernel_configILj256ELj4ELj4294967295EEENS1_37radix_sort_block_sort_config_selectorIhNS0_10empty_typeEEEZNS1_21radix_sort_block_sortIS4_Lb0EPhS9_PS6_SA_NS0_19identity_decomposerEEE10hipError_tT1_T2_T3_T4_jRjT5_jjP12ihipStream_tbEUlT_E_NS1_11comp_targetILNS1_3genE0ELNS1_11target_archE4294967295ELNS1_3gpuE0ELNS1_3repE0EEENS1_44radix_sort_block_sort_config_static_selectorELNS0_4arch9wavefront6targetE1EEEvSD_,"axG",@progbits,_ZN7rocprim17ROCPRIM_400000_NS6detail17trampoline_kernelINS0_13kernel_configILj256ELj4ELj4294967295EEENS1_37radix_sort_block_sort_config_selectorIhNS0_10empty_typeEEEZNS1_21radix_sort_block_sortIS4_Lb0EPhS9_PS6_SA_NS0_19identity_decomposerEEE10hipError_tT1_T2_T3_T4_jRjT5_jjP12ihipStream_tbEUlT_E_NS1_11comp_targetILNS1_3genE0ELNS1_11target_archE4294967295ELNS1_3gpuE0ELNS1_3repE0EEENS1_44radix_sort_block_sort_config_static_selectorELNS0_4arch9wavefront6targetE1EEEvSD_,comdat
	.protected	_ZN7rocprim17ROCPRIM_400000_NS6detail17trampoline_kernelINS0_13kernel_configILj256ELj4ELj4294967295EEENS1_37radix_sort_block_sort_config_selectorIhNS0_10empty_typeEEEZNS1_21radix_sort_block_sortIS4_Lb0EPhS9_PS6_SA_NS0_19identity_decomposerEEE10hipError_tT1_T2_T3_T4_jRjT5_jjP12ihipStream_tbEUlT_E_NS1_11comp_targetILNS1_3genE0ELNS1_11target_archE4294967295ELNS1_3gpuE0ELNS1_3repE0EEENS1_44radix_sort_block_sort_config_static_selectorELNS0_4arch9wavefront6targetE1EEEvSD_ ; -- Begin function _ZN7rocprim17ROCPRIM_400000_NS6detail17trampoline_kernelINS0_13kernel_configILj256ELj4ELj4294967295EEENS1_37radix_sort_block_sort_config_selectorIhNS0_10empty_typeEEEZNS1_21radix_sort_block_sortIS4_Lb0EPhS9_PS6_SA_NS0_19identity_decomposerEEE10hipError_tT1_T2_T3_T4_jRjT5_jjP12ihipStream_tbEUlT_E_NS1_11comp_targetILNS1_3genE0ELNS1_11target_archE4294967295ELNS1_3gpuE0ELNS1_3repE0EEENS1_44radix_sort_block_sort_config_static_selectorELNS0_4arch9wavefront6targetE1EEEvSD_
	.globl	_ZN7rocprim17ROCPRIM_400000_NS6detail17trampoline_kernelINS0_13kernel_configILj256ELj4ELj4294967295EEENS1_37radix_sort_block_sort_config_selectorIhNS0_10empty_typeEEEZNS1_21radix_sort_block_sortIS4_Lb0EPhS9_PS6_SA_NS0_19identity_decomposerEEE10hipError_tT1_T2_T3_T4_jRjT5_jjP12ihipStream_tbEUlT_E_NS1_11comp_targetILNS1_3genE0ELNS1_11target_archE4294967295ELNS1_3gpuE0ELNS1_3repE0EEENS1_44radix_sort_block_sort_config_static_selectorELNS0_4arch9wavefront6targetE1EEEvSD_
	.p2align	8
	.type	_ZN7rocprim17ROCPRIM_400000_NS6detail17trampoline_kernelINS0_13kernel_configILj256ELj4ELj4294967295EEENS1_37radix_sort_block_sort_config_selectorIhNS0_10empty_typeEEEZNS1_21radix_sort_block_sortIS4_Lb0EPhS9_PS6_SA_NS0_19identity_decomposerEEE10hipError_tT1_T2_T3_T4_jRjT5_jjP12ihipStream_tbEUlT_E_NS1_11comp_targetILNS1_3genE0ELNS1_11target_archE4294967295ELNS1_3gpuE0ELNS1_3repE0EEENS1_44radix_sort_block_sort_config_static_selectorELNS0_4arch9wavefront6targetE1EEEvSD_,@function
_ZN7rocprim17ROCPRIM_400000_NS6detail17trampoline_kernelINS0_13kernel_configILj256ELj4ELj4294967295EEENS1_37radix_sort_block_sort_config_selectorIhNS0_10empty_typeEEEZNS1_21radix_sort_block_sortIS4_Lb0EPhS9_PS6_SA_NS0_19identity_decomposerEEE10hipError_tT1_T2_T3_T4_jRjT5_jjP12ihipStream_tbEUlT_E_NS1_11comp_targetILNS1_3genE0ELNS1_11target_archE4294967295ELNS1_3gpuE0ELNS1_3repE0EEENS1_44radix_sort_block_sort_config_static_selectorELNS0_4arch9wavefront6targetE1EEEvSD_: ; @_ZN7rocprim17ROCPRIM_400000_NS6detail17trampoline_kernelINS0_13kernel_configILj256ELj4ELj4294967295EEENS1_37radix_sort_block_sort_config_selectorIhNS0_10empty_typeEEEZNS1_21radix_sort_block_sortIS4_Lb0EPhS9_PS6_SA_NS0_19identity_decomposerEEE10hipError_tT1_T2_T3_T4_jRjT5_jjP12ihipStream_tbEUlT_E_NS1_11comp_targetILNS1_3genE0ELNS1_11target_archE4294967295ELNS1_3gpuE0ELNS1_3repE0EEENS1_44radix_sort_block_sort_config_static_selectorELNS0_4arch9wavefront6targetE1EEEvSD_
; %bb.0:
	.section	.rodata,"a",@progbits
	.p2align	6, 0x0
	.amdhsa_kernel _ZN7rocprim17ROCPRIM_400000_NS6detail17trampoline_kernelINS0_13kernel_configILj256ELj4ELj4294967295EEENS1_37radix_sort_block_sort_config_selectorIhNS0_10empty_typeEEEZNS1_21radix_sort_block_sortIS4_Lb0EPhS9_PS6_SA_NS0_19identity_decomposerEEE10hipError_tT1_T2_T3_T4_jRjT5_jjP12ihipStream_tbEUlT_E_NS1_11comp_targetILNS1_3genE0ELNS1_11target_archE4294967295ELNS1_3gpuE0ELNS1_3repE0EEENS1_44radix_sort_block_sort_config_static_selectorELNS0_4arch9wavefront6targetE1EEEvSD_
		.amdhsa_group_segment_fixed_size 0
		.amdhsa_private_segment_fixed_size 0
		.amdhsa_kernarg_size 48
		.amdhsa_user_sgpr_count 6
		.amdhsa_user_sgpr_private_segment_buffer 1
		.amdhsa_user_sgpr_dispatch_ptr 0
		.amdhsa_user_sgpr_queue_ptr 0
		.amdhsa_user_sgpr_kernarg_segment_ptr 1
		.amdhsa_user_sgpr_dispatch_id 0
		.amdhsa_user_sgpr_flat_scratch_init 0
		.amdhsa_user_sgpr_kernarg_preload_length 0
		.amdhsa_user_sgpr_kernarg_preload_offset 0
		.amdhsa_user_sgpr_private_segment_size 0
		.amdhsa_uses_dynamic_stack 0
		.amdhsa_system_sgpr_private_segment_wavefront_offset 0
		.amdhsa_system_sgpr_workgroup_id_x 1
		.amdhsa_system_sgpr_workgroup_id_y 0
		.amdhsa_system_sgpr_workgroup_id_z 0
		.amdhsa_system_sgpr_workgroup_info 0
		.amdhsa_system_vgpr_workitem_id 0
		.amdhsa_next_free_vgpr 1
		.amdhsa_next_free_sgpr 0
		.amdhsa_accum_offset 4
		.amdhsa_reserve_vcc 0
		.amdhsa_reserve_flat_scratch 0
		.amdhsa_float_round_mode_32 0
		.amdhsa_float_round_mode_16_64 0
		.amdhsa_float_denorm_mode_32 3
		.amdhsa_float_denorm_mode_16_64 3
		.amdhsa_dx10_clamp 1
		.amdhsa_ieee_mode 1
		.amdhsa_fp16_overflow 0
		.amdhsa_tg_split 0
		.amdhsa_exception_fp_ieee_invalid_op 0
		.amdhsa_exception_fp_denorm_src 0
		.amdhsa_exception_fp_ieee_div_zero 0
		.amdhsa_exception_fp_ieee_overflow 0
		.amdhsa_exception_fp_ieee_underflow 0
		.amdhsa_exception_fp_ieee_inexact 0
		.amdhsa_exception_int_div_zero 0
	.end_amdhsa_kernel
	.section	.text._ZN7rocprim17ROCPRIM_400000_NS6detail17trampoline_kernelINS0_13kernel_configILj256ELj4ELj4294967295EEENS1_37radix_sort_block_sort_config_selectorIhNS0_10empty_typeEEEZNS1_21radix_sort_block_sortIS4_Lb0EPhS9_PS6_SA_NS0_19identity_decomposerEEE10hipError_tT1_T2_T3_T4_jRjT5_jjP12ihipStream_tbEUlT_E_NS1_11comp_targetILNS1_3genE0ELNS1_11target_archE4294967295ELNS1_3gpuE0ELNS1_3repE0EEENS1_44radix_sort_block_sort_config_static_selectorELNS0_4arch9wavefront6targetE1EEEvSD_,"axG",@progbits,_ZN7rocprim17ROCPRIM_400000_NS6detail17trampoline_kernelINS0_13kernel_configILj256ELj4ELj4294967295EEENS1_37radix_sort_block_sort_config_selectorIhNS0_10empty_typeEEEZNS1_21radix_sort_block_sortIS4_Lb0EPhS9_PS6_SA_NS0_19identity_decomposerEEE10hipError_tT1_T2_T3_T4_jRjT5_jjP12ihipStream_tbEUlT_E_NS1_11comp_targetILNS1_3genE0ELNS1_11target_archE4294967295ELNS1_3gpuE0ELNS1_3repE0EEENS1_44radix_sort_block_sort_config_static_selectorELNS0_4arch9wavefront6targetE1EEEvSD_,comdat
.Lfunc_end228:
	.size	_ZN7rocprim17ROCPRIM_400000_NS6detail17trampoline_kernelINS0_13kernel_configILj256ELj4ELj4294967295EEENS1_37radix_sort_block_sort_config_selectorIhNS0_10empty_typeEEEZNS1_21radix_sort_block_sortIS4_Lb0EPhS9_PS6_SA_NS0_19identity_decomposerEEE10hipError_tT1_T2_T3_T4_jRjT5_jjP12ihipStream_tbEUlT_E_NS1_11comp_targetILNS1_3genE0ELNS1_11target_archE4294967295ELNS1_3gpuE0ELNS1_3repE0EEENS1_44radix_sort_block_sort_config_static_selectorELNS0_4arch9wavefront6targetE1EEEvSD_, .Lfunc_end228-_ZN7rocprim17ROCPRIM_400000_NS6detail17trampoline_kernelINS0_13kernel_configILj256ELj4ELj4294967295EEENS1_37radix_sort_block_sort_config_selectorIhNS0_10empty_typeEEEZNS1_21radix_sort_block_sortIS4_Lb0EPhS9_PS6_SA_NS0_19identity_decomposerEEE10hipError_tT1_T2_T3_T4_jRjT5_jjP12ihipStream_tbEUlT_E_NS1_11comp_targetILNS1_3genE0ELNS1_11target_archE4294967295ELNS1_3gpuE0ELNS1_3repE0EEENS1_44radix_sort_block_sort_config_static_selectorELNS0_4arch9wavefront6targetE1EEEvSD_
                                        ; -- End function
	.section	.AMDGPU.csdata,"",@progbits
; Kernel info:
; codeLenInByte = 0
; NumSgprs: 4
; NumVgprs: 0
; NumAgprs: 0
; TotalNumVgprs: 0
; ScratchSize: 0
; MemoryBound: 0
; FloatMode: 240
; IeeeMode: 1
; LDSByteSize: 0 bytes/workgroup (compile time only)
; SGPRBlocks: 0
; VGPRBlocks: 0
; NumSGPRsForWavesPerEU: 4
; NumVGPRsForWavesPerEU: 1
; AccumOffset: 4
; Occupancy: 8
; WaveLimiterHint : 0
; COMPUTE_PGM_RSRC2:SCRATCH_EN: 0
; COMPUTE_PGM_RSRC2:USER_SGPR: 6
; COMPUTE_PGM_RSRC2:TRAP_HANDLER: 0
; COMPUTE_PGM_RSRC2:TGID_X_EN: 1
; COMPUTE_PGM_RSRC2:TGID_Y_EN: 0
; COMPUTE_PGM_RSRC2:TGID_Z_EN: 0
; COMPUTE_PGM_RSRC2:TIDIG_COMP_CNT: 0
; COMPUTE_PGM_RSRC3_GFX90A:ACCUM_OFFSET: 0
; COMPUTE_PGM_RSRC3_GFX90A:TG_SPLIT: 0
	.section	.text._ZN7rocprim17ROCPRIM_400000_NS6detail17trampoline_kernelINS0_13kernel_configILj256ELj4ELj4294967295EEENS1_37radix_sort_block_sort_config_selectorIhNS0_10empty_typeEEEZNS1_21radix_sort_block_sortIS4_Lb0EPhS9_PS6_SA_NS0_19identity_decomposerEEE10hipError_tT1_T2_T3_T4_jRjT5_jjP12ihipStream_tbEUlT_E_NS1_11comp_targetILNS1_3genE5ELNS1_11target_archE942ELNS1_3gpuE9ELNS1_3repE0EEENS1_44radix_sort_block_sort_config_static_selectorELNS0_4arch9wavefront6targetE1EEEvSD_,"axG",@progbits,_ZN7rocprim17ROCPRIM_400000_NS6detail17trampoline_kernelINS0_13kernel_configILj256ELj4ELj4294967295EEENS1_37radix_sort_block_sort_config_selectorIhNS0_10empty_typeEEEZNS1_21radix_sort_block_sortIS4_Lb0EPhS9_PS6_SA_NS0_19identity_decomposerEEE10hipError_tT1_T2_T3_T4_jRjT5_jjP12ihipStream_tbEUlT_E_NS1_11comp_targetILNS1_3genE5ELNS1_11target_archE942ELNS1_3gpuE9ELNS1_3repE0EEENS1_44radix_sort_block_sort_config_static_selectorELNS0_4arch9wavefront6targetE1EEEvSD_,comdat
	.protected	_ZN7rocprim17ROCPRIM_400000_NS6detail17trampoline_kernelINS0_13kernel_configILj256ELj4ELj4294967295EEENS1_37radix_sort_block_sort_config_selectorIhNS0_10empty_typeEEEZNS1_21radix_sort_block_sortIS4_Lb0EPhS9_PS6_SA_NS0_19identity_decomposerEEE10hipError_tT1_T2_T3_T4_jRjT5_jjP12ihipStream_tbEUlT_E_NS1_11comp_targetILNS1_3genE5ELNS1_11target_archE942ELNS1_3gpuE9ELNS1_3repE0EEENS1_44radix_sort_block_sort_config_static_selectorELNS0_4arch9wavefront6targetE1EEEvSD_ ; -- Begin function _ZN7rocprim17ROCPRIM_400000_NS6detail17trampoline_kernelINS0_13kernel_configILj256ELj4ELj4294967295EEENS1_37radix_sort_block_sort_config_selectorIhNS0_10empty_typeEEEZNS1_21radix_sort_block_sortIS4_Lb0EPhS9_PS6_SA_NS0_19identity_decomposerEEE10hipError_tT1_T2_T3_T4_jRjT5_jjP12ihipStream_tbEUlT_E_NS1_11comp_targetILNS1_3genE5ELNS1_11target_archE942ELNS1_3gpuE9ELNS1_3repE0EEENS1_44radix_sort_block_sort_config_static_selectorELNS0_4arch9wavefront6targetE1EEEvSD_
	.globl	_ZN7rocprim17ROCPRIM_400000_NS6detail17trampoline_kernelINS0_13kernel_configILj256ELj4ELj4294967295EEENS1_37radix_sort_block_sort_config_selectorIhNS0_10empty_typeEEEZNS1_21radix_sort_block_sortIS4_Lb0EPhS9_PS6_SA_NS0_19identity_decomposerEEE10hipError_tT1_T2_T3_T4_jRjT5_jjP12ihipStream_tbEUlT_E_NS1_11comp_targetILNS1_3genE5ELNS1_11target_archE942ELNS1_3gpuE9ELNS1_3repE0EEENS1_44radix_sort_block_sort_config_static_selectorELNS0_4arch9wavefront6targetE1EEEvSD_
	.p2align	8
	.type	_ZN7rocprim17ROCPRIM_400000_NS6detail17trampoline_kernelINS0_13kernel_configILj256ELj4ELj4294967295EEENS1_37radix_sort_block_sort_config_selectorIhNS0_10empty_typeEEEZNS1_21radix_sort_block_sortIS4_Lb0EPhS9_PS6_SA_NS0_19identity_decomposerEEE10hipError_tT1_T2_T3_T4_jRjT5_jjP12ihipStream_tbEUlT_E_NS1_11comp_targetILNS1_3genE5ELNS1_11target_archE942ELNS1_3gpuE9ELNS1_3repE0EEENS1_44radix_sort_block_sort_config_static_selectorELNS0_4arch9wavefront6targetE1EEEvSD_,@function
_ZN7rocprim17ROCPRIM_400000_NS6detail17trampoline_kernelINS0_13kernel_configILj256ELj4ELj4294967295EEENS1_37radix_sort_block_sort_config_selectorIhNS0_10empty_typeEEEZNS1_21radix_sort_block_sortIS4_Lb0EPhS9_PS6_SA_NS0_19identity_decomposerEEE10hipError_tT1_T2_T3_T4_jRjT5_jjP12ihipStream_tbEUlT_E_NS1_11comp_targetILNS1_3genE5ELNS1_11target_archE942ELNS1_3gpuE9ELNS1_3repE0EEENS1_44radix_sort_block_sort_config_static_selectorELNS0_4arch9wavefront6targetE1EEEvSD_: ; @_ZN7rocprim17ROCPRIM_400000_NS6detail17trampoline_kernelINS0_13kernel_configILj256ELj4ELj4294967295EEENS1_37radix_sort_block_sort_config_selectorIhNS0_10empty_typeEEEZNS1_21radix_sort_block_sortIS4_Lb0EPhS9_PS6_SA_NS0_19identity_decomposerEEE10hipError_tT1_T2_T3_T4_jRjT5_jjP12ihipStream_tbEUlT_E_NS1_11comp_targetILNS1_3genE5ELNS1_11target_archE942ELNS1_3gpuE9ELNS1_3repE0EEENS1_44radix_sort_block_sort_config_static_selectorELNS0_4arch9wavefront6targetE1EEEvSD_
; %bb.0:
	.section	.rodata,"a",@progbits
	.p2align	6, 0x0
	.amdhsa_kernel _ZN7rocprim17ROCPRIM_400000_NS6detail17trampoline_kernelINS0_13kernel_configILj256ELj4ELj4294967295EEENS1_37radix_sort_block_sort_config_selectorIhNS0_10empty_typeEEEZNS1_21radix_sort_block_sortIS4_Lb0EPhS9_PS6_SA_NS0_19identity_decomposerEEE10hipError_tT1_T2_T3_T4_jRjT5_jjP12ihipStream_tbEUlT_E_NS1_11comp_targetILNS1_3genE5ELNS1_11target_archE942ELNS1_3gpuE9ELNS1_3repE0EEENS1_44radix_sort_block_sort_config_static_selectorELNS0_4arch9wavefront6targetE1EEEvSD_
		.amdhsa_group_segment_fixed_size 0
		.amdhsa_private_segment_fixed_size 0
		.amdhsa_kernarg_size 48
		.amdhsa_user_sgpr_count 6
		.amdhsa_user_sgpr_private_segment_buffer 1
		.amdhsa_user_sgpr_dispatch_ptr 0
		.amdhsa_user_sgpr_queue_ptr 0
		.amdhsa_user_sgpr_kernarg_segment_ptr 1
		.amdhsa_user_sgpr_dispatch_id 0
		.amdhsa_user_sgpr_flat_scratch_init 0
		.amdhsa_user_sgpr_kernarg_preload_length 0
		.amdhsa_user_sgpr_kernarg_preload_offset 0
		.amdhsa_user_sgpr_private_segment_size 0
		.amdhsa_uses_dynamic_stack 0
		.amdhsa_system_sgpr_private_segment_wavefront_offset 0
		.amdhsa_system_sgpr_workgroup_id_x 1
		.amdhsa_system_sgpr_workgroup_id_y 0
		.amdhsa_system_sgpr_workgroup_id_z 0
		.amdhsa_system_sgpr_workgroup_info 0
		.amdhsa_system_vgpr_workitem_id 0
		.amdhsa_next_free_vgpr 1
		.amdhsa_next_free_sgpr 0
		.amdhsa_accum_offset 4
		.amdhsa_reserve_vcc 0
		.amdhsa_reserve_flat_scratch 0
		.amdhsa_float_round_mode_32 0
		.amdhsa_float_round_mode_16_64 0
		.amdhsa_float_denorm_mode_32 3
		.amdhsa_float_denorm_mode_16_64 3
		.amdhsa_dx10_clamp 1
		.amdhsa_ieee_mode 1
		.amdhsa_fp16_overflow 0
		.amdhsa_tg_split 0
		.amdhsa_exception_fp_ieee_invalid_op 0
		.amdhsa_exception_fp_denorm_src 0
		.amdhsa_exception_fp_ieee_div_zero 0
		.amdhsa_exception_fp_ieee_overflow 0
		.amdhsa_exception_fp_ieee_underflow 0
		.amdhsa_exception_fp_ieee_inexact 0
		.amdhsa_exception_int_div_zero 0
	.end_amdhsa_kernel
	.section	.text._ZN7rocprim17ROCPRIM_400000_NS6detail17trampoline_kernelINS0_13kernel_configILj256ELj4ELj4294967295EEENS1_37radix_sort_block_sort_config_selectorIhNS0_10empty_typeEEEZNS1_21radix_sort_block_sortIS4_Lb0EPhS9_PS6_SA_NS0_19identity_decomposerEEE10hipError_tT1_T2_T3_T4_jRjT5_jjP12ihipStream_tbEUlT_E_NS1_11comp_targetILNS1_3genE5ELNS1_11target_archE942ELNS1_3gpuE9ELNS1_3repE0EEENS1_44radix_sort_block_sort_config_static_selectorELNS0_4arch9wavefront6targetE1EEEvSD_,"axG",@progbits,_ZN7rocprim17ROCPRIM_400000_NS6detail17trampoline_kernelINS0_13kernel_configILj256ELj4ELj4294967295EEENS1_37radix_sort_block_sort_config_selectorIhNS0_10empty_typeEEEZNS1_21radix_sort_block_sortIS4_Lb0EPhS9_PS6_SA_NS0_19identity_decomposerEEE10hipError_tT1_T2_T3_T4_jRjT5_jjP12ihipStream_tbEUlT_E_NS1_11comp_targetILNS1_3genE5ELNS1_11target_archE942ELNS1_3gpuE9ELNS1_3repE0EEENS1_44radix_sort_block_sort_config_static_selectorELNS0_4arch9wavefront6targetE1EEEvSD_,comdat
.Lfunc_end229:
	.size	_ZN7rocprim17ROCPRIM_400000_NS6detail17trampoline_kernelINS0_13kernel_configILj256ELj4ELj4294967295EEENS1_37radix_sort_block_sort_config_selectorIhNS0_10empty_typeEEEZNS1_21radix_sort_block_sortIS4_Lb0EPhS9_PS6_SA_NS0_19identity_decomposerEEE10hipError_tT1_T2_T3_T4_jRjT5_jjP12ihipStream_tbEUlT_E_NS1_11comp_targetILNS1_3genE5ELNS1_11target_archE942ELNS1_3gpuE9ELNS1_3repE0EEENS1_44radix_sort_block_sort_config_static_selectorELNS0_4arch9wavefront6targetE1EEEvSD_, .Lfunc_end229-_ZN7rocprim17ROCPRIM_400000_NS6detail17trampoline_kernelINS0_13kernel_configILj256ELj4ELj4294967295EEENS1_37radix_sort_block_sort_config_selectorIhNS0_10empty_typeEEEZNS1_21radix_sort_block_sortIS4_Lb0EPhS9_PS6_SA_NS0_19identity_decomposerEEE10hipError_tT1_T2_T3_T4_jRjT5_jjP12ihipStream_tbEUlT_E_NS1_11comp_targetILNS1_3genE5ELNS1_11target_archE942ELNS1_3gpuE9ELNS1_3repE0EEENS1_44radix_sort_block_sort_config_static_selectorELNS0_4arch9wavefront6targetE1EEEvSD_
                                        ; -- End function
	.section	.AMDGPU.csdata,"",@progbits
; Kernel info:
; codeLenInByte = 0
; NumSgprs: 4
; NumVgprs: 0
; NumAgprs: 0
; TotalNumVgprs: 0
; ScratchSize: 0
; MemoryBound: 0
; FloatMode: 240
; IeeeMode: 1
; LDSByteSize: 0 bytes/workgroup (compile time only)
; SGPRBlocks: 0
; VGPRBlocks: 0
; NumSGPRsForWavesPerEU: 4
; NumVGPRsForWavesPerEU: 1
; AccumOffset: 4
; Occupancy: 8
; WaveLimiterHint : 0
; COMPUTE_PGM_RSRC2:SCRATCH_EN: 0
; COMPUTE_PGM_RSRC2:USER_SGPR: 6
; COMPUTE_PGM_RSRC2:TRAP_HANDLER: 0
; COMPUTE_PGM_RSRC2:TGID_X_EN: 1
; COMPUTE_PGM_RSRC2:TGID_Y_EN: 0
; COMPUTE_PGM_RSRC2:TGID_Z_EN: 0
; COMPUTE_PGM_RSRC2:TIDIG_COMP_CNT: 0
; COMPUTE_PGM_RSRC3_GFX90A:ACCUM_OFFSET: 0
; COMPUTE_PGM_RSRC3_GFX90A:TG_SPLIT: 0
	.section	.text._ZN7rocprim17ROCPRIM_400000_NS6detail17trampoline_kernelINS0_13kernel_configILj256ELj4ELj4294967295EEENS1_37radix_sort_block_sort_config_selectorIhNS0_10empty_typeEEEZNS1_21radix_sort_block_sortIS4_Lb0EPhS9_PS6_SA_NS0_19identity_decomposerEEE10hipError_tT1_T2_T3_T4_jRjT5_jjP12ihipStream_tbEUlT_E_NS1_11comp_targetILNS1_3genE4ELNS1_11target_archE910ELNS1_3gpuE8ELNS1_3repE0EEENS1_44radix_sort_block_sort_config_static_selectorELNS0_4arch9wavefront6targetE1EEEvSD_,"axG",@progbits,_ZN7rocprim17ROCPRIM_400000_NS6detail17trampoline_kernelINS0_13kernel_configILj256ELj4ELj4294967295EEENS1_37radix_sort_block_sort_config_selectorIhNS0_10empty_typeEEEZNS1_21radix_sort_block_sortIS4_Lb0EPhS9_PS6_SA_NS0_19identity_decomposerEEE10hipError_tT1_T2_T3_T4_jRjT5_jjP12ihipStream_tbEUlT_E_NS1_11comp_targetILNS1_3genE4ELNS1_11target_archE910ELNS1_3gpuE8ELNS1_3repE0EEENS1_44radix_sort_block_sort_config_static_selectorELNS0_4arch9wavefront6targetE1EEEvSD_,comdat
	.protected	_ZN7rocprim17ROCPRIM_400000_NS6detail17trampoline_kernelINS0_13kernel_configILj256ELj4ELj4294967295EEENS1_37radix_sort_block_sort_config_selectorIhNS0_10empty_typeEEEZNS1_21radix_sort_block_sortIS4_Lb0EPhS9_PS6_SA_NS0_19identity_decomposerEEE10hipError_tT1_T2_T3_T4_jRjT5_jjP12ihipStream_tbEUlT_E_NS1_11comp_targetILNS1_3genE4ELNS1_11target_archE910ELNS1_3gpuE8ELNS1_3repE0EEENS1_44radix_sort_block_sort_config_static_selectorELNS0_4arch9wavefront6targetE1EEEvSD_ ; -- Begin function _ZN7rocprim17ROCPRIM_400000_NS6detail17trampoline_kernelINS0_13kernel_configILj256ELj4ELj4294967295EEENS1_37radix_sort_block_sort_config_selectorIhNS0_10empty_typeEEEZNS1_21radix_sort_block_sortIS4_Lb0EPhS9_PS6_SA_NS0_19identity_decomposerEEE10hipError_tT1_T2_T3_T4_jRjT5_jjP12ihipStream_tbEUlT_E_NS1_11comp_targetILNS1_3genE4ELNS1_11target_archE910ELNS1_3gpuE8ELNS1_3repE0EEENS1_44radix_sort_block_sort_config_static_selectorELNS0_4arch9wavefront6targetE1EEEvSD_
	.globl	_ZN7rocprim17ROCPRIM_400000_NS6detail17trampoline_kernelINS0_13kernel_configILj256ELj4ELj4294967295EEENS1_37radix_sort_block_sort_config_selectorIhNS0_10empty_typeEEEZNS1_21radix_sort_block_sortIS4_Lb0EPhS9_PS6_SA_NS0_19identity_decomposerEEE10hipError_tT1_T2_T3_T4_jRjT5_jjP12ihipStream_tbEUlT_E_NS1_11comp_targetILNS1_3genE4ELNS1_11target_archE910ELNS1_3gpuE8ELNS1_3repE0EEENS1_44radix_sort_block_sort_config_static_selectorELNS0_4arch9wavefront6targetE1EEEvSD_
	.p2align	8
	.type	_ZN7rocprim17ROCPRIM_400000_NS6detail17trampoline_kernelINS0_13kernel_configILj256ELj4ELj4294967295EEENS1_37radix_sort_block_sort_config_selectorIhNS0_10empty_typeEEEZNS1_21radix_sort_block_sortIS4_Lb0EPhS9_PS6_SA_NS0_19identity_decomposerEEE10hipError_tT1_T2_T3_T4_jRjT5_jjP12ihipStream_tbEUlT_E_NS1_11comp_targetILNS1_3genE4ELNS1_11target_archE910ELNS1_3gpuE8ELNS1_3repE0EEENS1_44radix_sort_block_sort_config_static_selectorELNS0_4arch9wavefront6targetE1EEEvSD_,@function
_ZN7rocprim17ROCPRIM_400000_NS6detail17trampoline_kernelINS0_13kernel_configILj256ELj4ELj4294967295EEENS1_37radix_sort_block_sort_config_selectorIhNS0_10empty_typeEEEZNS1_21radix_sort_block_sortIS4_Lb0EPhS9_PS6_SA_NS0_19identity_decomposerEEE10hipError_tT1_T2_T3_T4_jRjT5_jjP12ihipStream_tbEUlT_E_NS1_11comp_targetILNS1_3genE4ELNS1_11target_archE910ELNS1_3gpuE8ELNS1_3repE0EEENS1_44radix_sort_block_sort_config_static_selectorELNS0_4arch9wavefront6targetE1EEEvSD_: ; @_ZN7rocprim17ROCPRIM_400000_NS6detail17trampoline_kernelINS0_13kernel_configILj256ELj4ELj4294967295EEENS1_37radix_sort_block_sort_config_selectorIhNS0_10empty_typeEEEZNS1_21radix_sort_block_sortIS4_Lb0EPhS9_PS6_SA_NS0_19identity_decomposerEEE10hipError_tT1_T2_T3_T4_jRjT5_jjP12ihipStream_tbEUlT_E_NS1_11comp_targetILNS1_3genE4ELNS1_11target_archE910ELNS1_3gpuE8ELNS1_3repE0EEENS1_44radix_sort_block_sort_config_static_selectorELNS0_4arch9wavefront6targetE1EEEvSD_
; %bb.0:
	s_load_dword s2, s[4:5], 0x20
	s_load_dwordx4 s[28:31], s[4:5], 0x0
	s_lshl_b32 s36, s6, 10
	v_mbcnt_lo_u32_b32 v1, -1, 0
	v_mbcnt_hi_u32_b32 v1, -1, v1
	s_waitcnt lgkmcnt(0)
	s_lshr_b32 s0, s2, 10
	s_cmp_lg_u32 s6, s0
	s_cselect_b64 s[34:35], -1, 0
	s_add_u32 s1, s28, s36
	v_and_b32_e32 v4, 0x3ff, v0
	s_addc_u32 s3, s29, 0
	v_and_b32_e32 v8, 63, v1
	v_lshlrev_b32_e32 v6, 2, v4
	v_mov_b32_e32 v2, s3
	v_add_co_u32_e32 v3, vcc, s1, v8
	v_and_b32_e32 v9, 0x300, v6
	v_addc_co_u32_e32 v5, vcc, 0, v2, vcc
	v_add_co_u32_e32 v2, vcc, v3, v9
	s_cmp_eq_u32 s6, s0
	v_addc_co_u32_e32 v3, vcc, 0, v5, vcc
	v_or_b32_e32 v7, v8, v9
	s_cbranch_scc1 .LBB230_2
; %bb.1:
	global_load_ubyte v12, v[2:3], off offset:192
	global_load_ubyte v14, v[2:3], off offset:128
	;; [unrolled: 1-line block ×3, first 2 shown]
	global_load_ubyte v5, v[2:3], off
	v_or_b32_e32 v18, v8, v9
	v_or_b32_e32 v15, 64, v18
	;; [unrolled: 1-line block ×4, first 2 shown]
	s_load_dwordx2 s[28:29], s[4:5], 0x28
	s_sub_i32 s33, s2, s36
	s_cbranch_execz .LBB230_3
	s_branch .LBB230_12
.LBB230_2:
                                        ; implicit-def: $vgpr5
                                        ; implicit-def: $vgpr13
                                        ; implicit-def: $vgpr14
                                        ; implicit-def: $vgpr12
                                        ; implicit-def: $vgpr18
                                        ; implicit-def: $vgpr15
                                        ; implicit-def: $vgpr16
                                        ; implicit-def: $vgpr17
	s_load_dwordx2 s[28:29], s[4:5], 0x28
	s_sub_i32 s33, s2, s36
.LBB230_3:
	v_cmp_gt_u32_e32 vcc, s33, v7
	s_waitcnt vmcnt(0)
	v_mov_b32_e32 v5, 0xff
	v_mov_b32_e32 v12, 0xff
	;; [unrolled: 1-line block ×4, first 2 shown]
	s_and_saveexec_b64 s[0:1], vcc
	s_cbranch_execz .LBB230_5
; %bb.4:
	global_load_ubyte v5, v[2:3], off
	v_mov_b32_e32 v13, 0xff
	v_mov_b32_e32 v14, 0xff
	;; [unrolled: 1-line block ×3, first 2 shown]
.LBB230_5:
	s_or_b64 exec, exec, s[0:1]
	v_or_b32_e32 v15, 64, v7
	v_cmp_gt_u32_e32 vcc, s33, v15
	s_and_saveexec_b64 s[0:1], vcc
	s_cbranch_execz .LBB230_7
; %bb.6:
	global_load_ubyte v13, v[2:3], off offset:64
.LBB230_7:
	s_or_b64 exec, exec, s[0:1]
	v_or_b32_e32 v16, 0x80, v7
	v_cmp_gt_u32_e32 vcc, s33, v16
	s_and_saveexec_b64 s[0:1], vcc
	s_cbranch_execz .LBB230_9
; %bb.8:
	global_load_ubyte v14, v[2:3], off offset:128
.LBB230_9:
	;; [unrolled: 8-line block ×3, first 2 shown]
	s_or_b64 exec, exec, s[0:1]
	v_mov_b32_e32 v18, v7
.LBB230_12:
	s_load_dword s2, s[4:5], 0x3c
	s_waitcnt lgkmcnt(0)
	s_add_i32 s37, s29, s28
	s_getpc_b64 s[0:1]
	s_add_u32 s0, s0, _ZN7rocprim17ROCPRIM_400000_NS16block_radix_sortIhLj256ELj4ENS0_10empty_typeELj1ELj1ELj0ELNS0_26block_radix_rank_algorithmE1ELNS0_18block_padding_hintE2ELNS0_4arch9wavefront6targetE1EE19radix_bits_per_passE@rel32@lo+4
	s_addc_u32 s1, s1, _ZN7rocprim17ROCPRIM_400000_NS16block_radix_sortIhLj256ELj4ENS0_10empty_typeELj1ELj1ELj0ELNS0_26block_radix_rank_algorithmE1ELNS0_18block_padding_hintE2ELNS0_4arch9wavefront6targetE1EE19radix_bits_per_passE@rel32@hi+12
	s_load_dword s38, s[0:1], 0x0
	v_bfe_u32 v2, v0, 10, 10
	s_lshr_b32 s0, s2, 16
	v_bfe_u32 v0, v0, 20, 10
	s_and_b32 s1, s2, 0xffff
	v_mad_u32_u24 v0, v0, s0, v2
	s_waitcnt vmcnt(0)
	v_mad_u64_u32 v[2:3], s[0:1], v0, s1, v[4:5]
	v_and_b32_e32 v0, 15, v1
	v_cmp_eq_u32_e64 s[0:1], 0, v0
	v_cmp_lt_u32_e64 s[2:3], 1, v0
	v_cmp_lt_u32_e64 s[4:5], 3, v0
	;; [unrolled: 1-line block ×3, first 2 shown]
	v_and_b32_e32 v0, 16, v1
	v_cmp_eq_u32_e64 s[8:9], 0, v0
	v_and_b32_e32 v0, 0x3c0, v4
	v_min_u32_e32 v0, 0xc0, v0
	v_or_b32_e32 v0, 63, v0
	v_lshrrev_b32_e32 v20, 6, v2
	v_cmp_eq_u32_e64 s[12:13], v0, v4
	v_add_u32_e32 v0, -1, v1
	v_and_b32_e32 v2, 64, v1
	v_cmp_lt_i32_e32 vcc, v0, v2
	v_cndmask_b32_e32 v0, v0, v1, vcc
	s_mov_b32 s26, 0
	v_lshlrev_b32_e32 v21, 2, v0
	v_lshrrev_b32_e32 v0, 4, v4
	v_lshlrev_b32_e32 v19, 2, v6
	v_cmp_lt_u32_e64 s[10:11], 31, v1
	v_cmp_eq_u32_e64 s[18:19], 0, v1
	v_and_b32_e32 v22, 60, v0
	v_mul_i32_i24_e32 v0, -12, v4
	v_and_b32_e32 v1, 3, v1
	s_mov_b32 s27, s26
	s_mov_b32 s40, s26
	;; [unrolled: 1-line block ×3, first 2 shown]
	v_cmp_gt_u32_e64 s[14:15], 4, v4
	v_cmp_lt_u32_e64 s[16:17], 63, v4
	v_cmp_eq_u32_e64 s[20:21], 0, v4
	v_cmp_eq_u32_e64 s[22:23], 0, v1
	v_cmp_lt_u32_e64 s[24:25], 1, v1
	v_add_u32_e32 v23, -4, v22
	v_pk_mov_b32 v[6:7], s[26:27], s[26:27] op_sel:[0,1]
	v_pk_mov_b32 v[8:9], s[40:41], s[40:41] op_sel:[0,1]
	v_add_u32_e32 v24, v19, v0
	v_mov_b32_e32 v10, 0
	s_branch .LBB230_14
.LBB230_13:                             ;   in Loop: Header=BB230_14 Depth=1
	v_add_u32_e32 v29, v25, v26
	s_barrier
	ds_write_b8 v29, v5
	v_add_u32_e32 v5, v28, v2
	ds_write_b8 v5, v13
	v_add_u32_e32 v5, v27, v1
	;; [unrolled: 2-line block ×3, first 2 shown]
	ds_write_b8 v5, v12
	s_waitcnt lgkmcnt(0)
	s_barrier
	ds_read_u8 v12, v17
	ds_read_u8 v14, v16
	;; [unrolled: 1-line block ×4, first 2 shown]
	s_add_i32 s29, s29, -8
	s_waitcnt lgkmcnt(0)
	s_barrier
	s_cbranch_execz .LBB230_30
.LBB230_14:                             ; =>This Inner Loop Header: Depth=1
	s_waitcnt lgkmcnt(0)
	s_min_u32 s26, s38, s29
	s_lshl_b32 s26, -1, s26
	s_not_b32 s39, s26
	v_lshrrev_b32_sdwa v0, s28, v5 dst_sel:DWORD dst_unused:UNUSED_PAD src0_sel:DWORD src1_sel:BYTE_0
	v_and_b32_e32 v0, s39, v0
	v_lshl_add_u32 v1, v0, 2, v20
	v_lshl_add_u32 v25, v1, 2, 16
	v_and_b32_e32 v1, 1, v0
	v_add_co_u32_e32 v2, vcc, -1, v1
	v_addc_co_u32_e64 v3, s[26:27], 0, -1, vcc
	v_cmp_ne_u32_e32 vcc, 0, v1
	v_lshlrev_b32_e32 v11, 30, v0
	v_xor_b32_e32 v1, vcc_hi, v3
	v_not_b32_e32 v3, v11
	v_xor_b32_e32 v2, vcc_lo, v2
	v_cmp_gt_i64_e32 vcc, 0, v[10:11]
	v_ashrrev_i32_e32 v3, 31, v3
	v_and_b32_e32 v1, exec_hi, v1
	v_xor_b32_e32 v11, vcc_hi, v3
	v_and_b32_e32 v2, exec_lo, v2
	v_xor_b32_e32 v3, vcc_lo, v3
	v_and_b32_e32 v1, v1, v11
	v_lshlrev_b32_e32 v11, 29, v0
	v_and_b32_e32 v2, v2, v3
	v_not_b32_e32 v3, v11
	v_cmp_gt_i64_e32 vcc, 0, v[10:11]
	v_ashrrev_i32_e32 v3, 31, v3
	v_xor_b32_e32 v11, vcc_hi, v3
	v_xor_b32_e32 v3, vcc_lo, v3
	v_and_b32_e32 v1, v1, v11
	v_lshlrev_b32_e32 v11, 28, v0
	v_and_b32_e32 v2, v2, v3
	v_not_b32_e32 v3, v11
	v_cmp_gt_i64_e32 vcc, 0, v[10:11]
	v_ashrrev_i32_e32 v3, 31, v3
	v_xor_b32_e32 v11, vcc_hi, v3
	;; [unrolled: 8-line block ×5, first 2 shown]
	v_and_b32_e32 v1, v1, v11
	v_lshlrev_b32_e32 v11, 24, v0
	v_not_b32_e32 v0, v11
	v_xor_b32_e32 v3, vcc_lo, v3
	v_cmp_gt_i64_e32 vcc, 0, v[10:11]
	v_ashrrev_i32_e32 v0, 31, v0
	v_and_b32_e32 v2, v2, v3
	v_xor_b32_e32 v3, vcc_hi, v0
	v_xor_b32_e32 v0, vcc_lo, v0
	v_and_b32_e32 v0, v2, v0
	v_and_b32_e32 v1, v1, v3
	v_mbcnt_lo_u32_b32 v2, v0, 0
	v_mbcnt_hi_u32_b32 v26, v1, v2
	v_cmp_eq_u32_e32 vcc, 0, v26
	v_cmp_ne_u64_e64 s[26:27], 0, v[0:1]
	s_and_b64 s[40:41], s[26:27], vcc
	ds_write2_b64 v19, v[6:7], v[8:9] offset0:2 offset1:3
	s_waitcnt lgkmcnt(0)
	s_barrier
	s_waitcnt lgkmcnt(0)
	; wave barrier
	s_and_saveexec_b64 s[26:27], s[40:41]
	s_cbranch_execz .LBB230_16
; %bb.15:                               ;   in Loop: Header=BB230_14 Depth=1
	v_bcnt_u32_b32 v0, v0, 0
	v_bcnt_u32_b32 v0, v1, v0
	ds_write_b32 v25, v0
.LBB230_16:                             ;   in Loop: Header=BB230_14 Depth=1
	s_or_b64 exec, exec, s[26:27]
	v_lshrrev_b32_sdwa v0, s28, v13 dst_sel:DWORD dst_unused:UNUSED_PAD src0_sel:DWORD src1_sel:BYTE_0
	v_and_b32_e32 v0, s39, v0
	v_lshlrev_b32_e32 v1, 2, v0
	v_add_lshl_u32 v1, v1, v20, 2
	; wave barrier
	v_add_u32_e32 v28, 16, v1
	ds_read_b32 v27, v1 offset:16
	v_and_b32_e32 v1, 1, v0
	v_add_co_u32_e32 v2, vcc, -1, v1
	v_addc_co_u32_e64 v3, s[26:27], 0, -1, vcc
	v_cmp_ne_u32_e32 vcc, 0, v1
	v_lshlrev_b32_e32 v11, 30, v0
	v_xor_b32_e32 v1, vcc_hi, v3
	v_not_b32_e32 v3, v11
	v_xor_b32_e32 v2, vcc_lo, v2
	v_cmp_gt_i64_e32 vcc, 0, v[10:11]
	v_ashrrev_i32_e32 v3, 31, v3
	v_and_b32_e32 v1, exec_hi, v1
	v_xor_b32_e32 v11, vcc_hi, v3
	v_and_b32_e32 v2, exec_lo, v2
	v_xor_b32_e32 v3, vcc_lo, v3
	v_and_b32_e32 v1, v1, v11
	v_lshlrev_b32_e32 v11, 29, v0
	v_and_b32_e32 v2, v2, v3
	v_not_b32_e32 v3, v11
	v_cmp_gt_i64_e32 vcc, 0, v[10:11]
	v_ashrrev_i32_e32 v3, 31, v3
	v_xor_b32_e32 v11, vcc_hi, v3
	v_xor_b32_e32 v3, vcc_lo, v3
	v_and_b32_e32 v1, v1, v11
	v_lshlrev_b32_e32 v11, 28, v0
	v_and_b32_e32 v2, v2, v3
	v_not_b32_e32 v3, v11
	v_cmp_gt_i64_e32 vcc, 0, v[10:11]
	v_ashrrev_i32_e32 v3, 31, v3
	v_xor_b32_e32 v11, vcc_hi, v3
	;; [unrolled: 8-line block ×5, first 2 shown]
	v_and_b32_e32 v1, v1, v11
	v_lshlrev_b32_e32 v11, 24, v0
	v_not_b32_e32 v0, v11
	v_xor_b32_e32 v3, vcc_lo, v3
	v_cmp_gt_i64_e32 vcc, 0, v[10:11]
	v_ashrrev_i32_e32 v0, 31, v0
	v_and_b32_e32 v2, v2, v3
	v_xor_b32_e32 v3, vcc_hi, v0
	v_xor_b32_e32 v0, vcc_lo, v0
	v_and_b32_e32 v0, v2, v0
	v_and_b32_e32 v1, v1, v3
	v_mbcnt_lo_u32_b32 v2, v0, 0
	v_mbcnt_hi_u32_b32 v29, v1, v2
	v_cmp_eq_u32_e32 vcc, 0, v29
	v_cmp_ne_u64_e64 s[26:27], 0, v[0:1]
	s_and_b64 s[40:41], s[26:27], vcc
	; wave barrier
	s_and_saveexec_b64 s[26:27], s[40:41]
	s_cbranch_execz .LBB230_18
; %bb.17:                               ;   in Loop: Header=BB230_14 Depth=1
	v_bcnt_u32_b32 v0, v0, 0
	v_bcnt_u32_b32 v0, v1, v0
	s_waitcnt lgkmcnt(0)
	v_add_u32_e32 v0, v27, v0
	ds_write_b32 v28, v0
.LBB230_18:                             ;   in Loop: Header=BB230_14 Depth=1
	s_or_b64 exec, exec, s[26:27]
	v_lshrrev_b32_sdwa v0, s28, v14 dst_sel:DWORD dst_unused:UNUSED_PAD src0_sel:DWORD src1_sel:BYTE_0
	v_and_b32_e32 v0, s39, v0
	v_lshlrev_b32_e32 v1, 2, v0
	v_add_lshl_u32 v1, v1, v20, 2
	; wave barrier
	v_add_u32_e32 v31, 16, v1
	ds_read_b32 v30, v1 offset:16
	v_and_b32_e32 v1, 1, v0
	v_add_co_u32_e32 v2, vcc, -1, v1
	v_addc_co_u32_e64 v3, s[26:27], 0, -1, vcc
	v_cmp_ne_u32_e32 vcc, 0, v1
	v_lshlrev_b32_e32 v11, 30, v0
	v_xor_b32_e32 v1, vcc_hi, v3
	v_not_b32_e32 v3, v11
	v_xor_b32_e32 v2, vcc_lo, v2
	v_cmp_gt_i64_e32 vcc, 0, v[10:11]
	v_ashrrev_i32_e32 v3, 31, v3
	v_and_b32_e32 v1, exec_hi, v1
	v_xor_b32_e32 v11, vcc_hi, v3
	v_and_b32_e32 v2, exec_lo, v2
	v_xor_b32_e32 v3, vcc_lo, v3
	v_and_b32_e32 v1, v1, v11
	v_lshlrev_b32_e32 v11, 29, v0
	v_and_b32_e32 v2, v2, v3
	v_not_b32_e32 v3, v11
	v_cmp_gt_i64_e32 vcc, 0, v[10:11]
	v_ashrrev_i32_e32 v3, 31, v3
	v_xor_b32_e32 v11, vcc_hi, v3
	v_xor_b32_e32 v3, vcc_lo, v3
	v_and_b32_e32 v1, v1, v11
	v_lshlrev_b32_e32 v11, 28, v0
	v_and_b32_e32 v2, v2, v3
	v_not_b32_e32 v3, v11
	v_cmp_gt_i64_e32 vcc, 0, v[10:11]
	v_ashrrev_i32_e32 v3, 31, v3
	v_xor_b32_e32 v11, vcc_hi, v3
	;; [unrolled: 8-line block ×5, first 2 shown]
	v_and_b32_e32 v1, v1, v11
	v_lshlrev_b32_e32 v11, 24, v0
	v_not_b32_e32 v0, v11
	v_xor_b32_e32 v3, vcc_lo, v3
	v_cmp_gt_i64_e32 vcc, 0, v[10:11]
	v_ashrrev_i32_e32 v0, 31, v0
	v_and_b32_e32 v2, v2, v3
	v_xor_b32_e32 v3, vcc_hi, v0
	v_xor_b32_e32 v0, vcc_lo, v0
	v_and_b32_e32 v0, v2, v0
	v_and_b32_e32 v1, v1, v3
	v_mbcnt_lo_u32_b32 v2, v0, 0
	v_mbcnt_hi_u32_b32 v32, v1, v2
	v_cmp_eq_u32_e32 vcc, 0, v32
	v_cmp_ne_u64_e64 s[26:27], 0, v[0:1]
	s_and_b64 s[40:41], s[26:27], vcc
	; wave barrier
	s_and_saveexec_b64 s[26:27], s[40:41]
	s_cbranch_execz .LBB230_20
; %bb.19:                               ;   in Loop: Header=BB230_14 Depth=1
	v_bcnt_u32_b32 v0, v0, 0
	v_bcnt_u32_b32 v0, v1, v0
	s_waitcnt lgkmcnt(0)
	v_add_u32_e32 v0, v30, v0
	ds_write_b32 v31, v0
.LBB230_20:                             ;   in Loop: Header=BB230_14 Depth=1
	s_or_b64 exec, exec, s[26:27]
	v_lshrrev_b32_sdwa v0, s28, v12 dst_sel:DWORD dst_unused:UNUSED_PAD src0_sel:DWORD src1_sel:BYTE_0
	v_and_b32_e32 v0, s39, v0
	v_lshlrev_b32_e32 v1, 2, v0
	v_add_lshl_u32 v1, v1, v20, 2
	; wave barrier
	v_add_u32_e32 v34, 16, v1
	ds_read_b32 v33, v1 offset:16
	v_and_b32_e32 v1, 1, v0
	v_add_co_u32_e32 v2, vcc, -1, v1
	v_addc_co_u32_e64 v3, s[26:27], 0, -1, vcc
	v_cmp_ne_u32_e32 vcc, 0, v1
	v_lshlrev_b32_e32 v11, 30, v0
	v_xor_b32_e32 v1, vcc_hi, v3
	v_not_b32_e32 v3, v11
	v_xor_b32_e32 v2, vcc_lo, v2
	v_cmp_gt_i64_e32 vcc, 0, v[10:11]
	v_ashrrev_i32_e32 v3, 31, v3
	v_and_b32_e32 v1, exec_hi, v1
	v_xor_b32_e32 v11, vcc_hi, v3
	v_and_b32_e32 v2, exec_lo, v2
	v_xor_b32_e32 v3, vcc_lo, v3
	v_and_b32_e32 v1, v1, v11
	v_lshlrev_b32_e32 v11, 29, v0
	v_and_b32_e32 v2, v2, v3
	v_not_b32_e32 v3, v11
	v_cmp_gt_i64_e32 vcc, 0, v[10:11]
	v_ashrrev_i32_e32 v3, 31, v3
	v_xor_b32_e32 v11, vcc_hi, v3
	v_xor_b32_e32 v3, vcc_lo, v3
	v_and_b32_e32 v1, v1, v11
	v_lshlrev_b32_e32 v11, 28, v0
	v_and_b32_e32 v2, v2, v3
	v_not_b32_e32 v3, v11
	v_cmp_gt_i64_e32 vcc, 0, v[10:11]
	v_ashrrev_i32_e32 v3, 31, v3
	v_xor_b32_e32 v11, vcc_hi, v3
	;; [unrolled: 8-line block ×5, first 2 shown]
	v_and_b32_e32 v1, v1, v11
	v_lshlrev_b32_e32 v11, 24, v0
	v_not_b32_e32 v0, v11
	v_xor_b32_e32 v3, vcc_lo, v3
	v_cmp_gt_i64_e32 vcc, 0, v[10:11]
	v_ashrrev_i32_e32 v0, 31, v0
	v_and_b32_e32 v2, v2, v3
	v_xor_b32_e32 v3, vcc_hi, v0
	v_xor_b32_e32 v0, vcc_lo, v0
	v_and_b32_e32 v0, v2, v0
	v_and_b32_e32 v1, v1, v3
	v_mbcnt_lo_u32_b32 v2, v0, 0
	v_mbcnt_hi_u32_b32 v11, v1, v2
	v_cmp_eq_u32_e32 vcc, 0, v11
	v_cmp_ne_u64_e64 s[26:27], 0, v[0:1]
	s_and_b64 s[40:41], s[26:27], vcc
	; wave barrier
	s_and_saveexec_b64 s[26:27], s[40:41]
	s_cbranch_execz .LBB230_22
; %bb.21:                               ;   in Loop: Header=BB230_14 Depth=1
	v_bcnt_u32_b32 v0, v0, 0
	v_bcnt_u32_b32 v0, v1, v0
	s_waitcnt lgkmcnt(0)
	v_add_u32_e32 v0, v33, v0
	ds_write_b32 v34, v0
.LBB230_22:                             ;   in Loop: Header=BB230_14 Depth=1
	s_or_b64 exec, exec, s[26:27]
	; wave barrier
	s_waitcnt lgkmcnt(0)
	s_barrier
	ds_read2_b64 v[0:3], v19 offset0:2 offset1:3
	s_waitcnt lgkmcnt(0)
	v_add_u32_e32 v35, v1, v0
	v_add3_u32 v3, v35, v2, v3
	s_nop 1
	v_mov_b32_dpp v35, v3 row_shr:1 row_mask:0xf bank_mask:0xf
	v_cndmask_b32_e64 v35, v35, 0, s[0:1]
	v_add_u32_e32 v3, v35, v3
	s_nop 1
	v_mov_b32_dpp v35, v3 row_shr:2 row_mask:0xf bank_mask:0xf
	v_cndmask_b32_e64 v35, 0, v35, s[2:3]
	v_add_u32_e32 v3, v3, v35
	;; [unrolled: 4-line block ×4, first 2 shown]
	s_nop 1
	v_mov_b32_dpp v35, v3 row_bcast:15 row_mask:0xf bank_mask:0xf
	v_cndmask_b32_e64 v35, v35, 0, s[8:9]
	v_add_u32_e32 v3, v3, v35
	s_nop 1
	v_mov_b32_dpp v35, v3 row_bcast:31 row_mask:0xf bank_mask:0xf
	v_cndmask_b32_e64 v35, 0, v35, s[10:11]
	v_add_u32_e32 v3, v3, v35
	s_and_saveexec_b64 s[26:27], s[12:13]
	s_cbranch_execz .LBB230_24
; %bb.23:                               ;   in Loop: Header=BB230_14 Depth=1
	ds_write_b32 v22, v3
.LBB230_24:                             ;   in Loop: Header=BB230_14 Depth=1
	s_or_b64 exec, exec, s[26:27]
	s_waitcnt lgkmcnt(0)
	s_barrier
	s_and_saveexec_b64 s[26:27], s[14:15]
	s_cbranch_execz .LBB230_26
; %bb.25:                               ;   in Loop: Header=BB230_14 Depth=1
	ds_read_b32 v35, v24
	s_waitcnt lgkmcnt(0)
	s_nop 0
	v_mov_b32_dpp v36, v35 row_shr:1 row_mask:0xf bank_mask:0xf
	v_cndmask_b32_e64 v36, v36, 0, s[22:23]
	v_add_u32_e32 v35, v36, v35
	s_nop 1
	v_mov_b32_dpp v36, v35 row_shr:2 row_mask:0xf bank_mask:0xf
	v_cndmask_b32_e64 v36, 0, v36, s[24:25]
	v_add_u32_e32 v35, v35, v36
	ds_write_b32 v24, v35
.LBB230_26:                             ;   in Loop: Header=BB230_14 Depth=1
	s_or_b64 exec, exec, s[26:27]
	v_mov_b32_e32 v38, 0
	s_waitcnt lgkmcnt(0)
	s_barrier
	s_and_saveexec_b64 s[26:27], s[16:17]
	s_cbranch_execz .LBB230_28
; %bb.27:                               ;   in Loop: Header=BB230_14 Depth=1
	ds_read_b32 v38, v23
.LBB230_28:                             ;   in Loop: Header=BB230_14 Depth=1
	s_or_b64 exec, exec, s[26:27]
	s_waitcnt lgkmcnt(0)
	v_add_u32_e32 v3, v38, v3
	ds_bpermute_b32 v39, v21, v3
	s_add_i32 s28, s28, 8
	v_mov_b32_e32 v37, v5
	v_mov_b32_e32 v36, v13
	;; [unrolled: 1-line block ×3, first 2 shown]
	s_waitcnt lgkmcnt(0)
	v_cndmask_b32_e64 v38, v39, v38, s[18:19]
	v_cndmask_b32_e64 v38, v38, 0, s[20:21]
	v_add_u32_e32 v39, v38, v0
	v_add_u32_e32 v0, v39, v1
	;; [unrolled: 1-line block ×3, first 2 shown]
	ds_write2_b64 v19, v[38:39], v[0:1] offset0:2 offset1:3
	s_waitcnt lgkmcnt(0)
	s_barrier
	ds_read_b32 v25, v25
	ds_read_b32 v2, v28
	;; [unrolled: 1-line block ×4, first 2 shown]
	v_mov_b32_e32 v3, v12
	s_cmp_ge_u32 s28, s37
	v_add_u32_e32 v28, v29, v27
	v_add_u32_e32 v27, v32, v30
	v_add_u32_e32 v11, v11, v33
	s_waitcnt lgkmcnt(0)
	s_cbranch_scc0 .LBB230_13
; %bb.29:
                                        ; implicit-def: $sgpr28
                                        ; implicit-def: $vgpr5
                                        ; implicit-def: $vgpr13
                                        ; implicit-def: $vgpr14
                                        ; implicit-def: $vgpr12
.LBB230_30:
	v_add_u32_e32 v5, v25, v26
	v_add_u32_e32 v2, v28, v2
	;; [unrolled: 1-line block ×4, first 2 shown]
	s_barrier
	ds_write_b8 v5, v37
	ds_write_b8 v2, v36
	;; [unrolled: 1-line block ×4, first 2 shown]
	s_waitcnt lgkmcnt(0)
	s_barrier
	ds_read_u8 v6, v4
	ds_read_u8 v5, v4 offset:256
	ds_read_u8 v3, v4 offset:512
	ds_read_u8 v2, v4 offset:768
	s_add_u32 s0, s30, s36
	s_addc_u32 s1, s31, 0
	v_mov_b32_e32 v1, s1
	v_add_co_u32_e64 v0, s[0:1], s0, v4
	s_andn2_b64 vcc, exec, s[34:35]
	v_addc_co_u32_e64 v1, s[0:1], 0, v1, s[0:1]
	s_cbranch_vccnz .LBB230_32
; %bb.31:
	s_mov_b64 s[0:1], -1
	s_waitcnt lgkmcnt(3)
	global_store_byte v[0:1], v6, off
	s_waitcnt lgkmcnt(2)
	global_store_byte v[0:1], v5, off offset:256
	s_waitcnt lgkmcnt(1)
	global_store_byte v[0:1], v3, off offset:512
	s_cbranch_execz .LBB230_33
	s_branch .LBB230_40
.LBB230_32:
	s_mov_b64 s[0:1], 0
.LBB230_33:
	v_cmp_gt_u32_e32 vcc, s33, v4
	s_and_saveexec_b64 s[0:1], vcc
	s_cbranch_execz .LBB230_35
; %bb.34:
	s_waitcnt lgkmcnt(3)
	global_store_byte v[0:1], v6, off
.LBB230_35:
	s_or_b64 exec, exec, s[0:1]
	s_waitcnt lgkmcnt(3)
	v_add_u32_e32 v6, 0x100, v4
	v_cmp_gt_u32_e32 vcc, s33, v6
	s_and_saveexec_b64 s[0:1], vcc
	s_cbranch_execz .LBB230_37
; %bb.36:
	s_waitcnt lgkmcnt(2)
	global_store_byte v[0:1], v5, off offset:256
.LBB230_37:
	s_or_b64 exec, exec, s[0:1]
	s_waitcnt lgkmcnt(2)
	v_add_u32_e32 v5, 0x200, v4
	v_cmp_gt_u32_e32 vcc, s33, v5
	s_and_saveexec_b64 s[0:1], vcc
	s_cbranch_execz .LBB230_39
; %bb.38:
	s_waitcnt lgkmcnt(1)
	global_store_byte v[0:1], v3, off offset:512
.LBB230_39:
	s_or_b64 exec, exec, s[0:1]
	s_waitcnt lgkmcnt(1)
	v_add_u32_e32 v3, 0x300, v4
	v_cmp_gt_u32_e64 s[0:1], s33, v3
.LBB230_40:
	s_and_saveexec_b64 s[2:3], s[0:1]
	s_cbranch_execnz .LBB230_42
; %bb.41:
	s_endpgm
.LBB230_42:
	s_waitcnt lgkmcnt(0)
	global_store_byte v[0:1], v2, off offset:768
	s_endpgm
	.section	.rodata,"a",@progbits
	.p2align	6, 0x0
	.amdhsa_kernel _ZN7rocprim17ROCPRIM_400000_NS6detail17trampoline_kernelINS0_13kernel_configILj256ELj4ELj4294967295EEENS1_37radix_sort_block_sort_config_selectorIhNS0_10empty_typeEEEZNS1_21radix_sort_block_sortIS4_Lb0EPhS9_PS6_SA_NS0_19identity_decomposerEEE10hipError_tT1_T2_T3_T4_jRjT5_jjP12ihipStream_tbEUlT_E_NS1_11comp_targetILNS1_3genE4ELNS1_11target_archE910ELNS1_3gpuE8ELNS1_3repE0EEENS1_44radix_sort_block_sort_config_static_selectorELNS0_4arch9wavefront6targetE1EEEvSD_
		.amdhsa_group_segment_fixed_size 4112
		.amdhsa_private_segment_fixed_size 0
		.amdhsa_kernarg_size 304
		.amdhsa_user_sgpr_count 6
		.amdhsa_user_sgpr_private_segment_buffer 1
		.amdhsa_user_sgpr_dispatch_ptr 0
		.amdhsa_user_sgpr_queue_ptr 0
		.amdhsa_user_sgpr_kernarg_segment_ptr 1
		.amdhsa_user_sgpr_dispatch_id 0
		.amdhsa_user_sgpr_flat_scratch_init 0
		.amdhsa_user_sgpr_kernarg_preload_length 0
		.amdhsa_user_sgpr_kernarg_preload_offset 0
		.amdhsa_user_sgpr_private_segment_size 0
		.amdhsa_uses_dynamic_stack 0
		.amdhsa_system_sgpr_private_segment_wavefront_offset 0
		.amdhsa_system_sgpr_workgroup_id_x 1
		.amdhsa_system_sgpr_workgroup_id_y 0
		.amdhsa_system_sgpr_workgroup_id_z 0
		.amdhsa_system_sgpr_workgroup_info 0
		.amdhsa_system_vgpr_workitem_id 2
		.amdhsa_next_free_vgpr 40
		.amdhsa_next_free_sgpr 42
		.amdhsa_accum_offset 40
		.amdhsa_reserve_vcc 1
		.amdhsa_reserve_flat_scratch 0
		.amdhsa_float_round_mode_32 0
		.amdhsa_float_round_mode_16_64 0
		.amdhsa_float_denorm_mode_32 3
		.amdhsa_float_denorm_mode_16_64 3
		.amdhsa_dx10_clamp 1
		.amdhsa_ieee_mode 1
		.amdhsa_fp16_overflow 0
		.amdhsa_tg_split 0
		.amdhsa_exception_fp_ieee_invalid_op 0
		.amdhsa_exception_fp_denorm_src 0
		.amdhsa_exception_fp_ieee_div_zero 0
		.amdhsa_exception_fp_ieee_overflow 0
		.amdhsa_exception_fp_ieee_underflow 0
		.amdhsa_exception_fp_ieee_inexact 0
		.amdhsa_exception_int_div_zero 0
	.end_amdhsa_kernel
	.section	.text._ZN7rocprim17ROCPRIM_400000_NS6detail17trampoline_kernelINS0_13kernel_configILj256ELj4ELj4294967295EEENS1_37radix_sort_block_sort_config_selectorIhNS0_10empty_typeEEEZNS1_21radix_sort_block_sortIS4_Lb0EPhS9_PS6_SA_NS0_19identity_decomposerEEE10hipError_tT1_T2_T3_T4_jRjT5_jjP12ihipStream_tbEUlT_E_NS1_11comp_targetILNS1_3genE4ELNS1_11target_archE910ELNS1_3gpuE8ELNS1_3repE0EEENS1_44radix_sort_block_sort_config_static_selectorELNS0_4arch9wavefront6targetE1EEEvSD_,"axG",@progbits,_ZN7rocprim17ROCPRIM_400000_NS6detail17trampoline_kernelINS0_13kernel_configILj256ELj4ELj4294967295EEENS1_37radix_sort_block_sort_config_selectorIhNS0_10empty_typeEEEZNS1_21radix_sort_block_sortIS4_Lb0EPhS9_PS6_SA_NS0_19identity_decomposerEEE10hipError_tT1_T2_T3_T4_jRjT5_jjP12ihipStream_tbEUlT_E_NS1_11comp_targetILNS1_3genE4ELNS1_11target_archE910ELNS1_3gpuE8ELNS1_3repE0EEENS1_44radix_sort_block_sort_config_static_selectorELNS0_4arch9wavefront6targetE1EEEvSD_,comdat
.Lfunc_end230:
	.size	_ZN7rocprim17ROCPRIM_400000_NS6detail17trampoline_kernelINS0_13kernel_configILj256ELj4ELj4294967295EEENS1_37radix_sort_block_sort_config_selectorIhNS0_10empty_typeEEEZNS1_21radix_sort_block_sortIS4_Lb0EPhS9_PS6_SA_NS0_19identity_decomposerEEE10hipError_tT1_T2_T3_T4_jRjT5_jjP12ihipStream_tbEUlT_E_NS1_11comp_targetILNS1_3genE4ELNS1_11target_archE910ELNS1_3gpuE8ELNS1_3repE0EEENS1_44radix_sort_block_sort_config_static_selectorELNS0_4arch9wavefront6targetE1EEEvSD_, .Lfunc_end230-_ZN7rocprim17ROCPRIM_400000_NS6detail17trampoline_kernelINS0_13kernel_configILj256ELj4ELj4294967295EEENS1_37radix_sort_block_sort_config_selectorIhNS0_10empty_typeEEEZNS1_21radix_sort_block_sortIS4_Lb0EPhS9_PS6_SA_NS0_19identity_decomposerEEE10hipError_tT1_T2_T3_T4_jRjT5_jjP12ihipStream_tbEUlT_E_NS1_11comp_targetILNS1_3genE4ELNS1_11target_archE910ELNS1_3gpuE8ELNS1_3repE0EEENS1_44radix_sort_block_sort_config_static_selectorELNS0_4arch9wavefront6targetE1EEEvSD_
                                        ; -- End function
	.section	.AMDGPU.csdata,"",@progbits
; Kernel info:
; codeLenInByte = 3108
; NumSgprs: 46
; NumVgprs: 40
; NumAgprs: 0
; TotalNumVgprs: 40
; ScratchSize: 0
; MemoryBound: 0
; FloatMode: 240
; IeeeMode: 1
; LDSByteSize: 4112 bytes/workgroup (compile time only)
; SGPRBlocks: 5
; VGPRBlocks: 4
; NumSGPRsForWavesPerEU: 46
; NumVGPRsForWavesPerEU: 40
; AccumOffset: 40
; Occupancy: 8
; WaveLimiterHint : 1
; COMPUTE_PGM_RSRC2:SCRATCH_EN: 0
; COMPUTE_PGM_RSRC2:USER_SGPR: 6
; COMPUTE_PGM_RSRC2:TRAP_HANDLER: 0
; COMPUTE_PGM_RSRC2:TGID_X_EN: 1
; COMPUTE_PGM_RSRC2:TGID_Y_EN: 0
; COMPUTE_PGM_RSRC2:TGID_Z_EN: 0
; COMPUTE_PGM_RSRC2:TIDIG_COMP_CNT: 2
; COMPUTE_PGM_RSRC3_GFX90A:ACCUM_OFFSET: 9
; COMPUTE_PGM_RSRC3_GFX90A:TG_SPLIT: 0
	.section	.text._ZN7rocprim17ROCPRIM_400000_NS6detail17trampoline_kernelINS0_13kernel_configILj256ELj4ELj4294967295EEENS1_37radix_sort_block_sort_config_selectorIhNS0_10empty_typeEEEZNS1_21radix_sort_block_sortIS4_Lb0EPhS9_PS6_SA_NS0_19identity_decomposerEEE10hipError_tT1_T2_T3_T4_jRjT5_jjP12ihipStream_tbEUlT_E_NS1_11comp_targetILNS1_3genE3ELNS1_11target_archE908ELNS1_3gpuE7ELNS1_3repE0EEENS1_44radix_sort_block_sort_config_static_selectorELNS0_4arch9wavefront6targetE1EEEvSD_,"axG",@progbits,_ZN7rocprim17ROCPRIM_400000_NS6detail17trampoline_kernelINS0_13kernel_configILj256ELj4ELj4294967295EEENS1_37radix_sort_block_sort_config_selectorIhNS0_10empty_typeEEEZNS1_21radix_sort_block_sortIS4_Lb0EPhS9_PS6_SA_NS0_19identity_decomposerEEE10hipError_tT1_T2_T3_T4_jRjT5_jjP12ihipStream_tbEUlT_E_NS1_11comp_targetILNS1_3genE3ELNS1_11target_archE908ELNS1_3gpuE7ELNS1_3repE0EEENS1_44radix_sort_block_sort_config_static_selectorELNS0_4arch9wavefront6targetE1EEEvSD_,comdat
	.protected	_ZN7rocprim17ROCPRIM_400000_NS6detail17trampoline_kernelINS0_13kernel_configILj256ELj4ELj4294967295EEENS1_37radix_sort_block_sort_config_selectorIhNS0_10empty_typeEEEZNS1_21radix_sort_block_sortIS4_Lb0EPhS9_PS6_SA_NS0_19identity_decomposerEEE10hipError_tT1_T2_T3_T4_jRjT5_jjP12ihipStream_tbEUlT_E_NS1_11comp_targetILNS1_3genE3ELNS1_11target_archE908ELNS1_3gpuE7ELNS1_3repE0EEENS1_44radix_sort_block_sort_config_static_selectorELNS0_4arch9wavefront6targetE1EEEvSD_ ; -- Begin function _ZN7rocprim17ROCPRIM_400000_NS6detail17trampoline_kernelINS0_13kernel_configILj256ELj4ELj4294967295EEENS1_37radix_sort_block_sort_config_selectorIhNS0_10empty_typeEEEZNS1_21radix_sort_block_sortIS4_Lb0EPhS9_PS6_SA_NS0_19identity_decomposerEEE10hipError_tT1_T2_T3_T4_jRjT5_jjP12ihipStream_tbEUlT_E_NS1_11comp_targetILNS1_3genE3ELNS1_11target_archE908ELNS1_3gpuE7ELNS1_3repE0EEENS1_44radix_sort_block_sort_config_static_selectorELNS0_4arch9wavefront6targetE1EEEvSD_
	.globl	_ZN7rocprim17ROCPRIM_400000_NS6detail17trampoline_kernelINS0_13kernel_configILj256ELj4ELj4294967295EEENS1_37radix_sort_block_sort_config_selectorIhNS0_10empty_typeEEEZNS1_21radix_sort_block_sortIS4_Lb0EPhS9_PS6_SA_NS0_19identity_decomposerEEE10hipError_tT1_T2_T3_T4_jRjT5_jjP12ihipStream_tbEUlT_E_NS1_11comp_targetILNS1_3genE3ELNS1_11target_archE908ELNS1_3gpuE7ELNS1_3repE0EEENS1_44radix_sort_block_sort_config_static_selectorELNS0_4arch9wavefront6targetE1EEEvSD_
	.p2align	8
	.type	_ZN7rocprim17ROCPRIM_400000_NS6detail17trampoline_kernelINS0_13kernel_configILj256ELj4ELj4294967295EEENS1_37radix_sort_block_sort_config_selectorIhNS0_10empty_typeEEEZNS1_21radix_sort_block_sortIS4_Lb0EPhS9_PS6_SA_NS0_19identity_decomposerEEE10hipError_tT1_T2_T3_T4_jRjT5_jjP12ihipStream_tbEUlT_E_NS1_11comp_targetILNS1_3genE3ELNS1_11target_archE908ELNS1_3gpuE7ELNS1_3repE0EEENS1_44radix_sort_block_sort_config_static_selectorELNS0_4arch9wavefront6targetE1EEEvSD_,@function
_ZN7rocprim17ROCPRIM_400000_NS6detail17trampoline_kernelINS0_13kernel_configILj256ELj4ELj4294967295EEENS1_37radix_sort_block_sort_config_selectorIhNS0_10empty_typeEEEZNS1_21radix_sort_block_sortIS4_Lb0EPhS9_PS6_SA_NS0_19identity_decomposerEEE10hipError_tT1_T2_T3_T4_jRjT5_jjP12ihipStream_tbEUlT_E_NS1_11comp_targetILNS1_3genE3ELNS1_11target_archE908ELNS1_3gpuE7ELNS1_3repE0EEENS1_44radix_sort_block_sort_config_static_selectorELNS0_4arch9wavefront6targetE1EEEvSD_: ; @_ZN7rocprim17ROCPRIM_400000_NS6detail17trampoline_kernelINS0_13kernel_configILj256ELj4ELj4294967295EEENS1_37radix_sort_block_sort_config_selectorIhNS0_10empty_typeEEEZNS1_21radix_sort_block_sortIS4_Lb0EPhS9_PS6_SA_NS0_19identity_decomposerEEE10hipError_tT1_T2_T3_T4_jRjT5_jjP12ihipStream_tbEUlT_E_NS1_11comp_targetILNS1_3genE3ELNS1_11target_archE908ELNS1_3gpuE7ELNS1_3repE0EEENS1_44radix_sort_block_sort_config_static_selectorELNS0_4arch9wavefront6targetE1EEEvSD_
; %bb.0:
	.section	.rodata,"a",@progbits
	.p2align	6, 0x0
	.amdhsa_kernel _ZN7rocprim17ROCPRIM_400000_NS6detail17trampoline_kernelINS0_13kernel_configILj256ELj4ELj4294967295EEENS1_37radix_sort_block_sort_config_selectorIhNS0_10empty_typeEEEZNS1_21radix_sort_block_sortIS4_Lb0EPhS9_PS6_SA_NS0_19identity_decomposerEEE10hipError_tT1_T2_T3_T4_jRjT5_jjP12ihipStream_tbEUlT_E_NS1_11comp_targetILNS1_3genE3ELNS1_11target_archE908ELNS1_3gpuE7ELNS1_3repE0EEENS1_44radix_sort_block_sort_config_static_selectorELNS0_4arch9wavefront6targetE1EEEvSD_
		.amdhsa_group_segment_fixed_size 0
		.amdhsa_private_segment_fixed_size 0
		.amdhsa_kernarg_size 48
		.amdhsa_user_sgpr_count 6
		.amdhsa_user_sgpr_private_segment_buffer 1
		.amdhsa_user_sgpr_dispatch_ptr 0
		.amdhsa_user_sgpr_queue_ptr 0
		.amdhsa_user_sgpr_kernarg_segment_ptr 1
		.amdhsa_user_sgpr_dispatch_id 0
		.amdhsa_user_sgpr_flat_scratch_init 0
		.amdhsa_user_sgpr_kernarg_preload_length 0
		.amdhsa_user_sgpr_kernarg_preload_offset 0
		.amdhsa_user_sgpr_private_segment_size 0
		.amdhsa_uses_dynamic_stack 0
		.amdhsa_system_sgpr_private_segment_wavefront_offset 0
		.amdhsa_system_sgpr_workgroup_id_x 1
		.amdhsa_system_sgpr_workgroup_id_y 0
		.amdhsa_system_sgpr_workgroup_id_z 0
		.amdhsa_system_sgpr_workgroup_info 0
		.amdhsa_system_vgpr_workitem_id 0
		.amdhsa_next_free_vgpr 1
		.amdhsa_next_free_sgpr 0
		.amdhsa_accum_offset 4
		.amdhsa_reserve_vcc 0
		.amdhsa_reserve_flat_scratch 0
		.amdhsa_float_round_mode_32 0
		.amdhsa_float_round_mode_16_64 0
		.amdhsa_float_denorm_mode_32 3
		.amdhsa_float_denorm_mode_16_64 3
		.amdhsa_dx10_clamp 1
		.amdhsa_ieee_mode 1
		.amdhsa_fp16_overflow 0
		.amdhsa_tg_split 0
		.amdhsa_exception_fp_ieee_invalid_op 0
		.amdhsa_exception_fp_denorm_src 0
		.amdhsa_exception_fp_ieee_div_zero 0
		.amdhsa_exception_fp_ieee_overflow 0
		.amdhsa_exception_fp_ieee_underflow 0
		.amdhsa_exception_fp_ieee_inexact 0
		.amdhsa_exception_int_div_zero 0
	.end_amdhsa_kernel
	.section	.text._ZN7rocprim17ROCPRIM_400000_NS6detail17trampoline_kernelINS0_13kernel_configILj256ELj4ELj4294967295EEENS1_37radix_sort_block_sort_config_selectorIhNS0_10empty_typeEEEZNS1_21radix_sort_block_sortIS4_Lb0EPhS9_PS6_SA_NS0_19identity_decomposerEEE10hipError_tT1_T2_T3_T4_jRjT5_jjP12ihipStream_tbEUlT_E_NS1_11comp_targetILNS1_3genE3ELNS1_11target_archE908ELNS1_3gpuE7ELNS1_3repE0EEENS1_44radix_sort_block_sort_config_static_selectorELNS0_4arch9wavefront6targetE1EEEvSD_,"axG",@progbits,_ZN7rocprim17ROCPRIM_400000_NS6detail17trampoline_kernelINS0_13kernel_configILj256ELj4ELj4294967295EEENS1_37radix_sort_block_sort_config_selectorIhNS0_10empty_typeEEEZNS1_21radix_sort_block_sortIS4_Lb0EPhS9_PS6_SA_NS0_19identity_decomposerEEE10hipError_tT1_T2_T3_T4_jRjT5_jjP12ihipStream_tbEUlT_E_NS1_11comp_targetILNS1_3genE3ELNS1_11target_archE908ELNS1_3gpuE7ELNS1_3repE0EEENS1_44radix_sort_block_sort_config_static_selectorELNS0_4arch9wavefront6targetE1EEEvSD_,comdat
.Lfunc_end231:
	.size	_ZN7rocprim17ROCPRIM_400000_NS6detail17trampoline_kernelINS0_13kernel_configILj256ELj4ELj4294967295EEENS1_37radix_sort_block_sort_config_selectorIhNS0_10empty_typeEEEZNS1_21radix_sort_block_sortIS4_Lb0EPhS9_PS6_SA_NS0_19identity_decomposerEEE10hipError_tT1_T2_T3_T4_jRjT5_jjP12ihipStream_tbEUlT_E_NS1_11comp_targetILNS1_3genE3ELNS1_11target_archE908ELNS1_3gpuE7ELNS1_3repE0EEENS1_44radix_sort_block_sort_config_static_selectorELNS0_4arch9wavefront6targetE1EEEvSD_, .Lfunc_end231-_ZN7rocprim17ROCPRIM_400000_NS6detail17trampoline_kernelINS0_13kernel_configILj256ELj4ELj4294967295EEENS1_37radix_sort_block_sort_config_selectorIhNS0_10empty_typeEEEZNS1_21radix_sort_block_sortIS4_Lb0EPhS9_PS6_SA_NS0_19identity_decomposerEEE10hipError_tT1_T2_T3_T4_jRjT5_jjP12ihipStream_tbEUlT_E_NS1_11comp_targetILNS1_3genE3ELNS1_11target_archE908ELNS1_3gpuE7ELNS1_3repE0EEENS1_44radix_sort_block_sort_config_static_selectorELNS0_4arch9wavefront6targetE1EEEvSD_
                                        ; -- End function
	.section	.AMDGPU.csdata,"",@progbits
; Kernel info:
; codeLenInByte = 0
; NumSgprs: 4
; NumVgprs: 0
; NumAgprs: 0
; TotalNumVgprs: 0
; ScratchSize: 0
; MemoryBound: 0
; FloatMode: 240
; IeeeMode: 1
; LDSByteSize: 0 bytes/workgroup (compile time only)
; SGPRBlocks: 0
; VGPRBlocks: 0
; NumSGPRsForWavesPerEU: 4
; NumVGPRsForWavesPerEU: 1
; AccumOffset: 4
; Occupancy: 8
; WaveLimiterHint : 0
; COMPUTE_PGM_RSRC2:SCRATCH_EN: 0
; COMPUTE_PGM_RSRC2:USER_SGPR: 6
; COMPUTE_PGM_RSRC2:TRAP_HANDLER: 0
; COMPUTE_PGM_RSRC2:TGID_X_EN: 1
; COMPUTE_PGM_RSRC2:TGID_Y_EN: 0
; COMPUTE_PGM_RSRC2:TGID_Z_EN: 0
; COMPUTE_PGM_RSRC2:TIDIG_COMP_CNT: 0
; COMPUTE_PGM_RSRC3_GFX90A:ACCUM_OFFSET: 0
; COMPUTE_PGM_RSRC3_GFX90A:TG_SPLIT: 0
	.section	.text._ZN7rocprim17ROCPRIM_400000_NS6detail17trampoline_kernelINS0_13kernel_configILj256ELj4ELj4294967295EEENS1_37radix_sort_block_sort_config_selectorIhNS0_10empty_typeEEEZNS1_21radix_sort_block_sortIS4_Lb0EPhS9_PS6_SA_NS0_19identity_decomposerEEE10hipError_tT1_T2_T3_T4_jRjT5_jjP12ihipStream_tbEUlT_E_NS1_11comp_targetILNS1_3genE2ELNS1_11target_archE906ELNS1_3gpuE6ELNS1_3repE0EEENS1_44radix_sort_block_sort_config_static_selectorELNS0_4arch9wavefront6targetE1EEEvSD_,"axG",@progbits,_ZN7rocprim17ROCPRIM_400000_NS6detail17trampoline_kernelINS0_13kernel_configILj256ELj4ELj4294967295EEENS1_37radix_sort_block_sort_config_selectorIhNS0_10empty_typeEEEZNS1_21radix_sort_block_sortIS4_Lb0EPhS9_PS6_SA_NS0_19identity_decomposerEEE10hipError_tT1_T2_T3_T4_jRjT5_jjP12ihipStream_tbEUlT_E_NS1_11comp_targetILNS1_3genE2ELNS1_11target_archE906ELNS1_3gpuE6ELNS1_3repE0EEENS1_44radix_sort_block_sort_config_static_selectorELNS0_4arch9wavefront6targetE1EEEvSD_,comdat
	.protected	_ZN7rocprim17ROCPRIM_400000_NS6detail17trampoline_kernelINS0_13kernel_configILj256ELj4ELj4294967295EEENS1_37radix_sort_block_sort_config_selectorIhNS0_10empty_typeEEEZNS1_21radix_sort_block_sortIS4_Lb0EPhS9_PS6_SA_NS0_19identity_decomposerEEE10hipError_tT1_T2_T3_T4_jRjT5_jjP12ihipStream_tbEUlT_E_NS1_11comp_targetILNS1_3genE2ELNS1_11target_archE906ELNS1_3gpuE6ELNS1_3repE0EEENS1_44radix_sort_block_sort_config_static_selectorELNS0_4arch9wavefront6targetE1EEEvSD_ ; -- Begin function _ZN7rocprim17ROCPRIM_400000_NS6detail17trampoline_kernelINS0_13kernel_configILj256ELj4ELj4294967295EEENS1_37radix_sort_block_sort_config_selectorIhNS0_10empty_typeEEEZNS1_21radix_sort_block_sortIS4_Lb0EPhS9_PS6_SA_NS0_19identity_decomposerEEE10hipError_tT1_T2_T3_T4_jRjT5_jjP12ihipStream_tbEUlT_E_NS1_11comp_targetILNS1_3genE2ELNS1_11target_archE906ELNS1_3gpuE6ELNS1_3repE0EEENS1_44radix_sort_block_sort_config_static_selectorELNS0_4arch9wavefront6targetE1EEEvSD_
	.globl	_ZN7rocprim17ROCPRIM_400000_NS6detail17trampoline_kernelINS0_13kernel_configILj256ELj4ELj4294967295EEENS1_37radix_sort_block_sort_config_selectorIhNS0_10empty_typeEEEZNS1_21radix_sort_block_sortIS4_Lb0EPhS9_PS6_SA_NS0_19identity_decomposerEEE10hipError_tT1_T2_T3_T4_jRjT5_jjP12ihipStream_tbEUlT_E_NS1_11comp_targetILNS1_3genE2ELNS1_11target_archE906ELNS1_3gpuE6ELNS1_3repE0EEENS1_44radix_sort_block_sort_config_static_selectorELNS0_4arch9wavefront6targetE1EEEvSD_
	.p2align	8
	.type	_ZN7rocprim17ROCPRIM_400000_NS6detail17trampoline_kernelINS0_13kernel_configILj256ELj4ELj4294967295EEENS1_37radix_sort_block_sort_config_selectorIhNS0_10empty_typeEEEZNS1_21radix_sort_block_sortIS4_Lb0EPhS9_PS6_SA_NS0_19identity_decomposerEEE10hipError_tT1_T2_T3_T4_jRjT5_jjP12ihipStream_tbEUlT_E_NS1_11comp_targetILNS1_3genE2ELNS1_11target_archE906ELNS1_3gpuE6ELNS1_3repE0EEENS1_44radix_sort_block_sort_config_static_selectorELNS0_4arch9wavefront6targetE1EEEvSD_,@function
_ZN7rocprim17ROCPRIM_400000_NS6detail17trampoline_kernelINS0_13kernel_configILj256ELj4ELj4294967295EEENS1_37radix_sort_block_sort_config_selectorIhNS0_10empty_typeEEEZNS1_21radix_sort_block_sortIS4_Lb0EPhS9_PS6_SA_NS0_19identity_decomposerEEE10hipError_tT1_T2_T3_T4_jRjT5_jjP12ihipStream_tbEUlT_E_NS1_11comp_targetILNS1_3genE2ELNS1_11target_archE906ELNS1_3gpuE6ELNS1_3repE0EEENS1_44radix_sort_block_sort_config_static_selectorELNS0_4arch9wavefront6targetE1EEEvSD_: ; @_ZN7rocprim17ROCPRIM_400000_NS6detail17trampoline_kernelINS0_13kernel_configILj256ELj4ELj4294967295EEENS1_37radix_sort_block_sort_config_selectorIhNS0_10empty_typeEEEZNS1_21radix_sort_block_sortIS4_Lb0EPhS9_PS6_SA_NS0_19identity_decomposerEEE10hipError_tT1_T2_T3_T4_jRjT5_jjP12ihipStream_tbEUlT_E_NS1_11comp_targetILNS1_3genE2ELNS1_11target_archE906ELNS1_3gpuE6ELNS1_3repE0EEENS1_44radix_sort_block_sort_config_static_selectorELNS0_4arch9wavefront6targetE1EEEvSD_
; %bb.0:
	.section	.rodata,"a",@progbits
	.p2align	6, 0x0
	.amdhsa_kernel _ZN7rocprim17ROCPRIM_400000_NS6detail17trampoline_kernelINS0_13kernel_configILj256ELj4ELj4294967295EEENS1_37radix_sort_block_sort_config_selectorIhNS0_10empty_typeEEEZNS1_21radix_sort_block_sortIS4_Lb0EPhS9_PS6_SA_NS0_19identity_decomposerEEE10hipError_tT1_T2_T3_T4_jRjT5_jjP12ihipStream_tbEUlT_E_NS1_11comp_targetILNS1_3genE2ELNS1_11target_archE906ELNS1_3gpuE6ELNS1_3repE0EEENS1_44radix_sort_block_sort_config_static_selectorELNS0_4arch9wavefront6targetE1EEEvSD_
		.amdhsa_group_segment_fixed_size 0
		.amdhsa_private_segment_fixed_size 0
		.amdhsa_kernarg_size 48
		.amdhsa_user_sgpr_count 6
		.amdhsa_user_sgpr_private_segment_buffer 1
		.amdhsa_user_sgpr_dispatch_ptr 0
		.amdhsa_user_sgpr_queue_ptr 0
		.amdhsa_user_sgpr_kernarg_segment_ptr 1
		.amdhsa_user_sgpr_dispatch_id 0
		.amdhsa_user_sgpr_flat_scratch_init 0
		.amdhsa_user_sgpr_kernarg_preload_length 0
		.amdhsa_user_sgpr_kernarg_preload_offset 0
		.amdhsa_user_sgpr_private_segment_size 0
		.amdhsa_uses_dynamic_stack 0
		.amdhsa_system_sgpr_private_segment_wavefront_offset 0
		.amdhsa_system_sgpr_workgroup_id_x 1
		.amdhsa_system_sgpr_workgroup_id_y 0
		.amdhsa_system_sgpr_workgroup_id_z 0
		.amdhsa_system_sgpr_workgroup_info 0
		.amdhsa_system_vgpr_workitem_id 0
		.amdhsa_next_free_vgpr 1
		.amdhsa_next_free_sgpr 0
		.amdhsa_accum_offset 4
		.amdhsa_reserve_vcc 0
		.amdhsa_reserve_flat_scratch 0
		.amdhsa_float_round_mode_32 0
		.amdhsa_float_round_mode_16_64 0
		.amdhsa_float_denorm_mode_32 3
		.amdhsa_float_denorm_mode_16_64 3
		.amdhsa_dx10_clamp 1
		.amdhsa_ieee_mode 1
		.amdhsa_fp16_overflow 0
		.amdhsa_tg_split 0
		.amdhsa_exception_fp_ieee_invalid_op 0
		.amdhsa_exception_fp_denorm_src 0
		.amdhsa_exception_fp_ieee_div_zero 0
		.amdhsa_exception_fp_ieee_overflow 0
		.amdhsa_exception_fp_ieee_underflow 0
		.amdhsa_exception_fp_ieee_inexact 0
		.amdhsa_exception_int_div_zero 0
	.end_amdhsa_kernel
	.section	.text._ZN7rocprim17ROCPRIM_400000_NS6detail17trampoline_kernelINS0_13kernel_configILj256ELj4ELj4294967295EEENS1_37radix_sort_block_sort_config_selectorIhNS0_10empty_typeEEEZNS1_21radix_sort_block_sortIS4_Lb0EPhS9_PS6_SA_NS0_19identity_decomposerEEE10hipError_tT1_T2_T3_T4_jRjT5_jjP12ihipStream_tbEUlT_E_NS1_11comp_targetILNS1_3genE2ELNS1_11target_archE906ELNS1_3gpuE6ELNS1_3repE0EEENS1_44radix_sort_block_sort_config_static_selectorELNS0_4arch9wavefront6targetE1EEEvSD_,"axG",@progbits,_ZN7rocprim17ROCPRIM_400000_NS6detail17trampoline_kernelINS0_13kernel_configILj256ELj4ELj4294967295EEENS1_37radix_sort_block_sort_config_selectorIhNS0_10empty_typeEEEZNS1_21radix_sort_block_sortIS4_Lb0EPhS9_PS6_SA_NS0_19identity_decomposerEEE10hipError_tT1_T2_T3_T4_jRjT5_jjP12ihipStream_tbEUlT_E_NS1_11comp_targetILNS1_3genE2ELNS1_11target_archE906ELNS1_3gpuE6ELNS1_3repE0EEENS1_44radix_sort_block_sort_config_static_selectorELNS0_4arch9wavefront6targetE1EEEvSD_,comdat
.Lfunc_end232:
	.size	_ZN7rocprim17ROCPRIM_400000_NS6detail17trampoline_kernelINS0_13kernel_configILj256ELj4ELj4294967295EEENS1_37radix_sort_block_sort_config_selectorIhNS0_10empty_typeEEEZNS1_21radix_sort_block_sortIS4_Lb0EPhS9_PS6_SA_NS0_19identity_decomposerEEE10hipError_tT1_T2_T3_T4_jRjT5_jjP12ihipStream_tbEUlT_E_NS1_11comp_targetILNS1_3genE2ELNS1_11target_archE906ELNS1_3gpuE6ELNS1_3repE0EEENS1_44radix_sort_block_sort_config_static_selectorELNS0_4arch9wavefront6targetE1EEEvSD_, .Lfunc_end232-_ZN7rocprim17ROCPRIM_400000_NS6detail17trampoline_kernelINS0_13kernel_configILj256ELj4ELj4294967295EEENS1_37radix_sort_block_sort_config_selectorIhNS0_10empty_typeEEEZNS1_21radix_sort_block_sortIS4_Lb0EPhS9_PS6_SA_NS0_19identity_decomposerEEE10hipError_tT1_T2_T3_T4_jRjT5_jjP12ihipStream_tbEUlT_E_NS1_11comp_targetILNS1_3genE2ELNS1_11target_archE906ELNS1_3gpuE6ELNS1_3repE0EEENS1_44radix_sort_block_sort_config_static_selectorELNS0_4arch9wavefront6targetE1EEEvSD_
                                        ; -- End function
	.section	.AMDGPU.csdata,"",@progbits
; Kernel info:
; codeLenInByte = 0
; NumSgprs: 4
; NumVgprs: 0
; NumAgprs: 0
; TotalNumVgprs: 0
; ScratchSize: 0
; MemoryBound: 0
; FloatMode: 240
; IeeeMode: 1
; LDSByteSize: 0 bytes/workgroup (compile time only)
; SGPRBlocks: 0
; VGPRBlocks: 0
; NumSGPRsForWavesPerEU: 4
; NumVGPRsForWavesPerEU: 1
; AccumOffset: 4
; Occupancy: 8
; WaveLimiterHint : 0
; COMPUTE_PGM_RSRC2:SCRATCH_EN: 0
; COMPUTE_PGM_RSRC2:USER_SGPR: 6
; COMPUTE_PGM_RSRC2:TRAP_HANDLER: 0
; COMPUTE_PGM_RSRC2:TGID_X_EN: 1
; COMPUTE_PGM_RSRC2:TGID_Y_EN: 0
; COMPUTE_PGM_RSRC2:TGID_Z_EN: 0
; COMPUTE_PGM_RSRC2:TIDIG_COMP_CNT: 0
; COMPUTE_PGM_RSRC3_GFX90A:ACCUM_OFFSET: 0
; COMPUTE_PGM_RSRC3_GFX90A:TG_SPLIT: 0
	.section	.text._ZN7rocprim17ROCPRIM_400000_NS6detail17trampoline_kernelINS0_13kernel_configILj256ELj4ELj4294967295EEENS1_37radix_sort_block_sort_config_selectorIhNS0_10empty_typeEEEZNS1_21radix_sort_block_sortIS4_Lb0EPhS9_PS6_SA_NS0_19identity_decomposerEEE10hipError_tT1_T2_T3_T4_jRjT5_jjP12ihipStream_tbEUlT_E_NS1_11comp_targetILNS1_3genE10ELNS1_11target_archE1201ELNS1_3gpuE5ELNS1_3repE0EEENS1_44radix_sort_block_sort_config_static_selectorELNS0_4arch9wavefront6targetE1EEEvSD_,"axG",@progbits,_ZN7rocprim17ROCPRIM_400000_NS6detail17trampoline_kernelINS0_13kernel_configILj256ELj4ELj4294967295EEENS1_37radix_sort_block_sort_config_selectorIhNS0_10empty_typeEEEZNS1_21radix_sort_block_sortIS4_Lb0EPhS9_PS6_SA_NS0_19identity_decomposerEEE10hipError_tT1_T2_T3_T4_jRjT5_jjP12ihipStream_tbEUlT_E_NS1_11comp_targetILNS1_3genE10ELNS1_11target_archE1201ELNS1_3gpuE5ELNS1_3repE0EEENS1_44radix_sort_block_sort_config_static_selectorELNS0_4arch9wavefront6targetE1EEEvSD_,comdat
	.protected	_ZN7rocprim17ROCPRIM_400000_NS6detail17trampoline_kernelINS0_13kernel_configILj256ELj4ELj4294967295EEENS1_37radix_sort_block_sort_config_selectorIhNS0_10empty_typeEEEZNS1_21radix_sort_block_sortIS4_Lb0EPhS9_PS6_SA_NS0_19identity_decomposerEEE10hipError_tT1_T2_T3_T4_jRjT5_jjP12ihipStream_tbEUlT_E_NS1_11comp_targetILNS1_3genE10ELNS1_11target_archE1201ELNS1_3gpuE5ELNS1_3repE0EEENS1_44radix_sort_block_sort_config_static_selectorELNS0_4arch9wavefront6targetE1EEEvSD_ ; -- Begin function _ZN7rocprim17ROCPRIM_400000_NS6detail17trampoline_kernelINS0_13kernel_configILj256ELj4ELj4294967295EEENS1_37radix_sort_block_sort_config_selectorIhNS0_10empty_typeEEEZNS1_21radix_sort_block_sortIS4_Lb0EPhS9_PS6_SA_NS0_19identity_decomposerEEE10hipError_tT1_T2_T3_T4_jRjT5_jjP12ihipStream_tbEUlT_E_NS1_11comp_targetILNS1_3genE10ELNS1_11target_archE1201ELNS1_3gpuE5ELNS1_3repE0EEENS1_44radix_sort_block_sort_config_static_selectorELNS0_4arch9wavefront6targetE1EEEvSD_
	.globl	_ZN7rocprim17ROCPRIM_400000_NS6detail17trampoline_kernelINS0_13kernel_configILj256ELj4ELj4294967295EEENS1_37radix_sort_block_sort_config_selectorIhNS0_10empty_typeEEEZNS1_21radix_sort_block_sortIS4_Lb0EPhS9_PS6_SA_NS0_19identity_decomposerEEE10hipError_tT1_T2_T3_T4_jRjT5_jjP12ihipStream_tbEUlT_E_NS1_11comp_targetILNS1_3genE10ELNS1_11target_archE1201ELNS1_3gpuE5ELNS1_3repE0EEENS1_44radix_sort_block_sort_config_static_selectorELNS0_4arch9wavefront6targetE1EEEvSD_
	.p2align	8
	.type	_ZN7rocprim17ROCPRIM_400000_NS6detail17trampoline_kernelINS0_13kernel_configILj256ELj4ELj4294967295EEENS1_37radix_sort_block_sort_config_selectorIhNS0_10empty_typeEEEZNS1_21radix_sort_block_sortIS4_Lb0EPhS9_PS6_SA_NS0_19identity_decomposerEEE10hipError_tT1_T2_T3_T4_jRjT5_jjP12ihipStream_tbEUlT_E_NS1_11comp_targetILNS1_3genE10ELNS1_11target_archE1201ELNS1_3gpuE5ELNS1_3repE0EEENS1_44radix_sort_block_sort_config_static_selectorELNS0_4arch9wavefront6targetE1EEEvSD_,@function
_ZN7rocprim17ROCPRIM_400000_NS6detail17trampoline_kernelINS0_13kernel_configILj256ELj4ELj4294967295EEENS1_37radix_sort_block_sort_config_selectorIhNS0_10empty_typeEEEZNS1_21radix_sort_block_sortIS4_Lb0EPhS9_PS6_SA_NS0_19identity_decomposerEEE10hipError_tT1_T2_T3_T4_jRjT5_jjP12ihipStream_tbEUlT_E_NS1_11comp_targetILNS1_3genE10ELNS1_11target_archE1201ELNS1_3gpuE5ELNS1_3repE0EEENS1_44radix_sort_block_sort_config_static_selectorELNS0_4arch9wavefront6targetE1EEEvSD_: ; @_ZN7rocprim17ROCPRIM_400000_NS6detail17trampoline_kernelINS0_13kernel_configILj256ELj4ELj4294967295EEENS1_37radix_sort_block_sort_config_selectorIhNS0_10empty_typeEEEZNS1_21radix_sort_block_sortIS4_Lb0EPhS9_PS6_SA_NS0_19identity_decomposerEEE10hipError_tT1_T2_T3_T4_jRjT5_jjP12ihipStream_tbEUlT_E_NS1_11comp_targetILNS1_3genE10ELNS1_11target_archE1201ELNS1_3gpuE5ELNS1_3repE0EEENS1_44radix_sort_block_sort_config_static_selectorELNS0_4arch9wavefront6targetE1EEEvSD_
; %bb.0:
	.section	.rodata,"a",@progbits
	.p2align	6, 0x0
	.amdhsa_kernel _ZN7rocprim17ROCPRIM_400000_NS6detail17trampoline_kernelINS0_13kernel_configILj256ELj4ELj4294967295EEENS1_37radix_sort_block_sort_config_selectorIhNS0_10empty_typeEEEZNS1_21radix_sort_block_sortIS4_Lb0EPhS9_PS6_SA_NS0_19identity_decomposerEEE10hipError_tT1_T2_T3_T4_jRjT5_jjP12ihipStream_tbEUlT_E_NS1_11comp_targetILNS1_3genE10ELNS1_11target_archE1201ELNS1_3gpuE5ELNS1_3repE0EEENS1_44radix_sort_block_sort_config_static_selectorELNS0_4arch9wavefront6targetE1EEEvSD_
		.amdhsa_group_segment_fixed_size 0
		.amdhsa_private_segment_fixed_size 0
		.amdhsa_kernarg_size 48
		.amdhsa_user_sgpr_count 6
		.amdhsa_user_sgpr_private_segment_buffer 1
		.amdhsa_user_sgpr_dispatch_ptr 0
		.amdhsa_user_sgpr_queue_ptr 0
		.amdhsa_user_sgpr_kernarg_segment_ptr 1
		.amdhsa_user_sgpr_dispatch_id 0
		.amdhsa_user_sgpr_flat_scratch_init 0
		.amdhsa_user_sgpr_kernarg_preload_length 0
		.amdhsa_user_sgpr_kernarg_preload_offset 0
		.amdhsa_user_sgpr_private_segment_size 0
		.amdhsa_uses_dynamic_stack 0
		.amdhsa_system_sgpr_private_segment_wavefront_offset 0
		.amdhsa_system_sgpr_workgroup_id_x 1
		.amdhsa_system_sgpr_workgroup_id_y 0
		.amdhsa_system_sgpr_workgroup_id_z 0
		.amdhsa_system_sgpr_workgroup_info 0
		.amdhsa_system_vgpr_workitem_id 0
		.amdhsa_next_free_vgpr 1
		.amdhsa_next_free_sgpr 0
		.amdhsa_accum_offset 4
		.amdhsa_reserve_vcc 0
		.amdhsa_reserve_flat_scratch 0
		.amdhsa_float_round_mode_32 0
		.amdhsa_float_round_mode_16_64 0
		.amdhsa_float_denorm_mode_32 3
		.amdhsa_float_denorm_mode_16_64 3
		.amdhsa_dx10_clamp 1
		.amdhsa_ieee_mode 1
		.amdhsa_fp16_overflow 0
		.amdhsa_tg_split 0
		.amdhsa_exception_fp_ieee_invalid_op 0
		.amdhsa_exception_fp_denorm_src 0
		.amdhsa_exception_fp_ieee_div_zero 0
		.amdhsa_exception_fp_ieee_overflow 0
		.amdhsa_exception_fp_ieee_underflow 0
		.amdhsa_exception_fp_ieee_inexact 0
		.amdhsa_exception_int_div_zero 0
	.end_amdhsa_kernel
	.section	.text._ZN7rocprim17ROCPRIM_400000_NS6detail17trampoline_kernelINS0_13kernel_configILj256ELj4ELj4294967295EEENS1_37radix_sort_block_sort_config_selectorIhNS0_10empty_typeEEEZNS1_21radix_sort_block_sortIS4_Lb0EPhS9_PS6_SA_NS0_19identity_decomposerEEE10hipError_tT1_T2_T3_T4_jRjT5_jjP12ihipStream_tbEUlT_E_NS1_11comp_targetILNS1_3genE10ELNS1_11target_archE1201ELNS1_3gpuE5ELNS1_3repE0EEENS1_44radix_sort_block_sort_config_static_selectorELNS0_4arch9wavefront6targetE1EEEvSD_,"axG",@progbits,_ZN7rocprim17ROCPRIM_400000_NS6detail17trampoline_kernelINS0_13kernel_configILj256ELj4ELj4294967295EEENS1_37radix_sort_block_sort_config_selectorIhNS0_10empty_typeEEEZNS1_21radix_sort_block_sortIS4_Lb0EPhS9_PS6_SA_NS0_19identity_decomposerEEE10hipError_tT1_T2_T3_T4_jRjT5_jjP12ihipStream_tbEUlT_E_NS1_11comp_targetILNS1_3genE10ELNS1_11target_archE1201ELNS1_3gpuE5ELNS1_3repE0EEENS1_44radix_sort_block_sort_config_static_selectorELNS0_4arch9wavefront6targetE1EEEvSD_,comdat
.Lfunc_end233:
	.size	_ZN7rocprim17ROCPRIM_400000_NS6detail17trampoline_kernelINS0_13kernel_configILj256ELj4ELj4294967295EEENS1_37radix_sort_block_sort_config_selectorIhNS0_10empty_typeEEEZNS1_21radix_sort_block_sortIS4_Lb0EPhS9_PS6_SA_NS0_19identity_decomposerEEE10hipError_tT1_T2_T3_T4_jRjT5_jjP12ihipStream_tbEUlT_E_NS1_11comp_targetILNS1_3genE10ELNS1_11target_archE1201ELNS1_3gpuE5ELNS1_3repE0EEENS1_44radix_sort_block_sort_config_static_selectorELNS0_4arch9wavefront6targetE1EEEvSD_, .Lfunc_end233-_ZN7rocprim17ROCPRIM_400000_NS6detail17trampoline_kernelINS0_13kernel_configILj256ELj4ELj4294967295EEENS1_37radix_sort_block_sort_config_selectorIhNS0_10empty_typeEEEZNS1_21radix_sort_block_sortIS4_Lb0EPhS9_PS6_SA_NS0_19identity_decomposerEEE10hipError_tT1_T2_T3_T4_jRjT5_jjP12ihipStream_tbEUlT_E_NS1_11comp_targetILNS1_3genE10ELNS1_11target_archE1201ELNS1_3gpuE5ELNS1_3repE0EEENS1_44radix_sort_block_sort_config_static_selectorELNS0_4arch9wavefront6targetE1EEEvSD_
                                        ; -- End function
	.section	.AMDGPU.csdata,"",@progbits
; Kernel info:
; codeLenInByte = 0
; NumSgprs: 4
; NumVgprs: 0
; NumAgprs: 0
; TotalNumVgprs: 0
; ScratchSize: 0
; MemoryBound: 0
; FloatMode: 240
; IeeeMode: 1
; LDSByteSize: 0 bytes/workgroup (compile time only)
; SGPRBlocks: 0
; VGPRBlocks: 0
; NumSGPRsForWavesPerEU: 4
; NumVGPRsForWavesPerEU: 1
; AccumOffset: 4
; Occupancy: 8
; WaveLimiterHint : 0
; COMPUTE_PGM_RSRC2:SCRATCH_EN: 0
; COMPUTE_PGM_RSRC2:USER_SGPR: 6
; COMPUTE_PGM_RSRC2:TRAP_HANDLER: 0
; COMPUTE_PGM_RSRC2:TGID_X_EN: 1
; COMPUTE_PGM_RSRC2:TGID_Y_EN: 0
; COMPUTE_PGM_RSRC2:TGID_Z_EN: 0
; COMPUTE_PGM_RSRC2:TIDIG_COMP_CNT: 0
; COMPUTE_PGM_RSRC3_GFX90A:ACCUM_OFFSET: 0
; COMPUTE_PGM_RSRC3_GFX90A:TG_SPLIT: 0
	.section	.text._ZN7rocprim17ROCPRIM_400000_NS6detail17trampoline_kernelINS0_13kernel_configILj256ELj4ELj4294967295EEENS1_37radix_sort_block_sort_config_selectorIhNS0_10empty_typeEEEZNS1_21radix_sort_block_sortIS4_Lb0EPhS9_PS6_SA_NS0_19identity_decomposerEEE10hipError_tT1_T2_T3_T4_jRjT5_jjP12ihipStream_tbEUlT_E_NS1_11comp_targetILNS1_3genE10ELNS1_11target_archE1200ELNS1_3gpuE4ELNS1_3repE0EEENS1_44radix_sort_block_sort_config_static_selectorELNS0_4arch9wavefront6targetE1EEEvSD_,"axG",@progbits,_ZN7rocprim17ROCPRIM_400000_NS6detail17trampoline_kernelINS0_13kernel_configILj256ELj4ELj4294967295EEENS1_37radix_sort_block_sort_config_selectorIhNS0_10empty_typeEEEZNS1_21radix_sort_block_sortIS4_Lb0EPhS9_PS6_SA_NS0_19identity_decomposerEEE10hipError_tT1_T2_T3_T4_jRjT5_jjP12ihipStream_tbEUlT_E_NS1_11comp_targetILNS1_3genE10ELNS1_11target_archE1200ELNS1_3gpuE4ELNS1_3repE0EEENS1_44radix_sort_block_sort_config_static_selectorELNS0_4arch9wavefront6targetE1EEEvSD_,comdat
	.protected	_ZN7rocprim17ROCPRIM_400000_NS6detail17trampoline_kernelINS0_13kernel_configILj256ELj4ELj4294967295EEENS1_37radix_sort_block_sort_config_selectorIhNS0_10empty_typeEEEZNS1_21radix_sort_block_sortIS4_Lb0EPhS9_PS6_SA_NS0_19identity_decomposerEEE10hipError_tT1_T2_T3_T4_jRjT5_jjP12ihipStream_tbEUlT_E_NS1_11comp_targetILNS1_3genE10ELNS1_11target_archE1200ELNS1_3gpuE4ELNS1_3repE0EEENS1_44radix_sort_block_sort_config_static_selectorELNS0_4arch9wavefront6targetE1EEEvSD_ ; -- Begin function _ZN7rocprim17ROCPRIM_400000_NS6detail17trampoline_kernelINS0_13kernel_configILj256ELj4ELj4294967295EEENS1_37radix_sort_block_sort_config_selectorIhNS0_10empty_typeEEEZNS1_21radix_sort_block_sortIS4_Lb0EPhS9_PS6_SA_NS0_19identity_decomposerEEE10hipError_tT1_T2_T3_T4_jRjT5_jjP12ihipStream_tbEUlT_E_NS1_11comp_targetILNS1_3genE10ELNS1_11target_archE1200ELNS1_3gpuE4ELNS1_3repE0EEENS1_44radix_sort_block_sort_config_static_selectorELNS0_4arch9wavefront6targetE1EEEvSD_
	.globl	_ZN7rocprim17ROCPRIM_400000_NS6detail17trampoline_kernelINS0_13kernel_configILj256ELj4ELj4294967295EEENS1_37radix_sort_block_sort_config_selectorIhNS0_10empty_typeEEEZNS1_21radix_sort_block_sortIS4_Lb0EPhS9_PS6_SA_NS0_19identity_decomposerEEE10hipError_tT1_T2_T3_T4_jRjT5_jjP12ihipStream_tbEUlT_E_NS1_11comp_targetILNS1_3genE10ELNS1_11target_archE1200ELNS1_3gpuE4ELNS1_3repE0EEENS1_44radix_sort_block_sort_config_static_selectorELNS0_4arch9wavefront6targetE1EEEvSD_
	.p2align	8
	.type	_ZN7rocprim17ROCPRIM_400000_NS6detail17trampoline_kernelINS0_13kernel_configILj256ELj4ELj4294967295EEENS1_37radix_sort_block_sort_config_selectorIhNS0_10empty_typeEEEZNS1_21radix_sort_block_sortIS4_Lb0EPhS9_PS6_SA_NS0_19identity_decomposerEEE10hipError_tT1_T2_T3_T4_jRjT5_jjP12ihipStream_tbEUlT_E_NS1_11comp_targetILNS1_3genE10ELNS1_11target_archE1200ELNS1_3gpuE4ELNS1_3repE0EEENS1_44radix_sort_block_sort_config_static_selectorELNS0_4arch9wavefront6targetE1EEEvSD_,@function
_ZN7rocprim17ROCPRIM_400000_NS6detail17trampoline_kernelINS0_13kernel_configILj256ELj4ELj4294967295EEENS1_37radix_sort_block_sort_config_selectorIhNS0_10empty_typeEEEZNS1_21radix_sort_block_sortIS4_Lb0EPhS9_PS6_SA_NS0_19identity_decomposerEEE10hipError_tT1_T2_T3_T4_jRjT5_jjP12ihipStream_tbEUlT_E_NS1_11comp_targetILNS1_3genE10ELNS1_11target_archE1200ELNS1_3gpuE4ELNS1_3repE0EEENS1_44radix_sort_block_sort_config_static_selectorELNS0_4arch9wavefront6targetE1EEEvSD_: ; @_ZN7rocprim17ROCPRIM_400000_NS6detail17trampoline_kernelINS0_13kernel_configILj256ELj4ELj4294967295EEENS1_37radix_sort_block_sort_config_selectorIhNS0_10empty_typeEEEZNS1_21radix_sort_block_sortIS4_Lb0EPhS9_PS6_SA_NS0_19identity_decomposerEEE10hipError_tT1_T2_T3_T4_jRjT5_jjP12ihipStream_tbEUlT_E_NS1_11comp_targetILNS1_3genE10ELNS1_11target_archE1200ELNS1_3gpuE4ELNS1_3repE0EEENS1_44radix_sort_block_sort_config_static_selectorELNS0_4arch9wavefront6targetE1EEEvSD_
; %bb.0:
	.section	.rodata,"a",@progbits
	.p2align	6, 0x0
	.amdhsa_kernel _ZN7rocprim17ROCPRIM_400000_NS6detail17trampoline_kernelINS0_13kernel_configILj256ELj4ELj4294967295EEENS1_37radix_sort_block_sort_config_selectorIhNS0_10empty_typeEEEZNS1_21radix_sort_block_sortIS4_Lb0EPhS9_PS6_SA_NS0_19identity_decomposerEEE10hipError_tT1_T2_T3_T4_jRjT5_jjP12ihipStream_tbEUlT_E_NS1_11comp_targetILNS1_3genE10ELNS1_11target_archE1200ELNS1_3gpuE4ELNS1_3repE0EEENS1_44radix_sort_block_sort_config_static_selectorELNS0_4arch9wavefront6targetE1EEEvSD_
		.amdhsa_group_segment_fixed_size 0
		.amdhsa_private_segment_fixed_size 0
		.amdhsa_kernarg_size 48
		.amdhsa_user_sgpr_count 6
		.amdhsa_user_sgpr_private_segment_buffer 1
		.amdhsa_user_sgpr_dispatch_ptr 0
		.amdhsa_user_sgpr_queue_ptr 0
		.amdhsa_user_sgpr_kernarg_segment_ptr 1
		.amdhsa_user_sgpr_dispatch_id 0
		.amdhsa_user_sgpr_flat_scratch_init 0
		.amdhsa_user_sgpr_kernarg_preload_length 0
		.amdhsa_user_sgpr_kernarg_preload_offset 0
		.amdhsa_user_sgpr_private_segment_size 0
		.amdhsa_uses_dynamic_stack 0
		.amdhsa_system_sgpr_private_segment_wavefront_offset 0
		.amdhsa_system_sgpr_workgroup_id_x 1
		.amdhsa_system_sgpr_workgroup_id_y 0
		.amdhsa_system_sgpr_workgroup_id_z 0
		.amdhsa_system_sgpr_workgroup_info 0
		.amdhsa_system_vgpr_workitem_id 0
		.amdhsa_next_free_vgpr 1
		.amdhsa_next_free_sgpr 0
		.amdhsa_accum_offset 4
		.amdhsa_reserve_vcc 0
		.amdhsa_reserve_flat_scratch 0
		.amdhsa_float_round_mode_32 0
		.amdhsa_float_round_mode_16_64 0
		.amdhsa_float_denorm_mode_32 3
		.amdhsa_float_denorm_mode_16_64 3
		.amdhsa_dx10_clamp 1
		.amdhsa_ieee_mode 1
		.amdhsa_fp16_overflow 0
		.amdhsa_tg_split 0
		.amdhsa_exception_fp_ieee_invalid_op 0
		.amdhsa_exception_fp_denorm_src 0
		.amdhsa_exception_fp_ieee_div_zero 0
		.amdhsa_exception_fp_ieee_overflow 0
		.amdhsa_exception_fp_ieee_underflow 0
		.amdhsa_exception_fp_ieee_inexact 0
		.amdhsa_exception_int_div_zero 0
	.end_amdhsa_kernel
	.section	.text._ZN7rocprim17ROCPRIM_400000_NS6detail17trampoline_kernelINS0_13kernel_configILj256ELj4ELj4294967295EEENS1_37radix_sort_block_sort_config_selectorIhNS0_10empty_typeEEEZNS1_21radix_sort_block_sortIS4_Lb0EPhS9_PS6_SA_NS0_19identity_decomposerEEE10hipError_tT1_T2_T3_T4_jRjT5_jjP12ihipStream_tbEUlT_E_NS1_11comp_targetILNS1_3genE10ELNS1_11target_archE1200ELNS1_3gpuE4ELNS1_3repE0EEENS1_44radix_sort_block_sort_config_static_selectorELNS0_4arch9wavefront6targetE1EEEvSD_,"axG",@progbits,_ZN7rocprim17ROCPRIM_400000_NS6detail17trampoline_kernelINS0_13kernel_configILj256ELj4ELj4294967295EEENS1_37radix_sort_block_sort_config_selectorIhNS0_10empty_typeEEEZNS1_21radix_sort_block_sortIS4_Lb0EPhS9_PS6_SA_NS0_19identity_decomposerEEE10hipError_tT1_T2_T3_T4_jRjT5_jjP12ihipStream_tbEUlT_E_NS1_11comp_targetILNS1_3genE10ELNS1_11target_archE1200ELNS1_3gpuE4ELNS1_3repE0EEENS1_44radix_sort_block_sort_config_static_selectorELNS0_4arch9wavefront6targetE1EEEvSD_,comdat
.Lfunc_end234:
	.size	_ZN7rocprim17ROCPRIM_400000_NS6detail17trampoline_kernelINS0_13kernel_configILj256ELj4ELj4294967295EEENS1_37radix_sort_block_sort_config_selectorIhNS0_10empty_typeEEEZNS1_21radix_sort_block_sortIS4_Lb0EPhS9_PS6_SA_NS0_19identity_decomposerEEE10hipError_tT1_T2_T3_T4_jRjT5_jjP12ihipStream_tbEUlT_E_NS1_11comp_targetILNS1_3genE10ELNS1_11target_archE1200ELNS1_3gpuE4ELNS1_3repE0EEENS1_44radix_sort_block_sort_config_static_selectorELNS0_4arch9wavefront6targetE1EEEvSD_, .Lfunc_end234-_ZN7rocprim17ROCPRIM_400000_NS6detail17trampoline_kernelINS0_13kernel_configILj256ELj4ELj4294967295EEENS1_37radix_sort_block_sort_config_selectorIhNS0_10empty_typeEEEZNS1_21radix_sort_block_sortIS4_Lb0EPhS9_PS6_SA_NS0_19identity_decomposerEEE10hipError_tT1_T2_T3_T4_jRjT5_jjP12ihipStream_tbEUlT_E_NS1_11comp_targetILNS1_3genE10ELNS1_11target_archE1200ELNS1_3gpuE4ELNS1_3repE0EEENS1_44radix_sort_block_sort_config_static_selectorELNS0_4arch9wavefront6targetE1EEEvSD_
                                        ; -- End function
	.section	.AMDGPU.csdata,"",@progbits
; Kernel info:
; codeLenInByte = 0
; NumSgprs: 4
; NumVgprs: 0
; NumAgprs: 0
; TotalNumVgprs: 0
; ScratchSize: 0
; MemoryBound: 0
; FloatMode: 240
; IeeeMode: 1
; LDSByteSize: 0 bytes/workgroup (compile time only)
; SGPRBlocks: 0
; VGPRBlocks: 0
; NumSGPRsForWavesPerEU: 4
; NumVGPRsForWavesPerEU: 1
; AccumOffset: 4
; Occupancy: 8
; WaveLimiterHint : 0
; COMPUTE_PGM_RSRC2:SCRATCH_EN: 0
; COMPUTE_PGM_RSRC2:USER_SGPR: 6
; COMPUTE_PGM_RSRC2:TRAP_HANDLER: 0
; COMPUTE_PGM_RSRC2:TGID_X_EN: 1
; COMPUTE_PGM_RSRC2:TGID_Y_EN: 0
; COMPUTE_PGM_RSRC2:TGID_Z_EN: 0
; COMPUTE_PGM_RSRC2:TIDIG_COMP_CNT: 0
; COMPUTE_PGM_RSRC3_GFX90A:ACCUM_OFFSET: 0
; COMPUTE_PGM_RSRC3_GFX90A:TG_SPLIT: 0
	.section	.text._ZN7rocprim17ROCPRIM_400000_NS6detail17trampoline_kernelINS0_13kernel_configILj256ELj4ELj4294967295EEENS1_37radix_sort_block_sort_config_selectorIhNS0_10empty_typeEEEZNS1_21radix_sort_block_sortIS4_Lb0EPhS9_PS6_SA_NS0_19identity_decomposerEEE10hipError_tT1_T2_T3_T4_jRjT5_jjP12ihipStream_tbEUlT_E_NS1_11comp_targetILNS1_3genE9ELNS1_11target_archE1100ELNS1_3gpuE3ELNS1_3repE0EEENS1_44radix_sort_block_sort_config_static_selectorELNS0_4arch9wavefront6targetE1EEEvSD_,"axG",@progbits,_ZN7rocprim17ROCPRIM_400000_NS6detail17trampoline_kernelINS0_13kernel_configILj256ELj4ELj4294967295EEENS1_37radix_sort_block_sort_config_selectorIhNS0_10empty_typeEEEZNS1_21radix_sort_block_sortIS4_Lb0EPhS9_PS6_SA_NS0_19identity_decomposerEEE10hipError_tT1_T2_T3_T4_jRjT5_jjP12ihipStream_tbEUlT_E_NS1_11comp_targetILNS1_3genE9ELNS1_11target_archE1100ELNS1_3gpuE3ELNS1_3repE0EEENS1_44radix_sort_block_sort_config_static_selectorELNS0_4arch9wavefront6targetE1EEEvSD_,comdat
	.protected	_ZN7rocprim17ROCPRIM_400000_NS6detail17trampoline_kernelINS0_13kernel_configILj256ELj4ELj4294967295EEENS1_37radix_sort_block_sort_config_selectorIhNS0_10empty_typeEEEZNS1_21radix_sort_block_sortIS4_Lb0EPhS9_PS6_SA_NS0_19identity_decomposerEEE10hipError_tT1_T2_T3_T4_jRjT5_jjP12ihipStream_tbEUlT_E_NS1_11comp_targetILNS1_3genE9ELNS1_11target_archE1100ELNS1_3gpuE3ELNS1_3repE0EEENS1_44radix_sort_block_sort_config_static_selectorELNS0_4arch9wavefront6targetE1EEEvSD_ ; -- Begin function _ZN7rocprim17ROCPRIM_400000_NS6detail17trampoline_kernelINS0_13kernel_configILj256ELj4ELj4294967295EEENS1_37radix_sort_block_sort_config_selectorIhNS0_10empty_typeEEEZNS1_21radix_sort_block_sortIS4_Lb0EPhS9_PS6_SA_NS0_19identity_decomposerEEE10hipError_tT1_T2_T3_T4_jRjT5_jjP12ihipStream_tbEUlT_E_NS1_11comp_targetILNS1_3genE9ELNS1_11target_archE1100ELNS1_3gpuE3ELNS1_3repE0EEENS1_44radix_sort_block_sort_config_static_selectorELNS0_4arch9wavefront6targetE1EEEvSD_
	.globl	_ZN7rocprim17ROCPRIM_400000_NS6detail17trampoline_kernelINS0_13kernel_configILj256ELj4ELj4294967295EEENS1_37radix_sort_block_sort_config_selectorIhNS0_10empty_typeEEEZNS1_21radix_sort_block_sortIS4_Lb0EPhS9_PS6_SA_NS0_19identity_decomposerEEE10hipError_tT1_T2_T3_T4_jRjT5_jjP12ihipStream_tbEUlT_E_NS1_11comp_targetILNS1_3genE9ELNS1_11target_archE1100ELNS1_3gpuE3ELNS1_3repE0EEENS1_44radix_sort_block_sort_config_static_selectorELNS0_4arch9wavefront6targetE1EEEvSD_
	.p2align	8
	.type	_ZN7rocprim17ROCPRIM_400000_NS6detail17trampoline_kernelINS0_13kernel_configILj256ELj4ELj4294967295EEENS1_37radix_sort_block_sort_config_selectorIhNS0_10empty_typeEEEZNS1_21radix_sort_block_sortIS4_Lb0EPhS9_PS6_SA_NS0_19identity_decomposerEEE10hipError_tT1_T2_T3_T4_jRjT5_jjP12ihipStream_tbEUlT_E_NS1_11comp_targetILNS1_3genE9ELNS1_11target_archE1100ELNS1_3gpuE3ELNS1_3repE0EEENS1_44radix_sort_block_sort_config_static_selectorELNS0_4arch9wavefront6targetE1EEEvSD_,@function
_ZN7rocprim17ROCPRIM_400000_NS6detail17trampoline_kernelINS0_13kernel_configILj256ELj4ELj4294967295EEENS1_37radix_sort_block_sort_config_selectorIhNS0_10empty_typeEEEZNS1_21radix_sort_block_sortIS4_Lb0EPhS9_PS6_SA_NS0_19identity_decomposerEEE10hipError_tT1_T2_T3_T4_jRjT5_jjP12ihipStream_tbEUlT_E_NS1_11comp_targetILNS1_3genE9ELNS1_11target_archE1100ELNS1_3gpuE3ELNS1_3repE0EEENS1_44radix_sort_block_sort_config_static_selectorELNS0_4arch9wavefront6targetE1EEEvSD_: ; @_ZN7rocprim17ROCPRIM_400000_NS6detail17trampoline_kernelINS0_13kernel_configILj256ELj4ELj4294967295EEENS1_37radix_sort_block_sort_config_selectorIhNS0_10empty_typeEEEZNS1_21radix_sort_block_sortIS4_Lb0EPhS9_PS6_SA_NS0_19identity_decomposerEEE10hipError_tT1_T2_T3_T4_jRjT5_jjP12ihipStream_tbEUlT_E_NS1_11comp_targetILNS1_3genE9ELNS1_11target_archE1100ELNS1_3gpuE3ELNS1_3repE0EEENS1_44radix_sort_block_sort_config_static_selectorELNS0_4arch9wavefront6targetE1EEEvSD_
; %bb.0:
	.section	.rodata,"a",@progbits
	.p2align	6, 0x0
	.amdhsa_kernel _ZN7rocprim17ROCPRIM_400000_NS6detail17trampoline_kernelINS0_13kernel_configILj256ELj4ELj4294967295EEENS1_37radix_sort_block_sort_config_selectorIhNS0_10empty_typeEEEZNS1_21radix_sort_block_sortIS4_Lb0EPhS9_PS6_SA_NS0_19identity_decomposerEEE10hipError_tT1_T2_T3_T4_jRjT5_jjP12ihipStream_tbEUlT_E_NS1_11comp_targetILNS1_3genE9ELNS1_11target_archE1100ELNS1_3gpuE3ELNS1_3repE0EEENS1_44radix_sort_block_sort_config_static_selectorELNS0_4arch9wavefront6targetE1EEEvSD_
		.amdhsa_group_segment_fixed_size 0
		.amdhsa_private_segment_fixed_size 0
		.amdhsa_kernarg_size 48
		.amdhsa_user_sgpr_count 6
		.amdhsa_user_sgpr_private_segment_buffer 1
		.amdhsa_user_sgpr_dispatch_ptr 0
		.amdhsa_user_sgpr_queue_ptr 0
		.amdhsa_user_sgpr_kernarg_segment_ptr 1
		.amdhsa_user_sgpr_dispatch_id 0
		.amdhsa_user_sgpr_flat_scratch_init 0
		.amdhsa_user_sgpr_kernarg_preload_length 0
		.amdhsa_user_sgpr_kernarg_preload_offset 0
		.amdhsa_user_sgpr_private_segment_size 0
		.amdhsa_uses_dynamic_stack 0
		.amdhsa_system_sgpr_private_segment_wavefront_offset 0
		.amdhsa_system_sgpr_workgroup_id_x 1
		.amdhsa_system_sgpr_workgroup_id_y 0
		.amdhsa_system_sgpr_workgroup_id_z 0
		.amdhsa_system_sgpr_workgroup_info 0
		.amdhsa_system_vgpr_workitem_id 0
		.amdhsa_next_free_vgpr 1
		.amdhsa_next_free_sgpr 0
		.amdhsa_accum_offset 4
		.amdhsa_reserve_vcc 0
		.amdhsa_reserve_flat_scratch 0
		.amdhsa_float_round_mode_32 0
		.amdhsa_float_round_mode_16_64 0
		.amdhsa_float_denorm_mode_32 3
		.amdhsa_float_denorm_mode_16_64 3
		.amdhsa_dx10_clamp 1
		.amdhsa_ieee_mode 1
		.amdhsa_fp16_overflow 0
		.amdhsa_tg_split 0
		.amdhsa_exception_fp_ieee_invalid_op 0
		.amdhsa_exception_fp_denorm_src 0
		.amdhsa_exception_fp_ieee_div_zero 0
		.amdhsa_exception_fp_ieee_overflow 0
		.amdhsa_exception_fp_ieee_underflow 0
		.amdhsa_exception_fp_ieee_inexact 0
		.amdhsa_exception_int_div_zero 0
	.end_amdhsa_kernel
	.section	.text._ZN7rocprim17ROCPRIM_400000_NS6detail17trampoline_kernelINS0_13kernel_configILj256ELj4ELj4294967295EEENS1_37radix_sort_block_sort_config_selectorIhNS0_10empty_typeEEEZNS1_21radix_sort_block_sortIS4_Lb0EPhS9_PS6_SA_NS0_19identity_decomposerEEE10hipError_tT1_T2_T3_T4_jRjT5_jjP12ihipStream_tbEUlT_E_NS1_11comp_targetILNS1_3genE9ELNS1_11target_archE1100ELNS1_3gpuE3ELNS1_3repE0EEENS1_44radix_sort_block_sort_config_static_selectorELNS0_4arch9wavefront6targetE1EEEvSD_,"axG",@progbits,_ZN7rocprim17ROCPRIM_400000_NS6detail17trampoline_kernelINS0_13kernel_configILj256ELj4ELj4294967295EEENS1_37radix_sort_block_sort_config_selectorIhNS0_10empty_typeEEEZNS1_21radix_sort_block_sortIS4_Lb0EPhS9_PS6_SA_NS0_19identity_decomposerEEE10hipError_tT1_T2_T3_T4_jRjT5_jjP12ihipStream_tbEUlT_E_NS1_11comp_targetILNS1_3genE9ELNS1_11target_archE1100ELNS1_3gpuE3ELNS1_3repE0EEENS1_44radix_sort_block_sort_config_static_selectorELNS0_4arch9wavefront6targetE1EEEvSD_,comdat
.Lfunc_end235:
	.size	_ZN7rocprim17ROCPRIM_400000_NS6detail17trampoline_kernelINS0_13kernel_configILj256ELj4ELj4294967295EEENS1_37radix_sort_block_sort_config_selectorIhNS0_10empty_typeEEEZNS1_21radix_sort_block_sortIS4_Lb0EPhS9_PS6_SA_NS0_19identity_decomposerEEE10hipError_tT1_T2_T3_T4_jRjT5_jjP12ihipStream_tbEUlT_E_NS1_11comp_targetILNS1_3genE9ELNS1_11target_archE1100ELNS1_3gpuE3ELNS1_3repE0EEENS1_44radix_sort_block_sort_config_static_selectorELNS0_4arch9wavefront6targetE1EEEvSD_, .Lfunc_end235-_ZN7rocprim17ROCPRIM_400000_NS6detail17trampoline_kernelINS0_13kernel_configILj256ELj4ELj4294967295EEENS1_37radix_sort_block_sort_config_selectorIhNS0_10empty_typeEEEZNS1_21radix_sort_block_sortIS4_Lb0EPhS9_PS6_SA_NS0_19identity_decomposerEEE10hipError_tT1_T2_T3_T4_jRjT5_jjP12ihipStream_tbEUlT_E_NS1_11comp_targetILNS1_3genE9ELNS1_11target_archE1100ELNS1_3gpuE3ELNS1_3repE0EEENS1_44radix_sort_block_sort_config_static_selectorELNS0_4arch9wavefront6targetE1EEEvSD_
                                        ; -- End function
	.section	.AMDGPU.csdata,"",@progbits
; Kernel info:
; codeLenInByte = 0
; NumSgprs: 4
; NumVgprs: 0
; NumAgprs: 0
; TotalNumVgprs: 0
; ScratchSize: 0
; MemoryBound: 0
; FloatMode: 240
; IeeeMode: 1
; LDSByteSize: 0 bytes/workgroup (compile time only)
; SGPRBlocks: 0
; VGPRBlocks: 0
; NumSGPRsForWavesPerEU: 4
; NumVGPRsForWavesPerEU: 1
; AccumOffset: 4
; Occupancy: 8
; WaveLimiterHint : 0
; COMPUTE_PGM_RSRC2:SCRATCH_EN: 0
; COMPUTE_PGM_RSRC2:USER_SGPR: 6
; COMPUTE_PGM_RSRC2:TRAP_HANDLER: 0
; COMPUTE_PGM_RSRC2:TGID_X_EN: 1
; COMPUTE_PGM_RSRC2:TGID_Y_EN: 0
; COMPUTE_PGM_RSRC2:TGID_Z_EN: 0
; COMPUTE_PGM_RSRC2:TIDIG_COMP_CNT: 0
; COMPUTE_PGM_RSRC3_GFX90A:ACCUM_OFFSET: 0
; COMPUTE_PGM_RSRC3_GFX90A:TG_SPLIT: 0
	.section	.text._ZN7rocprim17ROCPRIM_400000_NS6detail17trampoline_kernelINS0_13kernel_configILj256ELj4ELj4294967295EEENS1_37radix_sort_block_sort_config_selectorIhNS0_10empty_typeEEEZNS1_21radix_sort_block_sortIS4_Lb0EPhS9_PS6_SA_NS0_19identity_decomposerEEE10hipError_tT1_T2_T3_T4_jRjT5_jjP12ihipStream_tbEUlT_E_NS1_11comp_targetILNS1_3genE8ELNS1_11target_archE1030ELNS1_3gpuE2ELNS1_3repE0EEENS1_44radix_sort_block_sort_config_static_selectorELNS0_4arch9wavefront6targetE1EEEvSD_,"axG",@progbits,_ZN7rocprim17ROCPRIM_400000_NS6detail17trampoline_kernelINS0_13kernel_configILj256ELj4ELj4294967295EEENS1_37radix_sort_block_sort_config_selectorIhNS0_10empty_typeEEEZNS1_21radix_sort_block_sortIS4_Lb0EPhS9_PS6_SA_NS0_19identity_decomposerEEE10hipError_tT1_T2_T3_T4_jRjT5_jjP12ihipStream_tbEUlT_E_NS1_11comp_targetILNS1_3genE8ELNS1_11target_archE1030ELNS1_3gpuE2ELNS1_3repE0EEENS1_44radix_sort_block_sort_config_static_selectorELNS0_4arch9wavefront6targetE1EEEvSD_,comdat
	.protected	_ZN7rocprim17ROCPRIM_400000_NS6detail17trampoline_kernelINS0_13kernel_configILj256ELj4ELj4294967295EEENS1_37radix_sort_block_sort_config_selectorIhNS0_10empty_typeEEEZNS1_21radix_sort_block_sortIS4_Lb0EPhS9_PS6_SA_NS0_19identity_decomposerEEE10hipError_tT1_T2_T3_T4_jRjT5_jjP12ihipStream_tbEUlT_E_NS1_11comp_targetILNS1_3genE8ELNS1_11target_archE1030ELNS1_3gpuE2ELNS1_3repE0EEENS1_44radix_sort_block_sort_config_static_selectorELNS0_4arch9wavefront6targetE1EEEvSD_ ; -- Begin function _ZN7rocprim17ROCPRIM_400000_NS6detail17trampoline_kernelINS0_13kernel_configILj256ELj4ELj4294967295EEENS1_37radix_sort_block_sort_config_selectorIhNS0_10empty_typeEEEZNS1_21radix_sort_block_sortIS4_Lb0EPhS9_PS6_SA_NS0_19identity_decomposerEEE10hipError_tT1_T2_T3_T4_jRjT5_jjP12ihipStream_tbEUlT_E_NS1_11comp_targetILNS1_3genE8ELNS1_11target_archE1030ELNS1_3gpuE2ELNS1_3repE0EEENS1_44radix_sort_block_sort_config_static_selectorELNS0_4arch9wavefront6targetE1EEEvSD_
	.globl	_ZN7rocprim17ROCPRIM_400000_NS6detail17trampoline_kernelINS0_13kernel_configILj256ELj4ELj4294967295EEENS1_37radix_sort_block_sort_config_selectorIhNS0_10empty_typeEEEZNS1_21radix_sort_block_sortIS4_Lb0EPhS9_PS6_SA_NS0_19identity_decomposerEEE10hipError_tT1_T2_T3_T4_jRjT5_jjP12ihipStream_tbEUlT_E_NS1_11comp_targetILNS1_3genE8ELNS1_11target_archE1030ELNS1_3gpuE2ELNS1_3repE0EEENS1_44radix_sort_block_sort_config_static_selectorELNS0_4arch9wavefront6targetE1EEEvSD_
	.p2align	8
	.type	_ZN7rocprim17ROCPRIM_400000_NS6detail17trampoline_kernelINS0_13kernel_configILj256ELj4ELj4294967295EEENS1_37radix_sort_block_sort_config_selectorIhNS0_10empty_typeEEEZNS1_21radix_sort_block_sortIS4_Lb0EPhS9_PS6_SA_NS0_19identity_decomposerEEE10hipError_tT1_T2_T3_T4_jRjT5_jjP12ihipStream_tbEUlT_E_NS1_11comp_targetILNS1_3genE8ELNS1_11target_archE1030ELNS1_3gpuE2ELNS1_3repE0EEENS1_44radix_sort_block_sort_config_static_selectorELNS0_4arch9wavefront6targetE1EEEvSD_,@function
_ZN7rocprim17ROCPRIM_400000_NS6detail17trampoline_kernelINS0_13kernel_configILj256ELj4ELj4294967295EEENS1_37radix_sort_block_sort_config_selectorIhNS0_10empty_typeEEEZNS1_21radix_sort_block_sortIS4_Lb0EPhS9_PS6_SA_NS0_19identity_decomposerEEE10hipError_tT1_T2_T3_T4_jRjT5_jjP12ihipStream_tbEUlT_E_NS1_11comp_targetILNS1_3genE8ELNS1_11target_archE1030ELNS1_3gpuE2ELNS1_3repE0EEENS1_44radix_sort_block_sort_config_static_selectorELNS0_4arch9wavefront6targetE1EEEvSD_: ; @_ZN7rocprim17ROCPRIM_400000_NS6detail17trampoline_kernelINS0_13kernel_configILj256ELj4ELj4294967295EEENS1_37radix_sort_block_sort_config_selectorIhNS0_10empty_typeEEEZNS1_21radix_sort_block_sortIS4_Lb0EPhS9_PS6_SA_NS0_19identity_decomposerEEE10hipError_tT1_T2_T3_T4_jRjT5_jjP12ihipStream_tbEUlT_E_NS1_11comp_targetILNS1_3genE8ELNS1_11target_archE1030ELNS1_3gpuE2ELNS1_3repE0EEENS1_44radix_sort_block_sort_config_static_selectorELNS0_4arch9wavefront6targetE1EEEvSD_
; %bb.0:
	.section	.rodata,"a",@progbits
	.p2align	6, 0x0
	.amdhsa_kernel _ZN7rocprim17ROCPRIM_400000_NS6detail17trampoline_kernelINS0_13kernel_configILj256ELj4ELj4294967295EEENS1_37radix_sort_block_sort_config_selectorIhNS0_10empty_typeEEEZNS1_21radix_sort_block_sortIS4_Lb0EPhS9_PS6_SA_NS0_19identity_decomposerEEE10hipError_tT1_T2_T3_T4_jRjT5_jjP12ihipStream_tbEUlT_E_NS1_11comp_targetILNS1_3genE8ELNS1_11target_archE1030ELNS1_3gpuE2ELNS1_3repE0EEENS1_44radix_sort_block_sort_config_static_selectorELNS0_4arch9wavefront6targetE1EEEvSD_
		.amdhsa_group_segment_fixed_size 0
		.amdhsa_private_segment_fixed_size 0
		.amdhsa_kernarg_size 48
		.amdhsa_user_sgpr_count 6
		.amdhsa_user_sgpr_private_segment_buffer 1
		.amdhsa_user_sgpr_dispatch_ptr 0
		.amdhsa_user_sgpr_queue_ptr 0
		.amdhsa_user_sgpr_kernarg_segment_ptr 1
		.amdhsa_user_sgpr_dispatch_id 0
		.amdhsa_user_sgpr_flat_scratch_init 0
		.amdhsa_user_sgpr_kernarg_preload_length 0
		.amdhsa_user_sgpr_kernarg_preload_offset 0
		.amdhsa_user_sgpr_private_segment_size 0
		.amdhsa_uses_dynamic_stack 0
		.amdhsa_system_sgpr_private_segment_wavefront_offset 0
		.amdhsa_system_sgpr_workgroup_id_x 1
		.amdhsa_system_sgpr_workgroup_id_y 0
		.amdhsa_system_sgpr_workgroup_id_z 0
		.amdhsa_system_sgpr_workgroup_info 0
		.amdhsa_system_vgpr_workitem_id 0
		.amdhsa_next_free_vgpr 1
		.amdhsa_next_free_sgpr 0
		.amdhsa_accum_offset 4
		.amdhsa_reserve_vcc 0
		.amdhsa_reserve_flat_scratch 0
		.amdhsa_float_round_mode_32 0
		.amdhsa_float_round_mode_16_64 0
		.amdhsa_float_denorm_mode_32 3
		.amdhsa_float_denorm_mode_16_64 3
		.amdhsa_dx10_clamp 1
		.amdhsa_ieee_mode 1
		.amdhsa_fp16_overflow 0
		.amdhsa_tg_split 0
		.amdhsa_exception_fp_ieee_invalid_op 0
		.amdhsa_exception_fp_denorm_src 0
		.amdhsa_exception_fp_ieee_div_zero 0
		.amdhsa_exception_fp_ieee_overflow 0
		.amdhsa_exception_fp_ieee_underflow 0
		.amdhsa_exception_fp_ieee_inexact 0
		.amdhsa_exception_int_div_zero 0
	.end_amdhsa_kernel
	.section	.text._ZN7rocprim17ROCPRIM_400000_NS6detail17trampoline_kernelINS0_13kernel_configILj256ELj4ELj4294967295EEENS1_37radix_sort_block_sort_config_selectorIhNS0_10empty_typeEEEZNS1_21radix_sort_block_sortIS4_Lb0EPhS9_PS6_SA_NS0_19identity_decomposerEEE10hipError_tT1_T2_T3_T4_jRjT5_jjP12ihipStream_tbEUlT_E_NS1_11comp_targetILNS1_3genE8ELNS1_11target_archE1030ELNS1_3gpuE2ELNS1_3repE0EEENS1_44radix_sort_block_sort_config_static_selectorELNS0_4arch9wavefront6targetE1EEEvSD_,"axG",@progbits,_ZN7rocprim17ROCPRIM_400000_NS6detail17trampoline_kernelINS0_13kernel_configILj256ELj4ELj4294967295EEENS1_37radix_sort_block_sort_config_selectorIhNS0_10empty_typeEEEZNS1_21radix_sort_block_sortIS4_Lb0EPhS9_PS6_SA_NS0_19identity_decomposerEEE10hipError_tT1_T2_T3_T4_jRjT5_jjP12ihipStream_tbEUlT_E_NS1_11comp_targetILNS1_3genE8ELNS1_11target_archE1030ELNS1_3gpuE2ELNS1_3repE0EEENS1_44radix_sort_block_sort_config_static_selectorELNS0_4arch9wavefront6targetE1EEEvSD_,comdat
.Lfunc_end236:
	.size	_ZN7rocprim17ROCPRIM_400000_NS6detail17trampoline_kernelINS0_13kernel_configILj256ELj4ELj4294967295EEENS1_37radix_sort_block_sort_config_selectorIhNS0_10empty_typeEEEZNS1_21radix_sort_block_sortIS4_Lb0EPhS9_PS6_SA_NS0_19identity_decomposerEEE10hipError_tT1_T2_T3_T4_jRjT5_jjP12ihipStream_tbEUlT_E_NS1_11comp_targetILNS1_3genE8ELNS1_11target_archE1030ELNS1_3gpuE2ELNS1_3repE0EEENS1_44radix_sort_block_sort_config_static_selectorELNS0_4arch9wavefront6targetE1EEEvSD_, .Lfunc_end236-_ZN7rocprim17ROCPRIM_400000_NS6detail17trampoline_kernelINS0_13kernel_configILj256ELj4ELj4294967295EEENS1_37radix_sort_block_sort_config_selectorIhNS0_10empty_typeEEEZNS1_21radix_sort_block_sortIS4_Lb0EPhS9_PS6_SA_NS0_19identity_decomposerEEE10hipError_tT1_T2_T3_T4_jRjT5_jjP12ihipStream_tbEUlT_E_NS1_11comp_targetILNS1_3genE8ELNS1_11target_archE1030ELNS1_3gpuE2ELNS1_3repE0EEENS1_44radix_sort_block_sort_config_static_selectorELNS0_4arch9wavefront6targetE1EEEvSD_
                                        ; -- End function
	.section	.AMDGPU.csdata,"",@progbits
; Kernel info:
; codeLenInByte = 0
; NumSgprs: 4
; NumVgprs: 0
; NumAgprs: 0
; TotalNumVgprs: 0
; ScratchSize: 0
; MemoryBound: 0
; FloatMode: 240
; IeeeMode: 1
; LDSByteSize: 0 bytes/workgroup (compile time only)
; SGPRBlocks: 0
; VGPRBlocks: 0
; NumSGPRsForWavesPerEU: 4
; NumVGPRsForWavesPerEU: 1
; AccumOffset: 4
; Occupancy: 8
; WaveLimiterHint : 0
; COMPUTE_PGM_RSRC2:SCRATCH_EN: 0
; COMPUTE_PGM_RSRC2:USER_SGPR: 6
; COMPUTE_PGM_RSRC2:TRAP_HANDLER: 0
; COMPUTE_PGM_RSRC2:TGID_X_EN: 1
; COMPUTE_PGM_RSRC2:TGID_Y_EN: 0
; COMPUTE_PGM_RSRC2:TGID_Z_EN: 0
; COMPUTE_PGM_RSRC2:TIDIG_COMP_CNT: 0
; COMPUTE_PGM_RSRC3_GFX90A:ACCUM_OFFSET: 0
; COMPUTE_PGM_RSRC3_GFX90A:TG_SPLIT: 0
	.section	.text._ZN7rocprim17ROCPRIM_400000_NS6detail44device_merge_sort_compile_time_verifier_archINS1_11comp_targetILNS1_3genE0ELNS1_11target_archE4294967295ELNS1_3gpuE0ELNS1_3repE0EEES8_NS1_28merge_sort_block_sort_configILj256ELj4ELNS0_20block_sort_algorithmE0EEENS0_14default_configENS1_37merge_sort_block_sort_config_selectorIhNS0_10empty_typeEEENS1_38merge_sort_block_merge_config_selectorIhSE_EEEEvv,"axG",@progbits,_ZN7rocprim17ROCPRIM_400000_NS6detail44device_merge_sort_compile_time_verifier_archINS1_11comp_targetILNS1_3genE0ELNS1_11target_archE4294967295ELNS1_3gpuE0ELNS1_3repE0EEES8_NS1_28merge_sort_block_sort_configILj256ELj4ELNS0_20block_sort_algorithmE0EEENS0_14default_configENS1_37merge_sort_block_sort_config_selectorIhNS0_10empty_typeEEENS1_38merge_sort_block_merge_config_selectorIhSE_EEEEvv,comdat
	.protected	_ZN7rocprim17ROCPRIM_400000_NS6detail44device_merge_sort_compile_time_verifier_archINS1_11comp_targetILNS1_3genE0ELNS1_11target_archE4294967295ELNS1_3gpuE0ELNS1_3repE0EEES8_NS1_28merge_sort_block_sort_configILj256ELj4ELNS0_20block_sort_algorithmE0EEENS0_14default_configENS1_37merge_sort_block_sort_config_selectorIhNS0_10empty_typeEEENS1_38merge_sort_block_merge_config_selectorIhSE_EEEEvv ; -- Begin function _ZN7rocprim17ROCPRIM_400000_NS6detail44device_merge_sort_compile_time_verifier_archINS1_11comp_targetILNS1_3genE0ELNS1_11target_archE4294967295ELNS1_3gpuE0ELNS1_3repE0EEES8_NS1_28merge_sort_block_sort_configILj256ELj4ELNS0_20block_sort_algorithmE0EEENS0_14default_configENS1_37merge_sort_block_sort_config_selectorIhNS0_10empty_typeEEENS1_38merge_sort_block_merge_config_selectorIhSE_EEEEvv
	.globl	_ZN7rocprim17ROCPRIM_400000_NS6detail44device_merge_sort_compile_time_verifier_archINS1_11comp_targetILNS1_3genE0ELNS1_11target_archE4294967295ELNS1_3gpuE0ELNS1_3repE0EEES8_NS1_28merge_sort_block_sort_configILj256ELj4ELNS0_20block_sort_algorithmE0EEENS0_14default_configENS1_37merge_sort_block_sort_config_selectorIhNS0_10empty_typeEEENS1_38merge_sort_block_merge_config_selectorIhSE_EEEEvv
	.p2align	8
	.type	_ZN7rocprim17ROCPRIM_400000_NS6detail44device_merge_sort_compile_time_verifier_archINS1_11comp_targetILNS1_3genE0ELNS1_11target_archE4294967295ELNS1_3gpuE0ELNS1_3repE0EEES8_NS1_28merge_sort_block_sort_configILj256ELj4ELNS0_20block_sort_algorithmE0EEENS0_14default_configENS1_37merge_sort_block_sort_config_selectorIhNS0_10empty_typeEEENS1_38merge_sort_block_merge_config_selectorIhSE_EEEEvv,@function
_ZN7rocprim17ROCPRIM_400000_NS6detail44device_merge_sort_compile_time_verifier_archINS1_11comp_targetILNS1_3genE0ELNS1_11target_archE4294967295ELNS1_3gpuE0ELNS1_3repE0EEES8_NS1_28merge_sort_block_sort_configILj256ELj4ELNS0_20block_sort_algorithmE0EEENS0_14default_configENS1_37merge_sort_block_sort_config_selectorIhNS0_10empty_typeEEENS1_38merge_sort_block_merge_config_selectorIhSE_EEEEvv: ; @_ZN7rocprim17ROCPRIM_400000_NS6detail44device_merge_sort_compile_time_verifier_archINS1_11comp_targetILNS1_3genE0ELNS1_11target_archE4294967295ELNS1_3gpuE0ELNS1_3repE0EEES8_NS1_28merge_sort_block_sort_configILj256ELj4ELNS0_20block_sort_algorithmE0EEENS0_14default_configENS1_37merge_sort_block_sort_config_selectorIhNS0_10empty_typeEEENS1_38merge_sort_block_merge_config_selectorIhSE_EEEEvv
; %bb.0:
	s_endpgm
	.section	.rodata,"a",@progbits
	.p2align	6, 0x0
	.amdhsa_kernel _ZN7rocprim17ROCPRIM_400000_NS6detail44device_merge_sort_compile_time_verifier_archINS1_11comp_targetILNS1_3genE0ELNS1_11target_archE4294967295ELNS1_3gpuE0ELNS1_3repE0EEES8_NS1_28merge_sort_block_sort_configILj256ELj4ELNS0_20block_sort_algorithmE0EEENS0_14default_configENS1_37merge_sort_block_sort_config_selectorIhNS0_10empty_typeEEENS1_38merge_sort_block_merge_config_selectorIhSE_EEEEvv
		.amdhsa_group_segment_fixed_size 0
		.amdhsa_private_segment_fixed_size 0
		.amdhsa_kernarg_size 0
		.amdhsa_user_sgpr_count 4
		.amdhsa_user_sgpr_private_segment_buffer 1
		.amdhsa_user_sgpr_dispatch_ptr 0
		.amdhsa_user_sgpr_queue_ptr 0
		.amdhsa_user_sgpr_kernarg_segment_ptr 0
		.amdhsa_user_sgpr_dispatch_id 0
		.amdhsa_user_sgpr_flat_scratch_init 0
		.amdhsa_user_sgpr_kernarg_preload_length 0
		.amdhsa_user_sgpr_kernarg_preload_offset 0
		.amdhsa_user_sgpr_private_segment_size 0
		.amdhsa_uses_dynamic_stack 0
		.amdhsa_system_sgpr_private_segment_wavefront_offset 0
		.amdhsa_system_sgpr_workgroup_id_x 1
		.amdhsa_system_sgpr_workgroup_id_y 0
		.amdhsa_system_sgpr_workgroup_id_z 0
		.amdhsa_system_sgpr_workgroup_info 0
		.amdhsa_system_vgpr_workitem_id 0
		.amdhsa_next_free_vgpr 1
		.amdhsa_next_free_sgpr 0
		.amdhsa_accum_offset 4
		.amdhsa_reserve_vcc 0
		.amdhsa_reserve_flat_scratch 0
		.amdhsa_float_round_mode_32 0
		.amdhsa_float_round_mode_16_64 0
		.amdhsa_float_denorm_mode_32 3
		.amdhsa_float_denorm_mode_16_64 3
		.amdhsa_dx10_clamp 1
		.amdhsa_ieee_mode 1
		.amdhsa_fp16_overflow 0
		.amdhsa_tg_split 0
		.amdhsa_exception_fp_ieee_invalid_op 0
		.amdhsa_exception_fp_denorm_src 0
		.amdhsa_exception_fp_ieee_div_zero 0
		.amdhsa_exception_fp_ieee_overflow 0
		.amdhsa_exception_fp_ieee_underflow 0
		.amdhsa_exception_fp_ieee_inexact 0
		.amdhsa_exception_int_div_zero 0
	.end_amdhsa_kernel
	.section	.text._ZN7rocprim17ROCPRIM_400000_NS6detail44device_merge_sort_compile_time_verifier_archINS1_11comp_targetILNS1_3genE0ELNS1_11target_archE4294967295ELNS1_3gpuE0ELNS1_3repE0EEES8_NS1_28merge_sort_block_sort_configILj256ELj4ELNS0_20block_sort_algorithmE0EEENS0_14default_configENS1_37merge_sort_block_sort_config_selectorIhNS0_10empty_typeEEENS1_38merge_sort_block_merge_config_selectorIhSE_EEEEvv,"axG",@progbits,_ZN7rocprim17ROCPRIM_400000_NS6detail44device_merge_sort_compile_time_verifier_archINS1_11comp_targetILNS1_3genE0ELNS1_11target_archE4294967295ELNS1_3gpuE0ELNS1_3repE0EEES8_NS1_28merge_sort_block_sort_configILj256ELj4ELNS0_20block_sort_algorithmE0EEENS0_14default_configENS1_37merge_sort_block_sort_config_selectorIhNS0_10empty_typeEEENS1_38merge_sort_block_merge_config_selectorIhSE_EEEEvv,comdat
.Lfunc_end237:
	.size	_ZN7rocprim17ROCPRIM_400000_NS6detail44device_merge_sort_compile_time_verifier_archINS1_11comp_targetILNS1_3genE0ELNS1_11target_archE4294967295ELNS1_3gpuE0ELNS1_3repE0EEES8_NS1_28merge_sort_block_sort_configILj256ELj4ELNS0_20block_sort_algorithmE0EEENS0_14default_configENS1_37merge_sort_block_sort_config_selectorIhNS0_10empty_typeEEENS1_38merge_sort_block_merge_config_selectorIhSE_EEEEvv, .Lfunc_end237-_ZN7rocprim17ROCPRIM_400000_NS6detail44device_merge_sort_compile_time_verifier_archINS1_11comp_targetILNS1_3genE0ELNS1_11target_archE4294967295ELNS1_3gpuE0ELNS1_3repE0EEES8_NS1_28merge_sort_block_sort_configILj256ELj4ELNS0_20block_sort_algorithmE0EEENS0_14default_configENS1_37merge_sort_block_sort_config_selectorIhNS0_10empty_typeEEENS1_38merge_sort_block_merge_config_selectorIhSE_EEEEvv
                                        ; -- End function
	.section	.AMDGPU.csdata,"",@progbits
; Kernel info:
; codeLenInByte = 4
; NumSgprs: 4
; NumVgprs: 0
; NumAgprs: 0
; TotalNumVgprs: 0
; ScratchSize: 0
; MemoryBound: 0
; FloatMode: 240
; IeeeMode: 1
; LDSByteSize: 0 bytes/workgroup (compile time only)
; SGPRBlocks: 0
; VGPRBlocks: 0
; NumSGPRsForWavesPerEU: 4
; NumVGPRsForWavesPerEU: 1
; AccumOffset: 4
; Occupancy: 8
; WaveLimiterHint : 0
; COMPUTE_PGM_RSRC2:SCRATCH_EN: 0
; COMPUTE_PGM_RSRC2:USER_SGPR: 4
; COMPUTE_PGM_RSRC2:TRAP_HANDLER: 0
; COMPUTE_PGM_RSRC2:TGID_X_EN: 1
; COMPUTE_PGM_RSRC2:TGID_Y_EN: 0
; COMPUTE_PGM_RSRC2:TGID_Z_EN: 0
; COMPUTE_PGM_RSRC2:TIDIG_COMP_CNT: 0
; COMPUTE_PGM_RSRC3_GFX90A:ACCUM_OFFSET: 0
; COMPUTE_PGM_RSRC3_GFX90A:TG_SPLIT: 0
	.section	.text._ZN7rocprim17ROCPRIM_400000_NS6detail44device_merge_sort_compile_time_verifier_archINS1_11comp_targetILNS1_3genE5ELNS1_11target_archE942ELNS1_3gpuE9ELNS1_3repE0EEES8_NS1_28merge_sort_block_sort_configILj256ELj4ELNS0_20block_sort_algorithmE0EEENS0_14default_configENS1_37merge_sort_block_sort_config_selectorIhNS0_10empty_typeEEENS1_38merge_sort_block_merge_config_selectorIhSE_EEEEvv,"axG",@progbits,_ZN7rocprim17ROCPRIM_400000_NS6detail44device_merge_sort_compile_time_verifier_archINS1_11comp_targetILNS1_3genE5ELNS1_11target_archE942ELNS1_3gpuE9ELNS1_3repE0EEES8_NS1_28merge_sort_block_sort_configILj256ELj4ELNS0_20block_sort_algorithmE0EEENS0_14default_configENS1_37merge_sort_block_sort_config_selectorIhNS0_10empty_typeEEENS1_38merge_sort_block_merge_config_selectorIhSE_EEEEvv,comdat
	.protected	_ZN7rocprim17ROCPRIM_400000_NS6detail44device_merge_sort_compile_time_verifier_archINS1_11comp_targetILNS1_3genE5ELNS1_11target_archE942ELNS1_3gpuE9ELNS1_3repE0EEES8_NS1_28merge_sort_block_sort_configILj256ELj4ELNS0_20block_sort_algorithmE0EEENS0_14default_configENS1_37merge_sort_block_sort_config_selectorIhNS0_10empty_typeEEENS1_38merge_sort_block_merge_config_selectorIhSE_EEEEvv ; -- Begin function _ZN7rocprim17ROCPRIM_400000_NS6detail44device_merge_sort_compile_time_verifier_archINS1_11comp_targetILNS1_3genE5ELNS1_11target_archE942ELNS1_3gpuE9ELNS1_3repE0EEES8_NS1_28merge_sort_block_sort_configILj256ELj4ELNS0_20block_sort_algorithmE0EEENS0_14default_configENS1_37merge_sort_block_sort_config_selectorIhNS0_10empty_typeEEENS1_38merge_sort_block_merge_config_selectorIhSE_EEEEvv
	.globl	_ZN7rocprim17ROCPRIM_400000_NS6detail44device_merge_sort_compile_time_verifier_archINS1_11comp_targetILNS1_3genE5ELNS1_11target_archE942ELNS1_3gpuE9ELNS1_3repE0EEES8_NS1_28merge_sort_block_sort_configILj256ELj4ELNS0_20block_sort_algorithmE0EEENS0_14default_configENS1_37merge_sort_block_sort_config_selectorIhNS0_10empty_typeEEENS1_38merge_sort_block_merge_config_selectorIhSE_EEEEvv
	.p2align	8
	.type	_ZN7rocprim17ROCPRIM_400000_NS6detail44device_merge_sort_compile_time_verifier_archINS1_11comp_targetILNS1_3genE5ELNS1_11target_archE942ELNS1_3gpuE9ELNS1_3repE0EEES8_NS1_28merge_sort_block_sort_configILj256ELj4ELNS0_20block_sort_algorithmE0EEENS0_14default_configENS1_37merge_sort_block_sort_config_selectorIhNS0_10empty_typeEEENS1_38merge_sort_block_merge_config_selectorIhSE_EEEEvv,@function
_ZN7rocprim17ROCPRIM_400000_NS6detail44device_merge_sort_compile_time_verifier_archINS1_11comp_targetILNS1_3genE5ELNS1_11target_archE942ELNS1_3gpuE9ELNS1_3repE0EEES8_NS1_28merge_sort_block_sort_configILj256ELj4ELNS0_20block_sort_algorithmE0EEENS0_14default_configENS1_37merge_sort_block_sort_config_selectorIhNS0_10empty_typeEEENS1_38merge_sort_block_merge_config_selectorIhSE_EEEEvv: ; @_ZN7rocprim17ROCPRIM_400000_NS6detail44device_merge_sort_compile_time_verifier_archINS1_11comp_targetILNS1_3genE5ELNS1_11target_archE942ELNS1_3gpuE9ELNS1_3repE0EEES8_NS1_28merge_sort_block_sort_configILj256ELj4ELNS0_20block_sort_algorithmE0EEENS0_14default_configENS1_37merge_sort_block_sort_config_selectorIhNS0_10empty_typeEEENS1_38merge_sort_block_merge_config_selectorIhSE_EEEEvv
; %bb.0:
	s_endpgm
	.section	.rodata,"a",@progbits
	.p2align	6, 0x0
	.amdhsa_kernel _ZN7rocprim17ROCPRIM_400000_NS6detail44device_merge_sort_compile_time_verifier_archINS1_11comp_targetILNS1_3genE5ELNS1_11target_archE942ELNS1_3gpuE9ELNS1_3repE0EEES8_NS1_28merge_sort_block_sort_configILj256ELj4ELNS0_20block_sort_algorithmE0EEENS0_14default_configENS1_37merge_sort_block_sort_config_selectorIhNS0_10empty_typeEEENS1_38merge_sort_block_merge_config_selectorIhSE_EEEEvv
		.amdhsa_group_segment_fixed_size 0
		.amdhsa_private_segment_fixed_size 0
		.amdhsa_kernarg_size 0
		.amdhsa_user_sgpr_count 4
		.amdhsa_user_sgpr_private_segment_buffer 1
		.amdhsa_user_sgpr_dispatch_ptr 0
		.amdhsa_user_sgpr_queue_ptr 0
		.amdhsa_user_sgpr_kernarg_segment_ptr 0
		.amdhsa_user_sgpr_dispatch_id 0
		.amdhsa_user_sgpr_flat_scratch_init 0
		.amdhsa_user_sgpr_kernarg_preload_length 0
		.amdhsa_user_sgpr_kernarg_preload_offset 0
		.amdhsa_user_sgpr_private_segment_size 0
		.amdhsa_uses_dynamic_stack 0
		.amdhsa_system_sgpr_private_segment_wavefront_offset 0
		.amdhsa_system_sgpr_workgroup_id_x 1
		.amdhsa_system_sgpr_workgroup_id_y 0
		.amdhsa_system_sgpr_workgroup_id_z 0
		.amdhsa_system_sgpr_workgroup_info 0
		.amdhsa_system_vgpr_workitem_id 0
		.amdhsa_next_free_vgpr 1
		.amdhsa_next_free_sgpr 0
		.amdhsa_accum_offset 4
		.amdhsa_reserve_vcc 0
		.amdhsa_reserve_flat_scratch 0
		.amdhsa_float_round_mode_32 0
		.amdhsa_float_round_mode_16_64 0
		.amdhsa_float_denorm_mode_32 3
		.amdhsa_float_denorm_mode_16_64 3
		.amdhsa_dx10_clamp 1
		.amdhsa_ieee_mode 1
		.amdhsa_fp16_overflow 0
		.amdhsa_tg_split 0
		.amdhsa_exception_fp_ieee_invalid_op 0
		.amdhsa_exception_fp_denorm_src 0
		.amdhsa_exception_fp_ieee_div_zero 0
		.amdhsa_exception_fp_ieee_overflow 0
		.amdhsa_exception_fp_ieee_underflow 0
		.amdhsa_exception_fp_ieee_inexact 0
		.amdhsa_exception_int_div_zero 0
	.end_amdhsa_kernel
	.section	.text._ZN7rocprim17ROCPRIM_400000_NS6detail44device_merge_sort_compile_time_verifier_archINS1_11comp_targetILNS1_3genE5ELNS1_11target_archE942ELNS1_3gpuE9ELNS1_3repE0EEES8_NS1_28merge_sort_block_sort_configILj256ELj4ELNS0_20block_sort_algorithmE0EEENS0_14default_configENS1_37merge_sort_block_sort_config_selectorIhNS0_10empty_typeEEENS1_38merge_sort_block_merge_config_selectorIhSE_EEEEvv,"axG",@progbits,_ZN7rocprim17ROCPRIM_400000_NS6detail44device_merge_sort_compile_time_verifier_archINS1_11comp_targetILNS1_3genE5ELNS1_11target_archE942ELNS1_3gpuE9ELNS1_3repE0EEES8_NS1_28merge_sort_block_sort_configILj256ELj4ELNS0_20block_sort_algorithmE0EEENS0_14default_configENS1_37merge_sort_block_sort_config_selectorIhNS0_10empty_typeEEENS1_38merge_sort_block_merge_config_selectorIhSE_EEEEvv,comdat
.Lfunc_end238:
	.size	_ZN7rocprim17ROCPRIM_400000_NS6detail44device_merge_sort_compile_time_verifier_archINS1_11comp_targetILNS1_3genE5ELNS1_11target_archE942ELNS1_3gpuE9ELNS1_3repE0EEES8_NS1_28merge_sort_block_sort_configILj256ELj4ELNS0_20block_sort_algorithmE0EEENS0_14default_configENS1_37merge_sort_block_sort_config_selectorIhNS0_10empty_typeEEENS1_38merge_sort_block_merge_config_selectorIhSE_EEEEvv, .Lfunc_end238-_ZN7rocprim17ROCPRIM_400000_NS6detail44device_merge_sort_compile_time_verifier_archINS1_11comp_targetILNS1_3genE5ELNS1_11target_archE942ELNS1_3gpuE9ELNS1_3repE0EEES8_NS1_28merge_sort_block_sort_configILj256ELj4ELNS0_20block_sort_algorithmE0EEENS0_14default_configENS1_37merge_sort_block_sort_config_selectorIhNS0_10empty_typeEEENS1_38merge_sort_block_merge_config_selectorIhSE_EEEEvv
                                        ; -- End function
	.section	.AMDGPU.csdata,"",@progbits
; Kernel info:
; codeLenInByte = 4
; NumSgprs: 4
; NumVgprs: 0
; NumAgprs: 0
; TotalNumVgprs: 0
; ScratchSize: 0
; MemoryBound: 0
; FloatMode: 240
; IeeeMode: 1
; LDSByteSize: 0 bytes/workgroup (compile time only)
; SGPRBlocks: 0
; VGPRBlocks: 0
; NumSGPRsForWavesPerEU: 4
; NumVGPRsForWavesPerEU: 1
; AccumOffset: 4
; Occupancy: 8
; WaveLimiterHint : 0
; COMPUTE_PGM_RSRC2:SCRATCH_EN: 0
; COMPUTE_PGM_RSRC2:USER_SGPR: 4
; COMPUTE_PGM_RSRC2:TRAP_HANDLER: 0
; COMPUTE_PGM_RSRC2:TGID_X_EN: 1
; COMPUTE_PGM_RSRC2:TGID_Y_EN: 0
; COMPUTE_PGM_RSRC2:TGID_Z_EN: 0
; COMPUTE_PGM_RSRC2:TIDIG_COMP_CNT: 0
; COMPUTE_PGM_RSRC3_GFX90A:ACCUM_OFFSET: 0
; COMPUTE_PGM_RSRC3_GFX90A:TG_SPLIT: 0
	.section	.text._ZN7rocprim17ROCPRIM_400000_NS6detail44device_merge_sort_compile_time_verifier_archINS1_11comp_targetILNS1_3genE4ELNS1_11target_archE910ELNS1_3gpuE8ELNS1_3repE0EEES8_NS1_28merge_sort_block_sort_configILj256ELj4ELNS0_20block_sort_algorithmE0EEENS0_14default_configENS1_37merge_sort_block_sort_config_selectorIhNS0_10empty_typeEEENS1_38merge_sort_block_merge_config_selectorIhSE_EEEEvv,"axG",@progbits,_ZN7rocprim17ROCPRIM_400000_NS6detail44device_merge_sort_compile_time_verifier_archINS1_11comp_targetILNS1_3genE4ELNS1_11target_archE910ELNS1_3gpuE8ELNS1_3repE0EEES8_NS1_28merge_sort_block_sort_configILj256ELj4ELNS0_20block_sort_algorithmE0EEENS0_14default_configENS1_37merge_sort_block_sort_config_selectorIhNS0_10empty_typeEEENS1_38merge_sort_block_merge_config_selectorIhSE_EEEEvv,comdat
	.protected	_ZN7rocprim17ROCPRIM_400000_NS6detail44device_merge_sort_compile_time_verifier_archINS1_11comp_targetILNS1_3genE4ELNS1_11target_archE910ELNS1_3gpuE8ELNS1_3repE0EEES8_NS1_28merge_sort_block_sort_configILj256ELj4ELNS0_20block_sort_algorithmE0EEENS0_14default_configENS1_37merge_sort_block_sort_config_selectorIhNS0_10empty_typeEEENS1_38merge_sort_block_merge_config_selectorIhSE_EEEEvv ; -- Begin function _ZN7rocprim17ROCPRIM_400000_NS6detail44device_merge_sort_compile_time_verifier_archINS1_11comp_targetILNS1_3genE4ELNS1_11target_archE910ELNS1_3gpuE8ELNS1_3repE0EEES8_NS1_28merge_sort_block_sort_configILj256ELj4ELNS0_20block_sort_algorithmE0EEENS0_14default_configENS1_37merge_sort_block_sort_config_selectorIhNS0_10empty_typeEEENS1_38merge_sort_block_merge_config_selectorIhSE_EEEEvv
	.globl	_ZN7rocprim17ROCPRIM_400000_NS6detail44device_merge_sort_compile_time_verifier_archINS1_11comp_targetILNS1_3genE4ELNS1_11target_archE910ELNS1_3gpuE8ELNS1_3repE0EEES8_NS1_28merge_sort_block_sort_configILj256ELj4ELNS0_20block_sort_algorithmE0EEENS0_14default_configENS1_37merge_sort_block_sort_config_selectorIhNS0_10empty_typeEEENS1_38merge_sort_block_merge_config_selectorIhSE_EEEEvv
	.p2align	8
	.type	_ZN7rocprim17ROCPRIM_400000_NS6detail44device_merge_sort_compile_time_verifier_archINS1_11comp_targetILNS1_3genE4ELNS1_11target_archE910ELNS1_3gpuE8ELNS1_3repE0EEES8_NS1_28merge_sort_block_sort_configILj256ELj4ELNS0_20block_sort_algorithmE0EEENS0_14default_configENS1_37merge_sort_block_sort_config_selectorIhNS0_10empty_typeEEENS1_38merge_sort_block_merge_config_selectorIhSE_EEEEvv,@function
_ZN7rocprim17ROCPRIM_400000_NS6detail44device_merge_sort_compile_time_verifier_archINS1_11comp_targetILNS1_3genE4ELNS1_11target_archE910ELNS1_3gpuE8ELNS1_3repE0EEES8_NS1_28merge_sort_block_sort_configILj256ELj4ELNS0_20block_sort_algorithmE0EEENS0_14default_configENS1_37merge_sort_block_sort_config_selectorIhNS0_10empty_typeEEENS1_38merge_sort_block_merge_config_selectorIhSE_EEEEvv: ; @_ZN7rocprim17ROCPRIM_400000_NS6detail44device_merge_sort_compile_time_verifier_archINS1_11comp_targetILNS1_3genE4ELNS1_11target_archE910ELNS1_3gpuE8ELNS1_3repE0EEES8_NS1_28merge_sort_block_sort_configILj256ELj4ELNS0_20block_sort_algorithmE0EEENS0_14default_configENS1_37merge_sort_block_sort_config_selectorIhNS0_10empty_typeEEENS1_38merge_sort_block_merge_config_selectorIhSE_EEEEvv
; %bb.0:
	s_endpgm
	.section	.rodata,"a",@progbits
	.p2align	6, 0x0
	.amdhsa_kernel _ZN7rocprim17ROCPRIM_400000_NS6detail44device_merge_sort_compile_time_verifier_archINS1_11comp_targetILNS1_3genE4ELNS1_11target_archE910ELNS1_3gpuE8ELNS1_3repE0EEES8_NS1_28merge_sort_block_sort_configILj256ELj4ELNS0_20block_sort_algorithmE0EEENS0_14default_configENS1_37merge_sort_block_sort_config_selectorIhNS0_10empty_typeEEENS1_38merge_sort_block_merge_config_selectorIhSE_EEEEvv
		.amdhsa_group_segment_fixed_size 0
		.amdhsa_private_segment_fixed_size 0
		.amdhsa_kernarg_size 0
		.amdhsa_user_sgpr_count 4
		.amdhsa_user_sgpr_private_segment_buffer 1
		.amdhsa_user_sgpr_dispatch_ptr 0
		.amdhsa_user_sgpr_queue_ptr 0
		.amdhsa_user_sgpr_kernarg_segment_ptr 0
		.amdhsa_user_sgpr_dispatch_id 0
		.amdhsa_user_sgpr_flat_scratch_init 0
		.amdhsa_user_sgpr_kernarg_preload_length 0
		.amdhsa_user_sgpr_kernarg_preload_offset 0
		.amdhsa_user_sgpr_private_segment_size 0
		.amdhsa_uses_dynamic_stack 0
		.amdhsa_system_sgpr_private_segment_wavefront_offset 0
		.amdhsa_system_sgpr_workgroup_id_x 1
		.amdhsa_system_sgpr_workgroup_id_y 0
		.amdhsa_system_sgpr_workgroup_id_z 0
		.amdhsa_system_sgpr_workgroup_info 0
		.amdhsa_system_vgpr_workitem_id 0
		.amdhsa_next_free_vgpr 1
		.amdhsa_next_free_sgpr 0
		.amdhsa_accum_offset 4
		.amdhsa_reserve_vcc 0
		.amdhsa_reserve_flat_scratch 0
		.amdhsa_float_round_mode_32 0
		.amdhsa_float_round_mode_16_64 0
		.amdhsa_float_denorm_mode_32 3
		.amdhsa_float_denorm_mode_16_64 3
		.amdhsa_dx10_clamp 1
		.amdhsa_ieee_mode 1
		.amdhsa_fp16_overflow 0
		.amdhsa_tg_split 0
		.amdhsa_exception_fp_ieee_invalid_op 0
		.amdhsa_exception_fp_denorm_src 0
		.amdhsa_exception_fp_ieee_div_zero 0
		.amdhsa_exception_fp_ieee_overflow 0
		.amdhsa_exception_fp_ieee_underflow 0
		.amdhsa_exception_fp_ieee_inexact 0
		.amdhsa_exception_int_div_zero 0
	.end_amdhsa_kernel
	.section	.text._ZN7rocprim17ROCPRIM_400000_NS6detail44device_merge_sort_compile_time_verifier_archINS1_11comp_targetILNS1_3genE4ELNS1_11target_archE910ELNS1_3gpuE8ELNS1_3repE0EEES8_NS1_28merge_sort_block_sort_configILj256ELj4ELNS0_20block_sort_algorithmE0EEENS0_14default_configENS1_37merge_sort_block_sort_config_selectorIhNS0_10empty_typeEEENS1_38merge_sort_block_merge_config_selectorIhSE_EEEEvv,"axG",@progbits,_ZN7rocprim17ROCPRIM_400000_NS6detail44device_merge_sort_compile_time_verifier_archINS1_11comp_targetILNS1_3genE4ELNS1_11target_archE910ELNS1_3gpuE8ELNS1_3repE0EEES8_NS1_28merge_sort_block_sort_configILj256ELj4ELNS0_20block_sort_algorithmE0EEENS0_14default_configENS1_37merge_sort_block_sort_config_selectorIhNS0_10empty_typeEEENS1_38merge_sort_block_merge_config_selectorIhSE_EEEEvv,comdat
.Lfunc_end239:
	.size	_ZN7rocprim17ROCPRIM_400000_NS6detail44device_merge_sort_compile_time_verifier_archINS1_11comp_targetILNS1_3genE4ELNS1_11target_archE910ELNS1_3gpuE8ELNS1_3repE0EEES8_NS1_28merge_sort_block_sort_configILj256ELj4ELNS0_20block_sort_algorithmE0EEENS0_14default_configENS1_37merge_sort_block_sort_config_selectorIhNS0_10empty_typeEEENS1_38merge_sort_block_merge_config_selectorIhSE_EEEEvv, .Lfunc_end239-_ZN7rocprim17ROCPRIM_400000_NS6detail44device_merge_sort_compile_time_verifier_archINS1_11comp_targetILNS1_3genE4ELNS1_11target_archE910ELNS1_3gpuE8ELNS1_3repE0EEES8_NS1_28merge_sort_block_sort_configILj256ELj4ELNS0_20block_sort_algorithmE0EEENS0_14default_configENS1_37merge_sort_block_sort_config_selectorIhNS0_10empty_typeEEENS1_38merge_sort_block_merge_config_selectorIhSE_EEEEvv
                                        ; -- End function
	.section	.AMDGPU.csdata,"",@progbits
; Kernel info:
; codeLenInByte = 4
; NumSgprs: 4
; NumVgprs: 0
; NumAgprs: 0
; TotalNumVgprs: 0
; ScratchSize: 0
; MemoryBound: 0
; FloatMode: 240
; IeeeMode: 1
; LDSByteSize: 0 bytes/workgroup (compile time only)
; SGPRBlocks: 0
; VGPRBlocks: 0
; NumSGPRsForWavesPerEU: 4
; NumVGPRsForWavesPerEU: 1
; AccumOffset: 4
; Occupancy: 8
; WaveLimiterHint : 0
; COMPUTE_PGM_RSRC2:SCRATCH_EN: 0
; COMPUTE_PGM_RSRC2:USER_SGPR: 4
; COMPUTE_PGM_RSRC2:TRAP_HANDLER: 0
; COMPUTE_PGM_RSRC2:TGID_X_EN: 1
; COMPUTE_PGM_RSRC2:TGID_Y_EN: 0
; COMPUTE_PGM_RSRC2:TGID_Z_EN: 0
; COMPUTE_PGM_RSRC2:TIDIG_COMP_CNT: 0
; COMPUTE_PGM_RSRC3_GFX90A:ACCUM_OFFSET: 0
; COMPUTE_PGM_RSRC3_GFX90A:TG_SPLIT: 0
	.section	.text._ZN7rocprim17ROCPRIM_400000_NS6detail44device_merge_sort_compile_time_verifier_archINS1_11comp_targetILNS1_3genE3ELNS1_11target_archE908ELNS1_3gpuE7ELNS1_3repE0EEES8_NS1_28merge_sort_block_sort_configILj256ELj4ELNS0_20block_sort_algorithmE0EEENS0_14default_configENS1_37merge_sort_block_sort_config_selectorIhNS0_10empty_typeEEENS1_38merge_sort_block_merge_config_selectorIhSE_EEEEvv,"axG",@progbits,_ZN7rocprim17ROCPRIM_400000_NS6detail44device_merge_sort_compile_time_verifier_archINS1_11comp_targetILNS1_3genE3ELNS1_11target_archE908ELNS1_3gpuE7ELNS1_3repE0EEES8_NS1_28merge_sort_block_sort_configILj256ELj4ELNS0_20block_sort_algorithmE0EEENS0_14default_configENS1_37merge_sort_block_sort_config_selectorIhNS0_10empty_typeEEENS1_38merge_sort_block_merge_config_selectorIhSE_EEEEvv,comdat
	.protected	_ZN7rocprim17ROCPRIM_400000_NS6detail44device_merge_sort_compile_time_verifier_archINS1_11comp_targetILNS1_3genE3ELNS1_11target_archE908ELNS1_3gpuE7ELNS1_3repE0EEES8_NS1_28merge_sort_block_sort_configILj256ELj4ELNS0_20block_sort_algorithmE0EEENS0_14default_configENS1_37merge_sort_block_sort_config_selectorIhNS0_10empty_typeEEENS1_38merge_sort_block_merge_config_selectorIhSE_EEEEvv ; -- Begin function _ZN7rocprim17ROCPRIM_400000_NS6detail44device_merge_sort_compile_time_verifier_archINS1_11comp_targetILNS1_3genE3ELNS1_11target_archE908ELNS1_3gpuE7ELNS1_3repE0EEES8_NS1_28merge_sort_block_sort_configILj256ELj4ELNS0_20block_sort_algorithmE0EEENS0_14default_configENS1_37merge_sort_block_sort_config_selectorIhNS0_10empty_typeEEENS1_38merge_sort_block_merge_config_selectorIhSE_EEEEvv
	.globl	_ZN7rocprim17ROCPRIM_400000_NS6detail44device_merge_sort_compile_time_verifier_archINS1_11comp_targetILNS1_3genE3ELNS1_11target_archE908ELNS1_3gpuE7ELNS1_3repE0EEES8_NS1_28merge_sort_block_sort_configILj256ELj4ELNS0_20block_sort_algorithmE0EEENS0_14default_configENS1_37merge_sort_block_sort_config_selectorIhNS0_10empty_typeEEENS1_38merge_sort_block_merge_config_selectorIhSE_EEEEvv
	.p2align	8
	.type	_ZN7rocprim17ROCPRIM_400000_NS6detail44device_merge_sort_compile_time_verifier_archINS1_11comp_targetILNS1_3genE3ELNS1_11target_archE908ELNS1_3gpuE7ELNS1_3repE0EEES8_NS1_28merge_sort_block_sort_configILj256ELj4ELNS0_20block_sort_algorithmE0EEENS0_14default_configENS1_37merge_sort_block_sort_config_selectorIhNS0_10empty_typeEEENS1_38merge_sort_block_merge_config_selectorIhSE_EEEEvv,@function
_ZN7rocprim17ROCPRIM_400000_NS6detail44device_merge_sort_compile_time_verifier_archINS1_11comp_targetILNS1_3genE3ELNS1_11target_archE908ELNS1_3gpuE7ELNS1_3repE0EEES8_NS1_28merge_sort_block_sort_configILj256ELj4ELNS0_20block_sort_algorithmE0EEENS0_14default_configENS1_37merge_sort_block_sort_config_selectorIhNS0_10empty_typeEEENS1_38merge_sort_block_merge_config_selectorIhSE_EEEEvv: ; @_ZN7rocprim17ROCPRIM_400000_NS6detail44device_merge_sort_compile_time_verifier_archINS1_11comp_targetILNS1_3genE3ELNS1_11target_archE908ELNS1_3gpuE7ELNS1_3repE0EEES8_NS1_28merge_sort_block_sort_configILj256ELj4ELNS0_20block_sort_algorithmE0EEENS0_14default_configENS1_37merge_sort_block_sort_config_selectorIhNS0_10empty_typeEEENS1_38merge_sort_block_merge_config_selectorIhSE_EEEEvv
; %bb.0:
	s_endpgm
	.section	.rodata,"a",@progbits
	.p2align	6, 0x0
	.amdhsa_kernel _ZN7rocprim17ROCPRIM_400000_NS6detail44device_merge_sort_compile_time_verifier_archINS1_11comp_targetILNS1_3genE3ELNS1_11target_archE908ELNS1_3gpuE7ELNS1_3repE0EEES8_NS1_28merge_sort_block_sort_configILj256ELj4ELNS0_20block_sort_algorithmE0EEENS0_14default_configENS1_37merge_sort_block_sort_config_selectorIhNS0_10empty_typeEEENS1_38merge_sort_block_merge_config_selectorIhSE_EEEEvv
		.amdhsa_group_segment_fixed_size 0
		.amdhsa_private_segment_fixed_size 0
		.amdhsa_kernarg_size 0
		.amdhsa_user_sgpr_count 4
		.amdhsa_user_sgpr_private_segment_buffer 1
		.amdhsa_user_sgpr_dispatch_ptr 0
		.amdhsa_user_sgpr_queue_ptr 0
		.amdhsa_user_sgpr_kernarg_segment_ptr 0
		.amdhsa_user_sgpr_dispatch_id 0
		.amdhsa_user_sgpr_flat_scratch_init 0
		.amdhsa_user_sgpr_kernarg_preload_length 0
		.amdhsa_user_sgpr_kernarg_preload_offset 0
		.amdhsa_user_sgpr_private_segment_size 0
		.amdhsa_uses_dynamic_stack 0
		.amdhsa_system_sgpr_private_segment_wavefront_offset 0
		.amdhsa_system_sgpr_workgroup_id_x 1
		.amdhsa_system_sgpr_workgroup_id_y 0
		.amdhsa_system_sgpr_workgroup_id_z 0
		.amdhsa_system_sgpr_workgroup_info 0
		.amdhsa_system_vgpr_workitem_id 0
		.amdhsa_next_free_vgpr 1
		.amdhsa_next_free_sgpr 0
		.amdhsa_accum_offset 4
		.amdhsa_reserve_vcc 0
		.amdhsa_reserve_flat_scratch 0
		.amdhsa_float_round_mode_32 0
		.amdhsa_float_round_mode_16_64 0
		.amdhsa_float_denorm_mode_32 3
		.amdhsa_float_denorm_mode_16_64 3
		.amdhsa_dx10_clamp 1
		.amdhsa_ieee_mode 1
		.amdhsa_fp16_overflow 0
		.amdhsa_tg_split 0
		.amdhsa_exception_fp_ieee_invalid_op 0
		.amdhsa_exception_fp_denorm_src 0
		.amdhsa_exception_fp_ieee_div_zero 0
		.amdhsa_exception_fp_ieee_overflow 0
		.amdhsa_exception_fp_ieee_underflow 0
		.amdhsa_exception_fp_ieee_inexact 0
		.amdhsa_exception_int_div_zero 0
	.end_amdhsa_kernel
	.section	.text._ZN7rocprim17ROCPRIM_400000_NS6detail44device_merge_sort_compile_time_verifier_archINS1_11comp_targetILNS1_3genE3ELNS1_11target_archE908ELNS1_3gpuE7ELNS1_3repE0EEES8_NS1_28merge_sort_block_sort_configILj256ELj4ELNS0_20block_sort_algorithmE0EEENS0_14default_configENS1_37merge_sort_block_sort_config_selectorIhNS0_10empty_typeEEENS1_38merge_sort_block_merge_config_selectorIhSE_EEEEvv,"axG",@progbits,_ZN7rocprim17ROCPRIM_400000_NS6detail44device_merge_sort_compile_time_verifier_archINS1_11comp_targetILNS1_3genE3ELNS1_11target_archE908ELNS1_3gpuE7ELNS1_3repE0EEES8_NS1_28merge_sort_block_sort_configILj256ELj4ELNS0_20block_sort_algorithmE0EEENS0_14default_configENS1_37merge_sort_block_sort_config_selectorIhNS0_10empty_typeEEENS1_38merge_sort_block_merge_config_selectorIhSE_EEEEvv,comdat
.Lfunc_end240:
	.size	_ZN7rocprim17ROCPRIM_400000_NS6detail44device_merge_sort_compile_time_verifier_archINS1_11comp_targetILNS1_3genE3ELNS1_11target_archE908ELNS1_3gpuE7ELNS1_3repE0EEES8_NS1_28merge_sort_block_sort_configILj256ELj4ELNS0_20block_sort_algorithmE0EEENS0_14default_configENS1_37merge_sort_block_sort_config_selectorIhNS0_10empty_typeEEENS1_38merge_sort_block_merge_config_selectorIhSE_EEEEvv, .Lfunc_end240-_ZN7rocprim17ROCPRIM_400000_NS6detail44device_merge_sort_compile_time_verifier_archINS1_11comp_targetILNS1_3genE3ELNS1_11target_archE908ELNS1_3gpuE7ELNS1_3repE0EEES8_NS1_28merge_sort_block_sort_configILj256ELj4ELNS0_20block_sort_algorithmE0EEENS0_14default_configENS1_37merge_sort_block_sort_config_selectorIhNS0_10empty_typeEEENS1_38merge_sort_block_merge_config_selectorIhSE_EEEEvv
                                        ; -- End function
	.section	.AMDGPU.csdata,"",@progbits
; Kernel info:
; codeLenInByte = 4
; NumSgprs: 4
; NumVgprs: 0
; NumAgprs: 0
; TotalNumVgprs: 0
; ScratchSize: 0
; MemoryBound: 0
; FloatMode: 240
; IeeeMode: 1
; LDSByteSize: 0 bytes/workgroup (compile time only)
; SGPRBlocks: 0
; VGPRBlocks: 0
; NumSGPRsForWavesPerEU: 4
; NumVGPRsForWavesPerEU: 1
; AccumOffset: 4
; Occupancy: 8
; WaveLimiterHint : 0
; COMPUTE_PGM_RSRC2:SCRATCH_EN: 0
; COMPUTE_PGM_RSRC2:USER_SGPR: 4
; COMPUTE_PGM_RSRC2:TRAP_HANDLER: 0
; COMPUTE_PGM_RSRC2:TGID_X_EN: 1
; COMPUTE_PGM_RSRC2:TGID_Y_EN: 0
; COMPUTE_PGM_RSRC2:TGID_Z_EN: 0
; COMPUTE_PGM_RSRC2:TIDIG_COMP_CNT: 0
; COMPUTE_PGM_RSRC3_GFX90A:ACCUM_OFFSET: 0
; COMPUTE_PGM_RSRC3_GFX90A:TG_SPLIT: 0
	.section	.text._ZN7rocprim17ROCPRIM_400000_NS6detail44device_merge_sort_compile_time_verifier_archINS1_11comp_targetILNS1_3genE2ELNS1_11target_archE906ELNS1_3gpuE6ELNS1_3repE0EEES8_NS1_28merge_sort_block_sort_configILj256ELj4ELNS0_20block_sort_algorithmE0EEENS0_14default_configENS1_37merge_sort_block_sort_config_selectorIhNS0_10empty_typeEEENS1_38merge_sort_block_merge_config_selectorIhSE_EEEEvv,"axG",@progbits,_ZN7rocprim17ROCPRIM_400000_NS6detail44device_merge_sort_compile_time_verifier_archINS1_11comp_targetILNS1_3genE2ELNS1_11target_archE906ELNS1_3gpuE6ELNS1_3repE0EEES8_NS1_28merge_sort_block_sort_configILj256ELj4ELNS0_20block_sort_algorithmE0EEENS0_14default_configENS1_37merge_sort_block_sort_config_selectorIhNS0_10empty_typeEEENS1_38merge_sort_block_merge_config_selectorIhSE_EEEEvv,comdat
	.protected	_ZN7rocprim17ROCPRIM_400000_NS6detail44device_merge_sort_compile_time_verifier_archINS1_11comp_targetILNS1_3genE2ELNS1_11target_archE906ELNS1_3gpuE6ELNS1_3repE0EEES8_NS1_28merge_sort_block_sort_configILj256ELj4ELNS0_20block_sort_algorithmE0EEENS0_14default_configENS1_37merge_sort_block_sort_config_selectorIhNS0_10empty_typeEEENS1_38merge_sort_block_merge_config_selectorIhSE_EEEEvv ; -- Begin function _ZN7rocprim17ROCPRIM_400000_NS6detail44device_merge_sort_compile_time_verifier_archINS1_11comp_targetILNS1_3genE2ELNS1_11target_archE906ELNS1_3gpuE6ELNS1_3repE0EEES8_NS1_28merge_sort_block_sort_configILj256ELj4ELNS0_20block_sort_algorithmE0EEENS0_14default_configENS1_37merge_sort_block_sort_config_selectorIhNS0_10empty_typeEEENS1_38merge_sort_block_merge_config_selectorIhSE_EEEEvv
	.globl	_ZN7rocprim17ROCPRIM_400000_NS6detail44device_merge_sort_compile_time_verifier_archINS1_11comp_targetILNS1_3genE2ELNS1_11target_archE906ELNS1_3gpuE6ELNS1_3repE0EEES8_NS1_28merge_sort_block_sort_configILj256ELj4ELNS0_20block_sort_algorithmE0EEENS0_14default_configENS1_37merge_sort_block_sort_config_selectorIhNS0_10empty_typeEEENS1_38merge_sort_block_merge_config_selectorIhSE_EEEEvv
	.p2align	8
	.type	_ZN7rocprim17ROCPRIM_400000_NS6detail44device_merge_sort_compile_time_verifier_archINS1_11comp_targetILNS1_3genE2ELNS1_11target_archE906ELNS1_3gpuE6ELNS1_3repE0EEES8_NS1_28merge_sort_block_sort_configILj256ELj4ELNS0_20block_sort_algorithmE0EEENS0_14default_configENS1_37merge_sort_block_sort_config_selectorIhNS0_10empty_typeEEENS1_38merge_sort_block_merge_config_selectorIhSE_EEEEvv,@function
_ZN7rocprim17ROCPRIM_400000_NS6detail44device_merge_sort_compile_time_verifier_archINS1_11comp_targetILNS1_3genE2ELNS1_11target_archE906ELNS1_3gpuE6ELNS1_3repE0EEES8_NS1_28merge_sort_block_sort_configILj256ELj4ELNS0_20block_sort_algorithmE0EEENS0_14default_configENS1_37merge_sort_block_sort_config_selectorIhNS0_10empty_typeEEENS1_38merge_sort_block_merge_config_selectorIhSE_EEEEvv: ; @_ZN7rocprim17ROCPRIM_400000_NS6detail44device_merge_sort_compile_time_verifier_archINS1_11comp_targetILNS1_3genE2ELNS1_11target_archE906ELNS1_3gpuE6ELNS1_3repE0EEES8_NS1_28merge_sort_block_sort_configILj256ELj4ELNS0_20block_sort_algorithmE0EEENS0_14default_configENS1_37merge_sort_block_sort_config_selectorIhNS0_10empty_typeEEENS1_38merge_sort_block_merge_config_selectorIhSE_EEEEvv
; %bb.0:
	s_endpgm
	.section	.rodata,"a",@progbits
	.p2align	6, 0x0
	.amdhsa_kernel _ZN7rocprim17ROCPRIM_400000_NS6detail44device_merge_sort_compile_time_verifier_archINS1_11comp_targetILNS1_3genE2ELNS1_11target_archE906ELNS1_3gpuE6ELNS1_3repE0EEES8_NS1_28merge_sort_block_sort_configILj256ELj4ELNS0_20block_sort_algorithmE0EEENS0_14default_configENS1_37merge_sort_block_sort_config_selectorIhNS0_10empty_typeEEENS1_38merge_sort_block_merge_config_selectorIhSE_EEEEvv
		.amdhsa_group_segment_fixed_size 0
		.amdhsa_private_segment_fixed_size 0
		.amdhsa_kernarg_size 0
		.amdhsa_user_sgpr_count 4
		.amdhsa_user_sgpr_private_segment_buffer 1
		.amdhsa_user_sgpr_dispatch_ptr 0
		.amdhsa_user_sgpr_queue_ptr 0
		.amdhsa_user_sgpr_kernarg_segment_ptr 0
		.amdhsa_user_sgpr_dispatch_id 0
		.amdhsa_user_sgpr_flat_scratch_init 0
		.amdhsa_user_sgpr_kernarg_preload_length 0
		.amdhsa_user_sgpr_kernarg_preload_offset 0
		.amdhsa_user_sgpr_private_segment_size 0
		.amdhsa_uses_dynamic_stack 0
		.amdhsa_system_sgpr_private_segment_wavefront_offset 0
		.amdhsa_system_sgpr_workgroup_id_x 1
		.amdhsa_system_sgpr_workgroup_id_y 0
		.amdhsa_system_sgpr_workgroup_id_z 0
		.amdhsa_system_sgpr_workgroup_info 0
		.amdhsa_system_vgpr_workitem_id 0
		.amdhsa_next_free_vgpr 1
		.amdhsa_next_free_sgpr 0
		.amdhsa_accum_offset 4
		.amdhsa_reserve_vcc 0
		.amdhsa_reserve_flat_scratch 0
		.amdhsa_float_round_mode_32 0
		.amdhsa_float_round_mode_16_64 0
		.amdhsa_float_denorm_mode_32 3
		.amdhsa_float_denorm_mode_16_64 3
		.amdhsa_dx10_clamp 1
		.amdhsa_ieee_mode 1
		.amdhsa_fp16_overflow 0
		.amdhsa_tg_split 0
		.amdhsa_exception_fp_ieee_invalid_op 0
		.amdhsa_exception_fp_denorm_src 0
		.amdhsa_exception_fp_ieee_div_zero 0
		.amdhsa_exception_fp_ieee_overflow 0
		.amdhsa_exception_fp_ieee_underflow 0
		.amdhsa_exception_fp_ieee_inexact 0
		.amdhsa_exception_int_div_zero 0
	.end_amdhsa_kernel
	.section	.text._ZN7rocprim17ROCPRIM_400000_NS6detail44device_merge_sort_compile_time_verifier_archINS1_11comp_targetILNS1_3genE2ELNS1_11target_archE906ELNS1_3gpuE6ELNS1_3repE0EEES8_NS1_28merge_sort_block_sort_configILj256ELj4ELNS0_20block_sort_algorithmE0EEENS0_14default_configENS1_37merge_sort_block_sort_config_selectorIhNS0_10empty_typeEEENS1_38merge_sort_block_merge_config_selectorIhSE_EEEEvv,"axG",@progbits,_ZN7rocprim17ROCPRIM_400000_NS6detail44device_merge_sort_compile_time_verifier_archINS1_11comp_targetILNS1_3genE2ELNS1_11target_archE906ELNS1_3gpuE6ELNS1_3repE0EEES8_NS1_28merge_sort_block_sort_configILj256ELj4ELNS0_20block_sort_algorithmE0EEENS0_14default_configENS1_37merge_sort_block_sort_config_selectorIhNS0_10empty_typeEEENS1_38merge_sort_block_merge_config_selectorIhSE_EEEEvv,comdat
.Lfunc_end241:
	.size	_ZN7rocprim17ROCPRIM_400000_NS6detail44device_merge_sort_compile_time_verifier_archINS1_11comp_targetILNS1_3genE2ELNS1_11target_archE906ELNS1_3gpuE6ELNS1_3repE0EEES8_NS1_28merge_sort_block_sort_configILj256ELj4ELNS0_20block_sort_algorithmE0EEENS0_14default_configENS1_37merge_sort_block_sort_config_selectorIhNS0_10empty_typeEEENS1_38merge_sort_block_merge_config_selectorIhSE_EEEEvv, .Lfunc_end241-_ZN7rocprim17ROCPRIM_400000_NS6detail44device_merge_sort_compile_time_verifier_archINS1_11comp_targetILNS1_3genE2ELNS1_11target_archE906ELNS1_3gpuE6ELNS1_3repE0EEES8_NS1_28merge_sort_block_sort_configILj256ELj4ELNS0_20block_sort_algorithmE0EEENS0_14default_configENS1_37merge_sort_block_sort_config_selectorIhNS0_10empty_typeEEENS1_38merge_sort_block_merge_config_selectorIhSE_EEEEvv
                                        ; -- End function
	.section	.AMDGPU.csdata,"",@progbits
; Kernel info:
; codeLenInByte = 4
; NumSgprs: 4
; NumVgprs: 0
; NumAgprs: 0
; TotalNumVgprs: 0
; ScratchSize: 0
; MemoryBound: 0
; FloatMode: 240
; IeeeMode: 1
; LDSByteSize: 0 bytes/workgroup (compile time only)
; SGPRBlocks: 0
; VGPRBlocks: 0
; NumSGPRsForWavesPerEU: 4
; NumVGPRsForWavesPerEU: 1
; AccumOffset: 4
; Occupancy: 8
; WaveLimiterHint : 0
; COMPUTE_PGM_RSRC2:SCRATCH_EN: 0
; COMPUTE_PGM_RSRC2:USER_SGPR: 4
; COMPUTE_PGM_RSRC2:TRAP_HANDLER: 0
; COMPUTE_PGM_RSRC2:TGID_X_EN: 1
; COMPUTE_PGM_RSRC2:TGID_Y_EN: 0
; COMPUTE_PGM_RSRC2:TGID_Z_EN: 0
; COMPUTE_PGM_RSRC2:TIDIG_COMP_CNT: 0
; COMPUTE_PGM_RSRC3_GFX90A:ACCUM_OFFSET: 0
; COMPUTE_PGM_RSRC3_GFX90A:TG_SPLIT: 0
	.section	.text._ZN7rocprim17ROCPRIM_400000_NS6detail44device_merge_sort_compile_time_verifier_archINS1_11comp_targetILNS1_3genE10ELNS1_11target_archE1201ELNS1_3gpuE5ELNS1_3repE0EEES8_NS1_28merge_sort_block_sort_configILj256ELj4ELNS0_20block_sort_algorithmE0EEENS0_14default_configENS1_37merge_sort_block_sort_config_selectorIhNS0_10empty_typeEEENS1_38merge_sort_block_merge_config_selectorIhSE_EEEEvv,"axG",@progbits,_ZN7rocprim17ROCPRIM_400000_NS6detail44device_merge_sort_compile_time_verifier_archINS1_11comp_targetILNS1_3genE10ELNS1_11target_archE1201ELNS1_3gpuE5ELNS1_3repE0EEES8_NS1_28merge_sort_block_sort_configILj256ELj4ELNS0_20block_sort_algorithmE0EEENS0_14default_configENS1_37merge_sort_block_sort_config_selectorIhNS0_10empty_typeEEENS1_38merge_sort_block_merge_config_selectorIhSE_EEEEvv,comdat
	.protected	_ZN7rocprim17ROCPRIM_400000_NS6detail44device_merge_sort_compile_time_verifier_archINS1_11comp_targetILNS1_3genE10ELNS1_11target_archE1201ELNS1_3gpuE5ELNS1_3repE0EEES8_NS1_28merge_sort_block_sort_configILj256ELj4ELNS0_20block_sort_algorithmE0EEENS0_14default_configENS1_37merge_sort_block_sort_config_selectorIhNS0_10empty_typeEEENS1_38merge_sort_block_merge_config_selectorIhSE_EEEEvv ; -- Begin function _ZN7rocprim17ROCPRIM_400000_NS6detail44device_merge_sort_compile_time_verifier_archINS1_11comp_targetILNS1_3genE10ELNS1_11target_archE1201ELNS1_3gpuE5ELNS1_3repE0EEES8_NS1_28merge_sort_block_sort_configILj256ELj4ELNS0_20block_sort_algorithmE0EEENS0_14default_configENS1_37merge_sort_block_sort_config_selectorIhNS0_10empty_typeEEENS1_38merge_sort_block_merge_config_selectorIhSE_EEEEvv
	.globl	_ZN7rocprim17ROCPRIM_400000_NS6detail44device_merge_sort_compile_time_verifier_archINS1_11comp_targetILNS1_3genE10ELNS1_11target_archE1201ELNS1_3gpuE5ELNS1_3repE0EEES8_NS1_28merge_sort_block_sort_configILj256ELj4ELNS0_20block_sort_algorithmE0EEENS0_14default_configENS1_37merge_sort_block_sort_config_selectorIhNS0_10empty_typeEEENS1_38merge_sort_block_merge_config_selectorIhSE_EEEEvv
	.p2align	8
	.type	_ZN7rocprim17ROCPRIM_400000_NS6detail44device_merge_sort_compile_time_verifier_archINS1_11comp_targetILNS1_3genE10ELNS1_11target_archE1201ELNS1_3gpuE5ELNS1_3repE0EEES8_NS1_28merge_sort_block_sort_configILj256ELj4ELNS0_20block_sort_algorithmE0EEENS0_14default_configENS1_37merge_sort_block_sort_config_selectorIhNS0_10empty_typeEEENS1_38merge_sort_block_merge_config_selectorIhSE_EEEEvv,@function
_ZN7rocprim17ROCPRIM_400000_NS6detail44device_merge_sort_compile_time_verifier_archINS1_11comp_targetILNS1_3genE10ELNS1_11target_archE1201ELNS1_3gpuE5ELNS1_3repE0EEES8_NS1_28merge_sort_block_sort_configILj256ELj4ELNS0_20block_sort_algorithmE0EEENS0_14default_configENS1_37merge_sort_block_sort_config_selectorIhNS0_10empty_typeEEENS1_38merge_sort_block_merge_config_selectorIhSE_EEEEvv: ; @_ZN7rocprim17ROCPRIM_400000_NS6detail44device_merge_sort_compile_time_verifier_archINS1_11comp_targetILNS1_3genE10ELNS1_11target_archE1201ELNS1_3gpuE5ELNS1_3repE0EEES8_NS1_28merge_sort_block_sort_configILj256ELj4ELNS0_20block_sort_algorithmE0EEENS0_14default_configENS1_37merge_sort_block_sort_config_selectorIhNS0_10empty_typeEEENS1_38merge_sort_block_merge_config_selectorIhSE_EEEEvv
; %bb.0:
	s_endpgm
	.section	.rodata,"a",@progbits
	.p2align	6, 0x0
	.amdhsa_kernel _ZN7rocprim17ROCPRIM_400000_NS6detail44device_merge_sort_compile_time_verifier_archINS1_11comp_targetILNS1_3genE10ELNS1_11target_archE1201ELNS1_3gpuE5ELNS1_3repE0EEES8_NS1_28merge_sort_block_sort_configILj256ELj4ELNS0_20block_sort_algorithmE0EEENS0_14default_configENS1_37merge_sort_block_sort_config_selectorIhNS0_10empty_typeEEENS1_38merge_sort_block_merge_config_selectorIhSE_EEEEvv
		.amdhsa_group_segment_fixed_size 0
		.amdhsa_private_segment_fixed_size 0
		.amdhsa_kernarg_size 0
		.amdhsa_user_sgpr_count 4
		.amdhsa_user_sgpr_private_segment_buffer 1
		.amdhsa_user_sgpr_dispatch_ptr 0
		.amdhsa_user_sgpr_queue_ptr 0
		.amdhsa_user_sgpr_kernarg_segment_ptr 0
		.amdhsa_user_sgpr_dispatch_id 0
		.amdhsa_user_sgpr_flat_scratch_init 0
		.amdhsa_user_sgpr_kernarg_preload_length 0
		.amdhsa_user_sgpr_kernarg_preload_offset 0
		.amdhsa_user_sgpr_private_segment_size 0
		.amdhsa_uses_dynamic_stack 0
		.amdhsa_system_sgpr_private_segment_wavefront_offset 0
		.amdhsa_system_sgpr_workgroup_id_x 1
		.amdhsa_system_sgpr_workgroup_id_y 0
		.amdhsa_system_sgpr_workgroup_id_z 0
		.amdhsa_system_sgpr_workgroup_info 0
		.amdhsa_system_vgpr_workitem_id 0
		.amdhsa_next_free_vgpr 1
		.amdhsa_next_free_sgpr 0
		.amdhsa_accum_offset 4
		.amdhsa_reserve_vcc 0
		.amdhsa_reserve_flat_scratch 0
		.amdhsa_float_round_mode_32 0
		.amdhsa_float_round_mode_16_64 0
		.amdhsa_float_denorm_mode_32 3
		.amdhsa_float_denorm_mode_16_64 3
		.amdhsa_dx10_clamp 1
		.amdhsa_ieee_mode 1
		.amdhsa_fp16_overflow 0
		.amdhsa_tg_split 0
		.amdhsa_exception_fp_ieee_invalid_op 0
		.amdhsa_exception_fp_denorm_src 0
		.amdhsa_exception_fp_ieee_div_zero 0
		.amdhsa_exception_fp_ieee_overflow 0
		.amdhsa_exception_fp_ieee_underflow 0
		.amdhsa_exception_fp_ieee_inexact 0
		.amdhsa_exception_int_div_zero 0
	.end_amdhsa_kernel
	.section	.text._ZN7rocprim17ROCPRIM_400000_NS6detail44device_merge_sort_compile_time_verifier_archINS1_11comp_targetILNS1_3genE10ELNS1_11target_archE1201ELNS1_3gpuE5ELNS1_3repE0EEES8_NS1_28merge_sort_block_sort_configILj256ELj4ELNS0_20block_sort_algorithmE0EEENS0_14default_configENS1_37merge_sort_block_sort_config_selectorIhNS0_10empty_typeEEENS1_38merge_sort_block_merge_config_selectorIhSE_EEEEvv,"axG",@progbits,_ZN7rocprim17ROCPRIM_400000_NS6detail44device_merge_sort_compile_time_verifier_archINS1_11comp_targetILNS1_3genE10ELNS1_11target_archE1201ELNS1_3gpuE5ELNS1_3repE0EEES8_NS1_28merge_sort_block_sort_configILj256ELj4ELNS0_20block_sort_algorithmE0EEENS0_14default_configENS1_37merge_sort_block_sort_config_selectorIhNS0_10empty_typeEEENS1_38merge_sort_block_merge_config_selectorIhSE_EEEEvv,comdat
.Lfunc_end242:
	.size	_ZN7rocprim17ROCPRIM_400000_NS6detail44device_merge_sort_compile_time_verifier_archINS1_11comp_targetILNS1_3genE10ELNS1_11target_archE1201ELNS1_3gpuE5ELNS1_3repE0EEES8_NS1_28merge_sort_block_sort_configILj256ELj4ELNS0_20block_sort_algorithmE0EEENS0_14default_configENS1_37merge_sort_block_sort_config_selectorIhNS0_10empty_typeEEENS1_38merge_sort_block_merge_config_selectorIhSE_EEEEvv, .Lfunc_end242-_ZN7rocprim17ROCPRIM_400000_NS6detail44device_merge_sort_compile_time_verifier_archINS1_11comp_targetILNS1_3genE10ELNS1_11target_archE1201ELNS1_3gpuE5ELNS1_3repE0EEES8_NS1_28merge_sort_block_sort_configILj256ELj4ELNS0_20block_sort_algorithmE0EEENS0_14default_configENS1_37merge_sort_block_sort_config_selectorIhNS0_10empty_typeEEENS1_38merge_sort_block_merge_config_selectorIhSE_EEEEvv
                                        ; -- End function
	.section	.AMDGPU.csdata,"",@progbits
; Kernel info:
; codeLenInByte = 4
; NumSgprs: 4
; NumVgprs: 0
; NumAgprs: 0
; TotalNumVgprs: 0
; ScratchSize: 0
; MemoryBound: 0
; FloatMode: 240
; IeeeMode: 1
; LDSByteSize: 0 bytes/workgroup (compile time only)
; SGPRBlocks: 0
; VGPRBlocks: 0
; NumSGPRsForWavesPerEU: 4
; NumVGPRsForWavesPerEU: 1
; AccumOffset: 4
; Occupancy: 8
; WaveLimiterHint : 0
; COMPUTE_PGM_RSRC2:SCRATCH_EN: 0
; COMPUTE_PGM_RSRC2:USER_SGPR: 4
; COMPUTE_PGM_RSRC2:TRAP_HANDLER: 0
; COMPUTE_PGM_RSRC2:TGID_X_EN: 1
; COMPUTE_PGM_RSRC2:TGID_Y_EN: 0
; COMPUTE_PGM_RSRC2:TGID_Z_EN: 0
; COMPUTE_PGM_RSRC2:TIDIG_COMP_CNT: 0
; COMPUTE_PGM_RSRC3_GFX90A:ACCUM_OFFSET: 0
; COMPUTE_PGM_RSRC3_GFX90A:TG_SPLIT: 0
	.section	.text._ZN7rocprim17ROCPRIM_400000_NS6detail44device_merge_sort_compile_time_verifier_archINS1_11comp_targetILNS1_3genE10ELNS1_11target_archE1200ELNS1_3gpuE4ELNS1_3repE0EEENS3_ILS4_10ELS5_1201ELS6_5ELS7_0EEENS1_28merge_sort_block_sort_configILj256ELj4ELNS0_20block_sort_algorithmE0EEENS0_14default_configENS1_37merge_sort_block_sort_config_selectorIhNS0_10empty_typeEEENS1_38merge_sort_block_merge_config_selectorIhSF_EEEEvv,"axG",@progbits,_ZN7rocprim17ROCPRIM_400000_NS6detail44device_merge_sort_compile_time_verifier_archINS1_11comp_targetILNS1_3genE10ELNS1_11target_archE1200ELNS1_3gpuE4ELNS1_3repE0EEENS3_ILS4_10ELS5_1201ELS6_5ELS7_0EEENS1_28merge_sort_block_sort_configILj256ELj4ELNS0_20block_sort_algorithmE0EEENS0_14default_configENS1_37merge_sort_block_sort_config_selectorIhNS0_10empty_typeEEENS1_38merge_sort_block_merge_config_selectorIhSF_EEEEvv,comdat
	.protected	_ZN7rocprim17ROCPRIM_400000_NS6detail44device_merge_sort_compile_time_verifier_archINS1_11comp_targetILNS1_3genE10ELNS1_11target_archE1200ELNS1_3gpuE4ELNS1_3repE0EEENS3_ILS4_10ELS5_1201ELS6_5ELS7_0EEENS1_28merge_sort_block_sort_configILj256ELj4ELNS0_20block_sort_algorithmE0EEENS0_14default_configENS1_37merge_sort_block_sort_config_selectorIhNS0_10empty_typeEEENS1_38merge_sort_block_merge_config_selectorIhSF_EEEEvv ; -- Begin function _ZN7rocprim17ROCPRIM_400000_NS6detail44device_merge_sort_compile_time_verifier_archINS1_11comp_targetILNS1_3genE10ELNS1_11target_archE1200ELNS1_3gpuE4ELNS1_3repE0EEENS3_ILS4_10ELS5_1201ELS6_5ELS7_0EEENS1_28merge_sort_block_sort_configILj256ELj4ELNS0_20block_sort_algorithmE0EEENS0_14default_configENS1_37merge_sort_block_sort_config_selectorIhNS0_10empty_typeEEENS1_38merge_sort_block_merge_config_selectorIhSF_EEEEvv
	.globl	_ZN7rocprim17ROCPRIM_400000_NS6detail44device_merge_sort_compile_time_verifier_archINS1_11comp_targetILNS1_3genE10ELNS1_11target_archE1200ELNS1_3gpuE4ELNS1_3repE0EEENS3_ILS4_10ELS5_1201ELS6_5ELS7_0EEENS1_28merge_sort_block_sort_configILj256ELj4ELNS0_20block_sort_algorithmE0EEENS0_14default_configENS1_37merge_sort_block_sort_config_selectorIhNS0_10empty_typeEEENS1_38merge_sort_block_merge_config_selectorIhSF_EEEEvv
	.p2align	8
	.type	_ZN7rocprim17ROCPRIM_400000_NS6detail44device_merge_sort_compile_time_verifier_archINS1_11comp_targetILNS1_3genE10ELNS1_11target_archE1200ELNS1_3gpuE4ELNS1_3repE0EEENS3_ILS4_10ELS5_1201ELS6_5ELS7_0EEENS1_28merge_sort_block_sort_configILj256ELj4ELNS0_20block_sort_algorithmE0EEENS0_14default_configENS1_37merge_sort_block_sort_config_selectorIhNS0_10empty_typeEEENS1_38merge_sort_block_merge_config_selectorIhSF_EEEEvv,@function
_ZN7rocprim17ROCPRIM_400000_NS6detail44device_merge_sort_compile_time_verifier_archINS1_11comp_targetILNS1_3genE10ELNS1_11target_archE1200ELNS1_3gpuE4ELNS1_3repE0EEENS3_ILS4_10ELS5_1201ELS6_5ELS7_0EEENS1_28merge_sort_block_sort_configILj256ELj4ELNS0_20block_sort_algorithmE0EEENS0_14default_configENS1_37merge_sort_block_sort_config_selectorIhNS0_10empty_typeEEENS1_38merge_sort_block_merge_config_selectorIhSF_EEEEvv: ; @_ZN7rocprim17ROCPRIM_400000_NS6detail44device_merge_sort_compile_time_verifier_archINS1_11comp_targetILNS1_3genE10ELNS1_11target_archE1200ELNS1_3gpuE4ELNS1_3repE0EEENS3_ILS4_10ELS5_1201ELS6_5ELS7_0EEENS1_28merge_sort_block_sort_configILj256ELj4ELNS0_20block_sort_algorithmE0EEENS0_14default_configENS1_37merge_sort_block_sort_config_selectorIhNS0_10empty_typeEEENS1_38merge_sort_block_merge_config_selectorIhSF_EEEEvv
; %bb.0:
	s_endpgm
	.section	.rodata,"a",@progbits
	.p2align	6, 0x0
	.amdhsa_kernel _ZN7rocprim17ROCPRIM_400000_NS6detail44device_merge_sort_compile_time_verifier_archINS1_11comp_targetILNS1_3genE10ELNS1_11target_archE1200ELNS1_3gpuE4ELNS1_3repE0EEENS3_ILS4_10ELS5_1201ELS6_5ELS7_0EEENS1_28merge_sort_block_sort_configILj256ELj4ELNS0_20block_sort_algorithmE0EEENS0_14default_configENS1_37merge_sort_block_sort_config_selectorIhNS0_10empty_typeEEENS1_38merge_sort_block_merge_config_selectorIhSF_EEEEvv
		.amdhsa_group_segment_fixed_size 0
		.amdhsa_private_segment_fixed_size 0
		.amdhsa_kernarg_size 0
		.amdhsa_user_sgpr_count 4
		.amdhsa_user_sgpr_private_segment_buffer 1
		.amdhsa_user_sgpr_dispatch_ptr 0
		.amdhsa_user_sgpr_queue_ptr 0
		.amdhsa_user_sgpr_kernarg_segment_ptr 0
		.amdhsa_user_sgpr_dispatch_id 0
		.amdhsa_user_sgpr_flat_scratch_init 0
		.amdhsa_user_sgpr_kernarg_preload_length 0
		.amdhsa_user_sgpr_kernarg_preload_offset 0
		.amdhsa_user_sgpr_private_segment_size 0
		.amdhsa_uses_dynamic_stack 0
		.amdhsa_system_sgpr_private_segment_wavefront_offset 0
		.amdhsa_system_sgpr_workgroup_id_x 1
		.amdhsa_system_sgpr_workgroup_id_y 0
		.amdhsa_system_sgpr_workgroup_id_z 0
		.amdhsa_system_sgpr_workgroup_info 0
		.amdhsa_system_vgpr_workitem_id 0
		.amdhsa_next_free_vgpr 1
		.amdhsa_next_free_sgpr 0
		.amdhsa_accum_offset 4
		.amdhsa_reserve_vcc 0
		.amdhsa_reserve_flat_scratch 0
		.amdhsa_float_round_mode_32 0
		.amdhsa_float_round_mode_16_64 0
		.amdhsa_float_denorm_mode_32 3
		.amdhsa_float_denorm_mode_16_64 3
		.amdhsa_dx10_clamp 1
		.amdhsa_ieee_mode 1
		.amdhsa_fp16_overflow 0
		.amdhsa_tg_split 0
		.amdhsa_exception_fp_ieee_invalid_op 0
		.amdhsa_exception_fp_denorm_src 0
		.amdhsa_exception_fp_ieee_div_zero 0
		.amdhsa_exception_fp_ieee_overflow 0
		.amdhsa_exception_fp_ieee_underflow 0
		.amdhsa_exception_fp_ieee_inexact 0
		.amdhsa_exception_int_div_zero 0
	.end_amdhsa_kernel
	.section	.text._ZN7rocprim17ROCPRIM_400000_NS6detail44device_merge_sort_compile_time_verifier_archINS1_11comp_targetILNS1_3genE10ELNS1_11target_archE1200ELNS1_3gpuE4ELNS1_3repE0EEENS3_ILS4_10ELS5_1201ELS6_5ELS7_0EEENS1_28merge_sort_block_sort_configILj256ELj4ELNS0_20block_sort_algorithmE0EEENS0_14default_configENS1_37merge_sort_block_sort_config_selectorIhNS0_10empty_typeEEENS1_38merge_sort_block_merge_config_selectorIhSF_EEEEvv,"axG",@progbits,_ZN7rocprim17ROCPRIM_400000_NS6detail44device_merge_sort_compile_time_verifier_archINS1_11comp_targetILNS1_3genE10ELNS1_11target_archE1200ELNS1_3gpuE4ELNS1_3repE0EEENS3_ILS4_10ELS5_1201ELS6_5ELS7_0EEENS1_28merge_sort_block_sort_configILj256ELj4ELNS0_20block_sort_algorithmE0EEENS0_14default_configENS1_37merge_sort_block_sort_config_selectorIhNS0_10empty_typeEEENS1_38merge_sort_block_merge_config_selectorIhSF_EEEEvv,comdat
.Lfunc_end243:
	.size	_ZN7rocprim17ROCPRIM_400000_NS6detail44device_merge_sort_compile_time_verifier_archINS1_11comp_targetILNS1_3genE10ELNS1_11target_archE1200ELNS1_3gpuE4ELNS1_3repE0EEENS3_ILS4_10ELS5_1201ELS6_5ELS7_0EEENS1_28merge_sort_block_sort_configILj256ELj4ELNS0_20block_sort_algorithmE0EEENS0_14default_configENS1_37merge_sort_block_sort_config_selectorIhNS0_10empty_typeEEENS1_38merge_sort_block_merge_config_selectorIhSF_EEEEvv, .Lfunc_end243-_ZN7rocprim17ROCPRIM_400000_NS6detail44device_merge_sort_compile_time_verifier_archINS1_11comp_targetILNS1_3genE10ELNS1_11target_archE1200ELNS1_3gpuE4ELNS1_3repE0EEENS3_ILS4_10ELS5_1201ELS6_5ELS7_0EEENS1_28merge_sort_block_sort_configILj256ELj4ELNS0_20block_sort_algorithmE0EEENS0_14default_configENS1_37merge_sort_block_sort_config_selectorIhNS0_10empty_typeEEENS1_38merge_sort_block_merge_config_selectorIhSF_EEEEvv
                                        ; -- End function
	.section	.AMDGPU.csdata,"",@progbits
; Kernel info:
; codeLenInByte = 4
; NumSgprs: 4
; NumVgprs: 0
; NumAgprs: 0
; TotalNumVgprs: 0
; ScratchSize: 0
; MemoryBound: 0
; FloatMode: 240
; IeeeMode: 1
; LDSByteSize: 0 bytes/workgroup (compile time only)
; SGPRBlocks: 0
; VGPRBlocks: 0
; NumSGPRsForWavesPerEU: 4
; NumVGPRsForWavesPerEU: 1
; AccumOffset: 4
; Occupancy: 8
; WaveLimiterHint : 0
; COMPUTE_PGM_RSRC2:SCRATCH_EN: 0
; COMPUTE_PGM_RSRC2:USER_SGPR: 4
; COMPUTE_PGM_RSRC2:TRAP_HANDLER: 0
; COMPUTE_PGM_RSRC2:TGID_X_EN: 1
; COMPUTE_PGM_RSRC2:TGID_Y_EN: 0
; COMPUTE_PGM_RSRC2:TGID_Z_EN: 0
; COMPUTE_PGM_RSRC2:TIDIG_COMP_CNT: 0
; COMPUTE_PGM_RSRC3_GFX90A:ACCUM_OFFSET: 0
; COMPUTE_PGM_RSRC3_GFX90A:TG_SPLIT: 0
	.section	.text._ZN7rocprim17ROCPRIM_400000_NS6detail44device_merge_sort_compile_time_verifier_archINS1_11comp_targetILNS1_3genE9ELNS1_11target_archE1100ELNS1_3gpuE3ELNS1_3repE0EEES8_NS1_28merge_sort_block_sort_configILj256ELj4ELNS0_20block_sort_algorithmE0EEENS0_14default_configENS1_37merge_sort_block_sort_config_selectorIhNS0_10empty_typeEEENS1_38merge_sort_block_merge_config_selectorIhSE_EEEEvv,"axG",@progbits,_ZN7rocprim17ROCPRIM_400000_NS6detail44device_merge_sort_compile_time_verifier_archINS1_11comp_targetILNS1_3genE9ELNS1_11target_archE1100ELNS1_3gpuE3ELNS1_3repE0EEES8_NS1_28merge_sort_block_sort_configILj256ELj4ELNS0_20block_sort_algorithmE0EEENS0_14default_configENS1_37merge_sort_block_sort_config_selectorIhNS0_10empty_typeEEENS1_38merge_sort_block_merge_config_selectorIhSE_EEEEvv,comdat
	.protected	_ZN7rocprim17ROCPRIM_400000_NS6detail44device_merge_sort_compile_time_verifier_archINS1_11comp_targetILNS1_3genE9ELNS1_11target_archE1100ELNS1_3gpuE3ELNS1_3repE0EEES8_NS1_28merge_sort_block_sort_configILj256ELj4ELNS0_20block_sort_algorithmE0EEENS0_14default_configENS1_37merge_sort_block_sort_config_selectorIhNS0_10empty_typeEEENS1_38merge_sort_block_merge_config_selectorIhSE_EEEEvv ; -- Begin function _ZN7rocprim17ROCPRIM_400000_NS6detail44device_merge_sort_compile_time_verifier_archINS1_11comp_targetILNS1_3genE9ELNS1_11target_archE1100ELNS1_3gpuE3ELNS1_3repE0EEES8_NS1_28merge_sort_block_sort_configILj256ELj4ELNS0_20block_sort_algorithmE0EEENS0_14default_configENS1_37merge_sort_block_sort_config_selectorIhNS0_10empty_typeEEENS1_38merge_sort_block_merge_config_selectorIhSE_EEEEvv
	.globl	_ZN7rocprim17ROCPRIM_400000_NS6detail44device_merge_sort_compile_time_verifier_archINS1_11comp_targetILNS1_3genE9ELNS1_11target_archE1100ELNS1_3gpuE3ELNS1_3repE0EEES8_NS1_28merge_sort_block_sort_configILj256ELj4ELNS0_20block_sort_algorithmE0EEENS0_14default_configENS1_37merge_sort_block_sort_config_selectorIhNS0_10empty_typeEEENS1_38merge_sort_block_merge_config_selectorIhSE_EEEEvv
	.p2align	8
	.type	_ZN7rocprim17ROCPRIM_400000_NS6detail44device_merge_sort_compile_time_verifier_archINS1_11comp_targetILNS1_3genE9ELNS1_11target_archE1100ELNS1_3gpuE3ELNS1_3repE0EEES8_NS1_28merge_sort_block_sort_configILj256ELj4ELNS0_20block_sort_algorithmE0EEENS0_14default_configENS1_37merge_sort_block_sort_config_selectorIhNS0_10empty_typeEEENS1_38merge_sort_block_merge_config_selectorIhSE_EEEEvv,@function
_ZN7rocprim17ROCPRIM_400000_NS6detail44device_merge_sort_compile_time_verifier_archINS1_11comp_targetILNS1_3genE9ELNS1_11target_archE1100ELNS1_3gpuE3ELNS1_3repE0EEES8_NS1_28merge_sort_block_sort_configILj256ELj4ELNS0_20block_sort_algorithmE0EEENS0_14default_configENS1_37merge_sort_block_sort_config_selectorIhNS0_10empty_typeEEENS1_38merge_sort_block_merge_config_selectorIhSE_EEEEvv: ; @_ZN7rocprim17ROCPRIM_400000_NS6detail44device_merge_sort_compile_time_verifier_archINS1_11comp_targetILNS1_3genE9ELNS1_11target_archE1100ELNS1_3gpuE3ELNS1_3repE0EEES8_NS1_28merge_sort_block_sort_configILj256ELj4ELNS0_20block_sort_algorithmE0EEENS0_14default_configENS1_37merge_sort_block_sort_config_selectorIhNS0_10empty_typeEEENS1_38merge_sort_block_merge_config_selectorIhSE_EEEEvv
; %bb.0:
	s_endpgm
	.section	.rodata,"a",@progbits
	.p2align	6, 0x0
	.amdhsa_kernel _ZN7rocprim17ROCPRIM_400000_NS6detail44device_merge_sort_compile_time_verifier_archINS1_11comp_targetILNS1_3genE9ELNS1_11target_archE1100ELNS1_3gpuE3ELNS1_3repE0EEES8_NS1_28merge_sort_block_sort_configILj256ELj4ELNS0_20block_sort_algorithmE0EEENS0_14default_configENS1_37merge_sort_block_sort_config_selectorIhNS0_10empty_typeEEENS1_38merge_sort_block_merge_config_selectorIhSE_EEEEvv
		.amdhsa_group_segment_fixed_size 0
		.amdhsa_private_segment_fixed_size 0
		.amdhsa_kernarg_size 0
		.amdhsa_user_sgpr_count 4
		.amdhsa_user_sgpr_private_segment_buffer 1
		.amdhsa_user_sgpr_dispatch_ptr 0
		.amdhsa_user_sgpr_queue_ptr 0
		.amdhsa_user_sgpr_kernarg_segment_ptr 0
		.amdhsa_user_sgpr_dispatch_id 0
		.amdhsa_user_sgpr_flat_scratch_init 0
		.amdhsa_user_sgpr_kernarg_preload_length 0
		.amdhsa_user_sgpr_kernarg_preload_offset 0
		.amdhsa_user_sgpr_private_segment_size 0
		.amdhsa_uses_dynamic_stack 0
		.amdhsa_system_sgpr_private_segment_wavefront_offset 0
		.amdhsa_system_sgpr_workgroup_id_x 1
		.amdhsa_system_sgpr_workgroup_id_y 0
		.amdhsa_system_sgpr_workgroup_id_z 0
		.amdhsa_system_sgpr_workgroup_info 0
		.amdhsa_system_vgpr_workitem_id 0
		.amdhsa_next_free_vgpr 1
		.amdhsa_next_free_sgpr 0
		.amdhsa_accum_offset 4
		.amdhsa_reserve_vcc 0
		.amdhsa_reserve_flat_scratch 0
		.amdhsa_float_round_mode_32 0
		.amdhsa_float_round_mode_16_64 0
		.amdhsa_float_denorm_mode_32 3
		.amdhsa_float_denorm_mode_16_64 3
		.amdhsa_dx10_clamp 1
		.amdhsa_ieee_mode 1
		.amdhsa_fp16_overflow 0
		.amdhsa_tg_split 0
		.amdhsa_exception_fp_ieee_invalid_op 0
		.amdhsa_exception_fp_denorm_src 0
		.amdhsa_exception_fp_ieee_div_zero 0
		.amdhsa_exception_fp_ieee_overflow 0
		.amdhsa_exception_fp_ieee_underflow 0
		.amdhsa_exception_fp_ieee_inexact 0
		.amdhsa_exception_int_div_zero 0
	.end_amdhsa_kernel
	.section	.text._ZN7rocprim17ROCPRIM_400000_NS6detail44device_merge_sort_compile_time_verifier_archINS1_11comp_targetILNS1_3genE9ELNS1_11target_archE1100ELNS1_3gpuE3ELNS1_3repE0EEES8_NS1_28merge_sort_block_sort_configILj256ELj4ELNS0_20block_sort_algorithmE0EEENS0_14default_configENS1_37merge_sort_block_sort_config_selectorIhNS0_10empty_typeEEENS1_38merge_sort_block_merge_config_selectorIhSE_EEEEvv,"axG",@progbits,_ZN7rocprim17ROCPRIM_400000_NS6detail44device_merge_sort_compile_time_verifier_archINS1_11comp_targetILNS1_3genE9ELNS1_11target_archE1100ELNS1_3gpuE3ELNS1_3repE0EEES8_NS1_28merge_sort_block_sort_configILj256ELj4ELNS0_20block_sort_algorithmE0EEENS0_14default_configENS1_37merge_sort_block_sort_config_selectorIhNS0_10empty_typeEEENS1_38merge_sort_block_merge_config_selectorIhSE_EEEEvv,comdat
.Lfunc_end244:
	.size	_ZN7rocprim17ROCPRIM_400000_NS6detail44device_merge_sort_compile_time_verifier_archINS1_11comp_targetILNS1_3genE9ELNS1_11target_archE1100ELNS1_3gpuE3ELNS1_3repE0EEES8_NS1_28merge_sort_block_sort_configILj256ELj4ELNS0_20block_sort_algorithmE0EEENS0_14default_configENS1_37merge_sort_block_sort_config_selectorIhNS0_10empty_typeEEENS1_38merge_sort_block_merge_config_selectorIhSE_EEEEvv, .Lfunc_end244-_ZN7rocprim17ROCPRIM_400000_NS6detail44device_merge_sort_compile_time_verifier_archINS1_11comp_targetILNS1_3genE9ELNS1_11target_archE1100ELNS1_3gpuE3ELNS1_3repE0EEES8_NS1_28merge_sort_block_sort_configILj256ELj4ELNS0_20block_sort_algorithmE0EEENS0_14default_configENS1_37merge_sort_block_sort_config_selectorIhNS0_10empty_typeEEENS1_38merge_sort_block_merge_config_selectorIhSE_EEEEvv
                                        ; -- End function
	.section	.AMDGPU.csdata,"",@progbits
; Kernel info:
; codeLenInByte = 4
; NumSgprs: 4
; NumVgprs: 0
; NumAgprs: 0
; TotalNumVgprs: 0
; ScratchSize: 0
; MemoryBound: 0
; FloatMode: 240
; IeeeMode: 1
; LDSByteSize: 0 bytes/workgroup (compile time only)
; SGPRBlocks: 0
; VGPRBlocks: 0
; NumSGPRsForWavesPerEU: 4
; NumVGPRsForWavesPerEU: 1
; AccumOffset: 4
; Occupancy: 8
; WaveLimiterHint : 0
; COMPUTE_PGM_RSRC2:SCRATCH_EN: 0
; COMPUTE_PGM_RSRC2:USER_SGPR: 4
; COMPUTE_PGM_RSRC2:TRAP_HANDLER: 0
; COMPUTE_PGM_RSRC2:TGID_X_EN: 1
; COMPUTE_PGM_RSRC2:TGID_Y_EN: 0
; COMPUTE_PGM_RSRC2:TGID_Z_EN: 0
; COMPUTE_PGM_RSRC2:TIDIG_COMP_CNT: 0
; COMPUTE_PGM_RSRC3_GFX90A:ACCUM_OFFSET: 0
; COMPUTE_PGM_RSRC3_GFX90A:TG_SPLIT: 0
	.section	.text._ZN7rocprim17ROCPRIM_400000_NS6detail44device_merge_sort_compile_time_verifier_archINS1_11comp_targetILNS1_3genE8ELNS1_11target_archE1030ELNS1_3gpuE2ELNS1_3repE0EEES8_NS1_28merge_sort_block_sort_configILj256ELj4ELNS0_20block_sort_algorithmE0EEENS0_14default_configENS1_37merge_sort_block_sort_config_selectorIhNS0_10empty_typeEEENS1_38merge_sort_block_merge_config_selectorIhSE_EEEEvv,"axG",@progbits,_ZN7rocprim17ROCPRIM_400000_NS6detail44device_merge_sort_compile_time_verifier_archINS1_11comp_targetILNS1_3genE8ELNS1_11target_archE1030ELNS1_3gpuE2ELNS1_3repE0EEES8_NS1_28merge_sort_block_sort_configILj256ELj4ELNS0_20block_sort_algorithmE0EEENS0_14default_configENS1_37merge_sort_block_sort_config_selectorIhNS0_10empty_typeEEENS1_38merge_sort_block_merge_config_selectorIhSE_EEEEvv,comdat
	.protected	_ZN7rocprim17ROCPRIM_400000_NS6detail44device_merge_sort_compile_time_verifier_archINS1_11comp_targetILNS1_3genE8ELNS1_11target_archE1030ELNS1_3gpuE2ELNS1_3repE0EEES8_NS1_28merge_sort_block_sort_configILj256ELj4ELNS0_20block_sort_algorithmE0EEENS0_14default_configENS1_37merge_sort_block_sort_config_selectorIhNS0_10empty_typeEEENS1_38merge_sort_block_merge_config_selectorIhSE_EEEEvv ; -- Begin function _ZN7rocprim17ROCPRIM_400000_NS6detail44device_merge_sort_compile_time_verifier_archINS1_11comp_targetILNS1_3genE8ELNS1_11target_archE1030ELNS1_3gpuE2ELNS1_3repE0EEES8_NS1_28merge_sort_block_sort_configILj256ELj4ELNS0_20block_sort_algorithmE0EEENS0_14default_configENS1_37merge_sort_block_sort_config_selectorIhNS0_10empty_typeEEENS1_38merge_sort_block_merge_config_selectorIhSE_EEEEvv
	.globl	_ZN7rocprim17ROCPRIM_400000_NS6detail44device_merge_sort_compile_time_verifier_archINS1_11comp_targetILNS1_3genE8ELNS1_11target_archE1030ELNS1_3gpuE2ELNS1_3repE0EEES8_NS1_28merge_sort_block_sort_configILj256ELj4ELNS0_20block_sort_algorithmE0EEENS0_14default_configENS1_37merge_sort_block_sort_config_selectorIhNS0_10empty_typeEEENS1_38merge_sort_block_merge_config_selectorIhSE_EEEEvv
	.p2align	8
	.type	_ZN7rocprim17ROCPRIM_400000_NS6detail44device_merge_sort_compile_time_verifier_archINS1_11comp_targetILNS1_3genE8ELNS1_11target_archE1030ELNS1_3gpuE2ELNS1_3repE0EEES8_NS1_28merge_sort_block_sort_configILj256ELj4ELNS0_20block_sort_algorithmE0EEENS0_14default_configENS1_37merge_sort_block_sort_config_selectorIhNS0_10empty_typeEEENS1_38merge_sort_block_merge_config_selectorIhSE_EEEEvv,@function
_ZN7rocprim17ROCPRIM_400000_NS6detail44device_merge_sort_compile_time_verifier_archINS1_11comp_targetILNS1_3genE8ELNS1_11target_archE1030ELNS1_3gpuE2ELNS1_3repE0EEES8_NS1_28merge_sort_block_sort_configILj256ELj4ELNS0_20block_sort_algorithmE0EEENS0_14default_configENS1_37merge_sort_block_sort_config_selectorIhNS0_10empty_typeEEENS1_38merge_sort_block_merge_config_selectorIhSE_EEEEvv: ; @_ZN7rocprim17ROCPRIM_400000_NS6detail44device_merge_sort_compile_time_verifier_archINS1_11comp_targetILNS1_3genE8ELNS1_11target_archE1030ELNS1_3gpuE2ELNS1_3repE0EEES8_NS1_28merge_sort_block_sort_configILj256ELj4ELNS0_20block_sort_algorithmE0EEENS0_14default_configENS1_37merge_sort_block_sort_config_selectorIhNS0_10empty_typeEEENS1_38merge_sort_block_merge_config_selectorIhSE_EEEEvv
; %bb.0:
	s_endpgm
	.section	.rodata,"a",@progbits
	.p2align	6, 0x0
	.amdhsa_kernel _ZN7rocprim17ROCPRIM_400000_NS6detail44device_merge_sort_compile_time_verifier_archINS1_11comp_targetILNS1_3genE8ELNS1_11target_archE1030ELNS1_3gpuE2ELNS1_3repE0EEES8_NS1_28merge_sort_block_sort_configILj256ELj4ELNS0_20block_sort_algorithmE0EEENS0_14default_configENS1_37merge_sort_block_sort_config_selectorIhNS0_10empty_typeEEENS1_38merge_sort_block_merge_config_selectorIhSE_EEEEvv
		.amdhsa_group_segment_fixed_size 0
		.amdhsa_private_segment_fixed_size 0
		.amdhsa_kernarg_size 0
		.amdhsa_user_sgpr_count 4
		.amdhsa_user_sgpr_private_segment_buffer 1
		.amdhsa_user_sgpr_dispatch_ptr 0
		.amdhsa_user_sgpr_queue_ptr 0
		.amdhsa_user_sgpr_kernarg_segment_ptr 0
		.amdhsa_user_sgpr_dispatch_id 0
		.amdhsa_user_sgpr_flat_scratch_init 0
		.amdhsa_user_sgpr_kernarg_preload_length 0
		.amdhsa_user_sgpr_kernarg_preload_offset 0
		.amdhsa_user_sgpr_private_segment_size 0
		.amdhsa_uses_dynamic_stack 0
		.amdhsa_system_sgpr_private_segment_wavefront_offset 0
		.amdhsa_system_sgpr_workgroup_id_x 1
		.amdhsa_system_sgpr_workgroup_id_y 0
		.amdhsa_system_sgpr_workgroup_id_z 0
		.amdhsa_system_sgpr_workgroup_info 0
		.amdhsa_system_vgpr_workitem_id 0
		.amdhsa_next_free_vgpr 1
		.amdhsa_next_free_sgpr 0
		.amdhsa_accum_offset 4
		.amdhsa_reserve_vcc 0
		.amdhsa_reserve_flat_scratch 0
		.amdhsa_float_round_mode_32 0
		.amdhsa_float_round_mode_16_64 0
		.amdhsa_float_denorm_mode_32 3
		.amdhsa_float_denorm_mode_16_64 3
		.amdhsa_dx10_clamp 1
		.amdhsa_ieee_mode 1
		.amdhsa_fp16_overflow 0
		.amdhsa_tg_split 0
		.amdhsa_exception_fp_ieee_invalid_op 0
		.amdhsa_exception_fp_denorm_src 0
		.amdhsa_exception_fp_ieee_div_zero 0
		.amdhsa_exception_fp_ieee_overflow 0
		.amdhsa_exception_fp_ieee_underflow 0
		.amdhsa_exception_fp_ieee_inexact 0
		.amdhsa_exception_int_div_zero 0
	.end_amdhsa_kernel
	.section	.text._ZN7rocprim17ROCPRIM_400000_NS6detail44device_merge_sort_compile_time_verifier_archINS1_11comp_targetILNS1_3genE8ELNS1_11target_archE1030ELNS1_3gpuE2ELNS1_3repE0EEES8_NS1_28merge_sort_block_sort_configILj256ELj4ELNS0_20block_sort_algorithmE0EEENS0_14default_configENS1_37merge_sort_block_sort_config_selectorIhNS0_10empty_typeEEENS1_38merge_sort_block_merge_config_selectorIhSE_EEEEvv,"axG",@progbits,_ZN7rocprim17ROCPRIM_400000_NS6detail44device_merge_sort_compile_time_verifier_archINS1_11comp_targetILNS1_3genE8ELNS1_11target_archE1030ELNS1_3gpuE2ELNS1_3repE0EEES8_NS1_28merge_sort_block_sort_configILj256ELj4ELNS0_20block_sort_algorithmE0EEENS0_14default_configENS1_37merge_sort_block_sort_config_selectorIhNS0_10empty_typeEEENS1_38merge_sort_block_merge_config_selectorIhSE_EEEEvv,comdat
.Lfunc_end245:
	.size	_ZN7rocprim17ROCPRIM_400000_NS6detail44device_merge_sort_compile_time_verifier_archINS1_11comp_targetILNS1_3genE8ELNS1_11target_archE1030ELNS1_3gpuE2ELNS1_3repE0EEES8_NS1_28merge_sort_block_sort_configILj256ELj4ELNS0_20block_sort_algorithmE0EEENS0_14default_configENS1_37merge_sort_block_sort_config_selectorIhNS0_10empty_typeEEENS1_38merge_sort_block_merge_config_selectorIhSE_EEEEvv, .Lfunc_end245-_ZN7rocprim17ROCPRIM_400000_NS6detail44device_merge_sort_compile_time_verifier_archINS1_11comp_targetILNS1_3genE8ELNS1_11target_archE1030ELNS1_3gpuE2ELNS1_3repE0EEES8_NS1_28merge_sort_block_sort_configILj256ELj4ELNS0_20block_sort_algorithmE0EEENS0_14default_configENS1_37merge_sort_block_sort_config_selectorIhNS0_10empty_typeEEENS1_38merge_sort_block_merge_config_selectorIhSE_EEEEvv
                                        ; -- End function
	.section	.AMDGPU.csdata,"",@progbits
; Kernel info:
; codeLenInByte = 4
; NumSgprs: 4
; NumVgprs: 0
; NumAgprs: 0
; TotalNumVgprs: 0
; ScratchSize: 0
; MemoryBound: 0
; FloatMode: 240
; IeeeMode: 1
; LDSByteSize: 0 bytes/workgroup (compile time only)
; SGPRBlocks: 0
; VGPRBlocks: 0
; NumSGPRsForWavesPerEU: 4
; NumVGPRsForWavesPerEU: 1
; AccumOffset: 4
; Occupancy: 8
; WaveLimiterHint : 0
; COMPUTE_PGM_RSRC2:SCRATCH_EN: 0
; COMPUTE_PGM_RSRC2:USER_SGPR: 4
; COMPUTE_PGM_RSRC2:TRAP_HANDLER: 0
; COMPUTE_PGM_RSRC2:TGID_X_EN: 1
; COMPUTE_PGM_RSRC2:TGID_Y_EN: 0
; COMPUTE_PGM_RSRC2:TGID_Z_EN: 0
; COMPUTE_PGM_RSRC2:TIDIG_COMP_CNT: 0
; COMPUTE_PGM_RSRC3_GFX90A:ACCUM_OFFSET: 0
; COMPUTE_PGM_RSRC3_GFX90A:TG_SPLIT: 0
	.section	.text._ZN7rocprim17ROCPRIM_400000_NS6detail17trampoline_kernelINS0_14default_configENS1_38merge_sort_block_merge_config_selectorIhNS0_10empty_typeEEEZZNS1_27merge_sort_block_merge_implIS3_PhPS5_jNS1_19radix_merge_compareILb0ELb0EhNS0_19identity_decomposerEEEEE10hipError_tT0_T1_T2_jT3_P12ihipStream_tbPNSt15iterator_traitsISE_E10value_typeEPNSK_ISF_E10value_typeEPSG_NS1_7vsmem_tEENKUlT_SE_SF_SG_E_clIS8_S8_S9_S9_EESD_ST_SE_SF_SG_EUlST_E_NS1_11comp_targetILNS1_3genE0ELNS1_11target_archE4294967295ELNS1_3gpuE0ELNS1_3repE0EEENS1_48merge_mergepath_partition_config_static_selectorELNS0_4arch9wavefront6targetE1EEEvSF_,"axG",@progbits,_ZN7rocprim17ROCPRIM_400000_NS6detail17trampoline_kernelINS0_14default_configENS1_38merge_sort_block_merge_config_selectorIhNS0_10empty_typeEEEZZNS1_27merge_sort_block_merge_implIS3_PhPS5_jNS1_19radix_merge_compareILb0ELb0EhNS0_19identity_decomposerEEEEE10hipError_tT0_T1_T2_jT3_P12ihipStream_tbPNSt15iterator_traitsISE_E10value_typeEPNSK_ISF_E10value_typeEPSG_NS1_7vsmem_tEENKUlT_SE_SF_SG_E_clIS8_S8_S9_S9_EESD_ST_SE_SF_SG_EUlST_E_NS1_11comp_targetILNS1_3genE0ELNS1_11target_archE4294967295ELNS1_3gpuE0ELNS1_3repE0EEENS1_48merge_mergepath_partition_config_static_selectorELNS0_4arch9wavefront6targetE1EEEvSF_,comdat
	.protected	_ZN7rocprim17ROCPRIM_400000_NS6detail17trampoline_kernelINS0_14default_configENS1_38merge_sort_block_merge_config_selectorIhNS0_10empty_typeEEEZZNS1_27merge_sort_block_merge_implIS3_PhPS5_jNS1_19radix_merge_compareILb0ELb0EhNS0_19identity_decomposerEEEEE10hipError_tT0_T1_T2_jT3_P12ihipStream_tbPNSt15iterator_traitsISE_E10value_typeEPNSK_ISF_E10value_typeEPSG_NS1_7vsmem_tEENKUlT_SE_SF_SG_E_clIS8_S8_S9_S9_EESD_ST_SE_SF_SG_EUlST_E_NS1_11comp_targetILNS1_3genE0ELNS1_11target_archE4294967295ELNS1_3gpuE0ELNS1_3repE0EEENS1_48merge_mergepath_partition_config_static_selectorELNS0_4arch9wavefront6targetE1EEEvSF_ ; -- Begin function _ZN7rocprim17ROCPRIM_400000_NS6detail17trampoline_kernelINS0_14default_configENS1_38merge_sort_block_merge_config_selectorIhNS0_10empty_typeEEEZZNS1_27merge_sort_block_merge_implIS3_PhPS5_jNS1_19radix_merge_compareILb0ELb0EhNS0_19identity_decomposerEEEEE10hipError_tT0_T1_T2_jT3_P12ihipStream_tbPNSt15iterator_traitsISE_E10value_typeEPNSK_ISF_E10value_typeEPSG_NS1_7vsmem_tEENKUlT_SE_SF_SG_E_clIS8_S8_S9_S9_EESD_ST_SE_SF_SG_EUlST_E_NS1_11comp_targetILNS1_3genE0ELNS1_11target_archE4294967295ELNS1_3gpuE0ELNS1_3repE0EEENS1_48merge_mergepath_partition_config_static_selectorELNS0_4arch9wavefront6targetE1EEEvSF_
	.globl	_ZN7rocprim17ROCPRIM_400000_NS6detail17trampoline_kernelINS0_14default_configENS1_38merge_sort_block_merge_config_selectorIhNS0_10empty_typeEEEZZNS1_27merge_sort_block_merge_implIS3_PhPS5_jNS1_19radix_merge_compareILb0ELb0EhNS0_19identity_decomposerEEEEE10hipError_tT0_T1_T2_jT3_P12ihipStream_tbPNSt15iterator_traitsISE_E10value_typeEPNSK_ISF_E10value_typeEPSG_NS1_7vsmem_tEENKUlT_SE_SF_SG_E_clIS8_S8_S9_S9_EESD_ST_SE_SF_SG_EUlST_E_NS1_11comp_targetILNS1_3genE0ELNS1_11target_archE4294967295ELNS1_3gpuE0ELNS1_3repE0EEENS1_48merge_mergepath_partition_config_static_selectorELNS0_4arch9wavefront6targetE1EEEvSF_
	.p2align	8
	.type	_ZN7rocprim17ROCPRIM_400000_NS6detail17trampoline_kernelINS0_14default_configENS1_38merge_sort_block_merge_config_selectorIhNS0_10empty_typeEEEZZNS1_27merge_sort_block_merge_implIS3_PhPS5_jNS1_19radix_merge_compareILb0ELb0EhNS0_19identity_decomposerEEEEE10hipError_tT0_T1_T2_jT3_P12ihipStream_tbPNSt15iterator_traitsISE_E10value_typeEPNSK_ISF_E10value_typeEPSG_NS1_7vsmem_tEENKUlT_SE_SF_SG_E_clIS8_S8_S9_S9_EESD_ST_SE_SF_SG_EUlST_E_NS1_11comp_targetILNS1_3genE0ELNS1_11target_archE4294967295ELNS1_3gpuE0ELNS1_3repE0EEENS1_48merge_mergepath_partition_config_static_selectorELNS0_4arch9wavefront6targetE1EEEvSF_,@function
_ZN7rocprim17ROCPRIM_400000_NS6detail17trampoline_kernelINS0_14default_configENS1_38merge_sort_block_merge_config_selectorIhNS0_10empty_typeEEEZZNS1_27merge_sort_block_merge_implIS3_PhPS5_jNS1_19radix_merge_compareILb0ELb0EhNS0_19identity_decomposerEEEEE10hipError_tT0_T1_T2_jT3_P12ihipStream_tbPNSt15iterator_traitsISE_E10value_typeEPNSK_ISF_E10value_typeEPSG_NS1_7vsmem_tEENKUlT_SE_SF_SG_E_clIS8_S8_S9_S9_EESD_ST_SE_SF_SG_EUlST_E_NS1_11comp_targetILNS1_3genE0ELNS1_11target_archE4294967295ELNS1_3gpuE0ELNS1_3repE0EEENS1_48merge_mergepath_partition_config_static_selectorELNS0_4arch9wavefront6targetE1EEEvSF_: ; @_ZN7rocprim17ROCPRIM_400000_NS6detail17trampoline_kernelINS0_14default_configENS1_38merge_sort_block_merge_config_selectorIhNS0_10empty_typeEEEZZNS1_27merge_sort_block_merge_implIS3_PhPS5_jNS1_19radix_merge_compareILb0ELb0EhNS0_19identity_decomposerEEEEE10hipError_tT0_T1_T2_jT3_P12ihipStream_tbPNSt15iterator_traitsISE_E10value_typeEPNSK_ISF_E10value_typeEPSG_NS1_7vsmem_tEENKUlT_SE_SF_SG_E_clIS8_S8_S9_S9_EESD_ST_SE_SF_SG_EUlST_E_NS1_11comp_targetILNS1_3genE0ELNS1_11target_archE4294967295ELNS1_3gpuE0ELNS1_3repE0EEENS1_48merge_mergepath_partition_config_static_selectorELNS0_4arch9wavefront6targetE1EEEvSF_
; %bb.0:
	.section	.rodata,"a",@progbits
	.p2align	6, 0x0
	.amdhsa_kernel _ZN7rocprim17ROCPRIM_400000_NS6detail17trampoline_kernelINS0_14default_configENS1_38merge_sort_block_merge_config_selectorIhNS0_10empty_typeEEEZZNS1_27merge_sort_block_merge_implIS3_PhPS5_jNS1_19radix_merge_compareILb0ELb0EhNS0_19identity_decomposerEEEEE10hipError_tT0_T1_T2_jT3_P12ihipStream_tbPNSt15iterator_traitsISE_E10value_typeEPNSK_ISF_E10value_typeEPSG_NS1_7vsmem_tEENKUlT_SE_SF_SG_E_clIS8_S8_S9_S9_EESD_ST_SE_SF_SG_EUlST_E_NS1_11comp_targetILNS1_3genE0ELNS1_11target_archE4294967295ELNS1_3gpuE0ELNS1_3repE0EEENS1_48merge_mergepath_partition_config_static_selectorELNS0_4arch9wavefront6targetE1EEEvSF_
		.amdhsa_group_segment_fixed_size 0
		.amdhsa_private_segment_fixed_size 0
		.amdhsa_kernarg_size 40
		.amdhsa_user_sgpr_count 6
		.amdhsa_user_sgpr_private_segment_buffer 1
		.amdhsa_user_sgpr_dispatch_ptr 0
		.amdhsa_user_sgpr_queue_ptr 0
		.amdhsa_user_sgpr_kernarg_segment_ptr 1
		.amdhsa_user_sgpr_dispatch_id 0
		.amdhsa_user_sgpr_flat_scratch_init 0
		.amdhsa_user_sgpr_kernarg_preload_length 0
		.amdhsa_user_sgpr_kernarg_preload_offset 0
		.amdhsa_user_sgpr_private_segment_size 0
		.amdhsa_uses_dynamic_stack 0
		.amdhsa_system_sgpr_private_segment_wavefront_offset 0
		.amdhsa_system_sgpr_workgroup_id_x 1
		.amdhsa_system_sgpr_workgroup_id_y 0
		.amdhsa_system_sgpr_workgroup_id_z 0
		.amdhsa_system_sgpr_workgroup_info 0
		.amdhsa_system_vgpr_workitem_id 0
		.amdhsa_next_free_vgpr 1
		.amdhsa_next_free_sgpr 0
		.amdhsa_accum_offset 4
		.amdhsa_reserve_vcc 0
		.amdhsa_reserve_flat_scratch 0
		.amdhsa_float_round_mode_32 0
		.amdhsa_float_round_mode_16_64 0
		.amdhsa_float_denorm_mode_32 3
		.amdhsa_float_denorm_mode_16_64 3
		.amdhsa_dx10_clamp 1
		.amdhsa_ieee_mode 1
		.amdhsa_fp16_overflow 0
		.amdhsa_tg_split 0
		.amdhsa_exception_fp_ieee_invalid_op 0
		.amdhsa_exception_fp_denorm_src 0
		.amdhsa_exception_fp_ieee_div_zero 0
		.amdhsa_exception_fp_ieee_overflow 0
		.amdhsa_exception_fp_ieee_underflow 0
		.amdhsa_exception_fp_ieee_inexact 0
		.amdhsa_exception_int_div_zero 0
	.end_amdhsa_kernel
	.section	.text._ZN7rocprim17ROCPRIM_400000_NS6detail17trampoline_kernelINS0_14default_configENS1_38merge_sort_block_merge_config_selectorIhNS0_10empty_typeEEEZZNS1_27merge_sort_block_merge_implIS3_PhPS5_jNS1_19radix_merge_compareILb0ELb0EhNS0_19identity_decomposerEEEEE10hipError_tT0_T1_T2_jT3_P12ihipStream_tbPNSt15iterator_traitsISE_E10value_typeEPNSK_ISF_E10value_typeEPSG_NS1_7vsmem_tEENKUlT_SE_SF_SG_E_clIS8_S8_S9_S9_EESD_ST_SE_SF_SG_EUlST_E_NS1_11comp_targetILNS1_3genE0ELNS1_11target_archE4294967295ELNS1_3gpuE0ELNS1_3repE0EEENS1_48merge_mergepath_partition_config_static_selectorELNS0_4arch9wavefront6targetE1EEEvSF_,"axG",@progbits,_ZN7rocprim17ROCPRIM_400000_NS6detail17trampoline_kernelINS0_14default_configENS1_38merge_sort_block_merge_config_selectorIhNS0_10empty_typeEEEZZNS1_27merge_sort_block_merge_implIS3_PhPS5_jNS1_19radix_merge_compareILb0ELb0EhNS0_19identity_decomposerEEEEE10hipError_tT0_T1_T2_jT3_P12ihipStream_tbPNSt15iterator_traitsISE_E10value_typeEPNSK_ISF_E10value_typeEPSG_NS1_7vsmem_tEENKUlT_SE_SF_SG_E_clIS8_S8_S9_S9_EESD_ST_SE_SF_SG_EUlST_E_NS1_11comp_targetILNS1_3genE0ELNS1_11target_archE4294967295ELNS1_3gpuE0ELNS1_3repE0EEENS1_48merge_mergepath_partition_config_static_selectorELNS0_4arch9wavefront6targetE1EEEvSF_,comdat
.Lfunc_end246:
	.size	_ZN7rocprim17ROCPRIM_400000_NS6detail17trampoline_kernelINS0_14default_configENS1_38merge_sort_block_merge_config_selectorIhNS0_10empty_typeEEEZZNS1_27merge_sort_block_merge_implIS3_PhPS5_jNS1_19radix_merge_compareILb0ELb0EhNS0_19identity_decomposerEEEEE10hipError_tT0_T1_T2_jT3_P12ihipStream_tbPNSt15iterator_traitsISE_E10value_typeEPNSK_ISF_E10value_typeEPSG_NS1_7vsmem_tEENKUlT_SE_SF_SG_E_clIS8_S8_S9_S9_EESD_ST_SE_SF_SG_EUlST_E_NS1_11comp_targetILNS1_3genE0ELNS1_11target_archE4294967295ELNS1_3gpuE0ELNS1_3repE0EEENS1_48merge_mergepath_partition_config_static_selectorELNS0_4arch9wavefront6targetE1EEEvSF_, .Lfunc_end246-_ZN7rocprim17ROCPRIM_400000_NS6detail17trampoline_kernelINS0_14default_configENS1_38merge_sort_block_merge_config_selectorIhNS0_10empty_typeEEEZZNS1_27merge_sort_block_merge_implIS3_PhPS5_jNS1_19radix_merge_compareILb0ELb0EhNS0_19identity_decomposerEEEEE10hipError_tT0_T1_T2_jT3_P12ihipStream_tbPNSt15iterator_traitsISE_E10value_typeEPNSK_ISF_E10value_typeEPSG_NS1_7vsmem_tEENKUlT_SE_SF_SG_E_clIS8_S8_S9_S9_EESD_ST_SE_SF_SG_EUlST_E_NS1_11comp_targetILNS1_3genE0ELNS1_11target_archE4294967295ELNS1_3gpuE0ELNS1_3repE0EEENS1_48merge_mergepath_partition_config_static_selectorELNS0_4arch9wavefront6targetE1EEEvSF_
                                        ; -- End function
	.section	.AMDGPU.csdata,"",@progbits
; Kernel info:
; codeLenInByte = 0
; NumSgprs: 4
; NumVgprs: 0
; NumAgprs: 0
; TotalNumVgprs: 0
; ScratchSize: 0
; MemoryBound: 0
; FloatMode: 240
; IeeeMode: 1
; LDSByteSize: 0 bytes/workgroup (compile time only)
; SGPRBlocks: 0
; VGPRBlocks: 0
; NumSGPRsForWavesPerEU: 4
; NumVGPRsForWavesPerEU: 1
; AccumOffset: 4
; Occupancy: 8
; WaveLimiterHint : 0
; COMPUTE_PGM_RSRC2:SCRATCH_EN: 0
; COMPUTE_PGM_RSRC2:USER_SGPR: 6
; COMPUTE_PGM_RSRC2:TRAP_HANDLER: 0
; COMPUTE_PGM_RSRC2:TGID_X_EN: 1
; COMPUTE_PGM_RSRC2:TGID_Y_EN: 0
; COMPUTE_PGM_RSRC2:TGID_Z_EN: 0
; COMPUTE_PGM_RSRC2:TIDIG_COMP_CNT: 0
; COMPUTE_PGM_RSRC3_GFX90A:ACCUM_OFFSET: 0
; COMPUTE_PGM_RSRC3_GFX90A:TG_SPLIT: 0
	.section	.text._ZN7rocprim17ROCPRIM_400000_NS6detail17trampoline_kernelINS0_14default_configENS1_38merge_sort_block_merge_config_selectorIhNS0_10empty_typeEEEZZNS1_27merge_sort_block_merge_implIS3_PhPS5_jNS1_19radix_merge_compareILb0ELb0EhNS0_19identity_decomposerEEEEE10hipError_tT0_T1_T2_jT3_P12ihipStream_tbPNSt15iterator_traitsISE_E10value_typeEPNSK_ISF_E10value_typeEPSG_NS1_7vsmem_tEENKUlT_SE_SF_SG_E_clIS8_S8_S9_S9_EESD_ST_SE_SF_SG_EUlST_E_NS1_11comp_targetILNS1_3genE10ELNS1_11target_archE1201ELNS1_3gpuE5ELNS1_3repE0EEENS1_48merge_mergepath_partition_config_static_selectorELNS0_4arch9wavefront6targetE1EEEvSF_,"axG",@progbits,_ZN7rocprim17ROCPRIM_400000_NS6detail17trampoline_kernelINS0_14default_configENS1_38merge_sort_block_merge_config_selectorIhNS0_10empty_typeEEEZZNS1_27merge_sort_block_merge_implIS3_PhPS5_jNS1_19radix_merge_compareILb0ELb0EhNS0_19identity_decomposerEEEEE10hipError_tT0_T1_T2_jT3_P12ihipStream_tbPNSt15iterator_traitsISE_E10value_typeEPNSK_ISF_E10value_typeEPSG_NS1_7vsmem_tEENKUlT_SE_SF_SG_E_clIS8_S8_S9_S9_EESD_ST_SE_SF_SG_EUlST_E_NS1_11comp_targetILNS1_3genE10ELNS1_11target_archE1201ELNS1_3gpuE5ELNS1_3repE0EEENS1_48merge_mergepath_partition_config_static_selectorELNS0_4arch9wavefront6targetE1EEEvSF_,comdat
	.protected	_ZN7rocprim17ROCPRIM_400000_NS6detail17trampoline_kernelINS0_14default_configENS1_38merge_sort_block_merge_config_selectorIhNS0_10empty_typeEEEZZNS1_27merge_sort_block_merge_implIS3_PhPS5_jNS1_19radix_merge_compareILb0ELb0EhNS0_19identity_decomposerEEEEE10hipError_tT0_T1_T2_jT3_P12ihipStream_tbPNSt15iterator_traitsISE_E10value_typeEPNSK_ISF_E10value_typeEPSG_NS1_7vsmem_tEENKUlT_SE_SF_SG_E_clIS8_S8_S9_S9_EESD_ST_SE_SF_SG_EUlST_E_NS1_11comp_targetILNS1_3genE10ELNS1_11target_archE1201ELNS1_3gpuE5ELNS1_3repE0EEENS1_48merge_mergepath_partition_config_static_selectorELNS0_4arch9wavefront6targetE1EEEvSF_ ; -- Begin function _ZN7rocprim17ROCPRIM_400000_NS6detail17trampoline_kernelINS0_14default_configENS1_38merge_sort_block_merge_config_selectorIhNS0_10empty_typeEEEZZNS1_27merge_sort_block_merge_implIS3_PhPS5_jNS1_19radix_merge_compareILb0ELb0EhNS0_19identity_decomposerEEEEE10hipError_tT0_T1_T2_jT3_P12ihipStream_tbPNSt15iterator_traitsISE_E10value_typeEPNSK_ISF_E10value_typeEPSG_NS1_7vsmem_tEENKUlT_SE_SF_SG_E_clIS8_S8_S9_S9_EESD_ST_SE_SF_SG_EUlST_E_NS1_11comp_targetILNS1_3genE10ELNS1_11target_archE1201ELNS1_3gpuE5ELNS1_3repE0EEENS1_48merge_mergepath_partition_config_static_selectorELNS0_4arch9wavefront6targetE1EEEvSF_
	.globl	_ZN7rocprim17ROCPRIM_400000_NS6detail17trampoline_kernelINS0_14default_configENS1_38merge_sort_block_merge_config_selectorIhNS0_10empty_typeEEEZZNS1_27merge_sort_block_merge_implIS3_PhPS5_jNS1_19radix_merge_compareILb0ELb0EhNS0_19identity_decomposerEEEEE10hipError_tT0_T1_T2_jT3_P12ihipStream_tbPNSt15iterator_traitsISE_E10value_typeEPNSK_ISF_E10value_typeEPSG_NS1_7vsmem_tEENKUlT_SE_SF_SG_E_clIS8_S8_S9_S9_EESD_ST_SE_SF_SG_EUlST_E_NS1_11comp_targetILNS1_3genE10ELNS1_11target_archE1201ELNS1_3gpuE5ELNS1_3repE0EEENS1_48merge_mergepath_partition_config_static_selectorELNS0_4arch9wavefront6targetE1EEEvSF_
	.p2align	8
	.type	_ZN7rocprim17ROCPRIM_400000_NS6detail17trampoline_kernelINS0_14default_configENS1_38merge_sort_block_merge_config_selectorIhNS0_10empty_typeEEEZZNS1_27merge_sort_block_merge_implIS3_PhPS5_jNS1_19radix_merge_compareILb0ELb0EhNS0_19identity_decomposerEEEEE10hipError_tT0_T1_T2_jT3_P12ihipStream_tbPNSt15iterator_traitsISE_E10value_typeEPNSK_ISF_E10value_typeEPSG_NS1_7vsmem_tEENKUlT_SE_SF_SG_E_clIS8_S8_S9_S9_EESD_ST_SE_SF_SG_EUlST_E_NS1_11comp_targetILNS1_3genE10ELNS1_11target_archE1201ELNS1_3gpuE5ELNS1_3repE0EEENS1_48merge_mergepath_partition_config_static_selectorELNS0_4arch9wavefront6targetE1EEEvSF_,@function
_ZN7rocprim17ROCPRIM_400000_NS6detail17trampoline_kernelINS0_14default_configENS1_38merge_sort_block_merge_config_selectorIhNS0_10empty_typeEEEZZNS1_27merge_sort_block_merge_implIS3_PhPS5_jNS1_19radix_merge_compareILb0ELb0EhNS0_19identity_decomposerEEEEE10hipError_tT0_T1_T2_jT3_P12ihipStream_tbPNSt15iterator_traitsISE_E10value_typeEPNSK_ISF_E10value_typeEPSG_NS1_7vsmem_tEENKUlT_SE_SF_SG_E_clIS8_S8_S9_S9_EESD_ST_SE_SF_SG_EUlST_E_NS1_11comp_targetILNS1_3genE10ELNS1_11target_archE1201ELNS1_3gpuE5ELNS1_3repE0EEENS1_48merge_mergepath_partition_config_static_selectorELNS0_4arch9wavefront6targetE1EEEvSF_: ; @_ZN7rocprim17ROCPRIM_400000_NS6detail17trampoline_kernelINS0_14default_configENS1_38merge_sort_block_merge_config_selectorIhNS0_10empty_typeEEEZZNS1_27merge_sort_block_merge_implIS3_PhPS5_jNS1_19radix_merge_compareILb0ELb0EhNS0_19identity_decomposerEEEEE10hipError_tT0_T1_T2_jT3_P12ihipStream_tbPNSt15iterator_traitsISE_E10value_typeEPNSK_ISF_E10value_typeEPSG_NS1_7vsmem_tEENKUlT_SE_SF_SG_E_clIS8_S8_S9_S9_EESD_ST_SE_SF_SG_EUlST_E_NS1_11comp_targetILNS1_3genE10ELNS1_11target_archE1201ELNS1_3gpuE5ELNS1_3repE0EEENS1_48merge_mergepath_partition_config_static_selectorELNS0_4arch9wavefront6targetE1EEEvSF_
; %bb.0:
	.section	.rodata,"a",@progbits
	.p2align	6, 0x0
	.amdhsa_kernel _ZN7rocprim17ROCPRIM_400000_NS6detail17trampoline_kernelINS0_14default_configENS1_38merge_sort_block_merge_config_selectorIhNS0_10empty_typeEEEZZNS1_27merge_sort_block_merge_implIS3_PhPS5_jNS1_19radix_merge_compareILb0ELb0EhNS0_19identity_decomposerEEEEE10hipError_tT0_T1_T2_jT3_P12ihipStream_tbPNSt15iterator_traitsISE_E10value_typeEPNSK_ISF_E10value_typeEPSG_NS1_7vsmem_tEENKUlT_SE_SF_SG_E_clIS8_S8_S9_S9_EESD_ST_SE_SF_SG_EUlST_E_NS1_11comp_targetILNS1_3genE10ELNS1_11target_archE1201ELNS1_3gpuE5ELNS1_3repE0EEENS1_48merge_mergepath_partition_config_static_selectorELNS0_4arch9wavefront6targetE1EEEvSF_
		.amdhsa_group_segment_fixed_size 0
		.amdhsa_private_segment_fixed_size 0
		.amdhsa_kernarg_size 40
		.amdhsa_user_sgpr_count 6
		.amdhsa_user_sgpr_private_segment_buffer 1
		.amdhsa_user_sgpr_dispatch_ptr 0
		.amdhsa_user_sgpr_queue_ptr 0
		.amdhsa_user_sgpr_kernarg_segment_ptr 1
		.amdhsa_user_sgpr_dispatch_id 0
		.amdhsa_user_sgpr_flat_scratch_init 0
		.amdhsa_user_sgpr_kernarg_preload_length 0
		.amdhsa_user_sgpr_kernarg_preload_offset 0
		.amdhsa_user_sgpr_private_segment_size 0
		.amdhsa_uses_dynamic_stack 0
		.amdhsa_system_sgpr_private_segment_wavefront_offset 0
		.amdhsa_system_sgpr_workgroup_id_x 1
		.amdhsa_system_sgpr_workgroup_id_y 0
		.amdhsa_system_sgpr_workgroup_id_z 0
		.amdhsa_system_sgpr_workgroup_info 0
		.amdhsa_system_vgpr_workitem_id 0
		.amdhsa_next_free_vgpr 1
		.amdhsa_next_free_sgpr 0
		.amdhsa_accum_offset 4
		.amdhsa_reserve_vcc 0
		.amdhsa_reserve_flat_scratch 0
		.amdhsa_float_round_mode_32 0
		.amdhsa_float_round_mode_16_64 0
		.amdhsa_float_denorm_mode_32 3
		.amdhsa_float_denorm_mode_16_64 3
		.amdhsa_dx10_clamp 1
		.amdhsa_ieee_mode 1
		.amdhsa_fp16_overflow 0
		.amdhsa_tg_split 0
		.amdhsa_exception_fp_ieee_invalid_op 0
		.amdhsa_exception_fp_denorm_src 0
		.amdhsa_exception_fp_ieee_div_zero 0
		.amdhsa_exception_fp_ieee_overflow 0
		.amdhsa_exception_fp_ieee_underflow 0
		.amdhsa_exception_fp_ieee_inexact 0
		.amdhsa_exception_int_div_zero 0
	.end_amdhsa_kernel
	.section	.text._ZN7rocprim17ROCPRIM_400000_NS6detail17trampoline_kernelINS0_14default_configENS1_38merge_sort_block_merge_config_selectorIhNS0_10empty_typeEEEZZNS1_27merge_sort_block_merge_implIS3_PhPS5_jNS1_19radix_merge_compareILb0ELb0EhNS0_19identity_decomposerEEEEE10hipError_tT0_T1_T2_jT3_P12ihipStream_tbPNSt15iterator_traitsISE_E10value_typeEPNSK_ISF_E10value_typeEPSG_NS1_7vsmem_tEENKUlT_SE_SF_SG_E_clIS8_S8_S9_S9_EESD_ST_SE_SF_SG_EUlST_E_NS1_11comp_targetILNS1_3genE10ELNS1_11target_archE1201ELNS1_3gpuE5ELNS1_3repE0EEENS1_48merge_mergepath_partition_config_static_selectorELNS0_4arch9wavefront6targetE1EEEvSF_,"axG",@progbits,_ZN7rocprim17ROCPRIM_400000_NS6detail17trampoline_kernelINS0_14default_configENS1_38merge_sort_block_merge_config_selectorIhNS0_10empty_typeEEEZZNS1_27merge_sort_block_merge_implIS3_PhPS5_jNS1_19radix_merge_compareILb0ELb0EhNS0_19identity_decomposerEEEEE10hipError_tT0_T1_T2_jT3_P12ihipStream_tbPNSt15iterator_traitsISE_E10value_typeEPNSK_ISF_E10value_typeEPSG_NS1_7vsmem_tEENKUlT_SE_SF_SG_E_clIS8_S8_S9_S9_EESD_ST_SE_SF_SG_EUlST_E_NS1_11comp_targetILNS1_3genE10ELNS1_11target_archE1201ELNS1_3gpuE5ELNS1_3repE0EEENS1_48merge_mergepath_partition_config_static_selectorELNS0_4arch9wavefront6targetE1EEEvSF_,comdat
.Lfunc_end247:
	.size	_ZN7rocprim17ROCPRIM_400000_NS6detail17trampoline_kernelINS0_14default_configENS1_38merge_sort_block_merge_config_selectorIhNS0_10empty_typeEEEZZNS1_27merge_sort_block_merge_implIS3_PhPS5_jNS1_19radix_merge_compareILb0ELb0EhNS0_19identity_decomposerEEEEE10hipError_tT0_T1_T2_jT3_P12ihipStream_tbPNSt15iterator_traitsISE_E10value_typeEPNSK_ISF_E10value_typeEPSG_NS1_7vsmem_tEENKUlT_SE_SF_SG_E_clIS8_S8_S9_S9_EESD_ST_SE_SF_SG_EUlST_E_NS1_11comp_targetILNS1_3genE10ELNS1_11target_archE1201ELNS1_3gpuE5ELNS1_3repE0EEENS1_48merge_mergepath_partition_config_static_selectorELNS0_4arch9wavefront6targetE1EEEvSF_, .Lfunc_end247-_ZN7rocprim17ROCPRIM_400000_NS6detail17trampoline_kernelINS0_14default_configENS1_38merge_sort_block_merge_config_selectorIhNS0_10empty_typeEEEZZNS1_27merge_sort_block_merge_implIS3_PhPS5_jNS1_19radix_merge_compareILb0ELb0EhNS0_19identity_decomposerEEEEE10hipError_tT0_T1_T2_jT3_P12ihipStream_tbPNSt15iterator_traitsISE_E10value_typeEPNSK_ISF_E10value_typeEPSG_NS1_7vsmem_tEENKUlT_SE_SF_SG_E_clIS8_S8_S9_S9_EESD_ST_SE_SF_SG_EUlST_E_NS1_11comp_targetILNS1_3genE10ELNS1_11target_archE1201ELNS1_3gpuE5ELNS1_3repE0EEENS1_48merge_mergepath_partition_config_static_selectorELNS0_4arch9wavefront6targetE1EEEvSF_
                                        ; -- End function
	.section	.AMDGPU.csdata,"",@progbits
; Kernel info:
; codeLenInByte = 0
; NumSgprs: 4
; NumVgprs: 0
; NumAgprs: 0
; TotalNumVgprs: 0
; ScratchSize: 0
; MemoryBound: 0
; FloatMode: 240
; IeeeMode: 1
; LDSByteSize: 0 bytes/workgroup (compile time only)
; SGPRBlocks: 0
; VGPRBlocks: 0
; NumSGPRsForWavesPerEU: 4
; NumVGPRsForWavesPerEU: 1
; AccumOffset: 4
; Occupancy: 8
; WaveLimiterHint : 0
; COMPUTE_PGM_RSRC2:SCRATCH_EN: 0
; COMPUTE_PGM_RSRC2:USER_SGPR: 6
; COMPUTE_PGM_RSRC2:TRAP_HANDLER: 0
; COMPUTE_PGM_RSRC2:TGID_X_EN: 1
; COMPUTE_PGM_RSRC2:TGID_Y_EN: 0
; COMPUTE_PGM_RSRC2:TGID_Z_EN: 0
; COMPUTE_PGM_RSRC2:TIDIG_COMP_CNT: 0
; COMPUTE_PGM_RSRC3_GFX90A:ACCUM_OFFSET: 0
; COMPUTE_PGM_RSRC3_GFX90A:TG_SPLIT: 0
	.section	.text._ZN7rocprim17ROCPRIM_400000_NS6detail17trampoline_kernelINS0_14default_configENS1_38merge_sort_block_merge_config_selectorIhNS0_10empty_typeEEEZZNS1_27merge_sort_block_merge_implIS3_PhPS5_jNS1_19radix_merge_compareILb0ELb0EhNS0_19identity_decomposerEEEEE10hipError_tT0_T1_T2_jT3_P12ihipStream_tbPNSt15iterator_traitsISE_E10value_typeEPNSK_ISF_E10value_typeEPSG_NS1_7vsmem_tEENKUlT_SE_SF_SG_E_clIS8_S8_S9_S9_EESD_ST_SE_SF_SG_EUlST_E_NS1_11comp_targetILNS1_3genE5ELNS1_11target_archE942ELNS1_3gpuE9ELNS1_3repE0EEENS1_48merge_mergepath_partition_config_static_selectorELNS0_4arch9wavefront6targetE1EEEvSF_,"axG",@progbits,_ZN7rocprim17ROCPRIM_400000_NS6detail17trampoline_kernelINS0_14default_configENS1_38merge_sort_block_merge_config_selectorIhNS0_10empty_typeEEEZZNS1_27merge_sort_block_merge_implIS3_PhPS5_jNS1_19radix_merge_compareILb0ELb0EhNS0_19identity_decomposerEEEEE10hipError_tT0_T1_T2_jT3_P12ihipStream_tbPNSt15iterator_traitsISE_E10value_typeEPNSK_ISF_E10value_typeEPSG_NS1_7vsmem_tEENKUlT_SE_SF_SG_E_clIS8_S8_S9_S9_EESD_ST_SE_SF_SG_EUlST_E_NS1_11comp_targetILNS1_3genE5ELNS1_11target_archE942ELNS1_3gpuE9ELNS1_3repE0EEENS1_48merge_mergepath_partition_config_static_selectorELNS0_4arch9wavefront6targetE1EEEvSF_,comdat
	.protected	_ZN7rocprim17ROCPRIM_400000_NS6detail17trampoline_kernelINS0_14default_configENS1_38merge_sort_block_merge_config_selectorIhNS0_10empty_typeEEEZZNS1_27merge_sort_block_merge_implIS3_PhPS5_jNS1_19radix_merge_compareILb0ELb0EhNS0_19identity_decomposerEEEEE10hipError_tT0_T1_T2_jT3_P12ihipStream_tbPNSt15iterator_traitsISE_E10value_typeEPNSK_ISF_E10value_typeEPSG_NS1_7vsmem_tEENKUlT_SE_SF_SG_E_clIS8_S8_S9_S9_EESD_ST_SE_SF_SG_EUlST_E_NS1_11comp_targetILNS1_3genE5ELNS1_11target_archE942ELNS1_3gpuE9ELNS1_3repE0EEENS1_48merge_mergepath_partition_config_static_selectorELNS0_4arch9wavefront6targetE1EEEvSF_ ; -- Begin function _ZN7rocprim17ROCPRIM_400000_NS6detail17trampoline_kernelINS0_14default_configENS1_38merge_sort_block_merge_config_selectorIhNS0_10empty_typeEEEZZNS1_27merge_sort_block_merge_implIS3_PhPS5_jNS1_19radix_merge_compareILb0ELb0EhNS0_19identity_decomposerEEEEE10hipError_tT0_T1_T2_jT3_P12ihipStream_tbPNSt15iterator_traitsISE_E10value_typeEPNSK_ISF_E10value_typeEPSG_NS1_7vsmem_tEENKUlT_SE_SF_SG_E_clIS8_S8_S9_S9_EESD_ST_SE_SF_SG_EUlST_E_NS1_11comp_targetILNS1_3genE5ELNS1_11target_archE942ELNS1_3gpuE9ELNS1_3repE0EEENS1_48merge_mergepath_partition_config_static_selectorELNS0_4arch9wavefront6targetE1EEEvSF_
	.globl	_ZN7rocprim17ROCPRIM_400000_NS6detail17trampoline_kernelINS0_14default_configENS1_38merge_sort_block_merge_config_selectorIhNS0_10empty_typeEEEZZNS1_27merge_sort_block_merge_implIS3_PhPS5_jNS1_19radix_merge_compareILb0ELb0EhNS0_19identity_decomposerEEEEE10hipError_tT0_T1_T2_jT3_P12ihipStream_tbPNSt15iterator_traitsISE_E10value_typeEPNSK_ISF_E10value_typeEPSG_NS1_7vsmem_tEENKUlT_SE_SF_SG_E_clIS8_S8_S9_S9_EESD_ST_SE_SF_SG_EUlST_E_NS1_11comp_targetILNS1_3genE5ELNS1_11target_archE942ELNS1_3gpuE9ELNS1_3repE0EEENS1_48merge_mergepath_partition_config_static_selectorELNS0_4arch9wavefront6targetE1EEEvSF_
	.p2align	8
	.type	_ZN7rocprim17ROCPRIM_400000_NS6detail17trampoline_kernelINS0_14default_configENS1_38merge_sort_block_merge_config_selectorIhNS0_10empty_typeEEEZZNS1_27merge_sort_block_merge_implIS3_PhPS5_jNS1_19radix_merge_compareILb0ELb0EhNS0_19identity_decomposerEEEEE10hipError_tT0_T1_T2_jT3_P12ihipStream_tbPNSt15iterator_traitsISE_E10value_typeEPNSK_ISF_E10value_typeEPSG_NS1_7vsmem_tEENKUlT_SE_SF_SG_E_clIS8_S8_S9_S9_EESD_ST_SE_SF_SG_EUlST_E_NS1_11comp_targetILNS1_3genE5ELNS1_11target_archE942ELNS1_3gpuE9ELNS1_3repE0EEENS1_48merge_mergepath_partition_config_static_selectorELNS0_4arch9wavefront6targetE1EEEvSF_,@function
_ZN7rocprim17ROCPRIM_400000_NS6detail17trampoline_kernelINS0_14default_configENS1_38merge_sort_block_merge_config_selectorIhNS0_10empty_typeEEEZZNS1_27merge_sort_block_merge_implIS3_PhPS5_jNS1_19radix_merge_compareILb0ELb0EhNS0_19identity_decomposerEEEEE10hipError_tT0_T1_T2_jT3_P12ihipStream_tbPNSt15iterator_traitsISE_E10value_typeEPNSK_ISF_E10value_typeEPSG_NS1_7vsmem_tEENKUlT_SE_SF_SG_E_clIS8_S8_S9_S9_EESD_ST_SE_SF_SG_EUlST_E_NS1_11comp_targetILNS1_3genE5ELNS1_11target_archE942ELNS1_3gpuE9ELNS1_3repE0EEENS1_48merge_mergepath_partition_config_static_selectorELNS0_4arch9wavefront6targetE1EEEvSF_: ; @_ZN7rocprim17ROCPRIM_400000_NS6detail17trampoline_kernelINS0_14default_configENS1_38merge_sort_block_merge_config_selectorIhNS0_10empty_typeEEEZZNS1_27merge_sort_block_merge_implIS3_PhPS5_jNS1_19radix_merge_compareILb0ELb0EhNS0_19identity_decomposerEEEEE10hipError_tT0_T1_T2_jT3_P12ihipStream_tbPNSt15iterator_traitsISE_E10value_typeEPNSK_ISF_E10value_typeEPSG_NS1_7vsmem_tEENKUlT_SE_SF_SG_E_clIS8_S8_S9_S9_EESD_ST_SE_SF_SG_EUlST_E_NS1_11comp_targetILNS1_3genE5ELNS1_11target_archE942ELNS1_3gpuE9ELNS1_3repE0EEENS1_48merge_mergepath_partition_config_static_selectorELNS0_4arch9wavefront6targetE1EEEvSF_
; %bb.0:
	.section	.rodata,"a",@progbits
	.p2align	6, 0x0
	.amdhsa_kernel _ZN7rocprim17ROCPRIM_400000_NS6detail17trampoline_kernelINS0_14default_configENS1_38merge_sort_block_merge_config_selectorIhNS0_10empty_typeEEEZZNS1_27merge_sort_block_merge_implIS3_PhPS5_jNS1_19radix_merge_compareILb0ELb0EhNS0_19identity_decomposerEEEEE10hipError_tT0_T1_T2_jT3_P12ihipStream_tbPNSt15iterator_traitsISE_E10value_typeEPNSK_ISF_E10value_typeEPSG_NS1_7vsmem_tEENKUlT_SE_SF_SG_E_clIS8_S8_S9_S9_EESD_ST_SE_SF_SG_EUlST_E_NS1_11comp_targetILNS1_3genE5ELNS1_11target_archE942ELNS1_3gpuE9ELNS1_3repE0EEENS1_48merge_mergepath_partition_config_static_selectorELNS0_4arch9wavefront6targetE1EEEvSF_
		.amdhsa_group_segment_fixed_size 0
		.amdhsa_private_segment_fixed_size 0
		.amdhsa_kernarg_size 40
		.amdhsa_user_sgpr_count 6
		.amdhsa_user_sgpr_private_segment_buffer 1
		.amdhsa_user_sgpr_dispatch_ptr 0
		.amdhsa_user_sgpr_queue_ptr 0
		.amdhsa_user_sgpr_kernarg_segment_ptr 1
		.amdhsa_user_sgpr_dispatch_id 0
		.amdhsa_user_sgpr_flat_scratch_init 0
		.amdhsa_user_sgpr_kernarg_preload_length 0
		.amdhsa_user_sgpr_kernarg_preload_offset 0
		.amdhsa_user_sgpr_private_segment_size 0
		.amdhsa_uses_dynamic_stack 0
		.amdhsa_system_sgpr_private_segment_wavefront_offset 0
		.amdhsa_system_sgpr_workgroup_id_x 1
		.amdhsa_system_sgpr_workgroup_id_y 0
		.amdhsa_system_sgpr_workgroup_id_z 0
		.amdhsa_system_sgpr_workgroup_info 0
		.amdhsa_system_vgpr_workitem_id 0
		.amdhsa_next_free_vgpr 1
		.amdhsa_next_free_sgpr 0
		.amdhsa_accum_offset 4
		.amdhsa_reserve_vcc 0
		.amdhsa_reserve_flat_scratch 0
		.amdhsa_float_round_mode_32 0
		.amdhsa_float_round_mode_16_64 0
		.amdhsa_float_denorm_mode_32 3
		.amdhsa_float_denorm_mode_16_64 3
		.amdhsa_dx10_clamp 1
		.amdhsa_ieee_mode 1
		.amdhsa_fp16_overflow 0
		.amdhsa_tg_split 0
		.amdhsa_exception_fp_ieee_invalid_op 0
		.amdhsa_exception_fp_denorm_src 0
		.amdhsa_exception_fp_ieee_div_zero 0
		.amdhsa_exception_fp_ieee_overflow 0
		.amdhsa_exception_fp_ieee_underflow 0
		.amdhsa_exception_fp_ieee_inexact 0
		.amdhsa_exception_int_div_zero 0
	.end_amdhsa_kernel
	.section	.text._ZN7rocprim17ROCPRIM_400000_NS6detail17trampoline_kernelINS0_14default_configENS1_38merge_sort_block_merge_config_selectorIhNS0_10empty_typeEEEZZNS1_27merge_sort_block_merge_implIS3_PhPS5_jNS1_19radix_merge_compareILb0ELb0EhNS0_19identity_decomposerEEEEE10hipError_tT0_T1_T2_jT3_P12ihipStream_tbPNSt15iterator_traitsISE_E10value_typeEPNSK_ISF_E10value_typeEPSG_NS1_7vsmem_tEENKUlT_SE_SF_SG_E_clIS8_S8_S9_S9_EESD_ST_SE_SF_SG_EUlST_E_NS1_11comp_targetILNS1_3genE5ELNS1_11target_archE942ELNS1_3gpuE9ELNS1_3repE0EEENS1_48merge_mergepath_partition_config_static_selectorELNS0_4arch9wavefront6targetE1EEEvSF_,"axG",@progbits,_ZN7rocprim17ROCPRIM_400000_NS6detail17trampoline_kernelINS0_14default_configENS1_38merge_sort_block_merge_config_selectorIhNS0_10empty_typeEEEZZNS1_27merge_sort_block_merge_implIS3_PhPS5_jNS1_19radix_merge_compareILb0ELb0EhNS0_19identity_decomposerEEEEE10hipError_tT0_T1_T2_jT3_P12ihipStream_tbPNSt15iterator_traitsISE_E10value_typeEPNSK_ISF_E10value_typeEPSG_NS1_7vsmem_tEENKUlT_SE_SF_SG_E_clIS8_S8_S9_S9_EESD_ST_SE_SF_SG_EUlST_E_NS1_11comp_targetILNS1_3genE5ELNS1_11target_archE942ELNS1_3gpuE9ELNS1_3repE0EEENS1_48merge_mergepath_partition_config_static_selectorELNS0_4arch9wavefront6targetE1EEEvSF_,comdat
.Lfunc_end248:
	.size	_ZN7rocprim17ROCPRIM_400000_NS6detail17trampoline_kernelINS0_14default_configENS1_38merge_sort_block_merge_config_selectorIhNS0_10empty_typeEEEZZNS1_27merge_sort_block_merge_implIS3_PhPS5_jNS1_19radix_merge_compareILb0ELb0EhNS0_19identity_decomposerEEEEE10hipError_tT0_T1_T2_jT3_P12ihipStream_tbPNSt15iterator_traitsISE_E10value_typeEPNSK_ISF_E10value_typeEPSG_NS1_7vsmem_tEENKUlT_SE_SF_SG_E_clIS8_S8_S9_S9_EESD_ST_SE_SF_SG_EUlST_E_NS1_11comp_targetILNS1_3genE5ELNS1_11target_archE942ELNS1_3gpuE9ELNS1_3repE0EEENS1_48merge_mergepath_partition_config_static_selectorELNS0_4arch9wavefront6targetE1EEEvSF_, .Lfunc_end248-_ZN7rocprim17ROCPRIM_400000_NS6detail17trampoline_kernelINS0_14default_configENS1_38merge_sort_block_merge_config_selectorIhNS0_10empty_typeEEEZZNS1_27merge_sort_block_merge_implIS3_PhPS5_jNS1_19radix_merge_compareILb0ELb0EhNS0_19identity_decomposerEEEEE10hipError_tT0_T1_T2_jT3_P12ihipStream_tbPNSt15iterator_traitsISE_E10value_typeEPNSK_ISF_E10value_typeEPSG_NS1_7vsmem_tEENKUlT_SE_SF_SG_E_clIS8_S8_S9_S9_EESD_ST_SE_SF_SG_EUlST_E_NS1_11comp_targetILNS1_3genE5ELNS1_11target_archE942ELNS1_3gpuE9ELNS1_3repE0EEENS1_48merge_mergepath_partition_config_static_selectorELNS0_4arch9wavefront6targetE1EEEvSF_
                                        ; -- End function
	.section	.AMDGPU.csdata,"",@progbits
; Kernel info:
; codeLenInByte = 0
; NumSgprs: 4
; NumVgprs: 0
; NumAgprs: 0
; TotalNumVgprs: 0
; ScratchSize: 0
; MemoryBound: 0
; FloatMode: 240
; IeeeMode: 1
; LDSByteSize: 0 bytes/workgroup (compile time only)
; SGPRBlocks: 0
; VGPRBlocks: 0
; NumSGPRsForWavesPerEU: 4
; NumVGPRsForWavesPerEU: 1
; AccumOffset: 4
; Occupancy: 8
; WaveLimiterHint : 0
; COMPUTE_PGM_RSRC2:SCRATCH_EN: 0
; COMPUTE_PGM_RSRC2:USER_SGPR: 6
; COMPUTE_PGM_RSRC2:TRAP_HANDLER: 0
; COMPUTE_PGM_RSRC2:TGID_X_EN: 1
; COMPUTE_PGM_RSRC2:TGID_Y_EN: 0
; COMPUTE_PGM_RSRC2:TGID_Z_EN: 0
; COMPUTE_PGM_RSRC2:TIDIG_COMP_CNT: 0
; COMPUTE_PGM_RSRC3_GFX90A:ACCUM_OFFSET: 0
; COMPUTE_PGM_RSRC3_GFX90A:TG_SPLIT: 0
	.section	.text._ZN7rocprim17ROCPRIM_400000_NS6detail17trampoline_kernelINS0_14default_configENS1_38merge_sort_block_merge_config_selectorIhNS0_10empty_typeEEEZZNS1_27merge_sort_block_merge_implIS3_PhPS5_jNS1_19radix_merge_compareILb0ELb0EhNS0_19identity_decomposerEEEEE10hipError_tT0_T1_T2_jT3_P12ihipStream_tbPNSt15iterator_traitsISE_E10value_typeEPNSK_ISF_E10value_typeEPSG_NS1_7vsmem_tEENKUlT_SE_SF_SG_E_clIS8_S8_S9_S9_EESD_ST_SE_SF_SG_EUlST_E_NS1_11comp_targetILNS1_3genE4ELNS1_11target_archE910ELNS1_3gpuE8ELNS1_3repE0EEENS1_48merge_mergepath_partition_config_static_selectorELNS0_4arch9wavefront6targetE1EEEvSF_,"axG",@progbits,_ZN7rocprim17ROCPRIM_400000_NS6detail17trampoline_kernelINS0_14default_configENS1_38merge_sort_block_merge_config_selectorIhNS0_10empty_typeEEEZZNS1_27merge_sort_block_merge_implIS3_PhPS5_jNS1_19radix_merge_compareILb0ELb0EhNS0_19identity_decomposerEEEEE10hipError_tT0_T1_T2_jT3_P12ihipStream_tbPNSt15iterator_traitsISE_E10value_typeEPNSK_ISF_E10value_typeEPSG_NS1_7vsmem_tEENKUlT_SE_SF_SG_E_clIS8_S8_S9_S9_EESD_ST_SE_SF_SG_EUlST_E_NS1_11comp_targetILNS1_3genE4ELNS1_11target_archE910ELNS1_3gpuE8ELNS1_3repE0EEENS1_48merge_mergepath_partition_config_static_selectorELNS0_4arch9wavefront6targetE1EEEvSF_,comdat
	.protected	_ZN7rocprim17ROCPRIM_400000_NS6detail17trampoline_kernelINS0_14default_configENS1_38merge_sort_block_merge_config_selectorIhNS0_10empty_typeEEEZZNS1_27merge_sort_block_merge_implIS3_PhPS5_jNS1_19radix_merge_compareILb0ELb0EhNS0_19identity_decomposerEEEEE10hipError_tT0_T1_T2_jT3_P12ihipStream_tbPNSt15iterator_traitsISE_E10value_typeEPNSK_ISF_E10value_typeEPSG_NS1_7vsmem_tEENKUlT_SE_SF_SG_E_clIS8_S8_S9_S9_EESD_ST_SE_SF_SG_EUlST_E_NS1_11comp_targetILNS1_3genE4ELNS1_11target_archE910ELNS1_3gpuE8ELNS1_3repE0EEENS1_48merge_mergepath_partition_config_static_selectorELNS0_4arch9wavefront6targetE1EEEvSF_ ; -- Begin function _ZN7rocprim17ROCPRIM_400000_NS6detail17trampoline_kernelINS0_14default_configENS1_38merge_sort_block_merge_config_selectorIhNS0_10empty_typeEEEZZNS1_27merge_sort_block_merge_implIS3_PhPS5_jNS1_19radix_merge_compareILb0ELb0EhNS0_19identity_decomposerEEEEE10hipError_tT0_T1_T2_jT3_P12ihipStream_tbPNSt15iterator_traitsISE_E10value_typeEPNSK_ISF_E10value_typeEPSG_NS1_7vsmem_tEENKUlT_SE_SF_SG_E_clIS8_S8_S9_S9_EESD_ST_SE_SF_SG_EUlST_E_NS1_11comp_targetILNS1_3genE4ELNS1_11target_archE910ELNS1_3gpuE8ELNS1_3repE0EEENS1_48merge_mergepath_partition_config_static_selectorELNS0_4arch9wavefront6targetE1EEEvSF_
	.globl	_ZN7rocprim17ROCPRIM_400000_NS6detail17trampoline_kernelINS0_14default_configENS1_38merge_sort_block_merge_config_selectorIhNS0_10empty_typeEEEZZNS1_27merge_sort_block_merge_implIS3_PhPS5_jNS1_19radix_merge_compareILb0ELb0EhNS0_19identity_decomposerEEEEE10hipError_tT0_T1_T2_jT3_P12ihipStream_tbPNSt15iterator_traitsISE_E10value_typeEPNSK_ISF_E10value_typeEPSG_NS1_7vsmem_tEENKUlT_SE_SF_SG_E_clIS8_S8_S9_S9_EESD_ST_SE_SF_SG_EUlST_E_NS1_11comp_targetILNS1_3genE4ELNS1_11target_archE910ELNS1_3gpuE8ELNS1_3repE0EEENS1_48merge_mergepath_partition_config_static_selectorELNS0_4arch9wavefront6targetE1EEEvSF_
	.p2align	8
	.type	_ZN7rocprim17ROCPRIM_400000_NS6detail17trampoline_kernelINS0_14default_configENS1_38merge_sort_block_merge_config_selectorIhNS0_10empty_typeEEEZZNS1_27merge_sort_block_merge_implIS3_PhPS5_jNS1_19radix_merge_compareILb0ELb0EhNS0_19identity_decomposerEEEEE10hipError_tT0_T1_T2_jT3_P12ihipStream_tbPNSt15iterator_traitsISE_E10value_typeEPNSK_ISF_E10value_typeEPSG_NS1_7vsmem_tEENKUlT_SE_SF_SG_E_clIS8_S8_S9_S9_EESD_ST_SE_SF_SG_EUlST_E_NS1_11comp_targetILNS1_3genE4ELNS1_11target_archE910ELNS1_3gpuE8ELNS1_3repE0EEENS1_48merge_mergepath_partition_config_static_selectorELNS0_4arch9wavefront6targetE1EEEvSF_,@function
_ZN7rocprim17ROCPRIM_400000_NS6detail17trampoline_kernelINS0_14default_configENS1_38merge_sort_block_merge_config_selectorIhNS0_10empty_typeEEEZZNS1_27merge_sort_block_merge_implIS3_PhPS5_jNS1_19radix_merge_compareILb0ELb0EhNS0_19identity_decomposerEEEEE10hipError_tT0_T1_T2_jT3_P12ihipStream_tbPNSt15iterator_traitsISE_E10value_typeEPNSK_ISF_E10value_typeEPSG_NS1_7vsmem_tEENKUlT_SE_SF_SG_E_clIS8_S8_S9_S9_EESD_ST_SE_SF_SG_EUlST_E_NS1_11comp_targetILNS1_3genE4ELNS1_11target_archE910ELNS1_3gpuE8ELNS1_3repE0EEENS1_48merge_mergepath_partition_config_static_selectorELNS0_4arch9wavefront6targetE1EEEvSF_: ; @_ZN7rocprim17ROCPRIM_400000_NS6detail17trampoline_kernelINS0_14default_configENS1_38merge_sort_block_merge_config_selectorIhNS0_10empty_typeEEEZZNS1_27merge_sort_block_merge_implIS3_PhPS5_jNS1_19radix_merge_compareILb0ELb0EhNS0_19identity_decomposerEEEEE10hipError_tT0_T1_T2_jT3_P12ihipStream_tbPNSt15iterator_traitsISE_E10value_typeEPNSK_ISF_E10value_typeEPSG_NS1_7vsmem_tEENKUlT_SE_SF_SG_E_clIS8_S8_S9_S9_EESD_ST_SE_SF_SG_EUlST_E_NS1_11comp_targetILNS1_3genE4ELNS1_11target_archE910ELNS1_3gpuE8ELNS1_3repE0EEENS1_48merge_mergepath_partition_config_static_selectorELNS0_4arch9wavefront6targetE1EEEvSF_
; %bb.0:
	s_load_dword s0, s[4:5], 0x0
	v_lshl_or_b32 v0, s6, 7, v0
	s_waitcnt lgkmcnt(0)
	v_cmp_gt_u32_e32 vcc, s0, v0
	s_and_saveexec_b64 s[0:1], vcc
	s_cbranch_execz .LBB249_6
; %bb.1:
	s_load_dwordx2 s[2:3], s[4:5], 0x4
	s_load_dwordx2 s[0:1], s[4:5], 0x20
	s_waitcnt lgkmcnt(0)
	s_lshr_b32 s6, s2, 9
	s_and_b32 s6, s6, 0x7ffffe
	s_add_i32 s7, s6, -1
	s_sub_i32 s6, 0, s6
	v_and_b32_e32 v1, s6, v0
	v_lshlrev_b32_e32 v3, 10, v1
	v_min_u32_e32 v1, s3, v3
	v_add_u32_e32 v3, s2, v3
	v_min_u32_e32 v7, s3, v3
	v_add_u32_e32 v3, s2, v7
	v_and_b32_e32 v2, s7, v0
	v_min_u32_e32 v4, s3, v3
	v_sub_u32_e32 v3, v4, v1
	v_lshlrev_b32_e32 v2, 10, v2
	v_min_u32_e32 v3, v3, v2
	v_sub_u32_e32 v5, v7, v1
	v_sub_u32_e32 v2, v4, v7
	v_sub_u32_e64 v2, v3, v2 clamp
	v_min_u32_e32 v4, v3, v5
	v_cmp_lt_u32_e32 vcc, v2, v4
	s_and_saveexec_b64 s[2:3], vcc
	s_cbranch_execz .LBB249_5
; %bb.2:
	s_load_dwordx2 s[4:5], s[4:5], 0x10
	s_waitcnt lgkmcnt(0)
	v_mov_b32_e32 v8, s5
	v_add_co_u32_e32 v5, vcc, s4, v1
	v_addc_co_u32_e32 v6, vcc, 0, v8, vcc
	v_add_co_u32_e32 v7, vcc, s4, v7
	v_addc_co_u32_e32 v8, vcc, 0, v8, vcc
	s_mov_b64 s[4:5], 0
.LBB249_3:                              ; =>This Inner Loop Header: Depth=1
	v_add_u32_e32 v9, v4, v2
	v_lshrrev_b32_e32 v9, 1, v9
	v_add_co_u32_e32 v10, vcc, v5, v9
	v_xad_u32 v12, v9, -1, v3
	v_addc_co_u32_e32 v11, vcc, 0, v6, vcc
	v_add_co_u32_e32 v12, vcc, v7, v12
	v_addc_co_u32_e32 v13, vcc, 0, v8, vcc
	global_load_ubyte v14, v[10:11], off
	global_load_ubyte v15, v[12:13], off
	v_add_u32_e32 v10, 1, v9
	s_waitcnt vmcnt(0)
	v_cmp_gt_u16_e32 vcc, v14, v15
	v_cndmask_b32_e32 v4, v4, v9, vcc
	v_cndmask_b32_e32 v2, v10, v2, vcc
	v_cmp_ge_u32_e32 vcc, v2, v4
	s_or_b64 s[4:5], vcc, s[4:5]
	s_andn2_b64 exec, exec, s[4:5]
	s_cbranch_execnz .LBB249_3
; %bb.4:
	s_or_b64 exec, exec, s[4:5]
.LBB249_5:
	s_or_b64 exec, exec, s[2:3]
	v_add_u32_e32 v2, v2, v1
	v_mov_b32_e32 v1, 0
	v_lshlrev_b64 v[0:1], 2, v[0:1]
	v_mov_b32_e32 v3, s1
	v_add_co_u32_e32 v0, vcc, s0, v0
	v_addc_co_u32_e32 v1, vcc, v3, v1, vcc
	global_store_dword v[0:1], v2, off
.LBB249_6:
	s_endpgm
	.section	.rodata,"a",@progbits
	.p2align	6, 0x0
	.amdhsa_kernel _ZN7rocprim17ROCPRIM_400000_NS6detail17trampoline_kernelINS0_14default_configENS1_38merge_sort_block_merge_config_selectorIhNS0_10empty_typeEEEZZNS1_27merge_sort_block_merge_implIS3_PhPS5_jNS1_19radix_merge_compareILb0ELb0EhNS0_19identity_decomposerEEEEE10hipError_tT0_T1_T2_jT3_P12ihipStream_tbPNSt15iterator_traitsISE_E10value_typeEPNSK_ISF_E10value_typeEPSG_NS1_7vsmem_tEENKUlT_SE_SF_SG_E_clIS8_S8_S9_S9_EESD_ST_SE_SF_SG_EUlST_E_NS1_11comp_targetILNS1_3genE4ELNS1_11target_archE910ELNS1_3gpuE8ELNS1_3repE0EEENS1_48merge_mergepath_partition_config_static_selectorELNS0_4arch9wavefront6targetE1EEEvSF_
		.amdhsa_group_segment_fixed_size 0
		.amdhsa_private_segment_fixed_size 0
		.amdhsa_kernarg_size 40
		.amdhsa_user_sgpr_count 6
		.amdhsa_user_sgpr_private_segment_buffer 1
		.amdhsa_user_sgpr_dispatch_ptr 0
		.amdhsa_user_sgpr_queue_ptr 0
		.amdhsa_user_sgpr_kernarg_segment_ptr 1
		.amdhsa_user_sgpr_dispatch_id 0
		.amdhsa_user_sgpr_flat_scratch_init 0
		.amdhsa_user_sgpr_kernarg_preload_length 0
		.amdhsa_user_sgpr_kernarg_preload_offset 0
		.amdhsa_user_sgpr_private_segment_size 0
		.amdhsa_uses_dynamic_stack 0
		.amdhsa_system_sgpr_private_segment_wavefront_offset 0
		.amdhsa_system_sgpr_workgroup_id_x 1
		.amdhsa_system_sgpr_workgroup_id_y 0
		.amdhsa_system_sgpr_workgroup_id_z 0
		.amdhsa_system_sgpr_workgroup_info 0
		.amdhsa_system_vgpr_workitem_id 0
		.amdhsa_next_free_vgpr 16
		.amdhsa_next_free_sgpr 8
		.amdhsa_accum_offset 16
		.amdhsa_reserve_vcc 1
		.amdhsa_reserve_flat_scratch 0
		.amdhsa_float_round_mode_32 0
		.amdhsa_float_round_mode_16_64 0
		.amdhsa_float_denorm_mode_32 3
		.amdhsa_float_denorm_mode_16_64 3
		.amdhsa_dx10_clamp 1
		.amdhsa_ieee_mode 1
		.amdhsa_fp16_overflow 0
		.amdhsa_tg_split 0
		.amdhsa_exception_fp_ieee_invalid_op 0
		.amdhsa_exception_fp_denorm_src 0
		.amdhsa_exception_fp_ieee_div_zero 0
		.amdhsa_exception_fp_ieee_overflow 0
		.amdhsa_exception_fp_ieee_underflow 0
		.amdhsa_exception_fp_ieee_inexact 0
		.amdhsa_exception_int_div_zero 0
	.end_amdhsa_kernel
	.section	.text._ZN7rocprim17ROCPRIM_400000_NS6detail17trampoline_kernelINS0_14default_configENS1_38merge_sort_block_merge_config_selectorIhNS0_10empty_typeEEEZZNS1_27merge_sort_block_merge_implIS3_PhPS5_jNS1_19radix_merge_compareILb0ELb0EhNS0_19identity_decomposerEEEEE10hipError_tT0_T1_T2_jT3_P12ihipStream_tbPNSt15iterator_traitsISE_E10value_typeEPNSK_ISF_E10value_typeEPSG_NS1_7vsmem_tEENKUlT_SE_SF_SG_E_clIS8_S8_S9_S9_EESD_ST_SE_SF_SG_EUlST_E_NS1_11comp_targetILNS1_3genE4ELNS1_11target_archE910ELNS1_3gpuE8ELNS1_3repE0EEENS1_48merge_mergepath_partition_config_static_selectorELNS0_4arch9wavefront6targetE1EEEvSF_,"axG",@progbits,_ZN7rocprim17ROCPRIM_400000_NS6detail17trampoline_kernelINS0_14default_configENS1_38merge_sort_block_merge_config_selectorIhNS0_10empty_typeEEEZZNS1_27merge_sort_block_merge_implIS3_PhPS5_jNS1_19radix_merge_compareILb0ELb0EhNS0_19identity_decomposerEEEEE10hipError_tT0_T1_T2_jT3_P12ihipStream_tbPNSt15iterator_traitsISE_E10value_typeEPNSK_ISF_E10value_typeEPSG_NS1_7vsmem_tEENKUlT_SE_SF_SG_E_clIS8_S8_S9_S9_EESD_ST_SE_SF_SG_EUlST_E_NS1_11comp_targetILNS1_3genE4ELNS1_11target_archE910ELNS1_3gpuE8ELNS1_3repE0EEENS1_48merge_mergepath_partition_config_static_selectorELNS0_4arch9wavefront6targetE1EEEvSF_,comdat
.Lfunc_end249:
	.size	_ZN7rocprim17ROCPRIM_400000_NS6detail17trampoline_kernelINS0_14default_configENS1_38merge_sort_block_merge_config_selectorIhNS0_10empty_typeEEEZZNS1_27merge_sort_block_merge_implIS3_PhPS5_jNS1_19radix_merge_compareILb0ELb0EhNS0_19identity_decomposerEEEEE10hipError_tT0_T1_T2_jT3_P12ihipStream_tbPNSt15iterator_traitsISE_E10value_typeEPNSK_ISF_E10value_typeEPSG_NS1_7vsmem_tEENKUlT_SE_SF_SG_E_clIS8_S8_S9_S9_EESD_ST_SE_SF_SG_EUlST_E_NS1_11comp_targetILNS1_3genE4ELNS1_11target_archE910ELNS1_3gpuE8ELNS1_3repE0EEENS1_48merge_mergepath_partition_config_static_selectorELNS0_4arch9wavefront6targetE1EEEvSF_, .Lfunc_end249-_ZN7rocprim17ROCPRIM_400000_NS6detail17trampoline_kernelINS0_14default_configENS1_38merge_sort_block_merge_config_selectorIhNS0_10empty_typeEEEZZNS1_27merge_sort_block_merge_implIS3_PhPS5_jNS1_19radix_merge_compareILb0ELb0EhNS0_19identity_decomposerEEEEE10hipError_tT0_T1_T2_jT3_P12ihipStream_tbPNSt15iterator_traitsISE_E10value_typeEPNSK_ISF_E10value_typeEPSG_NS1_7vsmem_tEENKUlT_SE_SF_SG_E_clIS8_S8_S9_S9_EESD_ST_SE_SF_SG_EUlST_E_NS1_11comp_targetILNS1_3genE4ELNS1_11target_archE910ELNS1_3gpuE8ELNS1_3repE0EEENS1_48merge_mergepath_partition_config_static_selectorELNS0_4arch9wavefront6targetE1EEEvSF_
                                        ; -- End function
	.section	.AMDGPU.csdata,"",@progbits
; Kernel info:
; codeLenInByte = 316
; NumSgprs: 12
; NumVgprs: 16
; NumAgprs: 0
; TotalNumVgprs: 16
; ScratchSize: 0
; MemoryBound: 0
; FloatMode: 240
; IeeeMode: 1
; LDSByteSize: 0 bytes/workgroup (compile time only)
; SGPRBlocks: 1
; VGPRBlocks: 1
; NumSGPRsForWavesPerEU: 12
; NumVGPRsForWavesPerEU: 16
; AccumOffset: 16
; Occupancy: 8
; WaveLimiterHint : 0
; COMPUTE_PGM_RSRC2:SCRATCH_EN: 0
; COMPUTE_PGM_RSRC2:USER_SGPR: 6
; COMPUTE_PGM_RSRC2:TRAP_HANDLER: 0
; COMPUTE_PGM_RSRC2:TGID_X_EN: 1
; COMPUTE_PGM_RSRC2:TGID_Y_EN: 0
; COMPUTE_PGM_RSRC2:TGID_Z_EN: 0
; COMPUTE_PGM_RSRC2:TIDIG_COMP_CNT: 0
; COMPUTE_PGM_RSRC3_GFX90A:ACCUM_OFFSET: 3
; COMPUTE_PGM_RSRC3_GFX90A:TG_SPLIT: 0
	.section	.text._ZN7rocprim17ROCPRIM_400000_NS6detail17trampoline_kernelINS0_14default_configENS1_38merge_sort_block_merge_config_selectorIhNS0_10empty_typeEEEZZNS1_27merge_sort_block_merge_implIS3_PhPS5_jNS1_19radix_merge_compareILb0ELb0EhNS0_19identity_decomposerEEEEE10hipError_tT0_T1_T2_jT3_P12ihipStream_tbPNSt15iterator_traitsISE_E10value_typeEPNSK_ISF_E10value_typeEPSG_NS1_7vsmem_tEENKUlT_SE_SF_SG_E_clIS8_S8_S9_S9_EESD_ST_SE_SF_SG_EUlST_E_NS1_11comp_targetILNS1_3genE3ELNS1_11target_archE908ELNS1_3gpuE7ELNS1_3repE0EEENS1_48merge_mergepath_partition_config_static_selectorELNS0_4arch9wavefront6targetE1EEEvSF_,"axG",@progbits,_ZN7rocprim17ROCPRIM_400000_NS6detail17trampoline_kernelINS0_14default_configENS1_38merge_sort_block_merge_config_selectorIhNS0_10empty_typeEEEZZNS1_27merge_sort_block_merge_implIS3_PhPS5_jNS1_19radix_merge_compareILb0ELb0EhNS0_19identity_decomposerEEEEE10hipError_tT0_T1_T2_jT3_P12ihipStream_tbPNSt15iterator_traitsISE_E10value_typeEPNSK_ISF_E10value_typeEPSG_NS1_7vsmem_tEENKUlT_SE_SF_SG_E_clIS8_S8_S9_S9_EESD_ST_SE_SF_SG_EUlST_E_NS1_11comp_targetILNS1_3genE3ELNS1_11target_archE908ELNS1_3gpuE7ELNS1_3repE0EEENS1_48merge_mergepath_partition_config_static_selectorELNS0_4arch9wavefront6targetE1EEEvSF_,comdat
	.protected	_ZN7rocprim17ROCPRIM_400000_NS6detail17trampoline_kernelINS0_14default_configENS1_38merge_sort_block_merge_config_selectorIhNS0_10empty_typeEEEZZNS1_27merge_sort_block_merge_implIS3_PhPS5_jNS1_19radix_merge_compareILb0ELb0EhNS0_19identity_decomposerEEEEE10hipError_tT0_T1_T2_jT3_P12ihipStream_tbPNSt15iterator_traitsISE_E10value_typeEPNSK_ISF_E10value_typeEPSG_NS1_7vsmem_tEENKUlT_SE_SF_SG_E_clIS8_S8_S9_S9_EESD_ST_SE_SF_SG_EUlST_E_NS1_11comp_targetILNS1_3genE3ELNS1_11target_archE908ELNS1_3gpuE7ELNS1_3repE0EEENS1_48merge_mergepath_partition_config_static_selectorELNS0_4arch9wavefront6targetE1EEEvSF_ ; -- Begin function _ZN7rocprim17ROCPRIM_400000_NS6detail17trampoline_kernelINS0_14default_configENS1_38merge_sort_block_merge_config_selectorIhNS0_10empty_typeEEEZZNS1_27merge_sort_block_merge_implIS3_PhPS5_jNS1_19radix_merge_compareILb0ELb0EhNS0_19identity_decomposerEEEEE10hipError_tT0_T1_T2_jT3_P12ihipStream_tbPNSt15iterator_traitsISE_E10value_typeEPNSK_ISF_E10value_typeEPSG_NS1_7vsmem_tEENKUlT_SE_SF_SG_E_clIS8_S8_S9_S9_EESD_ST_SE_SF_SG_EUlST_E_NS1_11comp_targetILNS1_3genE3ELNS1_11target_archE908ELNS1_3gpuE7ELNS1_3repE0EEENS1_48merge_mergepath_partition_config_static_selectorELNS0_4arch9wavefront6targetE1EEEvSF_
	.globl	_ZN7rocprim17ROCPRIM_400000_NS6detail17trampoline_kernelINS0_14default_configENS1_38merge_sort_block_merge_config_selectorIhNS0_10empty_typeEEEZZNS1_27merge_sort_block_merge_implIS3_PhPS5_jNS1_19radix_merge_compareILb0ELb0EhNS0_19identity_decomposerEEEEE10hipError_tT0_T1_T2_jT3_P12ihipStream_tbPNSt15iterator_traitsISE_E10value_typeEPNSK_ISF_E10value_typeEPSG_NS1_7vsmem_tEENKUlT_SE_SF_SG_E_clIS8_S8_S9_S9_EESD_ST_SE_SF_SG_EUlST_E_NS1_11comp_targetILNS1_3genE3ELNS1_11target_archE908ELNS1_3gpuE7ELNS1_3repE0EEENS1_48merge_mergepath_partition_config_static_selectorELNS0_4arch9wavefront6targetE1EEEvSF_
	.p2align	8
	.type	_ZN7rocprim17ROCPRIM_400000_NS6detail17trampoline_kernelINS0_14default_configENS1_38merge_sort_block_merge_config_selectorIhNS0_10empty_typeEEEZZNS1_27merge_sort_block_merge_implIS3_PhPS5_jNS1_19radix_merge_compareILb0ELb0EhNS0_19identity_decomposerEEEEE10hipError_tT0_T1_T2_jT3_P12ihipStream_tbPNSt15iterator_traitsISE_E10value_typeEPNSK_ISF_E10value_typeEPSG_NS1_7vsmem_tEENKUlT_SE_SF_SG_E_clIS8_S8_S9_S9_EESD_ST_SE_SF_SG_EUlST_E_NS1_11comp_targetILNS1_3genE3ELNS1_11target_archE908ELNS1_3gpuE7ELNS1_3repE0EEENS1_48merge_mergepath_partition_config_static_selectorELNS0_4arch9wavefront6targetE1EEEvSF_,@function
_ZN7rocprim17ROCPRIM_400000_NS6detail17trampoline_kernelINS0_14default_configENS1_38merge_sort_block_merge_config_selectorIhNS0_10empty_typeEEEZZNS1_27merge_sort_block_merge_implIS3_PhPS5_jNS1_19radix_merge_compareILb0ELb0EhNS0_19identity_decomposerEEEEE10hipError_tT0_T1_T2_jT3_P12ihipStream_tbPNSt15iterator_traitsISE_E10value_typeEPNSK_ISF_E10value_typeEPSG_NS1_7vsmem_tEENKUlT_SE_SF_SG_E_clIS8_S8_S9_S9_EESD_ST_SE_SF_SG_EUlST_E_NS1_11comp_targetILNS1_3genE3ELNS1_11target_archE908ELNS1_3gpuE7ELNS1_3repE0EEENS1_48merge_mergepath_partition_config_static_selectorELNS0_4arch9wavefront6targetE1EEEvSF_: ; @_ZN7rocprim17ROCPRIM_400000_NS6detail17trampoline_kernelINS0_14default_configENS1_38merge_sort_block_merge_config_selectorIhNS0_10empty_typeEEEZZNS1_27merge_sort_block_merge_implIS3_PhPS5_jNS1_19radix_merge_compareILb0ELb0EhNS0_19identity_decomposerEEEEE10hipError_tT0_T1_T2_jT3_P12ihipStream_tbPNSt15iterator_traitsISE_E10value_typeEPNSK_ISF_E10value_typeEPSG_NS1_7vsmem_tEENKUlT_SE_SF_SG_E_clIS8_S8_S9_S9_EESD_ST_SE_SF_SG_EUlST_E_NS1_11comp_targetILNS1_3genE3ELNS1_11target_archE908ELNS1_3gpuE7ELNS1_3repE0EEENS1_48merge_mergepath_partition_config_static_selectorELNS0_4arch9wavefront6targetE1EEEvSF_
; %bb.0:
	.section	.rodata,"a",@progbits
	.p2align	6, 0x0
	.amdhsa_kernel _ZN7rocprim17ROCPRIM_400000_NS6detail17trampoline_kernelINS0_14default_configENS1_38merge_sort_block_merge_config_selectorIhNS0_10empty_typeEEEZZNS1_27merge_sort_block_merge_implIS3_PhPS5_jNS1_19radix_merge_compareILb0ELb0EhNS0_19identity_decomposerEEEEE10hipError_tT0_T1_T2_jT3_P12ihipStream_tbPNSt15iterator_traitsISE_E10value_typeEPNSK_ISF_E10value_typeEPSG_NS1_7vsmem_tEENKUlT_SE_SF_SG_E_clIS8_S8_S9_S9_EESD_ST_SE_SF_SG_EUlST_E_NS1_11comp_targetILNS1_3genE3ELNS1_11target_archE908ELNS1_3gpuE7ELNS1_3repE0EEENS1_48merge_mergepath_partition_config_static_selectorELNS0_4arch9wavefront6targetE1EEEvSF_
		.amdhsa_group_segment_fixed_size 0
		.amdhsa_private_segment_fixed_size 0
		.amdhsa_kernarg_size 40
		.amdhsa_user_sgpr_count 6
		.amdhsa_user_sgpr_private_segment_buffer 1
		.amdhsa_user_sgpr_dispatch_ptr 0
		.amdhsa_user_sgpr_queue_ptr 0
		.amdhsa_user_sgpr_kernarg_segment_ptr 1
		.amdhsa_user_sgpr_dispatch_id 0
		.amdhsa_user_sgpr_flat_scratch_init 0
		.amdhsa_user_sgpr_kernarg_preload_length 0
		.amdhsa_user_sgpr_kernarg_preload_offset 0
		.amdhsa_user_sgpr_private_segment_size 0
		.amdhsa_uses_dynamic_stack 0
		.amdhsa_system_sgpr_private_segment_wavefront_offset 0
		.amdhsa_system_sgpr_workgroup_id_x 1
		.amdhsa_system_sgpr_workgroup_id_y 0
		.amdhsa_system_sgpr_workgroup_id_z 0
		.amdhsa_system_sgpr_workgroup_info 0
		.amdhsa_system_vgpr_workitem_id 0
		.amdhsa_next_free_vgpr 1
		.amdhsa_next_free_sgpr 0
		.amdhsa_accum_offset 4
		.amdhsa_reserve_vcc 0
		.amdhsa_reserve_flat_scratch 0
		.amdhsa_float_round_mode_32 0
		.amdhsa_float_round_mode_16_64 0
		.amdhsa_float_denorm_mode_32 3
		.amdhsa_float_denorm_mode_16_64 3
		.amdhsa_dx10_clamp 1
		.amdhsa_ieee_mode 1
		.amdhsa_fp16_overflow 0
		.amdhsa_tg_split 0
		.amdhsa_exception_fp_ieee_invalid_op 0
		.amdhsa_exception_fp_denorm_src 0
		.amdhsa_exception_fp_ieee_div_zero 0
		.amdhsa_exception_fp_ieee_overflow 0
		.amdhsa_exception_fp_ieee_underflow 0
		.amdhsa_exception_fp_ieee_inexact 0
		.amdhsa_exception_int_div_zero 0
	.end_amdhsa_kernel
	.section	.text._ZN7rocprim17ROCPRIM_400000_NS6detail17trampoline_kernelINS0_14default_configENS1_38merge_sort_block_merge_config_selectorIhNS0_10empty_typeEEEZZNS1_27merge_sort_block_merge_implIS3_PhPS5_jNS1_19radix_merge_compareILb0ELb0EhNS0_19identity_decomposerEEEEE10hipError_tT0_T1_T2_jT3_P12ihipStream_tbPNSt15iterator_traitsISE_E10value_typeEPNSK_ISF_E10value_typeEPSG_NS1_7vsmem_tEENKUlT_SE_SF_SG_E_clIS8_S8_S9_S9_EESD_ST_SE_SF_SG_EUlST_E_NS1_11comp_targetILNS1_3genE3ELNS1_11target_archE908ELNS1_3gpuE7ELNS1_3repE0EEENS1_48merge_mergepath_partition_config_static_selectorELNS0_4arch9wavefront6targetE1EEEvSF_,"axG",@progbits,_ZN7rocprim17ROCPRIM_400000_NS6detail17trampoline_kernelINS0_14default_configENS1_38merge_sort_block_merge_config_selectorIhNS0_10empty_typeEEEZZNS1_27merge_sort_block_merge_implIS3_PhPS5_jNS1_19radix_merge_compareILb0ELb0EhNS0_19identity_decomposerEEEEE10hipError_tT0_T1_T2_jT3_P12ihipStream_tbPNSt15iterator_traitsISE_E10value_typeEPNSK_ISF_E10value_typeEPSG_NS1_7vsmem_tEENKUlT_SE_SF_SG_E_clIS8_S8_S9_S9_EESD_ST_SE_SF_SG_EUlST_E_NS1_11comp_targetILNS1_3genE3ELNS1_11target_archE908ELNS1_3gpuE7ELNS1_3repE0EEENS1_48merge_mergepath_partition_config_static_selectorELNS0_4arch9wavefront6targetE1EEEvSF_,comdat
.Lfunc_end250:
	.size	_ZN7rocprim17ROCPRIM_400000_NS6detail17trampoline_kernelINS0_14default_configENS1_38merge_sort_block_merge_config_selectorIhNS0_10empty_typeEEEZZNS1_27merge_sort_block_merge_implIS3_PhPS5_jNS1_19radix_merge_compareILb0ELb0EhNS0_19identity_decomposerEEEEE10hipError_tT0_T1_T2_jT3_P12ihipStream_tbPNSt15iterator_traitsISE_E10value_typeEPNSK_ISF_E10value_typeEPSG_NS1_7vsmem_tEENKUlT_SE_SF_SG_E_clIS8_S8_S9_S9_EESD_ST_SE_SF_SG_EUlST_E_NS1_11comp_targetILNS1_3genE3ELNS1_11target_archE908ELNS1_3gpuE7ELNS1_3repE0EEENS1_48merge_mergepath_partition_config_static_selectorELNS0_4arch9wavefront6targetE1EEEvSF_, .Lfunc_end250-_ZN7rocprim17ROCPRIM_400000_NS6detail17trampoline_kernelINS0_14default_configENS1_38merge_sort_block_merge_config_selectorIhNS0_10empty_typeEEEZZNS1_27merge_sort_block_merge_implIS3_PhPS5_jNS1_19radix_merge_compareILb0ELb0EhNS0_19identity_decomposerEEEEE10hipError_tT0_T1_T2_jT3_P12ihipStream_tbPNSt15iterator_traitsISE_E10value_typeEPNSK_ISF_E10value_typeEPSG_NS1_7vsmem_tEENKUlT_SE_SF_SG_E_clIS8_S8_S9_S9_EESD_ST_SE_SF_SG_EUlST_E_NS1_11comp_targetILNS1_3genE3ELNS1_11target_archE908ELNS1_3gpuE7ELNS1_3repE0EEENS1_48merge_mergepath_partition_config_static_selectorELNS0_4arch9wavefront6targetE1EEEvSF_
                                        ; -- End function
	.section	.AMDGPU.csdata,"",@progbits
; Kernel info:
; codeLenInByte = 0
; NumSgprs: 4
; NumVgprs: 0
; NumAgprs: 0
; TotalNumVgprs: 0
; ScratchSize: 0
; MemoryBound: 0
; FloatMode: 240
; IeeeMode: 1
; LDSByteSize: 0 bytes/workgroup (compile time only)
; SGPRBlocks: 0
; VGPRBlocks: 0
; NumSGPRsForWavesPerEU: 4
; NumVGPRsForWavesPerEU: 1
; AccumOffset: 4
; Occupancy: 8
; WaveLimiterHint : 0
; COMPUTE_PGM_RSRC2:SCRATCH_EN: 0
; COMPUTE_PGM_RSRC2:USER_SGPR: 6
; COMPUTE_PGM_RSRC2:TRAP_HANDLER: 0
; COMPUTE_PGM_RSRC2:TGID_X_EN: 1
; COMPUTE_PGM_RSRC2:TGID_Y_EN: 0
; COMPUTE_PGM_RSRC2:TGID_Z_EN: 0
; COMPUTE_PGM_RSRC2:TIDIG_COMP_CNT: 0
; COMPUTE_PGM_RSRC3_GFX90A:ACCUM_OFFSET: 0
; COMPUTE_PGM_RSRC3_GFX90A:TG_SPLIT: 0
	.section	.text._ZN7rocprim17ROCPRIM_400000_NS6detail17trampoline_kernelINS0_14default_configENS1_38merge_sort_block_merge_config_selectorIhNS0_10empty_typeEEEZZNS1_27merge_sort_block_merge_implIS3_PhPS5_jNS1_19radix_merge_compareILb0ELb0EhNS0_19identity_decomposerEEEEE10hipError_tT0_T1_T2_jT3_P12ihipStream_tbPNSt15iterator_traitsISE_E10value_typeEPNSK_ISF_E10value_typeEPSG_NS1_7vsmem_tEENKUlT_SE_SF_SG_E_clIS8_S8_S9_S9_EESD_ST_SE_SF_SG_EUlST_E_NS1_11comp_targetILNS1_3genE2ELNS1_11target_archE906ELNS1_3gpuE6ELNS1_3repE0EEENS1_48merge_mergepath_partition_config_static_selectorELNS0_4arch9wavefront6targetE1EEEvSF_,"axG",@progbits,_ZN7rocprim17ROCPRIM_400000_NS6detail17trampoline_kernelINS0_14default_configENS1_38merge_sort_block_merge_config_selectorIhNS0_10empty_typeEEEZZNS1_27merge_sort_block_merge_implIS3_PhPS5_jNS1_19radix_merge_compareILb0ELb0EhNS0_19identity_decomposerEEEEE10hipError_tT0_T1_T2_jT3_P12ihipStream_tbPNSt15iterator_traitsISE_E10value_typeEPNSK_ISF_E10value_typeEPSG_NS1_7vsmem_tEENKUlT_SE_SF_SG_E_clIS8_S8_S9_S9_EESD_ST_SE_SF_SG_EUlST_E_NS1_11comp_targetILNS1_3genE2ELNS1_11target_archE906ELNS1_3gpuE6ELNS1_3repE0EEENS1_48merge_mergepath_partition_config_static_selectorELNS0_4arch9wavefront6targetE1EEEvSF_,comdat
	.protected	_ZN7rocprim17ROCPRIM_400000_NS6detail17trampoline_kernelINS0_14default_configENS1_38merge_sort_block_merge_config_selectorIhNS0_10empty_typeEEEZZNS1_27merge_sort_block_merge_implIS3_PhPS5_jNS1_19radix_merge_compareILb0ELb0EhNS0_19identity_decomposerEEEEE10hipError_tT0_T1_T2_jT3_P12ihipStream_tbPNSt15iterator_traitsISE_E10value_typeEPNSK_ISF_E10value_typeEPSG_NS1_7vsmem_tEENKUlT_SE_SF_SG_E_clIS8_S8_S9_S9_EESD_ST_SE_SF_SG_EUlST_E_NS1_11comp_targetILNS1_3genE2ELNS1_11target_archE906ELNS1_3gpuE6ELNS1_3repE0EEENS1_48merge_mergepath_partition_config_static_selectorELNS0_4arch9wavefront6targetE1EEEvSF_ ; -- Begin function _ZN7rocprim17ROCPRIM_400000_NS6detail17trampoline_kernelINS0_14default_configENS1_38merge_sort_block_merge_config_selectorIhNS0_10empty_typeEEEZZNS1_27merge_sort_block_merge_implIS3_PhPS5_jNS1_19radix_merge_compareILb0ELb0EhNS0_19identity_decomposerEEEEE10hipError_tT0_T1_T2_jT3_P12ihipStream_tbPNSt15iterator_traitsISE_E10value_typeEPNSK_ISF_E10value_typeEPSG_NS1_7vsmem_tEENKUlT_SE_SF_SG_E_clIS8_S8_S9_S9_EESD_ST_SE_SF_SG_EUlST_E_NS1_11comp_targetILNS1_3genE2ELNS1_11target_archE906ELNS1_3gpuE6ELNS1_3repE0EEENS1_48merge_mergepath_partition_config_static_selectorELNS0_4arch9wavefront6targetE1EEEvSF_
	.globl	_ZN7rocprim17ROCPRIM_400000_NS6detail17trampoline_kernelINS0_14default_configENS1_38merge_sort_block_merge_config_selectorIhNS0_10empty_typeEEEZZNS1_27merge_sort_block_merge_implIS3_PhPS5_jNS1_19radix_merge_compareILb0ELb0EhNS0_19identity_decomposerEEEEE10hipError_tT0_T1_T2_jT3_P12ihipStream_tbPNSt15iterator_traitsISE_E10value_typeEPNSK_ISF_E10value_typeEPSG_NS1_7vsmem_tEENKUlT_SE_SF_SG_E_clIS8_S8_S9_S9_EESD_ST_SE_SF_SG_EUlST_E_NS1_11comp_targetILNS1_3genE2ELNS1_11target_archE906ELNS1_3gpuE6ELNS1_3repE0EEENS1_48merge_mergepath_partition_config_static_selectorELNS0_4arch9wavefront6targetE1EEEvSF_
	.p2align	8
	.type	_ZN7rocprim17ROCPRIM_400000_NS6detail17trampoline_kernelINS0_14default_configENS1_38merge_sort_block_merge_config_selectorIhNS0_10empty_typeEEEZZNS1_27merge_sort_block_merge_implIS3_PhPS5_jNS1_19radix_merge_compareILb0ELb0EhNS0_19identity_decomposerEEEEE10hipError_tT0_T1_T2_jT3_P12ihipStream_tbPNSt15iterator_traitsISE_E10value_typeEPNSK_ISF_E10value_typeEPSG_NS1_7vsmem_tEENKUlT_SE_SF_SG_E_clIS8_S8_S9_S9_EESD_ST_SE_SF_SG_EUlST_E_NS1_11comp_targetILNS1_3genE2ELNS1_11target_archE906ELNS1_3gpuE6ELNS1_3repE0EEENS1_48merge_mergepath_partition_config_static_selectorELNS0_4arch9wavefront6targetE1EEEvSF_,@function
_ZN7rocprim17ROCPRIM_400000_NS6detail17trampoline_kernelINS0_14default_configENS1_38merge_sort_block_merge_config_selectorIhNS0_10empty_typeEEEZZNS1_27merge_sort_block_merge_implIS3_PhPS5_jNS1_19radix_merge_compareILb0ELb0EhNS0_19identity_decomposerEEEEE10hipError_tT0_T1_T2_jT3_P12ihipStream_tbPNSt15iterator_traitsISE_E10value_typeEPNSK_ISF_E10value_typeEPSG_NS1_7vsmem_tEENKUlT_SE_SF_SG_E_clIS8_S8_S9_S9_EESD_ST_SE_SF_SG_EUlST_E_NS1_11comp_targetILNS1_3genE2ELNS1_11target_archE906ELNS1_3gpuE6ELNS1_3repE0EEENS1_48merge_mergepath_partition_config_static_selectorELNS0_4arch9wavefront6targetE1EEEvSF_: ; @_ZN7rocprim17ROCPRIM_400000_NS6detail17trampoline_kernelINS0_14default_configENS1_38merge_sort_block_merge_config_selectorIhNS0_10empty_typeEEEZZNS1_27merge_sort_block_merge_implIS3_PhPS5_jNS1_19radix_merge_compareILb0ELb0EhNS0_19identity_decomposerEEEEE10hipError_tT0_T1_T2_jT3_P12ihipStream_tbPNSt15iterator_traitsISE_E10value_typeEPNSK_ISF_E10value_typeEPSG_NS1_7vsmem_tEENKUlT_SE_SF_SG_E_clIS8_S8_S9_S9_EESD_ST_SE_SF_SG_EUlST_E_NS1_11comp_targetILNS1_3genE2ELNS1_11target_archE906ELNS1_3gpuE6ELNS1_3repE0EEENS1_48merge_mergepath_partition_config_static_selectorELNS0_4arch9wavefront6targetE1EEEvSF_
; %bb.0:
	.section	.rodata,"a",@progbits
	.p2align	6, 0x0
	.amdhsa_kernel _ZN7rocprim17ROCPRIM_400000_NS6detail17trampoline_kernelINS0_14default_configENS1_38merge_sort_block_merge_config_selectorIhNS0_10empty_typeEEEZZNS1_27merge_sort_block_merge_implIS3_PhPS5_jNS1_19radix_merge_compareILb0ELb0EhNS0_19identity_decomposerEEEEE10hipError_tT0_T1_T2_jT3_P12ihipStream_tbPNSt15iterator_traitsISE_E10value_typeEPNSK_ISF_E10value_typeEPSG_NS1_7vsmem_tEENKUlT_SE_SF_SG_E_clIS8_S8_S9_S9_EESD_ST_SE_SF_SG_EUlST_E_NS1_11comp_targetILNS1_3genE2ELNS1_11target_archE906ELNS1_3gpuE6ELNS1_3repE0EEENS1_48merge_mergepath_partition_config_static_selectorELNS0_4arch9wavefront6targetE1EEEvSF_
		.amdhsa_group_segment_fixed_size 0
		.amdhsa_private_segment_fixed_size 0
		.amdhsa_kernarg_size 40
		.amdhsa_user_sgpr_count 6
		.amdhsa_user_sgpr_private_segment_buffer 1
		.amdhsa_user_sgpr_dispatch_ptr 0
		.amdhsa_user_sgpr_queue_ptr 0
		.amdhsa_user_sgpr_kernarg_segment_ptr 1
		.amdhsa_user_sgpr_dispatch_id 0
		.amdhsa_user_sgpr_flat_scratch_init 0
		.amdhsa_user_sgpr_kernarg_preload_length 0
		.amdhsa_user_sgpr_kernarg_preload_offset 0
		.amdhsa_user_sgpr_private_segment_size 0
		.amdhsa_uses_dynamic_stack 0
		.amdhsa_system_sgpr_private_segment_wavefront_offset 0
		.amdhsa_system_sgpr_workgroup_id_x 1
		.amdhsa_system_sgpr_workgroup_id_y 0
		.amdhsa_system_sgpr_workgroup_id_z 0
		.amdhsa_system_sgpr_workgroup_info 0
		.amdhsa_system_vgpr_workitem_id 0
		.amdhsa_next_free_vgpr 1
		.amdhsa_next_free_sgpr 0
		.amdhsa_accum_offset 4
		.amdhsa_reserve_vcc 0
		.amdhsa_reserve_flat_scratch 0
		.amdhsa_float_round_mode_32 0
		.amdhsa_float_round_mode_16_64 0
		.amdhsa_float_denorm_mode_32 3
		.amdhsa_float_denorm_mode_16_64 3
		.amdhsa_dx10_clamp 1
		.amdhsa_ieee_mode 1
		.amdhsa_fp16_overflow 0
		.amdhsa_tg_split 0
		.amdhsa_exception_fp_ieee_invalid_op 0
		.amdhsa_exception_fp_denorm_src 0
		.amdhsa_exception_fp_ieee_div_zero 0
		.amdhsa_exception_fp_ieee_overflow 0
		.amdhsa_exception_fp_ieee_underflow 0
		.amdhsa_exception_fp_ieee_inexact 0
		.amdhsa_exception_int_div_zero 0
	.end_amdhsa_kernel
	.section	.text._ZN7rocprim17ROCPRIM_400000_NS6detail17trampoline_kernelINS0_14default_configENS1_38merge_sort_block_merge_config_selectorIhNS0_10empty_typeEEEZZNS1_27merge_sort_block_merge_implIS3_PhPS5_jNS1_19radix_merge_compareILb0ELb0EhNS0_19identity_decomposerEEEEE10hipError_tT0_T1_T2_jT3_P12ihipStream_tbPNSt15iterator_traitsISE_E10value_typeEPNSK_ISF_E10value_typeEPSG_NS1_7vsmem_tEENKUlT_SE_SF_SG_E_clIS8_S8_S9_S9_EESD_ST_SE_SF_SG_EUlST_E_NS1_11comp_targetILNS1_3genE2ELNS1_11target_archE906ELNS1_3gpuE6ELNS1_3repE0EEENS1_48merge_mergepath_partition_config_static_selectorELNS0_4arch9wavefront6targetE1EEEvSF_,"axG",@progbits,_ZN7rocprim17ROCPRIM_400000_NS6detail17trampoline_kernelINS0_14default_configENS1_38merge_sort_block_merge_config_selectorIhNS0_10empty_typeEEEZZNS1_27merge_sort_block_merge_implIS3_PhPS5_jNS1_19radix_merge_compareILb0ELb0EhNS0_19identity_decomposerEEEEE10hipError_tT0_T1_T2_jT3_P12ihipStream_tbPNSt15iterator_traitsISE_E10value_typeEPNSK_ISF_E10value_typeEPSG_NS1_7vsmem_tEENKUlT_SE_SF_SG_E_clIS8_S8_S9_S9_EESD_ST_SE_SF_SG_EUlST_E_NS1_11comp_targetILNS1_3genE2ELNS1_11target_archE906ELNS1_3gpuE6ELNS1_3repE0EEENS1_48merge_mergepath_partition_config_static_selectorELNS0_4arch9wavefront6targetE1EEEvSF_,comdat
.Lfunc_end251:
	.size	_ZN7rocprim17ROCPRIM_400000_NS6detail17trampoline_kernelINS0_14default_configENS1_38merge_sort_block_merge_config_selectorIhNS0_10empty_typeEEEZZNS1_27merge_sort_block_merge_implIS3_PhPS5_jNS1_19radix_merge_compareILb0ELb0EhNS0_19identity_decomposerEEEEE10hipError_tT0_T1_T2_jT3_P12ihipStream_tbPNSt15iterator_traitsISE_E10value_typeEPNSK_ISF_E10value_typeEPSG_NS1_7vsmem_tEENKUlT_SE_SF_SG_E_clIS8_S8_S9_S9_EESD_ST_SE_SF_SG_EUlST_E_NS1_11comp_targetILNS1_3genE2ELNS1_11target_archE906ELNS1_3gpuE6ELNS1_3repE0EEENS1_48merge_mergepath_partition_config_static_selectorELNS0_4arch9wavefront6targetE1EEEvSF_, .Lfunc_end251-_ZN7rocprim17ROCPRIM_400000_NS6detail17trampoline_kernelINS0_14default_configENS1_38merge_sort_block_merge_config_selectorIhNS0_10empty_typeEEEZZNS1_27merge_sort_block_merge_implIS3_PhPS5_jNS1_19radix_merge_compareILb0ELb0EhNS0_19identity_decomposerEEEEE10hipError_tT0_T1_T2_jT3_P12ihipStream_tbPNSt15iterator_traitsISE_E10value_typeEPNSK_ISF_E10value_typeEPSG_NS1_7vsmem_tEENKUlT_SE_SF_SG_E_clIS8_S8_S9_S9_EESD_ST_SE_SF_SG_EUlST_E_NS1_11comp_targetILNS1_3genE2ELNS1_11target_archE906ELNS1_3gpuE6ELNS1_3repE0EEENS1_48merge_mergepath_partition_config_static_selectorELNS0_4arch9wavefront6targetE1EEEvSF_
                                        ; -- End function
	.section	.AMDGPU.csdata,"",@progbits
; Kernel info:
; codeLenInByte = 0
; NumSgprs: 4
; NumVgprs: 0
; NumAgprs: 0
; TotalNumVgprs: 0
; ScratchSize: 0
; MemoryBound: 0
; FloatMode: 240
; IeeeMode: 1
; LDSByteSize: 0 bytes/workgroup (compile time only)
; SGPRBlocks: 0
; VGPRBlocks: 0
; NumSGPRsForWavesPerEU: 4
; NumVGPRsForWavesPerEU: 1
; AccumOffset: 4
; Occupancy: 8
; WaveLimiterHint : 0
; COMPUTE_PGM_RSRC2:SCRATCH_EN: 0
; COMPUTE_PGM_RSRC2:USER_SGPR: 6
; COMPUTE_PGM_RSRC2:TRAP_HANDLER: 0
; COMPUTE_PGM_RSRC2:TGID_X_EN: 1
; COMPUTE_PGM_RSRC2:TGID_Y_EN: 0
; COMPUTE_PGM_RSRC2:TGID_Z_EN: 0
; COMPUTE_PGM_RSRC2:TIDIG_COMP_CNT: 0
; COMPUTE_PGM_RSRC3_GFX90A:ACCUM_OFFSET: 0
; COMPUTE_PGM_RSRC3_GFX90A:TG_SPLIT: 0
	.section	.text._ZN7rocprim17ROCPRIM_400000_NS6detail17trampoline_kernelINS0_14default_configENS1_38merge_sort_block_merge_config_selectorIhNS0_10empty_typeEEEZZNS1_27merge_sort_block_merge_implIS3_PhPS5_jNS1_19radix_merge_compareILb0ELb0EhNS0_19identity_decomposerEEEEE10hipError_tT0_T1_T2_jT3_P12ihipStream_tbPNSt15iterator_traitsISE_E10value_typeEPNSK_ISF_E10value_typeEPSG_NS1_7vsmem_tEENKUlT_SE_SF_SG_E_clIS8_S8_S9_S9_EESD_ST_SE_SF_SG_EUlST_E_NS1_11comp_targetILNS1_3genE9ELNS1_11target_archE1100ELNS1_3gpuE3ELNS1_3repE0EEENS1_48merge_mergepath_partition_config_static_selectorELNS0_4arch9wavefront6targetE1EEEvSF_,"axG",@progbits,_ZN7rocprim17ROCPRIM_400000_NS6detail17trampoline_kernelINS0_14default_configENS1_38merge_sort_block_merge_config_selectorIhNS0_10empty_typeEEEZZNS1_27merge_sort_block_merge_implIS3_PhPS5_jNS1_19radix_merge_compareILb0ELb0EhNS0_19identity_decomposerEEEEE10hipError_tT0_T1_T2_jT3_P12ihipStream_tbPNSt15iterator_traitsISE_E10value_typeEPNSK_ISF_E10value_typeEPSG_NS1_7vsmem_tEENKUlT_SE_SF_SG_E_clIS8_S8_S9_S9_EESD_ST_SE_SF_SG_EUlST_E_NS1_11comp_targetILNS1_3genE9ELNS1_11target_archE1100ELNS1_3gpuE3ELNS1_3repE0EEENS1_48merge_mergepath_partition_config_static_selectorELNS0_4arch9wavefront6targetE1EEEvSF_,comdat
	.protected	_ZN7rocprim17ROCPRIM_400000_NS6detail17trampoline_kernelINS0_14default_configENS1_38merge_sort_block_merge_config_selectorIhNS0_10empty_typeEEEZZNS1_27merge_sort_block_merge_implIS3_PhPS5_jNS1_19radix_merge_compareILb0ELb0EhNS0_19identity_decomposerEEEEE10hipError_tT0_T1_T2_jT3_P12ihipStream_tbPNSt15iterator_traitsISE_E10value_typeEPNSK_ISF_E10value_typeEPSG_NS1_7vsmem_tEENKUlT_SE_SF_SG_E_clIS8_S8_S9_S9_EESD_ST_SE_SF_SG_EUlST_E_NS1_11comp_targetILNS1_3genE9ELNS1_11target_archE1100ELNS1_3gpuE3ELNS1_3repE0EEENS1_48merge_mergepath_partition_config_static_selectorELNS0_4arch9wavefront6targetE1EEEvSF_ ; -- Begin function _ZN7rocprim17ROCPRIM_400000_NS6detail17trampoline_kernelINS0_14default_configENS1_38merge_sort_block_merge_config_selectorIhNS0_10empty_typeEEEZZNS1_27merge_sort_block_merge_implIS3_PhPS5_jNS1_19radix_merge_compareILb0ELb0EhNS0_19identity_decomposerEEEEE10hipError_tT0_T1_T2_jT3_P12ihipStream_tbPNSt15iterator_traitsISE_E10value_typeEPNSK_ISF_E10value_typeEPSG_NS1_7vsmem_tEENKUlT_SE_SF_SG_E_clIS8_S8_S9_S9_EESD_ST_SE_SF_SG_EUlST_E_NS1_11comp_targetILNS1_3genE9ELNS1_11target_archE1100ELNS1_3gpuE3ELNS1_3repE0EEENS1_48merge_mergepath_partition_config_static_selectorELNS0_4arch9wavefront6targetE1EEEvSF_
	.globl	_ZN7rocprim17ROCPRIM_400000_NS6detail17trampoline_kernelINS0_14default_configENS1_38merge_sort_block_merge_config_selectorIhNS0_10empty_typeEEEZZNS1_27merge_sort_block_merge_implIS3_PhPS5_jNS1_19radix_merge_compareILb0ELb0EhNS0_19identity_decomposerEEEEE10hipError_tT0_T1_T2_jT3_P12ihipStream_tbPNSt15iterator_traitsISE_E10value_typeEPNSK_ISF_E10value_typeEPSG_NS1_7vsmem_tEENKUlT_SE_SF_SG_E_clIS8_S8_S9_S9_EESD_ST_SE_SF_SG_EUlST_E_NS1_11comp_targetILNS1_3genE9ELNS1_11target_archE1100ELNS1_3gpuE3ELNS1_3repE0EEENS1_48merge_mergepath_partition_config_static_selectorELNS0_4arch9wavefront6targetE1EEEvSF_
	.p2align	8
	.type	_ZN7rocprim17ROCPRIM_400000_NS6detail17trampoline_kernelINS0_14default_configENS1_38merge_sort_block_merge_config_selectorIhNS0_10empty_typeEEEZZNS1_27merge_sort_block_merge_implIS3_PhPS5_jNS1_19radix_merge_compareILb0ELb0EhNS0_19identity_decomposerEEEEE10hipError_tT0_T1_T2_jT3_P12ihipStream_tbPNSt15iterator_traitsISE_E10value_typeEPNSK_ISF_E10value_typeEPSG_NS1_7vsmem_tEENKUlT_SE_SF_SG_E_clIS8_S8_S9_S9_EESD_ST_SE_SF_SG_EUlST_E_NS1_11comp_targetILNS1_3genE9ELNS1_11target_archE1100ELNS1_3gpuE3ELNS1_3repE0EEENS1_48merge_mergepath_partition_config_static_selectorELNS0_4arch9wavefront6targetE1EEEvSF_,@function
_ZN7rocprim17ROCPRIM_400000_NS6detail17trampoline_kernelINS0_14default_configENS1_38merge_sort_block_merge_config_selectorIhNS0_10empty_typeEEEZZNS1_27merge_sort_block_merge_implIS3_PhPS5_jNS1_19radix_merge_compareILb0ELb0EhNS0_19identity_decomposerEEEEE10hipError_tT0_T1_T2_jT3_P12ihipStream_tbPNSt15iterator_traitsISE_E10value_typeEPNSK_ISF_E10value_typeEPSG_NS1_7vsmem_tEENKUlT_SE_SF_SG_E_clIS8_S8_S9_S9_EESD_ST_SE_SF_SG_EUlST_E_NS1_11comp_targetILNS1_3genE9ELNS1_11target_archE1100ELNS1_3gpuE3ELNS1_3repE0EEENS1_48merge_mergepath_partition_config_static_selectorELNS0_4arch9wavefront6targetE1EEEvSF_: ; @_ZN7rocprim17ROCPRIM_400000_NS6detail17trampoline_kernelINS0_14default_configENS1_38merge_sort_block_merge_config_selectorIhNS0_10empty_typeEEEZZNS1_27merge_sort_block_merge_implIS3_PhPS5_jNS1_19radix_merge_compareILb0ELb0EhNS0_19identity_decomposerEEEEE10hipError_tT0_T1_T2_jT3_P12ihipStream_tbPNSt15iterator_traitsISE_E10value_typeEPNSK_ISF_E10value_typeEPSG_NS1_7vsmem_tEENKUlT_SE_SF_SG_E_clIS8_S8_S9_S9_EESD_ST_SE_SF_SG_EUlST_E_NS1_11comp_targetILNS1_3genE9ELNS1_11target_archE1100ELNS1_3gpuE3ELNS1_3repE0EEENS1_48merge_mergepath_partition_config_static_selectorELNS0_4arch9wavefront6targetE1EEEvSF_
; %bb.0:
	.section	.rodata,"a",@progbits
	.p2align	6, 0x0
	.amdhsa_kernel _ZN7rocprim17ROCPRIM_400000_NS6detail17trampoline_kernelINS0_14default_configENS1_38merge_sort_block_merge_config_selectorIhNS0_10empty_typeEEEZZNS1_27merge_sort_block_merge_implIS3_PhPS5_jNS1_19radix_merge_compareILb0ELb0EhNS0_19identity_decomposerEEEEE10hipError_tT0_T1_T2_jT3_P12ihipStream_tbPNSt15iterator_traitsISE_E10value_typeEPNSK_ISF_E10value_typeEPSG_NS1_7vsmem_tEENKUlT_SE_SF_SG_E_clIS8_S8_S9_S9_EESD_ST_SE_SF_SG_EUlST_E_NS1_11comp_targetILNS1_3genE9ELNS1_11target_archE1100ELNS1_3gpuE3ELNS1_3repE0EEENS1_48merge_mergepath_partition_config_static_selectorELNS0_4arch9wavefront6targetE1EEEvSF_
		.amdhsa_group_segment_fixed_size 0
		.amdhsa_private_segment_fixed_size 0
		.amdhsa_kernarg_size 40
		.amdhsa_user_sgpr_count 6
		.amdhsa_user_sgpr_private_segment_buffer 1
		.amdhsa_user_sgpr_dispatch_ptr 0
		.amdhsa_user_sgpr_queue_ptr 0
		.amdhsa_user_sgpr_kernarg_segment_ptr 1
		.amdhsa_user_sgpr_dispatch_id 0
		.amdhsa_user_sgpr_flat_scratch_init 0
		.amdhsa_user_sgpr_kernarg_preload_length 0
		.amdhsa_user_sgpr_kernarg_preload_offset 0
		.amdhsa_user_sgpr_private_segment_size 0
		.amdhsa_uses_dynamic_stack 0
		.amdhsa_system_sgpr_private_segment_wavefront_offset 0
		.amdhsa_system_sgpr_workgroup_id_x 1
		.amdhsa_system_sgpr_workgroup_id_y 0
		.amdhsa_system_sgpr_workgroup_id_z 0
		.amdhsa_system_sgpr_workgroup_info 0
		.amdhsa_system_vgpr_workitem_id 0
		.amdhsa_next_free_vgpr 1
		.amdhsa_next_free_sgpr 0
		.amdhsa_accum_offset 4
		.amdhsa_reserve_vcc 0
		.amdhsa_reserve_flat_scratch 0
		.amdhsa_float_round_mode_32 0
		.amdhsa_float_round_mode_16_64 0
		.amdhsa_float_denorm_mode_32 3
		.amdhsa_float_denorm_mode_16_64 3
		.amdhsa_dx10_clamp 1
		.amdhsa_ieee_mode 1
		.amdhsa_fp16_overflow 0
		.amdhsa_tg_split 0
		.amdhsa_exception_fp_ieee_invalid_op 0
		.amdhsa_exception_fp_denorm_src 0
		.amdhsa_exception_fp_ieee_div_zero 0
		.amdhsa_exception_fp_ieee_overflow 0
		.amdhsa_exception_fp_ieee_underflow 0
		.amdhsa_exception_fp_ieee_inexact 0
		.amdhsa_exception_int_div_zero 0
	.end_amdhsa_kernel
	.section	.text._ZN7rocprim17ROCPRIM_400000_NS6detail17trampoline_kernelINS0_14default_configENS1_38merge_sort_block_merge_config_selectorIhNS0_10empty_typeEEEZZNS1_27merge_sort_block_merge_implIS3_PhPS5_jNS1_19radix_merge_compareILb0ELb0EhNS0_19identity_decomposerEEEEE10hipError_tT0_T1_T2_jT3_P12ihipStream_tbPNSt15iterator_traitsISE_E10value_typeEPNSK_ISF_E10value_typeEPSG_NS1_7vsmem_tEENKUlT_SE_SF_SG_E_clIS8_S8_S9_S9_EESD_ST_SE_SF_SG_EUlST_E_NS1_11comp_targetILNS1_3genE9ELNS1_11target_archE1100ELNS1_3gpuE3ELNS1_3repE0EEENS1_48merge_mergepath_partition_config_static_selectorELNS0_4arch9wavefront6targetE1EEEvSF_,"axG",@progbits,_ZN7rocprim17ROCPRIM_400000_NS6detail17trampoline_kernelINS0_14default_configENS1_38merge_sort_block_merge_config_selectorIhNS0_10empty_typeEEEZZNS1_27merge_sort_block_merge_implIS3_PhPS5_jNS1_19radix_merge_compareILb0ELb0EhNS0_19identity_decomposerEEEEE10hipError_tT0_T1_T2_jT3_P12ihipStream_tbPNSt15iterator_traitsISE_E10value_typeEPNSK_ISF_E10value_typeEPSG_NS1_7vsmem_tEENKUlT_SE_SF_SG_E_clIS8_S8_S9_S9_EESD_ST_SE_SF_SG_EUlST_E_NS1_11comp_targetILNS1_3genE9ELNS1_11target_archE1100ELNS1_3gpuE3ELNS1_3repE0EEENS1_48merge_mergepath_partition_config_static_selectorELNS0_4arch9wavefront6targetE1EEEvSF_,comdat
.Lfunc_end252:
	.size	_ZN7rocprim17ROCPRIM_400000_NS6detail17trampoline_kernelINS0_14default_configENS1_38merge_sort_block_merge_config_selectorIhNS0_10empty_typeEEEZZNS1_27merge_sort_block_merge_implIS3_PhPS5_jNS1_19radix_merge_compareILb0ELb0EhNS0_19identity_decomposerEEEEE10hipError_tT0_T1_T2_jT3_P12ihipStream_tbPNSt15iterator_traitsISE_E10value_typeEPNSK_ISF_E10value_typeEPSG_NS1_7vsmem_tEENKUlT_SE_SF_SG_E_clIS8_S8_S9_S9_EESD_ST_SE_SF_SG_EUlST_E_NS1_11comp_targetILNS1_3genE9ELNS1_11target_archE1100ELNS1_3gpuE3ELNS1_3repE0EEENS1_48merge_mergepath_partition_config_static_selectorELNS0_4arch9wavefront6targetE1EEEvSF_, .Lfunc_end252-_ZN7rocprim17ROCPRIM_400000_NS6detail17trampoline_kernelINS0_14default_configENS1_38merge_sort_block_merge_config_selectorIhNS0_10empty_typeEEEZZNS1_27merge_sort_block_merge_implIS3_PhPS5_jNS1_19radix_merge_compareILb0ELb0EhNS0_19identity_decomposerEEEEE10hipError_tT0_T1_T2_jT3_P12ihipStream_tbPNSt15iterator_traitsISE_E10value_typeEPNSK_ISF_E10value_typeEPSG_NS1_7vsmem_tEENKUlT_SE_SF_SG_E_clIS8_S8_S9_S9_EESD_ST_SE_SF_SG_EUlST_E_NS1_11comp_targetILNS1_3genE9ELNS1_11target_archE1100ELNS1_3gpuE3ELNS1_3repE0EEENS1_48merge_mergepath_partition_config_static_selectorELNS0_4arch9wavefront6targetE1EEEvSF_
                                        ; -- End function
	.section	.AMDGPU.csdata,"",@progbits
; Kernel info:
; codeLenInByte = 0
; NumSgprs: 4
; NumVgprs: 0
; NumAgprs: 0
; TotalNumVgprs: 0
; ScratchSize: 0
; MemoryBound: 0
; FloatMode: 240
; IeeeMode: 1
; LDSByteSize: 0 bytes/workgroup (compile time only)
; SGPRBlocks: 0
; VGPRBlocks: 0
; NumSGPRsForWavesPerEU: 4
; NumVGPRsForWavesPerEU: 1
; AccumOffset: 4
; Occupancy: 8
; WaveLimiterHint : 0
; COMPUTE_PGM_RSRC2:SCRATCH_EN: 0
; COMPUTE_PGM_RSRC2:USER_SGPR: 6
; COMPUTE_PGM_RSRC2:TRAP_HANDLER: 0
; COMPUTE_PGM_RSRC2:TGID_X_EN: 1
; COMPUTE_PGM_RSRC2:TGID_Y_EN: 0
; COMPUTE_PGM_RSRC2:TGID_Z_EN: 0
; COMPUTE_PGM_RSRC2:TIDIG_COMP_CNT: 0
; COMPUTE_PGM_RSRC3_GFX90A:ACCUM_OFFSET: 0
; COMPUTE_PGM_RSRC3_GFX90A:TG_SPLIT: 0
	.section	.text._ZN7rocprim17ROCPRIM_400000_NS6detail17trampoline_kernelINS0_14default_configENS1_38merge_sort_block_merge_config_selectorIhNS0_10empty_typeEEEZZNS1_27merge_sort_block_merge_implIS3_PhPS5_jNS1_19radix_merge_compareILb0ELb0EhNS0_19identity_decomposerEEEEE10hipError_tT0_T1_T2_jT3_P12ihipStream_tbPNSt15iterator_traitsISE_E10value_typeEPNSK_ISF_E10value_typeEPSG_NS1_7vsmem_tEENKUlT_SE_SF_SG_E_clIS8_S8_S9_S9_EESD_ST_SE_SF_SG_EUlST_E_NS1_11comp_targetILNS1_3genE8ELNS1_11target_archE1030ELNS1_3gpuE2ELNS1_3repE0EEENS1_48merge_mergepath_partition_config_static_selectorELNS0_4arch9wavefront6targetE1EEEvSF_,"axG",@progbits,_ZN7rocprim17ROCPRIM_400000_NS6detail17trampoline_kernelINS0_14default_configENS1_38merge_sort_block_merge_config_selectorIhNS0_10empty_typeEEEZZNS1_27merge_sort_block_merge_implIS3_PhPS5_jNS1_19radix_merge_compareILb0ELb0EhNS0_19identity_decomposerEEEEE10hipError_tT0_T1_T2_jT3_P12ihipStream_tbPNSt15iterator_traitsISE_E10value_typeEPNSK_ISF_E10value_typeEPSG_NS1_7vsmem_tEENKUlT_SE_SF_SG_E_clIS8_S8_S9_S9_EESD_ST_SE_SF_SG_EUlST_E_NS1_11comp_targetILNS1_3genE8ELNS1_11target_archE1030ELNS1_3gpuE2ELNS1_3repE0EEENS1_48merge_mergepath_partition_config_static_selectorELNS0_4arch9wavefront6targetE1EEEvSF_,comdat
	.protected	_ZN7rocprim17ROCPRIM_400000_NS6detail17trampoline_kernelINS0_14default_configENS1_38merge_sort_block_merge_config_selectorIhNS0_10empty_typeEEEZZNS1_27merge_sort_block_merge_implIS3_PhPS5_jNS1_19radix_merge_compareILb0ELb0EhNS0_19identity_decomposerEEEEE10hipError_tT0_T1_T2_jT3_P12ihipStream_tbPNSt15iterator_traitsISE_E10value_typeEPNSK_ISF_E10value_typeEPSG_NS1_7vsmem_tEENKUlT_SE_SF_SG_E_clIS8_S8_S9_S9_EESD_ST_SE_SF_SG_EUlST_E_NS1_11comp_targetILNS1_3genE8ELNS1_11target_archE1030ELNS1_3gpuE2ELNS1_3repE0EEENS1_48merge_mergepath_partition_config_static_selectorELNS0_4arch9wavefront6targetE1EEEvSF_ ; -- Begin function _ZN7rocprim17ROCPRIM_400000_NS6detail17trampoline_kernelINS0_14default_configENS1_38merge_sort_block_merge_config_selectorIhNS0_10empty_typeEEEZZNS1_27merge_sort_block_merge_implIS3_PhPS5_jNS1_19radix_merge_compareILb0ELb0EhNS0_19identity_decomposerEEEEE10hipError_tT0_T1_T2_jT3_P12ihipStream_tbPNSt15iterator_traitsISE_E10value_typeEPNSK_ISF_E10value_typeEPSG_NS1_7vsmem_tEENKUlT_SE_SF_SG_E_clIS8_S8_S9_S9_EESD_ST_SE_SF_SG_EUlST_E_NS1_11comp_targetILNS1_3genE8ELNS1_11target_archE1030ELNS1_3gpuE2ELNS1_3repE0EEENS1_48merge_mergepath_partition_config_static_selectorELNS0_4arch9wavefront6targetE1EEEvSF_
	.globl	_ZN7rocprim17ROCPRIM_400000_NS6detail17trampoline_kernelINS0_14default_configENS1_38merge_sort_block_merge_config_selectorIhNS0_10empty_typeEEEZZNS1_27merge_sort_block_merge_implIS3_PhPS5_jNS1_19radix_merge_compareILb0ELb0EhNS0_19identity_decomposerEEEEE10hipError_tT0_T1_T2_jT3_P12ihipStream_tbPNSt15iterator_traitsISE_E10value_typeEPNSK_ISF_E10value_typeEPSG_NS1_7vsmem_tEENKUlT_SE_SF_SG_E_clIS8_S8_S9_S9_EESD_ST_SE_SF_SG_EUlST_E_NS1_11comp_targetILNS1_3genE8ELNS1_11target_archE1030ELNS1_3gpuE2ELNS1_3repE0EEENS1_48merge_mergepath_partition_config_static_selectorELNS0_4arch9wavefront6targetE1EEEvSF_
	.p2align	8
	.type	_ZN7rocprim17ROCPRIM_400000_NS6detail17trampoline_kernelINS0_14default_configENS1_38merge_sort_block_merge_config_selectorIhNS0_10empty_typeEEEZZNS1_27merge_sort_block_merge_implIS3_PhPS5_jNS1_19radix_merge_compareILb0ELb0EhNS0_19identity_decomposerEEEEE10hipError_tT0_T1_T2_jT3_P12ihipStream_tbPNSt15iterator_traitsISE_E10value_typeEPNSK_ISF_E10value_typeEPSG_NS1_7vsmem_tEENKUlT_SE_SF_SG_E_clIS8_S8_S9_S9_EESD_ST_SE_SF_SG_EUlST_E_NS1_11comp_targetILNS1_3genE8ELNS1_11target_archE1030ELNS1_3gpuE2ELNS1_3repE0EEENS1_48merge_mergepath_partition_config_static_selectorELNS0_4arch9wavefront6targetE1EEEvSF_,@function
_ZN7rocprim17ROCPRIM_400000_NS6detail17trampoline_kernelINS0_14default_configENS1_38merge_sort_block_merge_config_selectorIhNS0_10empty_typeEEEZZNS1_27merge_sort_block_merge_implIS3_PhPS5_jNS1_19radix_merge_compareILb0ELb0EhNS0_19identity_decomposerEEEEE10hipError_tT0_T1_T2_jT3_P12ihipStream_tbPNSt15iterator_traitsISE_E10value_typeEPNSK_ISF_E10value_typeEPSG_NS1_7vsmem_tEENKUlT_SE_SF_SG_E_clIS8_S8_S9_S9_EESD_ST_SE_SF_SG_EUlST_E_NS1_11comp_targetILNS1_3genE8ELNS1_11target_archE1030ELNS1_3gpuE2ELNS1_3repE0EEENS1_48merge_mergepath_partition_config_static_selectorELNS0_4arch9wavefront6targetE1EEEvSF_: ; @_ZN7rocprim17ROCPRIM_400000_NS6detail17trampoline_kernelINS0_14default_configENS1_38merge_sort_block_merge_config_selectorIhNS0_10empty_typeEEEZZNS1_27merge_sort_block_merge_implIS3_PhPS5_jNS1_19radix_merge_compareILb0ELb0EhNS0_19identity_decomposerEEEEE10hipError_tT0_T1_T2_jT3_P12ihipStream_tbPNSt15iterator_traitsISE_E10value_typeEPNSK_ISF_E10value_typeEPSG_NS1_7vsmem_tEENKUlT_SE_SF_SG_E_clIS8_S8_S9_S9_EESD_ST_SE_SF_SG_EUlST_E_NS1_11comp_targetILNS1_3genE8ELNS1_11target_archE1030ELNS1_3gpuE2ELNS1_3repE0EEENS1_48merge_mergepath_partition_config_static_selectorELNS0_4arch9wavefront6targetE1EEEvSF_
; %bb.0:
	.section	.rodata,"a",@progbits
	.p2align	6, 0x0
	.amdhsa_kernel _ZN7rocprim17ROCPRIM_400000_NS6detail17trampoline_kernelINS0_14default_configENS1_38merge_sort_block_merge_config_selectorIhNS0_10empty_typeEEEZZNS1_27merge_sort_block_merge_implIS3_PhPS5_jNS1_19radix_merge_compareILb0ELb0EhNS0_19identity_decomposerEEEEE10hipError_tT0_T1_T2_jT3_P12ihipStream_tbPNSt15iterator_traitsISE_E10value_typeEPNSK_ISF_E10value_typeEPSG_NS1_7vsmem_tEENKUlT_SE_SF_SG_E_clIS8_S8_S9_S9_EESD_ST_SE_SF_SG_EUlST_E_NS1_11comp_targetILNS1_3genE8ELNS1_11target_archE1030ELNS1_3gpuE2ELNS1_3repE0EEENS1_48merge_mergepath_partition_config_static_selectorELNS0_4arch9wavefront6targetE1EEEvSF_
		.amdhsa_group_segment_fixed_size 0
		.amdhsa_private_segment_fixed_size 0
		.amdhsa_kernarg_size 40
		.amdhsa_user_sgpr_count 6
		.amdhsa_user_sgpr_private_segment_buffer 1
		.amdhsa_user_sgpr_dispatch_ptr 0
		.amdhsa_user_sgpr_queue_ptr 0
		.amdhsa_user_sgpr_kernarg_segment_ptr 1
		.amdhsa_user_sgpr_dispatch_id 0
		.amdhsa_user_sgpr_flat_scratch_init 0
		.amdhsa_user_sgpr_kernarg_preload_length 0
		.amdhsa_user_sgpr_kernarg_preload_offset 0
		.amdhsa_user_sgpr_private_segment_size 0
		.amdhsa_uses_dynamic_stack 0
		.amdhsa_system_sgpr_private_segment_wavefront_offset 0
		.amdhsa_system_sgpr_workgroup_id_x 1
		.amdhsa_system_sgpr_workgroup_id_y 0
		.amdhsa_system_sgpr_workgroup_id_z 0
		.amdhsa_system_sgpr_workgroup_info 0
		.amdhsa_system_vgpr_workitem_id 0
		.amdhsa_next_free_vgpr 1
		.amdhsa_next_free_sgpr 0
		.amdhsa_accum_offset 4
		.amdhsa_reserve_vcc 0
		.amdhsa_reserve_flat_scratch 0
		.amdhsa_float_round_mode_32 0
		.amdhsa_float_round_mode_16_64 0
		.amdhsa_float_denorm_mode_32 3
		.amdhsa_float_denorm_mode_16_64 3
		.amdhsa_dx10_clamp 1
		.amdhsa_ieee_mode 1
		.amdhsa_fp16_overflow 0
		.amdhsa_tg_split 0
		.amdhsa_exception_fp_ieee_invalid_op 0
		.amdhsa_exception_fp_denorm_src 0
		.amdhsa_exception_fp_ieee_div_zero 0
		.amdhsa_exception_fp_ieee_overflow 0
		.amdhsa_exception_fp_ieee_underflow 0
		.amdhsa_exception_fp_ieee_inexact 0
		.amdhsa_exception_int_div_zero 0
	.end_amdhsa_kernel
	.section	.text._ZN7rocprim17ROCPRIM_400000_NS6detail17trampoline_kernelINS0_14default_configENS1_38merge_sort_block_merge_config_selectorIhNS0_10empty_typeEEEZZNS1_27merge_sort_block_merge_implIS3_PhPS5_jNS1_19radix_merge_compareILb0ELb0EhNS0_19identity_decomposerEEEEE10hipError_tT0_T1_T2_jT3_P12ihipStream_tbPNSt15iterator_traitsISE_E10value_typeEPNSK_ISF_E10value_typeEPSG_NS1_7vsmem_tEENKUlT_SE_SF_SG_E_clIS8_S8_S9_S9_EESD_ST_SE_SF_SG_EUlST_E_NS1_11comp_targetILNS1_3genE8ELNS1_11target_archE1030ELNS1_3gpuE2ELNS1_3repE0EEENS1_48merge_mergepath_partition_config_static_selectorELNS0_4arch9wavefront6targetE1EEEvSF_,"axG",@progbits,_ZN7rocprim17ROCPRIM_400000_NS6detail17trampoline_kernelINS0_14default_configENS1_38merge_sort_block_merge_config_selectorIhNS0_10empty_typeEEEZZNS1_27merge_sort_block_merge_implIS3_PhPS5_jNS1_19radix_merge_compareILb0ELb0EhNS0_19identity_decomposerEEEEE10hipError_tT0_T1_T2_jT3_P12ihipStream_tbPNSt15iterator_traitsISE_E10value_typeEPNSK_ISF_E10value_typeEPSG_NS1_7vsmem_tEENKUlT_SE_SF_SG_E_clIS8_S8_S9_S9_EESD_ST_SE_SF_SG_EUlST_E_NS1_11comp_targetILNS1_3genE8ELNS1_11target_archE1030ELNS1_3gpuE2ELNS1_3repE0EEENS1_48merge_mergepath_partition_config_static_selectorELNS0_4arch9wavefront6targetE1EEEvSF_,comdat
.Lfunc_end253:
	.size	_ZN7rocprim17ROCPRIM_400000_NS6detail17trampoline_kernelINS0_14default_configENS1_38merge_sort_block_merge_config_selectorIhNS0_10empty_typeEEEZZNS1_27merge_sort_block_merge_implIS3_PhPS5_jNS1_19radix_merge_compareILb0ELb0EhNS0_19identity_decomposerEEEEE10hipError_tT0_T1_T2_jT3_P12ihipStream_tbPNSt15iterator_traitsISE_E10value_typeEPNSK_ISF_E10value_typeEPSG_NS1_7vsmem_tEENKUlT_SE_SF_SG_E_clIS8_S8_S9_S9_EESD_ST_SE_SF_SG_EUlST_E_NS1_11comp_targetILNS1_3genE8ELNS1_11target_archE1030ELNS1_3gpuE2ELNS1_3repE0EEENS1_48merge_mergepath_partition_config_static_selectorELNS0_4arch9wavefront6targetE1EEEvSF_, .Lfunc_end253-_ZN7rocprim17ROCPRIM_400000_NS6detail17trampoline_kernelINS0_14default_configENS1_38merge_sort_block_merge_config_selectorIhNS0_10empty_typeEEEZZNS1_27merge_sort_block_merge_implIS3_PhPS5_jNS1_19radix_merge_compareILb0ELb0EhNS0_19identity_decomposerEEEEE10hipError_tT0_T1_T2_jT3_P12ihipStream_tbPNSt15iterator_traitsISE_E10value_typeEPNSK_ISF_E10value_typeEPSG_NS1_7vsmem_tEENKUlT_SE_SF_SG_E_clIS8_S8_S9_S9_EESD_ST_SE_SF_SG_EUlST_E_NS1_11comp_targetILNS1_3genE8ELNS1_11target_archE1030ELNS1_3gpuE2ELNS1_3repE0EEENS1_48merge_mergepath_partition_config_static_selectorELNS0_4arch9wavefront6targetE1EEEvSF_
                                        ; -- End function
	.section	.AMDGPU.csdata,"",@progbits
; Kernel info:
; codeLenInByte = 0
; NumSgprs: 4
; NumVgprs: 0
; NumAgprs: 0
; TotalNumVgprs: 0
; ScratchSize: 0
; MemoryBound: 0
; FloatMode: 240
; IeeeMode: 1
; LDSByteSize: 0 bytes/workgroup (compile time only)
; SGPRBlocks: 0
; VGPRBlocks: 0
; NumSGPRsForWavesPerEU: 4
; NumVGPRsForWavesPerEU: 1
; AccumOffset: 4
; Occupancy: 8
; WaveLimiterHint : 0
; COMPUTE_PGM_RSRC2:SCRATCH_EN: 0
; COMPUTE_PGM_RSRC2:USER_SGPR: 6
; COMPUTE_PGM_RSRC2:TRAP_HANDLER: 0
; COMPUTE_PGM_RSRC2:TGID_X_EN: 1
; COMPUTE_PGM_RSRC2:TGID_Y_EN: 0
; COMPUTE_PGM_RSRC2:TGID_Z_EN: 0
; COMPUTE_PGM_RSRC2:TIDIG_COMP_CNT: 0
; COMPUTE_PGM_RSRC3_GFX90A:ACCUM_OFFSET: 0
; COMPUTE_PGM_RSRC3_GFX90A:TG_SPLIT: 0
	.section	.text._ZN7rocprim17ROCPRIM_400000_NS6detail17trampoline_kernelINS0_14default_configENS1_38merge_sort_block_merge_config_selectorIhNS0_10empty_typeEEEZZNS1_27merge_sort_block_merge_implIS3_PhPS5_jNS1_19radix_merge_compareILb0ELb0EhNS0_19identity_decomposerEEEEE10hipError_tT0_T1_T2_jT3_P12ihipStream_tbPNSt15iterator_traitsISE_E10value_typeEPNSK_ISF_E10value_typeEPSG_NS1_7vsmem_tEENKUlT_SE_SF_SG_E_clIS8_S8_S9_S9_EESD_ST_SE_SF_SG_EUlST_E0_NS1_11comp_targetILNS1_3genE0ELNS1_11target_archE4294967295ELNS1_3gpuE0ELNS1_3repE0EEENS1_38merge_mergepath_config_static_selectorELNS0_4arch9wavefront6targetE1EEEvSF_,"axG",@progbits,_ZN7rocprim17ROCPRIM_400000_NS6detail17trampoline_kernelINS0_14default_configENS1_38merge_sort_block_merge_config_selectorIhNS0_10empty_typeEEEZZNS1_27merge_sort_block_merge_implIS3_PhPS5_jNS1_19radix_merge_compareILb0ELb0EhNS0_19identity_decomposerEEEEE10hipError_tT0_T1_T2_jT3_P12ihipStream_tbPNSt15iterator_traitsISE_E10value_typeEPNSK_ISF_E10value_typeEPSG_NS1_7vsmem_tEENKUlT_SE_SF_SG_E_clIS8_S8_S9_S9_EESD_ST_SE_SF_SG_EUlST_E0_NS1_11comp_targetILNS1_3genE0ELNS1_11target_archE4294967295ELNS1_3gpuE0ELNS1_3repE0EEENS1_38merge_mergepath_config_static_selectorELNS0_4arch9wavefront6targetE1EEEvSF_,comdat
	.protected	_ZN7rocprim17ROCPRIM_400000_NS6detail17trampoline_kernelINS0_14default_configENS1_38merge_sort_block_merge_config_selectorIhNS0_10empty_typeEEEZZNS1_27merge_sort_block_merge_implIS3_PhPS5_jNS1_19radix_merge_compareILb0ELb0EhNS0_19identity_decomposerEEEEE10hipError_tT0_T1_T2_jT3_P12ihipStream_tbPNSt15iterator_traitsISE_E10value_typeEPNSK_ISF_E10value_typeEPSG_NS1_7vsmem_tEENKUlT_SE_SF_SG_E_clIS8_S8_S9_S9_EESD_ST_SE_SF_SG_EUlST_E0_NS1_11comp_targetILNS1_3genE0ELNS1_11target_archE4294967295ELNS1_3gpuE0ELNS1_3repE0EEENS1_38merge_mergepath_config_static_selectorELNS0_4arch9wavefront6targetE1EEEvSF_ ; -- Begin function _ZN7rocprim17ROCPRIM_400000_NS6detail17trampoline_kernelINS0_14default_configENS1_38merge_sort_block_merge_config_selectorIhNS0_10empty_typeEEEZZNS1_27merge_sort_block_merge_implIS3_PhPS5_jNS1_19radix_merge_compareILb0ELb0EhNS0_19identity_decomposerEEEEE10hipError_tT0_T1_T2_jT3_P12ihipStream_tbPNSt15iterator_traitsISE_E10value_typeEPNSK_ISF_E10value_typeEPSG_NS1_7vsmem_tEENKUlT_SE_SF_SG_E_clIS8_S8_S9_S9_EESD_ST_SE_SF_SG_EUlST_E0_NS1_11comp_targetILNS1_3genE0ELNS1_11target_archE4294967295ELNS1_3gpuE0ELNS1_3repE0EEENS1_38merge_mergepath_config_static_selectorELNS0_4arch9wavefront6targetE1EEEvSF_
	.globl	_ZN7rocprim17ROCPRIM_400000_NS6detail17trampoline_kernelINS0_14default_configENS1_38merge_sort_block_merge_config_selectorIhNS0_10empty_typeEEEZZNS1_27merge_sort_block_merge_implIS3_PhPS5_jNS1_19radix_merge_compareILb0ELb0EhNS0_19identity_decomposerEEEEE10hipError_tT0_T1_T2_jT3_P12ihipStream_tbPNSt15iterator_traitsISE_E10value_typeEPNSK_ISF_E10value_typeEPSG_NS1_7vsmem_tEENKUlT_SE_SF_SG_E_clIS8_S8_S9_S9_EESD_ST_SE_SF_SG_EUlST_E0_NS1_11comp_targetILNS1_3genE0ELNS1_11target_archE4294967295ELNS1_3gpuE0ELNS1_3repE0EEENS1_38merge_mergepath_config_static_selectorELNS0_4arch9wavefront6targetE1EEEvSF_
	.p2align	8
	.type	_ZN7rocprim17ROCPRIM_400000_NS6detail17trampoline_kernelINS0_14default_configENS1_38merge_sort_block_merge_config_selectorIhNS0_10empty_typeEEEZZNS1_27merge_sort_block_merge_implIS3_PhPS5_jNS1_19radix_merge_compareILb0ELb0EhNS0_19identity_decomposerEEEEE10hipError_tT0_T1_T2_jT3_P12ihipStream_tbPNSt15iterator_traitsISE_E10value_typeEPNSK_ISF_E10value_typeEPSG_NS1_7vsmem_tEENKUlT_SE_SF_SG_E_clIS8_S8_S9_S9_EESD_ST_SE_SF_SG_EUlST_E0_NS1_11comp_targetILNS1_3genE0ELNS1_11target_archE4294967295ELNS1_3gpuE0ELNS1_3repE0EEENS1_38merge_mergepath_config_static_selectorELNS0_4arch9wavefront6targetE1EEEvSF_,@function
_ZN7rocprim17ROCPRIM_400000_NS6detail17trampoline_kernelINS0_14default_configENS1_38merge_sort_block_merge_config_selectorIhNS0_10empty_typeEEEZZNS1_27merge_sort_block_merge_implIS3_PhPS5_jNS1_19radix_merge_compareILb0ELb0EhNS0_19identity_decomposerEEEEE10hipError_tT0_T1_T2_jT3_P12ihipStream_tbPNSt15iterator_traitsISE_E10value_typeEPNSK_ISF_E10value_typeEPSG_NS1_7vsmem_tEENKUlT_SE_SF_SG_E_clIS8_S8_S9_S9_EESD_ST_SE_SF_SG_EUlST_E0_NS1_11comp_targetILNS1_3genE0ELNS1_11target_archE4294967295ELNS1_3gpuE0ELNS1_3repE0EEENS1_38merge_mergepath_config_static_selectorELNS0_4arch9wavefront6targetE1EEEvSF_: ; @_ZN7rocprim17ROCPRIM_400000_NS6detail17trampoline_kernelINS0_14default_configENS1_38merge_sort_block_merge_config_selectorIhNS0_10empty_typeEEEZZNS1_27merge_sort_block_merge_implIS3_PhPS5_jNS1_19radix_merge_compareILb0ELb0EhNS0_19identity_decomposerEEEEE10hipError_tT0_T1_T2_jT3_P12ihipStream_tbPNSt15iterator_traitsISE_E10value_typeEPNSK_ISF_E10value_typeEPSG_NS1_7vsmem_tEENKUlT_SE_SF_SG_E_clIS8_S8_S9_S9_EESD_ST_SE_SF_SG_EUlST_E0_NS1_11comp_targetILNS1_3genE0ELNS1_11target_archE4294967295ELNS1_3gpuE0ELNS1_3repE0EEENS1_38merge_mergepath_config_static_selectorELNS0_4arch9wavefront6targetE1EEEvSF_
; %bb.0:
	.section	.rodata,"a",@progbits
	.p2align	6, 0x0
	.amdhsa_kernel _ZN7rocprim17ROCPRIM_400000_NS6detail17trampoline_kernelINS0_14default_configENS1_38merge_sort_block_merge_config_selectorIhNS0_10empty_typeEEEZZNS1_27merge_sort_block_merge_implIS3_PhPS5_jNS1_19radix_merge_compareILb0ELb0EhNS0_19identity_decomposerEEEEE10hipError_tT0_T1_T2_jT3_P12ihipStream_tbPNSt15iterator_traitsISE_E10value_typeEPNSK_ISF_E10value_typeEPSG_NS1_7vsmem_tEENKUlT_SE_SF_SG_E_clIS8_S8_S9_S9_EESD_ST_SE_SF_SG_EUlST_E0_NS1_11comp_targetILNS1_3genE0ELNS1_11target_archE4294967295ELNS1_3gpuE0ELNS1_3repE0EEENS1_38merge_mergepath_config_static_selectorELNS0_4arch9wavefront6targetE1EEEvSF_
		.amdhsa_group_segment_fixed_size 0
		.amdhsa_private_segment_fixed_size 0
		.amdhsa_kernarg_size 64
		.amdhsa_user_sgpr_count 6
		.amdhsa_user_sgpr_private_segment_buffer 1
		.amdhsa_user_sgpr_dispatch_ptr 0
		.amdhsa_user_sgpr_queue_ptr 0
		.amdhsa_user_sgpr_kernarg_segment_ptr 1
		.amdhsa_user_sgpr_dispatch_id 0
		.amdhsa_user_sgpr_flat_scratch_init 0
		.amdhsa_user_sgpr_kernarg_preload_length 0
		.amdhsa_user_sgpr_kernarg_preload_offset 0
		.amdhsa_user_sgpr_private_segment_size 0
		.amdhsa_uses_dynamic_stack 0
		.amdhsa_system_sgpr_private_segment_wavefront_offset 0
		.amdhsa_system_sgpr_workgroup_id_x 1
		.amdhsa_system_sgpr_workgroup_id_y 0
		.amdhsa_system_sgpr_workgroup_id_z 0
		.amdhsa_system_sgpr_workgroup_info 0
		.amdhsa_system_vgpr_workitem_id 0
		.amdhsa_next_free_vgpr 1
		.amdhsa_next_free_sgpr 0
		.amdhsa_accum_offset 4
		.amdhsa_reserve_vcc 0
		.amdhsa_reserve_flat_scratch 0
		.amdhsa_float_round_mode_32 0
		.amdhsa_float_round_mode_16_64 0
		.amdhsa_float_denorm_mode_32 3
		.amdhsa_float_denorm_mode_16_64 3
		.amdhsa_dx10_clamp 1
		.amdhsa_ieee_mode 1
		.amdhsa_fp16_overflow 0
		.amdhsa_tg_split 0
		.amdhsa_exception_fp_ieee_invalid_op 0
		.amdhsa_exception_fp_denorm_src 0
		.amdhsa_exception_fp_ieee_div_zero 0
		.amdhsa_exception_fp_ieee_overflow 0
		.amdhsa_exception_fp_ieee_underflow 0
		.amdhsa_exception_fp_ieee_inexact 0
		.amdhsa_exception_int_div_zero 0
	.end_amdhsa_kernel
	.section	.text._ZN7rocprim17ROCPRIM_400000_NS6detail17trampoline_kernelINS0_14default_configENS1_38merge_sort_block_merge_config_selectorIhNS0_10empty_typeEEEZZNS1_27merge_sort_block_merge_implIS3_PhPS5_jNS1_19radix_merge_compareILb0ELb0EhNS0_19identity_decomposerEEEEE10hipError_tT0_T1_T2_jT3_P12ihipStream_tbPNSt15iterator_traitsISE_E10value_typeEPNSK_ISF_E10value_typeEPSG_NS1_7vsmem_tEENKUlT_SE_SF_SG_E_clIS8_S8_S9_S9_EESD_ST_SE_SF_SG_EUlST_E0_NS1_11comp_targetILNS1_3genE0ELNS1_11target_archE4294967295ELNS1_3gpuE0ELNS1_3repE0EEENS1_38merge_mergepath_config_static_selectorELNS0_4arch9wavefront6targetE1EEEvSF_,"axG",@progbits,_ZN7rocprim17ROCPRIM_400000_NS6detail17trampoline_kernelINS0_14default_configENS1_38merge_sort_block_merge_config_selectorIhNS0_10empty_typeEEEZZNS1_27merge_sort_block_merge_implIS3_PhPS5_jNS1_19radix_merge_compareILb0ELb0EhNS0_19identity_decomposerEEEEE10hipError_tT0_T1_T2_jT3_P12ihipStream_tbPNSt15iterator_traitsISE_E10value_typeEPNSK_ISF_E10value_typeEPSG_NS1_7vsmem_tEENKUlT_SE_SF_SG_E_clIS8_S8_S9_S9_EESD_ST_SE_SF_SG_EUlST_E0_NS1_11comp_targetILNS1_3genE0ELNS1_11target_archE4294967295ELNS1_3gpuE0ELNS1_3repE0EEENS1_38merge_mergepath_config_static_selectorELNS0_4arch9wavefront6targetE1EEEvSF_,comdat
.Lfunc_end254:
	.size	_ZN7rocprim17ROCPRIM_400000_NS6detail17trampoline_kernelINS0_14default_configENS1_38merge_sort_block_merge_config_selectorIhNS0_10empty_typeEEEZZNS1_27merge_sort_block_merge_implIS3_PhPS5_jNS1_19radix_merge_compareILb0ELb0EhNS0_19identity_decomposerEEEEE10hipError_tT0_T1_T2_jT3_P12ihipStream_tbPNSt15iterator_traitsISE_E10value_typeEPNSK_ISF_E10value_typeEPSG_NS1_7vsmem_tEENKUlT_SE_SF_SG_E_clIS8_S8_S9_S9_EESD_ST_SE_SF_SG_EUlST_E0_NS1_11comp_targetILNS1_3genE0ELNS1_11target_archE4294967295ELNS1_3gpuE0ELNS1_3repE0EEENS1_38merge_mergepath_config_static_selectorELNS0_4arch9wavefront6targetE1EEEvSF_, .Lfunc_end254-_ZN7rocprim17ROCPRIM_400000_NS6detail17trampoline_kernelINS0_14default_configENS1_38merge_sort_block_merge_config_selectorIhNS0_10empty_typeEEEZZNS1_27merge_sort_block_merge_implIS3_PhPS5_jNS1_19radix_merge_compareILb0ELb0EhNS0_19identity_decomposerEEEEE10hipError_tT0_T1_T2_jT3_P12ihipStream_tbPNSt15iterator_traitsISE_E10value_typeEPNSK_ISF_E10value_typeEPSG_NS1_7vsmem_tEENKUlT_SE_SF_SG_E_clIS8_S8_S9_S9_EESD_ST_SE_SF_SG_EUlST_E0_NS1_11comp_targetILNS1_3genE0ELNS1_11target_archE4294967295ELNS1_3gpuE0ELNS1_3repE0EEENS1_38merge_mergepath_config_static_selectorELNS0_4arch9wavefront6targetE1EEEvSF_
                                        ; -- End function
	.section	.AMDGPU.csdata,"",@progbits
; Kernel info:
; codeLenInByte = 0
; NumSgprs: 4
; NumVgprs: 0
; NumAgprs: 0
; TotalNumVgprs: 0
; ScratchSize: 0
; MemoryBound: 0
; FloatMode: 240
; IeeeMode: 1
; LDSByteSize: 0 bytes/workgroup (compile time only)
; SGPRBlocks: 0
; VGPRBlocks: 0
; NumSGPRsForWavesPerEU: 4
; NumVGPRsForWavesPerEU: 1
; AccumOffset: 4
; Occupancy: 8
; WaveLimiterHint : 0
; COMPUTE_PGM_RSRC2:SCRATCH_EN: 0
; COMPUTE_PGM_RSRC2:USER_SGPR: 6
; COMPUTE_PGM_RSRC2:TRAP_HANDLER: 0
; COMPUTE_PGM_RSRC2:TGID_X_EN: 1
; COMPUTE_PGM_RSRC2:TGID_Y_EN: 0
; COMPUTE_PGM_RSRC2:TGID_Z_EN: 0
; COMPUTE_PGM_RSRC2:TIDIG_COMP_CNT: 0
; COMPUTE_PGM_RSRC3_GFX90A:ACCUM_OFFSET: 0
; COMPUTE_PGM_RSRC3_GFX90A:TG_SPLIT: 0
	.section	.text._ZN7rocprim17ROCPRIM_400000_NS6detail17trampoline_kernelINS0_14default_configENS1_38merge_sort_block_merge_config_selectorIhNS0_10empty_typeEEEZZNS1_27merge_sort_block_merge_implIS3_PhPS5_jNS1_19radix_merge_compareILb0ELb0EhNS0_19identity_decomposerEEEEE10hipError_tT0_T1_T2_jT3_P12ihipStream_tbPNSt15iterator_traitsISE_E10value_typeEPNSK_ISF_E10value_typeEPSG_NS1_7vsmem_tEENKUlT_SE_SF_SG_E_clIS8_S8_S9_S9_EESD_ST_SE_SF_SG_EUlST_E0_NS1_11comp_targetILNS1_3genE10ELNS1_11target_archE1201ELNS1_3gpuE5ELNS1_3repE0EEENS1_38merge_mergepath_config_static_selectorELNS0_4arch9wavefront6targetE1EEEvSF_,"axG",@progbits,_ZN7rocprim17ROCPRIM_400000_NS6detail17trampoline_kernelINS0_14default_configENS1_38merge_sort_block_merge_config_selectorIhNS0_10empty_typeEEEZZNS1_27merge_sort_block_merge_implIS3_PhPS5_jNS1_19radix_merge_compareILb0ELb0EhNS0_19identity_decomposerEEEEE10hipError_tT0_T1_T2_jT3_P12ihipStream_tbPNSt15iterator_traitsISE_E10value_typeEPNSK_ISF_E10value_typeEPSG_NS1_7vsmem_tEENKUlT_SE_SF_SG_E_clIS8_S8_S9_S9_EESD_ST_SE_SF_SG_EUlST_E0_NS1_11comp_targetILNS1_3genE10ELNS1_11target_archE1201ELNS1_3gpuE5ELNS1_3repE0EEENS1_38merge_mergepath_config_static_selectorELNS0_4arch9wavefront6targetE1EEEvSF_,comdat
	.protected	_ZN7rocprim17ROCPRIM_400000_NS6detail17trampoline_kernelINS0_14default_configENS1_38merge_sort_block_merge_config_selectorIhNS0_10empty_typeEEEZZNS1_27merge_sort_block_merge_implIS3_PhPS5_jNS1_19radix_merge_compareILb0ELb0EhNS0_19identity_decomposerEEEEE10hipError_tT0_T1_T2_jT3_P12ihipStream_tbPNSt15iterator_traitsISE_E10value_typeEPNSK_ISF_E10value_typeEPSG_NS1_7vsmem_tEENKUlT_SE_SF_SG_E_clIS8_S8_S9_S9_EESD_ST_SE_SF_SG_EUlST_E0_NS1_11comp_targetILNS1_3genE10ELNS1_11target_archE1201ELNS1_3gpuE5ELNS1_3repE0EEENS1_38merge_mergepath_config_static_selectorELNS0_4arch9wavefront6targetE1EEEvSF_ ; -- Begin function _ZN7rocprim17ROCPRIM_400000_NS6detail17trampoline_kernelINS0_14default_configENS1_38merge_sort_block_merge_config_selectorIhNS0_10empty_typeEEEZZNS1_27merge_sort_block_merge_implIS3_PhPS5_jNS1_19radix_merge_compareILb0ELb0EhNS0_19identity_decomposerEEEEE10hipError_tT0_T1_T2_jT3_P12ihipStream_tbPNSt15iterator_traitsISE_E10value_typeEPNSK_ISF_E10value_typeEPSG_NS1_7vsmem_tEENKUlT_SE_SF_SG_E_clIS8_S8_S9_S9_EESD_ST_SE_SF_SG_EUlST_E0_NS1_11comp_targetILNS1_3genE10ELNS1_11target_archE1201ELNS1_3gpuE5ELNS1_3repE0EEENS1_38merge_mergepath_config_static_selectorELNS0_4arch9wavefront6targetE1EEEvSF_
	.globl	_ZN7rocprim17ROCPRIM_400000_NS6detail17trampoline_kernelINS0_14default_configENS1_38merge_sort_block_merge_config_selectorIhNS0_10empty_typeEEEZZNS1_27merge_sort_block_merge_implIS3_PhPS5_jNS1_19radix_merge_compareILb0ELb0EhNS0_19identity_decomposerEEEEE10hipError_tT0_T1_T2_jT3_P12ihipStream_tbPNSt15iterator_traitsISE_E10value_typeEPNSK_ISF_E10value_typeEPSG_NS1_7vsmem_tEENKUlT_SE_SF_SG_E_clIS8_S8_S9_S9_EESD_ST_SE_SF_SG_EUlST_E0_NS1_11comp_targetILNS1_3genE10ELNS1_11target_archE1201ELNS1_3gpuE5ELNS1_3repE0EEENS1_38merge_mergepath_config_static_selectorELNS0_4arch9wavefront6targetE1EEEvSF_
	.p2align	8
	.type	_ZN7rocprim17ROCPRIM_400000_NS6detail17trampoline_kernelINS0_14default_configENS1_38merge_sort_block_merge_config_selectorIhNS0_10empty_typeEEEZZNS1_27merge_sort_block_merge_implIS3_PhPS5_jNS1_19radix_merge_compareILb0ELb0EhNS0_19identity_decomposerEEEEE10hipError_tT0_T1_T2_jT3_P12ihipStream_tbPNSt15iterator_traitsISE_E10value_typeEPNSK_ISF_E10value_typeEPSG_NS1_7vsmem_tEENKUlT_SE_SF_SG_E_clIS8_S8_S9_S9_EESD_ST_SE_SF_SG_EUlST_E0_NS1_11comp_targetILNS1_3genE10ELNS1_11target_archE1201ELNS1_3gpuE5ELNS1_3repE0EEENS1_38merge_mergepath_config_static_selectorELNS0_4arch9wavefront6targetE1EEEvSF_,@function
_ZN7rocprim17ROCPRIM_400000_NS6detail17trampoline_kernelINS0_14default_configENS1_38merge_sort_block_merge_config_selectorIhNS0_10empty_typeEEEZZNS1_27merge_sort_block_merge_implIS3_PhPS5_jNS1_19radix_merge_compareILb0ELb0EhNS0_19identity_decomposerEEEEE10hipError_tT0_T1_T2_jT3_P12ihipStream_tbPNSt15iterator_traitsISE_E10value_typeEPNSK_ISF_E10value_typeEPSG_NS1_7vsmem_tEENKUlT_SE_SF_SG_E_clIS8_S8_S9_S9_EESD_ST_SE_SF_SG_EUlST_E0_NS1_11comp_targetILNS1_3genE10ELNS1_11target_archE1201ELNS1_3gpuE5ELNS1_3repE0EEENS1_38merge_mergepath_config_static_selectorELNS0_4arch9wavefront6targetE1EEEvSF_: ; @_ZN7rocprim17ROCPRIM_400000_NS6detail17trampoline_kernelINS0_14default_configENS1_38merge_sort_block_merge_config_selectorIhNS0_10empty_typeEEEZZNS1_27merge_sort_block_merge_implIS3_PhPS5_jNS1_19radix_merge_compareILb0ELb0EhNS0_19identity_decomposerEEEEE10hipError_tT0_T1_T2_jT3_P12ihipStream_tbPNSt15iterator_traitsISE_E10value_typeEPNSK_ISF_E10value_typeEPSG_NS1_7vsmem_tEENKUlT_SE_SF_SG_E_clIS8_S8_S9_S9_EESD_ST_SE_SF_SG_EUlST_E0_NS1_11comp_targetILNS1_3genE10ELNS1_11target_archE1201ELNS1_3gpuE5ELNS1_3repE0EEENS1_38merge_mergepath_config_static_selectorELNS0_4arch9wavefront6targetE1EEEvSF_
; %bb.0:
	.section	.rodata,"a",@progbits
	.p2align	6, 0x0
	.amdhsa_kernel _ZN7rocprim17ROCPRIM_400000_NS6detail17trampoline_kernelINS0_14default_configENS1_38merge_sort_block_merge_config_selectorIhNS0_10empty_typeEEEZZNS1_27merge_sort_block_merge_implIS3_PhPS5_jNS1_19radix_merge_compareILb0ELb0EhNS0_19identity_decomposerEEEEE10hipError_tT0_T1_T2_jT3_P12ihipStream_tbPNSt15iterator_traitsISE_E10value_typeEPNSK_ISF_E10value_typeEPSG_NS1_7vsmem_tEENKUlT_SE_SF_SG_E_clIS8_S8_S9_S9_EESD_ST_SE_SF_SG_EUlST_E0_NS1_11comp_targetILNS1_3genE10ELNS1_11target_archE1201ELNS1_3gpuE5ELNS1_3repE0EEENS1_38merge_mergepath_config_static_selectorELNS0_4arch9wavefront6targetE1EEEvSF_
		.amdhsa_group_segment_fixed_size 0
		.amdhsa_private_segment_fixed_size 0
		.amdhsa_kernarg_size 64
		.amdhsa_user_sgpr_count 6
		.amdhsa_user_sgpr_private_segment_buffer 1
		.amdhsa_user_sgpr_dispatch_ptr 0
		.amdhsa_user_sgpr_queue_ptr 0
		.amdhsa_user_sgpr_kernarg_segment_ptr 1
		.amdhsa_user_sgpr_dispatch_id 0
		.amdhsa_user_sgpr_flat_scratch_init 0
		.amdhsa_user_sgpr_kernarg_preload_length 0
		.amdhsa_user_sgpr_kernarg_preload_offset 0
		.amdhsa_user_sgpr_private_segment_size 0
		.amdhsa_uses_dynamic_stack 0
		.amdhsa_system_sgpr_private_segment_wavefront_offset 0
		.amdhsa_system_sgpr_workgroup_id_x 1
		.amdhsa_system_sgpr_workgroup_id_y 0
		.amdhsa_system_sgpr_workgroup_id_z 0
		.amdhsa_system_sgpr_workgroup_info 0
		.amdhsa_system_vgpr_workitem_id 0
		.amdhsa_next_free_vgpr 1
		.amdhsa_next_free_sgpr 0
		.amdhsa_accum_offset 4
		.amdhsa_reserve_vcc 0
		.amdhsa_reserve_flat_scratch 0
		.amdhsa_float_round_mode_32 0
		.amdhsa_float_round_mode_16_64 0
		.amdhsa_float_denorm_mode_32 3
		.amdhsa_float_denorm_mode_16_64 3
		.amdhsa_dx10_clamp 1
		.amdhsa_ieee_mode 1
		.amdhsa_fp16_overflow 0
		.amdhsa_tg_split 0
		.amdhsa_exception_fp_ieee_invalid_op 0
		.amdhsa_exception_fp_denorm_src 0
		.amdhsa_exception_fp_ieee_div_zero 0
		.amdhsa_exception_fp_ieee_overflow 0
		.amdhsa_exception_fp_ieee_underflow 0
		.amdhsa_exception_fp_ieee_inexact 0
		.amdhsa_exception_int_div_zero 0
	.end_amdhsa_kernel
	.section	.text._ZN7rocprim17ROCPRIM_400000_NS6detail17trampoline_kernelINS0_14default_configENS1_38merge_sort_block_merge_config_selectorIhNS0_10empty_typeEEEZZNS1_27merge_sort_block_merge_implIS3_PhPS5_jNS1_19radix_merge_compareILb0ELb0EhNS0_19identity_decomposerEEEEE10hipError_tT0_T1_T2_jT3_P12ihipStream_tbPNSt15iterator_traitsISE_E10value_typeEPNSK_ISF_E10value_typeEPSG_NS1_7vsmem_tEENKUlT_SE_SF_SG_E_clIS8_S8_S9_S9_EESD_ST_SE_SF_SG_EUlST_E0_NS1_11comp_targetILNS1_3genE10ELNS1_11target_archE1201ELNS1_3gpuE5ELNS1_3repE0EEENS1_38merge_mergepath_config_static_selectorELNS0_4arch9wavefront6targetE1EEEvSF_,"axG",@progbits,_ZN7rocprim17ROCPRIM_400000_NS6detail17trampoline_kernelINS0_14default_configENS1_38merge_sort_block_merge_config_selectorIhNS0_10empty_typeEEEZZNS1_27merge_sort_block_merge_implIS3_PhPS5_jNS1_19radix_merge_compareILb0ELb0EhNS0_19identity_decomposerEEEEE10hipError_tT0_T1_T2_jT3_P12ihipStream_tbPNSt15iterator_traitsISE_E10value_typeEPNSK_ISF_E10value_typeEPSG_NS1_7vsmem_tEENKUlT_SE_SF_SG_E_clIS8_S8_S9_S9_EESD_ST_SE_SF_SG_EUlST_E0_NS1_11comp_targetILNS1_3genE10ELNS1_11target_archE1201ELNS1_3gpuE5ELNS1_3repE0EEENS1_38merge_mergepath_config_static_selectorELNS0_4arch9wavefront6targetE1EEEvSF_,comdat
.Lfunc_end255:
	.size	_ZN7rocprim17ROCPRIM_400000_NS6detail17trampoline_kernelINS0_14default_configENS1_38merge_sort_block_merge_config_selectorIhNS0_10empty_typeEEEZZNS1_27merge_sort_block_merge_implIS3_PhPS5_jNS1_19radix_merge_compareILb0ELb0EhNS0_19identity_decomposerEEEEE10hipError_tT0_T1_T2_jT3_P12ihipStream_tbPNSt15iterator_traitsISE_E10value_typeEPNSK_ISF_E10value_typeEPSG_NS1_7vsmem_tEENKUlT_SE_SF_SG_E_clIS8_S8_S9_S9_EESD_ST_SE_SF_SG_EUlST_E0_NS1_11comp_targetILNS1_3genE10ELNS1_11target_archE1201ELNS1_3gpuE5ELNS1_3repE0EEENS1_38merge_mergepath_config_static_selectorELNS0_4arch9wavefront6targetE1EEEvSF_, .Lfunc_end255-_ZN7rocprim17ROCPRIM_400000_NS6detail17trampoline_kernelINS0_14default_configENS1_38merge_sort_block_merge_config_selectorIhNS0_10empty_typeEEEZZNS1_27merge_sort_block_merge_implIS3_PhPS5_jNS1_19radix_merge_compareILb0ELb0EhNS0_19identity_decomposerEEEEE10hipError_tT0_T1_T2_jT3_P12ihipStream_tbPNSt15iterator_traitsISE_E10value_typeEPNSK_ISF_E10value_typeEPSG_NS1_7vsmem_tEENKUlT_SE_SF_SG_E_clIS8_S8_S9_S9_EESD_ST_SE_SF_SG_EUlST_E0_NS1_11comp_targetILNS1_3genE10ELNS1_11target_archE1201ELNS1_3gpuE5ELNS1_3repE0EEENS1_38merge_mergepath_config_static_selectorELNS0_4arch9wavefront6targetE1EEEvSF_
                                        ; -- End function
	.section	.AMDGPU.csdata,"",@progbits
; Kernel info:
; codeLenInByte = 0
; NumSgprs: 4
; NumVgprs: 0
; NumAgprs: 0
; TotalNumVgprs: 0
; ScratchSize: 0
; MemoryBound: 0
; FloatMode: 240
; IeeeMode: 1
; LDSByteSize: 0 bytes/workgroup (compile time only)
; SGPRBlocks: 0
; VGPRBlocks: 0
; NumSGPRsForWavesPerEU: 4
; NumVGPRsForWavesPerEU: 1
; AccumOffset: 4
; Occupancy: 8
; WaveLimiterHint : 0
; COMPUTE_PGM_RSRC2:SCRATCH_EN: 0
; COMPUTE_PGM_RSRC2:USER_SGPR: 6
; COMPUTE_PGM_RSRC2:TRAP_HANDLER: 0
; COMPUTE_PGM_RSRC2:TGID_X_EN: 1
; COMPUTE_PGM_RSRC2:TGID_Y_EN: 0
; COMPUTE_PGM_RSRC2:TGID_Z_EN: 0
; COMPUTE_PGM_RSRC2:TIDIG_COMP_CNT: 0
; COMPUTE_PGM_RSRC3_GFX90A:ACCUM_OFFSET: 0
; COMPUTE_PGM_RSRC3_GFX90A:TG_SPLIT: 0
	.section	.text._ZN7rocprim17ROCPRIM_400000_NS6detail17trampoline_kernelINS0_14default_configENS1_38merge_sort_block_merge_config_selectorIhNS0_10empty_typeEEEZZNS1_27merge_sort_block_merge_implIS3_PhPS5_jNS1_19radix_merge_compareILb0ELb0EhNS0_19identity_decomposerEEEEE10hipError_tT0_T1_T2_jT3_P12ihipStream_tbPNSt15iterator_traitsISE_E10value_typeEPNSK_ISF_E10value_typeEPSG_NS1_7vsmem_tEENKUlT_SE_SF_SG_E_clIS8_S8_S9_S9_EESD_ST_SE_SF_SG_EUlST_E0_NS1_11comp_targetILNS1_3genE5ELNS1_11target_archE942ELNS1_3gpuE9ELNS1_3repE0EEENS1_38merge_mergepath_config_static_selectorELNS0_4arch9wavefront6targetE1EEEvSF_,"axG",@progbits,_ZN7rocprim17ROCPRIM_400000_NS6detail17trampoline_kernelINS0_14default_configENS1_38merge_sort_block_merge_config_selectorIhNS0_10empty_typeEEEZZNS1_27merge_sort_block_merge_implIS3_PhPS5_jNS1_19radix_merge_compareILb0ELb0EhNS0_19identity_decomposerEEEEE10hipError_tT0_T1_T2_jT3_P12ihipStream_tbPNSt15iterator_traitsISE_E10value_typeEPNSK_ISF_E10value_typeEPSG_NS1_7vsmem_tEENKUlT_SE_SF_SG_E_clIS8_S8_S9_S9_EESD_ST_SE_SF_SG_EUlST_E0_NS1_11comp_targetILNS1_3genE5ELNS1_11target_archE942ELNS1_3gpuE9ELNS1_3repE0EEENS1_38merge_mergepath_config_static_selectorELNS0_4arch9wavefront6targetE1EEEvSF_,comdat
	.protected	_ZN7rocprim17ROCPRIM_400000_NS6detail17trampoline_kernelINS0_14default_configENS1_38merge_sort_block_merge_config_selectorIhNS0_10empty_typeEEEZZNS1_27merge_sort_block_merge_implIS3_PhPS5_jNS1_19radix_merge_compareILb0ELb0EhNS0_19identity_decomposerEEEEE10hipError_tT0_T1_T2_jT3_P12ihipStream_tbPNSt15iterator_traitsISE_E10value_typeEPNSK_ISF_E10value_typeEPSG_NS1_7vsmem_tEENKUlT_SE_SF_SG_E_clIS8_S8_S9_S9_EESD_ST_SE_SF_SG_EUlST_E0_NS1_11comp_targetILNS1_3genE5ELNS1_11target_archE942ELNS1_3gpuE9ELNS1_3repE0EEENS1_38merge_mergepath_config_static_selectorELNS0_4arch9wavefront6targetE1EEEvSF_ ; -- Begin function _ZN7rocprim17ROCPRIM_400000_NS6detail17trampoline_kernelINS0_14default_configENS1_38merge_sort_block_merge_config_selectorIhNS0_10empty_typeEEEZZNS1_27merge_sort_block_merge_implIS3_PhPS5_jNS1_19radix_merge_compareILb0ELb0EhNS0_19identity_decomposerEEEEE10hipError_tT0_T1_T2_jT3_P12ihipStream_tbPNSt15iterator_traitsISE_E10value_typeEPNSK_ISF_E10value_typeEPSG_NS1_7vsmem_tEENKUlT_SE_SF_SG_E_clIS8_S8_S9_S9_EESD_ST_SE_SF_SG_EUlST_E0_NS1_11comp_targetILNS1_3genE5ELNS1_11target_archE942ELNS1_3gpuE9ELNS1_3repE0EEENS1_38merge_mergepath_config_static_selectorELNS0_4arch9wavefront6targetE1EEEvSF_
	.globl	_ZN7rocprim17ROCPRIM_400000_NS6detail17trampoline_kernelINS0_14default_configENS1_38merge_sort_block_merge_config_selectorIhNS0_10empty_typeEEEZZNS1_27merge_sort_block_merge_implIS3_PhPS5_jNS1_19radix_merge_compareILb0ELb0EhNS0_19identity_decomposerEEEEE10hipError_tT0_T1_T2_jT3_P12ihipStream_tbPNSt15iterator_traitsISE_E10value_typeEPNSK_ISF_E10value_typeEPSG_NS1_7vsmem_tEENKUlT_SE_SF_SG_E_clIS8_S8_S9_S9_EESD_ST_SE_SF_SG_EUlST_E0_NS1_11comp_targetILNS1_3genE5ELNS1_11target_archE942ELNS1_3gpuE9ELNS1_3repE0EEENS1_38merge_mergepath_config_static_selectorELNS0_4arch9wavefront6targetE1EEEvSF_
	.p2align	8
	.type	_ZN7rocprim17ROCPRIM_400000_NS6detail17trampoline_kernelINS0_14default_configENS1_38merge_sort_block_merge_config_selectorIhNS0_10empty_typeEEEZZNS1_27merge_sort_block_merge_implIS3_PhPS5_jNS1_19radix_merge_compareILb0ELb0EhNS0_19identity_decomposerEEEEE10hipError_tT0_T1_T2_jT3_P12ihipStream_tbPNSt15iterator_traitsISE_E10value_typeEPNSK_ISF_E10value_typeEPSG_NS1_7vsmem_tEENKUlT_SE_SF_SG_E_clIS8_S8_S9_S9_EESD_ST_SE_SF_SG_EUlST_E0_NS1_11comp_targetILNS1_3genE5ELNS1_11target_archE942ELNS1_3gpuE9ELNS1_3repE0EEENS1_38merge_mergepath_config_static_selectorELNS0_4arch9wavefront6targetE1EEEvSF_,@function
_ZN7rocprim17ROCPRIM_400000_NS6detail17trampoline_kernelINS0_14default_configENS1_38merge_sort_block_merge_config_selectorIhNS0_10empty_typeEEEZZNS1_27merge_sort_block_merge_implIS3_PhPS5_jNS1_19radix_merge_compareILb0ELb0EhNS0_19identity_decomposerEEEEE10hipError_tT0_T1_T2_jT3_P12ihipStream_tbPNSt15iterator_traitsISE_E10value_typeEPNSK_ISF_E10value_typeEPSG_NS1_7vsmem_tEENKUlT_SE_SF_SG_E_clIS8_S8_S9_S9_EESD_ST_SE_SF_SG_EUlST_E0_NS1_11comp_targetILNS1_3genE5ELNS1_11target_archE942ELNS1_3gpuE9ELNS1_3repE0EEENS1_38merge_mergepath_config_static_selectorELNS0_4arch9wavefront6targetE1EEEvSF_: ; @_ZN7rocprim17ROCPRIM_400000_NS6detail17trampoline_kernelINS0_14default_configENS1_38merge_sort_block_merge_config_selectorIhNS0_10empty_typeEEEZZNS1_27merge_sort_block_merge_implIS3_PhPS5_jNS1_19radix_merge_compareILb0ELb0EhNS0_19identity_decomposerEEEEE10hipError_tT0_T1_T2_jT3_P12ihipStream_tbPNSt15iterator_traitsISE_E10value_typeEPNSK_ISF_E10value_typeEPSG_NS1_7vsmem_tEENKUlT_SE_SF_SG_E_clIS8_S8_S9_S9_EESD_ST_SE_SF_SG_EUlST_E0_NS1_11comp_targetILNS1_3genE5ELNS1_11target_archE942ELNS1_3gpuE9ELNS1_3repE0EEENS1_38merge_mergepath_config_static_selectorELNS0_4arch9wavefront6targetE1EEEvSF_
; %bb.0:
	.section	.rodata,"a",@progbits
	.p2align	6, 0x0
	.amdhsa_kernel _ZN7rocprim17ROCPRIM_400000_NS6detail17trampoline_kernelINS0_14default_configENS1_38merge_sort_block_merge_config_selectorIhNS0_10empty_typeEEEZZNS1_27merge_sort_block_merge_implIS3_PhPS5_jNS1_19radix_merge_compareILb0ELb0EhNS0_19identity_decomposerEEEEE10hipError_tT0_T1_T2_jT3_P12ihipStream_tbPNSt15iterator_traitsISE_E10value_typeEPNSK_ISF_E10value_typeEPSG_NS1_7vsmem_tEENKUlT_SE_SF_SG_E_clIS8_S8_S9_S9_EESD_ST_SE_SF_SG_EUlST_E0_NS1_11comp_targetILNS1_3genE5ELNS1_11target_archE942ELNS1_3gpuE9ELNS1_3repE0EEENS1_38merge_mergepath_config_static_selectorELNS0_4arch9wavefront6targetE1EEEvSF_
		.amdhsa_group_segment_fixed_size 0
		.amdhsa_private_segment_fixed_size 0
		.amdhsa_kernarg_size 64
		.amdhsa_user_sgpr_count 6
		.amdhsa_user_sgpr_private_segment_buffer 1
		.amdhsa_user_sgpr_dispatch_ptr 0
		.amdhsa_user_sgpr_queue_ptr 0
		.amdhsa_user_sgpr_kernarg_segment_ptr 1
		.amdhsa_user_sgpr_dispatch_id 0
		.amdhsa_user_sgpr_flat_scratch_init 0
		.amdhsa_user_sgpr_kernarg_preload_length 0
		.amdhsa_user_sgpr_kernarg_preload_offset 0
		.amdhsa_user_sgpr_private_segment_size 0
		.amdhsa_uses_dynamic_stack 0
		.amdhsa_system_sgpr_private_segment_wavefront_offset 0
		.amdhsa_system_sgpr_workgroup_id_x 1
		.amdhsa_system_sgpr_workgroup_id_y 0
		.amdhsa_system_sgpr_workgroup_id_z 0
		.amdhsa_system_sgpr_workgroup_info 0
		.amdhsa_system_vgpr_workitem_id 0
		.amdhsa_next_free_vgpr 1
		.amdhsa_next_free_sgpr 0
		.amdhsa_accum_offset 4
		.amdhsa_reserve_vcc 0
		.amdhsa_reserve_flat_scratch 0
		.amdhsa_float_round_mode_32 0
		.amdhsa_float_round_mode_16_64 0
		.amdhsa_float_denorm_mode_32 3
		.amdhsa_float_denorm_mode_16_64 3
		.amdhsa_dx10_clamp 1
		.amdhsa_ieee_mode 1
		.amdhsa_fp16_overflow 0
		.amdhsa_tg_split 0
		.amdhsa_exception_fp_ieee_invalid_op 0
		.amdhsa_exception_fp_denorm_src 0
		.amdhsa_exception_fp_ieee_div_zero 0
		.amdhsa_exception_fp_ieee_overflow 0
		.amdhsa_exception_fp_ieee_underflow 0
		.amdhsa_exception_fp_ieee_inexact 0
		.amdhsa_exception_int_div_zero 0
	.end_amdhsa_kernel
	.section	.text._ZN7rocprim17ROCPRIM_400000_NS6detail17trampoline_kernelINS0_14default_configENS1_38merge_sort_block_merge_config_selectorIhNS0_10empty_typeEEEZZNS1_27merge_sort_block_merge_implIS3_PhPS5_jNS1_19radix_merge_compareILb0ELb0EhNS0_19identity_decomposerEEEEE10hipError_tT0_T1_T2_jT3_P12ihipStream_tbPNSt15iterator_traitsISE_E10value_typeEPNSK_ISF_E10value_typeEPSG_NS1_7vsmem_tEENKUlT_SE_SF_SG_E_clIS8_S8_S9_S9_EESD_ST_SE_SF_SG_EUlST_E0_NS1_11comp_targetILNS1_3genE5ELNS1_11target_archE942ELNS1_3gpuE9ELNS1_3repE0EEENS1_38merge_mergepath_config_static_selectorELNS0_4arch9wavefront6targetE1EEEvSF_,"axG",@progbits,_ZN7rocprim17ROCPRIM_400000_NS6detail17trampoline_kernelINS0_14default_configENS1_38merge_sort_block_merge_config_selectorIhNS0_10empty_typeEEEZZNS1_27merge_sort_block_merge_implIS3_PhPS5_jNS1_19radix_merge_compareILb0ELb0EhNS0_19identity_decomposerEEEEE10hipError_tT0_T1_T2_jT3_P12ihipStream_tbPNSt15iterator_traitsISE_E10value_typeEPNSK_ISF_E10value_typeEPSG_NS1_7vsmem_tEENKUlT_SE_SF_SG_E_clIS8_S8_S9_S9_EESD_ST_SE_SF_SG_EUlST_E0_NS1_11comp_targetILNS1_3genE5ELNS1_11target_archE942ELNS1_3gpuE9ELNS1_3repE0EEENS1_38merge_mergepath_config_static_selectorELNS0_4arch9wavefront6targetE1EEEvSF_,comdat
.Lfunc_end256:
	.size	_ZN7rocprim17ROCPRIM_400000_NS6detail17trampoline_kernelINS0_14default_configENS1_38merge_sort_block_merge_config_selectorIhNS0_10empty_typeEEEZZNS1_27merge_sort_block_merge_implIS3_PhPS5_jNS1_19radix_merge_compareILb0ELb0EhNS0_19identity_decomposerEEEEE10hipError_tT0_T1_T2_jT3_P12ihipStream_tbPNSt15iterator_traitsISE_E10value_typeEPNSK_ISF_E10value_typeEPSG_NS1_7vsmem_tEENKUlT_SE_SF_SG_E_clIS8_S8_S9_S9_EESD_ST_SE_SF_SG_EUlST_E0_NS1_11comp_targetILNS1_3genE5ELNS1_11target_archE942ELNS1_3gpuE9ELNS1_3repE0EEENS1_38merge_mergepath_config_static_selectorELNS0_4arch9wavefront6targetE1EEEvSF_, .Lfunc_end256-_ZN7rocprim17ROCPRIM_400000_NS6detail17trampoline_kernelINS0_14default_configENS1_38merge_sort_block_merge_config_selectorIhNS0_10empty_typeEEEZZNS1_27merge_sort_block_merge_implIS3_PhPS5_jNS1_19radix_merge_compareILb0ELb0EhNS0_19identity_decomposerEEEEE10hipError_tT0_T1_T2_jT3_P12ihipStream_tbPNSt15iterator_traitsISE_E10value_typeEPNSK_ISF_E10value_typeEPSG_NS1_7vsmem_tEENKUlT_SE_SF_SG_E_clIS8_S8_S9_S9_EESD_ST_SE_SF_SG_EUlST_E0_NS1_11comp_targetILNS1_3genE5ELNS1_11target_archE942ELNS1_3gpuE9ELNS1_3repE0EEENS1_38merge_mergepath_config_static_selectorELNS0_4arch9wavefront6targetE1EEEvSF_
                                        ; -- End function
	.section	.AMDGPU.csdata,"",@progbits
; Kernel info:
; codeLenInByte = 0
; NumSgprs: 4
; NumVgprs: 0
; NumAgprs: 0
; TotalNumVgprs: 0
; ScratchSize: 0
; MemoryBound: 0
; FloatMode: 240
; IeeeMode: 1
; LDSByteSize: 0 bytes/workgroup (compile time only)
; SGPRBlocks: 0
; VGPRBlocks: 0
; NumSGPRsForWavesPerEU: 4
; NumVGPRsForWavesPerEU: 1
; AccumOffset: 4
; Occupancy: 8
; WaveLimiterHint : 0
; COMPUTE_PGM_RSRC2:SCRATCH_EN: 0
; COMPUTE_PGM_RSRC2:USER_SGPR: 6
; COMPUTE_PGM_RSRC2:TRAP_HANDLER: 0
; COMPUTE_PGM_RSRC2:TGID_X_EN: 1
; COMPUTE_PGM_RSRC2:TGID_Y_EN: 0
; COMPUTE_PGM_RSRC2:TGID_Z_EN: 0
; COMPUTE_PGM_RSRC2:TIDIG_COMP_CNT: 0
; COMPUTE_PGM_RSRC3_GFX90A:ACCUM_OFFSET: 0
; COMPUTE_PGM_RSRC3_GFX90A:TG_SPLIT: 0
	.section	.text._ZN7rocprim17ROCPRIM_400000_NS6detail17trampoline_kernelINS0_14default_configENS1_38merge_sort_block_merge_config_selectorIhNS0_10empty_typeEEEZZNS1_27merge_sort_block_merge_implIS3_PhPS5_jNS1_19radix_merge_compareILb0ELb0EhNS0_19identity_decomposerEEEEE10hipError_tT0_T1_T2_jT3_P12ihipStream_tbPNSt15iterator_traitsISE_E10value_typeEPNSK_ISF_E10value_typeEPSG_NS1_7vsmem_tEENKUlT_SE_SF_SG_E_clIS8_S8_S9_S9_EESD_ST_SE_SF_SG_EUlST_E0_NS1_11comp_targetILNS1_3genE4ELNS1_11target_archE910ELNS1_3gpuE8ELNS1_3repE0EEENS1_38merge_mergepath_config_static_selectorELNS0_4arch9wavefront6targetE1EEEvSF_,"axG",@progbits,_ZN7rocprim17ROCPRIM_400000_NS6detail17trampoline_kernelINS0_14default_configENS1_38merge_sort_block_merge_config_selectorIhNS0_10empty_typeEEEZZNS1_27merge_sort_block_merge_implIS3_PhPS5_jNS1_19radix_merge_compareILb0ELb0EhNS0_19identity_decomposerEEEEE10hipError_tT0_T1_T2_jT3_P12ihipStream_tbPNSt15iterator_traitsISE_E10value_typeEPNSK_ISF_E10value_typeEPSG_NS1_7vsmem_tEENKUlT_SE_SF_SG_E_clIS8_S8_S9_S9_EESD_ST_SE_SF_SG_EUlST_E0_NS1_11comp_targetILNS1_3genE4ELNS1_11target_archE910ELNS1_3gpuE8ELNS1_3repE0EEENS1_38merge_mergepath_config_static_selectorELNS0_4arch9wavefront6targetE1EEEvSF_,comdat
	.protected	_ZN7rocprim17ROCPRIM_400000_NS6detail17trampoline_kernelINS0_14default_configENS1_38merge_sort_block_merge_config_selectorIhNS0_10empty_typeEEEZZNS1_27merge_sort_block_merge_implIS3_PhPS5_jNS1_19radix_merge_compareILb0ELb0EhNS0_19identity_decomposerEEEEE10hipError_tT0_T1_T2_jT3_P12ihipStream_tbPNSt15iterator_traitsISE_E10value_typeEPNSK_ISF_E10value_typeEPSG_NS1_7vsmem_tEENKUlT_SE_SF_SG_E_clIS8_S8_S9_S9_EESD_ST_SE_SF_SG_EUlST_E0_NS1_11comp_targetILNS1_3genE4ELNS1_11target_archE910ELNS1_3gpuE8ELNS1_3repE0EEENS1_38merge_mergepath_config_static_selectorELNS0_4arch9wavefront6targetE1EEEvSF_ ; -- Begin function _ZN7rocprim17ROCPRIM_400000_NS6detail17trampoline_kernelINS0_14default_configENS1_38merge_sort_block_merge_config_selectorIhNS0_10empty_typeEEEZZNS1_27merge_sort_block_merge_implIS3_PhPS5_jNS1_19radix_merge_compareILb0ELb0EhNS0_19identity_decomposerEEEEE10hipError_tT0_T1_T2_jT3_P12ihipStream_tbPNSt15iterator_traitsISE_E10value_typeEPNSK_ISF_E10value_typeEPSG_NS1_7vsmem_tEENKUlT_SE_SF_SG_E_clIS8_S8_S9_S9_EESD_ST_SE_SF_SG_EUlST_E0_NS1_11comp_targetILNS1_3genE4ELNS1_11target_archE910ELNS1_3gpuE8ELNS1_3repE0EEENS1_38merge_mergepath_config_static_selectorELNS0_4arch9wavefront6targetE1EEEvSF_
	.globl	_ZN7rocprim17ROCPRIM_400000_NS6detail17trampoline_kernelINS0_14default_configENS1_38merge_sort_block_merge_config_selectorIhNS0_10empty_typeEEEZZNS1_27merge_sort_block_merge_implIS3_PhPS5_jNS1_19radix_merge_compareILb0ELb0EhNS0_19identity_decomposerEEEEE10hipError_tT0_T1_T2_jT3_P12ihipStream_tbPNSt15iterator_traitsISE_E10value_typeEPNSK_ISF_E10value_typeEPSG_NS1_7vsmem_tEENKUlT_SE_SF_SG_E_clIS8_S8_S9_S9_EESD_ST_SE_SF_SG_EUlST_E0_NS1_11comp_targetILNS1_3genE4ELNS1_11target_archE910ELNS1_3gpuE8ELNS1_3repE0EEENS1_38merge_mergepath_config_static_selectorELNS0_4arch9wavefront6targetE1EEEvSF_
	.p2align	8
	.type	_ZN7rocprim17ROCPRIM_400000_NS6detail17trampoline_kernelINS0_14default_configENS1_38merge_sort_block_merge_config_selectorIhNS0_10empty_typeEEEZZNS1_27merge_sort_block_merge_implIS3_PhPS5_jNS1_19radix_merge_compareILb0ELb0EhNS0_19identity_decomposerEEEEE10hipError_tT0_T1_T2_jT3_P12ihipStream_tbPNSt15iterator_traitsISE_E10value_typeEPNSK_ISF_E10value_typeEPSG_NS1_7vsmem_tEENKUlT_SE_SF_SG_E_clIS8_S8_S9_S9_EESD_ST_SE_SF_SG_EUlST_E0_NS1_11comp_targetILNS1_3genE4ELNS1_11target_archE910ELNS1_3gpuE8ELNS1_3repE0EEENS1_38merge_mergepath_config_static_selectorELNS0_4arch9wavefront6targetE1EEEvSF_,@function
_ZN7rocprim17ROCPRIM_400000_NS6detail17trampoline_kernelINS0_14default_configENS1_38merge_sort_block_merge_config_selectorIhNS0_10empty_typeEEEZZNS1_27merge_sort_block_merge_implIS3_PhPS5_jNS1_19radix_merge_compareILb0ELb0EhNS0_19identity_decomposerEEEEE10hipError_tT0_T1_T2_jT3_P12ihipStream_tbPNSt15iterator_traitsISE_E10value_typeEPNSK_ISF_E10value_typeEPSG_NS1_7vsmem_tEENKUlT_SE_SF_SG_E_clIS8_S8_S9_S9_EESD_ST_SE_SF_SG_EUlST_E0_NS1_11comp_targetILNS1_3genE4ELNS1_11target_archE910ELNS1_3gpuE8ELNS1_3repE0EEENS1_38merge_mergepath_config_static_selectorELNS0_4arch9wavefront6targetE1EEEvSF_: ; @_ZN7rocprim17ROCPRIM_400000_NS6detail17trampoline_kernelINS0_14default_configENS1_38merge_sort_block_merge_config_selectorIhNS0_10empty_typeEEEZZNS1_27merge_sort_block_merge_implIS3_PhPS5_jNS1_19radix_merge_compareILb0ELb0EhNS0_19identity_decomposerEEEEE10hipError_tT0_T1_T2_jT3_P12ihipStream_tbPNSt15iterator_traitsISE_E10value_typeEPNSK_ISF_E10value_typeEPSG_NS1_7vsmem_tEENKUlT_SE_SF_SG_E_clIS8_S8_S9_S9_EESD_ST_SE_SF_SG_EUlST_E0_NS1_11comp_targetILNS1_3genE4ELNS1_11target_archE910ELNS1_3gpuE8ELNS1_3repE0EEENS1_38merge_mergepath_config_static_selectorELNS0_4arch9wavefront6targetE1EEEvSF_
; %bb.0:
	s_load_dwordx2 s[10:11], s[4:5], 0x40
	s_load_dword s1, s[4:5], 0x30
	s_add_u32 s2, s4, 64
	s_addc_u32 s3, s5, 0
	s_waitcnt lgkmcnt(0)
	s_mul_i32 s0, s11, s8
	s_add_i32 s0, s0, s7
	s_mul_i32 s0, s0, s10
	s_add_i32 s0, s0, s6
	s_cmp_ge_u32 s0, s1
	s_cbranch_scc1 .LBB257_51
; %bb.1:
	s_load_dwordx2 s[12:13], s[4:5], 0x28
	s_load_dwordx2 s[8:9], s[4:5], 0x38
	;; [unrolled: 1-line block ×3, first 2 shown]
	s_mov_b32 s1, 0
	v_mov_b32_e32 v1, 0
	s_waitcnt lgkmcnt(0)
	s_lshr_b32 s21, s12, 10
	s_cmp_lg_u32 s0, s21
	s_cselect_b64 s[14:15], -1, 0
	s_lshl_b64 s[18:19], s[0:1], 2
	s_add_u32 s8, s8, s18
	s_addc_u32 s9, s9, s19
	s_lshr_b32 s1, s13, 9
	s_and_b32 s1, s1, 0x7ffffe
	s_load_dwordx2 s[8:9], s[8:9], 0x0
	s_sub_i32 s1, 0, s1
	s_and_b32 s7, s0, s1
	s_lshl_b32 s11, s7, 10
	s_lshl_b32 s20, s0, 10
	;; [unrolled: 1-line block ×3, first 2 shown]
	s_sub_i32 s18, s20, s11
	s_add_i32 s7, s7, s13
	s_add_i32 s18, s7, s18
	s_waitcnt lgkmcnt(0)
	s_sub_i32 s19, s18, s8
	s_sub_i32 s18, s18, s9
	;; [unrolled: 1-line block ×3, first 2 shown]
	s_min_u32 s19, s12, s19
	s_addk_i32 s18, 0x400
	s_or_b32 s1, s0, s1
	s_min_u32 s11, s12, s7
	s_add_i32 s7, s7, s13
	s_cmp_eq_u32 s1, -1
	s_cselect_b32 s1, s7, s18
	s_cselect_b32 s7, s11, s9
	s_min_u32 s1, s1, s12
	s_sub_i32 s13, s7, s8
	s_sub_i32 s7, s1, s19
	s_add_u32 s11, s16, s8
	s_addc_u32 s18, s17, 0
	s_add_u32 s8, s16, s19
	s_addc_u32 s9, s17, 0
	s_cmp_lt_u32 s6, s10
	s_cselect_b32 s1, 12, 18
	global_load_dword v2, v1, s[2:3] offset:14
	s_add_u32 s2, s2, s1
	s_addc_u32 s3, s3, 0
	global_load_ushort v1, v1, s[2:3]
	s_cmp_eq_u32 s0, s21
	s_waitcnt vmcnt(1)
	v_lshrrev_b32_e32 v3, 16, v2
	v_and_b32_e32 v2, 0xffff, v2
	v_mul_lo_u32 v2, v2, v3
	s_waitcnt vmcnt(0)
	v_mul_lo_u32 v4, v2, v1
	v_add_u32_e32 v10, v4, v0
	v_add_u32_e32 v8, v10, v4
	s_cbranch_scc1 .LBB257_3
; %bb.2:
	v_mov_b32_e32 v1, s18
	v_add_co_u32_e32 v2, vcc, s11, v0
	v_addc_co_u32_e32 v1, vcc, 0, v1, vcc
	v_subrev_u32_e32 v3, s13, v0
	v_mov_b32_e32 v5, s9
	v_add_co_u32_e32 v3, vcc, s8, v3
	v_addc_co_u32_e32 v5, vcc, 0, v5, vcc
	v_cmp_gt_u32_e32 vcc, s13, v0
	v_cndmask_b32_e32 v13, v5, v1, vcc
	v_cndmask_b32_e32 v12, v3, v2, vcc
	v_mov_b32_e32 v1, s18
	v_add_co_u32_e32 v2, vcc, s11, v10
	v_addc_co_u32_e32 v1, vcc, 0, v1, vcc
	v_subrev_u32_e32 v3, s13, v10
	v_mov_b32_e32 v5, s9
	v_add_co_u32_e32 v3, vcc, s8, v3
	v_addc_co_u32_e32 v5, vcc, 0, v5, vcc
	v_cmp_gt_u32_e32 vcc, s13, v10
	v_cndmask_b32_e32 v15, v5, v1, vcc
	v_cndmask_b32_e32 v14, v3, v2, vcc
	v_mov_b32_e32 v1, s18
	v_add_co_u32_e32 v2, vcc, s11, v8
	v_addc_co_u32_e32 v1, vcc, 0, v1, vcc
	v_subrev_u32_e32 v3, s13, v8
	v_mov_b32_e32 v5, s9
	v_add_co_u32_e32 v3, vcc, s8, v3
	v_addc_co_u32_e32 v5, vcc, 0, v5, vcc
	v_cmp_gt_u32_e32 vcc, s13, v8
	v_cndmask_b32_e32 v17, v5, v1, vcc
	v_add_u32_e32 v1, v8, v4
	v_cndmask_b32_e32 v16, v3, v2, vcc
	v_mov_b32_e32 v2, s18
	v_add_co_u32_e32 v3, vcc, s11, v1
	v_addc_co_u32_e32 v2, vcc, 0, v2, vcc
	v_subrev_u32_e32 v5, s13, v1
	v_mov_b32_e32 v6, s9
	v_add_co_u32_e32 v5, vcc, s8, v5
	v_addc_co_u32_e32 v6, vcc, 0, v6, vcc
	v_cmp_gt_u32_e32 vcc, s13, v1
	v_add_u32_e32 v1, v1, v4
	v_cndmask_b32_e32 v19, v6, v2, vcc
	v_cndmask_b32_e32 v18, v5, v3, vcc
	v_mov_b32_e32 v2, s18
	v_add_co_u32_e32 v3, vcc, s11, v1
	v_addc_co_u32_e32 v2, vcc, 0, v2, vcc
	v_subrev_u32_e32 v5, s13, v1
	v_mov_b32_e32 v6, s9
	v_add_co_u32_e32 v5, vcc, s8, v5
	v_addc_co_u32_e32 v6, vcc, 0, v6, vcc
	v_cmp_gt_u32_e32 vcc, s13, v1
	v_add_u32_e32 v1, v1, v4
	v_cndmask_b32_e32 v21, v6, v2, vcc
	;; [unrolled: 11-line block ×4, first 2 shown]
	v_cndmask_b32_e32 v24, v5, v3, vcc
	v_mov_b32_e32 v2, s18
	v_add_co_u32_e32 v3, vcc, s11, v1
	v_addc_co_u32_e32 v2, vcc, 0, v2, vcc
	v_subrev_u32_e32 v5, s13, v1
	v_mov_b32_e32 v6, s9
	v_add_co_u32_e32 v5, vcc, s8, v5
	v_addc_co_u32_e32 v6, vcc, 0, v6, vcc
	v_cmp_gt_u32_e32 vcc, s13, v1
	v_cndmask_b32_e32 v27, v6, v2, vcc
	v_cndmask_b32_e32 v26, v5, v3, vcc
	global_load_ubyte v1, v[12:13], off
	global_load_ubyte v2, v[14:15], off
	;; [unrolled: 1-line block ×8, first 2 shown]
	s_add_i32 s21, s7, s13
	s_load_dwordx2 s[16:17], s[4:5], 0x10
	s_cbranch_execz .LBB257_4
	s_branch .LBB257_21
.LBB257_3:
                                        ; implicit-def: $vgpr1
                                        ; implicit-def: $vgpr2
                                        ; implicit-def: $vgpr3
                                        ; implicit-def: $vgpr5
                                        ; implicit-def: $vgpr6
                                        ; implicit-def: $vgpr7
                                        ; implicit-def: $vgpr9
                                        ; implicit-def: $vgpr11
                                        ; implicit-def: $sgpr21
	s_load_dwordx2 s[16:17], s[4:5], 0x10
.LBB257_4:
	s_add_i32 s21, s7, s13
	v_cmp_gt_u32_e32 vcc, s21, v0
                                        ; implicit-def: $vgpr1
	s_and_saveexec_b64 s[0:1], vcc
	s_cbranch_execz .LBB257_6
; %bb.5:
	s_waitcnt vmcnt(7)
	v_mov_b32_e32 v1, s18
	s_waitcnt vmcnt(6)
	v_add_co_u32_e32 v2, vcc, s11, v0
	v_addc_co_u32_e32 v1, vcc, 0, v1, vcc
	s_waitcnt vmcnt(5)
	v_subrev_u32_e32 v3, s13, v0
	s_waitcnt vmcnt(4)
	v_mov_b32_e32 v5, s9
	s_waitcnt vmcnt(3)
	v_add_co_u32_e32 v6, vcc, s8, v3
	v_addc_co_u32_e32 v3, vcc, 0, v5, vcc
	v_cmp_gt_u32_e32 vcc, s13, v0
	v_cndmask_b32_e32 v3, v3, v1, vcc
	v_cndmask_b32_e32 v2, v6, v2, vcc
	global_load_ubyte v1, v[2:3], off
.LBB257_6:
	s_or_b64 exec, exec, s[0:1]
	v_cmp_gt_u32_e32 vcc, s21, v10
                                        ; implicit-def: $vgpr2
	s_and_saveexec_b64 s[0:1], vcc
	s_cbranch_execz .LBB257_8
; %bb.7:
	s_waitcnt vmcnt(6)
	v_mov_b32_e32 v2, s18
	s_waitcnt vmcnt(4)
	v_add_co_u32_e32 v5, vcc, s11, v10
	v_addc_co_u32_e32 v2, vcc, 0, v2, vcc
	v_subrev_u32_e32 v3, s13, v10
	s_waitcnt vmcnt(3)
	v_mov_b32_e32 v6, s9
	s_waitcnt vmcnt(2)
	v_add_co_u32_e32 v7, vcc, s8, v3
	v_addc_co_u32_e32 v3, vcc, 0, v6, vcc
	v_cmp_gt_u32_e32 vcc, s13, v10
	v_cndmask_b32_e32 v3, v3, v2, vcc
	v_cndmask_b32_e32 v2, v7, v5, vcc
	global_load_ubyte v2, v[2:3], off
.LBB257_8:
	s_or_b64 exec, exec, s[0:1]
	v_cmp_gt_u32_e32 vcc, s21, v8
                                        ; implicit-def: $vgpr3
	s_and_saveexec_b64 s[0:1], vcc
	s_cbranch_execz .LBB257_10
; %bb.9:
	s_waitcnt vmcnt(5)
	v_mov_b32_e32 v3, s18
	s_waitcnt vmcnt(4)
	v_add_co_u32_e32 v5, vcc, s11, v8
	v_addc_co_u32_e32 v3, vcc, 0, v3, vcc
	s_waitcnt vmcnt(3)
	v_subrev_u32_e32 v6, s13, v8
	s_waitcnt vmcnt(2)
	v_mov_b32_e32 v7, s9
	v_add_co_u32_e32 v6, vcc, s8, v6
	v_addc_co_u32_e32 v7, vcc, 0, v7, vcc
	v_cmp_gt_u32_e32 vcc, s13, v8
	v_cndmask_b32_e32 v7, v7, v3, vcc
	v_cndmask_b32_e32 v6, v6, v5, vcc
	global_load_ubyte v3, v[6:7], off
.LBB257_10:
	s_or_b64 exec, exec, s[0:1]
	s_waitcnt vmcnt(3)
	v_add_u32_e32 v6, v8, v4
	v_cmp_gt_u32_e32 vcc, s21, v6
                                        ; implicit-def: $vgpr5
	s_and_saveexec_b64 s[0:1], vcc
	s_cbranch_execz .LBB257_12
; %bb.11:
	v_mov_b32_e32 v5, s18
	s_waitcnt vmcnt(2)
	v_add_co_u32_e32 v7, vcc, s11, v6
	v_addc_co_u32_e32 v5, vcc, 0, v5, vcc
	v_subrev_u32_e32 v8, s13, v6
	s_waitcnt vmcnt(1)
	v_mov_b32_e32 v9, s9
	v_add_co_u32_e32 v8, vcc, s8, v8
	v_addc_co_u32_e32 v9, vcc, 0, v9, vcc
	v_cmp_gt_u32_e32 vcc, s13, v6
	v_cndmask_b32_e32 v9, v9, v5, vcc
	v_cndmask_b32_e32 v8, v8, v7, vcc
	global_load_ubyte v5, v[8:9], off
.LBB257_12:
	s_or_b64 exec, exec, s[0:1]
	s_waitcnt vmcnt(2)
	v_add_u32_e32 v7, v6, v4
	v_cmp_gt_u32_e32 vcc, s21, v7
                                        ; implicit-def: $vgpr6
	s_and_saveexec_b64 s[0:1], vcc
	s_cbranch_execz .LBB257_14
; %bb.13:
	v_mov_b32_e32 v6, s18
	v_add_co_u32_e32 v8, vcc, s11, v7
	v_addc_co_u32_e32 v6, vcc, 0, v6, vcc
	s_waitcnt vmcnt(1)
	v_subrev_u32_e32 v9, s13, v7
	v_mov_b32_e32 v10, s9
	s_waitcnt vmcnt(0)
	v_add_co_u32_e32 v11, vcc, s8, v9
	v_addc_co_u32_e32 v9, vcc, 0, v10, vcc
	v_cmp_gt_u32_e32 vcc, s13, v7
	v_cndmask_b32_e32 v9, v9, v6, vcc
	v_cndmask_b32_e32 v8, v11, v8, vcc
	global_load_ubyte v6, v[8:9], off
.LBB257_14:
	s_or_b64 exec, exec, s[0:1]
	v_add_u32_e32 v8, v7, v4
	v_cmp_gt_u32_e32 vcc, s21, v8
                                        ; implicit-def: $vgpr7
	s_and_saveexec_b64 s[0:1], vcc
	s_cbranch_execz .LBB257_16
; %bb.15:
	v_mov_b32_e32 v7, s18
	s_waitcnt vmcnt(1)
	v_add_co_u32_e32 v9, vcc, s11, v8
	v_addc_co_u32_e32 v7, vcc, 0, v7, vcc
	v_subrev_u32_e32 v10, s13, v8
	s_waitcnt vmcnt(0)
	v_mov_b32_e32 v11, s9
	v_add_co_u32_e32 v10, vcc, s8, v10
	v_addc_co_u32_e32 v11, vcc, 0, v11, vcc
	v_cmp_gt_u32_e32 vcc, s13, v8
	v_cndmask_b32_e32 v11, v11, v7, vcc
	v_cndmask_b32_e32 v10, v10, v9, vcc
	global_load_ubyte v7, v[10:11], off
.LBB257_16:
	s_or_b64 exec, exec, s[0:1]
	v_add_u32_e32 v8, v8, v4
	v_cmp_gt_u32_e32 vcc, s21, v8
                                        ; implicit-def: $vgpr9
	s_and_saveexec_b64 s[0:1], vcc
	s_cbranch_execz .LBB257_18
; %bb.17:
	s_waitcnt vmcnt(1)
	v_mov_b32_e32 v9, s18
	v_add_co_u32_e32 v10, vcc, s11, v8
	v_addc_co_u32_e32 v9, vcc, 0, v9, vcc
	s_waitcnt vmcnt(0)
	v_subrev_u32_e32 v11, s13, v8
	v_mov_b32_e32 v12, s9
	v_add_co_u32_e32 v13, vcc, s8, v11
	v_addc_co_u32_e32 v11, vcc, 0, v12, vcc
	v_cmp_gt_u32_e32 vcc, s13, v8
	v_cndmask_b32_e32 v11, v11, v9, vcc
	v_cndmask_b32_e32 v10, v13, v10, vcc
	global_load_ubyte v9, v[10:11], off
.LBB257_18:
	s_or_b64 exec, exec, s[0:1]
	v_add_u32_e32 v4, v8, v4
	v_cmp_gt_u32_e32 vcc, s21, v4
                                        ; implicit-def: $vgpr11
	s_and_saveexec_b64 s[0:1], vcc
	s_cbranch_execz .LBB257_20
; %bb.19:
	v_mov_b32_e32 v8, s18
	v_add_co_u32_e32 v10, vcc, s11, v4
	v_addc_co_u32_e32 v8, vcc, 0, v8, vcc
	s_waitcnt vmcnt(0)
	v_subrev_u32_e32 v11, s13, v4
	v_mov_b32_e32 v12, s9
	v_add_co_u32_e32 v13, vcc, s8, v11
	v_addc_co_u32_e32 v11, vcc, 0, v12, vcc
	v_cmp_gt_u32_e32 vcc, s13, v4
	v_cndmask_b32_e32 v11, v11, v8, vcc
	v_cndmask_b32_e32 v10, v13, v10, vcc
	global_load_ubyte v11, v[10:11], off
.LBB257_20:
	s_or_b64 exec, exec, s[0:1]
.LBB257_21:
	v_lshlrev_b32_e32 v4, 3, v0
	v_min_u32_e32 v10, s21, v4
	v_sub_u32_e64 v8, v10, s7 clamp
	v_min_u32_e32 v12, s13, v10
	v_cmp_lt_u32_e32 vcc, v8, v12
	s_waitcnt vmcnt(0)
	ds_write_b8 v0, v1
	ds_write_b8 v0, v2 offset:128
	ds_write_b8 v0, v3 offset:256
	;; [unrolled: 1-line block ×7, first 2 shown]
	s_waitcnt lgkmcnt(0)
	s_barrier
	s_and_saveexec_b64 s[0:1], vcc
	s_cbranch_execz .LBB257_25
; %bb.22:
	v_add_u32_e32 v13, s13, v10
	s_mov_b64 s[2:3], 0
.LBB257_23:                             ; =>This Inner Loop Header: Depth=1
	v_add_u32_e32 v14, v12, v8
	v_lshrrev_b32_e32 v14, 1, v14
	v_xad_u32 v15, v14, -1, v13
	ds_read_u8 v16, v14
	ds_read_u8 v15, v15
	v_add_u32_e32 v17, 1, v14
	s_waitcnt lgkmcnt(0)
	v_cmp_gt_u16_e32 vcc, v16, v15
	v_cndmask_b32_e32 v12, v12, v14, vcc
	v_cndmask_b32_e32 v8, v17, v8, vcc
	v_cmp_ge_u32_e32 vcc, v8, v12
	s_or_b64 s[2:3], vcc, s[2:3]
	s_andn2_b64 exec, exec, s[2:3]
	s_cbranch_execnz .LBB257_23
; %bb.24:
	s_or_b64 exec, exec, s[2:3]
.LBB257_25:
	s_or_b64 exec, exec, s[0:1]
	v_sub_u32_e32 v10, v10, v8
	v_add_u32_e32 v10, s13, v10
	v_cmp_ge_u32_e32 vcc, s13, v8
	v_cmp_ge_u32_e64 s[0:1], s21, v10
	s_or_b64 s[0:1], vcc, s[0:1]
	s_and_saveexec_b64 s[18:19], s[0:1]
	s_cbranch_execz .LBB257_31
; %bb.26:
	v_cmp_gt_u32_e32 vcc, s13, v8
                                        ; implicit-def: $vgpr1
	s_and_saveexec_b64 s[0:1], vcc
	s_cbranch_execz .LBB257_28
; %bb.27:
	ds_read_u8 v1, v8
.LBB257_28:
	s_or_b64 exec, exec, s[0:1]
	v_cmp_le_u32_e64 s[0:1], s21, v10
	v_cmp_gt_u32_e64 s[2:3], s21, v10
                                        ; implicit-def: $vgpr2
	s_and_saveexec_b64 s[4:5], s[2:3]
	s_cbranch_execz .LBB257_30
; %bb.29:
	ds_read_u8 v2, v10
.LBB257_30:
	s_or_b64 exec, exec, s[4:5]
	s_waitcnt lgkmcnt(0)
	v_cmp_le_u16_sdwa s[2:3], v1, v2 src0_sel:BYTE_0 src1_sel:BYTE_0
	s_and_b64 s[2:3], vcc, s[2:3]
	s_or_b64 vcc, s[0:1], s[2:3]
	v_mov_b32_e32 v5, s21
	v_mov_b32_e32 v6, s13
	v_cndmask_b32_e32 v3, v10, v8, vcc
	v_cndmask_b32_e32 v7, v5, v6, vcc
	v_add_u32_e32 v3, 1, v3
	v_add_u32_e32 v7, -1, v7
	v_min_u32_e32 v7, v3, v7
	ds_read_u8 v7, v7
	v_cndmask_b32_e32 v10, v3, v10, vcc
	v_cndmask_b32_e32 v3, v8, v3, vcc
	v_cmp_gt_u32_e64 s[2:3], s13, v3
	v_cmp_le_u32_e64 s[0:1], s21, v10
	s_waitcnt lgkmcnt(0)
	v_cndmask_b32_e32 v9, v7, v2, vcc
	v_cndmask_b32_e32 v7, v1, v7, vcc
	v_cmp_le_u16_sdwa s[4:5], v7, v9 src0_sel:BYTE_0 src1_sel:BYTE_0
	s_and_b64 s[2:3], s[2:3], s[4:5]
	s_or_b64 s[0:1], s[0:1], s[2:3]
	v_cndmask_b32_e64 v8, v10, v3, s[0:1]
	v_cndmask_b32_e64 v11, v5, v6, s[0:1]
	v_add_u32_e32 v8, 1, v8
	v_add_u32_e32 v11, -1, v11
	v_min_u32_e32 v11, v8, v11
	ds_read_u8 v11, v11
	v_cndmask_b32_e64 v3, v3, v8, s[0:1]
	v_cndmask_b32_e64 v10, v8, v10, s[0:1]
	v_cmp_gt_u32_e64 s[4:5], s13, v3
	v_cmp_le_u32_e64 s[2:3], s21, v10
	s_waitcnt lgkmcnt(0)
	v_cndmask_b32_e64 v12, v11, v9, s[0:1]
	v_cndmask_b32_e64 v11, v7, v11, s[0:1]
	v_cmp_le_u16_sdwa s[6:7], v11, v12 src0_sel:BYTE_0 src1_sel:BYTE_0
	s_and_b64 s[4:5], s[4:5], s[6:7]
	s_or_b64 s[2:3], s[2:3], s[4:5]
	v_cndmask_b32_e64 v8, v10, v3, s[2:3]
	v_cndmask_b32_e64 v13, v5, v6, s[2:3]
	v_add_u32_e32 v8, 1, v8
	v_add_u32_e32 v13, -1, v13
	v_min_u32_e32 v13, v8, v13
	ds_read_u8 v13, v13
	v_cndmask_b32_e64 v3, v3, v8, s[2:3]
	v_cndmask_b32_e64 v10, v8, v10, s[2:3]
	v_cmp_gt_u32_e64 s[6:7], s13, v3
	v_cmp_le_u32_e64 s[4:5], s21, v10
	s_waitcnt lgkmcnt(0)
	v_cndmask_b32_e64 v14, v13, v12, s[2:3]
	v_cndmask_b32_e64 v13, v11, v13, s[2:3]
	;; [unrolled: 16-line block ×4, first 2 shown]
	v_cmp_le_u16_sdwa s[22:23], v17, v18 src0_sel:BYTE_0 src1_sel:BYTE_0
	s_and_b64 s[10:11], s[10:11], s[22:23]
	s_or_b64 s[8:9], s[8:9], s[10:11]
	v_cndmask_b32_e64 v3, v10, v8, s[8:9]
	v_cndmask_b32_e64 v19, v5, v6, s[8:9]
	v_add_u32_e32 v20, 1, v3
	v_add_u32_e32 v3, -1, v19
	v_min_u32_e32 v3, v20, v3
	ds_read_u8 v19, v3
	v_cndmask_b32_e64 v3, v12, v11, s[2:3]
	v_cndmask_b32_e64 v8, v8, v20, s[8:9]
	v_cndmask_b32_e32 v1, v2, v1, vcc
	v_cndmask_b32_e64 v2, v9, v7, s[0:1]
	s_waitcnt lgkmcnt(0)
	v_cndmask_b32_e64 v11, v19, v18, s[8:9]
	v_cndmask_b32_e64 v12, v17, v19, s[8:9]
	;; [unrolled: 1-line block ×3, first 2 shown]
	v_cmp_gt_u32_e64 s[0:1], s13, v8
	v_cmp_le_u16_sdwa s[2:3], v12, v11 src0_sel:BYTE_0 src1_sel:BYTE_0
	v_cmp_le_u32_e32 vcc, s21, v10
	s_and_b64 s[0:1], s[0:1], s[2:3]
	s_or_b64 vcc, vcc, s[0:1]
	v_cndmask_b32_e32 v7, v10, v8, vcc
	v_cndmask_b32_e32 v5, v5, v6, vcc
	v_add_u32_e32 v19, 1, v7
	v_add_u32_e32 v5, -1, v5
	v_min_u32_e32 v5, v19, v5
	ds_read_u8 v20, v5
	v_cndmask_b32_e32 v9, v11, v12, vcc
	v_cndmask_b32_e32 v8, v8, v19, vcc
	;; [unrolled: 1-line block ×3, first 2 shown]
	v_cmp_gt_u32_e64 s[0:1], s13, v8
	s_waitcnt lgkmcnt(0)
	v_cndmask_b32_e32 v11, v20, v11, vcc
	v_cndmask_b32_e32 v12, v12, v20, vcc
	v_cmp_le_u16_sdwa s[2:3], v12, v11 src0_sel:BYTE_0 src1_sel:BYTE_0
	v_cmp_le_u32_e32 vcc, s21, v10
	s_and_b64 s[0:1], s[0:1], s[2:3]
	s_or_b64 vcc, vcc, s[0:1]
	v_cndmask_b32_e64 v5, v14, v13, s[4:5]
	v_cndmask_b32_e64 v6, v16, v15, s[6:7]
	;; [unrolled: 1-line block ×3, first 2 shown]
	v_cndmask_b32_e32 v11, v11, v12, vcc
.LBB257_31:
	s_or_b64 exec, exec, s[18:19]
	v_lshlrev_b16_e32 v7, 8, v7
	v_lshlrev_b16_e32 v2, 8, v2
	v_lshrrev_b32_e32 v8, 2, v0
	v_or_b32_sdwa v6, v6, v7 dst_sel:DWORD dst_unused:UNUSED_PAD src0_sel:BYTE_0 src1_sel:DWORD
	v_lshlrev_b16_e32 v7, 8, v11
	v_or_b32_sdwa v1, v1, v2 dst_sel:DWORD dst_unused:UNUSED_PAD src0_sel:BYTE_0 src1_sel:DWORD
	v_lshlrev_b16_e32 v2, 8, v5
	s_add_u32 s0, s16, s20
	v_and_b32_e32 v8, 28, v8
	v_or_b32_sdwa v7, v9, v7 dst_sel:WORD_1 dst_unused:UNUSED_PAD src0_sel:BYTE_0 src1_sel:DWORD
	v_or_b32_sdwa v2, v3, v2 dst_sel:WORD_1 dst_unused:UNUSED_PAD src0_sel:BYTE_0 src1_sel:DWORD
	s_addc_u32 s1, s17, 0
	v_add_u32_e32 v4, v8, v4
	v_or_b32_sdwa v6, v6, v7 dst_sel:DWORD dst_unused:UNUSED_PAD src0_sel:WORD_0 src1_sel:DWORD
	v_or_b32_sdwa v1, v1, v2 dst_sel:DWORD dst_unused:UNUSED_PAD src0_sel:WORD_0 src1_sel:DWORD
	s_barrier
	s_barrier
	ds_write2_b32 v4, v1, v6 offset1:1
	v_mov_b32_e32 v1, s1
	v_add_co_u32_e32 v2, vcc, s0, v0
	v_addc_co_u32_e32 v3, vcc, 0, v1, vcc
	s_and_b64 vcc, exec, s[14:15]
	v_add_u32_e32 v4, 4, v0
	v_add_u32_e32 v5, 8, v0
	;; [unrolled: 1-line block ×7, first 2 shown]
	s_waitcnt lgkmcnt(0)
	s_cbranch_vccz .LBB257_33
; %bb.32:
	s_barrier
	ds_read_u8 v11, v0
	ds_read_u8 v12, v4 offset:128
	ds_read_u8 v13, v5 offset:256
	;; [unrolled: 1-line block ×7, first 2 shown]
	s_waitcnt lgkmcnt(7)
	global_store_byte v[2:3], v11, off
	s_waitcnt lgkmcnt(6)
	global_store_byte v[2:3], v12, off offset:128
	s_waitcnt lgkmcnt(5)
	global_store_byte v[2:3], v13, off offset:256
	;; [unrolled: 2-line block ×6, first 2 shown]
	s_mov_b64 s[0:1], -1
	s_cbranch_execz .LBB257_34
	s_branch .LBB257_49
.LBB257_33:
	s_mov_b64 s[0:1], 0
                                        ; implicit-def: $vgpr1
.LBB257_34:
	s_barrier
	s_waitcnt lgkmcnt(0)
	ds_read_u8 v13, v4 offset:128
	ds_read_u8 v12, v5 offset:256
	;; [unrolled: 1-line block ×7, first 2 shown]
	s_sub_i32 s2, s12, s20
	v_or_b32_e32 v7, 0x80, v0
	v_cmp_gt_u32_e32 vcc, s2, v0
	s_and_saveexec_b64 s[0:1], vcc
	s_cbranch_execz .LBB257_36
; %bb.35:
	ds_read_u8 v8, v0
	s_waitcnt lgkmcnt(0)
	global_store_byte v[2:3], v8, off
.LBB257_36:
	s_or_b64 exec, exec, s[0:1]
	v_or_b32_e32 v8, 0x100, v0
	v_cmp_gt_u32_e32 vcc, s2, v7
	s_and_saveexec_b64 s[0:1], vcc
	s_cbranch_execz .LBB257_38
; %bb.37:
	s_waitcnt lgkmcnt(6)
	global_store_byte v[2:3], v13, off offset:128
.LBB257_38:
	s_or_b64 exec, exec, s[0:1]
	v_or_b32_e32 v7, 0x180, v0
	v_cmp_gt_u32_e32 vcc, s2, v8
	s_and_saveexec_b64 s[0:1], vcc
	s_cbranch_execz .LBB257_40
; %bb.39:
	s_waitcnt lgkmcnt(5)
	global_store_byte v[2:3], v12, off offset:256
.LBB257_40:
	;; [unrolled: 9-line block ×4, first 2 shown]
	s_or_b64 exec, exec, s[0:1]
	s_waitcnt lgkmcnt(3)
	v_or_b32_e32 v6, 0x300, v0
	v_cmp_gt_u32_e32 vcc, s2, v7
	s_and_saveexec_b64 s[0:1], vcc
	s_cbranch_execz .LBB257_46
; %bb.45:
	s_waitcnt lgkmcnt(2)
	global_store_byte v[2:3], v5, off offset:640
.LBB257_46:
	s_or_b64 exec, exec, s[0:1]
	v_or_b32_e32 v0, 0x380, v0
	v_cmp_gt_u32_e32 vcc, s2, v6
	s_and_saveexec_b64 s[0:1], vcc
	s_cbranch_execz .LBB257_48
; %bb.47:
	s_waitcnt lgkmcnt(1)
	global_store_byte v[2:3], v4, off offset:768
.LBB257_48:
	s_or_b64 exec, exec, s[0:1]
	v_cmp_gt_u32_e64 s[0:1], s2, v0
.LBB257_49:
	s_and_saveexec_b64 s[2:3], s[0:1]
	s_cbranch_execz .LBB257_51
; %bb.50:
	s_waitcnt lgkmcnt(0)
	global_store_byte v[2:3], v1, off offset:896
.LBB257_51:
	s_endpgm
	.section	.rodata,"a",@progbits
	.p2align	6, 0x0
	.amdhsa_kernel _ZN7rocprim17ROCPRIM_400000_NS6detail17trampoline_kernelINS0_14default_configENS1_38merge_sort_block_merge_config_selectorIhNS0_10empty_typeEEEZZNS1_27merge_sort_block_merge_implIS3_PhPS5_jNS1_19radix_merge_compareILb0ELb0EhNS0_19identity_decomposerEEEEE10hipError_tT0_T1_T2_jT3_P12ihipStream_tbPNSt15iterator_traitsISE_E10value_typeEPNSK_ISF_E10value_typeEPSG_NS1_7vsmem_tEENKUlT_SE_SF_SG_E_clIS8_S8_S9_S9_EESD_ST_SE_SF_SG_EUlST_E0_NS1_11comp_targetILNS1_3genE4ELNS1_11target_archE910ELNS1_3gpuE8ELNS1_3repE0EEENS1_38merge_mergepath_config_static_selectorELNS0_4arch9wavefront6targetE1EEEvSF_
		.amdhsa_group_segment_fixed_size 1056
		.amdhsa_private_segment_fixed_size 0
		.amdhsa_kernarg_size 320
		.amdhsa_user_sgpr_count 6
		.amdhsa_user_sgpr_private_segment_buffer 1
		.amdhsa_user_sgpr_dispatch_ptr 0
		.amdhsa_user_sgpr_queue_ptr 0
		.amdhsa_user_sgpr_kernarg_segment_ptr 1
		.amdhsa_user_sgpr_dispatch_id 0
		.amdhsa_user_sgpr_flat_scratch_init 0
		.amdhsa_user_sgpr_kernarg_preload_length 0
		.amdhsa_user_sgpr_kernarg_preload_offset 0
		.amdhsa_user_sgpr_private_segment_size 0
		.amdhsa_uses_dynamic_stack 0
		.amdhsa_system_sgpr_private_segment_wavefront_offset 0
		.amdhsa_system_sgpr_workgroup_id_x 1
		.amdhsa_system_sgpr_workgroup_id_y 1
		.amdhsa_system_sgpr_workgroup_id_z 1
		.amdhsa_system_sgpr_workgroup_info 0
		.amdhsa_system_vgpr_workitem_id 0
		.amdhsa_next_free_vgpr 28
		.amdhsa_next_free_sgpr 24
		.amdhsa_accum_offset 28
		.amdhsa_reserve_vcc 1
		.amdhsa_reserve_flat_scratch 0
		.amdhsa_float_round_mode_32 0
		.amdhsa_float_round_mode_16_64 0
		.amdhsa_float_denorm_mode_32 3
		.amdhsa_float_denorm_mode_16_64 3
		.amdhsa_dx10_clamp 1
		.amdhsa_ieee_mode 1
		.amdhsa_fp16_overflow 0
		.amdhsa_tg_split 0
		.amdhsa_exception_fp_ieee_invalid_op 0
		.amdhsa_exception_fp_denorm_src 0
		.amdhsa_exception_fp_ieee_div_zero 0
		.amdhsa_exception_fp_ieee_overflow 0
		.amdhsa_exception_fp_ieee_underflow 0
		.amdhsa_exception_fp_ieee_inexact 0
		.amdhsa_exception_int_div_zero 0
	.end_amdhsa_kernel
	.section	.text._ZN7rocprim17ROCPRIM_400000_NS6detail17trampoline_kernelINS0_14default_configENS1_38merge_sort_block_merge_config_selectorIhNS0_10empty_typeEEEZZNS1_27merge_sort_block_merge_implIS3_PhPS5_jNS1_19radix_merge_compareILb0ELb0EhNS0_19identity_decomposerEEEEE10hipError_tT0_T1_T2_jT3_P12ihipStream_tbPNSt15iterator_traitsISE_E10value_typeEPNSK_ISF_E10value_typeEPSG_NS1_7vsmem_tEENKUlT_SE_SF_SG_E_clIS8_S8_S9_S9_EESD_ST_SE_SF_SG_EUlST_E0_NS1_11comp_targetILNS1_3genE4ELNS1_11target_archE910ELNS1_3gpuE8ELNS1_3repE0EEENS1_38merge_mergepath_config_static_selectorELNS0_4arch9wavefront6targetE1EEEvSF_,"axG",@progbits,_ZN7rocprim17ROCPRIM_400000_NS6detail17trampoline_kernelINS0_14default_configENS1_38merge_sort_block_merge_config_selectorIhNS0_10empty_typeEEEZZNS1_27merge_sort_block_merge_implIS3_PhPS5_jNS1_19radix_merge_compareILb0ELb0EhNS0_19identity_decomposerEEEEE10hipError_tT0_T1_T2_jT3_P12ihipStream_tbPNSt15iterator_traitsISE_E10value_typeEPNSK_ISF_E10value_typeEPSG_NS1_7vsmem_tEENKUlT_SE_SF_SG_E_clIS8_S8_S9_S9_EESD_ST_SE_SF_SG_EUlST_E0_NS1_11comp_targetILNS1_3genE4ELNS1_11target_archE910ELNS1_3gpuE8ELNS1_3repE0EEENS1_38merge_mergepath_config_static_selectorELNS0_4arch9wavefront6targetE1EEEvSF_,comdat
.Lfunc_end257:
	.size	_ZN7rocprim17ROCPRIM_400000_NS6detail17trampoline_kernelINS0_14default_configENS1_38merge_sort_block_merge_config_selectorIhNS0_10empty_typeEEEZZNS1_27merge_sort_block_merge_implIS3_PhPS5_jNS1_19radix_merge_compareILb0ELb0EhNS0_19identity_decomposerEEEEE10hipError_tT0_T1_T2_jT3_P12ihipStream_tbPNSt15iterator_traitsISE_E10value_typeEPNSK_ISF_E10value_typeEPSG_NS1_7vsmem_tEENKUlT_SE_SF_SG_E_clIS8_S8_S9_S9_EESD_ST_SE_SF_SG_EUlST_E0_NS1_11comp_targetILNS1_3genE4ELNS1_11target_archE910ELNS1_3gpuE8ELNS1_3repE0EEENS1_38merge_mergepath_config_static_selectorELNS0_4arch9wavefront6targetE1EEEvSF_, .Lfunc_end257-_ZN7rocprim17ROCPRIM_400000_NS6detail17trampoline_kernelINS0_14default_configENS1_38merge_sort_block_merge_config_selectorIhNS0_10empty_typeEEEZZNS1_27merge_sort_block_merge_implIS3_PhPS5_jNS1_19radix_merge_compareILb0ELb0EhNS0_19identity_decomposerEEEEE10hipError_tT0_T1_T2_jT3_P12ihipStream_tbPNSt15iterator_traitsISE_E10value_typeEPNSK_ISF_E10value_typeEPSG_NS1_7vsmem_tEENKUlT_SE_SF_SG_E_clIS8_S8_S9_S9_EESD_ST_SE_SF_SG_EUlST_E0_NS1_11comp_targetILNS1_3genE4ELNS1_11target_archE910ELNS1_3gpuE8ELNS1_3repE0EEENS1_38merge_mergepath_config_static_selectorELNS0_4arch9wavefront6targetE1EEEvSF_
                                        ; -- End function
	.section	.AMDGPU.csdata,"",@progbits
; Kernel info:
; codeLenInByte = 3112
; NumSgprs: 28
; NumVgprs: 28
; NumAgprs: 0
; TotalNumVgprs: 28
; ScratchSize: 0
; MemoryBound: 0
; FloatMode: 240
; IeeeMode: 1
; LDSByteSize: 1056 bytes/workgroup (compile time only)
; SGPRBlocks: 3
; VGPRBlocks: 3
; NumSGPRsForWavesPerEU: 28
; NumVGPRsForWavesPerEU: 28
; AccumOffset: 28
; Occupancy: 8
; WaveLimiterHint : 1
; COMPUTE_PGM_RSRC2:SCRATCH_EN: 0
; COMPUTE_PGM_RSRC2:USER_SGPR: 6
; COMPUTE_PGM_RSRC2:TRAP_HANDLER: 0
; COMPUTE_PGM_RSRC2:TGID_X_EN: 1
; COMPUTE_PGM_RSRC2:TGID_Y_EN: 1
; COMPUTE_PGM_RSRC2:TGID_Z_EN: 1
; COMPUTE_PGM_RSRC2:TIDIG_COMP_CNT: 0
; COMPUTE_PGM_RSRC3_GFX90A:ACCUM_OFFSET: 6
; COMPUTE_PGM_RSRC3_GFX90A:TG_SPLIT: 0
	.section	.text._ZN7rocprim17ROCPRIM_400000_NS6detail17trampoline_kernelINS0_14default_configENS1_38merge_sort_block_merge_config_selectorIhNS0_10empty_typeEEEZZNS1_27merge_sort_block_merge_implIS3_PhPS5_jNS1_19radix_merge_compareILb0ELb0EhNS0_19identity_decomposerEEEEE10hipError_tT0_T1_T2_jT3_P12ihipStream_tbPNSt15iterator_traitsISE_E10value_typeEPNSK_ISF_E10value_typeEPSG_NS1_7vsmem_tEENKUlT_SE_SF_SG_E_clIS8_S8_S9_S9_EESD_ST_SE_SF_SG_EUlST_E0_NS1_11comp_targetILNS1_3genE3ELNS1_11target_archE908ELNS1_3gpuE7ELNS1_3repE0EEENS1_38merge_mergepath_config_static_selectorELNS0_4arch9wavefront6targetE1EEEvSF_,"axG",@progbits,_ZN7rocprim17ROCPRIM_400000_NS6detail17trampoline_kernelINS0_14default_configENS1_38merge_sort_block_merge_config_selectorIhNS0_10empty_typeEEEZZNS1_27merge_sort_block_merge_implIS3_PhPS5_jNS1_19radix_merge_compareILb0ELb0EhNS0_19identity_decomposerEEEEE10hipError_tT0_T1_T2_jT3_P12ihipStream_tbPNSt15iterator_traitsISE_E10value_typeEPNSK_ISF_E10value_typeEPSG_NS1_7vsmem_tEENKUlT_SE_SF_SG_E_clIS8_S8_S9_S9_EESD_ST_SE_SF_SG_EUlST_E0_NS1_11comp_targetILNS1_3genE3ELNS1_11target_archE908ELNS1_3gpuE7ELNS1_3repE0EEENS1_38merge_mergepath_config_static_selectorELNS0_4arch9wavefront6targetE1EEEvSF_,comdat
	.protected	_ZN7rocprim17ROCPRIM_400000_NS6detail17trampoline_kernelINS0_14default_configENS1_38merge_sort_block_merge_config_selectorIhNS0_10empty_typeEEEZZNS1_27merge_sort_block_merge_implIS3_PhPS5_jNS1_19radix_merge_compareILb0ELb0EhNS0_19identity_decomposerEEEEE10hipError_tT0_T1_T2_jT3_P12ihipStream_tbPNSt15iterator_traitsISE_E10value_typeEPNSK_ISF_E10value_typeEPSG_NS1_7vsmem_tEENKUlT_SE_SF_SG_E_clIS8_S8_S9_S9_EESD_ST_SE_SF_SG_EUlST_E0_NS1_11comp_targetILNS1_3genE3ELNS1_11target_archE908ELNS1_3gpuE7ELNS1_3repE0EEENS1_38merge_mergepath_config_static_selectorELNS0_4arch9wavefront6targetE1EEEvSF_ ; -- Begin function _ZN7rocprim17ROCPRIM_400000_NS6detail17trampoline_kernelINS0_14default_configENS1_38merge_sort_block_merge_config_selectorIhNS0_10empty_typeEEEZZNS1_27merge_sort_block_merge_implIS3_PhPS5_jNS1_19radix_merge_compareILb0ELb0EhNS0_19identity_decomposerEEEEE10hipError_tT0_T1_T2_jT3_P12ihipStream_tbPNSt15iterator_traitsISE_E10value_typeEPNSK_ISF_E10value_typeEPSG_NS1_7vsmem_tEENKUlT_SE_SF_SG_E_clIS8_S8_S9_S9_EESD_ST_SE_SF_SG_EUlST_E0_NS1_11comp_targetILNS1_3genE3ELNS1_11target_archE908ELNS1_3gpuE7ELNS1_3repE0EEENS1_38merge_mergepath_config_static_selectorELNS0_4arch9wavefront6targetE1EEEvSF_
	.globl	_ZN7rocprim17ROCPRIM_400000_NS6detail17trampoline_kernelINS0_14default_configENS1_38merge_sort_block_merge_config_selectorIhNS0_10empty_typeEEEZZNS1_27merge_sort_block_merge_implIS3_PhPS5_jNS1_19radix_merge_compareILb0ELb0EhNS0_19identity_decomposerEEEEE10hipError_tT0_T1_T2_jT3_P12ihipStream_tbPNSt15iterator_traitsISE_E10value_typeEPNSK_ISF_E10value_typeEPSG_NS1_7vsmem_tEENKUlT_SE_SF_SG_E_clIS8_S8_S9_S9_EESD_ST_SE_SF_SG_EUlST_E0_NS1_11comp_targetILNS1_3genE3ELNS1_11target_archE908ELNS1_3gpuE7ELNS1_3repE0EEENS1_38merge_mergepath_config_static_selectorELNS0_4arch9wavefront6targetE1EEEvSF_
	.p2align	8
	.type	_ZN7rocprim17ROCPRIM_400000_NS6detail17trampoline_kernelINS0_14default_configENS1_38merge_sort_block_merge_config_selectorIhNS0_10empty_typeEEEZZNS1_27merge_sort_block_merge_implIS3_PhPS5_jNS1_19radix_merge_compareILb0ELb0EhNS0_19identity_decomposerEEEEE10hipError_tT0_T1_T2_jT3_P12ihipStream_tbPNSt15iterator_traitsISE_E10value_typeEPNSK_ISF_E10value_typeEPSG_NS1_7vsmem_tEENKUlT_SE_SF_SG_E_clIS8_S8_S9_S9_EESD_ST_SE_SF_SG_EUlST_E0_NS1_11comp_targetILNS1_3genE3ELNS1_11target_archE908ELNS1_3gpuE7ELNS1_3repE0EEENS1_38merge_mergepath_config_static_selectorELNS0_4arch9wavefront6targetE1EEEvSF_,@function
_ZN7rocprim17ROCPRIM_400000_NS6detail17trampoline_kernelINS0_14default_configENS1_38merge_sort_block_merge_config_selectorIhNS0_10empty_typeEEEZZNS1_27merge_sort_block_merge_implIS3_PhPS5_jNS1_19radix_merge_compareILb0ELb0EhNS0_19identity_decomposerEEEEE10hipError_tT0_T1_T2_jT3_P12ihipStream_tbPNSt15iterator_traitsISE_E10value_typeEPNSK_ISF_E10value_typeEPSG_NS1_7vsmem_tEENKUlT_SE_SF_SG_E_clIS8_S8_S9_S9_EESD_ST_SE_SF_SG_EUlST_E0_NS1_11comp_targetILNS1_3genE3ELNS1_11target_archE908ELNS1_3gpuE7ELNS1_3repE0EEENS1_38merge_mergepath_config_static_selectorELNS0_4arch9wavefront6targetE1EEEvSF_: ; @_ZN7rocprim17ROCPRIM_400000_NS6detail17trampoline_kernelINS0_14default_configENS1_38merge_sort_block_merge_config_selectorIhNS0_10empty_typeEEEZZNS1_27merge_sort_block_merge_implIS3_PhPS5_jNS1_19radix_merge_compareILb0ELb0EhNS0_19identity_decomposerEEEEE10hipError_tT0_T1_T2_jT3_P12ihipStream_tbPNSt15iterator_traitsISE_E10value_typeEPNSK_ISF_E10value_typeEPSG_NS1_7vsmem_tEENKUlT_SE_SF_SG_E_clIS8_S8_S9_S9_EESD_ST_SE_SF_SG_EUlST_E0_NS1_11comp_targetILNS1_3genE3ELNS1_11target_archE908ELNS1_3gpuE7ELNS1_3repE0EEENS1_38merge_mergepath_config_static_selectorELNS0_4arch9wavefront6targetE1EEEvSF_
; %bb.0:
	.section	.rodata,"a",@progbits
	.p2align	6, 0x0
	.amdhsa_kernel _ZN7rocprim17ROCPRIM_400000_NS6detail17trampoline_kernelINS0_14default_configENS1_38merge_sort_block_merge_config_selectorIhNS0_10empty_typeEEEZZNS1_27merge_sort_block_merge_implIS3_PhPS5_jNS1_19radix_merge_compareILb0ELb0EhNS0_19identity_decomposerEEEEE10hipError_tT0_T1_T2_jT3_P12ihipStream_tbPNSt15iterator_traitsISE_E10value_typeEPNSK_ISF_E10value_typeEPSG_NS1_7vsmem_tEENKUlT_SE_SF_SG_E_clIS8_S8_S9_S9_EESD_ST_SE_SF_SG_EUlST_E0_NS1_11comp_targetILNS1_3genE3ELNS1_11target_archE908ELNS1_3gpuE7ELNS1_3repE0EEENS1_38merge_mergepath_config_static_selectorELNS0_4arch9wavefront6targetE1EEEvSF_
		.amdhsa_group_segment_fixed_size 0
		.amdhsa_private_segment_fixed_size 0
		.amdhsa_kernarg_size 64
		.amdhsa_user_sgpr_count 6
		.amdhsa_user_sgpr_private_segment_buffer 1
		.amdhsa_user_sgpr_dispatch_ptr 0
		.amdhsa_user_sgpr_queue_ptr 0
		.amdhsa_user_sgpr_kernarg_segment_ptr 1
		.amdhsa_user_sgpr_dispatch_id 0
		.amdhsa_user_sgpr_flat_scratch_init 0
		.amdhsa_user_sgpr_kernarg_preload_length 0
		.amdhsa_user_sgpr_kernarg_preload_offset 0
		.amdhsa_user_sgpr_private_segment_size 0
		.amdhsa_uses_dynamic_stack 0
		.amdhsa_system_sgpr_private_segment_wavefront_offset 0
		.amdhsa_system_sgpr_workgroup_id_x 1
		.amdhsa_system_sgpr_workgroup_id_y 0
		.amdhsa_system_sgpr_workgroup_id_z 0
		.amdhsa_system_sgpr_workgroup_info 0
		.amdhsa_system_vgpr_workitem_id 0
		.amdhsa_next_free_vgpr 1
		.amdhsa_next_free_sgpr 0
		.amdhsa_accum_offset 4
		.amdhsa_reserve_vcc 0
		.amdhsa_reserve_flat_scratch 0
		.amdhsa_float_round_mode_32 0
		.amdhsa_float_round_mode_16_64 0
		.amdhsa_float_denorm_mode_32 3
		.amdhsa_float_denorm_mode_16_64 3
		.amdhsa_dx10_clamp 1
		.amdhsa_ieee_mode 1
		.amdhsa_fp16_overflow 0
		.amdhsa_tg_split 0
		.amdhsa_exception_fp_ieee_invalid_op 0
		.amdhsa_exception_fp_denorm_src 0
		.amdhsa_exception_fp_ieee_div_zero 0
		.amdhsa_exception_fp_ieee_overflow 0
		.amdhsa_exception_fp_ieee_underflow 0
		.amdhsa_exception_fp_ieee_inexact 0
		.amdhsa_exception_int_div_zero 0
	.end_amdhsa_kernel
	.section	.text._ZN7rocprim17ROCPRIM_400000_NS6detail17trampoline_kernelINS0_14default_configENS1_38merge_sort_block_merge_config_selectorIhNS0_10empty_typeEEEZZNS1_27merge_sort_block_merge_implIS3_PhPS5_jNS1_19radix_merge_compareILb0ELb0EhNS0_19identity_decomposerEEEEE10hipError_tT0_T1_T2_jT3_P12ihipStream_tbPNSt15iterator_traitsISE_E10value_typeEPNSK_ISF_E10value_typeEPSG_NS1_7vsmem_tEENKUlT_SE_SF_SG_E_clIS8_S8_S9_S9_EESD_ST_SE_SF_SG_EUlST_E0_NS1_11comp_targetILNS1_3genE3ELNS1_11target_archE908ELNS1_3gpuE7ELNS1_3repE0EEENS1_38merge_mergepath_config_static_selectorELNS0_4arch9wavefront6targetE1EEEvSF_,"axG",@progbits,_ZN7rocprim17ROCPRIM_400000_NS6detail17trampoline_kernelINS0_14default_configENS1_38merge_sort_block_merge_config_selectorIhNS0_10empty_typeEEEZZNS1_27merge_sort_block_merge_implIS3_PhPS5_jNS1_19radix_merge_compareILb0ELb0EhNS0_19identity_decomposerEEEEE10hipError_tT0_T1_T2_jT3_P12ihipStream_tbPNSt15iterator_traitsISE_E10value_typeEPNSK_ISF_E10value_typeEPSG_NS1_7vsmem_tEENKUlT_SE_SF_SG_E_clIS8_S8_S9_S9_EESD_ST_SE_SF_SG_EUlST_E0_NS1_11comp_targetILNS1_3genE3ELNS1_11target_archE908ELNS1_3gpuE7ELNS1_3repE0EEENS1_38merge_mergepath_config_static_selectorELNS0_4arch9wavefront6targetE1EEEvSF_,comdat
.Lfunc_end258:
	.size	_ZN7rocprim17ROCPRIM_400000_NS6detail17trampoline_kernelINS0_14default_configENS1_38merge_sort_block_merge_config_selectorIhNS0_10empty_typeEEEZZNS1_27merge_sort_block_merge_implIS3_PhPS5_jNS1_19radix_merge_compareILb0ELb0EhNS0_19identity_decomposerEEEEE10hipError_tT0_T1_T2_jT3_P12ihipStream_tbPNSt15iterator_traitsISE_E10value_typeEPNSK_ISF_E10value_typeEPSG_NS1_7vsmem_tEENKUlT_SE_SF_SG_E_clIS8_S8_S9_S9_EESD_ST_SE_SF_SG_EUlST_E0_NS1_11comp_targetILNS1_3genE3ELNS1_11target_archE908ELNS1_3gpuE7ELNS1_3repE0EEENS1_38merge_mergepath_config_static_selectorELNS0_4arch9wavefront6targetE1EEEvSF_, .Lfunc_end258-_ZN7rocprim17ROCPRIM_400000_NS6detail17trampoline_kernelINS0_14default_configENS1_38merge_sort_block_merge_config_selectorIhNS0_10empty_typeEEEZZNS1_27merge_sort_block_merge_implIS3_PhPS5_jNS1_19radix_merge_compareILb0ELb0EhNS0_19identity_decomposerEEEEE10hipError_tT0_T1_T2_jT3_P12ihipStream_tbPNSt15iterator_traitsISE_E10value_typeEPNSK_ISF_E10value_typeEPSG_NS1_7vsmem_tEENKUlT_SE_SF_SG_E_clIS8_S8_S9_S9_EESD_ST_SE_SF_SG_EUlST_E0_NS1_11comp_targetILNS1_3genE3ELNS1_11target_archE908ELNS1_3gpuE7ELNS1_3repE0EEENS1_38merge_mergepath_config_static_selectorELNS0_4arch9wavefront6targetE1EEEvSF_
                                        ; -- End function
	.section	.AMDGPU.csdata,"",@progbits
; Kernel info:
; codeLenInByte = 0
; NumSgprs: 4
; NumVgprs: 0
; NumAgprs: 0
; TotalNumVgprs: 0
; ScratchSize: 0
; MemoryBound: 0
; FloatMode: 240
; IeeeMode: 1
; LDSByteSize: 0 bytes/workgroup (compile time only)
; SGPRBlocks: 0
; VGPRBlocks: 0
; NumSGPRsForWavesPerEU: 4
; NumVGPRsForWavesPerEU: 1
; AccumOffset: 4
; Occupancy: 8
; WaveLimiterHint : 0
; COMPUTE_PGM_RSRC2:SCRATCH_EN: 0
; COMPUTE_PGM_RSRC2:USER_SGPR: 6
; COMPUTE_PGM_RSRC2:TRAP_HANDLER: 0
; COMPUTE_PGM_RSRC2:TGID_X_EN: 1
; COMPUTE_PGM_RSRC2:TGID_Y_EN: 0
; COMPUTE_PGM_RSRC2:TGID_Z_EN: 0
; COMPUTE_PGM_RSRC2:TIDIG_COMP_CNT: 0
; COMPUTE_PGM_RSRC3_GFX90A:ACCUM_OFFSET: 0
; COMPUTE_PGM_RSRC3_GFX90A:TG_SPLIT: 0
	.section	.text._ZN7rocprim17ROCPRIM_400000_NS6detail17trampoline_kernelINS0_14default_configENS1_38merge_sort_block_merge_config_selectorIhNS0_10empty_typeEEEZZNS1_27merge_sort_block_merge_implIS3_PhPS5_jNS1_19radix_merge_compareILb0ELb0EhNS0_19identity_decomposerEEEEE10hipError_tT0_T1_T2_jT3_P12ihipStream_tbPNSt15iterator_traitsISE_E10value_typeEPNSK_ISF_E10value_typeEPSG_NS1_7vsmem_tEENKUlT_SE_SF_SG_E_clIS8_S8_S9_S9_EESD_ST_SE_SF_SG_EUlST_E0_NS1_11comp_targetILNS1_3genE2ELNS1_11target_archE906ELNS1_3gpuE6ELNS1_3repE0EEENS1_38merge_mergepath_config_static_selectorELNS0_4arch9wavefront6targetE1EEEvSF_,"axG",@progbits,_ZN7rocprim17ROCPRIM_400000_NS6detail17trampoline_kernelINS0_14default_configENS1_38merge_sort_block_merge_config_selectorIhNS0_10empty_typeEEEZZNS1_27merge_sort_block_merge_implIS3_PhPS5_jNS1_19radix_merge_compareILb0ELb0EhNS0_19identity_decomposerEEEEE10hipError_tT0_T1_T2_jT3_P12ihipStream_tbPNSt15iterator_traitsISE_E10value_typeEPNSK_ISF_E10value_typeEPSG_NS1_7vsmem_tEENKUlT_SE_SF_SG_E_clIS8_S8_S9_S9_EESD_ST_SE_SF_SG_EUlST_E0_NS1_11comp_targetILNS1_3genE2ELNS1_11target_archE906ELNS1_3gpuE6ELNS1_3repE0EEENS1_38merge_mergepath_config_static_selectorELNS0_4arch9wavefront6targetE1EEEvSF_,comdat
	.protected	_ZN7rocprim17ROCPRIM_400000_NS6detail17trampoline_kernelINS0_14default_configENS1_38merge_sort_block_merge_config_selectorIhNS0_10empty_typeEEEZZNS1_27merge_sort_block_merge_implIS3_PhPS5_jNS1_19radix_merge_compareILb0ELb0EhNS0_19identity_decomposerEEEEE10hipError_tT0_T1_T2_jT3_P12ihipStream_tbPNSt15iterator_traitsISE_E10value_typeEPNSK_ISF_E10value_typeEPSG_NS1_7vsmem_tEENKUlT_SE_SF_SG_E_clIS8_S8_S9_S9_EESD_ST_SE_SF_SG_EUlST_E0_NS1_11comp_targetILNS1_3genE2ELNS1_11target_archE906ELNS1_3gpuE6ELNS1_3repE0EEENS1_38merge_mergepath_config_static_selectorELNS0_4arch9wavefront6targetE1EEEvSF_ ; -- Begin function _ZN7rocprim17ROCPRIM_400000_NS6detail17trampoline_kernelINS0_14default_configENS1_38merge_sort_block_merge_config_selectorIhNS0_10empty_typeEEEZZNS1_27merge_sort_block_merge_implIS3_PhPS5_jNS1_19radix_merge_compareILb0ELb0EhNS0_19identity_decomposerEEEEE10hipError_tT0_T1_T2_jT3_P12ihipStream_tbPNSt15iterator_traitsISE_E10value_typeEPNSK_ISF_E10value_typeEPSG_NS1_7vsmem_tEENKUlT_SE_SF_SG_E_clIS8_S8_S9_S9_EESD_ST_SE_SF_SG_EUlST_E0_NS1_11comp_targetILNS1_3genE2ELNS1_11target_archE906ELNS1_3gpuE6ELNS1_3repE0EEENS1_38merge_mergepath_config_static_selectorELNS0_4arch9wavefront6targetE1EEEvSF_
	.globl	_ZN7rocprim17ROCPRIM_400000_NS6detail17trampoline_kernelINS0_14default_configENS1_38merge_sort_block_merge_config_selectorIhNS0_10empty_typeEEEZZNS1_27merge_sort_block_merge_implIS3_PhPS5_jNS1_19radix_merge_compareILb0ELb0EhNS0_19identity_decomposerEEEEE10hipError_tT0_T1_T2_jT3_P12ihipStream_tbPNSt15iterator_traitsISE_E10value_typeEPNSK_ISF_E10value_typeEPSG_NS1_7vsmem_tEENKUlT_SE_SF_SG_E_clIS8_S8_S9_S9_EESD_ST_SE_SF_SG_EUlST_E0_NS1_11comp_targetILNS1_3genE2ELNS1_11target_archE906ELNS1_3gpuE6ELNS1_3repE0EEENS1_38merge_mergepath_config_static_selectorELNS0_4arch9wavefront6targetE1EEEvSF_
	.p2align	8
	.type	_ZN7rocprim17ROCPRIM_400000_NS6detail17trampoline_kernelINS0_14default_configENS1_38merge_sort_block_merge_config_selectorIhNS0_10empty_typeEEEZZNS1_27merge_sort_block_merge_implIS3_PhPS5_jNS1_19radix_merge_compareILb0ELb0EhNS0_19identity_decomposerEEEEE10hipError_tT0_T1_T2_jT3_P12ihipStream_tbPNSt15iterator_traitsISE_E10value_typeEPNSK_ISF_E10value_typeEPSG_NS1_7vsmem_tEENKUlT_SE_SF_SG_E_clIS8_S8_S9_S9_EESD_ST_SE_SF_SG_EUlST_E0_NS1_11comp_targetILNS1_3genE2ELNS1_11target_archE906ELNS1_3gpuE6ELNS1_3repE0EEENS1_38merge_mergepath_config_static_selectorELNS0_4arch9wavefront6targetE1EEEvSF_,@function
_ZN7rocprim17ROCPRIM_400000_NS6detail17trampoline_kernelINS0_14default_configENS1_38merge_sort_block_merge_config_selectorIhNS0_10empty_typeEEEZZNS1_27merge_sort_block_merge_implIS3_PhPS5_jNS1_19radix_merge_compareILb0ELb0EhNS0_19identity_decomposerEEEEE10hipError_tT0_T1_T2_jT3_P12ihipStream_tbPNSt15iterator_traitsISE_E10value_typeEPNSK_ISF_E10value_typeEPSG_NS1_7vsmem_tEENKUlT_SE_SF_SG_E_clIS8_S8_S9_S9_EESD_ST_SE_SF_SG_EUlST_E0_NS1_11comp_targetILNS1_3genE2ELNS1_11target_archE906ELNS1_3gpuE6ELNS1_3repE0EEENS1_38merge_mergepath_config_static_selectorELNS0_4arch9wavefront6targetE1EEEvSF_: ; @_ZN7rocprim17ROCPRIM_400000_NS6detail17trampoline_kernelINS0_14default_configENS1_38merge_sort_block_merge_config_selectorIhNS0_10empty_typeEEEZZNS1_27merge_sort_block_merge_implIS3_PhPS5_jNS1_19radix_merge_compareILb0ELb0EhNS0_19identity_decomposerEEEEE10hipError_tT0_T1_T2_jT3_P12ihipStream_tbPNSt15iterator_traitsISE_E10value_typeEPNSK_ISF_E10value_typeEPSG_NS1_7vsmem_tEENKUlT_SE_SF_SG_E_clIS8_S8_S9_S9_EESD_ST_SE_SF_SG_EUlST_E0_NS1_11comp_targetILNS1_3genE2ELNS1_11target_archE906ELNS1_3gpuE6ELNS1_3repE0EEENS1_38merge_mergepath_config_static_selectorELNS0_4arch9wavefront6targetE1EEEvSF_
; %bb.0:
	.section	.rodata,"a",@progbits
	.p2align	6, 0x0
	.amdhsa_kernel _ZN7rocprim17ROCPRIM_400000_NS6detail17trampoline_kernelINS0_14default_configENS1_38merge_sort_block_merge_config_selectorIhNS0_10empty_typeEEEZZNS1_27merge_sort_block_merge_implIS3_PhPS5_jNS1_19radix_merge_compareILb0ELb0EhNS0_19identity_decomposerEEEEE10hipError_tT0_T1_T2_jT3_P12ihipStream_tbPNSt15iterator_traitsISE_E10value_typeEPNSK_ISF_E10value_typeEPSG_NS1_7vsmem_tEENKUlT_SE_SF_SG_E_clIS8_S8_S9_S9_EESD_ST_SE_SF_SG_EUlST_E0_NS1_11comp_targetILNS1_3genE2ELNS1_11target_archE906ELNS1_3gpuE6ELNS1_3repE0EEENS1_38merge_mergepath_config_static_selectorELNS0_4arch9wavefront6targetE1EEEvSF_
		.amdhsa_group_segment_fixed_size 0
		.amdhsa_private_segment_fixed_size 0
		.amdhsa_kernarg_size 64
		.amdhsa_user_sgpr_count 6
		.amdhsa_user_sgpr_private_segment_buffer 1
		.amdhsa_user_sgpr_dispatch_ptr 0
		.amdhsa_user_sgpr_queue_ptr 0
		.amdhsa_user_sgpr_kernarg_segment_ptr 1
		.amdhsa_user_sgpr_dispatch_id 0
		.amdhsa_user_sgpr_flat_scratch_init 0
		.amdhsa_user_sgpr_kernarg_preload_length 0
		.amdhsa_user_sgpr_kernarg_preload_offset 0
		.amdhsa_user_sgpr_private_segment_size 0
		.amdhsa_uses_dynamic_stack 0
		.amdhsa_system_sgpr_private_segment_wavefront_offset 0
		.amdhsa_system_sgpr_workgroup_id_x 1
		.amdhsa_system_sgpr_workgroup_id_y 0
		.amdhsa_system_sgpr_workgroup_id_z 0
		.amdhsa_system_sgpr_workgroup_info 0
		.amdhsa_system_vgpr_workitem_id 0
		.amdhsa_next_free_vgpr 1
		.amdhsa_next_free_sgpr 0
		.amdhsa_accum_offset 4
		.amdhsa_reserve_vcc 0
		.amdhsa_reserve_flat_scratch 0
		.amdhsa_float_round_mode_32 0
		.amdhsa_float_round_mode_16_64 0
		.amdhsa_float_denorm_mode_32 3
		.amdhsa_float_denorm_mode_16_64 3
		.amdhsa_dx10_clamp 1
		.amdhsa_ieee_mode 1
		.amdhsa_fp16_overflow 0
		.amdhsa_tg_split 0
		.amdhsa_exception_fp_ieee_invalid_op 0
		.amdhsa_exception_fp_denorm_src 0
		.amdhsa_exception_fp_ieee_div_zero 0
		.amdhsa_exception_fp_ieee_overflow 0
		.amdhsa_exception_fp_ieee_underflow 0
		.amdhsa_exception_fp_ieee_inexact 0
		.amdhsa_exception_int_div_zero 0
	.end_amdhsa_kernel
	.section	.text._ZN7rocprim17ROCPRIM_400000_NS6detail17trampoline_kernelINS0_14default_configENS1_38merge_sort_block_merge_config_selectorIhNS0_10empty_typeEEEZZNS1_27merge_sort_block_merge_implIS3_PhPS5_jNS1_19radix_merge_compareILb0ELb0EhNS0_19identity_decomposerEEEEE10hipError_tT0_T1_T2_jT3_P12ihipStream_tbPNSt15iterator_traitsISE_E10value_typeEPNSK_ISF_E10value_typeEPSG_NS1_7vsmem_tEENKUlT_SE_SF_SG_E_clIS8_S8_S9_S9_EESD_ST_SE_SF_SG_EUlST_E0_NS1_11comp_targetILNS1_3genE2ELNS1_11target_archE906ELNS1_3gpuE6ELNS1_3repE0EEENS1_38merge_mergepath_config_static_selectorELNS0_4arch9wavefront6targetE1EEEvSF_,"axG",@progbits,_ZN7rocprim17ROCPRIM_400000_NS6detail17trampoline_kernelINS0_14default_configENS1_38merge_sort_block_merge_config_selectorIhNS0_10empty_typeEEEZZNS1_27merge_sort_block_merge_implIS3_PhPS5_jNS1_19radix_merge_compareILb0ELb0EhNS0_19identity_decomposerEEEEE10hipError_tT0_T1_T2_jT3_P12ihipStream_tbPNSt15iterator_traitsISE_E10value_typeEPNSK_ISF_E10value_typeEPSG_NS1_7vsmem_tEENKUlT_SE_SF_SG_E_clIS8_S8_S9_S9_EESD_ST_SE_SF_SG_EUlST_E0_NS1_11comp_targetILNS1_3genE2ELNS1_11target_archE906ELNS1_3gpuE6ELNS1_3repE0EEENS1_38merge_mergepath_config_static_selectorELNS0_4arch9wavefront6targetE1EEEvSF_,comdat
.Lfunc_end259:
	.size	_ZN7rocprim17ROCPRIM_400000_NS6detail17trampoline_kernelINS0_14default_configENS1_38merge_sort_block_merge_config_selectorIhNS0_10empty_typeEEEZZNS1_27merge_sort_block_merge_implIS3_PhPS5_jNS1_19radix_merge_compareILb0ELb0EhNS0_19identity_decomposerEEEEE10hipError_tT0_T1_T2_jT3_P12ihipStream_tbPNSt15iterator_traitsISE_E10value_typeEPNSK_ISF_E10value_typeEPSG_NS1_7vsmem_tEENKUlT_SE_SF_SG_E_clIS8_S8_S9_S9_EESD_ST_SE_SF_SG_EUlST_E0_NS1_11comp_targetILNS1_3genE2ELNS1_11target_archE906ELNS1_3gpuE6ELNS1_3repE0EEENS1_38merge_mergepath_config_static_selectorELNS0_4arch9wavefront6targetE1EEEvSF_, .Lfunc_end259-_ZN7rocprim17ROCPRIM_400000_NS6detail17trampoline_kernelINS0_14default_configENS1_38merge_sort_block_merge_config_selectorIhNS0_10empty_typeEEEZZNS1_27merge_sort_block_merge_implIS3_PhPS5_jNS1_19radix_merge_compareILb0ELb0EhNS0_19identity_decomposerEEEEE10hipError_tT0_T1_T2_jT3_P12ihipStream_tbPNSt15iterator_traitsISE_E10value_typeEPNSK_ISF_E10value_typeEPSG_NS1_7vsmem_tEENKUlT_SE_SF_SG_E_clIS8_S8_S9_S9_EESD_ST_SE_SF_SG_EUlST_E0_NS1_11comp_targetILNS1_3genE2ELNS1_11target_archE906ELNS1_3gpuE6ELNS1_3repE0EEENS1_38merge_mergepath_config_static_selectorELNS0_4arch9wavefront6targetE1EEEvSF_
                                        ; -- End function
	.section	.AMDGPU.csdata,"",@progbits
; Kernel info:
; codeLenInByte = 0
; NumSgprs: 4
; NumVgprs: 0
; NumAgprs: 0
; TotalNumVgprs: 0
; ScratchSize: 0
; MemoryBound: 0
; FloatMode: 240
; IeeeMode: 1
; LDSByteSize: 0 bytes/workgroup (compile time only)
; SGPRBlocks: 0
; VGPRBlocks: 0
; NumSGPRsForWavesPerEU: 4
; NumVGPRsForWavesPerEU: 1
; AccumOffset: 4
; Occupancy: 8
; WaveLimiterHint : 0
; COMPUTE_PGM_RSRC2:SCRATCH_EN: 0
; COMPUTE_PGM_RSRC2:USER_SGPR: 6
; COMPUTE_PGM_RSRC2:TRAP_HANDLER: 0
; COMPUTE_PGM_RSRC2:TGID_X_EN: 1
; COMPUTE_PGM_RSRC2:TGID_Y_EN: 0
; COMPUTE_PGM_RSRC2:TGID_Z_EN: 0
; COMPUTE_PGM_RSRC2:TIDIG_COMP_CNT: 0
; COMPUTE_PGM_RSRC3_GFX90A:ACCUM_OFFSET: 0
; COMPUTE_PGM_RSRC3_GFX90A:TG_SPLIT: 0
	.section	.text._ZN7rocprim17ROCPRIM_400000_NS6detail17trampoline_kernelINS0_14default_configENS1_38merge_sort_block_merge_config_selectorIhNS0_10empty_typeEEEZZNS1_27merge_sort_block_merge_implIS3_PhPS5_jNS1_19radix_merge_compareILb0ELb0EhNS0_19identity_decomposerEEEEE10hipError_tT0_T1_T2_jT3_P12ihipStream_tbPNSt15iterator_traitsISE_E10value_typeEPNSK_ISF_E10value_typeEPSG_NS1_7vsmem_tEENKUlT_SE_SF_SG_E_clIS8_S8_S9_S9_EESD_ST_SE_SF_SG_EUlST_E0_NS1_11comp_targetILNS1_3genE9ELNS1_11target_archE1100ELNS1_3gpuE3ELNS1_3repE0EEENS1_38merge_mergepath_config_static_selectorELNS0_4arch9wavefront6targetE1EEEvSF_,"axG",@progbits,_ZN7rocprim17ROCPRIM_400000_NS6detail17trampoline_kernelINS0_14default_configENS1_38merge_sort_block_merge_config_selectorIhNS0_10empty_typeEEEZZNS1_27merge_sort_block_merge_implIS3_PhPS5_jNS1_19radix_merge_compareILb0ELb0EhNS0_19identity_decomposerEEEEE10hipError_tT0_T1_T2_jT3_P12ihipStream_tbPNSt15iterator_traitsISE_E10value_typeEPNSK_ISF_E10value_typeEPSG_NS1_7vsmem_tEENKUlT_SE_SF_SG_E_clIS8_S8_S9_S9_EESD_ST_SE_SF_SG_EUlST_E0_NS1_11comp_targetILNS1_3genE9ELNS1_11target_archE1100ELNS1_3gpuE3ELNS1_3repE0EEENS1_38merge_mergepath_config_static_selectorELNS0_4arch9wavefront6targetE1EEEvSF_,comdat
	.protected	_ZN7rocprim17ROCPRIM_400000_NS6detail17trampoline_kernelINS0_14default_configENS1_38merge_sort_block_merge_config_selectorIhNS0_10empty_typeEEEZZNS1_27merge_sort_block_merge_implIS3_PhPS5_jNS1_19radix_merge_compareILb0ELb0EhNS0_19identity_decomposerEEEEE10hipError_tT0_T1_T2_jT3_P12ihipStream_tbPNSt15iterator_traitsISE_E10value_typeEPNSK_ISF_E10value_typeEPSG_NS1_7vsmem_tEENKUlT_SE_SF_SG_E_clIS8_S8_S9_S9_EESD_ST_SE_SF_SG_EUlST_E0_NS1_11comp_targetILNS1_3genE9ELNS1_11target_archE1100ELNS1_3gpuE3ELNS1_3repE0EEENS1_38merge_mergepath_config_static_selectorELNS0_4arch9wavefront6targetE1EEEvSF_ ; -- Begin function _ZN7rocprim17ROCPRIM_400000_NS6detail17trampoline_kernelINS0_14default_configENS1_38merge_sort_block_merge_config_selectorIhNS0_10empty_typeEEEZZNS1_27merge_sort_block_merge_implIS3_PhPS5_jNS1_19radix_merge_compareILb0ELb0EhNS0_19identity_decomposerEEEEE10hipError_tT0_T1_T2_jT3_P12ihipStream_tbPNSt15iterator_traitsISE_E10value_typeEPNSK_ISF_E10value_typeEPSG_NS1_7vsmem_tEENKUlT_SE_SF_SG_E_clIS8_S8_S9_S9_EESD_ST_SE_SF_SG_EUlST_E0_NS1_11comp_targetILNS1_3genE9ELNS1_11target_archE1100ELNS1_3gpuE3ELNS1_3repE0EEENS1_38merge_mergepath_config_static_selectorELNS0_4arch9wavefront6targetE1EEEvSF_
	.globl	_ZN7rocprim17ROCPRIM_400000_NS6detail17trampoline_kernelINS0_14default_configENS1_38merge_sort_block_merge_config_selectorIhNS0_10empty_typeEEEZZNS1_27merge_sort_block_merge_implIS3_PhPS5_jNS1_19radix_merge_compareILb0ELb0EhNS0_19identity_decomposerEEEEE10hipError_tT0_T1_T2_jT3_P12ihipStream_tbPNSt15iterator_traitsISE_E10value_typeEPNSK_ISF_E10value_typeEPSG_NS1_7vsmem_tEENKUlT_SE_SF_SG_E_clIS8_S8_S9_S9_EESD_ST_SE_SF_SG_EUlST_E0_NS1_11comp_targetILNS1_3genE9ELNS1_11target_archE1100ELNS1_3gpuE3ELNS1_3repE0EEENS1_38merge_mergepath_config_static_selectorELNS0_4arch9wavefront6targetE1EEEvSF_
	.p2align	8
	.type	_ZN7rocprim17ROCPRIM_400000_NS6detail17trampoline_kernelINS0_14default_configENS1_38merge_sort_block_merge_config_selectorIhNS0_10empty_typeEEEZZNS1_27merge_sort_block_merge_implIS3_PhPS5_jNS1_19radix_merge_compareILb0ELb0EhNS0_19identity_decomposerEEEEE10hipError_tT0_T1_T2_jT3_P12ihipStream_tbPNSt15iterator_traitsISE_E10value_typeEPNSK_ISF_E10value_typeEPSG_NS1_7vsmem_tEENKUlT_SE_SF_SG_E_clIS8_S8_S9_S9_EESD_ST_SE_SF_SG_EUlST_E0_NS1_11comp_targetILNS1_3genE9ELNS1_11target_archE1100ELNS1_3gpuE3ELNS1_3repE0EEENS1_38merge_mergepath_config_static_selectorELNS0_4arch9wavefront6targetE1EEEvSF_,@function
_ZN7rocprim17ROCPRIM_400000_NS6detail17trampoline_kernelINS0_14default_configENS1_38merge_sort_block_merge_config_selectorIhNS0_10empty_typeEEEZZNS1_27merge_sort_block_merge_implIS3_PhPS5_jNS1_19radix_merge_compareILb0ELb0EhNS0_19identity_decomposerEEEEE10hipError_tT0_T1_T2_jT3_P12ihipStream_tbPNSt15iterator_traitsISE_E10value_typeEPNSK_ISF_E10value_typeEPSG_NS1_7vsmem_tEENKUlT_SE_SF_SG_E_clIS8_S8_S9_S9_EESD_ST_SE_SF_SG_EUlST_E0_NS1_11comp_targetILNS1_3genE9ELNS1_11target_archE1100ELNS1_3gpuE3ELNS1_3repE0EEENS1_38merge_mergepath_config_static_selectorELNS0_4arch9wavefront6targetE1EEEvSF_: ; @_ZN7rocprim17ROCPRIM_400000_NS6detail17trampoline_kernelINS0_14default_configENS1_38merge_sort_block_merge_config_selectorIhNS0_10empty_typeEEEZZNS1_27merge_sort_block_merge_implIS3_PhPS5_jNS1_19radix_merge_compareILb0ELb0EhNS0_19identity_decomposerEEEEE10hipError_tT0_T1_T2_jT3_P12ihipStream_tbPNSt15iterator_traitsISE_E10value_typeEPNSK_ISF_E10value_typeEPSG_NS1_7vsmem_tEENKUlT_SE_SF_SG_E_clIS8_S8_S9_S9_EESD_ST_SE_SF_SG_EUlST_E0_NS1_11comp_targetILNS1_3genE9ELNS1_11target_archE1100ELNS1_3gpuE3ELNS1_3repE0EEENS1_38merge_mergepath_config_static_selectorELNS0_4arch9wavefront6targetE1EEEvSF_
; %bb.0:
	.section	.rodata,"a",@progbits
	.p2align	6, 0x0
	.amdhsa_kernel _ZN7rocprim17ROCPRIM_400000_NS6detail17trampoline_kernelINS0_14default_configENS1_38merge_sort_block_merge_config_selectorIhNS0_10empty_typeEEEZZNS1_27merge_sort_block_merge_implIS3_PhPS5_jNS1_19radix_merge_compareILb0ELb0EhNS0_19identity_decomposerEEEEE10hipError_tT0_T1_T2_jT3_P12ihipStream_tbPNSt15iterator_traitsISE_E10value_typeEPNSK_ISF_E10value_typeEPSG_NS1_7vsmem_tEENKUlT_SE_SF_SG_E_clIS8_S8_S9_S9_EESD_ST_SE_SF_SG_EUlST_E0_NS1_11comp_targetILNS1_3genE9ELNS1_11target_archE1100ELNS1_3gpuE3ELNS1_3repE0EEENS1_38merge_mergepath_config_static_selectorELNS0_4arch9wavefront6targetE1EEEvSF_
		.amdhsa_group_segment_fixed_size 0
		.amdhsa_private_segment_fixed_size 0
		.amdhsa_kernarg_size 64
		.amdhsa_user_sgpr_count 6
		.amdhsa_user_sgpr_private_segment_buffer 1
		.amdhsa_user_sgpr_dispatch_ptr 0
		.amdhsa_user_sgpr_queue_ptr 0
		.amdhsa_user_sgpr_kernarg_segment_ptr 1
		.amdhsa_user_sgpr_dispatch_id 0
		.amdhsa_user_sgpr_flat_scratch_init 0
		.amdhsa_user_sgpr_kernarg_preload_length 0
		.amdhsa_user_sgpr_kernarg_preload_offset 0
		.amdhsa_user_sgpr_private_segment_size 0
		.amdhsa_uses_dynamic_stack 0
		.amdhsa_system_sgpr_private_segment_wavefront_offset 0
		.amdhsa_system_sgpr_workgroup_id_x 1
		.amdhsa_system_sgpr_workgroup_id_y 0
		.amdhsa_system_sgpr_workgroup_id_z 0
		.amdhsa_system_sgpr_workgroup_info 0
		.amdhsa_system_vgpr_workitem_id 0
		.amdhsa_next_free_vgpr 1
		.amdhsa_next_free_sgpr 0
		.amdhsa_accum_offset 4
		.amdhsa_reserve_vcc 0
		.amdhsa_reserve_flat_scratch 0
		.amdhsa_float_round_mode_32 0
		.amdhsa_float_round_mode_16_64 0
		.amdhsa_float_denorm_mode_32 3
		.amdhsa_float_denorm_mode_16_64 3
		.amdhsa_dx10_clamp 1
		.amdhsa_ieee_mode 1
		.amdhsa_fp16_overflow 0
		.amdhsa_tg_split 0
		.amdhsa_exception_fp_ieee_invalid_op 0
		.amdhsa_exception_fp_denorm_src 0
		.amdhsa_exception_fp_ieee_div_zero 0
		.amdhsa_exception_fp_ieee_overflow 0
		.amdhsa_exception_fp_ieee_underflow 0
		.amdhsa_exception_fp_ieee_inexact 0
		.amdhsa_exception_int_div_zero 0
	.end_amdhsa_kernel
	.section	.text._ZN7rocprim17ROCPRIM_400000_NS6detail17trampoline_kernelINS0_14default_configENS1_38merge_sort_block_merge_config_selectorIhNS0_10empty_typeEEEZZNS1_27merge_sort_block_merge_implIS3_PhPS5_jNS1_19radix_merge_compareILb0ELb0EhNS0_19identity_decomposerEEEEE10hipError_tT0_T1_T2_jT3_P12ihipStream_tbPNSt15iterator_traitsISE_E10value_typeEPNSK_ISF_E10value_typeEPSG_NS1_7vsmem_tEENKUlT_SE_SF_SG_E_clIS8_S8_S9_S9_EESD_ST_SE_SF_SG_EUlST_E0_NS1_11comp_targetILNS1_3genE9ELNS1_11target_archE1100ELNS1_3gpuE3ELNS1_3repE0EEENS1_38merge_mergepath_config_static_selectorELNS0_4arch9wavefront6targetE1EEEvSF_,"axG",@progbits,_ZN7rocprim17ROCPRIM_400000_NS6detail17trampoline_kernelINS0_14default_configENS1_38merge_sort_block_merge_config_selectorIhNS0_10empty_typeEEEZZNS1_27merge_sort_block_merge_implIS3_PhPS5_jNS1_19radix_merge_compareILb0ELb0EhNS0_19identity_decomposerEEEEE10hipError_tT0_T1_T2_jT3_P12ihipStream_tbPNSt15iterator_traitsISE_E10value_typeEPNSK_ISF_E10value_typeEPSG_NS1_7vsmem_tEENKUlT_SE_SF_SG_E_clIS8_S8_S9_S9_EESD_ST_SE_SF_SG_EUlST_E0_NS1_11comp_targetILNS1_3genE9ELNS1_11target_archE1100ELNS1_3gpuE3ELNS1_3repE0EEENS1_38merge_mergepath_config_static_selectorELNS0_4arch9wavefront6targetE1EEEvSF_,comdat
.Lfunc_end260:
	.size	_ZN7rocprim17ROCPRIM_400000_NS6detail17trampoline_kernelINS0_14default_configENS1_38merge_sort_block_merge_config_selectorIhNS0_10empty_typeEEEZZNS1_27merge_sort_block_merge_implIS3_PhPS5_jNS1_19radix_merge_compareILb0ELb0EhNS0_19identity_decomposerEEEEE10hipError_tT0_T1_T2_jT3_P12ihipStream_tbPNSt15iterator_traitsISE_E10value_typeEPNSK_ISF_E10value_typeEPSG_NS1_7vsmem_tEENKUlT_SE_SF_SG_E_clIS8_S8_S9_S9_EESD_ST_SE_SF_SG_EUlST_E0_NS1_11comp_targetILNS1_3genE9ELNS1_11target_archE1100ELNS1_3gpuE3ELNS1_3repE0EEENS1_38merge_mergepath_config_static_selectorELNS0_4arch9wavefront6targetE1EEEvSF_, .Lfunc_end260-_ZN7rocprim17ROCPRIM_400000_NS6detail17trampoline_kernelINS0_14default_configENS1_38merge_sort_block_merge_config_selectorIhNS0_10empty_typeEEEZZNS1_27merge_sort_block_merge_implIS3_PhPS5_jNS1_19radix_merge_compareILb0ELb0EhNS0_19identity_decomposerEEEEE10hipError_tT0_T1_T2_jT3_P12ihipStream_tbPNSt15iterator_traitsISE_E10value_typeEPNSK_ISF_E10value_typeEPSG_NS1_7vsmem_tEENKUlT_SE_SF_SG_E_clIS8_S8_S9_S9_EESD_ST_SE_SF_SG_EUlST_E0_NS1_11comp_targetILNS1_3genE9ELNS1_11target_archE1100ELNS1_3gpuE3ELNS1_3repE0EEENS1_38merge_mergepath_config_static_selectorELNS0_4arch9wavefront6targetE1EEEvSF_
                                        ; -- End function
	.section	.AMDGPU.csdata,"",@progbits
; Kernel info:
; codeLenInByte = 0
; NumSgprs: 4
; NumVgprs: 0
; NumAgprs: 0
; TotalNumVgprs: 0
; ScratchSize: 0
; MemoryBound: 0
; FloatMode: 240
; IeeeMode: 1
; LDSByteSize: 0 bytes/workgroup (compile time only)
; SGPRBlocks: 0
; VGPRBlocks: 0
; NumSGPRsForWavesPerEU: 4
; NumVGPRsForWavesPerEU: 1
; AccumOffset: 4
; Occupancy: 8
; WaveLimiterHint : 0
; COMPUTE_PGM_RSRC2:SCRATCH_EN: 0
; COMPUTE_PGM_RSRC2:USER_SGPR: 6
; COMPUTE_PGM_RSRC2:TRAP_HANDLER: 0
; COMPUTE_PGM_RSRC2:TGID_X_EN: 1
; COMPUTE_PGM_RSRC2:TGID_Y_EN: 0
; COMPUTE_PGM_RSRC2:TGID_Z_EN: 0
; COMPUTE_PGM_RSRC2:TIDIG_COMP_CNT: 0
; COMPUTE_PGM_RSRC3_GFX90A:ACCUM_OFFSET: 0
; COMPUTE_PGM_RSRC3_GFX90A:TG_SPLIT: 0
	.section	.text._ZN7rocprim17ROCPRIM_400000_NS6detail17trampoline_kernelINS0_14default_configENS1_38merge_sort_block_merge_config_selectorIhNS0_10empty_typeEEEZZNS1_27merge_sort_block_merge_implIS3_PhPS5_jNS1_19radix_merge_compareILb0ELb0EhNS0_19identity_decomposerEEEEE10hipError_tT0_T1_T2_jT3_P12ihipStream_tbPNSt15iterator_traitsISE_E10value_typeEPNSK_ISF_E10value_typeEPSG_NS1_7vsmem_tEENKUlT_SE_SF_SG_E_clIS8_S8_S9_S9_EESD_ST_SE_SF_SG_EUlST_E0_NS1_11comp_targetILNS1_3genE8ELNS1_11target_archE1030ELNS1_3gpuE2ELNS1_3repE0EEENS1_38merge_mergepath_config_static_selectorELNS0_4arch9wavefront6targetE1EEEvSF_,"axG",@progbits,_ZN7rocprim17ROCPRIM_400000_NS6detail17trampoline_kernelINS0_14default_configENS1_38merge_sort_block_merge_config_selectorIhNS0_10empty_typeEEEZZNS1_27merge_sort_block_merge_implIS3_PhPS5_jNS1_19radix_merge_compareILb0ELb0EhNS0_19identity_decomposerEEEEE10hipError_tT0_T1_T2_jT3_P12ihipStream_tbPNSt15iterator_traitsISE_E10value_typeEPNSK_ISF_E10value_typeEPSG_NS1_7vsmem_tEENKUlT_SE_SF_SG_E_clIS8_S8_S9_S9_EESD_ST_SE_SF_SG_EUlST_E0_NS1_11comp_targetILNS1_3genE8ELNS1_11target_archE1030ELNS1_3gpuE2ELNS1_3repE0EEENS1_38merge_mergepath_config_static_selectorELNS0_4arch9wavefront6targetE1EEEvSF_,comdat
	.protected	_ZN7rocprim17ROCPRIM_400000_NS6detail17trampoline_kernelINS0_14default_configENS1_38merge_sort_block_merge_config_selectorIhNS0_10empty_typeEEEZZNS1_27merge_sort_block_merge_implIS3_PhPS5_jNS1_19radix_merge_compareILb0ELb0EhNS0_19identity_decomposerEEEEE10hipError_tT0_T1_T2_jT3_P12ihipStream_tbPNSt15iterator_traitsISE_E10value_typeEPNSK_ISF_E10value_typeEPSG_NS1_7vsmem_tEENKUlT_SE_SF_SG_E_clIS8_S8_S9_S9_EESD_ST_SE_SF_SG_EUlST_E0_NS1_11comp_targetILNS1_3genE8ELNS1_11target_archE1030ELNS1_3gpuE2ELNS1_3repE0EEENS1_38merge_mergepath_config_static_selectorELNS0_4arch9wavefront6targetE1EEEvSF_ ; -- Begin function _ZN7rocprim17ROCPRIM_400000_NS6detail17trampoline_kernelINS0_14default_configENS1_38merge_sort_block_merge_config_selectorIhNS0_10empty_typeEEEZZNS1_27merge_sort_block_merge_implIS3_PhPS5_jNS1_19radix_merge_compareILb0ELb0EhNS0_19identity_decomposerEEEEE10hipError_tT0_T1_T2_jT3_P12ihipStream_tbPNSt15iterator_traitsISE_E10value_typeEPNSK_ISF_E10value_typeEPSG_NS1_7vsmem_tEENKUlT_SE_SF_SG_E_clIS8_S8_S9_S9_EESD_ST_SE_SF_SG_EUlST_E0_NS1_11comp_targetILNS1_3genE8ELNS1_11target_archE1030ELNS1_3gpuE2ELNS1_3repE0EEENS1_38merge_mergepath_config_static_selectorELNS0_4arch9wavefront6targetE1EEEvSF_
	.globl	_ZN7rocprim17ROCPRIM_400000_NS6detail17trampoline_kernelINS0_14default_configENS1_38merge_sort_block_merge_config_selectorIhNS0_10empty_typeEEEZZNS1_27merge_sort_block_merge_implIS3_PhPS5_jNS1_19radix_merge_compareILb0ELb0EhNS0_19identity_decomposerEEEEE10hipError_tT0_T1_T2_jT3_P12ihipStream_tbPNSt15iterator_traitsISE_E10value_typeEPNSK_ISF_E10value_typeEPSG_NS1_7vsmem_tEENKUlT_SE_SF_SG_E_clIS8_S8_S9_S9_EESD_ST_SE_SF_SG_EUlST_E0_NS1_11comp_targetILNS1_3genE8ELNS1_11target_archE1030ELNS1_3gpuE2ELNS1_3repE0EEENS1_38merge_mergepath_config_static_selectorELNS0_4arch9wavefront6targetE1EEEvSF_
	.p2align	8
	.type	_ZN7rocprim17ROCPRIM_400000_NS6detail17trampoline_kernelINS0_14default_configENS1_38merge_sort_block_merge_config_selectorIhNS0_10empty_typeEEEZZNS1_27merge_sort_block_merge_implIS3_PhPS5_jNS1_19radix_merge_compareILb0ELb0EhNS0_19identity_decomposerEEEEE10hipError_tT0_T1_T2_jT3_P12ihipStream_tbPNSt15iterator_traitsISE_E10value_typeEPNSK_ISF_E10value_typeEPSG_NS1_7vsmem_tEENKUlT_SE_SF_SG_E_clIS8_S8_S9_S9_EESD_ST_SE_SF_SG_EUlST_E0_NS1_11comp_targetILNS1_3genE8ELNS1_11target_archE1030ELNS1_3gpuE2ELNS1_3repE0EEENS1_38merge_mergepath_config_static_selectorELNS0_4arch9wavefront6targetE1EEEvSF_,@function
_ZN7rocprim17ROCPRIM_400000_NS6detail17trampoline_kernelINS0_14default_configENS1_38merge_sort_block_merge_config_selectorIhNS0_10empty_typeEEEZZNS1_27merge_sort_block_merge_implIS3_PhPS5_jNS1_19radix_merge_compareILb0ELb0EhNS0_19identity_decomposerEEEEE10hipError_tT0_T1_T2_jT3_P12ihipStream_tbPNSt15iterator_traitsISE_E10value_typeEPNSK_ISF_E10value_typeEPSG_NS1_7vsmem_tEENKUlT_SE_SF_SG_E_clIS8_S8_S9_S9_EESD_ST_SE_SF_SG_EUlST_E0_NS1_11comp_targetILNS1_3genE8ELNS1_11target_archE1030ELNS1_3gpuE2ELNS1_3repE0EEENS1_38merge_mergepath_config_static_selectorELNS0_4arch9wavefront6targetE1EEEvSF_: ; @_ZN7rocprim17ROCPRIM_400000_NS6detail17trampoline_kernelINS0_14default_configENS1_38merge_sort_block_merge_config_selectorIhNS0_10empty_typeEEEZZNS1_27merge_sort_block_merge_implIS3_PhPS5_jNS1_19radix_merge_compareILb0ELb0EhNS0_19identity_decomposerEEEEE10hipError_tT0_T1_T2_jT3_P12ihipStream_tbPNSt15iterator_traitsISE_E10value_typeEPNSK_ISF_E10value_typeEPSG_NS1_7vsmem_tEENKUlT_SE_SF_SG_E_clIS8_S8_S9_S9_EESD_ST_SE_SF_SG_EUlST_E0_NS1_11comp_targetILNS1_3genE8ELNS1_11target_archE1030ELNS1_3gpuE2ELNS1_3repE0EEENS1_38merge_mergepath_config_static_selectorELNS0_4arch9wavefront6targetE1EEEvSF_
; %bb.0:
	.section	.rodata,"a",@progbits
	.p2align	6, 0x0
	.amdhsa_kernel _ZN7rocprim17ROCPRIM_400000_NS6detail17trampoline_kernelINS0_14default_configENS1_38merge_sort_block_merge_config_selectorIhNS0_10empty_typeEEEZZNS1_27merge_sort_block_merge_implIS3_PhPS5_jNS1_19radix_merge_compareILb0ELb0EhNS0_19identity_decomposerEEEEE10hipError_tT0_T1_T2_jT3_P12ihipStream_tbPNSt15iterator_traitsISE_E10value_typeEPNSK_ISF_E10value_typeEPSG_NS1_7vsmem_tEENKUlT_SE_SF_SG_E_clIS8_S8_S9_S9_EESD_ST_SE_SF_SG_EUlST_E0_NS1_11comp_targetILNS1_3genE8ELNS1_11target_archE1030ELNS1_3gpuE2ELNS1_3repE0EEENS1_38merge_mergepath_config_static_selectorELNS0_4arch9wavefront6targetE1EEEvSF_
		.amdhsa_group_segment_fixed_size 0
		.amdhsa_private_segment_fixed_size 0
		.amdhsa_kernarg_size 64
		.amdhsa_user_sgpr_count 6
		.amdhsa_user_sgpr_private_segment_buffer 1
		.amdhsa_user_sgpr_dispatch_ptr 0
		.amdhsa_user_sgpr_queue_ptr 0
		.amdhsa_user_sgpr_kernarg_segment_ptr 1
		.amdhsa_user_sgpr_dispatch_id 0
		.amdhsa_user_sgpr_flat_scratch_init 0
		.amdhsa_user_sgpr_kernarg_preload_length 0
		.amdhsa_user_sgpr_kernarg_preload_offset 0
		.amdhsa_user_sgpr_private_segment_size 0
		.amdhsa_uses_dynamic_stack 0
		.amdhsa_system_sgpr_private_segment_wavefront_offset 0
		.amdhsa_system_sgpr_workgroup_id_x 1
		.amdhsa_system_sgpr_workgroup_id_y 0
		.amdhsa_system_sgpr_workgroup_id_z 0
		.amdhsa_system_sgpr_workgroup_info 0
		.amdhsa_system_vgpr_workitem_id 0
		.amdhsa_next_free_vgpr 1
		.amdhsa_next_free_sgpr 0
		.amdhsa_accum_offset 4
		.amdhsa_reserve_vcc 0
		.amdhsa_reserve_flat_scratch 0
		.amdhsa_float_round_mode_32 0
		.amdhsa_float_round_mode_16_64 0
		.amdhsa_float_denorm_mode_32 3
		.amdhsa_float_denorm_mode_16_64 3
		.amdhsa_dx10_clamp 1
		.amdhsa_ieee_mode 1
		.amdhsa_fp16_overflow 0
		.amdhsa_tg_split 0
		.amdhsa_exception_fp_ieee_invalid_op 0
		.amdhsa_exception_fp_denorm_src 0
		.amdhsa_exception_fp_ieee_div_zero 0
		.amdhsa_exception_fp_ieee_overflow 0
		.amdhsa_exception_fp_ieee_underflow 0
		.amdhsa_exception_fp_ieee_inexact 0
		.amdhsa_exception_int_div_zero 0
	.end_amdhsa_kernel
	.section	.text._ZN7rocprim17ROCPRIM_400000_NS6detail17trampoline_kernelINS0_14default_configENS1_38merge_sort_block_merge_config_selectorIhNS0_10empty_typeEEEZZNS1_27merge_sort_block_merge_implIS3_PhPS5_jNS1_19radix_merge_compareILb0ELb0EhNS0_19identity_decomposerEEEEE10hipError_tT0_T1_T2_jT3_P12ihipStream_tbPNSt15iterator_traitsISE_E10value_typeEPNSK_ISF_E10value_typeEPSG_NS1_7vsmem_tEENKUlT_SE_SF_SG_E_clIS8_S8_S9_S9_EESD_ST_SE_SF_SG_EUlST_E0_NS1_11comp_targetILNS1_3genE8ELNS1_11target_archE1030ELNS1_3gpuE2ELNS1_3repE0EEENS1_38merge_mergepath_config_static_selectorELNS0_4arch9wavefront6targetE1EEEvSF_,"axG",@progbits,_ZN7rocprim17ROCPRIM_400000_NS6detail17trampoline_kernelINS0_14default_configENS1_38merge_sort_block_merge_config_selectorIhNS0_10empty_typeEEEZZNS1_27merge_sort_block_merge_implIS3_PhPS5_jNS1_19radix_merge_compareILb0ELb0EhNS0_19identity_decomposerEEEEE10hipError_tT0_T1_T2_jT3_P12ihipStream_tbPNSt15iterator_traitsISE_E10value_typeEPNSK_ISF_E10value_typeEPSG_NS1_7vsmem_tEENKUlT_SE_SF_SG_E_clIS8_S8_S9_S9_EESD_ST_SE_SF_SG_EUlST_E0_NS1_11comp_targetILNS1_3genE8ELNS1_11target_archE1030ELNS1_3gpuE2ELNS1_3repE0EEENS1_38merge_mergepath_config_static_selectorELNS0_4arch9wavefront6targetE1EEEvSF_,comdat
.Lfunc_end261:
	.size	_ZN7rocprim17ROCPRIM_400000_NS6detail17trampoline_kernelINS0_14default_configENS1_38merge_sort_block_merge_config_selectorIhNS0_10empty_typeEEEZZNS1_27merge_sort_block_merge_implIS3_PhPS5_jNS1_19radix_merge_compareILb0ELb0EhNS0_19identity_decomposerEEEEE10hipError_tT0_T1_T2_jT3_P12ihipStream_tbPNSt15iterator_traitsISE_E10value_typeEPNSK_ISF_E10value_typeEPSG_NS1_7vsmem_tEENKUlT_SE_SF_SG_E_clIS8_S8_S9_S9_EESD_ST_SE_SF_SG_EUlST_E0_NS1_11comp_targetILNS1_3genE8ELNS1_11target_archE1030ELNS1_3gpuE2ELNS1_3repE0EEENS1_38merge_mergepath_config_static_selectorELNS0_4arch9wavefront6targetE1EEEvSF_, .Lfunc_end261-_ZN7rocprim17ROCPRIM_400000_NS6detail17trampoline_kernelINS0_14default_configENS1_38merge_sort_block_merge_config_selectorIhNS0_10empty_typeEEEZZNS1_27merge_sort_block_merge_implIS3_PhPS5_jNS1_19radix_merge_compareILb0ELb0EhNS0_19identity_decomposerEEEEE10hipError_tT0_T1_T2_jT3_P12ihipStream_tbPNSt15iterator_traitsISE_E10value_typeEPNSK_ISF_E10value_typeEPSG_NS1_7vsmem_tEENKUlT_SE_SF_SG_E_clIS8_S8_S9_S9_EESD_ST_SE_SF_SG_EUlST_E0_NS1_11comp_targetILNS1_3genE8ELNS1_11target_archE1030ELNS1_3gpuE2ELNS1_3repE0EEENS1_38merge_mergepath_config_static_selectorELNS0_4arch9wavefront6targetE1EEEvSF_
                                        ; -- End function
	.section	.AMDGPU.csdata,"",@progbits
; Kernel info:
; codeLenInByte = 0
; NumSgprs: 4
; NumVgprs: 0
; NumAgprs: 0
; TotalNumVgprs: 0
; ScratchSize: 0
; MemoryBound: 0
; FloatMode: 240
; IeeeMode: 1
; LDSByteSize: 0 bytes/workgroup (compile time only)
; SGPRBlocks: 0
; VGPRBlocks: 0
; NumSGPRsForWavesPerEU: 4
; NumVGPRsForWavesPerEU: 1
; AccumOffset: 4
; Occupancy: 8
; WaveLimiterHint : 0
; COMPUTE_PGM_RSRC2:SCRATCH_EN: 0
; COMPUTE_PGM_RSRC2:USER_SGPR: 6
; COMPUTE_PGM_RSRC2:TRAP_HANDLER: 0
; COMPUTE_PGM_RSRC2:TGID_X_EN: 1
; COMPUTE_PGM_RSRC2:TGID_Y_EN: 0
; COMPUTE_PGM_RSRC2:TGID_Z_EN: 0
; COMPUTE_PGM_RSRC2:TIDIG_COMP_CNT: 0
; COMPUTE_PGM_RSRC3_GFX90A:ACCUM_OFFSET: 0
; COMPUTE_PGM_RSRC3_GFX90A:TG_SPLIT: 0
	.section	.text._ZN7rocprim17ROCPRIM_400000_NS6detail17trampoline_kernelINS0_14default_configENS1_38merge_sort_block_merge_config_selectorIhNS0_10empty_typeEEEZZNS1_27merge_sort_block_merge_implIS3_PhPS5_jNS1_19radix_merge_compareILb0ELb0EhNS0_19identity_decomposerEEEEE10hipError_tT0_T1_T2_jT3_P12ihipStream_tbPNSt15iterator_traitsISE_E10value_typeEPNSK_ISF_E10value_typeEPSG_NS1_7vsmem_tEENKUlT_SE_SF_SG_E_clIS8_S8_S9_S9_EESD_ST_SE_SF_SG_EUlST_E1_NS1_11comp_targetILNS1_3genE0ELNS1_11target_archE4294967295ELNS1_3gpuE0ELNS1_3repE0EEENS1_36merge_oddeven_config_static_selectorELNS0_4arch9wavefront6targetE1EEEvSF_,"axG",@progbits,_ZN7rocprim17ROCPRIM_400000_NS6detail17trampoline_kernelINS0_14default_configENS1_38merge_sort_block_merge_config_selectorIhNS0_10empty_typeEEEZZNS1_27merge_sort_block_merge_implIS3_PhPS5_jNS1_19radix_merge_compareILb0ELb0EhNS0_19identity_decomposerEEEEE10hipError_tT0_T1_T2_jT3_P12ihipStream_tbPNSt15iterator_traitsISE_E10value_typeEPNSK_ISF_E10value_typeEPSG_NS1_7vsmem_tEENKUlT_SE_SF_SG_E_clIS8_S8_S9_S9_EESD_ST_SE_SF_SG_EUlST_E1_NS1_11comp_targetILNS1_3genE0ELNS1_11target_archE4294967295ELNS1_3gpuE0ELNS1_3repE0EEENS1_36merge_oddeven_config_static_selectorELNS0_4arch9wavefront6targetE1EEEvSF_,comdat
	.protected	_ZN7rocprim17ROCPRIM_400000_NS6detail17trampoline_kernelINS0_14default_configENS1_38merge_sort_block_merge_config_selectorIhNS0_10empty_typeEEEZZNS1_27merge_sort_block_merge_implIS3_PhPS5_jNS1_19radix_merge_compareILb0ELb0EhNS0_19identity_decomposerEEEEE10hipError_tT0_T1_T2_jT3_P12ihipStream_tbPNSt15iterator_traitsISE_E10value_typeEPNSK_ISF_E10value_typeEPSG_NS1_7vsmem_tEENKUlT_SE_SF_SG_E_clIS8_S8_S9_S9_EESD_ST_SE_SF_SG_EUlST_E1_NS1_11comp_targetILNS1_3genE0ELNS1_11target_archE4294967295ELNS1_3gpuE0ELNS1_3repE0EEENS1_36merge_oddeven_config_static_selectorELNS0_4arch9wavefront6targetE1EEEvSF_ ; -- Begin function _ZN7rocprim17ROCPRIM_400000_NS6detail17trampoline_kernelINS0_14default_configENS1_38merge_sort_block_merge_config_selectorIhNS0_10empty_typeEEEZZNS1_27merge_sort_block_merge_implIS3_PhPS5_jNS1_19radix_merge_compareILb0ELb0EhNS0_19identity_decomposerEEEEE10hipError_tT0_T1_T2_jT3_P12ihipStream_tbPNSt15iterator_traitsISE_E10value_typeEPNSK_ISF_E10value_typeEPSG_NS1_7vsmem_tEENKUlT_SE_SF_SG_E_clIS8_S8_S9_S9_EESD_ST_SE_SF_SG_EUlST_E1_NS1_11comp_targetILNS1_3genE0ELNS1_11target_archE4294967295ELNS1_3gpuE0ELNS1_3repE0EEENS1_36merge_oddeven_config_static_selectorELNS0_4arch9wavefront6targetE1EEEvSF_
	.globl	_ZN7rocprim17ROCPRIM_400000_NS6detail17trampoline_kernelINS0_14default_configENS1_38merge_sort_block_merge_config_selectorIhNS0_10empty_typeEEEZZNS1_27merge_sort_block_merge_implIS3_PhPS5_jNS1_19radix_merge_compareILb0ELb0EhNS0_19identity_decomposerEEEEE10hipError_tT0_T1_T2_jT3_P12ihipStream_tbPNSt15iterator_traitsISE_E10value_typeEPNSK_ISF_E10value_typeEPSG_NS1_7vsmem_tEENKUlT_SE_SF_SG_E_clIS8_S8_S9_S9_EESD_ST_SE_SF_SG_EUlST_E1_NS1_11comp_targetILNS1_3genE0ELNS1_11target_archE4294967295ELNS1_3gpuE0ELNS1_3repE0EEENS1_36merge_oddeven_config_static_selectorELNS0_4arch9wavefront6targetE1EEEvSF_
	.p2align	8
	.type	_ZN7rocprim17ROCPRIM_400000_NS6detail17trampoline_kernelINS0_14default_configENS1_38merge_sort_block_merge_config_selectorIhNS0_10empty_typeEEEZZNS1_27merge_sort_block_merge_implIS3_PhPS5_jNS1_19radix_merge_compareILb0ELb0EhNS0_19identity_decomposerEEEEE10hipError_tT0_T1_T2_jT3_P12ihipStream_tbPNSt15iterator_traitsISE_E10value_typeEPNSK_ISF_E10value_typeEPSG_NS1_7vsmem_tEENKUlT_SE_SF_SG_E_clIS8_S8_S9_S9_EESD_ST_SE_SF_SG_EUlST_E1_NS1_11comp_targetILNS1_3genE0ELNS1_11target_archE4294967295ELNS1_3gpuE0ELNS1_3repE0EEENS1_36merge_oddeven_config_static_selectorELNS0_4arch9wavefront6targetE1EEEvSF_,@function
_ZN7rocprim17ROCPRIM_400000_NS6detail17trampoline_kernelINS0_14default_configENS1_38merge_sort_block_merge_config_selectorIhNS0_10empty_typeEEEZZNS1_27merge_sort_block_merge_implIS3_PhPS5_jNS1_19radix_merge_compareILb0ELb0EhNS0_19identity_decomposerEEEEE10hipError_tT0_T1_T2_jT3_P12ihipStream_tbPNSt15iterator_traitsISE_E10value_typeEPNSK_ISF_E10value_typeEPSG_NS1_7vsmem_tEENKUlT_SE_SF_SG_E_clIS8_S8_S9_S9_EESD_ST_SE_SF_SG_EUlST_E1_NS1_11comp_targetILNS1_3genE0ELNS1_11target_archE4294967295ELNS1_3gpuE0ELNS1_3repE0EEENS1_36merge_oddeven_config_static_selectorELNS0_4arch9wavefront6targetE1EEEvSF_: ; @_ZN7rocprim17ROCPRIM_400000_NS6detail17trampoline_kernelINS0_14default_configENS1_38merge_sort_block_merge_config_selectorIhNS0_10empty_typeEEEZZNS1_27merge_sort_block_merge_implIS3_PhPS5_jNS1_19radix_merge_compareILb0ELb0EhNS0_19identity_decomposerEEEEE10hipError_tT0_T1_T2_jT3_P12ihipStream_tbPNSt15iterator_traitsISE_E10value_typeEPNSK_ISF_E10value_typeEPSG_NS1_7vsmem_tEENKUlT_SE_SF_SG_E_clIS8_S8_S9_S9_EESD_ST_SE_SF_SG_EUlST_E1_NS1_11comp_targetILNS1_3genE0ELNS1_11target_archE4294967295ELNS1_3gpuE0ELNS1_3repE0EEENS1_36merge_oddeven_config_static_selectorELNS0_4arch9wavefront6targetE1EEEvSF_
; %bb.0:
	.section	.rodata,"a",@progbits
	.p2align	6, 0x0
	.amdhsa_kernel _ZN7rocprim17ROCPRIM_400000_NS6detail17trampoline_kernelINS0_14default_configENS1_38merge_sort_block_merge_config_selectorIhNS0_10empty_typeEEEZZNS1_27merge_sort_block_merge_implIS3_PhPS5_jNS1_19radix_merge_compareILb0ELb0EhNS0_19identity_decomposerEEEEE10hipError_tT0_T1_T2_jT3_P12ihipStream_tbPNSt15iterator_traitsISE_E10value_typeEPNSK_ISF_E10value_typeEPSG_NS1_7vsmem_tEENKUlT_SE_SF_SG_E_clIS8_S8_S9_S9_EESD_ST_SE_SF_SG_EUlST_E1_NS1_11comp_targetILNS1_3genE0ELNS1_11target_archE4294967295ELNS1_3gpuE0ELNS1_3repE0EEENS1_36merge_oddeven_config_static_selectorELNS0_4arch9wavefront6targetE1EEEvSF_
		.amdhsa_group_segment_fixed_size 0
		.amdhsa_private_segment_fixed_size 0
		.amdhsa_kernarg_size 48
		.amdhsa_user_sgpr_count 6
		.amdhsa_user_sgpr_private_segment_buffer 1
		.amdhsa_user_sgpr_dispatch_ptr 0
		.amdhsa_user_sgpr_queue_ptr 0
		.amdhsa_user_sgpr_kernarg_segment_ptr 1
		.amdhsa_user_sgpr_dispatch_id 0
		.amdhsa_user_sgpr_flat_scratch_init 0
		.amdhsa_user_sgpr_kernarg_preload_length 0
		.amdhsa_user_sgpr_kernarg_preload_offset 0
		.amdhsa_user_sgpr_private_segment_size 0
		.amdhsa_uses_dynamic_stack 0
		.amdhsa_system_sgpr_private_segment_wavefront_offset 0
		.amdhsa_system_sgpr_workgroup_id_x 1
		.amdhsa_system_sgpr_workgroup_id_y 0
		.amdhsa_system_sgpr_workgroup_id_z 0
		.amdhsa_system_sgpr_workgroup_info 0
		.amdhsa_system_vgpr_workitem_id 0
		.amdhsa_next_free_vgpr 1
		.amdhsa_next_free_sgpr 0
		.amdhsa_accum_offset 4
		.amdhsa_reserve_vcc 0
		.amdhsa_reserve_flat_scratch 0
		.amdhsa_float_round_mode_32 0
		.amdhsa_float_round_mode_16_64 0
		.amdhsa_float_denorm_mode_32 3
		.amdhsa_float_denorm_mode_16_64 3
		.amdhsa_dx10_clamp 1
		.amdhsa_ieee_mode 1
		.amdhsa_fp16_overflow 0
		.amdhsa_tg_split 0
		.amdhsa_exception_fp_ieee_invalid_op 0
		.amdhsa_exception_fp_denorm_src 0
		.amdhsa_exception_fp_ieee_div_zero 0
		.amdhsa_exception_fp_ieee_overflow 0
		.amdhsa_exception_fp_ieee_underflow 0
		.amdhsa_exception_fp_ieee_inexact 0
		.amdhsa_exception_int_div_zero 0
	.end_amdhsa_kernel
	.section	.text._ZN7rocprim17ROCPRIM_400000_NS6detail17trampoline_kernelINS0_14default_configENS1_38merge_sort_block_merge_config_selectorIhNS0_10empty_typeEEEZZNS1_27merge_sort_block_merge_implIS3_PhPS5_jNS1_19radix_merge_compareILb0ELb0EhNS0_19identity_decomposerEEEEE10hipError_tT0_T1_T2_jT3_P12ihipStream_tbPNSt15iterator_traitsISE_E10value_typeEPNSK_ISF_E10value_typeEPSG_NS1_7vsmem_tEENKUlT_SE_SF_SG_E_clIS8_S8_S9_S9_EESD_ST_SE_SF_SG_EUlST_E1_NS1_11comp_targetILNS1_3genE0ELNS1_11target_archE4294967295ELNS1_3gpuE0ELNS1_3repE0EEENS1_36merge_oddeven_config_static_selectorELNS0_4arch9wavefront6targetE1EEEvSF_,"axG",@progbits,_ZN7rocprim17ROCPRIM_400000_NS6detail17trampoline_kernelINS0_14default_configENS1_38merge_sort_block_merge_config_selectorIhNS0_10empty_typeEEEZZNS1_27merge_sort_block_merge_implIS3_PhPS5_jNS1_19radix_merge_compareILb0ELb0EhNS0_19identity_decomposerEEEEE10hipError_tT0_T1_T2_jT3_P12ihipStream_tbPNSt15iterator_traitsISE_E10value_typeEPNSK_ISF_E10value_typeEPSG_NS1_7vsmem_tEENKUlT_SE_SF_SG_E_clIS8_S8_S9_S9_EESD_ST_SE_SF_SG_EUlST_E1_NS1_11comp_targetILNS1_3genE0ELNS1_11target_archE4294967295ELNS1_3gpuE0ELNS1_3repE0EEENS1_36merge_oddeven_config_static_selectorELNS0_4arch9wavefront6targetE1EEEvSF_,comdat
.Lfunc_end262:
	.size	_ZN7rocprim17ROCPRIM_400000_NS6detail17trampoline_kernelINS0_14default_configENS1_38merge_sort_block_merge_config_selectorIhNS0_10empty_typeEEEZZNS1_27merge_sort_block_merge_implIS3_PhPS5_jNS1_19radix_merge_compareILb0ELb0EhNS0_19identity_decomposerEEEEE10hipError_tT0_T1_T2_jT3_P12ihipStream_tbPNSt15iterator_traitsISE_E10value_typeEPNSK_ISF_E10value_typeEPSG_NS1_7vsmem_tEENKUlT_SE_SF_SG_E_clIS8_S8_S9_S9_EESD_ST_SE_SF_SG_EUlST_E1_NS1_11comp_targetILNS1_3genE0ELNS1_11target_archE4294967295ELNS1_3gpuE0ELNS1_3repE0EEENS1_36merge_oddeven_config_static_selectorELNS0_4arch9wavefront6targetE1EEEvSF_, .Lfunc_end262-_ZN7rocprim17ROCPRIM_400000_NS6detail17trampoline_kernelINS0_14default_configENS1_38merge_sort_block_merge_config_selectorIhNS0_10empty_typeEEEZZNS1_27merge_sort_block_merge_implIS3_PhPS5_jNS1_19radix_merge_compareILb0ELb0EhNS0_19identity_decomposerEEEEE10hipError_tT0_T1_T2_jT3_P12ihipStream_tbPNSt15iterator_traitsISE_E10value_typeEPNSK_ISF_E10value_typeEPSG_NS1_7vsmem_tEENKUlT_SE_SF_SG_E_clIS8_S8_S9_S9_EESD_ST_SE_SF_SG_EUlST_E1_NS1_11comp_targetILNS1_3genE0ELNS1_11target_archE4294967295ELNS1_3gpuE0ELNS1_3repE0EEENS1_36merge_oddeven_config_static_selectorELNS0_4arch9wavefront6targetE1EEEvSF_
                                        ; -- End function
	.section	.AMDGPU.csdata,"",@progbits
; Kernel info:
; codeLenInByte = 0
; NumSgprs: 4
; NumVgprs: 0
; NumAgprs: 0
; TotalNumVgprs: 0
; ScratchSize: 0
; MemoryBound: 0
; FloatMode: 240
; IeeeMode: 1
; LDSByteSize: 0 bytes/workgroup (compile time only)
; SGPRBlocks: 0
; VGPRBlocks: 0
; NumSGPRsForWavesPerEU: 4
; NumVGPRsForWavesPerEU: 1
; AccumOffset: 4
; Occupancy: 8
; WaveLimiterHint : 0
; COMPUTE_PGM_RSRC2:SCRATCH_EN: 0
; COMPUTE_PGM_RSRC2:USER_SGPR: 6
; COMPUTE_PGM_RSRC2:TRAP_HANDLER: 0
; COMPUTE_PGM_RSRC2:TGID_X_EN: 1
; COMPUTE_PGM_RSRC2:TGID_Y_EN: 0
; COMPUTE_PGM_RSRC2:TGID_Z_EN: 0
; COMPUTE_PGM_RSRC2:TIDIG_COMP_CNT: 0
; COMPUTE_PGM_RSRC3_GFX90A:ACCUM_OFFSET: 0
; COMPUTE_PGM_RSRC3_GFX90A:TG_SPLIT: 0
	.section	.text._ZN7rocprim17ROCPRIM_400000_NS6detail17trampoline_kernelINS0_14default_configENS1_38merge_sort_block_merge_config_selectorIhNS0_10empty_typeEEEZZNS1_27merge_sort_block_merge_implIS3_PhPS5_jNS1_19radix_merge_compareILb0ELb0EhNS0_19identity_decomposerEEEEE10hipError_tT0_T1_T2_jT3_P12ihipStream_tbPNSt15iterator_traitsISE_E10value_typeEPNSK_ISF_E10value_typeEPSG_NS1_7vsmem_tEENKUlT_SE_SF_SG_E_clIS8_S8_S9_S9_EESD_ST_SE_SF_SG_EUlST_E1_NS1_11comp_targetILNS1_3genE10ELNS1_11target_archE1201ELNS1_3gpuE5ELNS1_3repE0EEENS1_36merge_oddeven_config_static_selectorELNS0_4arch9wavefront6targetE1EEEvSF_,"axG",@progbits,_ZN7rocprim17ROCPRIM_400000_NS6detail17trampoline_kernelINS0_14default_configENS1_38merge_sort_block_merge_config_selectorIhNS0_10empty_typeEEEZZNS1_27merge_sort_block_merge_implIS3_PhPS5_jNS1_19radix_merge_compareILb0ELb0EhNS0_19identity_decomposerEEEEE10hipError_tT0_T1_T2_jT3_P12ihipStream_tbPNSt15iterator_traitsISE_E10value_typeEPNSK_ISF_E10value_typeEPSG_NS1_7vsmem_tEENKUlT_SE_SF_SG_E_clIS8_S8_S9_S9_EESD_ST_SE_SF_SG_EUlST_E1_NS1_11comp_targetILNS1_3genE10ELNS1_11target_archE1201ELNS1_3gpuE5ELNS1_3repE0EEENS1_36merge_oddeven_config_static_selectorELNS0_4arch9wavefront6targetE1EEEvSF_,comdat
	.protected	_ZN7rocprim17ROCPRIM_400000_NS6detail17trampoline_kernelINS0_14default_configENS1_38merge_sort_block_merge_config_selectorIhNS0_10empty_typeEEEZZNS1_27merge_sort_block_merge_implIS3_PhPS5_jNS1_19radix_merge_compareILb0ELb0EhNS0_19identity_decomposerEEEEE10hipError_tT0_T1_T2_jT3_P12ihipStream_tbPNSt15iterator_traitsISE_E10value_typeEPNSK_ISF_E10value_typeEPSG_NS1_7vsmem_tEENKUlT_SE_SF_SG_E_clIS8_S8_S9_S9_EESD_ST_SE_SF_SG_EUlST_E1_NS1_11comp_targetILNS1_3genE10ELNS1_11target_archE1201ELNS1_3gpuE5ELNS1_3repE0EEENS1_36merge_oddeven_config_static_selectorELNS0_4arch9wavefront6targetE1EEEvSF_ ; -- Begin function _ZN7rocprim17ROCPRIM_400000_NS6detail17trampoline_kernelINS0_14default_configENS1_38merge_sort_block_merge_config_selectorIhNS0_10empty_typeEEEZZNS1_27merge_sort_block_merge_implIS3_PhPS5_jNS1_19radix_merge_compareILb0ELb0EhNS0_19identity_decomposerEEEEE10hipError_tT0_T1_T2_jT3_P12ihipStream_tbPNSt15iterator_traitsISE_E10value_typeEPNSK_ISF_E10value_typeEPSG_NS1_7vsmem_tEENKUlT_SE_SF_SG_E_clIS8_S8_S9_S9_EESD_ST_SE_SF_SG_EUlST_E1_NS1_11comp_targetILNS1_3genE10ELNS1_11target_archE1201ELNS1_3gpuE5ELNS1_3repE0EEENS1_36merge_oddeven_config_static_selectorELNS0_4arch9wavefront6targetE1EEEvSF_
	.globl	_ZN7rocprim17ROCPRIM_400000_NS6detail17trampoline_kernelINS0_14default_configENS1_38merge_sort_block_merge_config_selectorIhNS0_10empty_typeEEEZZNS1_27merge_sort_block_merge_implIS3_PhPS5_jNS1_19radix_merge_compareILb0ELb0EhNS0_19identity_decomposerEEEEE10hipError_tT0_T1_T2_jT3_P12ihipStream_tbPNSt15iterator_traitsISE_E10value_typeEPNSK_ISF_E10value_typeEPSG_NS1_7vsmem_tEENKUlT_SE_SF_SG_E_clIS8_S8_S9_S9_EESD_ST_SE_SF_SG_EUlST_E1_NS1_11comp_targetILNS1_3genE10ELNS1_11target_archE1201ELNS1_3gpuE5ELNS1_3repE0EEENS1_36merge_oddeven_config_static_selectorELNS0_4arch9wavefront6targetE1EEEvSF_
	.p2align	8
	.type	_ZN7rocprim17ROCPRIM_400000_NS6detail17trampoline_kernelINS0_14default_configENS1_38merge_sort_block_merge_config_selectorIhNS0_10empty_typeEEEZZNS1_27merge_sort_block_merge_implIS3_PhPS5_jNS1_19radix_merge_compareILb0ELb0EhNS0_19identity_decomposerEEEEE10hipError_tT0_T1_T2_jT3_P12ihipStream_tbPNSt15iterator_traitsISE_E10value_typeEPNSK_ISF_E10value_typeEPSG_NS1_7vsmem_tEENKUlT_SE_SF_SG_E_clIS8_S8_S9_S9_EESD_ST_SE_SF_SG_EUlST_E1_NS1_11comp_targetILNS1_3genE10ELNS1_11target_archE1201ELNS1_3gpuE5ELNS1_3repE0EEENS1_36merge_oddeven_config_static_selectorELNS0_4arch9wavefront6targetE1EEEvSF_,@function
_ZN7rocprim17ROCPRIM_400000_NS6detail17trampoline_kernelINS0_14default_configENS1_38merge_sort_block_merge_config_selectorIhNS0_10empty_typeEEEZZNS1_27merge_sort_block_merge_implIS3_PhPS5_jNS1_19radix_merge_compareILb0ELb0EhNS0_19identity_decomposerEEEEE10hipError_tT0_T1_T2_jT3_P12ihipStream_tbPNSt15iterator_traitsISE_E10value_typeEPNSK_ISF_E10value_typeEPSG_NS1_7vsmem_tEENKUlT_SE_SF_SG_E_clIS8_S8_S9_S9_EESD_ST_SE_SF_SG_EUlST_E1_NS1_11comp_targetILNS1_3genE10ELNS1_11target_archE1201ELNS1_3gpuE5ELNS1_3repE0EEENS1_36merge_oddeven_config_static_selectorELNS0_4arch9wavefront6targetE1EEEvSF_: ; @_ZN7rocprim17ROCPRIM_400000_NS6detail17trampoline_kernelINS0_14default_configENS1_38merge_sort_block_merge_config_selectorIhNS0_10empty_typeEEEZZNS1_27merge_sort_block_merge_implIS3_PhPS5_jNS1_19radix_merge_compareILb0ELb0EhNS0_19identity_decomposerEEEEE10hipError_tT0_T1_T2_jT3_P12ihipStream_tbPNSt15iterator_traitsISE_E10value_typeEPNSK_ISF_E10value_typeEPSG_NS1_7vsmem_tEENKUlT_SE_SF_SG_E_clIS8_S8_S9_S9_EESD_ST_SE_SF_SG_EUlST_E1_NS1_11comp_targetILNS1_3genE10ELNS1_11target_archE1201ELNS1_3gpuE5ELNS1_3repE0EEENS1_36merge_oddeven_config_static_selectorELNS0_4arch9wavefront6targetE1EEEvSF_
; %bb.0:
	.section	.rodata,"a",@progbits
	.p2align	6, 0x0
	.amdhsa_kernel _ZN7rocprim17ROCPRIM_400000_NS6detail17trampoline_kernelINS0_14default_configENS1_38merge_sort_block_merge_config_selectorIhNS0_10empty_typeEEEZZNS1_27merge_sort_block_merge_implIS3_PhPS5_jNS1_19radix_merge_compareILb0ELb0EhNS0_19identity_decomposerEEEEE10hipError_tT0_T1_T2_jT3_P12ihipStream_tbPNSt15iterator_traitsISE_E10value_typeEPNSK_ISF_E10value_typeEPSG_NS1_7vsmem_tEENKUlT_SE_SF_SG_E_clIS8_S8_S9_S9_EESD_ST_SE_SF_SG_EUlST_E1_NS1_11comp_targetILNS1_3genE10ELNS1_11target_archE1201ELNS1_3gpuE5ELNS1_3repE0EEENS1_36merge_oddeven_config_static_selectorELNS0_4arch9wavefront6targetE1EEEvSF_
		.amdhsa_group_segment_fixed_size 0
		.amdhsa_private_segment_fixed_size 0
		.amdhsa_kernarg_size 48
		.amdhsa_user_sgpr_count 6
		.amdhsa_user_sgpr_private_segment_buffer 1
		.amdhsa_user_sgpr_dispatch_ptr 0
		.amdhsa_user_sgpr_queue_ptr 0
		.amdhsa_user_sgpr_kernarg_segment_ptr 1
		.amdhsa_user_sgpr_dispatch_id 0
		.amdhsa_user_sgpr_flat_scratch_init 0
		.amdhsa_user_sgpr_kernarg_preload_length 0
		.amdhsa_user_sgpr_kernarg_preload_offset 0
		.amdhsa_user_sgpr_private_segment_size 0
		.amdhsa_uses_dynamic_stack 0
		.amdhsa_system_sgpr_private_segment_wavefront_offset 0
		.amdhsa_system_sgpr_workgroup_id_x 1
		.amdhsa_system_sgpr_workgroup_id_y 0
		.amdhsa_system_sgpr_workgroup_id_z 0
		.amdhsa_system_sgpr_workgroup_info 0
		.amdhsa_system_vgpr_workitem_id 0
		.amdhsa_next_free_vgpr 1
		.amdhsa_next_free_sgpr 0
		.amdhsa_accum_offset 4
		.amdhsa_reserve_vcc 0
		.amdhsa_reserve_flat_scratch 0
		.amdhsa_float_round_mode_32 0
		.amdhsa_float_round_mode_16_64 0
		.amdhsa_float_denorm_mode_32 3
		.amdhsa_float_denorm_mode_16_64 3
		.amdhsa_dx10_clamp 1
		.amdhsa_ieee_mode 1
		.amdhsa_fp16_overflow 0
		.amdhsa_tg_split 0
		.amdhsa_exception_fp_ieee_invalid_op 0
		.amdhsa_exception_fp_denorm_src 0
		.amdhsa_exception_fp_ieee_div_zero 0
		.amdhsa_exception_fp_ieee_overflow 0
		.amdhsa_exception_fp_ieee_underflow 0
		.amdhsa_exception_fp_ieee_inexact 0
		.amdhsa_exception_int_div_zero 0
	.end_amdhsa_kernel
	.section	.text._ZN7rocprim17ROCPRIM_400000_NS6detail17trampoline_kernelINS0_14default_configENS1_38merge_sort_block_merge_config_selectorIhNS0_10empty_typeEEEZZNS1_27merge_sort_block_merge_implIS3_PhPS5_jNS1_19radix_merge_compareILb0ELb0EhNS0_19identity_decomposerEEEEE10hipError_tT0_T1_T2_jT3_P12ihipStream_tbPNSt15iterator_traitsISE_E10value_typeEPNSK_ISF_E10value_typeEPSG_NS1_7vsmem_tEENKUlT_SE_SF_SG_E_clIS8_S8_S9_S9_EESD_ST_SE_SF_SG_EUlST_E1_NS1_11comp_targetILNS1_3genE10ELNS1_11target_archE1201ELNS1_3gpuE5ELNS1_3repE0EEENS1_36merge_oddeven_config_static_selectorELNS0_4arch9wavefront6targetE1EEEvSF_,"axG",@progbits,_ZN7rocprim17ROCPRIM_400000_NS6detail17trampoline_kernelINS0_14default_configENS1_38merge_sort_block_merge_config_selectorIhNS0_10empty_typeEEEZZNS1_27merge_sort_block_merge_implIS3_PhPS5_jNS1_19radix_merge_compareILb0ELb0EhNS0_19identity_decomposerEEEEE10hipError_tT0_T1_T2_jT3_P12ihipStream_tbPNSt15iterator_traitsISE_E10value_typeEPNSK_ISF_E10value_typeEPSG_NS1_7vsmem_tEENKUlT_SE_SF_SG_E_clIS8_S8_S9_S9_EESD_ST_SE_SF_SG_EUlST_E1_NS1_11comp_targetILNS1_3genE10ELNS1_11target_archE1201ELNS1_3gpuE5ELNS1_3repE0EEENS1_36merge_oddeven_config_static_selectorELNS0_4arch9wavefront6targetE1EEEvSF_,comdat
.Lfunc_end263:
	.size	_ZN7rocprim17ROCPRIM_400000_NS6detail17trampoline_kernelINS0_14default_configENS1_38merge_sort_block_merge_config_selectorIhNS0_10empty_typeEEEZZNS1_27merge_sort_block_merge_implIS3_PhPS5_jNS1_19radix_merge_compareILb0ELb0EhNS0_19identity_decomposerEEEEE10hipError_tT0_T1_T2_jT3_P12ihipStream_tbPNSt15iterator_traitsISE_E10value_typeEPNSK_ISF_E10value_typeEPSG_NS1_7vsmem_tEENKUlT_SE_SF_SG_E_clIS8_S8_S9_S9_EESD_ST_SE_SF_SG_EUlST_E1_NS1_11comp_targetILNS1_3genE10ELNS1_11target_archE1201ELNS1_3gpuE5ELNS1_3repE0EEENS1_36merge_oddeven_config_static_selectorELNS0_4arch9wavefront6targetE1EEEvSF_, .Lfunc_end263-_ZN7rocprim17ROCPRIM_400000_NS6detail17trampoline_kernelINS0_14default_configENS1_38merge_sort_block_merge_config_selectorIhNS0_10empty_typeEEEZZNS1_27merge_sort_block_merge_implIS3_PhPS5_jNS1_19radix_merge_compareILb0ELb0EhNS0_19identity_decomposerEEEEE10hipError_tT0_T1_T2_jT3_P12ihipStream_tbPNSt15iterator_traitsISE_E10value_typeEPNSK_ISF_E10value_typeEPSG_NS1_7vsmem_tEENKUlT_SE_SF_SG_E_clIS8_S8_S9_S9_EESD_ST_SE_SF_SG_EUlST_E1_NS1_11comp_targetILNS1_3genE10ELNS1_11target_archE1201ELNS1_3gpuE5ELNS1_3repE0EEENS1_36merge_oddeven_config_static_selectorELNS0_4arch9wavefront6targetE1EEEvSF_
                                        ; -- End function
	.section	.AMDGPU.csdata,"",@progbits
; Kernel info:
; codeLenInByte = 0
; NumSgprs: 4
; NumVgprs: 0
; NumAgprs: 0
; TotalNumVgprs: 0
; ScratchSize: 0
; MemoryBound: 0
; FloatMode: 240
; IeeeMode: 1
; LDSByteSize: 0 bytes/workgroup (compile time only)
; SGPRBlocks: 0
; VGPRBlocks: 0
; NumSGPRsForWavesPerEU: 4
; NumVGPRsForWavesPerEU: 1
; AccumOffset: 4
; Occupancy: 8
; WaveLimiterHint : 0
; COMPUTE_PGM_RSRC2:SCRATCH_EN: 0
; COMPUTE_PGM_RSRC2:USER_SGPR: 6
; COMPUTE_PGM_RSRC2:TRAP_HANDLER: 0
; COMPUTE_PGM_RSRC2:TGID_X_EN: 1
; COMPUTE_PGM_RSRC2:TGID_Y_EN: 0
; COMPUTE_PGM_RSRC2:TGID_Z_EN: 0
; COMPUTE_PGM_RSRC2:TIDIG_COMP_CNT: 0
; COMPUTE_PGM_RSRC3_GFX90A:ACCUM_OFFSET: 0
; COMPUTE_PGM_RSRC3_GFX90A:TG_SPLIT: 0
	.section	.text._ZN7rocprim17ROCPRIM_400000_NS6detail17trampoline_kernelINS0_14default_configENS1_38merge_sort_block_merge_config_selectorIhNS0_10empty_typeEEEZZNS1_27merge_sort_block_merge_implIS3_PhPS5_jNS1_19radix_merge_compareILb0ELb0EhNS0_19identity_decomposerEEEEE10hipError_tT0_T1_T2_jT3_P12ihipStream_tbPNSt15iterator_traitsISE_E10value_typeEPNSK_ISF_E10value_typeEPSG_NS1_7vsmem_tEENKUlT_SE_SF_SG_E_clIS8_S8_S9_S9_EESD_ST_SE_SF_SG_EUlST_E1_NS1_11comp_targetILNS1_3genE5ELNS1_11target_archE942ELNS1_3gpuE9ELNS1_3repE0EEENS1_36merge_oddeven_config_static_selectorELNS0_4arch9wavefront6targetE1EEEvSF_,"axG",@progbits,_ZN7rocprim17ROCPRIM_400000_NS6detail17trampoline_kernelINS0_14default_configENS1_38merge_sort_block_merge_config_selectorIhNS0_10empty_typeEEEZZNS1_27merge_sort_block_merge_implIS3_PhPS5_jNS1_19radix_merge_compareILb0ELb0EhNS0_19identity_decomposerEEEEE10hipError_tT0_T1_T2_jT3_P12ihipStream_tbPNSt15iterator_traitsISE_E10value_typeEPNSK_ISF_E10value_typeEPSG_NS1_7vsmem_tEENKUlT_SE_SF_SG_E_clIS8_S8_S9_S9_EESD_ST_SE_SF_SG_EUlST_E1_NS1_11comp_targetILNS1_3genE5ELNS1_11target_archE942ELNS1_3gpuE9ELNS1_3repE0EEENS1_36merge_oddeven_config_static_selectorELNS0_4arch9wavefront6targetE1EEEvSF_,comdat
	.protected	_ZN7rocprim17ROCPRIM_400000_NS6detail17trampoline_kernelINS0_14default_configENS1_38merge_sort_block_merge_config_selectorIhNS0_10empty_typeEEEZZNS1_27merge_sort_block_merge_implIS3_PhPS5_jNS1_19radix_merge_compareILb0ELb0EhNS0_19identity_decomposerEEEEE10hipError_tT0_T1_T2_jT3_P12ihipStream_tbPNSt15iterator_traitsISE_E10value_typeEPNSK_ISF_E10value_typeEPSG_NS1_7vsmem_tEENKUlT_SE_SF_SG_E_clIS8_S8_S9_S9_EESD_ST_SE_SF_SG_EUlST_E1_NS1_11comp_targetILNS1_3genE5ELNS1_11target_archE942ELNS1_3gpuE9ELNS1_3repE0EEENS1_36merge_oddeven_config_static_selectorELNS0_4arch9wavefront6targetE1EEEvSF_ ; -- Begin function _ZN7rocprim17ROCPRIM_400000_NS6detail17trampoline_kernelINS0_14default_configENS1_38merge_sort_block_merge_config_selectorIhNS0_10empty_typeEEEZZNS1_27merge_sort_block_merge_implIS3_PhPS5_jNS1_19radix_merge_compareILb0ELb0EhNS0_19identity_decomposerEEEEE10hipError_tT0_T1_T2_jT3_P12ihipStream_tbPNSt15iterator_traitsISE_E10value_typeEPNSK_ISF_E10value_typeEPSG_NS1_7vsmem_tEENKUlT_SE_SF_SG_E_clIS8_S8_S9_S9_EESD_ST_SE_SF_SG_EUlST_E1_NS1_11comp_targetILNS1_3genE5ELNS1_11target_archE942ELNS1_3gpuE9ELNS1_3repE0EEENS1_36merge_oddeven_config_static_selectorELNS0_4arch9wavefront6targetE1EEEvSF_
	.globl	_ZN7rocprim17ROCPRIM_400000_NS6detail17trampoline_kernelINS0_14default_configENS1_38merge_sort_block_merge_config_selectorIhNS0_10empty_typeEEEZZNS1_27merge_sort_block_merge_implIS3_PhPS5_jNS1_19radix_merge_compareILb0ELb0EhNS0_19identity_decomposerEEEEE10hipError_tT0_T1_T2_jT3_P12ihipStream_tbPNSt15iterator_traitsISE_E10value_typeEPNSK_ISF_E10value_typeEPSG_NS1_7vsmem_tEENKUlT_SE_SF_SG_E_clIS8_S8_S9_S9_EESD_ST_SE_SF_SG_EUlST_E1_NS1_11comp_targetILNS1_3genE5ELNS1_11target_archE942ELNS1_3gpuE9ELNS1_3repE0EEENS1_36merge_oddeven_config_static_selectorELNS0_4arch9wavefront6targetE1EEEvSF_
	.p2align	8
	.type	_ZN7rocprim17ROCPRIM_400000_NS6detail17trampoline_kernelINS0_14default_configENS1_38merge_sort_block_merge_config_selectorIhNS0_10empty_typeEEEZZNS1_27merge_sort_block_merge_implIS3_PhPS5_jNS1_19radix_merge_compareILb0ELb0EhNS0_19identity_decomposerEEEEE10hipError_tT0_T1_T2_jT3_P12ihipStream_tbPNSt15iterator_traitsISE_E10value_typeEPNSK_ISF_E10value_typeEPSG_NS1_7vsmem_tEENKUlT_SE_SF_SG_E_clIS8_S8_S9_S9_EESD_ST_SE_SF_SG_EUlST_E1_NS1_11comp_targetILNS1_3genE5ELNS1_11target_archE942ELNS1_3gpuE9ELNS1_3repE0EEENS1_36merge_oddeven_config_static_selectorELNS0_4arch9wavefront6targetE1EEEvSF_,@function
_ZN7rocprim17ROCPRIM_400000_NS6detail17trampoline_kernelINS0_14default_configENS1_38merge_sort_block_merge_config_selectorIhNS0_10empty_typeEEEZZNS1_27merge_sort_block_merge_implIS3_PhPS5_jNS1_19radix_merge_compareILb0ELb0EhNS0_19identity_decomposerEEEEE10hipError_tT0_T1_T2_jT3_P12ihipStream_tbPNSt15iterator_traitsISE_E10value_typeEPNSK_ISF_E10value_typeEPSG_NS1_7vsmem_tEENKUlT_SE_SF_SG_E_clIS8_S8_S9_S9_EESD_ST_SE_SF_SG_EUlST_E1_NS1_11comp_targetILNS1_3genE5ELNS1_11target_archE942ELNS1_3gpuE9ELNS1_3repE0EEENS1_36merge_oddeven_config_static_selectorELNS0_4arch9wavefront6targetE1EEEvSF_: ; @_ZN7rocprim17ROCPRIM_400000_NS6detail17trampoline_kernelINS0_14default_configENS1_38merge_sort_block_merge_config_selectorIhNS0_10empty_typeEEEZZNS1_27merge_sort_block_merge_implIS3_PhPS5_jNS1_19radix_merge_compareILb0ELb0EhNS0_19identity_decomposerEEEEE10hipError_tT0_T1_T2_jT3_P12ihipStream_tbPNSt15iterator_traitsISE_E10value_typeEPNSK_ISF_E10value_typeEPSG_NS1_7vsmem_tEENKUlT_SE_SF_SG_E_clIS8_S8_S9_S9_EESD_ST_SE_SF_SG_EUlST_E1_NS1_11comp_targetILNS1_3genE5ELNS1_11target_archE942ELNS1_3gpuE9ELNS1_3repE0EEENS1_36merge_oddeven_config_static_selectorELNS0_4arch9wavefront6targetE1EEEvSF_
; %bb.0:
	.section	.rodata,"a",@progbits
	.p2align	6, 0x0
	.amdhsa_kernel _ZN7rocprim17ROCPRIM_400000_NS6detail17trampoline_kernelINS0_14default_configENS1_38merge_sort_block_merge_config_selectorIhNS0_10empty_typeEEEZZNS1_27merge_sort_block_merge_implIS3_PhPS5_jNS1_19radix_merge_compareILb0ELb0EhNS0_19identity_decomposerEEEEE10hipError_tT0_T1_T2_jT3_P12ihipStream_tbPNSt15iterator_traitsISE_E10value_typeEPNSK_ISF_E10value_typeEPSG_NS1_7vsmem_tEENKUlT_SE_SF_SG_E_clIS8_S8_S9_S9_EESD_ST_SE_SF_SG_EUlST_E1_NS1_11comp_targetILNS1_3genE5ELNS1_11target_archE942ELNS1_3gpuE9ELNS1_3repE0EEENS1_36merge_oddeven_config_static_selectorELNS0_4arch9wavefront6targetE1EEEvSF_
		.amdhsa_group_segment_fixed_size 0
		.amdhsa_private_segment_fixed_size 0
		.amdhsa_kernarg_size 48
		.amdhsa_user_sgpr_count 6
		.amdhsa_user_sgpr_private_segment_buffer 1
		.amdhsa_user_sgpr_dispatch_ptr 0
		.amdhsa_user_sgpr_queue_ptr 0
		.amdhsa_user_sgpr_kernarg_segment_ptr 1
		.amdhsa_user_sgpr_dispatch_id 0
		.amdhsa_user_sgpr_flat_scratch_init 0
		.amdhsa_user_sgpr_kernarg_preload_length 0
		.amdhsa_user_sgpr_kernarg_preload_offset 0
		.amdhsa_user_sgpr_private_segment_size 0
		.amdhsa_uses_dynamic_stack 0
		.amdhsa_system_sgpr_private_segment_wavefront_offset 0
		.amdhsa_system_sgpr_workgroup_id_x 1
		.amdhsa_system_sgpr_workgroup_id_y 0
		.amdhsa_system_sgpr_workgroup_id_z 0
		.amdhsa_system_sgpr_workgroup_info 0
		.amdhsa_system_vgpr_workitem_id 0
		.amdhsa_next_free_vgpr 1
		.amdhsa_next_free_sgpr 0
		.amdhsa_accum_offset 4
		.amdhsa_reserve_vcc 0
		.amdhsa_reserve_flat_scratch 0
		.amdhsa_float_round_mode_32 0
		.amdhsa_float_round_mode_16_64 0
		.amdhsa_float_denorm_mode_32 3
		.amdhsa_float_denorm_mode_16_64 3
		.amdhsa_dx10_clamp 1
		.amdhsa_ieee_mode 1
		.amdhsa_fp16_overflow 0
		.amdhsa_tg_split 0
		.amdhsa_exception_fp_ieee_invalid_op 0
		.amdhsa_exception_fp_denorm_src 0
		.amdhsa_exception_fp_ieee_div_zero 0
		.amdhsa_exception_fp_ieee_overflow 0
		.amdhsa_exception_fp_ieee_underflow 0
		.amdhsa_exception_fp_ieee_inexact 0
		.amdhsa_exception_int_div_zero 0
	.end_amdhsa_kernel
	.section	.text._ZN7rocprim17ROCPRIM_400000_NS6detail17trampoline_kernelINS0_14default_configENS1_38merge_sort_block_merge_config_selectorIhNS0_10empty_typeEEEZZNS1_27merge_sort_block_merge_implIS3_PhPS5_jNS1_19radix_merge_compareILb0ELb0EhNS0_19identity_decomposerEEEEE10hipError_tT0_T1_T2_jT3_P12ihipStream_tbPNSt15iterator_traitsISE_E10value_typeEPNSK_ISF_E10value_typeEPSG_NS1_7vsmem_tEENKUlT_SE_SF_SG_E_clIS8_S8_S9_S9_EESD_ST_SE_SF_SG_EUlST_E1_NS1_11comp_targetILNS1_3genE5ELNS1_11target_archE942ELNS1_3gpuE9ELNS1_3repE0EEENS1_36merge_oddeven_config_static_selectorELNS0_4arch9wavefront6targetE1EEEvSF_,"axG",@progbits,_ZN7rocprim17ROCPRIM_400000_NS6detail17trampoline_kernelINS0_14default_configENS1_38merge_sort_block_merge_config_selectorIhNS0_10empty_typeEEEZZNS1_27merge_sort_block_merge_implIS3_PhPS5_jNS1_19radix_merge_compareILb0ELb0EhNS0_19identity_decomposerEEEEE10hipError_tT0_T1_T2_jT3_P12ihipStream_tbPNSt15iterator_traitsISE_E10value_typeEPNSK_ISF_E10value_typeEPSG_NS1_7vsmem_tEENKUlT_SE_SF_SG_E_clIS8_S8_S9_S9_EESD_ST_SE_SF_SG_EUlST_E1_NS1_11comp_targetILNS1_3genE5ELNS1_11target_archE942ELNS1_3gpuE9ELNS1_3repE0EEENS1_36merge_oddeven_config_static_selectorELNS0_4arch9wavefront6targetE1EEEvSF_,comdat
.Lfunc_end264:
	.size	_ZN7rocprim17ROCPRIM_400000_NS6detail17trampoline_kernelINS0_14default_configENS1_38merge_sort_block_merge_config_selectorIhNS0_10empty_typeEEEZZNS1_27merge_sort_block_merge_implIS3_PhPS5_jNS1_19radix_merge_compareILb0ELb0EhNS0_19identity_decomposerEEEEE10hipError_tT0_T1_T2_jT3_P12ihipStream_tbPNSt15iterator_traitsISE_E10value_typeEPNSK_ISF_E10value_typeEPSG_NS1_7vsmem_tEENKUlT_SE_SF_SG_E_clIS8_S8_S9_S9_EESD_ST_SE_SF_SG_EUlST_E1_NS1_11comp_targetILNS1_3genE5ELNS1_11target_archE942ELNS1_3gpuE9ELNS1_3repE0EEENS1_36merge_oddeven_config_static_selectorELNS0_4arch9wavefront6targetE1EEEvSF_, .Lfunc_end264-_ZN7rocprim17ROCPRIM_400000_NS6detail17trampoline_kernelINS0_14default_configENS1_38merge_sort_block_merge_config_selectorIhNS0_10empty_typeEEEZZNS1_27merge_sort_block_merge_implIS3_PhPS5_jNS1_19radix_merge_compareILb0ELb0EhNS0_19identity_decomposerEEEEE10hipError_tT0_T1_T2_jT3_P12ihipStream_tbPNSt15iterator_traitsISE_E10value_typeEPNSK_ISF_E10value_typeEPSG_NS1_7vsmem_tEENKUlT_SE_SF_SG_E_clIS8_S8_S9_S9_EESD_ST_SE_SF_SG_EUlST_E1_NS1_11comp_targetILNS1_3genE5ELNS1_11target_archE942ELNS1_3gpuE9ELNS1_3repE0EEENS1_36merge_oddeven_config_static_selectorELNS0_4arch9wavefront6targetE1EEEvSF_
                                        ; -- End function
	.section	.AMDGPU.csdata,"",@progbits
; Kernel info:
; codeLenInByte = 0
; NumSgprs: 4
; NumVgprs: 0
; NumAgprs: 0
; TotalNumVgprs: 0
; ScratchSize: 0
; MemoryBound: 0
; FloatMode: 240
; IeeeMode: 1
; LDSByteSize: 0 bytes/workgroup (compile time only)
; SGPRBlocks: 0
; VGPRBlocks: 0
; NumSGPRsForWavesPerEU: 4
; NumVGPRsForWavesPerEU: 1
; AccumOffset: 4
; Occupancy: 8
; WaveLimiterHint : 0
; COMPUTE_PGM_RSRC2:SCRATCH_EN: 0
; COMPUTE_PGM_RSRC2:USER_SGPR: 6
; COMPUTE_PGM_RSRC2:TRAP_HANDLER: 0
; COMPUTE_PGM_RSRC2:TGID_X_EN: 1
; COMPUTE_PGM_RSRC2:TGID_Y_EN: 0
; COMPUTE_PGM_RSRC2:TGID_Z_EN: 0
; COMPUTE_PGM_RSRC2:TIDIG_COMP_CNT: 0
; COMPUTE_PGM_RSRC3_GFX90A:ACCUM_OFFSET: 0
; COMPUTE_PGM_RSRC3_GFX90A:TG_SPLIT: 0
	.section	.text._ZN7rocprim17ROCPRIM_400000_NS6detail17trampoline_kernelINS0_14default_configENS1_38merge_sort_block_merge_config_selectorIhNS0_10empty_typeEEEZZNS1_27merge_sort_block_merge_implIS3_PhPS5_jNS1_19radix_merge_compareILb0ELb0EhNS0_19identity_decomposerEEEEE10hipError_tT0_T1_T2_jT3_P12ihipStream_tbPNSt15iterator_traitsISE_E10value_typeEPNSK_ISF_E10value_typeEPSG_NS1_7vsmem_tEENKUlT_SE_SF_SG_E_clIS8_S8_S9_S9_EESD_ST_SE_SF_SG_EUlST_E1_NS1_11comp_targetILNS1_3genE4ELNS1_11target_archE910ELNS1_3gpuE8ELNS1_3repE0EEENS1_36merge_oddeven_config_static_selectorELNS0_4arch9wavefront6targetE1EEEvSF_,"axG",@progbits,_ZN7rocprim17ROCPRIM_400000_NS6detail17trampoline_kernelINS0_14default_configENS1_38merge_sort_block_merge_config_selectorIhNS0_10empty_typeEEEZZNS1_27merge_sort_block_merge_implIS3_PhPS5_jNS1_19radix_merge_compareILb0ELb0EhNS0_19identity_decomposerEEEEE10hipError_tT0_T1_T2_jT3_P12ihipStream_tbPNSt15iterator_traitsISE_E10value_typeEPNSK_ISF_E10value_typeEPSG_NS1_7vsmem_tEENKUlT_SE_SF_SG_E_clIS8_S8_S9_S9_EESD_ST_SE_SF_SG_EUlST_E1_NS1_11comp_targetILNS1_3genE4ELNS1_11target_archE910ELNS1_3gpuE8ELNS1_3repE0EEENS1_36merge_oddeven_config_static_selectorELNS0_4arch9wavefront6targetE1EEEvSF_,comdat
	.protected	_ZN7rocprim17ROCPRIM_400000_NS6detail17trampoline_kernelINS0_14default_configENS1_38merge_sort_block_merge_config_selectorIhNS0_10empty_typeEEEZZNS1_27merge_sort_block_merge_implIS3_PhPS5_jNS1_19radix_merge_compareILb0ELb0EhNS0_19identity_decomposerEEEEE10hipError_tT0_T1_T2_jT3_P12ihipStream_tbPNSt15iterator_traitsISE_E10value_typeEPNSK_ISF_E10value_typeEPSG_NS1_7vsmem_tEENKUlT_SE_SF_SG_E_clIS8_S8_S9_S9_EESD_ST_SE_SF_SG_EUlST_E1_NS1_11comp_targetILNS1_3genE4ELNS1_11target_archE910ELNS1_3gpuE8ELNS1_3repE0EEENS1_36merge_oddeven_config_static_selectorELNS0_4arch9wavefront6targetE1EEEvSF_ ; -- Begin function _ZN7rocprim17ROCPRIM_400000_NS6detail17trampoline_kernelINS0_14default_configENS1_38merge_sort_block_merge_config_selectorIhNS0_10empty_typeEEEZZNS1_27merge_sort_block_merge_implIS3_PhPS5_jNS1_19radix_merge_compareILb0ELb0EhNS0_19identity_decomposerEEEEE10hipError_tT0_T1_T2_jT3_P12ihipStream_tbPNSt15iterator_traitsISE_E10value_typeEPNSK_ISF_E10value_typeEPSG_NS1_7vsmem_tEENKUlT_SE_SF_SG_E_clIS8_S8_S9_S9_EESD_ST_SE_SF_SG_EUlST_E1_NS1_11comp_targetILNS1_3genE4ELNS1_11target_archE910ELNS1_3gpuE8ELNS1_3repE0EEENS1_36merge_oddeven_config_static_selectorELNS0_4arch9wavefront6targetE1EEEvSF_
	.globl	_ZN7rocprim17ROCPRIM_400000_NS6detail17trampoline_kernelINS0_14default_configENS1_38merge_sort_block_merge_config_selectorIhNS0_10empty_typeEEEZZNS1_27merge_sort_block_merge_implIS3_PhPS5_jNS1_19radix_merge_compareILb0ELb0EhNS0_19identity_decomposerEEEEE10hipError_tT0_T1_T2_jT3_P12ihipStream_tbPNSt15iterator_traitsISE_E10value_typeEPNSK_ISF_E10value_typeEPSG_NS1_7vsmem_tEENKUlT_SE_SF_SG_E_clIS8_S8_S9_S9_EESD_ST_SE_SF_SG_EUlST_E1_NS1_11comp_targetILNS1_3genE4ELNS1_11target_archE910ELNS1_3gpuE8ELNS1_3repE0EEENS1_36merge_oddeven_config_static_selectorELNS0_4arch9wavefront6targetE1EEEvSF_
	.p2align	8
	.type	_ZN7rocprim17ROCPRIM_400000_NS6detail17trampoline_kernelINS0_14default_configENS1_38merge_sort_block_merge_config_selectorIhNS0_10empty_typeEEEZZNS1_27merge_sort_block_merge_implIS3_PhPS5_jNS1_19radix_merge_compareILb0ELb0EhNS0_19identity_decomposerEEEEE10hipError_tT0_T1_T2_jT3_P12ihipStream_tbPNSt15iterator_traitsISE_E10value_typeEPNSK_ISF_E10value_typeEPSG_NS1_7vsmem_tEENKUlT_SE_SF_SG_E_clIS8_S8_S9_S9_EESD_ST_SE_SF_SG_EUlST_E1_NS1_11comp_targetILNS1_3genE4ELNS1_11target_archE910ELNS1_3gpuE8ELNS1_3repE0EEENS1_36merge_oddeven_config_static_selectorELNS0_4arch9wavefront6targetE1EEEvSF_,@function
_ZN7rocprim17ROCPRIM_400000_NS6detail17trampoline_kernelINS0_14default_configENS1_38merge_sort_block_merge_config_selectorIhNS0_10empty_typeEEEZZNS1_27merge_sort_block_merge_implIS3_PhPS5_jNS1_19radix_merge_compareILb0ELb0EhNS0_19identity_decomposerEEEEE10hipError_tT0_T1_T2_jT3_P12ihipStream_tbPNSt15iterator_traitsISE_E10value_typeEPNSK_ISF_E10value_typeEPSG_NS1_7vsmem_tEENKUlT_SE_SF_SG_E_clIS8_S8_S9_S9_EESD_ST_SE_SF_SG_EUlST_E1_NS1_11comp_targetILNS1_3genE4ELNS1_11target_archE910ELNS1_3gpuE8ELNS1_3repE0EEENS1_36merge_oddeven_config_static_selectorELNS0_4arch9wavefront6targetE1EEEvSF_: ; @_ZN7rocprim17ROCPRIM_400000_NS6detail17trampoline_kernelINS0_14default_configENS1_38merge_sort_block_merge_config_selectorIhNS0_10empty_typeEEEZZNS1_27merge_sort_block_merge_implIS3_PhPS5_jNS1_19radix_merge_compareILb0ELb0EhNS0_19identity_decomposerEEEEE10hipError_tT0_T1_T2_jT3_P12ihipStream_tbPNSt15iterator_traitsISE_E10value_typeEPNSK_ISF_E10value_typeEPSG_NS1_7vsmem_tEENKUlT_SE_SF_SG_E_clIS8_S8_S9_S9_EESD_ST_SE_SF_SG_EUlST_E1_NS1_11comp_targetILNS1_3genE4ELNS1_11target_archE910ELNS1_3gpuE8ELNS1_3repE0EEENS1_36merge_oddeven_config_static_selectorELNS0_4arch9wavefront6targetE1EEEvSF_
; %bb.0:
	s_load_dword s17, s[4:5], 0x20
	s_waitcnt lgkmcnt(0)
	s_lshr_b32 s0, s17, 8
	s_cmp_lg_u32 s6, s0
	s_cselect_b64 s[14:15], -1, 0
	s_cmp_eq_u32 s6, s0
	s_cselect_b64 s[12:13], -1, 0
	s_lshl_b32 s7, s6, 8
	s_sub_i32 s0, s17, s7
	v_cmp_gt_u32_e64 s[2:3], s0, v0
	s_or_b64 s[0:1], s[14:15], s[2:3]
	s_and_saveexec_b64 s[8:9], s[0:1]
	s_cbranch_execz .LBB265_20
; %bb.1:
	s_load_dwordx4 s[8:11], s[4:5], 0x0
	s_load_dword s18, s[4:5], 0x24
	v_add_u32_e32 v2, s7, v0
	s_waitcnt lgkmcnt(0)
	s_add_u32 s0, s8, s7
	s_addc_u32 s1, s9, 0
	global_load_ubyte v1, v0, s[0:1]
	s_lshr_b32 s0, s18, 8
	s_sub_i32 s1, 0, s0
	s_and_b32 s1, s6, s1
	s_and_b32 s0, s1, s0
	s_lshl_b32 s19, s1, 8
	s_sub_i32 s6, 0, s18
	s_cmp_eq_u32 s0, 0
	s_cselect_b64 s[0:1], -1, 0
	s_and_b64 s[4:5], s[0:1], exec
	s_cselect_b32 s16, s18, s6
	s_add_i32 s16, s16, s19
	s_cmp_lt_u32 s16, s17
	s_cbranch_scc1 .LBB265_3
; %bb.2:
	v_cmp_gt_u32_e32 vcc, s17, v2
	s_or_b64 s[4:5], vcc, s[14:15]
	s_and_b64 s[4:5], s[4:5], exec
	s_cbranch_execz .LBB265_4
	s_branch .LBB265_18
.LBB265_3:
	s_mov_b64 s[4:5], 0
.LBB265_4:
	s_min_u32 s14, s16, s17
	s_add_i32 s6, s14, s18
	s_min_u32 s15, s6, s17
	s_min_u32 s6, s19, s14
	s_add_i32 s19, s19, s14
	v_subrev_u32_e32 v0, s19, v2
	v_add_u32_e32 v0, s6, v0
	s_and_b64 vcc, exec, s[12:13]
	s_cbranch_vccz .LBB265_12
; %bb.5:
                                        ; implicit-def: $vgpr2
	s_and_saveexec_b64 s[6:7], s[2:3]
	s_cbranch_execz .LBB265_11
; %bb.6:
	s_cmp_ge_u32 s16, s15
	v_mov_b32_e32 v2, s14
	s_cbranch_scc1 .LBB265_10
; %bb.7:
	s_mov_b64 s[2:3], 0
	v_mov_b32_e32 v3, s15
	v_mov_b32_e32 v2, s14
.LBB265_8:                              ; =>This Inner Loop Header: Depth=1
	v_add_u32_e32 v4, v2, v3
	v_lshrrev_b32_e32 v4, 1, v4
	global_load_ubyte v5, v4, s[8:9]
	v_add_u32_e32 v6, 1, v4
	s_waitcnt vmcnt(0)
	v_cmp_gt_u16_sdwa s[12:13], v1, v5 src0_sel:BYTE_0 src1_sel:DWORD
	v_cndmask_b32_e64 v7, 0, 1, s[12:13]
	v_cmp_le_u16_sdwa s[12:13], v5, v1 src0_sel:DWORD src1_sel:BYTE_0
	v_cndmask_b32_e64 v5, 0, 1, s[12:13]
	v_cndmask_b32_e64 v5, v5, v7, s[0:1]
	v_and_b32_e32 v5, 1, v5
	v_cmp_eq_u32_e32 vcc, 1, v5
	v_cndmask_b32_e32 v3, v4, v3, vcc
	v_cndmask_b32_e32 v2, v2, v6, vcc
	v_cmp_ge_u32_e32 vcc, v2, v3
	s_or_b64 s[2:3], vcc, s[2:3]
	s_andn2_b64 exec, exec, s[2:3]
	s_cbranch_execnz .LBB265_8
; %bb.9:
	s_or_b64 exec, exec, s[2:3]
.LBB265_10:
	v_add_u32_e32 v2, v2, v0
	s_or_b64 s[4:5], s[4:5], exec
.LBB265_11:
	s_or_b64 exec, exec, s[6:7]
	s_branch .LBB265_18
.LBB265_12:
                                        ; implicit-def: $vgpr2
	s_cbranch_execz .LBB265_18
; %bb.13:
	s_cmp_ge_u32 s16, s15
	v_mov_b32_e32 v2, s14
	s_cbranch_scc1 .LBB265_17
; %bb.14:
	s_mov_b64 s[2:3], 0
	v_mov_b32_e32 v3, s15
	v_mov_b32_e32 v2, s14
.LBB265_15:                             ; =>This Inner Loop Header: Depth=1
	v_add_u32_e32 v4, v2, v3
	v_lshrrev_b32_e32 v4, 1, v4
	global_load_ubyte v5, v4, s[8:9]
	v_add_u32_e32 v6, 1, v4
	s_waitcnt vmcnt(0)
	v_cmp_gt_u16_sdwa s[4:5], v1, v5 src0_sel:BYTE_0 src1_sel:DWORD
	v_cndmask_b32_e64 v7, 0, 1, s[4:5]
	v_cmp_le_u16_sdwa s[4:5], v5, v1 src0_sel:DWORD src1_sel:BYTE_0
	v_cndmask_b32_e64 v5, 0, 1, s[4:5]
	v_cndmask_b32_e64 v5, v5, v7, s[0:1]
	v_and_b32_e32 v5, 1, v5
	v_cmp_eq_u32_e32 vcc, 1, v5
	v_cndmask_b32_e32 v3, v4, v3, vcc
	v_cndmask_b32_e32 v2, v2, v6, vcc
	v_cmp_ge_u32_e32 vcc, v2, v3
	s_or_b64 s[2:3], vcc, s[2:3]
	s_andn2_b64 exec, exec, s[2:3]
	s_cbranch_execnz .LBB265_15
; %bb.16:
	s_or_b64 exec, exec, s[2:3]
.LBB265_17:
	v_add_u32_e32 v2, v2, v0
	s_mov_b64 s[4:5], -1
.LBB265_18:
	s_and_b64 exec, exec, s[4:5]
	s_cbranch_execz .LBB265_20
; %bb.19:
	s_waitcnt vmcnt(0)
	global_store_byte v2, v1, s[10:11]
.LBB265_20:
	s_endpgm
	.section	.rodata,"a",@progbits
	.p2align	6, 0x0
	.amdhsa_kernel _ZN7rocprim17ROCPRIM_400000_NS6detail17trampoline_kernelINS0_14default_configENS1_38merge_sort_block_merge_config_selectorIhNS0_10empty_typeEEEZZNS1_27merge_sort_block_merge_implIS3_PhPS5_jNS1_19radix_merge_compareILb0ELb0EhNS0_19identity_decomposerEEEEE10hipError_tT0_T1_T2_jT3_P12ihipStream_tbPNSt15iterator_traitsISE_E10value_typeEPNSK_ISF_E10value_typeEPSG_NS1_7vsmem_tEENKUlT_SE_SF_SG_E_clIS8_S8_S9_S9_EESD_ST_SE_SF_SG_EUlST_E1_NS1_11comp_targetILNS1_3genE4ELNS1_11target_archE910ELNS1_3gpuE8ELNS1_3repE0EEENS1_36merge_oddeven_config_static_selectorELNS0_4arch9wavefront6targetE1EEEvSF_
		.amdhsa_group_segment_fixed_size 0
		.amdhsa_private_segment_fixed_size 0
		.amdhsa_kernarg_size 48
		.amdhsa_user_sgpr_count 6
		.amdhsa_user_sgpr_private_segment_buffer 1
		.amdhsa_user_sgpr_dispatch_ptr 0
		.amdhsa_user_sgpr_queue_ptr 0
		.amdhsa_user_sgpr_kernarg_segment_ptr 1
		.amdhsa_user_sgpr_dispatch_id 0
		.amdhsa_user_sgpr_flat_scratch_init 0
		.amdhsa_user_sgpr_kernarg_preload_length 0
		.amdhsa_user_sgpr_kernarg_preload_offset 0
		.amdhsa_user_sgpr_private_segment_size 0
		.amdhsa_uses_dynamic_stack 0
		.amdhsa_system_sgpr_private_segment_wavefront_offset 0
		.amdhsa_system_sgpr_workgroup_id_x 1
		.amdhsa_system_sgpr_workgroup_id_y 0
		.amdhsa_system_sgpr_workgroup_id_z 0
		.amdhsa_system_sgpr_workgroup_info 0
		.amdhsa_system_vgpr_workitem_id 0
		.amdhsa_next_free_vgpr 8
		.amdhsa_next_free_sgpr 20
		.amdhsa_accum_offset 8
		.amdhsa_reserve_vcc 1
		.amdhsa_reserve_flat_scratch 0
		.amdhsa_float_round_mode_32 0
		.amdhsa_float_round_mode_16_64 0
		.amdhsa_float_denorm_mode_32 3
		.amdhsa_float_denorm_mode_16_64 3
		.amdhsa_dx10_clamp 1
		.amdhsa_ieee_mode 1
		.amdhsa_fp16_overflow 0
		.amdhsa_tg_split 0
		.amdhsa_exception_fp_ieee_invalid_op 0
		.amdhsa_exception_fp_denorm_src 0
		.amdhsa_exception_fp_ieee_div_zero 0
		.amdhsa_exception_fp_ieee_overflow 0
		.amdhsa_exception_fp_ieee_underflow 0
		.amdhsa_exception_fp_ieee_inexact 0
		.amdhsa_exception_int_div_zero 0
	.end_amdhsa_kernel
	.section	.text._ZN7rocprim17ROCPRIM_400000_NS6detail17trampoline_kernelINS0_14default_configENS1_38merge_sort_block_merge_config_selectorIhNS0_10empty_typeEEEZZNS1_27merge_sort_block_merge_implIS3_PhPS5_jNS1_19radix_merge_compareILb0ELb0EhNS0_19identity_decomposerEEEEE10hipError_tT0_T1_T2_jT3_P12ihipStream_tbPNSt15iterator_traitsISE_E10value_typeEPNSK_ISF_E10value_typeEPSG_NS1_7vsmem_tEENKUlT_SE_SF_SG_E_clIS8_S8_S9_S9_EESD_ST_SE_SF_SG_EUlST_E1_NS1_11comp_targetILNS1_3genE4ELNS1_11target_archE910ELNS1_3gpuE8ELNS1_3repE0EEENS1_36merge_oddeven_config_static_selectorELNS0_4arch9wavefront6targetE1EEEvSF_,"axG",@progbits,_ZN7rocprim17ROCPRIM_400000_NS6detail17trampoline_kernelINS0_14default_configENS1_38merge_sort_block_merge_config_selectorIhNS0_10empty_typeEEEZZNS1_27merge_sort_block_merge_implIS3_PhPS5_jNS1_19radix_merge_compareILb0ELb0EhNS0_19identity_decomposerEEEEE10hipError_tT0_T1_T2_jT3_P12ihipStream_tbPNSt15iterator_traitsISE_E10value_typeEPNSK_ISF_E10value_typeEPSG_NS1_7vsmem_tEENKUlT_SE_SF_SG_E_clIS8_S8_S9_S9_EESD_ST_SE_SF_SG_EUlST_E1_NS1_11comp_targetILNS1_3genE4ELNS1_11target_archE910ELNS1_3gpuE8ELNS1_3repE0EEENS1_36merge_oddeven_config_static_selectorELNS0_4arch9wavefront6targetE1EEEvSF_,comdat
.Lfunc_end265:
	.size	_ZN7rocprim17ROCPRIM_400000_NS6detail17trampoline_kernelINS0_14default_configENS1_38merge_sort_block_merge_config_selectorIhNS0_10empty_typeEEEZZNS1_27merge_sort_block_merge_implIS3_PhPS5_jNS1_19radix_merge_compareILb0ELb0EhNS0_19identity_decomposerEEEEE10hipError_tT0_T1_T2_jT3_P12ihipStream_tbPNSt15iterator_traitsISE_E10value_typeEPNSK_ISF_E10value_typeEPSG_NS1_7vsmem_tEENKUlT_SE_SF_SG_E_clIS8_S8_S9_S9_EESD_ST_SE_SF_SG_EUlST_E1_NS1_11comp_targetILNS1_3genE4ELNS1_11target_archE910ELNS1_3gpuE8ELNS1_3repE0EEENS1_36merge_oddeven_config_static_selectorELNS0_4arch9wavefront6targetE1EEEvSF_, .Lfunc_end265-_ZN7rocprim17ROCPRIM_400000_NS6detail17trampoline_kernelINS0_14default_configENS1_38merge_sort_block_merge_config_selectorIhNS0_10empty_typeEEEZZNS1_27merge_sort_block_merge_implIS3_PhPS5_jNS1_19radix_merge_compareILb0ELb0EhNS0_19identity_decomposerEEEEE10hipError_tT0_T1_T2_jT3_P12ihipStream_tbPNSt15iterator_traitsISE_E10value_typeEPNSK_ISF_E10value_typeEPSG_NS1_7vsmem_tEENKUlT_SE_SF_SG_E_clIS8_S8_S9_S9_EESD_ST_SE_SF_SG_EUlST_E1_NS1_11comp_targetILNS1_3genE4ELNS1_11target_archE910ELNS1_3gpuE8ELNS1_3repE0EEENS1_36merge_oddeven_config_static_selectorELNS0_4arch9wavefront6targetE1EEEvSF_
                                        ; -- End function
	.section	.AMDGPU.csdata,"",@progbits
; Kernel info:
; codeLenInByte = 520
; NumSgprs: 24
; NumVgprs: 8
; NumAgprs: 0
; TotalNumVgprs: 8
; ScratchSize: 0
; MemoryBound: 0
; FloatMode: 240
; IeeeMode: 1
; LDSByteSize: 0 bytes/workgroup (compile time only)
; SGPRBlocks: 2
; VGPRBlocks: 0
; NumSGPRsForWavesPerEU: 24
; NumVGPRsForWavesPerEU: 8
; AccumOffset: 8
; Occupancy: 8
; WaveLimiterHint : 0
; COMPUTE_PGM_RSRC2:SCRATCH_EN: 0
; COMPUTE_PGM_RSRC2:USER_SGPR: 6
; COMPUTE_PGM_RSRC2:TRAP_HANDLER: 0
; COMPUTE_PGM_RSRC2:TGID_X_EN: 1
; COMPUTE_PGM_RSRC2:TGID_Y_EN: 0
; COMPUTE_PGM_RSRC2:TGID_Z_EN: 0
; COMPUTE_PGM_RSRC2:TIDIG_COMP_CNT: 0
; COMPUTE_PGM_RSRC3_GFX90A:ACCUM_OFFSET: 1
; COMPUTE_PGM_RSRC3_GFX90A:TG_SPLIT: 0
	.section	.text._ZN7rocprim17ROCPRIM_400000_NS6detail17trampoline_kernelINS0_14default_configENS1_38merge_sort_block_merge_config_selectorIhNS0_10empty_typeEEEZZNS1_27merge_sort_block_merge_implIS3_PhPS5_jNS1_19radix_merge_compareILb0ELb0EhNS0_19identity_decomposerEEEEE10hipError_tT0_T1_T2_jT3_P12ihipStream_tbPNSt15iterator_traitsISE_E10value_typeEPNSK_ISF_E10value_typeEPSG_NS1_7vsmem_tEENKUlT_SE_SF_SG_E_clIS8_S8_S9_S9_EESD_ST_SE_SF_SG_EUlST_E1_NS1_11comp_targetILNS1_3genE3ELNS1_11target_archE908ELNS1_3gpuE7ELNS1_3repE0EEENS1_36merge_oddeven_config_static_selectorELNS0_4arch9wavefront6targetE1EEEvSF_,"axG",@progbits,_ZN7rocprim17ROCPRIM_400000_NS6detail17trampoline_kernelINS0_14default_configENS1_38merge_sort_block_merge_config_selectorIhNS0_10empty_typeEEEZZNS1_27merge_sort_block_merge_implIS3_PhPS5_jNS1_19radix_merge_compareILb0ELb0EhNS0_19identity_decomposerEEEEE10hipError_tT0_T1_T2_jT3_P12ihipStream_tbPNSt15iterator_traitsISE_E10value_typeEPNSK_ISF_E10value_typeEPSG_NS1_7vsmem_tEENKUlT_SE_SF_SG_E_clIS8_S8_S9_S9_EESD_ST_SE_SF_SG_EUlST_E1_NS1_11comp_targetILNS1_3genE3ELNS1_11target_archE908ELNS1_3gpuE7ELNS1_3repE0EEENS1_36merge_oddeven_config_static_selectorELNS0_4arch9wavefront6targetE1EEEvSF_,comdat
	.protected	_ZN7rocprim17ROCPRIM_400000_NS6detail17trampoline_kernelINS0_14default_configENS1_38merge_sort_block_merge_config_selectorIhNS0_10empty_typeEEEZZNS1_27merge_sort_block_merge_implIS3_PhPS5_jNS1_19radix_merge_compareILb0ELb0EhNS0_19identity_decomposerEEEEE10hipError_tT0_T1_T2_jT3_P12ihipStream_tbPNSt15iterator_traitsISE_E10value_typeEPNSK_ISF_E10value_typeEPSG_NS1_7vsmem_tEENKUlT_SE_SF_SG_E_clIS8_S8_S9_S9_EESD_ST_SE_SF_SG_EUlST_E1_NS1_11comp_targetILNS1_3genE3ELNS1_11target_archE908ELNS1_3gpuE7ELNS1_3repE0EEENS1_36merge_oddeven_config_static_selectorELNS0_4arch9wavefront6targetE1EEEvSF_ ; -- Begin function _ZN7rocprim17ROCPRIM_400000_NS6detail17trampoline_kernelINS0_14default_configENS1_38merge_sort_block_merge_config_selectorIhNS0_10empty_typeEEEZZNS1_27merge_sort_block_merge_implIS3_PhPS5_jNS1_19radix_merge_compareILb0ELb0EhNS0_19identity_decomposerEEEEE10hipError_tT0_T1_T2_jT3_P12ihipStream_tbPNSt15iterator_traitsISE_E10value_typeEPNSK_ISF_E10value_typeEPSG_NS1_7vsmem_tEENKUlT_SE_SF_SG_E_clIS8_S8_S9_S9_EESD_ST_SE_SF_SG_EUlST_E1_NS1_11comp_targetILNS1_3genE3ELNS1_11target_archE908ELNS1_3gpuE7ELNS1_3repE0EEENS1_36merge_oddeven_config_static_selectorELNS0_4arch9wavefront6targetE1EEEvSF_
	.globl	_ZN7rocprim17ROCPRIM_400000_NS6detail17trampoline_kernelINS0_14default_configENS1_38merge_sort_block_merge_config_selectorIhNS0_10empty_typeEEEZZNS1_27merge_sort_block_merge_implIS3_PhPS5_jNS1_19radix_merge_compareILb0ELb0EhNS0_19identity_decomposerEEEEE10hipError_tT0_T1_T2_jT3_P12ihipStream_tbPNSt15iterator_traitsISE_E10value_typeEPNSK_ISF_E10value_typeEPSG_NS1_7vsmem_tEENKUlT_SE_SF_SG_E_clIS8_S8_S9_S9_EESD_ST_SE_SF_SG_EUlST_E1_NS1_11comp_targetILNS1_3genE3ELNS1_11target_archE908ELNS1_3gpuE7ELNS1_3repE0EEENS1_36merge_oddeven_config_static_selectorELNS0_4arch9wavefront6targetE1EEEvSF_
	.p2align	8
	.type	_ZN7rocprim17ROCPRIM_400000_NS6detail17trampoline_kernelINS0_14default_configENS1_38merge_sort_block_merge_config_selectorIhNS0_10empty_typeEEEZZNS1_27merge_sort_block_merge_implIS3_PhPS5_jNS1_19radix_merge_compareILb0ELb0EhNS0_19identity_decomposerEEEEE10hipError_tT0_T1_T2_jT3_P12ihipStream_tbPNSt15iterator_traitsISE_E10value_typeEPNSK_ISF_E10value_typeEPSG_NS1_7vsmem_tEENKUlT_SE_SF_SG_E_clIS8_S8_S9_S9_EESD_ST_SE_SF_SG_EUlST_E1_NS1_11comp_targetILNS1_3genE3ELNS1_11target_archE908ELNS1_3gpuE7ELNS1_3repE0EEENS1_36merge_oddeven_config_static_selectorELNS0_4arch9wavefront6targetE1EEEvSF_,@function
_ZN7rocprim17ROCPRIM_400000_NS6detail17trampoline_kernelINS0_14default_configENS1_38merge_sort_block_merge_config_selectorIhNS0_10empty_typeEEEZZNS1_27merge_sort_block_merge_implIS3_PhPS5_jNS1_19radix_merge_compareILb0ELb0EhNS0_19identity_decomposerEEEEE10hipError_tT0_T1_T2_jT3_P12ihipStream_tbPNSt15iterator_traitsISE_E10value_typeEPNSK_ISF_E10value_typeEPSG_NS1_7vsmem_tEENKUlT_SE_SF_SG_E_clIS8_S8_S9_S9_EESD_ST_SE_SF_SG_EUlST_E1_NS1_11comp_targetILNS1_3genE3ELNS1_11target_archE908ELNS1_3gpuE7ELNS1_3repE0EEENS1_36merge_oddeven_config_static_selectorELNS0_4arch9wavefront6targetE1EEEvSF_: ; @_ZN7rocprim17ROCPRIM_400000_NS6detail17trampoline_kernelINS0_14default_configENS1_38merge_sort_block_merge_config_selectorIhNS0_10empty_typeEEEZZNS1_27merge_sort_block_merge_implIS3_PhPS5_jNS1_19radix_merge_compareILb0ELb0EhNS0_19identity_decomposerEEEEE10hipError_tT0_T1_T2_jT3_P12ihipStream_tbPNSt15iterator_traitsISE_E10value_typeEPNSK_ISF_E10value_typeEPSG_NS1_7vsmem_tEENKUlT_SE_SF_SG_E_clIS8_S8_S9_S9_EESD_ST_SE_SF_SG_EUlST_E1_NS1_11comp_targetILNS1_3genE3ELNS1_11target_archE908ELNS1_3gpuE7ELNS1_3repE0EEENS1_36merge_oddeven_config_static_selectorELNS0_4arch9wavefront6targetE1EEEvSF_
; %bb.0:
	.section	.rodata,"a",@progbits
	.p2align	6, 0x0
	.amdhsa_kernel _ZN7rocprim17ROCPRIM_400000_NS6detail17trampoline_kernelINS0_14default_configENS1_38merge_sort_block_merge_config_selectorIhNS0_10empty_typeEEEZZNS1_27merge_sort_block_merge_implIS3_PhPS5_jNS1_19radix_merge_compareILb0ELb0EhNS0_19identity_decomposerEEEEE10hipError_tT0_T1_T2_jT3_P12ihipStream_tbPNSt15iterator_traitsISE_E10value_typeEPNSK_ISF_E10value_typeEPSG_NS1_7vsmem_tEENKUlT_SE_SF_SG_E_clIS8_S8_S9_S9_EESD_ST_SE_SF_SG_EUlST_E1_NS1_11comp_targetILNS1_3genE3ELNS1_11target_archE908ELNS1_3gpuE7ELNS1_3repE0EEENS1_36merge_oddeven_config_static_selectorELNS0_4arch9wavefront6targetE1EEEvSF_
		.amdhsa_group_segment_fixed_size 0
		.amdhsa_private_segment_fixed_size 0
		.amdhsa_kernarg_size 48
		.amdhsa_user_sgpr_count 6
		.amdhsa_user_sgpr_private_segment_buffer 1
		.amdhsa_user_sgpr_dispatch_ptr 0
		.amdhsa_user_sgpr_queue_ptr 0
		.amdhsa_user_sgpr_kernarg_segment_ptr 1
		.amdhsa_user_sgpr_dispatch_id 0
		.amdhsa_user_sgpr_flat_scratch_init 0
		.amdhsa_user_sgpr_kernarg_preload_length 0
		.amdhsa_user_sgpr_kernarg_preload_offset 0
		.amdhsa_user_sgpr_private_segment_size 0
		.amdhsa_uses_dynamic_stack 0
		.amdhsa_system_sgpr_private_segment_wavefront_offset 0
		.amdhsa_system_sgpr_workgroup_id_x 1
		.amdhsa_system_sgpr_workgroup_id_y 0
		.amdhsa_system_sgpr_workgroup_id_z 0
		.amdhsa_system_sgpr_workgroup_info 0
		.amdhsa_system_vgpr_workitem_id 0
		.amdhsa_next_free_vgpr 1
		.amdhsa_next_free_sgpr 0
		.amdhsa_accum_offset 4
		.amdhsa_reserve_vcc 0
		.amdhsa_reserve_flat_scratch 0
		.amdhsa_float_round_mode_32 0
		.amdhsa_float_round_mode_16_64 0
		.amdhsa_float_denorm_mode_32 3
		.amdhsa_float_denorm_mode_16_64 3
		.amdhsa_dx10_clamp 1
		.amdhsa_ieee_mode 1
		.amdhsa_fp16_overflow 0
		.amdhsa_tg_split 0
		.amdhsa_exception_fp_ieee_invalid_op 0
		.amdhsa_exception_fp_denorm_src 0
		.amdhsa_exception_fp_ieee_div_zero 0
		.amdhsa_exception_fp_ieee_overflow 0
		.amdhsa_exception_fp_ieee_underflow 0
		.amdhsa_exception_fp_ieee_inexact 0
		.amdhsa_exception_int_div_zero 0
	.end_amdhsa_kernel
	.section	.text._ZN7rocprim17ROCPRIM_400000_NS6detail17trampoline_kernelINS0_14default_configENS1_38merge_sort_block_merge_config_selectorIhNS0_10empty_typeEEEZZNS1_27merge_sort_block_merge_implIS3_PhPS5_jNS1_19radix_merge_compareILb0ELb0EhNS0_19identity_decomposerEEEEE10hipError_tT0_T1_T2_jT3_P12ihipStream_tbPNSt15iterator_traitsISE_E10value_typeEPNSK_ISF_E10value_typeEPSG_NS1_7vsmem_tEENKUlT_SE_SF_SG_E_clIS8_S8_S9_S9_EESD_ST_SE_SF_SG_EUlST_E1_NS1_11comp_targetILNS1_3genE3ELNS1_11target_archE908ELNS1_3gpuE7ELNS1_3repE0EEENS1_36merge_oddeven_config_static_selectorELNS0_4arch9wavefront6targetE1EEEvSF_,"axG",@progbits,_ZN7rocprim17ROCPRIM_400000_NS6detail17trampoline_kernelINS0_14default_configENS1_38merge_sort_block_merge_config_selectorIhNS0_10empty_typeEEEZZNS1_27merge_sort_block_merge_implIS3_PhPS5_jNS1_19radix_merge_compareILb0ELb0EhNS0_19identity_decomposerEEEEE10hipError_tT0_T1_T2_jT3_P12ihipStream_tbPNSt15iterator_traitsISE_E10value_typeEPNSK_ISF_E10value_typeEPSG_NS1_7vsmem_tEENKUlT_SE_SF_SG_E_clIS8_S8_S9_S9_EESD_ST_SE_SF_SG_EUlST_E1_NS1_11comp_targetILNS1_3genE3ELNS1_11target_archE908ELNS1_3gpuE7ELNS1_3repE0EEENS1_36merge_oddeven_config_static_selectorELNS0_4arch9wavefront6targetE1EEEvSF_,comdat
.Lfunc_end266:
	.size	_ZN7rocprim17ROCPRIM_400000_NS6detail17trampoline_kernelINS0_14default_configENS1_38merge_sort_block_merge_config_selectorIhNS0_10empty_typeEEEZZNS1_27merge_sort_block_merge_implIS3_PhPS5_jNS1_19radix_merge_compareILb0ELb0EhNS0_19identity_decomposerEEEEE10hipError_tT0_T1_T2_jT3_P12ihipStream_tbPNSt15iterator_traitsISE_E10value_typeEPNSK_ISF_E10value_typeEPSG_NS1_7vsmem_tEENKUlT_SE_SF_SG_E_clIS8_S8_S9_S9_EESD_ST_SE_SF_SG_EUlST_E1_NS1_11comp_targetILNS1_3genE3ELNS1_11target_archE908ELNS1_3gpuE7ELNS1_3repE0EEENS1_36merge_oddeven_config_static_selectorELNS0_4arch9wavefront6targetE1EEEvSF_, .Lfunc_end266-_ZN7rocprim17ROCPRIM_400000_NS6detail17trampoline_kernelINS0_14default_configENS1_38merge_sort_block_merge_config_selectorIhNS0_10empty_typeEEEZZNS1_27merge_sort_block_merge_implIS3_PhPS5_jNS1_19radix_merge_compareILb0ELb0EhNS0_19identity_decomposerEEEEE10hipError_tT0_T1_T2_jT3_P12ihipStream_tbPNSt15iterator_traitsISE_E10value_typeEPNSK_ISF_E10value_typeEPSG_NS1_7vsmem_tEENKUlT_SE_SF_SG_E_clIS8_S8_S9_S9_EESD_ST_SE_SF_SG_EUlST_E1_NS1_11comp_targetILNS1_3genE3ELNS1_11target_archE908ELNS1_3gpuE7ELNS1_3repE0EEENS1_36merge_oddeven_config_static_selectorELNS0_4arch9wavefront6targetE1EEEvSF_
                                        ; -- End function
	.section	.AMDGPU.csdata,"",@progbits
; Kernel info:
; codeLenInByte = 0
; NumSgprs: 4
; NumVgprs: 0
; NumAgprs: 0
; TotalNumVgprs: 0
; ScratchSize: 0
; MemoryBound: 0
; FloatMode: 240
; IeeeMode: 1
; LDSByteSize: 0 bytes/workgroup (compile time only)
; SGPRBlocks: 0
; VGPRBlocks: 0
; NumSGPRsForWavesPerEU: 4
; NumVGPRsForWavesPerEU: 1
; AccumOffset: 4
; Occupancy: 8
; WaveLimiterHint : 0
; COMPUTE_PGM_RSRC2:SCRATCH_EN: 0
; COMPUTE_PGM_RSRC2:USER_SGPR: 6
; COMPUTE_PGM_RSRC2:TRAP_HANDLER: 0
; COMPUTE_PGM_RSRC2:TGID_X_EN: 1
; COMPUTE_PGM_RSRC2:TGID_Y_EN: 0
; COMPUTE_PGM_RSRC2:TGID_Z_EN: 0
; COMPUTE_PGM_RSRC2:TIDIG_COMP_CNT: 0
; COMPUTE_PGM_RSRC3_GFX90A:ACCUM_OFFSET: 0
; COMPUTE_PGM_RSRC3_GFX90A:TG_SPLIT: 0
	.section	.text._ZN7rocprim17ROCPRIM_400000_NS6detail17trampoline_kernelINS0_14default_configENS1_38merge_sort_block_merge_config_selectorIhNS0_10empty_typeEEEZZNS1_27merge_sort_block_merge_implIS3_PhPS5_jNS1_19radix_merge_compareILb0ELb0EhNS0_19identity_decomposerEEEEE10hipError_tT0_T1_T2_jT3_P12ihipStream_tbPNSt15iterator_traitsISE_E10value_typeEPNSK_ISF_E10value_typeEPSG_NS1_7vsmem_tEENKUlT_SE_SF_SG_E_clIS8_S8_S9_S9_EESD_ST_SE_SF_SG_EUlST_E1_NS1_11comp_targetILNS1_3genE2ELNS1_11target_archE906ELNS1_3gpuE6ELNS1_3repE0EEENS1_36merge_oddeven_config_static_selectorELNS0_4arch9wavefront6targetE1EEEvSF_,"axG",@progbits,_ZN7rocprim17ROCPRIM_400000_NS6detail17trampoline_kernelINS0_14default_configENS1_38merge_sort_block_merge_config_selectorIhNS0_10empty_typeEEEZZNS1_27merge_sort_block_merge_implIS3_PhPS5_jNS1_19radix_merge_compareILb0ELb0EhNS0_19identity_decomposerEEEEE10hipError_tT0_T1_T2_jT3_P12ihipStream_tbPNSt15iterator_traitsISE_E10value_typeEPNSK_ISF_E10value_typeEPSG_NS1_7vsmem_tEENKUlT_SE_SF_SG_E_clIS8_S8_S9_S9_EESD_ST_SE_SF_SG_EUlST_E1_NS1_11comp_targetILNS1_3genE2ELNS1_11target_archE906ELNS1_3gpuE6ELNS1_3repE0EEENS1_36merge_oddeven_config_static_selectorELNS0_4arch9wavefront6targetE1EEEvSF_,comdat
	.protected	_ZN7rocprim17ROCPRIM_400000_NS6detail17trampoline_kernelINS0_14default_configENS1_38merge_sort_block_merge_config_selectorIhNS0_10empty_typeEEEZZNS1_27merge_sort_block_merge_implIS3_PhPS5_jNS1_19radix_merge_compareILb0ELb0EhNS0_19identity_decomposerEEEEE10hipError_tT0_T1_T2_jT3_P12ihipStream_tbPNSt15iterator_traitsISE_E10value_typeEPNSK_ISF_E10value_typeEPSG_NS1_7vsmem_tEENKUlT_SE_SF_SG_E_clIS8_S8_S9_S9_EESD_ST_SE_SF_SG_EUlST_E1_NS1_11comp_targetILNS1_3genE2ELNS1_11target_archE906ELNS1_3gpuE6ELNS1_3repE0EEENS1_36merge_oddeven_config_static_selectorELNS0_4arch9wavefront6targetE1EEEvSF_ ; -- Begin function _ZN7rocprim17ROCPRIM_400000_NS6detail17trampoline_kernelINS0_14default_configENS1_38merge_sort_block_merge_config_selectorIhNS0_10empty_typeEEEZZNS1_27merge_sort_block_merge_implIS3_PhPS5_jNS1_19radix_merge_compareILb0ELb0EhNS0_19identity_decomposerEEEEE10hipError_tT0_T1_T2_jT3_P12ihipStream_tbPNSt15iterator_traitsISE_E10value_typeEPNSK_ISF_E10value_typeEPSG_NS1_7vsmem_tEENKUlT_SE_SF_SG_E_clIS8_S8_S9_S9_EESD_ST_SE_SF_SG_EUlST_E1_NS1_11comp_targetILNS1_3genE2ELNS1_11target_archE906ELNS1_3gpuE6ELNS1_3repE0EEENS1_36merge_oddeven_config_static_selectorELNS0_4arch9wavefront6targetE1EEEvSF_
	.globl	_ZN7rocprim17ROCPRIM_400000_NS6detail17trampoline_kernelINS0_14default_configENS1_38merge_sort_block_merge_config_selectorIhNS0_10empty_typeEEEZZNS1_27merge_sort_block_merge_implIS3_PhPS5_jNS1_19radix_merge_compareILb0ELb0EhNS0_19identity_decomposerEEEEE10hipError_tT0_T1_T2_jT3_P12ihipStream_tbPNSt15iterator_traitsISE_E10value_typeEPNSK_ISF_E10value_typeEPSG_NS1_7vsmem_tEENKUlT_SE_SF_SG_E_clIS8_S8_S9_S9_EESD_ST_SE_SF_SG_EUlST_E1_NS1_11comp_targetILNS1_3genE2ELNS1_11target_archE906ELNS1_3gpuE6ELNS1_3repE0EEENS1_36merge_oddeven_config_static_selectorELNS0_4arch9wavefront6targetE1EEEvSF_
	.p2align	8
	.type	_ZN7rocprim17ROCPRIM_400000_NS6detail17trampoline_kernelINS0_14default_configENS1_38merge_sort_block_merge_config_selectorIhNS0_10empty_typeEEEZZNS1_27merge_sort_block_merge_implIS3_PhPS5_jNS1_19radix_merge_compareILb0ELb0EhNS0_19identity_decomposerEEEEE10hipError_tT0_T1_T2_jT3_P12ihipStream_tbPNSt15iterator_traitsISE_E10value_typeEPNSK_ISF_E10value_typeEPSG_NS1_7vsmem_tEENKUlT_SE_SF_SG_E_clIS8_S8_S9_S9_EESD_ST_SE_SF_SG_EUlST_E1_NS1_11comp_targetILNS1_3genE2ELNS1_11target_archE906ELNS1_3gpuE6ELNS1_3repE0EEENS1_36merge_oddeven_config_static_selectorELNS0_4arch9wavefront6targetE1EEEvSF_,@function
_ZN7rocprim17ROCPRIM_400000_NS6detail17trampoline_kernelINS0_14default_configENS1_38merge_sort_block_merge_config_selectorIhNS0_10empty_typeEEEZZNS1_27merge_sort_block_merge_implIS3_PhPS5_jNS1_19radix_merge_compareILb0ELb0EhNS0_19identity_decomposerEEEEE10hipError_tT0_T1_T2_jT3_P12ihipStream_tbPNSt15iterator_traitsISE_E10value_typeEPNSK_ISF_E10value_typeEPSG_NS1_7vsmem_tEENKUlT_SE_SF_SG_E_clIS8_S8_S9_S9_EESD_ST_SE_SF_SG_EUlST_E1_NS1_11comp_targetILNS1_3genE2ELNS1_11target_archE906ELNS1_3gpuE6ELNS1_3repE0EEENS1_36merge_oddeven_config_static_selectorELNS0_4arch9wavefront6targetE1EEEvSF_: ; @_ZN7rocprim17ROCPRIM_400000_NS6detail17trampoline_kernelINS0_14default_configENS1_38merge_sort_block_merge_config_selectorIhNS0_10empty_typeEEEZZNS1_27merge_sort_block_merge_implIS3_PhPS5_jNS1_19radix_merge_compareILb0ELb0EhNS0_19identity_decomposerEEEEE10hipError_tT0_T1_T2_jT3_P12ihipStream_tbPNSt15iterator_traitsISE_E10value_typeEPNSK_ISF_E10value_typeEPSG_NS1_7vsmem_tEENKUlT_SE_SF_SG_E_clIS8_S8_S9_S9_EESD_ST_SE_SF_SG_EUlST_E1_NS1_11comp_targetILNS1_3genE2ELNS1_11target_archE906ELNS1_3gpuE6ELNS1_3repE0EEENS1_36merge_oddeven_config_static_selectorELNS0_4arch9wavefront6targetE1EEEvSF_
; %bb.0:
	.section	.rodata,"a",@progbits
	.p2align	6, 0x0
	.amdhsa_kernel _ZN7rocprim17ROCPRIM_400000_NS6detail17trampoline_kernelINS0_14default_configENS1_38merge_sort_block_merge_config_selectorIhNS0_10empty_typeEEEZZNS1_27merge_sort_block_merge_implIS3_PhPS5_jNS1_19radix_merge_compareILb0ELb0EhNS0_19identity_decomposerEEEEE10hipError_tT0_T1_T2_jT3_P12ihipStream_tbPNSt15iterator_traitsISE_E10value_typeEPNSK_ISF_E10value_typeEPSG_NS1_7vsmem_tEENKUlT_SE_SF_SG_E_clIS8_S8_S9_S9_EESD_ST_SE_SF_SG_EUlST_E1_NS1_11comp_targetILNS1_3genE2ELNS1_11target_archE906ELNS1_3gpuE6ELNS1_3repE0EEENS1_36merge_oddeven_config_static_selectorELNS0_4arch9wavefront6targetE1EEEvSF_
		.amdhsa_group_segment_fixed_size 0
		.amdhsa_private_segment_fixed_size 0
		.amdhsa_kernarg_size 48
		.amdhsa_user_sgpr_count 6
		.amdhsa_user_sgpr_private_segment_buffer 1
		.amdhsa_user_sgpr_dispatch_ptr 0
		.amdhsa_user_sgpr_queue_ptr 0
		.amdhsa_user_sgpr_kernarg_segment_ptr 1
		.amdhsa_user_sgpr_dispatch_id 0
		.amdhsa_user_sgpr_flat_scratch_init 0
		.amdhsa_user_sgpr_kernarg_preload_length 0
		.amdhsa_user_sgpr_kernarg_preload_offset 0
		.amdhsa_user_sgpr_private_segment_size 0
		.amdhsa_uses_dynamic_stack 0
		.amdhsa_system_sgpr_private_segment_wavefront_offset 0
		.amdhsa_system_sgpr_workgroup_id_x 1
		.amdhsa_system_sgpr_workgroup_id_y 0
		.amdhsa_system_sgpr_workgroup_id_z 0
		.amdhsa_system_sgpr_workgroup_info 0
		.amdhsa_system_vgpr_workitem_id 0
		.amdhsa_next_free_vgpr 1
		.amdhsa_next_free_sgpr 0
		.amdhsa_accum_offset 4
		.amdhsa_reserve_vcc 0
		.amdhsa_reserve_flat_scratch 0
		.amdhsa_float_round_mode_32 0
		.amdhsa_float_round_mode_16_64 0
		.amdhsa_float_denorm_mode_32 3
		.amdhsa_float_denorm_mode_16_64 3
		.amdhsa_dx10_clamp 1
		.amdhsa_ieee_mode 1
		.amdhsa_fp16_overflow 0
		.amdhsa_tg_split 0
		.amdhsa_exception_fp_ieee_invalid_op 0
		.amdhsa_exception_fp_denorm_src 0
		.amdhsa_exception_fp_ieee_div_zero 0
		.amdhsa_exception_fp_ieee_overflow 0
		.amdhsa_exception_fp_ieee_underflow 0
		.amdhsa_exception_fp_ieee_inexact 0
		.amdhsa_exception_int_div_zero 0
	.end_amdhsa_kernel
	.section	.text._ZN7rocprim17ROCPRIM_400000_NS6detail17trampoline_kernelINS0_14default_configENS1_38merge_sort_block_merge_config_selectorIhNS0_10empty_typeEEEZZNS1_27merge_sort_block_merge_implIS3_PhPS5_jNS1_19radix_merge_compareILb0ELb0EhNS0_19identity_decomposerEEEEE10hipError_tT0_T1_T2_jT3_P12ihipStream_tbPNSt15iterator_traitsISE_E10value_typeEPNSK_ISF_E10value_typeEPSG_NS1_7vsmem_tEENKUlT_SE_SF_SG_E_clIS8_S8_S9_S9_EESD_ST_SE_SF_SG_EUlST_E1_NS1_11comp_targetILNS1_3genE2ELNS1_11target_archE906ELNS1_3gpuE6ELNS1_3repE0EEENS1_36merge_oddeven_config_static_selectorELNS0_4arch9wavefront6targetE1EEEvSF_,"axG",@progbits,_ZN7rocprim17ROCPRIM_400000_NS6detail17trampoline_kernelINS0_14default_configENS1_38merge_sort_block_merge_config_selectorIhNS0_10empty_typeEEEZZNS1_27merge_sort_block_merge_implIS3_PhPS5_jNS1_19radix_merge_compareILb0ELb0EhNS0_19identity_decomposerEEEEE10hipError_tT0_T1_T2_jT3_P12ihipStream_tbPNSt15iterator_traitsISE_E10value_typeEPNSK_ISF_E10value_typeEPSG_NS1_7vsmem_tEENKUlT_SE_SF_SG_E_clIS8_S8_S9_S9_EESD_ST_SE_SF_SG_EUlST_E1_NS1_11comp_targetILNS1_3genE2ELNS1_11target_archE906ELNS1_3gpuE6ELNS1_3repE0EEENS1_36merge_oddeven_config_static_selectorELNS0_4arch9wavefront6targetE1EEEvSF_,comdat
.Lfunc_end267:
	.size	_ZN7rocprim17ROCPRIM_400000_NS6detail17trampoline_kernelINS0_14default_configENS1_38merge_sort_block_merge_config_selectorIhNS0_10empty_typeEEEZZNS1_27merge_sort_block_merge_implIS3_PhPS5_jNS1_19radix_merge_compareILb0ELb0EhNS0_19identity_decomposerEEEEE10hipError_tT0_T1_T2_jT3_P12ihipStream_tbPNSt15iterator_traitsISE_E10value_typeEPNSK_ISF_E10value_typeEPSG_NS1_7vsmem_tEENKUlT_SE_SF_SG_E_clIS8_S8_S9_S9_EESD_ST_SE_SF_SG_EUlST_E1_NS1_11comp_targetILNS1_3genE2ELNS1_11target_archE906ELNS1_3gpuE6ELNS1_3repE0EEENS1_36merge_oddeven_config_static_selectorELNS0_4arch9wavefront6targetE1EEEvSF_, .Lfunc_end267-_ZN7rocprim17ROCPRIM_400000_NS6detail17trampoline_kernelINS0_14default_configENS1_38merge_sort_block_merge_config_selectorIhNS0_10empty_typeEEEZZNS1_27merge_sort_block_merge_implIS3_PhPS5_jNS1_19radix_merge_compareILb0ELb0EhNS0_19identity_decomposerEEEEE10hipError_tT0_T1_T2_jT3_P12ihipStream_tbPNSt15iterator_traitsISE_E10value_typeEPNSK_ISF_E10value_typeEPSG_NS1_7vsmem_tEENKUlT_SE_SF_SG_E_clIS8_S8_S9_S9_EESD_ST_SE_SF_SG_EUlST_E1_NS1_11comp_targetILNS1_3genE2ELNS1_11target_archE906ELNS1_3gpuE6ELNS1_3repE0EEENS1_36merge_oddeven_config_static_selectorELNS0_4arch9wavefront6targetE1EEEvSF_
                                        ; -- End function
	.section	.AMDGPU.csdata,"",@progbits
; Kernel info:
; codeLenInByte = 0
; NumSgprs: 4
; NumVgprs: 0
; NumAgprs: 0
; TotalNumVgprs: 0
; ScratchSize: 0
; MemoryBound: 0
; FloatMode: 240
; IeeeMode: 1
; LDSByteSize: 0 bytes/workgroup (compile time only)
; SGPRBlocks: 0
; VGPRBlocks: 0
; NumSGPRsForWavesPerEU: 4
; NumVGPRsForWavesPerEU: 1
; AccumOffset: 4
; Occupancy: 8
; WaveLimiterHint : 0
; COMPUTE_PGM_RSRC2:SCRATCH_EN: 0
; COMPUTE_PGM_RSRC2:USER_SGPR: 6
; COMPUTE_PGM_RSRC2:TRAP_HANDLER: 0
; COMPUTE_PGM_RSRC2:TGID_X_EN: 1
; COMPUTE_PGM_RSRC2:TGID_Y_EN: 0
; COMPUTE_PGM_RSRC2:TGID_Z_EN: 0
; COMPUTE_PGM_RSRC2:TIDIG_COMP_CNT: 0
; COMPUTE_PGM_RSRC3_GFX90A:ACCUM_OFFSET: 0
; COMPUTE_PGM_RSRC3_GFX90A:TG_SPLIT: 0
	.section	.text._ZN7rocprim17ROCPRIM_400000_NS6detail17trampoline_kernelINS0_14default_configENS1_38merge_sort_block_merge_config_selectorIhNS0_10empty_typeEEEZZNS1_27merge_sort_block_merge_implIS3_PhPS5_jNS1_19radix_merge_compareILb0ELb0EhNS0_19identity_decomposerEEEEE10hipError_tT0_T1_T2_jT3_P12ihipStream_tbPNSt15iterator_traitsISE_E10value_typeEPNSK_ISF_E10value_typeEPSG_NS1_7vsmem_tEENKUlT_SE_SF_SG_E_clIS8_S8_S9_S9_EESD_ST_SE_SF_SG_EUlST_E1_NS1_11comp_targetILNS1_3genE9ELNS1_11target_archE1100ELNS1_3gpuE3ELNS1_3repE0EEENS1_36merge_oddeven_config_static_selectorELNS0_4arch9wavefront6targetE1EEEvSF_,"axG",@progbits,_ZN7rocprim17ROCPRIM_400000_NS6detail17trampoline_kernelINS0_14default_configENS1_38merge_sort_block_merge_config_selectorIhNS0_10empty_typeEEEZZNS1_27merge_sort_block_merge_implIS3_PhPS5_jNS1_19radix_merge_compareILb0ELb0EhNS0_19identity_decomposerEEEEE10hipError_tT0_T1_T2_jT3_P12ihipStream_tbPNSt15iterator_traitsISE_E10value_typeEPNSK_ISF_E10value_typeEPSG_NS1_7vsmem_tEENKUlT_SE_SF_SG_E_clIS8_S8_S9_S9_EESD_ST_SE_SF_SG_EUlST_E1_NS1_11comp_targetILNS1_3genE9ELNS1_11target_archE1100ELNS1_3gpuE3ELNS1_3repE0EEENS1_36merge_oddeven_config_static_selectorELNS0_4arch9wavefront6targetE1EEEvSF_,comdat
	.protected	_ZN7rocprim17ROCPRIM_400000_NS6detail17trampoline_kernelINS0_14default_configENS1_38merge_sort_block_merge_config_selectorIhNS0_10empty_typeEEEZZNS1_27merge_sort_block_merge_implIS3_PhPS5_jNS1_19radix_merge_compareILb0ELb0EhNS0_19identity_decomposerEEEEE10hipError_tT0_T1_T2_jT3_P12ihipStream_tbPNSt15iterator_traitsISE_E10value_typeEPNSK_ISF_E10value_typeEPSG_NS1_7vsmem_tEENKUlT_SE_SF_SG_E_clIS8_S8_S9_S9_EESD_ST_SE_SF_SG_EUlST_E1_NS1_11comp_targetILNS1_3genE9ELNS1_11target_archE1100ELNS1_3gpuE3ELNS1_3repE0EEENS1_36merge_oddeven_config_static_selectorELNS0_4arch9wavefront6targetE1EEEvSF_ ; -- Begin function _ZN7rocprim17ROCPRIM_400000_NS6detail17trampoline_kernelINS0_14default_configENS1_38merge_sort_block_merge_config_selectorIhNS0_10empty_typeEEEZZNS1_27merge_sort_block_merge_implIS3_PhPS5_jNS1_19radix_merge_compareILb0ELb0EhNS0_19identity_decomposerEEEEE10hipError_tT0_T1_T2_jT3_P12ihipStream_tbPNSt15iterator_traitsISE_E10value_typeEPNSK_ISF_E10value_typeEPSG_NS1_7vsmem_tEENKUlT_SE_SF_SG_E_clIS8_S8_S9_S9_EESD_ST_SE_SF_SG_EUlST_E1_NS1_11comp_targetILNS1_3genE9ELNS1_11target_archE1100ELNS1_3gpuE3ELNS1_3repE0EEENS1_36merge_oddeven_config_static_selectorELNS0_4arch9wavefront6targetE1EEEvSF_
	.globl	_ZN7rocprim17ROCPRIM_400000_NS6detail17trampoline_kernelINS0_14default_configENS1_38merge_sort_block_merge_config_selectorIhNS0_10empty_typeEEEZZNS1_27merge_sort_block_merge_implIS3_PhPS5_jNS1_19radix_merge_compareILb0ELb0EhNS0_19identity_decomposerEEEEE10hipError_tT0_T1_T2_jT3_P12ihipStream_tbPNSt15iterator_traitsISE_E10value_typeEPNSK_ISF_E10value_typeEPSG_NS1_7vsmem_tEENKUlT_SE_SF_SG_E_clIS8_S8_S9_S9_EESD_ST_SE_SF_SG_EUlST_E1_NS1_11comp_targetILNS1_3genE9ELNS1_11target_archE1100ELNS1_3gpuE3ELNS1_3repE0EEENS1_36merge_oddeven_config_static_selectorELNS0_4arch9wavefront6targetE1EEEvSF_
	.p2align	8
	.type	_ZN7rocprim17ROCPRIM_400000_NS6detail17trampoline_kernelINS0_14default_configENS1_38merge_sort_block_merge_config_selectorIhNS0_10empty_typeEEEZZNS1_27merge_sort_block_merge_implIS3_PhPS5_jNS1_19radix_merge_compareILb0ELb0EhNS0_19identity_decomposerEEEEE10hipError_tT0_T1_T2_jT3_P12ihipStream_tbPNSt15iterator_traitsISE_E10value_typeEPNSK_ISF_E10value_typeEPSG_NS1_7vsmem_tEENKUlT_SE_SF_SG_E_clIS8_S8_S9_S9_EESD_ST_SE_SF_SG_EUlST_E1_NS1_11comp_targetILNS1_3genE9ELNS1_11target_archE1100ELNS1_3gpuE3ELNS1_3repE0EEENS1_36merge_oddeven_config_static_selectorELNS0_4arch9wavefront6targetE1EEEvSF_,@function
_ZN7rocprim17ROCPRIM_400000_NS6detail17trampoline_kernelINS0_14default_configENS1_38merge_sort_block_merge_config_selectorIhNS0_10empty_typeEEEZZNS1_27merge_sort_block_merge_implIS3_PhPS5_jNS1_19radix_merge_compareILb0ELb0EhNS0_19identity_decomposerEEEEE10hipError_tT0_T1_T2_jT3_P12ihipStream_tbPNSt15iterator_traitsISE_E10value_typeEPNSK_ISF_E10value_typeEPSG_NS1_7vsmem_tEENKUlT_SE_SF_SG_E_clIS8_S8_S9_S9_EESD_ST_SE_SF_SG_EUlST_E1_NS1_11comp_targetILNS1_3genE9ELNS1_11target_archE1100ELNS1_3gpuE3ELNS1_3repE0EEENS1_36merge_oddeven_config_static_selectorELNS0_4arch9wavefront6targetE1EEEvSF_: ; @_ZN7rocprim17ROCPRIM_400000_NS6detail17trampoline_kernelINS0_14default_configENS1_38merge_sort_block_merge_config_selectorIhNS0_10empty_typeEEEZZNS1_27merge_sort_block_merge_implIS3_PhPS5_jNS1_19radix_merge_compareILb0ELb0EhNS0_19identity_decomposerEEEEE10hipError_tT0_T1_T2_jT3_P12ihipStream_tbPNSt15iterator_traitsISE_E10value_typeEPNSK_ISF_E10value_typeEPSG_NS1_7vsmem_tEENKUlT_SE_SF_SG_E_clIS8_S8_S9_S9_EESD_ST_SE_SF_SG_EUlST_E1_NS1_11comp_targetILNS1_3genE9ELNS1_11target_archE1100ELNS1_3gpuE3ELNS1_3repE0EEENS1_36merge_oddeven_config_static_selectorELNS0_4arch9wavefront6targetE1EEEvSF_
; %bb.0:
	.section	.rodata,"a",@progbits
	.p2align	6, 0x0
	.amdhsa_kernel _ZN7rocprim17ROCPRIM_400000_NS6detail17trampoline_kernelINS0_14default_configENS1_38merge_sort_block_merge_config_selectorIhNS0_10empty_typeEEEZZNS1_27merge_sort_block_merge_implIS3_PhPS5_jNS1_19radix_merge_compareILb0ELb0EhNS0_19identity_decomposerEEEEE10hipError_tT0_T1_T2_jT3_P12ihipStream_tbPNSt15iterator_traitsISE_E10value_typeEPNSK_ISF_E10value_typeEPSG_NS1_7vsmem_tEENKUlT_SE_SF_SG_E_clIS8_S8_S9_S9_EESD_ST_SE_SF_SG_EUlST_E1_NS1_11comp_targetILNS1_3genE9ELNS1_11target_archE1100ELNS1_3gpuE3ELNS1_3repE0EEENS1_36merge_oddeven_config_static_selectorELNS0_4arch9wavefront6targetE1EEEvSF_
		.amdhsa_group_segment_fixed_size 0
		.amdhsa_private_segment_fixed_size 0
		.amdhsa_kernarg_size 48
		.amdhsa_user_sgpr_count 6
		.amdhsa_user_sgpr_private_segment_buffer 1
		.amdhsa_user_sgpr_dispatch_ptr 0
		.amdhsa_user_sgpr_queue_ptr 0
		.amdhsa_user_sgpr_kernarg_segment_ptr 1
		.amdhsa_user_sgpr_dispatch_id 0
		.amdhsa_user_sgpr_flat_scratch_init 0
		.amdhsa_user_sgpr_kernarg_preload_length 0
		.amdhsa_user_sgpr_kernarg_preload_offset 0
		.amdhsa_user_sgpr_private_segment_size 0
		.amdhsa_uses_dynamic_stack 0
		.amdhsa_system_sgpr_private_segment_wavefront_offset 0
		.amdhsa_system_sgpr_workgroup_id_x 1
		.amdhsa_system_sgpr_workgroup_id_y 0
		.amdhsa_system_sgpr_workgroup_id_z 0
		.amdhsa_system_sgpr_workgroup_info 0
		.amdhsa_system_vgpr_workitem_id 0
		.amdhsa_next_free_vgpr 1
		.amdhsa_next_free_sgpr 0
		.amdhsa_accum_offset 4
		.amdhsa_reserve_vcc 0
		.amdhsa_reserve_flat_scratch 0
		.amdhsa_float_round_mode_32 0
		.amdhsa_float_round_mode_16_64 0
		.amdhsa_float_denorm_mode_32 3
		.amdhsa_float_denorm_mode_16_64 3
		.amdhsa_dx10_clamp 1
		.amdhsa_ieee_mode 1
		.amdhsa_fp16_overflow 0
		.amdhsa_tg_split 0
		.amdhsa_exception_fp_ieee_invalid_op 0
		.amdhsa_exception_fp_denorm_src 0
		.amdhsa_exception_fp_ieee_div_zero 0
		.amdhsa_exception_fp_ieee_overflow 0
		.amdhsa_exception_fp_ieee_underflow 0
		.amdhsa_exception_fp_ieee_inexact 0
		.amdhsa_exception_int_div_zero 0
	.end_amdhsa_kernel
	.section	.text._ZN7rocprim17ROCPRIM_400000_NS6detail17trampoline_kernelINS0_14default_configENS1_38merge_sort_block_merge_config_selectorIhNS0_10empty_typeEEEZZNS1_27merge_sort_block_merge_implIS3_PhPS5_jNS1_19radix_merge_compareILb0ELb0EhNS0_19identity_decomposerEEEEE10hipError_tT0_T1_T2_jT3_P12ihipStream_tbPNSt15iterator_traitsISE_E10value_typeEPNSK_ISF_E10value_typeEPSG_NS1_7vsmem_tEENKUlT_SE_SF_SG_E_clIS8_S8_S9_S9_EESD_ST_SE_SF_SG_EUlST_E1_NS1_11comp_targetILNS1_3genE9ELNS1_11target_archE1100ELNS1_3gpuE3ELNS1_3repE0EEENS1_36merge_oddeven_config_static_selectorELNS0_4arch9wavefront6targetE1EEEvSF_,"axG",@progbits,_ZN7rocprim17ROCPRIM_400000_NS6detail17trampoline_kernelINS0_14default_configENS1_38merge_sort_block_merge_config_selectorIhNS0_10empty_typeEEEZZNS1_27merge_sort_block_merge_implIS3_PhPS5_jNS1_19radix_merge_compareILb0ELb0EhNS0_19identity_decomposerEEEEE10hipError_tT0_T1_T2_jT3_P12ihipStream_tbPNSt15iterator_traitsISE_E10value_typeEPNSK_ISF_E10value_typeEPSG_NS1_7vsmem_tEENKUlT_SE_SF_SG_E_clIS8_S8_S9_S9_EESD_ST_SE_SF_SG_EUlST_E1_NS1_11comp_targetILNS1_3genE9ELNS1_11target_archE1100ELNS1_3gpuE3ELNS1_3repE0EEENS1_36merge_oddeven_config_static_selectorELNS0_4arch9wavefront6targetE1EEEvSF_,comdat
.Lfunc_end268:
	.size	_ZN7rocprim17ROCPRIM_400000_NS6detail17trampoline_kernelINS0_14default_configENS1_38merge_sort_block_merge_config_selectorIhNS0_10empty_typeEEEZZNS1_27merge_sort_block_merge_implIS3_PhPS5_jNS1_19radix_merge_compareILb0ELb0EhNS0_19identity_decomposerEEEEE10hipError_tT0_T1_T2_jT3_P12ihipStream_tbPNSt15iterator_traitsISE_E10value_typeEPNSK_ISF_E10value_typeEPSG_NS1_7vsmem_tEENKUlT_SE_SF_SG_E_clIS8_S8_S9_S9_EESD_ST_SE_SF_SG_EUlST_E1_NS1_11comp_targetILNS1_3genE9ELNS1_11target_archE1100ELNS1_3gpuE3ELNS1_3repE0EEENS1_36merge_oddeven_config_static_selectorELNS0_4arch9wavefront6targetE1EEEvSF_, .Lfunc_end268-_ZN7rocprim17ROCPRIM_400000_NS6detail17trampoline_kernelINS0_14default_configENS1_38merge_sort_block_merge_config_selectorIhNS0_10empty_typeEEEZZNS1_27merge_sort_block_merge_implIS3_PhPS5_jNS1_19radix_merge_compareILb0ELb0EhNS0_19identity_decomposerEEEEE10hipError_tT0_T1_T2_jT3_P12ihipStream_tbPNSt15iterator_traitsISE_E10value_typeEPNSK_ISF_E10value_typeEPSG_NS1_7vsmem_tEENKUlT_SE_SF_SG_E_clIS8_S8_S9_S9_EESD_ST_SE_SF_SG_EUlST_E1_NS1_11comp_targetILNS1_3genE9ELNS1_11target_archE1100ELNS1_3gpuE3ELNS1_3repE0EEENS1_36merge_oddeven_config_static_selectorELNS0_4arch9wavefront6targetE1EEEvSF_
                                        ; -- End function
	.section	.AMDGPU.csdata,"",@progbits
; Kernel info:
; codeLenInByte = 0
; NumSgprs: 4
; NumVgprs: 0
; NumAgprs: 0
; TotalNumVgprs: 0
; ScratchSize: 0
; MemoryBound: 0
; FloatMode: 240
; IeeeMode: 1
; LDSByteSize: 0 bytes/workgroup (compile time only)
; SGPRBlocks: 0
; VGPRBlocks: 0
; NumSGPRsForWavesPerEU: 4
; NumVGPRsForWavesPerEU: 1
; AccumOffset: 4
; Occupancy: 8
; WaveLimiterHint : 0
; COMPUTE_PGM_RSRC2:SCRATCH_EN: 0
; COMPUTE_PGM_RSRC2:USER_SGPR: 6
; COMPUTE_PGM_RSRC2:TRAP_HANDLER: 0
; COMPUTE_PGM_RSRC2:TGID_X_EN: 1
; COMPUTE_PGM_RSRC2:TGID_Y_EN: 0
; COMPUTE_PGM_RSRC2:TGID_Z_EN: 0
; COMPUTE_PGM_RSRC2:TIDIG_COMP_CNT: 0
; COMPUTE_PGM_RSRC3_GFX90A:ACCUM_OFFSET: 0
; COMPUTE_PGM_RSRC3_GFX90A:TG_SPLIT: 0
	.section	.text._ZN7rocprim17ROCPRIM_400000_NS6detail17trampoline_kernelINS0_14default_configENS1_38merge_sort_block_merge_config_selectorIhNS0_10empty_typeEEEZZNS1_27merge_sort_block_merge_implIS3_PhPS5_jNS1_19radix_merge_compareILb0ELb0EhNS0_19identity_decomposerEEEEE10hipError_tT0_T1_T2_jT3_P12ihipStream_tbPNSt15iterator_traitsISE_E10value_typeEPNSK_ISF_E10value_typeEPSG_NS1_7vsmem_tEENKUlT_SE_SF_SG_E_clIS8_S8_S9_S9_EESD_ST_SE_SF_SG_EUlST_E1_NS1_11comp_targetILNS1_3genE8ELNS1_11target_archE1030ELNS1_3gpuE2ELNS1_3repE0EEENS1_36merge_oddeven_config_static_selectorELNS0_4arch9wavefront6targetE1EEEvSF_,"axG",@progbits,_ZN7rocprim17ROCPRIM_400000_NS6detail17trampoline_kernelINS0_14default_configENS1_38merge_sort_block_merge_config_selectorIhNS0_10empty_typeEEEZZNS1_27merge_sort_block_merge_implIS3_PhPS5_jNS1_19radix_merge_compareILb0ELb0EhNS0_19identity_decomposerEEEEE10hipError_tT0_T1_T2_jT3_P12ihipStream_tbPNSt15iterator_traitsISE_E10value_typeEPNSK_ISF_E10value_typeEPSG_NS1_7vsmem_tEENKUlT_SE_SF_SG_E_clIS8_S8_S9_S9_EESD_ST_SE_SF_SG_EUlST_E1_NS1_11comp_targetILNS1_3genE8ELNS1_11target_archE1030ELNS1_3gpuE2ELNS1_3repE0EEENS1_36merge_oddeven_config_static_selectorELNS0_4arch9wavefront6targetE1EEEvSF_,comdat
	.protected	_ZN7rocprim17ROCPRIM_400000_NS6detail17trampoline_kernelINS0_14default_configENS1_38merge_sort_block_merge_config_selectorIhNS0_10empty_typeEEEZZNS1_27merge_sort_block_merge_implIS3_PhPS5_jNS1_19radix_merge_compareILb0ELb0EhNS0_19identity_decomposerEEEEE10hipError_tT0_T1_T2_jT3_P12ihipStream_tbPNSt15iterator_traitsISE_E10value_typeEPNSK_ISF_E10value_typeEPSG_NS1_7vsmem_tEENKUlT_SE_SF_SG_E_clIS8_S8_S9_S9_EESD_ST_SE_SF_SG_EUlST_E1_NS1_11comp_targetILNS1_3genE8ELNS1_11target_archE1030ELNS1_3gpuE2ELNS1_3repE0EEENS1_36merge_oddeven_config_static_selectorELNS0_4arch9wavefront6targetE1EEEvSF_ ; -- Begin function _ZN7rocprim17ROCPRIM_400000_NS6detail17trampoline_kernelINS0_14default_configENS1_38merge_sort_block_merge_config_selectorIhNS0_10empty_typeEEEZZNS1_27merge_sort_block_merge_implIS3_PhPS5_jNS1_19radix_merge_compareILb0ELb0EhNS0_19identity_decomposerEEEEE10hipError_tT0_T1_T2_jT3_P12ihipStream_tbPNSt15iterator_traitsISE_E10value_typeEPNSK_ISF_E10value_typeEPSG_NS1_7vsmem_tEENKUlT_SE_SF_SG_E_clIS8_S8_S9_S9_EESD_ST_SE_SF_SG_EUlST_E1_NS1_11comp_targetILNS1_3genE8ELNS1_11target_archE1030ELNS1_3gpuE2ELNS1_3repE0EEENS1_36merge_oddeven_config_static_selectorELNS0_4arch9wavefront6targetE1EEEvSF_
	.globl	_ZN7rocprim17ROCPRIM_400000_NS6detail17trampoline_kernelINS0_14default_configENS1_38merge_sort_block_merge_config_selectorIhNS0_10empty_typeEEEZZNS1_27merge_sort_block_merge_implIS3_PhPS5_jNS1_19radix_merge_compareILb0ELb0EhNS0_19identity_decomposerEEEEE10hipError_tT0_T1_T2_jT3_P12ihipStream_tbPNSt15iterator_traitsISE_E10value_typeEPNSK_ISF_E10value_typeEPSG_NS1_7vsmem_tEENKUlT_SE_SF_SG_E_clIS8_S8_S9_S9_EESD_ST_SE_SF_SG_EUlST_E1_NS1_11comp_targetILNS1_3genE8ELNS1_11target_archE1030ELNS1_3gpuE2ELNS1_3repE0EEENS1_36merge_oddeven_config_static_selectorELNS0_4arch9wavefront6targetE1EEEvSF_
	.p2align	8
	.type	_ZN7rocprim17ROCPRIM_400000_NS6detail17trampoline_kernelINS0_14default_configENS1_38merge_sort_block_merge_config_selectorIhNS0_10empty_typeEEEZZNS1_27merge_sort_block_merge_implIS3_PhPS5_jNS1_19radix_merge_compareILb0ELb0EhNS0_19identity_decomposerEEEEE10hipError_tT0_T1_T2_jT3_P12ihipStream_tbPNSt15iterator_traitsISE_E10value_typeEPNSK_ISF_E10value_typeEPSG_NS1_7vsmem_tEENKUlT_SE_SF_SG_E_clIS8_S8_S9_S9_EESD_ST_SE_SF_SG_EUlST_E1_NS1_11comp_targetILNS1_3genE8ELNS1_11target_archE1030ELNS1_3gpuE2ELNS1_3repE0EEENS1_36merge_oddeven_config_static_selectorELNS0_4arch9wavefront6targetE1EEEvSF_,@function
_ZN7rocprim17ROCPRIM_400000_NS6detail17trampoline_kernelINS0_14default_configENS1_38merge_sort_block_merge_config_selectorIhNS0_10empty_typeEEEZZNS1_27merge_sort_block_merge_implIS3_PhPS5_jNS1_19radix_merge_compareILb0ELb0EhNS0_19identity_decomposerEEEEE10hipError_tT0_T1_T2_jT3_P12ihipStream_tbPNSt15iterator_traitsISE_E10value_typeEPNSK_ISF_E10value_typeEPSG_NS1_7vsmem_tEENKUlT_SE_SF_SG_E_clIS8_S8_S9_S9_EESD_ST_SE_SF_SG_EUlST_E1_NS1_11comp_targetILNS1_3genE8ELNS1_11target_archE1030ELNS1_3gpuE2ELNS1_3repE0EEENS1_36merge_oddeven_config_static_selectorELNS0_4arch9wavefront6targetE1EEEvSF_: ; @_ZN7rocprim17ROCPRIM_400000_NS6detail17trampoline_kernelINS0_14default_configENS1_38merge_sort_block_merge_config_selectorIhNS0_10empty_typeEEEZZNS1_27merge_sort_block_merge_implIS3_PhPS5_jNS1_19radix_merge_compareILb0ELb0EhNS0_19identity_decomposerEEEEE10hipError_tT0_T1_T2_jT3_P12ihipStream_tbPNSt15iterator_traitsISE_E10value_typeEPNSK_ISF_E10value_typeEPSG_NS1_7vsmem_tEENKUlT_SE_SF_SG_E_clIS8_S8_S9_S9_EESD_ST_SE_SF_SG_EUlST_E1_NS1_11comp_targetILNS1_3genE8ELNS1_11target_archE1030ELNS1_3gpuE2ELNS1_3repE0EEENS1_36merge_oddeven_config_static_selectorELNS0_4arch9wavefront6targetE1EEEvSF_
; %bb.0:
	.section	.rodata,"a",@progbits
	.p2align	6, 0x0
	.amdhsa_kernel _ZN7rocprim17ROCPRIM_400000_NS6detail17trampoline_kernelINS0_14default_configENS1_38merge_sort_block_merge_config_selectorIhNS0_10empty_typeEEEZZNS1_27merge_sort_block_merge_implIS3_PhPS5_jNS1_19radix_merge_compareILb0ELb0EhNS0_19identity_decomposerEEEEE10hipError_tT0_T1_T2_jT3_P12ihipStream_tbPNSt15iterator_traitsISE_E10value_typeEPNSK_ISF_E10value_typeEPSG_NS1_7vsmem_tEENKUlT_SE_SF_SG_E_clIS8_S8_S9_S9_EESD_ST_SE_SF_SG_EUlST_E1_NS1_11comp_targetILNS1_3genE8ELNS1_11target_archE1030ELNS1_3gpuE2ELNS1_3repE0EEENS1_36merge_oddeven_config_static_selectorELNS0_4arch9wavefront6targetE1EEEvSF_
		.amdhsa_group_segment_fixed_size 0
		.amdhsa_private_segment_fixed_size 0
		.amdhsa_kernarg_size 48
		.amdhsa_user_sgpr_count 6
		.amdhsa_user_sgpr_private_segment_buffer 1
		.amdhsa_user_sgpr_dispatch_ptr 0
		.amdhsa_user_sgpr_queue_ptr 0
		.amdhsa_user_sgpr_kernarg_segment_ptr 1
		.amdhsa_user_sgpr_dispatch_id 0
		.amdhsa_user_sgpr_flat_scratch_init 0
		.amdhsa_user_sgpr_kernarg_preload_length 0
		.amdhsa_user_sgpr_kernarg_preload_offset 0
		.amdhsa_user_sgpr_private_segment_size 0
		.amdhsa_uses_dynamic_stack 0
		.amdhsa_system_sgpr_private_segment_wavefront_offset 0
		.amdhsa_system_sgpr_workgroup_id_x 1
		.amdhsa_system_sgpr_workgroup_id_y 0
		.amdhsa_system_sgpr_workgroup_id_z 0
		.amdhsa_system_sgpr_workgroup_info 0
		.amdhsa_system_vgpr_workitem_id 0
		.amdhsa_next_free_vgpr 1
		.amdhsa_next_free_sgpr 0
		.amdhsa_accum_offset 4
		.amdhsa_reserve_vcc 0
		.amdhsa_reserve_flat_scratch 0
		.amdhsa_float_round_mode_32 0
		.amdhsa_float_round_mode_16_64 0
		.amdhsa_float_denorm_mode_32 3
		.amdhsa_float_denorm_mode_16_64 3
		.amdhsa_dx10_clamp 1
		.amdhsa_ieee_mode 1
		.amdhsa_fp16_overflow 0
		.amdhsa_tg_split 0
		.amdhsa_exception_fp_ieee_invalid_op 0
		.amdhsa_exception_fp_denorm_src 0
		.amdhsa_exception_fp_ieee_div_zero 0
		.amdhsa_exception_fp_ieee_overflow 0
		.amdhsa_exception_fp_ieee_underflow 0
		.amdhsa_exception_fp_ieee_inexact 0
		.amdhsa_exception_int_div_zero 0
	.end_amdhsa_kernel
	.section	.text._ZN7rocprim17ROCPRIM_400000_NS6detail17trampoline_kernelINS0_14default_configENS1_38merge_sort_block_merge_config_selectorIhNS0_10empty_typeEEEZZNS1_27merge_sort_block_merge_implIS3_PhPS5_jNS1_19radix_merge_compareILb0ELb0EhNS0_19identity_decomposerEEEEE10hipError_tT0_T1_T2_jT3_P12ihipStream_tbPNSt15iterator_traitsISE_E10value_typeEPNSK_ISF_E10value_typeEPSG_NS1_7vsmem_tEENKUlT_SE_SF_SG_E_clIS8_S8_S9_S9_EESD_ST_SE_SF_SG_EUlST_E1_NS1_11comp_targetILNS1_3genE8ELNS1_11target_archE1030ELNS1_3gpuE2ELNS1_3repE0EEENS1_36merge_oddeven_config_static_selectorELNS0_4arch9wavefront6targetE1EEEvSF_,"axG",@progbits,_ZN7rocprim17ROCPRIM_400000_NS6detail17trampoline_kernelINS0_14default_configENS1_38merge_sort_block_merge_config_selectorIhNS0_10empty_typeEEEZZNS1_27merge_sort_block_merge_implIS3_PhPS5_jNS1_19radix_merge_compareILb0ELb0EhNS0_19identity_decomposerEEEEE10hipError_tT0_T1_T2_jT3_P12ihipStream_tbPNSt15iterator_traitsISE_E10value_typeEPNSK_ISF_E10value_typeEPSG_NS1_7vsmem_tEENKUlT_SE_SF_SG_E_clIS8_S8_S9_S9_EESD_ST_SE_SF_SG_EUlST_E1_NS1_11comp_targetILNS1_3genE8ELNS1_11target_archE1030ELNS1_3gpuE2ELNS1_3repE0EEENS1_36merge_oddeven_config_static_selectorELNS0_4arch9wavefront6targetE1EEEvSF_,comdat
.Lfunc_end269:
	.size	_ZN7rocprim17ROCPRIM_400000_NS6detail17trampoline_kernelINS0_14default_configENS1_38merge_sort_block_merge_config_selectorIhNS0_10empty_typeEEEZZNS1_27merge_sort_block_merge_implIS3_PhPS5_jNS1_19radix_merge_compareILb0ELb0EhNS0_19identity_decomposerEEEEE10hipError_tT0_T1_T2_jT3_P12ihipStream_tbPNSt15iterator_traitsISE_E10value_typeEPNSK_ISF_E10value_typeEPSG_NS1_7vsmem_tEENKUlT_SE_SF_SG_E_clIS8_S8_S9_S9_EESD_ST_SE_SF_SG_EUlST_E1_NS1_11comp_targetILNS1_3genE8ELNS1_11target_archE1030ELNS1_3gpuE2ELNS1_3repE0EEENS1_36merge_oddeven_config_static_selectorELNS0_4arch9wavefront6targetE1EEEvSF_, .Lfunc_end269-_ZN7rocprim17ROCPRIM_400000_NS6detail17trampoline_kernelINS0_14default_configENS1_38merge_sort_block_merge_config_selectorIhNS0_10empty_typeEEEZZNS1_27merge_sort_block_merge_implIS3_PhPS5_jNS1_19radix_merge_compareILb0ELb0EhNS0_19identity_decomposerEEEEE10hipError_tT0_T1_T2_jT3_P12ihipStream_tbPNSt15iterator_traitsISE_E10value_typeEPNSK_ISF_E10value_typeEPSG_NS1_7vsmem_tEENKUlT_SE_SF_SG_E_clIS8_S8_S9_S9_EESD_ST_SE_SF_SG_EUlST_E1_NS1_11comp_targetILNS1_3genE8ELNS1_11target_archE1030ELNS1_3gpuE2ELNS1_3repE0EEENS1_36merge_oddeven_config_static_selectorELNS0_4arch9wavefront6targetE1EEEvSF_
                                        ; -- End function
	.section	.AMDGPU.csdata,"",@progbits
; Kernel info:
; codeLenInByte = 0
; NumSgprs: 4
; NumVgprs: 0
; NumAgprs: 0
; TotalNumVgprs: 0
; ScratchSize: 0
; MemoryBound: 0
; FloatMode: 240
; IeeeMode: 1
; LDSByteSize: 0 bytes/workgroup (compile time only)
; SGPRBlocks: 0
; VGPRBlocks: 0
; NumSGPRsForWavesPerEU: 4
; NumVGPRsForWavesPerEU: 1
; AccumOffset: 4
; Occupancy: 8
; WaveLimiterHint : 0
; COMPUTE_PGM_RSRC2:SCRATCH_EN: 0
; COMPUTE_PGM_RSRC2:USER_SGPR: 6
; COMPUTE_PGM_RSRC2:TRAP_HANDLER: 0
; COMPUTE_PGM_RSRC2:TGID_X_EN: 1
; COMPUTE_PGM_RSRC2:TGID_Y_EN: 0
; COMPUTE_PGM_RSRC2:TGID_Z_EN: 0
; COMPUTE_PGM_RSRC2:TIDIG_COMP_CNT: 0
; COMPUTE_PGM_RSRC3_GFX90A:ACCUM_OFFSET: 0
; COMPUTE_PGM_RSRC3_GFX90A:TG_SPLIT: 0
	.section	.text._ZN7rocprim17ROCPRIM_400000_NS6detail17trampoline_kernelINS0_14default_configENS1_25transform_config_selectorIhLb1EEEZNS1_14transform_implILb1ES3_S5_PhS7_NS0_8identityIhEEEE10hipError_tT2_T3_mT4_P12ihipStream_tbEUlT_E_NS1_11comp_targetILNS1_3genE0ELNS1_11target_archE4294967295ELNS1_3gpuE0ELNS1_3repE0EEENS1_30default_config_static_selectorELNS0_4arch9wavefront6targetE1EEEvT1_,"axG",@progbits,_ZN7rocprim17ROCPRIM_400000_NS6detail17trampoline_kernelINS0_14default_configENS1_25transform_config_selectorIhLb1EEEZNS1_14transform_implILb1ES3_S5_PhS7_NS0_8identityIhEEEE10hipError_tT2_T3_mT4_P12ihipStream_tbEUlT_E_NS1_11comp_targetILNS1_3genE0ELNS1_11target_archE4294967295ELNS1_3gpuE0ELNS1_3repE0EEENS1_30default_config_static_selectorELNS0_4arch9wavefront6targetE1EEEvT1_,comdat
	.protected	_ZN7rocprim17ROCPRIM_400000_NS6detail17trampoline_kernelINS0_14default_configENS1_25transform_config_selectorIhLb1EEEZNS1_14transform_implILb1ES3_S5_PhS7_NS0_8identityIhEEEE10hipError_tT2_T3_mT4_P12ihipStream_tbEUlT_E_NS1_11comp_targetILNS1_3genE0ELNS1_11target_archE4294967295ELNS1_3gpuE0ELNS1_3repE0EEENS1_30default_config_static_selectorELNS0_4arch9wavefront6targetE1EEEvT1_ ; -- Begin function _ZN7rocprim17ROCPRIM_400000_NS6detail17trampoline_kernelINS0_14default_configENS1_25transform_config_selectorIhLb1EEEZNS1_14transform_implILb1ES3_S5_PhS7_NS0_8identityIhEEEE10hipError_tT2_T3_mT4_P12ihipStream_tbEUlT_E_NS1_11comp_targetILNS1_3genE0ELNS1_11target_archE4294967295ELNS1_3gpuE0ELNS1_3repE0EEENS1_30default_config_static_selectorELNS0_4arch9wavefront6targetE1EEEvT1_
	.globl	_ZN7rocprim17ROCPRIM_400000_NS6detail17trampoline_kernelINS0_14default_configENS1_25transform_config_selectorIhLb1EEEZNS1_14transform_implILb1ES3_S5_PhS7_NS0_8identityIhEEEE10hipError_tT2_T3_mT4_P12ihipStream_tbEUlT_E_NS1_11comp_targetILNS1_3genE0ELNS1_11target_archE4294967295ELNS1_3gpuE0ELNS1_3repE0EEENS1_30default_config_static_selectorELNS0_4arch9wavefront6targetE1EEEvT1_
	.p2align	8
	.type	_ZN7rocprim17ROCPRIM_400000_NS6detail17trampoline_kernelINS0_14default_configENS1_25transform_config_selectorIhLb1EEEZNS1_14transform_implILb1ES3_S5_PhS7_NS0_8identityIhEEEE10hipError_tT2_T3_mT4_P12ihipStream_tbEUlT_E_NS1_11comp_targetILNS1_3genE0ELNS1_11target_archE4294967295ELNS1_3gpuE0ELNS1_3repE0EEENS1_30default_config_static_selectorELNS0_4arch9wavefront6targetE1EEEvT1_,@function
_ZN7rocprim17ROCPRIM_400000_NS6detail17trampoline_kernelINS0_14default_configENS1_25transform_config_selectorIhLb1EEEZNS1_14transform_implILb1ES3_S5_PhS7_NS0_8identityIhEEEE10hipError_tT2_T3_mT4_P12ihipStream_tbEUlT_E_NS1_11comp_targetILNS1_3genE0ELNS1_11target_archE4294967295ELNS1_3gpuE0ELNS1_3repE0EEENS1_30default_config_static_selectorELNS0_4arch9wavefront6targetE1EEEvT1_: ; @_ZN7rocprim17ROCPRIM_400000_NS6detail17trampoline_kernelINS0_14default_configENS1_25transform_config_selectorIhLb1EEEZNS1_14transform_implILb1ES3_S5_PhS7_NS0_8identityIhEEEE10hipError_tT2_T3_mT4_P12ihipStream_tbEUlT_E_NS1_11comp_targetILNS1_3genE0ELNS1_11target_archE4294967295ELNS1_3gpuE0ELNS1_3repE0EEENS1_30default_config_static_selectorELNS0_4arch9wavefront6targetE1EEEvT1_
; %bb.0:
	.section	.rodata,"a",@progbits
	.p2align	6, 0x0
	.amdhsa_kernel _ZN7rocprim17ROCPRIM_400000_NS6detail17trampoline_kernelINS0_14default_configENS1_25transform_config_selectorIhLb1EEEZNS1_14transform_implILb1ES3_S5_PhS7_NS0_8identityIhEEEE10hipError_tT2_T3_mT4_P12ihipStream_tbEUlT_E_NS1_11comp_targetILNS1_3genE0ELNS1_11target_archE4294967295ELNS1_3gpuE0ELNS1_3repE0EEENS1_30default_config_static_selectorELNS0_4arch9wavefront6targetE1EEEvT1_
		.amdhsa_group_segment_fixed_size 0
		.amdhsa_private_segment_fixed_size 0
		.amdhsa_kernarg_size 40
		.amdhsa_user_sgpr_count 6
		.amdhsa_user_sgpr_private_segment_buffer 1
		.amdhsa_user_sgpr_dispatch_ptr 0
		.amdhsa_user_sgpr_queue_ptr 0
		.amdhsa_user_sgpr_kernarg_segment_ptr 1
		.amdhsa_user_sgpr_dispatch_id 0
		.amdhsa_user_sgpr_flat_scratch_init 0
		.amdhsa_user_sgpr_kernarg_preload_length 0
		.amdhsa_user_sgpr_kernarg_preload_offset 0
		.amdhsa_user_sgpr_private_segment_size 0
		.amdhsa_uses_dynamic_stack 0
		.amdhsa_system_sgpr_private_segment_wavefront_offset 0
		.amdhsa_system_sgpr_workgroup_id_x 1
		.amdhsa_system_sgpr_workgroup_id_y 0
		.amdhsa_system_sgpr_workgroup_id_z 0
		.amdhsa_system_sgpr_workgroup_info 0
		.amdhsa_system_vgpr_workitem_id 0
		.amdhsa_next_free_vgpr 1
		.amdhsa_next_free_sgpr 0
		.amdhsa_accum_offset 4
		.amdhsa_reserve_vcc 0
		.amdhsa_reserve_flat_scratch 0
		.amdhsa_float_round_mode_32 0
		.amdhsa_float_round_mode_16_64 0
		.amdhsa_float_denorm_mode_32 3
		.amdhsa_float_denorm_mode_16_64 3
		.amdhsa_dx10_clamp 1
		.amdhsa_ieee_mode 1
		.amdhsa_fp16_overflow 0
		.amdhsa_tg_split 0
		.amdhsa_exception_fp_ieee_invalid_op 0
		.amdhsa_exception_fp_denorm_src 0
		.amdhsa_exception_fp_ieee_div_zero 0
		.amdhsa_exception_fp_ieee_overflow 0
		.amdhsa_exception_fp_ieee_underflow 0
		.amdhsa_exception_fp_ieee_inexact 0
		.amdhsa_exception_int_div_zero 0
	.end_amdhsa_kernel
	.section	.text._ZN7rocprim17ROCPRIM_400000_NS6detail17trampoline_kernelINS0_14default_configENS1_25transform_config_selectorIhLb1EEEZNS1_14transform_implILb1ES3_S5_PhS7_NS0_8identityIhEEEE10hipError_tT2_T3_mT4_P12ihipStream_tbEUlT_E_NS1_11comp_targetILNS1_3genE0ELNS1_11target_archE4294967295ELNS1_3gpuE0ELNS1_3repE0EEENS1_30default_config_static_selectorELNS0_4arch9wavefront6targetE1EEEvT1_,"axG",@progbits,_ZN7rocprim17ROCPRIM_400000_NS6detail17trampoline_kernelINS0_14default_configENS1_25transform_config_selectorIhLb1EEEZNS1_14transform_implILb1ES3_S5_PhS7_NS0_8identityIhEEEE10hipError_tT2_T3_mT4_P12ihipStream_tbEUlT_E_NS1_11comp_targetILNS1_3genE0ELNS1_11target_archE4294967295ELNS1_3gpuE0ELNS1_3repE0EEENS1_30default_config_static_selectorELNS0_4arch9wavefront6targetE1EEEvT1_,comdat
.Lfunc_end270:
	.size	_ZN7rocprim17ROCPRIM_400000_NS6detail17trampoline_kernelINS0_14default_configENS1_25transform_config_selectorIhLb1EEEZNS1_14transform_implILb1ES3_S5_PhS7_NS0_8identityIhEEEE10hipError_tT2_T3_mT4_P12ihipStream_tbEUlT_E_NS1_11comp_targetILNS1_3genE0ELNS1_11target_archE4294967295ELNS1_3gpuE0ELNS1_3repE0EEENS1_30default_config_static_selectorELNS0_4arch9wavefront6targetE1EEEvT1_, .Lfunc_end270-_ZN7rocprim17ROCPRIM_400000_NS6detail17trampoline_kernelINS0_14default_configENS1_25transform_config_selectorIhLb1EEEZNS1_14transform_implILb1ES3_S5_PhS7_NS0_8identityIhEEEE10hipError_tT2_T3_mT4_P12ihipStream_tbEUlT_E_NS1_11comp_targetILNS1_3genE0ELNS1_11target_archE4294967295ELNS1_3gpuE0ELNS1_3repE0EEENS1_30default_config_static_selectorELNS0_4arch9wavefront6targetE1EEEvT1_
                                        ; -- End function
	.section	.AMDGPU.csdata,"",@progbits
; Kernel info:
; codeLenInByte = 0
; NumSgprs: 4
; NumVgprs: 0
; NumAgprs: 0
; TotalNumVgprs: 0
; ScratchSize: 0
; MemoryBound: 0
; FloatMode: 240
; IeeeMode: 1
; LDSByteSize: 0 bytes/workgroup (compile time only)
; SGPRBlocks: 0
; VGPRBlocks: 0
; NumSGPRsForWavesPerEU: 4
; NumVGPRsForWavesPerEU: 1
; AccumOffset: 4
; Occupancy: 8
; WaveLimiterHint : 0
; COMPUTE_PGM_RSRC2:SCRATCH_EN: 0
; COMPUTE_PGM_RSRC2:USER_SGPR: 6
; COMPUTE_PGM_RSRC2:TRAP_HANDLER: 0
; COMPUTE_PGM_RSRC2:TGID_X_EN: 1
; COMPUTE_PGM_RSRC2:TGID_Y_EN: 0
; COMPUTE_PGM_RSRC2:TGID_Z_EN: 0
; COMPUTE_PGM_RSRC2:TIDIG_COMP_CNT: 0
; COMPUTE_PGM_RSRC3_GFX90A:ACCUM_OFFSET: 0
; COMPUTE_PGM_RSRC3_GFX90A:TG_SPLIT: 0
	.section	.text._ZN7rocprim17ROCPRIM_400000_NS6detail17trampoline_kernelINS0_14default_configENS1_25transform_config_selectorIhLb1EEEZNS1_14transform_implILb1ES3_S5_PhS7_NS0_8identityIhEEEE10hipError_tT2_T3_mT4_P12ihipStream_tbEUlT_E_NS1_11comp_targetILNS1_3genE10ELNS1_11target_archE1201ELNS1_3gpuE5ELNS1_3repE0EEENS1_30default_config_static_selectorELNS0_4arch9wavefront6targetE1EEEvT1_,"axG",@progbits,_ZN7rocprim17ROCPRIM_400000_NS6detail17trampoline_kernelINS0_14default_configENS1_25transform_config_selectorIhLb1EEEZNS1_14transform_implILb1ES3_S5_PhS7_NS0_8identityIhEEEE10hipError_tT2_T3_mT4_P12ihipStream_tbEUlT_E_NS1_11comp_targetILNS1_3genE10ELNS1_11target_archE1201ELNS1_3gpuE5ELNS1_3repE0EEENS1_30default_config_static_selectorELNS0_4arch9wavefront6targetE1EEEvT1_,comdat
	.protected	_ZN7rocprim17ROCPRIM_400000_NS6detail17trampoline_kernelINS0_14default_configENS1_25transform_config_selectorIhLb1EEEZNS1_14transform_implILb1ES3_S5_PhS7_NS0_8identityIhEEEE10hipError_tT2_T3_mT4_P12ihipStream_tbEUlT_E_NS1_11comp_targetILNS1_3genE10ELNS1_11target_archE1201ELNS1_3gpuE5ELNS1_3repE0EEENS1_30default_config_static_selectorELNS0_4arch9wavefront6targetE1EEEvT1_ ; -- Begin function _ZN7rocprim17ROCPRIM_400000_NS6detail17trampoline_kernelINS0_14default_configENS1_25transform_config_selectorIhLb1EEEZNS1_14transform_implILb1ES3_S5_PhS7_NS0_8identityIhEEEE10hipError_tT2_T3_mT4_P12ihipStream_tbEUlT_E_NS1_11comp_targetILNS1_3genE10ELNS1_11target_archE1201ELNS1_3gpuE5ELNS1_3repE0EEENS1_30default_config_static_selectorELNS0_4arch9wavefront6targetE1EEEvT1_
	.globl	_ZN7rocprim17ROCPRIM_400000_NS6detail17trampoline_kernelINS0_14default_configENS1_25transform_config_selectorIhLb1EEEZNS1_14transform_implILb1ES3_S5_PhS7_NS0_8identityIhEEEE10hipError_tT2_T3_mT4_P12ihipStream_tbEUlT_E_NS1_11comp_targetILNS1_3genE10ELNS1_11target_archE1201ELNS1_3gpuE5ELNS1_3repE0EEENS1_30default_config_static_selectorELNS0_4arch9wavefront6targetE1EEEvT1_
	.p2align	8
	.type	_ZN7rocprim17ROCPRIM_400000_NS6detail17trampoline_kernelINS0_14default_configENS1_25transform_config_selectorIhLb1EEEZNS1_14transform_implILb1ES3_S5_PhS7_NS0_8identityIhEEEE10hipError_tT2_T3_mT4_P12ihipStream_tbEUlT_E_NS1_11comp_targetILNS1_3genE10ELNS1_11target_archE1201ELNS1_3gpuE5ELNS1_3repE0EEENS1_30default_config_static_selectorELNS0_4arch9wavefront6targetE1EEEvT1_,@function
_ZN7rocprim17ROCPRIM_400000_NS6detail17trampoline_kernelINS0_14default_configENS1_25transform_config_selectorIhLb1EEEZNS1_14transform_implILb1ES3_S5_PhS7_NS0_8identityIhEEEE10hipError_tT2_T3_mT4_P12ihipStream_tbEUlT_E_NS1_11comp_targetILNS1_3genE10ELNS1_11target_archE1201ELNS1_3gpuE5ELNS1_3repE0EEENS1_30default_config_static_selectorELNS0_4arch9wavefront6targetE1EEEvT1_: ; @_ZN7rocprim17ROCPRIM_400000_NS6detail17trampoline_kernelINS0_14default_configENS1_25transform_config_selectorIhLb1EEEZNS1_14transform_implILb1ES3_S5_PhS7_NS0_8identityIhEEEE10hipError_tT2_T3_mT4_P12ihipStream_tbEUlT_E_NS1_11comp_targetILNS1_3genE10ELNS1_11target_archE1201ELNS1_3gpuE5ELNS1_3repE0EEENS1_30default_config_static_selectorELNS0_4arch9wavefront6targetE1EEEvT1_
; %bb.0:
	.section	.rodata,"a",@progbits
	.p2align	6, 0x0
	.amdhsa_kernel _ZN7rocprim17ROCPRIM_400000_NS6detail17trampoline_kernelINS0_14default_configENS1_25transform_config_selectorIhLb1EEEZNS1_14transform_implILb1ES3_S5_PhS7_NS0_8identityIhEEEE10hipError_tT2_T3_mT4_P12ihipStream_tbEUlT_E_NS1_11comp_targetILNS1_3genE10ELNS1_11target_archE1201ELNS1_3gpuE5ELNS1_3repE0EEENS1_30default_config_static_selectorELNS0_4arch9wavefront6targetE1EEEvT1_
		.amdhsa_group_segment_fixed_size 0
		.amdhsa_private_segment_fixed_size 0
		.amdhsa_kernarg_size 40
		.amdhsa_user_sgpr_count 6
		.amdhsa_user_sgpr_private_segment_buffer 1
		.amdhsa_user_sgpr_dispatch_ptr 0
		.amdhsa_user_sgpr_queue_ptr 0
		.amdhsa_user_sgpr_kernarg_segment_ptr 1
		.amdhsa_user_sgpr_dispatch_id 0
		.amdhsa_user_sgpr_flat_scratch_init 0
		.amdhsa_user_sgpr_kernarg_preload_length 0
		.amdhsa_user_sgpr_kernarg_preload_offset 0
		.amdhsa_user_sgpr_private_segment_size 0
		.amdhsa_uses_dynamic_stack 0
		.amdhsa_system_sgpr_private_segment_wavefront_offset 0
		.amdhsa_system_sgpr_workgroup_id_x 1
		.amdhsa_system_sgpr_workgroup_id_y 0
		.amdhsa_system_sgpr_workgroup_id_z 0
		.amdhsa_system_sgpr_workgroup_info 0
		.amdhsa_system_vgpr_workitem_id 0
		.amdhsa_next_free_vgpr 1
		.amdhsa_next_free_sgpr 0
		.amdhsa_accum_offset 4
		.amdhsa_reserve_vcc 0
		.amdhsa_reserve_flat_scratch 0
		.amdhsa_float_round_mode_32 0
		.amdhsa_float_round_mode_16_64 0
		.amdhsa_float_denorm_mode_32 3
		.amdhsa_float_denorm_mode_16_64 3
		.amdhsa_dx10_clamp 1
		.amdhsa_ieee_mode 1
		.amdhsa_fp16_overflow 0
		.amdhsa_tg_split 0
		.amdhsa_exception_fp_ieee_invalid_op 0
		.amdhsa_exception_fp_denorm_src 0
		.amdhsa_exception_fp_ieee_div_zero 0
		.amdhsa_exception_fp_ieee_overflow 0
		.amdhsa_exception_fp_ieee_underflow 0
		.amdhsa_exception_fp_ieee_inexact 0
		.amdhsa_exception_int_div_zero 0
	.end_amdhsa_kernel
	.section	.text._ZN7rocprim17ROCPRIM_400000_NS6detail17trampoline_kernelINS0_14default_configENS1_25transform_config_selectorIhLb1EEEZNS1_14transform_implILb1ES3_S5_PhS7_NS0_8identityIhEEEE10hipError_tT2_T3_mT4_P12ihipStream_tbEUlT_E_NS1_11comp_targetILNS1_3genE10ELNS1_11target_archE1201ELNS1_3gpuE5ELNS1_3repE0EEENS1_30default_config_static_selectorELNS0_4arch9wavefront6targetE1EEEvT1_,"axG",@progbits,_ZN7rocprim17ROCPRIM_400000_NS6detail17trampoline_kernelINS0_14default_configENS1_25transform_config_selectorIhLb1EEEZNS1_14transform_implILb1ES3_S5_PhS7_NS0_8identityIhEEEE10hipError_tT2_T3_mT4_P12ihipStream_tbEUlT_E_NS1_11comp_targetILNS1_3genE10ELNS1_11target_archE1201ELNS1_3gpuE5ELNS1_3repE0EEENS1_30default_config_static_selectorELNS0_4arch9wavefront6targetE1EEEvT1_,comdat
.Lfunc_end271:
	.size	_ZN7rocprim17ROCPRIM_400000_NS6detail17trampoline_kernelINS0_14default_configENS1_25transform_config_selectorIhLb1EEEZNS1_14transform_implILb1ES3_S5_PhS7_NS0_8identityIhEEEE10hipError_tT2_T3_mT4_P12ihipStream_tbEUlT_E_NS1_11comp_targetILNS1_3genE10ELNS1_11target_archE1201ELNS1_3gpuE5ELNS1_3repE0EEENS1_30default_config_static_selectorELNS0_4arch9wavefront6targetE1EEEvT1_, .Lfunc_end271-_ZN7rocprim17ROCPRIM_400000_NS6detail17trampoline_kernelINS0_14default_configENS1_25transform_config_selectorIhLb1EEEZNS1_14transform_implILb1ES3_S5_PhS7_NS0_8identityIhEEEE10hipError_tT2_T3_mT4_P12ihipStream_tbEUlT_E_NS1_11comp_targetILNS1_3genE10ELNS1_11target_archE1201ELNS1_3gpuE5ELNS1_3repE0EEENS1_30default_config_static_selectorELNS0_4arch9wavefront6targetE1EEEvT1_
                                        ; -- End function
	.section	.AMDGPU.csdata,"",@progbits
; Kernel info:
; codeLenInByte = 0
; NumSgprs: 4
; NumVgprs: 0
; NumAgprs: 0
; TotalNumVgprs: 0
; ScratchSize: 0
; MemoryBound: 0
; FloatMode: 240
; IeeeMode: 1
; LDSByteSize: 0 bytes/workgroup (compile time only)
; SGPRBlocks: 0
; VGPRBlocks: 0
; NumSGPRsForWavesPerEU: 4
; NumVGPRsForWavesPerEU: 1
; AccumOffset: 4
; Occupancy: 8
; WaveLimiterHint : 0
; COMPUTE_PGM_RSRC2:SCRATCH_EN: 0
; COMPUTE_PGM_RSRC2:USER_SGPR: 6
; COMPUTE_PGM_RSRC2:TRAP_HANDLER: 0
; COMPUTE_PGM_RSRC2:TGID_X_EN: 1
; COMPUTE_PGM_RSRC2:TGID_Y_EN: 0
; COMPUTE_PGM_RSRC2:TGID_Z_EN: 0
; COMPUTE_PGM_RSRC2:TIDIG_COMP_CNT: 0
; COMPUTE_PGM_RSRC3_GFX90A:ACCUM_OFFSET: 0
; COMPUTE_PGM_RSRC3_GFX90A:TG_SPLIT: 0
	.section	.text._ZN7rocprim17ROCPRIM_400000_NS6detail17trampoline_kernelINS0_14default_configENS1_25transform_config_selectorIhLb1EEEZNS1_14transform_implILb1ES3_S5_PhS7_NS0_8identityIhEEEE10hipError_tT2_T3_mT4_P12ihipStream_tbEUlT_E_NS1_11comp_targetILNS1_3genE5ELNS1_11target_archE942ELNS1_3gpuE9ELNS1_3repE0EEENS1_30default_config_static_selectorELNS0_4arch9wavefront6targetE1EEEvT1_,"axG",@progbits,_ZN7rocprim17ROCPRIM_400000_NS6detail17trampoline_kernelINS0_14default_configENS1_25transform_config_selectorIhLb1EEEZNS1_14transform_implILb1ES3_S5_PhS7_NS0_8identityIhEEEE10hipError_tT2_T3_mT4_P12ihipStream_tbEUlT_E_NS1_11comp_targetILNS1_3genE5ELNS1_11target_archE942ELNS1_3gpuE9ELNS1_3repE0EEENS1_30default_config_static_selectorELNS0_4arch9wavefront6targetE1EEEvT1_,comdat
	.protected	_ZN7rocprim17ROCPRIM_400000_NS6detail17trampoline_kernelINS0_14default_configENS1_25transform_config_selectorIhLb1EEEZNS1_14transform_implILb1ES3_S5_PhS7_NS0_8identityIhEEEE10hipError_tT2_T3_mT4_P12ihipStream_tbEUlT_E_NS1_11comp_targetILNS1_3genE5ELNS1_11target_archE942ELNS1_3gpuE9ELNS1_3repE0EEENS1_30default_config_static_selectorELNS0_4arch9wavefront6targetE1EEEvT1_ ; -- Begin function _ZN7rocprim17ROCPRIM_400000_NS6detail17trampoline_kernelINS0_14default_configENS1_25transform_config_selectorIhLb1EEEZNS1_14transform_implILb1ES3_S5_PhS7_NS0_8identityIhEEEE10hipError_tT2_T3_mT4_P12ihipStream_tbEUlT_E_NS1_11comp_targetILNS1_3genE5ELNS1_11target_archE942ELNS1_3gpuE9ELNS1_3repE0EEENS1_30default_config_static_selectorELNS0_4arch9wavefront6targetE1EEEvT1_
	.globl	_ZN7rocprim17ROCPRIM_400000_NS6detail17trampoline_kernelINS0_14default_configENS1_25transform_config_selectorIhLb1EEEZNS1_14transform_implILb1ES3_S5_PhS7_NS0_8identityIhEEEE10hipError_tT2_T3_mT4_P12ihipStream_tbEUlT_E_NS1_11comp_targetILNS1_3genE5ELNS1_11target_archE942ELNS1_3gpuE9ELNS1_3repE0EEENS1_30default_config_static_selectorELNS0_4arch9wavefront6targetE1EEEvT1_
	.p2align	8
	.type	_ZN7rocprim17ROCPRIM_400000_NS6detail17trampoline_kernelINS0_14default_configENS1_25transform_config_selectorIhLb1EEEZNS1_14transform_implILb1ES3_S5_PhS7_NS0_8identityIhEEEE10hipError_tT2_T3_mT4_P12ihipStream_tbEUlT_E_NS1_11comp_targetILNS1_3genE5ELNS1_11target_archE942ELNS1_3gpuE9ELNS1_3repE0EEENS1_30default_config_static_selectorELNS0_4arch9wavefront6targetE1EEEvT1_,@function
_ZN7rocprim17ROCPRIM_400000_NS6detail17trampoline_kernelINS0_14default_configENS1_25transform_config_selectorIhLb1EEEZNS1_14transform_implILb1ES3_S5_PhS7_NS0_8identityIhEEEE10hipError_tT2_T3_mT4_P12ihipStream_tbEUlT_E_NS1_11comp_targetILNS1_3genE5ELNS1_11target_archE942ELNS1_3gpuE9ELNS1_3repE0EEENS1_30default_config_static_selectorELNS0_4arch9wavefront6targetE1EEEvT1_: ; @_ZN7rocprim17ROCPRIM_400000_NS6detail17trampoline_kernelINS0_14default_configENS1_25transform_config_selectorIhLb1EEEZNS1_14transform_implILb1ES3_S5_PhS7_NS0_8identityIhEEEE10hipError_tT2_T3_mT4_P12ihipStream_tbEUlT_E_NS1_11comp_targetILNS1_3genE5ELNS1_11target_archE942ELNS1_3gpuE9ELNS1_3repE0EEENS1_30default_config_static_selectorELNS0_4arch9wavefront6targetE1EEEvT1_
; %bb.0:
	.section	.rodata,"a",@progbits
	.p2align	6, 0x0
	.amdhsa_kernel _ZN7rocprim17ROCPRIM_400000_NS6detail17trampoline_kernelINS0_14default_configENS1_25transform_config_selectorIhLb1EEEZNS1_14transform_implILb1ES3_S5_PhS7_NS0_8identityIhEEEE10hipError_tT2_T3_mT4_P12ihipStream_tbEUlT_E_NS1_11comp_targetILNS1_3genE5ELNS1_11target_archE942ELNS1_3gpuE9ELNS1_3repE0EEENS1_30default_config_static_selectorELNS0_4arch9wavefront6targetE1EEEvT1_
		.amdhsa_group_segment_fixed_size 0
		.amdhsa_private_segment_fixed_size 0
		.amdhsa_kernarg_size 40
		.amdhsa_user_sgpr_count 6
		.amdhsa_user_sgpr_private_segment_buffer 1
		.amdhsa_user_sgpr_dispatch_ptr 0
		.amdhsa_user_sgpr_queue_ptr 0
		.amdhsa_user_sgpr_kernarg_segment_ptr 1
		.amdhsa_user_sgpr_dispatch_id 0
		.amdhsa_user_sgpr_flat_scratch_init 0
		.amdhsa_user_sgpr_kernarg_preload_length 0
		.amdhsa_user_sgpr_kernarg_preload_offset 0
		.amdhsa_user_sgpr_private_segment_size 0
		.amdhsa_uses_dynamic_stack 0
		.amdhsa_system_sgpr_private_segment_wavefront_offset 0
		.amdhsa_system_sgpr_workgroup_id_x 1
		.amdhsa_system_sgpr_workgroup_id_y 0
		.amdhsa_system_sgpr_workgroup_id_z 0
		.amdhsa_system_sgpr_workgroup_info 0
		.amdhsa_system_vgpr_workitem_id 0
		.amdhsa_next_free_vgpr 1
		.amdhsa_next_free_sgpr 0
		.amdhsa_accum_offset 4
		.amdhsa_reserve_vcc 0
		.amdhsa_reserve_flat_scratch 0
		.amdhsa_float_round_mode_32 0
		.amdhsa_float_round_mode_16_64 0
		.amdhsa_float_denorm_mode_32 3
		.amdhsa_float_denorm_mode_16_64 3
		.amdhsa_dx10_clamp 1
		.amdhsa_ieee_mode 1
		.amdhsa_fp16_overflow 0
		.amdhsa_tg_split 0
		.amdhsa_exception_fp_ieee_invalid_op 0
		.amdhsa_exception_fp_denorm_src 0
		.amdhsa_exception_fp_ieee_div_zero 0
		.amdhsa_exception_fp_ieee_overflow 0
		.amdhsa_exception_fp_ieee_underflow 0
		.amdhsa_exception_fp_ieee_inexact 0
		.amdhsa_exception_int_div_zero 0
	.end_amdhsa_kernel
	.section	.text._ZN7rocprim17ROCPRIM_400000_NS6detail17trampoline_kernelINS0_14default_configENS1_25transform_config_selectorIhLb1EEEZNS1_14transform_implILb1ES3_S5_PhS7_NS0_8identityIhEEEE10hipError_tT2_T3_mT4_P12ihipStream_tbEUlT_E_NS1_11comp_targetILNS1_3genE5ELNS1_11target_archE942ELNS1_3gpuE9ELNS1_3repE0EEENS1_30default_config_static_selectorELNS0_4arch9wavefront6targetE1EEEvT1_,"axG",@progbits,_ZN7rocprim17ROCPRIM_400000_NS6detail17trampoline_kernelINS0_14default_configENS1_25transform_config_selectorIhLb1EEEZNS1_14transform_implILb1ES3_S5_PhS7_NS0_8identityIhEEEE10hipError_tT2_T3_mT4_P12ihipStream_tbEUlT_E_NS1_11comp_targetILNS1_3genE5ELNS1_11target_archE942ELNS1_3gpuE9ELNS1_3repE0EEENS1_30default_config_static_selectorELNS0_4arch9wavefront6targetE1EEEvT1_,comdat
.Lfunc_end272:
	.size	_ZN7rocprim17ROCPRIM_400000_NS6detail17trampoline_kernelINS0_14default_configENS1_25transform_config_selectorIhLb1EEEZNS1_14transform_implILb1ES3_S5_PhS7_NS0_8identityIhEEEE10hipError_tT2_T3_mT4_P12ihipStream_tbEUlT_E_NS1_11comp_targetILNS1_3genE5ELNS1_11target_archE942ELNS1_3gpuE9ELNS1_3repE0EEENS1_30default_config_static_selectorELNS0_4arch9wavefront6targetE1EEEvT1_, .Lfunc_end272-_ZN7rocprim17ROCPRIM_400000_NS6detail17trampoline_kernelINS0_14default_configENS1_25transform_config_selectorIhLb1EEEZNS1_14transform_implILb1ES3_S5_PhS7_NS0_8identityIhEEEE10hipError_tT2_T3_mT4_P12ihipStream_tbEUlT_E_NS1_11comp_targetILNS1_3genE5ELNS1_11target_archE942ELNS1_3gpuE9ELNS1_3repE0EEENS1_30default_config_static_selectorELNS0_4arch9wavefront6targetE1EEEvT1_
                                        ; -- End function
	.section	.AMDGPU.csdata,"",@progbits
; Kernel info:
; codeLenInByte = 0
; NumSgprs: 4
; NumVgprs: 0
; NumAgprs: 0
; TotalNumVgprs: 0
; ScratchSize: 0
; MemoryBound: 0
; FloatMode: 240
; IeeeMode: 1
; LDSByteSize: 0 bytes/workgroup (compile time only)
; SGPRBlocks: 0
; VGPRBlocks: 0
; NumSGPRsForWavesPerEU: 4
; NumVGPRsForWavesPerEU: 1
; AccumOffset: 4
; Occupancy: 8
; WaveLimiterHint : 0
; COMPUTE_PGM_RSRC2:SCRATCH_EN: 0
; COMPUTE_PGM_RSRC2:USER_SGPR: 6
; COMPUTE_PGM_RSRC2:TRAP_HANDLER: 0
; COMPUTE_PGM_RSRC2:TGID_X_EN: 1
; COMPUTE_PGM_RSRC2:TGID_Y_EN: 0
; COMPUTE_PGM_RSRC2:TGID_Z_EN: 0
; COMPUTE_PGM_RSRC2:TIDIG_COMP_CNT: 0
; COMPUTE_PGM_RSRC3_GFX90A:ACCUM_OFFSET: 0
; COMPUTE_PGM_RSRC3_GFX90A:TG_SPLIT: 0
	.section	.text._ZN7rocprim17ROCPRIM_400000_NS6detail17trampoline_kernelINS0_14default_configENS1_25transform_config_selectorIhLb1EEEZNS1_14transform_implILb1ES3_S5_PhS7_NS0_8identityIhEEEE10hipError_tT2_T3_mT4_P12ihipStream_tbEUlT_E_NS1_11comp_targetILNS1_3genE4ELNS1_11target_archE910ELNS1_3gpuE8ELNS1_3repE0EEENS1_30default_config_static_selectorELNS0_4arch9wavefront6targetE1EEEvT1_,"axG",@progbits,_ZN7rocprim17ROCPRIM_400000_NS6detail17trampoline_kernelINS0_14default_configENS1_25transform_config_selectorIhLb1EEEZNS1_14transform_implILb1ES3_S5_PhS7_NS0_8identityIhEEEE10hipError_tT2_T3_mT4_P12ihipStream_tbEUlT_E_NS1_11comp_targetILNS1_3genE4ELNS1_11target_archE910ELNS1_3gpuE8ELNS1_3repE0EEENS1_30default_config_static_selectorELNS0_4arch9wavefront6targetE1EEEvT1_,comdat
	.protected	_ZN7rocprim17ROCPRIM_400000_NS6detail17trampoline_kernelINS0_14default_configENS1_25transform_config_selectorIhLb1EEEZNS1_14transform_implILb1ES3_S5_PhS7_NS0_8identityIhEEEE10hipError_tT2_T3_mT4_P12ihipStream_tbEUlT_E_NS1_11comp_targetILNS1_3genE4ELNS1_11target_archE910ELNS1_3gpuE8ELNS1_3repE0EEENS1_30default_config_static_selectorELNS0_4arch9wavefront6targetE1EEEvT1_ ; -- Begin function _ZN7rocprim17ROCPRIM_400000_NS6detail17trampoline_kernelINS0_14default_configENS1_25transform_config_selectorIhLb1EEEZNS1_14transform_implILb1ES3_S5_PhS7_NS0_8identityIhEEEE10hipError_tT2_T3_mT4_P12ihipStream_tbEUlT_E_NS1_11comp_targetILNS1_3genE4ELNS1_11target_archE910ELNS1_3gpuE8ELNS1_3repE0EEENS1_30default_config_static_selectorELNS0_4arch9wavefront6targetE1EEEvT1_
	.globl	_ZN7rocprim17ROCPRIM_400000_NS6detail17trampoline_kernelINS0_14default_configENS1_25transform_config_selectorIhLb1EEEZNS1_14transform_implILb1ES3_S5_PhS7_NS0_8identityIhEEEE10hipError_tT2_T3_mT4_P12ihipStream_tbEUlT_E_NS1_11comp_targetILNS1_3genE4ELNS1_11target_archE910ELNS1_3gpuE8ELNS1_3repE0EEENS1_30default_config_static_selectorELNS0_4arch9wavefront6targetE1EEEvT1_
	.p2align	8
	.type	_ZN7rocprim17ROCPRIM_400000_NS6detail17trampoline_kernelINS0_14default_configENS1_25transform_config_selectorIhLb1EEEZNS1_14transform_implILb1ES3_S5_PhS7_NS0_8identityIhEEEE10hipError_tT2_T3_mT4_P12ihipStream_tbEUlT_E_NS1_11comp_targetILNS1_3genE4ELNS1_11target_archE910ELNS1_3gpuE8ELNS1_3repE0EEENS1_30default_config_static_selectorELNS0_4arch9wavefront6targetE1EEEvT1_,@function
_ZN7rocprim17ROCPRIM_400000_NS6detail17trampoline_kernelINS0_14default_configENS1_25transform_config_selectorIhLb1EEEZNS1_14transform_implILb1ES3_S5_PhS7_NS0_8identityIhEEEE10hipError_tT2_T3_mT4_P12ihipStream_tbEUlT_E_NS1_11comp_targetILNS1_3genE4ELNS1_11target_archE910ELNS1_3gpuE8ELNS1_3repE0EEENS1_30default_config_static_selectorELNS0_4arch9wavefront6targetE1EEEvT1_: ; @_ZN7rocprim17ROCPRIM_400000_NS6detail17trampoline_kernelINS0_14default_configENS1_25transform_config_selectorIhLb1EEEZNS1_14transform_implILb1ES3_S5_PhS7_NS0_8identityIhEEEE10hipError_tT2_T3_mT4_P12ihipStream_tbEUlT_E_NS1_11comp_targetILNS1_3genE4ELNS1_11target_archE910ELNS1_3gpuE8ELNS1_3repE0EEENS1_30default_config_static_selectorELNS0_4arch9wavefront6targetE1EEEvT1_
; %bb.0:
	s_load_dwordx8 s[8:15], s[4:5], 0x0
	s_load_dword s0, s[4:5], 0x28
	s_waitcnt lgkmcnt(0)
	s_add_u32 s1, s8, s10
	s_addc_u32 s2, s9, s11
	s_add_u32 s33, s14, s10
	s_addc_u32 s36, s15, s11
	s_lshl_b32 s37, s6, 14
	s_add_i32 s0, s0, -1
	s_add_u32 s30, s1, s37
	s_addc_u32 s31, s2, 0
	s_cmp_lg_u32 s6, s0
	s_mov_b64 s[0:1], -1
	s_cbranch_scc0 .LBB273_2
; %bb.1:
	v_lshlrev_b32_e32 v1, 4, v0
	global_load_dwordx4 v[2:5], v1, s[30:31]
	s_add_u32 s0, s33, s37
	s_addc_u32 s1, s36, 0
	s_waitcnt vmcnt(0)
	global_store_dwordx4 v1, v[2:5], s[0:1]
	s_mov_b64 s[0:1], 0
.LBB273_2:
	s_andn2_b64 vcc, exec, s[0:1]
	s_cbranch_vccnz .LBB273_67
; %bb.3:
	s_sub_i32 s34, s12, s37
	v_cmp_gt_u32_e32 vcc, s34, v0
                                        ; implicit-def: $vgpr1
	s_and_saveexec_b64 s[0:1], vcc
	s_cbranch_execz .LBB273_5
; %bb.4:
	global_load_ubyte v1, v0, s[30:31]
.LBB273_5:
	s_or_b64 exec, exec, s[0:1]
	v_or_b32_e32 v2, 0x400, v0
	v_cmp_gt_u32_e64 s[0:1], s34, v2
                                        ; implicit-def: $vgpr2
	s_and_saveexec_b64 s[2:3], s[0:1]
	s_cbranch_execz .LBB273_7
; %bb.6:
	global_load_ubyte v2, v0, s[30:31] offset:1024
.LBB273_7:
	s_or_b64 exec, exec, s[2:3]
	v_or_b32_e32 v3, 0x800, v0
	v_cmp_gt_u32_e64 s[2:3], s34, v3
                                        ; implicit-def: $vgpr3
	s_and_saveexec_b64 s[4:5], s[2:3]
	s_cbranch_execz .LBB273_9
; %bb.8:
	global_load_ubyte v3, v0, s[30:31] offset:2048
.LBB273_9:
	s_or_b64 exec, exec, s[4:5]
	v_or_b32_e32 v4, 0xc00, v0
	v_cmp_gt_u32_e64 s[4:5], s34, v4
                                        ; implicit-def: $vgpr4
	s_and_saveexec_b64 s[6:7], s[4:5]
	s_cbranch_execz .LBB273_11
; %bb.10:
	global_load_ubyte v4, v0, s[30:31] offset:3072
.LBB273_11:
	s_or_b64 exec, exec, s[6:7]
	v_or_b32_e32 v6, 0x1000, v0
	v_cmp_gt_u32_e64 s[6:7], s34, v6
                                        ; implicit-def: $vgpr5
	s_and_saveexec_b64 s[8:9], s[6:7]
	s_cbranch_execz .LBB273_13
; %bb.12:
	global_load_ubyte v5, v6, s[30:31]
.LBB273_13:
	s_or_b64 exec, exec, s[8:9]
	v_or_b32_e32 v7, 0x1400, v0
	v_cmp_gt_u32_e64 s[8:9], s34, v7
                                        ; implicit-def: $vgpr6
	s_and_saveexec_b64 s[10:11], s[8:9]
	s_cbranch_execz .LBB273_15
; %bb.14:
	global_load_ubyte v6, v7, s[30:31]
.LBB273_15:
	s_or_b64 exec, exec, s[10:11]
	v_or_b32_e32 v8, 0x1800, v0
	v_cmp_gt_u32_e64 s[10:11], s34, v8
                                        ; implicit-def: $vgpr7
	s_and_saveexec_b64 s[12:13], s[10:11]
	s_cbranch_execz .LBB273_17
; %bb.16:
	global_load_ubyte v7, v8, s[30:31]
.LBB273_17:
	s_or_b64 exec, exec, s[12:13]
	v_or_b32_e32 v9, 0x1c00, v0
	v_cmp_gt_u32_e64 s[12:13], s34, v9
                                        ; implicit-def: $vgpr8
	s_and_saveexec_b64 s[14:15], s[12:13]
	s_cbranch_execz .LBB273_19
; %bb.18:
	global_load_ubyte v8, v9, s[30:31]
.LBB273_19:
	s_or_b64 exec, exec, s[14:15]
	v_or_b32_e32 v10, 0x2000, v0
	v_cmp_gt_u32_e64 s[14:15], s34, v10
                                        ; implicit-def: $vgpr9
	s_and_saveexec_b64 s[16:17], s[14:15]
	s_cbranch_execz .LBB273_21
; %bb.20:
	global_load_ubyte v9, v10, s[30:31]
.LBB273_21:
	s_or_b64 exec, exec, s[16:17]
	v_or_b32_e32 v11, 0x2400, v0
	v_cmp_gt_u32_e64 s[16:17], s34, v11
                                        ; implicit-def: $vgpr10
	s_and_saveexec_b64 s[18:19], s[16:17]
	s_cbranch_execz .LBB273_23
; %bb.22:
	global_load_ubyte v10, v11, s[30:31]
.LBB273_23:
	s_or_b64 exec, exec, s[18:19]
	v_or_b32_e32 v12, 0x2800, v0
	v_cmp_gt_u32_e64 s[18:19], s34, v12
                                        ; implicit-def: $vgpr11
	s_and_saveexec_b64 s[20:21], s[18:19]
	s_cbranch_execz .LBB273_25
; %bb.24:
	global_load_ubyte v11, v12, s[30:31]
.LBB273_25:
	s_or_b64 exec, exec, s[20:21]
	v_or_b32_e32 v13, 0x2c00, v0
	v_cmp_gt_u32_e64 s[20:21], s34, v13
                                        ; implicit-def: $vgpr12
	s_and_saveexec_b64 s[22:23], s[20:21]
	s_cbranch_execz .LBB273_27
; %bb.26:
	global_load_ubyte v12, v13, s[30:31]
.LBB273_27:
	s_or_b64 exec, exec, s[22:23]
	v_or_b32_e32 v14, 0x3000, v0
	v_cmp_gt_u32_e64 s[22:23], s34, v14
                                        ; implicit-def: $vgpr13
	s_and_saveexec_b64 s[24:25], s[22:23]
	s_cbranch_execz .LBB273_29
; %bb.28:
	global_load_ubyte v13, v14, s[30:31]
.LBB273_29:
	s_or_b64 exec, exec, s[24:25]
	v_or_b32_e32 v15, 0x3400, v0
	v_cmp_gt_u32_e64 s[24:25], s34, v15
                                        ; implicit-def: $vgpr14
	s_and_saveexec_b64 s[26:27], s[24:25]
	s_cbranch_execz .LBB273_31
; %bb.30:
	global_load_ubyte v14, v15, s[30:31]
.LBB273_31:
	s_or_b64 exec, exec, s[26:27]
	v_or_b32_e32 v16, 0x3800, v0
	v_cmp_gt_u32_e64 s[26:27], s34, v16
                                        ; implicit-def: $vgpr15
	s_and_saveexec_b64 s[28:29], s[26:27]
	s_cbranch_execz .LBB273_33
; %bb.32:
	global_load_ubyte v15, v16, s[30:31]
.LBB273_33:
	s_or_b64 exec, exec, s[28:29]
	v_or_b32_e32 v17, 0x3c00, v0
	v_cmp_gt_u32_e64 s[28:29], s34, v17
                                        ; implicit-def: $vgpr16
	s_and_saveexec_b64 s[34:35], s[28:29]
	s_cbranch_execz .LBB273_35
; %bb.34:
	global_load_ubyte v16, v17, s[30:31]
.LBB273_35:
	s_or_b64 exec, exec, s[34:35]
	s_waitcnt vmcnt(0)
	v_lshlrev_b16_e32 v2, 8, v2
	v_or_b32_sdwa v1, v1, v2 dst_sel:DWORD dst_unused:UNUSED_PAD src0_sel:BYTE_0 src1_sel:DWORD
	v_lshlrev_b16_e32 v2, 8, v4
	v_or_b32_sdwa v2, v3, v2 dst_sel:WORD_1 dst_unused:UNUSED_PAD src0_sel:BYTE_0 src1_sel:DWORD
	v_or_b32_sdwa v17, v1, v2 dst_sel:DWORD dst_unused:UNUSED_PAD src0_sel:WORD_0 src1_sel:DWORD
	v_lshlrev_b16_e32 v1, 8, v6
	v_lshlrev_b16_e32 v2, 8, v8
	v_or_b32_sdwa v1, v5, v1 dst_sel:DWORD dst_unused:UNUSED_PAD src0_sel:BYTE_0 src1_sel:DWORD
	v_or_b32_sdwa v2, v7, v2 dst_sel:WORD_1 dst_unused:UNUSED_PAD src0_sel:BYTE_0 src1_sel:DWORD
	v_or_b32_sdwa v4, v1, v2 dst_sel:DWORD dst_unused:UNUSED_PAD src0_sel:WORD_0 src1_sel:DWORD
	v_lshlrev_b16_e32 v1, 8, v10
	v_lshlrev_b16_e32 v2, 8, v12
	v_or_b32_sdwa v1, v9, v1 dst_sel:DWORD dst_unused:UNUSED_PAD src0_sel:BYTE_0 src1_sel:DWORD
	v_or_b32_sdwa v2, v11, v2 dst_sel:WORD_1 dst_unused:UNUSED_PAD src0_sel:BYTE_0 src1_sel:DWORD
	v_or_b32_sdwa v3, v1, v2 dst_sel:DWORD dst_unused:UNUSED_PAD src0_sel:WORD_0 src1_sel:DWORD
	v_lshlrev_b16_e32 v1, 8, v14
	v_lshlrev_b16_e32 v2, 8, v16
	s_add_u32 s30, s33, s37
	v_or_b32_sdwa v1, v13, v1 dst_sel:DWORD dst_unused:UNUSED_PAD src0_sel:BYTE_0 src1_sel:DWORD
	v_or_b32_sdwa v2, v15, v2 dst_sel:WORD_1 dst_unused:UNUSED_PAD src0_sel:BYTE_0 src1_sel:DWORD
	s_addc_u32 s31, s36, 0
	v_or_b32_sdwa v2, v1, v2 dst_sel:DWORD dst_unused:UNUSED_PAD src0_sel:WORD_0 src1_sel:DWORD
	v_mov_b32_e32 v1, s31
	v_add_co_u32_e64 v0, s[30:31], s30, v0
	v_addc_co_u32_e64 v1, s[30:31], 0, v1, s[30:31]
	s_and_saveexec_b64 s[30:31], vcc
	s_cbranch_execz .LBB273_37
; %bb.36:
	global_store_byte v[0:1], v17, off
.LBB273_37:
	s_or_b64 exec, exec, s[30:31]
	s_and_saveexec_b64 s[30:31], s[0:1]
	s_cbranch_execz .LBB273_39
; %bb.38:
	v_lshrrev_b32_e32 v5, 8, v17
	global_store_byte v[0:1], v5, off offset:1024
.LBB273_39:
	s_or_b64 exec, exec, s[30:31]
	s_mov_b32 s0, 0x7060104
	v_perm_b32 v5, v17, v17, s0
	v_cndmask_b32_e64 v6, v5, v17, s[2:3]
	s_and_saveexec_b64 s[0:1], s[2:3]
	s_cbranch_execz .LBB273_41
; %bb.40:
	global_store_byte_d16_hi v[0:1], v6, off offset:2048
.LBB273_41:
	s_or_b64 exec, exec, s[0:1]
	s_mov_b32 s0, 0x7020504
	v_perm_b32 v5, v5, v6, s0
	v_cndmask_b32_e64 v5, v5, v17, s[4:5]
	s_and_saveexec_b64 s[0:1], s[4:5]
	s_cbranch_execz .LBB273_43
; %bb.42:
	v_lshrrev_b32_e32 v5, 24, v5
	global_store_byte v[0:1], v5, off offset:3072
.LBB273_43:
	s_or_b64 exec, exec, s[0:1]
	s_and_saveexec_b64 s[0:1], s[6:7]
	s_cbranch_execz .LBB273_45
; %bb.44:
	v_add_co_u32_e32 v6, vcc, 0x1000, v0
	v_addc_co_u32_e32 v7, vcc, 0, v1, vcc
	global_store_byte v[6:7], v4, off
.LBB273_45:
	s_or_b64 exec, exec, s[0:1]
	s_mov_b32 s0, 0x3020104
	v_perm_b32 v5, v4, v4, s0
	v_cndmask_b32_e64 v6, v5, v4, s[8:9]
	s_and_saveexec_b64 s[0:1], s[8:9]
	s_cbranch_execz .LBB273_47
; %bb.46:
	v_add_co_u32_e32 v8, vcc, 0x1000, v0
	v_lshrrev_b32_e32 v7, 8, v6
	v_addc_co_u32_e32 v9, vcc, 0, v1, vcc
	global_store_byte v[8:9], v7, off offset:1024
.LBB273_47:
	s_or_b64 exec, exec, s[0:1]
	s_mov_b32 s0, 0x7060104
	v_perm_b32 v5, v5, v6, s0
	v_cndmask_b32_e64 v6, v5, v4, s[10:11]
	s_and_saveexec_b64 s[0:1], s[10:11]
	s_cbranch_execz .LBB273_49
; %bb.48:
	v_add_co_u32_e32 v8, vcc, 0x1000, v0
	v_addc_co_u32_e32 v9, vcc, 0, v1, vcc
	global_store_byte_d16_hi v[8:9], v6, off offset:2048
.LBB273_49:
	s_or_b64 exec, exec, s[0:1]
	s_mov_b32 s0, 0x7020504
	v_perm_b32 v5, v5, v6, s0
	v_cndmask_b32_e64 v4, v5, v4, s[12:13]
	s_and_saveexec_b64 s[0:1], s[12:13]
	s_cbranch_execz .LBB273_51
; %bb.50:
	v_lshrrev_b32_e32 v6, 24, v4
	v_add_co_u32_e32 v4, vcc, 0x1000, v0
	v_addc_co_u32_e32 v5, vcc, 0, v1, vcc
	global_store_byte v[4:5], v6, off offset:3072
.LBB273_51:
	s_or_b64 exec, exec, s[0:1]
	s_and_saveexec_b64 s[0:1], s[14:15]
	s_cbranch_execz .LBB273_53
; %bb.52:
	v_add_co_u32_e32 v4, vcc, 0x2000, v0
	v_addc_co_u32_e32 v5, vcc, 0, v1, vcc
	global_store_byte v[4:5], v3, off
.LBB273_53:
	s_or_b64 exec, exec, s[0:1]
	s_mov_b32 s0, 0x3020104
	v_perm_b32 v4, v3, v3, s0
	v_cndmask_b32_e64 v5, v4, v3, s[16:17]
	s_and_saveexec_b64 s[0:1], s[16:17]
	s_cbranch_execz .LBB273_55
; %bb.54:
	v_add_co_u32_e32 v6, vcc, 0x2000, v0
	v_lshrrev_b32_e32 v8, 8, v5
	v_addc_co_u32_e32 v7, vcc, 0, v1, vcc
	global_store_byte v[6:7], v8, off offset:1024
.LBB273_55:
	s_or_b64 exec, exec, s[0:1]
	s_mov_b32 s0, 0x7060104
	v_perm_b32 v4, v4, v5, s0
	v_cndmask_b32_e64 v5, v4, v3, s[18:19]
	s_and_saveexec_b64 s[0:1], s[18:19]
	s_cbranch_execz .LBB273_57
; %bb.56:
	v_add_co_u32_e32 v6, vcc, 0x2000, v0
	v_addc_co_u32_e32 v7, vcc, 0, v1, vcc
	global_store_byte_d16_hi v[6:7], v5, off offset:2048
.LBB273_57:
	s_or_b64 exec, exec, s[0:1]
	s_mov_b32 s0, 0x7020504
	v_perm_b32 v4, v4, v5, s0
	v_cndmask_b32_e64 v3, v4, v3, s[20:21]
	s_and_saveexec_b64 s[0:1], s[20:21]
	s_cbranch_execz .LBB273_59
; %bb.58:
	v_add_co_u32_e32 v4, vcc, 0x2000, v0
	v_lshrrev_b32_e32 v3, 24, v3
	v_addc_co_u32_e32 v5, vcc, 0, v1, vcc
	global_store_byte v[4:5], v3, off offset:3072
.LBB273_59:
	s_or_b64 exec, exec, s[0:1]
	s_and_saveexec_b64 s[0:1], s[22:23]
	s_cbranch_execz .LBB273_61
; %bb.60:
	v_add_co_u32_e32 v4, vcc, 0x3000, v0
	v_addc_co_u32_e32 v5, vcc, 0, v1, vcc
	global_store_byte v[4:5], v2, off
.LBB273_61:
	s_or_b64 exec, exec, s[0:1]
	s_mov_b32 s0, 0x3020104
	v_perm_b32 v3, v2, v2, s0
	v_cndmask_b32_e64 v4, v3, v2, s[24:25]
	s_and_saveexec_b64 s[0:1], s[24:25]
	s_cbranch_execz .LBB273_63
; %bb.62:
	v_add_co_u32_e32 v6, vcc, 0x3000, v0
	v_lshrrev_b32_e32 v5, 8, v4
	v_addc_co_u32_e32 v7, vcc, 0, v1, vcc
	global_store_byte v[6:7], v5, off offset:1024
.LBB273_63:
	s_or_b64 exec, exec, s[0:1]
	s_mov_b32 s0, 0x7060104
	v_perm_b32 v3, v3, v4, s0
	s_and_saveexec_b64 s[0:1], s[26:27]
	s_cbranch_execz .LBB273_65
; %bb.64:
	v_add_co_u32_e32 v4, vcc, 0x3000, v0
	v_cndmask_b32_e64 v6, v3, v2, s[26:27]
	v_addc_co_u32_e32 v5, vcc, 0, v1, vcc
	global_store_byte_d16_hi v[4:5], v6, off offset:2048
.LBB273_65:
	s_or_b64 exec, exec, s[0:1]
	s_and_saveexec_b64 s[0:1], s[28:29]
	s_cbranch_execz .LBB273_67
; %bb.66:
	v_cndmask_b32_e64 v2, v3, v2, s[28:29]
	v_add_co_u32_e32 v0, vcc, 0x3000, v0
	v_lshrrev_b32_e32 v2, 24, v2
	v_addc_co_u32_e32 v1, vcc, 0, v1, vcc
	global_store_byte v[0:1], v2, off offset:3072
.LBB273_67:
	s_endpgm
	.section	.rodata,"a",@progbits
	.p2align	6, 0x0
	.amdhsa_kernel _ZN7rocprim17ROCPRIM_400000_NS6detail17trampoline_kernelINS0_14default_configENS1_25transform_config_selectorIhLb1EEEZNS1_14transform_implILb1ES3_S5_PhS7_NS0_8identityIhEEEE10hipError_tT2_T3_mT4_P12ihipStream_tbEUlT_E_NS1_11comp_targetILNS1_3genE4ELNS1_11target_archE910ELNS1_3gpuE8ELNS1_3repE0EEENS1_30default_config_static_selectorELNS0_4arch9wavefront6targetE1EEEvT1_
		.amdhsa_group_segment_fixed_size 0
		.amdhsa_private_segment_fixed_size 0
		.amdhsa_kernarg_size 296
		.amdhsa_user_sgpr_count 6
		.amdhsa_user_sgpr_private_segment_buffer 1
		.amdhsa_user_sgpr_dispatch_ptr 0
		.amdhsa_user_sgpr_queue_ptr 0
		.amdhsa_user_sgpr_kernarg_segment_ptr 1
		.amdhsa_user_sgpr_dispatch_id 0
		.amdhsa_user_sgpr_flat_scratch_init 0
		.amdhsa_user_sgpr_kernarg_preload_length 0
		.amdhsa_user_sgpr_kernarg_preload_offset 0
		.amdhsa_user_sgpr_private_segment_size 0
		.amdhsa_uses_dynamic_stack 0
		.amdhsa_system_sgpr_private_segment_wavefront_offset 0
		.amdhsa_system_sgpr_workgroup_id_x 1
		.amdhsa_system_sgpr_workgroup_id_y 0
		.amdhsa_system_sgpr_workgroup_id_z 0
		.amdhsa_system_sgpr_workgroup_info 0
		.amdhsa_system_vgpr_workitem_id 0
		.amdhsa_next_free_vgpr 18
		.amdhsa_next_free_sgpr 38
		.amdhsa_accum_offset 20
		.amdhsa_reserve_vcc 1
		.amdhsa_reserve_flat_scratch 0
		.amdhsa_float_round_mode_32 0
		.amdhsa_float_round_mode_16_64 0
		.amdhsa_float_denorm_mode_32 3
		.amdhsa_float_denorm_mode_16_64 3
		.amdhsa_dx10_clamp 1
		.amdhsa_ieee_mode 1
		.amdhsa_fp16_overflow 0
		.amdhsa_tg_split 0
		.amdhsa_exception_fp_ieee_invalid_op 0
		.amdhsa_exception_fp_denorm_src 0
		.amdhsa_exception_fp_ieee_div_zero 0
		.amdhsa_exception_fp_ieee_overflow 0
		.amdhsa_exception_fp_ieee_underflow 0
		.amdhsa_exception_fp_ieee_inexact 0
		.amdhsa_exception_int_div_zero 0
	.end_amdhsa_kernel
	.section	.text._ZN7rocprim17ROCPRIM_400000_NS6detail17trampoline_kernelINS0_14default_configENS1_25transform_config_selectorIhLb1EEEZNS1_14transform_implILb1ES3_S5_PhS7_NS0_8identityIhEEEE10hipError_tT2_T3_mT4_P12ihipStream_tbEUlT_E_NS1_11comp_targetILNS1_3genE4ELNS1_11target_archE910ELNS1_3gpuE8ELNS1_3repE0EEENS1_30default_config_static_selectorELNS0_4arch9wavefront6targetE1EEEvT1_,"axG",@progbits,_ZN7rocprim17ROCPRIM_400000_NS6detail17trampoline_kernelINS0_14default_configENS1_25transform_config_selectorIhLb1EEEZNS1_14transform_implILb1ES3_S5_PhS7_NS0_8identityIhEEEE10hipError_tT2_T3_mT4_P12ihipStream_tbEUlT_E_NS1_11comp_targetILNS1_3genE4ELNS1_11target_archE910ELNS1_3gpuE8ELNS1_3repE0EEENS1_30default_config_static_selectorELNS0_4arch9wavefront6targetE1EEEvT1_,comdat
.Lfunc_end273:
	.size	_ZN7rocprim17ROCPRIM_400000_NS6detail17trampoline_kernelINS0_14default_configENS1_25transform_config_selectorIhLb1EEEZNS1_14transform_implILb1ES3_S5_PhS7_NS0_8identityIhEEEE10hipError_tT2_T3_mT4_P12ihipStream_tbEUlT_E_NS1_11comp_targetILNS1_3genE4ELNS1_11target_archE910ELNS1_3gpuE8ELNS1_3repE0EEENS1_30default_config_static_selectorELNS0_4arch9wavefront6targetE1EEEvT1_, .Lfunc_end273-_ZN7rocprim17ROCPRIM_400000_NS6detail17trampoline_kernelINS0_14default_configENS1_25transform_config_selectorIhLb1EEEZNS1_14transform_implILb1ES3_S5_PhS7_NS0_8identityIhEEEE10hipError_tT2_T3_mT4_P12ihipStream_tbEUlT_E_NS1_11comp_targetILNS1_3genE4ELNS1_11target_archE910ELNS1_3gpuE8ELNS1_3repE0EEENS1_30default_config_static_selectorELNS0_4arch9wavefront6targetE1EEEvT1_
                                        ; -- End function
	.section	.AMDGPU.csdata,"",@progbits
; Kernel info:
; codeLenInByte = 1580
; NumSgprs: 42
; NumVgprs: 18
; NumAgprs: 0
; TotalNumVgprs: 18
; ScratchSize: 0
; MemoryBound: 1
; FloatMode: 240
; IeeeMode: 1
; LDSByteSize: 0 bytes/workgroup (compile time only)
; SGPRBlocks: 5
; VGPRBlocks: 2
; NumSGPRsForWavesPerEU: 42
; NumVGPRsForWavesPerEU: 18
; AccumOffset: 20
; Occupancy: 8
; WaveLimiterHint : 0
; COMPUTE_PGM_RSRC2:SCRATCH_EN: 0
; COMPUTE_PGM_RSRC2:USER_SGPR: 6
; COMPUTE_PGM_RSRC2:TRAP_HANDLER: 0
; COMPUTE_PGM_RSRC2:TGID_X_EN: 1
; COMPUTE_PGM_RSRC2:TGID_Y_EN: 0
; COMPUTE_PGM_RSRC2:TGID_Z_EN: 0
; COMPUTE_PGM_RSRC2:TIDIG_COMP_CNT: 0
; COMPUTE_PGM_RSRC3_GFX90A:ACCUM_OFFSET: 4
; COMPUTE_PGM_RSRC3_GFX90A:TG_SPLIT: 0
	.section	.text._ZN7rocprim17ROCPRIM_400000_NS6detail17trampoline_kernelINS0_14default_configENS1_25transform_config_selectorIhLb1EEEZNS1_14transform_implILb1ES3_S5_PhS7_NS0_8identityIhEEEE10hipError_tT2_T3_mT4_P12ihipStream_tbEUlT_E_NS1_11comp_targetILNS1_3genE3ELNS1_11target_archE908ELNS1_3gpuE7ELNS1_3repE0EEENS1_30default_config_static_selectorELNS0_4arch9wavefront6targetE1EEEvT1_,"axG",@progbits,_ZN7rocprim17ROCPRIM_400000_NS6detail17trampoline_kernelINS0_14default_configENS1_25transform_config_selectorIhLb1EEEZNS1_14transform_implILb1ES3_S5_PhS7_NS0_8identityIhEEEE10hipError_tT2_T3_mT4_P12ihipStream_tbEUlT_E_NS1_11comp_targetILNS1_3genE3ELNS1_11target_archE908ELNS1_3gpuE7ELNS1_3repE0EEENS1_30default_config_static_selectorELNS0_4arch9wavefront6targetE1EEEvT1_,comdat
	.protected	_ZN7rocprim17ROCPRIM_400000_NS6detail17trampoline_kernelINS0_14default_configENS1_25transform_config_selectorIhLb1EEEZNS1_14transform_implILb1ES3_S5_PhS7_NS0_8identityIhEEEE10hipError_tT2_T3_mT4_P12ihipStream_tbEUlT_E_NS1_11comp_targetILNS1_3genE3ELNS1_11target_archE908ELNS1_3gpuE7ELNS1_3repE0EEENS1_30default_config_static_selectorELNS0_4arch9wavefront6targetE1EEEvT1_ ; -- Begin function _ZN7rocprim17ROCPRIM_400000_NS6detail17trampoline_kernelINS0_14default_configENS1_25transform_config_selectorIhLb1EEEZNS1_14transform_implILb1ES3_S5_PhS7_NS0_8identityIhEEEE10hipError_tT2_T3_mT4_P12ihipStream_tbEUlT_E_NS1_11comp_targetILNS1_3genE3ELNS1_11target_archE908ELNS1_3gpuE7ELNS1_3repE0EEENS1_30default_config_static_selectorELNS0_4arch9wavefront6targetE1EEEvT1_
	.globl	_ZN7rocprim17ROCPRIM_400000_NS6detail17trampoline_kernelINS0_14default_configENS1_25transform_config_selectorIhLb1EEEZNS1_14transform_implILb1ES3_S5_PhS7_NS0_8identityIhEEEE10hipError_tT2_T3_mT4_P12ihipStream_tbEUlT_E_NS1_11comp_targetILNS1_3genE3ELNS1_11target_archE908ELNS1_3gpuE7ELNS1_3repE0EEENS1_30default_config_static_selectorELNS0_4arch9wavefront6targetE1EEEvT1_
	.p2align	8
	.type	_ZN7rocprim17ROCPRIM_400000_NS6detail17trampoline_kernelINS0_14default_configENS1_25transform_config_selectorIhLb1EEEZNS1_14transform_implILb1ES3_S5_PhS7_NS0_8identityIhEEEE10hipError_tT2_T3_mT4_P12ihipStream_tbEUlT_E_NS1_11comp_targetILNS1_3genE3ELNS1_11target_archE908ELNS1_3gpuE7ELNS1_3repE0EEENS1_30default_config_static_selectorELNS0_4arch9wavefront6targetE1EEEvT1_,@function
_ZN7rocprim17ROCPRIM_400000_NS6detail17trampoline_kernelINS0_14default_configENS1_25transform_config_selectorIhLb1EEEZNS1_14transform_implILb1ES3_S5_PhS7_NS0_8identityIhEEEE10hipError_tT2_T3_mT4_P12ihipStream_tbEUlT_E_NS1_11comp_targetILNS1_3genE3ELNS1_11target_archE908ELNS1_3gpuE7ELNS1_3repE0EEENS1_30default_config_static_selectorELNS0_4arch9wavefront6targetE1EEEvT1_: ; @_ZN7rocprim17ROCPRIM_400000_NS6detail17trampoline_kernelINS0_14default_configENS1_25transform_config_selectorIhLb1EEEZNS1_14transform_implILb1ES3_S5_PhS7_NS0_8identityIhEEEE10hipError_tT2_T3_mT4_P12ihipStream_tbEUlT_E_NS1_11comp_targetILNS1_3genE3ELNS1_11target_archE908ELNS1_3gpuE7ELNS1_3repE0EEENS1_30default_config_static_selectorELNS0_4arch9wavefront6targetE1EEEvT1_
; %bb.0:
	.section	.rodata,"a",@progbits
	.p2align	6, 0x0
	.amdhsa_kernel _ZN7rocprim17ROCPRIM_400000_NS6detail17trampoline_kernelINS0_14default_configENS1_25transform_config_selectorIhLb1EEEZNS1_14transform_implILb1ES3_S5_PhS7_NS0_8identityIhEEEE10hipError_tT2_T3_mT4_P12ihipStream_tbEUlT_E_NS1_11comp_targetILNS1_3genE3ELNS1_11target_archE908ELNS1_3gpuE7ELNS1_3repE0EEENS1_30default_config_static_selectorELNS0_4arch9wavefront6targetE1EEEvT1_
		.amdhsa_group_segment_fixed_size 0
		.amdhsa_private_segment_fixed_size 0
		.amdhsa_kernarg_size 40
		.amdhsa_user_sgpr_count 6
		.amdhsa_user_sgpr_private_segment_buffer 1
		.amdhsa_user_sgpr_dispatch_ptr 0
		.amdhsa_user_sgpr_queue_ptr 0
		.amdhsa_user_sgpr_kernarg_segment_ptr 1
		.amdhsa_user_sgpr_dispatch_id 0
		.amdhsa_user_sgpr_flat_scratch_init 0
		.amdhsa_user_sgpr_kernarg_preload_length 0
		.amdhsa_user_sgpr_kernarg_preload_offset 0
		.amdhsa_user_sgpr_private_segment_size 0
		.amdhsa_uses_dynamic_stack 0
		.amdhsa_system_sgpr_private_segment_wavefront_offset 0
		.amdhsa_system_sgpr_workgroup_id_x 1
		.amdhsa_system_sgpr_workgroup_id_y 0
		.amdhsa_system_sgpr_workgroup_id_z 0
		.amdhsa_system_sgpr_workgroup_info 0
		.amdhsa_system_vgpr_workitem_id 0
		.amdhsa_next_free_vgpr 1
		.amdhsa_next_free_sgpr 0
		.amdhsa_accum_offset 4
		.amdhsa_reserve_vcc 0
		.amdhsa_reserve_flat_scratch 0
		.amdhsa_float_round_mode_32 0
		.amdhsa_float_round_mode_16_64 0
		.amdhsa_float_denorm_mode_32 3
		.amdhsa_float_denorm_mode_16_64 3
		.amdhsa_dx10_clamp 1
		.amdhsa_ieee_mode 1
		.amdhsa_fp16_overflow 0
		.amdhsa_tg_split 0
		.amdhsa_exception_fp_ieee_invalid_op 0
		.amdhsa_exception_fp_denorm_src 0
		.amdhsa_exception_fp_ieee_div_zero 0
		.amdhsa_exception_fp_ieee_overflow 0
		.amdhsa_exception_fp_ieee_underflow 0
		.amdhsa_exception_fp_ieee_inexact 0
		.amdhsa_exception_int_div_zero 0
	.end_amdhsa_kernel
	.section	.text._ZN7rocprim17ROCPRIM_400000_NS6detail17trampoline_kernelINS0_14default_configENS1_25transform_config_selectorIhLb1EEEZNS1_14transform_implILb1ES3_S5_PhS7_NS0_8identityIhEEEE10hipError_tT2_T3_mT4_P12ihipStream_tbEUlT_E_NS1_11comp_targetILNS1_3genE3ELNS1_11target_archE908ELNS1_3gpuE7ELNS1_3repE0EEENS1_30default_config_static_selectorELNS0_4arch9wavefront6targetE1EEEvT1_,"axG",@progbits,_ZN7rocprim17ROCPRIM_400000_NS6detail17trampoline_kernelINS0_14default_configENS1_25transform_config_selectorIhLb1EEEZNS1_14transform_implILb1ES3_S5_PhS7_NS0_8identityIhEEEE10hipError_tT2_T3_mT4_P12ihipStream_tbEUlT_E_NS1_11comp_targetILNS1_3genE3ELNS1_11target_archE908ELNS1_3gpuE7ELNS1_3repE0EEENS1_30default_config_static_selectorELNS0_4arch9wavefront6targetE1EEEvT1_,comdat
.Lfunc_end274:
	.size	_ZN7rocprim17ROCPRIM_400000_NS6detail17trampoline_kernelINS0_14default_configENS1_25transform_config_selectorIhLb1EEEZNS1_14transform_implILb1ES3_S5_PhS7_NS0_8identityIhEEEE10hipError_tT2_T3_mT4_P12ihipStream_tbEUlT_E_NS1_11comp_targetILNS1_3genE3ELNS1_11target_archE908ELNS1_3gpuE7ELNS1_3repE0EEENS1_30default_config_static_selectorELNS0_4arch9wavefront6targetE1EEEvT1_, .Lfunc_end274-_ZN7rocprim17ROCPRIM_400000_NS6detail17trampoline_kernelINS0_14default_configENS1_25transform_config_selectorIhLb1EEEZNS1_14transform_implILb1ES3_S5_PhS7_NS0_8identityIhEEEE10hipError_tT2_T3_mT4_P12ihipStream_tbEUlT_E_NS1_11comp_targetILNS1_3genE3ELNS1_11target_archE908ELNS1_3gpuE7ELNS1_3repE0EEENS1_30default_config_static_selectorELNS0_4arch9wavefront6targetE1EEEvT1_
                                        ; -- End function
	.section	.AMDGPU.csdata,"",@progbits
; Kernel info:
; codeLenInByte = 0
; NumSgprs: 4
; NumVgprs: 0
; NumAgprs: 0
; TotalNumVgprs: 0
; ScratchSize: 0
; MemoryBound: 0
; FloatMode: 240
; IeeeMode: 1
; LDSByteSize: 0 bytes/workgroup (compile time only)
; SGPRBlocks: 0
; VGPRBlocks: 0
; NumSGPRsForWavesPerEU: 4
; NumVGPRsForWavesPerEU: 1
; AccumOffset: 4
; Occupancy: 8
; WaveLimiterHint : 0
; COMPUTE_PGM_RSRC2:SCRATCH_EN: 0
; COMPUTE_PGM_RSRC2:USER_SGPR: 6
; COMPUTE_PGM_RSRC2:TRAP_HANDLER: 0
; COMPUTE_PGM_RSRC2:TGID_X_EN: 1
; COMPUTE_PGM_RSRC2:TGID_Y_EN: 0
; COMPUTE_PGM_RSRC2:TGID_Z_EN: 0
; COMPUTE_PGM_RSRC2:TIDIG_COMP_CNT: 0
; COMPUTE_PGM_RSRC3_GFX90A:ACCUM_OFFSET: 0
; COMPUTE_PGM_RSRC3_GFX90A:TG_SPLIT: 0
	.section	.text._ZN7rocprim17ROCPRIM_400000_NS6detail17trampoline_kernelINS0_14default_configENS1_25transform_config_selectorIhLb1EEEZNS1_14transform_implILb1ES3_S5_PhS7_NS0_8identityIhEEEE10hipError_tT2_T3_mT4_P12ihipStream_tbEUlT_E_NS1_11comp_targetILNS1_3genE2ELNS1_11target_archE906ELNS1_3gpuE6ELNS1_3repE0EEENS1_30default_config_static_selectorELNS0_4arch9wavefront6targetE1EEEvT1_,"axG",@progbits,_ZN7rocprim17ROCPRIM_400000_NS6detail17trampoline_kernelINS0_14default_configENS1_25transform_config_selectorIhLb1EEEZNS1_14transform_implILb1ES3_S5_PhS7_NS0_8identityIhEEEE10hipError_tT2_T3_mT4_P12ihipStream_tbEUlT_E_NS1_11comp_targetILNS1_3genE2ELNS1_11target_archE906ELNS1_3gpuE6ELNS1_3repE0EEENS1_30default_config_static_selectorELNS0_4arch9wavefront6targetE1EEEvT1_,comdat
	.protected	_ZN7rocprim17ROCPRIM_400000_NS6detail17trampoline_kernelINS0_14default_configENS1_25transform_config_selectorIhLb1EEEZNS1_14transform_implILb1ES3_S5_PhS7_NS0_8identityIhEEEE10hipError_tT2_T3_mT4_P12ihipStream_tbEUlT_E_NS1_11comp_targetILNS1_3genE2ELNS1_11target_archE906ELNS1_3gpuE6ELNS1_3repE0EEENS1_30default_config_static_selectorELNS0_4arch9wavefront6targetE1EEEvT1_ ; -- Begin function _ZN7rocprim17ROCPRIM_400000_NS6detail17trampoline_kernelINS0_14default_configENS1_25transform_config_selectorIhLb1EEEZNS1_14transform_implILb1ES3_S5_PhS7_NS0_8identityIhEEEE10hipError_tT2_T3_mT4_P12ihipStream_tbEUlT_E_NS1_11comp_targetILNS1_3genE2ELNS1_11target_archE906ELNS1_3gpuE6ELNS1_3repE0EEENS1_30default_config_static_selectorELNS0_4arch9wavefront6targetE1EEEvT1_
	.globl	_ZN7rocprim17ROCPRIM_400000_NS6detail17trampoline_kernelINS0_14default_configENS1_25transform_config_selectorIhLb1EEEZNS1_14transform_implILb1ES3_S5_PhS7_NS0_8identityIhEEEE10hipError_tT2_T3_mT4_P12ihipStream_tbEUlT_E_NS1_11comp_targetILNS1_3genE2ELNS1_11target_archE906ELNS1_3gpuE6ELNS1_3repE0EEENS1_30default_config_static_selectorELNS0_4arch9wavefront6targetE1EEEvT1_
	.p2align	8
	.type	_ZN7rocprim17ROCPRIM_400000_NS6detail17trampoline_kernelINS0_14default_configENS1_25transform_config_selectorIhLb1EEEZNS1_14transform_implILb1ES3_S5_PhS7_NS0_8identityIhEEEE10hipError_tT2_T3_mT4_P12ihipStream_tbEUlT_E_NS1_11comp_targetILNS1_3genE2ELNS1_11target_archE906ELNS1_3gpuE6ELNS1_3repE0EEENS1_30default_config_static_selectorELNS0_4arch9wavefront6targetE1EEEvT1_,@function
_ZN7rocprim17ROCPRIM_400000_NS6detail17trampoline_kernelINS0_14default_configENS1_25transform_config_selectorIhLb1EEEZNS1_14transform_implILb1ES3_S5_PhS7_NS0_8identityIhEEEE10hipError_tT2_T3_mT4_P12ihipStream_tbEUlT_E_NS1_11comp_targetILNS1_3genE2ELNS1_11target_archE906ELNS1_3gpuE6ELNS1_3repE0EEENS1_30default_config_static_selectorELNS0_4arch9wavefront6targetE1EEEvT1_: ; @_ZN7rocprim17ROCPRIM_400000_NS6detail17trampoline_kernelINS0_14default_configENS1_25transform_config_selectorIhLb1EEEZNS1_14transform_implILb1ES3_S5_PhS7_NS0_8identityIhEEEE10hipError_tT2_T3_mT4_P12ihipStream_tbEUlT_E_NS1_11comp_targetILNS1_3genE2ELNS1_11target_archE906ELNS1_3gpuE6ELNS1_3repE0EEENS1_30default_config_static_selectorELNS0_4arch9wavefront6targetE1EEEvT1_
; %bb.0:
	.section	.rodata,"a",@progbits
	.p2align	6, 0x0
	.amdhsa_kernel _ZN7rocprim17ROCPRIM_400000_NS6detail17trampoline_kernelINS0_14default_configENS1_25transform_config_selectorIhLb1EEEZNS1_14transform_implILb1ES3_S5_PhS7_NS0_8identityIhEEEE10hipError_tT2_T3_mT4_P12ihipStream_tbEUlT_E_NS1_11comp_targetILNS1_3genE2ELNS1_11target_archE906ELNS1_3gpuE6ELNS1_3repE0EEENS1_30default_config_static_selectorELNS0_4arch9wavefront6targetE1EEEvT1_
		.amdhsa_group_segment_fixed_size 0
		.amdhsa_private_segment_fixed_size 0
		.amdhsa_kernarg_size 40
		.amdhsa_user_sgpr_count 6
		.amdhsa_user_sgpr_private_segment_buffer 1
		.amdhsa_user_sgpr_dispatch_ptr 0
		.amdhsa_user_sgpr_queue_ptr 0
		.amdhsa_user_sgpr_kernarg_segment_ptr 1
		.amdhsa_user_sgpr_dispatch_id 0
		.amdhsa_user_sgpr_flat_scratch_init 0
		.amdhsa_user_sgpr_kernarg_preload_length 0
		.amdhsa_user_sgpr_kernarg_preload_offset 0
		.amdhsa_user_sgpr_private_segment_size 0
		.amdhsa_uses_dynamic_stack 0
		.amdhsa_system_sgpr_private_segment_wavefront_offset 0
		.amdhsa_system_sgpr_workgroup_id_x 1
		.amdhsa_system_sgpr_workgroup_id_y 0
		.amdhsa_system_sgpr_workgroup_id_z 0
		.amdhsa_system_sgpr_workgroup_info 0
		.amdhsa_system_vgpr_workitem_id 0
		.amdhsa_next_free_vgpr 1
		.amdhsa_next_free_sgpr 0
		.amdhsa_accum_offset 4
		.amdhsa_reserve_vcc 0
		.amdhsa_reserve_flat_scratch 0
		.amdhsa_float_round_mode_32 0
		.amdhsa_float_round_mode_16_64 0
		.amdhsa_float_denorm_mode_32 3
		.amdhsa_float_denorm_mode_16_64 3
		.amdhsa_dx10_clamp 1
		.amdhsa_ieee_mode 1
		.amdhsa_fp16_overflow 0
		.amdhsa_tg_split 0
		.amdhsa_exception_fp_ieee_invalid_op 0
		.amdhsa_exception_fp_denorm_src 0
		.amdhsa_exception_fp_ieee_div_zero 0
		.amdhsa_exception_fp_ieee_overflow 0
		.amdhsa_exception_fp_ieee_underflow 0
		.amdhsa_exception_fp_ieee_inexact 0
		.amdhsa_exception_int_div_zero 0
	.end_amdhsa_kernel
	.section	.text._ZN7rocprim17ROCPRIM_400000_NS6detail17trampoline_kernelINS0_14default_configENS1_25transform_config_selectorIhLb1EEEZNS1_14transform_implILb1ES3_S5_PhS7_NS0_8identityIhEEEE10hipError_tT2_T3_mT4_P12ihipStream_tbEUlT_E_NS1_11comp_targetILNS1_3genE2ELNS1_11target_archE906ELNS1_3gpuE6ELNS1_3repE0EEENS1_30default_config_static_selectorELNS0_4arch9wavefront6targetE1EEEvT1_,"axG",@progbits,_ZN7rocprim17ROCPRIM_400000_NS6detail17trampoline_kernelINS0_14default_configENS1_25transform_config_selectorIhLb1EEEZNS1_14transform_implILb1ES3_S5_PhS7_NS0_8identityIhEEEE10hipError_tT2_T3_mT4_P12ihipStream_tbEUlT_E_NS1_11comp_targetILNS1_3genE2ELNS1_11target_archE906ELNS1_3gpuE6ELNS1_3repE0EEENS1_30default_config_static_selectorELNS0_4arch9wavefront6targetE1EEEvT1_,comdat
.Lfunc_end275:
	.size	_ZN7rocprim17ROCPRIM_400000_NS6detail17trampoline_kernelINS0_14default_configENS1_25transform_config_selectorIhLb1EEEZNS1_14transform_implILb1ES3_S5_PhS7_NS0_8identityIhEEEE10hipError_tT2_T3_mT4_P12ihipStream_tbEUlT_E_NS1_11comp_targetILNS1_3genE2ELNS1_11target_archE906ELNS1_3gpuE6ELNS1_3repE0EEENS1_30default_config_static_selectorELNS0_4arch9wavefront6targetE1EEEvT1_, .Lfunc_end275-_ZN7rocprim17ROCPRIM_400000_NS6detail17trampoline_kernelINS0_14default_configENS1_25transform_config_selectorIhLb1EEEZNS1_14transform_implILb1ES3_S5_PhS7_NS0_8identityIhEEEE10hipError_tT2_T3_mT4_P12ihipStream_tbEUlT_E_NS1_11comp_targetILNS1_3genE2ELNS1_11target_archE906ELNS1_3gpuE6ELNS1_3repE0EEENS1_30default_config_static_selectorELNS0_4arch9wavefront6targetE1EEEvT1_
                                        ; -- End function
	.section	.AMDGPU.csdata,"",@progbits
; Kernel info:
; codeLenInByte = 0
; NumSgprs: 4
; NumVgprs: 0
; NumAgprs: 0
; TotalNumVgprs: 0
; ScratchSize: 0
; MemoryBound: 0
; FloatMode: 240
; IeeeMode: 1
; LDSByteSize: 0 bytes/workgroup (compile time only)
; SGPRBlocks: 0
; VGPRBlocks: 0
; NumSGPRsForWavesPerEU: 4
; NumVGPRsForWavesPerEU: 1
; AccumOffset: 4
; Occupancy: 8
; WaveLimiterHint : 0
; COMPUTE_PGM_RSRC2:SCRATCH_EN: 0
; COMPUTE_PGM_RSRC2:USER_SGPR: 6
; COMPUTE_PGM_RSRC2:TRAP_HANDLER: 0
; COMPUTE_PGM_RSRC2:TGID_X_EN: 1
; COMPUTE_PGM_RSRC2:TGID_Y_EN: 0
; COMPUTE_PGM_RSRC2:TGID_Z_EN: 0
; COMPUTE_PGM_RSRC2:TIDIG_COMP_CNT: 0
; COMPUTE_PGM_RSRC3_GFX90A:ACCUM_OFFSET: 0
; COMPUTE_PGM_RSRC3_GFX90A:TG_SPLIT: 0
	.section	.text._ZN7rocprim17ROCPRIM_400000_NS6detail17trampoline_kernelINS0_14default_configENS1_25transform_config_selectorIhLb1EEEZNS1_14transform_implILb1ES3_S5_PhS7_NS0_8identityIhEEEE10hipError_tT2_T3_mT4_P12ihipStream_tbEUlT_E_NS1_11comp_targetILNS1_3genE9ELNS1_11target_archE1100ELNS1_3gpuE3ELNS1_3repE0EEENS1_30default_config_static_selectorELNS0_4arch9wavefront6targetE1EEEvT1_,"axG",@progbits,_ZN7rocprim17ROCPRIM_400000_NS6detail17trampoline_kernelINS0_14default_configENS1_25transform_config_selectorIhLb1EEEZNS1_14transform_implILb1ES3_S5_PhS7_NS0_8identityIhEEEE10hipError_tT2_T3_mT4_P12ihipStream_tbEUlT_E_NS1_11comp_targetILNS1_3genE9ELNS1_11target_archE1100ELNS1_3gpuE3ELNS1_3repE0EEENS1_30default_config_static_selectorELNS0_4arch9wavefront6targetE1EEEvT1_,comdat
	.protected	_ZN7rocprim17ROCPRIM_400000_NS6detail17trampoline_kernelINS0_14default_configENS1_25transform_config_selectorIhLb1EEEZNS1_14transform_implILb1ES3_S5_PhS7_NS0_8identityIhEEEE10hipError_tT2_T3_mT4_P12ihipStream_tbEUlT_E_NS1_11comp_targetILNS1_3genE9ELNS1_11target_archE1100ELNS1_3gpuE3ELNS1_3repE0EEENS1_30default_config_static_selectorELNS0_4arch9wavefront6targetE1EEEvT1_ ; -- Begin function _ZN7rocprim17ROCPRIM_400000_NS6detail17trampoline_kernelINS0_14default_configENS1_25transform_config_selectorIhLb1EEEZNS1_14transform_implILb1ES3_S5_PhS7_NS0_8identityIhEEEE10hipError_tT2_T3_mT4_P12ihipStream_tbEUlT_E_NS1_11comp_targetILNS1_3genE9ELNS1_11target_archE1100ELNS1_3gpuE3ELNS1_3repE0EEENS1_30default_config_static_selectorELNS0_4arch9wavefront6targetE1EEEvT1_
	.globl	_ZN7rocprim17ROCPRIM_400000_NS6detail17trampoline_kernelINS0_14default_configENS1_25transform_config_selectorIhLb1EEEZNS1_14transform_implILb1ES3_S5_PhS7_NS0_8identityIhEEEE10hipError_tT2_T3_mT4_P12ihipStream_tbEUlT_E_NS1_11comp_targetILNS1_3genE9ELNS1_11target_archE1100ELNS1_3gpuE3ELNS1_3repE0EEENS1_30default_config_static_selectorELNS0_4arch9wavefront6targetE1EEEvT1_
	.p2align	8
	.type	_ZN7rocprim17ROCPRIM_400000_NS6detail17trampoline_kernelINS0_14default_configENS1_25transform_config_selectorIhLb1EEEZNS1_14transform_implILb1ES3_S5_PhS7_NS0_8identityIhEEEE10hipError_tT2_T3_mT4_P12ihipStream_tbEUlT_E_NS1_11comp_targetILNS1_3genE9ELNS1_11target_archE1100ELNS1_3gpuE3ELNS1_3repE0EEENS1_30default_config_static_selectorELNS0_4arch9wavefront6targetE1EEEvT1_,@function
_ZN7rocprim17ROCPRIM_400000_NS6detail17trampoline_kernelINS0_14default_configENS1_25transform_config_selectorIhLb1EEEZNS1_14transform_implILb1ES3_S5_PhS7_NS0_8identityIhEEEE10hipError_tT2_T3_mT4_P12ihipStream_tbEUlT_E_NS1_11comp_targetILNS1_3genE9ELNS1_11target_archE1100ELNS1_3gpuE3ELNS1_3repE0EEENS1_30default_config_static_selectorELNS0_4arch9wavefront6targetE1EEEvT1_: ; @_ZN7rocprim17ROCPRIM_400000_NS6detail17trampoline_kernelINS0_14default_configENS1_25transform_config_selectorIhLb1EEEZNS1_14transform_implILb1ES3_S5_PhS7_NS0_8identityIhEEEE10hipError_tT2_T3_mT4_P12ihipStream_tbEUlT_E_NS1_11comp_targetILNS1_3genE9ELNS1_11target_archE1100ELNS1_3gpuE3ELNS1_3repE0EEENS1_30default_config_static_selectorELNS0_4arch9wavefront6targetE1EEEvT1_
; %bb.0:
	.section	.rodata,"a",@progbits
	.p2align	6, 0x0
	.amdhsa_kernel _ZN7rocprim17ROCPRIM_400000_NS6detail17trampoline_kernelINS0_14default_configENS1_25transform_config_selectorIhLb1EEEZNS1_14transform_implILb1ES3_S5_PhS7_NS0_8identityIhEEEE10hipError_tT2_T3_mT4_P12ihipStream_tbEUlT_E_NS1_11comp_targetILNS1_3genE9ELNS1_11target_archE1100ELNS1_3gpuE3ELNS1_3repE0EEENS1_30default_config_static_selectorELNS0_4arch9wavefront6targetE1EEEvT1_
		.amdhsa_group_segment_fixed_size 0
		.amdhsa_private_segment_fixed_size 0
		.amdhsa_kernarg_size 40
		.amdhsa_user_sgpr_count 6
		.amdhsa_user_sgpr_private_segment_buffer 1
		.amdhsa_user_sgpr_dispatch_ptr 0
		.amdhsa_user_sgpr_queue_ptr 0
		.amdhsa_user_sgpr_kernarg_segment_ptr 1
		.amdhsa_user_sgpr_dispatch_id 0
		.amdhsa_user_sgpr_flat_scratch_init 0
		.amdhsa_user_sgpr_kernarg_preload_length 0
		.amdhsa_user_sgpr_kernarg_preload_offset 0
		.amdhsa_user_sgpr_private_segment_size 0
		.amdhsa_uses_dynamic_stack 0
		.amdhsa_system_sgpr_private_segment_wavefront_offset 0
		.amdhsa_system_sgpr_workgroup_id_x 1
		.amdhsa_system_sgpr_workgroup_id_y 0
		.amdhsa_system_sgpr_workgroup_id_z 0
		.amdhsa_system_sgpr_workgroup_info 0
		.amdhsa_system_vgpr_workitem_id 0
		.amdhsa_next_free_vgpr 1
		.amdhsa_next_free_sgpr 0
		.amdhsa_accum_offset 4
		.amdhsa_reserve_vcc 0
		.amdhsa_reserve_flat_scratch 0
		.amdhsa_float_round_mode_32 0
		.amdhsa_float_round_mode_16_64 0
		.amdhsa_float_denorm_mode_32 3
		.amdhsa_float_denorm_mode_16_64 3
		.amdhsa_dx10_clamp 1
		.amdhsa_ieee_mode 1
		.amdhsa_fp16_overflow 0
		.amdhsa_tg_split 0
		.amdhsa_exception_fp_ieee_invalid_op 0
		.amdhsa_exception_fp_denorm_src 0
		.amdhsa_exception_fp_ieee_div_zero 0
		.amdhsa_exception_fp_ieee_overflow 0
		.amdhsa_exception_fp_ieee_underflow 0
		.amdhsa_exception_fp_ieee_inexact 0
		.amdhsa_exception_int_div_zero 0
	.end_amdhsa_kernel
	.section	.text._ZN7rocprim17ROCPRIM_400000_NS6detail17trampoline_kernelINS0_14default_configENS1_25transform_config_selectorIhLb1EEEZNS1_14transform_implILb1ES3_S5_PhS7_NS0_8identityIhEEEE10hipError_tT2_T3_mT4_P12ihipStream_tbEUlT_E_NS1_11comp_targetILNS1_3genE9ELNS1_11target_archE1100ELNS1_3gpuE3ELNS1_3repE0EEENS1_30default_config_static_selectorELNS0_4arch9wavefront6targetE1EEEvT1_,"axG",@progbits,_ZN7rocprim17ROCPRIM_400000_NS6detail17trampoline_kernelINS0_14default_configENS1_25transform_config_selectorIhLb1EEEZNS1_14transform_implILb1ES3_S5_PhS7_NS0_8identityIhEEEE10hipError_tT2_T3_mT4_P12ihipStream_tbEUlT_E_NS1_11comp_targetILNS1_3genE9ELNS1_11target_archE1100ELNS1_3gpuE3ELNS1_3repE0EEENS1_30default_config_static_selectorELNS0_4arch9wavefront6targetE1EEEvT1_,comdat
.Lfunc_end276:
	.size	_ZN7rocprim17ROCPRIM_400000_NS6detail17trampoline_kernelINS0_14default_configENS1_25transform_config_selectorIhLb1EEEZNS1_14transform_implILb1ES3_S5_PhS7_NS0_8identityIhEEEE10hipError_tT2_T3_mT4_P12ihipStream_tbEUlT_E_NS1_11comp_targetILNS1_3genE9ELNS1_11target_archE1100ELNS1_3gpuE3ELNS1_3repE0EEENS1_30default_config_static_selectorELNS0_4arch9wavefront6targetE1EEEvT1_, .Lfunc_end276-_ZN7rocprim17ROCPRIM_400000_NS6detail17trampoline_kernelINS0_14default_configENS1_25transform_config_selectorIhLb1EEEZNS1_14transform_implILb1ES3_S5_PhS7_NS0_8identityIhEEEE10hipError_tT2_T3_mT4_P12ihipStream_tbEUlT_E_NS1_11comp_targetILNS1_3genE9ELNS1_11target_archE1100ELNS1_3gpuE3ELNS1_3repE0EEENS1_30default_config_static_selectorELNS0_4arch9wavefront6targetE1EEEvT1_
                                        ; -- End function
	.section	.AMDGPU.csdata,"",@progbits
; Kernel info:
; codeLenInByte = 0
; NumSgprs: 4
; NumVgprs: 0
; NumAgprs: 0
; TotalNumVgprs: 0
; ScratchSize: 0
; MemoryBound: 0
; FloatMode: 240
; IeeeMode: 1
; LDSByteSize: 0 bytes/workgroup (compile time only)
; SGPRBlocks: 0
; VGPRBlocks: 0
; NumSGPRsForWavesPerEU: 4
; NumVGPRsForWavesPerEU: 1
; AccumOffset: 4
; Occupancy: 8
; WaveLimiterHint : 0
; COMPUTE_PGM_RSRC2:SCRATCH_EN: 0
; COMPUTE_PGM_RSRC2:USER_SGPR: 6
; COMPUTE_PGM_RSRC2:TRAP_HANDLER: 0
; COMPUTE_PGM_RSRC2:TGID_X_EN: 1
; COMPUTE_PGM_RSRC2:TGID_Y_EN: 0
; COMPUTE_PGM_RSRC2:TGID_Z_EN: 0
; COMPUTE_PGM_RSRC2:TIDIG_COMP_CNT: 0
; COMPUTE_PGM_RSRC3_GFX90A:ACCUM_OFFSET: 0
; COMPUTE_PGM_RSRC3_GFX90A:TG_SPLIT: 0
	.section	.text._ZN7rocprim17ROCPRIM_400000_NS6detail17trampoline_kernelINS0_14default_configENS1_25transform_config_selectorIhLb1EEEZNS1_14transform_implILb1ES3_S5_PhS7_NS0_8identityIhEEEE10hipError_tT2_T3_mT4_P12ihipStream_tbEUlT_E_NS1_11comp_targetILNS1_3genE8ELNS1_11target_archE1030ELNS1_3gpuE2ELNS1_3repE0EEENS1_30default_config_static_selectorELNS0_4arch9wavefront6targetE1EEEvT1_,"axG",@progbits,_ZN7rocprim17ROCPRIM_400000_NS6detail17trampoline_kernelINS0_14default_configENS1_25transform_config_selectorIhLb1EEEZNS1_14transform_implILb1ES3_S5_PhS7_NS0_8identityIhEEEE10hipError_tT2_T3_mT4_P12ihipStream_tbEUlT_E_NS1_11comp_targetILNS1_3genE8ELNS1_11target_archE1030ELNS1_3gpuE2ELNS1_3repE0EEENS1_30default_config_static_selectorELNS0_4arch9wavefront6targetE1EEEvT1_,comdat
	.protected	_ZN7rocprim17ROCPRIM_400000_NS6detail17trampoline_kernelINS0_14default_configENS1_25transform_config_selectorIhLb1EEEZNS1_14transform_implILb1ES3_S5_PhS7_NS0_8identityIhEEEE10hipError_tT2_T3_mT4_P12ihipStream_tbEUlT_E_NS1_11comp_targetILNS1_3genE8ELNS1_11target_archE1030ELNS1_3gpuE2ELNS1_3repE0EEENS1_30default_config_static_selectorELNS0_4arch9wavefront6targetE1EEEvT1_ ; -- Begin function _ZN7rocprim17ROCPRIM_400000_NS6detail17trampoline_kernelINS0_14default_configENS1_25transform_config_selectorIhLb1EEEZNS1_14transform_implILb1ES3_S5_PhS7_NS0_8identityIhEEEE10hipError_tT2_T3_mT4_P12ihipStream_tbEUlT_E_NS1_11comp_targetILNS1_3genE8ELNS1_11target_archE1030ELNS1_3gpuE2ELNS1_3repE0EEENS1_30default_config_static_selectorELNS0_4arch9wavefront6targetE1EEEvT1_
	.globl	_ZN7rocprim17ROCPRIM_400000_NS6detail17trampoline_kernelINS0_14default_configENS1_25transform_config_selectorIhLb1EEEZNS1_14transform_implILb1ES3_S5_PhS7_NS0_8identityIhEEEE10hipError_tT2_T3_mT4_P12ihipStream_tbEUlT_E_NS1_11comp_targetILNS1_3genE8ELNS1_11target_archE1030ELNS1_3gpuE2ELNS1_3repE0EEENS1_30default_config_static_selectorELNS0_4arch9wavefront6targetE1EEEvT1_
	.p2align	8
	.type	_ZN7rocprim17ROCPRIM_400000_NS6detail17trampoline_kernelINS0_14default_configENS1_25transform_config_selectorIhLb1EEEZNS1_14transform_implILb1ES3_S5_PhS7_NS0_8identityIhEEEE10hipError_tT2_T3_mT4_P12ihipStream_tbEUlT_E_NS1_11comp_targetILNS1_3genE8ELNS1_11target_archE1030ELNS1_3gpuE2ELNS1_3repE0EEENS1_30default_config_static_selectorELNS0_4arch9wavefront6targetE1EEEvT1_,@function
_ZN7rocprim17ROCPRIM_400000_NS6detail17trampoline_kernelINS0_14default_configENS1_25transform_config_selectorIhLb1EEEZNS1_14transform_implILb1ES3_S5_PhS7_NS0_8identityIhEEEE10hipError_tT2_T3_mT4_P12ihipStream_tbEUlT_E_NS1_11comp_targetILNS1_3genE8ELNS1_11target_archE1030ELNS1_3gpuE2ELNS1_3repE0EEENS1_30default_config_static_selectorELNS0_4arch9wavefront6targetE1EEEvT1_: ; @_ZN7rocprim17ROCPRIM_400000_NS6detail17trampoline_kernelINS0_14default_configENS1_25transform_config_selectorIhLb1EEEZNS1_14transform_implILb1ES3_S5_PhS7_NS0_8identityIhEEEE10hipError_tT2_T3_mT4_P12ihipStream_tbEUlT_E_NS1_11comp_targetILNS1_3genE8ELNS1_11target_archE1030ELNS1_3gpuE2ELNS1_3repE0EEENS1_30default_config_static_selectorELNS0_4arch9wavefront6targetE1EEEvT1_
; %bb.0:
	.section	.rodata,"a",@progbits
	.p2align	6, 0x0
	.amdhsa_kernel _ZN7rocprim17ROCPRIM_400000_NS6detail17trampoline_kernelINS0_14default_configENS1_25transform_config_selectorIhLb1EEEZNS1_14transform_implILb1ES3_S5_PhS7_NS0_8identityIhEEEE10hipError_tT2_T3_mT4_P12ihipStream_tbEUlT_E_NS1_11comp_targetILNS1_3genE8ELNS1_11target_archE1030ELNS1_3gpuE2ELNS1_3repE0EEENS1_30default_config_static_selectorELNS0_4arch9wavefront6targetE1EEEvT1_
		.amdhsa_group_segment_fixed_size 0
		.amdhsa_private_segment_fixed_size 0
		.amdhsa_kernarg_size 40
		.amdhsa_user_sgpr_count 6
		.amdhsa_user_sgpr_private_segment_buffer 1
		.amdhsa_user_sgpr_dispatch_ptr 0
		.amdhsa_user_sgpr_queue_ptr 0
		.amdhsa_user_sgpr_kernarg_segment_ptr 1
		.amdhsa_user_sgpr_dispatch_id 0
		.amdhsa_user_sgpr_flat_scratch_init 0
		.amdhsa_user_sgpr_kernarg_preload_length 0
		.amdhsa_user_sgpr_kernarg_preload_offset 0
		.amdhsa_user_sgpr_private_segment_size 0
		.amdhsa_uses_dynamic_stack 0
		.amdhsa_system_sgpr_private_segment_wavefront_offset 0
		.amdhsa_system_sgpr_workgroup_id_x 1
		.amdhsa_system_sgpr_workgroup_id_y 0
		.amdhsa_system_sgpr_workgroup_id_z 0
		.amdhsa_system_sgpr_workgroup_info 0
		.amdhsa_system_vgpr_workitem_id 0
		.amdhsa_next_free_vgpr 1
		.amdhsa_next_free_sgpr 0
		.amdhsa_accum_offset 4
		.amdhsa_reserve_vcc 0
		.amdhsa_reserve_flat_scratch 0
		.amdhsa_float_round_mode_32 0
		.amdhsa_float_round_mode_16_64 0
		.amdhsa_float_denorm_mode_32 3
		.amdhsa_float_denorm_mode_16_64 3
		.amdhsa_dx10_clamp 1
		.amdhsa_ieee_mode 1
		.amdhsa_fp16_overflow 0
		.amdhsa_tg_split 0
		.amdhsa_exception_fp_ieee_invalid_op 0
		.amdhsa_exception_fp_denorm_src 0
		.amdhsa_exception_fp_ieee_div_zero 0
		.amdhsa_exception_fp_ieee_overflow 0
		.amdhsa_exception_fp_ieee_underflow 0
		.amdhsa_exception_fp_ieee_inexact 0
		.amdhsa_exception_int_div_zero 0
	.end_amdhsa_kernel
	.section	.text._ZN7rocprim17ROCPRIM_400000_NS6detail17trampoline_kernelINS0_14default_configENS1_25transform_config_selectorIhLb1EEEZNS1_14transform_implILb1ES3_S5_PhS7_NS0_8identityIhEEEE10hipError_tT2_T3_mT4_P12ihipStream_tbEUlT_E_NS1_11comp_targetILNS1_3genE8ELNS1_11target_archE1030ELNS1_3gpuE2ELNS1_3repE0EEENS1_30default_config_static_selectorELNS0_4arch9wavefront6targetE1EEEvT1_,"axG",@progbits,_ZN7rocprim17ROCPRIM_400000_NS6detail17trampoline_kernelINS0_14default_configENS1_25transform_config_selectorIhLb1EEEZNS1_14transform_implILb1ES3_S5_PhS7_NS0_8identityIhEEEE10hipError_tT2_T3_mT4_P12ihipStream_tbEUlT_E_NS1_11comp_targetILNS1_3genE8ELNS1_11target_archE1030ELNS1_3gpuE2ELNS1_3repE0EEENS1_30default_config_static_selectorELNS0_4arch9wavefront6targetE1EEEvT1_,comdat
.Lfunc_end277:
	.size	_ZN7rocprim17ROCPRIM_400000_NS6detail17trampoline_kernelINS0_14default_configENS1_25transform_config_selectorIhLb1EEEZNS1_14transform_implILb1ES3_S5_PhS7_NS0_8identityIhEEEE10hipError_tT2_T3_mT4_P12ihipStream_tbEUlT_E_NS1_11comp_targetILNS1_3genE8ELNS1_11target_archE1030ELNS1_3gpuE2ELNS1_3repE0EEENS1_30default_config_static_selectorELNS0_4arch9wavefront6targetE1EEEvT1_, .Lfunc_end277-_ZN7rocprim17ROCPRIM_400000_NS6detail17trampoline_kernelINS0_14default_configENS1_25transform_config_selectorIhLb1EEEZNS1_14transform_implILb1ES3_S5_PhS7_NS0_8identityIhEEEE10hipError_tT2_T3_mT4_P12ihipStream_tbEUlT_E_NS1_11comp_targetILNS1_3genE8ELNS1_11target_archE1030ELNS1_3gpuE2ELNS1_3repE0EEENS1_30default_config_static_selectorELNS0_4arch9wavefront6targetE1EEEvT1_
                                        ; -- End function
	.section	.AMDGPU.csdata,"",@progbits
; Kernel info:
; codeLenInByte = 0
; NumSgprs: 4
; NumVgprs: 0
; NumAgprs: 0
; TotalNumVgprs: 0
; ScratchSize: 0
; MemoryBound: 0
; FloatMode: 240
; IeeeMode: 1
; LDSByteSize: 0 bytes/workgroup (compile time only)
; SGPRBlocks: 0
; VGPRBlocks: 0
; NumSGPRsForWavesPerEU: 4
; NumVGPRsForWavesPerEU: 1
; AccumOffset: 4
; Occupancy: 8
; WaveLimiterHint : 0
; COMPUTE_PGM_RSRC2:SCRATCH_EN: 0
; COMPUTE_PGM_RSRC2:USER_SGPR: 6
; COMPUTE_PGM_RSRC2:TRAP_HANDLER: 0
; COMPUTE_PGM_RSRC2:TGID_X_EN: 1
; COMPUTE_PGM_RSRC2:TGID_Y_EN: 0
; COMPUTE_PGM_RSRC2:TGID_Z_EN: 0
; COMPUTE_PGM_RSRC2:TIDIG_COMP_CNT: 0
; COMPUTE_PGM_RSRC3_GFX90A:ACCUM_OFFSET: 0
; COMPUTE_PGM_RSRC3_GFX90A:TG_SPLIT: 0
	.section	.text._ZN7rocprim17ROCPRIM_400000_NS6detail17trampoline_kernelINS0_14default_configENS1_38merge_sort_block_merge_config_selectorIhNS0_10empty_typeEEEZZNS1_27merge_sort_block_merge_implIS3_PhPS5_jNS1_19radix_merge_compareILb0ELb1EhNS0_19identity_decomposerEEEEE10hipError_tT0_T1_T2_jT3_P12ihipStream_tbPNSt15iterator_traitsISE_E10value_typeEPNSK_ISF_E10value_typeEPSG_NS1_7vsmem_tEENKUlT_SE_SF_SG_E_clIS8_S8_S9_S9_EESD_ST_SE_SF_SG_EUlST_E_NS1_11comp_targetILNS1_3genE0ELNS1_11target_archE4294967295ELNS1_3gpuE0ELNS1_3repE0EEENS1_48merge_mergepath_partition_config_static_selectorELNS0_4arch9wavefront6targetE1EEEvSF_,"axG",@progbits,_ZN7rocprim17ROCPRIM_400000_NS6detail17trampoline_kernelINS0_14default_configENS1_38merge_sort_block_merge_config_selectorIhNS0_10empty_typeEEEZZNS1_27merge_sort_block_merge_implIS3_PhPS5_jNS1_19radix_merge_compareILb0ELb1EhNS0_19identity_decomposerEEEEE10hipError_tT0_T1_T2_jT3_P12ihipStream_tbPNSt15iterator_traitsISE_E10value_typeEPNSK_ISF_E10value_typeEPSG_NS1_7vsmem_tEENKUlT_SE_SF_SG_E_clIS8_S8_S9_S9_EESD_ST_SE_SF_SG_EUlST_E_NS1_11comp_targetILNS1_3genE0ELNS1_11target_archE4294967295ELNS1_3gpuE0ELNS1_3repE0EEENS1_48merge_mergepath_partition_config_static_selectorELNS0_4arch9wavefront6targetE1EEEvSF_,comdat
	.protected	_ZN7rocprim17ROCPRIM_400000_NS6detail17trampoline_kernelINS0_14default_configENS1_38merge_sort_block_merge_config_selectorIhNS0_10empty_typeEEEZZNS1_27merge_sort_block_merge_implIS3_PhPS5_jNS1_19radix_merge_compareILb0ELb1EhNS0_19identity_decomposerEEEEE10hipError_tT0_T1_T2_jT3_P12ihipStream_tbPNSt15iterator_traitsISE_E10value_typeEPNSK_ISF_E10value_typeEPSG_NS1_7vsmem_tEENKUlT_SE_SF_SG_E_clIS8_S8_S9_S9_EESD_ST_SE_SF_SG_EUlST_E_NS1_11comp_targetILNS1_3genE0ELNS1_11target_archE4294967295ELNS1_3gpuE0ELNS1_3repE0EEENS1_48merge_mergepath_partition_config_static_selectorELNS0_4arch9wavefront6targetE1EEEvSF_ ; -- Begin function _ZN7rocprim17ROCPRIM_400000_NS6detail17trampoline_kernelINS0_14default_configENS1_38merge_sort_block_merge_config_selectorIhNS0_10empty_typeEEEZZNS1_27merge_sort_block_merge_implIS3_PhPS5_jNS1_19radix_merge_compareILb0ELb1EhNS0_19identity_decomposerEEEEE10hipError_tT0_T1_T2_jT3_P12ihipStream_tbPNSt15iterator_traitsISE_E10value_typeEPNSK_ISF_E10value_typeEPSG_NS1_7vsmem_tEENKUlT_SE_SF_SG_E_clIS8_S8_S9_S9_EESD_ST_SE_SF_SG_EUlST_E_NS1_11comp_targetILNS1_3genE0ELNS1_11target_archE4294967295ELNS1_3gpuE0ELNS1_3repE0EEENS1_48merge_mergepath_partition_config_static_selectorELNS0_4arch9wavefront6targetE1EEEvSF_
	.globl	_ZN7rocprim17ROCPRIM_400000_NS6detail17trampoline_kernelINS0_14default_configENS1_38merge_sort_block_merge_config_selectorIhNS0_10empty_typeEEEZZNS1_27merge_sort_block_merge_implIS3_PhPS5_jNS1_19radix_merge_compareILb0ELb1EhNS0_19identity_decomposerEEEEE10hipError_tT0_T1_T2_jT3_P12ihipStream_tbPNSt15iterator_traitsISE_E10value_typeEPNSK_ISF_E10value_typeEPSG_NS1_7vsmem_tEENKUlT_SE_SF_SG_E_clIS8_S8_S9_S9_EESD_ST_SE_SF_SG_EUlST_E_NS1_11comp_targetILNS1_3genE0ELNS1_11target_archE4294967295ELNS1_3gpuE0ELNS1_3repE0EEENS1_48merge_mergepath_partition_config_static_selectorELNS0_4arch9wavefront6targetE1EEEvSF_
	.p2align	8
	.type	_ZN7rocprim17ROCPRIM_400000_NS6detail17trampoline_kernelINS0_14default_configENS1_38merge_sort_block_merge_config_selectorIhNS0_10empty_typeEEEZZNS1_27merge_sort_block_merge_implIS3_PhPS5_jNS1_19radix_merge_compareILb0ELb1EhNS0_19identity_decomposerEEEEE10hipError_tT0_T1_T2_jT3_P12ihipStream_tbPNSt15iterator_traitsISE_E10value_typeEPNSK_ISF_E10value_typeEPSG_NS1_7vsmem_tEENKUlT_SE_SF_SG_E_clIS8_S8_S9_S9_EESD_ST_SE_SF_SG_EUlST_E_NS1_11comp_targetILNS1_3genE0ELNS1_11target_archE4294967295ELNS1_3gpuE0ELNS1_3repE0EEENS1_48merge_mergepath_partition_config_static_selectorELNS0_4arch9wavefront6targetE1EEEvSF_,@function
_ZN7rocprim17ROCPRIM_400000_NS6detail17trampoline_kernelINS0_14default_configENS1_38merge_sort_block_merge_config_selectorIhNS0_10empty_typeEEEZZNS1_27merge_sort_block_merge_implIS3_PhPS5_jNS1_19radix_merge_compareILb0ELb1EhNS0_19identity_decomposerEEEEE10hipError_tT0_T1_T2_jT3_P12ihipStream_tbPNSt15iterator_traitsISE_E10value_typeEPNSK_ISF_E10value_typeEPSG_NS1_7vsmem_tEENKUlT_SE_SF_SG_E_clIS8_S8_S9_S9_EESD_ST_SE_SF_SG_EUlST_E_NS1_11comp_targetILNS1_3genE0ELNS1_11target_archE4294967295ELNS1_3gpuE0ELNS1_3repE0EEENS1_48merge_mergepath_partition_config_static_selectorELNS0_4arch9wavefront6targetE1EEEvSF_: ; @_ZN7rocprim17ROCPRIM_400000_NS6detail17trampoline_kernelINS0_14default_configENS1_38merge_sort_block_merge_config_selectorIhNS0_10empty_typeEEEZZNS1_27merge_sort_block_merge_implIS3_PhPS5_jNS1_19radix_merge_compareILb0ELb1EhNS0_19identity_decomposerEEEEE10hipError_tT0_T1_T2_jT3_P12ihipStream_tbPNSt15iterator_traitsISE_E10value_typeEPNSK_ISF_E10value_typeEPSG_NS1_7vsmem_tEENKUlT_SE_SF_SG_E_clIS8_S8_S9_S9_EESD_ST_SE_SF_SG_EUlST_E_NS1_11comp_targetILNS1_3genE0ELNS1_11target_archE4294967295ELNS1_3gpuE0ELNS1_3repE0EEENS1_48merge_mergepath_partition_config_static_selectorELNS0_4arch9wavefront6targetE1EEEvSF_
; %bb.0:
	.section	.rodata,"a",@progbits
	.p2align	6, 0x0
	.amdhsa_kernel _ZN7rocprim17ROCPRIM_400000_NS6detail17trampoline_kernelINS0_14default_configENS1_38merge_sort_block_merge_config_selectorIhNS0_10empty_typeEEEZZNS1_27merge_sort_block_merge_implIS3_PhPS5_jNS1_19radix_merge_compareILb0ELb1EhNS0_19identity_decomposerEEEEE10hipError_tT0_T1_T2_jT3_P12ihipStream_tbPNSt15iterator_traitsISE_E10value_typeEPNSK_ISF_E10value_typeEPSG_NS1_7vsmem_tEENKUlT_SE_SF_SG_E_clIS8_S8_S9_S9_EESD_ST_SE_SF_SG_EUlST_E_NS1_11comp_targetILNS1_3genE0ELNS1_11target_archE4294967295ELNS1_3gpuE0ELNS1_3repE0EEENS1_48merge_mergepath_partition_config_static_selectorELNS0_4arch9wavefront6targetE1EEEvSF_
		.amdhsa_group_segment_fixed_size 0
		.amdhsa_private_segment_fixed_size 0
		.amdhsa_kernarg_size 40
		.amdhsa_user_sgpr_count 6
		.amdhsa_user_sgpr_private_segment_buffer 1
		.amdhsa_user_sgpr_dispatch_ptr 0
		.amdhsa_user_sgpr_queue_ptr 0
		.amdhsa_user_sgpr_kernarg_segment_ptr 1
		.amdhsa_user_sgpr_dispatch_id 0
		.amdhsa_user_sgpr_flat_scratch_init 0
		.amdhsa_user_sgpr_kernarg_preload_length 0
		.amdhsa_user_sgpr_kernarg_preload_offset 0
		.amdhsa_user_sgpr_private_segment_size 0
		.amdhsa_uses_dynamic_stack 0
		.amdhsa_system_sgpr_private_segment_wavefront_offset 0
		.amdhsa_system_sgpr_workgroup_id_x 1
		.amdhsa_system_sgpr_workgroup_id_y 0
		.amdhsa_system_sgpr_workgroup_id_z 0
		.amdhsa_system_sgpr_workgroup_info 0
		.amdhsa_system_vgpr_workitem_id 0
		.amdhsa_next_free_vgpr 1
		.amdhsa_next_free_sgpr 0
		.amdhsa_accum_offset 4
		.amdhsa_reserve_vcc 0
		.amdhsa_reserve_flat_scratch 0
		.amdhsa_float_round_mode_32 0
		.amdhsa_float_round_mode_16_64 0
		.amdhsa_float_denorm_mode_32 3
		.amdhsa_float_denorm_mode_16_64 3
		.amdhsa_dx10_clamp 1
		.amdhsa_ieee_mode 1
		.amdhsa_fp16_overflow 0
		.amdhsa_tg_split 0
		.amdhsa_exception_fp_ieee_invalid_op 0
		.amdhsa_exception_fp_denorm_src 0
		.amdhsa_exception_fp_ieee_div_zero 0
		.amdhsa_exception_fp_ieee_overflow 0
		.amdhsa_exception_fp_ieee_underflow 0
		.amdhsa_exception_fp_ieee_inexact 0
		.amdhsa_exception_int_div_zero 0
	.end_amdhsa_kernel
	.section	.text._ZN7rocprim17ROCPRIM_400000_NS6detail17trampoline_kernelINS0_14default_configENS1_38merge_sort_block_merge_config_selectorIhNS0_10empty_typeEEEZZNS1_27merge_sort_block_merge_implIS3_PhPS5_jNS1_19radix_merge_compareILb0ELb1EhNS0_19identity_decomposerEEEEE10hipError_tT0_T1_T2_jT3_P12ihipStream_tbPNSt15iterator_traitsISE_E10value_typeEPNSK_ISF_E10value_typeEPSG_NS1_7vsmem_tEENKUlT_SE_SF_SG_E_clIS8_S8_S9_S9_EESD_ST_SE_SF_SG_EUlST_E_NS1_11comp_targetILNS1_3genE0ELNS1_11target_archE4294967295ELNS1_3gpuE0ELNS1_3repE0EEENS1_48merge_mergepath_partition_config_static_selectorELNS0_4arch9wavefront6targetE1EEEvSF_,"axG",@progbits,_ZN7rocprim17ROCPRIM_400000_NS6detail17trampoline_kernelINS0_14default_configENS1_38merge_sort_block_merge_config_selectorIhNS0_10empty_typeEEEZZNS1_27merge_sort_block_merge_implIS3_PhPS5_jNS1_19radix_merge_compareILb0ELb1EhNS0_19identity_decomposerEEEEE10hipError_tT0_T1_T2_jT3_P12ihipStream_tbPNSt15iterator_traitsISE_E10value_typeEPNSK_ISF_E10value_typeEPSG_NS1_7vsmem_tEENKUlT_SE_SF_SG_E_clIS8_S8_S9_S9_EESD_ST_SE_SF_SG_EUlST_E_NS1_11comp_targetILNS1_3genE0ELNS1_11target_archE4294967295ELNS1_3gpuE0ELNS1_3repE0EEENS1_48merge_mergepath_partition_config_static_selectorELNS0_4arch9wavefront6targetE1EEEvSF_,comdat
.Lfunc_end278:
	.size	_ZN7rocprim17ROCPRIM_400000_NS6detail17trampoline_kernelINS0_14default_configENS1_38merge_sort_block_merge_config_selectorIhNS0_10empty_typeEEEZZNS1_27merge_sort_block_merge_implIS3_PhPS5_jNS1_19radix_merge_compareILb0ELb1EhNS0_19identity_decomposerEEEEE10hipError_tT0_T1_T2_jT3_P12ihipStream_tbPNSt15iterator_traitsISE_E10value_typeEPNSK_ISF_E10value_typeEPSG_NS1_7vsmem_tEENKUlT_SE_SF_SG_E_clIS8_S8_S9_S9_EESD_ST_SE_SF_SG_EUlST_E_NS1_11comp_targetILNS1_3genE0ELNS1_11target_archE4294967295ELNS1_3gpuE0ELNS1_3repE0EEENS1_48merge_mergepath_partition_config_static_selectorELNS0_4arch9wavefront6targetE1EEEvSF_, .Lfunc_end278-_ZN7rocprim17ROCPRIM_400000_NS6detail17trampoline_kernelINS0_14default_configENS1_38merge_sort_block_merge_config_selectorIhNS0_10empty_typeEEEZZNS1_27merge_sort_block_merge_implIS3_PhPS5_jNS1_19radix_merge_compareILb0ELb1EhNS0_19identity_decomposerEEEEE10hipError_tT0_T1_T2_jT3_P12ihipStream_tbPNSt15iterator_traitsISE_E10value_typeEPNSK_ISF_E10value_typeEPSG_NS1_7vsmem_tEENKUlT_SE_SF_SG_E_clIS8_S8_S9_S9_EESD_ST_SE_SF_SG_EUlST_E_NS1_11comp_targetILNS1_3genE0ELNS1_11target_archE4294967295ELNS1_3gpuE0ELNS1_3repE0EEENS1_48merge_mergepath_partition_config_static_selectorELNS0_4arch9wavefront6targetE1EEEvSF_
                                        ; -- End function
	.section	.AMDGPU.csdata,"",@progbits
; Kernel info:
; codeLenInByte = 0
; NumSgprs: 4
; NumVgprs: 0
; NumAgprs: 0
; TotalNumVgprs: 0
; ScratchSize: 0
; MemoryBound: 0
; FloatMode: 240
; IeeeMode: 1
; LDSByteSize: 0 bytes/workgroup (compile time only)
; SGPRBlocks: 0
; VGPRBlocks: 0
; NumSGPRsForWavesPerEU: 4
; NumVGPRsForWavesPerEU: 1
; AccumOffset: 4
; Occupancy: 8
; WaveLimiterHint : 0
; COMPUTE_PGM_RSRC2:SCRATCH_EN: 0
; COMPUTE_PGM_RSRC2:USER_SGPR: 6
; COMPUTE_PGM_RSRC2:TRAP_HANDLER: 0
; COMPUTE_PGM_RSRC2:TGID_X_EN: 1
; COMPUTE_PGM_RSRC2:TGID_Y_EN: 0
; COMPUTE_PGM_RSRC2:TGID_Z_EN: 0
; COMPUTE_PGM_RSRC2:TIDIG_COMP_CNT: 0
; COMPUTE_PGM_RSRC3_GFX90A:ACCUM_OFFSET: 0
; COMPUTE_PGM_RSRC3_GFX90A:TG_SPLIT: 0
	.section	.text._ZN7rocprim17ROCPRIM_400000_NS6detail17trampoline_kernelINS0_14default_configENS1_38merge_sort_block_merge_config_selectorIhNS0_10empty_typeEEEZZNS1_27merge_sort_block_merge_implIS3_PhPS5_jNS1_19radix_merge_compareILb0ELb1EhNS0_19identity_decomposerEEEEE10hipError_tT0_T1_T2_jT3_P12ihipStream_tbPNSt15iterator_traitsISE_E10value_typeEPNSK_ISF_E10value_typeEPSG_NS1_7vsmem_tEENKUlT_SE_SF_SG_E_clIS8_S8_S9_S9_EESD_ST_SE_SF_SG_EUlST_E_NS1_11comp_targetILNS1_3genE10ELNS1_11target_archE1201ELNS1_3gpuE5ELNS1_3repE0EEENS1_48merge_mergepath_partition_config_static_selectorELNS0_4arch9wavefront6targetE1EEEvSF_,"axG",@progbits,_ZN7rocprim17ROCPRIM_400000_NS6detail17trampoline_kernelINS0_14default_configENS1_38merge_sort_block_merge_config_selectorIhNS0_10empty_typeEEEZZNS1_27merge_sort_block_merge_implIS3_PhPS5_jNS1_19radix_merge_compareILb0ELb1EhNS0_19identity_decomposerEEEEE10hipError_tT0_T1_T2_jT3_P12ihipStream_tbPNSt15iterator_traitsISE_E10value_typeEPNSK_ISF_E10value_typeEPSG_NS1_7vsmem_tEENKUlT_SE_SF_SG_E_clIS8_S8_S9_S9_EESD_ST_SE_SF_SG_EUlST_E_NS1_11comp_targetILNS1_3genE10ELNS1_11target_archE1201ELNS1_3gpuE5ELNS1_3repE0EEENS1_48merge_mergepath_partition_config_static_selectorELNS0_4arch9wavefront6targetE1EEEvSF_,comdat
	.protected	_ZN7rocprim17ROCPRIM_400000_NS6detail17trampoline_kernelINS0_14default_configENS1_38merge_sort_block_merge_config_selectorIhNS0_10empty_typeEEEZZNS1_27merge_sort_block_merge_implIS3_PhPS5_jNS1_19radix_merge_compareILb0ELb1EhNS0_19identity_decomposerEEEEE10hipError_tT0_T1_T2_jT3_P12ihipStream_tbPNSt15iterator_traitsISE_E10value_typeEPNSK_ISF_E10value_typeEPSG_NS1_7vsmem_tEENKUlT_SE_SF_SG_E_clIS8_S8_S9_S9_EESD_ST_SE_SF_SG_EUlST_E_NS1_11comp_targetILNS1_3genE10ELNS1_11target_archE1201ELNS1_3gpuE5ELNS1_3repE0EEENS1_48merge_mergepath_partition_config_static_selectorELNS0_4arch9wavefront6targetE1EEEvSF_ ; -- Begin function _ZN7rocprim17ROCPRIM_400000_NS6detail17trampoline_kernelINS0_14default_configENS1_38merge_sort_block_merge_config_selectorIhNS0_10empty_typeEEEZZNS1_27merge_sort_block_merge_implIS3_PhPS5_jNS1_19radix_merge_compareILb0ELb1EhNS0_19identity_decomposerEEEEE10hipError_tT0_T1_T2_jT3_P12ihipStream_tbPNSt15iterator_traitsISE_E10value_typeEPNSK_ISF_E10value_typeEPSG_NS1_7vsmem_tEENKUlT_SE_SF_SG_E_clIS8_S8_S9_S9_EESD_ST_SE_SF_SG_EUlST_E_NS1_11comp_targetILNS1_3genE10ELNS1_11target_archE1201ELNS1_3gpuE5ELNS1_3repE0EEENS1_48merge_mergepath_partition_config_static_selectorELNS0_4arch9wavefront6targetE1EEEvSF_
	.globl	_ZN7rocprim17ROCPRIM_400000_NS6detail17trampoline_kernelINS0_14default_configENS1_38merge_sort_block_merge_config_selectorIhNS0_10empty_typeEEEZZNS1_27merge_sort_block_merge_implIS3_PhPS5_jNS1_19radix_merge_compareILb0ELb1EhNS0_19identity_decomposerEEEEE10hipError_tT0_T1_T2_jT3_P12ihipStream_tbPNSt15iterator_traitsISE_E10value_typeEPNSK_ISF_E10value_typeEPSG_NS1_7vsmem_tEENKUlT_SE_SF_SG_E_clIS8_S8_S9_S9_EESD_ST_SE_SF_SG_EUlST_E_NS1_11comp_targetILNS1_3genE10ELNS1_11target_archE1201ELNS1_3gpuE5ELNS1_3repE0EEENS1_48merge_mergepath_partition_config_static_selectorELNS0_4arch9wavefront6targetE1EEEvSF_
	.p2align	8
	.type	_ZN7rocprim17ROCPRIM_400000_NS6detail17trampoline_kernelINS0_14default_configENS1_38merge_sort_block_merge_config_selectorIhNS0_10empty_typeEEEZZNS1_27merge_sort_block_merge_implIS3_PhPS5_jNS1_19radix_merge_compareILb0ELb1EhNS0_19identity_decomposerEEEEE10hipError_tT0_T1_T2_jT3_P12ihipStream_tbPNSt15iterator_traitsISE_E10value_typeEPNSK_ISF_E10value_typeEPSG_NS1_7vsmem_tEENKUlT_SE_SF_SG_E_clIS8_S8_S9_S9_EESD_ST_SE_SF_SG_EUlST_E_NS1_11comp_targetILNS1_3genE10ELNS1_11target_archE1201ELNS1_3gpuE5ELNS1_3repE0EEENS1_48merge_mergepath_partition_config_static_selectorELNS0_4arch9wavefront6targetE1EEEvSF_,@function
_ZN7rocprim17ROCPRIM_400000_NS6detail17trampoline_kernelINS0_14default_configENS1_38merge_sort_block_merge_config_selectorIhNS0_10empty_typeEEEZZNS1_27merge_sort_block_merge_implIS3_PhPS5_jNS1_19radix_merge_compareILb0ELb1EhNS0_19identity_decomposerEEEEE10hipError_tT0_T1_T2_jT3_P12ihipStream_tbPNSt15iterator_traitsISE_E10value_typeEPNSK_ISF_E10value_typeEPSG_NS1_7vsmem_tEENKUlT_SE_SF_SG_E_clIS8_S8_S9_S9_EESD_ST_SE_SF_SG_EUlST_E_NS1_11comp_targetILNS1_3genE10ELNS1_11target_archE1201ELNS1_3gpuE5ELNS1_3repE0EEENS1_48merge_mergepath_partition_config_static_selectorELNS0_4arch9wavefront6targetE1EEEvSF_: ; @_ZN7rocprim17ROCPRIM_400000_NS6detail17trampoline_kernelINS0_14default_configENS1_38merge_sort_block_merge_config_selectorIhNS0_10empty_typeEEEZZNS1_27merge_sort_block_merge_implIS3_PhPS5_jNS1_19radix_merge_compareILb0ELb1EhNS0_19identity_decomposerEEEEE10hipError_tT0_T1_T2_jT3_P12ihipStream_tbPNSt15iterator_traitsISE_E10value_typeEPNSK_ISF_E10value_typeEPSG_NS1_7vsmem_tEENKUlT_SE_SF_SG_E_clIS8_S8_S9_S9_EESD_ST_SE_SF_SG_EUlST_E_NS1_11comp_targetILNS1_3genE10ELNS1_11target_archE1201ELNS1_3gpuE5ELNS1_3repE0EEENS1_48merge_mergepath_partition_config_static_selectorELNS0_4arch9wavefront6targetE1EEEvSF_
; %bb.0:
	.section	.rodata,"a",@progbits
	.p2align	6, 0x0
	.amdhsa_kernel _ZN7rocprim17ROCPRIM_400000_NS6detail17trampoline_kernelINS0_14default_configENS1_38merge_sort_block_merge_config_selectorIhNS0_10empty_typeEEEZZNS1_27merge_sort_block_merge_implIS3_PhPS5_jNS1_19radix_merge_compareILb0ELb1EhNS0_19identity_decomposerEEEEE10hipError_tT0_T1_T2_jT3_P12ihipStream_tbPNSt15iterator_traitsISE_E10value_typeEPNSK_ISF_E10value_typeEPSG_NS1_7vsmem_tEENKUlT_SE_SF_SG_E_clIS8_S8_S9_S9_EESD_ST_SE_SF_SG_EUlST_E_NS1_11comp_targetILNS1_3genE10ELNS1_11target_archE1201ELNS1_3gpuE5ELNS1_3repE0EEENS1_48merge_mergepath_partition_config_static_selectorELNS0_4arch9wavefront6targetE1EEEvSF_
		.amdhsa_group_segment_fixed_size 0
		.amdhsa_private_segment_fixed_size 0
		.amdhsa_kernarg_size 40
		.amdhsa_user_sgpr_count 6
		.amdhsa_user_sgpr_private_segment_buffer 1
		.amdhsa_user_sgpr_dispatch_ptr 0
		.amdhsa_user_sgpr_queue_ptr 0
		.amdhsa_user_sgpr_kernarg_segment_ptr 1
		.amdhsa_user_sgpr_dispatch_id 0
		.amdhsa_user_sgpr_flat_scratch_init 0
		.amdhsa_user_sgpr_kernarg_preload_length 0
		.amdhsa_user_sgpr_kernarg_preload_offset 0
		.amdhsa_user_sgpr_private_segment_size 0
		.amdhsa_uses_dynamic_stack 0
		.amdhsa_system_sgpr_private_segment_wavefront_offset 0
		.amdhsa_system_sgpr_workgroup_id_x 1
		.amdhsa_system_sgpr_workgroup_id_y 0
		.amdhsa_system_sgpr_workgroup_id_z 0
		.amdhsa_system_sgpr_workgroup_info 0
		.amdhsa_system_vgpr_workitem_id 0
		.amdhsa_next_free_vgpr 1
		.amdhsa_next_free_sgpr 0
		.amdhsa_accum_offset 4
		.amdhsa_reserve_vcc 0
		.amdhsa_reserve_flat_scratch 0
		.amdhsa_float_round_mode_32 0
		.amdhsa_float_round_mode_16_64 0
		.amdhsa_float_denorm_mode_32 3
		.amdhsa_float_denorm_mode_16_64 3
		.amdhsa_dx10_clamp 1
		.amdhsa_ieee_mode 1
		.amdhsa_fp16_overflow 0
		.amdhsa_tg_split 0
		.amdhsa_exception_fp_ieee_invalid_op 0
		.amdhsa_exception_fp_denorm_src 0
		.amdhsa_exception_fp_ieee_div_zero 0
		.amdhsa_exception_fp_ieee_overflow 0
		.amdhsa_exception_fp_ieee_underflow 0
		.amdhsa_exception_fp_ieee_inexact 0
		.amdhsa_exception_int_div_zero 0
	.end_amdhsa_kernel
	.section	.text._ZN7rocprim17ROCPRIM_400000_NS6detail17trampoline_kernelINS0_14default_configENS1_38merge_sort_block_merge_config_selectorIhNS0_10empty_typeEEEZZNS1_27merge_sort_block_merge_implIS3_PhPS5_jNS1_19radix_merge_compareILb0ELb1EhNS0_19identity_decomposerEEEEE10hipError_tT0_T1_T2_jT3_P12ihipStream_tbPNSt15iterator_traitsISE_E10value_typeEPNSK_ISF_E10value_typeEPSG_NS1_7vsmem_tEENKUlT_SE_SF_SG_E_clIS8_S8_S9_S9_EESD_ST_SE_SF_SG_EUlST_E_NS1_11comp_targetILNS1_3genE10ELNS1_11target_archE1201ELNS1_3gpuE5ELNS1_3repE0EEENS1_48merge_mergepath_partition_config_static_selectorELNS0_4arch9wavefront6targetE1EEEvSF_,"axG",@progbits,_ZN7rocprim17ROCPRIM_400000_NS6detail17trampoline_kernelINS0_14default_configENS1_38merge_sort_block_merge_config_selectorIhNS0_10empty_typeEEEZZNS1_27merge_sort_block_merge_implIS3_PhPS5_jNS1_19radix_merge_compareILb0ELb1EhNS0_19identity_decomposerEEEEE10hipError_tT0_T1_T2_jT3_P12ihipStream_tbPNSt15iterator_traitsISE_E10value_typeEPNSK_ISF_E10value_typeEPSG_NS1_7vsmem_tEENKUlT_SE_SF_SG_E_clIS8_S8_S9_S9_EESD_ST_SE_SF_SG_EUlST_E_NS1_11comp_targetILNS1_3genE10ELNS1_11target_archE1201ELNS1_3gpuE5ELNS1_3repE0EEENS1_48merge_mergepath_partition_config_static_selectorELNS0_4arch9wavefront6targetE1EEEvSF_,comdat
.Lfunc_end279:
	.size	_ZN7rocprim17ROCPRIM_400000_NS6detail17trampoline_kernelINS0_14default_configENS1_38merge_sort_block_merge_config_selectorIhNS0_10empty_typeEEEZZNS1_27merge_sort_block_merge_implIS3_PhPS5_jNS1_19radix_merge_compareILb0ELb1EhNS0_19identity_decomposerEEEEE10hipError_tT0_T1_T2_jT3_P12ihipStream_tbPNSt15iterator_traitsISE_E10value_typeEPNSK_ISF_E10value_typeEPSG_NS1_7vsmem_tEENKUlT_SE_SF_SG_E_clIS8_S8_S9_S9_EESD_ST_SE_SF_SG_EUlST_E_NS1_11comp_targetILNS1_3genE10ELNS1_11target_archE1201ELNS1_3gpuE5ELNS1_3repE0EEENS1_48merge_mergepath_partition_config_static_selectorELNS0_4arch9wavefront6targetE1EEEvSF_, .Lfunc_end279-_ZN7rocprim17ROCPRIM_400000_NS6detail17trampoline_kernelINS0_14default_configENS1_38merge_sort_block_merge_config_selectorIhNS0_10empty_typeEEEZZNS1_27merge_sort_block_merge_implIS3_PhPS5_jNS1_19radix_merge_compareILb0ELb1EhNS0_19identity_decomposerEEEEE10hipError_tT0_T1_T2_jT3_P12ihipStream_tbPNSt15iterator_traitsISE_E10value_typeEPNSK_ISF_E10value_typeEPSG_NS1_7vsmem_tEENKUlT_SE_SF_SG_E_clIS8_S8_S9_S9_EESD_ST_SE_SF_SG_EUlST_E_NS1_11comp_targetILNS1_3genE10ELNS1_11target_archE1201ELNS1_3gpuE5ELNS1_3repE0EEENS1_48merge_mergepath_partition_config_static_selectorELNS0_4arch9wavefront6targetE1EEEvSF_
                                        ; -- End function
	.section	.AMDGPU.csdata,"",@progbits
; Kernel info:
; codeLenInByte = 0
; NumSgprs: 4
; NumVgprs: 0
; NumAgprs: 0
; TotalNumVgprs: 0
; ScratchSize: 0
; MemoryBound: 0
; FloatMode: 240
; IeeeMode: 1
; LDSByteSize: 0 bytes/workgroup (compile time only)
; SGPRBlocks: 0
; VGPRBlocks: 0
; NumSGPRsForWavesPerEU: 4
; NumVGPRsForWavesPerEU: 1
; AccumOffset: 4
; Occupancy: 8
; WaveLimiterHint : 0
; COMPUTE_PGM_RSRC2:SCRATCH_EN: 0
; COMPUTE_PGM_RSRC2:USER_SGPR: 6
; COMPUTE_PGM_RSRC2:TRAP_HANDLER: 0
; COMPUTE_PGM_RSRC2:TGID_X_EN: 1
; COMPUTE_PGM_RSRC2:TGID_Y_EN: 0
; COMPUTE_PGM_RSRC2:TGID_Z_EN: 0
; COMPUTE_PGM_RSRC2:TIDIG_COMP_CNT: 0
; COMPUTE_PGM_RSRC3_GFX90A:ACCUM_OFFSET: 0
; COMPUTE_PGM_RSRC3_GFX90A:TG_SPLIT: 0
	.section	.text._ZN7rocprim17ROCPRIM_400000_NS6detail17trampoline_kernelINS0_14default_configENS1_38merge_sort_block_merge_config_selectorIhNS0_10empty_typeEEEZZNS1_27merge_sort_block_merge_implIS3_PhPS5_jNS1_19radix_merge_compareILb0ELb1EhNS0_19identity_decomposerEEEEE10hipError_tT0_T1_T2_jT3_P12ihipStream_tbPNSt15iterator_traitsISE_E10value_typeEPNSK_ISF_E10value_typeEPSG_NS1_7vsmem_tEENKUlT_SE_SF_SG_E_clIS8_S8_S9_S9_EESD_ST_SE_SF_SG_EUlST_E_NS1_11comp_targetILNS1_3genE5ELNS1_11target_archE942ELNS1_3gpuE9ELNS1_3repE0EEENS1_48merge_mergepath_partition_config_static_selectorELNS0_4arch9wavefront6targetE1EEEvSF_,"axG",@progbits,_ZN7rocprim17ROCPRIM_400000_NS6detail17trampoline_kernelINS0_14default_configENS1_38merge_sort_block_merge_config_selectorIhNS0_10empty_typeEEEZZNS1_27merge_sort_block_merge_implIS3_PhPS5_jNS1_19radix_merge_compareILb0ELb1EhNS0_19identity_decomposerEEEEE10hipError_tT0_T1_T2_jT3_P12ihipStream_tbPNSt15iterator_traitsISE_E10value_typeEPNSK_ISF_E10value_typeEPSG_NS1_7vsmem_tEENKUlT_SE_SF_SG_E_clIS8_S8_S9_S9_EESD_ST_SE_SF_SG_EUlST_E_NS1_11comp_targetILNS1_3genE5ELNS1_11target_archE942ELNS1_3gpuE9ELNS1_3repE0EEENS1_48merge_mergepath_partition_config_static_selectorELNS0_4arch9wavefront6targetE1EEEvSF_,comdat
	.protected	_ZN7rocprim17ROCPRIM_400000_NS6detail17trampoline_kernelINS0_14default_configENS1_38merge_sort_block_merge_config_selectorIhNS0_10empty_typeEEEZZNS1_27merge_sort_block_merge_implIS3_PhPS5_jNS1_19radix_merge_compareILb0ELb1EhNS0_19identity_decomposerEEEEE10hipError_tT0_T1_T2_jT3_P12ihipStream_tbPNSt15iterator_traitsISE_E10value_typeEPNSK_ISF_E10value_typeEPSG_NS1_7vsmem_tEENKUlT_SE_SF_SG_E_clIS8_S8_S9_S9_EESD_ST_SE_SF_SG_EUlST_E_NS1_11comp_targetILNS1_3genE5ELNS1_11target_archE942ELNS1_3gpuE9ELNS1_3repE0EEENS1_48merge_mergepath_partition_config_static_selectorELNS0_4arch9wavefront6targetE1EEEvSF_ ; -- Begin function _ZN7rocprim17ROCPRIM_400000_NS6detail17trampoline_kernelINS0_14default_configENS1_38merge_sort_block_merge_config_selectorIhNS0_10empty_typeEEEZZNS1_27merge_sort_block_merge_implIS3_PhPS5_jNS1_19radix_merge_compareILb0ELb1EhNS0_19identity_decomposerEEEEE10hipError_tT0_T1_T2_jT3_P12ihipStream_tbPNSt15iterator_traitsISE_E10value_typeEPNSK_ISF_E10value_typeEPSG_NS1_7vsmem_tEENKUlT_SE_SF_SG_E_clIS8_S8_S9_S9_EESD_ST_SE_SF_SG_EUlST_E_NS1_11comp_targetILNS1_3genE5ELNS1_11target_archE942ELNS1_3gpuE9ELNS1_3repE0EEENS1_48merge_mergepath_partition_config_static_selectorELNS0_4arch9wavefront6targetE1EEEvSF_
	.globl	_ZN7rocprim17ROCPRIM_400000_NS6detail17trampoline_kernelINS0_14default_configENS1_38merge_sort_block_merge_config_selectorIhNS0_10empty_typeEEEZZNS1_27merge_sort_block_merge_implIS3_PhPS5_jNS1_19radix_merge_compareILb0ELb1EhNS0_19identity_decomposerEEEEE10hipError_tT0_T1_T2_jT3_P12ihipStream_tbPNSt15iterator_traitsISE_E10value_typeEPNSK_ISF_E10value_typeEPSG_NS1_7vsmem_tEENKUlT_SE_SF_SG_E_clIS8_S8_S9_S9_EESD_ST_SE_SF_SG_EUlST_E_NS1_11comp_targetILNS1_3genE5ELNS1_11target_archE942ELNS1_3gpuE9ELNS1_3repE0EEENS1_48merge_mergepath_partition_config_static_selectorELNS0_4arch9wavefront6targetE1EEEvSF_
	.p2align	8
	.type	_ZN7rocprim17ROCPRIM_400000_NS6detail17trampoline_kernelINS0_14default_configENS1_38merge_sort_block_merge_config_selectorIhNS0_10empty_typeEEEZZNS1_27merge_sort_block_merge_implIS3_PhPS5_jNS1_19radix_merge_compareILb0ELb1EhNS0_19identity_decomposerEEEEE10hipError_tT0_T1_T2_jT3_P12ihipStream_tbPNSt15iterator_traitsISE_E10value_typeEPNSK_ISF_E10value_typeEPSG_NS1_7vsmem_tEENKUlT_SE_SF_SG_E_clIS8_S8_S9_S9_EESD_ST_SE_SF_SG_EUlST_E_NS1_11comp_targetILNS1_3genE5ELNS1_11target_archE942ELNS1_3gpuE9ELNS1_3repE0EEENS1_48merge_mergepath_partition_config_static_selectorELNS0_4arch9wavefront6targetE1EEEvSF_,@function
_ZN7rocprim17ROCPRIM_400000_NS6detail17trampoline_kernelINS0_14default_configENS1_38merge_sort_block_merge_config_selectorIhNS0_10empty_typeEEEZZNS1_27merge_sort_block_merge_implIS3_PhPS5_jNS1_19radix_merge_compareILb0ELb1EhNS0_19identity_decomposerEEEEE10hipError_tT0_T1_T2_jT3_P12ihipStream_tbPNSt15iterator_traitsISE_E10value_typeEPNSK_ISF_E10value_typeEPSG_NS1_7vsmem_tEENKUlT_SE_SF_SG_E_clIS8_S8_S9_S9_EESD_ST_SE_SF_SG_EUlST_E_NS1_11comp_targetILNS1_3genE5ELNS1_11target_archE942ELNS1_3gpuE9ELNS1_3repE0EEENS1_48merge_mergepath_partition_config_static_selectorELNS0_4arch9wavefront6targetE1EEEvSF_: ; @_ZN7rocprim17ROCPRIM_400000_NS6detail17trampoline_kernelINS0_14default_configENS1_38merge_sort_block_merge_config_selectorIhNS0_10empty_typeEEEZZNS1_27merge_sort_block_merge_implIS3_PhPS5_jNS1_19radix_merge_compareILb0ELb1EhNS0_19identity_decomposerEEEEE10hipError_tT0_T1_T2_jT3_P12ihipStream_tbPNSt15iterator_traitsISE_E10value_typeEPNSK_ISF_E10value_typeEPSG_NS1_7vsmem_tEENKUlT_SE_SF_SG_E_clIS8_S8_S9_S9_EESD_ST_SE_SF_SG_EUlST_E_NS1_11comp_targetILNS1_3genE5ELNS1_11target_archE942ELNS1_3gpuE9ELNS1_3repE0EEENS1_48merge_mergepath_partition_config_static_selectorELNS0_4arch9wavefront6targetE1EEEvSF_
; %bb.0:
	.section	.rodata,"a",@progbits
	.p2align	6, 0x0
	.amdhsa_kernel _ZN7rocprim17ROCPRIM_400000_NS6detail17trampoline_kernelINS0_14default_configENS1_38merge_sort_block_merge_config_selectorIhNS0_10empty_typeEEEZZNS1_27merge_sort_block_merge_implIS3_PhPS5_jNS1_19radix_merge_compareILb0ELb1EhNS0_19identity_decomposerEEEEE10hipError_tT0_T1_T2_jT3_P12ihipStream_tbPNSt15iterator_traitsISE_E10value_typeEPNSK_ISF_E10value_typeEPSG_NS1_7vsmem_tEENKUlT_SE_SF_SG_E_clIS8_S8_S9_S9_EESD_ST_SE_SF_SG_EUlST_E_NS1_11comp_targetILNS1_3genE5ELNS1_11target_archE942ELNS1_3gpuE9ELNS1_3repE0EEENS1_48merge_mergepath_partition_config_static_selectorELNS0_4arch9wavefront6targetE1EEEvSF_
		.amdhsa_group_segment_fixed_size 0
		.amdhsa_private_segment_fixed_size 0
		.amdhsa_kernarg_size 40
		.amdhsa_user_sgpr_count 6
		.amdhsa_user_sgpr_private_segment_buffer 1
		.amdhsa_user_sgpr_dispatch_ptr 0
		.amdhsa_user_sgpr_queue_ptr 0
		.amdhsa_user_sgpr_kernarg_segment_ptr 1
		.amdhsa_user_sgpr_dispatch_id 0
		.amdhsa_user_sgpr_flat_scratch_init 0
		.amdhsa_user_sgpr_kernarg_preload_length 0
		.amdhsa_user_sgpr_kernarg_preload_offset 0
		.amdhsa_user_sgpr_private_segment_size 0
		.amdhsa_uses_dynamic_stack 0
		.amdhsa_system_sgpr_private_segment_wavefront_offset 0
		.amdhsa_system_sgpr_workgroup_id_x 1
		.amdhsa_system_sgpr_workgroup_id_y 0
		.amdhsa_system_sgpr_workgroup_id_z 0
		.amdhsa_system_sgpr_workgroup_info 0
		.amdhsa_system_vgpr_workitem_id 0
		.amdhsa_next_free_vgpr 1
		.amdhsa_next_free_sgpr 0
		.amdhsa_accum_offset 4
		.amdhsa_reserve_vcc 0
		.amdhsa_reserve_flat_scratch 0
		.amdhsa_float_round_mode_32 0
		.amdhsa_float_round_mode_16_64 0
		.amdhsa_float_denorm_mode_32 3
		.amdhsa_float_denorm_mode_16_64 3
		.amdhsa_dx10_clamp 1
		.amdhsa_ieee_mode 1
		.amdhsa_fp16_overflow 0
		.amdhsa_tg_split 0
		.amdhsa_exception_fp_ieee_invalid_op 0
		.amdhsa_exception_fp_denorm_src 0
		.amdhsa_exception_fp_ieee_div_zero 0
		.amdhsa_exception_fp_ieee_overflow 0
		.amdhsa_exception_fp_ieee_underflow 0
		.amdhsa_exception_fp_ieee_inexact 0
		.amdhsa_exception_int_div_zero 0
	.end_amdhsa_kernel
	.section	.text._ZN7rocprim17ROCPRIM_400000_NS6detail17trampoline_kernelINS0_14default_configENS1_38merge_sort_block_merge_config_selectorIhNS0_10empty_typeEEEZZNS1_27merge_sort_block_merge_implIS3_PhPS5_jNS1_19radix_merge_compareILb0ELb1EhNS0_19identity_decomposerEEEEE10hipError_tT0_T1_T2_jT3_P12ihipStream_tbPNSt15iterator_traitsISE_E10value_typeEPNSK_ISF_E10value_typeEPSG_NS1_7vsmem_tEENKUlT_SE_SF_SG_E_clIS8_S8_S9_S9_EESD_ST_SE_SF_SG_EUlST_E_NS1_11comp_targetILNS1_3genE5ELNS1_11target_archE942ELNS1_3gpuE9ELNS1_3repE0EEENS1_48merge_mergepath_partition_config_static_selectorELNS0_4arch9wavefront6targetE1EEEvSF_,"axG",@progbits,_ZN7rocprim17ROCPRIM_400000_NS6detail17trampoline_kernelINS0_14default_configENS1_38merge_sort_block_merge_config_selectorIhNS0_10empty_typeEEEZZNS1_27merge_sort_block_merge_implIS3_PhPS5_jNS1_19radix_merge_compareILb0ELb1EhNS0_19identity_decomposerEEEEE10hipError_tT0_T1_T2_jT3_P12ihipStream_tbPNSt15iterator_traitsISE_E10value_typeEPNSK_ISF_E10value_typeEPSG_NS1_7vsmem_tEENKUlT_SE_SF_SG_E_clIS8_S8_S9_S9_EESD_ST_SE_SF_SG_EUlST_E_NS1_11comp_targetILNS1_3genE5ELNS1_11target_archE942ELNS1_3gpuE9ELNS1_3repE0EEENS1_48merge_mergepath_partition_config_static_selectorELNS0_4arch9wavefront6targetE1EEEvSF_,comdat
.Lfunc_end280:
	.size	_ZN7rocprim17ROCPRIM_400000_NS6detail17trampoline_kernelINS0_14default_configENS1_38merge_sort_block_merge_config_selectorIhNS0_10empty_typeEEEZZNS1_27merge_sort_block_merge_implIS3_PhPS5_jNS1_19radix_merge_compareILb0ELb1EhNS0_19identity_decomposerEEEEE10hipError_tT0_T1_T2_jT3_P12ihipStream_tbPNSt15iterator_traitsISE_E10value_typeEPNSK_ISF_E10value_typeEPSG_NS1_7vsmem_tEENKUlT_SE_SF_SG_E_clIS8_S8_S9_S9_EESD_ST_SE_SF_SG_EUlST_E_NS1_11comp_targetILNS1_3genE5ELNS1_11target_archE942ELNS1_3gpuE9ELNS1_3repE0EEENS1_48merge_mergepath_partition_config_static_selectorELNS0_4arch9wavefront6targetE1EEEvSF_, .Lfunc_end280-_ZN7rocprim17ROCPRIM_400000_NS6detail17trampoline_kernelINS0_14default_configENS1_38merge_sort_block_merge_config_selectorIhNS0_10empty_typeEEEZZNS1_27merge_sort_block_merge_implIS3_PhPS5_jNS1_19radix_merge_compareILb0ELb1EhNS0_19identity_decomposerEEEEE10hipError_tT0_T1_T2_jT3_P12ihipStream_tbPNSt15iterator_traitsISE_E10value_typeEPNSK_ISF_E10value_typeEPSG_NS1_7vsmem_tEENKUlT_SE_SF_SG_E_clIS8_S8_S9_S9_EESD_ST_SE_SF_SG_EUlST_E_NS1_11comp_targetILNS1_3genE5ELNS1_11target_archE942ELNS1_3gpuE9ELNS1_3repE0EEENS1_48merge_mergepath_partition_config_static_selectorELNS0_4arch9wavefront6targetE1EEEvSF_
                                        ; -- End function
	.section	.AMDGPU.csdata,"",@progbits
; Kernel info:
; codeLenInByte = 0
; NumSgprs: 4
; NumVgprs: 0
; NumAgprs: 0
; TotalNumVgprs: 0
; ScratchSize: 0
; MemoryBound: 0
; FloatMode: 240
; IeeeMode: 1
; LDSByteSize: 0 bytes/workgroup (compile time only)
; SGPRBlocks: 0
; VGPRBlocks: 0
; NumSGPRsForWavesPerEU: 4
; NumVGPRsForWavesPerEU: 1
; AccumOffset: 4
; Occupancy: 8
; WaveLimiterHint : 0
; COMPUTE_PGM_RSRC2:SCRATCH_EN: 0
; COMPUTE_PGM_RSRC2:USER_SGPR: 6
; COMPUTE_PGM_RSRC2:TRAP_HANDLER: 0
; COMPUTE_PGM_RSRC2:TGID_X_EN: 1
; COMPUTE_PGM_RSRC2:TGID_Y_EN: 0
; COMPUTE_PGM_RSRC2:TGID_Z_EN: 0
; COMPUTE_PGM_RSRC2:TIDIG_COMP_CNT: 0
; COMPUTE_PGM_RSRC3_GFX90A:ACCUM_OFFSET: 0
; COMPUTE_PGM_RSRC3_GFX90A:TG_SPLIT: 0
	.section	.text._ZN7rocprim17ROCPRIM_400000_NS6detail17trampoline_kernelINS0_14default_configENS1_38merge_sort_block_merge_config_selectorIhNS0_10empty_typeEEEZZNS1_27merge_sort_block_merge_implIS3_PhPS5_jNS1_19radix_merge_compareILb0ELb1EhNS0_19identity_decomposerEEEEE10hipError_tT0_T1_T2_jT3_P12ihipStream_tbPNSt15iterator_traitsISE_E10value_typeEPNSK_ISF_E10value_typeEPSG_NS1_7vsmem_tEENKUlT_SE_SF_SG_E_clIS8_S8_S9_S9_EESD_ST_SE_SF_SG_EUlST_E_NS1_11comp_targetILNS1_3genE4ELNS1_11target_archE910ELNS1_3gpuE8ELNS1_3repE0EEENS1_48merge_mergepath_partition_config_static_selectorELNS0_4arch9wavefront6targetE1EEEvSF_,"axG",@progbits,_ZN7rocprim17ROCPRIM_400000_NS6detail17trampoline_kernelINS0_14default_configENS1_38merge_sort_block_merge_config_selectorIhNS0_10empty_typeEEEZZNS1_27merge_sort_block_merge_implIS3_PhPS5_jNS1_19radix_merge_compareILb0ELb1EhNS0_19identity_decomposerEEEEE10hipError_tT0_T1_T2_jT3_P12ihipStream_tbPNSt15iterator_traitsISE_E10value_typeEPNSK_ISF_E10value_typeEPSG_NS1_7vsmem_tEENKUlT_SE_SF_SG_E_clIS8_S8_S9_S9_EESD_ST_SE_SF_SG_EUlST_E_NS1_11comp_targetILNS1_3genE4ELNS1_11target_archE910ELNS1_3gpuE8ELNS1_3repE0EEENS1_48merge_mergepath_partition_config_static_selectorELNS0_4arch9wavefront6targetE1EEEvSF_,comdat
	.protected	_ZN7rocprim17ROCPRIM_400000_NS6detail17trampoline_kernelINS0_14default_configENS1_38merge_sort_block_merge_config_selectorIhNS0_10empty_typeEEEZZNS1_27merge_sort_block_merge_implIS3_PhPS5_jNS1_19radix_merge_compareILb0ELb1EhNS0_19identity_decomposerEEEEE10hipError_tT0_T1_T2_jT3_P12ihipStream_tbPNSt15iterator_traitsISE_E10value_typeEPNSK_ISF_E10value_typeEPSG_NS1_7vsmem_tEENKUlT_SE_SF_SG_E_clIS8_S8_S9_S9_EESD_ST_SE_SF_SG_EUlST_E_NS1_11comp_targetILNS1_3genE4ELNS1_11target_archE910ELNS1_3gpuE8ELNS1_3repE0EEENS1_48merge_mergepath_partition_config_static_selectorELNS0_4arch9wavefront6targetE1EEEvSF_ ; -- Begin function _ZN7rocprim17ROCPRIM_400000_NS6detail17trampoline_kernelINS0_14default_configENS1_38merge_sort_block_merge_config_selectorIhNS0_10empty_typeEEEZZNS1_27merge_sort_block_merge_implIS3_PhPS5_jNS1_19radix_merge_compareILb0ELb1EhNS0_19identity_decomposerEEEEE10hipError_tT0_T1_T2_jT3_P12ihipStream_tbPNSt15iterator_traitsISE_E10value_typeEPNSK_ISF_E10value_typeEPSG_NS1_7vsmem_tEENKUlT_SE_SF_SG_E_clIS8_S8_S9_S9_EESD_ST_SE_SF_SG_EUlST_E_NS1_11comp_targetILNS1_3genE4ELNS1_11target_archE910ELNS1_3gpuE8ELNS1_3repE0EEENS1_48merge_mergepath_partition_config_static_selectorELNS0_4arch9wavefront6targetE1EEEvSF_
	.globl	_ZN7rocprim17ROCPRIM_400000_NS6detail17trampoline_kernelINS0_14default_configENS1_38merge_sort_block_merge_config_selectorIhNS0_10empty_typeEEEZZNS1_27merge_sort_block_merge_implIS3_PhPS5_jNS1_19radix_merge_compareILb0ELb1EhNS0_19identity_decomposerEEEEE10hipError_tT0_T1_T2_jT3_P12ihipStream_tbPNSt15iterator_traitsISE_E10value_typeEPNSK_ISF_E10value_typeEPSG_NS1_7vsmem_tEENKUlT_SE_SF_SG_E_clIS8_S8_S9_S9_EESD_ST_SE_SF_SG_EUlST_E_NS1_11comp_targetILNS1_3genE4ELNS1_11target_archE910ELNS1_3gpuE8ELNS1_3repE0EEENS1_48merge_mergepath_partition_config_static_selectorELNS0_4arch9wavefront6targetE1EEEvSF_
	.p2align	8
	.type	_ZN7rocprim17ROCPRIM_400000_NS6detail17trampoline_kernelINS0_14default_configENS1_38merge_sort_block_merge_config_selectorIhNS0_10empty_typeEEEZZNS1_27merge_sort_block_merge_implIS3_PhPS5_jNS1_19radix_merge_compareILb0ELb1EhNS0_19identity_decomposerEEEEE10hipError_tT0_T1_T2_jT3_P12ihipStream_tbPNSt15iterator_traitsISE_E10value_typeEPNSK_ISF_E10value_typeEPSG_NS1_7vsmem_tEENKUlT_SE_SF_SG_E_clIS8_S8_S9_S9_EESD_ST_SE_SF_SG_EUlST_E_NS1_11comp_targetILNS1_3genE4ELNS1_11target_archE910ELNS1_3gpuE8ELNS1_3repE0EEENS1_48merge_mergepath_partition_config_static_selectorELNS0_4arch9wavefront6targetE1EEEvSF_,@function
_ZN7rocprim17ROCPRIM_400000_NS6detail17trampoline_kernelINS0_14default_configENS1_38merge_sort_block_merge_config_selectorIhNS0_10empty_typeEEEZZNS1_27merge_sort_block_merge_implIS3_PhPS5_jNS1_19radix_merge_compareILb0ELb1EhNS0_19identity_decomposerEEEEE10hipError_tT0_T1_T2_jT3_P12ihipStream_tbPNSt15iterator_traitsISE_E10value_typeEPNSK_ISF_E10value_typeEPSG_NS1_7vsmem_tEENKUlT_SE_SF_SG_E_clIS8_S8_S9_S9_EESD_ST_SE_SF_SG_EUlST_E_NS1_11comp_targetILNS1_3genE4ELNS1_11target_archE910ELNS1_3gpuE8ELNS1_3repE0EEENS1_48merge_mergepath_partition_config_static_selectorELNS0_4arch9wavefront6targetE1EEEvSF_: ; @_ZN7rocprim17ROCPRIM_400000_NS6detail17trampoline_kernelINS0_14default_configENS1_38merge_sort_block_merge_config_selectorIhNS0_10empty_typeEEEZZNS1_27merge_sort_block_merge_implIS3_PhPS5_jNS1_19radix_merge_compareILb0ELb1EhNS0_19identity_decomposerEEEEE10hipError_tT0_T1_T2_jT3_P12ihipStream_tbPNSt15iterator_traitsISE_E10value_typeEPNSK_ISF_E10value_typeEPSG_NS1_7vsmem_tEENKUlT_SE_SF_SG_E_clIS8_S8_S9_S9_EESD_ST_SE_SF_SG_EUlST_E_NS1_11comp_targetILNS1_3genE4ELNS1_11target_archE910ELNS1_3gpuE8ELNS1_3repE0EEENS1_48merge_mergepath_partition_config_static_selectorELNS0_4arch9wavefront6targetE1EEEvSF_
; %bb.0:
	s_load_dword s0, s[4:5], 0x0
	v_lshl_or_b32 v0, s6, 7, v0
	s_waitcnt lgkmcnt(0)
	v_cmp_gt_u32_e32 vcc, s0, v0
	s_and_saveexec_b64 s[0:1], vcc
	s_cbranch_execz .LBB281_6
; %bb.1:
	s_load_dwordx2 s[2:3], s[4:5], 0x4
	s_load_dwordx2 s[0:1], s[4:5], 0x20
	s_waitcnt lgkmcnt(0)
	s_lshr_b32 s6, s2, 9
	s_and_b32 s6, s6, 0x7ffffe
	s_add_i32 s7, s6, -1
	s_sub_i32 s6, 0, s6
	v_and_b32_e32 v1, s6, v0
	v_lshlrev_b32_e32 v3, 10, v1
	v_min_u32_e32 v1, s3, v3
	v_add_u32_e32 v3, s2, v3
	v_min_u32_e32 v7, s3, v3
	v_add_u32_e32 v3, s2, v7
	v_and_b32_e32 v2, s7, v0
	v_min_u32_e32 v4, s3, v3
	v_sub_u32_e32 v3, v4, v1
	v_lshlrev_b32_e32 v2, 10, v2
	v_min_u32_e32 v3, v3, v2
	v_sub_u32_e32 v5, v7, v1
	v_sub_u32_e32 v2, v4, v7
	v_sub_u32_e64 v2, v3, v2 clamp
	v_min_u32_e32 v4, v3, v5
	v_cmp_lt_u32_e32 vcc, v2, v4
	s_and_saveexec_b64 s[2:3], vcc
	s_cbranch_execz .LBB281_5
; %bb.2:
	s_load_dwordx2 s[8:9], s[4:5], 0x10
	s_load_dword s6, s[4:5], 0x18
	s_mov_b64 s[4:5], 0
	s_waitcnt lgkmcnt(0)
	v_mov_b32_e32 v8, s9
	v_add_co_u32_e32 v5, vcc, s8, v1
	v_addc_co_u32_e32 v6, vcc, 0, v8, vcc
	v_add_co_u32_e32 v7, vcc, s8, v7
	v_addc_co_u32_e32 v8, vcc, 0, v8, vcc
.LBB281_3:                              ; =>This Inner Loop Header: Depth=1
	v_add_u32_e32 v9, v4, v2
	v_lshrrev_b32_e32 v9, 1, v9
	v_add_co_u32_e32 v10, vcc, v5, v9
	v_xad_u32 v12, v9, -1, v3
	v_addc_co_u32_e32 v11, vcc, 0, v6, vcc
	v_add_co_u32_e32 v12, vcc, v7, v12
	v_addc_co_u32_e32 v13, vcc, 0, v8, vcc
	global_load_ubyte v14, v[10:11], off
	global_load_ubyte v15, v[12:13], off
	v_add_u32_e32 v10, 1, v9
	s_waitcnt vmcnt(1)
	v_and_b32_e32 v11, s6, v14
	s_waitcnt vmcnt(0)
	v_and_b32_e32 v12, s6, v15
	v_cmp_gt_u16_sdwa vcc, v11, v12 src0_sel:BYTE_0 src1_sel:BYTE_0
	v_cndmask_b32_e32 v4, v4, v9, vcc
	v_cndmask_b32_e32 v2, v10, v2, vcc
	v_cmp_ge_u32_e32 vcc, v2, v4
	s_or_b64 s[4:5], vcc, s[4:5]
	s_andn2_b64 exec, exec, s[4:5]
	s_cbranch_execnz .LBB281_3
; %bb.4:
	s_or_b64 exec, exec, s[4:5]
.LBB281_5:
	s_or_b64 exec, exec, s[2:3]
	v_add_u32_e32 v2, v2, v1
	v_mov_b32_e32 v1, 0
	v_lshlrev_b64 v[0:1], 2, v[0:1]
	v_mov_b32_e32 v3, s1
	v_add_co_u32_e32 v0, vcc, s0, v0
	v_addc_co_u32_e32 v1, vcc, v3, v1, vcc
	global_store_dword v[0:1], v2, off
.LBB281_6:
	s_endpgm
	.section	.rodata,"a",@progbits
	.p2align	6, 0x0
	.amdhsa_kernel _ZN7rocprim17ROCPRIM_400000_NS6detail17trampoline_kernelINS0_14default_configENS1_38merge_sort_block_merge_config_selectorIhNS0_10empty_typeEEEZZNS1_27merge_sort_block_merge_implIS3_PhPS5_jNS1_19radix_merge_compareILb0ELb1EhNS0_19identity_decomposerEEEEE10hipError_tT0_T1_T2_jT3_P12ihipStream_tbPNSt15iterator_traitsISE_E10value_typeEPNSK_ISF_E10value_typeEPSG_NS1_7vsmem_tEENKUlT_SE_SF_SG_E_clIS8_S8_S9_S9_EESD_ST_SE_SF_SG_EUlST_E_NS1_11comp_targetILNS1_3genE4ELNS1_11target_archE910ELNS1_3gpuE8ELNS1_3repE0EEENS1_48merge_mergepath_partition_config_static_selectorELNS0_4arch9wavefront6targetE1EEEvSF_
		.amdhsa_group_segment_fixed_size 0
		.amdhsa_private_segment_fixed_size 0
		.amdhsa_kernarg_size 40
		.amdhsa_user_sgpr_count 6
		.amdhsa_user_sgpr_private_segment_buffer 1
		.amdhsa_user_sgpr_dispatch_ptr 0
		.amdhsa_user_sgpr_queue_ptr 0
		.amdhsa_user_sgpr_kernarg_segment_ptr 1
		.amdhsa_user_sgpr_dispatch_id 0
		.amdhsa_user_sgpr_flat_scratch_init 0
		.amdhsa_user_sgpr_kernarg_preload_length 0
		.amdhsa_user_sgpr_kernarg_preload_offset 0
		.amdhsa_user_sgpr_private_segment_size 0
		.amdhsa_uses_dynamic_stack 0
		.amdhsa_system_sgpr_private_segment_wavefront_offset 0
		.amdhsa_system_sgpr_workgroup_id_x 1
		.amdhsa_system_sgpr_workgroup_id_y 0
		.amdhsa_system_sgpr_workgroup_id_z 0
		.amdhsa_system_sgpr_workgroup_info 0
		.amdhsa_system_vgpr_workitem_id 0
		.amdhsa_next_free_vgpr 16
		.amdhsa_next_free_sgpr 10
		.amdhsa_accum_offset 16
		.amdhsa_reserve_vcc 1
		.amdhsa_reserve_flat_scratch 0
		.amdhsa_float_round_mode_32 0
		.amdhsa_float_round_mode_16_64 0
		.amdhsa_float_denorm_mode_32 3
		.amdhsa_float_denorm_mode_16_64 3
		.amdhsa_dx10_clamp 1
		.amdhsa_ieee_mode 1
		.amdhsa_fp16_overflow 0
		.amdhsa_tg_split 0
		.amdhsa_exception_fp_ieee_invalid_op 0
		.amdhsa_exception_fp_denorm_src 0
		.amdhsa_exception_fp_ieee_div_zero 0
		.amdhsa_exception_fp_ieee_overflow 0
		.amdhsa_exception_fp_ieee_underflow 0
		.amdhsa_exception_fp_ieee_inexact 0
		.amdhsa_exception_int_div_zero 0
	.end_amdhsa_kernel
	.section	.text._ZN7rocprim17ROCPRIM_400000_NS6detail17trampoline_kernelINS0_14default_configENS1_38merge_sort_block_merge_config_selectorIhNS0_10empty_typeEEEZZNS1_27merge_sort_block_merge_implIS3_PhPS5_jNS1_19radix_merge_compareILb0ELb1EhNS0_19identity_decomposerEEEEE10hipError_tT0_T1_T2_jT3_P12ihipStream_tbPNSt15iterator_traitsISE_E10value_typeEPNSK_ISF_E10value_typeEPSG_NS1_7vsmem_tEENKUlT_SE_SF_SG_E_clIS8_S8_S9_S9_EESD_ST_SE_SF_SG_EUlST_E_NS1_11comp_targetILNS1_3genE4ELNS1_11target_archE910ELNS1_3gpuE8ELNS1_3repE0EEENS1_48merge_mergepath_partition_config_static_selectorELNS0_4arch9wavefront6targetE1EEEvSF_,"axG",@progbits,_ZN7rocprim17ROCPRIM_400000_NS6detail17trampoline_kernelINS0_14default_configENS1_38merge_sort_block_merge_config_selectorIhNS0_10empty_typeEEEZZNS1_27merge_sort_block_merge_implIS3_PhPS5_jNS1_19radix_merge_compareILb0ELb1EhNS0_19identity_decomposerEEEEE10hipError_tT0_T1_T2_jT3_P12ihipStream_tbPNSt15iterator_traitsISE_E10value_typeEPNSK_ISF_E10value_typeEPSG_NS1_7vsmem_tEENKUlT_SE_SF_SG_E_clIS8_S8_S9_S9_EESD_ST_SE_SF_SG_EUlST_E_NS1_11comp_targetILNS1_3genE4ELNS1_11target_archE910ELNS1_3gpuE8ELNS1_3repE0EEENS1_48merge_mergepath_partition_config_static_selectorELNS0_4arch9wavefront6targetE1EEEvSF_,comdat
.Lfunc_end281:
	.size	_ZN7rocprim17ROCPRIM_400000_NS6detail17trampoline_kernelINS0_14default_configENS1_38merge_sort_block_merge_config_selectorIhNS0_10empty_typeEEEZZNS1_27merge_sort_block_merge_implIS3_PhPS5_jNS1_19radix_merge_compareILb0ELb1EhNS0_19identity_decomposerEEEEE10hipError_tT0_T1_T2_jT3_P12ihipStream_tbPNSt15iterator_traitsISE_E10value_typeEPNSK_ISF_E10value_typeEPSG_NS1_7vsmem_tEENKUlT_SE_SF_SG_E_clIS8_S8_S9_S9_EESD_ST_SE_SF_SG_EUlST_E_NS1_11comp_targetILNS1_3genE4ELNS1_11target_archE910ELNS1_3gpuE8ELNS1_3repE0EEENS1_48merge_mergepath_partition_config_static_selectorELNS0_4arch9wavefront6targetE1EEEvSF_, .Lfunc_end281-_ZN7rocprim17ROCPRIM_400000_NS6detail17trampoline_kernelINS0_14default_configENS1_38merge_sort_block_merge_config_selectorIhNS0_10empty_typeEEEZZNS1_27merge_sort_block_merge_implIS3_PhPS5_jNS1_19radix_merge_compareILb0ELb1EhNS0_19identity_decomposerEEEEE10hipError_tT0_T1_T2_jT3_P12ihipStream_tbPNSt15iterator_traitsISE_E10value_typeEPNSK_ISF_E10value_typeEPSG_NS1_7vsmem_tEENKUlT_SE_SF_SG_E_clIS8_S8_S9_S9_EESD_ST_SE_SF_SG_EUlST_E_NS1_11comp_targetILNS1_3genE4ELNS1_11target_archE910ELNS1_3gpuE8ELNS1_3repE0EEENS1_48merge_mergepath_partition_config_static_selectorELNS0_4arch9wavefront6targetE1EEEvSF_
                                        ; -- End function
	.section	.AMDGPU.csdata,"",@progbits
; Kernel info:
; codeLenInByte = 340
; NumSgprs: 14
; NumVgprs: 16
; NumAgprs: 0
; TotalNumVgprs: 16
; ScratchSize: 0
; MemoryBound: 0
; FloatMode: 240
; IeeeMode: 1
; LDSByteSize: 0 bytes/workgroup (compile time only)
; SGPRBlocks: 1
; VGPRBlocks: 1
; NumSGPRsForWavesPerEU: 14
; NumVGPRsForWavesPerEU: 16
; AccumOffset: 16
; Occupancy: 8
; WaveLimiterHint : 0
; COMPUTE_PGM_RSRC2:SCRATCH_EN: 0
; COMPUTE_PGM_RSRC2:USER_SGPR: 6
; COMPUTE_PGM_RSRC2:TRAP_HANDLER: 0
; COMPUTE_PGM_RSRC2:TGID_X_EN: 1
; COMPUTE_PGM_RSRC2:TGID_Y_EN: 0
; COMPUTE_PGM_RSRC2:TGID_Z_EN: 0
; COMPUTE_PGM_RSRC2:TIDIG_COMP_CNT: 0
; COMPUTE_PGM_RSRC3_GFX90A:ACCUM_OFFSET: 3
; COMPUTE_PGM_RSRC3_GFX90A:TG_SPLIT: 0
	.section	.text._ZN7rocprim17ROCPRIM_400000_NS6detail17trampoline_kernelINS0_14default_configENS1_38merge_sort_block_merge_config_selectorIhNS0_10empty_typeEEEZZNS1_27merge_sort_block_merge_implIS3_PhPS5_jNS1_19radix_merge_compareILb0ELb1EhNS0_19identity_decomposerEEEEE10hipError_tT0_T1_T2_jT3_P12ihipStream_tbPNSt15iterator_traitsISE_E10value_typeEPNSK_ISF_E10value_typeEPSG_NS1_7vsmem_tEENKUlT_SE_SF_SG_E_clIS8_S8_S9_S9_EESD_ST_SE_SF_SG_EUlST_E_NS1_11comp_targetILNS1_3genE3ELNS1_11target_archE908ELNS1_3gpuE7ELNS1_3repE0EEENS1_48merge_mergepath_partition_config_static_selectorELNS0_4arch9wavefront6targetE1EEEvSF_,"axG",@progbits,_ZN7rocprim17ROCPRIM_400000_NS6detail17trampoline_kernelINS0_14default_configENS1_38merge_sort_block_merge_config_selectorIhNS0_10empty_typeEEEZZNS1_27merge_sort_block_merge_implIS3_PhPS5_jNS1_19radix_merge_compareILb0ELb1EhNS0_19identity_decomposerEEEEE10hipError_tT0_T1_T2_jT3_P12ihipStream_tbPNSt15iterator_traitsISE_E10value_typeEPNSK_ISF_E10value_typeEPSG_NS1_7vsmem_tEENKUlT_SE_SF_SG_E_clIS8_S8_S9_S9_EESD_ST_SE_SF_SG_EUlST_E_NS1_11comp_targetILNS1_3genE3ELNS1_11target_archE908ELNS1_3gpuE7ELNS1_3repE0EEENS1_48merge_mergepath_partition_config_static_selectorELNS0_4arch9wavefront6targetE1EEEvSF_,comdat
	.protected	_ZN7rocprim17ROCPRIM_400000_NS6detail17trampoline_kernelINS0_14default_configENS1_38merge_sort_block_merge_config_selectorIhNS0_10empty_typeEEEZZNS1_27merge_sort_block_merge_implIS3_PhPS5_jNS1_19radix_merge_compareILb0ELb1EhNS0_19identity_decomposerEEEEE10hipError_tT0_T1_T2_jT3_P12ihipStream_tbPNSt15iterator_traitsISE_E10value_typeEPNSK_ISF_E10value_typeEPSG_NS1_7vsmem_tEENKUlT_SE_SF_SG_E_clIS8_S8_S9_S9_EESD_ST_SE_SF_SG_EUlST_E_NS1_11comp_targetILNS1_3genE3ELNS1_11target_archE908ELNS1_3gpuE7ELNS1_3repE0EEENS1_48merge_mergepath_partition_config_static_selectorELNS0_4arch9wavefront6targetE1EEEvSF_ ; -- Begin function _ZN7rocprim17ROCPRIM_400000_NS6detail17trampoline_kernelINS0_14default_configENS1_38merge_sort_block_merge_config_selectorIhNS0_10empty_typeEEEZZNS1_27merge_sort_block_merge_implIS3_PhPS5_jNS1_19radix_merge_compareILb0ELb1EhNS0_19identity_decomposerEEEEE10hipError_tT0_T1_T2_jT3_P12ihipStream_tbPNSt15iterator_traitsISE_E10value_typeEPNSK_ISF_E10value_typeEPSG_NS1_7vsmem_tEENKUlT_SE_SF_SG_E_clIS8_S8_S9_S9_EESD_ST_SE_SF_SG_EUlST_E_NS1_11comp_targetILNS1_3genE3ELNS1_11target_archE908ELNS1_3gpuE7ELNS1_3repE0EEENS1_48merge_mergepath_partition_config_static_selectorELNS0_4arch9wavefront6targetE1EEEvSF_
	.globl	_ZN7rocprim17ROCPRIM_400000_NS6detail17trampoline_kernelINS0_14default_configENS1_38merge_sort_block_merge_config_selectorIhNS0_10empty_typeEEEZZNS1_27merge_sort_block_merge_implIS3_PhPS5_jNS1_19radix_merge_compareILb0ELb1EhNS0_19identity_decomposerEEEEE10hipError_tT0_T1_T2_jT3_P12ihipStream_tbPNSt15iterator_traitsISE_E10value_typeEPNSK_ISF_E10value_typeEPSG_NS1_7vsmem_tEENKUlT_SE_SF_SG_E_clIS8_S8_S9_S9_EESD_ST_SE_SF_SG_EUlST_E_NS1_11comp_targetILNS1_3genE3ELNS1_11target_archE908ELNS1_3gpuE7ELNS1_3repE0EEENS1_48merge_mergepath_partition_config_static_selectorELNS0_4arch9wavefront6targetE1EEEvSF_
	.p2align	8
	.type	_ZN7rocprim17ROCPRIM_400000_NS6detail17trampoline_kernelINS0_14default_configENS1_38merge_sort_block_merge_config_selectorIhNS0_10empty_typeEEEZZNS1_27merge_sort_block_merge_implIS3_PhPS5_jNS1_19radix_merge_compareILb0ELb1EhNS0_19identity_decomposerEEEEE10hipError_tT0_T1_T2_jT3_P12ihipStream_tbPNSt15iterator_traitsISE_E10value_typeEPNSK_ISF_E10value_typeEPSG_NS1_7vsmem_tEENKUlT_SE_SF_SG_E_clIS8_S8_S9_S9_EESD_ST_SE_SF_SG_EUlST_E_NS1_11comp_targetILNS1_3genE3ELNS1_11target_archE908ELNS1_3gpuE7ELNS1_3repE0EEENS1_48merge_mergepath_partition_config_static_selectorELNS0_4arch9wavefront6targetE1EEEvSF_,@function
_ZN7rocprim17ROCPRIM_400000_NS6detail17trampoline_kernelINS0_14default_configENS1_38merge_sort_block_merge_config_selectorIhNS0_10empty_typeEEEZZNS1_27merge_sort_block_merge_implIS3_PhPS5_jNS1_19radix_merge_compareILb0ELb1EhNS0_19identity_decomposerEEEEE10hipError_tT0_T1_T2_jT3_P12ihipStream_tbPNSt15iterator_traitsISE_E10value_typeEPNSK_ISF_E10value_typeEPSG_NS1_7vsmem_tEENKUlT_SE_SF_SG_E_clIS8_S8_S9_S9_EESD_ST_SE_SF_SG_EUlST_E_NS1_11comp_targetILNS1_3genE3ELNS1_11target_archE908ELNS1_3gpuE7ELNS1_3repE0EEENS1_48merge_mergepath_partition_config_static_selectorELNS0_4arch9wavefront6targetE1EEEvSF_: ; @_ZN7rocprim17ROCPRIM_400000_NS6detail17trampoline_kernelINS0_14default_configENS1_38merge_sort_block_merge_config_selectorIhNS0_10empty_typeEEEZZNS1_27merge_sort_block_merge_implIS3_PhPS5_jNS1_19radix_merge_compareILb0ELb1EhNS0_19identity_decomposerEEEEE10hipError_tT0_T1_T2_jT3_P12ihipStream_tbPNSt15iterator_traitsISE_E10value_typeEPNSK_ISF_E10value_typeEPSG_NS1_7vsmem_tEENKUlT_SE_SF_SG_E_clIS8_S8_S9_S9_EESD_ST_SE_SF_SG_EUlST_E_NS1_11comp_targetILNS1_3genE3ELNS1_11target_archE908ELNS1_3gpuE7ELNS1_3repE0EEENS1_48merge_mergepath_partition_config_static_selectorELNS0_4arch9wavefront6targetE1EEEvSF_
; %bb.0:
	.section	.rodata,"a",@progbits
	.p2align	6, 0x0
	.amdhsa_kernel _ZN7rocprim17ROCPRIM_400000_NS6detail17trampoline_kernelINS0_14default_configENS1_38merge_sort_block_merge_config_selectorIhNS0_10empty_typeEEEZZNS1_27merge_sort_block_merge_implIS3_PhPS5_jNS1_19radix_merge_compareILb0ELb1EhNS0_19identity_decomposerEEEEE10hipError_tT0_T1_T2_jT3_P12ihipStream_tbPNSt15iterator_traitsISE_E10value_typeEPNSK_ISF_E10value_typeEPSG_NS1_7vsmem_tEENKUlT_SE_SF_SG_E_clIS8_S8_S9_S9_EESD_ST_SE_SF_SG_EUlST_E_NS1_11comp_targetILNS1_3genE3ELNS1_11target_archE908ELNS1_3gpuE7ELNS1_3repE0EEENS1_48merge_mergepath_partition_config_static_selectorELNS0_4arch9wavefront6targetE1EEEvSF_
		.amdhsa_group_segment_fixed_size 0
		.amdhsa_private_segment_fixed_size 0
		.amdhsa_kernarg_size 40
		.amdhsa_user_sgpr_count 6
		.amdhsa_user_sgpr_private_segment_buffer 1
		.amdhsa_user_sgpr_dispatch_ptr 0
		.amdhsa_user_sgpr_queue_ptr 0
		.amdhsa_user_sgpr_kernarg_segment_ptr 1
		.amdhsa_user_sgpr_dispatch_id 0
		.amdhsa_user_sgpr_flat_scratch_init 0
		.amdhsa_user_sgpr_kernarg_preload_length 0
		.amdhsa_user_sgpr_kernarg_preload_offset 0
		.amdhsa_user_sgpr_private_segment_size 0
		.amdhsa_uses_dynamic_stack 0
		.amdhsa_system_sgpr_private_segment_wavefront_offset 0
		.amdhsa_system_sgpr_workgroup_id_x 1
		.amdhsa_system_sgpr_workgroup_id_y 0
		.amdhsa_system_sgpr_workgroup_id_z 0
		.amdhsa_system_sgpr_workgroup_info 0
		.amdhsa_system_vgpr_workitem_id 0
		.amdhsa_next_free_vgpr 1
		.amdhsa_next_free_sgpr 0
		.amdhsa_accum_offset 4
		.amdhsa_reserve_vcc 0
		.amdhsa_reserve_flat_scratch 0
		.amdhsa_float_round_mode_32 0
		.amdhsa_float_round_mode_16_64 0
		.amdhsa_float_denorm_mode_32 3
		.amdhsa_float_denorm_mode_16_64 3
		.amdhsa_dx10_clamp 1
		.amdhsa_ieee_mode 1
		.amdhsa_fp16_overflow 0
		.amdhsa_tg_split 0
		.amdhsa_exception_fp_ieee_invalid_op 0
		.amdhsa_exception_fp_denorm_src 0
		.amdhsa_exception_fp_ieee_div_zero 0
		.amdhsa_exception_fp_ieee_overflow 0
		.amdhsa_exception_fp_ieee_underflow 0
		.amdhsa_exception_fp_ieee_inexact 0
		.amdhsa_exception_int_div_zero 0
	.end_amdhsa_kernel
	.section	.text._ZN7rocprim17ROCPRIM_400000_NS6detail17trampoline_kernelINS0_14default_configENS1_38merge_sort_block_merge_config_selectorIhNS0_10empty_typeEEEZZNS1_27merge_sort_block_merge_implIS3_PhPS5_jNS1_19radix_merge_compareILb0ELb1EhNS0_19identity_decomposerEEEEE10hipError_tT0_T1_T2_jT3_P12ihipStream_tbPNSt15iterator_traitsISE_E10value_typeEPNSK_ISF_E10value_typeEPSG_NS1_7vsmem_tEENKUlT_SE_SF_SG_E_clIS8_S8_S9_S9_EESD_ST_SE_SF_SG_EUlST_E_NS1_11comp_targetILNS1_3genE3ELNS1_11target_archE908ELNS1_3gpuE7ELNS1_3repE0EEENS1_48merge_mergepath_partition_config_static_selectorELNS0_4arch9wavefront6targetE1EEEvSF_,"axG",@progbits,_ZN7rocprim17ROCPRIM_400000_NS6detail17trampoline_kernelINS0_14default_configENS1_38merge_sort_block_merge_config_selectorIhNS0_10empty_typeEEEZZNS1_27merge_sort_block_merge_implIS3_PhPS5_jNS1_19radix_merge_compareILb0ELb1EhNS0_19identity_decomposerEEEEE10hipError_tT0_T1_T2_jT3_P12ihipStream_tbPNSt15iterator_traitsISE_E10value_typeEPNSK_ISF_E10value_typeEPSG_NS1_7vsmem_tEENKUlT_SE_SF_SG_E_clIS8_S8_S9_S9_EESD_ST_SE_SF_SG_EUlST_E_NS1_11comp_targetILNS1_3genE3ELNS1_11target_archE908ELNS1_3gpuE7ELNS1_3repE0EEENS1_48merge_mergepath_partition_config_static_selectorELNS0_4arch9wavefront6targetE1EEEvSF_,comdat
.Lfunc_end282:
	.size	_ZN7rocprim17ROCPRIM_400000_NS6detail17trampoline_kernelINS0_14default_configENS1_38merge_sort_block_merge_config_selectorIhNS0_10empty_typeEEEZZNS1_27merge_sort_block_merge_implIS3_PhPS5_jNS1_19radix_merge_compareILb0ELb1EhNS0_19identity_decomposerEEEEE10hipError_tT0_T1_T2_jT3_P12ihipStream_tbPNSt15iterator_traitsISE_E10value_typeEPNSK_ISF_E10value_typeEPSG_NS1_7vsmem_tEENKUlT_SE_SF_SG_E_clIS8_S8_S9_S9_EESD_ST_SE_SF_SG_EUlST_E_NS1_11comp_targetILNS1_3genE3ELNS1_11target_archE908ELNS1_3gpuE7ELNS1_3repE0EEENS1_48merge_mergepath_partition_config_static_selectorELNS0_4arch9wavefront6targetE1EEEvSF_, .Lfunc_end282-_ZN7rocprim17ROCPRIM_400000_NS6detail17trampoline_kernelINS0_14default_configENS1_38merge_sort_block_merge_config_selectorIhNS0_10empty_typeEEEZZNS1_27merge_sort_block_merge_implIS3_PhPS5_jNS1_19radix_merge_compareILb0ELb1EhNS0_19identity_decomposerEEEEE10hipError_tT0_T1_T2_jT3_P12ihipStream_tbPNSt15iterator_traitsISE_E10value_typeEPNSK_ISF_E10value_typeEPSG_NS1_7vsmem_tEENKUlT_SE_SF_SG_E_clIS8_S8_S9_S9_EESD_ST_SE_SF_SG_EUlST_E_NS1_11comp_targetILNS1_3genE3ELNS1_11target_archE908ELNS1_3gpuE7ELNS1_3repE0EEENS1_48merge_mergepath_partition_config_static_selectorELNS0_4arch9wavefront6targetE1EEEvSF_
                                        ; -- End function
	.section	.AMDGPU.csdata,"",@progbits
; Kernel info:
; codeLenInByte = 0
; NumSgprs: 4
; NumVgprs: 0
; NumAgprs: 0
; TotalNumVgprs: 0
; ScratchSize: 0
; MemoryBound: 0
; FloatMode: 240
; IeeeMode: 1
; LDSByteSize: 0 bytes/workgroup (compile time only)
; SGPRBlocks: 0
; VGPRBlocks: 0
; NumSGPRsForWavesPerEU: 4
; NumVGPRsForWavesPerEU: 1
; AccumOffset: 4
; Occupancy: 8
; WaveLimiterHint : 0
; COMPUTE_PGM_RSRC2:SCRATCH_EN: 0
; COMPUTE_PGM_RSRC2:USER_SGPR: 6
; COMPUTE_PGM_RSRC2:TRAP_HANDLER: 0
; COMPUTE_PGM_RSRC2:TGID_X_EN: 1
; COMPUTE_PGM_RSRC2:TGID_Y_EN: 0
; COMPUTE_PGM_RSRC2:TGID_Z_EN: 0
; COMPUTE_PGM_RSRC2:TIDIG_COMP_CNT: 0
; COMPUTE_PGM_RSRC3_GFX90A:ACCUM_OFFSET: 0
; COMPUTE_PGM_RSRC3_GFX90A:TG_SPLIT: 0
	.section	.text._ZN7rocprim17ROCPRIM_400000_NS6detail17trampoline_kernelINS0_14default_configENS1_38merge_sort_block_merge_config_selectorIhNS0_10empty_typeEEEZZNS1_27merge_sort_block_merge_implIS3_PhPS5_jNS1_19radix_merge_compareILb0ELb1EhNS0_19identity_decomposerEEEEE10hipError_tT0_T1_T2_jT3_P12ihipStream_tbPNSt15iterator_traitsISE_E10value_typeEPNSK_ISF_E10value_typeEPSG_NS1_7vsmem_tEENKUlT_SE_SF_SG_E_clIS8_S8_S9_S9_EESD_ST_SE_SF_SG_EUlST_E_NS1_11comp_targetILNS1_3genE2ELNS1_11target_archE906ELNS1_3gpuE6ELNS1_3repE0EEENS1_48merge_mergepath_partition_config_static_selectorELNS0_4arch9wavefront6targetE1EEEvSF_,"axG",@progbits,_ZN7rocprim17ROCPRIM_400000_NS6detail17trampoline_kernelINS0_14default_configENS1_38merge_sort_block_merge_config_selectorIhNS0_10empty_typeEEEZZNS1_27merge_sort_block_merge_implIS3_PhPS5_jNS1_19radix_merge_compareILb0ELb1EhNS0_19identity_decomposerEEEEE10hipError_tT0_T1_T2_jT3_P12ihipStream_tbPNSt15iterator_traitsISE_E10value_typeEPNSK_ISF_E10value_typeEPSG_NS1_7vsmem_tEENKUlT_SE_SF_SG_E_clIS8_S8_S9_S9_EESD_ST_SE_SF_SG_EUlST_E_NS1_11comp_targetILNS1_3genE2ELNS1_11target_archE906ELNS1_3gpuE6ELNS1_3repE0EEENS1_48merge_mergepath_partition_config_static_selectorELNS0_4arch9wavefront6targetE1EEEvSF_,comdat
	.protected	_ZN7rocprim17ROCPRIM_400000_NS6detail17trampoline_kernelINS0_14default_configENS1_38merge_sort_block_merge_config_selectorIhNS0_10empty_typeEEEZZNS1_27merge_sort_block_merge_implIS3_PhPS5_jNS1_19radix_merge_compareILb0ELb1EhNS0_19identity_decomposerEEEEE10hipError_tT0_T1_T2_jT3_P12ihipStream_tbPNSt15iterator_traitsISE_E10value_typeEPNSK_ISF_E10value_typeEPSG_NS1_7vsmem_tEENKUlT_SE_SF_SG_E_clIS8_S8_S9_S9_EESD_ST_SE_SF_SG_EUlST_E_NS1_11comp_targetILNS1_3genE2ELNS1_11target_archE906ELNS1_3gpuE6ELNS1_3repE0EEENS1_48merge_mergepath_partition_config_static_selectorELNS0_4arch9wavefront6targetE1EEEvSF_ ; -- Begin function _ZN7rocprim17ROCPRIM_400000_NS6detail17trampoline_kernelINS0_14default_configENS1_38merge_sort_block_merge_config_selectorIhNS0_10empty_typeEEEZZNS1_27merge_sort_block_merge_implIS3_PhPS5_jNS1_19radix_merge_compareILb0ELb1EhNS0_19identity_decomposerEEEEE10hipError_tT0_T1_T2_jT3_P12ihipStream_tbPNSt15iterator_traitsISE_E10value_typeEPNSK_ISF_E10value_typeEPSG_NS1_7vsmem_tEENKUlT_SE_SF_SG_E_clIS8_S8_S9_S9_EESD_ST_SE_SF_SG_EUlST_E_NS1_11comp_targetILNS1_3genE2ELNS1_11target_archE906ELNS1_3gpuE6ELNS1_3repE0EEENS1_48merge_mergepath_partition_config_static_selectorELNS0_4arch9wavefront6targetE1EEEvSF_
	.globl	_ZN7rocprim17ROCPRIM_400000_NS6detail17trampoline_kernelINS0_14default_configENS1_38merge_sort_block_merge_config_selectorIhNS0_10empty_typeEEEZZNS1_27merge_sort_block_merge_implIS3_PhPS5_jNS1_19radix_merge_compareILb0ELb1EhNS0_19identity_decomposerEEEEE10hipError_tT0_T1_T2_jT3_P12ihipStream_tbPNSt15iterator_traitsISE_E10value_typeEPNSK_ISF_E10value_typeEPSG_NS1_7vsmem_tEENKUlT_SE_SF_SG_E_clIS8_S8_S9_S9_EESD_ST_SE_SF_SG_EUlST_E_NS1_11comp_targetILNS1_3genE2ELNS1_11target_archE906ELNS1_3gpuE6ELNS1_3repE0EEENS1_48merge_mergepath_partition_config_static_selectorELNS0_4arch9wavefront6targetE1EEEvSF_
	.p2align	8
	.type	_ZN7rocprim17ROCPRIM_400000_NS6detail17trampoline_kernelINS0_14default_configENS1_38merge_sort_block_merge_config_selectorIhNS0_10empty_typeEEEZZNS1_27merge_sort_block_merge_implIS3_PhPS5_jNS1_19radix_merge_compareILb0ELb1EhNS0_19identity_decomposerEEEEE10hipError_tT0_T1_T2_jT3_P12ihipStream_tbPNSt15iterator_traitsISE_E10value_typeEPNSK_ISF_E10value_typeEPSG_NS1_7vsmem_tEENKUlT_SE_SF_SG_E_clIS8_S8_S9_S9_EESD_ST_SE_SF_SG_EUlST_E_NS1_11comp_targetILNS1_3genE2ELNS1_11target_archE906ELNS1_3gpuE6ELNS1_3repE0EEENS1_48merge_mergepath_partition_config_static_selectorELNS0_4arch9wavefront6targetE1EEEvSF_,@function
_ZN7rocprim17ROCPRIM_400000_NS6detail17trampoline_kernelINS0_14default_configENS1_38merge_sort_block_merge_config_selectorIhNS0_10empty_typeEEEZZNS1_27merge_sort_block_merge_implIS3_PhPS5_jNS1_19radix_merge_compareILb0ELb1EhNS0_19identity_decomposerEEEEE10hipError_tT0_T1_T2_jT3_P12ihipStream_tbPNSt15iterator_traitsISE_E10value_typeEPNSK_ISF_E10value_typeEPSG_NS1_7vsmem_tEENKUlT_SE_SF_SG_E_clIS8_S8_S9_S9_EESD_ST_SE_SF_SG_EUlST_E_NS1_11comp_targetILNS1_3genE2ELNS1_11target_archE906ELNS1_3gpuE6ELNS1_3repE0EEENS1_48merge_mergepath_partition_config_static_selectorELNS0_4arch9wavefront6targetE1EEEvSF_: ; @_ZN7rocprim17ROCPRIM_400000_NS6detail17trampoline_kernelINS0_14default_configENS1_38merge_sort_block_merge_config_selectorIhNS0_10empty_typeEEEZZNS1_27merge_sort_block_merge_implIS3_PhPS5_jNS1_19radix_merge_compareILb0ELb1EhNS0_19identity_decomposerEEEEE10hipError_tT0_T1_T2_jT3_P12ihipStream_tbPNSt15iterator_traitsISE_E10value_typeEPNSK_ISF_E10value_typeEPSG_NS1_7vsmem_tEENKUlT_SE_SF_SG_E_clIS8_S8_S9_S9_EESD_ST_SE_SF_SG_EUlST_E_NS1_11comp_targetILNS1_3genE2ELNS1_11target_archE906ELNS1_3gpuE6ELNS1_3repE0EEENS1_48merge_mergepath_partition_config_static_selectorELNS0_4arch9wavefront6targetE1EEEvSF_
; %bb.0:
	.section	.rodata,"a",@progbits
	.p2align	6, 0x0
	.amdhsa_kernel _ZN7rocprim17ROCPRIM_400000_NS6detail17trampoline_kernelINS0_14default_configENS1_38merge_sort_block_merge_config_selectorIhNS0_10empty_typeEEEZZNS1_27merge_sort_block_merge_implIS3_PhPS5_jNS1_19radix_merge_compareILb0ELb1EhNS0_19identity_decomposerEEEEE10hipError_tT0_T1_T2_jT3_P12ihipStream_tbPNSt15iterator_traitsISE_E10value_typeEPNSK_ISF_E10value_typeEPSG_NS1_7vsmem_tEENKUlT_SE_SF_SG_E_clIS8_S8_S9_S9_EESD_ST_SE_SF_SG_EUlST_E_NS1_11comp_targetILNS1_3genE2ELNS1_11target_archE906ELNS1_3gpuE6ELNS1_3repE0EEENS1_48merge_mergepath_partition_config_static_selectorELNS0_4arch9wavefront6targetE1EEEvSF_
		.amdhsa_group_segment_fixed_size 0
		.amdhsa_private_segment_fixed_size 0
		.amdhsa_kernarg_size 40
		.amdhsa_user_sgpr_count 6
		.amdhsa_user_sgpr_private_segment_buffer 1
		.amdhsa_user_sgpr_dispatch_ptr 0
		.amdhsa_user_sgpr_queue_ptr 0
		.amdhsa_user_sgpr_kernarg_segment_ptr 1
		.amdhsa_user_sgpr_dispatch_id 0
		.amdhsa_user_sgpr_flat_scratch_init 0
		.amdhsa_user_sgpr_kernarg_preload_length 0
		.amdhsa_user_sgpr_kernarg_preload_offset 0
		.amdhsa_user_sgpr_private_segment_size 0
		.amdhsa_uses_dynamic_stack 0
		.amdhsa_system_sgpr_private_segment_wavefront_offset 0
		.amdhsa_system_sgpr_workgroup_id_x 1
		.amdhsa_system_sgpr_workgroup_id_y 0
		.amdhsa_system_sgpr_workgroup_id_z 0
		.amdhsa_system_sgpr_workgroup_info 0
		.amdhsa_system_vgpr_workitem_id 0
		.amdhsa_next_free_vgpr 1
		.amdhsa_next_free_sgpr 0
		.amdhsa_accum_offset 4
		.amdhsa_reserve_vcc 0
		.amdhsa_reserve_flat_scratch 0
		.amdhsa_float_round_mode_32 0
		.amdhsa_float_round_mode_16_64 0
		.amdhsa_float_denorm_mode_32 3
		.amdhsa_float_denorm_mode_16_64 3
		.amdhsa_dx10_clamp 1
		.amdhsa_ieee_mode 1
		.amdhsa_fp16_overflow 0
		.amdhsa_tg_split 0
		.amdhsa_exception_fp_ieee_invalid_op 0
		.amdhsa_exception_fp_denorm_src 0
		.amdhsa_exception_fp_ieee_div_zero 0
		.amdhsa_exception_fp_ieee_overflow 0
		.amdhsa_exception_fp_ieee_underflow 0
		.amdhsa_exception_fp_ieee_inexact 0
		.amdhsa_exception_int_div_zero 0
	.end_amdhsa_kernel
	.section	.text._ZN7rocprim17ROCPRIM_400000_NS6detail17trampoline_kernelINS0_14default_configENS1_38merge_sort_block_merge_config_selectorIhNS0_10empty_typeEEEZZNS1_27merge_sort_block_merge_implIS3_PhPS5_jNS1_19radix_merge_compareILb0ELb1EhNS0_19identity_decomposerEEEEE10hipError_tT0_T1_T2_jT3_P12ihipStream_tbPNSt15iterator_traitsISE_E10value_typeEPNSK_ISF_E10value_typeEPSG_NS1_7vsmem_tEENKUlT_SE_SF_SG_E_clIS8_S8_S9_S9_EESD_ST_SE_SF_SG_EUlST_E_NS1_11comp_targetILNS1_3genE2ELNS1_11target_archE906ELNS1_3gpuE6ELNS1_3repE0EEENS1_48merge_mergepath_partition_config_static_selectorELNS0_4arch9wavefront6targetE1EEEvSF_,"axG",@progbits,_ZN7rocprim17ROCPRIM_400000_NS6detail17trampoline_kernelINS0_14default_configENS1_38merge_sort_block_merge_config_selectorIhNS0_10empty_typeEEEZZNS1_27merge_sort_block_merge_implIS3_PhPS5_jNS1_19radix_merge_compareILb0ELb1EhNS0_19identity_decomposerEEEEE10hipError_tT0_T1_T2_jT3_P12ihipStream_tbPNSt15iterator_traitsISE_E10value_typeEPNSK_ISF_E10value_typeEPSG_NS1_7vsmem_tEENKUlT_SE_SF_SG_E_clIS8_S8_S9_S9_EESD_ST_SE_SF_SG_EUlST_E_NS1_11comp_targetILNS1_3genE2ELNS1_11target_archE906ELNS1_3gpuE6ELNS1_3repE0EEENS1_48merge_mergepath_partition_config_static_selectorELNS0_4arch9wavefront6targetE1EEEvSF_,comdat
.Lfunc_end283:
	.size	_ZN7rocprim17ROCPRIM_400000_NS6detail17trampoline_kernelINS0_14default_configENS1_38merge_sort_block_merge_config_selectorIhNS0_10empty_typeEEEZZNS1_27merge_sort_block_merge_implIS3_PhPS5_jNS1_19radix_merge_compareILb0ELb1EhNS0_19identity_decomposerEEEEE10hipError_tT0_T1_T2_jT3_P12ihipStream_tbPNSt15iterator_traitsISE_E10value_typeEPNSK_ISF_E10value_typeEPSG_NS1_7vsmem_tEENKUlT_SE_SF_SG_E_clIS8_S8_S9_S9_EESD_ST_SE_SF_SG_EUlST_E_NS1_11comp_targetILNS1_3genE2ELNS1_11target_archE906ELNS1_3gpuE6ELNS1_3repE0EEENS1_48merge_mergepath_partition_config_static_selectorELNS0_4arch9wavefront6targetE1EEEvSF_, .Lfunc_end283-_ZN7rocprim17ROCPRIM_400000_NS6detail17trampoline_kernelINS0_14default_configENS1_38merge_sort_block_merge_config_selectorIhNS0_10empty_typeEEEZZNS1_27merge_sort_block_merge_implIS3_PhPS5_jNS1_19radix_merge_compareILb0ELb1EhNS0_19identity_decomposerEEEEE10hipError_tT0_T1_T2_jT3_P12ihipStream_tbPNSt15iterator_traitsISE_E10value_typeEPNSK_ISF_E10value_typeEPSG_NS1_7vsmem_tEENKUlT_SE_SF_SG_E_clIS8_S8_S9_S9_EESD_ST_SE_SF_SG_EUlST_E_NS1_11comp_targetILNS1_3genE2ELNS1_11target_archE906ELNS1_3gpuE6ELNS1_3repE0EEENS1_48merge_mergepath_partition_config_static_selectorELNS0_4arch9wavefront6targetE1EEEvSF_
                                        ; -- End function
	.section	.AMDGPU.csdata,"",@progbits
; Kernel info:
; codeLenInByte = 0
; NumSgprs: 4
; NumVgprs: 0
; NumAgprs: 0
; TotalNumVgprs: 0
; ScratchSize: 0
; MemoryBound: 0
; FloatMode: 240
; IeeeMode: 1
; LDSByteSize: 0 bytes/workgroup (compile time only)
; SGPRBlocks: 0
; VGPRBlocks: 0
; NumSGPRsForWavesPerEU: 4
; NumVGPRsForWavesPerEU: 1
; AccumOffset: 4
; Occupancy: 8
; WaveLimiterHint : 0
; COMPUTE_PGM_RSRC2:SCRATCH_EN: 0
; COMPUTE_PGM_RSRC2:USER_SGPR: 6
; COMPUTE_PGM_RSRC2:TRAP_HANDLER: 0
; COMPUTE_PGM_RSRC2:TGID_X_EN: 1
; COMPUTE_PGM_RSRC2:TGID_Y_EN: 0
; COMPUTE_PGM_RSRC2:TGID_Z_EN: 0
; COMPUTE_PGM_RSRC2:TIDIG_COMP_CNT: 0
; COMPUTE_PGM_RSRC3_GFX90A:ACCUM_OFFSET: 0
; COMPUTE_PGM_RSRC3_GFX90A:TG_SPLIT: 0
	.section	.text._ZN7rocprim17ROCPRIM_400000_NS6detail17trampoline_kernelINS0_14default_configENS1_38merge_sort_block_merge_config_selectorIhNS0_10empty_typeEEEZZNS1_27merge_sort_block_merge_implIS3_PhPS5_jNS1_19radix_merge_compareILb0ELb1EhNS0_19identity_decomposerEEEEE10hipError_tT0_T1_T2_jT3_P12ihipStream_tbPNSt15iterator_traitsISE_E10value_typeEPNSK_ISF_E10value_typeEPSG_NS1_7vsmem_tEENKUlT_SE_SF_SG_E_clIS8_S8_S9_S9_EESD_ST_SE_SF_SG_EUlST_E_NS1_11comp_targetILNS1_3genE9ELNS1_11target_archE1100ELNS1_3gpuE3ELNS1_3repE0EEENS1_48merge_mergepath_partition_config_static_selectorELNS0_4arch9wavefront6targetE1EEEvSF_,"axG",@progbits,_ZN7rocprim17ROCPRIM_400000_NS6detail17trampoline_kernelINS0_14default_configENS1_38merge_sort_block_merge_config_selectorIhNS0_10empty_typeEEEZZNS1_27merge_sort_block_merge_implIS3_PhPS5_jNS1_19radix_merge_compareILb0ELb1EhNS0_19identity_decomposerEEEEE10hipError_tT0_T1_T2_jT3_P12ihipStream_tbPNSt15iterator_traitsISE_E10value_typeEPNSK_ISF_E10value_typeEPSG_NS1_7vsmem_tEENKUlT_SE_SF_SG_E_clIS8_S8_S9_S9_EESD_ST_SE_SF_SG_EUlST_E_NS1_11comp_targetILNS1_3genE9ELNS1_11target_archE1100ELNS1_3gpuE3ELNS1_3repE0EEENS1_48merge_mergepath_partition_config_static_selectorELNS0_4arch9wavefront6targetE1EEEvSF_,comdat
	.protected	_ZN7rocprim17ROCPRIM_400000_NS6detail17trampoline_kernelINS0_14default_configENS1_38merge_sort_block_merge_config_selectorIhNS0_10empty_typeEEEZZNS1_27merge_sort_block_merge_implIS3_PhPS5_jNS1_19radix_merge_compareILb0ELb1EhNS0_19identity_decomposerEEEEE10hipError_tT0_T1_T2_jT3_P12ihipStream_tbPNSt15iterator_traitsISE_E10value_typeEPNSK_ISF_E10value_typeEPSG_NS1_7vsmem_tEENKUlT_SE_SF_SG_E_clIS8_S8_S9_S9_EESD_ST_SE_SF_SG_EUlST_E_NS1_11comp_targetILNS1_3genE9ELNS1_11target_archE1100ELNS1_3gpuE3ELNS1_3repE0EEENS1_48merge_mergepath_partition_config_static_selectorELNS0_4arch9wavefront6targetE1EEEvSF_ ; -- Begin function _ZN7rocprim17ROCPRIM_400000_NS6detail17trampoline_kernelINS0_14default_configENS1_38merge_sort_block_merge_config_selectorIhNS0_10empty_typeEEEZZNS1_27merge_sort_block_merge_implIS3_PhPS5_jNS1_19radix_merge_compareILb0ELb1EhNS0_19identity_decomposerEEEEE10hipError_tT0_T1_T2_jT3_P12ihipStream_tbPNSt15iterator_traitsISE_E10value_typeEPNSK_ISF_E10value_typeEPSG_NS1_7vsmem_tEENKUlT_SE_SF_SG_E_clIS8_S8_S9_S9_EESD_ST_SE_SF_SG_EUlST_E_NS1_11comp_targetILNS1_3genE9ELNS1_11target_archE1100ELNS1_3gpuE3ELNS1_3repE0EEENS1_48merge_mergepath_partition_config_static_selectorELNS0_4arch9wavefront6targetE1EEEvSF_
	.globl	_ZN7rocprim17ROCPRIM_400000_NS6detail17trampoline_kernelINS0_14default_configENS1_38merge_sort_block_merge_config_selectorIhNS0_10empty_typeEEEZZNS1_27merge_sort_block_merge_implIS3_PhPS5_jNS1_19radix_merge_compareILb0ELb1EhNS0_19identity_decomposerEEEEE10hipError_tT0_T1_T2_jT3_P12ihipStream_tbPNSt15iterator_traitsISE_E10value_typeEPNSK_ISF_E10value_typeEPSG_NS1_7vsmem_tEENKUlT_SE_SF_SG_E_clIS8_S8_S9_S9_EESD_ST_SE_SF_SG_EUlST_E_NS1_11comp_targetILNS1_3genE9ELNS1_11target_archE1100ELNS1_3gpuE3ELNS1_3repE0EEENS1_48merge_mergepath_partition_config_static_selectorELNS0_4arch9wavefront6targetE1EEEvSF_
	.p2align	8
	.type	_ZN7rocprim17ROCPRIM_400000_NS6detail17trampoline_kernelINS0_14default_configENS1_38merge_sort_block_merge_config_selectorIhNS0_10empty_typeEEEZZNS1_27merge_sort_block_merge_implIS3_PhPS5_jNS1_19radix_merge_compareILb0ELb1EhNS0_19identity_decomposerEEEEE10hipError_tT0_T1_T2_jT3_P12ihipStream_tbPNSt15iterator_traitsISE_E10value_typeEPNSK_ISF_E10value_typeEPSG_NS1_7vsmem_tEENKUlT_SE_SF_SG_E_clIS8_S8_S9_S9_EESD_ST_SE_SF_SG_EUlST_E_NS1_11comp_targetILNS1_3genE9ELNS1_11target_archE1100ELNS1_3gpuE3ELNS1_3repE0EEENS1_48merge_mergepath_partition_config_static_selectorELNS0_4arch9wavefront6targetE1EEEvSF_,@function
_ZN7rocprim17ROCPRIM_400000_NS6detail17trampoline_kernelINS0_14default_configENS1_38merge_sort_block_merge_config_selectorIhNS0_10empty_typeEEEZZNS1_27merge_sort_block_merge_implIS3_PhPS5_jNS1_19radix_merge_compareILb0ELb1EhNS0_19identity_decomposerEEEEE10hipError_tT0_T1_T2_jT3_P12ihipStream_tbPNSt15iterator_traitsISE_E10value_typeEPNSK_ISF_E10value_typeEPSG_NS1_7vsmem_tEENKUlT_SE_SF_SG_E_clIS8_S8_S9_S9_EESD_ST_SE_SF_SG_EUlST_E_NS1_11comp_targetILNS1_3genE9ELNS1_11target_archE1100ELNS1_3gpuE3ELNS1_3repE0EEENS1_48merge_mergepath_partition_config_static_selectorELNS0_4arch9wavefront6targetE1EEEvSF_: ; @_ZN7rocprim17ROCPRIM_400000_NS6detail17trampoline_kernelINS0_14default_configENS1_38merge_sort_block_merge_config_selectorIhNS0_10empty_typeEEEZZNS1_27merge_sort_block_merge_implIS3_PhPS5_jNS1_19radix_merge_compareILb0ELb1EhNS0_19identity_decomposerEEEEE10hipError_tT0_T1_T2_jT3_P12ihipStream_tbPNSt15iterator_traitsISE_E10value_typeEPNSK_ISF_E10value_typeEPSG_NS1_7vsmem_tEENKUlT_SE_SF_SG_E_clIS8_S8_S9_S9_EESD_ST_SE_SF_SG_EUlST_E_NS1_11comp_targetILNS1_3genE9ELNS1_11target_archE1100ELNS1_3gpuE3ELNS1_3repE0EEENS1_48merge_mergepath_partition_config_static_selectorELNS0_4arch9wavefront6targetE1EEEvSF_
; %bb.0:
	.section	.rodata,"a",@progbits
	.p2align	6, 0x0
	.amdhsa_kernel _ZN7rocprim17ROCPRIM_400000_NS6detail17trampoline_kernelINS0_14default_configENS1_38merge_sort_block_merge_config_selectorIhNS0_10empty_typeEEEZZNS1_27merge_sort_block_merge_implIS3_PhPS5_jNS1_19radix_merge_compareILb0ELb1EhNS0_19identity_decomposerEEEEE10hipError_tT0_T1_T2_jT3_P12ihipStream_tbPNSt15iterator_traitsISE_E10value_typeEPNSK_ISF_E10value_typeEPSG_NS1_7vsmem_tEENKUlT_SE_SF_SG_E_clIS8_S8_S9_S9_EESD_ST_SE_SF_SG_EUlST_E_NS1_11comp_targetILNS1_3genE9ELNS1_11target_archE1100ELNS1_3gpuE3ELNS1_3repE0EEENS1_48merge_mergepath_partition_config_static_selectorELNS0_4arch9wavefront6targetE1EEEvSF_
		.amdhsa_group_segment_fixed_size 0
		.amdhsa_private_segment_fixed_size 0
		.amdhsa_kernarg_size 40
		.amdhsa_user_sgpr_count 6
		.amdhsa_user_sgpr_private_segment_buffer 1
		.amdhsa_user_sgpr_dispatch_ptr 0
		.amdhsa_user_sgpr_queue_ptr 0
		.amdhsa_user_sgpr_kernarg_segment_ptr 1
		.amdhsa_user_sgpr_dispatch_id 0
		.amdhsa_user_sgpr_flat_scratch_init 0
		.amdhsa_user_sgpr_kernarg_preload_length 0
		.amdhsa_user_sgpr_kernarg_preload_offset 0
		.amdhsa_user_sgpr_private_segment_size 0
		.amdhsa_uses_dynamic_stack 0
		.amdhsa_system_sgpr_private_segment_wavefront_offset 0
		.amdhsa_system_sgpr_workgroup_id_x 1
		.amdhsa_system_sgpr_workgroup_id_y 0
		.amdhsa_system_sgpr_workgroup_id_z 0
		.amdhsa_system_sgpr_workgroup_info 0
		.amdhsa_system_vgpr_workitem_id 0
		.amdhsa_next_free_vgpr 1
		.amdhsa_next_free_sgpr 0
		.amdhsa_accum_offset 4
		.amdhsa_reserve_vcc 0
		.amdhsa_reserve_flat_scratch 0
		.amdhsa_float_round_mode_32 0
		.amdhsa_float_round_mode_16_64 0
		.amdhsa_float_denorm_mode_32 3
		.amdhsa_float_denorm_mode_16_64 3
		.amdhsa_dx10_clamp 1
		.amdhsa_ieee_mode 1
		.amdhsa_fp16_overflow 0
		.amdhsa_tg_split 0
		.amdhsa_exception_fp_ieee_invalid_op 0
		.amdhsa_exception_fp_denorm_src 0
		.amdhsa_exception_fp_ieee_div_zero 0
		.amdhsa_exception_fp_ieee_overflow 0
		.amdhsa_exception_fp_ieee_underflow 0
		.amdhsa_exception_fp_ieee_inexact 0
		.amdhsa_exception_int_div_zero 0
	.end_amdhsa_kernel
	.section	.text._ZN7rocprim17ROCPRIM_400000_NS6detail17trampoline_kernelINS0_14default_configENS1_38merge_sort_block_merge_config_selectorIhNS0_10empty_typeEEEZZNS1_27merge_sort_block_merge_implIS3_PhPS5_jNS1_19radix_merge_compareILb0ELb1EhNS0_19identity_decomposerEEEEE10hipError_tT0_T1_T2_jT3_P12ihipStream_tbPNSt15iterator_traitsISE_E10value_typeEPNSK_ISF_E10value_typeEPSG_NS1_7vsmem_tEENKUlT_SE_SF_SG_E_clIS8_S8_S9_S9_EESD_ST_SE_SF_SG_EUlST_E_NS1_11comp_targetILNS1_3genE9ELNS1_11target_archE1100ELNS1_3gpuE3ELNS1_3repE0EEENS1_48merge_mergepath_partition_config_static_selectorELNS0_4arch9wavefront6targetE1EEEvSF_,"axG",@progbits,_ZN7rocprim17ROCPRIM_400000_NS6detail17trampoline_kernelINS0_14default_configENS1_38merge_sort_block_merge_config_selectorIhNS0_10empty_typeEEEZZNS1_27merge_sort_block_merge_implIS3_PhPS5_jNS1_19radix_merge_compareILb0ELb1EhNS0_19identity_decomposerEEEEE10hipError_tT0_T1_T2_jT3_P12ihipStream_tbPNSt15iterator_traitsISE_E10value_typeEPNSK_ISF_E10value_typeEPSG_NS1_7vsmem_tEENKUlT_SE_SF_SG_E_clIS8_S8_S9_S9_EESD_ST_SE_SF_SG_EUlST_E_NS1_11comp_targetILNS1_3genE9ELNS1_11target_archE1100ELNS1_3gpuE3ELNS1_3repE0EEENS1_48merge_mergepath_partition_config_static_selectorELNS0_4arch9wavefront6targetE1EEEvSF_,comdat
.Lfunc_end284:
	.size	_ZN7rocprim17ROCPRIM_400000_NS6detail17trampoline_kernelINS0_14default_configENS1_38merge_sort_block_merge_config_selectorIhNS0_10empty_typeEEEZZNS1_27merge_sort_block_merge_implIS3_PhPS5_jNS1_19radix_merge_compareILb0ELb1EhNS0_19identity_decomposerEEEEE10hipError_tT0_T1_T2_jT3_P12ihipStream_tbPNSt15iterator_traitsISE_E10value_typeEPNSK_ISF_E10value_typeEPSG_NS1_7vsmem_tEENKUlT_SE_SF_SG_E_clIS8_S8_S9_S9_EESD_ST_SE_SF_SG_EUlST_E_NS1_11comp_targetILNS1_3genE9ELNS1_11target_archE1100ELNS1_3gpuE3ELNS1_3repE0EEENS1_48merge_mergepath_partition_config_static_selectorELNS0_4arch9wavefront6targetE1EEEvSF_, .Lfunc_end284-_ZN7rocprim17ROCPRIM_400000_NS6detail17trampoline_kernelINS0_14default_configENS1_38merge_sort_block_merge_config_selectorIhNS0_10empty_typeEEEZZNS1_27merge_sort_block_merge_implIS3_PhPS5_jNS1_19radix_merge_compareILb0ELb1EhNS0_19identity_decomposerEEEEE10hipError_tT0_T1_T2_jT3_P12ihipStream_tbPNSt15iterator_traitsISE_E10value_typeEPNSK_ISF_E10value_typeEPSG_NS1_7vsmem_tEENKUlT_SE_SF_SG_E_clIS8_S8_S9_S9_EESD_ST_SE_SF_SG_EUlST_E_NS1_11comp_targetILNS1_3genE9ELNS1_11target_archE1100ELNS1_3gpuE3ELNS1_3repE0EEENS1_48merge_mergepath_partition_config_static_selectorELNS0_4arch9wavefront6targetE1EEEvSF_
                                        ; -- End function
	.section	.AMDGPU.csdata,"",@progbits
; Kernel info:
; codeLenInByte = 0
; NumSgprs: 4
; NumVgprs: 0
; NumAgprs: 0
; TotalNumVgprs: 0
; ScratchSize: 0
; MemoryBound: 0
; FloatMode: 240
; IeeeMode: 1
; LDSByteSize: 0 bytes/workgroup (compile time only)
; SGPRBlocks: 0
; VGPRBlocks: 0
; NumSGPRsForWavesPerEU: 4
; NumVGPRsForWavesPerEU: 1
; AccumOffset: 4
; Occupancy: 8
; WaveLimiterHint : 0
; COMPUTE_PGM_RSRC2:SCRATCH_EN: 0
; COMPUTE_PGM_RSRC2:USER_SGPR: 6
; COMPUTE_PGM_RSRC2:TRAP_HANDLER: 0
; COMPUTE_PGM_RSRC2:TGID_X_EN: 1
; COMPUTE_PGM_RSRC2:TGID_Y_EN: 0
; COMPUTE_PGM_RSRC2:TGID_Z_EN: 0
; COMPUTE_PGM_RSRC2:TIDIG_COMP_CNT: 0
; COMPUTE_PGM_RSRC3_GFX90A:ACCUM_OFFSET: 0
; COMPUTE_PGM_RSRC3_GFX90A:TG_SPLIT: 0
	.section	.text._ZN7rocprim17ROCPRIM_400000_NS6detail17trampoline_kernelINS0_14default_configENS1_38merge_sort_block_merge_config_selectorIhNS0_10empty_typeEEEZZNS1_27merge_sort_block_merge_implIS3_PhPS5_jNS1_19radix_merge_compareILb0ELb1EhNS0_19identity_decomposerEEEEE10hipError_tT0_T1_T2_jT3_P12ihipStream_tbPNSt15iterator_traitsISE_E10value_typeEPNSK_ISF_E10value_typeEPSG_NS1_7vsmem_tEENKUlT_SE_SF_SG_E_clIS8_S8_S9_S9_EESD_ST_SE_SF_SG_EUlST_E_NS1_11comp_targetILNS1_3genE8ELNS1_11target_archE1030ELNS1_3gpuE2ELNS1_3repE0EEENS1_48merge_mergepath_partition_config_static_selectorELNS0_4arch9wavefront6targetE1EEEvSF_,"axG",@progbits,_ZN7rocprim17ROCPRIM_400000_NS6detail17trampoline_kernelINS0_14default_configENS1_38merge_sort_block_merge_config_selectorIhNS0_10empty_typeEEEZZNS1_27merge_sort_block_merge_implIS3_PhPS5_jNS1_19radix_merge_compareILb0ELb1EhNS0_19identity_decomposerEEEEE10hipError_tT0_T1_T2_jT3_P12ihipStream_tbPNSt15iterator_traitsISE_E10value_typeEPNSK_ISF_E10value_typeEPSG_NS1_7vsmem_tEENKUlT_SE_SF_SG_E_clIS8_S8_S9_S9_EESD_ST_SE_SF_SG_EUlST_E_NS1_11comp_targetILNS1_3genE8ELNS1_11target_archE1030ELNS1_3gpuE2ELNS1_3repE0EEENS1_48merge_mergepath_partition_config_static_selectorELNS0_4arch9wavefront6targetE1EEEvSF_,comdat
	.protected	_ZN7rocprim17ROCPRIM_400000_NS6detail17trampoline_kernelINS0_14default_configENS1_38merge_sort_block_merge_config_selectorIhNS0_10empty_typeEEEZZNS1_27merge_sort_block_merge_implIS3_PhPS5_jNS1_19radix_merge_compareILb0ELb1EhNS0_19identity_decomposerEEEEE10hipError_tT0_T1_T2_jT3_P12ihipStream_tbPNSt15iterator_traitsISE_E10value_typeEPNSK_ISF_E10value_typeEPSG_NS1_7vsmem_tEENKUlT_SE_SF_SG_E_clIS8_S8_S9_S9_EESD_ST_SE_SF_SG_EUlST_E_NS1_11comp_targetILNS1_3genE8ELNS1_11target_archE1030ELNS1_3gpuE2ELNS1_3repE0EEENS1_48merge_mergepath_partition_config_static_selectorELNS0_4arch9wavefront6targetE1EEEvSF_ ; -- Begin function _ZN7rocprim17ROCPRIM_400000_NS6detail17trampoline_kernelINS0_14default_configENS1_38merge_sort_block_merge_config_selectorIhNS0_10empty_typeEEEZZNS1_27merge_sort_block_merge_implIS3_PhPS5_jNS1_19radix_merge_compareILb0ELb1EhNS0_19identity_decomposerEEEEE10hipError_tT0_T1_T2_jT3_P12ihipStream_tbPNSt15iterator_traitsISE_E10value_typeEPNSK_ISF_E10value_typeEPSG_NS1_7vsmem_tEENKUlT_SE_SF_SG_E_clIS8_S8_S9_S9_EESD_ST_SE_SF_SG_EUlST_E_NS1_11comp_targetILNS1_3genE8ELNS1_11target_archE1030ELNS1_3gpuE2ELNS1_3repE0EEENS1_48merge_mergepath_partition_config_static_selectorELNS0_4arch9wavefront6targetE1EEEvSF_
	.globl	_ZN7rocprim17ROCPRIM_400000_NS6detail17trampoline_kernelINS0_14default_configENS1_38merge_sort_block_merge_config_selectorIhNS0_10empty_typeEEEZZNS1_27merge_sort_block_merge_implIS3_PhPS5_jNS1_19radix_merge_compareILb0ELb1EhNS0_19identity_decomposerEEEEE10hipError_tT0_T1_T2_jT3_P12ihipStream_tbPNSt15iterator_traitsISE_E10value_typeEPNSK_ISF_E10value_typeEPSG_NS1_7vsmem_tEENKUlT_SE_SF_SG_E_clIS8_S8_S9_S9_EESD_ST_SE_SF_SG_EUlST_E_NS1_11comp_targetILNS1_3genE8ELNS1_11target_archE1030ELNS1_3gpuE2ELNS1_3repE0EEENS1_48merge_mergepath_partition_config_static_selectorELNS0_4arch9wavefront6targetE1EEEvSF_
	.p2align	8
	.type	_ZN7rocprim17ROCPRIM_400000_NS6detail17trampoline_kernelINS0_14default_configENS1_38merge_sort_block_merge_config_selectorIhNS0_10empty_typeEEEZZNS1_27merge_sort_block_merge_implIS3_PhPS5_jNS1_19radix_merge_compareILb0ELb1EhNS0_19identity_decomposerEEEEE10hipError_tT0_T1_T2_jT3_P12ihipStream_tbPNSt15iterator_traitsISE_E10value_typeEPNSK_ISF_E10value_typeEPSG_NS1_7vsmem_tEENKUlT_SE_SF_SG_E_clIS8_S8_S9_S9_EESD_ST_SE_SF_SG_EUlST_E_NS1_11comp_targetILNS1_3genE8ELNS1_11target_archE1030ELNS1_3gpuE2ELNS1_3repE0EEENS1_48merge_mergepath_partition_config_static_selectorELNS0_4arch9wavefront6targetE1EEEvSF_,@function
_ZN7rocprim17ROCPRIM_400000_NS6detail17trampoline_kernelINS0_14default_configENS1_38merge_sort_block_merge_config_selectorIhNS0_10empty_typeEEEZZNS1_27merge_sort_block_merge_implIS3_PhPS5_jNS1_19radix_merge_compareILb0ELb1EhNS0_19identity_decomposerEEEEE10hipError_tT0_T1_T2_jT3_P12ihipStream_tbPNSt15iterator_traitsISE_E10value_typeEPNSK_ISF_E10value_typeEPSG_NS1_7vsmem_tEENKUlT_SE_SF_SG_E_clIS8_S8_S9_S9_EESD_ST_SE_SF_SG_EUlST_E_NS1_11comp_targetILNS1_3genE8ELNS1_11target_archE1030ELNS1_3gpuE2ELNS1_3repE0EEENS1_48merge_mergepath_partition_config_static_selectorELNS0_4arch9wavefront6targetE1EEEvSF_: ; @_ZN7rocprim17ROCPRIM_400000_NS6detail17trampoline_kernelINS0_14default_configENS1_38merge_sort_block_merge_config_selectorIhNS0_10empty_typeEEEZZNS1_27merge_sort_block_merge_implIS3_PhPS5_jNS1_19radix_merge_compareILb0ELb1EhNS0_19identity_decomposerEEEEE10hipError_tT0_T1_T2_jT3_P12ihipStream_tbPNSt15iterator_traitsISE_E10value_typeEPNSK_ISF_E10value_typeEPSG_NS1_7vsmem_tEENKUlT_SE_SF_SG_E_clIS8_S8_S9_S9_EESD_ST_SE_SF_SG_EUlST_E_NS1_11comp_targetILNS1_3genE8ELNS1_11target_archE1030ELNS1_3gpuE2ELNS1_3repE0EEENS1_48merge_mergepath_partition_config_static_selectorELNS0_4arch9wavefront6targetE1EEEvSF_
; %bb.0:
	.section	.rodata,"a",@progbits
	.p2align	6, 0x0
	.amdhsa_kernel _ZN7rocprim17ROCPRIM_400000_NS6detail17trampoline_kernelINS0_14default_configENS1_38merge_sort_block_merge_config_selectorIhNS0_10empty_typeEEEZZNS1_27merge_sort_block_merge_implIS3_PhPS5_jNS1_19radix_merge_compareILb0ELb1EhNS0_19identity_decomposerEEEEE10hipError_tT0_T1_T2_jT3_P12ihipStream_tbPNSt15iterator_traitsISE_E10value_typeEPNSK_ISF_E10value_typeEPSG_NS1_7vsmem_tEENKUlT_SE_SF_SG_E_clIS8_S8_S9_S9_EESD_ST_SE_SF_SG_EUlST_E_NS1_11comp_targetILNS1_3genE8ELNS1_11target_archE1030ELNS1_3gpuE2ELNS1_3repE0EEENS1_48merge_mergepath_partition_config_static_selectorELNS0_4arch9wavefront6targetE1EEEvSF_
		.amdhsa_group_segment_fixed_size 0
		.amdhsa_private_segment_fixed_size 0
		.amdhsa_kernarg_size 40
		.amdhsa_user_sgpr_count 6
		.amdhsa_user_sgpr_private_segment_buffer 1
		.amdhsa_user_sgpr_dispatch_ptr 0
		.amdhsa_user_sgpr_queue_ptr 0
		.amdhsa_user_sgpr_kernarg_segment_ptr 1
		.amdhsa_user_sgpr_dispatch_id 0
		.amdhsa_user_sgpr_flat_scratch_init 0
		.amdhsa_user_sgpr_kernarg_preload_length 0
		.amdhsa_user_sgpr_kernarg_preload_offset 0
		.amdhsa_user_sgpr_private_segment_size 0
		.amdhsa_uses_dynamic_stack 0
		.amdhsa_system_sgpr_private_segment_wavefront_offset 0
		.amdhsa_system_sgpr_workgroup_id_x 1
		.amdhsa_system_sgpr_workgroup_id_y 0
		.amdhsa_system_sgpr_workgroup_id_z 0
		.amdhsa_system_sgpr_workgroup_info 0
		.amdhsa_system_vgpr_workitem_id 0
		.amdhsa_next_free_vgpr 1
		.amdhsa_next_free_sgpr 0
		.amdhsa_accum_offset 4
		.amdhsa_reserve_vcc 0
		.amdhsa_reserve_flat_scratch 0
		.amdhsa_float_round_mode_32 0
		.amdhsa_float_round_mode_16_64 0
		.amdhsa_float_denorm_mode_32 3
		.amdhsa_float_denorm_mode_16_64 3
		.amdhsa_dx10_clamp 1
		.amdhsa_ieee_mode 1
		.amdhsa_fp16_overflow 0
		.amdhsa_tg_split 0
		.amdhsa_exception_fp_ieee_invalid_op 0
		.amdhsa_exception_fp_denorm_src 0
		.amdhsa_exception_fp_ieee_div_zero 0
		.amdhsa_exception_fp_ieee_overflow 0
		.amdhsa_exception_fp_ieee_underflow 0
		.amdhsa_exception_fp_ieee_inexact 0
		.amdhsa_exception_int_div_zero 0
	.end_amdhsa_kernel
	.section	.text._ZN7rocprim17ROCPRIM_400000_NS6detail17trampoline_kernelINS0_14default_configENS1_38merge_sort_block_merge_config_selectorIhNS0_10empty_typeEEEZZNS1_27merge_sort_block_merge_implIS3_PhPS5_jNS1_19radix_merge_compareILb0ELb1EhNS0_19identity_decomposerEEEEE10hipError_tT0_T1_T2_jT3_P12ihipStream_tbPNSt15iterator_traitsISE_E10value_typeEPNSK_ISF_E10value_typeEPSG_NS1_7vsmem_tEENKUlT_SE_SF_SG_E_clIS8_S8_S9_S9_EESD_ST_SE_SF_SG_EUlST_E_NS1_11comp_targetILNS1_3genE8ELNS1_11target_archE1030ELNS1_3gpuE2ELNS1_3repE0EEENS1_48merge_mergepath_partition_config_static_selectorELNS0_4arch9wavefront6targetE1EEEvSF_,"axG",@progbits,_ZN7rocprim17ROCPRIM_400000_NS6detail17trampoline_kernelINS0_14default_configENS1_38merge_sort_block_merge_config_selectorIhNS0_10empty_typeEEEZZNS1_27merge_sort_block_merge_implIS3_PhPS5_jNS1_19radix_merge_compareILb0ELb1EhNS0_19identity_decomposerEEEEE10hipError_tT0_T1_T2_jT3_P12ihipStream_tbPNSt15iterator_traitsISE_E10value_typeEPNSK_ISF_E10value_typeEPSG_NS1_7vsmem_tEENKUlT_SE_SF_SG_E_clIS8_S8_S9_S9_EESD_ST_SE_SF_SG_EUlST_E_NS1_11comp_targetILNS1_3genE8ELNS1_11target_archE1030ELNS1_3gpuE2ELNS1_3repE0EEENS1_48merge_mergepath_partition_config_static_selectorELNS0_4arch9wavefront6targetE1EEEvSF_,comdat
.Lfunc_end285:
	.size	_ZN7rocprim17ROCPRIM_400000_NS6detail17trampoline_kernelINS0_14default_configENS1_38merge_sort_block_merge_config_selectorIhNS0_10empty_typeEEEZZNS1_27merge_sort_block_merge_implIS3_PhPS5_jNS1_19radix_merge_compareILb0ELb1EhNS0_19identity_decomposerEEEEE10hipError_tT0_T1_T2_jT3_P12ihipStream_tbPNSt15iterator_traitsISE_E10value_typeEPNSK_ISF_E10value_typeEPSG_NS1_7vsmem_tEENKUlT_SE_SF_SG_E_clIS8_S8_S9_S9_EESD_ST_SE_SF_SG_EUlST_E_NS1_11comp_targetILNS1_3genE8ELNS1_11target_archE1030ELNS1_3gpuE2ELNS1_3repE0EEENS1_48merge_mergepath_partition_config_static_selectorELNS0_4arch9wavefront6targetE1EEEvSF_, .Lfunc_end285-_ZN7rocprim17ROCPRIM_400000_NS6detail17trampoline_kernelINS0_14default_configENS1_38merge_sort_block_merge_config_selectorIhNS0_10empty_typeEEEZZNS1_27merge_sort_block_merge_implIS3_PhPS5_jNS1_19radix_merge_compareILb0ELb1EhNS0_19identity_decomposerEEEEE10hipError_tT0_T1_T2_jT3_P12ihipStream_tbPNSt15iterator_traitsISE_E10value_typeEPNSK_ISF_E10value_typeEPSG_NS1_7vsmem_tEENKUlT_SE_SF_SG_E_clIS8_S8_S9_S9_EESD_ST_SE_SF_SG_EUlST_E_NS1_11comp_targetILNS1_3genE8ELNS1_11target_archE1030ELNS1_3gpuE2ELNS1_3repE0EEENS1_48merge_mergepath_partition_config_static_selectorELNS0_4arch9wavefront6targetE1EEEvSF_
                                        ; -- End function
	.section	.AMDGPU.csdata,"",@progbits
; Kernel info:
; codeLenInByte = 0
; NumSgprs: 4
; NumVgprs: 0
; NumAgprs: 0
; TotalNumVgprs: 0
; ScratchSize: 0
; MemoryBound: 0
; FloatMode: 240
; IeeeMode: 1
; LDSByteSize: 0 bytes/workgroup (compile time only)
; SGPRBlocks: 0
; VGPRBlocks: 0
; NumSGPRsForWavesPerEU: 4
; NumVGPRsForWavesPerEU: 1
; AccumOffset: 4
; Occupancy: 8
; WaveLimiterHint : 0
; COMPUTE_PGM_RSRC2:SCRATCH_EN: 0
; COMPUTE_PGM_RSRC2:USER_SGPR: 6
; COMPUTE_PGM_RSRC2:TRAP_HANDLER: 0
; COMPUTE_PGM_RSRC2:TGID_X_EN: 1
; COMPUTE_PGM_RSRC2:TGID_Y_EN: 0
; COMPUTE_PGM_RSRC2:TGID_Z_EN: 0
; COMPUTE_PGM_RSRC2:TIDIG_COMP_CNT: 0
; COMPUTE_PGM_RSRC3_GFX90A:ACCUM_OFFSET: 0
; COMPUTE_PGM_RSRC3_GFX90A:TG_SPLIT: 0
	.section	.text._ZN7rocprim17ROCPRIM_400000_NS6detail17trampoline_kernelINS0_14default_configENS1_38merge_sort_block_merge_config_selectorIhNS0_10empty_typeEEEZZNS1_27merge_sort_block_merge_implIS3_PhPS5_jNS1_19radix_merge_compareILb0ELb1EhNS0_19identity_decomposerEEEEE10hipError_tT0_T1_T2_jT3_P12ihipStream_tbPNSt15iterator_traitsISE_E10value_typeEPNSK_ISF_E10value_typeEPSG_NS1_7vsmem_tEENKUlT_SE_SF_SG_E_clIS8_S8_S9_S9_EESD_ST_SE_SF_SG_EUlST_E0_NS1_11comp_targetILNS1_3genE0ELNS1_11target_archE4294967295ELNS1_3gpuE0ELNS1_3repE0EEENS1_38merge_mergepath_config_static_selectorELNS0_4arch9wavefront6targetE1EEEvSF_,"axG",@progbits,_ZN7rocprim17ROCPRIM_400000_NS6detail17trampoline_kernelINS0_14default_configENS1_38merge_sort_block_merge_config_selectorIhNS0_10empty_typeEEEZZNS1_27merge_sort_block_merge_implIS3_PhPS5_jNS1_19radix_merge_compareILb0ELb1EhNS0_19identity_decomposerEEEEE10hipError_tT0_T1_T2_jT3_P12ihipStream_tbPNSt15iterator_traitsISE_E10value_typeEPNSK_ISF_E10value_typeEPSG_NS1_7vsmem_tEENKUlT_SE_SF_SG_E_clIS8_S8_S9_S9_EESD_ST_SE_SF_SG_EUlST_E0_NS1_11comp_targetILNS1_3genE0ELNS1_11target_archE4294967295ELNS1_3gpuE0ELNS1_3repE0EEENS1_38merge_mergepath_config_static_selectorELNS0_4arch9wavefront6targetE1EEEvSF_,comdat
	.protected	_ZN7rocprim17ROCPRIM_400000_NS6detail17trampoline_kernelINS0_14default_configENS1_38merge_sort_block_merge_config_selectorIhNS0_10empty_typeEEEZZNS1_27merge_sort_block_merge_implIS3_PhPS5_jNS1_19radix_merge_compareILb0ELb1EhNS0_19identity_decomposerEEEEE10hipError_tT0_T1_T2_jT3_P12ihipStream_tbPNSt15iterator_traitsISE_E10value_typeEPNSK_ISF_E10value_typeEPSG_NS1_7vsmem_tEENKUlT_SE_SF_SG_E_clIS8_S8_S9_S9_EESD_ST_SE_SF_SG_EUlST_E0_NS1_11comp_targetILNS1_3genE0ELNS1_11target_archE4294967295ELNS1_3gpuE0ELNS1_3repE0EEENS1_38merge_mergepath_config_static_selectorELNS0_4arch9wavefront6targetE1EEEvSF_ ; -- Begin function _ZN7rocprim17ROCPRIM_400000_NS6detail17trampoline_kernelINS0_14default_configENS1_38merge_sort_block_merge_config_selectorIhNS0_10empty_typeEEEZZNS1_27merge_sort_block_merge_implIS3_PhPS5_jNS1_19radix_merge_compareILb0ELb1EhNS0_19identity_decomposerEEEEE10hipError_tT0_T1_T2_jT3_P12ihipStream_tbPNSt15iterator_traitsISE_E10value_typeEPNSK_ISF_E10value_typeEPSG_NS1_7vsmem_tEENKUlT_SE_SF_SG_E_clIS8_S8_S9_S9_EESD_ST_SE_SF_SG_EUlST_E0_NS1_11comp_targetILNS1_3genE0ELNS1_11target_archE4294967295ELNS1_3gpuE0ELNS1_3repE0EEENS1_38merge_mergepath_config_static_selectorELNS0_4arch9wavefront6targetE1EEEvSF_
	.globl	_ZN7rocprim17ROCPRIM_400000_NS6detail17trampoline_kernelINS0_14default_configENS1_38merge_sort_block_merge_config_selectorIhNS0_10empty_typeEEEZZNS1_27merge_sort_block_merge_implIS3_PhPS5_jNS1_19radix_merge_compareILb0ELb1EhNS0_19identity_decomposerEEEEE10hipError_tT0_T1_T2_jT3_P12ihipStream_tbPNSt15iterator_traitsISE_E10value_typeEPNSK_ISF_E10value_typeEPSG_NS1_7vsmem_tEENKUlT_SE_SF_SG_E_clIS8_S8_S9_S9_EESD_ST_SE_SF_SG_EUlST_E0_NS1_11comp_targetILNS1_3genE0ELNS1_11target_archE4294967295ELNS1_3gpuE0ELNS1_3repE0EEENS1_38merge_mergepath_config_static_selectorELNS0_4arch9wavefront6targetE1EEEvSF_
	.p2align	8
	.type	_ZN7rocprim17ROCPRIM_400000_NS6detail17trampoline_kernelINS0_14default_configENS1_38merge_sort_block_merge_config_selectorIhNS0_10empty_typeEEEZZNS1_27merge_sort_block_merge_implIS3_PhPS5_jNS1_19radix_merge_compareILb0ELb1EhNS0_19identity_decomposerEEEEE10hipError_tT0_T1_T2_jT3_P12ihipStream_tbPNSt15iterator_traitsISE_E10value_typeEPNSK_ISF_E10value_typeEPSG_NS1_7vsmem_tEENKUlT_SE_SF_SG_E_clIS8_S8_S9_S9_EESD_ST_SE_SF_SG_EUlST_E0_NS1_11comp_targetILNS1_3genE0ELNS1_11target_archE4294967295ELNS1_3gpuE0ELNS1_3repE0EEENS1_38merge_mergepath_config_static_selectorELNS0_4arch9wavefront6targetE1EEEvSF_,@function
_ZN7rocprim17ROCPRIM_400000_NS6detail17trampoline_kernelINS0_14default_configENS1_38merge_sort_block_merge_config_selectorIhNS0_10empty_typeEEEZZNS1_27merge_sort_block_merge_implIS3_PhPS5_jNS1_19radix_merge_compareILb0ELb1EhNS0_19identity_decomposerEEEEE10hipError_tT0_T1_T2_jT3_P12ihipStream_tbPNSt15iterator_traitsISE_E10value_typeEPNSK_ISF_E10value_typeEPSG_NS1_7vsmem_tEENKUlT_SE_SF_SG_E_clIS8_S8_S9_S9_EESD_ST_SE_SF_SG_EUlST_E0_NS1_11comp_targetILNS1_3genE0ELNS1_11target_archE4294967295ELNS1_3gpuE0ELNS1_3repE0EEENS1_38merge_mergepath_config_static_selectorELNS0_4arch9wavefront6targetE1EEEvSF_: ; @_ZN7rocprim17ROCPRIM_400000_NS6detail17trampoline_kernelINS0_14default_configENS1_38merge_sort_block_merge_config_selectorIhNS0_10empty_typeEEEZZNS1_27merge_sort_block_merge_implIS3_PhPS5_jNS1_19radix_merge_compareILb0ELb1EhNS0_19identity_decomposerEEEEE10hipError_tT0_T1_T2_jT3_P12ihipStream_tbPNSt15iterator_traitsISE_E10value_typeEPNSK_ISF_E10value_typeEPSG_NS1_7vsmem_tEENKUlT_SE_SF_SG_E_clIS8_S8_S9_S9_EESD_ST_SE_SF_SG_EUlST_E0_NS1_11comp_targetILNS1_3genE0ELNS1_11target_archE4294967295ELNS1_3gpuE0ELNS1_3repE0EEENS1_38merge_mergepath_config_static_selectorELNS0_4arch9wavefront6targetE1EEEvSF_
; %bb.0:
	.section	.rodata,"a",@progbits
	.p2align	6, 0x0
	.amdhsa_kernel _ZN7rocprim17ROCPRIM_400000_NS6detail17trampoline_kernelINS0_14default_configENS1_38merge_sort_block_merge_config_selectorIhNS0_10empty_typeEEEZZNS1_27merge_sort_block_merge_implIS3_PhPS5_jNS1_19radix_merge_compareILb0ELb1EhNS0_19identity_decomposerEEEEE10hipError_tT0_T1_T2_jT3_P12ihipStream_tbPNSt15iterator_traitsISE_E10value_typeEPNSK_ISF_E10value_typeEPSG_NS1_7vsmem_tEENKUlT_SE_SF_SG_E_clIS8_S8_S9_S9_EESD_ST_SE_SF_SG_EUlST_E0_NS1_11comp_targetILNS1_3genE0ELNS1_11target_archE4294967295ELNS1_3gpuE0ELNS1_3repE0EEENS1_38merge_mergepath_config_static_selectorELNS0_4arch9wavefront6targetE1EEEvSF_
		.amdhsa_group_segment_fixed_size 0
		.amdhsa_private_segment_fixed_size 0
		.amdhsa_kernarg_size 64
		.amdhsa_user_sgpr_count 6
		.amdhsa_user_sgpr_private_segment_buffer 1
		.amdhsa_user_sgpr_dispatch_ptr 0
		.amdhsa_user_sgpr_queue_ptr 0
		.amdhsa_user_sgpr_kernarg_segment_ptr 1
		.amdhsa_user_sgpr_dispatch_id 0
		.amdhsa_user_sgpr_flat_scratch_init 0
		.amdhsa_user_sgpr_kernarg_preload_length 0
		.amdhsa_user_sgpr_kernarg_preload_offset 0
		.amdhsa_user_sgpr_private_segment_size 0
		.amdhsa_uses_dynamic_stack 0
		.amdhsa_system_sgpr_private_segment_wavefront_offset 0
		.amdhsa_system_sgpr_workgroup_id_x 1
		.amdhsa_system_sgpr_workgroup_id_y 0
		.amdhsa_system_sgpr_workgroup_id_z 0
		.amdhsa_system_sgpr_workgroup_info 0
		.amdhsa_system_vgpr_workitem_id 0
		.amdhsa_next_free_vgpr 1
		.amdhsa_next_free_sgpr 0
		.amdhsa_accum_offset 4
		.amdhsa_reserve_vcc 0
		.amdhsa_reserve_flat_scratch 0
		.amdhsa_float_round_mode_32 0
		.amdhsa_float_round_mode_16_64 0
		.amdhsa_float_denorm_mode_32 3
		.amdhsa_float_denorm_mode_16_64 3
		.amdhsa_dx10_clamp 1
		.amdhsa_ieee_mode 1
		.amdhsa_fp16_overflow 0
		.amdhsa_tg_split 0
		.amdhsa_exception_fp_ieee_invalid_op 0
		.amdhsa_exception_fp_denorm_src 0
		.amdhsa_exception_fp_ieee_div_zero 0
		.amdhsa_exception_fp_ieee_overflow 0
		.amdhsa_exception_fp_ieee_underflow 0
		.amdhsa_exception_fp_ieee_inexact 0
		.amdhsa_exception_int_div_zero 0
	.end_amdhsa_kernel
	.section	.text._ZN7rocprim17ROCPRIM_400000_NS6detail17trampoline_kernelINS0_14default_configENS1_38merge_sort_block_merge_config_selectorIhNS0_10empty_typeEEEZZNS1_27merge_sort_block_merge_implIS3_PhPS5_jNS1_19radix_merge_compareILb0ELb1EhNS0_19identity_decomposerEEEEE10hipError_tT0_T1_T2_jT3_P12ihipStream_tbPNSt15iterator_traitsISE_E10value_typeEPNSK_ISF_E10value_typeEPSG_NS1_7vsmem_tEENKUlT_SE_SF_SG_E_clIS8_S8_S9_S9_EESD_ST_SE_SF_SG_EUlST_E0_NS1_11comp_targetILNS1_3genE0ELNS1_11target_archE4294967295ELNS1_3gpuE0ELNS1_3repE0EEENS1_38merge_mergepath_config_static_selectorELNS0_4arch9wavefront6targetE1EEEvSF_,"axG",@progbits,_ZN7rocprim17ROCPRIM_400000_NS6detail17trampoline_kernelINS0_14default_configENS1_38merge_sort_block_merge_config_selectorIhNS0_10empty_typeEEEZZNS1_27merge_sort_block_merge_implIS3_PhPS5_jNS1_19radix_merge_compareILb0ELb1EhNS0_19identity_decomposerEEEEE10hipError_tT0_T1_T2_jT3_P12ihipStream_tbPNSt15iterator_traitsISE_E10value_typeEPNSK_ISF_E10value_typeEPSG_NS1_7vsmem_tEENKUlT_SE_SF_SG_E_clIS8_S8_S9_S9_EESD_ST_SE_SF_SG_EUlST_E0_NS1_11comp_targetILNS1_3genE0ELNS1_11target_archE4294967295ELNS1_3gpuE0ELNS1_3repE0EEENS1_38merge_mergepath_config_static_selectorELNS0_4arch9wavefront6targetE1EEEvSF_,comdat
.Lfunc_end286:
	.size	_ZN7rocprim17ROCPRIM_400000_NS6detail17trampoline_kernelINS0_14default_configENS1_38merge_sort_block_merge_config_selectorIhNS0_10empty_typeEEEZZNS1_27merge_sort_block_merge_implIS3_PhPS5_jNS1_19radix_merge_compareILb0ELb1EhNS0_19identity_decomposerEEEEE10hipError_tT0_T1_T2_jT3_P12ihipStream_tbPNSt15iterator_traitsISE_E10value_typeEPNSK_ISF_E10value_typeEPSG_NS1_7vsmem_tEENKUlT_SE_SF_SG_E_clIS8_S8_S9_S9_EESD_ST_SE_SF_SG_EUlST_E0_NS1_11comp_targetILNS1_3genE0ELNS1_11target_archE4294967295ELNS1_3gpuE0ELNS1_3repE0EEENS1_38merge_mergepath_config_static_selectorELNS0_4arch9wavefront6targetE1EEEvSF_, .Lfunc_end286-_ZN7rocprim17ROCPRIM_400000_NS6detail17trampoline_kernelINS0_14default_configENS1_38merge_sort_block_merge_config_selectorIhNS0_10empty_typeEEEZZNS1_27merge_sort_block_merge_implIS3_PhPS5_jNS1_19radix_merge_compareILb0ELb1EhNS0_19identity_decomposerEEEEE10hipError_tT0_T1_T2_jT3_P12ihipStream_tbPNSt15iterator_traitsISE_E10value_typeEPNSK_ISF_E10value_typeEPSG_NS1_7vsmem_tEENKUlT_SE_SF_SG_E_clIS8_S8_S9_S9_EESD_ST_SE_SF_SG_EUlST_E0_NS1_11comp_targetILNS1_3genE0ELNS1_11target_archE4294967295ELNS1_3gpuE0ELNS1_3repE0EEENS1_38merge_mergepath_config_static_selectorELNS0_4arch9wavefront6targetE1EEEvSF_
                                        ; -- End function
	.section	.AMDGPU.csdata,"",@progbits
; Kernel info:
; codeLenInByte = 0
; NumSgprs: 4
; NumVgprs: 0
; NumAgprs: 0
; TotalNumVgprs: 0
; ScratchSize: 0
; MemoryBound: 0
; FloatMode: 240
; IeeeMode: 1
; LDSByteSize: 0 bytes/workgroup (compile time only)
; SGPRBlocks: 0
; VGPRBlocks: 0
; NumSGPRsForWavesPerEU: 4
; NumVGPRsForWavesPerEU: 1
; AccumOffset: 4
; Occupancy: 8
; WaveLimiterHint : 0
; COMPUTE_PGM_RSRC2:SCRATCH_EN: 0
; COMPUTE_PGM_RSRC2:USER_SGPR: 6
; COMPUTE_PGM_RSRC2:TRAP_HANDLER: 0
; COMPUTE_PGM_RSRC2:TGID_X_EN: 1
; COMPUTE_PGM_RSRC2:TGID_Y_EN: 0
; COMPUTE_PGM_RSRC2:TGID_Z_EN: 0
; COMPUTE_PGM_RSRC2:TIDIG_COMP_CNT: 0
; COMPUTE_PGM_RSRC3_GFX90A:ACCUM_OFFSET: 0
; COMPUTE_PGM_RSRC3_GFX90A:TG_SPLIT: 0
	.section	.text._ZN7rocprim17ROCPRIM_400000_NS6detail17trampoline_kernelINS0_14default_configENS1_38merge_sort_block_merge_config_selectorIhNS0_10empty_typeEEEZZNS1_27merge_sort_block_merge_implIS3_PhPS5_jNS1_19radix_merge_compareILb0ELb1EhNS0_19identity_decomposerEEEEE10hipError_tT0_T1_T2_jT3_P12ihipStream_tbPNSt15iterator_traitsISE_E10value_typeEPNSK_ISF_E10value_typeEPSG_NS1_7vsmem_tEENKUlT_SE_SF_SG_E_clIS8_S8_S9_S9_EESD_ST_SE_SF_SG_EUlST_E0_NS1_11comp_targetILNS1_3genE10ELNS1_11target_archE1201ELNS1_3gpuE5ELNS1_3repE0EEENS1_38merge_mergepath_config_static_selectorELNS0_4arch9wavefront6targetE1EEEvSF_,"axG",@progbits,_ZN7rocprim17ROCPRIM_400000_NS6detail17trampoline_kernelINS0_14default_configENS1_38merge_sort_block_merge_config_selectorIhNS0_10empty_typeEEEZZNS1_27merge_sort_block_merge_implIS3_PhPS5_jNS1_19radix_merge_compareILb0ELb1EhNS0_19identity_decomposerEEEEE10hipError_tT0_T1_T2_jT3_P12ihipStream_tbPNSt15iterator_traitsISE_E10value_typeEPNSK_ISF_E10value_typeEPSG_NS1_7vsmem_tEENKUlT_SE_SF_SG_E_clIS8_S8_S9_S9_EESD_ST_SE_SF_SG_EUlST_E0_NS1_11comp_targetILNS1_3genE10ELNS1_11target_archE1201ELNS1_3gpuE5ELNS1_3repE0EEENS1_38merge_mergepath_config_static_selectorELNS0_4arch9wavefront6targetE1EEEvSF_,comdat
	.protected	_ZN7rocprim17ROCPRIM_400000_NS6detail17trampoline_kernelINS0_14default_configENS1_38merge_sort_block_merge_config_selectorIhNS0_10empty_typeEEEZZNS1_27merge_sort_block_merge_implIS3_PhPS5_jNS1_19radix_merge_compareILb0ELb1EhNS0_19identity_decomposerEEEEE10hipError_tT0_T1_T2_jT3_P12ihipStream_tbPNSt15iterator_traitsISE_E10value_typeEPNSK_ISF_E10value_typeEPSG_NS1_7vsmem_tEENKUlT_SE_SF_SG_E_clIS8_S8_S9_S9_EESD_ST_SE_SF_SG_EUlST_E0_NS1_11comp_targetILNS1_3genE10ELNS1_11target_archE1201ELNS1_3gpuE5ELNS1_3repE0EEENS1_38merge_mergepath_config_static_selectorELNS0_4arch9wavefront6targetE1EEEvSF_ ; -- Begin function _ZN7rocprim17ROCPRIM_400000_NS6detail17trampoline_kernelINS0_14default_configENS1_38merge_sort_block_merge_config_selectorIhNS0_10empty_typeEEEZZNS1_27merge_sort_block_merge_implIS3_PhPS5_jNS1_19radix_merge_compareILb0ELb1EhNS0_19identity_decomposerEEEEE10hipError_tT0_T1_T2_jT3_P12ihipStream_tbPNSt15iterator_traitsISE_E10value_typeEPNSK_ISF_E10value_typeEPSG_NS1_7vsmem_tEENKUlT_SE_SF_SG_E_clIS8_S8_S9_S9_EESD_ST_SE_SF_SG_EUlST_E0_NS1_11comp_targetILNS1_3genE10ELNS1_11target_archE1201ELNS1_3gpuE5ELNS1_3repE0EEENS1_38merge_mergepath_config_static_selectorELNS0_4arch9wavefront6targetE1EEEvSF_
	.globl	_ZN7rocprim17ROCPRIM_400000_NS6detail17trampoline_kernelINS0_14default_configENS1_38merge_sort_block_merge_config_selectorIhNS0_10empty_typeEEEZZNS1_27merge_sort_block_merge_implIS3_PhPS5_jNS1_19radix_merge_compareILb0ELb1EhNS0_19identity_decomposerEEEEE10hipError_tT0_T1_T2_jT3_P12ihipStream_tbPNSt15iterator_traitsISE_E10value_typeEPNSK_ISF_E10value_typeEPSG_NS1_7vsmem_tEENKUlT_SE_SF_SG_E_clIS8_S8_S9_S9_EESD_ST_SE_SF_SG_EUlST_E0_NS1_11comp_targetILNS1_3genE10ELNS1_11target_archE1201ELNS1_3gpuE5ELNS1_3repE0EEENS1_38merge_mergepath_config_static_selectorELNS0_4arch9wavefront6targetE1EEEvSF_
	.p2align	8
	.type	_ZN7rocprim17ROCPRIM_400000_NS6detail17trampoline_kernelINS0_14default_configENS1_38merge_sort_block_merge_config_selectorIhNS0_10empty_typeEEEZZNS1_27merge_sort_block_merge_implIS3_PhPS5_jNS1_19radix_merge_compareILb0ELb1EhNS0_19identity_decomposerEEEEE10hipError_tT0_T1_T2_jT3_P12ihipStream_tbPNSt15iterator_traitsISE_E10value_typeEPNSK_ISF_E10value_typeEPSG_NS1_7vsmem_tEENKUlT_SE_SF_SG_E_clIS8_S8_S9_S9_EESD_ST_SE_SF_SG_EUlST_E0_NS1_11comp_targetILNS1_3genE10ELNS1_11target_archE1201ELNS1_3gpuE5ELNS1_3repE0EEENS1_38merge_mergepath_config_static_selectorELNS0_4arch9wavefront6targetE1EEEvSF_,@function
_ZN7rocprim17ROCPRIM_400000_NS6detail17trampoline_kernelINS0_14default_configENS1_38merge_sort_block_merge_config_selectorIhNS0_10empty_typeEEEZZNS1_27merge_sort_block_merge_implIS3_PhPS5_jNS1_19radix_merge_compareILb0ELb1EhNS0_19identity_decomposerEEEEE10hipError_tT0_T1_T2_jT3_P12ihipStream_tbPNSt15iterator_traitsISE_E10value_typeEPNSK_ISF_E10value_typeEPSG_NS1_7vsmem_tEENKUlT_SE_SF_SG_E_clIS8_S8_S9_S9_EESD_ST_SE_SF_SG_EUlST_E0_NS1_11comp_targetILNS1_3genE10ELNS1_11target_archE1201ELNS1_3gpuE5ELNS1_3repE0EEENS1_38merge_mergepath_config_static_selectorELNS0_4arch9wavefront6targetE1EEEvSF_: ; @_ZN7rocprim17ROCPRIM_400000_NS6detail17trampoline_kernelINS0_14default_configENS1_38merge_sort_block_merge_config_selectorIhNS0_10empty_typeEEEZZNS1_27merge_sort_block_merge_implIS3_PhPS5_jNS1_19radix_merge_compareILb0ELb1EhNS0_19identity_decomposerEEEEE10hipError_tT0_T1_T2_jT3_P12ihipStream_tbPNSt15iterator_traitsISE_E10value_typeEPNSK_ISF_E10value_typeEPSG_NS1_7vsmem_tEENKUlT_SE_SF_SG_E_clIS8_S8_S9_S9_EESD_ST_SE_SF_SG_EUlST_E0_NS1_11comp_targetILNS1_3genE10ELNS1_11target_archE1201ELNS1_3gpuE5ELNS1_3repE0EEENS1_38merge_mergepath_config_static_selectorELNS0_4arch9wavefront6targetE1EEEvSF_
; %bb.0:
	.section	.rodata,"a",@progbits
	.p2align	6, 0x0
	.amdhsa_kernel _ZN7rocprim17ROCPRIM_400000_NS6detail17trampoline_kernelINS0_14default_configENS1_38merge_sort_block_merge_config_selectorIhNS0_10empty_typeEEEZZNS1_27merge_sort_block_merge_implIS3_PhPS5_jNS1_19radix_merge_compareILb0ELb1EhNS0_19identity_decomposerEEEEE10hipError_tT0_T1_T2_jT3_P12ihipStream_tbPNSt15iterator_traitsISE_E10value_typeEPNSK_ISF_E10value_typeEPSG_NS1_7vsmem_tEENKUlT_SE_SF_SG_E_clIS8_S8_S9_S9_EESD_ST_SE_SF_SG_EUlST_E0_NS1_11comp_targetILNS1_3genE10ELNS1_11target_archE1201ELNS1_3gpuE5ELNS1_3repE0EEENS1_38merge_mergepath_config_static_selectorELNS0_4arch9wavefront6targetE1EEEvSF_
		.amdhsa_group_segment_fixed_size 0
		.amdhsa_private_segment_fixed_size 0
		.amdhsa_kernarg_size 64
		.amdhsa_user_sgpr_count 6
		.amdhsa_user_sgpr_private_segment_buffer 1
		.amdhsa_user_sgpr_dispatch_ptr 0
		.amdhsa_user_sgpr_queue_ptr 0
		.amdhsa_user_sgpr_kernarg_segment_ptr 1
		.amdhsa_user_sgpr_dispatch_id 0
		.amdhsa_user_sgpr_flat_scratch_init 0
		.amdhsa_user_sgpr_kernarg_preload_length 0
		.amdhsa_user_sgpr_kernarg_preload_offset 0
		.amdhsa_user_sgpr_private_segment_size 0
		.amdhsa_uses_dynamic_stack 0
		.amdhsa_system_sgpr_private_segment_wavefront_offset 0
		.amdhsa_system_sgpr_workgroup_id_x 1
		.amdhsa_system_sgpr_workgroup_id_y 0
		.amdhsa_system_sgpr_workgroup_id_z 0
		.amdhsa_system_sgpr_workgroup_info 0
		.amdhsa_system_vgpr_workitem_id 0
		.amdhsa_next_free_vgpr 1
		.amdhsa_next_free_sgpr 0
		.amdhsa_accum_offset 4
		.amdhsa_reserve_vcc 0
		.amdhsa_reserve_flat_scratch 0
		.amdhsa_float_round_mode_32 0
		.amdhsa_float_round_mode_16_64 0
		.amdhsa_float_denorm_mode_32 3
		.amdhsa_float_denorm_mode_16_64 3
		.amdhsa_dx10_clamp 1
		.amdhsa_ieee_mode 1
		.amdhsa_fp16_overflow 0
		.amdhsa_tg_split 0
		.amdhsa_exception_fp_ieee_invalid_op 0
		.amdhsa_exception_fp_denorm_src 0
		.amdhsa_exception_fp_ieee_div_zero 0
		.amdhsa_exception_fp_ieee_overflow 0
		.amdhsa_exception_fp_ieee_underflow 0
		.amdhsa_exception_fp_ieee_inexact 0
		.amdhsa_exception_int_div_zero 0
	.end_amdhsa_kernel
	.section	.text._ZN7rocprim17ROCPRIM_400000_NS6detail17trampoline_kernelINS0_14default_configENS1_38merge_sort_block_merge_config_selectorIhNS0_10empty_typeEEEZZNS1_27merge_sort_block_merge_implIS3_PhPS5_jNS1_19radix_merge_compareILb0ELb1EhNS0_19identity_decomposerEEEEE10hipError_tT0_T1_T2_jT3_P12ihipStream_tbPNSt15iterator_traitsISE_E10value_typeEPNSK_ISF_E10value_typeEPSG_NS1_7vsmem_tEENKUlT_SE_SF_SG_E_clIS8_S8_S9_S9_EESD_ST_SE_SF_SG_EUlST_E0_NS1_11comp_targetILNS1_3genE10ELNS1_11target_archE1201ELNS1_3gpuE5ELNS1_3repE0EEENS1_38merge_mergepath_config_static_selectorELNS0_4arch9wavefront6targetE1EEEvSF_,"axG",@progbits,_ZN7rocprim17ROCPRIM_400000_NS6detail17trampoline_kernelINS0_14default_configENS1_38merge_sort_block_merge_config_selectorIhNS0_10empty_typeEEEZZNS1_27merge_sort_block_merge_implIS3_PhPS5_jNS1_19radix_merge_compareILb0ELb1EhNS0_19identity_decomposerEEEEE10hipError_tT0_T1_T2_jT3_P12ihipStream_tbPNSt15iterator_traitsISE_E10value_typeEPNSK_ISF_E10value_typeEPSG_NS1_7vsmem_tEENKUlT_SE_SF_SG_E_clIS8_S8_S9_S9_EESD_ST_SE_SF_SG_EUlST_E0_NS1_11comp_targetILNS1_3genE10ELNS1_11target_archE1201ELNS1_3gpuE5ELNS1_3repE0EEENS1_38merge_mergepath_config_static_selectorELNS0_4arch9wavefront6targetE1EEEvSF_,comdat
.Lfunc_end287:
	.size	_ZN7rocprim17ROCPRIM_400000_NS6detail17trampoline_kernelINS0_14default_configENS1_38merge_sort_block_merge_config_selectorIhNS0_10empty_typeEEEZZNS1_27merge_sort_block_merge_implIS3_PhPS5_jNS1_19radix_merge_compareILb0ELb1EhNS0_19identity_decomposerEEEEE10hipError_tT0_T1_T2_jT3_P12ihipStream_tbPNSt15iterator_traitsISE_E10value_typeEPNSK_ISF_E10value_typeEPSG_NS1_7vsmem_tEENKUlT_SE_SF_SG_E_clIS8_S8_S9_S9_EESD_ST_SE_SF_SG_EUlST_E0_NS1_11comp_targetILNS1_3genE10ELNS1_11target_archE1201ELNS1_3gpuE5ELNS1_3repE0EEENS1_38merge_mergepath_config_static_selectorELNS0_4arch9wavefront6targetE1EEEvSF_, .Lfunc_end287-_ZN7rocprim17ROCPRIM_400000_NS6detail17trampoline_kernelINS0_14default_configENS1_38merge_sort_block_merge_config_selectorIhNS0_10empty_typeEEEZZNS1_27merge_sort_block_merge_implIS3_PhPS5_jNS1_19radix_merge_compareILb0ELb1EhNS0_19identity_decomposerEEEEE10hipError_tT0_T1_T2_jT3_P12ihipStream_tbPNSt15iterator_traitsISE_E10value_typeEPNSK_ISF_E10value_typeEPSG_NS1_7vsmem_tEENKUlT_SE_SF_SG_E_clIS8_S8_S9_S9_EESD_ST_SE_SF_SG_EUlST_E0_NS1_11comp_targetILNS1_3genE10ELNS1_11target_archE1201ELNS1_3gpuE5ELNS1_3repE0EEENS1_38merge_mergepath_config_static_selectorELNS0_4arch9wavefront6targetE1EEEvSF_
                                        ; -- End function
	.section	.AMDGPU.csdata,"",@progbits
; Kernel info:
; codeLenInByte = 0
; NumSgprs: 4
; NumVgprs: 0
; NumAgprs: 0
; TotalNumVgprs: 0
; ScratchSize: 0
; MemoryBound: 0
; FloatMode: 240
; IeeeMode: 1
; LDSByteSize: 0 bytes/workgroup (compile time only)
; SGPRBlocks: 0
; VGPRBlocks: 0
; NumSGPRsForWavesPerEU: 4
; NumVGPRsForWavesPerEU: 1
; AccumOffset: 4
; Occupancy: 8
; WaveLimiterHint : 0
; COMPUTE_PGM_RSRC2:SCRATCH_EN: 0
; COMPUTE_PGM_RSRC2:USER_SGPR: 6
; COMPUTE_PGM_RSRC2:TRAP_HANDLER: 0
; COMPUTE_PGM_RSRC2:TGID_X_EN: 1
; COMPUTE_PGM_RSRC2:TGID_Y_EN: 0
; COMPUTE_PGM_RSRC2:TGID_Z_EN: 0
; COMPUTE_PGM_RSRC2:TIDIG_COMP_CNT: 0
; COMPUTE_PGM_RSRC3_GFX90A:ACCUM_OFFSET: 0
; COMPUTE_PGM_RSRC3_GFX90A:TG_SPLIT: 0
	.section	.text._ZN7rocprim17ROCPRIM_400000_NS6detail17trampoline_kernelINS0_14default_configENS1_38merge_sort_block_merge_config_selectorIhNS0_10empty_typeEEEZZNS1_27merge_sort_block_merge_implIS3_PhPS5_jNS1_19radix_merge_compareILb0ELb1EhNS0_19identity_decomposerEEEEE10hipError_tT0_T1_T2_jT3_P12ihipStream_tbPNSt15iterator_traitsISE_E10value_typeEPNSK_ISF_E10value_typeEPSG_NS1_7vsmem_tEENKUlT_SE_SF_SG_E_clIS8_S8_S9_S9_EESD_ST_SE_SF_SG_EUlST_E0_NS1_11comp_targetILNS1_3genE5ELNS1_11target_archE942ELNS1_3gpuE9ELNS1_3repE0EEENS1_38merge_mergepath_config_static_selectorELNS0_4arch9wavefront6targetE1EEEvSF_,"axG",@progbits,_ZN7rocprim17ROCPRIM_400000_NS6detail17trampoline_kernelINS0_14default_configENS1_38merge_sort_block_merge_config_selectorIhNS0_10empty_typeEEEZZNS1_27merge_sort_block_merge_implIS3_PhPS5_jNS1_19radix_merge_compareILb0ELb1EhNS0_19identity_decomposerEEEEE10hipError_tT0_T1_T2_jT3_P12ihipStream_tbPNSt15iterator_traitsISE_E10value_typeEPNSK_ISF_E10value_typeEPSG_NS1_7vsmem_tEENKUlT_SE_SF_SG_E_clIS8_S8_S9_S9_EESD_ST_SE_SF_SG_EUlST_E0_NS1_11comp_targetILNS1_3genE5ELNS1_11target_archE942ELNS1_3gpuE9ELNS1_3repE0EEENS1_38merge_mergepath_config_static_selectorELNS0_4arch9wavefront6targetE1EEEvSF_,comdat
	.protected	_ZN7rocprim17ROCPRIM_400000_NS6detail17trampoline_kernelINS0_14default_configENS1_38merge_sort_block_merge_config_selectorIhNS0_10empty_typeEEEZZNS1_27merge_sort_block_merge_implIS3_PhPS5_jNS1_19radix_merge_compareILb0ELb1EhNS0_19identity_decomposerEEEEE10hipError_tT0_T1_T2_jT3_P12ihipStream_tbPNSt15iterator_traitsISE_E10value_typeEPNSK_ISF_E10value_typeEPSG_NS1_7vsmem_tEENKUlT_SE_SF_SG_E_clIS8_S8_S9_S9_EESD_ST_SE_SF_SG_EUlST_E0_NS1_11comp_targetILNS1_3genE5ELNS1_11target_archE942ELNS1_3gpuE9ELNS1_3repE0EEENS1_38merge_mergepath_config_static_selectorELNS0_4arch9wavefront6targetE1EEEvSF_ ; -- Begin function _ZN7rocprim17ROCPRIM_400000_NS6detail17trampoline_kernelINS0_14default_configENS1_38merge_sort_block_merge_config_selectorIhNS0_10empty_typeEEEZZNS1_27merge_sort_block_merge_implIS3_PhPS5_jNS1_19radix_merge_compareILb0ELb1EhNS0_19identity_decomposerEEEEE10hipError_tT0_T1_T2_jT3_P12ihipStream_tbPNSt15iterator_traitsISE_E10value_typeEPNSK_ISF_E10value_typeEPSG_NS1_7vsmem_tEENKUlT_SE_SF_SG_E_clIS8_S8_S9_S9_EESD_ST_SE_SF_SG_EUlST_E0_NS1_11comp_targetILNS1_3genE5ELNS1_11target_archE942ELNS1_3gpuE9ELNS1_3repE0EEENS1_38merge_mergepath_config_static_selectorELNS0_4arch9wavefront6targetE1EEEvSF_
	.globl	_ZN7rocprim17ROCPRIM_400000_NS6detail17trampoline_kernelINS0_14default_configENS1_38merge_sort_block_merge_config_selectorIhNS0_10empty_typeEEEZZNS1_27merge_sort_block_merge_implIS3_PhPS5_jNS1_19radix_merge_compareILb0ELb1EhNS0_19identity_decomposerEEEEE10hipError_tT0_T1_T2_jT3_P12ihipStream_tbPNSt15iterator_traitsISE_E10value_typeEPNSK_ISF_E10value_typeEPSG_NS1_7vsmem_tEENKUlT_SE_SF_SG_E_clIS8_S8_S9_S9_EESD_ST_SE_SF_SG_EUlST_E0_NS1_11comp_targetILNS1_3genE5ELNS1_11target_archE942ELNS1_3gpuE9ELNS1_3repE0EEENS1_38merge_mergepath_config_static_selectorELNS0_4arch9wavefront6targetE1EEEvSF_
	.p2align	8
	.type	_ZN7rocprim17ROCPRIM_400000_NS6detail17trampoline_kernelINS0_14default_configENS1_38merge_sort_block_merge_config_selectorIhNS0_10empty_typeEEEZZNS1_27merge_sort_block_merge_implIS3_PhPS5_jNS1_19radix_merge_compareILb0ELb1EhNS0_19identity_decomposerEEEEE10hipError_tT0_T1_T2_jT3_P12ihipStream_tbPNSt15iterator_traitsISE_E10value_typeEPNSK_ISF_E10value_typeEPSG_NS1_7vsmem_tEENKUlT_SE_SF_SG_E_clIS8_S8_S9_S9_EESD_ST_SE_SF_SG_EUlST_E0_NS1_11comp_targetILNS1_3genE5ELNS1_11target_archE942ELNS1_3gpuE9ELNS1_3repE0EEENS1_38merge_mergepath_config_static_selectorELNS0_4arch9wavefront6targetE1EEEvSF_,@function
_ZN7rocprim17ROCPRIM_400000_NS6detail17trampoline_kernelINS0_14default_configENS1_38merge_sort_block_merge_config_selectorIhNS0_10empty_typeEEEZZNS1_27merge_sort_block_merge_implIS3_PhPS5_jNS1_19radix_merge_compareILb0ELb1EhNS0_19identity_decomposerEEEEE10hipError_tT0_T1_T2_jT3_P12ihipStream_tbPNSt15iterator_traitsISE_E10value_typeEPNSK_ISF_E10value_typeEPSG_NS1_7vsmem_tEENKUlT_SE_SF_SG_E_clIS8_S8_S9_S9_EESD_ST_SE_SF_SG_EUlST_E0_NS1_11comp_targetILNS1_3genE5ELNS1_11target_archE942ELNS1_3gpuE9ELNS1_3repE0EEENS1_38merge_mergepath_config_static_selectorELNS0_4arch9wavefront6targetE1EEEvSF_: ; @_ZN7rocprim17ROCPRIM_400000_NS6detail17trampoline_kernelINS0_14default_configENS1_38merge_sort_block_merge_config_selectorIhNS0_10empty_typeEEEZZNS1_27merge_sort_block_merge_implIS3_PhPS5_jNS1_19radix_merge_compareILb0ELb1EhNS0_19identity_decomposerEEEEE10hipError_tT0_T1_T2_jT3_P12ihipStream_tbPNSt15iterator_traitsISE_E10value_typeEPNSK_ISF_E10value_typeEPSG_NS1_7vsmem_tEENKUlT_SE_SF_SG_E_clIS8_S8_S9_S9_EESD_ST_SE_SF_SG_EUlST_E0_NS1_11comp_targetILNS1_3genE5ELNS1_11target_archE942ELNS1_3gpuE9ELNS1_3repE0EEENS1_38merge_mergepath_config_static_selectorELNS0_4arch9wavefront6targetE1EEEvSF_
; %bb.0:
	.section	.rodata,"a",@progbits
	.p2align	6, 0x0
	.amdhsa_kernel _ZN7rocprim17ROCPRIM_400000_NS6detail17trampoline_kernelINS0_14default_configENS1_38merge_sort_block_merge_config_selectorIhNS0_10empty_typeEEEZZNS1_27merge_sort_block_merge_implIS3_PhPS5_jNS1_19radix_merge_compareILb0ELb1EhNS0_19identity_decomposerEEEEE10hipError_tT0_T1_T2_jT3_P12ihipStream_tbPNSt15iterator_traitsISE_E10value_typeEPNSK_ISF_E10value_typeEPSG_NS1_7vsmem_tEENKUlT_SE_SF_SG_E_clIS8_S8_S9_S9_EESD_ST_SE_SF_SG_EUlST_E0_NS1_11comp_targetILNS1_3genE5ELNS1_11target_archE942ELNS1_3gpuE9ELNS1_3repE0EEENS1_38merge_mergepath_config_static_selectorELNS0_4arch9wavefront6targetE1EEEvSF_
		.amdhsa_group_segment_fixed_size 0
		.amdhsa_private_segment_fixed_size 0
		.amdhsa_kernarg_size 64
		.amdhsa_user_sgpr_count 6
		.amdhsa_user_sgpr_private_segment_buffer 1
		.amdhsa_user_sgpr_dispatch_ptr 0
		.amdhsa_user_sgpr_queue_ptr 0
		.amdhsa_user_sgpr_kernarg_segment_ptr 1
		.amdhsa_user_sgpr_dispatch_id 0
		.amdhsa_user_sgpr_flat_scratch_init 0
		.amdhsa_user_sgpr_kernarg_preload_length 0
		.amdhsa_user_sgpr_kernarg_preload_offset 0
		.amdhsa_user_sgpr_private_segment_size 0
		.amdhsa_uses_dynamic_stack 0
		.amdhsa_system_sgpr_private_segment_wavefront_offset 0
		.amdhsa_system_sgpr_workgroup_id_x 1
		.amdhsa_system_sgpr_workgroup_id_y 0
		.amdhsa_system_sgpr_workgroup_id_z 0
		.amdhsa_system_sgpr_workgroup_info 0
		.amdhsa_system_vgpr_workitem_id 0
		.amdhsa_next_free_vgpr 1
		.amdhsa_next_free_sgpr 0
		.amdhsa_accum_offset 4
		.amdhsa_reserve_vcc 0
		.amdhsa_reserve_flat_scratch 0
		.amdhsa_float_round_mode_32 0
		.amdhsa_float_round_mode_16_64 0
		.amdhsa_float_denorm_mode_32 3
		.amdhsa_float_denorm_mode_16_64 3
		.amdhsa_dx10_clamp 1
		.amdhsa_ieee_mode 1
		.amdhsa_fp16_overflow 0
		.amdhsa_tg_split 0
		.amdhsa_exception_fp_ieee_invalid_op 0
		.amdhsa_exception_fp_denorm_src 0
		.amdhsa_exception_fp_ieee_div_zero 0
		.amdhsa_exception_fp_ieee_overflow 0
		.amdhsa_exception_fp_ieee_underflow 0
		.amdhsa_exception_fp_ieee_inexact 0
		.amdhsa_exception_int_div_zero 0
	.end_amdhsa_kernel
	.section	.text._ZN7rocprim17ROCPRIM_400000_NS6detail17trampoline_kernelINS0_14default_configENS1_38merge_sort_block_merge_config_selectorIhNS0_10empty_typeEEEZZNS1_27merge_sort_block_merge_implIS3_PhPS5_jNS1_19radix_merge_compareILb0ELb1EhNS0_19identity_decomposerEEEEE10hipError_tT0_T1_T2_jT3_P12ihipStream_tbPNSt15iterator_traitsISE_E10value_typeEPNSK_ISF_E10value_typeEPSG_NS1_7vsmem_tEENKUlT_SE_SF_SG_E_clIS8_S8_S9_S9_EESD_ST_SE_SF_SG_EUlST_E0_NS1_11comp_targetILNS1_3genE5ELNS1_11target_archE942ELNS1_3gpuE9ELNS1_3repE0EEENS1_38merge_mergepath_config_static_selectorELNS0_4arch9wavefront6targetE1EEEvSF_,"axG",@progbits,_ZN7rocprim17ROCPRIM_400000_NS6detail17trampoline_kernelINS0_14default_configENS1_38merge_sort_block_merge_config_selectorIhNS0_10empty_typeEEEZZNS1_27merge_sort_block_merge_implIS3_PhPS5_jNS1_19radix_merge_compareILb0ELb1EhNS0_19identity_decomposerEEEEE10hipError_tT0_T1_T2_jT3_P12ihipStream_tbPNSt15iterator_traitsISE_E10value_typeEPNSK_ISF_E10value_typeEPSG_NS1_7vsmem_tEENKUlT_SE_SF_SG_E_clIS8_S8_S9_S9_EESD_ST_SE_SF_SG_EUlST_E0_NS1_11comp_targetILNS1_3genE5ELNS1_11target_archE942ELNS1_3gpuE9ELNS1_3repE0EEENS1_38merge_mergepath_config_static_selectorELNS0_4arch9wavefront6targetE1EEEvSF_,comdat
.Lfunc_end288:
	.size	_ZN7rocprim17ROCPRIM_400000_NS6detail17trampoline_kernelINS0_14default_configENS1_38merge_sort_block_merge_config_selectorIhNS0_10empty_typeEEEZZNS1_27merge_sort_block_merge_implIS3_PhPS5_jNS1_19radix_merge_compareILb0ELb1EhNS0_19identity_decomposerEEEEE10hipError_tT0_T1_T2_jT3_P12ihipStream_tbPNSt15iterator_traitsISE_E10value_typeEPNSK_ISF_E10value_typeEPSG_NS1_7vsmem_tEENKUlT_SE_SF_SG_E_clIS8_S8_S9_S9_EESD_ST_SE_SF_SG_EUlST_E0_NS1_11comp_targetILNS1_3genE5ELNS1_11target_archE942ELNS1_3gpuE9ELNS1_3repE0EEENS1_38merge_mergepath_config_static_selectorELNS0_4arch9wavefront6targetE1EEEvSF_, .Lfunc_end288-_ZN7rocprim17ROCPRIM_400000_NS6detail17trampoline_kernelINS0_14default_configENS1_38merge_sort_block_merge_config_selectorIhNS0_10empty_typeEEEZZNS1_27merge_sort_block_merge_implIS3_PhPS5_jNS1_19radix_merge_compareILb0ELb1EhNS0_19identity_decomposerEEEEE10hipError_tT0_T1_T2_jT3_P12ihipStream_tbPNSt15iterator_traitsISE_E10value_typeEPNSK_ISF_E10value_typeEPSG_NS1_7vsmem_tEENKUlT_SE_SF_SG_E_clIS8_S8_S9_S9_EESD_ST_SE_SF_SG_EUlST_E0_NS1_11comp_targetILNS1_3genE5ELNS1_11target_archE942ELNS1_3gpuE9ELNS1_3repE0EEENS1_38merge_mergepath_config_static_selectorELNS0_4arch9wavefront6targetE1EEEvSF_
                                        ; -- End function
	.section	.AMDGPU.csdata,"",@progbits
; Kernel info:
; codeLenInByte = 0
; NumSgprs: 4
; NumVgprs: 0
; NumAgprs: 0
; TotalNumVgprs: 0
; ScratchSize: 0
; MemoryBound: 0
; FloatMode: 240
; IeeeMode: 1
; LDSByteSize: 0 bytes/workgroup (compile time only)
; SGPRBlocks: 0
; VGPRBlocks: 0
; NumSGPRsForWavesPerEU: 4
; NumVGPRsForWavesPerEU: 1
; AccumOffset: 4
; Occupancy: 8
; WaveLimiterHint : 0
; COMPUTE_PGM_RSRC2:SCRATCH_EN: 0
; COMPUTE_PGM_RSRC2:USER_SGPR: 6
; COMPUTE_PGM_RSRC2:TRAP_HANDLER: 0
; COMPUTE_PGM_RSRC2:TGID_X_EN: 1
; COMPUTE_PGM_RSRC2:TGID_Y_EN: 0
; COMPUTE_PGM_RSRC2:TGID_Z_EN: 0
; COMPUTE_PGM_RSRC2:TIDIG_COMP_CNT: 0
; COMPUTE_PGM_RSRC3_GFX90A:ACCUM_OFFSET: 0
; COMPUTE_PGM_RSRC3_GFX90A:TG_SPLIT: 0
	.section	.text._ZN7rocprim17ROCPRIM_400000_NS6detail17trampoline_kernelINS0_14default_configENS1_38merge_sort_block_merge_config_selectorIhNS0_10empty_typeEEEZZNS1_27merge_sort_block_merge_implIS3_PhPS5_jNS1_19radix_merge_compareILb0ELb1EhNS0_19identity_decomposerEEEEE10hipError_tT0_T1_T2_jT3_P12ihipStream_tbPNSt15iterator_traitsISE_E10value_typeEPNSK_ISF_E10value_typeEPSG_NS1_7vsmem_tEENKUlT_SE_SF_SG_E_clIS8_S8_S9_S9_EESD_ST_SE_SF_SG_EUlST_E0_NS1_11comp_targetILNS1_3genE4ELNS1_11target_archE910ELNS1_3gpuE8ELNS1_3repE0EEENS1_38merge_mergepath_config_static_selectorELNS0_4arch9wavefront6targetE1EEEvSF_,"axG",@progbits,_ZN7rocprim17ROCPRIM_400000_NS6detail17trampoline_kernelINS0_14default_configENS1_38merge_sort_block_merge_config_selectorIhNS0_10empty_typeEEEZZNS1_27merge_sort_block_merge_implIS3_PhPS5_jNS1_19radix_merge_compareILb0ELb1EhNS0_19identity_decomposerEEEEE10hipError_tT0_T1_T2_jT3_P12ihipStream_tbPNSt15iterator_traitsISE_E10value_typeEPNSK_ISF_E10value_typeEPSG_NS1_7vsmem_tEENKUlT_SE_SF_SG_E_clIS8_S8_S9_S9_EESD_ST_SE_SF_SG_EUlST_E0_NS1_11comp_targetILNS1_3genE4ELNS1_11target_archE910ELNS1_3gpuE8ELNS1_3repE0EEENS1_38merge_mergepath_config_static_selectorELNS0_4arch9wavefront6targetE1EEEvSF_,comdat
	.protected	_ZN7rocprim17ROCPRIM_400000_NS6detail17trampoline_kernelINS0_14default_configENS1_38merge_sort_block_merge_config_selectorIhNS0_10empty_typeEEEZZNS1_27merge_sort_block_merge_implIS3_PhPS5_jNS1_19radix_merge_compareILb0ELb1EhNS0_19identity_decomposerEEEEE10hipError_tT0_T1_T2_jT3_P12ihipStream_tbPNSt15iterator_traitsISE_E10value_typeEPNSK_ISF_E10value_typeEPSG_NS1_7vsmem_tEENKUlT_SE_SF_SG_E_clIS8_S8_S9_S9_EESD_ST_SE_SF_SG_EUlST_E0_NS1_11comp_targetILNS1_3genE4ELNS1_11target_archE910ELNS1_3gpuE8ELNS1_3repE0EEENS1_38merge_mergepath_config_static_selectorELNS0_4arch9wavefront6targetE1EEEvSF_ ; -- Begin function _ZN7rocprim17ROCPRIM_400000_NS6detail17trampoline_kernelINS0_14default_configENS1_38merge_sort_block_merge_config_selectorIhNS0_10empty_typeEEEZZNS1_27merge_sort_block_merge_implIS3_PhPS5_jNS1_19radix_merge_compareILb0ELb1EhNS0_19identity_decomposerEEEEE10hipError_tT0_T1_T2_jT3_P12ihipStream_tbPNSt15iterator_traitsISE_E10value_typeEPNSK_ISF_E10value_typeEPSG_NS1_7vsmem_tEENKUlT_SE_SF_SG_E_clIS8_S8_S9_S9_EESD_ST_SE_SF_SG_EUlST_E0_NS1_11comp_targetILNS1_3genE4ELNS1_11target_archE910ELNS1_3gpuE8ELNS1_3repE0EEENS1_38merge_mergepath_config_static_selectorELNS0_4arch9wavefront6targetE1EEEvSF_
	.globl	_ZN7rocprim17ROCPRIM_400000_NS6detail17trampoline_kernelINS0_14default_configENS1_38merge_sort_block_merge_config_selectorIhNS0_10empty_typeEEEZZNS1_27merge_sort_block_merge_implIS3_PhPS5_jNS1_19radix_merge_compareILb0ELb1EhNS0_19identity_decomposerEEEEE10hipError_tT0_T1_T2_jT3_P12ihipStream_tbPNSt15iterator_traitsISE_E10value_typeEPNSK_ISF_E10value_typeEPSG_NS1_7vsmem_tEENKUlT_SE_SF_SG_E_clIS8_S8_S9_S9_EESD_ST_SE_SF_SG_EUlST_E0_NS1_11comp_targetILNS1_3genE4ELNS1_11target_archE910ELNS1_3gpuE8ELNS1_3repE0EEENS1_38merge_mergepath_config_static_selectorELNS0_4arch9wavefront6targetE1EEEvSF_
	.p2align	8
	.type	_ZN7rocprim17ROCPRIM_400000_NS6detail17trampoline_kernelINS0_14default_configENS1_38merge_sort_block_merge_config_selectorIhNS0_10empty_typeEEEZZNS1_27merge_sort_block_merge_implIS3_PhPS5_jNS1_19radix_merge_compareILb0ELb1EhNS0_19identity_decomposerEEEEE10hipError_tT0_T1_T2_jT3_P12ihipStream_tbPNSt15iterator_traitsISE_E10value_typeEPNSK_ISF_E10value_typeEPSG_NS1_7vsmem_tEENKUlT_SE_SF_SG_E_clIS8_S8_S9_S9_EESD_ST_SE_SF_SG_EUlST_E0_NS1_11comp_targetILNS1_3genE4ELNS1_11target_archE910ELNS1_3gpuE8ELNS1_3repE0EEENS1_38merge_mergepath_config_static_selectorELNS0_4arch9wavefront6targetE1EEEvSF_,@function
_ZN7rocprim17ROCPRIM_400000_NS6detail17trampoline_kernelINS0_14default_configENS1_38merge_sort_block_merge_config_selectorIhNS0_10empty_typeEEEZZNS1_27merge_sort_block_merge_implIS3_PhPS5_jNS1_19radix_merge_compareILb0ELb1EhNS0_19identity_decomposerEEEEE10hipError_tT0_T1_T2_jT3_P12ihipStream_tbPNSt15iterator_traitsISE_E10value_typeEPNSK_ISF_E10value_typeEPSG_NS1_7vsmem_tEENKUlT_SE_SF_SG_E_clIS8_S8_S9_S9_EESD_ST_SE_SF_SG_EUlST_E0_NS1_11comp_targetILNS1_3genE4ELNS1_11target_archE910ELNS1_3gpuE8ELNS1_3repE0EEENS1_38merge_mergepath_config_static_selectorELNS0_4arch9wavefront6targetE1EEEvSF_: ; @_ZN7rocprim17ROCPRIM_400000_NS6detail17trampoline_kernelINS0_14default_configENS1_38merge_sort_block_merge_config_selectorIhNS0_10empty_typeEEEZZNS1_27merge_sort_block_merge_implIS3_PhPS5_jNS1_19radix_merge_compareILb0ELb1EhNS0_19identity_decomposerEEEEE10hipError_tT0_T1_T2_jT3_P12ihipStream_tbPNSt15iterator_traitsISE_E10value_typeEPNSK_ISF_E10value_typeEPSG_NS1_7vsmem_tEENKUlT_SE_SF_SG_E_clIS8_S8_S9_S9_EESD_ST_SE_SF_SG_EUlST_E0_NS1_11comp_targetILNS1_3genE4ELNS1_11target_archE910ELNS1_3gpuE8ELNS1_3repE0EEENS1_38merge_mergepath_config_static_selectorELNS0_4arch9wavefront6targetE1EEEvSF_
; %bb.0:
	s_load_dwordx2 s[10:11], s[4:5], 0x40
	s_load_dword s1, s[4:5], 0x30
	s_add_u32 s2, s4, 64
	s_addc_u32 s3, s5, 0
	s_waitcnt lgkmcnt(0)
	s_mul_i32 s0, s11, s8
	s_add_i32 s0, s0, s7
	s_mul_i32 s0, s0, s10
	s_add_i32 s0, s0, s6
	s_cmp_ge_u32 s0, s1
	s_cbranch_scc1 .LBB289_51
; %bb.1:
	s_load_dwordx2 s[12:13], s[4:5], 0x28
	s_load_dwordx2 s[8:9], s[4:5], 0x38
	;; [unrolled: 1-line block ×3, first 2 shown]
	s_mov_b32 s1, 0
	v_mov_b32_e32 v1, 0
	s_waitcnt lgkmcnt(0)
	s_lshr_b32 s21, s12, 10
	s_cmp_lg_u32 s0, s21
	s_cselect_b64 s[14:15], -1, 0
	s_lshl_b64 s[18:19], s[0:1], 2
	s_add_u32 s8, s8, s18
	s_addc_u32 s9, s9, s19
	s_lshr_b32 s1, s13, 9
	s_and_b32 s1, s1, 0x7ffffe
	s_load_dwordx2 s[8:9], s[8:9], 0x0
	s_sub_i32 s1, 0, s1
	s_and_b32 s7, s0, s1
	s_lshl_b32 s11, s7, 10
	s_lshl_b32 s20, s0, 10
	s_lshl_b32 s7, s7, 11
	s_sub_i32 s18, s20, s11
	s_add_i32 s7, s7, s13
	s_add_i32 s18, s7, s18
	s_waitcnt lgkmcnt(0)
	s_sub_i32 s19, s18, s8
	s_sub_i32 s18, s18, s9
	;; [unrolled: 1-line block ×3, first 2 shown]
	s_min_u32 s19, s12, s19
	s_addk_i32 s18, 0x400
	s_or_b32 s1, s0, s1
	s_min_u32 s11, s12, s7
	s_add_i32 s7, s7, s13
	s_cmp_eq_u32 s1, -1
	s_cselect_b32 s1, s7, s18
	s_cselect_b32 s7, s11, s9
	s_min_u32 s1, s1, s12
	s_sub_i32 s13, s7, s8
	s_sub_i32 s7, s1, s19
	s_add_u32 s11, s16, s8
	s_addc_u32 s18, s17, 0
	s_add_u32 s8, s16, s19
	s_addc_u32 s9, s17, 0
	s_cmp_lt_u32 s6, s10
	s_cselect_b32 s1, 12, 18
	global_load_dword v2, v1, s[2:3] offset:14
	s_add_u32 s2, s2, s1
	s_addc_u32 s3, s3, 0
	global_load_ushort v1, v1, s[2:3]
	s_cmp_eq_u32 s0, s21
	s_waitcnt vmcnt(1)
	v_lshrrev_b32_e32 v3, 16, v2
	v_and_b32_e32 v2, 0xffff, v2
	v_mul_lo_u32 v2, v2, v3
	s_waitcnt vmcnt(0)
	v_mul_lo_u32 v4, v2, v1
	v_add_u32_e32 v10, v4, v0
	v_add_u32_e32 v9, v10, v4
	s_cbranch_scc1 .LBB289_3
; %bb.2:
	v_mov_b32_e32 v1, s18
	v_add_co_u32_e32 v2, vcc, s11, v0
	v_addc_co_u32_e32 v1, vcc, 0, v1, vcc
	v_subrev_u32_e32 v3, s13, v0
	v_mov_b32_e32 v5, s9
	v_add_co_u32_e32 v3, vcc, s8, v3
	v_addc_co_u32_e32 v5, vcc, 0, v5, vcc
	v_cmp_gt_u32_e32 vcc, s13, v0
	v_cndmask_b32_e32 v13, v5, v1, vcc
	v_cndmask_b32_e32 v12, v3, v2, vcc
	v_mov_b32_e32 v1, s18
	v_add_co_u32_e32 v2, vcc, s11, v10
	v_addc_co_u32_e32 v1, vcc, 0, v1, vcc
	v_subrev_u32_e32 v3, s13, v10
	v_mov_b32_e32 v5, s9
	v_add_co_u32_e32 v3, vcc, s8, v3
	v_addc_co_u32_e32 v5, vcc, 0, v5, vcc
	v_cmp_gt_u32_e32 vcc, s13, v10
	v_cndmask_b32_e32 v15, v5, v1, vcc
	v_cndmask_b32_e32 v14, v3, v2, vcc
	v_mov_b32_e32 v1, s18
	v_add_co_u32_e32 v2, vcc, s11, v9
	v_addc_co_u32_e32 v1, vcc, 0, v1, vcc
	v_subrev_u32_e32 v3, s13, v9
	v_mov_b32_e32 v5, s9
	v_add_co_u32_e32 v3, vcc, s8, v3
	v_addc_co_u32_e32 v5, vcc, 0, v5, vcc
	v_cmp_gt_u32_e32 vcc, s13, v9
	v_cndmask_b32_e32 v17, v5, v1, vcc
	v_add_u32_e32 v1, v9, v4
	v_cndmask_b32_e32 v16, v3, v2, vcc
	v_mov_b32_e32 v2, s18
	v_add_co_u32_e32 v3, vcc, s11, v1
	v_addc_co_u32_e32 v2, vcc, 0, v2, vcc
	v_subrev_u32_e32 v5, s13, v1
	v_mov_b32_e32 v6, s9
	v_add_co_u32_e32 v5, vcc, s8, v5
	v_addc_co_u32_e32 v6, vcc, 0, v6, vcc
	v_cmp_gt_u32_e32 vcc, s13, v1
	v_add_u32_e32 v1, v1, v4
	v_cndmask_b32_e32 v19, v6, v2, vcc
	v_cndmask_b32_e32 v18, v5, v3, vcc
	v_mov_b32_e32 v2, s18
	v_add_co_u32_e32 v3, vcc, s11, v1
	v_addc_co_u32_e32 v2, vcc, 0, v2, vcc
	v_subrev_u32_e32 v5, s13, v1
	v_mov_b32_e32 v6, s9
	v_add_co_u32_e32 v5, vcc, s8, v5
	v_addc_co_u32_e32 v6, vcc, 0, v6, vcc
	v_cmp_gt_u32_e32 vcc, s13, v1
	v_add_u32_e32 v1, v1, v4
	v_cndmask_b32_e32 v21, v6, v2, vcc
	;; [unrolled: 11-line block ×4, first 2 shown]
	v_cndmask_b32_e32 v24, v5, v3, vcc
	v_mov_b32_e32 v2, s18
	v_add_co_u32_e32 v3, vcc, s11, v1
	v_addc_co_u32_e32 v2, vcc, 0, v2, vcc
	v_subrev_u32_e32 v5, s13, v1
	v_mov_b32_e32 v6, s9
	v_add_co_u32_e32 v5, vcc, s8, v5
	v_addc_co_u32_e32 v6, vcc, 0, v6, vcc
	v_cmp_gt_u32_e32 vcc, s13, v1
	v_cndmask_b32_e32 v27, v6, v2, vcc
	v_cndmask_b32_e32 v26, v5, v3, vcc
	global_load_ubyte v1, v[12:13], off
	global_load_ubyte v2, v[14:15], off
	;; [unrolled: 1-line block ×8, first 2 shown]
	s_add_i32 s21, s7, s13
	s_load_dwordx2 s[16:17], s[4:5], 0x10
	s_cbranch_execz .LBB289_4
	s_branch .LBB289_21
.LBB289_3:
                                        ; implicit-def: $vgpr1
                                        ; implicit-def: $vgpr2
                                        ; implicit-def: $vgpr3
                                        ; implicit-def: $vgpr5
                                        ; implicit-def: $vgpr6
                                        ; implicit-def: $vgpr7
                                        ; implicit-def: $vgpr8
                                        ; implicit-def: $vgpr11
                                        ; implicit-def: $sgpr21
	s_load_dwordx2 s[16:17], s[4:5], 0x10
.LBB289_4:
	s_add_i32 s21, s7, s13
	v_cmp_gt_u32_e32 vcc, s21, v0
                                        ; implicit-def: $vgpr1
	s_and_saveexec_b64 s[0:1], vcc
	s_cbranch_execz .LBB289_6
; %bb.5:
	s_waitcnt vmcnt(7)
	v_mov_b32_e32 v1, s18
	s_waitcnt vmcnt(6)
	v_add_co_u32_e32 v2, vcc, s11, v0
	v_addc_co_u32_e32 v1, vcc, 0, v1, vcc
	s_waitcnt vmcnt(5)
	v_subrev_u32_e32 v3, s13, v0
	s_waitcnt vmcnt(4)
	v_mov_b32_e32 v5, s9
	s_waitcnt vmcnt(3)
	v_add_co_u32_e32 v6, vcc, s8, v3
	v_addc_co_u32_e32 v3, vcc, 0, v5, vcc
	v_cmp_gt_u32_e32 vcc, s13, v0
	v_cndmask_b32_e32 v3, v3, v1, vcc
	v_cndmask_b32_e32 v2, v6, v2, vcc
	global_load_ubyte v1, v[2:3], off
.LBB289_6:
	s_or_b64 exec, exec, s[0:1]
	v_cmp_gt_u32_e32 vcc, s21, v10
                                        ; implicit-def: $vgpr2
	s_and_saveexec_b64 s[0:1], vcc
	s_cbranch_execz .LBB289_8
; %bb.7:
	s_waitcnt vmcnt(6)
	v_mov_b32_e32 v2, s18
	s_waitcnt vmcnt(4)
	v_add_co_u32_e32 v5, vcc, s11, v10
	v_addc_co_u32_e32 v2, vcc, 0, v2, vcc
	v_subrev_u32_e32 v3, s13, v10
	s_waitcnt vmcnt(3)
	v_mov_b32_e32 v6, s9
	s_waitcnt vmcnt(2)
	v_add_co_u32_e32 v7, vcc, s8, v3
	v_addc_co_u32_e32 v3, vcc, 0, v6, vcc
	v_cmp_gt_u32_e32 vcc, s13, v10
	v_cndmask_b32_e32 v3, v3, v2, vcc
	v_cndmask_b32_e32 v2, v7, v5, vcc
	global_load_ubyte v2, v[2:3], off
.LBB289_8:
	s_or_b64 exec, exec, s[0:1]
	v_cmp_gt_u32_e32 vcc, s21, v9
                                        ; implicit-def: $vgpr3
	s_and_saveexec_b64 s[0:1], vcc
	s_cbranch_execz .LBB289_10
; %bb.9:
	s_waitcnt vmcnt(5)
	v_mov_b32_e32 v3, s18
	s_waitcnt vmcnt(4)
	v_add_co_u32_e32 v5, vcc, s11, v9
	v_addc_co_u32_e32 v3, vcc, 0, v3, vcc
	s_waitcnt vmcnt(3)
	v_subrev_u32_e32 v6, s13, v9
	s_waitcnt vmcnt(2)
	v_mov_b32_e32 v7, s9
	v_add_co_u32_e32 v6, vcc, s8, v6
	v_addc_co_u32_e32 v7, vcc, 0, v7, vcc
	v_cmp_gt_u32_e32 vcc, s13, v9
	v_cndmask_b32_e32 v7, v7, v3, vcc
	v_cndmask_b32_e32 v6, v6, v5, vcc
	global_load_ubyte v3, v[6:7], off
.LBB289_10:
	s_or_b64 exec, exec, s[0:1]
	s_waitcnt vmcnt(3)
	v_add_u32_e32 v6, v9, v4
	v_cmp_gt_u32_e32 vcc, s21, v6
                                        ; implicit-def: $vgpr5
	s_and_saveexec_b64 s[0:1], vcc
	s_cbranch_execz .LBB289_12
; %bb.11:
	v_mov_b32_e32 v5, s18
	s_waitcnt vmcnt(2)
	v_add_co_u32_e32 v7, vcc, s11, v6
	v_addc_co_u32_e32 v5, vcc, 0, v5, vcc
	s_waitcnt vmcnt(1)
	v_subrev_u32_e32 v8, s13, v6
	v_mov_b32_e32 v9, s9
	v_add_co_u32_e32 v8, vcc, s8, v8
	v_addc_co_u32_e32 v9, vcc, 0, v9, vcc
	v_cmp_gt_u32_e32 vcc, s13, v6
	v_cndmask_b32_e32 v9, v9, v5, vcc
	v_cndmask_b32_e32 v8, v8, v7, vcc
	global_load_ubyte v5, v[8:9], off
.LBB289_12:
	s_or_b64 exec, exec, s[0:1]
	s_waitcnt vmcnt(2)
	v_add_u32_e32 v7, v6, v4
	v_cmp_gt_u32_e32 vcc, s21, v7
                                        ; implicit-def: $vgpr6
	s_and_saveexec_b64 s[0:1], vcc
	s_cbranch_execz .LBB289_14
; %bb.13:
	v_mov_b32_e32 v6, s18
	s_waitcnt vmcnt(1)
	v_add_co_u32_e32 v8, vcc, s11, v7
	v_addc_co_u32_e32 v6, vcc, 0, v6, vcc
	v_subrev_u32_e32 v9, s13, v7
	v_mov_b32_e32 v10, s9
	s_waitcnt vmcnt(0)
	v_add_co_u32_e32 v11, vcc, s8, v9
	v_addc_co_u32_e32 v9, vcc, 0, v10, vcc
	v_cmp_gt_u32_e32 vcc, s13, v7
	v_cndmask_b32_e32 v9, v9, v6, vcc
	v_cndmask_b32_e32 v8, v11, v8, vcc
	global_load_ubyte v6, v[8:9], off
.LBB289_14:
	s_or_b64 exec, exec, s[0:1]
	s_waitcnt vmcnt(1)
	v_add_u32_e32 v8, v7, v4
	v_cmp_gt_u32_e32 vcc, s21, v8
                                        ; implicit-def: $vgpr7
	s_and_saveexec_b64 s[0:1], vcc
	s_cbranch_execz .LBB289_16
; %bb.15:
	v_mov_b32_e32 v7, s18
	v_add_co_u32_e32 v9, vcc, s11, v8
	v_addc_co_u32_e32 v7, vcc, 0, v7, vcc
	v_subrev_u32_e32 v10, s13, v8
	s_waitcnt vmcnt(0)
	v_mov_b32_e32 v11, s9
	v_add_co_u32_e32 v10, vcc, s8, v10
	v_addc_co_u32_e32 v11, vcc, 0, v11, vcc
	v_cmp_gt_u32_e32 vcc, s13, v8
	v_cndmask_b32_e32 v11, v11, v7, vcc
	v_cndmask_b32_e32 v10, v10, v9, vcc
	global_load_ubyte v7, v[10:11], off
.LBB289_16:
	s_or_b64 exec, exec, s[0:1]
	v_add_u32_e32 v9, v8, v4
	v_cmp_gt_u32_e32 vcc, s21, v9
                                        ; implicit-def: $vgpr8
	s_and_saveexec_b64 s[0:1], vcc
	s_cbranch_execz .LBB289_18
; %bb.17:
	v_mov_b32_e32 v8, s18
	v_add_co_u32_e32 v10, vcc, s11, v9
	v_addc_co_u32_e32 v8, vcc, 0, v8, vcc
	s_waitcnt vmcnt(0)
	v_subrev_u32_e32 v11, s13, v9
	v_mov_b32_e32 v12, s9
	v_add_co_u32_e32 v13, vcc, s8, v11
	v_addc_co_u32_e32 v11, vcc, 0, v12, vcc
	v_cmp_gt_u32_e32 vcc, s13, v9
	v_cndmask_b32_e32 v11, v11, v8, vcc
	v_cndmask_b32_e32 v10, v13, v10, vcc
	global_load_ubyte v8, v[10:11], off
.LBB289_18:
	s_or_b64 exec, exec, s[0:1]
	v_add_u32_e32 v4, v9, v4
	v_cmp_gt_u32_e32 vcc, s21, v4
                                        ; implicit-def: $vgpr11
	s_and_saveexec_b64 s[0:1], vcc
	s_cbranch_execz .LBB289_20
; %bb.19:
	v_mov_b32_e32 v9, s18
	v_add_co_u32_e32 v10, vcc, s11, v4
	v_addc_co_u32_e32 v9, vcc, 0, v9, vcc
	s_waitcnt vmcnt(0)
	v_subrev_u32_e32 v11, s13, v4
	v_mov_b32_e32 v12, s9
	v_add_co_u32_e32 v13, vcc, s8, v11
	v_addc_co_u32_e32 v11, vcc, 0, v12, vcc
	v_cmp_gt_u32_e32 vcc, s13, v4
	v_cndmask_b32_e32 v11, v11, v9, vcc
	v_cndmask_b32_e32 v10, v13, v10, vcc
	global_load_ubyte v11, v[10:11], off
.LBB289_20:
	s_or_b64 exec, exec, s[0:1]
.LBB289_21:
	s_load_dword s22, s[4:5], 0x34
	v_lshlrev_b32_e32 v4, 3, v0
	v_min_u32_e32 v10, s21, v4
	v_sub_u32_e64 v9, v10, s7 clamp
	v_min_u32_e32 v12, s13, v10
	v_cmp_lt_u32_e32 vcc, v9, v12
	s_waitcnt vmcnt(0)
	ds_write_b8 v0, v1
	ds_write_b8 v0, v2 offset:128
	ds_write_b8 v0, v3 offset:256
	;; [unrolled: 1-line block ×7, first 2 shown]
	s_waitcnt lgkmcnt(0)
	s_barrier
	s_and_saveexec_b64 s[0:1], vcc
	s_cbranch_execz .LBB289_25
; %bb.22:
	v_add_u32_e32 v13, s13, v10
	s_mov_b64 s[2:3], 0
.LBB289_23:                             ; =>This Inner Loop Header: Depth=1
	v_add_u32_e32 v14, v12, v9
	v_lshrrev_b32_e32 v14, 1, v14
	v_xad_u32 v15, v14, -1, v13
	ds_read_u8 v16, v14
	ds_read_u8 v15, v15
	v_add_u32_e32 v17, 1, v14
	s_waitcnt lgkmcnt(1)
	v_and_b32_e32 v16, s22, v16
	s_waitcnt lgkmcnt(0)
	v_and_b32_e32 v15, s22, v15
	v_cmp_gt_u16_sdwa vcc, v16, v15 src0_sel:BYTE_0 src1_sel:BYTE_0
	v_cndmask_b32_e32 v12, v12, v14, vcc
	v_cndmask_b32_e32 v9, v17, v9, vcc
	v_cmp_ge_u32_e32 vcc, v9, v12
	s_or_b64 s[2:3], vcc, s[2:3]
	s_andn2_b64 exec, exec, s[2:3]
	s_cbranch_execnz .LBB289_23
; %bb.24:
	s_or_b64 exec, exec, s[2:3]
.LBB289_25:
	s_or_b64 exec, exec, s[0:1]
	v_sub_u32_e32 v10, v10, v9
	v_add_u32_e32 v10, s13, v10
	v_cmp_ge_u32_e32 vcc, s13, v9
	v_cmp_ge_u32_e64 s[0:1], s21, v10
	s_or_b64 s[0:1], vcc, s[0:1]
	s_and_saveexec_b64 s[18:19], s[0:1]
	s_cbranch_execz .LBB289_31
; %bb.26:
	v_cmp_gt_u32_e32 vcc, s13, v9
                                        ; implicit-def: $vgpr1
	s_and_saveexec_b64 s[0:1], vcc
	s_cbranch_execz .LBB289_28
; %bb.27:
	ds_read_u8 v1, v9
.LBB289_28:
	s_or_b64 exec, exec, s[0:1]
	v_cmp_le_u32_e64 s[0:1], s21, v10
	v_cmp_gt_u32_e64 s[2:3], s21, v10
                                        ; implicit-def: $vgpr2
	s_and_saveexec_b64 s[4:5], s[2:3]
	s_cbranch_execz .LBB289_30
; %bb.29:
	ds_read_u8 v2, v10
.LBB289_30:
	s_or_b64 exec, exec, s[4:5]
	s_waitcnt lgkmcnt(0)
	v_and_b32_e32 v3, s22, v2
	v_and_b32_e32 v5, s22, v1
	v_cmp_le_u16_sdwa s[2:3], v5, v3 src0_sel:BYTE_0 src1_sel:BYTE_0
	s_and_b64 s[2:3], vcc, s[2:3]
	s_or_b64 vcc, s[0:1], s[2:3]
	v_mov_b32_e32 v5, s21
	v_mov_b32_e32 v6, s13
	v_cndmask_b32_e32 v3, v10, v9, vcc
	v_cndmask_b32_e32 v7, v5, v6, vcc
	v_add_u32_e32 v3, 1, v3
	v_add_u32_e32 v7, -1, v7
	v_min_u32_e32 v7, v3, v7
	ds_read_u8 v7, v7
	v_cndmask_b32_e32 v10, v3, v10, vcc
	v_cndmask_b32_e32 v3, v9, v3, vcc
	v_cmp_gt_u32_e64 s[2:3], s13, v3
	v_cmp_le_u32_e64 s[0:1], s21, v10
	s_waitcnt lgkmcnt(0)
	v_cndmask_b32_e32 v8, v7, v2, vcc
	v_cndmask_b32_e32 v7, v1, v7, vcc
	v_and_b32_e32 v9, s22, v8
	v_and_b32_e32 v11, s22, v7
	v_cmp_le_u16_sdwa s[4:5], v11, v9 src0_sel:BYTE_0 src1_sel:BYTE_0
	s_and_b64 s[2:3], s[2:3], s[4:5]
	s_or_b64 s[0:1], s[0:1], s[2:3]
	v_cndmask_b32_e64 v9, v10, v3, s[0:1]
	v_cndmask_b32_e64 v11, v5, v6, s[0:1]
	v_add_u32_e32 v9, 1, v9
	v_add_u32_e32 v11, -1, v11
	v_min_u32_e32 v11, v9, v11
	ds_read_u8 v11, v11
	v_cndmask_b32_e64 v10, v9, v10, s[0:1]
	v_cndmask_b32_e64 v3, v3, v9, s[0:1]
	v_cmp_gt_u32_e64 s[4:5], s13, v3
	v_cmp_le_u32_e64 s[2:3], s21, v10
	s_waitcnt lgkmcnt(0)
	v_cndmask_b32_e64 v12, v11, v8, s[0:1]
	v_cndmask_b32_e64 v11, v7, v11, s[0:1]
	v_and_b32_e32 v9, s22, v12
	v_and_b32_e32 v13, s22, v11
	v_cmp_le_u16_sdwa s[6:7], v13, v9 src0_sel:BYTE_0 src1_sel:BYTE_0
	s_and_b64 s[4:5], s[4:5], s[6:7]
	s_or_b64 s[2:3], s[2:3], s[4:5]
	v_cndmask_b32_e64 v9, v10, v3, s[2:3]
	v_cndmask_b32_e64 v13, v5, v6, s[2:3]
	v_add_u32_e32 v9, 1, v9
	v_add_u32_e32 v13, -1, v13
	v_min_u32_e32 v13, v9, v13
	ds_read_u8 v13, v13
	v_cndmask_b32_e64 v10, v9, v10, s[2:3]
	v_cndmask_b32_e64 v3, v3, v9, s[2:3]
	v_cmp_gt_u32_e64 s[6:7], s13, v3
	v_cmp_le_u32_e64 s[4:5], s21, v10
	s_waitcnt lgkmcnt(0)
	v_cndmask_b32_e64 v14, v13, v12, s[2:3]
	v_cndmask_b32_e64 v13, v11, v13, s[2:3]
	;; [unrolled: 18-line block ×4, first 2 shown]
	v_and_b32_e32 v3, s22, v18
	v_and_b32_e32 v19, s22, v17
	v_cmp_le_u16_sdwa s[24:25], v19, v3 src0_sel:BYTE_0 src1_sel:BYTE_0
	s_and_b64 s[10:11], s[10:11], s[24:25]
	s_or_b64 s[8:9], s[8:9], s[10:11]
	v_cndmask_b32_e64 v3, v10, v9, s[8:9]
	v_cndmask_b32_e64 v19, v5, v6, s[8:9]
	v_add_u32_e32 v20, 1, v3
	v_add_u32_e32 v3, -1, v19
	v_min_u32_e32 v3, v20, v3
	ds_read_u8 v19, v3
	v_cndmask_b32_e64 v3, v12, v11, s[2:3]
	v_cndmask_b32_e32 v1, v2, v1, vcc
	v_cndmask_b32_e64 v2, v8, v7, s[0:1]
	v_cndmask_b32_e64 v9, v9, v20, s[8:9]
	s_waitcnt lgkmcnt(0)
	v_cndmask_b32_e64 v11, v19, v18, s[8:9]
	v_cndmask_b32_e64 v12, v17, v19, s[8:9]
	v_and_b32_e32 v7, s22, v11
	v_and_b32_e32 v8, s22, v12
	v_cndmask_b32_e64 v10, v20, v10, s[8:9]
	v_cmp_gt_u32_e64 s[0:1], s13, v9
	v_cmp_le_u16_sdwa s[2:3], v8, v7 src0_sel:BYTE_0 src1_sel:BYTE_0
	v_cmp_le_u32_e32 vcc, s21, v10
	s_and_b64 s[0:1], s[0:1], s[2:3]
	s_or_b64 vcc, vcc, s[0:1]
	v_cndmask_b32_e32 v7, v10, v9, vcc
	v_cndmask_b32_e32 v5, v5, v6, vcc
	v_add_u32_e32 v19, 1, v7
	v_add_u32_e32 v5, -1, v5
	v_min_u32_e32 v5, v19, v5
	ds_read_u8 v20, v5
	v_cndmask_b32_e32 v8, v11, v12, vcc
	v_cndmask_b32_e32 v10, v19, v10, vcc
	;; [unrolled: 1-line block ×3, first 2 shown]
	v_cmp_gt_u32_e64 s[0:1], s13, v9
	s_waitcnt lgkmcnt(0)
	v_cndmask_b32_e32 v11, v20, v11, vcc
	v_cndmask_b32_e32 v12, v12, v20, vcc
	v_cmp_le_u32_e32 vcc, s21, v10
	v_and_b32_e32 v9, s22, v11
	v_and_b32_e32 v10, s22, v12
	v_cmp_le_u16_sdwa s[2:3], v10, v9 src0_sel:BYTE_0 src1_sel:BYTE_0
	s_and_b64 s[0:1], s[0:1], s[2:3]
	s_or_b64 vcc, vcc, s[0:1]
	v_cndmask_b32_e64 v5, v14, v13, s[4:5]
	v_cndmask_b32_e64 v6, v16, v15, s[6:7]
	;; [unrolled: 1-line block ×3, first 2 shown]
	v_cndmask_b32_e32 v11, v11, v12, vcc
.LBB289_31:
	s_or_b64 exec, exec, s[18:19]
	v_lshlrev_b16_e32 v7, 8, v7
	v_lshlrev_b16_e32 v2, 8, v2
	v_lshrrev_b32_e32 v9, 2, v0
	v_or_b32_sdwa v6, v6, v7 dst_sel:DWORD dst_unused:UNUSED_PAD src0_sel:BYTE_0 src1_sel:DWORD
	v_lshlrev_b16_e32 v7, 8, v11
	v_or_b32_sdwa v1, v1, v2 dst_sel:DWORD dst_unused:UNUSED_PAD src0_sel:BYTE_0 src1_sel:DWORD
	v_lshlrev_b16_e32 v2, 8, v5
	s_add_u32 s0, s16, s20
	v_and_b32_e32 v9, 28, v9
	v_or_b32_sdwa v7, v8, v7 dst_sel:WORD_1 dst_unused:UNUSED_PAD src0_sel:BYTE_0 src1_sel:DWORD
	v_or_b32_sdwa v2, v3, v2 dst_sel:WORD_1 dst_unused:UNUSED_PAD src0_sel:BYTE_0 src1_sel:DWORD
	s_addc_u32 s1, s17, 0
	v_add_u32_e32 v4, v9, v4
	v_or_b32_sdwa v6, v6, v7 dst_sel:DWORD dst_unused:UNUSED_PAD src0_sel:WORD_0 src1_sel:DWORD
	v_or_b32_sdwa v1, v1, v2 dst_sel:DWORD dst_unused:UNUSED_PAD src0_sel:WORD_0 src1_sel:DWORD
	s_barrier
	s_barrier
	ds_write2_b32 v4, v1, v6 offset1:1
	v_mov_b32_e32 v1, s1
	v_add_co_u32_e32 v2, vcc, s0, v0
	v_addc_co_u32_e32 v3, vcc, 0, v1, vcc
	s_and_b64 vcc, exec, s[14:15]
	v_add_u32_e32 v4, 4, v0
	v_add_u32_e32 v5, 8, v0
	;; [unrolled: 1-line block ×7, first 2 shown]
	s_waitcnt lgkmcnt(0)
	s_cbranch_vccz .LBB289_33
; %bb.32:
	s_barrier
	ds_read_u8 v11, v0
	ds_read_u8 v12, v4 offset:128
	ds_read_u8 v13, v5 offset:256
	;; [unrolled: 1-line block ×7, first 2 shown]
	s_waitcnt lgkmcnt(7)
	global_store_byte v[2:3], v11, off
	s_waitcnt lgkmcnt(6)
	global_store_byte v[2:3], v12, off offset:128
	s_waitcnt lgkmcnt(5)
	global_store_byte v[2:3], v13, off offset:256
	;; [unrolled: 2-line block ×6, first 2 shown]
	s_mov_b64 s[0:1], -1
	s_cbranch_execz .LBB289_34
	s_branch .LBB289_49
.LBB289_33:
	s_mov_b64 s[0:1], 0
                                        ; implicit-def: $vgpr1
.LBB289_34:
	s_barrier
	s_waitcnt lgkmcnt(0)
	ds_read_u8 v13, v4 offset:128
	ds_read_u8 v12, v5 offset:256
	;; [unrolled: 1-line block ×7, first 2 shown]
	s_sub_i32 s2, s12, s20
	v_or_b32_e32 v7, 0x80, v0
	v_cmp_gt_u32_e32 vcc, s2, v0
	s_and_saveexec_b64 s[0:1], vcc
	s_cbranch_execz .LBB289_36
; %bb.35:
	ds_read_u8 v8, v0
	s_waitcnt lgkmcnt(0)
	global_store_byte v[2:3], v8, off
.LBB289_36:
	s_or_b64 exec, exec, s[0:1]
	v_or_b32_e32 v8, 0x100, v0
	v_cmp_gt_u32_e32 vcc, s2, v7
	s_and_saveexec_b64 s[0:1], vcc
	s_cbranch_execz .LBB289_38
; %bb.37:
	s_waitcnt lgkmcnt(6)
	global_store_byte v[2:3], v13, off offset:128
.LBB289_38:
	s_or_b64 exec, exec, s[0:1]
	v_or_b32_e32 v7, 0x180, v0
	v_cmp_gt_u32_e32 vcc, s2, v8
	s_and_saveexec_b64 s[0:1], vcc
	s_cbranch_execz .LBB289_40
; %bb.39:
	s_waitcnt lgkmcnt(5)
	global_store_byte v[2:3], v12, off offset:256
.LBB289_40:
	;; [unrolled: 9-line block ×4, first 2 shown]
	s_or_b64 exec, exec, s[0:1]
	s_waitcnt lgkmcnt(3)
	v_or_b32_e32 v6, 0x300, v0
	v_cmp_gt_u32_e32 vcc, s2, v7
	s_and_saveexec_b64 s[0:1], vcc
	s_cbranch_execz .LBB289_46
; %bb.45:
	s_waitcnt lgkmcnt(2)
	global_store_byte v[2:3], v5, off offset:640
.LBB289_46:
	s_or_b64 exec, exec, s[0:1]
	v_or_b32_e32 v0, 0x380, v0
	v_cmp_gt_u32_e32 vcc, s2, v6
	s_and_saveexec_b64 s[0:1], vcc
	s_cbranch_execz .LBB289_48
; %bb.47:
	s_waitcnt lgkmcnt(1)
	global_store_byte v[2:3], v4, off offset:768
.LBB289_48:
	s_or_b64 exec, exec, s[0:1]
	v_cmp_gt_u32_e64 s[0:1], s2, v0
.LBB289_49:
	s_and_saveexec_b64 s[2:3], s[0:1]
	s_cbranch_execz .LBB289_51
; %bb.50:
	s_waitcnt lgkmcnt(0)
	global_store_byte v[2:3], v1, off offset:896
.LBB289_51:
	s_endpgm
	.section	.rodata,"a",@progbits
	.p2align	6, 0x0
	.amdhsa_kernel _ZN7rocprim17ROCPRIM_400000_NS6detail17trampoline_kernelINS0_14default_configENS1_38merge_sort_block_merge_config_selectorIhNS0_10empty_typeEEEZZNS1_27merge_sort_block_merge_implIS3_PhPS5_jNS1_19radix_merge_compareILb0ELb1EhNS0_19identity_decomposerEEEEE10hipError_tT0_T1_T2_jT3_P12ihipStream_tbPNSt15iterator_traitsISE_E10value_typeEPNSK_ISF_E10value_typeEPSG_NS1_7vsmem_tEENKUlT_SE_SF_SG_E_clIS8_S8_S9_S9_EESD_ST_SE_SF_SG_EUlST_E0_NS1_11comp_targetILNS1_3genE4ELNS1_11target_archE910ELNS1_3gpuE8ELNS1_3repE0EEENS1_38merge_mergepath_config_static_selectorELNS0_4arch9wavefront6targetE1EEEvSF_
		.amdhsa_group_segment_fixed_size 1056
		.amdhsa_private_segment_fixed_size 0
		.amdhsa_kernarg_size 320
		.amdhsa_user_sgpr_count 6
		.amdhsa_user_sgpr_private_segment_buffer 1
		.amdhsa_user_sgpr_dispatch_ptr 0
		.amdhsa_user_sgpr_queue_ptr 0
		.amdhsa_user_sgpr_kernarg_segment_ptr 1
		.amdhsa_user_sgpr_dispatch_id 0
		.amdhsa_user_sgpr_flat_scratch_init 0
		.amdhsa_user_sgpr_kernarg_preload_length 0
		.amdhsa_user_sgpr_kernarg_preload_offset 0
		.amdhsa_user_sgpr_private_segment_size 0
		.amdhsa_uses_dynamic_stack 0
		.amdhsa_system_sgpr_private_segment_wavefront_offset 0
		.amdhsa_system_sgpr_workgroup_id_x 1
		.amdhsa_system_sgpr_workgroup_id_y 1
		.amdhsa_system_sgpr_workgroup_id_z 1
		.amdhsa_system_sgpr_workgroup_info 0
		.amdhsa_system_vgpr_workitem_id 0
		.amdhsa_next_free_vgpr 28
		.amdhsa_next_free_sgpr 26
		.amdhsa_accum_offset 28
		.amdhsa_reserve_vcc 1
		.amdhsa_reserve_flat_scratch 0
		.amdhsa_float_round_mode_32 0
		.amdhsa_float_round_mode_16_64 0
		.amdhsa_float_denorm_mode_32 3
		.amdhsa_float_denorm_mode_16_64 3
		.amdhsa_dx10_clamp 1
		.amdhsa_ieee_mode 1
		.amdhsa_fp16_overflow 0
		.amdhsa_tg_split 0
		.amdhsa_exception_fp_ieee_invalid_op 0
		.amdhsa_exception_fp_denorm_src 0
		.amdhsa_exception_fp_ieee_div_zero 0
		.amdhsa_exception_fp_ieee_overflow 0
		.amdhsa_exception_fp_ieee_underflow 0
		.amdhsa_exception_fp_ieee_inexact 0
		.amdhsa_exception_int_div_zero 0
	.end_amdhsa_kernel
	.section	.text._ZN7rocprim17ROCPRIM_400000_NS6detail17trampoline_kernelINS0_14default_configENS1_38merge_sort_block_merge_config_selectorIhNS0_10empty_typeEEEZZNS1_27merge_sort_block_merge_implIS3_PhPS5_jNS1_19radix_merge_compareILb0ELb1EhNS0_19identity_decomposerEEEEE10hipError_tT0_T1_T2_jT3_P12ihipStream_tbPNSt15iterator_traitsISE_E10value_typeEPNSK_ISF_E10value_typeEPSG_NS1_7vsmem_tEENKUlT_SE_SF_SG_E_clIS8_S8_S9_S9_EESD_ST_SE_SF_SG_EUlST_E0_NS1_11comp_targetILNS1_3genE4ELNS1_11target_archE910ELNS1_3gpuE8ELNS1_3repE0EEENS1_38merge_mergepath_config_static_selectorELNS0_4arch9wavefront6targetE1EEEvSF_,"axG",@progbits,_ZN7rocprim17ROCPRIM_400000_NS6detail17trampoline_kernelINS0_14default_configENS1_38merge_sort_block_merge_config_selectorIhNS0_10empty_typeEEEZZNS1_27merge_sort_block_merge_implIS3_PhPS5_jNS1_19radix_merge_compareILb0ELb1EhNS0_19identity_decomposerEEEEE10hipError_tT0_T1_T2_jT3_P12ihipStream_tbPNSt15iterator_traitsISE_E10value_typeEPNSK_ISF_E10value_typeEPSG_NS1_7vsmem_tEENKUlT_SE_SF_SG_E_clIS8_S8_S9_S9_EESD_ST_SE_SF_SG_EUlST_E0_NS1_11comp_targetILNS1_3genE4ELNS1_11target_archE910ELNS1_3gpuE8ELNS1_3repE0EEENS1_38merge_mergepath_config_static_selectorELNS0_4arch9wavefront6targetE1EEEvSF_,comdat
.Lfunc_end289:
	.size	_ZN7rocprim17ROCPRIM_400000_NS6detail17trampoline_kernelINS0_14default_configENS1_38merge_sort_block_merge_config_selectorIhNS0_10empty_typeEEEZZNS1_27merge_sort_block_merge_implIS3_PhPS5_jNS1_19radix_merge_compareILb0ELb1EhNS0_19identity_decomposerEEEEE10hipError_tT0_T1_T2_jT3_P12ihipStream_tbPNSt15iterator_traitsISE_E10value_typeEPNSK_ISF_E10value_typeEPSG_NS1_7vsmem_tEENKUlT_SE_SF_SG_E_clIS8_S8_S9_S9_EESD_ST_SE_SF_SG_EUlST_E0_NS1_11comp_targetILNS1_3genE4ELNS1_11target_archE910ELNS1_3gpuE8ELNS1_3repE0EEENS1_38merge_mergepath_config_static_selectorELNS0_4arch9wavefront6targetE1EEEvSF_, .Lfunc_end289-_ZN7rocprim17ROCPRIM_400000_NS6detail17trampoline_kernelINS0_14default_configENS1_38merge_sort_block_merge_config_selectorIhNS0_10empty_typeEEEZZNS1_27merge_sort_block_merge_implIS3_PhPS5_jNS1_19radix_merge_compareILb0ELb1EhNS0_19identity_decomposerEEEEE10hipError_tT0_T1_T2_jT3_P12ihipStream_tbPNSt15iterator_traitsISE_E10value_typeEPNSK_ISF_E10value_typeEPSG_NS1_7vsmem_tEENKUlT_SE_SF_SG_E_clIS8_S8_S9_S9_EESD_ST_SE_SF_SG_EUlST_E0_NS1_11comp_targetILNS1_3genE4ELNS1_11target_archE910ELNS1_3gpuE8ELNS1_3repE0EEENS1_38merge_mergepath_config_static_selectorELNS0_4arch9wavefront6targetE1EEEvSF_
                                        ; -- End function
	.section	.AMDGPU.csdata,"",@progbits
; Kernel info:
; codeLenInByte = 3196
; NumSgprs: 30
; NumVgprs: 28
; NumAgprs: 0
; TotalNumVgprs: 28
; ScratchSize: 0
; MemoryBound: 0
; FloatMode: 240
; IeeeMode: 1
; LDSByteSize: 1056 bytes/workgroup (compile time only)
; SGPRBlocks: 3
; VGPRBlocks: 3
; NumSGPRsForWavesPerEU: 30
; NumVGPRsForWavesPerEU: 28
; AccumOffset: 28
; Occupancy: 8
; WaveLimiterHint : 1
; COMPUTE_PGM_RSRC2:SCRATCH_EN: 0
; COMPUTE_PGM_RSRC2:USER_SGPR: 6
; COMPUTE_PGM_RSRC2:TRAP_HANDLER: 0
; COMPUTE_PGM_RSRC2:TGID_X_EN: 1
; COMPUTE_PGM_RSRC2:TGID_Y_EN: 1
; COMPUTE_PGM_RSRC2:TGID_Z_EN: 1
; COMPUTE_PGM_RSRC2:TIDIG_COMP_CNT: 0
; COMPUTE_PGM_RSRC3_GFX90A:ACCUM_OFFSET: 6
; COMPUTE_PGM_RSRC3_GFX90A:TG_SPLIT: 0
	.section	.text._ZN7rocprim17ROCPRIM_400000_NS6detail17trampoline_kernelINS0_14default_configENS1_38merge_sort_block_merge_config_selectorIhNS0_10empty_typeEEEZZNS1_27merge_sort_block_merge_implIS3_PhPS5_jNS1_19radix_merge_compareILb0ELb1EhNS0_19identity_decomposerEEEEE10hipError_tT0_T1_T2_jT3_P12ihipStream_tbPNSt15iterator_traitsISE_E10value_typeEPNSK_ISF_E10value_typeEPSG_NS1_7vsmem_tEENKUlT_SE_SF_SG_E_clIS8_S8_S9_S9_EESD_ST_SE_SF_SG_EUlST_E0_NS1_11comp_targetILNS1_3genE3ELNS1_11target_archE908ELNS1_3gpuE7ELNS1_3repE0EEENS1_38merge_mergepath_config_static_selectorELNS0_4arch9wavefront6targetE1EEEvSF_,"axG",@progbits,_ZN7rocprim17ROCPRIM_400000_NS6detail17trampoline_kernelINS0_14default_configENS1_38merge_sort_block_merge_config_selectorIhNS0_10empty_typeEEEZZNS1_27merge_sort_block_merge_implIS3_PhPS5_jNS1_19radix_merge_compareILb0ELb1EhNS0_19identity_decomposerEEEEE10hipError_tT0_T1_T2_jT3_P12ihipStream_tbPNSt15iterator_traitsISE_E10value_typeEPNSK_ISF_E10value_typeEPSG_NS1_7vsmem_tEENKUlT_SE_SF_SG_E_clIS8_S8_S9_S9_EESD_ST_SE_SF_SG_EUlST_E0_NS1_11comp_targetILNS1_3genE3ELNS1_11target_archE908ELNS1_3gpuE7ELNS1_3repE0EEENS1_38merge_mergepath_config_static_selectorELNS0_4arch9wavefront6targetE1EEEvSF_,comdat
	.protected	_ZN7rocprim17ROCPRIM_400000_NS6detail17trampoline_kernelINS0_14default_configENS1_38merge_sort_block_merge_config_selectorIhNS0_10empty_typeEEEZZNS1_27merge_sort_block_merge_implIS3_PhPS5_jNS1_19radix_merge_compareILb0ELb1EhNS0_19identity_decomposerEEEEE10hipError_tT0_T1_T2_jT3_P12ihipStream_tbPNSt15iterator_traitsISE_E10value_typeEPNSK_ISF_E10value_typeEPSG_NS1_7vsmem_tEENKUlT_SE_SF_SG_E_clIS8_S8_S9_S9_EESD_ST_SE_SF_SG_EUlST_E0_NS1_11comp_targetILNS1_3genE3ELNS1_11target_archE908ELNS1_3gpuE7ELNS1_3repE0EEENS1_38merge_mergepath_config_static_selectorELNS0_4arch9wavefront6targetE1EEEvSF_ ; -- Begin function _ZN7rocprim17ROCPRIM_400000_NS6detail17trampoline_kernelINS0_14default_configENS1_38merge_sort_block_merge_config_selectorIhNS0_10empty_typeEEEZZNS1_27merge_sort_block_merge_implIS3_PhPS5_jNS1_19radix_merge_compareILb0ELb1EhNS0_19identity_decomposerEEEEE10hipError_tT0_T1_T2_jT3_P12ihipStream_tbPNSt15iterator_traitsISE_E10value_typeEPNSK_ISF_E10value_typeEPSG_NS1_7vsmem_tEENKUlT_SE_SF_SG_E_clIS8_S8_S9_S9_EESD_ST_SE_SF_SG_EUlST_E0_NS1_11comp_targetILNS1_3genE3ELNS1_11target_archE908ELNS1_3gpuE7ELNS1_3repE0EEENS1_38merge_mergepath_config_static_selectorELNS0_4arch9wavefront6targetE1EEEvSF_
	.globl	_ZN7rocprim17ROCPRIM_400000_NS6detail17trampoline_kernelINS0_14default_configENS1_38merge_sort_block_merge_config_selectorIhNS0_10empty_typeEEEZZNS1_27merge_sort_block_merge_implIS3_PhPS5_jNS1_19radix_merge_compareILb0ELb1EhNS0_19identity_decomposerEEEEE10hipError_tT0_T1_T2_jT3_P12ihipStream_tbPNSt15iterator_traitsISE_E10value_typeEPNSK_ISF_E10value_typeEPSG_NS1_7vsmem_tEENKUlT_SE_SF_SG_E_clIS8_S8_S9_S9_EESD_ST_SE_SF_SG_EUlST_E0_NS1_11comp_targetILNS1_3genE3ELNS1_11target_archE908ELNS1_3gpuE7ELNS1_3repE0EEENS1_38merge_mergepath_config_static_selectorELNS0_4arch9wavefront6targetE1EEEvSF_
	.p2align	8
	.type	_ZN7rocprim17ROCPRIM_400000_NS6detail17trampoline_kernelINS0_14default_configENS1_38merge_sort_block_merge_config_selectorIhNS0_10empty_typeEEEZZNS1_27merge_sort_block_merge_implIS3_PhPS5_jNS1_19radix_merge_compareILb0ELb1EhNS0_19identity_decomposerEEEEE10hipError_tT0_T1_T2_jT3_P12ihipStream_tbPNSt15iterator_traitsISE_E10value_typeEPNSK_ISF_E10value_typeEPSG_NS1_7vsmem_tEENKUlT_SE_SF_SG_E_clIS8_S8_S9_S9_EESD_ST_SE_SF_SG_EUlST_E0_NS1_11comp_targetILNS1_3genE3ELNS1_11target_archE908ELNS1_3gpuE7ELNS1_3repE0EEENS1_38merge_mergepath_config_static_selectorELNS0_4arch9wavefront6targetE1EEEvSF_,@function
_ZN7rocprim17ROCPRIM_400000_NS6detail17trampoline_kernelINS0_14default_configENS1_38merge_sort_block_merge_config_selectorIhNS0_10empty_typeEEEZZNS1_27merge_sort_block_merge_implIS3_PhPS5_jNS1_19radix_merge_compareILb0ELb1EhNS0_19identity_decomposerEEEEE10hipError_tT0_T1_T2_jT3_P12ihipStream_tbPNSt15iterator_traitsISE_E10value_typeEPNSK_ISF_E10value_typeEPSG_NS1_7vsmem_tEENKUlT_SE_SF_SG_E_clIS8_S8_S9_S9_EESD_ST_SE_SF_SG_EUlST_E0_NS1_11comp_targetILNS1_3genE3ELNS1_11target_archE908ELNS1_3gpuE7ELNS1_3repE0EEENS1_38merge_mergepath_config_static_selectorELNS0_4arch9wavefront6targetE1EEEvSF_: ; @_ZN7rocprim17ROCPRIM_400000_NS6detail17trampoline_kernelINS0_14default_configENS1_38merge_sort_block_merge_config_selectorIhNS0_10empty_typeEEEZZNS1_27merge_sort_block_merge_implIS3_PhPS5_jNS1_19radix_merge_compareILb0ELb1EhNS0_19identity_decomposerEEEEE10hipError_tT0_T1_T2_jT3_P12ihipStream_tbPNSt15iterator_traitsISE_E10value_typeEPNSK_ISF_E10value_typeEPSG_NS1_7vsmem_tEENKUlT_SE_SF_SG_E_clIS8_S8_S9_S9_EESD_ST_SE_SF_SG_EUlST_E0_NS1_11comp_targetILNS1_3genE3ELNS1_11target_archE908ELNS1_3gpuE7ELNS1_3repE0EEENS1_38merge_mergepath_config_static_selectorELNS0_4arch9wavefront6targetE1EEEvSF_
; %bb.0:
	.section	.rodata,"a",@progbits
	.p2align	6, 0x0
	.amdhsa_kernel _ZN7rocprim17ROCPRIM_400000_NS6detail17trampoline_kernelINS0_14default_configENS1_38merge_sort_block_merge_config_selectorIhNS0_10empty_typeEEEZZNS1_27merge_sort_block_merge_implIS3_PhPS5_jNS1_19radix_merge_compareILb0ELb1EhNS0_19identity_decomposerEEEEE10hipError_tT0_T1_T2_jT3_P12ihipStream_tbPNSt15iterator_traitsISE_E10value_typeEPNSK_ISF_E10value_typeEPSG_NS1_7vsmem_tEENKUlT_SE_SF_SG_E_clIS8_S8_S9_S9_EESD_ST_SE_SF_SG_EUlST_E0_NS1_11comp_targetILNS1_3genE3ELNS1_11target_archE908ELNS1_3gpuE7ELNS1_3repE0EEENS1_38merge_mergepath_config_static_selectorELNS0_4arch9wavefront6targetE1EEEvSF_
		.amdhsa_group_segment_fixed_size 0
		.amdhsa_private_segment_fixed_size 0
		.amdhsa_kernarg_size 64
		.amdhsa_user_sgpr_count 6
		.amdhsa_user_sgpr_private_segment_buffer 1
		.amdhsa_user_sgpr_dispatch_ptr 0
		.amdhsa_user_sgpr_queue_ptr 0
		.amdhsa_user_sgpr_kernarg_segment_ptr 1
		.amdhsa_user_sgpr_dispatch_id 0
		.amdhsa_user_sgpr_flat_scratch_init 0
		.amdhsa_user_sgpr_kernarg_preload_length 0
		.amdhsa_user_sgpr_kernarg_preload_offset 0
		.amdhsa_user_sgpr_private_segment_size 0
		.amdhsa_uses_dynamic_stack 0
		.amdhsa_system_sgpr_private_segment_wavefront_offset 0
		.amdhsa_system_sgpr_workgroup_id_x 1
		.amdhsa_system_sgpr_workgroup_id_y 0
		.amdhsa_system_sgpr_workgroup_id_z 0
		.amdhsa_system_sgpr_workgroup_info 0
		.amdhsa_system_vgpr_workitem_id 0
		.amdhsa_next_free_vgpr 1
		.amdhsa_next_free_sgpr 0
		.amdhsa_accum_offset 4
		.amdhsa_reserve_vcc 0
		.amdhsa_reserve_flat_scratch 0
		.amdhsa_float_round_mode_32 0
		.amdhsa_float_round_mode_16_64 0
		.amdhsa_float_denorm_mode_32 3
		.amdhsa_float_denorm_mode_16_64 3
		.amdhsa_dx10_clamp 1
		.amdhsa_ieee_mode 1
		.amdhsa_fp16_overflow 0
		.amdhsa_tg_split 0
		.amdhsa_exception_fp_ieee_invalid_op 0
		.amdhsa_exception_fp_denorm_src 0
		.amdhsa_exception_fp_ieee_div_zero 0
		.amdhsa_exception_fp_ieee_overflow 0
		.amdhsa_exception_fp_ieee_underflow 0
		.amdhsa_exception_fp_ieee_inexact 0
		.amdhsa_exception_int_div_zero 0
	.end_amdhsa_kernel
	.section	.text._ZN7rocprim17ROCPRIM_400000_NS6detail17trampoline_kernelINS0_14default_configENS1_38merge_sort_block_merge_config_selectorIhNS0_10empty_typeEEEZZNS1_27merge_sort_block_merge_implIS3_PhPS5_jNS1_19radix_merge_compareILb0ELb1EhNS0_19identity_decomposerEEEEE10hipError_tT0_T1_T2_jT3_P12ihipStream_tbPNSt15iterator_traitsISE_E10value_typeEPNSK_ISF_E10value_typeEPSG_NS1_7vsmem_tEENKUlT_SE_SF_SG_E_clIS8_S8_S9_S9_EESD_ST_SE_SF_SG_EUlST_E0_NS1_11comp_targetILNS1_3genE3ELNS1_11target_archE908ELNS1_3gpuE7ELNS1_3repE0EEENS1_38merge_mergepath_config_static_selectorELNS0_4arch9wavefront6targetE1EEEvSF_,"axG",@progbits,_ZN7rocprim17ROCPRIM_400000_NS6detail17trampoline_kernelINS0_14default_configENS1_38merge_sort_block_merge_config_selectorIhNS0_10empty_typeEEEZZNS1_27merge_sort_block_merge_implIS3_PhPS5_jNS1_19radix_merge_compareILb0ELb1EhNS0_19identity_decomposerEEEEE10hipError_tT0_T1_T2_jT3_P12ihipStream_tbPNSt15iterator_traitsISE_E10value_typeEPNSK_ISF_E10value_typeEPSG_NS1_7vsmem_tEENKUlT_SE_SF_SG_E_clIS8_S8_S9_S9_EESD_ST_SE_SF_SG_EUlST_E0_NS1_11comp_targetILNS1_3genE3ELNS1_11target_archE908ELNS1_3gpuE7ELNS1_3repE0EEENS1_38merge_mergepath_config_static_selectorELNS0_4arch9wavefront6targetE1EEEvSF_,comdat
.Lfunc_end290:
	.size	_ZN7rocprim17ROCPRIM_400000_NS6detail17trampoline_kernelINS0_14default_configENS1_38merge_sort_block_merge_config_selectorIhNS0_10empty_typeEEEZZNS1_27merge_sort_block_merge_implIS3_PhPS5_jNS1_19radix_merge_compareILb0ELb1EhNS0_19identity_decomposerEEEEE10hipError_tT0_T1_T2_jT3_P12ihipStream_tbPNSt15iterator_traitsISE_E10value_typeEPNSK_ISF_E10value_typeEPSG_NS1_7vsmem_tEENKUlT_SE_SF_SG_E_clIS8_S8_S9_S9_EESD_ST_SE_SF_SG_EUlST_E0_NS1_11comp_targetILNS1_3genE3ELNS1_11target_archE908ELNS1_3gpuE7ELNS1_3repE0EEENS1_38merge_mergepath_config_static_selectorELNS0_4arch9wavefront6targetE1EEEvSF_, .Lfunc_end290-_ZN7rocprim17ROCPRIM_400000_NS6detail17trampoline_kernelINS0_14default_configENS1_38merge_sort_block_merge_config_selectorIhNS0_10empty_typeEEEZZNS1_27merge_sort_block_merge_implIS3_PhPS5_jNS1_19radix_merge_compareILb0ELb1EhNS0_19identity_decomposerEEEEE10hipError_tT0_T1_T2_jT3_P12ihipStream_tbPNSt15iterator_traitsISE_E10value_typeEPNSK_ISF_E10value_typeEPSG_NS1_7vsmem_tEENKUlT_SE_SF_SG_E_clIS8_S8_S9_S9_EESD_ST_SE_SF_SG_EUlST_E0_NS1_11comp_targetILNS1_3genE3ELNS1_11target_archE908ELNS1_3gpuE7ELNS1_3repE0EEENS1_38merge_mergepath_config_static_selectorELNS0_4arch9wavefront6targetE1EEEvSF_
                                        ; -- End function
	.section	.AMDGPU.csdata,"",@progbits
; Kernel info:
; codeLenInByte = 0
; NumSgprs: 4
; NumVgprs: 0
; NumAgprs: 0
; TotalNumVgprs: 0
; ScratchSize: 0
; MemoryBound: 0
; FloatMode: 240
; IeeeMode: 1
; LDSByteSize: 0 bytes/workgroup (compile time only)
; SGPRBlocks: 0
; VGPRBlocks: 0
; NumSGPRsForWavesPerEU: 4
; NumVGPRsForWavesPerEU: 1
; AccumOffset: 4
; Occupancy: 8
; WaveLimiterHint : 0
; COMPUTE_PGM_RSRC2:SCRATCH_EN: 0
; COMPUTE_PGM_RSRC2:USER_SGPR: 6
; COMPUTE_PGM_RSRC2:TRAP_HANDLER: 0
; COMPUTE_PGM_RSRC2:TGID_X_EN: 1
; COMPUTE_PGM_RSRC2:TGID_Y_EN: 0
; COMPUTE_PGM_RSRC2:TGID_Z_EN: 0
; COMPUTE_PGM_RSRC2:TIDIG_COMP_CNT: 0
; COMPUTE_PGM_RSRC3_GFX90A:ACCUM_OFFSET: 0
; COMPUTE_PGM_RSRC3_GFX90A:TG_SPLIT: 0
	.section	.text._ZN7rocprim17ROCPRIM_400000_NS6detail17trampoline_kernelINS0_14default_configENS1_38merge_sort_block_merge_config_selectorIhNS0_10empty_typeEEEZZNS1_27merge_sort_block_merge_implIS3_PhPS5_jNS1_19radix_merge_compareILb0ELb1EhNS0_19identity_decomposerEEEEE10hipError_tT0_T1_T2_jT3_P12ihipStream_tbPNSt15iterator_traitsISE_E10value_typeEPNSK_ISF_E10value_typeEPSG_NS1_7vsmem_tEENKUlT_SE_SF_SG_E_clIS8_S8_S9_S9_EESD_ST_SE_SF_SG_EUlST_E0_NS1_11comp_targetILNS1_3genE2ELNS1_11target_archE906ELNS1_3gpuE6ELNS1_3repE0EEENS1_38merge_mergepath_config_static_selectorELNS0_4arch9wavefront6targetE1EEEvSF_,"axG",@progbits,_ZN7rocprim17ROCPRIM_400000_NS6detail17trampoline_kernelINS0_14default_configENS1_38merge_sort_block_merge_config_selectorIhNS0_10empty_typeEEEZZNS1_27merge_sort_block_merge_implIS3_PhPS5_jNS1_19radix_merge_compareILb0ELb1EhNS0_19identity_decomposerEEEEE10hipError_tT0_T1_T2_jT3_P12ihipStream_tbPNSt15iterator_traitsISE_E10value_typeEPNSK_ISF_E10value_typeEPSG_NS1_7vsmem_tEENKUlT_SE_SF_SG_E_clIS8_S8_S9_S9_EESD_ST_SE_SF_SG_EUlST_E0_NS1_11comp_targetILNS1_3genE2ELNS1_11target_archE906ELNS1_3gpuE6ELNS1_3repE0EEENS1_38merge_mergepath_config_static_selectorELNS0_4arch9wavefront6targetE1EEEvSF_,comdat
	.protected	_ZN7rocprim17ROCPRIM_400000_NS6detail17trampoline_kernelINS0_14default_configENS1_38merge_sort_block_merge_config_selectorIhNS0_10empty_typeEEEZZNS1_27merge_sort_block_merge_implIS3_PhPS5_jNS1_19radix_merge_compareILb0ELb1EhNS0_19identity_decomposerEEEEE10hipError_tT0_T1_T2_jT3_P12ihipStream_tbPNSt15iterator_traitsISE_E10value_typeEPNSK_ISF_E10value_typeEPSG_NS1_7vsmem_tEENKUlT_SE_SF_SG_E_clIS8_S8_S9_S9_EESD_ST_SE_SF_SG_EUlST_E0_NS1_11comp_targetILNS1_3genE2ELNS1_11target_archE906ELNS1_3gpuE6ELNS1_3repE0EEENS1_38merge_mergepath_config_static_selectorELNS0_4arch9wavefront6targetE1EEEvSF_ ; -- Begin function _ZN7rocprim17ROCPRIM_400000_NS6detail17trampoline_kernelINS0_14default_configENS1_38merge_sort_block_merge_config_selectorIhNS0_10empty_typeEEEZZNS1_27merge_sort_block_merge_implIS3_PhPS5_jNS1_19radix_merge_compareILb0ELb1EhNS0_19identity_decomposerEEEEE10hipError_tT0_T1_T2_jT3_P12ihipStream_tbPNSt15iterator_traitsISE_E10value_typeEPNSK_ISF_E10value_typeEPSG_NS1_7vsmem_tEENKUlT_SE_SF_SG_E_clIS8_S8_S9_S9_EESD_ST_SE_SF_SG_EUlST_E0_NS1_11comp_targetILNS1_3genE2ELNS1_11target_archE906ELNS1_3gpuE6ELNS1_3repE0EEENS1_38merge_mergepath_config_static_selectorELNS0_4arch9wavefront6targetE1EEEvSF_
	.globl	_ZN7rocprim17ROCPRIM_400000_NS6detail17trampoline_kernelINS0_14default_configENS1_38merge_sort_block_merge_config_selectorIhNS0_10empty_typeEEEZZNS1_27merge_sort_block_merge_implIS3_PhPS5_jNS1_19radix_merge_compareILb0ELb1EhNS0_19identity_decomposerEEEEE10hipError_tT0_T1_T2_jT3_P12ihipStream_tbPNSt15iterator_traitsISE_E10value_typeEPNSK_ISF_E10value_typeEPSG_NS1_7vsmem_tEENKUlT_SE_SF_SG_E_clIS8_S8_S9_S9_EESD_ST_SE_SF_SG_EUlST_E0_NS1_11comp_targetILNS1_3genE2ELNS1_11target_archE906ELNS1_3gpuE6ELNS1_3repE0EEENS1_38merge_mergepath_config_static_selectorELNS0_4arch9wavefront6targetE1EEEvSF_
	.p2align	8
	.type	_ZN7rocprim17ROCPRIM_400000_NS6detail17trampoline_kernelINS0_14default_configENS1_38merge_sort_block_merge_config_selectorIhNS0_10empty_typeEEEZZNS1_27merge_sort_block_merge_implIS3_PhPS5_jNS1_19radix_merge_compareILb0ELb1EhNS0_19identity_decomposerEEEEE10hipError_tT0_T1_T2_jT3_P12ihipStream_tbPNSt15iterator_traitsISE_E10value_typeEPNSK_ISF_E10value_typeEPSG_NS1_7vsmem_tEENKUlT_SE_SF_SG_E_clIS8_S8_S9_S9_EESD_ST_SE_SF_SG_EUlST_E0_NS1_11comp_targetILNS1_3genE2ELNS1_11target_archE906ELNS1_3gpuE6ELNS1_3repE0EEENS1_38merge_mergepath_config_static_selectorELNS0_4arch9wavefront6targetE1EEEvSF_,@function
_ZN7rocprim17ROCPRIM_400000_NS6detail17trampoline_kernelINS0_14default_configENS1_38merge_sort_block_merge_config_selectorIhNS0_10empty_typeEEEZZNS1_27merge_sort_block_merge_implIS3_PhPS5_jNS1_19radix_merge_compareILb0ELb1EhNS0_19identity_decomposerEEEEE10hipError_tT0_T1_T2_jT3_P12ihipStream_tbPNSt15iterator_traitsISE_E10value_typeEPNSK_ISF_E10value_typeEPSG_NS1_7vsmem_tEENKUlT_SE_SF_SG_E_clIS8_S8_S9_S9_EESD_ST_SE_SF_SG_EUlST_E0_NS1_11comp_targetILNS1_3genE2ELNS1_11target_archE906ELNS1_3gpuE6ELNS1_3repE0EEENS1_38merge_mergepath_config_static_selectorELNS0_4arch9wavefront6targetE1EEEvSF_: ; @_ZN7rocprim17ROCPRIM_400000_NS6detail17trampoline_kernelINS0_14default_configENS1_38merge_sort_block_merge_config_selectorIhNS0_10empty_typeEEEZZNS1_27merge_sort_block_merge_implIS3_PhPS5_jNS1_19radix_merge_compareILb0ELb1EhNS0_19identity_decomposerEEEEE10hipError_tT0_T1_T2_jT3_P12ihipStream_tbPNSt15iterator_traitsISE_E10value_typeEPNSK_ISF_E10value_typeEPSG_NS1_7vsmem_tEENKUlT_SE_SF_SG_E_clIS8_S8_S9_S9_EESD_ST_SE_SF_SG_EUlST_E0_NS1_11comp_targetILNS1_3genE2ELNS1_11target_archE906ELNS1_3gpuE6ELNS1_3repE0EEENS1_38merge_mergepath_config_static_selectorELNS0_4arch9wavefront6targetE1EEEvSF_
; %bb.0:
	.section	.rodata,"a",@progbits
	.p2align	6, 0x0
	.amdhsa_kernel _ZN7rocprim17ROCPRIM_400000_NS6detail17trampoline_kernelINS0_14default_configENS1_38merge_sort_block_merge_config_selectorIhNS0_10empty_typeEEEZZNS1_27merge_sort_block_merge_implIS3_PhPS5_jNS1_19radix_merge_compareILb0ELb1EhNS0_19identity_decomposerEEEEE10hipError_tT0_T1_T2_jT3_P12ihipStream_tbPNSt15iterator_traitsISE_E10value_typeEPNSK_ISF_E10value_typeEPSG_NS1_7vsmem_tEENKUlT_SE_SF_SG_E_clIS8_S8_S9_S9_EESD_ST_SE_SF_SG_EUlST_E0_NS1_11comp_targetILNS1_3genE2ELNS1_11target_archE906ELNS1_3gpuE6ELNS1_3repE0EEENS1_38merge_mergepath_config_static_selectorELNS0_4arch9wavefront6targetE1EEEvSF_
		.amdhsa_group_segment_fixed_size 0
		.amdhsa_private_segment_fixed_size 0
		.amdhsa_kernarg_size 64
		.amdhsa_user_sgpr_count 6
		.amdhsa_user_sgpr_private_segment_buffer 1
		.amdhsa_user_sgpr_dispatch_ptr 0
		.amdhsa_user_sgpr_queue_ptr 0
		.amdhsa_user_sgpr_kernarg_segment_ptr 1
		.amdhsa_user_sgpr_dispatch_id 0
		.amdhsa_user_sgpr_flat_scratch_init 0
		.amdhsa_user_sgpr_kernarg_preload_length 0
		.amdhsa_user_sgpr_kernarg_preload_offset 0
		.amdhsa_user_sgpr_private_segment_size 0
		.amdhsa_uses_dynamic_stack 0
		.amdhsa_system_sgpr_private_segment_wavefront_offset 0
		.amdhsa_system_sgpr_workgroup_id_x 1
		.amdhsa_system_sgpr_workgroup_id_y 0
		.amdhsa_system_sgpr_workgroup_id_z 0
		.amdhsa_system_sgpr_workgroup_info 0
		.amdhsa_system_vgpr_workitem_id 0
		.amdhsa_next_free_vgpr 1
		.amdhsa_next_free_sgpr 0
		.amdhsa_accum_offset 4
		.amdhsa_reserve_vcc 0
		.amdhsa_reserve_flat_scratch 0
		.amdhsa_float_round_mode_32 0
		.amdhsa_float_round_mode_16_64 0
		.amdhsa_float_denorm_mode_32 3
		.amdhsa_float_denorm_mode_16_64 3
		.amdhsa_dx10_clamp 1
		.amdhsa_ieee_mode 1
		.amdhsa_fp16_overflow 0
		.amdhsa_tg_split 0
		.amdhsa_exception_fp_ieee_invalid_op 0
		.amdhsa_exception_fp_denorm_src 0
		.amdhsa_exception_fp_ieee_div_zero 0
		.amdhsa_exception_fp_ieee_overflow 0
		.amdhsa_exception_fp_ieee_underflow 0
		.amdhsa_exception_fp_ieee_inexact 0
		.amdhsa_exception_int_div_zero 0
	.end_amdhsa_kernel
	.section	.text._ZN7rocprim17ROCPRIM_400000_NS6detail17trampoline_kernelINS0_14default_configENS1_38merge_sort_block_merge_config_selectorIhNS0_10empty_typeEEEZZNS1_27merge_sort_block_merge_implIS3_PhPS5_jNS1_19radix_merge_compareILb0ELb1EhNS0_19identity_decomposerEEEEE10hipError_tT0_T1_T2_jT3_P12ihipStream_tbPNSt15iterator_traitsISE_E10value_typeEPNSK_ISF_E10value_typeEPSG_NS1_7vsmem_tEENKUlT_SE_SF_SG_E_clIS8_S8_S9_S9_EESD_ST_SE_SF_SG_EUlST_E0_NS1_11comp_targetILNS1_3genE2ELNS1_11target_archE906ELNS1_3gpuE6ELNS1_3repE0EEENS1_38merge_mergepath_config_static_selectorELNS0_4arch9wavefront6targetE1EEEvSF_,"axG",@progbits,_ZN7rocprim17ROCPRIM_400000_NS6detail17trampoline_kernelINS0_14default_configENS1_38merge_sort_block_merge_config_selectorIhNS0_10empty_typeEEEZZNS1_27merge_sort_block_merge_implIS3_PhPS5_jNS1_19radix_merge_compareILb0ELb1EhNS0_19identity_decomposerEEEEE10hipError_tT0_T1_T2_jT3_P12ihipStream_tbPNSt15iterator_traitsISE_E10value_typeEPNSK_ISF_E10value_typeEPSG_NS1_7vsmem_tEENKUlT_SE_SF_SG_E_clIS8_S8_S9_S9_EESD_ST_SE_SF_SG_EUlST_E0_NS1_11comp_targetILNS1_3genE2ELNS1_11target_archE906ELNS1_3gpuE6ELNS1_3repE0EEENS1_38merge_mergepath_config_static_selectorELNS0_4arch9wavefront6targetE1EEEvSF_,comdat
.Lfunc_end291:
	.size	_ZN7rocprim17ROCPRIM_400000_NS6detail17trampoline_kernelINS0_14default_configENS1_38merge_sort_block_merge_config_selectorIhNS0_10empty_typeEEEZZNS1_27merge_sort_block_merge_implIS3_PhPS5_jNS1_19radix_merge_compareILb0ELb1EhNS0_19identity_decomposerEEEEE10hipError_tT0_T1_T2_jT3_P12ihipStream_tbPNSt15iterator_traitsISE_E10value_typeEPNSK_ISF_E10value_typeEPSG_NS1_7vsmem_tEENKUlT_SE_SF_SG_E_clIS8_S8_S9_S9_EESD_ST_SE_SF_SG_EUlST_E0_NS1_11comp_targetILNS1_3genE2ELNS1_11target_archE906ELNS1_3gpuE6ELNS1_3repE0EEENS1_38merge_mergepath_config_static_selectorELNS0_4arch9wavefront6targetE1EEEvSF_, .Lfunc_end291-_ZN7rocprim17ROCPRIM_400000_NS6detail17trampoline_kernelINS0_14default_configENS1_38merge_sort_block_merge_config_selectorIhNS0_10empty_typeEEEZZNS1_27merge_sort_block_merge_implIS3_PhPS5_jNS1_19radix_merge_compareILb0ELb1EhNS0_19identity_decomposerEEEEE10hipError_tT0_T1_T2_jT3_P12ihipStream_tbPNSt15iterator_traitsISE_E10value_typeEPNSK_ISF_E10value_typeEPSG_NS1_7vsmem_tEENKUlT_SE_SF_SG_E_clIS8_S8_S9_S9_EESD_ST_SE_SF_SG_EUlST_E0_NS1_11comp_targetILNS1_3genE2ELNS1_11target_archE906ELNS1_3gpuE6ELNS1_3repE0EEENS1_38merge_mergepath_config_static_selectorELNS0_4arch9wavefront6targetE1EEEvSF_
                                        ; -- End function
	.section	.AMDGPU.csdata,"",@progbits
; Kernel info:
; codeLenInByte = 0
; NumSgprs: 4
; NumVgprs: 0
; NumAgprs: 0
; TotalNumVgprs: 0
; ScratchSize: 0
; MemoryBound: 0
; FloatMode: 240
; IeeeMode: 1
; LDSByteSize: 0 bytes/workgroup (compile time only)
; SGPRBlocks: 0
; VGPRBlocks: 0
; NumSGPRsForWavesPerEU: 4
; NumVGPRsForWavesPerEU: 1
; AccumOffset: 4
; Occupancy: 8
; WaveLimiterHint : 0
; COMPUTE_PGM_RSRC2:SCRATCH_EN: 0
; COMPUTE_PGM_RSRC2:USER_SGPR: 6
; COMPUTE_PGM_RSRC2:TRAP_HANDLER: 0
; COMPUTE_PGM_RSRC2:TGID_X_EN: 1
; COMPUTE_PGM_RSRC2:TGID_Y_EN: 0
; COMPUTE_PGM_RSRC2:TGID_Z_EN: 0
; COMPUTE_PGM_RSRC2:TIDIG_COMP_CNT: 0
; COMPUTE_PGM_RSRC3_GFX90A:ACCUM_OFFSET: 0
; COMPUTE_PGM_RSRC3_GFX90A:TG_SPLIT: 0
	.section	.text._ZN7rocprim17ROCPRIM_400000_NS6detail17trampoline_kernelINS0_14default_configENS1_38merge_sort_block_merge_config_selectorIhNS0_10empty_typeEEEZZNS1_27merge_sort_block_merge_implIS3_PhPS5_jNS1_19radix_merge_compareILb0ELb1EhNS0_19identity_decomposerEEEEE10hipError_tT0_T1_T2_jT3_P12ihipStream_tbPNSt15iterator_traitsISE_E10value_typeEPNSK_ISF_E10value_typeEPSG_NS1_7vsmem_tEENKUlT_SE_SF_SG_E_clIS8_S8_S9_S9_EESD_ST_SE_SF_SG_EUlST_E0_NS1_11comp_targetILNS1_3genE9ELNS1_11target_archE1100ELNS1_3gpuE3ELNS1_3repE0EEENS1_38merge_mergepath_config_static_selectorELNS0_4arch9wavefront6targetE1EEEvSF_,"axG",@progbits,_ZN7rocprim17ROCPRIM_400000_NS6detail17trampoline_kernelINS0_14default_configENS1_38merge_sort_block_merge_config_selectorIhNS0_10empty_typeEEEZZNS1_27merge_sort_block_merge_implIS3_PhPS5_jNS1_19radix_merge_compareILb0ELb1EhNS0_19identity_decomposerEEEEE10hipError_tT0_T1_T2_jT3_P12ihipStream_tbPNSt15iterator_traitsISE_E10value_typeEPNSK_ISF_E10value_typeEPSG_NS1_7vsmem_tEENKUlT_SE_SF_SG_E_clIS8_S8_S9_S9_EESD_ST_SE_SF_SG_EUlST_E0_NS1_11comp_targetILNS1_3genE9ELNS1_11target_archE1100ELNS1_3gpuE3ELNS1_3repE0EEENS1_38merge_mergepath_config_static_selectorELNS0_4arch9wavefront6targetE1EEEvSF_,comdat
	.protected	_ZN7rocprim17ROCPRIM_400000_NS6detail17trampoline_kernelINS0_14default_configENS1_38merge_sort_block_merge_config_selectorIhNS0_10empty_typeEEEZZNS1_27merge_sort_block_merge_implIS3_PhPS5_jNS1_19radix_merge_compareILb0ELb1EhNS0_19identity_decomposerEEEEE10hipError_tT0_T1_T2_jT3_P12ihipStream_tbPNSt15iterator_traitsISE_E10value_typeEPNSK_ISF_E10value_typeEPSG_NS1_7vsmem_tEENKUlT_SE_SF_SG_E_clIS8_S8_S9_S9_EESD_ST_SE_SF_SG_EUlST_E0_NS1_11comp_targetILNS1_3genE9ELNS1_11target_archE1100ELNS1_3gpuE3ELNS1_3repE0EEENS1_38merge_mergepath_config_static_selectorELNS0_4arch9wavefront6targetE1EEEvSF_ ; -- Begin function _ZN7rocprim17ROCPRIM_400000_NS6detail17trampoline_kernelINS0_14default_configENS1_38merge_sort_block_merge_config_selectorIhNS0_10empty_typeEEEZZNS1_27merge_sort_block_merge_implIS3_PhPS5_jNS1_19radix_merge_compareILb0ELb1EhNS0_19identity_decomposerEEEEE10hipError_tT0_T1_T2_jT3_P12ihipStream_tbPNSt15iterator_traitsISE_E10value_typeEPNSK_ISF_E10value_typeEPSG_NS1_7vsmem_tEENKUlT_SE_SF_SG_E_clIS8_S8_S9_S9_EESD_ST_SE_SF_SG_EUlST_E0_NS1_11comp_targetILNS1_3genE9ELNS1_11target_archE1100ELNS1_3gpuE3ELNS1_3repE0EEENS1_38merge_mergepath_config_static_selectorELNS0_4arch9wavefront6targetE1EEEvSF_
	.globl	_ZN7rocprim17ROCPRIM_400000_NS6detail17trampoline_kernelINS0_14default_configENS1_38merge_sort_block_merge_config_selectorIhNS0_10empty_typeEEEZZNS1_27merge_sort_block_merge_implIS3_PhPS5_jNS1_19radix_merge_compareILb0ELb1EhNS0_19identity_decomposerEEEEE10hipError_tT0_T1_T2_jT3_P12ihipStream_tbPNSt15iterator_traitsISE_E10value_typeEPNSK_ISF_E10value_typeEPSG_NS1_7vsmem_tEENKUlT_SE_SF_SG_E_clIS8_S8_S9_S9_EESD_ST_SE_SF_SG_EUlST_E0_NS1_11comp_targetILNS1_3genE9ELNS1_11target_archE1100ELNS1_3gpuE3ELNS1_3repE0EEENS1_38merge_mergepath_config_static_selectorELNS0_4arch9wavefront6targetE1EEEvSF_
	.p2align	8
	.type	_ZN7rocprim17ROCPRIM_400000_NS6detail17trampoline_kernelINS0_14default_configENS1_38merge_sort_block_merge_config_selectorIhNS0_10empty_typeEEEZZNS1_27merge_sort_block_merge_implIS3_PhPS5_jNS1_19radix_merge_compareILb0ELb1EhNS0_19identity_decomposerEEEEE10hipError_tT0_T1_T2_jT3_P12ihipStream_tbPNSt15iterator_traitsISE_E10value_typeEPNSK_ISF_E10value_typeEPSG_NS1_7vsmem_tEENKUlT_SE_SF_SG_E_clIS8_S8_S9_S9_EESD_ST_SE_SF_SG_EUlST_E0_NS1_11comp_targetILNS1_3genE9ELNS1_11target_archE1100ELNS1_3gpuE3ELNS1_3repE0EEENS1_38merge_mergepath_config_static_selectorELNS0_4arch9wavefront6targetE1EEEvSF_,@function
_ZN7rocprim17ROCPRIM_400000_NS6detail17trampoline_kernelINS0_14default_configENS1_38merge_sort_block_merge_config_selectorIhNS0_10empty_typeEEEZZNS1_27merge_sort_block_merge_implIS3_PhPS5_jNS1_19radix_merge_compareILb0ELb1EhNS0_19identity_decomposerEEEEE10hipError_tT0_T1_T2_jT3_P12ihipStream_tbPNSt15iterator_traitsISE_E10value_typeEPNSK_ISF_E10value_typeEPSG_NS1_7vsmem_tEENKUlT_SE_SF_SG_E_clIS8_S8_S9_S9_EESD_ST_SE_SF_SG_EUlST_E0_NS1_11comp_targetILNS1_3genE9ELNS1_11target_archE1100ELNS1_3gpuE3ELNS1_3repE0EEENS1_38merge_mergepath_config_static_selectorELNS0_4arch9wavefront6targetE1EEEvSF_: ; @_ZN7rocprim17ROCPRIM_400000_NS6detail17trampoline_kernelINS0_14default_configENS1_38merge_sort_block_merge_config_selectorIhNS0_10empty_typeEEEZZNS1_27merge_sort_block_merge_implIS3_PhPS5_jNS1_19radix_merge_compareILb0ELb1EhNS0_19identity_decomposerEEEEE10hipError_tT0_T1_T2_jT3_P12ihipStream_tbPNSt15iterator_traitsISE_E10value_typeEPNSK_ISF_E10value_typeEPSG_NS1_7vsmem_tEENKUlT_SE_SF_SG_E_clIS8_S8_S9_S9_EESD_ST_SE_SF_SG_EUlST_E0_NS1_11comp_targetILNS1_3genE9ELNS1_11target_archE1100ELNS1_3gpuE3ELNS1_3repE0EEENS1_38merge_mergepath_config_static_selectorELNS0_4arch9wavefront6targetE1EEEvSF_
; %bb.0:
	.section	.rodata,"a",@progbits
	.p2align	6, 0x0
	.amdhsa_kernel _ZN7rocprim17ROCPRIM_400000_NS6detail17trampoline_kernelINS0_14default_configENS1_38merge_sort_block_merge_config_selectorIhNS0_10empty_typeEEEZZNS1_27merge_sort_block_merge_implIS3_PhPS5_jNS1_19radix_merge_compareILb0ELb1EhNS0_19identity_decomposerEEEEE10hipError_tT0_T1_T2_jT3_P12ihipStream_tbPNSt15iterator_traitsISE_E10value_typeEPNSK_ISF_E10value_typeEPSG_NS1_7vsmem_tEENKUlT_SE_SF_SG_E_clIS8_S8_S9_S9_EESD_ST_SE_SF_SG_EUlST_E0_NS1_11comp_targetILNS1_3genE9ELNS1_11target_archE1100ELNS1_3gpuE3ELNS1_3repE0EEENS1_38merge_mergepath_config_static_selectorELNS0_4arch9wavefront6targetE1EEEvSF_
		.amdhsa_group_segment_fixed_size 0
		.amdhsa_private_segment_fixed_size 0
		.amdhsa_kernarg_size 64
		.amdhsa_user_sgpr_count 6
		.amdhsa_user_sgpr_private_segment_buffer 1
		.amdhsa_user_sgpr_dispatch_ptr 0
		.amdhsa_user_sgpr_queue_ptr 0
		.amdhsa_user_sgpr_kernarg_segment_ptr 1
		.amdhsa_user_sgpr_dispatch_id 0
		.amdhsa_user_sgpr_flat_scratch_init 0
		.amdhsa_user_sgpr_kernarg_preload_length 0
		.amdhsa_user_sgpr_kernarg_preload_offset 0
		.amdhsa_user_sgpr_private_segment_size 0
		.amdhsa_uses_dynamic_stack 0
		.amdhsa_system_sgpr_private_segment_wavefront_offset 0
		.amdhsa_system_sgpr_workgroup_id_x 1
		.amdhsa_system_sgpr_workgroup_id_y 0
		.amdhsa_system_sgpr_workgroup_id_z 0
		.amdhsa_system_sgpr_workgroup_info 0
		.amdhsa_system_vgpr_workitem_id 0
		.amdhsa_next_free_vgpr 1
		.amdhsa_next_free_sgpr 0
		.amdhsa_accum_offset 4
		.amdhsa_reserve_vcc 0
		.amdhsa_reserve_flat_scratch 0
		.amdhsa_float_round_mode_32 0
		.amdhsa_float_round_mode_16_64 0
		.amdhsa_float_denorm_mode_32 3
		.amdhsa_float_denorm_mode_16_64 3
		.amdhsa_dx10_clamp 1
		.amdhsa_ieee_mode 1
		.amdhsa_fp16_overflow 0
		.amdhsa_tg_split 0
		.amdhsa_exception_fp_ieee_invalid_op 0
		.amdhsa_exception_fp_denorm_src 0
		.amdhsa_exception_fp_ieee_div_zero 0
		.amdhsa_exception_fp_ieee_overflow 0
		.amdhsa_exception_fp_ieee_underflow 0
		.amdhsa_exception_fp_ieee_inexact 0
		.amdhsa_exception_int_div_zero 0
	.end_amdhsa_kernel
	.section	.text._ZN7rocprim17ROCPRIM_400000_NS6detail17trampoline_kernelINS0_14default_configENS1_38merge_sort_block_merge_config_selectorIhNS0_10empty_typeEEEZZNS1_27merge_sort_block_merge_implIS3_PhPS5_jNS1_19radix_merge_compareILb0ELb1EhNS0_19identity_decomposerEEEEE10hipError_tT0_T1_T2_jT3_P12ihipStream_tbPNSt15iterator_traitsISE_E10value_typeEPNSK_ISF_E10value_typeEPSG_NS1_7vsmem_tEENKUlT_SE_SF_SG_E_clIS8_S8_S9_S9_EESD_ST_SE_SF_SG_EUlST_E0_NS1_11comp_targetILNS1_3genE9ELNS1_11target_archE1100ELNS1_3gpuE3ELNS1_3repE0EEENS1_38merge_mergepath_config_static_selectorELNS0_4arch9wavefront6targetE1EEEvSF_,"axG",@progbits,_ZN7rocprim17ROCPRIM_400000_NS6detail17trampoline_kernelINS0_14default_configENS1_38merge_sort_block_merge_config_selectorIhNS0_10empty_typeEEEZZNS1_27merge_sort_block_merge_implIS3_PhPS5_jNS1_19radix_merge_compareILb0ELb1EhNS0_19identity_decomposerEEEEE10hipError_tT0_T1_T2_jT3_P12ihipStream_tbPNSt15iterator_traitsISE_E10value_typeEPNSK_ISF_E10value_typeEPSG_NS1_7vsmem_tEENKUlT_SE_SF_SG_E_clIS8_S8_S9_S9_EESD_ST_SE_SF_SG_EUlST_E0_NS1_11comp_targetILNS1_3genE9ELNS1_11target_archE1100ELNS1_3gpuE3ELNS1_3repE0EEENS1_38merge_mergepath_config_static_selectorELNS0_4arch9wavefront6targetE1EEEvSF_,comdat
.Lfunc_end292:
	.size	_ZN7rocprim17ROCPRIM_400000_NS6detail17trampoline_kernelINS0_14default_configENS1_38merge_sort_block_merge_config_selectorIhNS0_10empty_typeEEEZZNS1_27merge_sort_block_merge_implIS3_PhPS5_jNS1_19radix_merge_compareILb0ELb1EhNS0_19identity_decomposerEEEEE10hipError_tT0_T1_T2_jT3_P12ihipStream_tbPNSt15iterator_traitsISE_E10value_typeEPNSK_ISF_E10value_typeEPSG_NS1_7vsmem_tEENKUlT_SE_SF_SG_E_clIS8_S8_S9_S9_EESD_ST_SE_SF_SG_EUlST_E0_NS1_11comp_targetILNS1_3genE9ELNS1_11target_archE1100ELNS1_3gpuE3ELNS1_3repE0EEENS1_38merge_mergepath_config_static_selectorELNS0_4arch9wavefront6targetE1EEEvSF_, .Lfunc_end292-_ZN7rocprim17ROCPRIM_400000_NS6detail17trampoline_kernelINS0_14default_configENS1_38merge_sort_block_merge_config_selectorIhNS0_10empty_typeEEEZZNS1_27merge_sort_block_merge_implIS3_PhPS5_jNS1_19radix_merge_compareILb0ELb1EhNS0_19identity_decomposerEEEEE10hipError_tT0_T1_T2_jT3_P12ihipStream_tbPNSt15iterator_traitsISE_E10value_typeEPNSK_ISF_E10value_typeEPSG_NS1_7vsmem_tEENKUlT_SE_SF_SG_E_clIS8_S8_S9_S9_EESD_ST_SE_SF_SG_EUlST_E0_NS1_11comp_targetILNS1_3genE9ELNS1_11target_archE1100ELNS1_3gpuE3ELNS1_3repE0EEENS1_38merge_mergepath_config_static_selectorELNS0_4arch9wavefront6targetE1EEEvSF_
                                        ; -- End function
	.section	.AMDGPU.csdata,"",@progbits
; Kernel info:
; codeLenInByte = 0
; NumSgprs: 4
; NumVgprs: 0
; NumAgprs: 0
; TotalNumVgprs: 0
; ScratchSize: 0
; MemoryBound: 0
; FloatMode: 240
; IeeeMode: 1
; LDSByteSize: 0 bytes/workgroup (compile time only)
; SGPRBlocks: 0
; VGPRBlocks: 0
; NumSGPRsForWavesPerEU: 4
; NumVGPRsForWavesPerEU: 1
; AccumOffset: 4
; Occupancy: 8
; WaveLimiterHint : 0
; COMPUTE_PGM_RSRC2:SCRATCH_EN: 0
; COMPUTE_PGM_RSRC2:USER_SGPR: 6
; COMPUTE_PGM_RSRC2:TRAP_HANDLER: 0
; COMPUTE_PGM_RSRC2:TGID_X_EN: 1
; COMPUTE_PGM_RSRC2:TGID_Y_EN: 0
; COMPUTE_PGM_RSRC2:TGID_Z_EN: 0
; COMPUTE_PGM_RSRC2:TIDIG_COMP_CNT: 0
; COMPUTE_PGM_RSRC3_GFX90A:ACCUM_OFFSET: 0
; COMPUTE_PGM_RSRC3_GFX90A:TG_SPLIT: 0
	.section	.text._ZN7rocprim17ROCPRIM_400000_NS6detail17trampoline_kernelINS0_14default_configENS1_38merge_sort_block_merge_config_selectorIhNS0_10empty_typeEEEZZNS1_27merge_sort_block_merge_implIS3_PhPS5_jNS1_19radix_merge_compareILb0ELb1EhNS0_19identity_decomposerEEEEE10hipError_tT0_T1_T2_jT3_P12ihipStream_tbPNSt15iterator_traitsISE_E10value_typeEPNSK_ISF_E10value_typeEPSG_NS1_7vsmem_tEENKUlT_SE_SF_SG_E_clIS8_S8_S9_S9_EESD_ST_SE_SF_SG_EUlST_E0_NS1_11comp_targetILNS1_3genE8ELNS1_11target_archE1030ELNS1_3gpuE2ELNS1_3repE0EEENS1_38merge_mergepath_config_static_selectorELNS0_4arch9wavefront6targetE1EEEvSF_,"axG",@progbits,_ZN7rocprim17ROCPRIM_400000_NS6detail17trampoline_kernelINS0_14default_configENS1_38merge_sort_block_merge_config_selectorIhNS0_10empty_typeEEEZZNS1_27merge_sort_block_merge_implIS3_PhPS5_jNS1_19radix_merge_compareILb0ELb1EhNS0_19identity_decomposerEEEEE10hipError_tT0_T1_T2_jT3_P12ihipStream_tbPNSt15iterator_traitsISE_E10value_typeEPNSK_ISF_E10value_typeEPSG_NS1_7vsmem_tEENKUlT_SE_SF_SG_E_clIS8_S8_S9_S9_EESD_ST_SE_SF_SG_EUlST_E0_NS1_11comp_targetILNS1_3genE8ELNS1_11target_archE1030ELNS1_3gpuE2ELNS1_3repE0EEENS1_38merge_mergepath_config_static_selectorELNS0_4arch9wavefront6targetE1EEEvSF_,comdat
	.protected	_ZN7rocprim17ROCPRIM_400000_NS6detail17trampoline_kernelINS0_14default_configENS1_38merge_sort_block_merge_config_selectorIhNS0_10empty_typeEEEZZNS1_27merge_sort_block_merge_implIS3_PhPS5_jNS1_19radix_merge_compareILb0ELb1EhNS0_19identity_decomposerEEEEE10hipError_tT0_T1_T2_jT3_P12ihipStream_tbPNSt15iterator_traitsISE_E10value_typeEPNSK_ISF_E10value_typeEPSG_NS1_7vsmem_tEENKUlT_SE_SF_SG_E_clIS8_S8_S9_S9_EESD_ST_SE_SF_SG_EUlST_E0_NS1_11comp_targetILNS1_3genE8ELNS1_11target_archE1030ELNS1_3gpuE2ELNS1_3repE0EEENS1_38merge_mergepath_config_static_selectorELNS0_4arch9wavefront6targetE1EEEvSF_ ; -- Begin function _ZN7rocprim17ROCPRIM_400000_NS6detail17trampoline_kernelINS0_14default_configENS1_38merge_sort_block_merge_config_selectorIhNS0_10empty_typeEEEZZNS1_27merge_sort_block_merge_implIS3_PhPS5_jNS1_19radix_merge_compareILb0ELb1EhNS0_19identity_decomposerEEEEE10hipError_tT0_T1_T2_jT3_P12ihipStream_tbPNSt15iterator_traitsISE_E10value_typeEPNSK_ISF_E10value_typeEPSG_NS1_7vsmem_tEENKUlT_SE_SF_SG_E_clIS8_S8_S9_S9_EESD_ST_SE_SF_SG_EUlST_E0_NS1_11comp_targetILNS1_3genE8ELNS1_11target_archE1030ELNS1_3gpuE2ELNS1_3repE0EEENS1_38merge_mergepath_config_static_selectorELNS0_4arch9wavefront6targetE1EEEvSF_
	.globl	_ZN7rocprim17ROCPRIM_400000_NS6detail17trampoline_kernelINS0_14default_configENS1_38merge_sort_block_merge_config_selectorIhNS0_10empty_typeEEEZZNS1_27merge_sort_block_merge_implIS3_PhPS5_jNS1_19radix_merge_compareILb0ELb1EhNS0_19identity_decomposerEEEEE10hipError_tT0_T1_T2_jT3_P12ihipStream_tbPNSt15iterator_traitsISE_E10value_typeEPNSK_ISF_E10value_typeEPSG_NS1_7vsmem_tEENKUlT_SE_SF_SG_E_clIS8_S8_S9_S9_EESD_ST_SE_SF_SG_EUlST_E0_NS1_11comp_targetILNS1_3genE8ELNS1_11target_archE1030ELNS1_3gpuE2ELNS1_3repE0EEENS1_38merge_mergepath_config_static_selectorELNS0_4arch9wavefront6targetE1EEEvSF_
	.p2align	8
	.type	_ZN7rocprim17ROCPRIM_400000_NS6detail17trampoline_kernelINS0_14default_configENS1_38merge_sort_block_merge_config_selectorIhNS0_10empty_typeEEEZZNS1_27merge_sort_block_merge_implIS3_PhPS5_jNS1_19radix_merge_compareILb0ELb1EhNS0_19identity_decomposerEEEEE10hipError_tT0_T1_T2_jT3_P12ihipStream_tbPNSt15iterator_traitsISE_E10value_typeEPNSK_ISF_E10value_typeEPSG_NS1_7vsmem_tEENKUlT_SE_SF_SG_E_clIS8_S8_S9_S9_EESD_ST_SE_SF_SG_EUlST_E0_NS1_11comp_targetILNS1_3genE8ELNS1_11target_archE1030ELNS1_3gpuE2ELNS1_3repE0EEENS1_38merge_mergepath_config_static_selectorELNS0_4arch9wavefront6targetE1EEEvSF_,@function
_ZN7rocprim17ROCPRIM_400000_NS6detail17trampoline_kernelINS0_14default_configENS1_38merge_sort_block_merge_config_selectorIhNS0_10empty_typeEEEZZNS1_27merge_sort_block_merge_implIS3_PhPS5_jNS1_19radix_merge_compareILb0ELb1EhNS0_19identity_decomposerEEEEE10hipError_tT0_T1_T2_jT3_P12ihipStream_tbPNSt15iterator_traitsISE_E10value_typeEPNSK_ISF_E10value_typeEPSG_NS1_7vsmem_tEENKUlT_SE_SF_SG_E_clIS8_S8_S9_S9_EESD_ST_SE_SF_SG_EUlST_E0_NS1_11comp_targetILNS1_3genE8ELNS1_11target_archE1030ELNS1_3gpuE2ELNS1_3repE0EEENS1_38merge_mergepath_config_static_selectorELNS0_4arch9wavefront6targetE1EEEvSF_: ; @_ZN7rocprim17ROCPRIM_400000_NS6detail17trampoline_kernelINS0_14default_configENS1_38merge_sort_block_merge_config_selectorIhNS0_10empty_typeEEEZZNS1_27merge_sort_block_merge_implIS3_PhPS5_jNS1_19radix_merge_compareILb0ELb1EhNS0_19identity_decomposerEEEEE10hipError_tT0_T1_T2_jT3_P12ihipStream_tbPNSt15iterator_traitsISE_E10value_typeEPNSK_ISF_E10value_typeEPSG_NS1_7vsmem_tEENKUlT_SE_SF_SG_E_clIS8_S8_S9_S9_EESD_ST_SE_SF_SG_EUlST_E0_NS1_11comp_targetILNS1_3genE8ELNS1_11target_archE1030ELNS1_3gpuE2ELNS1_3repE0EEENS1_38merge_mergepath_config_static_selectorELNS0_4arch9wavefront6targetE1EEEvSF_
; %bb.0:
	.section	.rodata,"a",@progbits
	.p2align	6, 0x0
	.amdhsa_kernel _ZN7rocprim17ROCPRIM_400000_NS6detail17trampoline_kernelINS0_14default_configENS1_38merge_sort_block_merge_config_selectorIhNS0_10empty_typeEEEZZNS1_27merge_sort_block_merge_implIS3_PhPS5_jNS1_19radix_merge_compareILb0ELb1EhNS0_19identity_decomposerEEEEE10hipError_tT0_T1_T2_jT3_P12ihipStream_tbPNSt15iterator_traitsISE_E10value_typeEPNSK_ISF_E10value_typeEPSG_NS1_7vsmem_tEENKUlT_SE_SF_SG_E_clIS8_S8_S9_S9_EESD_ST_SE_SF_SG_EUlST_E0_NS1_11comp_targetILNS1_3genE8ELNS1_11target_archE1030ELNS1_3gpuE2ELNS1_3repE0EEENS1_38merge_mergepath_config_static_selectorELNS0_4arch9wavefront6targetE1EEEvSF_
		.amdhsa_group_segment_fixed_size 0
		.amdhsa_private_segment_fixed_size 0
		.amdhsa_kernarg_size 64
		.amdhsa_user_sgpr_count 6
		.amdhsa_user_sgpr_private_segment_buffer 1
		.amdhsa_user_sgpr_dispatch_ptr 0
		.amdhsa_user_sgpr_queue_ptr 0
		.amdhsa_user_sgpr_kernarg_segment_ptr 1
		.amdhsa_user_sgpr_dispatch_id 0
		.amdhsa_user_sgpr_flat_scratch_init 0
		.amdhsa_user_sgpr_kernarg_preload_length 0
		.amdhsa_user_sgpr_kernarg_preload_offset 0
		.amdhsa_user_sgpr_private_segment_size 0
		.amdhsa_uses_dynamic_stack 0
		.amdhsa_system_sgpr_private_segment_wavefront_offset 0
		.amdhsa_system_sgpr_workgroup_id_x 1
		.amdhsa_system_sgpr_workgroup_id_y 0
		.amdhsa_system_sgpr_workgroup_id_z 0
		.amdhsa_system_sgpr_workgroup_info 0
		.amdhsa_system_vgpr_workitem_id 0
		.amdhsa_next_free_vgpr 1
		.amdhsa_next_free_sgpr 0
		.amdhsa_accum_offset 4
		.amdhsa_reserve_vcc 0
		.amdhsa_reserve_flat_scratch 0
		.amdhsa_float_round_mode_32 0
		.amdhsa_float_round_mode_16_64 0
		.amdhsa_float_denorm_mode_32 3
		.amdhsa_float_denorm_mode_16_64 3
		.amdhsa_dx10_clamp 1
		.amdhsa_ieee_mode 1
		.amdhsa_fp16_overflow 0
		.amdhsa_tg_split 0
		.amdhsa_exception_fp_ieee_invalid_op 0
		.amdhsa_exception_fp_denorm_src 0
		.amdhsa_exception_fp_ieee_div_zero 0
		.amdhsa_exception_fp_ieee_overflow 0
		.amdhsa_exception_fp_ieee_underflow 0
		.amdhsa_exception_fp_ieee_inexact 0
		.amdhsa_exception_int_div_zero 0
	.end_amdhsa_kernel
	.section	.text._ZN7rocprim17ROCPRIM_400000_NS6detail17trampoline_kernelINS0_14default_configENS1_38merge_sort_block_merge_config_selectorIhNS0_10empty_typeEEEZZNS1_27merge_sort_block_merge_implIS3_PhPS5_jNS1_19radix_merge_compareILb0ELb1EhNS0_19identity_decomposerEEEEE10hipError_tT0_T1_T2_jT3_P12ihipStream_tbPNSt15iterator_traitsISE_E10value_typeEPNSK_ISF_E10value_typeEPSG_NS1_7vsmem_tEENKUlT_SE_SF_SG_E_clIS8_S8_S9_S9_EESD_ST_SE_SF_SG_EUlST_E0_NS1_11comp_targetILNS1_3genE8ELNS1_11target_archE1030ELNS1_3gpuE2ELNS1_3repE0EEENS1_38merge_mergepath_config_static_selectorELNS0_4arch9wavefront6targetE1EEEvSF_,"axG",@progbits,_ZN7rocprim17ROCPRIM_400000_NS6detail17trampoline_kernelINS0_14default_configENS1_38merge_sort_block_merge_config_selectorIhNS0_10empty_typeEEEZZNS1_27merge_sort_block_merge_implIS3_PhPS5_jNS1_19radix_merge_compareILb0ELb1EhNS0_19identity_decomposerEEEEE10hipError_tT0_T1_T2_jT3_P12ihipStream_tbPNSt15iterator_traitsISE_E10value_typeEPNSK_ISF_E10value_typeEPSG_NS1_7vsmem_tEENKUlT_SE_SF_SG_E_clIS8_S8_S9_S9_EESD_ST_SE_SF_SG_EUlST_E0_NS1_11comp_targetILNS1_3genE8ELNS1_11target_archE1030ELNS1_3gpuE2ELNS1_3repE0EEENS1_38merge_mergepath_config_static_selectorELNS0_4arch9wavefront6targetE1EEEvSF_,comdat
.Lfunc_end293:
	.size	_ZN7rocprim17ROCPRIM_400000_NS6detail17trampoline_kernelINS0_14default_configENS1_38merge_sort_block_merge_config_selectorIhNS0_10empty_typeEEEZZNS1_27merge_sort_block_merge_implIS3_PhPS5_jNS1_19radix_merge_compareILb0ELb1EhNS0_19identity_decomposerEEEEE10hipError_tT0_T1_T2_jT3_P12ihipStream_tbPNSt15iterator_traitsISE_E10value_typeEPNSK_ISF_E10value_typeEPSG_NS1_7vsmem_tEENKUlT_SE_SF_SG_E_clIS8_S8_S9_S9_EESD_ST_SE_SF_SG_EUlST_E0_NS1_11comp_targetILNS1_3genE8ELNS1_11target_archE1030ELNS1_3gpuE2ELNS1_3repE0EEENS1_38merge_mergepath_config_static_selectorELNS0_4arch9wavefront6targetE1EEEvSF_, .Lfunc_end293-_ZN7rocprim17ROCPRIM_400000_NS6detail17trampoline_kernelINS0_14default_configENS1_38merge_sort_block_merge_config_selectorIhNS0_10empty_typeEEEZZNS1_27merge_sort_block_merge_implIS3_PhPS5_jNS1_19radix_merge_compareILb0ELb1EhNS0_19identity_decomposerEEEEE10hipError_tT0_T1_T2_jT3_P12ihipStream_tbPNSt15iterator_traitsISE_E10value_typeEPNSK_ISF_E10value_typeEPSG_NS1_7vsmem_tEENKUlT_SE_SF_SG_E_clIS8_S8_S9_S9_EESD_ST_SE_SF_SG_EUlST_E0_NS1_11comp_targetILNS1_3genE8ELNS1_11target_archE1030ELNS1_3gpuE2ELNS1_3repE0EEENS1_38merge_mergepath_config_static_selectorELNS0_4arch9wavefront6targetE1EEEvSF_
                                        ; -- End function
	.section	.AMDGPU.csdata,"",@progbits
; Kernel info:
; codeLenInByte = 0
; NumSgprs: 4
; NumVgprs: 0
; NumAgprs: 0
; TotalNumVgprs: 0
; ScratchSize: 0
; MemoryBound: 0
; FloatMode: 240
; IeeeMode: 1
; LDSByteSize: 0 bytes/workgroup (compile time only)
; SGPRBlocks: 0
; VGPRBlocks: 0
; NumSGPRsForWavesPerEU: 4
; NumVGPRsForWavesPerEU: 1
; AccumOffset: 4
; Occupancy: 8
; WaveLimiterHint : 0
; COMPUTE_PGM_RSRC2:SCRATCH_EN: 0
; COMPUTE_PGM_RSRC2:USER_SGPR: 6
; COMPUTE_PGM_RSRC2:TRAP_HANDLER: 0
; COMPUTE_PGM_RSRC2:TGID_X_EN: 1
; COMPUTE_PGM_RSRC2:TGID_Y_EN: 0
; COMPUTE_PGM_RSRC2:TGID_Z_EN: 0
; COMPUTE_PGM_RSRC2:TIDIG_COMP_CNT: 0
; COMPUTE_PGM_RSRC3_GFX90A:ACCUM_OFFSET: 0
; COMPUTE_PGM_RSRC3_GFX90A:TG_SPLIT: 0
	.section	.text._ZN7rocprim17ROCPRIM_400000_NS6detail17trampoline_kernelINS0_14default_configENS1_38merge_sort_block_merge_config_selectorIhNS0_10empty_typeEEEZZNS1_27merge_sort_block_merge_implIS3_PhPS5_jNS1_19radix_merge_compareILb0ELb1EhNS0_19identity_decomposerEEEEE10hipError_tT0_T1_T2_jT3_P12ihipStream_tbPNSt15iterator_traitsISE_E10value_typeEPNSK_ISF_E10value_typeEPSG_NS1_7vsmem_tEENKUlT_SE_SF_SG_E_clIS8_S8_S9_S9_EESD_ST_SE_SF_SG_EUlST_E1_NS1_11comp_targetILNS1_3genE0ELNS1_11target_archE4294967295ELNS1_3gpuE0ELNS1_3repE0EEENS1_36merge_oddeven_config_static_selectorELNS0_4arch9wavefront6targetE1EEEvSF_,"axG",@progbits,_ZN7rocprim17ROCPRIM_400000_NS6detail17trampoline_kernelINS0_14default_configENS1_38merge_sort_block_merge_config_selectorIhNS0_10empty_typeEEEZZNS1_27merge_sort_block_merge_implIS3_PhPS5_jNS1_19radix_merge_compareILb0ELb1EhNS0_19identity_decomposerEEEEE10hipError_tT0_T1_T2_jT3_P12ihipStream_tbPNSt15iterator_traitsISE_E10value_typeEPNSK_ISF_E10value_typeEPSG_NS1_7vsmem_tEENKUlT_SE_SF_SG_E_clIS8_S8_S9_S9_EESD_ST_SE_SF_SG_EUlST_E1_NS1_11comp_targetILNS1_3genE0ELNS1_11target_archE4294967295ELNS1_3gpuE0ELNS1_3repE0EEENS1_36merge_oddeven_config_static_selectorELNS0_4arch9wavefront6targetE1EEEvSF_,comdat
	.protected	_ZN7rocprim17ROCPRIM_400000_NS6detail17trampoline_kernelINS0_14default_configENS1_38merge_sort_block_merge_config_selectorIhNS0_10empty_typeEEEZZNS1_27merge_sort_block_merge_implIS3_PhPS5_jNS1_19radix_merge_compareILb0ELb1EhNS0_19identity_decomposerEEEEE10hipError_tT0_T1_T2_jT3_P12ihipStream_tbPNSt15iterator_traitsISE_E10value_typeEPNSK_ISF_E10value_typeEPSG_NS1_7vsmem_tEENKUlT_SE_SF_SG_E_clIS8_S8_S9_S9_EESD_ST_SE_SF_SG_EUlST_E1_NS1_11comp_targetILNS1_3genE0ELNS1_11target_archE4294967295ELNS1_3gpuE0ELNS1_3repE0EEENS1_36merge_oddeven_config_static_selectorELNS0_4arch9wavefront6targetE1EEEvSF_ ; -- Begin function _ZN7rocprim17ROCPRIM_400000_NS6detail17trampoline_kernelINS0_14default_configENS1_38merge_sort_block_merge_config_selectorIhNS0_10empty_typeEEEZZNS1_27merge_sort_block_merge_implIS3_PhPS5_jNS1_19radix_merge_compareILb0ELb1EhNS0_19identity_decomposerEEEEE10hipError_tT0_T1_T2_jT3_P12ihipStream_tbPNSt15iterator_traitsISE_E10value_typeEPNSK_ISF_E10value_typeEPSG_NS1_7vsmem_tEENKUlT_SE_SF_SG_E_clIS8_S8_S9_S9_EESD_ST_SE_SF_SG_EUlST_E1_NS1_11comp_targetILNS1_3genE0ELNS1_11target_archE4294967295ELNS1_3gpuE0ELNS1_3repE0EEENS1_36merge_oddeven_config_static_selectorELNS0_4arch9wavefront6targetE1EEEvSF_
	.globl	_ZN7rocprim17ROCPRIM_400000_NS6detail17trampoline_kernelINS0_14default_configENS1_38merge_sort_block_merge_config_selectorIhNS0_10empty_typeEEEZZNS1_27merge_sort_block_merge_implIS3_PhPS5_jNS1_19radix_merge_compareILb0ELb1EhNS0_19identity_decomposerEEEEE10hipError_tT0_T1_T2_jT3_P12ihipStream_tbPNSt15iterator_traitsISE_E10value_typeEPNSK_ISF_E10value_typeEPSG_NS1_7vsmem_tEENKUlT_SE_SF_SG_E_clIS8_S8_S9_S9_EESD_ST_SE_SF_SG_EUlST_E1_NS1_11comp_targetILNS1_3genE0ELNS1_11target_archE4294967295ELNS1_3gpuE0ELNS1_3repE0EEENS1_36merge_oddeven_config_static_selectorELNS0_4arch9wavefront6targetE1EEEvSF_
	.p2align	8
	.type	_ZN7rocprim17ROCPRIM_400000_NS6detail17trampoline_kernelINS0_14default_configENS1_38merge_sort_block_merge_config_selectorIhNS0_10empty_typeEEEZZNS1_27merge_sort_block_merge_implIS3_PhPS5_jNS1_19radix_merge_compareILb0ELb1EhNS0_19identity_decomposerEEEEE10hipError_tT0_T1_T2_jT3_P12ihipStream_tbPNSt15iterator_traitsISE_E10value_typeEPNSK_ISF_E10value_typeEPSG_NS1_7vsmem_tEENKUlT_SE_SF_SG_E_clIS8_S8_S9_S9_EESD_ST_SE_SF_SG_EUlST_E1_NS1_11comp_targetILNS1_3genE0ELNS1_11target_archE4294967295ELNS1_3gpuE0ELNS1_3repE0EEENS1_36merge_oddeven_config_static_selectorELNS0_4arch9wavefront6targetE1EEEvSF_,@function
_ZN7rocprim17ROCPRIM_400000_NS6detail17trampoline_kernelINS0_14default_configENS1_38merge_sort_block_merge_config_selectorIhNS0_10empty_typeEEEZZNS1_27merge_sort_block_merge_implIS3_PhPS5_jNS1_19radix_merge_compareILb0ELb1EhNS0_19identity_decomposerEEEEE10hipError_tT0_T1_T2_jT3_P12ihipStream_tbPNSt15iterator_traitsISE_E10value_typeEPNSK_ISF_E10value_typeEPSG_NS1_7vsmem_tEENKUlT_SE_SF_SG_E_clIS8_S8_S9_S9_EESD_ST_SE_SF_SG_EUlST_E1_NS1_11comp_targetILNS1_3genE0ELNS1_11target_archE4294967295ELNS1_3gpuE0ELNS1_3repE0EEENS1_36merge_oddeven_config_static_selectorELNS0_4arch9wavefront6targetE1EEEvSF_: ; @_ZN7rocprim17ROCPRIM_400000_NS6detail17trampoline_kernelINS0_14default_configENS1_38merge_sort_block_merge_config_selectorIhNS0_10empty_typeEEEZZNS1_27merge_sort_block_merge_implIS3_PhPS5_jNS1_19radix_merge_compareILb0ELb1EhNS0_19identity_decomposerEEEEE10hipError_tT0_T1_T2_jT3_P12ihipStream_tbPNSt15iterator_traitsISE_E10value_typeEPNSK_ISF_E10value_typeEPSG_NS1_7vsmem_tEENKUlT_SE_SF_SG_E_clIS8_S8_S9_S9_EESD_ST_SE_SF_SG_EUlST_E1_NS1_11comp_targetILNS1_3genE0ELNS1_11target_archE4294967295ELNS1_3gpuE0ELNS1_3repE0EEENS1_36merge_oddeven_config_static_selectorELNS0_4arch9wavefront6targetE1EEEvSF_
; %bb.0:
	.section	.rodata,"a",@progbits
	.p2align	6, 0x0
	.amdhsa_kernel _ZN7rocprim17ROCPRIM_400000_NS6detail17trampoline_kernelINS0_14default_configENS1_38merge_sort_block_merge_config_selectorIhNS0_10empty_typeEEEZZNS1_27merge_sort_block_merge_implIS3_PhPS5_jNS1_19radix_merge_compareILb0ELb1EhNS0_19identity_decomposerEEEEE10hipError_tT0_T1_T2_jT3_P12ihipStream_tbPNSt15iterator_traitsISE_E10value_typeEPNSK_ISF_E10value_typeEPSG_NS1_7vsmem_tEENKUlT_SE_SF_SG_E_clIS8_S8_S9_S9_EESD_ST_SE_SF_SG_EUlST_E1_NS1_11comp_targetILNS1_3genE0ELNS1_11target_archE4294967295ELNS1_3gpuE0ELNS1_3repE0EEENS1_36merge_oddeven_config_static_selectorELNS0_4arch9wavefront6targetE1EEEvSF_
		.amdhsa_group_segment_fixed_size 0
		.amdhsa_private_segment_fixed_size 0
		.amdhsa_kernarg_size 48
		.amdhsa_user_sgpr_count 6
		.amdhsa_user_sgpr_private_segment_buffer 1
		.amdhsa_user_sgpr_dispatch_ptr 0
		.amdhsa_user_sgpr_queue_ptr 0
		.amdhsa_user_sgpr_kernarg_segment_ptr 1
		.amdhsa_user_sgpr_dispatch_id 0
		.amdhsa_user_sgpr_flat_scratch_init 0
		.amdhsa_user_sgpr_kernarg_preload_length 0
		.amdhsa_user_sgpr_kernarg_preload_offset 0
		.amdhsa_user_sgpr_private_segment_size 0
		.amdhsa_uses_dynamic_stack 0
		.amdhsa_system_sgpr_private_segment_wavefront_offset 0
		.amdhsa_system_sgpr_workgroup_id_x 1
		.amdhsa_system_sgpr_workgroup_id_y 0
		.amdhsa_system_sgpr_workgroup_id_z 0
		.amdhsa_system_sgpr_workgroup_info 0
		.amdhsa_system_vgpr_workitem_id 0
		.amdhsa_next_free_vgpr 1
		.amdhsa_next_free_sgpr 0
		.amdhsa_accum_offset 4
		.amdhsa_reserve_vcc 0
		.amdhsa_reserve_flat_scratch 0
		.amdhsa_float_round_mode_32 0
		.amdhsa_float_round_mode_16_64 0
		.amdhsa_float_denorm_mode_32 3
		.amdhsa_float_denorm_mode_16_64 3
		.amdhsa_dx10_clamp 1
		.amdhsa_ieee_mode 1
		.amdhsa_fp16_overflow 0
		.amdhsa_tg_split 0
		.amdhsa_exception_fp_ieee_invalid_op 0
		.amdhsa_exception_fp_denorm_src 0
		.amdhsa_exception_fp_ieee_div_zero 0
		.amdhsa_exception_fp_ieee_overflow 0
		.amdhsa_exception_fp_ieee_underflow 0
		.amdhsa_exception_fp_ieee_inexact 0
		.amdhsa_exception_int_div_zero 0
	.end_amdhsa_kernel
	.section	.text._ZN7rocprim17ROCPRIM_400000_NS6detail17trampoline_kernelINS0_14default_configENS1_38merge_sort_block_merge_config_selectorIhNS0_10empty_typeEEEZZNS1_27merge_sort_block_merge_implIS3_PhPS5_jNS1_19radix_merge_compareILb0ELb1EhNS0_19identity_decomposerEEEEE10hipError_tT0_T1_T2_jT3_P12ihipStream_tbPNSt15iterator_traitsISE_E10value_typeEPNSK_ISF_E10value_typeEPSG_NS1_7vsmem_tEENKUlT_SE_SF_SG_E_clIS8_S8_S9_S9_EESD_ST_SE_SF_SG_EUlST_E1_NS1_11comp_targetILNS1_3genE0ELNS1_11target_archE4294967295ELNS1_3gpuE0ELNS1_3repE0EEENS1_36merge_oddeven_config_static_selectorELNS0_4arch9wavefront6targetE1EEEvSF_,"axG",@progbits,_ZN7rocprim17ROCPRIM_400000_NS6detail17trampoline_kernelINS0_14default_configENS1_38merge_sort_block_merge_config_selectorIhNS0_10empty_typeEEEZZNS1_27merge_sort_block_merge_implIS3_PhPS5_jNS1_19radix_merge_compareILb0ELb1EhNS0_19identity_decomposerEEEEE10hipError_tT0_T1_T2_jT3_P12ihipStream_tbPNSt15iterator_traitsISE_E10value_typeEPNSK_ISF_E10value_typeEPSG_NS1_7vsmem_tEENKUlT_SE_SF_SG_E_clIS8_S8_S9_S9_EESD_ST_SE_SF_SG_EUlST_E1_NS1_11comp_targetILNS1_3genE0ELNS1_11target_archE4294967295ELNS1_3gpuE0ELNS1_3repE0EEENS1_36merge_oddeven_config_static_selectorELNS0_4arch9wavefront6targetE1EEEvSF_,comdat
.Lfunc_end294:
	.size	_ZN7rocprim17ROCPRIM_400000_NS6detail17trampoline_kernelINS0_14default_configENS1_38merge_sort_block_merge_config_selectorIhNS0_10empty_typeEEEZZNS1_27merge_sort_block_merge_implIS3_PhPS5_jNS1_19radix_merge_compareILb0ELb1EhNS0_19identity_decomposerEEEEE10hipError_tT0_T1_T2_jT3_P12ihipStream_tbPNSt15iterator_traitsISE_E10value_typeEPNSK_ISF_E10value_typeEPSG_NS1_7vsmem_tEENKUlT_SE_SF_SG_E_clIS8_S8_S9_S9_EESD_ST_SE_SF_SG_EUlST_E1_NS1_11comp_targetILNS1_3genE0ELNS1_11target_archE4294967295ELNS1_3gpuE0ELNS1_3repE0EEENS1_36merge_oddeven_config_static_selectorELNS0_4arch9wavefront6targetE1EEEvSF_, .Lfunc_end294-_ZN7rocprim17ROCPRIM_400000_NS6detail17trampoline_kernelINS0_14default_configENS1_38merge_sort_block_merge_config_selectorIhNS0_10empty_typeEEEZZNS1_27merge_sort_block_merge_implIS3_PhPS5_jNS1_19radix_merge_compareILb0ELb1EhNS0_19identity_decomposerEEEEE10hipError_tT0_T1_T2_jT3_P12ihipStream_tbPNSt15iterator_traitsISE_E10value_typeEPNSK_ISF_E10value_typeEPSG_NS1_7vsmem_tEENKUlT_SE_SF_SG_E_clIS8_S8_S9_S9_EESD_ST_SE_SF_SG_EUlST_E1_NS1_11comp_targetILNS1_3genE0ELNS1_11target_archE4294967295ELNS1_3gpuE0ELNS1_3repE0EEENS1_36merge_oddeven_config_static_selectorELNS0_4arch9wavefront6targetE1EEEvSF_
                                        ; -- End function
	.section	.AMDGPU.csdata,"",@progbits
; Kernel info:
; codeLenInByte = 0
; NumSgprs: 4
; NumVgprs: 0
; NumAgprs: 0
; TotalNumVgprs: 0
; ScratchSize: 0
; MemoryBound: 0
; FloatMode: 240
; IeeeMode: 1
; LDSByteSize: 0 bytes/workgroup (compile time only)
; SGPRBlocks: 0
; VGPRBlocks: 0
; NumSGPRsForWavesPerEU: 4
; NumVGPRsForWavesPerEU: 1
; AccumOffset: 4
; Occupancy: 8
; WaveLimiterHint : 0
; COMPUTE_PGM_RSRC2:SCRATCH_EN: 0
; COMPUTE_PGM_RSRC2:USER_SGPR: 6
; COMPUTE_PGM_RSRC2:TRAP_HANDLER: 0
; COMPUTE_PGM_RSRC2:TGID_X_EN: 1
; COMPUTE_PGM_RSRC2:TGID_Y_EN: 0
; COMPUTE_PGM_RSRC2:TGID_Z_EN: 0
; COMPUTE_PGM_RSRC2:TIDIG_COMP_CNT: 0
; COMPUTE_PGM_RSRC3_GFX90A:ACCUM_OFFSET: 0
; COMPUTE_PGM_RSRC3_GFX90A:TG_SPLIT: 0
	.section	.text._ZN7rocprim17ROCPRIM_400000_NS6detail17trampoline_kernelINS0_14default_configENS1_38merge_sort_block_merge_config_selectorIhNS0_10empty_typeEEEZZNS1_27merge_sort_block_merge_implIS3_PhPS5_jNS1_19radix_merge_compareILb0ELb1EhNS0_19identity_decomposerEEEEE10hipError_tT0_T1_T2_jT3_P12ihipStream_tbPNSt15iterator_traitsISE_E10value_typeEPNSK_ISF_E10value_typeEPSG_NS1_7vsmem_tEENKUlT_SE_SF_SG_E_clIS8_S8_S9_S9_EESD_ST_SE_SF_SG_EUlST_E1_NS1_11comp_targetILNS1_3genE10ELNS1_11target_archE1201ELNS1_3gpuE5ELNS1_3repE0EEENS1_36merge_oddeven_config_static_selectorELNS0_4arch9wavefront6targetE1EEEvSF_,"axG",@progbits,_ZN7rocprim17ROCPRIM_400000_NS6detail17trampoline_kernelINS0_14default_configENS1_38merge_sort_block_merge_config_selectorIhNS0_10empty_typeEEEZZNS1_27merge_sort_block_merge_implIS3_PhPS5_jNS1_19radix_merge_compareILb0ELb1EhNS0_19identity_decomposerEEEEE10hipError_tT0_T1_T2_jT3_P12ihipStream_tbPNSt15iterator_traitsISE_E10value_typeEPNSK_ISF_E10value_typeEPSG_NS1_7vsmem_tEENKUlT_SE_SF_SG_E_clIS8_S8_S9_S9_EESD_ST_SE_SF_SG_EUlST_E1_NS1_11comp_targetILNS1_3genE10ELNS1_11target_archE1201ELNS1_3gpuE5ELNS1_3repE0EEENS1_36merge_oddeven_config_static_selectorELNS0_4arch9wavefront6targetE1EEEvSF_,comdat
	.protected	_ZN7rocprim17ROCPRIM_400000_NS6detail17trampoline_kernelINS0_14default_configENS1_38merge_sort_block_merge_config_selectorIhNS0_10empty_typeEEEZZNS1_27merge_sort_block_merge_implIS3_PhPS5_jNS1_19radix_merge_compareILb0ELb1EhNS0_19identity_decomposerEEEEE10hipError_tT0_T1_T2_jT3_P12ihipStream_tbPNSt15iterator_traitsISE_E10value_typeEPNSK_ISF_E10value_typeEPSG_NS1_7vsmem_tEENKUlT_SE_SF_SG_E_clIS8_S8_S9_S9_EESD_ST_SE_SF_SG_EUlST_E1_NS1_11comp_targetILNS1_3genE10ELNS1_11target_archE1201ELNS1_3gpuE5ELNS1_3repE0EEENS1_36merge_oddeven_config_static_selectorELNS0_4arch9wavefront6targetE1EEEvSF_ ; -- Begin function _ZN7rocprim17ROCPRIM_400000_NS6detail17trampoline_kernelINS0_14default_configENS1_38merge_sort_block_merge_config_selectorIhNS0_10empty_typeEEEZZNS1_27merge_sort_block_merge_implIS3_PhPS5_jNS1_19radix_merge_compareILb0ELb1EhNS0_19identity_decomposerEEEEE10hipError_tT0_T1_T2_jT3_P12ihipStream_tbPNSt15iterator_traitsISE_E10value_typeEPNSK_ISF_E10value_typeEPSG_NS1_7vsmem_tEENKUlT_SE_SF_SG_E_clIS8_S8_S9_S9_EESD_ST_SE_SF_SG_EUlST_E1_NS1_11comp_targetILNS1_3genE10ELNS1_11target_archE1201ELNS1_3gpuE5ELNS1_3repE0EEENS1_36merge_oddeven_config_static_selectorELNS0_4arch9wavefront6targetE1EEEvSF_
	.globl	_ZN7rocprim17ROCPRIM_400000_NS6detail17trampoline_kernelINS0_14default_configENS1_38merge_sort_block_merge_config_selectorIhNS0_10empty_typeEEEZZNS1_27merge_sort_block_merge_implIS3_PhPS5_jNS1_19radix_merge_compareILb0ELb1EhNS0_19identity_decomposerEEEEE10hipError_tT0_T1_T2_jT3_P12ihipStream_tbPNSt15iterator_traitsISE_E10value_typeEPNSK_ISF_E10value_typeEPSG_NS1_7vsmem_tEENKUlT_SE_SF_SG_E_clIS8_S8_S9_S9_EESD_ST_SE_SF_SG_EUlST_E1_NS1_11comp_targetILNS1_3genE10ELNS1_11target_archE1201ELNS1_3gpuE5ELNS1_3repE0EEENS1_36merge_oddeven_config_static_selectorELNS0_4arch9wavefront6targetE1EEEvSF_
	.p2align	8
	.type	_ZN7rocprim17ROCPRIM_400000_NS6detail17trampoline_kernelINS0_14default_configENS1_38merge_sort_block_merge_config_selectorIhNS0_10empty_typeEEEZZNS1_27merge_sort_block_merge_implIS3_PhPS5_jNS1_19radix_merge_compareILb0ELb1EhNS0_19identity_decomposerEEEEE10hipError_tT0_T1_T2_jT3_P12ihipStream_tbPNSt15iterator_traitsISE_E10value_typeEPNSK_ISF_E10value_typeEPSG_NS1_7vsmem_tEENKUlT_SE_SF_SG_E_clIS8_S8_S9_S9_EESD_ST_SE_SF_SG_EUlST_E1_NS1_11comp_targetILNS1_3genE10ELNS1_11target_archE1201ELNS1_3gpuE5ELNS1_3repE0EEENS1_36merge_oddeven_config_static_selectorELNS0_4arch9wavefront6targetE1EEEvSF_,@function
_ZN7rocprim17ROCPRIM_400000_NS6detail17trampoline_kernelINS0_14default_configENS1_38merge_sort_block_merge_config_selectorIhNS0_10empty_typeEEEZZNS1_27merge_sort_block_merge_implIS3_PhPS5_jNS1_19radix_merge_compareILb0ELb1EhNS0_19identity_decomposerEEEEE10hipError_tT0_T1_T2_jT3_P12ihipStream_tbPNSt15iterator_traitsISE_E10value_typeEPNSK_ISF_E10value_typeEPSG_NS1_7vsmem_tEENKUlT_SE_SF_SG_E_clIS8_S8_S9_S9_EESD_ST_SE_SF_SG_EUlST_E1_NS1_11comp_targetILNS1_3genE10ELNS1_11target_archE1201ELNS1_3gpuE5ELNS1_3repE0EEENS1_36merge_oddeven_config_static_selectorELNS0_4arch9wavefront6targetE1EEEvSF_: ; @_ZN7rocprim17ROCPRIM_400000_NS6detail17trampoline_kernelINS0_14default_configENS1_38merge_sort_block_merge_config_selectorIhNS0_10empty_typeEEEZZNS1_27merge_sort_block_merge_implIS3_PhPS5_jNS1_19radix_merge_compareILb0ELb1EhNS0_19identity_decomposerEEEEE10hipError_tT0_T1_T2_jT3_P12ihipStream_tbPNSt15iterator_traitsISE_E10value_typeEPNSK_ISF_E10value_typeEPSG_NS1_7vsmem_tEENKUlT_SE_SF_SG_E_clIS8_S8_S9_S9_EESD_ST_SE_SF_SG_EUlST_E1_NS1_11comp_targetILNS1_3genE10ELNS1_11target_archE1201ELNS1_3gpuE5ELNS1_3repE0EEENS1_36merge_oddeven_config_static_selectorELNS0_4arch9wavefront6targetE1EEEvSF_
; %bb.0:
	.section	.rodata,"a",@progbits
	.p2align	6, 0x0
	.amdhsa_kernel _ZN7rocprim17ROCPRIM_400000_NS6detail17trampoline_kernelINS0_14default_configENS1_38merge_sort_block_merge_config_selectorIhNS0_10empty_typeEEEZZNS1_27merge_sort_block_merge_implIS3_PhPS5_jNS1_19radix_merge_compareILb0ELb1EhNS0_19identity_decomposerEEEEE10hipError_tT0_T1_T2_jT3_P12ihipStream_tbPNSt15iterator_traitsISE_E10value_typeEPNSK_ISF_E10value_typeEPSG_NS1_7vsmem_tEENKUlT_SE_SF_SG_E_clIS8_S8_S9_S9_EESD_ST_SE_SF_SG_EUlST_E1_NS1_11comp_targetILNS1_3genE10ELNS1_11target_archE1201ELNS1_3gpuE5ELNS1_3repE0EEENS1_36merge_oddeven_config_static_selectorELNS0_4arch9wavefront6targetE1EEEvSF_
		.amdhsa_group_segment_fixed_size 0
		.amdhsa_private_segment_fixed_size 0
		.amdhsa_kernarg_size 48
		.amdhsa_user_sgpr_count 6
		.amdhsa_user_sgpr_private_segment_buffer 1
		.amdhsa_user_sgpr_dispatch_ptr 0
		.amdhsa_user_sgpr_queue_ptr 0
		.amdhsa_user_sgpr_kernarg_segment_ptr 1
		.amdhsa_user_sgpr_dispatch_id 0
		.amdhsa_user_sgpr_flat_scratch_init 0
		.amdhsa_user_sgpr_kernarg_preload_length 0
		.amdhsa_user_sgpr_kernarg_preload_offset 0
		.amdhsa_user_sgpr_private_segment_size 0
		.amdhsa_uses_dynamic_stack 0
		.amdhsa_system_sgpr_private_segment_wavefront_offset 0
		.amdhsa_system_sgpr_workgroup_id_x 1
		.amdhsa_system_sgpr_workgroup_id_y 0
		.amdhsa_system_sgpr_workgroup_id_z 0
		.amdhsa_system_sgpr_workgroup_info 0
		.amdhsa_system_vgpr_workitem_id 0
		.amdhsa_next_free_vgpr 1
		.amdhsa_next_free_sgpr 0
		.amdhsa_accum_offset 4
		.amdhsa_reserve_vcc 0
		.amdhsa_reserve_flat_scratch 0
		.amdhsa_float_round_mode_32 0
		.amdhsa_float_round_mode_16_64 0
		.amdhsa_float_denorm_mode_32 3
		.amdhsa_float_denorm_mode_16_64 3
		.amdhsa_dx10_clamp 1
		.amdhsa_ieee_mode 1
		.amdhsa_fp16_overflow 0
		.amdhsa_tg_split 0
		.amdhsa_exception_fp_ieee_invalid_op 0
		.amdhsa_exception_fp_denorm_src 0
		.amdhsa_exception_fp_ieee_div_zero 0
		.amdhsa_exception_fp_ieee_overflow 0
		.amdhsa_exception_fp_ieee_underflow 0
		.amdhsa_exception_fp_ieee_inexact 0
		.amdhsa_exception_int_div_zero 0
	.end_amdhsa_kernel
	.section	.text._ZN7rocprim17ROCPRIM_400000_NS6detail17trampoline_kernelINS0_14default_configENS1_38merge_sort_block_merge_config_selectorIhNS0_10empty_typeEEEZZNS1_27merge_sort_block_merge_implIS3_PhPS5_jNS1_19radix_merge_compareILb0ELb1EhNS0_19identity_decomposerEEEEE10hipError_tT0_T1_T2_jT3_P12ihipStream_tbPNSt15iterator_traitsISE_E10value_typeEPNSK_ISF_E10value_typeEPSG_NS1_7vsmem_tEENKUlT_SE_SF_SG_E_clIS8_S8_S9_S9_EESD_ST_SE_SF_SG_EUlST_E1_NS1_11comp_targetILNS1_3genE10ELNS1_11target_archE1201ELNS1_3gpuE5ELNS1_3repE0EEENS1_36merge_oddeven_config_static_selectorELNS0_4arch9wavefront6targetE1EEEvSF_,"axG",@progbits,_ZN7rocprim17ROCPRIM_400000_NS6detail17trampoline_kernelINS0_14default_configENS1_38merge_sort_block_merge_config_selectorIhNS0_10empty_typeEEEZZNS1_27merge_sort_block_merge_implIS3_PhPS5_jNS1_19radix_merge_compareILb0ELb1EhNS0_19identity_decomposerEEEEE10hipError_tT0_T1_T2_jT3_P12ihipStream_tbPNSt15iterator_traitsISE_E10value_typeEPNSK_ISF_E10value_typeEPSG_NS1_7vsmem_tEENKUlT_SE_SF_SG_E_clIS8_S8_S9_S9_EESD_ST_SE_SF_SG_EUlST_E1_NS1_11comp_targetILNS1_3genE10ELNS1_11target_archE1201ELNS1_3gpuE5ELNS1_3repE0EEENS1_36merge_oddeven_config_static_selectorELNS0_4arch9wavefront6targetE1EEEvSF_,comdat
.Lfunc_end295:
	.size	_ZN7rocprim17ROCPRIM_400000_NS6detail17trampoline_kernelINS0_14default_configENS1_38merge_sort_block_merge_config_selectorIhNS0_10empty_typeEEEZZNS1_27merge_sort_block_merge_implIS3_PhPS5_jNS1_19radix_merge_compareILb0ELb1EhNS0_19identity_decomposerEEEEE10hipError_tT0_T1_T2_jT3_P12ihipStream_tbPNSt15iterator_traitsISE_E10value_typeEPNSK_ISF_E10value_typeEPSG_NS1_7vsmem_tEENKUlT_SE_SF_SG_E_clIS8_S8_S9_S9_EESD_ST_SE_SF_SG_EUlST_E1_NS1_11comp_targetILNS1_3genE10ELNS1_11target_archE1201ELNS1_3gpuE5ELNS1_3repE0EEENS1_36merge_oddeven_config_static_selectorELNS0_4arch9wavefront6targetE1EEEvSF_, .Lfunc_end295-_ZN7rocprim17ROCPRIM_400000_NS6detail17trampoline_kernelINS0_14default_configENS1_38merge_sort_block_merge_config_selectorIhNS0_10empty_typeEEEZZNS1_27merge_sort_block_merge_implIS3_PhPS5_jNS1_19radix_merge_compareILb0ELb1EhNS0_19identity_decomposerEEEEE10hipError_tT0_T1_T2_jT3_P12ihipStream_tbPNSt15iterator_traitsISE_E10value_typeEPNSK_ISF_E10value_typeEPSG_NS1_7vsmem_tEENKUlT_SE_SF_SG_E_clIS8_S8_S9_S9_EESD_ST_SE_SF_SG_EUlST_E1_NS1_11comp_targetILNS1_3genE10ELNS1_11target_archE1201ELNS1_3gpuE5ELNS1_3repE0EEENS1_36merge_oddeven_config_static_selectorELNS0_4arch9wavefront6targetE1EEEvSF_
                                        ; -- End function
	.section	.AMDGPU.csdata,"",@progbits
; Kernel info:
; codeLenInByte = 0
; NumSgprs: 4
; NumVgprs: 0
; NumAgprs: 0
; TotalNumVgprs: 0
; ScratchSize: 0
; MemoryBound: 0
; FloatMode: 240
; IeeeMode: 1
; LDSByteSize: 0 bytes/workgroup (compile time only)
; SGPRBlocks: 0
; VGPRBlocks: 0
; NumSGPRsForWavesPerEU: 4
; NumVGPRsForWavesPerEU: 1
; AccumOffset: 4
; Occupancy: 8
; WaveLimiterHint : 0
; COMPUTE_PGM_RSRC2:SCRATCH_EN: 0
; COMPUTE_PGM_RSRC2:USER_SGPR: 6
; COMPUTE_PGM_RSRC2:TRAP_HANDLER: 0
; COMPUTE_PGM_RSRC2:TGID_X_EN: 1
; COMPUTE_PGM_RSRC2:TGID_Y_EN: 0
; COMPUTE_PGM_RSRC2:TGID_Z_EN: 0
; COMPUTE_PGM_RSRC2:TIDIG_COMP_CNT: 0
; COMPUTE_PGM_RSRC3_GFX90A:ACCUM_OFFSET: 0
; COMPUTE_PGM_RSRC3_GFX90A:TG_SPLIT: 0
	.section	.text._ZN7rocprim17ROCPRIM_400000_NS6detail17trampoline_kernelINS0_14default_configENS1_38merge_sort_block_merge_config_selectorIhNS0_10empty_typeEEEZZNS1_27merge_sort_block_merge_implIS3_PhPS5_jNS1_19radix_merge_compareILb0ELb1EhNS0_19identity_decomposerEEEEE10hipError_tT0_T1_T2_jT3_P12ihipStream_tbPNSt15iterator_traitsISE_E10value_typeEPNSK_ISF_E10value_typeEPSG_NS1_7vsmem_tEENKUlT_SE_SF_SG_E_clIS8_S8_S9_S9_EESD_ST_SE_SF_SG_EUlST_E1_NS1_11comp_targetILNS1_3genE5ELNS1_11target_archE942ELNS1_3gpuE9ELNS1_3repE0EEENS1_36merge_oddeven_config_static_selectorELNS0_4arch9wavefront6targetE1EEEvSF_,"axG",@progbits,_ZN7rocprim17ROCPRIM_400000_NS6detail17trampoline_kernelINS0_14default_configENS1_38merge_sort_block_merge_config_selectorIhNS0_10empty_typeEEEZZNS1_27merge_sort_block_merge_implIS3_PhPS5_jNS1_19radix_merge_compareILb0ELb1EhNS0_19identity_decomposerEEEEE10hipError_tT0_T1_T2_jT3_P12ihipStream_tbPNSt15iterator_traitsISE_E10value_typeEPNSK_ISF_E10value_typeEPSG_NS1_7vsmem_tEENKUlT_SE_SF_SG_E_clIS8_S8_S9_S9_EESD_ST_SE_SF_SG_EUlST_E1_NS1_11comp_targetILNS1_3genE5ELNS1_11target_archE942ELNS1_3gpuE9ELNS1_3repE0EEENS1_36merge_oddeven_config_static_selectorELNS0_4arch9wavefront6targetE1EEEvSF_,comdat
	.protected	_ZN7rocprim17ROCPRIM_400000_NS6detail17trampoline_kernelINS0_14default_configENS1_38merge_sort_block_merge_config_selectorIhNS0_10empty_typeEEEZZNS1_27merge_sort_block_merge_implIS3_PhPS5_jNS1_19radix_merge_compareILb0ELb1EhNS0_19identity_decomposerEEEEE10hipError_tT0_T1_T2_jT3_P12ihipStream_tbPNSt15iterator_traitsISE_E10value_typeEPNSK_ISF_E10value_typeEPSG_NS1_7vsmem_tEENKUlT_SE_SF_SG_E_clIS8_S8_S9_S9_EESD_ST_SE_SF_SG_EUlST_E1_NS1_11comp_targetILNS1_3genE5ELNS1_11target_archE942ELNS1_3gpuE9ELNS1_3repE0EEENS1_36merge_oddeven_config_static_selectorELNS0_4arch9wavefront6targetE1EEEvSF_ ; -- Begin function _ZN7rocprim17ROCPRIM_400000_NS6detail17trampoline_kernelINS0_14default_configENS1_38merge_sort_block_merge_config_selectorIhNS0_10empty_typeEEEZZNS1_27merge_sort_block_merge_implIS3_PhPS5_jNS1_19radix_merge_compareILb0ELb1EhNS0_19identity_decomposerEEEEE10hipError_tT0_T1_T2_jT3_P12ihipStream_tbPNSt15iterator_traitsISE_E10value_typeEPNSK_ISF_E10value_typeEPSG_NS1_7vsmem_tEENKUlT_SE_SF_SG_E_clIS8_S8_S9_S9_EESD_ST_SE_SF_SG_EUlST_E1_NS1_11comp_targetILNS1_3genE5ELNS1_11target_archE942ELNS1_3gpuE9ELNS1_3repE0EEENS1_36merge_oddeven_config_static_selectorELNS0_4arch9wavefront6targetE1EEEvSF_
	.globl	_ZN7rocprim17ROCPRIM_400000_NS6detail17trampoline_kernelINS0_14default_configENS1_38merge_sort_block_merge_config_selectorIhNS0_10empty_typeEEEZZNS1_27merge_sort_block_merge_implIS3_PhPS5_jNS1_19radix_merge_compareILb0ELb1EhNS0_19identity_decomposerEEEEE10hipError_tT0_T1_T2_jT3_P12ihipStream_tbPNSt15iterator_traitsISE_E10value_typeEPNSK_ISF_E10value_typeEPSG_NS1_7vsmem_tEENKUlT_SE_SF_SG_E_clIS8_S8_S9_S9_EESD_ST_SE_SF_SG_EUlST_E1_NS1_11comp_targetILNS1_3genE5ELNS1_11target_archE942ELNS1_3gpuE9ELNS1_3repE0EEENS1_36merge_oddeven_config_static_selectorELNS0_4arch9wavefront6targetE1EEEvSF_
	.p2align	8
	.type	_ZN7rocprim17ROCPRIM_400000_NS6detail17trampoline_kernelINS0_14default_configENS1_38merge_sort_block_merge_config_selectorIhNS0_10empty_typeEEEZZNS1_27merge_sort_block_merge_implIS3_PhPS5_jNS1_19radix_merge_compareILb0ELb1EhNS0_19identity_decomposerEEEEE10hipError_tT0_T1_T2_jT3_P12ihipStream_tbPNSt15iterator_traitsISE_E10value_typeEPNSK_ISF_E10value_typeEPSG_NS1_7vsmem_tEENKUlT_SE_SF_SG_E_clIS8_S8_S9_S9_EESD_ST_SE_SF_SG_EUlST_E1_NS1_11comp_targetILNS1_3genE5ELNS1_11target_archE942ELNS1_3gpuE9ELNS1_3repE0EEENS1_36merge_oddeven_config_static_selectorELNS0_4arch9wavefront6targetE1EEEvSF_,@function
_ZN7rocprim17ROCPRIM_400000_NS6detail17trampoline_kernelINS0_14default_configENS1_38merge_sort_block_merge_config_selectorIhNS0_10empty_typeEEEZZNS1_27merge_sort_block_merge_implIS3_PhPS5_jNS1_19radix_merge_compareILb0ELb1EhNS0_19identity_decomposerEEEEE10hipError_tT0_T1_T2_jT3_P12ihipStream_tbPNSt15iterator_traitsISE_E10value_typeEPNSK_ISF_E10value_typeEPSG_NS1_7vsmem_tEENKUlT_SE_SF_SG_E_clIS8_S8_S9_S9_EESD_ST_SE_SF_SG_EUlST_E1_NS1_11comp_targetILNS1_3genE5ELNS1_11target_archE942ELNS1_3gpuE9ELNS1_3repE0EEENS1_36merge_oddeven_config_static_selectorELNS0_4arch9wavefront6targetE1EEEvSF_: ; @_ZN7rocprim17ROCPRIM_400000_NS6detail17trampoline_kernelINS0_14default_configENS1_38merge_sort_block_merge_config_selectorIhNS0_10empty_typeEEEZZNS1_27merge_sort_block_merge_implIS3_PhPS5_jNS1_19radix_merge_compareILb0ELb1EhNS0_19identity_decomposerEEEEE10hipError_tT0_T1_T2_jT3_P12ihipStream_tbPNSt15iterator_traitsISE_E10value_typeEPNSK_ISF_E10value_typeEPSG_NS1_7vsmem_tEENKUlT_SE_SF_SG_E_clIS8_S8_S9_S9_EESD_ST_SE_SF_SG_EUlST_E1_NS1_11comp_targetILNS1_3genE5ELNS1_11target_archE942ELNS1_3gpuE9ELNS1_3repE0EEENS1_36merge_oddeven_config_static_selectorELNS0_4arch9wavefront6targetE1EEEvSF_
; %bb.0:
	.section	.rodata,"a",@progbits
	.p2align	6, 0x0
	.amdhsa_kernel _ZN7rocprim17ROCPRIM_400000_NS6detail17trampoline_kernelINS0_14default_configENS1_38merge_sort_block_merge_config_selectorIhNS0_10empty_typeEEEZZNS1_27merge_sort_block_merge_implIS3_PhPS5_jNS1_19radix_merge_compareILb0ELb1EhNS0_19identity_decomposerEEEEE10hipError_tT0_T1_T2_jT3_P12ihipStream_tbPNSt15iterator_traitsISE_E10value_typeEPNSK_ISF_E10value_typeEPSG_NS1_7vsmem_tEENKUlT_SE_SF_SG_E_clIS8_S8_S9_S9_EESD_ST_SE_SF_SG_EUlST_E1_NS1_11comp_targetILNS1_3genE5ELNS1_11target_archE942ELNS1_3gpuE9ELNS1_3repE0EEENS1_36merge_oddeven_config_static_selectorELNS0_4arch9wavefront6targetE1EEEvSF_
		.amdhsa_group_segment_fixed_size 0
		.amdhsa_private_segment_fixed_size 0
		.amdhsa_kernarg_size 48
		.amdhsa_user_sgpr_count 6
		.amdhsa_user_sgpr_private_segment_buffer 1
		.amdhsa_user_sgpr_dispatch_ptr 0
		.amdhsa_user_sgpr_queue_ptr 0
		.amdhsa_user_sgpr_kernarg_segment_ptr 1
		.amdhsa_user_sgpr_dispatch_id 0
		.amdhsa_user_sgpr_flat_scratch_init 0
		.amdhsa_user_sgpr_kernarg_preload_length 0
		.amdhsa_user_sgpr_kernarg_preload_offset 0
		.amdhsa_user_sgpr_private_segment_size 0
		.amdhsa_uses_dynamic_stack 0
		.amdhsa_system_sgpr_private_segment_wavefront_offset 0
		.amdhsa_system_sgpr_workgroup_id_x 1
		.amdhsa_system_sgpr_workgroup_id_y 0
		.amdhsa_system_sgpr_workgroup_id_z 0
		.amdhsa_system_sgpr_workgroup_info 0
		.amdhsa_system_vgpr_workitem_id 0
		.amdhsa_next_free_vgpr 1
		.amdhsa_next_free_sgpr 0
		.amdhsa_accum_offset 4
		.amdhsa_reserve_vcc 0
		.amdhsa_reserve_flat_scratch 0
		.amdhsa_float_round_mode_32 0
		.amdhsa_float_round_mode_16_64 0
		.amdhsa_float_denorm_mode_32 3
		.amdhsa_float_denorm_mode_16_64 3
		.amdhsa_dx10_clamp 1
		.amdhsa_ieee_mode 1
		.amdhsa_fp16_overflow 0
		.amdhsa_tg_split 0
		.amdhsa_exception_fp_ieee_invalid_op 0
		.amdhsa_exception_fp_denorm_src 0
		.amdhsa_exception_fp_ieee_div_zero 0
		.amdhsa_exception_fp_ieee_overflow 0
		.amdhsa_exception_fp_ieee_underflow 0
		.amdhsa_exception_fp_ieee_inexact 0
		.amdhsa_exception_int_div_zero 0
	.end_amdhsa_kernel
	.section	.text._ZN7rocprim17ROCPRIM_400000_NS6detail17trampoline_kernelINS0_14default_configENS1_38merge_sort_block_merge_config_selectorIhNS0_10empty_typeEEEZZNS1_27merge_sort_block_merge_implIS3_PhPS5_jNS1_19radix_merge_compareILb0ELb1EhNS0_19identity_decomposerEEEEE10hipError_tT0_T1_T2_jT3_P12ihipStream_tbPNSt15iterator_traitsISE_E10value_typeEPNSK_ISF_E10value_typeEPSG_NS1_7vsmem_tEENKUlT_SE_SF_SG_E_clIS8_S8_S9_S9_EESD_ST_SE_SF_SG_EUlST_E1_NS1_11comp_targetILNS1_3genE5ELNS1_11target_archE942ELNS1_3gpuE9ELNS1_3repE0EEENS1_36merge_oddeven_config_static_selectorELNS0_4arch9wavefront6targetE1EEEvSF_,"axG",@progbits,_ZN7rocprim17ROCPRIM_400000_NS6detail17trampoline_kernelINS0_14default_configENS1_38merge_sort_block_merge_config_selectorIhNS0_10empty_typeEEEZZNS1_27merge_sort_block_merge_implIS3_PhPS5_jNS1_19radix_merge_compareILb0ELb1EhNS0_19identity_decomposerEEEEE10hipError_tT0_T1_T2_jT3_P12ihipStream_tbPNSt15iterator_traitsISE_E10value_typeEPNSK_ISF_E10value_typeEPSG_NS1_7vsmem_tEENKUlT_SE_SF_SG_E_clIS8_S8_S9_S9_EESD_ST_SE_SF_SG_EUlST_E1_NS1_11comp_targetILNS1_3genE5ELNS1_11target_archE942ELNS1_3gpuE9ELNS1_3repE0EEENS1_36merge_oddeven_config_static_selectorELNS0_4arch9wavefront6targetE1EEEvSF_,comdat
.Lfunc_end296:
	.size	_ZN7rocprim17ROCPRIM_400000_NS6detail17trampoline_kernelINS0_14default_configENS1_38merge_sort_block_merge_config_selectorIhNS0_10empty_typeEEEZZNS1_27merge_sort_block_merge_implIS3_PhPS5_jNS1_19radix_merge_compareILb0ELb1EhNS0_19identity_decomposerEEEEE10hipError_tT0_T1_T2_jT3_P12ihipStream_tbPNSt15iterator_traitsISE_E10value_typeEPNSK_ISF_E10value_typeEPSG_NS1_7vsmem_tEENKUlT_SE_SF_SG_E_clIS8_S8_S9_S9_EESD_ST_SE_SF_SG_EUlST_E1_NS1_11comp_targetILNS1_3genE5ELNS1_11target_archE942ELNS1_3gpuE9ELNS1_3repE0EEENS1_36merge_oddeven_config_static_selectorELNS0_4arch9wavefront6targetE1EEEvSF_, .Lfunc_end296-_ZN7rocprim17ROCPRIM_400000_NS6detail17trampoline_kernelINS0_14default_configENS1_38merge_sort_block_merge_config_selectorIhNS0_10empty_typeEEEZZNS1_27merge_sort_block_merge_implIS3_PhPS5_jNS1_19radix_merge_compareILb0ELb1EhNS0_19identity_decomposerEEEEE10hipError_tT0_T1_T2_jT3_P12ihipStream_tbPNSt15iterator_traitsISE_E10value_typeEPNSK_ISF_E10value_typeEPSG_NS1_7vsmem_tEENKUlT_SE_SF_SG_E_clIS8_S8_S9_S9_EESD_ST_SE_SF_SG_EUlST_E1_NS1_11comp_targetILNS1_3genE5ELNS1_11target_archE942ELNS1_3gpuE9ELNS1_3repE0EEENS1_36merge_oddeven_config_static_selectorELNS0_4arch9wavefront6targetE1EEEvSF_
                                        ; -- End function
	.section	.AMDGPU.csdata,"",@progbits
; Kernel info:
; codeLenInByte = 0
; NumSgprs: 4
; NumVgprs: 0
; NumAgprs: 0
; TotalNumVgprs: 0
; ScratchSize: 0
; MemoryBound: 0
; FloatMode: 240
; IeeeMode: 1
; LDSByteSize: 0 bytes/workgroup (compile time only)
; SGPRBlocks: 0
; VGPRBlocks: 0
; NumSGPRsForWavesPerEU: 4
; NumVGPRsForWavesPerEU: 1
; AccumOffset: 4
; Occupancy: 8
; WaveLimiterHint : 0
; COMPUTE_PGM_RSRC2:SCRATCH_EN: 0
; COMPUTE_PGM_RSRC2:USER_SGPR: 6
; COMPUTE_PGM_RSRC2:TRAP_HANDLER: 0
; COMPUTE_PGM_RSRC2:TGID_X_EN: 1
; COMPUTE_PGM_RSRC2:TGID_Y_EN: 0
; COMPUTE_PGM_RSRC2:TGID_Z_EN: 0
; COMPUTE_PGM_RSRC2:TIDIG_COMP_CNT: 0
; COMPUTE_PGM_RSRC3_GFX90A:ACCUM_OFFSET: 0
; COMPUTE_PGM_RSRC3_GFX90A:TG_SPLIT: 0
	.section	.text._ZN7rocprim17ROCPRIM_400000_NS6detail17trampoline_kernelINS0_14default_configENS1_38merge_sort_block_merge_config_selectorIhNS0_10empty_typeEEEZZNS1_27merge_sort_block_merge_implIS3_PhPS5_jNS1_19radix_merge_compareILb0ELb1EhNS0_19identity_decomposerEEEEE10hipError_tT0_T1_T2_jT3_P12ihipStream_tbPNSt15iterator_traitsISE_E10value_typeEPNSK_ISF_E10value_typeEPSG_NS1_7vsmem_tEENKUlT_SE_SF_SG_E_clIS8_S8_S9_S9_EESD_ST_SE_SF_SG_EUlST_E1_NS1_11comp_targetILNS1_3genE4ELNS1_11target_archE910ELNS1_3gpuE8ELNS1_3repE0EEENS1_36merge_oddeven_config_static_selectorELNS0_4arch9wavefront6targetE1EEEvSF_,"axG",@progbits,_ZN7rocprim17ROCPRIM_400000_NS6detail17trampoline_kernelINS0_14default_configENS1_38merge_sort_block_merge_config_selectorIhNS0_10empty_typeEEEZZNS1_27merge_sort_block_merge_implIS3_PhPS5_jNS1_19radix_merge_compareILb0ELb1EhNS0_19identity_decomposerEEEEE10hipError_tT0_T1_T2_jT3_P12ihipStream_tbPNSt15iterator_traitsISE_E10value_typeEPNSK_ISF_E10value_typeEPSG_NS1_7vsmem_tEENKUlT_SE_SF_SG_E_clIS8_S8_S9_S9_EESD_ST_SE_SF_SG_EUlST_E1_NS1_11comp_targetILNS1_3genE4ELNS1_11target_archE910ELNS1_3gpuE8ELNS1_3repE0EEENS1_36merge_oddeven_config_static_selectorELNS0_4arch9wavefront6targetE1EEEvSF_,comdat
	.protected	_ZN7rocprim17ROCPRIM_400000_NS6detail17trampoline_kernelINS0_14default_configENS1_38merge_sort_block_merge_config_selectorIhNS0_10empty_typeEEEZZNS1_27merge_sort_block_merge_implIS3_PhPS5_jNS1_19radix_merge_compareILb0ELb1EhNS0_19identity_decomposerEEEEE10hipError_tT0_T1_T2_jT3_P12ihipStream_tbPNSt15iterator_traitsISE_E10value_typeEPNSK_ISF_E10value_typeEPSG_NS1_7vsmem_tEENKUlT_SE_SF_SG_E_clIS8_S8_S9_S9_EESD_ST_SE_SF_SG_EUlST_E1_NS1_11comp_targetILNS1_3genE4ELNS1_11target_archE910ELNS1_3gpuE8ELNS1_3repE0EEENS1_36merge_oddeven_config_static_selectorELNS0_4arch9wavefront6targetE1EEEvSF_ ; -- Begin function _ZN7rocprim17ROCPRIM_400000_NS6detail17trampoline_kernelINS0_14default_configENS1_38merge_sort_block_merge_config_selectorIhNS0_10empty_typeEEEZZNS1_27merge_sort_block_merge_implIS3_PhPS5_jNS1_19radix_merge_compareILb0ELb1EhNS0_19identity_decomposerEEEEE10hipError_tT0_T1_T2_jT3_P12ihipStream_tbPNSt15iterator_traitsISE_E10value_typeEPNSK_ISF_E10value_typeEPSG_NS1_7vsmem_tEENKUlT_SE_SF_SG_E_clIS8_S8_S9_S9_EESD_ST_SE_SF_SG_EUlST_E1_NS1_11comp_targetILNS1_3genE4ELNS1_11target_archE910ELNS1_3gpuE8ELNS1_3repE0EEENS1_36merge_oddeven_config_static_selectorELNS0_4arch9wavefront6targetE1EEEvSF_
	.globl	_ZN7rocprim17ROCPRIM_400000_NS6detail17trampoline_kernelINS0_14default_configENS1_38merge_sort_block_merge_config_selectorIhNS0_10empty_typeEEEZZNS1_27merge_sort_block_merge_implIS3_PhPS5_jNS1_19radix_merge_compareILb0ELb1EhNS0_19identity_decomposerEEEEE10hipError_tT0_T1_T2_jT3_P12ihipStream_tbPNSt15iterator_traitsISE_E10value_typeEPNSK_ISF_E10value_typeEPSG_NS1_7vsmem_tEENKUlT_SE_SF_SG_E_clIS8_S8_S9_S9_EESD_ST_SE_SF_SG_EUlST_E1_NS1_11comp_targetILNS1_3genE4ELNS1_11target_archE910ELNS1_3gpuE8ELNS1_3repE0EEENS1_36merge_oddeven_config_static_selectorELNS0_4arch9wavefront6targetE1EEEvSF_
	.p2align	8
	.type	_ZN7rocprim17ROCPRIM_400000_NS6detail17trampoline_kernelINS0_14default_configENS1_38merge_sort_block_merge_config_selectorIhNS0_10empty_typeEEEZZNS1_27merge_sort_block_merge_implIS3_PhPS5_jNS1_19radix_merge_compareILb0ELb1EhNS0_19identity_decomposerEEEEE10hipError_tT0_T1_T2_jT3_P12ihipStream_tbPNSt15iterator_traitsISE_E10value_typeEPNSK_ISF_E10value_typeEPSG_NS1_7vsmem_tEENKUlT_SE_SF_SG_E_clIS8_S8_S9_S9_EESD_ST_SE_SF_SG_EUlST_E1_NS1_11comp_targetILNS1_3genE4ELNS1_11target_archE910ELNS1_3gpuE8ELNS1_3repE0EEENS1_36merge_oddeven_config_static_selectorELNS0_4arch9wavefront6targetE1EEEvSF_,@function
_ZN7rocprim17ROCPRIM_400000_NS6detail17trampoline_kernelINS0_14default_configENS1_38merge_sort_block_merge_config_selectorIhNS0_10empty_typeEEEZZNS1_27merge_sort_block_merge_implIS3_PhPS5_jNS1_19radix_merge_compareILb0ELb1EhNS0_19identity_decomposerEEEEE10hipError_tT0_T1_T2_jT3_P12ihipStream_tbPNSt15iterator_traitsISE_E10value_typeEPNSK_ISF_E10value_typeEPSG_NS1_7vsmem_tEENKUlT_SE_SF_SG_E_clIS8_S8_S9_S9_EESD_ST_SE_SF_SG_EUlST_E1_NS1_11comp_targetILNS1_3genE4ELNS1_11target_archE910ELNS1_3gpuE8ELNS1_3repE0EEENS1_36merge_oddeven_config_static_selectorELNS0_4arch9wavefront6targetE1EEEvSF_: ; @_ZN7rocprim17ROCPRIM_400000_NS6detail17trampoline_kernelINS0_14default_configENS1_38merge_sort_block_merge_config_selectorIhNS0_10empty_typeEEEZZNS1_27merge_sort_block_merge_implIS3_PhPS5_jNS1_19radix_merge_compareILb0ELb1EhNS0_19identity_decomposerEEEEE10hipError_tT0_T1_T2_jT3_P12ihipStream_tbPNSt15iterator_traitsISE_E10value_typeEPNSK_ISF_E10value_typeEPSG_NS1_7vsmem_tEENKUlT_SE_SF_SG_E_clIS8_S8_S9_S9_EESD_ST_SE_SF_SG_EUlST_E1_NS1_11comp_targetILNS1_3genE4ELNS1_11target_archE910ELNS1_3gpuE8ELNS1_3repE0EEENS1_36merge_oddeven_config_static_selectorELNS0_4arch9wavefront6targetE1EEEvSF_
; %bb.0:
	s_load_dword s17, s[4:5], 0x20
	s_waitcnt lgkmcnt(0)
	s_lshr_b32 s0, s17, 8
	s_cmp_lg_u32 s6, s0
	s_cselect_b64 s[14:15], -1, 0
	s_cmp_eq_u32 s6, s0
	s_cselect_b64 s[12:13], -1, 0
	s_lshl_b32 s7, s6, 8
	s_sub_i32 s0, s17, s7
	v_cmp_gt_u32_e64 s[2:3], s0, v0
	s_or_b64 s[0:1], s[14:15], s[2:3]
	s_and_saveexec_b64 s[8:9], s[0:1]
	s_cbranch_execz .LBB297_20
; %bb.1:
	s_load_dwordx4 s[8:11], s[4:5], 0x0
	s_load_dword s18, s[4:5], 0x24
	v_add_u32_e32 v2, s7, v0
	s_waitcnt lgkmcnt(0)
	s_add_u32 s0, s8, s7
	s_addc_u32 s1, s9, 0
	global_load_ubyte v1, v0, s[0:1]
	s_lshr_b32 s0, s18, 8
	s_sub_i32 s1, 0, s0
	s_and_b32 s1, s6, s1
	s_and_b32 s0, s1, s0
	s_lshl_b32 s19, s1, 8
	s_sub_i32 s6, 0, s18
	s_cmp_eq_u32 s0, 0
	s_cselect_b64 s[0:1], -1, 0
	s_and_b64 s[20:21], s[0:1], exec
	s_cselect_b32 s16, s18, s6
	s_add_i32 s16, s16, s19
	s_cmp_lt_u32 s16, s17
	s_cbranch_scc1 .LBB297_3
; %bb.2:
	v_cmp_gt_u32_e32 vcc, s17, v2
	s_or_b64 s[6:7], vcc, s[14:15]
	s_and_b64 s[6:7], s[6:7], exec
	s_cbranch_execz .LBB297_4
	s_branch .LBB297_18
.LBB297_3:
	s_mov_b64 s[6:7], 0
.LBB297_4:
	s_load_dword s14, s[4:5], 0x28
	s_min_u32 s15, s16, s17
	s_add_i32 s4, s15, s18
	s_min_u32 s17, s4, s17
	s_min_u32 s4, s19, s15
	s_add_i32 s19, s19, s15
	v_subrev_u32_e32 v0, s19, v2
	v_add_u32_e32 v0, s4, v0
	s_and_b64 vcc, exec, s[12:13]
	s_cbranch_vccz .LBB297_12
; %bb.5:
                                        ; implicit-def: $vgpr2
	s_and_saveexec_b64 s[4:5], s[2:3]
	s_cbranch_execz .LBB297_11
; %bb.6:
	s_cmp_ge_u32 s16, s17
	v_mov_b32_e32 v2, s15
	s_cbranch_scc1 .LBB297_10
; %bb.7:
	s_waitcnt vmcnt(0) lgkmcnt(0)
	v_and_b32_e32 v3, s14, v1
	s_mov_b64 s[2:3], 0
	v_mov_b32_e32 v4, s17
	v_mov_b32_e32 v2, s15
.LBB297_8:                              ; =>This Inner Loop Header: Depth=1
	v_add_u32_e32 v5, v2, v4
	v_lshrrev_b32_e32 v5, 1, v5
	global_load_ubyte v6, v5, s[8:9]
	v_add_u32_e32 v7, 1, v5
	s_waitcnt vmcnt(0)
	v_and_b32_sdwa v6, v6, s14 dst_sel:DWORD dst_unused:UNUSED_PAD src0_sel:DWORD src1_sel:BYTE_0
	v_cmp_gt_u16_sdwa s[12:13], v3, v6 src0_sel:BYTE_0 src1_sel:DWORD
	v_cndmask_b32_e64 v8, 0, 1, s[12:13]
	v_cmp_le_u16_sdwa s[12:13], v6, v3 src0_sel:DWORD src1_sel:BYTE_0
	v_cndmask_b32_e64 v6, 0, 1, s[12:13]
	v_cndmask_b32_e64 v6, v6, v8, s[0:1]
	v_and_b32_e32 v6, 1, v6
	v_cmp_eq_u32_e32 vcc, 1, v6
	v_cndmask_b32_e32 v4, v5, v4, vcc
	v_cndmask_b32_e32 v2, v2, v7, vcc
	v_cmp_ge_u32_e32 vcc, v2, v4
	s_or_b64 s[2:3], vcc, s[2:3]
	s_andn2_b64 exec, exec, s[2:3]
	s_cbranch_execnz .LBB297_8
; %bb.9:
	s_or_b64 exec, exec, s[2:3]
.LBB297_10:
	v_add_u32_e32 v2, v2, v0
	s_or_b64 s[6:7], s[6:7], exec
.LBB297_11:
	s_or_b64 exec, exec, s[4:5]
	s_branch .LBB297_18
.LBB297_12:
                                        ; implicit-def: $vgpr2
	s_cbranch_execz .LBB297_18
; %bb.13:
	s_cmp_ge_u32 s16, s17
	v_mov_b32_e32 v2, s15
	s_cbranch_scc1 .LBB297_17
; %bb.14:
	s_waitcnt vmcnt(0) lgkmcnt(0)
	v_and_b32_e32 v3, s14, v1
	s_mov_b64 s[2:3], 0
	v_mov_b32_e32 v4, s17
	v_mov_b32_e32 v2, s15
.LBB297_15:                             ; =>This Inner Loop Header: Depth=1
	v_add_u32_e32 v5, v2, v4
	v_lshrrev_b32_e32 v5, 1, v5
	global_load_ubyte v6, v5, s[8:9]
	v_add_u32_e32 v7, 1, v5
	s_waitcnt vmcnt(0)
	v_and_b32_sdwa v6, v6, s14 dst_sel:DWORD dst_unused:UNUSED_PAD src0_sel:DWORD src1_sel:BYTE_0
	v_cmp_gt_u16_sdwa s[4:5], v3, v6 src0_sel:BYTE_0 src1_sel:DWORD
	v_cndmask_b32_e64 v8, 0, 1, s[4:5]
	v_cmp_le_u16_sdwa s[4:5], v6, v3 src0_sel:DWORD src1_sel:BYTE_0
	v_cndmask_b32_e64 v6, 0, 1, s[4:5]
	v_cndmask_b32_e64 v6, v6, v8, s[0:1]
	v_and_b32_e32 v6, 1, v6
	v_cmp_eq_u32_e32 vcc, 1, v6
	v_cndmask_b32_e32 v4, v5, v4, vcc
	v_cndmask_b32_e32 v2, v2, v7, vcc
	v_cmp_ge_u32_e32 vcc, v2, v4
	s_or_b64 s[2:3], vcc, s[2:3]
	s_andn2_b64 exec, exec, s[2:3]
	s_cbranch_execnz .LBB297_15
; %bb.16:
	s_or_b64 exec, exec, s[2:3]
.LBB297_17:
	v_add_u32_e32 v2, v2, v0
	s_mov_b64 s[6:7], -1
.LBB297_18:
	s_and_b64 exec, exec, s[6:7]
	s_cbranch_execz .LBB297_20
; %bb.19:
	s_waitcnt vmcnt(0)
	global_store_byte v2, v1, s[10:11]
.LBB297_20:
	s_endpgm
	.section	.rodata,"a",@progbits
	.p2align	6, 0x0
	.amdhsa_kernel _ZN7rocprim17ROCPRIM_400000_NS6detail17trampoline_kernelINS0_14default_configENS1_38merge_sort_block_merge_config_selectorIhNS0_10empty_typeEEEZZNS1_27merge_sort_block_merge_implIS3_PhPS5_jNS1_19radix_merge_compareILb0ELb1EhNS0_19identity_decomposerEEEEE10hipError_tT0_T1_T2_jT3_P12ihipStream_tbPNSt15iterator_traitsISE_E10value_typeEPNSK_ISF_E10value_typeEPSG_NS1_7vsmem_tEENKUlT_SE_SF_SG_E_clIS8_S8_S9_S9_EESD_ST_SE_SF_SG_EUlST_E1_NS1_11comp_targetILNS1_3genE4ELNS1_11target_archE910ELNS1_3gpuE8ELNS1_3repE0EEENS1_36merge_oddeven_config_static_selectorELNS0_4arch9wavefront6targetE1EEEvSF_
		.amdhsa_group_segment_fixed_size 0
		.amdhsa_private_segment_fixed_size 0
		.amdhsa_kernarg_size 48
		.amdhsa_user_sgpr_count 6
		.amdhsa_user_sgpr_private_segment_buffer 1
		.amdhsa_user_sgpr_dispatch_ptr 0
		.amdhsa_user_sgpr_queue_ptr 0
		.amdhsa_user_sgpr_kernarg_segment_ptr 1
		.amdhsa_user_sgpr_dispatch_id 0
		.amdhsa_user_sgpr_flat_scratch_init 0
		.amdhsa_user_sgpr_kernarg_preload_length 0
		.amdhsa_user_sgpr_kernarg_preload_offset 0
		.amdhsa_user_sgpr_private_segment_size 0
		.amdhsa_uses_dynamic_stack 0
		.amdhsa_system_sgpr_private_segment_wavefront_offset 0
		.amdhsa_system_sgpr_workgroup_id_x 1
		.amdhsa_system_sgpr_workgroup_id_y 0
		.amdhsa_system_sgpr_workgroup_id_z 0
		.amdhsa_system_sgpr_workgroup_info 0
		.amdhsa_system_vgpr_workitem_id 0
		.amdhsa_next_free_vgpr 9
		.amdhsa_next_free_sgpr 22
		.amdhsa_accum_offset 12
		.amdhsa_reserve_vcc 1
		.amdhsa_reserve_flat_scratch 0
		.amdhsa_float_round_mode_32 0
		.amdhsa_float_round_mode_16_64 0
		.amdhsa_float_denorm_mode_32 3
		.amdhsa_float_denorm_mode_16_64 3
		.amdhsa_dx10_clamp 1
		.amdhsa_ieee_mode 1
		.amdhsa_fp16_overflow 0
		.amdhsa_tg_split 0
		.amdhsa_exception_fp_ieee_invalid_op 0
		.amdhsa_exception_fp_denorm_src 0
		.amdhsa_exception_fp_ieee_div_zero 0
		.amdhsa_exception_fp_ieee_overflow 0
		.amdhsa_exception_fp_ieee_underflow 0
		.amdhsa_exception_fp_ieee_inexact 0
		.amdhsa_exception_int_div_zero 0
	.end_amdhsa_kernel
	.section	.text._ZN7rocprim17ROCPRIM_400000_NS6detail17trampoline_kernelINS0_14default_configENS1_38merge_sort_block_merge_config_selectorIhNS0_10empty_typeEEEZZNS1_27merge_sort_block_merge_implIS3_PhPS5_jNS1_19radix_merge_compareILb0ELb1EhNS0_19identity_decomposerEEEEE10hipError_tT0_T1_T2_jT3_P12ihipStream_tbPNSt15iterator_traitsISE_E10value_typeEPNSK_ISF_E10value_typeEPSG_NS1_7vsmem_tEENKUlT_SE_SF_SG_E_clIS8_S8_S9_S9_EESD_ST_SE_SF_SG_EUlST_E1_NS1_11comp_targetILNS1_3genE4ELNS1_11target_archE910ELNS1_3gpuE8ELNS1_3repE0EEENS1_36merge_oddeven_config_static_selectorELNS0_4arch9wavefront6targetE1EEEvSF_,"axG",@progbits,_ZN7rocprim17ROCPRIM_400000_NS6detail17trampoline_kernelINS0_14default_configENS1_38merge_sort_block_merge_config_selectorIhNS0_10empty_typeEEEZZNS1_27merge_sort_block_merge_implIS3_PhPS5_jNS1_19radix_merge_compareILb0ELb1EhNS0_19identity_decomposerEEEEE10hipError_tT0_T1_T2_jT3_P12ihipStream_tbPNSt15iterator_traitsISE_E10value_typeEPNSK_ISF_E10value_typeEPSG_NS1_7vsmem_tEENKUlT_SE_SF_SG_E_clIS8_S8_S9_S9_EESD_ST_SE_SF_SG_EUlST_E1_NS1_11comp_targetILNS1_3genE4ELNS1_11target_archE910ELNS1_3gpuE8ELNS1_3repE0EEENS1_36merge_oddeven_config_static_selectorELNS0_4arch9wavefront6targetE1EEEvSF_,comdat
.Lfunc_end297:
	.size	_ZN7rocprim17ROCPRIM_400000_NS6detail17trampoline_kernelINS0_14default_configENS1_38merge_sort_block_merge_config_selectorIhNS0_10empty_typeEEEZZNS1_27merge_sort_block_merge_implIS3_PhPS5_jNS1_19radix_merge_compareILb0ELb1EhNS0_19identity_decomposerEEEEE10hipError_tT0_T1_T2_jT3_P12ihipStream_tbPNSt15iterator_traitsISE_E10value_typeEPNSK_ISF_E10value_typeEPSG_NS1_7vsmem_tEENKUlT_SE_SF_SG_E_clIS8_S8_S9_S9_EESD_ST_SE_SF_SG_EUlST_E1_NS1_11comp_targetILNS1_3genE4ELNS1_11target_archE910ELNS1_3gpuE8ELNS1_3repE0EEENS1_36merge_oddeven_config_static_selectorELNS0_4arch9wavefront6targetE1EEEvSF_, .Lfunc_end297-_ZN7rocprim17ROCPRIM_400000_NS6detail17trampoline_kernelINS0_14default_configENS1_38merge_sort_block_merge_config_selectorIhNS0_10empty_typeEEEZZNS1_27merge_sort_block_merge_implIS3_PhPS5_jNS1_19radix_merge_compareILb0ELb1EhNS0_19identity_decomposerEEEEE10hipError_tT0_T1_T2_jT3_P12ihipStream_tbPNSt15iterator_traitsISE_E10value_typeEPNSK_ISF_E10value_typeEPSG_NS1_7vsmem_tEENKUlT_SE_SF_SG_E_clIS8_S8_S9_S9_EESD_ST_SE_SF_SG_EUlST_E1_NS1_11comp_targetILNS1_3genE4ELNS1_11target_archE910ELNS1_3gpuE8ELNS1_3repE0EEENS1_36merge_oddeven_config_static_selectorELNS0_4arch9wavefront6targetE1EEEvSF_
                                        ; -- End function
	.section	.AMDGPU.csdata,"",@progbits
; Kernel info:
; codeLenInByte = 560
; NumSgprs: 26
; NumVgprs: 9
; NumAgprs: 0
; TotalNumVgprs: 9
; ScratchSize: 0
; MemoryBound: 0
; FloatMode: 240
; IeeeMode: 1
; LDSByteSize: 0 bytes/workgroup (compile time only)
; SGPRBlocks: 3
; VGPRBlocks: 1
; NumSGPRsForWavesPerEU: 26
; NumVGPRsForWavesPerEU: 9
; AccumOffset: 12
; Occupancy: 8
; WaveLimiterHint : 0
; COMPUTE_PGM_RSRC2:SCRATCH_EN: 0
; COMPUTE_PGM_RSRC2:USER_SGPR: 6
; COMPUTE_PGM_RSRC2:TRAP_HANDLER: 0
; COMPUTE_PGM_RSRC2:TGID_X_EN: 1
; COMPUTE_PGM_RSRC2:TGID_Y_EN: 0
; COMPUTE_PGM_RSRC2:TGID_Z_EN: 0
; COMPUTE_PGM_RSRC2:TIDIG_COMP_CNT: 0
; COMPUTE_PGM_RSRC3_GFX90A:ACCUM_OFFSET: 2
; COMPUTE_PGM_RSRC3_GFX90A:TG_SPLIT: 0
	.section	.text._ZN7rocprim17ROCPRIM_400000_NS6detail17trampoline_kernelINS0_14default_configENS1_38merge_sort_block_merge_config_selectorIhNS0_10empty_typeEEEZZNS1_27merge_sort_block_merge_implIS3_PhPS5_jNS1_19radix_merge_compareILb0ELb1EhNS0_19identity_decomposerEEEEE10hipError_tT0_T1_T2_jT3_P12ihipStream_tbPNSt15iterator_traitsISE_E10value_typeEPNSK_ISF_E10value_typeEPSG_NS1_7vsmem_tEENKUlT_SE_SF_SG_E_clIS8_S8_S9_S9_EESD_ST_SE_SF_SG_EUlST_E1_NS1_11comp_targetILNS1_3genE3ELNS1_11target_archE908ELNS1_3gpuE7ELNS1_3repE0EEENS1_36merge_oddeven_config_static_selectorELNS0_4arch9wavefront6targetE1EEEvSF_,"axG",@progbits,_ZN7rocprim17ROCPRIM_400000_NS6detail17trampoline_kernelINS0_14default_configENS1_38merge_sort_block_merge_config_selectorIhNS0_10empty_typeEEEZZNS1_27merge_sort_block_merge_implIS3_PhPS5_jNS1_19radix_merge_compareILb0ELb1EhNS0_19identity_decomposerEEEEE10hipError_tT0_T1_T2_jT3_P12ihipStream_tbPNSt15iterator_traitsISE_E10value_typeEPNSK_ISF_E10value_typeEPSG_NS1_7vsmem_tEENKUlT_SE_SF_SG_E_clIS8_S8_S9_S9_EESD_ST_SE_SF_SG_EUlST_E1_NS1_11comp_targetILNS1_3genE3ELNS1_11target_archE908ELNS1_3gpuE7ELNS1_3repE0EEENS1_36merge_oddeven_config_static_selectorELNS0_4arch9wavefront6targetE1EEEvSF_,comdat
	.protected	_ZN7rocprim17ROCPRIM_400000_NS6detail17trampoline_kernelINS0_14default_configENS1_38merge_sort_block_merge_config_selectorIhNS0_10empty_typeEEEZZNS1_27merge_sort_block_merge_implIS3_PhPS5_jNS1_19radix_merge_compareILb0ELb1EhNS0_19identity_decomposerEEEEE10hipError_tT0_T1_T2_jT3_P12ihipStream_tbPNSt15iterator_traitsISE_E10value_typeEPNSK_ISF_E10value_typeEPSG_NS1_7vsmem_tEENKUlT_SE_SF_SG_E_clIS8_S8_S9_S9_EESD_ST_SE_SF_SG_EUlST_E1_NS1_11comp_targetILNS1_3genE3ELNS1_11target_archE908ELNS1_3gpuE7ELNS1_3repE0EEENS1_36merge_oddeven_config_static_selectorELNS0_4arch9wavefront6targetE1EEEvSF_ ; -- Begin function _ZN7rocprim17ROCPRIM_400000_NS6detail17trampoline_kernelINS0_14default_configENS1_38merge_sort_block_merge_config_selectorIhNS0_10empty_typeEEEZZNS1_27merge_sort_block_merge_implIS3_PhPS5_jNS1_19radix_merge_compareILb0ELb1EhNS0_19identity_decomposerEEEEE10hipError_tT0_T1_T2_jT3_P12ihipStream_tbPNSt15iterator_traitsISE_E10value_typeEPNSK_ISF_E10value_typeEPSG_NS1_7vsmem_tEENKUlT_SE_SF_SG_E_clIS8_S8_S9_S9_EESD_ST_SE_SF_SG_EUlST_E1_NS1_11comp_targetILNS1_3genE3ELNS1_11target_archE908ELNS1_3gpuE7ELNS1_3repE0EEENS1_36merge_oddeven_config_static_selectorELNS0_4arch9wavefront6targetE1EEEvSF_
	.globl	_ZN7rocprim17ROCPRIM_400000_NS6detail17trampoline_kernelINS0_14default_configENS1_38merge_sort_block_merge_config_selectorIhNS0_10empty_typeEEEZZNS1_27merge_sort_block_merge_implIS3_PhPS5_jNS1_19radix_merge_compareILb0ELb1EhNS0_19identity_decomposerEEEEE10hipError_tT0_T1_T2_jT3_P12ihipStream_tbPNSt15iterator_traitsISE_E10value_typeEPNSK_ISF_E10value_typeEPSG_NS1_7vsmem_tEENKUlT_SE_SF_SG_E_clIS8_S8_S9_S9_EESD_ST_SE_SF_SG_EUlST_E1_NS1_11comp_targetILNS1_3genE3ELNS1_11target_archE908ELNS1_3gpuE7ELNS1_3repE0EEENS1_36merge_oddeven_config_static_selectorELNS0_4arch9wavefront6targetE1EEEvSF_
	.p2align	8
	.type	_ZN7rocprim17ROCPRIM_400000_NS6detail17trampoline_kernelINS0_14default_configENS1_38merge_sort_block_merge_config_selectorIhNS0_10empty_typeEEEZZNS1_27merge_sort_block_merge_implIS3_PhPS5_jNS1_19radix_merge_compareILb0ELb1EhNS0_19identity_decomposerEEEEE10hipError_tT0_T1_T2_jT3_P12ihipStream_tbPNSt15iterator_traitsISE_E10value_typeEPNSK_ISF_E10value_typeEPSG_NS1_7vsmem_tEENKUlT_SE_SF_SG_E_clIS8_S8_S9_S9_EESD_ST_SE_SF_SG_EUlST_E1_NS1_11comp_targetILNS1_3genE3ELNS1_11target_archE908ELNS1_3gpuE7ELNS1_3repE0EEENS1_36merge_oddeven_config_static_selectorELNS0_4arch9wavefront6targetE1EEEvSF_,@function
_ZN7rocprim17ROCPRIM_400000_NS6detail17trampoline_kernelINS0_14default_configENS1_38merge_sort_block_merge_config_selectorIhNS0_10empty_typeEEEZZNS1_27merge_sort_block_merge_implIS3_PhPS5_jNS1_19radix_merge_compareILb0ELb1EhNS0_19identity_decomposerEEEEE10hipError_tT0_T1_T2_jT3_P12ihipStream_tbPNSt15iterator_traitsISE_E10value_typeEPNSK_ISF_E10value_typeEPSG_NS1_7vsmem_tEENKUlT_SE_SF_SG_E_clIS8_S8_S9_S9_EESD_ST_SE_SF_SG_EUlST_E1_NS1_11comp_targetILNS1_3genE3ELNS1_11target_archE908ELNS1_3gpuE7ELNS1_3repE0EEENS1_36merge_oddeven_config_static_selectorELNS0_4arch9wavefront6targetE1EEEvSF_: ; @_ZN7rocprim17ROCPRIM_400000_NS6detail17trampoline_kernelINS0_14default_configENS1_38merge_sort_block_merge_config_selectorIhNS0_10empty_typeEEEZZNS1_27merge_sort_block_merge_implIS3_PhPS5_jNS1_19radix_merge_compareILb0ELb1EhNS0_19identity_decomposerEEEEE10hipError_tT0_T1_T2_jT3_P12ihipStream_tbPNSt15iterator_traitsISE_E10value_typeEPNSK_ISF_E10value_typeEPSG_NS1_7vsmem_tEENKUlT_SE_SF_SG_E_clIS8_S8_S9_S9_EESD_ST_SE_SF_SG_EUlST_E1_NS1_11comp_targetILNS1_3genE3ELNS1_11target_archE908ELNS1_3gpuE7ELNS1_3repE0EEENS1_36merge_oddeven_config_static_selectorELNS0_4arch9wavefront6targetE1EEEvSF_
; %bb.0:
	.section	.rodata,"a",@progbits
	.p2align	6, 0x0
	.amdhsa_kernel _ZN7rocprim17ROCPRIM_400000_NS6detail17trampoline_kernelINS0_14default_configENS1_38merge_sort_block_merge_config_selectorIhNS0_10empty_typeEEEZZNS1_27merge_sort_block_merge_implIS3_PhPS5_jNS1_19radix_merge_compareILb0ELb1EhNS0_19identity_decomposerEEEEE10hipError_tT0_T1_T2_jT3_P12ihipStream_tbPNSt15iterator_traitsISE_E10value_typeEPNSK_ISF_E10value_typeEPSG_NS1_7vsmem_tEENKUlT_SE_SF_SG_E_clIS8_S8_S9_S9_EESD_ST_SE_SF_SG_EUlST_E1_NS1_11comp_targetILNS1_3genE3ELNS1_11target_archE908ELNS1_3gpuE7ELNS1_3repE0EEENS1_36merge_oddeven_config_static_selectorELNS0_4arch9wavefront6targetE1EEEvSF_
		.amdhsa_group_segment_fixed_size 0
		.amdhsa_private_segment_fixed_size 0
		.amdhsa_kernarg_size 48
		.amdhsa_user_sgpr_count 6
		.amdhsa_user_sgpr_private_segment_buffer 1
		.amdhsa_user_sgpr_dispatch_ptr 0
		.amdhsa_user_sgpr_queue_ptr 0
		.amdhsa_user_sgpr_kernarg_segment_ptr 1
		.amdhsa_user_sgpr_dispatch_id 0
		.amdhsa_user_sgpr_flat_scratch_init 0
		.amdhsa_user_sgpr_kernarg_preload_length 0
		.amdhsa_user_sgpr_kernarg_preload_offset 0
		.amdhsa_user_sgpr_private_segment_size 0
		.amdhsa_uses_dynamic_stack 0
		.amdhsa_system_sgpr_private_segment_wavefront_offset 0
		.amdhsa_system_sgpr_workgroup_id_x 1
		.amdhsa_system_sgpr_workgroup_id_y 0
		.amdhsa_system_sgpr_workgroup_id_z 0
		.amdhsa_system_sgpr_workgroup_info 0
		.amdhsa_system_vgpr_workitem_id 0
		.amdhsa_next_free_vgpr 1
		.amdhsa_next_free_sgpr 0
		.amdhsa_accum_offset 4
		.amdhsa_reserve_vcc 0
		.amdhsa_reserve_flat_scratch 0
		.amdhsa_float_round_mode_32 0
		.amdhsa_float_round_mode_16_64 0
		.amdhsa_float_denorm_mode_32 3
		.amdhsa_float_denorm_mode_16_64 3
		.amdhsa_dx10_clamp 1
		.amdhsa_ieee_mode 1
		.amdhsa_fp16_overflow 0
		.amdhsa_tg_split 0
		.amdhsa_exception_fp_ieee_invalid_op 0
		.amdhsa_exception_fp_denorm_src 0
		.amdhsa_exception_fp_ieee_div_zero 0
		.amdhsa_exception_fp_ieee_overflow 0
		.amdhsa_exception_fp_ieee_underflow 0
		.amdhsa_exception_fp_ieee_inexact 0
		.amdhsa_exception_int_div_zero 0
	.end_amdhsa_kernel
	.section	.text._ZN7rocprim17ROCPRIM_400000_NS6detail17trampoline_kernelINS0_14default_configENS1_38merge_sort_block_merge_config_selectorIhNS0_10empty_typeEEEZZNS1_27merge_sort_block_merge_implIS3_PhPS5_jNS1_19radix_merge_compareILb0ELb1EhNS0_19identity_decomposerEEEEE10hipError_tT0_T1_T2_jT3_P12ihipStream_tbPNSt15iterator_traitsISE_E10value_typeEPNSK_ISF_E10value_typeEPSG_NS1_7vsmem_tEENKUlT_SE_SF_SG_E_clIS8_S8_S9_S9_EESD_ST_SE_SF_SG_EUlST_E1_NS1_11comp_targetILNS1_3genE3ELNS1_11target_archE908ELNS1_3gpuE7ELNS1_3repE0EEENS1_36merge_oddeven_config_static_selectorELNS0_4arch9wavefront6targetE1EEEvSF_,"axG",@progbits,_ZN7rocprim17ROCPRIM_400000_NS6detail17trampoline_kernelINS0_14default_configENS1_38merge_sort_block_merge_config_selectorIhNS0_10empty_typeEEEZZNS1_27merge_sort_block_merge_implIS3_PhPS5_jNS1_19radix_merge_compareILb0ELb1EhNS0_19identity_decomposerEEEEE10hipError_tT0_T1_T2_jT3_P12ihipStream_tbPNSt15iterator_traitsISE_E10value_typeEPNSK_ISF_E10value_typeEPSG_NS1_7vsmem_tEENKUlT_SE_SF_SG_E_clIS8_S8_S9_S9_EESD_ST_SE_SF_SG_EUlST_E1_NS1_11comp_targetILNS1_3genE3ELNS1_11target_archE908ELNS1_3gpuE7ELNS1_3repE0EEENS1_36merge_oddeven_config_static_selectorELNS0_4arch9wavefront6targetE1EEEvSF_,comdat
.Lfunc_end298:
	.size	_ZN7rocprim17ROCPRIM_400000_NS6detail17trampoline_kernelINS0_14default_configENS1_38merge_sort_block_merge_config_selectorIhNS0_10empty_typeEEEZZNS1_27merge_sort_block_merge_implIS3_PhPS5_jNS1_19radix_merge_compareILb0ELb1EhNS0_19identity_decomposerEEEEE10hipError_tT0_T1_T2_jT3_P12ihipStream_tbPNSt15iterator_traitsISE_E10value_typeEPNSK_ISF_E10value_typeEPSG_NS1_7vsmem_tEENKUlT_SE_SF_SG_E_clIS8_S8_S9_S9_EESD_ST_SE_SF_SG_EUlST_E1_NS1_11comp_targetILNS1_3genE3ELNS1_11target_archE908ELNS1_3gpuE7ELNS1_3repE0EEENS1_36merge_oddeven_config_static_selectorELNS0_4arch9wavefront6targetE1EEEvSF_, .Lfunc_end298-_ZN7rocprim17ROCPRIM_400000_NS6detail17trampoline_kernelINS0_14default_configENS1_38merge_sort_block_merge_config_selectorIhNS0_10empty_typeEEEZZNS1_27merge_sort_block_merge_implIS3_PhPS5_jNS1_19radix_merge_compareILb0ELb1EhNS0_19identity_decomposerEEEEE10hipError_tT0_T1_T2_jT3_P12ihipStream_tbPNSt15iterator_traitsISE_E10value_typeEPNSK_ISF_E10value_typeEPSG_NS1_7vsmem_tEENKUlT_SE_SF_SG_E_clIS8_S8_S9_S9_EESD_ST_SE_SF_SG_EUlST_E1_NS1_11comp_targetILNS1_3genE3ELNS1_11target_archE908ELNS1_3gpuE7ELNS1_3repE0EEENS1_36merge_oddeven_config_static_selectorELNS0_4arch9wavefront6targetE1EEEvSF_
                                        ; -- End function
	.section	.AMDGPU.csdata,"",@progbits
; Kernel info:
; codeLenInByte = 0
; NumSgprs: 4
; NumVgprs: 0
; NumAgprs: 0
; TotalNumVgprs: 0
; ScratchSize: 0
; MemoryBound: 0
; FloatMode: 240
; IeeeMode: 1
; LDSByteSize: 0 bytes/workgroup (compile time only)
; SGPRBlocks: 0
; VGPRBlocks: 0
; NumSGPRsForWavesPerEU: 4
; NumVGPRsForWavesPerEU: 1
; AccumOffset: 4
; Occupancy: 8
; WaveLimiterHint : 0
; COMPUTE_PGM_RSRC2:SCRATCH_EN: 0
; COMPUTE_PGM_RSRC2:USER_SGPR: 6
; COMPUTE_PGM_RSRC2:TRAP_HANDLER: 0
; COMPUTE_PGM_RSRC2:TGID_X_EN: 1
; COMPUTE_PGM_RSRC2:TGID_Y_EN: 0
; COMPUTE_PGM_RSRC2:TGID_Z_EN: 0
; COMPUTE_PGM_RSRC2:TIDIG_COMP_CNT: 0
; COMPUTE_PGM_RSRC3_GFX90A:ACCUM_OFFSET: 0
; COMPUTE_PGM_RSRC3_GFX90A:TG_SPLIT: 0
	.section	.text._ZN7rocprim17ROCPRIM_400000_NS6detail17trampoline_kernelINS0_14default_configENS1_38merge_sort_block_merge_config_selectorIhNS0_10empty_typeEEEZZNS1_27merge_sort_block_merge_implIS3_PhPS5_jNS1_19radix_merge_compareILb0ELb1EhNS0_19identity_decomposerEEEEE10hipError_tT0_T1_T2_jT3_P12ihipStream_tbPNSt15iterator_traitsISE_E10value_typeEPNSK_ISF_E10value_typeEPSG_NS1_7vsmem_tEENKUlT_SE_SF_SG_E_clIS8_S8_S9_S9_EESD_ST_SE_SF_SG_EUlST_E1_NS1_11comp_targetILNS1_3genE2ELNS1_11target_archE906ELNS1_3gpuE6ELNS1_3repE0EEENS1_36merge_oddeven_config_static_selectorELNS0_4arch9wavefront6targetE1EEEvSF_,"axG",@progbits,_ZN7rocprim17ROCPRIM_400000_NS6detail17trampoline_kernelINS0_14default_configENS1_38merge_sort_block_merge_config_selectorIhNS0_10empty_typeEEEZZNS1_27merge_sort_block_merge_implIS3_PhPS5_jNS1_19radix_merge_compareILb0ELb1EhNS0_19identity_decomposerEEEEE10hipError_tT0_T1_T2_jT3_P12ihipStream_tbPNSt15iterator_traitsISE_E10value_typeEPNSK_ISF_E10value_typeEPSG_NS1_7vsmem_tEENKUlT_SE_SF_SG_E_clIS8_S8_S9_S9_EESD_ST_SE_SF_SG_EUlST_E1_NS1_11comp_targetILNS1_3genE2ELNS1_11target_archE906ELNS1_3gpuE6ELNS1_3repE0EEENS1_36merge_oddeven_config_static_selectorELNS0_4arch9wavefront6targetE1EEEvSF_,comdat
	.protected	_ZN7rocprim17ROCPRIM_400000_NS6detail17trampoline_kernelINS0_14default_configENS1_38merge_sort_block_merge_config_selectorIhNS0_10empty_typeEEEZZNS1_27merge_sort_block_merge_implIS3_PhPS5_jNS1_19radix_merge_compareILb0ELb1EhNS0_19identity_decomposerEEEEE10hipError_tT0_T1_T2_jT3_P12ihipStream_tbPNSt15iterator_traitsISE_E10value_typeEPNSK_ISF_E10value_typeEPSG_NS1_7vsmem_tEENKUlT_SE_SF_SG_E_clIS8_S8_S9_S9_EESD_ST_SE_SF_SG_EUlST_E1_NS1_11comp_targetILNS1_3genE2ELNS1_11target_archE906ELNS1_3gpuE6ELNS1_3repE0EEENS1_36merge_oddeven_config_static_selectorELNS0_4arch9wavefront6targetE1EEEvSF_ ; -- Begin function _ZN7rocprim17ROCPRIM_400000_NS6detail17trampoline_kernelINS0_14default_configENS1_38merge_sort_block_merge_config_selectorIhNS0_10empty_typeEEEZZNS1_27merge_sort_block_merge_implIS3_PhPS5_jNS1_19radix_merge_compareILb0ELb1EhNS0_19identity_decomposerEEEEE10hipError_tT0_T1_T2_jT3_P12ihipStream_tbPNSt15iterator_traitsISE_E10value_typeEPNSK_ISF_E10value_typeEPSG_NS1_7vsmem_tEENKUlT_SE_SF_SG_E_clIS8_S8_S9_S9_EESD_ST_SE_SF_SG_EUlST_E1_NS1_11comp_targetILNS1_3genE2ELNS1_11target_archE906ELNS1_3gpuE6ELNS1_3repE0EEENS1_36merge_oddeven_config_static_selectorELNS0_4arch9wavefront6targetE1EEEvSF_
	.globl	_ZN7rocprim17ROCPRIM_400000_NS6detail17trampoline_kernelINS0_14default_configENS1_38merge_sort_block_merge_config_selectorIhNS0_10empty_typeEEEZZNS1_27merge_sort_block_merge_implIS3_PhPS5_jNS1_19radix_merge_compareILb0ELb1EhNS0_19identity_decomposerEEEEE10hipError_tT0_T1_T2_jT3_P12ihipStream_tbPNSt15iterator_traitsISE_E10value_typeEPNSK_ISF_E10value_typeEPSG_NS1_7vsmem_tEENKUlT_SE_SF_SG_E_clIS8_S8_S9_S9_EESD_ST_SE_SF_SG_EUlST_E1_NS1_11comp_targetILNS1_3genE2ELNS1_11target_archE906ELNS1_3gpuE6ELNS1_3repE0EEENS1_36merge_oddeven_config_static_selectorELNS0_4arch9wavefront6targetE1EEEvSF_
	.p2align	8
	.type	_ZN7rocprim17ROCPRIM_400000_NS6detail17trampoline_kernelINS0_14default_configENS1_38merge_sort_block_merge_config_selectorIhNS0_10empty_typeEEEZZNS1_27merge_sort_block_merge_implIS3_PhPS5_jNS1_19radix_merge_compareILb0ELb1EhNS0_19identity_decomposerEEEEE10hipError_tT0_T1_T2_jT3_P12ihipStream_tbPNSt15iterator_traitsISE_E10value_typeEPNSK_ISF_E10value_typeEPSG_NS1_7vsmem_tEENKUlT_SE_SF_SG_E_clIS8_S8_S9_S9_EESD_ST_SE_SF_SG_EUlST_E1_NS1_11comp_targetILNS1_3genE2ELNS1_11target_archE906ELNS1_3gpuE6ELNS1_3repE0EEENS1_36merge_oddeven_config_static_selectorELNS0_4arch9wavefront6targetE1EEEvSF_,@function
_ZN7rocprim17ROCPRIM_400000_NS6detail17trampoline_kernelINS0_14default_configENS1_38merge_sort_block_merge_config_selectorIhNS0_10empty_typeEEEZZNS1_27merge_sort_block_merge_implIS3_PhPS5_jNS1_19radix_merge_compareILb0ELb1EhNS0_19identity_decomposerEEEEE10hipError_tT0_T1_T2_jT3_P12ihipStream_tbPNSt15iterator_traitsISE_E10value_typeEPNSK_ISF_E10value_typeEPSG_NS1_7vsmem_tEENKUlT_SE_SF_SG_E_clIS8_S8_S9_S9_EESD_ST_SE_SF_SG_EUlST_E1_NS1_11comp_targetILNS1_3genE2ELNS1_11target_archE906ELNS1_3gpuE6ELNS1_3repE0EEENS1_36merge_oddeven_config_static_selectorELNS0_4arch9wavefront6targetE1EEEvSF_: ; @_ZN7rocprim17ROCPRIM_400000_NS6detail17trampoline_kernelINS0_14default_configENS1_38merge_sort_block_merge_config_selectorIhNS0_10empty_typeEEEZZNS1_27merge_sort_block_merge_implIS3_PhPS5_jNS1_19radix_merge_compareILb0ELb1EhNS0_19identity_decomposerEEEEE10hipError_tT0_T1_T2_jT3_P12ihipStream_tbPNSt15iterator_traitsISE_E10value_typeEPNSK_ISF_E10value_typeEPSG_NS1_7vsmem_tEENKUlT_SE_SF_SG_E_clIS8_S8_S9_S9_EESD_ST_SE_SF_SG_EUlST_E1_NS1_11comp_targetILNS1_3genE2ELNS1_11target_archE906ELNS1_3gpuE6ELNS1_3repE0EEENS1_36merge_oddeven_config_static_selectorELNS0_4arch9wavefront6targetE1EEEvSF_
; %bb.0:
	.section	.rodata,"a",@progbits
	.p2align	6, 0x0
	.amdhsa_kernel _ZN7rocprim17ROCPRIM_400000_NS6detail17trampoline_kernelINS0_14default_configENS1_38merge_sort_block_merge_config_selectorIhNS0_10empty_typeEEEZZNS1_27merge_sort_block_merge_implIS3_PhPS5_jNS1_19radix_merge_compareILb0ELb1EhNS0_19identity_decomposerEEEEE10hipError_tT0_T1_T2_jT3_P12ihipStream_tbPNSt15iterator_traitsISE_E10value_typeEPNSK_ISF_E10value_typeEPSG_NS1_7vsmem_tEENKUlT_SE_SF_SG_E_clIS8_S8_S9_S9_EESD_ST_SE_SF_SG_EUlST_E1_NS1_11comp_targetILNS1_3genE2ELNS1_11target_archE906ELNS1_3gpuE6ELNS1_3repE0EEENS1_36merge_oddeven_config_static_selectorELNS0_4arch9wavefront6targetE1EEEvSF_
		.amdhsa_group_segment_fixed_size 0
		.amdhsa_private_segment_fixed_size 0
		.amdhsa_kernarg_size 48
		.amdhsa_user_sgpr_count 6
		.amdhsa_user_sgpr_private_segment_buffer 1
		.amdhsa_user_sgpr_dispatch_ptr 0
		.amdhsa_user_sgpr_queue_ptr 0
		.amdhsa_user_sgpr_kernarg_segment_ptr 1
		.amdhsa_user_sgpr_dispatch_id 0
		.amdhsa_user_sgpr_flat_scratch_init 0
		.amdhsa_user_sgpr_kernarg_preload_length 0
		.amdhsa_user_sgpr_kernarg_preload_offset 0
		.amdhsa_user_sgpr_private_segment_size 0
		.amdhsa_uses_dynamic_stack 0
		.amdhsa_system_sgpr_private_segment_wavefront_offset 0
		.amdhsa_system_sgpr_workgroup_id_x 1
		.amdhsa_system_sgpr_workgroup_id_y 0
		.amdhsa_system_sgpr_workgroup_id_z 0
		.amdhsa_system_sgpr_workgroup_info 0
		.amdhsa_system_vgpr_workitem_id 0
		.amdhsa_next_free_vgpr 1
		.amdhsa_next_free_sgpr 0
		.amdhsa_accum_offset 4
		.amdhsa_reserve_vcc 0
		.amdhsa_reserve_flat_scratch 0
		.amdhsa_float_round_mode_32 0
		.amdhsa_float_round_mode_16_64 0
		.amdhsa_float_denorm_mode_32 3
		.amdhsa_float_denorm_mode_16_64 3
		.amdhsa_dx10_clamp 1
		.amdhsa_ieee_mode 1
		.amdhsa_fp16_overflow 0
		.amdhsa_tg_split 0
		.amdhsa_exception_fp_ieee_invalid_op 0
		.amdhsa_exception_fp_denorm_src 0
		.amdhsa_exception_fp_ieee_div_zero 0
		.amdhsa_exception_fp_ieee_overflow 0
		.amdhsa_exception_fp_ieee_underflow 0
		.amdhsa_exception_fp_ieee_inexact 0
		.amdhsa_exception_int_div_zero 0
	.end_amdhsa_kernel
	.section	.text._ZN7rocprim17ROCPRIM_400000_NS6detail17trampoline_kernelINS0_14default_configENS1_38merge_sort_block_merge_config_selectorIhNS0_10empty_typeEEEZZNS1_27merge_sort_block_merge_implIS3_PhPS5_jNS1_19radix_merge_compareILb0ELb1EhNS0_19identity_decomposerEEEEE10hipError_tT0_T1_T2_jT3_P12ihipStream_tbPNSt15iterator_traitsISE_E10value_typeEPNSK_ISF_E10value_typeEPSG_NS1_7vsmem_tEENKUlT_SE_SF_SG_E_clIS8_S8_S9_S9_EESD_ST_SE_SF_SG_EUlST_E1_NS1_11comp_targetILNS1_3genE2ELNS1_11target_archE906ELNS1_3gpuE6ELNS1_3repE0EEENS1_36merge_oddeven_config_static_selectorELNS0_4arch9wavefront6targetE1EEEvSF_,"axG",@progbits,_ZN7rocprim17ROCPRIM_400000_NS6detail17trampoline_kernelINS0_14default_configENS1_38merge_sort_block_merge_config_selectorIhNS0_10empty_typeEEEZZNS1_27merge_sort_block_merge_implIS3_PhPS5_jNS1_19radix_merge_compareILb0ELb1EhNS0_19identity_decomposerEEEEE10hipError_tT0_T1_T2_jT3_P12ihipStream_tbPNSt15iterator_traitsISE_E10value_typeEPNSK_ISF_E10value_typeEPSG_NS1_7vsmem_tEENKUlT_SE_SF_SG_E_clIS8_S8_S9_S9_EESD_ST_SE_SF_SG_EUlST_E1_NS1_11comp_targetILNS1_3genE2ELNS1_11target_archE906ELNS1_3gpuE6ELNS1_3repE0EEENS1_36merge_oddeven_config_static_selectorELNS0_4arch9wavefront6targetE1EEEvSF_,comdat
.Lfunc_end299:
	.size	_ZN7rocprim17ROCPRIM_400000_NS6detail17trampoline_kernelINS0_14default_configENS1_38merge_sort_block_merge_config_selectorIhNS0_10empty_typeEEEZZNS1_27merge_sort_block_merge_implIS3_PhPS5_jNS1_19radix_merge_compareILb0ELb1EhNS0_19identity_decomposerEEEEE10hipError_tT0_T1_T2_jT3_P12ihipStream_tbPNSt15iterator_traitsISE_E10value_typeEPNSK_ISF_E10value_typeEPSG_NS1_7vsmem_tEENKUlT_SE_SF_SG_E_clIS8_S8_S9_S9_EESD_ST_SE_SF_SG_EUlST_E1_NS1_11comp_targetILNS1_3genE2ELNS1_11target_archE906ELNS1_3gpuE6ELNS1_3repE0EEENS1_36merge_oddeven_config_static_selectorELNS0_4arch9wavefront6targetE1EEEvSF_, .Lfunc_end299-_ZN7rocprim17ROCPRIM_400000_NS6detail17trampoline_kernelINS0_14default_configENS1_38merge_sort_block_merge_config_selectorIhNS0_10empty_typeEEEZZNS1_27merge_sort_block_merge_implIS3_PhPS5_jNS1_19radix_merge_compareILb0ELb1EhNS0_19identity_decomposerEEEEE10hipError_tT0_T1_T2_jT3_P12ihipStream_tbPNSt15iterator_traitsISE_E10value_typeEPNSK_ISF_E10value_typeEPSG_NS1_7vsmem_tEENKUlT_SE_SF_SG_E_clIS8_S8_S9_S9_EESD_ST_SE_SF_SG_EUlST_E1_NS1_11comp_targetILNS1_3genE2ELNS1_11target_archE906ELNS1_3gpuE6ELNS1_3repE0EEENS1_36merge_oddeven_config_static_selectorELNS0_4arch9wavefront6targetE1EEEvSF_
                                        ; -- End function
	.section	.AMDGPU.csdata,"",@progbits
; Kernel info:
; codeLenInByte = 0
; NumSgprs: 4
; NumVgprs: 0
; NumAgprs: 0
; TotalNumVgprs: 0
; ScratchSize: 0
; MemoryBound: 0
; FloatMode: 240
; IeeeMode: 1
; LDSByteSize: 0 bytes/workgroup (compile time only)
; SGPRBlocks: 0
; VGPRBlocks: 0
; NumSGPRsForWavesPerEU: 4
; NumVGPRsForWavesPerEU: 1
; AccumOffset: 4
; Occupancy: 8
; WaveLimiterHint : 0
; COMPUTE_PGM_RSRC2:SCRATCH_EN: 0
; COMPUTE_PGM_RSRC2:USER_SGPR: 6
; COMPUTE_PGM_RSRC2:TRAP_HANDLER: 0
; COMPUTE_PGM_RSRC2:TGID_X_EN: 1
; COMPUTE_PGM_RSRC2:TGID_Y_EN: 0
; COMPUTE_PGM_RSRC2:TGID_Z_EN: 0
; COMPUTE_PGM_RSRC2:TIDIG_COMP_CNT: 0
; COMPUTE_PGM_RSRC3_GFX90A:ACCUM_OFFSET: 0
; COMPUTE_PGM_RSRC3_GFX90A:TG_SPLIT: 0
	.section	.text._ZN7rocprim17ROCPRIM_400000_NS6detail17trampoline_kernelINS0_14default_configENS1_38merge_sort_block_merge_config_selectorIhNS0_10empty_typeEEEZZNS1_27merge_sort_block_merge_implIS3_PhPS5_jNS1_19radix_merge_compareILb0ELb1EhNS0_19identity_decomposerEEEEE10hipError_tT0_T1_T2_jT3_P12ihipStream_tbPNSt15iterator_traitsISE_E10value_typeEPNSK_ISF_E10value_typeEPSG_NS1_7vsmem_tEENKUlT_SE_SF_SG_E_clIS8_S8_S9_S9_EESD_ST_SE_SF_SG_EUlST_E1_NS1_11comp_targetILNS1_3genE9ELNS1_11target_archE1100ELNS1_3gpuE3ELNS1_3repE0EEENS1_36merge_oddeven_config_static_selectorELNS0_4arch9wavefront6targetE1EEEvSF_,"axG",@progbits,_ZN7rocprim17ROCPRIM_400000_NS6detail17trampoline_kernelINS0_14default_configENS1_38merge_sort_block_merge_config_selectorIhNS0_10empty_typeEEEZZNS1_27merge_sort_block_merge_implIS3_PhPS5_jNS1_19radix_merge_compareILb0ELb1EhNS0_19identity_decomposerEEEEE10hipError_tT0_T1_T2_jT3_P12ihipStream_tbPNSt15iterator_traitsISE_E10value_typeEPNSK_ISF_E10value_typeEPSG_NS1_7vsmem_tEENKUlT_SE_SF_SG_E_clIS8_S8_S9_S9_EESD_ST_SE_SF_SG_EUlST_E1_NS1_11comp_targetILNS1_3genE9ELNS1_11target_archE1100ELNS1_3gpuE3ELNS1_3repE0EEENS1_36merge_oddeven_config_static_selectorELNS0_4arch9wavefront6targetE1EEEvSF_,comdat
	.protected	_ZN7rocprim17ROCPRIM_400000_NS6detail17trampoline_kernelINS0_14default_configENS1_38merge_sort_block_merge_config_selectorIhNS0_10empty_typeEEEZZNS1_27merge_sort_block_merge_implIS3_PhPS5_jNS1_19radix_merge_compareILb0ELb1EhNS0_19identity_decomposerEEEEE10hipError_tT0_T1_T2_jT3_P12ihipStream_tbPNSt15iterator_traitsISE_E10value_typeEPNSK_ISF_E10value_typeEPSG_NS1_7vsmem_tEENKUlT_SE_SF_SG_E_clIS8_S8_S9_S9_EESD_ST_SE_SF_SG_EUlST_E1_NS1_11comp_targetILNS1_3genE9ELNS1_11target_archE1100ELNS1_3gpuE3ELNS1_3repE0EEENS1_36merge_oddeven_config_static_selectorELNS0_4arch9wavefront6targetE1EEEvSF_ ; -- Begin function _ZN7rocprim17ROCPRIM_400000_NS6detail17trampoline_kernelINS0_14default_configENS1_38merge_sort_block_merge_config_selectorIhNS0_10empty_typeEEEZZNS1_27merge_sort_block_merge_implIS3_PhPS5_jNS1_19radix_merge_compareILb0ELb1EhNS0_19identity_decomposerEEEEE10hipError_tT0_T1_T2_jT3_P12ihipStream_tbPNSt15iterator_traitsISE_E10value_typeEPNSK_ISF_E10value_typeEPSG_NS1_7vsmem_tEENKUlT_SE_SF_SG_E_clIS8_S8_S9_S9_EESD_ST_SE_SF_SG_EUlST_E1_NS1_11comp_targetILNS1_3genE9ELNS1_11target_archE1100ELNS1_3gpuE3ELNS1_3repE0EEENS1_36merge_oddeven_config_static_selectorELNS0_4arch9wavefront6targetE1EEEvSF_
	.globl	_ZN7rocprim17ROCPRIM_400000_NS6detail17trampoline_kernelINS0_14default_configENS1_38merge_sort_block_merge_config_selectorIhNS0_10empty_typeEEEZZNS1_27merge_sort_block_merge_implIS3_PhPS5_jNS1_19radix_merge_compareILb0ELb1EhNS0_19identity_decomposerEEEEE10hipError_tT0_T1_T2_jT3_P12ihipStream_tbPNSt15iterator_traitsISE_E10value_typeEPNSK_ISF_E10value_typeEPSG_NS1_7vsmem_tEENKUlT_SE_SF_SG_E_clIS8_S8_S9_S9_EESD_ST_SE_SF_SG_EUlST_E1_NS1_11comp_targetILNS1_3genE9ELNS1_11target_archE1100ELNS1_3gpuE3ELNS1_3repE0EEENS1_36merge_oddeven_config_static_selectorELNS0_4arch9wavefront6targetE1EEEvSF_
	.p2align	8
	.type	_ZN7rocprim17ROCPRIM_400000_NS6detail17trampoline_kernelINS0_14default_configENS1_38merge_sort_block_merge_config_selectorIhNS0_10empty_typeEEEZZNS1_27merge_sort_block_merge_implIS3_PhPS5_jNS1_19radix_merge_compareILb0ELb1EhNS0_19identity_decomposerEEEEE10hipError_tT0_T1_T2_jT3_P12ihipStream_tbPNSt15iterator_traitsISE_E10value_typeEPNSK_ISF_E10value_typeEPSG_NS1_7vsmem_tEENKUlT_SE_SF_SG_E_clIS8_S8_S9_S9_EESD_ST_SE_SF_SG_EUlST_E1_NS1_11comp_targetILNS1_3genE9ELNS1_11target_archE1100ELNS1_3gpuE3ELNS1_3repE0EEENS1_36merge_oddeven_config_static_selectorELNS0_4arch9wavefront6targetE1EEEvSF_,@function
_ZN7rocprim17ROCPRIM_400000_NS6detail17trampoline_kernelINS0_14default_configENS1_38merge_sort_block_merge_config_selectorIhNS0_10empty_typeEEEZZNS1_27merge_sort_block_merge_implIS3_PhPS5_jNS1_19radix_merge_compareILb0ELb1EhNS0_19identity_decomposerEEEEE10hipError_tT0_T1_T2_jT3_P12ihipStream_tbPNSt15iterator_traitsISE_E10value_typeEPNSK_ISF_E10value_typeEPSG_NS1_7vsmem_tEENKUlT_SE_SF_SG_E_clIS8_S8_S9_S9_EESD_ST_SE_SF_SG_EUlST_E1_NS1_11comp_targetILNS1_3genE9ELNS1_11target_archE1100ELNS1_3gpuE3ELNS1_3repE0EEENS1_36merge_oddeven_config_static_selectorELNS0_4arch9wavefront6targetE1EEEvSF_: ; @_ZN7rocprim17ROCPRIM_400000_NS6detail17trampoline_kernelINS0_14default_configENS1_38merge_sort_block_merge_config_selectorIhNS0_10empty_typeEEEZZNS1_27merge_sort_block_merge_implIS3_PhPS5_jNS1_19radix_merge_compareILb0ELb1EhNS0_19identity_decomposerEEEEE10hipError_tT0_T1_T2_jT3_P12ihipStream_tbPNSt15iterator_traitsISE_E10value_typeEPNSK_ISF_E10value_typeEPSG_NS1_7vsmem_tEENKUlT_SE_SF_SG_E_clIS8_S8_S9_S9_EESD_ST_SE_SF_SG_EUlST_E1_NS1_11comp_targetILNS1_3genE9ELNS1_11target_archE1100ELNS1_3gpuE3ELNS1_3repE0EEENS1_36merge_oddeven_config_static_selectorELNS0_4arch9wavefront6targetE1EEEvSF_
; %bb.0:
	.section	.rodata,"a",@progbits
	.p2align	6, 0x0
	.amdhsa_kernel _ZN7rocprim17ROCPRIM_400000_NS6detail17trampoline_kernelINS0_14default_configENS1_38merge_sort_block_merge_config_selectorIhNS0_10empty_typeEEEZZNS1_27merge_sort_block_merge_implIS3_PhPS5_jNS1_19radix_merge_compareILb0ELb1EhNS0_19identity_decomposerEEEEE10hipError_tT0_T1_T2_jT3_P12ihipStream_tbPNSt15iterator_traitsISE_E10value_typeEPNSK_ISF_E10value_typeEPSG_NS1_7vsmem_tEENKUlT_SE_SF_SG_E_clIS8_S8_S9_S9_EESD_ST_SE_SF_SG_EUlST_E1_NS1_11comp_targetILNS1_3genE9ELNS1_11target_archE1100ELNS1_3gpuE3ELNS1_3repE0EEENS1_36merge_oddeven_config_static_selectorELNS0_4arch9wavefront6targetE1EEEvSF_
		.amdhsa_group_segment_fixed_size 0
		.amdhsa_private_segment_fixed_size 0
		.amdhsa_kernarg_size 48
		.amdhsa_user_sgpr_count 6
		.amdhsa_user_sgpr_private_segment_buffer 1
		.amdhsa_user_sgpr_dispatch_ptr 0
		.amdhsa_user_sgpr_queue_ptr 0
		.amdhsa_user_sgpr_kernarg_segment_ptr 1
		.amdhsa_user_sgpr_dispatch_id 0
		.amdhsa_user_sgpr_flat_scratch_init 0
		.amdhsa_user_sgpr_kernarg_preload_length 0
		.amdhsa_user_sgpr_kernarg_preload_offset 0
		.amdhsa_user_sgpr_private_segment_size 0
		.amdhsa_uses_dynamic_stack 0
		.amdhsa_system_sgpr_private_segment_wavefront_offset 0
		.amdhsa_system_sgpr_workgroup_id_x 1
		.amdhsa_system_sgpr_workgroup_id_y 0
		.amdhsa_system_sgpr_workgroup_id_z 0
		.amdhsa_system_sgpr_workgroup_info 0
		.amdhsa_system_vgpr_workitem_id 0
		.amdhsa_next_free_vgpr 1
		.amdhsa_next_free_sgpr 0
		.amdhsa_accum_offset 4
		.amdhsa_reserve_vcc 0
		.amdhsa_reserve_flat_scratch 0
		.amdhsa_float_round_mode_32 0
		.amdhsa_float_round_mode_16_64 0
		.amdhsa_float_denorm_mode_32 3
		.amdhsa_float_denorm_mode_16_64 3
		.amdhsa_dx10_clamp 1
		.amdhsa_ieee_mode 1
		.amdhsa_fp16_overflow 0
		.amdhsa_tg_split 0
		.amdhsa_exception_fp_ieee_invalid_op 0
		.amdhsa_exception_fp_denorm_src 0
		.amdhsa_exception_fp_ieee_div_zero 0
		.amdhsa_exception_fp_ieee_overflow 0
		.amdhsa_exception_fp_ieee_underflow 0
		.amdhsa_exception_fp_ieee_inexact 0
		.amdhsa_exception_int_div_zero 0
	.end_amdhsa_kernel
	.section	.text._ZN7rocprim17ROCPRIM_400000_NS6detail17trampoline_kernelINS0_14default_configENS1_38merge_sort_block_merge_config_selectorIhNS0_10empty_typeEEEZZNS1_27merge_sort_block_merge_implIS3_PhPS5_jNS1_19radix_merge_compareILb0ELb1EhNS0_19identity_decomposerEEEEE10hipError_tT0_T1_T2_jT3_P12ihipStream_tbPNSt15iterator_traitsISE_E10value_typeEPNSK_ISF_E10value_typeEPSG_NS1_7vsmem_tEENKUlT_SE_SF_SG_E_clIS8_S8_S9_S9_EESD_ST_SE_SF_SG_EUlST_E1_NS1_11comp_targetILNS1_3genE9ELNS1_11target_archE1100ELNS1_3gpuE3ELNS1_3repE0EEENS1_36merge_oddeven_config_static_selectorELNS0_4arch9wavefront6targetE1EEEvSF_,"axG",@progbits,_ZN7rocprim17ROCPRIM_400000_NS6detail17trampoline_kernelINS0_14default_configENS1_38merge_sort_block_merge_config_selectorIhNS0_10empty_typeEEEZZNS1_27merge_sort_block_merge_implIS3_PhPS5_jNS1_19radix_merge_compareILb0ELb1EhNS0_19identity_decomposerEEEEE10hipError_tT0_T1_T2_jT3_P12ihipStream_tbPNSt15iterator_traitsISE_E10value_typeEPNSK_ISF_E10value_typeEPSG_NS1_7vsmem_tEENKUlT_SE_SF_SG_E_clIS8_S8_S9_S9_EESD_ST_SE_SF_SG_EUlST_E1_NS1_11comp_targetILNS1_3genE9ELNS1_11target_archE1100ELNS1_3gpuE3ELNS1_3repE0EEENS1_36merge_oddeven_config_static_selectorELNS0_4arch9wavefront6targetE1EEEvSF_,comdat
.Lfunc_end300:
	.size	_ZN7rocprim17ROCPRIM_400000_NS6detail17trampoline_kernelINS0_14default_configENS1_38merge_sort_block_merge_config_selectorIhNS0_10empty_typeEEEZZNS1_27merge_sort_block_merge_implIS3_PhPS5_jNS1_19radix_merge_compareILb0ELb1EhNS0_19identity_decomposerEEEEE10hipError_tT0_T1_T2_jT3_P12ihipStream_tbPNSt15iterator_traitsISE_E10value_typeEPNSK_ISF_E10value_typeEPSG_NS1_7vsmem_tEENKUlT_SE_SF_SG_E_clIS8_S8_S9_S9_EESD_ST_SE_SF_SG_EUlST_E1_NS1_11comp_targetILNS1_3genE9ELNS1_11target_archE1100ELNS1_3gpuE3ELNS1_3repE0EEENS1_36merge_oddeven_config_static_selectorELNS0_4arch9wavefront6targetE1EEEvSF_, .Lfunc_end300-_ZN7rocprim17ROCPRIM_400000_NS6detail17trampoline_kernelINS0_14default_configENS1_38merge_sort_block_merge_config_selectorIhNS0_10empty_typeEEEZZNS1_27merge_sort_block_merge_implIS3_PhPS5_jNS1_19radix_merge_compareILb0ELb1EhNS0_19identity_decomposerEEEEE10hipError_tT0_T1_T2_jT3_P12ihipStream_tbPNSt15iterator_traitsISE_E10value_typeEPNSK_ISF_E10value_typeEPSG_NS1_7vsmem_tEENKUlT_SE_SF_SG_E_clIS8_S8_S9_S9_EESD_ST_SE_SF_SG_EUlST_E1_NS1_11comp_targetILNS1_3genE9ELNS1_11target_archE1100ELNS1_3gpuE3ELNS1_3repE0EEENS1_36merge_oddeven_config_static_selectorELNS0_4arch9wavefront6targetE1EEEvSF_
                                        ; -- End function
	.section	.AMDGPU.csdata,"",@progbits
; Kernel info:
; codeLenInByte = 0
; NumSgprs: 4
; NumVgprs: 0
; NumAgprs: 0
; TotalNumVgprs: 0
; ScratchSize: 0
; MemoryBound: 0
; FloatMode: 240
; IeeeMode: 1
; LDSByteSize: 0 bytes/workgroup (compile time only)
; SGPRBlocks: 0
; VGPRBlocks: 0
; NumSGPRsForWavesPerEU: 4
; NumVGPRsForWavesPerEU: 1
; AccumOffset: 4
; Occupancy: 8
; WaveLimiterHint : 0
; COMPUTE_PGM_RSRC2:SCRATCH_EN: 0
; COMPUTE_PGM_RSRC2:USER_SGPR: 6
; COMPUTE_PGM_RSRC2:TRAP_HANDLER: 0
; COMPUTE_PGM_RSRC2:TGID_X_EN: 1
; COMPUTE_PGM_RSRC2:TGID_Y_EN: 0
; COMPUTE_PGM_RSRC2:TGID_Z_EN: 0
; COMPUTE_PGM_RSRC2:TIDIG_COMP_CNT: 0
; COMPUTE_PGM_RSRC3_GFX90A:ACCUM_OFFSET: 0
; COMPUTE_PGM_RSRC3_GFX90A:TG_SPLIT: 0
	.section	.text._ZN7rocprim17ROCPRIM_400000_NS6detail17trampoline_kernelINS0_14default_configENS1_38merge_sort_block_merge_config_selectorIhNS0_10empty_typeEEEZZNS1_27merge_sort_block_merge_implIS3_PhPS5_jNS1_19radix_merge_compareILb0ELb1EhNS0_19identity_decomposerEEEEE10hipError_tT0_T1_T2_jT3_P12ihipStream_tbPNSt15iterator_traitsISE_E10value_typeEPNSK_ISF_E10value_typeEPSG_NS1_7vsmem_tEENKUlT_SE_SF_SG_E_clIS8_S8_S9_S9_EESD_ST_SE_SF_SG_EUlST_E1_NS1_11comp_targetILNS1_3genE8ELNS1_11target_archE1030ELNS1_3gpuE2ELNS1_3repE0EEENS1_36merge_oddeven_config_static_selectorELNS0_4arch9wavefront6targetE1EEEvSF_,"axG",@progbits,_ZN7rocprim17ROCPRIM_400000_NS6detail17trampoline_kernelINS0_14default_configENS1_38merge_sort_block_merge_config_selectorIhNS0_10empty_typeEEEZZNS1_27merge_sort_block_merge_implIS3_PhPS5_jNS1_19radix_merge_compareILb0ELb1EhNS0_19identity_decomposerEEEEE10hipError_tT0_T1_T2_jT3_P12ihipStream_tbPNSt15iterator_traitsISE_E10value_typeEPNSK_ISF_E10value_typeEPSG_NS1_7vsmem_tEENKUlT_SE_SF_SG_E_clIS8_S8_S9_S9_EESD_ST_SE_SF_SG_EUlST_E1_NS1_11comp_targetILNS1_3genE8ELNS1_11target_archE1030ELNS1_3gpuE2ELNS1_3repE0EEENS1_36merge_oddeven_config_static_selectorELNS0_4arch9wavefront6targetE1EEEvSF_,comdat
	.protected	_ZN7rocprim17ROCPRIM_400000_NS6detail17trampoline_kernelINS0_14default_configENS1_38merge_sort_block_merge_config_selectorIhNS0_10empty_typeEEEZZNS1_27merge_sort_block_merge_implIS3_PhPS5_jNS1_19radix_merge_compareILb0ELb1EhNS0_19identity_decomposerEEEEE10hipError_tT0_T1_T2_jT3_P12ihipStream_tbPNSt15iterator_traitsISE_E10value_typeEPNSK_ISF_E10value_typeEPSG_NS1_7vsmem_tEENKUlT_SE_SF_SG_E_clIS8_S8_S9_S9_EESD_ST_SE_SF_SG_EUlST_E1_NS1_11comp_targetILNS1_3genE8ELNS1_11target_archE1030ELNS1_3gpuE2ELNS1_3repE0EEENS1_36merge_oddeven_config_static_selectorELNS0_4arch9wavefront6targetE1EEEvSF_ ; -- Begin function _ZN7rocprim17ROCPRIM_400000_NS6detail17trampoline_kernelINS0_14default_configENS1_38merge_sort_block_merge_config_selectorIhNS0_10empty_typeEEEZZNS1_27merge_sort_block_merge_implIS3_PhPS5_jNS1_19radix_merge_compareILb0ELb1EhNS0_19identity_decomposerEEEEE10hipError_tT0_T1_T2_jT3_P12ihipStream_tbPNSt15iterator_traitsISE_E10value_typeEPNSK_ISF_E10value_typeEPSG_NS1_7vsmem_tEENKUlT_SE_SF_SG_E_clIS8_S8_S9_S9_EESD_ST_SE_SF_SG_EUlST_E1_NS1_11comp_targetILNS1_3genE8ELNS1_11target_archE1030ELNS1_3gpuE2ELNS1_3repE0EEENS1_36merge_oddeven_config_static_selectorELNS0_4arch9wavefront6targetE1EEEvSF_
	.globl	_ZN7rocprim17ROCPRIM_400000_NS6detail17trampoline_kernelINS0_14default_configENS1_38merge_sort_block_merge_config_selectorIhNS0_10empty_typeEEEZZNS1_27merge_sort_block_merge_implIS3_PhPS5_jNS1_19radix_merge_compareILb0ELb1EhNS0_19identity_decomposerEEEEE10hipError_tT0_T1_T2_jT3_P12ihipStream_tbPNSt15iterator_traitsISE_E10value_typeEPNSK_ISF_E10value_typeEPSG_NS1_7vsmem_tEENKUlT_SE_SF_SG_E_clIS8_S8_S9_S9_EESD_ST_SE_SF_SG_EUlST_E1_NS1_11comp_targetILNS1_3genE8ELNS1_11target_archE1030ELNS1_3gpuE2ELNS1_3repE0EEENS1_36merge_oddeven_config_static_selectorELNS0_4arch9wavefront6targetE1EEEvSF_
	.p2align	8
	.type	_ZN7rocprim17ROCPRIM_400000_NS6detail17trampoline_kernelINS0_14default_configENS1_38merge_sort_block_merge_config_selectorIhNS0_10empty_typeEEEZZNS1_27merge_sort_block_merge_implIS3_PhPS5_jNS1_19radix_merge_compareILb0ELb1EhNS0_19identity_decomposerEEEEE10hipError_tT0_T1_T2_jT3_P12ihipStream_tbPNSt15iterator_traitsISE_E10value_typeEPNSK_ISF_E10value_typeEPSG_NS1_7vsmem_tEENKUlT_SE_SF_SG_E_clIS8_S8_S9_S9_EESD_ST_SE_SF_SG_EUlST_E1_NS1_11comp_targetILNS1_3genE8ELNS1_11target_archE1030ELNS1_3gpuE2ELNS1_3repE0EEENS1_36merge_oddeven_config_static_selectorELNS0_4arch9wavefront6targetE1EEEvSF_,@function
_ZN7rocprim17ROCPRIM_400000_NS6detail17trampoline_kernelINS0_14default_configENS1_38merge_sort_block_merge_config_selectorIhNS0_10empty_typeEEEZZNS1_27merge_sort_block_merge_implIS3_PhPS5_jNS1_19radix_merge_compareILb0ELb1EhNS0_19identity_decomposerEEEEE10hipError_tT0_T1_T2_jT3_P12ihipStream_tbPNSt15iterator_traitsISE_E10value_typeEPNSK_ISF_E10value_typeEPSG_NS1_7vsmem_tEENKUlT_SE_SF_SG_E_clIS8_S8_S9_S9_EESD_ST_SE_SF_SG_EUlST_E1_NS1_11comp_targetILNS1_3genE8ELNS1_11target_archE1030ELNS1_3gpuE2ELNS1_3repE0EEENS1_36merge_oddeven_config_static_selectorELNS0_4arch9wavefront6targetE1EEEvSF_: ; @_ZN7rocprim17ROCPRIM_400000_NS6detail17trampoline_kernelINS0_14default_configENS1_38merge_sort_block_merge_config_selectorIhNS0_10empty_typeEEEZZNS1_27merge_sort_block_merge_implIS3_PhPS5_jNS1_19radix_merge_compareILb0ELb1EhNS0_19identity_decomposerEEEEE10hipError_tT0_T1_T2_jT3_P12ihipStream_tbPNSt15iterator_traitsISE_E10value_typeEPNSK_ISF_E10value_typeEPSG_NS1_7vsmem_tEENKUlT_SE_SF_SG_E_clIS8_S8_S9_S9_EESD_ST_SE_SF_SG_EUlST_E1_NS1_11comp_targetILNS1_3genE8ELNS1_11target_archE1030ELNS1_3gpuE2ELNS1_3repE0EEENS1_36merge_oddeven_config_static_selectorELNS0_4arch9wavefront6targetE1EEEvSF_
; %bb.0:
	.section	.rodata,"a",@progbits
	.p2align	6, 0x0
	.amdhsa_kernel _ZN7rocprim17ROCPRIM_400000_NS6detail17trampoline_kernelINS0_14default_configENS1_38merge_sort_block_merge_config_selectorIhNS0_10empty_typeEEEZZNS1_27merge_sort_block_merge_implIS3_PhPS5_jNS1_19radix_merge_compareILb0ELb1EhNS0_19identity_decomposerEEEEE10hipError_tT0_T1_T2_jT3_P12ihipStream_tbPNSt15iterator_traitsISE_E10value_typeEPNSK_ISF_E10value_typeEPSG_NS1_7vsmem_tEENKUlT_SE_SF_SG_E_clIS8_S8_S9_S9_EESD_ST_SE_SF_SG_EUlST_E1_NS1_11comp_targetILNS1_3genE8ELNS1_11target_archE1030ELNS1_3gpuE2ELNS1_3repE0EEENS1_36merge_oddeven_config_static_selectorELNS0_4arch9wavefront6targetE1EEEvSF_
		.amdhsa_group_segment_fixed_size 0
		.amdhsa_private_segment_fixed_size 0
		.amdhsa_kernarg_size 48
		.amdhsa_user_sgpr_count 6
		.amdhsa_user_sgpr_private_segment_buffer 1
		.amdhsa_user_sgpr_dispatch_ptr 0
		.amdhsa_user_sgpr_queue_ptr 0
		.amdhsa_user_sgpr_kernarg_segment_ptr 1
		.amdhsa_user_sgpr_dispatch_id 0
		.amdhsa_user_sgpr_flat_scratch_init 0
		.amdhsa_user_sgpr_kernarg_preload_length 0
		.amdhsa_user_sgpr_kernarg_preload_offset 0
		.amdhsa_user_sgpr_private_segment_size 0
		.amdhsa_uses_dynamic_stack 0
		.amdhsa_system_sgpr_private_segment_wavefront_offset 0
		.amdhsa_system_sgpr_workgroup_id_x 1
		.amdhsa_system_sgpr_workgroup_id_y 0
		.amdhsa_system_sgpr_workgroup_id_z 0
		.amdhsa_system_sgpr_workgroup_info 0
		.amdhsa_system_vgpr_workitem_id 0
		.amdhsa_next_free_vgpr 1
		.amdhsa_next_free_sgpr 0
		.amdhsa_accum_offset 4
		.amdhsa_reserve_vcc 0
		.amdhsa_reserve_flat_scratch 0
		.amdhsa_float_round_mode_32 0
		.amdhsa_float_round_mode_16_64 0
		.amdhsa_float_denorm_mode_32 3
		.amdhsa_float_denorm_mode_16_64 3
		.amdhsa_dx10_clamp 1
		.amdhsa_ieee_mode 1
		.amdhsa_fp16_overflow 0
		.amdhsa_tg_split 0
		.amdhsa_exception_fp_ieee_invalid_op 0
		.amdhsa_exception_fp_denorm_src 0
		.amdhsa_exception_fp_ieee_div_zero 0
		.amdhsa_exception_fp_ieee_overflow 0
		.amdhsa_exception_fp_ieee_underflow 0
		.amdhsa_exception_fp_ieee_inexact 0
		.amdhsa_exception_int_div_zero 0
	.end_amdhsa_kernel
	.section	.text._ZN7rocprim17ROCPRIM_400000_NS6detail17trampoline_kernelINS0_14default_configENS1_38merge_sort_block_merge_config_selectorIhNS0_10empty_typeEEEZZNS1_27merge_sort_block_merge_implIS3_PhPS5_jNS1_19radix_merge_compareILb0ELb1EhNS0_19identity_decomposerEEEEE10hipError_tT0_T1_T2_jT3_P12ihipStream_tbPNSt15iterator_traitsISE_E10value_typeEPNSK_ISF_E10value_typeEPSG_NS1_7vsmem_tEENKUlT_SE_SF_SG_E_clIS8_S8_S9_S9_EESD_ST_SE_SF_SG_EUlST_E1_NS1_11comp_targetILNS1_3genE8ELNS1_11target_archE1030ELNS1_3gpuE2ELNS1_3repE0EEENS1_36merge_oddeven_config_static_selectorELNS0_4arch9wavefront6targetE1EEEvSF_,"axG",@progbits,_ZN7rocprim17ROCPRIM_400000_NS6detail17trampoline_kernelINS0_14default_configENS1_38merge_sort_block_merge_config_selectorIhNS0_10empty_typeEEEZZNS1_27merge_sort_block_merge_implIS3_PhPS5_jNS1_19radix_merge_compareILb0ELb1EhNS0_19identity_decomposerEEEEE10hipError_tT0_T1_T2_jT3_P12ihipStream_tbPNSt15iterator_traitsISE_E10value_typeEPNSK_ISF_E10value_typeEPSG_NS1_7vsmem_tEENKUlT_SE_SF_SG_E_clIS8_S8_S9_S9_EESD_ST_SE_SF_SG_EUlST_E1_NS1_11comp_targetILNS1_3genE8ELNS1_11target_archE1030ELNS1_3gpuE2ELNS1_3repE0EEENS1_36merge_oddeven_config_static_selectorELNS0_4arch9wavefront6targetE1EEEvSF_,comdat
.Lfunc_end301:
	.size	_ZN7rocprim17ROCPRIM_400000_NS6detail17trampoline_kernelINS0_14default_configENS1_38merge_sort_block_merge_config_selectorIhNS0_10empty_typeEEEZZNS1_27merge_sort_block_merge_implIS3_PhPS5_jNS1_19radix_merge_compareILb0ELb1EhNS0_19identity_decomposerEEEEE10hipError_tT0_T1_T2_jT3_P12ihipStream_tbPNSt15iterator_traitsISE_E10value_typeEPNSK_ISF_E10value_typeEPSG_NS1_7vsmem_tEENKUlT_SE_SF_SG_E_clIS8_S8_S9_S9_EESD_ST_SE_SF_SG_EUlST_E1_NS1_11comp_targetILNS1_3genE8ELNS1_11target_archE1030ELNS1_3gpuE2ELNS1_3repE0EEENS1_36merge_oddeven_config_static_selectorELNS0_4arch9wavefront6targetE1EEEvSF_, .Lfunc_end301-_ZN7rocprim17ROCPRIM_400000_NS6detail17trampoline_kernelINS0_14default_configENS1_38merge_sort_block_merge_config_selectorIhNS0_10empty_typeEEEZZNS1_27merge_sort_block_merge_implIS3_PhPS5_jNS1_19radix_merge_compareILb0ELb1EhNS0_19identity_decomposerEEEEE10hipError_tT0_T1_T2_jT3_P12ihipStream_tbPNSt15iterator_traitsISE_E10value_typeEPNSK_ISF_E10value_typeEPSG_NS1_7vsmem_tEENKUlT_SE_SF_SG_E_clIS8_S8_S9_S9_EESD_ST_SE_SF_SG_EUlST_E1_NS1_11comp_targetILNS1_3genE8ELNS1_11target_archE1030ELNS1_3gpuE2ELNS1_3repE0EEENS1_36merge_oddeven_config_static_selectorELNS0_4arch9wavefront6targetE1EEEvSF_
                                        ; -- End function
	.section	.AMDGPU.csdata,"",@progbits
; Kernel info:
; codeLenInByte = 0
; NumSgprs: 4
; NumVgprs: 0
; NumAgprs: 0
; TotalNumVgprs: 0
; ScratchSize: 0
; MemoryBound: 0
; FloatMode: 240
; IeeeMode: 1
; LDSByteSize: 0 bytes/workgroup (compile time only)
; SGPRBlocks: 0
; VGPRBlocks: 0
; NumSGPRsForWavesPerEU: 4
; NumVGPRsForWavesPerEU: 1
; AccumOffset: 4
; Occupancy: 8
; WaveLimiterHint : 0
; COMPUTE_PGM_RSRC2:SCRATCH_EN: 0
; COMPUTE_PGM_RSRC2:USER_SGPR: 6
; COMPUTE_PGM_RSRC2:TRAP_HANDLER: 0
; COMPUTE_PGM_RSRC2:TGID_X_EN: 1
; COMPUTE_PGM_RSRC2:TGID_Y_EN: 0
; COMPUTE_PGM_RSRC2:TGID_Z_EN: 0
; COMPUTE_PGM_RSRC2:TIDIG_COMP_CNT: 0
; COMPUTE_PGM_RSRC3_GFX90A:ACCUM_OFFSET: 0
; COMPUTE_PGM_RSRC3_GFX90A:TG_SPLIT: 0
	.section	.text._ZN7rocprim17ROCPRIM_400000_NS6detail17trampoline_kernelINS0_14default_configENS1_35radix_sort_onesweep_config_selectorIhNS0_10empty_typeEEEZNS1_34radix_sort_onesweep_global_offsetsIS3_Lb0EPhPS5_mNS0_19identity_decomposerEEE10hipError_tT1_T2_PT3_SE_jT4_jjP12ihipStream_tbEUlT_E_NS1_11comp_targetILNS1_3genE0ELNS1_11target_archE4294967295ELNS1_3gpuE0ELNS1_3repE0EEENS1_52radix_sort_onesweep_histogram_config_static_selectorELNS0_4arch9wavefront6targetE1EEEvSC_,"axG",@progbits,_ZN7rocprim17ROCPRIM_400000_NS6detail17trampoline_kernelINS0_14default_configENS1_35radix_sort_onesweep_config_selectorIhNS0_10empty_typeEEEZNS1_34radix_sort_onesweep_global_offsetsIS3_Lb0EPhPS5_mNS0_19identity_decomposerEEE10hipError_tT1_T2_PT3_SE_jT4_jjP12ihipStream_tbEUlT_E_NS1_11comp_targetILNS1_3genE0ELNS1_11target_archE4294967295ELNS1_3gpuE0ELNS1_3repE0EEENS1_52radix_sort_onesweep_histogram_config_static_selectorELNS0_4arch9wavefront6targetE1EEEvSC_,comdat
	.protected	_ZN7rocprim17ROCPRIM_400000_NS6detail17trampoline_kernelINS0_14default_configENS1_35radix_sort_onesweep_config_selectorIhNS0_10empty_typeEEEZNS1_34radix_sort_onesweep_global_offsetsIS3_Lb0EPhPS5_mNS0_19identity_decomposerEEE10hipError_tT1_T2_PT3_SE_jT4_jjP12ihipStream_tbEUlT_E_NS1_11comp_targetILNS1_3genE0ELNS1_11target_archE4294967295ELNS1_3gpuE0ELNS1_3repE0EEENS1_52radix_sort_onesweep_histogram_config_static_selectorELNS0_4arch9wavefront6targetE1EEEvSC_ ; -- Begin function _ZN7rocprim17ROCPRIM_400000_NS6detail17trampoline_kernelINS0_14default_configENS1_35radix_sort_onesweep_config_selectorIhNS0_10empty_typeEEEZNS1_34radix_sort_onesweep_global_offsetsIS3_Lb0EPhPS5_mNS0_19identity_decomposerEEE10hipError_tT1_T2_PT3_SE_jT4_jjP12ihipStream_tbEUlT_E_NS1_11comp_targetILNS1_3genE0ELNS1_11target_archE4294967295ELNS1_3gpuE0ELNS1_3repE0EEENS1_52radix_sort_onesweep_histogram_config_static_selectorELNS0_4arch9wavefront6targetE1EEEvSC_
	.globl	_ZN7rocprim17ROCPRIM_400000_NS6detail17trampoline_kernelINS0_14default_configENS1_35radix_sort_onesweep_config_selectorIhNS0_10empty_typeEEEZNS1_34radix_sort_onesweep_global_offsetsIS3_Lb0EPhPS5_mNS0_19identity_decomposerEEE10hipError_tT1_T2_PT3_SE_jT4_jjP12ihipStream_tbEUlT_E_NS1_11comp_targetILNS1_3genE0ELNS1_11target_archE4294967295ELNS1_3gpuE0ELNS1_3repE0EEENS1_52radix_sort_onesweep_histogram_config_static_selectorELNS0_4arch9wavefront6targetE1EEEvSC_
	.p2align	8
	.type	_ZN7rocprim17ROCPRIM_400000_NS6detail17trampoline_kernelINS0_14default_configENS1_35radix_sort_onesweep_config_selectorIhNS0_10empty_typeEEEZNS1_34radix_sort_onesweep_global_offsetsIS3_Lb0EPhPS5_mNS0_19identity_decomposerEEE10hipError_tT1_T2_PT3_SE_jT4_jjP12ihipStream_tbEUlT_E_NS1_11comp_targetILNS1_3genE0ELNS1_11target_archE4294967295ELNS1_3gpuE0ELNS1_3repE0EEENS1_52radix_sort_onesweep_histogram_config_static_selectorELNS0_4arch9wavefront6targetE1EEEvSC_,@function
_ZN7rocprim17ROCPRIM_400000_NS6detail17trampoline_kernelINS0_14default_configENS1_35radix_sort_onesweep_config_selectorIhNS0_10empty_typeEEEZNS1_34radix_sort_onesweep_global_offsetsIS3_Lb0EPhPS5_mNS0_19identity_decomposerEEE10hipError_tT1_T2_PT3_SE_jT4_jjP12ihipStream_tbEUlT_E_NS1_11comp_targetILNS1_3genE0ELNS1_11target_archE4294967295ELNS1_3gpuE0ELNS1_3repE0EEENS1_52radix_sort_onesweep_histogram_config_static_selectorELNS0_4arch9wavefront6targetE1EEEvSC_: ; @_ZN7rocprim17ROCPRIM_400000_NS6detail17trampoline_kernelINS0_14default_configENS1_35radix_sort_onesweep_config_selectorIhNS0_10empty_typeEEEZNS1_34radix_sort_onesweep_global_offsetsIS3_Lb0EPhPS5_mNS0_19identity_decomposerEEE10hipError_tT1_T2_PT3_SE_jT4_jjP12ihipStream_tbEUlT_E_NS1_11comp_targetILNS1_3genE0ELNS1_11target_archE4294967295ELNS1_3gpuE0ELNS1_3repE0EEENS1_52radix_sort_onesweep_histogram_config_static_selectorELNS0_4arch9wavefront6targetE1EEEvSC_
; %bb.0:
	.section	.rodata,"a",@progbits
	.p2align	6, 0x0
	.amdhsa_kernel _ZN7rocprim17ROCPRIM_400000_NS6detail17trampoline_kernelINS0_14default_configENS1_35radix_sort_onesweep_config_selectorIhNS0_10empty_typeEEEZNS1_34radix_sort_onesweep_global_offsetsIS3_Lb0EPhPS5_mNS0_19identity_decomposerEEE10hipError_tT1_T2_PT3_SE_jT4_jjP12ihipStream_tbEUlT_E_NS1_11comp_targetILNS1_3genE0ELNS1_11target_archE4294967295ELNS1_3gpuE0ELNS1_3repE0EEENS1_52radix_sort_onesweep_histogram_config_static_selectorELNS0_4arch9wavefront6targetE1EEEvSC_
		.amdhsa_group_segment_fixed_size 0
		.amdhsa_private_segment_fixed_size 0
		.amdhsa_kernarg_size 48
		.amdhsa_user_sgpr_count 6
		.amdhsa_user_sgpr_private_segment_buffer 1
		.amdhsa_user_sgpr_dispatch_ptr 0
		.amdhsa_user_sgpr_queue_ptr 0
		.amdhsa_user_sgpr_kernarg_segment_ptr 1
		.amdhsa_user_sgpr_dispatch_id 0
		.amdhsa_user_sgpr_flat_scratch_init 0
		.amdhsa_user_sgpr_kernarg_preload_length 0
		.amdhsa_user_sgpr_kernarg_preload_offset 0
		.amdhsa_user_sgpr_private_segment_size 0
		.amdhsa_uses_dynamic_stack 0
		.amdhsa_system_sgpr_private_segment_wavefront_offset 0
		.amdhsa_system_sgpr_workgroup_id_x 1
		.amdhsa_system_sgpr_workgroup_id_y 0
		.amdhsa_system_sgpr_workgroup_id_z 0
		.amdhsa_system_sgpr_workgroup_info 0
		.amdhsa_system_vgpr_workitem_id 0
		.amdhsa_next_free_vgpr 1
		.amdhsa_next_free_sgpr 0
		.amdhsa_accum_offset 4
		.amdhsa_reserve_vcc 0
		.amdhsa_reserve_flat_scratch 0
		.amdhsa_float_round_mode_32 0
		.amdhsa_float_round_mode_16_64 0
		.amdhsa_float_denorm_mode_32 3
		.amdhsa_float_denorm_mode_16_64 3
		.amdhsa_dx10_clamp 1
		.amdhsa_ieee_mode 1
		.amdhsa_fp16_overflow 0
		.amdhsa_tg_split 0
		.amdhsa_exception_fp_ieee_invalid_op 0
		.amdhsa_exception_fp_denorm_src 0
		.amdhsa_exception_fp_ieee_div_zero 0
		.amdhsa_exception_fp_ieee_overflow 0
		.amdhsa_exception_fp_ieee_underflow 0
		.amdhsa_exception_fp_ieee_inexact 0
		.amdhsa_exception_int_div_zero 0
	.end_amdhsa_kernel
	.section	.text._ZN7rocprim17ROCPRIM_400000_NS6detail17trampoline_kernelINS0_14default_configENS1_35radix_sort_onesweep_config_selectorIhNS0_10empty_typeEEEZNS1_34radix_sort_onesweep_global_offsetsIS3_Lb0EPhPS5_mNS0_19identity_decomposerEEE10hipError_tT1_T2_PT3_SE_jT4_jjP12ihipStream_tbEUlT_E_NS1_11comp_targetILNS1_3genE0ELNS1_11target_archE4294967295ELNS1_3gpuE0ELNS1_3repE0EEENS1_52radix_sort_onesweep_histogram_config_static_selectorELNS0_4arch9wavefront6targetE1EEEvSC_,"axG",@progbits,_ZN7rocprim17ROCPRIM_400000_NS6detail17trampoline_kernelINS0_14default_configENS1_35radix_sort_onesweep_config_selectorIhNS0_10empty_typeEEEZNS1_34radix_sort_onesweep_global_offsetsIS3_Lb0EPhPS5_mNS0_19identity_decomposerEEE10hipError_tT1_T2_PT3_SE_jT4_jjP12ihipStream_tbEUlT_E_NS1_11comp_targetILNS1_3genE0ELNS1_11target_archE4294967295ELNS1_3gpuE0ELNS1_3repE0EEENS1_52radix_sort_onesweep_histogram_config_static_selectorELNS0_4arch9wavefront6targetE1EEEvSC_,comdat
.Lfunc_end302:
	.size	_ZN7rocprim17ROCPRIM_400000_NS6detail17trampoline_kernelINS0_14default_configENS1_35radix_sort_onesweep_config_selectorIhNS0_10empty_typeEEEZNS1_34radix_sort_onesweep_global_offsetsIS3_Lb0EPhPS5_mNS0_19identity_decomposerEEE10hipError_tT1_T2_PT3_SE_jT4_jjP12ihipStream_tbEUlT_E_NS1_11comp_targetILNS1_3genE0ELNS1_11target_archE4294967295ELNS1_3gpuE0ELNS1_3repE0EEENS1_52radix_sort_onesweep_histogram_config_static_selectorELNS0_4arch9wavefront6targetE1EEEvSC_, .Lfunc_end302-_ZN7rocprim17ROCPRIM_400000_NS6detail17trampoline_kernelINS0_14default_configENS1_35radix_sort_onesweep_config_selectorIhNS0_10empty_typeEEEZNS1_34radix_sort_onesweep_global_offsetsIS3_Lb0EPhPS5_mNS0_19identity_decomposerEEE10hipError_tT1_T2_PT3_SE_jT4_jjP12ihipStream_tbEUlT_E_NS1_11comp_targetILNS1_3genE0ELNS1_11target_archE4294967295ELNS1_3gpuE0ELNS1_3repE0EEENS1_52radix_sort_onesweep_histogram_config_static_selectorELNS0_4arch9wavefront6targetE1EEEvSC_
                                        ; -- End function
	.section	.AMDGPU.csdata,"",@progbits
; Kernel info:
; codeLenInByte = 0
; NumSgprs: 4
; NumVgprs: 0
; NumAgprs: 0
; TotalNumVgprs: 0
; ScratchSize: 0
; MemoryBound: 0
; FloatMode: 240
; IeeeMode: 1
; LDSByteSize: 0 bytes/workgroup (compile time only)
; SGPRBlocks: 0
; VGPRBlocks: 0
; NumSGPRsForWavesPerEU: 4
; NumVGPRsForWavesPerEU: 1
; AccumOffset: 4
; Occupancy: 8
; WaveLimiterHint : 0
; COMPUTE_PGM_RSRC2:SCRATCH_EN: 0
; COMPUTE_PGM_RSRC2:USER_SGPR: 6
; COMPUTE_PGM_RSRC2:TRAP_HANDLER: 0
; COMPUTE_PGM_RSRC2:TGID_X_EN: 1
; COMPUTE_PGM_RSRC2:TGID_Y_EN: 0
; COMPUTE_PGM_RSRC2:TGID_Z_EN: 0
; COMPUTE_PGM_RSRC2:TIDIG_COMP_CNT: 0
; COMPUTE_PGM_RSRC3_GFX90A:ACCUM_OFFSET: 0
; COMPUTE_PGM_RSRC3_GFX90A:TG_SPLIT: 0
	.section	.text._ZN7rocprim17ROCPRIM_400000_NS6detail17trampoline_kernelINS0_14default_configENS1_35radix_sort_onesweep_config_selectorIhNS0_10empty_typeEEEZNS1_34radix_sort_onesweep_global_offsetsIS3_Lb0EPhPS5_mNS0_19identity_decomposerEEE10hipError_tT1_T2_PT3_SE_jT4_jjP12ihipStream_tbEUlT_E_NS1_11comp_targetILNS1_3genE6ELNS1_11target_archE950ELNS1_3gpuE13ELNS1_3repE0EEENS1_52radix_sort_onesweep_histogram_config_static_selectorELNS0_4arch9wavefront6targetE1EEEvSC_,"axG",@progbits,_ZN7rocprim17ROCPRIM_400000_NS6detail17trampoline_kernelINS0_14default_configENS1_35radix_sort_onesweep_config_selectorIhNS0_10empty_typeEEEZNS1_34radix_sort_onesweep_global_offsetsIS3_Lb0EPhPS5_mNS0_19identity_decomposerEEE10hipError_tT1_T2_PT3_SE_jT4_jjP12ihipStream_tbEUlT_E_NS1_11comp_targetILNS1_3genE6ELNS1_11target_archE950ELNS1_3gpuE13ELNS1_3repE0EEENS1_52radix_sort_onesweep_histogram_config_static_selectorELNS0_4arch9wavefront6targetE1EEEvSC_,comdat
	.protected	_ZN7rocprim17ROCPRIM_400000_NS6detail17trampoline_kernelINS0_14default_configENS1_35radix_sort_onesweep_config_selectorIhNS0_10empty_typeEEEZNS1_34radix_sort_onesweep_global_offsetsIS3_Lb0EPhPS5_mNS0_19identity_decomposerEEE10hipError_tT1_T2_PT3_SE_jT4_jjP12ihipStream_tbEUlT_E_NS1_11comp_targetILNS1_3genE6ELNS1_11target_archE950ELNS1_3gpuE13ELNS1_3repE0EEENS1_52radix_sort_onesweep_histogram_config_static_selectorELNS0_4arch9wavefront6targetE1EEEvSC_ ; -- Begin function _ZN7rocprim17ROCPRIM_400000_NS6detail17trampoline_kernelINS0_14default_configENS1_35radix_sort_onesweep_config_selectorIhNS0_10empty_typeEEEZNS1_34radix_sort_onesweep_global_offsetsIS3_Lb0EPhPS5_mNS0_19identity_decomposerEEE10hipError_tT1_T2_PT3_SE_jT4_jjP12ihipStream_tbEUlT_E_NS1_11comp_targetILNS1_3genE6ELNS1_11target_archE950ELNS1_3gpuE13ELNS1_3repE0EEENS1_52radix_sort_onesweep_histogram_config_static_selectorELNS0_4arch9wavefront6targetE1EEEvSC_
	.globl	_ZN7rocprim17ROCPRIM_400000_NS6detail17trampoline_kernelINS0_14default_configENS1_35radix_sort_onesweep_config_selectorIhNS0_10empty_typeEEEZNS1_34radix_sort_onesweep_global_offsetsIS3_Lb0EPhPS5_mNS0_19identity_decomposerEEE10hipError_tT1_T2_PT3_SE_jT4_jjP12ihipStream_tbEUlT_E_NS1_11comp_targetILNS1_3genE6ELNS1_11target_archE950ELNS1_3gpuE13ELNS1_3repE0EEENS1_52radix_sort_onesweep_histogram_config_static_selectorELNS0_4arch9wavefront6targetE1EEEvSC_
	.p2align	8
	.type	_ZN7rocprim17ROCPRIM_400000_NS6detail17trampoline_kernelINS0_14default_configENS1_35radix_sort_onesweep_config_selectorIhNS0_10empty_typeEEEZNS1_34radix_sort_onesweep_global_offsetsIS3_Lb0EPhPS5_mNS0_19identity_decomposerEEE10hipError_tT1_T2_PT3_SE_jT4_jjP12ihipStream_tbEUlT_E_NS1_11comp_targetILNS1_3genE6ELNS1_11target_archE950ELNS1_3gpuE13ELNS1_3repE0EEENS1_52radix_sort_onesweep_histogram_config_static_selectorELNS0_4arch9wavefront6targetE1EEEvSC_,@function
_ZN7rocprim17ROCPRIM_400000_NS6detail17trampoline_kernelINS0_14default_configENS1_35radix_sort_onesweep_config_selectorIhNS0_10empty_typeEEEZNS1_34radix_sort_onesweep_global_offsetsIS3_Lb0EPhPS5_mNS0_19identity_decomposerEEE10hipError_tT1_T2_PT3_SE_jT4_jjP12ihipStream_tbEUlT_E_NS1_11comp_targetILNS1_3genE6ELNS1_11target_archE950ELNS1_3gpuE13ELNS1_3repE0EEENS1_52radix_sort_onesweep_histogram_config_static_selectorELNS0_4arch9wavefront6targetE1EEEvSC_: ; @_ZN7rocprim17ROCPRIM_400000_NS6detail17trampoline_kernelINS0_14default_configENS1_35radix_sort_onesweep_config_selectorIhNS0_10empty_typeEEEZNS1_34radix_sort_onesweep_global_offsetsIS3_Lb0EPhPS5_mNS0_19identity_decomposerEEE10hipError_tT1_T2_PT3_SE_jT4_jjP12ihipStream_tbEUlT_E_NS1_11comp_targetILNS1_3genE6ELNS1_11target_archE950ELNS1_3gpuE13ELNS1_3repE0EEENS1_52radix_sort_onesweep_histogram_config_static_selectorELNS0_4arch9wavefront6targetE1EEEvSC_
; %bb.0:
	.section	.rodata,"a",@progbits
	.p2align	6, 0x0
	.amdhsa_kernel _ZN7rocprim17ROCPRIM_400000_NS6detail17trampoline_kernelINS0_14default_configENS1_35radix_sort_onesweep_config_selectorIhNS0_10empty_typeEEEZNS1_34radix_sort_onesweep_global_offsetsIS3_Lb0EPhPS5_mNS0_19identity_decomposerEEE10hipError_tT1_T2_PT3_SE_jT4_jjP12ihipStream_tbEUlT_E_NS1_11comp_targetILNS1_3genE6ELNS1_11target_archE950ELNS1_3gpuE13ELNS1_3repE0EEENS1_52radix_sort_onesweep_histogram_config_static_selectorELNS0_4arch9wavefront6targetE1EEEvSC_
		.amdhsa_group_segment_fixed_size 0
		.amdhsa_private_segment_fixed_size 0
		.amdhsa_kernarg_size 48
		.amdhsa_user_sgpr_count 6
		.amdhsa_user_sgpr_private_segment_buffer 1
		.amdhsa_user_sgpr_dispatch_ptr 0
		.amdhsa_user_sgpr_queue_ptr 0
		.amdhsa_user_sgpr_kernarg_segment_ptr 1
		.amdhsa_user_sgpr_dispatch_id 0
		.amdhsa_user_sgpr_flat_scratch_init 0
		.amdhsa_user_sgpr_kernarg_preload_length 0
		.amdhsa_user_sgpr_kernarg_preload_offset 0
		.amdhsa_user_sgpr_private_segment_size 0
		.amdhsa_uses_dynamic_stack 0
		.amdhsa_system_sgpr_private_segment_wavefront_offset 0
		.amdhsa_system_sgpr_workgroup_id_x 1
		.amdhsa_system_sgpr_workgroup_id_y 0
		.amdhsa_system_sgpr_workgroup_id_z 0
		.amdhsa_system_sgpr_workgroup_info 0
		.amdhsa_system_vgpr_workitem_id 0
		.amdhsa_next_free_vgpr 1
		.amdhsa_next_free_sgpr 0
		.amdhsa_accum_offset 4
		.amdhsa_reserve_vcc 0
		.amdhsa_reserve_flat_scratch 0
		.amdhsa_float_round_mode_32 0
		.amdhsa_float_round_mode_16_64 0
		.amdhsa_float_denorm_mode_32 3
		.amdhsa_float_denorm_mode_16_64 3
		.amdhsa_dx10_clamp 1
		.amdhsa_ieee_mode 1
		.amdhsa_fp16_overflow 0
		.amdhsa_tg_split 0
		.amdhsa_exception_fp_ieee_invalid_op 0
		.amdhsa_exception_fp_denorm_src 0
		.amdhsa_exception_fp_ieee_div_zero 0
		.amdhsa_exception_fp_ieee_overflow 0
		.amdhsa_exception_fp_ieee_underflow 0
		.amdhsa_exception_fp_ieee_inexact 0
		.amdhsa_exception_int_div_zero 0
	.end_amdhsa_kernel
	.section	.text._ZN7rocprim17ROCPRIM_400000_NS6detail17trampoline_kernelINS0_14default_configENS1_35radix_sort_onesweep_config_selectorIhNS0_10empty_typeEEEZNS1_34radix_sort_onesweep_global_offsetsIS3_Lb0EPhPS5_mNS0_19identity_decomposerEEE10hipError_tT1_T2_PT3_SE_jT4_jjP12ihipStream_tbEUlT_E_NS1_11comp_targetILNS1_3genE6ELNS1_11target_archE950ELNS1_3gpuE13ELNS1_3repE0EEENS1_52radix_sort_onesweep_histogram_config_static_selectorELNS0_4arch9wavefront6targetE1EEEvSC_,"axG",@progbits,_ZN7rocprim17ROCPRIM_400000_NS6detail17trampoline_kernelINS0_14default_configENS1_35radix_sort_onesweep_config_selectorIhNS0_10empty_typeEEEZNS1_34radix_sort_onesweep_global_offsetsIS3_Lb0EPhPS5_mNS0_19identity_decomposerEEE10hipError_tT1_T2_PT3_SE_jT4_jjP12ihipStream_tbEUlT_E_NS1_11comp_targetILNS1_3genE6ELNS1_11target_archE950ELNS1_3gpuE13ELNS1_3repE0EEENS1_52radix_sort_onesweep_histogram_config_static_selectorELNS0_4arch9wavefront6targetE1EEEvSC_,comdat
.Lfunc_end303:
	.size	_ZN7rocprim17ROCPRIM_400000_NS6detail17trampoline_kernelINS0_14default_configENS1_35radix_sort_onesweep_config_selectorIhNS0_10empty_typeEEEZNS1_34radix_sort_onesweep_global_offsetsIS3_Lb0EPhPS5_mNS0_19identity_decomposerEEE10hipError_tT1_T2_PT3_SE_jT4_jjP12ihipStream_tbEUlT_E_NS1_11comp_targetILNS1_3genE6ELNS1_11target_archE950ELNS1_3gpuE13ELNS1_3repE0EEENS1_52radix_sort_onesweep_histogram_config_static_selectorELNS0_4arch9wavefront6targetE1EEEvSC_, .Lfunc_end303-_ZN7rocprim17ROCPRIM_400000_NS6detail17trampoline_kernelINS0_14default_configENS1_35radix_sort_onesweep_config_selectorIhNS0_10empty_typeEEEZNS1_34radix_sort_onesweep_global_offsetsIS3_Lb0EPhPS5_mNS0_19identity_decomposerEEE10hipError_tT1_T2_PT3_SE_jT4_jjP12ihipStream_tbEUlT_E_NS1_11comp_targetILNS1_3genE6ELNS1_11target_archE950ELNS1_3gpuE13ELNS1_3repE0EEENS1_52radix_sort_onesweep_histogram_config_static_selectorELNS0_4arch9wavefront6targetE1EEEvSC_
                                        ; -- End function
	.section	.AMDGPU.csdata,"",@progbits
; Kernel info:
; codeLenInByte = 0
; NumSgprs: 4
; NumVgprs: 0
; NumAgprs: 0
; TotalNumVgprs: 0
; ScratchSize: 0
; MemoryBound: 0
; FloatMode: 240
; IeeeMode: 1
; LDSByteSize: 0 bytes/workgroup (compile time only)
; SGPRBlocks: 0
; VGPRBlocks: 0
; NumSGPRsForWavesPerEU: 4
; NumVGPRsForWavesPerEU: 1
; AccumOffset: 4
; Occupancy: 8
; WaveLimiterHint : 0
; COMPUTE_PGM_RSRC2:SCRATCH_EN: 0
; COMPUTE_PGM_RSRC2:USER_SGPR: 6
; COMPUTE_PGM_RSRC2:TRAP_HANDLER: 0
; COMPUTE_PGM_RSRC2:TGID_X_EN: 1
; COMPUTE_PGM_RSRC2:TGID_Y_EN: 0
; COMPUTE_PGM_RSRC2:TGID_Z_EN: 0
; COMPUTE_PGM_RSRC2:TIDIG_COMP_CNT: 0
; COMPUTE_PGM_RSRC3_GFX90A:ACCUM_OFFSET: 0
; COMPUTE_PGM_RSRC3_GFX90A:TG_SPLIT: 0
	.section	.text._ZN7rocprim17ROCPRIM_400000_NS6detail17trampoline_kernelINS0_14default_configENS1_35radix_sort_onesweep_config_selectorIhNS0_10empty_typeEEEZNS1_34radix_sort_onesweep_global_offsetsIS3_Lb0EPhPS5_mNS0_19identity_decomposerEEE10hipError_tT1_T2_PT3_SE_jT4_jjP12ihipStream_tbEUlT_E_NS1_11comp_targetILNS1_3genE5ELNS1_11target_archE942ELNS1_3gpuE9ELNS1_3repE0EEENS1_52radix_sort_onesweep_histogram_config_static_selectorELNS0_4arch9wavefront6targetE1EEEvSC_,"axG",@progbits,_ZN7rocprim17ROCPRIM_400000_NS6detail17trampoline_kernelINS0_14default_configENS1_35radix_sort_onesweep_config_selectorIhNS0_10empty_typeEEEZNS1_34radix_sort_onesweep_global_offsetsIS3_Lb0EPhPS5_mNS0_19identity_decomposerEEE10hipError_tT1_T2_PT3_SE_jT4_jjP12ihipStream_tbEUlT_E_NS1_11comp_targetILNS1_3genE5ELNS1_11target_archE942ELNS1_3gpuE9ELNS1_3repE0EEENS1_52radix_sort_onesweep_histogram_config_static_selectorELNS0_4arch9wavefront6targetE1EEEvSC_,comdat
	.protected	_ZN7rocprim17ROCPRIM_400000_NS6detail17trampoline_kernelINS0_14default_configENS1_35radix_sort_onesweep_config_selectorIhNS0_10empty_typeEEEZNS1_34radix_sort_onesweep_global_offsetsIS3_Lb0EPhPS5_mNS0_19identity_decomposerEEE10hipError_tT1_T2_PT3_SE_jT4_jjP12ihipStream_tbEUlT_E_NS1_11comp_targetILNS1_3genE5ELNS1_11target_archE942ELNS1_3gpuE9ELNS1_3repE0EEENS1_52radix_sort_onesweep_histogram_config_static_selectorELNS0_4arch9wavefront6targetE1EEEvSC_ ; -- Begin function _ZN7rocprim17ROCPRIM_400000_NS6detail17trampoline_kernelINS0_14default_configENS1_35radix_sort_onesweep_config_selectorIhNS0_10empty_typeEEEZNS1_34radix_sort_onesweep_global_offsetsIS3_Lb0EPhPS5_mNS0_19identity_decomposerEEE10hipError_tT1_T2_PT3_SE_jT4_jjP12ihipStream_tbEUlT_E_NS1_11comp_targetILNS1_3genE5ELNS1_11target_archE942ELNS1_3gpuE9ELNS1_3repE0EEENS1_52radix_sort_onesweep_histogram_config_static_selectorELNS0_4arch9wavefront6targetE1EEEvSC_
	.globl	_ZN7rocprim17ROCPRIM_400000_NS6detail17trampoline_kernelINS0_14default_configENS1_35radix_sort_onesweep_config_selectorIhNS0_10empty_typeEEEZNS1_34radix_sort_onesweep_global_offsetsIS3_Lb0EPhPS5_mNS0_19identity_decomposerEEE10hipError_tT1_T2_PT3_SE_jT4_jjP12ihipStream_tbEUlT_E_NS1_11comp_targetILNS1_3genE5ELNS1_11target_archE942ELNS1_3gpuE9ELNS1_3repE0EEENS1_52radix_sort_onesweep_histogram_config_static_selectorELNS0_4arch9wavefront6targetE1EEEvSC_
	.p2align	8
	.type	_ZN7rocprim17ROCPRIM_400000_NS6detail17trampoline_kernelINS0_14default_configENS1_35radix_sort_onesweep_config_selectorIhNS0_10empty_typeEEEZNS1_34radix_sort_onesweep_global_offsetsIS3_Lb0EPhPS5_mNS0_19identity_decomposerEEE10hipError_tT1_T2_PT3_SE_jT4_jjP12ihipStream_tbEUlT_E_NS1_11comp_targetILNS1_3genE5ELNS1_11target_archE942ELNS1_3gpuE9ELNS1_3repE0EEENS1_52radix_sort_onesweep_histogram_config_static_selectorELNS0_4arch9wavefront6targetE1EEEvSC_,@function
_ZN7rocprim17ROCPRIM_400000_NS6detail17trampoline_kernelINS0_14default_configENS1_35radix_sort_onesweep_config_selectorIhNS0_10empty_typeEEEZNS1_34radix_sort_onesweep_global_offsetsIS3_Lb0EPhPS5_mNS0_19identity_decomposerEEE10hipError_tT1_T2_PT3_SE_jT4_jjP12ihipStream_tbEUlT_E_NS1_11comp_targetILNS1_3genE5ELNS1_11target_archE942ELNS1_3gpuE9ELNS1_3repE0EEENS1_52radix_sort_onesweep_histogram_config_static_selectorELNS0_4arch9wavefront6targetE1EEEvSC_: ; @_ZN7rocprim17ROCPRIM_400000_NS6detail17trampoline_kernelINS0_14default_configENS1_35radix_sort_onesweep_config_selectorIhNS0_10empty_typeEEEZNS1_34radix_sort_onesweep_global_offsetsIS3_Lb0EPhPS5_mNS0_19identity_decomposerEEE10hipError_tT1_T2_PT3_SE_jT4_jjP12ihipStream_tbEUlT_E_NS1_11comp_targetILNS1_3genE5ELNS1_11target_archE942ELNS1_3gpuE9ELNS1_3repE0EEENS1_52radix_sort_onesweep_histogram_config_static_selectorELNS0_4arch9wavefront6targetE1EEEvSC_
; %bb.0:
	.section	.rodata,"a",@progbits
	.p2align	6, 0x0
	.amdhsa_kernel _ZN7rocprim17ROCPRIM_400000_NS6detail17trampoline_kernelINS0_14default_configENS1_35radix_sort_onesweep_config_selectorIhNS0_10empty_typeEEEZNS1_34radix_sort_onesweep_global_offsetsIS3_Lb0EPhPS5_mNS0_19identity_decomposerEEE10hipError_tT1_T2_PT3_SE_jT4_jjP12ihipStream_tbEUlT_E_NS1_11comp_targetILNS1_3genE5ELNS1_11target_archE942ELNS1_3gpuE9ELNS1_3repE0EEENS1_52radix_sort_onesweep_histogram_config_static_selectorELNS0_4arch9wavefront6targetE1EEEvSC_
		.amdhsa_group_segment_fixed_size 0
		.amdhsa_private_segment_fixed_size 0
		.amdhsa_kernarg_size 48
		.amdhsa_user_sgpr_count 6
		.amdhsa_user_sgpr_private_segment_buffer 1
		.amdhsa_user_sgpr_dispatch_ptr 0
		.amdhsa_user_sgpr_queue_ptr 0
		.amdhsa_user_sgpr_kernarg_segment_ptr 1
		.amdhsa_user_sgpr_dispatch_id 0
		.amdhsa_user_sgpr_flat_scratch_init 0
		.amdhsa_user_sgpr_kernarg_preload_length 0
		.amdhsa_user_sgpr_kernarg_preload_offset 0
		.amdhsa_user_sgpr_private_segment_size 0
		.amdhsa_uses_dynamic_stack 0
		.amdhsa_system_sgpr_private_segment_wavefront_offset 0
		.amdhsa_system_sgpr_workgroup_id_x 1
		.amdhsa_system_sgpr_workgroup_id_y 0
		.amdhsa_system_sgpr_workgroup_id_z 0
		.amdhsa_system_sgpr_workgroup_info 0
		.amdhsa_system_vgpr_workitem_id 0
		.amdhsa_next_free_vgpr 1
		.amdhsa_next_free_sgpr 0
		.amdhsa_accum_offset 4
		.amdhsa_reserve_vcc 0
		.amdhsa_reserve_flat_scratch 0
		.amdhsa_float_round_mode_32 0
		.amdhsa_float_round_mode_16_64 0
		.amdhsa_float_denorm_mode_32 3
		.amdhsa_float_denorm_mode_16_64 3
		.amdhsa_dx10_clamp 1
		.amdhsa_ieee_mode 1
		.amdhsa_fp16_overflow 0
		.amdhsa_tg_split 0
		.amdhsa_exception_fp_ieee_invalid_op 0
		.amdhsa_exception_fp_denorm_src 0
		.amdhsa_exception_fp_ieee_div_zero 0
		.amdhsa_exception_fp_ieee_overflow 0
		.amdhsa_exception_fp_ieee_underflow 0
		.amdhsa_exception_fp_ieee_inexact 0
		.amdhsa_exception_int_div_zero 0
	.end_amdhsa_kernel
	.section	.text._ZN7rocprim17ROCPRIM_400000_NS6detail17trampoline_kernelINS0_14default_configENS1_35radix_sort_onesweep_config_selectorIhNS0_10empty_typeEEEZNS1_34radix_sort_onesweep_global_offsetsIS3_Lb0EPhPS5_mNS0_19identity_decomposerEEE10hipError_tT1_T2_PT3_SE_jT4_jjP12ihipStream_tbEUlT_E_NS1_11comp_targetILNS1_3genE5ELNS1_11target_archE942ELNS1_3gpuE9ELNS1_3repE0EEENS1_52radix_sort_onesweep_histogram_config_static_selectorELNS0_4arch9wavefront6targetE1EEEvSC_,"axG",@progbits,_ZN7rocprim17ROCPRIM_400000_NS6detail17trampoline_kernelINS0_14default_configENS1_35radix_sort_onesweep_config_selectorIhNS0_10empty_typeEEEZNS1_34radix_sort_onesweep_global_offsetsIS3_Lb0EPhPS5_mNS0_19identity_decomposerEEE10hipError_tT1_T2_PT3_SE_jT4_jjP12ihipStream_tbEUlT_E_NS1_11comp_targetILNS1_3genE5ELNS1_11target_archE942ELNS1_3gpuE9ELNS1_3repE0EEENS1_52radix_sort_onesweep_histogram_config_static_selectorELNS0_4arch9wavefront6targetE1EEEvSC_,comdat
.Lfunc_end304:
	.size	_ZN7rocprim17ROCPRIM_400000_NS6detail17trampoline_kernelINS0_14default_configENS1_35radix_sort_onesweep_config_selectorIhNS0_10empty_typeEEEZNS1_34radix_sort_onesweep_global_offsetsIS3_Lb0EPhPS5_mNS0_19identity_decomposerEEE10hipError_tT1_T2_PT3_SE_jT4_jjP12ihipStream_tbEUlT_E_NS1_11comp_targetILNS1_3genE5ELNS1_11target_archE942ELNS1_3gpuE9ELNS1_3repE0EEENS1_52radix_sort_onesweep_histogram_config_static_selectorELNS0_4arch9wavefront6targetE1EEEvSC_, .Lfunc_end304-_ZN7rocprim17ROCPRIM_400000_NS6detail17trampoline_kernelINS0_14default_configENS1_35radix_sort_onesweep_config_selectorIhNS0_10empty_typeEEEZNS1_34radix_sort_onesweep_global_offsetsIS3_Lb0EPhPS5_mNS0_19identity_decomposerEEE10hipError_tT1_T2_PT3_SE_jT4_jjP12ihipStream_tbEUlT_E_NS1_11comp_targetILNS1_3genE5ELNS1_11target_archE942ELNS1_3gpuE9ELNS1_3repE0EEENS1_52radix_sort_onesweep_histogram_config_static_selectorELNS0_4arch9wavefront6targetE1EEEvSC_
                                        ; -- End function
	.section	.AMDGPU.csdata,"",@progbits
; Kernel info:
; codeLenInByte = 0
; NumSgprs: 4
; NumVgprs: 0
; NumAgprs: 0
; TotalNumVgprs: 0
; ScratchSize: 0
; MemoryBound: 0
; FloatMode: 240
; IeeeMode: 1
; LDSByteSize: 0 bytes/workgroup (compile time only)
; SGPRBlocks: 0
; VGPRBlocks: 0
; NumSGPRsForWavesPerEU: 4
; NumVGPRsForWavesPerEU: 1
; AccumOffset: 4
; Occupancy: 8
; WaveLimiterHint : 0
; COMPUTE_PGM_RSRC2:SCRATCH_EN: 0
; COMPUTE_PGM_RSRC2:USER_SGPR: 6
; COMPUTE_PGM_RSRC2:TRAP_HANDLER: 0
; COMPUTE_PGM_RSRC2:TGID_X_EN: 1
; COMPUTE_PGM_RSRC2:TGID_Y_EN: 0
; COMPUTE_PGM_RSRC2:TGID_Z_EN: 0
; COMPUTE_PGM_RSRC2:TIDIG_COMP_CNT: 0
; COMPUTE_PGM_RSRC3_GFX90A:ACCUM_OFFSET: 0
; COMPUTE_PGM_RSRC3_GFX90A:TG_SPLIT: 0
	.section	.text._ZN7rocprim17ROCPRIM_400000_NS6detail17trampoline_kernelINS0_14default_configENS1_35radix_sort_onesweep_config_selectorIhNS0_10empty_typeEEEZNS1_34radix_sort_onesweep_global_offsetsIS3_Lb0EPhPS5_mNS0_19identity_decomposerEEE10hipError_tT1_T2_PT3_SE_jT4_jjP12ihipStream_tbEUlT_E_NS1_11comp_targetILNS1_3genE2ELNS1_11target_archE906ELNS1_3gpuE6ELNS1_3repE0EEENS1_52radix_sort_onesweep_histogram_config_static_selectorELNS0_4arch9wavefront6targetE1EEEvSC_,"axG",@progbits,_ZN7rocprim17ROCPRIM_400000_NS6detail17trampoline_kernelINS0_14default_configENS1_35radix_sort_onesweep_config_selectorIhNS0_10empty_typeEEEZNS1_34radix_sort_onesweep_global_offsetsIS3_Lb0EPhPS5_mNS0_19identity_decomposerEEE10hipError_tT1_T2_PT3_SE_jT4_jjP12ihipStream_tbEUlT_E_NS1_11comp_targetILNS1_3genE2ELNS1_11target_archE906ELNS1_3gpuE6ELNS1_3repE0EEENS1_52radix_sort_onesweep_histogram_config_static_selectorELNS0_4arch9wavefront6targetE1EEEvSC_,comdat
	.protected	_ZN7rocprim17ROCPRIM_400000_NS6detail17trampoline_kernelINS0_14default_configENS1_35radix_sort_onesweep_config_selectorIhNS0_10empty_typeEEEZNS1_34radix_sort_onesweep_global_offsetsIS3_Lb0EPhPS5_mNS0_19identity_decomposerEEE10hipError_tT1_T2_PT3_SE_jT4_jjP12ihipStream_tbEUlT_E_NS1_11comp_targetILNS1_3genE2ELNS1_11target_archE906ELNS1_3gpuE6ELNS1_3repE0EEENS1_52radix_sort_onesweep_histogram_config_static_selectorELNS0_4arch9wavefront6targetE1EEEvSC_ ; -- Begin function _ZN7rocprim17ROCPRIM_400000_NS6detail17trampoline_kernelINS0_14default_configENS1_35radix_sort_onesweep_config_selectorIhNS0_10empty_typeEEEZNS1_34radix_sort_onesweep_global_offsetsIS3_Lb0EPhPS5_mNS0_19identity_decomposerEEE10hipError_tT1_T2_PT3_SE_jT4_jjP12ihipStream_tbEUlT_E_NS1_11comp_targetILNS1_3genE2ELNS1_11target_archE906ELNS1_3gpuE6ELNS1_3repE0EEENS1_52radix_sort_onesweep_histogram_config_static_selectorELNS0_4arch9wavefront6targetE1EEEvSC_
	.globl	_ZN7rocprim17ROCPRIM_400000_NS6detail17trampoline_kernelINS0_14default_configENS1_35radix_sort_onesweep_config_selectorIhNS0_10empty_typeEEEZNS1_34radix_sort_onesweep_global_offsetsIS3_Lb0EPhPS5_mNS0_19identity_decomposerEEE10hipError_tT1_T2_PT3_SE_jT4_jjP12ihipStream_tbEUlT_E_NS1_11comp_targetILNS1_3genE2ELNS1_11target_archE906ELNS1_3gpuE6ELNS1_3repE0EEENS1_52radix_sort_onesweep_histogram_config_static_selectorELNS0_4arch9wavefront6targetE1EEEvSC_
	.p2align	8
	.type	_ZN7rocprim17ROCPRIM_400000_NS6detail17trampoline_kernelINS0_14default_configENS1_35radix_sort_onesweep_config_selectorIhNS0_10empty_typeEEEZNS1_34radix_sort_onesweep_global_offsetsIS3_Lb0EPhPS5_mNS0_19identity_decomposerEEE10hipError_tT1_T2_PT3_SE_jT4_jjP12ihipStream_tbEUlT_E_NS1_11comp_targetILNS1_3genE2ELNS1_11target_archE906ELNS1_3gpuE6ELNS1_3repE0EEENS1_52radix_sort_onesweep_histogram_config_static_selectorELNS0_4arch9wavefront6targetE1EEEvSC_,@function
_ZN7rocprim17ROCPRIM_400000_NS6detail17trampoline_kernelINS0_14default_configENS1_35radix_sort_onesweep_config_selectorIhNS0_10empty_typeEEEZNS1_34radix_sort_onesweep_global_offsetsIS3_Lb0EPhPS5_mNS0_19identity_decomposerEEE10hipError_tT1_T2_PT3_SE_jT4_jjP12ihipStream_tbEUlT_E_NS1_11comp_targetILNS1_3genE2ELNS1_11target_archE906ELNS1_3gpuE6ELNS1_3repE0EEENS1_52radix_sort_onesweep_histogram_config_static_selectorELNS0_4arch9wavefront6targetE1EEEvSC_: ; @_ZN7rocprim17ROCPRIM_400000_NS6detail17trampoline_kernelINS0_14default_configENS1_35radix_sort_onesweep_config_selectorIhNS0_10empty_typeEEEZNS1_34radix_sort_onesweep_global_offsetsIS3_Lb0EPhPS5_mNS0_19identity_decomposerEEE10hipError_tT1_T2_PT3_SE_jT4_jjP12ihipStream_tbEUlT_E_NS1_11comp_targetILNS1_3genE2ELNS1_11target_archE906ELNS1_3gpuE6ELNS1_3repE0EEENS1_52radix_sort_onesweep_histogram_config_static_selectorELNS0_4arch9wavefront6targetE1EEEvSC_
; %bb.0:
	.section	.rodata,"a",@progbits
	.p2align	6, 0x0
	.amdhsa_kernel _ZN7rocprim17ROCPRIM_400000_NS6detail17trampoline_kernelINS0_14default_configENS1_35radix_sort_onesweep_config_selectorIhNS0_10empty_typeEEEZNS1_34radix_sort_onesweep_global_offsetsIS3_Lb0EPhPS5_mNS0_19identity_decomposerEEE10hipError_tT1_T2_PT3_SE_jT4_jjP12ihipStream_tbEUlT_E_NS1_11comp_targetILNS1_3genE2ELNS1_11target_archE906ELNS1_3gpuE6ELNS1_3repE0EEENS1_52radix_sort_onesweep_histogram_config_static_selectorELNS0_4arch9wavefront6targetE1EEEvSC_
		.amdhsa_group_segment_fixed_size 0
		.amdhsa_private_segment_fixed_size 0
		.amdhsa_kernarg_size 48
		.amdhsa_user_sgpr_count 6
		.amdhsa_user_sgpr_private_segment_buffer 1
		.amdhsa_user_sgpr_dispatch_ptr 0
		.amdhsa_user_sgpr_queue_ptr 0
		.amdhsa_user_sgpr_kernarg_segment_ptr 1
		.amdhsa_user_sgpr_dispatch_id 0
		.amdhsa_user_sgpr_flat_scratch_init 0
		.amdhsa_user_sgpr_kernarg_preload_length 0
		.amdhsa_user_sgpr_kernarg_preload_offset 0
		.amdhsa_user_sgpr_private_segment_size 0
		.amdhsa_uses_dynamic_stack 0
		.amdhsa_system_sgpr_private_segment_wavefront_offset 0
		.amdhsa_system_sgpr_workgroup_id_x 1
		.amdhsa_system_sgpr_workgroup_id_y 0
		.amdhsa_system_sgpr_workgroup_id_z 0
		.amdhsa_system_sgpr_workgroup_info 0
		.amdhsa_system_vgpr_workitem_id 0
		.amdhsa_next_free_vgpr 1
		.amdhsa_next_free_sgpr 0
		.amdhsa_accum_offset 4
		.amdhsa_reserve_vcc 0
		.amdhsa_reserve_flat_scratch 0
		.amdhsa_float_round_mode_32 0
		.amdhsa_float_round_mode_16_64 0
		.amdhsa_float_denorm_mode_32 3
		.amdhsa_float_denorm_mode_16_64 3
		.amdhsa_dx10_clamp 1
		.amdhsa_ieee_mode 1
		.amdhsa_fp16_overflow 0
		.amdhsa_tg_split 0
		.amdhsa_exception_fp_ieee_invalid_op 0
		.amdhsa_exception_fp_denorm_src 0
		.amdhsa_exception_fp_ieee_div_zero 0
		.amdhsa_exception_fp_ieee_overflow 0
		.amdhsa_exception_fp_ieee_underflow 0
		.amdhsa_exception_fp_ieee_inexact 0
		.amdhsa_exception_int_div_zero 0
	.end_amdhsa_kernel
	.section	.text._ZN7rocprim17ROCPRIM_400000_NS6detail17trampoline_kernelINS0_14default_configENS1_35radix_sort_onesweep_config_selectorIhNS0_10empty_typeEEEZNS1_34radix_sort_onesweep_global_offsetsIS3_Lb0EPhPS5_mNS0_19identity_decomposerEEE10hipError_tT1_T2_PT3_SE_jT4_jjP12ihipStream_tbEUlT_E_NS1_11comp_targetILNS1_3genE2ELNS1_11target_archE906ELNS1_3gpuE6ELNS1_3repE0EEENS1_52radix_sort_onesweep_histogram_config_static_selectorELNS0_4arch9wavefront6targetE1EEEvSC_,"axG",@progbits,_ZN7rocprim17ROCPRIM_400000_NS6detail17trampoline_kernelINS0_14default_configENS1_35radix_sort_onesweep_config_selectorIhNS0_10empty_typeEEEZNS1_34radix_sort_onesweep_global_offsetsIS3_Lb0EPhPS5_mNS0_19identity_decomposerEEE10hipError_tT1_T2_PT3_SE_jT4_jjP12ihipStream_tbEUlT_E_NS1_11comp_targetILNS1_3genE2ELNS1_11target_archE906ELNS1_3gpuE6ELNS1_3repE0EEENS1_52radix_sort_onesweep_histogram_config_static_selectorELNS0_4arch9wavefront6targetE1EEEvSC_,comdat
.Lfunc_end305:
	.size	_ZN7rocprim17ROCPRIM_400000_NS6detail17trampoline_kernelINS0_14default_configENS1_35radix_sort_onesweep_config_selectorIhNS0_10empty_typeEEEZNS1_34radix_sort_onesweep_global_offsetsIS3_Lb0EPhPS5_mNS0_19identity_decomposerEEE10hipError_tT1_T2_PT3_SE_jT4_jjP12ihipStream_tbEUlT_E_NS1_11comp_targetILNS1_3genE2ELNS1_11target_archE906ELNS1_3gpuE6ELNS1_3repE0EEENS1_52radix_sort_onesweep_histogram_config_static_selectorELNS0_4arch9wavefront6targetE1EEEvSC_, .Lfunc_end305-_ZN7rocprim17ROCPRIM_400000_NS6detail17trampoline_kernelINS0_14default_configENS1_35radix_sort_onesweep_config_selectorIhNS0_10empty_typeEEEZNS1_34radix_sort_onesweep_global_offsetsIS3_Lb0EPhPS5_mNS0_19identity_decomposerEEE10hipError_tT1_T2_PT3_SE_jT4_jjP12ihipStream_tbEUlT_E_NS1_11comp_targetILNS1_3genE2ELNS1_11target_archE906ELNS1_3gpuE6ELNS1_3repE0EEENS1_52radix_sort_onesweep_histogram_config_static_selectorELNS0_4arch9wavefront6targetE1EEEvSC_
                                        ; -- End function
	.section	.AMDGPU.csdata,"",@progbits
; Kernel info:
; codeLenInByte = 0
; NumSgprs: 4
; NumVgprs: 0
; NumAgprs: 0
; TotalNumVgprs: 0
; ScratchSize: 0
; MemoryBound: 0
; FloatMode: 240
; IeeeMode: 1
; LDSByteSize: 0 bytes/workgroup (compile time only)
; SGPRBlocks: 0
; VGPRBlocks: 0
; NumSGPRsForWavesPerEU: 4
; NumVGPRsForWavesPerEU: 1
; AccumOffset: 4
; Occupancy: 8
; WaveLimiterHint : 0
; COMPUTE_PGM_RSRC2:SCRATCH_EN: 0
; COMPUTE_PGM_RSRC2:USER_SGPR: 6
; COMPUTE_PGM_RSRC2:TRAP_HANDLER: 0
; COMPUTE_PGM_RSRC2:TGID_X_EN: 1
; COMPUTE_PGM_RSRC2:TGID_Y_EN: 0
; COMPUTE_PGM_RSRC2:TGID_Z_EN: 0
; COMPUTE_PGM_RSRC2:TIDIG_COMP_CNT: 0
; COMPUTE_PGM_RSRC3_GFX90A:ACCUM_OFFSET: 0
; COMPUTE_PGM_RSRC3_GFX90A:TG_SPLIT: 0
	.section	.text._ZN7rocprim17ROCPRIM_400000_NS6detail17trampoline_kernelINS0_14default_configENS1_35radix_sort_onesweep_config_selectorIhNS0_10empty_typeEEEZNS1_34radix_sort_onesweep_global_offsetsIS3_Lb0EPhPS5_mNS0_19identity_decomposerEEE10hipError_tT1_T2_PT3_SE_jT4_jjP12ihipStream_tbEUlT_E_NS1_11comp_targetILNS1_3genE4ELNS1_11target_archE910ELNS1_3gpuE8ELNS1_3repE0EEENS1_52radix_sort_onesweep_histogram_config_static_selectorELNS0_4arch9wavefront6targetE1EEEvSC_,"axG",@progbits,_ZN7rocprim17ROCPRIM_400000_NS6detail17trampoline_kernelINS0_14default_configENS1_35radix_sort_onesweep_config_selectorIhNS0_10empty_typeEEEZNS1_34radix_sort_onesweep_global_offsetsIS3_Lb0EPhPS5_mNS0_19identity_decomposerEEE10hipError_tT1_T2_PT3_SE_jT4_jjP12ihipStream_tbEUlT_E_NS1_11comp_targetILNS1_3genE4ELNS1_11target_archE910ELNS1_3gpuE8ELNS1_3repE0EEENS1_52radix_sort_onesweep_histogram_config_static_selectorELNS0_4arch9wavefront6targetE1EEEvSC_,comdat
	.protected	_ZN7rocprim17ROCPRIM_400000_NS6detail17trampoline_kernelINS0_14default_configENS1_35radix_sort_onesweep_config_selectorIhNS0_10empty_typeEEEZNS1_34radix_sort_onesweep_global_offsetsIS3_Lb0EPhPS5_mNS0_19identity_decomposerEEE10hipError_tT1_T2_PT3_SE_jT4_jjP12ihipStream_tbEUlT_E_NS1_11comp_targetILNS1_3genE4ELNS1_11target_archE910ELNS1_3gpuE8ELNS1_3repE0EEENS1_52radix_sort_onesweep_histogram_config_static_selectorELNS0_4arch9wavefront6targetE1EEEvSC_ ; -- Begin function _ZN7rocprim17ROCPRIM_400000_NS6detail17trampoline_kernelINS0_14default_configENS1_35radix_sort_onesweep_config_selectorIhNS0_10empty_typeEEEZNS1_34radix_sort_onesweep_global_offsetsIS3_Lb0EPhPS5_mNS0_19identity_decomposerEEE10hipError_tT1_T2_PT3_SE_jT4_jjP12ihipStream_tbEUlT_E_NS1_11comp_targetILNS1_3genE4ELNS1_11target_archE910ELNS1_3gpuE8ELNS1_3repE0EEENS1_52radix_sort_onesweep_histogram_config_static_selectorELNS0_4arch9wavefront6targetE1EEEvSC_
	.globl	_ZN7rocprim17ROCPRIM_400000_NS6detail17trampoline_kernelINS0_14default_configENS1_35radix_sort_onesweep_config_selectorIhNS0_10empty_typeEEEZNS1_34radix_sort_onesweep_global_offsetsIS3_Lb0EPhPS5_mNS0_19identity_decomposerEEE10hipError_tT1_T2_PT3_SE_jT4_jjP12ihipStream_tbEUlT_E_NS1_11comp_targetILNS1_3genE4ELNS1_11target_archE910ELNS1_3gpuE8ELNS1_3repE0EEENS1_52radix_sort_onesweep_histogram_config_static_selectorELNS0_4arch9wavefront6targetE1EEEvSC_
	.p2align	8
	.type	_ZN7rocprim17ROCPRIM_400000_NS6detail17trampoline_kernelINS0_14default_configENS1_35radix_sort_onesweep_config_selectorIhNS0_10empty_typeEEEZNS1_34radix_sort_onesweep_global_offsetsIS3_Lb0EPhPS5_mNS0_19identity_decomposerEEE10hipError_tT1_T2_PT3_SE_jT4_jjP12ihipStream_tbEUlT_E_NS1_11comp_targetILNS1_3genE4ELNS1_11target_archE910ELNS1_3gpuE8ELNS1_3repE0EEENS1_52radix_sort_onesweep_histogram_config_static_selectorELNS0_4arch9wavefront6targetE1EEEvSC_,@function
_ZN7rocprim17ROCPRIM_400000_NS6detail17trampoline_kernelINS0_14default_configENS1_35radix_sort_onesweep_config_selectorIhNS0_10empty_typeEEEZNS1_34radix_sort_onesweep_global_offsetsIS3_Lb0EPhPS5_mNS0_19identity_decomposerEEE10hipError_tT1_T2_PT3_SE_jT4_jjP12ihipStream_tbEUlT_E_NS1_11comp_targetILNS1_3genE4ELNS1_11target_archE910ELNS1_3gpuE8ELNS1_3repE0EEENS1_52radix_sort_onesweep_histogram_config_static_selectorELNS0_4arch9wavefront6targetE1EEEvSC_: ; @_ZN7rocprim17ROCPRIM_400000_NS6detail17trampoline_kernelINS0_14default_configENS1_35radix_sort_onesweep_config_selectorIhNS0_10empty_typeEEEZNS1_34radix_sort_onesweep_global_offsetsIS3_Lb0EPhPS5_mNS0_19identity_decomposerEEE10hipError_tT1_T2_PT3_SE_jT4_jjP12ihipStream_tbEUlT_E_NS1_11comp_targetILNS1_3genE4ELNS1_11target_archE910ELNS1_3gpuE8ELNS1_3repE0EEENS1_52radix_sort_onesweep_histogram_config_static_selectorELNS0_4arch9wavefront6targetE1EEEvSC_
; %bb.0:
	s_load_dwordx4 s[8:11], s[4:5], 0x0
	s_load_dwordx2 s[0:1], s[4:5], 0x18
	s_load_dwordx2 s[12:13], s[4:5], 0x24
	v_mov_b32_e32 v2, s6
	v_mov_b32_e32 v3, 0
	s_mul_hi_u32 s3, s6, 0x2c00
	s_mulk_i32 s6, 0x2c00
	s_waitcnt lgkmcnt(0)
	v_cmp_le_u64_e32 vcc, s[0:1], v[2:3]
	s_add_u32 s2, s8, s6
	s_addc_u32 s3, s9, s3
	v_and_b32_e32 v1, 3, v0
	s_mov_b64 s[6:7], -1
	s_cbranch_vccz .LBB306_207
; %bb.1:
	s_load_dword s14, s[4:5], 0x10
	s_mulk_i32 s0, 0xd400
                                        ; implicit-def: $vgpr43
	s_waitcnt lgkmcnt(0)
	s_add_i32 s14, s14, s0
	v_cmp_gt_u32_e32 vcc, s14, v0
	s_and_saveexec_b64 s[0:1], vcc
	s_cbranch_execz .LBB306_3
; %bb.2:
	global_load_ubyte v43, v0, s[2:3]
.LBB306_3:
	s_or_b64 exec, exec, s[0:1]
	v_or_b32_e32 v44, 0x200, v0
	v_cmp_gt_u32_e32 vcc, s14, v44
                                        ; implicit-def: $vgpr41
	s_and_saveexec_b64 s[0:1], vcc
	s_cbranch_execz .LBB306_5
; %bb.4:
	global_load_ubyte v41, v0, s[2:3] offset:512
.LBB306_5:
	s_or_b64 exec, exec, s[0:1]
	v_or_b32_e32 v42, 0x400, v0
	v_cmp_gt_u32_e32 vcc, s14, v42
                                        ; implicit-def: $vgpr39
	s_and_saveexec_b64 s[0:1], vcc
	s_cbranch_execz .LBB306_7
; %bb.6:
	global_load_ubyte v39, v0, s[2:3] offset:1024
.LBB306_7:
	s_or_b64 exec, exec, s[0:1]
	v_or_b32_e32 v40, 0x600, v0
	v_cmp_gt_u32_e32 vcc, s14, v40
                                        ; implicit-def: $vgpr37
	s_and_saveexec_b64 s[0:1], vcc
	s_cbranch_execz .LBB306_9
; %bb.8:
	global_load_ubyte v37, v0, s[2:3] offset:1536
.LBB306_9:
	s_or_b64 exec, exec, s[0:1]
	v_or_b32_e32 v38, 0x800, v0
	v_cmp_gt_u32_e32 vcc, s14, v38
                                        ; implicit-def: $vgpr35
	s_and_saveexec_b64 s[0:1], vcc
	s_cbranch_execz .LBB306_11
; %bb.10:
	global_load_ubyte v35, v0, s[2:3] offset:2048
.LBB306_11:
	s_or_b64 exec, exec, s[0:1]
	v_or_b32_e32 v36, 0xa00, v0
	v_cmp_gt_u32_e32 vcc, s14, v36
                                        ; implicit-def: $vgpr33
	s_and_saveexec_b64 s[0:1], vcc
	s_cbranch_execz .LBB306_13
; %bb.12:
	global_load_ubyte v33, v0, s[2:3] offset:2560
.LBB306_13:
	s_or_b64 exec, exec, s[0:1]
	v_or_b32_e32 v34, 0xc00, v0
	v_cmp_gt_u32_e32 vcc, s14, v34
                                        ; implicit-def: $vgpr31
	s_and_saveexec_b64 s[0:1], vcc
	s_cbranch_execz .LBB306_15
; %bb.14:
	global_load_ubyte v31, v0, s[2:3] offset:3072
.LBB306_15:
	s_or_b64 exec, exec, s[0:1]
	v_or_b32_e32 v32, 0xe00, v0
	v_cmp_gt_u32_e32 vcc, s14, v32
                                        ; implicit-def: $vgpr29
	s_and_saveexec_b64 s[0:1], vcc
	s_cbranch_execz .LBB306_17
; %bb.16:
	global_load_ubyte v29, v0, s[2:3] offset:3584
.LBB306_17:
	s_or_b64 exec, exec, s[0:1]
	v_or_b32_e32 v30, 0x1000, v0
	v_cmp_gt_u32_e32 vcc, s14, v30
                                        ; implicit-def: $vgpr27
	s_and_saveexec_b64 s[0:1], vcc
	s_cbranch_execz .LBB306_19
; %bb.18:
	global_load_ubyte v27, v30, s[2:3]
.LBB306_19:
	s_or_b64 exec, exec, s[0:1]
	v_or_b32_e32 v28, 0x1200, v0
	v_cmp_gt_u32_e32 vcc, s14, v28
                                        ; implicit-def: $vgpr25
	s_and_saveexec_b64 s[0:1], vcc
	s_cbranch_execz .LBB306_21
; %bb.20:
	global_load_ubyte v25, v28, s[2:3]
.LBB306_21:
	s_or_b64 exec, exec, s[0:1]
	v_or_b32_e32 v26, 0x1400, v0
	v_cmp_gt_u32_e32 vcc, s14, v26
                                        ; implicit-def: $vgpr23
	s_and_saveexec_b64 s[0:1], vcc
	s_cbranch_execz .LBB306_23
; %bb.22:
	global_load_ubyte v23, v26, s[2:3]
.LBB306_23:
	s_or_b64 exec, exec, s[0:1]
	v_or_b32_e32 v24, 0x1600, v0
	v_cmp_gt_u32_e32 vcc, s14, v24
                                        ; implicit-def: $vgpr21
	s_and_saveexec_b64 s[0:1], vcc
	s_cbranch_execz .LBB306_25
; %bb.24:
	global_load_ubyte v21, v24, s[2:3]
.LBB306_25:
	s_or_b64 exec, exec, s[0:1]
	v_or_b32_e32 v22, 0x1800, v0
	v_cmp_gt_u32_e32 vcc, s14, v22
                                        ; implicit-def: $vgpr19
	s_and_saveexec_b64 s[0:1], vcc
	s_cbranch_execz .LBB306_27
; %bb.26:
	global_load_ubyte v19, v22, s[2:3]
.LBB306_27:
	s_or_b64 exec, exec, s[0:1]
	v_or_b32_e32 v20, 0x1a00, v0
	v_cmp_gt_u32_e32 vcc, s14, v20
                                        ; implicit-def: $vgpr17
	s_and_saveexec_b64 s[0:1], vcc
	s_cbranch_execz .LBB306_29
; %bb.28:
	global_load_ubyte v17, v20, s[2:3]
.LBB306_29:
	s_or_b64 exec, exec, s[0:1]
	v_or_b32_e32 v18, 0x1c00, v0
	v_cmp_gt_u32_e32 vcc, s14, v18
                                        ; implicit-def: $vgpr15
	s_and_saveexec_b64 s[0:1], vcc
	s_cbranch_execz .LBB306_31
; %bb.30:
	global_load_ubyte v15, v18, s[2:3]
.LBB306_31:
	s_or_b64 exec, exec, s[0:1]
	v_or_b32_e32 v16, 0x1e00, v0
	v_cmp_gt_u32_e32 vcc, s14, v16
                                        ; implicit-def: $vgpr13
	s_and_saveexec_b64 s[0:1], vcc
	s_cbranch_execz .LBB306_33
; %bb.32:
	global_load_ubyte v13, v16, s[2:3]
.LBB306_33:
	s_or_b64 exec, exec, s[0:1]
	v_or_b32_e32 v14, 0x2000, v0
	v_cmp_gt_u32_e32 vcc, s14, v14
                                        ; implicit-def: $vgpr11
	s_and_saveexec_b64 s[0:1], vcc
	s_cbranch_execz .LBB306_35
; %bb.34:
	global_load_ubyte v11, v14, s[2:3]
.LBB306_35:
	s_or_b64 exec, exec, s[0:1]
	v_or_b32_e32 v12, 0x2200, v0
	v_cmp_gt_u32_e32 vcc, s14, v12
                                        ; implicit-def: $vgpr9
	s_and_saveexec_b64 s[0:1], vcc
	s_cbranch_execz .LBB306_37
; %bb.36:
	global_load_ubyte v9, v12, s[2:3]
.LBB306_37:
	s_or_b64 exec, exec, s[0:1]
	v_or_b32_e32 v10, 0x2400, v0
	v_cmp_gt_u32_e32 vcc, s14, v10
                                        ; implicit-def: $vgpr7
	s_and_saveexec_b64 s[0:1], vcc
	s_cbranch_execz .LBB306_39
; %bb.38:
	global_load_ubyte v7, v10, s[2:3]
.LBB306_39:
	s_or_b64 exec, exec, s[0:1]
	v_or_b32_e32 v8, 0x2600, v0
	v_cmp_gt_u32_e32 vcc, s14, v8
                                        ; implicit-def: $vgpr5
	s_and_saveexec_b64 s[0:1], vcc
	s_cbranch_execz .LBB306_41
; %bb.40:
	global_load_ubyte v5, v8, s[2:3]
.LBB306_41:
	s_or_b64 exec, exec, s[0:1]
	v_or_b32_e32 v6, 0x2800, v0
	v_cmp_gt_u32_e32 vcc, s14, v6
                                        ; implicit-def: $vgpr3
	s_and_saveexec_b64 s[0:1], vcc
	s_cbranch_execz .LBB306_43
; %bb.42:
	global_load_ubyte v3, v6, s[2:3]
.LBB306_43:
	s_or_b64 exec, exec, s[0:1]
	v_or_b32_e32 v4, 0x2a00, v0
	v_cmp_gt_u32_e32 vcc, s14, v4
                                        ; implicit-def: $vgpr2
	s_and_saveexec_b64 s[0:1], vcc
	s_cbranch_execz .LBB306_45
; %bb.44:
	global_load_ubyte v2, v4, s[2:3]
.LBB306_45:
	s_or_b64 exec, exec, s[0:1]
	s_movk_i32 s0, 0x80
	v_cmp_gt_u32_e32 vcc, s0, v0
	s_and_saveexec_b64 s[0:1], vcc
	s_cbranch_execz .LBB306_47
; %bb.46:
	v_lshlrev_b32_e32 v45, 2, v0
	v_mov_b32_e32 v46, 0
	ds_write_b32 v45, v46
.LBB306_47:
	s_or_b64 exec, exec, s[0:1]
	s_cmp_le_u32 s13, s12
	s_cselect_b64 s[4:5], -1, 0
	v_cmp_le_u32_e32 vcc, s14, v0
	s_and_b64 s[0:1], s[4:5], exec
	s_cselect_b32 s15, 8, 10
	s_or_b64 s[0:1], s[4:5], vcc
	s_xor_b64 s[6:7], s[0:1], -1
	v_mov_b32_e32 v45, s15
	s_waitcnt lgkmcnt(0)
	s_barrier
	s_and_saveexec_b64 s[0:1], s[6:7]
	s_cbranch_execz .LBB306_49
; %bb.48:
	s_sub_i32 s6, s13, s12
	s_min_u32 s6, s6, 4
	s_waitcnt vmcnt(0)
	v_lshrrev_b32_sdwa v45, s12, v43 dst_sel:DWORD dst_unused:UNUSED_PAD src0_sel:DWORD src1_sel:BYTE_0
	v_bfe_u32 v45, v45, 0, s6
	v_lshlrev_b32_e32 v46, 2, v1
	v_lshl_or_b32 v45, v45, 4, v46
	v_mov_b32_e32 v46, 1
	ds_add_u32 v45, v46
	v_mov_b32_e32 v45, 0
.LBB306_49:
	s_or_b64 exec, exec, s[0:1]
	v_cmp_gt_i32_e64 s[0:1], 10, v45
	s_mov_b64 s[6:7], -1
	s_and_saveexec_b64 s[8:9], s[0:1]
; %bb.50:
	v_cmp_eq_u32_e64 s[0:1], 0, v45
	s_orn2_b64 s[6:7], s[0:1], exec
; %bb.51:
	s_or_b64 exec, exec, s[8:9]
	s_and_saveexec_b64 s[0:1], s[6:7]
	s_cbranch_execz .LBB306_54
; %bb.52:
	s_add_i32 s6, s12, 4
	s_cmp_gt_u32 s13, s6
	s_cselect_b64 s[8:9], -1, 0
	s_xor_b64 s[16:17], vcc, -1
	s_and_b64 s[8:9], s[8:9], s[16:17]
	s_and_b64 exec, exec, s[8:9]
	s_cbranch_execz .LBB306_54
; %bb.53:
	s_sub_i32 s7, s13, s6
	s_min_u32 s7, s7, 4
	s_waitcnt vmcnt(0)
	v_lshrrev_b32_sdwa v43, s6, v43 dst_sel:DWORD dst_unused:UNUSED_PAD src0_sel:DWORD src1_sel:BYTE_0
	v_bfe_u32 v43, v43, 0, s7
	v_lshlrev_b32_e32 v45, 2, v1
	v_lshl_or_b32 v43, v43, 4, v45
	v_mov_b32_e32 v45, 1
	ds_add_u32 v43, v45 offset:256
.LBB306_54:
	s_or_b64 exec, exec, s[0:1]
	v_cmp_le_u32_e32 vcc, s14, v44
	s_or_b64 s[0:1], s[4:5], vcc
	s_xor_b64 s[6:7], s[0:1], -1
	s_waitcnt vmcnt(0)
	v_mov_b32_e32 v43, s15
	s_and_saveexec_b64 s[0:1], s[6:7]
	s_cbranch_execz .LBB306_56
; %bb.55:
	s_sub_i32 s6, s13, s12
	s_min_u32 s6, s6, 4
	v_lshrrev_b32_sdwa v43, s12, v41 dst_sel:DWORD dst_unused:UNUSED_PAD src0_sel:DWORD src1_sel:BYTE_0
	v_bfe_u32 v43, v43, 0, s6
	v_lshlrev_b32_e32 v44, 2, v1
	v_lshl_or_b32 v43, v43, 4, v44
	v_mov_b32_e32 v44, 1
	ds_add_u32 v43, v44
	v_mov_b32_e32 v43, 0
.LBB306_56:
	s_or_b64 exec, exec, s[0:1]
	v_cmp_gt_i32_e64 s[0:1], 10, v43
	s_mov_b64 s[6:7], -1
	s_and_saveexec_b64 s[8:9], s[0:1]
; %bb.57:
	v_cmp_eq_u32_e64 s[0:1], 0, v43
	s_orn2_b64 s[6:7], s[0:1], exec
; %bb.58:
	s_or_b64 exec, exec, s[8:9]
	s_and_saveexec_b64 s[0:1], s[6:7]
	s_cbranch_execz .LBB306_61
; %bb.59:
	s_add_i32 s6, s12, 4
	s_cmp_gt_u32 s13, s6
	s_cselect_b64 s[8:9], -1, 0
	s_xor_b64 s[16:17], vcc, -1
	s_and_b64 s[8:9], s[8:9], s[16:17]
	s_and_b64 exec, exec, s[8:9]
	s_cbranch_execz .LBB306_61
; %bb.60:
	s_sub_i32 s7, s13, s6
	s_min_u32 s7, s7, 4
	v_lshrrev_b32_sdwa v41, s6, v41 dst_sel:DWORD dst_unused:UNUSED_PAD src0_sel:DWORD src1_sel:BYTE_0
	v_bfe_u32 v41, v41, 0, s7
	v_lshlrev_b32_e32 v43, 2, v1
	v_lshl_or_b32 v41, v41, 4, v43
	v_mov_b32_e32 v43, 1
	ds_add_u32 v41, v43 offset:256
.LBB306_61:
	s_or_b64 exec, exec, s[0:1]
	v_cmp_le_u32_e32 vcc, s14, v42
	s_or_b64 s[0:1], s[4:5], vcc
	s_xor_b64 s[6:7], s[0:1], -1
	v_mov_b32_e32 v41, s15
	s_and_saveexec_b64 s[0:1], s[6:7]
	s_cbranch_execz .LBB306_63
; %bb.62:
	s_sub_i32 s6, s13, s12
	s_min_u32 s6, s6, 4
	v_lshrrev_b32_sdwa v41, s12, v39 dst_sel:DWORD dst_unused:UNUSED_PAD src0_sel:DWORD src1_sel:BYTE_0
	v_bfe_u32 v41, v41, 0, s6
	v_lshlrev_b32_e32 v42, 2, v1
	v_lshl_or_b32 v41, v41, 4, v42
	v_mov_b32_e32 v42, 1
	ds_add_u32 v41, v42
	v_mov_b32_e32 v41, 0
.LBB306_63:
	s_or_b64 exec, exec, s[0:1]
	v_cmp_gt_i32_e64 s[0:1], 10, v41
	s_mov_b64 s[6:7], -1
	s_and_saveexec_b64 s[8:9], s[0:1]
; %bb.64:
	v_cmp_eq_u32_e64 s[0:1], 0, v41
	s_orn2_b64 s[6:7], s[0:1], exec
; %bb.65:
	s_or_b64 exec, exec, s[8:9]
	s_and_saveexec_b64 s[0:1], s[6:7]
	s_cbranch_execz .LBB306_68
; %bb.66:
	s_add_i32 s6, s12, 4
	s_cmp_gt_u32 s13, s6
	s_cselect_b64 s[8:9], -1, 0
	s_xor_b64 s[16:17], vcc, -1
	s_and_b64 s[8:9], s[8:9], s[16:17]
	s_and_b64 exec, exec, s[8:9]
	s_cbranch_execz .LBB306_68
; %bb.67:
	s_sub_i32 s7, s13, s6
	s_min_u32 s7, s7, 4
	v_lshrrev_b32_sdwa v39, s6, v39 dst_sel:DWORD dst_unused:UNUSED_PAD src0_sel:DWORD src1_sel:BYTE_0
	v_bfe_u32 v39, v39, 0, s7
	v_lshlrev_b32_e32 v41, 2, v1
	v_lshl_or_b32 v39, v39, 4, v41
	v_mov_b32_e32 v41, 1
	ds_add_u32 v39, v41 offset:256
.LBB306_68:
	s_or_b64 exec, exec, s[0:1]
	v_cmp_le_u32_e32 vcc, s14, v40
	s_or_b64 s[0:1], s[4:5], vcc
	s_xor_b64 s[6:7], s[0:1], -1
	;; [unrolled: 47-line block ×20, first 2 shown]
	v_mov_b32_e32 v3, s15
	s_and_saveexec_b64 s[0:1], s[4:5]
	s_cbranch_execz .LBB306_196
; %bb.195:
	s_sub_i32 s4, s13, s12
	s_min_u32 s4, s4, 4
	v_lshrrev_b32_sdwa v3, s12, v2 dst_sel:DWORD dst_unused:UNUSED_PAD src0_sel:DWORD src1_sel:BYTE_0
	v_bfe_u32 v3, v3, 0, s4
	v_lshlrev_b32_e32 v4, 2, v1
	v_lshl_or_b32 v3, v3, 4, v4
	v_mov_b32_e32 v4, 1
	ds_add_u32 v3, v4
	v_mov_b32_e32 v3, 0
.LBB306_196:
	s_or_b64 exec, exec, s[0:1]
	v_cmp_gt_i32_e64 s[0:1], 10, v3
	s_mov_b64 s[4:5], -1
	s_and_saveexec_b64 s[6:7], s[0:1]
; %bb.197:
	v_cmp_eq_u32_e64 s[0:1], 0, v3
	s_orn2_b64 s[4:5], s[0:1], exec
; %bb.198:
	s_or_b64 exec, exec, s[6:7]
	s_and_saveexec_b64 s[0:1], s[4:5]
	s_cbranch_execz .LBB306_201
; %bb.199:
	s_add_i32 s4, s12, 4
	s_cmp_gt_u32 s13, s4
	s_cselect_b64 s[6:7], -1, 0
	s_xor_b64 s[8:9], vcc, -1
	s_and_b64 s[6:7], s[6:7], s[8:9]
	s_and_b64 exec, exec, s[6:7]
	s_cbranch_execz .LBB306_201
; %bb.200:
	s_sub_i32 s5, s13, s4
	s_min_u32 s5, s5, 4
	v_lshrrev_b32_sdwa v2, s4, v2 dst_sel:DWORD dst_unused:UNUSED_PAD src0_sel:DWORD src1_sel:BYTE_0
	v_bfe_u32 v2, v2, 0, s5
	v_lshlrev_b32_e32 v3, 2, v1
	v_lshl_or_b32 v2, v2, 4, v3
	v_mov_b32_e32 v3, 1
	ds_add_u32 v2, v3 offset:256
.LBB306_201:
	s_or_b64 exec, exec, s[0:1]
	s_cmp_gt_u32 s13, s12
	s_waitcnt lgkmcnt(0)
	s_barrier
	s_cbranch_scc0 .LBB306_206
; %bb.202:
	v_cmp_gt_u32_e32 vcc, 16, v0
	v_lshlrev_b32_e32 v4, 4, v0
	v_mov_b32_e32 v3, 0
	v_mov_b32_e32 v2, v0
	s_mov_b32 s6, s12
	s_branch .LBB306_204
.LBB306_203:                            ;   in Loop: Header=BB306_204 Depth=1
	s_or_b64 exec, exec, s[4:5]
	s_add_i32 s6, s6, 4
	v_add_u32_e32 v2, 16, v2
	s_cmp_lt_u32 s6, s13
	v_add_u32_e32 v4, 0x100, v4
	s_cbranch_scc0 .LBB306_206
.LBB306_204:                            ; =>This Inner Loop Header: Depth=1
	s_and_saveexec_b64 s[4:5], vcc
	s_cbranch_execz .LBB306_203
; %bb.205:                              ;   in Loop: Header=BB306_204 Depth=1
	ds_read2_b32 v[6:7], v4 offset1:1
	ds_read2_b32 v[8:9], v4 offset0:2 offset1:3
	v_lshlrev_b64 v[10:11], 3, v[2:3]
	v_mov_b32_e32 v5, s11
	s_waitcnt lgkmcnt(1)
	v_add_u32_e32 v6, v7, v6
	s_waitcnt lgkmcnt(0)
	v_add3_u32 v6, v6, v8, v9
	v_add_co_u32_e64 v8, s[0:1], s10, v10
	v_addc_co_u32_e64 v9, s[0:1], v5, v11, s[0:1]
	v_mov_b32_e32 v7, v3
	global_atomic_add_x2 v[8:9], v[6:7], off
	s_branch .LBB306_203
.LBB306_206:
	s_mov_b64 s[6:7], 0
.LBB306_207:
	s_and_b64 vcc, exec, s[6:7]
	s_cbranch_vccz .LBB306_267
; %bb.208:
	v_mov_b32_e32 v2, s3
	v_add_co_u32_e32 v4, vcc, s2, v0
	v_addc_co_u32_e32 v5, vcc, 0, v2, vcc
	s_movk_i32 s0, 0x1000
	v_add_co_u32_e32 v2, vcc, s0, v4
	v_addc_co_u32_e32 v3, vcc, 0, v5, vcc
	global_load_ubyte v24, v0, s[2:3] offset:512
	global_load_ubyte v23, v0, s[2:3] offset:1024
	;; [unrolled: 1-line block ×7, first 2 shown]
	global_load_ubyte v18, v[2:3], off
	global_load_ubyte v16, v[2:3], off offset:512
	global_load_ubyte v15, v[2:3], off offset:1024
	global_load_ubyte v14, v[2:3], off offset:1536
	global_load_ubyte v13, v[2:3], off offset:2048
	global_load_ubyte v12, v[2:3], off offset:2560
	global_load_ubyte v11, v[2:3], off offset:3072
	global_load_ubyte v9, v[2:3], off offset:3584
	v_add_co_u32_e32 v2, vcc, 0x2000, v4
	v_addc_co_u32_e32 v3, vcc, 0, v5, vcc
	global_load_ubyte v10, v[2:3], off
	global_load_ubyte v8, v[2:3], off offset:512
	global_load_ubyte v7, v[2:3], off offset:1024
	global_load_ubyte v6, v[2:3], off offset:1536
	global_load_ubyte v5, v[2:3], off offset:2048
	global_load_ubyte v25, v0, s[2:3]
	global_load_ubyte v4, v[2:3], off offset:2560
	s_cmp_lg_u32 s12, 0
	s_cselect_b64 s[0:1], -1, 0
	s_cmp_lg_u32 s13, 8
	s_cselect_b64 s[2:3], -1, 0
	s_or_b64 s[4:5], s[0:1], s[2:3]
	s_movk_i32 s0, 0x80
	v_cmp_gt_u32_e64 s[0:1], s0, v0
	s_mov_b64 s[2:3], -1
	s_and_b64 vcc, exec, s[4:5]
	s_cbranch_vccz .LBB306_262
; %bb.209:
	s_and_saveexec_b64 s[2:3], s[0:1]
	s_cbranch_execz .LBB306_211
; %bb.210:
	v_lshlrev_b32_e32 v2, 2, v0
	v_mov_b32_e32 v3, 0
	ds_write_b32 v2, v3
.LBB306_211:
	s_or_b64 exec, exec, s[2:3]
	s_cmp_gt_u32 s13, s12
	s_cselect_b64 s[4:5], -1, 0
	s_and_b64 vcc, exec, s[4:5]
	s_waitcnt lgkmcnt(0)
	s_barrier
	s_cbranch_vccz .LBB306_256
; %bb.212:
	s_sub_i32 s2, s13, s12
	s_min_u32 s2, s2, 4
	s_lshl_b32 s2, -1, s2
	s_not_b32 s9, s2
	s_waitcnt vmcnt(1)
	v_lshrrev_b32_sdwa v2, s12, v25 dst_sel:DWORD dst_unused:UNUSED_PAD src0_sel:DWORD src1_sel:BYTE_0
	v_and_b32_e32 v3, s9, v2
	v_lshlrev_b32_e32 v2, 2, v1
	v_lshl_or_b32 v26, v3, 4, v2
	v_mov_b32_e32 v3, 1
	ds_add_u32 v26, v3
	s_add_i32 s8, s12, 4
	s_cmp_gt_u32 s13, s8
	s_cselect_b64 s[6:7], -1, 0
	s_cmp_le_u32 s13, s8
	s_cbranch_scc1 .LBB306_214
; %bb.213:
	s_sub_i32 s2, s13, s8
	s_min_u32 s2, s2, 4
	v_lshrrev_b32_sdwa v26, s8, v25 dst_sel:DWORD dst_unused:UNUSED_PAD src0_sel:DWORD src1_sel:BYTE_0
	v_bfe_u32 v26, v26, 0, s2
	v_lshl_or_b32 v26, v26, 4, v2
	ds_add_u32 v26, v3 offset:256
.LBB306_214:
	v_lshrrev_b32_sdwa v26, s12, v24 dst_sel:DWORD dst_unused:UNUSED_PAD src0_sel:DWORD src1_sel:BYTE_0
	v_and_b32_e32 v26, s9, v26
	v_lshl_or_b32 v26, v26, 4, v2
	ds_add_u32 v26, v3
	v_cndmask_b32_e64 v3, 0, 1, s[6:7]
	v_cmp_ne_u32_e64 s[2:3], 1, v3
	s_andn2_b64 vcc, exec, s[6:7]
	s_cbranch_vccnz .LBB306_216
; %bb.215:
	s_sub_i32 s6, s13, s8
	s_min_u32 s6, s6, 4
	v_lshrrev_b32_sdwa v3, s8, v24 dst_sel:DWORD dst_unused:UNUSED_PAD src0_sel:DWORD src1_sel:BYTE_0
	v_bfe_u32 v3, v3, 0, s6
	v_lshl_or_b32 v3, v3, 4, v2
	v_mov_b32_e32 v26, 1
	ds_add_u32 v3, v26 offset:256
.LBB306_216:
	v_lshrrev_b32_sdwa v3, s12, v23 dst_sel:DWORD dst_unused:UNUSED_PAD src0_sel:DWORD src1_sel:BYTE_0
	v_and_b32_e32 v3, s9, v3
	v_lshl_or_b32 v26, v3, 4, v2
	v_mov_b32_e32 v3, 1
	ds_add_u32 v26, v3
	s_and_b64 vcc, exec, s[2:3]
	s_cbranch_vccnz .LBB306_218
; %bb.217:
	s_sub_i32 s6, s13, s8
	s_min_u32 s6, s6, 4
	v_lshrrev_b32_sdwa v26, s8, v23 dst_sel:DWORD dst_unused:UNUSED_PAD src0_sel:DWORD src1_sel:BYTE_0
	v_bfe_u32 v26, v26, 0, s6
	v_lshl_or_b32 v26, v26, 4, v2
	ds_add_u32 v26, v3 offset:256
.LBB306_218:
	v_lshrrev_b32_sdwa v26, s12, v22 dst_sel:DWORD dst_unused:UNUSED_PAD src0_sel:DWORD src1_sel:BYTE_0
	v_and_b32_e32 v26, s9, v26
	v_lshl_or_b32 v26, v26, 4, v2
	ds_add_u32 v26, v3
	s_and_b64 vcc, exec, s[2:3]
	s_cbranch_vccnz .LBB306_220
; %bb.219:
	s_sub_i32 s6, s13, s8
	s_min_u32 s6, s6, 4
	v_lshrrev_b32_sdwa v3, s8, v22 dst_sel:DWORD dst_unused:UNUSED_PAD src0_sel:DWORD src1_sel:BYTE_0
	v_bfe_u32 v3, v3, 0, s6
	v_lshl_or_b32 v3, v3, 4, v2
	v_mov_b32_e32 v26, 1
	ds_add_u32 v3, v26 offset:256
.LBB306_220:
	v_lshrrev_b32_sdwa v3, s12, v21 dst_sel:DWORD dst_unused:UNUSED_PAD src0_sel:DWORD src1_sel:BYTE_0
	v_and_b32_e32 v3, s9, v3
	v_lshl_or_b32 v26, v3, 4, v2
	v_mov_b32_e32 v3, 1
	ds_add_u32 v26, v3
	s_and_b64 vcc, exec, s[2:3]
	s_cbranch_vccnz .LBB306_222
; %bb.221:
	s_sub_i32 s6, s13, s8
	s_min_u32 s6, s6, 4
	v_lshrrev_b32_sdwa v26, s8, v21 dst_sel:DWORD dst_unused:UNUSED_PAD src0_sel:DWORD src1_sel:BYTE_0
	v_bfe_u32 v26, v26, 0, s6
	v_lshl_or_b32 v26, v26, 4, v2
	ds_add_u32 v26, v3 offset:256
.LBB306_222:
	v_lshrrev_b32_sdwa v26, s12, v20 dst_sel:DWORD dst_unused:UNUSED_PAD src0_sel:DWORD src1_sel:BYTE_0
	v_and_b32_e32 v26, s9, v26
	v_lshl_or_b32 v26, v26, 4, v2
	ds_add_u32 v26, v3
	s_and_b64 vcc, exec, s[2:3]
	;; [unrolled: 30-line block ×9, first 2 shown]
	s_cbranch_vccnz .LBB306_252
; %bb.251:
	s_sub_i32 s6, s13, s8
	s_min_u32 s6, s6, 4
	v_lshrrev_b32_sdwa v3, s8, v6 dst_sel:DWORD dst_unused:UNUSED_PAD src0_sel:DWORD src1_sel:BYTE_0
	v_bfe_u32 v3, v3, 0, s6
	v_lshl_or_b32 v3, v3, 4, v2
	v_mov_b32_e32 v26, 1
	ds_add_u32 v3, v26 offset:256
.LBB306_252:
	v_lshrrev_b32_sdwa v3, s12, v5 dst_sel:DWORD dst_unused:UNUSED_PAD src0_sel:DWORD src1_sel:BYTE_0
	v_and_b32_e32 v3, s9, v3
	v_lshl_or_b32 v26, v3, 4, v2
	v_mov_b32_e32 v3, 1
	ds_add_u32 v26, v3
	s_and_b64 vcc, exec, s[2:3]
	s_cbranch_vccnz .LBB306_254
; %bb.253:
	s_sub_i32 s6, s13, s8
	s_min_u32 s6, s6, 4
	v_lshrrev_b32_sdwa v26, s8, v5 dst_sel:DWORD dst_unused:UNUSED_PAD src0_sel:DWORD src1_sel:BYTE_0
	v_bfe_u32 v26, v26, 0, s6
	v_lshl_or_b32 v26, v26, 4, v2
	ds_add_u32 v26, v3 offset:256
.LBB306_254:
	s_waitcnt vmcnt(0)
	v_lshrrev_b32_sdwa v26, s12, v4 dst_sel:DWORD dst_unused:UNUSED_PAD src0_sel:DWORD src1_sel:BYTE_0
	v_and_b32_e32 v26, s9, v26
	v_lshl_or_b32 v26, v26, 4, v2
	ds_add_u32 v26, v3
	s_and_b64 vcc, exec, s[2:3]
	s_cbranch_vccnz .LBB306_256
; %bb.255:
	s_sub_i32 s2, s13, s8
	s_min_u32 s2, s2, 4
	v_lshrrev_b32_sdwa v3, s8, v4 dst_sel:DWORD dst_unused:UNUSED_PAD src0_sel:DWORD src1_sel:BYTE_0
	v_bfe_u32 v3, v3, 0, s2
	v_lshl_or_b32 v2, v3, 4, v2
	v_mov_b32_e32 v3, 1
	ds_add_u32 v2, v3 offset:256
.LBB306_256:
	s_and_b64 vcc, exec, s[4:5]
	s_waitcnt lgkmcnt(0)
	s_barrier
	s_cbranch_vccz .LBB306_261
; %bb.257:
	v_cmp_gt_u32_e32 vcc, 16, v0
	v_lshlrev_b32_e32 v26, 4, v0
	v_mov_b32_e32 v3, 0
	v_mov_b32_e32 v2, v0
	s_branch .LBB306_259
.LBB306_258:                            ;   in Loop: Header=BB306_259 Depth=1
	s_or_b64 exec, exec, s[4:5]
	s_add_i32 s12, s12, 4
	v_add_u32_e32 v2, 16, v2
	s_cmp_ge_u32 s12, s13
	v_add_u32_e32 v26, 0x100, v26
	s_cbranch_scc1 .LBB306_261
.LBB306_259:                            ; =>This Inner Loop Header: Depth=1
	s_and_saveexec_b64 s[4:5], vcc
	s_cbranch_execz .LBB306_258
; %bb.260:                              ;   in Loop: Header=BB306_259 Depth=1
	ds_read2_b32 v[28:29], v26 offset1:1
	ds_read2_b32 v[30:31], v26 offset0:2 offset1:3
	v_lshlrev_b64 v[32:33], 3, v[2:3]
	v_mov_b32_e32 v27, s11
	s_waitcnt lgkmcnt(1)
	v_add_u32_e32 v28, v29, v28
	s_waitcnt lgkmcnt(0)
	v_add3_u32 v28, v28, v30, v31
	v_add_co_u32_e64 v30, s[2:3], s10, v32
	v_addc_co_u32_e64 v31, s[2:3], v27, v33, s[2:3]
	v_mov_b32_e32 v29, v3
	global_atomic_add_x2 v[30:31], v[28:29], off
	s_branch .LBB306_258
.LBB306_261:
	s_mov_b64 s[2:3], 0
.LBB306_262:
	s_and_b64 vcc, exec, s[2:3]
	s_cbranch_vccz .LBB306_267
; %bb.263:
	s_and_saveexec_b64 s[2:3], s[0:1]
	s_cbranch_execz .LBB306_265
; %bb.264:
	v_lshlrev_b32_e32 v2, 2, v0
	v_mov_b32_e32 v3, 0
	ds_write_b32 v2, v3
.LBB306_265:
	s_or_b64 exec, exec, s[2:3]
	s_waitcnt vmcnt(1)
	v_lshrrev_b16_e32 v2, 2, v25
	v_lshlrev_b32_e32 v25, 2, v25
	v_and_or_b32 v25, v25, 60, v1
	v_lshlrev_b32_e32 v25, 2, v25
	v_mov_b32_e32 v46, 1
	v_and_or_b32 v2, v2, 60, v1
	s_waitcnt lgkmcnt(0)
	s_barrier
	ds_add_u32 v25, v46
	v_lshlrev_b32_e32 v2, 2, v2
	ds_add_u32 v2, v46 offset:256
	v_lshlrev_b32_e32 v2, 2, v24
	v_and_or_b32 v2, v2, 60, v1
	v_lshrrev_b16_e32 v3, 2, v24
	v_lshlrev_b32_e32 v2, 2, v2
	ds_add_u32 v2, v46
	v_and_or_b32 v2, v3, 60, v1
	v_lshlrev_b32_e32 v2, 2, v2
	ds_add_u32 v2, v46 offset:256
	v_lshlrev_b32_e32 v2, 2, v23
	v_and_or_b32 v2, v2, 60, v1
	v_lshrrev_b16_e32 v26, 2, v23
	v_lshlrev_b32_e32 v2, 2, v2
	ds_add_u32 v2, v46
	v_and_or_b32 v2, v26, 60, v1
	;; [unrolled: 8-line block ×20, first 2 shown]
	v_lshlrev_b32_e32 v2, 2, v2
	ds_add_u32 v2, v46 offset:256
	s_waitcnt vmcnt(0)
	v_lshlrev_b32_e32 v2, 2, v4
	v_lshrrev_b16_e32 v45, 2, v4
	v_and_or_b32 v2, v2, 60, v1
	v_lshlrev_b32_e32 v2, 2, v2
	v_and_or_b32 v1, v45, 60, v1
	ds_add_u32 v2, v46
	v_lshlrev_b32_e32 v1, 2, v1
	ds_add_u32 v1, v46 offset:256
	v_cmp_gt_u32_e32 vcc, 16, v0
	s_waitcnt lgkmcnt(0)
	s_barrier
	s_and_saveexec_b64 s[0:1], vcc
	s_cbranch_execz .LBB306_267
; %bb.266:
	v_lshlrev_b32_e32 v6, 4, v0
	ds_read2_b32 v[2:3], v6 offset1:1
	ds_read2_b32 v[4:5], v6 offset0:2 offset1:3
	v_lshlrev_b32_e32 v7, 3, v0
	v_mov_b32_e32 v1, 0
	s_waitcnt lgkmcnt(1)
	v_add_u32_e32 v0, v3, v2
	s_waitcnt lgkmcnt(0)
	v_add3_u32 v0, v0, v4, v5
	global_atomic_add_x2 v7, v[0:1], s[10:11]
	ds_read2_b32 v[2:3], v6 offset0:64 offset1:65
	ds_read2_b32 v[4:5], v6 offset0:66 offset1:67
	s_waitcnt lgkmcnt(1)
	v_add_u32_e32 v0, v3, v2
	s_waitcnt lgkmcnt(0)
	v_add3_u32 v0, v0, v4, v5
	global_atomic_add_x2 v7, v[0:1], s[10:11] offset:128
.LBB306_267:
	s_endpgm
	.section	.rodata,"a",@progbits
	.p2align	6, 0x0
	.amdhsa_kernel _ZN7rocprim17ROCPRIM_400000_NS6detail17trampoline_kernelINS0_14default_configENS1_35radix_sort_onesweep_config_selectorIhNS0_10empty_typeEEEZNS1_34radix_sort_onesweep_global_offsetsIS3_Lb0EPhPS5_mNS0_19identity_decomposerEEE10hipError_tT1_T2_PT3_SE_jT4_jjP12ihipStream_tbEUlT_E_NS1_11comp_targetILNS1_3genE4ELNS1_11target_archE910ELNS1_3gpuE8ELNS1_3repE0EEENS1_52radix_sort_onesweep_histogram_config_static_selectorELNS0_4arch9wavefront6targetE1EEEvSC_
		.amdhsa_group_segment_fixed_size 512
		.amdhsa_private_segment_fixed_size 0
		.amdhsa_kernarg_size 48
		.amdhsa_user_sgpr_count 6
		.amdhsa_user_sgpr_private_segment_buffer 1
		.amdhsa_user_sgpr_dispatch_ptr 0
		.amdhsa_user_sgpr_queue_ptr 0
		.amdhsa_user_sgpr_kernarg_segment_ptr 1
		.amdhsa_user_sgpr_dispatch_id 0
		.amdhsa_user_sgpr_flat_scratch_init 0
		.amdhsa_user_sgpr_kernarg_preload_length 0
		.amdhsa_user_sgpr_kernarg_preload_offset 0
		.amdhsa_user_sgpr_private_segment_size 0
		.amdhsa_uses_dynamic_stack 0
		.amdhsa_system_sgpr_private_segment_wavefront_offset 0
		.amdhsa_system_sgpr_workgroup_id_x 1
		.amdhsa_system_sgpr_workgroup_id_y 0
		.amdhsa_system_sgpr_workgroup_id_z 0
		.amdhsa_system_sgpr_workgroup_info 0
		.amdhsa_system_vgpr_workitem_id 0
		.amdhsa_next_free_vgpr 47
		.amdhsa_next_free_sgpr 18
		.amdhsa_accum_offset 48
		.amdhsa_reserve_vcc 1
		.amdhsa_reserve_flat_scratch 0
		.amdhsa_float_round_mode_32 0
		.amdhsa_float_round_mode_16_64 0
		.amdhsa_float_denorm_mode_32 3
		.amdhsa_float_denorm_mode_16_64 3
		.amdhsa_dx10_clamp 1
		.amdhsa_ieee_mode 1
		.amdhsa_fp16_overflow 0
		.amdhsa_tg_split 0
		.amdhsa_exception_fp_ieee_invalid_op 0
		.amdhsa_exception_fp_denorm_src 0
		.amdhsa_exception_fp_ieee_div_zero 0
		.amdhsa_exception_fp_ieee_overflow 0
		.amdhsa_exception_fp_ieee_underflow 0
		.amdhsa_exception_fp_ieee_inexact 0
		.amdhsa_exception_int_div_zero 0
	.end_amdhsa_kernel
	.section	.text._ZN7rocprim17ROCPRIM_400000_NS6detail17trampoline_kernelINS0_14default_configENS1_35radix_sort_onesweep_config_selectorIhNS0_10empty_typeEEEZNS1_34radix_sort_onesweep_global_offsetsIS3_Lb0EPhPS5_mNS0_19identity_decomposerEEE10hipError_tT1_T2_PT3_SE_jT4_jjP12ihipStream_tbEUlT_E_NS1_11comp_targetILNS1_3genE4ELNS1_11target_archE910ELNS1_3gpuE8ELNS1_3repE0EEENS1_52radix_sort_onesweep_histogram_config_static_selectorELNS0_4arch9wavefront6targetE1EEEvSC_,"axG",@progbits,_ZN7rocprim17ROCPRIM_400000_NS6detail17trampoline_kernelINS0_14default_configENS1_35radix_sort_onesweep_config_selectorIhNS0_10empty_typeEEEZNS1_34radix_sort_onesweep_global_offsetsIS3_Lb0EPhPS5_mNS0_19identity_decomposerEEE10hipError_tT1_T2_PT3_SE_jT4_jjP12ihipStream_tbEUlT_E_NS1_11comp_targetILNS1_3genE4ELNS1_11target_archE910ELNS1_3gpuE8ELNS1_3repE0EEENS1_52radix_sort_onesweep_histogram_config_static_selectorELNS0_4arch9wavefront6targetE1EEEvSC_,comdat
.Lfunc_end306:
	.size	_ZN7rocprim17ROCPRIM_400000_NS6detail17trampoline_kernelINS0_14default_configENS1_35radix_sort_onesweep_config_selectorIhNS0_10empty_typeEEEZNS1_34radix_sort_onesweep_global_offsetsIS3_Lb0EPhPS5_mNS0_19identity_decomposerEEE10hipError_tT1_T2_PT3_SE_jT4_jjP12ihipStream_tbEUlT_E_NS1_11comp_targetILNS1_3genE4ELNS1_11target_archE910ELNS1_3gpuE8ELNS1_3repE0EEENS1_52radix_sort_onesweep_histogram_config_static_selectorELNS0_4arch9wavefront6targetE1EEEvSC_, .Lfunc_end306-_ZN7rocprim17ROCPRIM_400000_NS6detail17trampoline_kernelINS0_14default_configENS1_35radix_sort_onesweep_config_selectorIhNS0_10empty_typeEEEZNS1_34radix_sort_onesweep_global_offsetsIS3_Lb0EPhPS5_mNS0_19identity_decomposerEEE10hipError_tT1_T2_PT3_SE_jT4_jjP12ihipStream_tbEUlT_E_NS1_11comp_targetILNS1_3genE4ELNS1_11target_archE910ELNS1_3gpuE8ELNS1_3repE0EEENS1_52radix_sort_onesweep_histogram_config_static_selectorELNS0_4arch9wavefront6targetE1EEEvSC_
                                        ; -- End function
	.section	.AMDGPU.csdata,"",@progbits
; Kernel info:
; codeLenInByte = 8944
; NumSgprs: 22
; NumVgprs: 47
; NumAgprs: 0
; TotalNumVgprs: 47
; ScratchSize: 0
; MemoryBound: 0
; FloatMode: 240
; IeeeMode: 1
; LDSByteSize: 512 bytes/workgroup (compile time only)
; SGPRBlocks: 2
; VGPRBlocks: 5
; NumSGPRsForWavesPerEU: 22
; NumVGPRsForWavesPerEU: 47
; AccumOffset: 48
; Occupancy: 8
; WaveLimiterHint : 1
; COMPUTE_PGM_RSRC2:SCRATCH_EN: 0
; COMPUTE_PGM_RSRC2:USER_SGPR: 6
; COMPUTE_PGM_RSRC2:TRAP_HANDLER: 0
; COMPUTE_PGM_RSRC2:TGID_X_EN: 1
; COMPUTE_PGM_RSRC2:TGID_Y_EN: 0
; COMPUTE_PGM_RSRC2:TGID_Z_EN: 0
; COMPUTE_PGM_RSRC2:TIDIG_COMP_CNT: 0
; COMPUTE_PGM_RSRC3_GFX90A:ACCUM_OFFSET: 11
; COMPUTE_PGM_RSRC3_GFX90A:TG_SPLIT: 0
	.section	.text._ZN7rocprim17ROCPRIM_400000_NS6detail17trampoline_kernelINS0_14default_configENS1_35radix_sort_onesweep_config_selectorIhNS0_10empty_typeEEEZNS1_34radix_sort_onesweep_global_offsetsIS3_Lb0EPhPS5_mNS0_19identity_decomposerEEE10hipError_tT1_T2_PT3_SE_jT4_jjP12ihipStream_tbEUlT_E_NS1_11comp_targetILNS1_3genE3ELNS1_11target_archE908ELNS1_3gpuE7ELNS1_3repE0EEENS1_52radix_sort_onesweep_histogram_config_static_selectorELNS0_4arch9wavefront6targetE1EEEvSC_,"axG",@progbits,_ZN7rocprim17ROCPRIM_400000_NS6detail17trampoline_kernelINS0_14default_configENS1_35radix_sort_onesweep_config_selectorIhNS0_10empty_typeEEEZNS1_34radix_sort_onesweep_global_offsetsIS3_Lb0EPhPS5_mNS0_19identity_decomposerEEE10hipError_tT1_T2_PT3_SE_jT4_jjP12ihipStream_tbEUlT_E_NS1_11comp_targetILNS1_3genE3ELNS1_11target_archE908ELNS1_3gpuE7ELNS1_3repE0EEENS1_52radix_sort_onesweep_histogram_config_static_selectorELNS0_4arch9wavefront6targetE1EEEvSC_,comdat
	.protected	_ZN7rocprim17ROCPRIM_400000_NS6detail17trampoline_kernelINS0_14default_configENS1_35radix_sort_onesweep_config_selectorIhNS0_10empty_typeEEEZNS1_34radix_sort_onesweep_global_offsetsIS3_Lb0EPhPS5_mNS0_19identity_decomposerEEE10hipError_tT1_T2_PT3_SE_jT4_jjP12ihipStream_tbEUlT_E_NS1_11comp_targetILNS1_3genE3ELNS1_11target_archE908ELNS1_3gpuE7ELNS1_3repE0EEENS1_52radix_sort_onesweep_histogram_config_static_selectorELNS0_4arch9wavefront6targetE1EEEvSC_ ; -- Begin function _ZN7rocprim17ROCPRIM_400000_NS6detail17trampoline_kernelINS0_14default_configENS1_35radix_sort_onesweep_config_selectorIhNS0_10empty_typeEEEZNS1_34radix_sort_onesweep_global_offsetsIS3_Lb0EPhPS5_mNS0_19identity_decomposerEEE10hipError_tT1_T2_PT3_SE_jT4_jjP12ihipStream_tbEUlT_E_NS1_11comp_targetILNS1_3genE3ELNS1_11target_archE908ELNS1_3gpuE7ELNS1_3repE0EEENS1_52radix_sort_onesweep_histogram_config_static_selectorELNS0_4arch9wavefront6targetE1EEEvSC_
	.globl	_ZN7rocprim17ROCPRIM_400000_NS6detail17trampoline_kernelINS0_14default_configENS1_35radix_sort_onesweep_config_selectorIhNS0_10empty_typeEEEZNS1_34radix_sort_onesweep_global_offsetsIS3_Lb0EPhPS5_mNS0_19identity_decomposerEEE10hipError_tT1_T2_PT3_SE_jT4_jjP12ihipStream_tbEUlT_E_NS1_11comp_targetILNS1_3genE3ELNS1_11target_archE908ELNS1_3gpuE7ELNS1_3repE0EEENS1_52radix_sort_onesweep_histogram_config_static_selectorELNS0_4arch9wavefront6targetE1EEEvSC_
	.p2align	8
	.type	_ZN7rocprim17ROCPRIM_400000_NS6detail17trampoline_kernelINS0_14default_configENS1_35radix_sort_onesweep_config_selectorIhNS0_10empty_typeEEEZNS1_34radix_sort_onesweep_global_offsetsIS3_Lb0EPhPS5_mNS0_19identity_decomposerEEE10hipError_tT1_T2_PT3_SE_jT4_jjP12ihipStream_tbEUlT_E_NS1_11comp_targetILNS1_3genE3ELNS1_11target_archE908ELNS1_3gpuE7ELNS1_3repE0EEENS1_52radix_sort_onesweep_histogram_config_static_selectorELNS0_4arch9wavefront6targetE1EEEvSC_,@function
_ZN7rocprim17ROCPRIM_400000_NS6detail17trampoline_kernelINS0_14default_configENS1_35radix_sort_onesweep_config_selectorIhNS0_10empty_typeEEEZNS1_34radix_sort_onesweep_global_offsetsIS3_Lb0EPhPS5_mNS0_19identity_decomposerEEE10hipError_tT1_T2_PT3_SE_jT4_jjP12ihipStream_tbEUlT_E_NS1_11comp_targetILNS1_3genE3ELNS1_11target_archE908ELNS1_3gpuE7ELNS1_3repE0EEENS1_52radix_sort_onesweep_histogram_config_static_selectorELNS0_4arch9wavefront6targetE1EEEvSC_: ; @_ZN7rocprim17ROCPRIM_400000_NS6detail17trampoline_kernelINS0_14default_configENS1_35radix_sort_onesweep_config_selectorIhNS0_10empty_typeEEEZNS1_34radix_sort_onesweep_global_offsetsIS3_Lb0EPhPS5_mNS0_19identity_decomposerEEE10hipError_tT1_T2_PT3_SE_jT4_jjP12ihipStream_tbEUlT_E_NS1_11comp_targetILNS1_3genE3ELNS1_11target_archE908ELNS1_3gpuE7ELNS1_3repE0EEENS1_52radix_sort_onesweep_histogram_config_static_selectorELNS0_4arch9wavefront6targetE1EEEvSC_
; %bb.0:
	.section	.rodata,"a",@progbits
	.p2align	6, 0x0
	.amdhsa_kernel _ZN7rocprim17ROCPRIM_400000_NS6detail17trampoline_kernelINS0_14default_configENS1_35radix_sort_onesweep_config_selectorIhNS0_10empty_typeEEEZNS1_34radix_sort_onesweep_global_offsetsIS3_Lb0EPhPS5_mNS0_19identity_decomposerEEE10hipError_tT1_T2_PT3_SE_jT4_jjP12ihipStream_tbEUlT_E_NS1_11comp_targetILNS1_3genE3ELNS1_11target_archE908ELNS1_3gpuE7ELNS1_3repE0EEENS1_52radix_sort_onesweep_histogram_config_static_selectorELNS0_4arch9wavefront6targetE1EEEvSC_
		.amdhsa_group_segment_fixed_size 0
		.amdhsa_private_segment_fixed_size 0
		.amdhsa_kernarg_size 48
		.amdhsa_user_sgpr_count 6
		.amdhsa_user_sgpr_private_segment_buffer 1
		.amdhsa_user_sgpr_dispatch_ptr 0
		.amdhsa_user_sgpr_queue_ptr 0
		.amdhsa_user_sgpr_kernarg_segment_ptr 1
		.amdhsa_user_sgpr_dispatch_id 0
		.amdhsa_user_sgpr_flat_scratch_init 0
		.amdhsa_user_sgpr_kernarg_preload_length 0
		.amdhsa_user_sgpr_kernarg_preload_offset 0
		.amdhsa_user_sgpr_private_segment_size 0
		.amdhsa_uses_dynamic_stack 0
		.amdhsa_system_sgpr_private_segment_wavefront_offset 0
		.amdhsa_system_sgpr_workgroup_id_x 1
		.amdhsa_system_sgpr_workgroup_id_y 0
		.amdhsa_system_sgpr_workgroup_id_z 0
		.amdhsa_system_sgpr_workgroup_info 0
		.amdhsa_system_vgpr_workitem_id 0
		.amdhsa_next_free_vgpr 1
		.amdhsa_next_free_sgpr 0
		.amdhsa_accum_offset 4
		.amdhsa_reserve_vcc 0
		.amdhsa_reserve_flat_scratch 0
		.amdhsa_float_round_mode_32 0
		.amdhsa_float_round_mode_16_64 0
		.amdhsa_float_denorm_mode_32 3
		.amdhsa_float_denorm_mode_16_64 3
		.amdhsa_dx10_clamp 1
		.amdhsa_ieee_mode 1
		.amdhsa_fp16_overflow 0
		.amdhsa_tg_split 0
		.amdhsa_exception_fp_ieee_invalid_op 0
		.amdhsa_exception_fp_denorm_src 0
		.amdhsa_exception_fp_ieee_div_zero 0
		.amdhsa_exception_fp_ieee_overflow 0
		.amdhsa_exception_fp_ieee_underflow 0
		.amdhsa_exception_fp_ieee_inexact 0
		.amdhsa_exception_int_div_zero 0
	.end_amdhsa_kernel
	.section	.text._ZN7rocprim17ROCPRIM_400000_NS6detail17trampoline_kernelINS0_14default_configENS1_35radix_sort_onesweep_config_selectorIhNS0_10empty_typeEEEZNS1_34radix_sort_onesweep_global_offsetsIS3_Lb0EPhPS5_mNS0_19identity_decomposerEEE10hipError_tT1_T2_PT3_SE_jT4_jjP12ihipStream_tbEUlT_E_NS1_11comp_targetILNS1_3genE3ELNS1_11target_archE908ELNS1_3gpuE7ELNS1_3repE0EEENS1_52radix_sort_onesweep_histogram_config_static_selectorELNS0_4arch9wavefront6targetE1EEEvSC_,"axG",@progbits,_ZN7rocprim17ROCPRIM_400000_NS6detail17trampoline_kernelINS0_14default_configENS1_35radix_sort_onesweep_config_selectorIhNS0_10empty_typeEEEZNS1_34radix_sort_onesweep_global_offsetsIS3_Lb0EPhPS5_mNS0_19identity_decomposerEEE10hipError_tT1_T2_PT3_SE_jT4_jjP12ihipStream_tbEUlT_E_NS1_11comp_targetILNS1_3genE3ELNS1_11target_archE908ELNS1_3gpuE7ELNS1_3repE0EEENS1_52radix_sort_onesweep_histogram_config_static_selectorELNS0_4arch9wavefront6targetE1EEEvSC_,comdat
.Lfunc_end307:
	.size	_ZN7rocprim17ROCPRIM_400000_NS6detail17trampoline_kernelINS0_14default_configENS1_35radix_sort_onesweep_config_selectorIhNS0_10empty_typeEEEZNS1_34radix_sort_onesweep_global_offsetsIS3_Lb0EPhPS5_mNS0_19identity_decomposerEEE10hipError_tT1_T2_PT3_SE_jT4_jjP12ihipStream_tbEUlT_E_NS1_11comp_targetILNS1_3genE3ELNS1_11target_archE908ELNS1_3gpuE7ELNS1_3repE0EEENS1_52radix_sort_onesweep_histogram_config_static_selectorELNS0_4arch9wavefront6targetE1EEEvSC_, .Lfunc_end307-_ZN7rocprim17ROCPRIM_400000_NS6detail17trampoline_kernelINS0_14default_configENS1_35radix_sort_onesweep_config_selectorIhNS0_10empty_typeEEEZNS1_34radix_sort_onesweep_global_offsetsIS3_Lb0EPhPS5_mNS0_19identity_decomposerEEE10hipError_tT1_T2_PT3_SE_jT4_jjP12ihipStream_tbEUlT_E_NS1_11comp_targetILNS1_3genE3ELNS1_11target_archE908ELNS1_3gpuE7ELNS1_3repE0EEENS1_52radix_sort_onesweep_histogram_config_static_selectorELNS0_4arch9wavefront6targetE1EEEvSC_
                                        ; -- End function
	.section	.AMDGPU.csdata,"",@progbits
; Kernel info:
; codeLenInByte = 0
; NumSgprs: 4
; NumVgprs: 0
; NumAgprs: 0
; TotalNumVgprs: 0
; ScratchSize: 0
; MemoryBound: 0
; FloatMode: 240
; IeeeMode: 1
; LDSByteSize: 0 bytes/workgroup (compile time only)
; SGPRBlocks: 0
; VGPRBlocks: 0
; NumSGPRsForWavesPerEU: 4
; NumVGPRsForWavesPerEU: 1
; AccumOffset: 4
; Occupancy: 8
; WaveLimiterHint : 0
; COMPUTE_PGM_RSRC2:SCRATCH_EN: 0
; COMPUTE_PGM_RSRC2:USER_SGPR: 6
; COMPUTE_PGM_RSRC2:TRAP_HANDLER: 0
; COMPUTE_PGM_RSRC2:TGID_X_EN: 1
; COMPUTE_PGM_RSRC2:TGID_Y_EN: 0
; COMPUTE_PGM_RSRC2:TGID_Z_EN: 0
; COMPUTE_PGM_RSRC2:TIDIG_COMP_CNT: 0
; COMPUTE_PGM_RSRC3_GFX90A:ACCUM_OFFSET: 0
; COMPUTE_PGM_RSRC3_GFX90A:TG_SPLIT: 0
	.section	.text._ZN7rocprim17ROCPRIM_400000_NS6detail17trampoline_kernelINS0_14default_configENS1_35radix_sort_onesweep_config_selectorIhNS0_10empty_typeEEEZNS1_34radix_sort_onesweep_global_offsetsIS3_Lb0EPhPS5_mNS0_19identity_decomposerEEE10hipError_tT1_T2_PT3_SE_jT4_jjP12ihipStream_tbEUlT_E_NS1_11comp_targetILNS1_3genE10ELNS1_11target_archE1201ELNS1_3gpuE5ELNS1_3repE0EEENS1_52radix_sort_onesweep_histogram_config_static_selectorELNS0_4arch9wavefront6targetE1EEEvSC_,"axG",@progbits,_ZN7rocprim17ROCPRIM_400000_NS6detail17trampoline_kernelINS0_14default_configENS1_35radix_sort_onesweep_config_selectorIhNS0_10empty_typeEEEZNS1_34radix_sort_onesweep_global_offsetsIS3_Lb0EPhPS5_mNS0_19identity_decomposerEEE10hipError_tT1_T2_PT3_SE_jT4_jjP12ihipStream_tbEUlT_E_NS1_11comp_targetILNS1_3genE10ELNS1_11target_archE1201ELNS1_3gpuE5ELNS1_3repE0EEENS1_52radix_sort_onesweep_histogram_config_static_selectorELNS0_4arch9wavefront6targetE1EEEvSC_,comdat
	.protected	_ZN7rocprim17ROCPRIM_400000_NS6detail17trampoline_kernelINS0_14default_configENS1_35radix_sort_onesweep_config_selectorIhNS0_10empty_typeEEEZNS1_34radix_sort_onesweep_global_offsetsIS3_Lb0EPhPS5_mNS0_19identity_decomposerEEE10hipError_tT1_T2_PT3_SE_jT4_jjP12ihipStream_tbEUlT_E_NS1_11comp_targetILNS1_3genE10ELNS1_11target_archE1201ELNS1_3gpuE5ELNS1_3repE0EEENS1_52radix_sort_onesweep_histogram_config_static_selectorELNS0_4arch9wavefront6targetE1EEEvSC_ ; -- Begin function _ZN7rocprim17ROCPRIM_400000_NS6detail17trampoline_kernelINS0_14default_configENS1_35radix_sort_onesweep_config_selectorIhNS0_10empty_typeEEEZNS1_34radix_sort_onesweep_global_offsetsIS3_Lb0EPhPS5_mNS0_19identity_decomposerEEE10hipError_tT1_T2_PT3_SE_jT4_jjP12ihipStream_tbEUlT_E_NS1_11comp_targetILNS1_3genE10ELNS1_11target_archE1201ELNS1_3gpuE5ELNS1_3repE0EEENS1_52radix_sort_onesweep_histogram_config_static_selectorELNS0_4arch9wavefront6targetE1EEEvSC_
	.globl	_ZN7rocprim17ROCPRIM_400000_NS6detail17trampoline_kernelINS0_14default_configENS1_35radix_sort_onesweep_config_selectorIhNS0_10empty_typeEEEZNS1_34radix_sort_onesweep_global_offsetsIS3_Lb0EPhPS5_mNS0_19identity_decomposerEEE10hipError_tT1_T2_PT3_SE_jT4_jjP12ihipStream_tbEUlT_E_NS1_11comp_targetILNS1_3genE10ELNS1_11target_archE1201ELNS1_3gpuE5ELNS1_3repE0EEENS1_52radix_sort_onesweep_histogram_config_static_selectorELNS0_4arch9wavefront6targetE1EEEvSC_
	.p2align	8
	.type	_ZN7rocprim17ROCPRIM_400000_NS6detail17trampoline_kernelINS0_14default_configENS1_35radix_sort_onesweep_config_selectorIhNS0_10empty_typeEEEZNS1_34radix_sort_onesweep_global_offsetsIS3_Lb0EPhPS5_mNS0_19identity_decomposerEEE10hipError_tT1_T2_PT3_SE_jT4_jjP12ihipStream_tbEUlT_E_NS1_11comp_targetILNS1_3genE10ELNS1_11target_archE1201ELNS1_3gpuE5ELNS1_3repE0EEENS1_52radix_sort_onesweep_histogram_config_static_selectorELNS0_4arch9wavefront6targetE1EEEvSC_,@function
_ZN7rocprim17ROCPRIM_400000_NS6detail17trampoline_kernelINS0_14default_configENS1_35radix_sort_onesweep_config_selectorIhNS0_10empty_typeEEEZNS1_34radix_sort_onesweep_global_offsetsIS3_Lb0EPhPS5_mNS0_19identity_decomposerEEE10hipError_tT1_T2_PT3_SE_jT4_jjP12ihipStream_tbEUlT_E_NS1_11comp_targetILNS1_3genE10ELNS1_11target_archE1201ELNS1_3gpuE5ELNS1_3repE0EEENS1_52radix_sort_onesweep_histogram_config_static_selectorELNS0_4arch9wavefront6targetE1EEEvSC_: ; @_ZN7rocprim17ROCPRIM_400000_NS6detail17trampoline_kernelINS0_14default_configENS1_35radix_sort_onesweep_config_selectorIhNS0_10empty_typeEEEZNS1_34radix_sort_onesweep_global_offsetsIS3_Lb0EPhPS5_mNS0_19identity_decomposerEEE10hipError_tT1_T2_PT3_SE_jT4_jjP12ihipStream_tbEUlT_E_NS1_11comp_targetILNS1_3genE10ELNS1_11target_archE1201ELNS1_3gpuE5ELNS1_3repE0EEENS1_52radix_sort_onesweep_histogram_config_static_selectorELNS0_4arch9wavefront6targetE1EEEvSC_
; %bb.0:
	.section	.rodata,"a",@progbits
	.p2align	6, 0x0
	.amdhsa_kernel _ZN7rocprim17ROCPRIM_400000_NS6detail17trampoline_kernelINS0_14default_configENS1_35radix_sort_onesweep_config_selectorIhNS0_10empty_typeEEEZNS1_34radix_sort_onesweep_global_offsetsIS3_Lb0EPhPS5_mNS0_19identity_decomposerEEE10hipError_tT1_T2_PT3_SE_jT4_jjP12ihipStream_tbEUlT_E_NS1_11comp_targetILNS1_3genE10ELNS1_11target_archE1201ELNS1_3gpuE5ELNS1_3repE0EEENS1_52radix_sort_onesweep_histogram_config_static_selectorELNS0_4arch9wavefront6targetE1EEEvSC_
		.amdhsa_group_segment_fixed_size 0
		.amdhsa_private_segment_fixed_size 0
		.amdhsa_kernarg_size 48
		.amdhsa_user_sgpr_count 6
		.amdhsa_user_sgpr_private_segment_buffer 1
		.amdhsa_user_sgpr_dispatch_ptr 0
		.amdhsa_user_sgpr_queue_ptr 0
		.amdhsa_user_sgpr_kernarg_segment_ptr 1
		.amdhsa_user_sgpr_dispatch_id 0
		.amdhsa_user_sgpr_flat_scratch_init 0
		.amdhsa_user_sgpr_kernarg_preload_length 0
		.amdhsa_user_sgpr_kernarg_preload_offset 0
		.amdhsa_user_sgpr_private_segment_size 0
		.amdhsa_uses_dynamic_stack 0
		.amdhsa_system_sgpr_private_segment_wavefront_offset 0
		.amdhsa_system_sgpr_workgroup_id_x 1
		.amdhsa_system_sgpr_workgroup_id_y 0
		.amdhsa_system_sgpr_workgroup_id_z 0
		.amdhsa_system_sgpr_workgroup_info 0
		.amdhsa_system_vgpr_workitem_id 0
		.amdhsa_next_free_vgpr 1
		.amdhsa_next_free_sgpr 0
		.amdhsa_accum_offset 4
		.amdhsa_reserve_vcc 0
		.amdhsa_reserve_flat_scratch 0
		.amdhsa_float_round_mode_32 0
		.amdhsa_float_round_mode_16_64 0
		.amdhsa_float_denorm_mode_32 3
		.amdhsa_float_denorm_mode_16_64 3
		.amdhsa_dx10_clamp 1
		.amdhsa_ieee_mode 1
		.amdhsa_fp16_overflow 0
		.amdhsa_tg_split 0
		.amdhsa_exception_fp_ieee_invalid_op 0
		.amdhsa_exception_fp_denorm_src 0
		.amdhsa_exception_fp_ieee_div_zero 0
		.amdhsa_exception_fp_ieee_overflow 0
		.amdhsa_exception_fp_ieee_underflow 0
		.amdhsa_exception_fp_ieee_inexact 0
		.amdhsa_exception_int_div_zero 0
	.end_amdhsa_kernel
	.section	.text._ZN7rocprim17ROCPRIM_400000_NS6detail17trampoline_kernelINS0_14default_configENS1_35radix_sort_onesweep_config_selectorIhNS0_10empty_typeEEEZNS1_34radix_sort_onesweep_global_offsetsIS3_Lb0EPhPS5_mNS0_19identity_decomposerEEE10hipError_tT1_T2_PT3_SE_jT4_jjP12ihipStream_tbEUlT_E_NS1_11comp_targetILNS1_3genE10ELNS1_11target_archE1201ELNS1_3gpuE5ELNS1_3repE0EEENS1_52radix_sort_onesweep_histogram_config_static_selectorELNS0_4arch9wavefront6targetE1EEEvSC_,"axG",@progbits,_ZN7rocprim17ROCPRIM_400000_NS6detail17trampoline_kernelINS0_14default_configENS1_35radix_sort_onesweep_config_selectorIhNS0_10empty_typeEEEZNS1_34radix_sort_onesweep_global_offsetsIS3_Lb0EPhPS5_mNS0_19identity_decomposerEEE10hipError_tT1_T2_PT3_SE_jT4_jjP12ihipStream_tbEUlT_E_NS1_11comp_targetILNS1_3genE10ELNS1_11target_archE1201ELNS1_3gpuE5ELNS1_3repE0EEENS1_52radix_sort_onesweep_histogram_config_static_selectorELNS0_4arch9wavefront6targetE1EEEvSC_,comdat
.Lfunc_end308:
	.size	_ZN7rocprim17ROCPRIM_400000_NS6detail17trampoline_kernelINS0_14default_configENS1_35radix_sort_onesweep_config_selectorIhNS0_10empty_typeEEEZNS1_34radix_sort_onesweep_global_offsetsIS3_Lb0EPhPS5_mNS0_19identity_decomposerEEE10hipError_tT1_T2_PT3_SE_jT4_jjP12ihipStream_tbEUlT_E_NS1_11comp_targetILNS1_3genE10ELNS1_11target_archE1201ELNS1_3gpuE5ELNS1_3repE0EEENS1_52radix_sort_onesweep_histogram_config_static_selectorELNS0_4arch9wavefront6targetE1EEEvSC_, .Lfunc_end308-_ZN7rocprim17ROCPRIM_400000_NS6detail17trampoline_kernelINS0_14default_configENS1_35radix_sort_onesweep_config_selectorIhNS0_10empty_typeEEEZNS1_34radix_sort_onesweep_global_offsetsIS3_Lb0EPhPS5_mNS0_19identity_decomposerEEE10hipError_tT1_T2_PT3_SE_jT4_jjP12ihipStream_tbEUlT_E_NS1_11comp_targetILNS1_3genE10ELNS1_11target_archE1201ELNS1_3gpuE5ELNS1_3repE0EEENS1_52radix_sort_onesweep_histogram_config_static_selectorELNS0_4arch9wavefront6targetE1EEEvSC_
                                        ; -- End function
	.section	.AMDGPU.csdata,"",@progbits
; Kernel info:
; codeLenInByte = 0
; NumSgprs: 4
; NumVgprs: 0
; NumAgprs: 0
; TotalNumVgprs: 0
; ScratchSize: 0
; MemoryBound: 0
; FloatMode: 240
; IeeeMode: 1
; LDSByteSize: 0 bytes/workgroup (compile time only)
; SGPRBlocks: 0
; VGPRBlocks: 0
; NumSGPRsForWavesPerEU: 4
; NumVGPRsForWavesPerEU: 1
; AccumOffset: 4
; Occupancy: 8
; WaveLimiterHint : 0
; COMPUTE_PGM_RSRC2:SCRATCH_EN: 0
; COMPUTE_PGM_RSRC2:USER_SGPR: 6
; COMPUTE_PGM_RSRC2:TRAP_HANDLER: 0
; COMPUTE_PGM_RSRC2:TGID_X_EN: 1
; COMPUTE_PGM_RSRC2:TGID_Y_EN: 0
; COMPUTE_PGM_RSRC2:TGID_Z_EN: 0
; COMPUTE_PGM_RSRC2:TIDIG_COMP_CNT: 0
; COMPUTE_PGM_RSRC3_GFX90A:ACCUM_OFFSET: 0
; COMPUTE_PGM_RSRC3_GFX90A:TG_SPLIT: 0
	.section	.text._ZN7rocprim17ROCPRIM_400000_NS6detail17trampoline_kernelINS0_14default_configENS1_35radix_sort_onesweep_config_selectorIhNS0_10empty_typeEEEZNS1_34radix_sort_onesweep_global_offsetsIS3_Lb0EPhPS5_mNS0_19identity_decomposerEEE10hipError_tT1_T2_PT3_SE_jT4_jjP12ihipStream_tbEUlT_E_NS1_11comp_targetILNS1_3genE9ELNS1_11target_archE1100ELNS1_3gpuE3ELNS1_3repE0EEENS1_52radix_sort_onesweep_histogram_config_static_selectorELNS0_4arch9wavefront6targetE1EEEvSC_,"axG",@progbits,_ZN7rocprim17ROCPRIM_400000_NS6detail17trampoline_kernelINS0_14default_configENS1_35radix_sort_onesweep_config_selectorIhNS0_10empty_typeEEEZNS1_34radix_sort_onesweep_global_offsetsIS3_Lb0EPhPS5_mNS0_19identity_decomposerEEE10hipError_tT1_T2_PT3_SE_jT4_jjP12ihipStream_tbEUlT_E_NS1_11comp_targetILNS1_3genE9ELNS1_11target_archE1100ELNS1_3gpuE3ELNS1_3repE0EEENS1_52radix_sort_onesweep_histogram_config_static_selectorELNS0_4arch9wavefront6targetE1EEEvSC_,comdat
	.protected	_ZN7rocprim17ROCPRIM_400000_NS6detail17trampoline_kernelINS0_14default_configENS1_35radix_sort_onesweep_config_selectorIhNS0_10empty_typeEEEZNS1_34radix_sort_onesweep_global_offsetsIS3_Lb0EPhPS5_mNS0_19identity_decomposerEEE10hipError_tT1_T2_PT3_SE_jT4_jjP12ihipStream_tbEUlT_E_NS1_11comp_targetILNS1_3genE9ELNS1_11target_archE1100ELNS1_3gpuE3ELNS1_3repE0EEENS1_52radix_sort_onesweep_histogram_config_static_selectorELNS0_4arch9wavefront6targetE1EEEvSC_ ; -- Begin function _ZN7rocprim17ROCPRIM_400000_NS6detail17trampoline_kernelINS0_14default_configENS1_35radix_sort_onesweep_config_selectorIhNS0_10empty_typeEEEZNS1_34radix_sort_onesweep_global_offsetsIS3_Lb0EPhPS5_mNS0_19identity_decomposerEEE10hipError_tT1_T2_PT3_SE_jT4_jjP12ihipStream_tbEUlT_E_NS1_11comp_targetILNS1_3genE9ELNS1_11target_archE1100ELNS1_3gpuE3ELNS1_3repE0EEENS1_52radix_sort_onesweep_histogram_config_static_selectorELNS0_4arch9wavefront6targetE1EEEvSC_
	.globl	_ZN7rocprim17ROCPRIM_400000_NS6detail17trampoline_kernelINS0_14default_configENS1_35radix_sort_onesweep_config_selectorIhNS0_10empty_typeEEEZNS1_34radix_sort_onesweep_global_offsetsIS3_Lb0EPhPS5_mNS0_19identity_decomposerEEE10hipError_tT1_T2_PT3_SE_jT4_jjP12ihipStream_tbEUlT_E_NS1_11comp_targetILNS1_3genE9ELNS1_11target_archE1100ELNS1_3gpuE3ELNS1_3repE0EEENS1_52radix_sort_onesweep_histogram_config_static_selectorELNS0_4arch9wavefront6targetE1EEEvSC_
	.p2align	8
	.type	_ZN7rocprim17ROCPRIM_400000_NS6detail17trampoline_kernelINS0_14default_configENS1_35radix_sort_onesweep_config_selectorIhNS0_10empty_typeEEEZNS1_34radix_sort_onesweep_global_offsetsIS3_Lb0EPhPS5_mNS0_19identity_decomposerEEE10hipError_tT1_T2_PT3_SE_jT4_jjP12ihipStream_tbEUlT_E_NS1_11comp_targetILNS1_3genE9ELNS1_11target_archE1100ELNS1_3gpuE3ELNS1_3repE0EEENS1_52radix_sort_onesweep_histogram_config_static_selectorELNS0_4arch9wavefront6targetE1EEEvSC_,@function
_ZN7rocprim17ROCPRIM_400000_NS6detail17trampoline_kernelINS0_14default_configENS1_35radix_sort_onesweep_config_selectorIhNS0_10empty_typeEEEZNS1_34radix_sort_onesweep_global_offsetsIS3_Lb0EPhPS5_mNS0_19identity_decomposerEEE10hipError_tT1_T2_PT3_SE_jT4_jjP12ihipStream_tbEUlT_E_NS1_11comp_targetILNS1_3genE9ELNS1_11target_archE1100ELNS1_3gpuE3ELNS1_3repE0EEENS1_52radix_sort_onesweep_histogram_config_static_selectorELNS0_4arch9wavefront6targetE1EEEvSC_: ; @_ZN7rocprim17ROCPRIM_400000_NS6detail17trampoline_kernelINS0_14default_configENS1_35radix_sort_onesweep_config_selectorIhNS0_10empty_typeEEEZNS1_34radix_sort_onesweep_global_offsetsIS3_Lb0EPhPS5_mNS0_19identity_decomposerEEE10hipError_tT1_T2_PT3_SE_jT4_jjP12ihipStream_tbEUlT_E_NS1_11comp_targetILNS1_3genE9ELNS1_11target_archE1100ELNS1_3gpuE3ELNS1_3repE0EEENS1_52radix_sort_onesweep_histogram_config_static_selectorELNS0_4arch9wavefront6targetE1EEEvSC_
; %bb.0:
	.section	.rodata,"a",@progbits
	.p2align	6, 0x0
	.amdhsa_kernel _ZN7rocprim17ROCPRIM_400000_NS6detail17trampoline_kernelINS0_14default_configENS1_35radix_sort_onesweep_config_selectorIhNS0_10empty_typeEEEZNS1_34radix_sort_onesweep_global_offsetsIS3_Lb0EPhPS5_mNS0_19identity_decomposerEEE10hipError_tT1_T2_PT3_SE_jT4_jjP12ihipStream_tbEUlT_E_NS1_11comp_targetILNS1_3genE9ELNS1_11target_archE1100ELNS1_3gpuE3ELNS1_3repE0EEENS1_52radix_sort_onesweep_histogram_config_static_selectorELNS0_4arch9wavefront6targetE1EEEvSC_
		.amdhsa_group_segment_fixed_size 0
		.amdhsa_private_segment_fixed_size 0
		.amdhsa_kernarg_size 48
		.amdhsa_user_sgpr_count 6
		.amdhsa_user_sgpr_private_segment_buffer 1
		.amdhsa_user_sgpr_dispatch_ptr 0
		.amdhsa_user_sgpr_queue_ptr 0
		.amdhsa_user_sgpr_kernarg_segment_ptr 1
		.amdhsa_user_sgpr_dispatch_id 0
		.amdhsa_user_sgpr_flat_scratch_init 0
		.amdhsa_user_sgpr_kernarg_preload_length 0
		.amdhsa_user_sgpr_kernarg_preload_offset 0
		.amdhsa_user_sgpr_private_segment_size 0
		.amdhsa_uses_dynamic_stack 0
		.amdhsa_system_sgpr_private_segment_wavefront_offset 0
		.amdhsa_system_sgpr_workgroup_id_x 1
		.amdhsa_system_sgpr_workgroup_id_y 0
		.amdhsa_system_sgpr_workgroup_id_z 0
		.amdhsa_system_sgpr_workgroup_info 0
		.amdhsa_system_vgpr_workitem_id 0
		.amdhsa_next_free_vgpr 1
		.amdhsa_next_free_sgpr 0
		.amdhsa_accum_offset 4
		.amdhsa_reserve_vcc 0
		.amdhsa_reserve_flat_scratch 0
		.amdhsa_float_round_mode_32 0
		.amdhsa_float_round_mode_16_64 0
		.amdhsa_float_denorm_mode_32 3
		.amdhsa_float_denorm_mode_16_64 3
		.amdhsa_dx10_clamp 1
		.amdhsa_ieee_mode 1
		.amdhsa_fp16_overflow 0
		.amdhsa_tg_split 0
		.amdhsa_exception_fp_ieee_invalid_op 0
		.amdhsa_exception_fp_denorm_src 0
		.amdhsa_exception_fp_ieee_div_zero 0
		.amdhsa_exception_fp_ieee_overflow 0
		.amdhsa_exception_fp_ieee_underflow 0
		.amdhsa_exception_fp_ieee_inexact 0
		.amdhsa_exception_int_div_zero 0
	.end_amdhsa_kernel
	.section	.text._ZN7rocprim17ROCPRIM_400000_NS6detail17trampoline_kernelINS0_14default_configENS1_35radix_sort_onesweep_config_selectorIhNS0_10empty_typeEEEZNS1_34radix_sort_onesweep_global_offsetsIS3_Lb0EPhPS5_mNS0_19identity_decomposerEEE10hipError_tT1_T2_PT3_SE_jT4_jjP12ihipStream_tbEUlT_E_NS1_11comp_targetILNS1_3genE9ELNS1_11target_archE1100ELNS1_3gpuE3ELNS1_3repE0EEENS1_52radix_sort_onesweep_histogram_config_static_selectorELNS0_4arch9wavefront6targetE1EEEvSC_,"axG",@progbits,_ZN7rocprim17ROCPRIM_400000_NS6detail17trampoline_kernelINS0_14default_configENS1_35radix_sort_onesweep_config_selectorIhNS0_10empty_typeEEEZNS1_34radix_sort_onesweep_global_offsetsIS3_Lb0EPhPS5_mNS0_19identity_decomposerEEE10hipError_tT1_T2_PT3_SE_jT4_jjP12ihipStream_tbEUlT_E_NS1_11comp_targetILNS1_3genE9ELNS1_11target_archE1100ELNS1_3gpuE3ELNS1_3repE0EEENS1_52radix_sort_onesweep_histogram_config_static_selectorELNS0_4arch9wavefront6targetE1EEEvSC_,comdat
.Lfunc_end309:
	.size	_ZN7rocprim17ROCPRIM_400000_NS6detail17trampoline_kernelINS0_14default_configENS1_35radix_sort_onesweep_config_selectorIhNS0_10empty_typeEEEZNS1_34radix_sort_onesweep_global_offsetsIS3_Lb0EPhPS5_mNS0_19identity_decomposerEEE10hipError_tT1_T2_PT3_SE_jT4_jjP12ihipStream_tbEUlT_E_NS1_11comp_targetILNS1_3genE9ELNS1_11target_archE1100ELNS1_3gpuE3ELNS1_3repE0EEENS1_52radix_sort_onesweep_histogram_config_static_selectorELNS0_4arch9wavefront6targetE1EEEvSC_, .Lfunc_end309-_ZN7rocprim17ROCPRIM_400000_NS6detail17trampoline_kernelINS0_14default_configENS1_35radix_sort_onesweep_config_selectorIhNS0_10empty_typeEEEZNS1_34radix_sort_onesweep_global_offsetsIS3_Lb0EPhPS5_mNS0_19identity_decomposerEEE10hipError_tT1_T2_PT3_SE_jT4_jjP12ihipStream_tbEUlT_E_NS1_11comp_targetILNS1_3genE9ELNS1_11target_archE1100ELNS1_3gpuE3ELNS1_3repE0EEENS1_52radix_sort_onesweep_histogram_config_static_selectorELNS0_4arch9wavefront6targetE1EEEvSC_
                                        ; -- End function
	.section	.AMDGPU.csdata,"",@progbits
; Kernel info:
; codeLenInByte = 0
; NumSgprs: 4
; NumVgprs: 0
; NumAgprs: 0
; TotalNumVgprs: 0
; ScratchSize: 0
; MemoryBound: 0
; FloatMode: 240
; IeeeMode: 1
; LDSByteSize: 0 bytes/workgroup (compile time only)
; SGPRBlocks: 0
; VGPRBlocks: 0
; NumSGPRsForWavesPerEU: 4
; NumVGPRsForWavesPerEU: 1
; AccumOffset: 4
; Occupancy: 8
; WaveLimiterHint : 0
; COMPUTE_PGM_RSRC2:SCRATCH_EN: 0
; COMPUTE_PGM_RSRC2:USER_SGPR: 6
; COMPUTE_PGM_RSRC2:TRAP_HANDLER: 0
; COMPUTE_PGM_RSRC2:TGID_X_EN: 1
; COMPUTE_PGM_RSRC2:TGID_Y_EN: 0
; COMPUTE_PGM_RSRC2:TGID_Z_EN: 0
; COMPUTE_PGM_RSRC2:TIDIG_COMP_CNT: 0
; COMPUTE_PGM_RSRC3_GFX90A:ACCUM_OFFSET: 0
; COMPUTE_PGM_RSRC3_GFX90A:TG_SPLIT: 0
	.section	.text._ZN7rocprim17ROCPRIM_400000_NS6detail17trampoline_kernelINS0_14default_configENS1_35radix_sort_onesweep_config_selectorIhNS0_10empty_typeEEEZNS1_34radix_sort_onesweep_global_offsetsIS3_Lb0EPhPS5_mNS0_19identity_decomposerEEE10hipError_tT1_T2_PT3_SE_jT4_jjP12ihipStream_tbEUlT_E_NS1_11comp_targetILNS1_3genE8ELNS1_11target_archE1030ELNS1_3gpuE2ELNS1_3repE0EEENS1_52radix_sort_onesweep_histogram_config_static_selectorELNS0_4arch9wavefront6targetE1EEEvSC_,"axG",@progbits,_ZN7rocprim17ROCPRIM_400000_NS6detail17trampoline_kernelINS0_14default_configENS1_35radix_sort_onesweep_config_selectorIhNS0_10empty_typeEEEZNS1_34radix_sort_onesweep_global_offsetsIS3_Lb0EPhPS5_mNS0_19identity_decomposerEEE10hipError_tT1_T2_PT3_SE_jT4_jjP12ihipStream_tbEUlT_E_NS1_11comp_targetILNS1_3genE8ELNS1_11target_archE1030ELNS1_3gpuE2ELNS1_3repE0EEENS1_52radix_sort_onesweep_histogram_config_static_selectorELNS0_4arch9wavefront6targetE1EEEvSC_,comdat
	.protected	_ZN7rocprim17ROCPRIM_400000_NS6detail17trampoline_kernelINS0_14default_configENS1_35radix_sort_onesweep_config_selectorIhNS0_10empty_typeEEEZNS1_34radix_sort_onesweep_global_offsetsIS3_Lb0EPhPS5_mNS0_19identity_decomposerEEE10hipError_tT1_T2_PT3_SE_jT4_jjP12ihipStream_tbEUlT_E_NS1_11comp_targetILNS1_3genE8ELNS1_11target_archE1030ELNS1_3gpuE2ELNS1_3repE0EEENS1_52radix_sort_onesweep_histogram_config_static_selectorELNS0_4arch9wavefront6targetE1EEEvSC_ ; -- Begin function _ZN7rocprim17ROCPRIM_400000_NS6detail17trampoline_kernelINS0_14default_configENS1_35radix_sort_onesweep_config_selectorIhNS0_10empty_typeEEEZNS1_34radix_sort_onesweep_global_offsetsIS3_Lb0EPhPS5_mNS0_19identity_decomposerEEE10hipError_tT1_T2_PT3_SE_jT4_jjP12ihipStream_tbEUlT_E_NS1_11comp_targetILNS1_3genE8ELNS1_11target_archE1030ELNS1_3gpuE2ELNS1_3repE0EEENS1_52radix_sort_onesweep_histogram_config_static_selectorELNS0_4arch9wavefront6targetE1EEEvSC_
	.globl	_ZN7rocprim17ROCPRIM_400000_NS6detail17trampoline_kernelINS0_14default_configENS1_35radix_sort_onesweep_config_selectorIhNS0_10empty_typeEEEZNS1_34radix_sort_onesweep_global_offsetsIS3_Lb0EPhPS5_mNS0_19identity_decomposerEEE10hipError_tT1_T2_PT3_SE_jT4_jjP12ihipStream_tbEUlT_E_NS1_11comp_targetILNS1_3genE8ELNS1_11target_archE1030ELNS1_3gpuE2ELNS1_3repE0EEENS1_52radix_sort_onesweep_histogram_config_static_selectorELNS0_4arch9wavefront6targetE1EEEvSC_
	.p2align	8
	.type	_ZN7rocprim17ROCPRIM_400000_NS6detail17trampoline_kernelINS0_14default_configENS1_35radix_sort_onesweep_config_selectorIhNS0_10empty_typeEEEZNS1_34radix_sort_onesweep_global_offsetsIS3_Lb0EPhPS5_mNS0_19identity_decomposerEEE10hipError_tT1_T2_PT3_SE_jT4_jjP12ihipStream_tbEUlT_E_NS1_11comp_targetILNS1_3genE8ELNS1_11target_archE1030ELNS1_3gpuE2ELNS1_3repE0EEENS1_52radix_sort_onesweep_histogram_config_static_selectorELNS0_4arch9wavefront6targetE1EEEvSC_,@function
_ZN7rocprim17ROCPRIM_400000_NS6detail17trampoline_kernelINS0_14default_configENS1_35radix_sort_onesweep_config_selectorIhNS0_10empty_typeEEEZNS1_34radix_sort_onesweep_global_offsetsIS3_Lb0EPhPS5_mNS0_19identity_decomposerEEE10hipError_tT1_T2_PT3_SE_jT4_jjP12ihipStream_tbEUlT_E_NS1_11comp_targetILNS1_3genE8ELNS1_11target_archE1030ELNS1_3gpuE2ELNS1_3repE0EEENS1_52radix_sort_onesweep_histogram_config_static_selectorELNS0_4arch9wavefront6targetE1EEEvSC_: ; @_ZN7rocprim17ROCPRIM_400000_NS6detail17trampoline_kernelINS0_14default_configENS1_35radix_sort_onesweep_config_selectorIhNS0_10empty_typeEEEZNS1_34radix_sort_onesweep_global_offsetsIS3_Lb0EPhPS5_mNS0_19identity_decomposerEEE10hipError_tT1_T2_PT3_SE_jT4_jjP12ihipStream_tbEUlT_E_NS1_11comp_targetILNS1_3genE8ELNS1_11target_archE1030ELNS1_3gpuE2ELNS1_3repE0EEENS1_52radix_sort_onesweep_histogram_config_static_selectorELNS0_4arch9wavefront6targetE1EEEvSC_
; %bb.0:
	.section	.rodata,"a",@progbits
	.p2align	6, 0x0
	.amdhsa_kernel _ZN7rocprim17ROCPRIM_400000_NS6detail17trampoline_kernelINS0_14default_configENS1_35radix_sort_onesweep_config_selectorIhNS0_10empty_typeEEEZNS1_34radix_sort_onesweep_global_offsetsIS3_Lb0EPhPS5_mNS0_19identity_decomposerEEE10hipError_tT1_T2_PT3_SE_jT4_jjP12ihipStream_tbEUlT_E_NS1_11comp_targetILNS1_3genE8ELNS1_11target_archE1030ELNS1_3gpuE2ELNS1_3repE0EEENS1_52radix_sort_onesweep_histogram_config_static_selectorELNS0_4arch9wavefront6targetE1EEEvSC_
		.amdhsa_group_segment_fixed_size 0
		.amdhsa_private_segment_fixed_size 0
		.amdhsa_kernarg_size 48
		.amdhsa_user_sgpr_count 6
		.amdhsa_user_sgpr_private_segment_buffer 1
		.amdhsa_user_sgpr_dispatch_ptr 0
		.amdhsa_user_sgpr_queue_ptr 0
		.amdhsa_user_sgpr_kernarg_segment_ptr 1
		.amdhsa_user_sgpr_dispatch_id 0
		.amdhsa_user_sgpr_flat_scratch_init 0
		.amdhsa_user_sgpr_kernarg_preload_length 0
		.amdhsa_user_sgpr_kernarg_preload_offset 0
		.amdhsa_user_sgpr_private_segment_size 0
		.amdhsa_uses_dynamic_stack 0
		.amdhsa_system_sgpr_private_segment_wavefront_offset 0
		.amdhsa_system_sgpr_workgroup_id_x 1
		.amdhsa_system_sgpr_workgroup_id_y 0
		.amdhsa_system_sgpr_workgroup_id_z 0
		.amdhsa_system_sgpr_workgroup_info 0
		.amdhsa_system_vgpr_workitem_id 0
		.amdhsa_next_free_vgpr 1
		.amdhsa_next_free_sgpr 0
		.amdhsa_accum_offset 4
		.amdhsa_reserve_vcc 0
		.amdhsa_reserve_flat_scratch 0
		.amdhsa_float_round_mode_32 0
		.amdhsa_float_round_mode_16_64 0
		.amdhsa_float_denorm_mode_32 3
		.amdhsa_float_denorm_mode_16_64 3
		.amdhsa_dx10_clamp 1
		.amdhsa_ieee_mode 1
		.amdhsa_fp16_overflow 0
		.amdhsa_tg_split 0
		.amdhsa_exception_fp_ieee_invalid_op 0
		.amdhsa_exception_fp_denorm_src 0
		.amdhsa_exception_fp_ieee_div_zero 0
		.amdhsa_exception_fp_ieee_overflow 0
		.amdhsa_exception_fp_ieee_underflow 0
		.amdhsa_exception_fp_ieee_inexact 0
		.amdhsa_exception_int_div_zero 0
	.end_amdhsa_kernel
	.section	.text._ZN7rocprim17ROCPRIM_400000_NS6detail17trampoline_kernelINS0_14default_configENS1_35radix_sort_onesweep_config_selectorIhNS0_10empty_typeEEEZNS1_34radix_sort_onesweep_global_offsetsIS3_Lb0EPhPS5_mNS0_19identity_decomposerEEE10hipError_tT1_T2_PT3_SE_jT4_jjP12ihipStream_tbEUlT_E_NS1_11comp_targetILNS1_3genE8ELNS1_11target_archE1030ELNS1_3gpuE2ELNS1_3repE0EEENS1_52radix_sort_onesweep_histogram_config_static_selectorELNS0_4arch9wavefront6targetE1EEEvSC_,"axG",@progbits,_ZN7rocprim17ROCPRIM_400000_NS6detail17trampoline_kernelINS0_14default_configENS1_35radix_sort_onesweep_config_selectorIhNS0_10empty_typeEEEZNS1_34radix_sort_onesweep_global_offsetsIS3_Lb0EPhPS5_mNS0_19identity_decomposerEEE10hipError_tT1_T2_PT3_SE_jT4_jjP12ihipStream_tbEUlT_E_NS1_11comp_targetILNS1_3genE8ELNS1_11target_archE1030ELNS1_3gpuE2ELNS1_3repE0EEENS1_52radix_sort_onesweep_histogram_config_static_selectorELNS0_4arch9wavefront6targetE1EEEvSC_,comdat
.Lfunc_end310:
	.size	_ZN7rocprim17ROCPRIM_400000_NS6detail17trampoline_kernelINS0_14default_configENS1_35radix_sort_onesweep_config_selectorIhNS0_10empty_typeEEEZNS1_34radix_sort_onesweep_global_offsetsIS3_Lb0EPhPS5_mNS0_19identity_decomposerEEE10hipError_tT1_T2_PT3_SE_jT4_jjP12ihipStream_tbEUlT_E_NS1_11comp_targetILNS1_3genE8ELNS1_11target_archE1030ELNS1_3gpuE2ELNS1_3repE0EEENS1_52radix_sort_onesweep_histogram_config_static_selectorELNS0_4arch9wavefront6targetE1EEEvSC_, .Lfunc_end310-_ZN7rocprim17ROCPRIM_400000_NS6detail17trampoline_kernelINS0_14default_configENS1_35radix_sort_onesweep_config_selectorIhNS0_10empty_typeEEEZNS1_34radix_sort_onesweep_global_offsetsIS3_Lb0EPhPS5_mNS0_19identity_decomposerEEE10hipError_tT1_T2_PT3_SE_jT4_jjP12ihipStream_tbEUlT_E_NS1_11comp_targetILNS1_3genE8ELNS1_11target_archE1030ELNS1_3gpuE2ELNS1_3repE0EEENS1_52radix_sort_onesweep_histogram_config_static_selectorELNS0_4arch9wavefront6targetE1EEEvSC_
                                        ; -- End function
	.section	.AMDGPU.csdata,"",@progbits
; Kernel info:
; codeLenInByte = 0
; NumSgprs: 4
; NumVgprs: 0
; NumAgprs: 0
; TotalNumVgprs: 0
; ScratchSize: 0
; MemoryBound: 0
; FloatMode: 240
; IeeeMode: 1
; LDSByteSize: 0 bytes/workgroup (compile time only)
; SGPRBlocks: 0
; VGPRBlocks: 0
; NumSGPRsForWavesPerEU: 4
; NumVGPRsForWavesPerEU: 1
; AccumOffset: 4
; Occupancy: 8
; WaveLimiterHint : 0
; COMPUTE_PGM_RSRC2:SCRATCH_EN: 0
; COMPUTE_PGM_RSRC2:USER_SGPR: 6
; COMPUTE_PGM_RSRC2:TRAP_HANDLER: 0
; COMPUTE_PGM_RSRC2:TGID_X_EN: 1
; COMPUTE_PGM_RSRC2:TGID_Y_EN: 0
; COMPUTE_PGM_RSRC2:TGID_Z_EN: 0
; COMPUTE_PGM_RSRC2:TIDIG_COMP_CNT: 0
; COMPUTE_PGM_RSRC3_GFX90A:ACCUM_OFFSET: 0
; COMPUTE_PGM_RSRC3_GFX90A:TG_SPLIT: 0
	.section	.text._ZN7rocprim17ROCPRIM_400000_NS6detail17trampoline_kernelINS0_14default_configENS1_35radix_sort_onesweep_config_selectorIhNS0_10empty_typeEEEZNS1_34radix_sort_onesweep_global_offsetsIS3_Lb0EPhPS5_mNS0_19identity_decomposerEEE10hipError_tT1_T2_PT3_SE_jT4_jjP12ihipStream_tbEUlT_E0_NS1_11comp_targetILNS1_3genE0ELNS1_11target_archE4294967295ELNS1_3gpuE0ELNS1_3repE0EEENS1_52radix_sort_onesweep_histogram_config_static_selectorELNS0_4arch9wavefront6targetE1EEEvSC_,"axG",@progbits,_ZN7rocprim17ROCPRIM_400000_NS6detail17trampoline_kernelINS0_14default_configENS1_35radix_sort_onesweep_config_selectorIhNS0_10empty_typeEEEZNS1_34radix_sort_onesweep_global_offsetsIS3_Lb0EPhPS5_mNS0_19identity_decomposerEEE10hipError_tT1_T2_PT3_SE_jT4_jjP12ihipStream_tbEUlT_E0_NS1_11comp_targetILNS1_3genE0ELNS1_11target_archE4294967295ELNS1_3gpuE0ELNS1_3repE0EEENS1_52radix_sort_onesweep_histogram_config_static_selectorELNS0_4arch9wavefront6targetE1EEEvSC_,comdat
	.protected	_ZN7rocprim17ROCPRIM_400000_NS6detail17trampoline_kernelINS0_14default_configENS1_35radix_sort_onesweep_config_selectorIhNS0_10empty_typeEEEZNS1_34radix_sort_onesweep_global_offsetsIS3_Lb0EPhPS5_mNS0_19identity_decomposerEEE10hipError_tT1_T2_PT3_SE_jT4_jjP12ihipStream_tbEUlT_E0_NS1_11comp_targetILNS1_3genE0ELNS1_11target_archE4294967295ELNS1_3gpuE0ELNS1_3repE0EEENS1_52radix_sort_onesweep_histogram_config_static_selectorELNS0_4arch9wavefront6targetE1EEEvSC_ ; -- Begin function _ZN7rocprim17ROCPRIM_400000_NS6detail17trampoline_kernelINS0_14default_configENS1_35radix_sort_onesweep_config_selectorIhNS0_10empty_typeEEEZNS1_34radix_sort_onesweep_global_offsetsIS3_Lb0EPhPS5_mNS0_19identity_decomposerEEE10hipError_tT1_T2_PT3_SE_jT4_jjP12ihipStream_tbEUlT_E0_NS1_11comp_targetILNS1_3genE0ELNS1_11target_archE4294967295ELNS1_3gpuE0ELNS1_3repE0EEENS1_52radix_sort_onesweep_histogram_config_static_selectorELNS0_4arch9wavefront6targetE1EEEvSC_
	.globl	_ZN7rocprim17ROCPRIM_400000_NS6detail17trampoline_kernelINS0_14default_configENS1_35radix_sort_onesweep_config_selectorIhNS0_10empty_typeEEEZNS1_34radix_sort_onesweep_global_offsetsIS3_Lb0EPhPS5_mNS0_19identity_decomposerEEE10hipError_tT1_T2_PT3_SE_jT4_jjP12ihipStream_tbEUlT_E0_NS1_11comp_targetILNS1_3genE0ELNS1_11target_archE4294967295ELNS1_3gpuE0ELNS1_3repE0EEENS1_52radix_sort_onesweep_histogram_config_static_selectorELNS0_4arch9wavefront6targetE1EEEvSC_
	.p2align	8
	.type	_ZN7rocprim17ROCPRIM_400000_NS6detail17trampoline_kernelINS0_14default_configENS1_35radix_sort_onesweep_config_selectorIhNS0_10empty_typeEEEZNS1_34radix_sort_onesweep_global_offsetsIS3_Lb0EPhPS5_mNS0_19identity_decomposerEEE10hipError_tT1_T2_PT3_SE_jT4_jjP12ihipStream_tbEUlT_E0_NS1_11comp_targetILNS1_3genE0ELNS1_11target_archE4294967295ELNS1_3gpuE0ELNS1_3repE0EEENS1_52radix_sort_onesweep_histogram_config_static_selectorELNS0_4arch9wavefront6targetE1EEEvSC_,@function
_ZN7rocprim17ROCPRIM_400000_NS6detail17trampoline_kernelINS0_14default_configENS1_35radix_sort_onesweep_config_selectorIhNS0_10empty_typeEEEZNS1_34radix_sort_onesweep_global_offsetsIS3_Lb0EPhPS5_mNS0_19identity_decomposerEEE10hipError_tT1_T2_PT3_SE_jT4_jjP12ihipStream_tbEUlT_E0_NS1_11comp_targetILNS1_3genE0ELNS1_11target_archE4294967295ELNS1_3gpuE0ELNS1_3repE0EEENS1_52radix_sort_onesweep_histogram_config_static_selectorELNS0_4arch9wavefront6targetE1EEEvSC_: ; @_ZN7rocprim17ROCPRIM_400000_NS6detail17trampoline_kernelINS0_14default_configENS1_35radix_sort_onesweep_config_selectorIhNS0_10empty_typeEEEZNS1_34radix_sort_onesweep_global_offsetsIS3_Lb0EPhPS5_mNS0_19identity_decomposerEEE10hipError_tT1_T2_PT3_SE_jT4_jjP12ihipStream_tbEUlT_E0_NS1_11comp_targetILNS1_3genE0ELNS1_11target_archE4294967295ELNS1_3gpuE0ELNS1_3repE0EEENS1_52radix_sort_onesweep_histogram_config_static_selectorELNS0_4arch9wavefront6targetE1EEEvSC_
; %bb.0:
	.section	.rodata,"a",@progbits
	.p2align	6, 0x0
	.amdhsa_kernel _ZN7rocprim17ROCPRIM_400000_NS6detail17trampoline_kernelINS0_14default_configENS1_35radix_sort_onesweep_config_selectorIhNS0_10empty_typeEEEZNS1_34radix_sort_onesweep_global_offsetsIS3_Lb0EPhPS5_mNS0_19identity_decomposerEEE10hipError_tT1_T2_PT3_SE_jT4_jjP12ihipStream_tbEUlT_E0_NS1_11comp_targetILNS1_3genE0ELNS1_11target_archE4294967295ELNS1_3gpuE0ELNS1_3repE0EEENS1_52radix_sort_onesweep_histogram_config_static_selectorELNS0_4arch9wavefront6targetE1EEEvSC_
		.amdhsa_group_segment_fixed_size 0
		.amdhsa_private_segment_fixed_size 0
		.amdhsa_kernarg_size 8
		.amdhsa_user_sgpr_count 6
		.amdhsa_user_sgpr_private_segment_buffer 1
		.amdhsa_user_sgpr_dispatch_ptr 0
		.amdhsa_user_sgpr_queue_ptr 0
		.amdhsa_user_sgpr_kernarg_segment_ptr 1
		.amdhsa_user_sgpr_dispatch_id 0
		.amdhsa_user_sgpr_flat_scratch_init 0
		.amdhsa_user_sgpr_kernarg_preload_length 0
		.amdhsa_user_sgpr_kernarg_preload_offset 0
		.amdhsa_user_sgpr_private_segment_size 0
		.amdhsa_uses_dynamic_stack 0
		.amdhsa_system_sgpr_private_segment_wavefront_offset 0
		.amdhsa_system_sgpr_workgroup_id_x 1
		.amdhsa_system_sgpr_workgroup_id_y 0
		.amdhsa_system_sgpr_workgroup_id_z 0
		.amdhsa_system_sgpr_workgroup_info 0
		.amdhsa_system_vgpr_workitem_id 0
		.amdhsa_next_free_vgpr 1
		.amdhsa_next_free_sgpr 0
		.amdhsa_accum_offset 4
		.amdhsa_reserve_vcc 0
		.amdhsa_reserve_flat_scratch 0
		.amdhsa_float_round_mode_32 0
		.amdhsa_float_round_mode_16_64 0
		.amdhsa_float_denorm_mode_32 3
		.amdhsa_float_denorm_mode_16_64 3
		.amdhsa_dx10_clamp 1
		.amdhsa_ieee_mode 1
		.amdhsa_fp16_overflow 0
		.amdhsa_tg_split 0
		.amdhsa_exception_fp_ieee_invalid_op 0
		.amdhsa_exception_fp_denorm_src 0
		.amdhsa_exception_fp_ieee_div_zero 0
		.amdhsa_exception_fp_ieee_overflow 0
		.amdhsa_exception_fp_ieee_underflow 0
		.amdhsa_exception_fp_ieee_inexact 0
		.amdhsa_exception_int_div_zero 0
	.end_amdhsa_kernel
	.section	.text._ZN7rocprim17ROCPRIM_400000_NS6detail17trampoline_kernelINS0_14default_configENS1_35radix_sort_onesweep_config_selectorIhNS0_10empty_typeEEEZNS1_34radix_sort_onesweep_global_offsetsIS3_Lb0EPhPS5_mNS0_19identity_decomposerEEE10hipError_tT1_T2_PT3_SE_jT4_jjP12ihipStream_tbEUlT_E0_NS1_11comp_targetILNS1_3genE0ELNS1_11target_archE4294967295ELNS1_3gpuE0ELNS1_3repE0EEENS1_52radix_sort_onesweep_histogram_config_static_selectorELNS0_4arch9wavefront6targetE1EEEvSC_,"axG",@progbits,_ZN7rocprim17ROCPRIM_400000_NS6detail17trampoline_kernelINS0_14default_configENS1_35radix_sort_onesweep_config_selectorIhNS0_10empty_typeEEEZNS1_34radix_sort_onesweep_global_offsetsIS3_Lb0EPhPS5_mNS0_19identity_decomposerEEE10hipError_tT1_T2_PT3_SE_jT4_jjP12ihipStream_tbEUlT_E0_NS1_11comp_targetILNS1_3genE0ELNS1_11target_archE4294967295ELNS1_3gpuE0ELNS1_3repE0EEENS1_52radix_sort_onesweep_histogram_config_static_selectorELNS0_4arch9wavefront6targetE1EEEvSC_,comdat
.Lfunc_end311:
	.size	_ZN7rocprim17ROCPRIM_400000_NS6detail17trampoline_kernelINS0_14default_configENS1_35radix_sort_onesweep_config_selectorIhNS0_10empty_typeEEEZNS1_34radix_sort_onesweep_global_offsetsIS3_Lb0EPhPS5_mNS0_19identity_decomposerEEE10hipError_tT1_T2_PT3_SE_jT4_jjP12ihipStream_tbEUlT_E0_NS1_11comp_targetILNS1_3genE0ELNS1_11target_archE4294967295ELNS1_3gpuE0ELNS1_3repE0EEENS1_52radix_sort_onesweep_histogram_config_static_selectorELNS0_4arch9wavefront6targetE1EEEvSC_, .Lfunc_end311-_ZN7rocprim17ROCPRIM_400000_NS6detail17trampoline_kernelINS0_14default_configENS1_35radix_sort_onesweep_config_selectorIhNS0_10empty_typeEEEZNS1_34radix_sort_onesweep_global_offsetsIS3_Lb0EPhPS5_mNS0_19identity_decomposerEEE10hipError_tT1_T2_PT3_SE_jT4_jjP12ihipStream_tbEUlT_E0_NS1_11comp_targetILNS1_3genE0ELNS1_11target_archE4294967295ELNS1_3gpuE0ELNS1_3repE0EEENS1_52radix_sort_onesweep_histogram_config_static_selectorELNS0_4arch9wavefront6targetE1EEEvSC_
                                        ; -- End function
	.section	.AMDGPU.csdata,"",@progbits
; Kernel info:
; codeLenInByte = 0
; NumSgprs: 4
; NumVgprs: 0
; NumAgprs: 0
; TotalNumVgprs: 0
; ScratchSize: 0
; MemoryBound: 0
; FloatMode: 240
; IeeeMode: 1
; LDSByteSize: 0 bytes/workgroup (compile time only)
; SGPRBlocks: 0
; VGPRBlocks: 0
; NumSGPRsForWavesPerEU: 4
; NumVGPRsForWavesPerEU: 1
; AccumOffset: 4
; Occupancy: 8
; WaveLimiterHint : 0
; COMPUTE_PGM_RSRC2:SCRATCH_EN: 0
; COMPUTE_PGM_RSRC2:USER_SGPR: 6
; COMPUTE_PGM_RSRC2:TRAP_HANDLER: 0
; COMPUTE_PGM_RSRC2:TGID_X_EN: 1
; COMPUTE_PGM_RSRC2:TGID_Y_EN: 0
; COMPUTE_PGM_RSRC2:TGID_Z_EN: 0
; COMPUTE_PGM_RSRC2:TIDIG_COMP_CNT: 0
; COMPUTE_PGM_RSRC3_GFX90A:ACCUM_OFFSET: 0
; COMPUTE_PGM_RSRC3_GFX90A:TG_SPLIT: 0
	.section	.text._ZN7rocprim17ROCPRIM_400000_NS6detail17trampoline_kernelINS0_14default_configENS1_35radix_sort_onesweep_config_selectorIhNS0_10empty_typeEEEZNS1_34radix_sort_onesweep_global_offsetsIS3_Lb0EPhPS5_mNS0_19identity_decomposerEEE10hipError_tT1_T2_PT3_SE_jT4_jjP12ihipStream_tbEUlT_E0_NS1_11comp_targetILNS1_3genE6ELNS1_11target_archE950ELNS1_3gpuE13ELNS1_3repE0EEENS1_52radix_sort_onesweep_histogram_config_static_selectorELNS0_4arch9wavefront6targetE1EEEvSC_,"axG",@progbits,_ZN7rocprim17ROCPRIM_400000_NS6detail17trampoline_kernelINS0_14default_configENS1_35radix_sort_onesweep_config_selectorIhNS0_10empty_typeEEEZNS1_34radix_sort_onesweep_global_offsetsIS3_Lb0EPhPS5_mNS0_19identity_decomposerEEE10hipError_tT1_T2_PT3_SE_jT4_jjP12ihipStream_tbEUlT_E0_NS1_11comp_targetILNS1_3genE6ELNS1_11target_archE950ELNS1_3gpuE13ELNS1_3repE0EEENS1_52radix_sort_onesweep_histogram_config_static_selectorELNS0_4arch9wavefront6targetE1EEEvSC_,comdat
	.protected	_ZN7rocprim17ROCPRIM_400000_NS6detail17trampoline_kernelINS0_14default_configENS1_35radix_sort_onesweep_config_selectorIhNS0_10empty_typeEEEZNS1_34radix_sort_onesweep_global_offsetsIS3_Lb0EPhPS5_mNS0_19identity_decomposerEEE10hipError_tT1_T2_PT3_SE_jT4_jjP12ihipStream_tbEUlT_E0_NS1_11comp_targetILNS1_3genE6ELNS1_11target_archE950ELNS1_3gpuE13ELNS1_3repE0EEENS1_52radix_sort_onesweep_histogram_config_static_selectorELNS0_4arch9wavefront6targetE1EEEvSC_ ; -- Begin function _ZN7rocprim17ROCPRIM_400000_NS6detail17trampoline_kernelINS0_14default_configENS1_35radix_sort_onesweep_config_selectorIhNS0_10empty_typeEEEZNS1_34radix_sort_onesweep_global_offsetsIS3_Lb0EPhPS5_mNS0_19identity_decomposerEEE10hipError_tT1_T2_PT3_SE_jT4_jjP12ihipStream_tbEUlT_E0_NS1_11comp_targetILNS1_3genE6ELNS1_11target_archE950ELNS1_3gpuE13ELNS1_3repE0EEENS1_52radix_sort_onesweep_histogram_config_static_selectorELNS0_4arch9wavefront6targetE1EEEvSC_
	.globl	_ZN7rocprim17ROCPRIM_400000_NS6detail17trampoline_kernelINS0_14default_configENS1_35radix_sort_onesweep_config_selectorIhNS0_10empty_typeEEEZNS1_34radix_sort_onesweep_global_offsetsIS3_Lb0EPhPS5_mNS0_19identity_decomposerEEE10hipError_tT1_T2_PT3_SE_jT4_jjP12ihipStream_tbEUlT_E0_NS1_11comp_targetILNS1_3genE6ELNS1_11target_archE950ELNS1_3gpuE13ELNS1_3repE0EEENS1_52radix_sort_onesweep_histogram_config_static_selectorELNS0_4arch9wavefront6targetE1EEEvSC_
	.p2align	8
	.type	_ZN7rocprim17ROCPRIM_400000_NS6detail17trampoline_kernelINS0_14default_configENS1_35radix_sort_onesweep_config_selectorIhNS0_10empty_typeEEEZNS1_34radix_sort_onesweep_global_offsetsIS3_Lb0EPhPS5_mNS0_19identity_decomposerEEE10hipError_tT1_T2_PT3_SE_jT4_jjP12ihipStream_tbEUlT_E0_NS1_11comp_targetILNS1_3genE6ELNS1_11target_archE950ELNS1_3gpuE13ELNS1_3repE0EEENS1_52radix_sort_onesweep_histogram_config_static_selectorELNS0_4arch9wavefront6targetE1EEEvSC_,@function
_ZN7rocprim17ROCPRIM_400000_NS6detail17trampoline_kernelINS0_14default_configENS1_35radix_sort_onesweep_config_selectorIhNS0_10empty_typeEEEZNS1_34radix_sort_onesweep_global_offsetsIS3_Lb0EPhPS5_mNS0_19identity_decomposerEEE10hipError_tT1_T2_PT3_SE_jT4_jjP12ihipStream_tbEUlT_E0_NS1_11comp_targetILNS1_3genE6ELNS1_11target_archE950ELNS1_3gpuE13ELNS1_3repE0EEENS1_52radix_sort_onesweep_histogram_config_static_selectorELNS0_4arch9wavefront6targetE1EEEvSC_: ; @_ZN7rocprim17ROCPRIM_400000_NS6detail17trampoline_kernelINS0_14default_configENS1_35radix_sort_onesweep_config_selectorIhNS0_10empty_typeEEEZNS1_34radix_sort_onesweep_global_offsetsIS3_Lb0EPhPS5_mNS0_19identity_decomposerEEE10hipError_tT1_T2_PT3_SE_jT4_jjP12ihipStream_tbEUlT_E0_NS1_11comp_targetILNS1_3genE6ELNS1_11target_archE950ELNS1_3gpuE13ELNS1_3repE0EEENS1_52radix_sort_onesweep_histogram_config_static_selectorELNS0_4arch9wavefront6targetE1EEEvSC_
; %bb.0:
	.section	.rodata,"a",@progbits
	.p2align	6, 0x0
	.amdhsa_kernel _ZN7rocprim17ROCPRIM_400000_NS6detail17trampoline_kernelINS0_14default_configENS1_35radix_sort_onesweep_config_selectorIhNS0_10empty_typeEEEZNS1_34radix_sort_onesweep_global_offsetsIS3_Lb0EPhPS5_mNS0_19identity_decomposerEEE10hipError_tT1_T2_PT3_SE_jT4_jjP12ihipStream_tbEUlT_E0_NS1_11comp_targetILNS1_3genE6ELNS1_11target_archE950ELNS1_3gpuE13ELNS1_3repE0EEENS1_52radix_sort_onesweep_histogram_config_static_selectorELNS0_4arch9wavefront6targetE1EEEvSC_
		.amdhsa_group_segment_fixed_size 0
		.amdhsa_private_segment_fixed_size 0
		.amdhsa_kernarg_size 8
		.amdhsa_user_sgpr_count 6
		.amdhsa_user_sgpr_private_segment_buffer 1
		.amdhsa_user_sgpr_dispatch_ptr 0
		.amdhsa_user_sgpr_queue_ptr 0
		.amdhsa_user_sgpr_kernarg_segment_ptr 1
		.amdhsa_user_sgpr_dispatch_id 0
		.amdhsa_user_sgpr_flat_scratch_init 0
		.amdhsa_user_sgpr_kernarg_preload_length 0
		.amdhsa_user_sgpr_kernarg_preload_offset 0
		.amdhsa_user_sgpr_private_segment_size 0
		.amdhsa_uses_dynamic_stack 0
		.amdhsa_system_sgpr_private_segment_wavefront_offset 0
		.amdhsa_system_sgpr_workgroup_id_x 1
		.amdhsa_system_sgpr_workgroup_id_y 0
		.amdhsa_system_sgpr_workgroup_id_z 0
		.amdhsa_system_sgpr_workgroup_info 0
		.amdhsa_system_vgpr_workitem_id 0
		.amdhsa_next_free_vgpr 1
		.amdhsa_next_free_sgpr 0
		.amdhsa_accum_offset 4
		.amdhsa_reserve_vcc 0
		.amdhsa_reserve_flat_scratch 0
		.amdhsa_float_round_mode_32 0
		.amdhsa_float_round_mode_16_64 0
		.amdhsa_float_denorm_mode_32 3
		.amdhsa_float_denorm_mode_16_64 3
		.amdhsa_dx10_clamp 1
		.amdhsa_ieee_mode 1
		.amdhsa_fp16_overflow 0
		.amdhsa_tg_split 0
		.amdhsa_exception_fp_ieee_invalid_op 0
		.amdhsa_exception_fp_denorm_src 0
		.amdhsa_exception_fp_ieee_div_zero 0
		.amdhsa_exception_fp_ieee_overflow 0
		.amdhsa_exception_fp_ieee_underflow 0
		.amdhsa_exception_fp_ieee_inexact 0
		.amdhsa_exception_int_div_zero 0
	.end_amdhsa_kernel
	.section	.text._ZN7rocprim17ROCPRIM_400000_NS6detail17trampoline_kernelINS0_14default_configENS1_35radix_sort_onesweep_config_selectorIhNS0_10empty_typeEEEZNS1_34radix_sort_onesweep_global_offsetsIS3_Lb0EPhPS5_mNS0_19identity_decomposerEEE10hipError_tT1_T2_PT3_SE_jT4_jjP12ihipStream_tbEUlT_E0_NS1_11comp_targetILNS1_3genE6ELNS1_11target_archE950ELNS1_3gpuE13ELNS1_3repE0EEENS1_52radix_sort_onesweep_histogram_config_static_selectorELNS0_4arch9wavefront6targetE1EEEvSC_,"axG",@progbits,_ZN7rocprim17ROCPRIM_400000_NS6detail17trampoline_kernelINS0_14default_configENS1_35radix_sort_onesweep_config_selectorIhNS0_10empty_typeEEEZNS1_34radix_sort_onesweep_global_offsetsIS3_Lb0EPhPS5_mNS0_19identity_decomposerEEE10hipError_tT1_T2_PT3_SE_jT4_jjP12ihipStream_tbEUlT_E0_NS1_11comp_targetILNS1_3genE6ELNS1_11target_archE950ELNS1_3gpuE13ELNS1_3repE0EEENS1_52radix_sort_onesweep_histogram_config_static_selectorELNS0_4arch9wavefront6targetE1EEEvSC_,comdat
.Lfunc_end312:
	.size	_ZN7rocprim17ROCPRIM_400000_NS6detail17trampoline_kernelINS0_14default_configENS1_35radix_sort_onesweep_config_selectorIhNS0_10empty_typeEEEZNS1_34radix_sort_onesweep_global_offsetsIS3_Lb0EPhPS5_mNS0_19identity_decomposerEEE10hipError_tT1_T2_PT3_SE_jT4_jjP12ihipStream_tbEUlT_E0_NS1_11comp_targetILNS1_3genE6ELNS1_11target_archE950ELNS1_3gpuE13ELNS1_3repE0EEENS1_52radix_sort_onesweep_histogram_config_static_selectorELNS0_4arch9wavefront6targetE1EEEvSC_, .Lfunc_end312-_ZN7rocprim17ROCPRIM_400000_NS6detail17trampoline_kernelINS0_14default_configENS1_35radix_sort_onesweep_config_selectorIhNS0_10empty_typeEEEZNS1_34radix_sort_onesweep_global_offsetsIS3_Lb0EPhPS5_mNS0_19identity_decomposerEEE10hipError_tT1_T2_PT3_SE_jT4_jjP12ihipStream_tbEUlT_E0_NS1_11comp_targetILNS1_3genE6ELNS1_11target_archE950ELNS1_3gpuE13ELNS1_3repE0EEENS1_52radix_sort_onesweep_histogram_config_static_selectorELNS0_4arch9wavefront6targetE1EEEvSC_
                                        ; -- End function
	.section	.AMDGPU.csdata,"",@progbits
; Kernel info:
; codeLenInByte = 0
; NumSgprs: 4
; NumVgprs: 0
; NumAgprs: 0
; TotalNumVgprs: 0
; ScratchSize: 0
; MemoryBound: 0
; FloatMode: 240
; IeeeMode: 1
; LDSByteSize: 0 bytes/workgroup (compile time only)
; SGPRBlocks: 0
; VGPRBlocks: 0
; NumSGPRsForWavesPerEU: 4
; NumVGPRsForWavesPerEU: 1
; AccumOffset: 4
; Occupancy: 8
; WaveLimiterHint : 0
; COMPUTE_PGM_RSRC2:SCRATCH_EN: 0
; COMPUTE_PGM_RSRC2:USER_SGPR: 6
; COMPUTE_PGM_RSRC2:TRAP_HANDLER: 0
; COMPUTE_PGM_RSRC2:TGID_X_EN: 1
; COMPUTE_PGM_RSRC2:TGID_Y_EN: 0
; COMPUTE_PGM_RSRC2:TGID_Z_EN: 0
; COMPUTE_PGM_RSRC2:TIDIG_COMP_CNT: 0
; COMPUTE_PGM_RSRC3_GFX90A:ACCUM_OFFSET: 0
; COMPUTE_PGM_RSRC3_GFX90A:TG_SPLIT: 0
	.section	.text._ZN7rocprim17ROCPRIM_400000_NS6detail17trampoline_kernelINS0_14default_configENS1_35radix_sort_onesweep_config_selectorIhNS0_10empty_typeEEEZNS1_34radix_sort_onesweep_global_offsetsIS3_Lb0EPhPS5_mNS0_19identity_decomposerEEE10hipError_tT1_T2_PT3_SE_jT4_jjP12ihipStream_tbEUlT_E0_NS1_11comp_targetILNS1_3genE5ELNS1_11target_archE942ELNS1_3gpuE9ELNS1_3repE0EEENS1_52radix_sort_onesweep_histogram_config_static_selectorELNS0_4arch9wavefront6targetE1EEEvSC_,"axG",@progbits,_ZN7rocprim17ROCPRIM_400000_NS6detail17trampoline_kernelINS0_14default_configENS1_35radix_sort_onesweep_config_selectorIhNS0_10empty_typeEEEZNS1_34radix_sort_onesweep_global_offsetsIS3_Lb0EPhPS5_mNS0_19identity_decomposerEEE10hipError_tT1_T2_PT3_SE_jT4_jjP12ihipStream_tbEUlT_E0_NS1_11comp_targetILNS1_3genE5ELNS1_11target_archE942ELNS1_3gpuE9ELNS1_3repE0EEENS1_52radix_sort_onesweep_histogram_config_static_selectorELNS0_4arch9wavefront6targetE1EEEvSC_,comdat
	.protected	_ZN7rocprim17ROCPRIM_400000_NS6detail17trampoline_kernelINS0_14default_configENS1_35radix_sort_onesweep_config_selectorIhNS0_10empty_typeEEEZNS1_34radix_sort_onesweep_global_offsetsIS3_Lb0EPhPS5_mNS0_19identity_decomposerEEE10hipError_tT1_T2_PT3_SE_jT4_jjP12ihipStream_tbEUlT_E0_NS1_11comp_targetILNS1_3genE5ELNS1_11target_archE942ELNS1_3gpuE9ELNS1_3repE0EEENS1_52radix_sort_onesweep_histogram_config_static_selectorELNS0_4arch9wavefront6targetE1EEEvSC_ ; -- Begin function _ZN7rocprim17ROCPRIM_400000_NS6detail17trampoline_kernelINS0_14default_configENS1_35radix_sort_onesweep_config_selectorIhNS0_10empty_typeEEEZNS1_34radix_sort_onesweep_global_offsetsIS3_Lb0EPhPS5_mNS0_19identity_decomposerEEE10hipError_tT1_T2_PT3_SE_jT4_jjP12ihipStream_tbEUlT_E0_NS1_11comp_targetILNS1_3genE5ELNS1_11target_archE942ELNS1_3gpuE9ELNS1_3repE0EEENS1_52radix_sort_onesweep_histogram_config_static_selectorELNS0_4arch9wavefront6targetE1EEEvSC_
	.globl	_ZN7rocprim17ROCPRIM_400000_NS6detail17trampoline_kernelINS0_14default_configENS1_35radix_sort_onesweep_config_selectorIhNS0_10empty_typeEEEZNS1_34radix_sort_onesweep_global_offsetsIS3_Lb0EPhPS5_mNS0_19identity_decomposerEEE10hipError_tT1_T2_PT3_SE_jT4_jjP12ihipStream_tbEUlT_E0_NS1_11comp_targetILNS1_3genE5ELNS1_11target_archE942ELNS1_3gpuE9ELNS1_3repE0EEENS1_52radix_sort_onesweep_histogram_config_static_selectorELNS0_4arch9wavefront6targetE1EEEvSC_
	.p2align	8
	.type	_ZN7rocprim17ROCPRIM_400000_NS6detail17trampoline_kernelINS0_14default_configENS1_35radix_sort_onesweep_config_selectorIhNS0_10empty_typeEEEZNS1_34radix_sort_onesweep_global_offsetsIS3_Lb0EPhPS5_mNS0_19identity_decomposerEEE10hipError_tT1_T2_PT3_SE_jT4_jjP12ihipStream_tbEUlT_E0_NS1_11comp_targetILNS1_3genE5ELNS1_11target_archE942ELNS1_3gpuE9ELNS1_3repE0EEENS1_52radix_sort_onesweep_histogram_config_static_selectorELNS0_4arch9wavefront6targetE1EEEvSC_,@function
_ZN7rocprim17ROCPRIM_400000_NS6detail17trampoline_kernelINS0_14default_configENS1_35radix_sort_onesweep_config_selectorIhNS0_10empty_typeEEEZNS1_34radix_sort_onesweep_global_offsetsIS3_Lb0EPhPS5_mNS0_19identity_decomposerEEE10hipError_tT1_T2_PT3_SE_jT4_jjP12ihipStream_tbEUlT_E0_NS1_11comp_targetILNS1_3genE5ELNS1_11target_archE942ELNS1_3gpuE9ELNS1_3repE0EEENS1_52radix_sort_onesweep_histogram_config_static_selectorELNS0_4arch9wavefront6targetE1EEEvSC_: ; @_ZN7rocprim17ROCPRIM_400000_NS6detail17trampoline_kernelINS0_14default_configENS1_35radix_sort_onesweep_config_selectorIhNS0_10empty_typeEEEZNS1_34radix_sort_onesweep_global_offsetsIS3_Lb0EPhPS5_mNS0_19identity_decomposerEEE10hipError_tT1_T2_PT3_SE_jT4_jjP12ihipStream_tbEUlT_E0_NS1_11comp_targetILNS1_3genE5ELNS1_11target_archE942ELNS1_3gpuE9ELNS1_3repE0EEENS1_52radix_sort_onesweep_histogram_config_static_selectorELNS0_4arch9wavefront6targetE1EEEvSC_
; %bb.0:
	.section	.rodata,"a",@progbits
	.p2align	6, 0x0
	.amdhsa_kernel _ZN7rocprim17ROCPRIM_400000_NS6detail17trampoline_kernelINS0_14default_configENS1_35radix_sort_onesweep_config_selectorIhNS0_10empty_typeEEEZNS1_34radix_sort_onesweep_global_offsetsIS3_Lb0EPhPS5_mNS0_19identity_decomposerEEE10hipError_tT1_T2_PT3_SE_jT4_jjP12ihipStream_tbEUlT_E0_NS1_11comp_targetILNS1_3genE5ELNS1_11target_archE942ELNS1_3gpuE9ELNS1_3repE0EEENS1_52radix_sort_onesweep_histogram_config_static_selectorELNS0_4arch9wavefront6targetE1EEEvSC_
		.amdhsa_group_segment_fixed_size 0
		.amdhsa_private_segment_fixed_size 0
		.amdhsa_kernarg_size 8
		.amdhsa_user_sgpr_count 6
		.amdhsa_user_sgpr_private_segment_buffer 1
		.amdhsa_user_sgpr_dispatch_ptr 0
		.amdhsa_user_sgpr_queue_ptr 0
		.amdhsa_user_sgpr_kernarg_segment_ptr 1
		.amdhsa_user_sgpr_dispatch_id 0
		.amdhsa_user_sgpr_flat_scratch_init 0
		.amdhsa_user_sgpr_kernarg_preload_length 0
		.amdhsa_user_sgpr_kernarg_preload_offset 0
		.amdhsa_user_sgpr_private_segment_size 0
		.amdhsa_uses_dynamic_stack 0
		.amdhsa_system_sgpr_private_segment_wavefront_offset 0
		.amdhsa_system_sgpr_workgroup_id_x 1
		.amdhsa_system_sgpr_workgroup_id_y 0
		.amdhsa_system_sgpr_workgroup_id_z 0
		.amdhsa_system_sgpr_workgroup_info 0
		.amdhsa_system_vgpr_workitem_id 0
		.amdhsa_next_free_vgpr 1
		.amdhsa_next_free_sgpr 0
		.amdhsa_accum_offset 4
		.amdhsa_reserve_vcc 0
		.amdhsa_reserve_flat_scratch 0
		.amdhsa_float_round_mode_32 0
		.amdhsa_float_round_mode_16_64 0
		.amdhsa_float_denorm_mode_32 3
		.amdhsa_float_denorm_mode_16_64 3
		.amdhsa_dx10_clamp 1
		.amdhsa_ieee_mode 1
		.amdhsa_fp16_overflow 0
		.amdhsa_tg_split 0
		.amdhsa_exception_fp_ieee_invalid_op 0
		.amdhsa_exception_fp_denorm_src 0
		.amdhsa_exception_fp_ieee_div_zero 0
		.amdhsa_exception_fp_ieee_overflow 0
		.amdhsa_exception_fp_ieee_underflow 0
		.amdhsa_exception_fp_ieee_inexact 0
		.amdhsa_exception_int_div_zero 0
	.end_amdhsa_kernel
	.section	.text._ZN7rocprim17ROCPRIM_400000_NS6detail17trampoline_kernelINS0_14default_configENS1_35radix_sort_onesweep_config_selectorIhNS0_10empty_typeEEEZNS1_34radix_sort_onesweep_global_offsetsIS3_Lb0EPhPS5_mNS0_19identity_decomposerEEE10hipError_tT1_T2_PT3_SE_jT4_jjP12ihipStream_tbEUlT_E0_NS1_11comp_targetILNS1_3genE5ELNS1_11target_archE942ELNS1_3gpuE9ELNS1_3repE0EEENS1_52radix_sort_onesweep_histogram_config_static_selectorELNS0_4arch9wavefront6targetE1EEEvSC_,"axG",@progbits,_ZN7rocprim17ROCPRIM_400000_NS6detail17trampoline_kernelINS0_14default_configENS1_35radix_sort_onesweep_config_selectorIhNS0_10empty_typeEEEZNS1_34radix_sort_onesweep_global_offsetsIS3_Lb0EPhPS5_mNS0_19identity_decomposerEEE10hipError_tT1_T2_PT3_SE_jT4_jjP12ihipStream_tbEUlT_E0_NS1_11comp_targetILNS1_3genE5ELNS1_11target_archE942ELNS1_3gpuE9ELNS1_3repE0EEENS1_52radix_sort_onesweep_histogram_config_static_selectorELNS0_4arch9wavefront6targetE1EEEvSC_,comdat
.Lfunc_end313:
	.size	_ZN7rocprim17ROCPRIM_400000_NS6detail17trampoline_kernelINS0_14default_configENS1_35radix_sort_onesweep_config_selectorIhNS0_10empty_typeEEEZNS1_34radix_sort_onesweep_global_offsetsIS3_Lb0EPhPS5_mNS0_19identity_decomposerEEE10hipError_tT1_T2_PT3_SE_jT4_jjP12ihipStream_tbEUlT_E0_NS1_11comp_targetILNS1_3genE5ELNS1_11target_archE942ELNS1_3gpuE9ELNS1_3repE0EEENS1_52radix_sort_onesweep_histogram_config_static_selectorELNS0_4arch9wavefront6targetE1EEEvSC_, .Lfunc_end313-_ZN7rocprim17ROCPRIM_400000_NS6detail17trampoline_kernelINS0_14default_configENS1_35radix_sort_onesweep_config_selectorIhNS0_10empty_typeEEEZNS1_34radix_sort_onesweep_global_offsetsIS3_Lb0EPhPS5_mNS0_19identity_decomposerEEE10hipError_tT1_T2_PT3_SE_jT4_jjP12ihipStream_tbEUlT_E0_NS1_11comp_targetILNS1_3genE5ELNS1_11target_archE942ELNS1_3gpuE9ELNS1_3repE0EEENS1_52radix_sort_onesweep_histogram_config_static_selectorELNS0_4arch9wavefront6targetE1EEEvSC_
                                        ; -- End function
	.section	.AMDGPU.csdata,"",@progbits
; Kernel info:
; codeLenInByte = 0
; NumSgprs: 4
; NumVgprs: 0
; NumAgprs: 0
; TotalNumVgprs: 0
; ScratchSize: 0
; MemoryBound: 0
; FloatMode: 240
; IeeeMode: 1
; LDSByteSize: 0 bytes/workgroup (compile time only)
; SGPRBlocks: 0
; VGPRBlocks: 0
; NumSGPRsForWavesPerEU: 4
; NumVGPRsForWavesPerEU: 1
; AccumOffset: 4
; Occupancy: 8
; WaveLimiterHint : 0
; COMPUTE_PGM_RSRC2:SCRATCH_EN: 0
; COMPUTE_PGM_RSRC2:USER_SGPR: 6
; COMPUTE_PGM_RSRC2:TRAP_HANDLER: 0
; COMPUTE_PGM_RSRC2:TGID_X_EN: 1
; COMPUTE_PGM_RSRC2:TGID_Y_EN: 0
; COMPUTE_PGM_RSRC2:TGID_Z_EN: 0
; COMPUTE_PGM_RSRC2:TIDIG_COMP_CNT: 0
; COMPUTE_PGM_RSRC3_GFX90A:ACCUM_OFFSET: 0
; COMPUTE_PGM_RSRC3_GFX90A:TG_SPLIT: 0
	.section	.text._ZN7rocprim17ROCPRIM_400000_NS6detail17trampoline_kernelINS0_14default_configENS1_35radix_sort_onesweep_config_selectorIhNS0_10empty_typeEEEZNS1_34radix_sort_onesweep_global_offsetsIS3_Lb0EPhPS5_mNS0_19identity_decomposerEEE10hipError_tT1_T2_PT3_SE_jT4_jjP12ihipStream_tbEUlT_E0_NS1_11comp_targetILNS1_3genE2ELNS1_11target_archE906ELNS1_3gpuE6ELNS1_3repE0EEENS1_52radix_sort_onesweep_histogram_config_static_selectorELNS0_4arch9wavefront6targetE1EEEvSC_,"axG",@progbits,_ZN7rocprim17ROCPRIM_400000_NS6detail17trampoline_kernelINS0_14default_configENS1_35radix_sort_onesweep_config_selectorIhNS0_10empty_typeEEEZNS1_34radix_sort_onesweep_global_offsetsIS3_Lb0EPhPS5_mNS0_19identity_decomposerEEE10hipError_tT1_T2_PT3_SE_jT4_jjP12ihipStream_tbEUlT_E0_NS1_11comp_targetILNS1_3genE2ELNS1_11target_archE906ELNS1_3gpuE6ELNS1_3repE0EEENS1_52radix_sort_onesweep_histogram_config_static_selectorELNS0_4arch9wavefront6targetE1EEEvSC_,comdat
	.protected	_ZN7rocprim17ROCPRIM_400000_NS6detail17trampoline_kernelINS0_14default_configENS1_35radix_sort_onesweep_config_selectorIhNS0_10empty_typeEEEZNS1_34radix_sort_onesweep_global_offsetsIS3_Lb0EPhPS5_mNS0_19identity_decomposerEEE10hipError_tT1_T2_PT3_SE_jT4_jjP12ihipStream_tbEUlT_E0_NS1_11comp_targetILNS1_3genE2ELNS1_11target_archE906ELNS1_3gpuE6ELNS1_3repE0EEENS1_52radix_sort_onesweep_histogram_config_static_selectorELNS0_4arch9wavefront6targetE1EEEvSC_ ; -- Begin function _ZN7rocprim17ROCPRIM_400000_NS6detail17trampoline_kernelINS0_14default_configENS1_35radix_sort_onesweep_config_selectorIhNS0_10empty_typeEEEZNS1_34radix_sort_onesweep_global_offsetsIS3_Lb0EPhPS5_mNS0_19identity_decomposerEEE10hipError_tT1_T2_PT3_SE_jT4_jjP12ihipStream_tbEUlT_E0_NS1_11comp_targetILNS1_3genE2ELNS1_11target_archE906ELNS1_3gpuE6ELNS1_3repE0EEENS1_52radix_sort_onesweep_histogram_config_static_selectorELNS0_4arch9wavefront6targetE1EEEvSC_
	.globl	_ZN7rocprim17ROCPRIM_400000_NS6detail17trampoline_kernelINS0_14default_configENS1_35radix_sort_onesweep_config_selectorIhNS0_10empty_typeEEEZNS1_34radix_sort_onesweep_global_offsetsIS3_Lb0EPhPS5_mNS0_19identity_decomposerEEE10hipError_tT1_T2_PT3_SE_jT4_jjP12ihipStream_tbEUlT_E0_NS1_11comp_targetILNS1_3genE2ELNS1_11target_archE906ELNS1_3gpuE6ELNS1_3repE0EEENS1_52radix_sort_onesweep_histogram_config_static_selectorELNS0_4arch9wavefront6targetE1EEEvSC_
	.p2align	8
	.type	_ZN7rocprim17ROCPRIM_400000_NS6detail17trampoline_kernelINS0_14default_configENS1_35radix_sort_onesweep_config_selectorIhNS0_10empty_typeEEEZNS1_34radix_sort_onesweep_global_offsetsIS3_Lb0EPhPS5_mNS0_19identity_decomposerEEE10hipError_tT1_T2_PT3_SE_jT4_jjP12ihipStream_tbEUlT_E0_NS1_11comp_targetILNS1_3genE2ELNS1_11target_archE906ELNS1_3gpuE6ELNS1_3repE0EEENS1_52radix_sort_onesweep_histogram_config_static_selectorELNS0_4arch9wavefront6targetE1EEEvSC_,@function
_ZN7rocprim17ROCPRIM_400000_NS6detail17trampoline_kernelINS0_14default_configENS1_35radix_sort_onesweep_config_selectorIhNS0_10empty_typeEEEZNS1_34radix_sort_onesweep_global_offsetsIS3_Lb0EPhPS5_mNS0_19identity_decomposerEEE10hipError_tT1_T2_PT3_SE_jT4_jjP12ihipStream_tbEUlT_E0_NS1_11comp_targetILNS1_3genE2ELNS1_11target_archE906ELNS1_3gpuE6ELNS1_3repE0EEENS1_52radix_sort_onesweep_histogram_config_static_selectorELNS0_4arch9wavefront6targetE1EEEvSC_: ; @_ZN7rocprim17ROCPRIM_400000_NS6detail17trampoline_kernelINS0_14default_configENS1_35radix_sort_onesweep_config_selectorIhNS0_10empty_typeEEEZNS1_34radix_sort_onesweep_global_offsetsIS3_Lb0EPhPS5_mNS0_19identity_decomposerEEE10hipError_tT1_T2_PT3_SE_jT4_jjP12ihipStream_tbEUlT_E0_NS1_11comp_targetILNS1_3genE2ELNS1_11target_archE906ELNS1_3gpuE6ELNS1_3repE0EEENS1_52radix_sort_onesweep_histogram_config_static_selectorELNS0_4arch9wavefront6targetE1EEEvSC_
; %bb.0:
	.section	.rodata,"a",@progbits
	.p2align	6, 0x0
	.amdhsa_kernel _ZN7rocprim17ROCPRIM_400000_NS6detail17trampoline_kernelINS0_14default_configENS1_35radix_sort_onesweep_config_selectorIhNS0_10empty_typeEEEZNS1_34radix_sort_onesweep_global_offsetsIS3_Lb0EPhPS5_mNS0_19identity_decomposerEEE10hipError_tT1_T2_PT3_SE_jT4_jjP12ihipStream_tbEUlT_E0_NS1_11comp_targetILNS1_3genE2ELNS1_11target_archE906ELNS1_3gpuE6ELNS1_3repE0EEENS1_52radix_sort_onesweep_histogram_config_static_selectorELNS0_4arch9wavefront6targetE1EEEvSC_
		.amdhsa_group_segment_fixed_size 0
		.amdhsa_private_segment_fixed_size 0
		.amdhsa_kernarg_size 8
		.amdhsa_user_sgpr_count 6
		.amdhsa_user_sgpr_private_segment_buffer 1
		.amdhsa_user_sgpr_dispatch_ptr 0
		.amdhsa_user_sgpr_queue_ptr 0
		.amdhsa_user_sgpr_kernarg_segment_ptr 1
		.amdhsa_user_sgpr_dispatch_id 0
		.amdhsa_user_sgpr_flat_scratch_init 0
		.amdhsa_user_sgpr_kernarg_preload_length 0
		.amdhsa_user_sgpr_kernarg_preload_offset 0
		.amdhsa_user_sgpr_private_segment_size 0
		.amdhsa_uses_dynamic_stack 0
		.amdhsa_system_sgpr_private_segment_wavefront_offset 0
		.amdhsa_system_sgpr_workgroup_id_x 1
		.amdhsa_system_sgpr_workgroup_id_y 0
		.amdhsa_system_sgpr_workgroup_id_z 0
		.amdhsa_system_sgpr_workgroup_info 0
		.amdhsa_system_vgpr_workitem_id 0
		.amdhsa_next_free_vgpr 1
		.amdhsa_next_free_sgpr 0
		.amdhsa_accum_offset 4
		.amdhsa_reserve_vcc 0
		.amdhsa_reserve_flat_scratch 0
		.amdhsa_float_round_mode_32 0
		.amdhsa_float_round_mode_16_64 0
		.amdhsa_float_denorm_mode_32 3
		.amdhsa_float_denorm_mode_16_64 3
		.amdhsa_dx10_clamp 1
		.amdhsa_ieee_mode 1
		.amdhsa_fp16_overflow 0
		.amdhsa_tg_split 0
		.amdhsa_exception_fp_ieee_invalid_op 0
		.amdhsa_exception_fp_denorm_src 0
		.amdhsa_exception_fp_ieee_div_zero 0
		.amdhsa_exception_fp_ieee_overflow 0
		.amdhsa_exception_fp_ieee_underflow 0
		.amdhsa_exception_fp_ieee_inexact 0
		.amdhsa_exception_int_div_zero 0
	.end_amdhsa_kernel
	.section	.text._ZN7rocprim17ROCPRIM_400000_NS6detail17trampoline_kernelINS0_14default_configENS1_35radix_sort_onesweep_config_selectorIhNS0_10empty_typeEEEZNS1_34radix_sort_onesweep_global_offsetsIS3_Lb0EPhPS5_mNS0_19identity_decomposerEEE10hipError_tT1_T2_PT3_SE_jT4_jjP12ihipStream_tbEUlT_E0_NS1_11comp_targetILNS1_3genE2ELNS1_11target_archE906ELNS1_3gpuE6ELNS1_3repE0EEENS1_52radix_sort_onesweep_histogram_config_static_selectorELNS0_4arch9wavefront6targetE1EEEvSC_,"axG",@progbits,_ZN7rocprim17ROCPRIM_400000_NS6detail17trampoline_kernelINS0_14default_configENS1_35radix_sort_onesweep_config_selectorIhNS0_10empty_typeEEEZNS1_34radix_sort_onesweep_global_offsetsIS3_Lb0EPhPS5_mNS0_19identity_decomposerEEE10hipError_tT1_T2_PT3_SE_jT4_jjP12ihipStream_tbEUlT_E0_NS1_11comp_targetILNS1_3genE2ELNS1_11target_archE906ELNS1_3gpuE6ELNS1_3repE0EEENS1_52radix_sort_onesweep_histogram_config_static_selectorELNS0_4arch9wavefront6targetE1EEEvSC_,comdat
.Lfunc_end314:
	.size	_ZN7rocprim17ROCPRIM_400000_NS6detail17trampoline_kernelINS0_14default_configENS1_35radix_sort_onesweep_config_selectorIhNS0_10empty_typeEEEZNS1_34radix_sort_onesweep_global_offsetsIS3_Lb0EPhPS5_mNS0_19identity_decomposerEEE10hipError_tT1_T2_PT3_SE_jT4_jjP12ihipStream_tbEUlT_E0_NS1_11comp_targetILNS1_3genE2ELNS1_11target_archE906ELNS1_3gpuE6ELNS1_3repE0EEENS1_52radix_sort_onesweep_histogram_config_static_selectorELNS0_4arch9wavefront6targetE1EEEvSC_, .Lfunc_end314-_ZN7rocprim17ROCPRIM_400000_NS6detail17trampoline_kernelINS0_14default_configENS1_35radix_sort_onesweep_config_selectorIhNS0_10empty_typeEEEZNS1_34radix_sort_onesweep_global_offsetsIS3_Lb0EPhPS5_mNS0_19identity_decomposerEEE10hipError_tT1_T2_PT3_SE_jT4_jjP12ihipStream_tbEUlT_E0_NS1_11comp_targetILNS1_3genE2ELNS1_11target_archE906ELNS1_3gpuE6ELNS1_3repE0EEENS1_52radix_sort_onesweep_histogram_config_static_selectorELNS0_4arch9wavefront6targetE1EEEvSC_
                                        ; -- End function
	.section	.AMDGPU.csdata,"",@progbits
; Kernel info:
; codeLenInByte = 0
; NumSgprs: 4
; NumVgprs: 0
; NumAgprs: 0
; TotalNumVgprs: 0
; ScratchSize: 0
; MemoryBound: 0
; FloatMode: 240
; IeeeMode: 1
; LDSByteSize: 0 bytes/workgroup (compile time only)
; SGPRBlocks: 0
; VGPRBlocks: 0
; NumSGPRsForWavesPerEU: 4
; NumVGPRsForWavesPerEU: 1
; AccumOffset: 4
; Occupancy: 8
; WaveLimiterHint : 0
; COMPUTE_PGM_RSRC2:SCRATCH_EN: 0
; COMPUTE_PGM_RSRC2:USER_SGPR: 6
; COMPUTE_PGM_RSRC2:TRAP_HANDLER: 0
; COMPUTE_PGM_RSRC2:TGID_X_EN: 1
; COMPUTE_PGM_RSRC2:TGID_Y_EN: 0
; COMPUTE_PGM_RSRC2:TGID_Z_EN: 0
; COMPUTE_PGM_RSRC2:TIDIG_COMP_CNT: 0
; COMPUTE_PGM_RSRC3_GFX90A:ACCUM_OFFSET: 0
; COMPUTE_PGM_RSRC3_GFX90A:TG_SPLIT: 0
	.section	.text._ZN7rocprim17ROCPRIM_400000_NS6detail17trampoline_kernelINS0_14default_configENS1_35radix_sort_onesweep_config_selectorIhNS0_10empty_typeEEEZNS1_34radix_sort_onesweep_global_offsetsIS3_Lb0EPhPS5_mNS0_19identity_decomposerEEE10hipError_tT1_T2_PT3_SE_jT4_jjP12ihipStream_tbEUlT_E0_NS1_11comp_targetILNS1_3genE4ELNS1_11target_archE910ELNS1_3gpuE8ELNS1_3repE0EEENS1_52radix_sort_onesweep_histogram_config_static_selectorELNS0_4arch9wavefront6targetE1EEEvSC_,"axG",@progbits,_ZN7rocprim17ROCPRIM_400000_NS6detail17trampoline_kernelINS0_14default_configENS1_35radix_sort_onesweep_config_selectorIhNS0_10empty_typeEEEZNS1_34radix_sort_onesweep_global_offsetsIS3_Lb0EPhPS5_mNS0_19identity_decomposerEEE10hipError_tT1_T2_PT3_SE_jT4_jjP12ihipStream_tbEUlT_E0_NS1_11comp_targetILNS1_3genE4ELNS1_11target_archE910ELNS1_3gpuE8ELNS1_3repE0EEENS1_52radix_sort_onesweep_histogram_config_static_selectorELNS0_4arch9wavefront6targetE1EEEvSC_,comdat
	.protected	_ZN7rocprim17ROCPRIM_400000_NS6detail17trampoline_kernelINS0_14default_configENS1_35radix_sort_onesweep_config_selectorIhNS0_10empty_typeEEEZNS1_34radix_sort_onesweep_global_offsetsIS3_Lb0EPhPS5_mNS0_19identity_decomposerEEE10hipError_tT1_T2_PT3_SE_jT4_jjP12ihipStream_tbEUlT_E0_NS1_11comp_targetILNS1_3genE4ELNS1_11target_archE910ELNS1_3gpuE8ELNS1_3repE0EEENS1_52radix_sort_onesweep_histogram_config_static_selectorELNS0_4arch9wavefront6targetE1EEEvSC_ ; -- Begin function _ZN7rocprim17ROCPRIM_400000_NS6detail17trampoline_kernelINS0_14default_configENS1_35radix_sort_onesweep_config_selectorIhNS0_10empty_typeEEEZNS1_34radix_sort_onesweep_global_offsetsIS3_Lb0EPhPS5_mNS0_19identity_decomposerEEE10hipError_tT1_T2_PT3_SE_jT4_jjP12ihipStream_tbEUlT_E0_NS1_11comp_targetILNS1_3genE4ELNS1_11target_archE910ELNS1_3gpuE8ELNS1_3repE0EEENS1_52radix_sort_onesweep_histogram_config_static_selectorELNS0_4arch9wavefront6targetE1EEEvSC_
	.globl	_ZN7rocprim17ROCPRIM_400000_NS6detail17trampoline_kernelINS0_14default_configENS1_35radix_sort_onesweep_config_selectorIhNS0_10empty_typeEEEZNS1_34radix_sort_onesweep_global_offsetsIS3_Lb0EPhPS5_mNS0_19identity_decomposerEEE10hipError_tT1_T2_PT3_SE_jT4_jjP12ihipStream_tbEUlT_E0_NS1_11comp_targetILNS1_3genE4ELNS1_11target_archE910ELNS1_3gpuE8ELNS1_3repE0EEENS1_52radix_sort_onesweep_histogram_config_static_selectorELNS0_4arch9wavefront6targetE1EEEvSC_
	.p2align	8
	.type	_ZN7rocprim17ROCPRIM_400000_NS6detail17trampoline_kernelINS0_14default_configENS1_35radix_sort_onesweep_config_selectorIhNS0_10empty_typeEEEZNS1_34radix_sort_onesweep_global_offsetsIS3_Lb0EPhPS5_mNS0_19identity_decomposerEEE10hipError_tT1_T2_PT3_SE_jT4_jjP12ihipStream_tbEUlT_E0_NS1_11comp_targetILNS1_3genE4ELNS1_11target_archE910ELNS1_3gpuE8ELNS1_3repE0EEENS1_52radix_sort_onesweep_histogram_config_static_selectorELNS0_4arch9wavefront6targetE1EEEvSC_,@function
_ZN7rocprim17ROCPRIM_400000_NS6detail17trampoline_kernelINS0_14default_configENS1_35radix_sort_onesweep_config_selectorIhNS0_10empty_typeEEEZNS1_34radix_sort_onesweep_global_offsetsIS3_Lb0EPhPS5_mNS0_19identity_decomposerEEE10hipError_tT1_T2_PT3_SE_jT4_jjP12ihipStream_tbEUlT_E0_NS1_11comp_targetILNS1_3genE4ELNS1_11target_archE910ELNS1_3gpuE8ELNS1_3repE0EEENS1_52radix_sort_onesweep_histogram_config_static_selectorELNS0_4arch9wavefront6targetE1EEEvSC_: ; @_ZN7rocprim17ROCPRIM_400000_NS6detail17trampoline_kernelINS0_14default_configENS1_35radix_sort_onesweep_config_selectorIhNS0_10empty_typeEEEZNS1_34radix_sort_onesweep_global_offsetsIS3_Lb0EPhPS5_mNS0_19identity_decomposerEEE10hipError_tT1_T2_PT3_SE_jT4_jjP12ihipStream_tbEUlT_E0_NS1_11comp_targetILNS1_3genE4ELNS1_11target_archE910ELNS1_3gpuE8ELNS1_3repE0EEENS1_52radix_sort_onesweep_histogram_config_static_selectorELNS0_4arch9wavefront6targetE1EEEvSC_
; %bb.0:
	s_load_dwordx2 s[0:1], s[4:5], 0x0
	s_lshl_b32 s2, s6, 4
	s_mov_b32 s3, 0
	s_lshl_b64 s[2:3], s[2:3], 3
	v_cmp_gt_u32_e32 vcc, 16, v0
	s_waitcnt lgkmcnt(0)
	s_add_u32 s6, s0, s2
	s_addc_u32 s7, s1, s3
	v_lshlrev_b32_e32 v6, 3, v0
                                        ; implicit-def: $vgpr2_vgpr3
	s_and_saveexec_b64 s[0:1], vcc
	s_cbranch_execz .LBB315_2
; %bb.1:
	global_load_dwordx2 v[2:3], v6, s[6:7]
.LBB315_2:
	s_or_b64 exec, exec, s[0:1]
	s_waitcnt vmcnt(0)
	v_mov_b32_dpp v4, v2 row_shr:1 row_mask:0xf bank_mask:0xf
	v_add_co_u32_e64 v4, s[0:1], v2, v4
	v_mbcnt_lo_u32_b32 v1, -1, 0
	v_addc_co_u32_e64 v8, s[0:1], 0, v3, s[0:1]
	v_mbcnt_hi_u32_b32 v7, -1, v1
	v_mov_b32_dpp v5, v3 row_shr:1 row_mask:0xf bank_mask:0xf
	v_add_co_u32_e64 v9, s[0:1], 0, v4
	v_and_b32_e32 v1, 15, v7
	v_addc_co_u32_e64 v5, s[0:1], v5, v8, s[0:1]
	v_cmp_eq_u32_e64 s[0:1], 0, v1
	v_cndmask_b32_e64 v4, v4, v2, s[0:1]
	v_cndmask_b32_e64 v5, v5, v3, s[0:1]
	v_cndmask_b32_e64 v8, v9, v2, s[0:1]
	v_mov_b32_dpp v9, v4 row_shr:2 row_mask:0xf bank_mask:0xf
	v_mov_b32_dpp v10, v5 row_shr:2 row_mask:0xf bank_mask:0xf
	v_add_co_u32_e64 v9, s[0:1], v9, v8
	v_addc_co_u32_e64 v10, s[0:1], v10, v5, s[0:1]
	v_cmp_lt_u32_e64 s[0:1], 1, v1
	v_cndmask_b32_e64 v4, v4, v9, s[0:1]
	v_cndmask_b32_e64 v5, v5, v10, s[0:1]
	v_cndmask_b32_e64 v8, v8, v9, s[0:1]
	v_mov_b32_dpp v9, v4 row_shr:4 row_mask:0xf bank_mask:0xf
	v_mov_b32_dpp v10, v5 row_shr:4 row_mask:0xf bank_mask:0xf
	v_add_co_u32_e64 v9, s[0:1], v9, v8
	v_addc_co_u32_e64 v10, s[0:1], v10, v5, s[0:1]
	v_cmp_lt_u32_e64 s[0:1], 3, v1
	;; [unrolled: 8-line block ×3, first 2 shown]
	v_cndmask_b32_e64 v11, v4, v9, s[0:1]
	v_cndmask_b32_e64 v1, v5, v10, s[0:1]
	;; [unrolled: 1-line block ×3, first 2 shown]
	v_mov_b32_dpp v5, v11 row_bcast:15 row_mask:0xf bank_mask:0xf
	v_mov_b32_dpp v8, v1 row_bcast:15 row_mask:0xf bank_mask:0xf
	v_and_b32_e32 v10, 16, v7
	v_add_co_u32_e64 v5, s[0:1], v5, v4
	v_addc_co_u32_e64 v9, s[0:1], v8, v1, s[0:1]
	v_cmp_eq_u32_e64 s[2:3], 0, v10
	v_cndmask_b32_e64 v10, v9, v1, s[2:3]
	v_cndmask_b32_e64 v8, v5, v11, s[2:3]
	v_cmp_eq_u32_e64 s[0:1], 0, v7
	v_mov_b32_dpp v10, v10 row_bcast:31 row_mask:0xf bank_mask:0xf
	v_mov_b32_dpp v8, v8 row_bcast:31 row_mask:0xf bank_mask:0xf
	v_cmp_ne_u32_e64 s[4:5], 0, v7
	s_and_saveexec_b64 s[8:9], s[4:5]
; %bb.3:
	v_cndmask_b32_e64 v1, v9, v1, s[2:3]
	v_cndmask_b32_e64 v2, v5, v4, s[2:3]
	v_cmp_lt_u32_e64 s[2:3], 31, v7
	v_cndmask_b32_e64 v4, 0, v8, s[2:3]
	v_cndmask_b32_e64 v3, 0, v10, s[2:3]
	v_add_co_u32_e64 v2, s[2:3], v4, v2
	v_addc_co_u32_e64 v3, s[2:3], v3, v1, s[2:3]
; %bb.4:
	s_or_b64 exec, exec, s[8:9]
	v_or_b32_e32 v1, 63, v0
	v_lshrrev_b32_e32 v8, 6, v0
	v_cmp_eq_u32_e64 s[2:3], v1, v0
	s_and_saveexec_b64 s[4:5], s[2:3]
	s_cbranch_execz .LBB315_6
; %bb.5:
	v_lshlrev_b32_e32 v1, 3, v8
	ds_write_b64 v1, v[2:3]
.LBB315_6:
	s_or_b64 exec, exec, s[4:5]
	v_cmp_gt_u32_e64 s[2:3], 8, v0
	s_waitcnt lgkmcnt(0)
	s_barrier
	s_and_saveexec_b64 s[8:9], s[2:3]
	s_cbranch_execz .LBB315_10
; %bb.7:
	ds_read_b64 v[4:5], v6
	v_and_b32_e32 v1, 7, v7
	v_cmp_ne_u32_e64 s[4:5], 0, v1
	s_waitcnt lgkmcnt(0)
	v_mov_b32_dpp v9, v4 row_shr:1 row_mask:0xf bank_mask:0xf
	v_add_co_u32_e64 v11, s[2:3], v4, v9
	v_addc_co_u32_e64 v12, s[2:3], 0, v5, s[2:3]
	v_mov_b32_dpp v10, v5 row_shr:1 row_mask:0xf bank_mask:0xf
	v_add_co_u32_e64 v9, s[2:3], 0, v11
	v_addc_co_u32_e64 v10, s[2:3], v10, v12, s[2:3]
	v_cmp_eq_u32_e64 s[2:3], 0, v1
	v_cndmask_b32_e64 v12, v11, v4, s[2:3]
	v_cndmask_b32_e64 v14, v10, v5, s[2:3]
	;; [unrolled: 1-line block ×3, first 2 shown]
	v_mov_b32_dpp v13, v12 row_shr:2 row_mask:0xf bank_mask:0xf
	v_mov_b32_dpp v15, v14 row_shr:2 row_mask:0xf bank_mask:0xf
	v_add_co_u32_e64 v11, s[2:3], v13, v11
	v_addc_co_u32_e64 v13, s[2:3], v15, v14, s[2:3]
	v_cmp_lt_u32_e64 s[2:3], 1, v1
	v_cndmask_b32_e64 v14, v14, v13, s[2:3]
	v_cndmask_b32_e64 v12, v12, v11, s[2:3]
	s_nop 0
	v_mov_b32_dpp v14, v14 row_shr:4 row_mask:0xf bank_mask:0xf
	v_mov_b32_dpp v12, v12 row_shr:4 row_mask:0xf bank_mask:0xf
	s_and_saveexec_b64 s[10:11], s[4:5]
; %bb.8:
	v_cndmask_b32_e64 v5, v10, v13, s[2:3]
	v_cndmask_b32_e64 v4, v9, v11, s[2:3]
	v_cmp_lt_u32_e64 s[2:3], 3, v1
	v_cndmask_b32_e64 v9, 0, v12, s[2:3]
	v_cndmask_b32_e64 v1, 0, v14, s[2:3]
	v_add_co_u32_e64 v4, s[2:3], v9, v4
	v_addc_co_u32_e64 v5, s[2:3], v1, v5, s[2:3]
; %bb.9:
	s_or_b64 exec, exec, s[10:11]
	ds_write_b64 v6, v[4:5]
.LBB315_10:
	s_or_b64 exec, exec, s[8:9]
	v_cmp_lt_u32_e64 s[2:3], 63, v0
	v_pk_mov_b32 v[0:1], 0, 0
	s_waitcnt lgkmcnt(0)
	s_barrier
	s_and_saveexec_b64 s[4:5], s[2:3]
	s_cbranch_execz .LBB315_12
; %bb.11:
	v_lshl_add_u32 v0, v8, 3, -8
	ds_read_b64 v[0:1], v0
.LBB315_12:
	s_or_b64 exec, exec, s[4:5]
	s_waitcnt lgkmcnt(0)
	v_add_co_u32_e64 v2, s[2:3], v0, v2
	v_addc_co_u32_e64 v3, s[2:3], v1, v3, s[2:3]
	v_add_u32_e32 v4, -1, v7
	v_and_b32_e32 v5, 64, v7
	v_cmp_lt_i32_e64 s[2:3], v4, v5
	v_cndmask_b32_e64 v4, v4, v7, s[2:3]
	v_lshlrev_b32_e32 v4, 2, v4
	ds_bpermute_b32 v2, v4, v2
	ds_bpermute_b32 v3, v4, v3
	s_and_saveexec_b64 s[2:3], vcc
	s_cbranch_execz .LBB315_14
; %bb.13:
	s_waitcnt lgkmcnt(0)
	v_cndmask_b32_e64 v1, v3, v1, s[0:1]
	v_cndmask_b32_e64 v0, v2, v0, s[0:1]
	global_store_dwordx2 v6, v[0:1], s[6:7]
.LBB315_14:
	s_endpgm
	.section	.rodata,"a",@progbits
	.p2align	6, 0x0
	.amdhsa_kernel _ZN7rocprim17ROCPRIM_400000_NS6detail17trampoline_kernelINS0_14default_configENS1_35radix_sort_onesweep_config_selectorIhNS0_10empty_typeEEEZNS1_34radix_sort_onesweep_global_offsetsIS3_Lb0EPhPS5_mNS0_19identity_decomposerEEE10hipError_tT1_T2_PT3_SE_jT4_jjP12ihipStream_tbEUlT_E0_NS1_11comp_targetILNS1_3genE4ELNS1_11target_archE910ELNS1_3gpuE8ELNS1_3repE0EEENS1_52radix_sort_onesweep_histogram_config_static_selectorELNS0_4arch9wavefront6targetE1EEEvSC_
		.amdhsa_group_segment_fixed_size 64
		.amdhsa_private_segment_fixed_size 0
		.amdhsa_kernarg_size 8
		.amdhsa_user_sgpr_count 6
		.amdhsa_user_sgpr_private_segment_buffer 1
		.amdhsa_user_sgpr_dispatch_ptr 0
		.amdhsa_user_sgpr_queue_ptr 0
		.amdhsa_user_sgpr_kernarg_segment_ptr 1
		.amdhsa_user_sgpr_dispatch_id 0
		.amdhsa_user_sgpr_flat_scratch_init 0
		.amdhsa_user_sgpr_kernarg_preload_length 0
		.amdhsa_user_sgpr_kernarg_preload_offset 0
		.amdhsa_user_sgpr_private_segment_size 0
		.amdhsa_uses_dynamic_stack 0
		.amdhsa_system_sgpr_private_segment_wavefront_offset 0
		.amdhsa_system_sgpr_workgroup_id_x 1
		.amdhsa_system_sgpr_workgroup_id_y 0
		.amdhsa_system_sgpr_workgroup_id_z 0
		.amdhsa_system_sgpr_workgroup_info 0
		.amdhsa_system_vgpr_workitem_id 0
		.amdhsa_next_free_vgpr 16
		.amdhsa_next_free_sgpr 12
		.amdhsa_accum_offset 16
		.amdhsa_reserve_vcc 1
		.amdhsa_reserve_flat_scratch 0
		.amdhsa_float_round_mode_32 0
		.amdhsa_float_round_mode_16_64 0
		.amdhsa_float_denorm_mode_32 3
		.amdhsa_float_denorm_mode_16_64 3
		.amdhsa_dx10_clamp 1
		.amdhsa_ieee_mode 1
		.amdhsa_fp16_overflow 0
		.amdhsa_tg_split 0
		.amdhsa_exception_fp_ieee_invalid_op 0
		.amdhsa_exception_fp_denorm_src 0
		.amdhsa_exception_fp_ieee_div_zero 0
		.amdhsa_exception_fp_ieee_overflow 0
		.amdhsa_exception_fp_ieee_underflow 0
		.amdhsa_exception_fp_ieee_inexact 0
		.amdhsa_exception_int_div_zero 0
	.end_amdhsa_kernel
	.section	.text._ZN7rocprim17ROCPRIM_400000_NS6detail17trampoline_kernelINS0_14default_configENS1_35radix_sort_onesweep_config_selectorIhNS0_10empty_typeEEEZNS1_34radix_sort_onesweep_global_offsetsIS3_Lb0EPhPS5_mNS0_19identity_decomposerEEE10hipError_tT1_T2_PT3_SE_jT4_jjP12ihipStream_tbEUlT_E0_NS1_11comp_targetILNS1_3genE4ELNS1_11target_archE910ELNS1_3gpuE8ELNS1_3repE0EEENS1_52radix_sort_onesweep_histogram_config_static_selectorELNS0_4arch9wavefront6targetE1EEEvSC_,"axG",@progbits,_ZN7rocprim17ROCPRIM_400000_NS6detail17trampoline_kernelINS0_14default_configENS1_35radix_sort_onesweep_config_selectorIhNS0_10empty_typeEEEZNS1_34radix_sort_onesweep_global_offsetsIS3_Lb0EPhPS5_mNS0_19identity_decomposerEEE10hipError_tT1_T2_PT3_SE_jT4_jjP12ihipStream_tbEUlT_E0_NS1_11comp_targetILNS1_3genE4ELNS1_11target_archE910ELNS1_3gpuE8ELNS1_3repE0EEENS1_52radix_sort_onesweep_histogram_config_static_selectorELNS0_4arch9wavefront6targetE1EEEvSC_,comdat
.Lfunc_end315:
	.size	_ZN7rocprim17ROCPRIM_400000_NS6detail17trampoline_kernelINS0_14default_configENS1_35radix_sort_onesweep_config_selectorIhNS0_10empty_typeEEEZNS1_34radix_sort_onesweep_global_offsetsIS3_Lb0EPhPS5_mNS0_19identity_decomposerEEE10hipError_tT1_T2_PT3_SE_jT4_jjP12ihipStream_tbEUlT_E0_NS1_11comp_targetILNS1_3genE4ELNS1_11target_archE910ELNS1_3gpuE8ELNS1_3repE0EEENS1_52radix_sort_onesweep_histogram_config_static_selectorELNS0_4arch9wavefront6targetE1EEEvSC_, .Lfunc_end315-_ZN7rocprim17ROCPRIM_400000_NS6detail17trampoline_kernelINS0_14default_configENS1_35radix_sort_onesweep_config_selectorIhNS0_10empty_typeEEEZNS1_34radix_sort_onesweep_global_offsetsIS3_Lb0EPhPS5_mNS0_19identity_decomposerEEE10hipError_tT1_T2_PT3_SE_jT4_jjP12ihipStream_tbEUlT_E0_NS1_11comp_targetILNS1_3genE4ELNS1_11target_archE910ELNS1_3gpuE8ELNS1_3repE0EEENS1_52radix_sort_onesweep_histogram_config_static_selectorELNS0_4arch9wavefront6targetE1EEEvSC_
                                        ; -- End function
	.section	.AMDGPU.csdata,"",@progbits
; Kernel info:
; codeLenInByte = 988
; NumSgprs: 16
; NumVgprs: 16
; NumAgprs: 0
; TotalNumVgprs: 16
; ScratchSize: 0
; MemoryBound: 0
; FloatMode: 240
; IeeeMode: 1
; LDSByteSize: 64 bytes/workgroup (compile time only)
; SGPRBlocks: 1
; VGPRBlocks: 1
; NumSGPRsForWavesPerEU: 16
; NumVGPRsForWavesPerEU: 16
; AccumOffset: 16
; Occupancy: 8
; WaveLimiterHint : 0
; COMPUTE_PGM_RSRC2:SCRATCH_EN: 0
; COMPUTE_PGM_RSRC2:USER_SGPR: 6
; COMPUTE_PGM_RSRC2:TRAP_HANDLER: 0
; COMPUTE_PGM_RSRC2:TGID_X_EN: 1
; COMPUTE_PGM_RSRC2:TGID_Y_EN: 0
; COMPUTE_PGM_RSRC2:TGID_Z_EN: 0
; COMPUTE_PGM_RSRC2:TIDIG_COMP_CNT: 0
; COMPUTE_PGM_RSRC3_GFX90A:ACCUM_OFFSET: 3
; COMPUTE_PGM_RSRC3_GFX90A:TG_SPLIT: 0
	.section	.text._ZN7rocprim17ROCPRIM_400000_NS6detail17trampoline_kernelINS0_14default_configENS1_35radix_sort_onesweep_config_selectorIhNS0_10empty_typeEEEZNS1_34radix_sort_onesweep_global_offsetsIS3_Lb0EPhPS5_mNS0_19identity_decomposerEEE10hipError_tT1_T2_PT3_SE_jT4_jjP12ihipStream_tbEUlT_E0_NS1_11comp_targetILNS1_3genE3ELNS1_11target_archE908ELNS1_3gpuE7ELNS1_3repE0EEENS1_52radix_sort_onesweep_histogram_config_static_selectorELNS0_4arch9wavefront6targetE1EEEvSC_,"axG",@progbits,_ZN7rocprim17ROCPRIM_400000_NS6detail17trampoline_kernelINS0_14default_configENS1_35radix_sort_onesweep_config_selectorIhNS0_10empty_typeEEEZNS1_34radix_sort_onesweep_global_offsetsIS3_Lb0EPhPS5_mNS0_19identity_decomposerEEE10hipError_tT1_T2_PT3_SE_jT4_jjP12ihipStream_tbEUlT_E0_NS1_11comp_targetILNS1_3genE3ELNS1_11target_archE908ELNS1_3gpuE7ELNS1_3repE0EEENS1_52radix_sort_onesweep_histogram_config_static_selectorELNS0_4arch9wavefront6targetE1EEEvSC_,comdat
	.protected	_ZN7rocprim17ROCPRIM_400000_NS6detail17trampoline_kernelINS0_14default_configENS1_35radix_sort_onesweep_config_selectorIhNS0_10empty_typeEEEZNS1_34radix_sort_onesweep_global_offsetsIS3_Lb0EPhPS5_mNS0_19identity_decomposerEEE10hipError_tT1_T2_PT3_SE_jT4_jjP12ihipStream_tbEUlT_E0_NS1_11comp_targetILNS1_3genE3ELNS1_11target_archE908ELNS1_3gpuE7ELNS1_3repE0EEENS1_52radix_sort_onesweep_histogram_config_static_selectorELNS0_4arch9wavefront6targetE1EEEvSC_ ; -- Begin function _ZN7rocprim17ROCPRIM_400000_NS6detail17trampoline_kernelINS0_14default_configENS1_35radix_sort_onesweep_config_selectorIhNS0_10empty_typeEEEZNS1_34radix_sort_onesweep_global_offsetsIS3_Lb0EPhPS5_mNS0_19identity_decomposerEEE10hipError_tT1_T2_PT3_SE_jT4_jjP12ihipStream_tbEUlT_E0_NS1_11comp_targetILNS1_3genE3ELNS1_11target_archE908ELNS1_3gpuE7ELNS1_3repE0EEENS1_52radix_sort_onesweep_histogram_config_static_selectorELNS0_4arch9wavefront6targetE1EEEvSC_
	.globl	_ZN7rocprim17ROCPRIM_400000_NS6detail17trampoline_kernelINS0_14default_configENS1_35radix_sort_onesweep_config_selectorIhNS0_10empty_typeEEEZNS1_34radix_sort_onesweep_global_offsetsIS3_Lb0EPhPS5_mNS0_19identity_decomposerEEE10hipError_tT1_T2_PT3_SE_jT4_jjP12ihipStream_tbEUlT_E0_NS1_11comp_targetILNS1_3genE3ELNS1_11target_archE908ELNS1_3gpuE7ELNS1_3repE0EEENS1_52radix_sort_onesweep_histogram_config_static_selectorELNS0_4arch9wavefront6targetE1EEEvSC_
	.p2align	8
	.type	_ZN7rocprim17ROCPRIM_400000_NS6detail17trampoline_kernelINS0_14default_configENS1_35radix_sort_onesweep_config_selectorIhNS0_10empty_typeEEEZNS1_34radix_sort_onesweep_global_offsetsIS3_Lb0EPhPS5_mNS0_19identity_decomposerEEE10hipError_tT1_T2_PT3_SE_jT4_jjP12ihipStream_tbEUlT_E0_NS1_11comp_targetILNS1_3genE3ELNS1_11target_archE908ELNS1_3gpuE7ELNS1_3repE0EEENS1_52radix_sort_onesweep_histogram_config_static_selectorELNS0_4arch9wavefront6targetE1EEEvSC_,@function
_ZN7rocprim17ROCPRIM_400000_NS6detail17trampoline_kernelINS0_14default_configENS1_35radix_sort_onesweep_config_selectorIhNS0_10empty_typeEEEZNS1_34radix_sort_onesweep_global_offsetsIS3_Lb0EPhPS5_mNS0_19identity_decomposerEEE10hipError_tT1_T2_PT3_SE_jT4_jjP12ihipStream_tbEUlT_E0_NS1_11comp_targetILNS1_3genE3ELNS1_11target_archE908ELNS1_3gpuE7ELNS1_3repE0EEENS1_52radix_sort_onesweep_histogram_config_static_selectorELNS0_4arch9wavefront6targetE1EEEvSC_: ; @_ZN7rocprim17ROCPRIM_400000_NS6detail17trampoline_kernelINS0_14default_configENS1_35radix_sort_onesweep_config_selectorIhNS0_10empty_typeEEEZNS1_34radix_sort_onesweep_global_offsetsIS3_Lb0EPhPS5_mNS0_19identity_decomposerEEE10hipError_tT1_T2_PT3_SE_jT4_jjP12ihipStream_tbEUlT_E0_NS1_11comp_targetILNS1_3genE3ELNS1_11target_archE908ELNS1_3gpuE7ELNS1_3repE0EEENS1_52radix_sort_onesweep_histogram_config_static_selectorELNS0_4arch9wavefront6targetE1EEEvSC_
; %bb.0:
	.section	.rodata,"a",@progbits
	.p2align	6, 0x0
	.amdhsa_kernel _ZN7rocprim17ROCPRIM_400000_NS6detail17trampoline_kernelINS0_14default_configENS1_35radix_sort_onesweep_config_selectorIhNS0_10empty_typeEEEZNS1_34radix_sort_onesweep_global_offsetsIS3_Lb0EPhPS5_mNS0_19identity_decomposerEEE10hipError_tT1_T2_PT3_SE_jT4_jjP12ihipStream_tbEUlT_E0_NS1_11comp_targetILNS1_3genE3ELNS1_11target_archE908ELNS1_3gpuE7ELNS1_3repE0EEENS1_52radix_sort_onesweep_histogram_config_static_selectorELNS0_4arch9wavefront6targetE1EEEvSC_
		.amdhsa_group_segment_fixed_size 0
		.amdhsa_private_segment_fixed_size 0
		.amdhsa_kernarg_size 8
		.amdhsa_user_sgpr_count 6
		.amdhsa_user_sgpr_private_segment_buffer 1
		.amdhsa_user_sgpr_dispatch_ptr 0
		.amdhsa_user_sgpr_queue_ptr 0
		.amdhsa_user_sgpr_kernarg_segment_ptr 1
		.amdhsa_user_sgpr_dispatch_id 0
		.amdhsa_user_sgpr_flat_scratch_init 0
		.amdhsa_user_sgpr_kernarg_preload_length 0
		.amdhsa_user_sgpr_kernarg_preload_offset 0
		.amdhsa_user_sgpr_private_segment_size 0
		.amdhsa_uses_dynamic_stack 0
		.amdhsa_system_sgpr_private_segment_wavefront_offset 0
		.amdhsa_system_sgpr_workgroup_id_x 1
		.amdhsa_system_sgpr_workgroup_id_y 0
		.amdhsa_system_sgpr_workgroup_id_z 0
		.amdhsa_system_sgpr_workgroup_info 0
		.amdhsa_system_vgpr_workitem_id 0
		.amdhsa_next_free_vgpr 1
		.amdhsa_next_free_sgpr 0
		.amdhsa_accum_offset 4
		.amdhsa_reserve_vcc 0
		.amdhsa_reserve_flat_scratch 0
		.amdhsa_float_round_mode_32 0
		.amdhsa_float_round_mode_16_64 0
		.amdhsa_float_denorm_mode_32 3
		.amdhsa_float_denorm_mode_16_64 3
		.amdhsa_dx10_clamp 1
		.amdhsa_ieee_mode 1
		.amdhsa_fp16_overflow 0
		.amdhsa_tg_split 0
		.amdhsa_exception_fp_ieee_invalid_op 0
		.amdhsa_exception_fp_denorm_src 0
		.amdhsa_exception_fp_ieee_div_zero 0
		.amdhsa_exception_fp_ieee_overflow 0
		.amdhsa_exception_fp_ieee_underflow 0
		.amdhsa_exception_fp_ieee_inexact 0
		.amdhsa_exception_int_div_zero 0
	.end_amdhsa_kernel
	.section	.text._ZN7rocprim17ROCPRIM_400000_NS6detail17trampoline_kernelINS0_14default_configENS1_35radix_sort_onesweep_config_selectorIhNS0_10empty_typeEEEZNS1_34radix_sort_onesweep_global_offsetsIS3_Lb0EPhPS5_mNS0_19identity_decomposerEEE10hipError_tT1_T2_PT3_SE_jT4_jjP12ihipStream_tbEUlT_E0_NS1_11comp_targetILNS1_3genE3ELNS1_11target_archE908ELNS1_3gpuE7ELNS1_3repE0EEENS1_52radix_sort_onesweep_histogram_config_static_selectorELNS0_4arch9wavefront6targetE1EEEvSC_,"axG",@progbits,_ZN7rocprim17ROCPRIM_400000_NS6detail17trampoline_kernelINS0_14default_configENS1_35radix_sort_onesweep_config_selectorIhNS0_10empty_typeEEEZNS1_34radix_sort_onesweep_global_offsetsIS3_Lb0EPhPS5_mNS0_19identity_decomposerEEE10hipError_tT1_T2_PT3_SE_jT4_jjP12ihipStream_tbEUlT_E0_NS1_11comp_targetILNS1_3genE3ELNS1_11target_archE908ELNS1_3gpuE7ELNS1_3repE0EEENS1_52radix_sort_onesweep_histogram_config_static_selectorELNS0_4arch9wavefront6targetE1EEEvSC_,comdat
.Lfunc_end316:
	.size	_ZN7rocprim17ROCPRIM_400000_NS6detail17trampoline_kernelINS0_14default_configENS1_35radix_sort_onesweep_config_selectorIhNS0_10empty_typeEEEZNS1_34radix_sort_onesweep_global_offsetsIS3_Lb0EPhPS5_mNS0_19identity_decomposerEEE10hipError_tT1_T2_PT3_SE_jT4_jjP12ihipStream_tbEUlT_E0_NS1_11comp_targetILNS1_3genE3ELNS1_11target_archE908ELNS1_3gpuE7ELNS1_3repE0EEENS1_52radix_sort_onesweep_histogram_config_static_selectorELNS0_4arch9wavefront6targetE1EEEvSC_, .Lfunc_end316-_ZN7rocprim17ROCPRIM_400000_NS6detail17trampoline_kernelINS0_14default_configENS1_35radix_sort_onesweep_config_selectorIhNS0_10empty_typeEEEZNS1_34radix_sort_onesweep_global_offsetsIS3_Lb0EPhPS5_mNS0_19identity_decomposerEEE10hipError_tT1_T2_PT3_SE_jT4_jjP12ihipStream_tbEUlT_E0_NS1_11comp_targetILNS1_3genE3ELNS1_11target_archE908ELNS1_3gpuE7ELNS1_3repE0EEENS1_52radix_sort_onesweep_histogram_config_static_selectorELNS0_4arch9wavefront6targetE1EEEvSC_
                                        ; -- End function
	.section	.AMDGPU.csdata,"",@progbits
; Kernel info:
; codeLenInByte = 0
; NumSgprs: 4
; NumVgprs: 0
; NumAgprs: 0
; TotalNumVgprs: 0
; ScratchSize: 0
; MemoryBound: 0
; FloatMode: 240
; IeeeMode: 1
; LDSByteSize: 0 bytes/workgroup (compile time only)
; SGPRBlocks: 0
; VGPRBlocks: 0
; NumSGPRsForWavesPerEU: 4
; NumVGPRsForWavesPerEU: 1
; AccumOffset: 4
; Occupancy: 8
; WaveLimiterHint : 0
; COMPUTE_PGM_RSRC2:SCRATCH_EN: 0
; COMPUTE_PGM_RSRC2:USER_SGPR: 6
; COMPUTE_PGM_RSRC2:TRAP_HANDLER: 0
; COMPUTE_PGM_RSRC2:TGID_X_EN: 1
; COMPUTE_PGM_RSRC2:TGID_Y_EN: 0
; COMPUTE_PGM_RSRC2:TGID_Z_EN: 0
; COMPUTE_PGM_RSRC2:TIDIG_COMP_CNT: 0
; COMPUTE_PGM_RSRC3_GFX90A:ACCUM_OFFSET: 0
; COMPUTE_PGM_RSRC3_GFX90A:TG_SPLIT: 0
	.section	.text._ZN7rocprim17ROCPRIM_400000_NS6detail17trampoline_kernelINS0_14default_configENS1_35radix_sort_onesweep_config_selectorIhNS0_10empty_typeEEEZNS1_34radix_sort_onesweep_global_offsetsIS3_Lb0EPhPS5_mNS0_19identity_decomposerEEE10hipError_tT1_T2_PT3_SE_jT4_jjP12ihipStream_tbEUlT_E0_NS1_11comp_targetILNS1_3genE10ELNS1_11target_archE1201ELNS1_3gpuE5ELNS1_3repE0EEENS1_52radix_sort_onesweep_histogram_config_static_selectorELNS0_4arch9wavefront6targetE1EEEvSC_,"axG",@progbits,_ZN7rocprim17ROCPRIM_400000_NS6detail17trampoline_kernelINS0_14default_configENS1_35radix_sort_onesweep_config_selectorIhNS0_10empty_typeEEEZNS1_34radix_sort_onesweep_global_offsetsIS3_Lb0EPhPS5_mNS0_19identity_decomposerEEE10hipError_tT1_T2_PT3_SE_jT4_jjP12ihipStream_tbEUlT_E0_NS1_11comp_targetILNS1_3genE10ELNS1_11target_archE1201ELNS1_3gpuE5ELNS1_3repE0EEENS1_52radix_sort_onesweep_histogram_config_static_selectorELNS0_4arch9wavefront6targetE1EEEvSC_,comdat
	.protected	_ZN7rocprim17ROCPRIM_400000_NS6detail17trampoline_kernelINS0_14default_configENS1_35radix_sort_onesweep_config_selectorIhNS0_10empty_typeEEEZNS1_34radix_sort_onesweep_global_offsetsIS3_Lb0EPhPS5_mNS0_19identity_decomposerEEE10hipError_tT1_T2_PT3_SE_jT4_jjP12ihipStream_tbEUlT_E0_NS1_11comp_targetILNS1_3genE10ELNS1_11target_archE1201ELNS1_3gpuE5ELNS1_3repE0EEENS1_52radix_sort_onesweep_histogram_config_static_selectorELNS0_4arch9wavefront6targetE1EEEvSC_ ; -- Begin function _ZN7rocprim17ROCPRIM_400000_NS6detail17trampoline_kernelINS0_14default_configENS1_35radix_sort_onesweep_config_selectorIhNS0_10empty_typeEEEZNS1_34radix_sort_onesweep_global_offsetsIS3_Lb0EPhPS5_mNS0_19identity_decomposerEEE10hipError_tT1_T2_PT3_SE_jT4_jjP12ihipStream_tbEUlT_E0_NS1_11comp_targetILNS1_3genE10ELNS1_11target_archE1201ELNS1_3gpuE5ELNS1_3repE0EEENS1_52radix_sort_onesweep_histogram_config_static_selectorELNS0_4arch9wavefront6targetE1EEEvSC_
	.globl	_ZN7rocprim17ROCPRIM_400000_NS6detail17trampoline_kernelINS0_14default_configENS1_35radix_sort_onesweep_config_selectorIhNS0_10empty_typeEEEZNS1_34radix_sort_onesweep_global_offsetsIS3_Lb0EPhPS5_mNS0_19identity_decomposerEEE10hipError_tT1_T2_PT3_SE_jT4_jjP12ihipStream_tbEUlT_E0_NS1_11comp_targetILNS1_3genE10ELNS1_11target_archE1201ELNS1_3gpuE5ELNS1_3repE0EEENS1_52radix_sort_onesweep_histogram_config_static_selectorELNS0_4arch9wavefront6targetE1EEEvSC_
	.p2align	8
	.type	_ZN7rocprim17ROCPRIM_400000_NS6detail17trampoline_kernelINS0_14default_configENS1_35radix_sort_onesweep_config_selectorIhNS0_10empty_typeEEEZNS1_34radix_sort_onesweep_global_offsetsIS3_Lb0EPhPS5_mNS0_19identity_decomposerEEE10hipError_tT1_T2_PT3_SE_jT4_jjP12ihipStream_tbEUlT_E0_NS1_11comp_targetILNS1_3genE10ELNS1_11target_archE1201ELNS1_3gpuE5ELNS1_3repE0EEENS1_52radix_sort_onesweep_histogram_config_static_selectorELNS0_4arch9wavefront6targetE1EEEvSC_,@function
_ZN7rocprim17ROCPRIM_400000_NS6detail17trampoline_kernelINS0_14default_configENS1_35radix_sort_onesweep_config_selectorIhNS0_10empty_typeEEEZNS1_34radix_sort_onesweep_global_offsetsIS3_Lb0EPhPS5_mNS0_19identity_decomposerEEE10hipError_tT1_T2_PT3_SE_jT4_jjP12ihipStream_tbEUlT_E0_NS1_11comp_targetILNS1_3genE10ELNS1_11target_archE1201ELNS1_3gpuE5ELNS1_3repE0EEENS1_52radix_sort_onesweep_histogram_config_static_selectorELNS0_4arch9wavefront6targetE1EEEvSC_: ; @_ZN7rocprim17ROCPRIM_400000_NS6detail17trampoline_kernelINS0_14default_configENS1_35radix_sort_onesweep_config_selectorIhNS0_10empty_typeEEEZNS1_34radix_sort_onesweep_global_offsetsIS3_Lb0EPhPS5_mNS0_19identity_decomposerEEE10hipError_tT1_T2_PT3_SE_jT4_jjP12ihipStream_tbEUlT_E0_NS1_11comp_targetILNS1_3genE10ELNS1_11target_archE1201ELNS1_3gpuE5ELNS1_3repE0EEENS1_52radix_sort_onesweep_histogram_config_static_selectorELNS0_4arch9wavefront6targetE1EEEvSC_
; %bb.0:
	.section	.rodata,"a",@progbits
	.p2align	6, 0x0
	.amdhsa_kernel _ZN7rocprim17ROCPRIM_400000_NS6detail17trampoline_kernelINS0_14default_configENS1_35radix_sort_onesweep_config_selectorIhNS0_10empty_typeEEEZNS1_34radix_sort_onesweep_global_offsetsIS3_Lb0EPhPS5_mNS0_19identity_decomposerEEE10hipError_tT1_T2_PT3_SE_jT4_jjP12ihipStream_tbEUlT_E0_NS1_11comp_targetILNS1_3genE10ELNS1_11target_archE1201ELNS1_3gpuE5ELNS1_3repE0EEENS1_52radix_sort_onesweep_histogram_config_static_selectorELNS0_4arch9wavefront6targetE1EEEvSC_
		.amdhsa_group_segment_fixed_size 0
		.amdhsa_private_segment_fixed_size 0
		.amdhsa_kernarg_size 8
		.amdhsa_user_sgpr_count 6
		.amdhsa_user_sgpr_private_segment_buffer 1
		.amdhsa_user_sgpr_dispatch_ptr 0
		.amdhsa_user_sgpr_queue_ptr 0
		.amdhsa_user_sgpr_kernarg_segment_ptr 1
		.amdhsa_user_sgpr_dispatch_id 0
		.amdhsa_user_sgpr_flat_scratch_init 0
		.amdhsa_user_sgpr_kernarg_preload_length 0
		.amdhsa_user_sgpr_kernarg_preload_offset 0
		.amdhsa_user_sgpr_private_segment_size 0
		.amdhsa_uses_dynamic_stack 0
		.amdhsa_system_sgpr_private_segment_wavefront_offset 0
		.amdhsa_system_sgpr_workgroup_id_x 1
		.amdhsa_system_sgpr_workgroup_id_y 0
		.amdhsa_system_sgpr_workgroup_id_z 0
		.amdhsa_system_sgpr_workgroup_info 0
		.amdhsa_system_vgpr_workitem_id 0
		.amdhsa_next_free_vgpr 1
		.amdhsa_next_free_sgpr 0
		.amdhsa_accum_offset 4
		.amdhsa_reserve_vcc 0
		.amdhsa_reserve_flat_scratch 0
		.amdhsa_float_round_mode_32 0
		.amdhsa_float_round_mode_16_64 0
		.amdhsa_float_denorm_mode_32 3
		.amdhsa_float_denorm_mode_16_64 3
		.amdhsa_dx10_clamp 1
		.amdhsa_ieee_mode 1
		.amdhsa_fp16_overflow 0
		.amdhsa_tg_split 0
		.amdhsa_exception_fp_ieee_invalid_op 0
		.amdhsa_exception_fp_denorm_src 0
		.amdhsa_exception_fp_ieee_div_zero 0
		.amdhsa_exception_fp_ieee_overflow 0
		.amdhsa_exception_fp_ieee_underflow 0
		.amdhsa_exception_fp_ieee_inexact 0
		.amdhsa_exception_int_div_zero 0
	.end_amdhsa_kernel
	.section	.text._ZN7rocprim17ROCPRIM_400000_NS6detail17trampoline_kernelINS0_14default_configENS1_35radix_sort_onesweep_config_selectorIhNS0_10empty_typeEEEZNS1_34radix_sort_onesweep_global_offsetsIS3_Lb0EPhPS5_mNS0_19identity_decomposerEEE10hipError_tT1_T2_PT3_SE_jT4_jjP12ihipStream_tbEUlT_E0_NS1_11comp_targetILNS1_3genE10ELNS1_11target_archE1201ELNS1_3gpuE5ELNS1_3repE0EEENS1_52radix_sort_onesweep_histogram_config_static_selectorELNS0_4arch9wavefront6targetE1EEEvSC_,"axG",@progbits,_ZN7rocprim17ROCPRIM_400000_NS6detail17trampoline_kernelINS0_14default_configENS1_35radix_sort_onesweep_config_selectorIhNS0_10empty_typeEEEZNS1_34radix_sort_onesweep_global_offsetsIS3_Lb0EPhPS5_mNS0_19identity_decomposerEEE10hipError_tT1_T2_PT3_SE_jT4_jjP12ihipStream_tbEUlT_E0_NS1_11comp_targetILNS1_3genE10ELNS1_11target_archE1201ELNS1_3gpuE5ELNS1_3repE0EEENS1_52radix_sort_onesweep_histogram_config_static_selectorELNS0_4arch9wavefront6targetE1EEEvSC_,comdat
.Lfunc_end317:
	.size	_ZN7rocprim17ROCPRIM_400000_NS6detail17trampoline_kernelINS0_14default_configENS1_35radix_sort_onesweep_config_selectorIhNS0_10empty_typeEEEZNS1_34radix_sort_onesweep_global_offsetsIS3_Lb0EPhPS5_mNS0_19identity_decomposerEEE10hipError_tT1_T2_PT3_SE_jT4_jjP12ihipStream_tbEUlT_E0_NS1_11comp_targetILNS1_3genE10ELNS1_11target_archE1201ELNS1_3gpuE5ELNS1_3repE0EEENS1_52radix_sort_onesweep_histogram_config_static_selectorELNS0_4arch9wavefront6targetE1EEEvSC_, .Lfunc_end317-_ZN7rocprim17ROCPRIM_400000_NS6detail17trampoline_kernelINS0_14default_configENS1_35radix_sort_onesweep_config_selectorIhNS0_10empty_typeEEEZNS1_34radix_sort_onesweep_global_offsetsIS3_Lb0EPhPS5_mNS0_19identity_decomposerEEE10hipError_tT1_T2_PT3_SE_jT4_jjP12ihipStream_tbEUlT_E0_NS1_11comp_targetILNS1_3genE10ELNS1_11target_archE1201ELNS1_3gpuE5ELNS1_3repE0EEENS1_52radix_sort_onesweep_histogram_config_static_selectorELNS0_4arch9wavefront6targetE1EEEvSC_
                                        ; -- End function
	.section	.AMDGPU.csdata,"",@progbits
; Kernel info:
; codeLenInByte = 0
; NumSgprs: 4
; NumVgprs: 0
; NumAgprs: 0
; TotalNumVgprs: 0
; ScratchSize: 0
; MemoryBound: 0
; FloatMode: 240
; IeeeMode: 1
; LDSByteSize: 0 bytes/workgroup (compile time only)
; SGPRBlocks: 0
; VGPRBlocks: 0
; NumSGPRsForWavesPerEU: 4
; NumVGPRsForWavesPerEU: 1
; AccumOffset: 4
; Occupancy: 8
; WaveLimiterHint : 0
; COMPUTE_PGM_RSRC2:SCRATCH_EN: 0
; COMPUTE_PGM_RSRC2:USER_SGPR: 6
; COMPUTE_PGM_RSRC2:TRAP_HANDLER: 0
; COMPUTE_PGM_RSRC2:TGID_X_EN: 1
; COMPUTE_PGM_RSRC2:TGID_Y_EN: 0
; COMPUTE_PGM_RSRC2:TGID_Z_EN: 0
; COMPUTE_PGM_RSRC2:TIDIG_COMP_CNT: 0
; COMPUTE_PGM_RSRC3_GFX90A:ACCUM_OFFSET: 0
; COMPUTE_PGM_RSRC3_GFX90A:TG_SPLIT: 0
	.section	.text._ZN7rocprim17ROCPRIM_400000_NS6detail17trampoline_kernelINS0_14default_configENS1_35radix_sort_onesweep_config_selectorIhNS0_10empty_typeEEEZNS1_34radix_sort_onesweep_global_offsetsIS3_Lb0EPhPS5_mNS0_19identity_decomposerEEE10hipError_tT1_T2_PT3_SE_jT4_jjP12ihipStream_tbEUlT_E0_NS1_11comp_targetILNS1_3genE9ELNS1_11target_archE1100ELNS1_3gpuE3ELNS1_3repE0EEENS1_52radix_sort_onesweep_histogram_config_static_selectorELNS0_4arch9wavefront6targetE1EEEvSC_,"axG",@progbits,_ZN7rocprim17ROCPRIM_400000_NS6detail17trampoline_kernelINS0_14default_configENS1_35radix_sort_onesweep_config_selectorIhNS0_10empty_typeEEEZNS1_34radix_sort_onesweep_global_offsetsIS3_Lb0EPhPS5_mNS0_19identity_decomposerEEE10hipError_tT1_T2_PT3_SE_jT4_jjP12ihipStream_tbEUlT_E0_NS1_11comp_targetILNS1_3genE9ELNS1_11target_archE1100ELNS1_3gpuE3ELNS1_3repE0EEENS1_52radix_sort_onesweep_histogram_config_static_selectorELNS0_4arch9wavefront6targetE1EEEvSC_,comdat
	.protected	_ZN7rocprim17ROCPRIM_400000_NS6detail17trampoline_kernelINS0_14default_configENS1_35radix_sort_onesweep_config_selectorIhNS0_10empty_typeEEEZNS1_34radix_sort_onesweep_global_offsetsIS3_Lb0EPhPS5_mNS0_19identity_decomposerEEE10hipError_tT1_T2_PT3_SE_jT4_jjP12ihipStream_tbEUlT_E0_NS1_11comp_targetILNS1_3genE9ELNS1_11target_archE1100ELNS1_3gpuE3ELNS1_3repE0EEENS1_52radix_sort_onesweep_histogram_config_static_selectorELNS0_4arch9wavefront6targetE1EEEvSC_ ; -- Begin function _ZN7rocprim17ROCPRIM_400000_NS6detail17trampoline_kernelINS0_14default_configENS1_35radix_sort_onesweep_config_selectorIhNS0_10empty_typeEEEZNS1_34radix_sort_onesweep_global_offsetsIS3_Lb0EPhPS5_mNS0_19identity_decomposerEEE10hipError_tT1_T2_PT3_SE_jT4_jjP12ihipStream_tbEUlT_E0_NS1_11comp_targetILNS1_3genE9ELNS1_11target_archE1100ELNS1_3gpuE3ELNS1_3repE0EEENS1_52radix_sort_onesweep_histogram_config_static_selectorELNS0_4arch9wavefront6targetE1EEEvSC_
	.globl	_ZN7rocprim17ROCPRIM_400000_NS6detail17trampoline_kernelINS0_14default_configENS1_35radix_sort_onesweep_config_selectorIhNS0_10empty_typeEEEZNS1_34radix_sort_onesweep_global_offsetsIS3_Lb0EPhPS5_mNS0_19identity_decomposerEEE10hipError_tT1_T2_PT3_SE_jT4_jjP12ihipStream_tbEUlT_E0_NS1_11comp_targetILNS1_3genE9ELNS1_11target_archE1100ELNS1_3gpuE3ELNS1_3repE0EEENS1_52radix_sort_onesweep_histogram_config_static_selectorELNS0_4arch9wavefront6targetE1EEEvSC_
	.p2align	8
	.type	_ZN7rocprim17ROCPRIM_400000_NS6detail17trampoline_kernelINS0_14default_configENS1_35radix_sort_onesweep_config_selectorIhNS0_10empty_typeEEEZNS1_34radix_sort_onesweep_global_offsetsIS3_Lb0EPhPS5_mNS0_19identity_decomposerEEE10hipError_tT1_T2_PT3_SE_jT4_jjP12ihipStream_tbEUlT_E0_NS1_11comp_targetILNS1_3genE9ELNS1_11target_archE1100ELNS1_3gpuE3ELNS1_3repE0EEENS1_52radix_sort_onesweep_histogram_config_static_selectorELNS0_4arch9wavefront6targetE1EEEvSC_,@function
_ZN7rocprim17ROCPRIM_400000_NS6detail17trampoline_kernelINS0_14default_configENS1_35radix_sort_onesweep_config_selectorIhNS0_10empty_typeEEEZNS1_34radix_sort_onesweep_global_offsetsIS3_Lb0EPhPS5_mNS0_19identity_decomposerEEE10hipError_tT1_T2_PT3_SE_jT4_jjP12ihipStream_tbEUlT_E0_NS1_11comp_targetILNS1_3genE9ELNS1_11target_archE1100ELNS1_3gpuE3ELNS1_3repE0EEENS1_52radix_sort_onesweep_histogram_config_static_selectorELNS0_4arch9wavefront6targetE1EEEvSC_: ; @_ZN7rocprim17ROCPRIM_400000_NS6detail17trampoline_kernelINS0_14default_configENS1_35radix_sort_onesweep_config_selectorIhNS0_10empty_typeEEEZNS1_34radix_sort_onesweep_global_offsetsIS3_Lb0EPhPS5_mNS0_19identity_decomposerEEE10hipError_tT1_T2_PT3_SE_jT4_jjP12ihipStream_tbEUlT_E0_NS1_11comp_targetILNS1_3genE9ELNS1_11target_archE1100ELNS1_3gpuE3ELNS1_3repE0EEENS1_52radix_sort_onesweep_histogram_config_static_selectorELNS0_4arch9wavefront6targetE1EEEvSC_
; %bb.0:
	.section	.rodata,"a",@progbits
	.p2align	6, 0x0
	.amdhsa_kernel _ZN7rocprim17ROCPRIM_400000_NS6detail17trampoline_kernelINS0_14default_configENS1_35radix_sort_onesweep_config_selectorIhNS0_10empty_typeEEEZNS1_34radix_sort_onesweep_global_offsetsIS3_Lb0EPhPS5_mNS0_19identity_decomposerEEE10hipError_tT1_T2_PT3_SE_jT4_jjP12ihipStream_tbEUlT_E0_NS1_11comp_targetILNS1_3genE9ELNS1_11target_archE1100ELNS1_3gpuE3ELNS1_3repE0EEENS1_52radix_sort_onesweep_histogram_config_static_selectorELNS0_4arch9wavefront6targetE1EEEvSC_
		.amdhsa_group_segment_fixed_size 0
		.amdhsa_private_segment_fixed_size 0
		.amdhsa_kernarg_size 8
		.amdhsa_user_sgpr_count 6
		.amdhsa_user_sgpr_private_segment_buffer 1
		.amdhsa_user_sgpr_dispatch_ptr 0
		.amdhsa_user_sgpr_queue_ptr 0
		.amdhsa_user_sgpr_kernarg_segment_ptr 1
		.amdhsa_user_sgpr_dispatch_id 0
		.amdhsa_user_sgpr_flat_scratch_init 0
		.amdhsa_user_sgpr_kernarg_preload_length 0
		.amdhsa_user_sgpr_kernarg_preload_offset 0
		.amdhsa_user_sgpr_private_segment_size 0
		.amdhsa_uses_dynamic_stack 0
		.amdhsa_system_sgpr_private_segment_wavefront_offset 0
		.amdhsa_system_sgpr_workgroup_id_x 1
		.amdhsa_system_sgpr_workgroup_id_y 0
		.amdhsa_system_sgpr_workgroup_id_z 0
		.amdhsa_system_sgpr_workgroup_info 0
		.amdhsa_system_vgpr_workitem_id 0
		.amdhsa_next_free_vgpr 1
		.amdhsa_next_free_sgpr 0
		.amdhsa_accum_offset 4
		.amdhsa_reserve_vcc 0
		.amdhsa_reserve_flat_scratch 0
		.amdhsa_float_round_mode_32 0
		.amdhsa_float_round_mode_16_64 0
		.amdhsa_float_denorm_mode_32 3
		.amdhsa_float_denorm_mode_16_64 3
		.amdhsa_dx10_clamp 1
		.amdhsa_ieee_mode 1
		.amdhsa_fp16_overflow 0
		.amdhsa_tg_split 0
		.amdhsa_exception_fp_ieee_invalid_op 0
		.amdhsa_exception_fp_denorm_src 0
		.amdhsa_exception_fp_ieee_div_zero 0
		.amdhsa_exception_fp_ieee_overflow 0
		.amdhsa_exception_fp_ieee_underflow 0
		.amdhsa_exception_fp_ieee_inexact 0
		.amdhsa_exception_int_div_zero 0
	.end_amdhsa_kernel
	.section	.text._ZN7rocprim17ROCPRIM_400000_NS6detail17trampoline_kernelINS0_14default_configENS1_35radix_sort_onesweep_config_selectorIhNS0_10empty_typeEEEZNS1_34radix_sort_onesweep_global_offsetsIS3_Lb0EPhPS5_mNS0_19identity_decomposerEEE10hipError_tT1_T2_PT3_SE_jT4_jjP12ihipStream_tbEUlT_E0_NS1_11comp_targetILNS1_3genE9ELNS1_11target_archE1100ELNS1_3gpuE3ELNS1_3repE0EEENS1_52radix_sort_onesweep_histogram_config_static_selectorELNS0_4arch9wavefront6targetE1EEEvSC_,"axG",@progbits,_ZN7rocprim17ROCPRIM_400000_NS6detail17trampoline_kernelINS0_14default_configENS1_35radix_sort_onesweep_config_selectorIhNS0_10empty_typeEEEZNS1_34radix_sort_onesweep_global_offsetsIS3_Lb0EPhPS5_mNS0_19identity_decomposerEEE10hipError_tT1_T2_PT3_SE_jT4_jjP12ihipStream_tbEUlT_E0_NS1_11comp_targetILNS1_3genE9ELNS1_11target_archE1100ELNS1_3gpuE3ELNS1_3repE0EEENS1_52radix_sort_onesweep_histogram_config_static_selectorELNS0_4arch9wavefront6targetE1EEEvSC_,comdat
.Lfunc_end318:
	.size	_ZN7rocprim17ROCPRIM_400000_NS6detail17trampoline_kernelINS0_14default_configENS1_35radix_sort_onesweep_config_selectorIhNS0_10empty_typeEEEZNS1_34radix_sort_onesweep_global_offsetsIS3_Lb0EPhPS5_mNS0_19identity_decomposerEEE10hipError_tT1_T2_PT3_SE_jT4_jjP12ihipStream_tbEUlT_E0_NS1_11comp_targetILNS1_3genE9ELNS1_11target_archE1100ELNS1_3gpuE3ELNS1_3repE0EEENS1_52radix_sort_onesweep_histogram_config_static_selectorELNS0_4arch9wavefront6targetE1EEEvSC_, .Lfunc_end318-_ZN7rocprim17ROCPRIM_400000_NS6detail17trampoline_kernelINS0_14default_configENS1_35radix_sort_onesweep_config_selectorIhNS0_10empty_typeEEEZNS1_34radix_sort_onesweep_global_offsetsIS3_Lb0EPhPS5_mNS0_19identity_decomposerEEE10hipError_tT1_T2_PT3_SE_jT4_jjP12ihipStream_tbEUlT_E0_NS1_11comp_targetILNS1_3genE9ELNS1_11target_archE1100ELNS1_3gpuE3ELNS1_3repE0EEENS1_52radix_sort_onesweep_histogram_config_static_selectorELNS0_4arch9wavefront6targetE1EEEvSC_
                                        ; -- End function
	.section	.AMDGPU.csdata,"",@progbits
; Kernel info:
; codeLenInByte = 0
; NumSgprs: 4
; NumVgprs: 0
; NumAgprs: 0
; TotalNumVgprs: 0
; ScratchSize: 0
; MemoryBound: 0
; FloatMode: 240
; IeeeMode: 1
; LDSByteSize: 0 bytes/workgroup (compile time only)
; SGPRBlocks: 0
; VGPRBlocks: 0
; NumSGPRsForWavesPerEU: 4
; NumVGPRsForWavesPerEU: 1
; AccumOffset: 4
; Occupancy: 8
; WaveLimiterHint : 0
; COMPUTE_PGM_RSRC2:SCRATCH_EN: 0
; COMPUTE_PGM_RSRC2:USER_SGPR: 6
; COMPUTE_PGM_RSRC2:TRAP_HANDLER: 0
; COMPUTE_PGM_RSRC2:TGID_X_EN: 1
; COMPUTE_PGM_RSRC2:TGID_Y_EN: 0
; COMPUTE_PGM_RSRC2:TGID_Z_EN: 0
; COMPUTE_PGM_RSRC2:TIDIG_COMP_CNT: 0
; COMPUTE_PGM_RSRC3_GFX90A:ACCUM_OFFSET: 0
; COMPUTE_PGM_RSRC3_GFX90A:TG_SPLIT: 0
	.section	.text._ZN7rocprim17ROCPRIM_400000_NS6detail17trampoline_kernelINS0_14default_configENS1_35radix_sort_onesweep_config_selectorIhNS0_10empty_typeEEEZNS1_34radix_sort_onesweep_global_offsetsIS3_Lb0EPhPS5_mNS0_19identity_decomposerEEE10hipError_tT1_T2_PT3_SE_jT4_jjP12ihipStream_tbEUlT_E0_NS1_11comp_targetILNS1_3genE8ELNS1_11target_archE1030ELNS1_3gpuE2ELNS1_3repE0EEENS1_52radix_sort_onesweep_histogram_config_static_selectorELNS0_4arch9wavefront6targetE1EEEvSC_,"axG",@progbits,_ZN7rocprim17ROCPRIM_400000_NS6detail17trampoline_kernelINS0_14default_configENS1_35radix_sort_onesweep_config_selectorIhNS0_10empty_typeEEEZNS1_34radix_sort_onesweep_global_offsetsIS3_Lb0EPhPS5_mNS0_19identity_decomposerEEE10hipError_tT1_T2_PT3_SE_jT4_jjP12ihipStream_tbEUlT_E0_NS1_11comp_targetILNS1_3genE8ELNS1_11target_archE1030ELNS1_3gpuE2ELNS1_3repE0EEENS1_52radix_sort_onesweep_histogram_config_static_selectorELNS0_4arch9wavefront6targetE1EEEvSC_,comdat
	.protected	_ZN7rocprim17ROCPRIM_400000_NS6detail17trampoline_kernelINS0_14default_configENS1_35radix_sort_onesweep_config_selectorIhNS0_10empty_typeEEEZNS1_34radix_sort_onesweep_global_offsetsIS3_Lb0EPhPS5_mNS0_19identity_decomposerEEE10hipError_tT1_T2_PT3_SE_jT4_jjP12ihipStream_tbEUlT_E0_NS1_11comp_targetILNS1_3genE8ELNS1_11target_archE1030ELNS1_3gpuE2ELNS1_3repE0EEENS1_52radix_sort_onesweep_histogram_config_static_selectorELNS0_4arch9wavefront6targetE1EEEvSC_ ; -- Begin function _ZN7rocprim17ROCPRIM_400000_NS6detail17trampoline_kernelINS0_14default_configENS1_35radix_sort_onesweep_config_selectorIhNS0_10empty_typeEEEZNS1_34radix_sort_onesweep_global_offsetsIS3_Lb0EPhPS5_mNS0_19identity_decomposerEEE10hipError_tT1_T2_PT3_SE_jT4_jjP12ihipStream_tbEUlT_E0_NS1_11comp_targetILNS1_3genE8ELNS1_11target_archE1030ELNS1_3gpuE2ELNS1_3repE0EEENS1_52radix_sort_onesweep_histogram_config_static_selectorELNS0_4arch9wavefront6targetE1EEEvSC_
	.globl	_ZN7rocprim17ROCPRIM_400000_NS6detail17trampoline_kernelINS0_14default_configENS1_35radix_sort_onesweep_config_selectorIhNS0_10empty_typeEEEZNS1_34radix_sort_onesweep_global_offsetsIS3_Lb0EPhPS5_mNS0_19identity_decomposerEEE10hipError_tT1_T2_PT3_SE_jT4_jjP12ihipStream_tbEUlT_E0_NS1_11comp_targetILNS1_3genE8ELNS1_11target_archE1030ELNS1_3gpuE2ELNS1_3repE0EEENS1_52radix_sort_onesweep_histogram_config_static_selectorELNS0_4arch9wavefront6targetE1EEEvSC_
	.p2align	8
	.type	_ZN7rocprim17ROCPRIM_400000_NS6detail17trampoline_kernelINS0_14default_configENS1_35radix_sort_onesweep_config_selectorIhNS0_10empty_typeEEEZNS1_34radix_sort_onesweep_global_offsetsIS3_Lb0EPhPS5_mNS0_19identity_decomposerEEE10hipError_tT1_T2_PT3_SE_jT4_jjP12ihipStream_tbEUlT_E0_NS1_11comp_targetILNS1_3genE8ELNS1_11target_archE1030ELNS1_3gpuE2ELNS1_3repE0EEENS1_52radix_sort_onesweep_histogram_config_static_selectorELNS0_4arch9wavefront6targetE1EEEvSC_,@function
_ZN7rocprim17ROCPRIM_400000_NS6detail17trampoline_kernelINS0_14default_configENS1_35radix_sort_onesweep_config_selectorIhNS0_10empty_typeEEEZNS1_34radix_sort_onesweep_global_offsetsIS3_Lb0EPhPS5_mNS0_19identity_decomposerEEE10hipError_tT1_T2_PT3_SE_jT4_jjP12ihipStream_tbEUlT_E0_NS1_11comp_targetILNS1_3genE8ELNS1_11target_archE1030ELNS1_3gpuE2ELNS1_3repE0EEENS1_52radix_sort_onesweep_histogram_config_static_selectorELNS0_4arch9wavefront6targetE1EEEvSC_: ; @_ZN7rocprim17ROCPRIM_400000_NS6detail17trampoline_kernelINS0_14default_configENS1_35radix_sort_onesweep_config_selectorIhNS0_10empty_typeEEEZNS1_34radix_sort_onesweep_global_offsetsIS3_Lb0EPhPS5_mNS0_19identity_decomposerEEE10hipError_tT1_T2_PT3_SE_jT4_jjP12ihipStream_tbEUlT_E0_NS1_11comp_targetILNS1_3genE8ELNS1_11target_archE1030ELNS1_3gpuE2ELNS1_3repE0EEENS1_52radix_sort_onesweep_histogram_config_static_selectorELNS0_4arch9wavefront6targetE1EEEvSC_
; %bb.0:
	.section	.rodata,"a",@progbits
	.p2align	6, 0x0
	.amdhsa_kernel _ZN7rocprim17ROCPRIM_400000_NS6detail17trampoline_kernelINS0_14default_configENS1_35radix_sort_onesweep_config_selectorIhNS0_10empty_typeEEEZNS1_34radix_sort_onesweep_global_offsetsIS3_Lb0EPhPS5_mNS0_19identity_decomposerEEE10hipError_tT1_T2_PT3_SE_jT4_jjP12ihipStream_tbEUlT_E0_NS1_11comp_targetILNS1_3genE8ELNS1_11target_archE1030ELNS1_3gpuE2ELNS1_3repE0EEENS1_52radix_sort_onesweep_histogram_config_static_selectorELNS0_4arch9wavefront6targetE1EEEvSC_
		.amdhsa_group_segment_fixed_size 0
		.amdhsa_private_segment_fixed_size 0
		.amdhsa_kernarg_size 8
		.amdhsa_user_sgpr_count 6
		.amdhsa_user_sgpr_private_segment_buffer 1
		.amdhsa_user_sgpr_dispatch_ptr 0
		.amdhsa_user_sgpr_queue_ptr 0
		.amdhsa_user_sgpr_kernarg_segment_ptr 1
		.amdhsa_user_sgpr_dispatch_id 0
		.amdhsa_user_sgpr_flat_scratch_init 0
		.amdhsa_user_sgpr_kernarg_preload_length 0
		.amdhsa_user_sgpr_kernarg_preload_offset 0
		.amdhsa_user_sgpr_private_segment_size 0
		.amdhsa_uses_dynamic_stack 0
		.amdhsa_system_sgpr_private_segment_wavefront_offset 0
		.amdhsa_system_sgpr_workgroup_id_x 1
		.amdhsa_system_sgpr_workgroup_id_y 0
		.amdhsa_system_sgpr_workgroup_id_z 0
		.amdhsa_system_sgpr_workgroup_info 0
		.amdhsa_system_vgpr_workitem_id 0
		.amdhsa_next_free_vgpr 1
		.amdhsa_next_free_sgpr 0
		.amdhsa_accum_offset 4
		.amdhsa_reserve_vcc 0
		.amdhsa_reserve_flat_scratch 0
		.amdhsa_float_round_mode_32 0
		.amdhsa_float_round_mode_16_64 0
		.amdhsa_float_denorm_mode_32 3
		.amdhsa_float_denorm_mode_16_64 3
		.amdhsa_dx10_clamp 1
		.amdhsa_ieee_mode 1
		.amdhsa_fp16_overflow 0
		.amdhsa_tg_split 0
		.amdhsa_exception_fp_ieee_invalid_op 0
		.amdhsa_exception_fp_denorm_src 0
		.amdhsa_exception_fp_ieee_div_zero 0
		.amdhsa_exception_fp_ieee_overflow 0
		.amdhsa_exception_fp_ieee_underflow 0
		.amdhsa_exception_fp_ieee_inexact 0
		.amdhsa_exception_int_div_zero 0
	.end_amdhsa_kernel
	.section	.text._ZN7rocprim17ROCPRIM_400000_NS6detail17trampoline_kernelINS0_14default_configENS1_35radix_sort_onesweep_config_selectorIhNS0_10empty_typeEEEZNS1_34radix_sort_onesweep_global_offsetsIS3_Lb0EPhPS5_mNS0_19identity_decomposerEEE10hipError_tT1_T2_PT3_SE_jT4_jjP12ihipStream_tbEUlT_E0_NS1_11comp_targetILNS1_3genE8ELNS1_11target_archE1030ELNS1_3gpuE2ELNS1_3repE0EEENS1_52radix_sort_onesweep_histogram_config_static_selectorELNS0_4arch9wavefront6targetE1EEEvSC_,"axG",@progbits,_ZN7rocprim17ROCPRIM_400000_NS6detail17trampoline_kernelINS0_14default_configENS1_35radix_sort_onesweep_config_selectorIhNS0_10empty_typeEEEZNS1_34radix_sort_onesweep_global_offsetsIS3_Lb0EPhPS5_mNS0_19identity_decomposerEEE10hipError_tT1_T2_PT3_SE_jT4_jjP12ihipStream_tbEUlT_E0_NS1_11comp_targetILNS1_3genE8ELNS1_11target_archE1030ELNS1_3gpuE2ELNS1_3repE0EEENS1_52radix_sort_onesweep_histogram_config_static_selectorELNS0_4arch9wavefront6targetE1EEEvSC_,comdat
.Lfunc_end319:
	.size	_ZN7rocprim17ROCPRIM_400000_NS6detail17trampoline_kernelINS0_14default_configENS1_35radix_sort_onesweep_config_selectorIhNS0_10empty_typeEEEZNS1_34radix_sort_onesweep_global_offsetsIS3_Lb0EPhPS5_mNS0_19identity_decomposerEEE10hipError_tT1_T2_PT3_SE_jT4_jjP12ihipStream_tbEUlT_E0_NS1_11comp_targetILNS1_3genE8ELNS1_11target_archE1030ELNS1_3gpuE2ELNS1_3repE0EEENS1_52radix_sort_onesweep_histogram_config_static_selectorELNS0_4arch9wavefront6targetE1EEEvSC_, .Lfunc_end319-_ZN7rocprim17ROCPRIM_400000_NS6detail17trampoline_kernelINS0_14default_configENS1_35radix_sort_onesweep_config_selectorIhNS0_10empty_typeEEEZNS1_34radix_sort_onesweep_global_offsetsIS3_Lb0EPhPS5_mNS0_19identity_decomposerEEE10hipError_tT1_T2_PT3_SE_jT4_jjP12ihipStream_tbEUlT_E0_NS1_11comp_targetILNS1_3genE8ELNS1_11target_archE1030ELNS1_3gpuE2ELNS1_3repE0EEENS1_52radix_sort_onesweep_histogram_config_static_selectorELNS0_4arch9wavefront6targetE1EEEvSC_
                                        ; -- End function
	.section	.AMDGPU.csdata,"",@progbits
; Kernel info:
; codeLenInByte = 0
; NumSgprs: 4
; NumVgprs: 0
; NumAgprs: 0
; TotalNumVgprs: 0
; ScratchSize: 0
; MemoryBound: 0
; FloatMode: 240
; IeeeMode: 1
; LDSByteSize: 0 bytes/workgroup (compile time only)
; SGPRBlocks: 0
; VGPRBlocks: 0
; NumSGPRsForWavesPerEU: 4
; NumVGPRsForWavesPerEU: 1
; AccumOffset: 4
; Occupancy: 8
; WaveLimiterHint : 0
; COMPUTE_PGM_RSRC2:SCRATCH_EN: 0
; COMPUTE_PGM_RSRC2:USER_SGPR: 6
; COMPUTE_PGM_RSRC2:TRAP_HANDLER: 0
; COMPUTE_PGM_RSRC2:TGID_X_EN: 1
; COMPUTE_PGM_RSRC2:TGID_Y_EN: 0
; COMPUTE_PGM_RSRC2:TGID_Z_EN: 0
; COMPUTE_PGM_RSRC2:TIDIG_COMP_CNT: 0
; COMPUTE_PGM_RSRC3_GFX90A:ACCUM_OFFSET: 0
; COMPUTE_PGM_RSRC3_GFX90A:TG_SPLIT: 0
	.section	.text._ZN7rocprim17ROCPRIM_400000_NS6detail17trampoline_kernelINS0_14default_configENS1_35radix_sort_onesweep_config_selectorIhNS0_10empty_typeEEEZZNS1_29radix_sort_onesweep_iterationIS3_Lb0EPhS8_PS5_S9_mNS0_19identity_decomposerENS1_16block_id_wrapperIjLb1EEEEE10hipError_tT1_PNSt15iterator_traitsISE_E10value_typeET2_T3_PNSF_ISK_E10value_typeET4_T5_PSP_SQ_PNS1_23onesweep_lookback_stateEbbT6_jjT7_P12ihipStream_tbENKUlT_T0_SE_SJ_E_clIS8_S8_S9_S9_EEDaSX_SY_SE_SJ_EUlSX_E_NS1_11comp_targetILNS1_3genE0ELNS1_11target_archE4294967295ELNS1_3gpuE0ELNS1_3repE0EEENS1_47radix_sort_onesweep_sort_config_static_selectorELNS0_4arch9wavefront6targetE1EEEvSE_,"axG",@progbits,_ZN7rocprim17ROCPRIM_400000_NS6detail17trampoline_kernelINS0_14default_configENS1_35radix_sort_onesweep_config_selectorIhNS0_10empty_typeEEEZZNS1_29radix_sort_onesweep_iterationIS3_Lb0EPhS8_PS5_S9_mNS0_19identity_decomposerENS1_16block_id_wrapperIjLb1EEEEE10hipError_tT1_PNSt15iterator_traitsISE_E10value_typeET2_T3_PNSF_ISK_E10value_typeET4_T5_PSP_SQ_PNS1_23onesweep_lookback_stateEbbT6_jjT7_P12ihipStream_tbENKUlT_T0_SE_SJ_E_clIS8_S8_S9_S9_EEDaSX_SY_SE_SJ_EUlSX_E_NS1_11comp_targetILNS1_3genE0ELNS1_11target_archE4294967295ELNS1_3gpuE0ELNS1_3repE0EEENS1_47radix_sort_onesweep_sort_config_static_selectorELNS0_4arch9wavefront6targetE1EEEvSE_,comdat
	.protected	_ZN7rocprim17ROCPRIM_400000_NS6detail17trampoline_kernelINS0_14default_configENS1_35radix_sort_onesweep_config_selectorIhNS0_10empty_typeEEEZZNS1_29radix_sort_onesweep_iterationIS3_Lb0EPhS8_PS5_S9_mNS0_19identity_decomposerENS1_16block_id_wrapperIjLb1EEEEE10hipError_tT1_PNSt15iterator_traitsISE_E10value_typeET2_T3_PNSF_ISK_E10value_typeET4_T5_PSP_SQ_PNS1_23onesweep_lookback_stateEbbT6_jjT7_P12ihipStream_tbENKUlT_T0_SE_SJ_E_clIS8_S8_S9_S9_EEDaSX_SY_SE_SJ_EUlSX_E_NS1_11comp_targetILNS1_3genE0ELNS1_11target_archE4294967295ELNS1_3gpuE0ELNS1_3repE0EEENS1_47radix_sort_onesweep_sort_config_static_selectorELNS0_4arch9wavefront6targetE1EEEvSE_ ; -- Begin function _ZN7rocprim17ROCPRIM_400000_NS6detail17trampoline_kernelINS0_14default_configENS1_35radix_sort_onesweep_config_selectorIhNS0_10empty_typeEEEZZNS1_29radix_sort_onesweep_iterationIS3_Lb0EPhS8_PS5_S9_mNS0_19identity_decomposerENS1_16block_id_wrapperIjLb1EEEEE10hipError_tT1_PNSt15iterator_traitsISE_E10value_typeET2_T3_PNSF_ISK_E10value_typeET4_T5_PSP_SQ_PNS1_23onesweep_lookback_stateEbbT6_jjT7_P12ihipStream_tbENKUlT_T0_SE_SJ_E_clIS8_S8_S9_S9_EEDaSX_SY_SE_SJ_EUlSX_E_NS1_11comp_targetILNS1_3genE0ELNS1_11target_archE4294967295ELNS1_3gpuE0ELNS1_3repE0EEENS1_47radix_sort_onesweep_sort_config_static_selectorELNS0_4arch9wavefront6targetE1EEEvSE_
	.globl	_ZN7rocprim17ROCPRIM_400000_NS6detail17trampoline_kernelINS0_14default_configENS1_35radix_sort_onesweep_config_selectorIhNS0_10empty_typeEEEZZNS1_29radix_sort_onesweep_iterationIS3_Lb0EPhS8_PS5_S9_mNS0_19identity_decomposerENS1_16block_id_wrapperIjLb1EEEEE10hipError_tT1_PNSt15iterator_traitsISE_E10value_typeET2_T3_PNSF_ISK_E10value_typeET4_T5_PSP_SQ_PNS1_23onesweep_lookback_stateEbbT6_jjT7_P12ihipStream_tbENKUlT_T0_SE_SJ_E_clIS8_S8_S9_S9_EEDaSX_SY_SE_SJ_EUlSX_E_NS1_11comp_targetILNS1_3genE0ELNS1_11target_archE4294967295ELNS1_3gpuE0ELNS1_3repE0EEENS1_47radix_sort_onesweep_sort_config_static_selectorELNS0_4arch9wavefront6targetE1EEEvSE_
	.p2align	8
	.type	_ZN7rocprim17ROCPRIM_400000_NS6detail17trampoline_kernelINS0_14default_configENS1_35radix_sort_onesweep_config_selectorIhNS0_10empty_typeEEEZZNS1_29radix_sort_onesweep_iterationIS3_Lb0EPhS8_PS5_S9_mNS0_19identity_decomposerENS1_16block_id_wrapperIjLb1EEEEE10hipError_tT1_PNSt15iterator_traitsISE_E10value_typeET2_T3_PNSF_ISK_E10value_typeET4_T5_PSP_SQ_PNS1_23onesweep_lookback_stateEbbT6_jjT7_P12ihipStream_tbENKUlT_T0_SE_SJ_E_clIS8_S8_S9_S9_EEDaSX_SY_SE_SJ_EUlSX_E_NS1_11comp_targetILNS1_3genE0ELNS1_11target_archE4294967295ELNS1_3gpuE0ELNS1_3repE0EEENS1_47radix_sort_onesweep_sort_config_static_selectorELNS0_4arch9wavefront6targetE1EEEvSE_,@function
_ZN7rocprim17ROCPRIM_400000_NS6detail17trampoline_kernelINS0_14default_configENS1_35radix_sort_onesweep_config_selectorIhNS0_10empty_typeEEEZZNS1_29radix_sort_onesweep_iterationIS3_Lb0EPhS8_PS5_S9_mNS0_19identity_decomposerENS1_16block_id_wrapperIjLb1EEEEE10hipError_tT1_PNSt15iterator_traitsISE_E10value_typeET2_T3_PNSF_ISK_E10value_typeET4_T5_PSP_SQ_PNS1_23onesweep_lookback_stateEbbT6_jjT7_P12ihipStream_tbENKUlT_T0_SE_SJ_E_clIS8_S8_S9_S9_EEDaSX_SY_SE_SJ_EUlSX_E_NS1_11comp_targetILNS1_3genE0ELNS1_11target_archE4294967295ELNS1_3gpuE0ELNS1_3repE0EEENS1_47radix_sort_onesweep_sort_config_static_selectorELNS0_4arch9wavefront6targetE1EEEvSE_: ; @_ZN7rocprim17ROCPRIM_400000_NS6detail17trampoline_kernelINS0_14default_configENS1_35radix_sort_onesweep_config_selectorIhNS0_10empty_typeEEEZZNS1_29radix_sort_onesweep_iterationIS3_Lb0EPhS8_PS5_S9_mNS0_19identity_decomposerENS1_16block_id_wrapperIjLb1EEEEE10hipError_tT1_PNSt15iterator_traitsISE_E10value_typeET2_T3_PNSF_ISK_E10value_typeET4_T5_PSP_SQ_PNS1_23onesweep_lookback_stateEbbT6_jjT7_P12ihipStream_tbENKUlT_T0_SE_SJ_E_clIS8_S8_S9_S9_EEDaSX_SY_SE_SJ_EUlSX_E_NS1_11comp_targetILNS1_3genE0ELNS1_11target_archE4294967295ELNS1_3gpuE0ELNS1_3repE0EEENS1_47radix_sort_onesweep_sort_config_static_selectorELNS0_4arch9wavefront6targetE1EEEvSE_
; %bb.0:
	.section	.rodata,"a",@progbits
	.p2align	6, 0x0
	.amdhsa_kernel _ZN7rocprim17ROCPRIM_400000_NS6detail17trampoline_kernelINS0_14default_configENS1_35radix_sort_onesweep_config_selectorIhNS0_10empty_typeEEEZZNS1_29radix_sort_onesweep_iterationIS3_Lb0EPhS8_PS5_S9_mNS0_19identity_decomposerENS1_16block_id_wrapperIjLb1EEEEE10hipError_tT1_PNSt15iterator_traitsISE_E10value_typeET2_T3_PNSF_ISK_E10value_typeET4_T5_PSP_SQ_PNS1_23onesweep_lookback_stateEbbT6_jjT7_P12ihipStream_tbENKUlT_T0_SE_SJ_E_clIS8_S8_S9_S9_EEDaSX_SY_SE_SJ_EUlSX_E_NS1_11comp_targetILNS1_3genE0ELNS1_11target_archE4294967295ELNS1_3gpuE0ELNS1_3repE0EEENS1_47radix_sort_onesweep_sort_config_static_selectorELNS0_4arch9wavefront6targetE1EEEvSE_
		.amdhsa_group_segment_fixed_size 0
		.amdhsa_private_segment_fixed_size 0
		.amdhsa_kernarg_size 88
		.amdhsa_user_sgpr_count 6
		.amdhsa_user_sgpr_private_segment_buffer 1
		.amdhsa_user_sgpr_dispatch_ptr 0
		.amdhsa_user_sgpr_queue_ptr 0
		.amdhsa_user_sgpr_kernarg_segment_ptr 1
		.amdhsa_user_sgpr_dispatch_id 0
		.amdhsa_user_sgpr_flat_scratch_init 0
		.amdhsa_user_sgpr_kernarg_preload_length 0
		.amdhsa_user_sgpr_kernarg_preload_offset 0
		.amdhsa_user_sgpr_private_segment_size 0
		.amdhsa_uses_dynamic_stack 0
		.amdhsa_system_sgpr_private_segment_wavefront_offset 0
		.amdhsa_system_sgpr_workgroup_id_x 1
		.amdhsa_system_sgpr_workgroup_id_y 0
		.amdhsa_system_sgpr_workgroup_id_z 0
		.amdhsa_system_sgpr_workgroup_info 0
		.amdhsa_system_vgpr_workitem_id 0
		.amdhsa_next_free_vgpr 1
		.amdhsa_next_free_sgpr 0
		.amdhsa_accum_offset 4
		.amdhsa_reserve_vcc 0
		.amdhsa_reserve_flat_scratch 0
		.amdhsa_float_round_mode_32 0
		.amdhsa_float_round_mode_16_64 0
		.amdhsa_float_denorm_mode_32 3
		.amdhsa_float_denorm_mode_16_64 3
		.amdhsa_dx10_clamp 1
		.amdhsa_ieee_mode 1
		.amdhsa_fp16_overflow 0
		.amdhsa_tg_split 0
		.amdhsa_exception_fp_ieee_invalid_op 0
		.amdhsa_exception_fp_denorm_src 0
		.amdhsa_exception_fp_ieee_div_zero 0
		.amdhsa_exception_fp_ieee_overflow 0
		.amdhsa_exception_fp_ieee_underflow 0
		.amdhsa_exception_fp_ieee_inexact 0
		.amdhsa_exception_int_div_zero 0
	.end_amdhsa_kernel
	.section	.text._ZN7rocprim17ROCPRIM_400000_NS6detail17trampoline_kernelINS0_14default_configENS1_35radix_sort_onesweep_config_selectorIhNS0_10empty_typeEEEZZNS1_29radix_sort_onesweep_iterationIS3_Lb0EPhS8_PS5_S9_mNS0_19identity_decomposerENS1_16block_id_wrapperIjLb1EEEEE10hipError_tT1_PNSt15iterator_traitsISE_E10value_typeET2_T3_PNSF_ISK_E10value_typeET4_T5_PSP_SQ_PNS1_23onesweep_lookback_stateEbbT6_jjT7_P12ihipStream_tbENKUlT_T0_SE_SJ_E_clIS8_S8_S9_S9_EEDaSX_SY_SE_SJ_EUlSX_E_NS1_11comp_targetILNS1_3genE0ELNS1_11target_archE4294967295ELNS1_3gpuE0ELNS1_3repE0EEENS1_47radix_sort_onesweep_sort_config_static_selectorELNS0_4arch9wavefront6targetE1EEEvSE_,"axG",@progbits,_ZN7rocprim17ROCPRIM_400000_NS6detail17trampoline_kernelINS0_14default_configENS1_35radix_sort_onesweep_config_selectorIhNS0_10empty_typeEEEZZNS1_29radix_sort_onesweep_iterationIS3_Lb0EPhS8_PS5_S9_mNS0_19identity_decomposerENS1_16block_id_wrapperIjLb1EEEEE10hipError_tT1_PNSt15iterator_traitsISE_E10value_typeET2_T3_PNSF_ISK_E10value_typeET4_T5_PSP_SQ_PNS1_23onesweep_lookback_stateEbbT6_jjT7_P12ihipStream_tbENKUlT_T0_SE_SJ_E_clIS8_S8_S9_S9_EEDaSX_SY_SE_SJ_EUlSX_E_NS1_11comp_targetILNS1_3genE0ELNS1_11target_archE4294967295ELNS1_3gpuE0ELNS1_3repE0EEENS1_47radix_sort_onesweep_sort_config_static_selectorELNS0_4arch9wavefront6targetE1EEEvSE_,comdat
.Lfunc_end320:
	.size	_ZN7rocprim17ROCPRIM_400000_NS6detail17trampoline_kernelINS0_14default_configENS1_35radix_sort_onesweep_config_selectorIhNS0_10empty_typeEEEZZNS1_29radix_sort_onesweep_iterationIS3_Lb0EPhS8_PS5_S9_mNS0_19identity_decomposerENS1_16block_id_wrapperIjLb1EEEEE10hipError_tT1_PNSt15iterator_traitsISE_E10value_typeET2_T3_PNSF_ISK_E10value_typeET4_T5_PSP_SQ_PNS1_23onesweep_lookback_stateEbbT6_jjT7_P12ihipStream_tbENKUlT_T0_SE_SJ_E_clIS8_S8_S9_S9_EEDaSX_SY_SE_SJ_EUlSX_E_NS1_11comp_targetILNS1_3genE0ELNS1_11target_archE4294967295ELNS1_3gpuE0ELNS1_3repE0EEENS1_47radix_sort_onesweep_sort_config_static_selectorELNS0_4arch9wavefront6targetE1EEEvSE_, .Lfunc_end320-_ZN7rocprim17ROCPRIM_400000_NS6detail17trampoline_kernelINS0_14default_configENS1_35radix_sort_onesweep_config_selectorIhNS0_10empty_typeEEEZZNS1_29radix_sort_onesweep_iterationIS3_Lb0EPhS8_PS5_S9_mNS0_19identity_decomposerENS1_16block_id_wrapperIjLb1EEEEE10hipError_tT1_PNSt15iterator_traitsISE_E10value_typeET2_T3_PNSF_ISK_E10value_typeET4_T5_PSP_SQ_PNS1_23onesweep_lookback_stateEbbT6_jjT7_P12ihipStream_tbENKUlT_T0_SE_SJ_E_clIS8_S8_S9_S9_EEDaSX_SY_SE_SJ_EUlSX_E_NS1_11comp_targetILNS1_3genE0ELNS1_11target_archE4294967295ELNS1_3gpuE0ELNS1_3repE0EEENS1_47radix_sort_onesweep_sort_config_static_selectorELNS0_4arch9wavefront6targetE1EEEvSE_
                                        ; -- End function
	.section	.AMDGPU.csdata,"",@progbits
; Kernel info:
; codeLenInByte = 0
; NumSgprs: 4
; NumVgprs: 0
; NumAgprs: 0
; TotalNumVgprs: 0
; ScratchSize: 0
; MemoryBound: 0
; FloatMode: 240
; IeeeMode: 1
; LDSByteSize: 0 bytes/workgroup (compile time only)
; SGPRBlocks: 0
; VGPRBlocks: 0
; NumSGPRsForWavesPerEU: 4
; NumVGPRsForWavesPerEU: 1
; AccumOffset: 4
; Occupancy: 8
; WaveLimiterHint : 0
; COMPUTE_PGM_RSRC2:SCRATCH_EN: 0
; COMPUTE_PGM_RSRC2:USER_SGPR: 6
; COMPUTE_PGM_RSRC2:TRAP_HANDLER: 0
; COMPUTE_PGM_RSRC2:TGID_X_EN: 1
; COMPUTE_PGM_RSRC2:TGID_Y_EN: 0
; COMPUTE_PGM_RSRC2:TGID_Z_EN: 0
; COMPUTE_PGM_RSRC2:TIDIG_COMP_CNT: 0
; COMPUTE_PGM_RSRC3_GFX90A:ACCUM_OFFSET: 0
; COMPUTE_PGM_RSRC3_GFX90A:TG_SPLIT: 0
	.section	.text._ZN7rocprim17ROCPRIM_400000_NS6detail17trampoline_kernelINS0_14default_configENS1_35radix_sort_onesweep_config_selectorIhNS0_10empty_typeEEEZZNS1_29radix_sort_onesweep_iterationIS3_Lb0EPhS8_PS5_S9_mNS0_19identity_decomposerENS1_16block_id_wrapperIjLb1EEEEE10hipError_tT1_PNSt15iterator_traitsISE_E10value_typeET2_T3_PNSF_ISK_E10value_typeET4_T5_PSP_SQ_PNS1_23onesweep_lookback_stateEbbT6_jjT7_P12ihipStream_tbENKUlT_T0_SE_SJ_E_clIS8_S8_S9_S9_EEDaSX_SY_SE_SJ_EUlSX_E_NS1_11comp_targetILNS1_3genE6ELNS1_11target_archE950ELNS1_3gpuE13ELNS1_3repE0EEENS1_47radix_sort_onesweep_sort_config_static_selectorELNS0_4arch9wavefront6targetE1EEEvSE_,"axG",@progbits,_ZN7rocprim17ROCPRIM_400000_NS6detail17trampoline_kernelINS0_14default_configENS1_35radix_sort_onesweep_config_selectorIhNS0_10empty_typeEEEZZNS1_29radix_sort_onesweep_iterationIS3_Lb0EPhS8_PS5_S9_mNS0_19identity_decomposerENS1_16block_id_wrapperIjLb1EEEEE10hipError_tT1_PNSt15iterator_traitsISE_E10value_typeET2_T3_PNSF_ISK_E10value_typeET4_T5_PSP_SQ_PNS1_23onesweep_lookback_stateEbbT6_jjT7_P12ihipStream_tbENKUlT_T0_SE_SJ_E_clIS8_S8_S9_S9_EEDaSX_SY_SE_SJ_EUlSX_E_NS1_11comp_targetILNS1_3genE6ELNS1_11target_archE950ELNS1_3gpuE13ELNS1_3repE0EEENS1_47radix_sort_onesweep_sort_config_static_selectorELNS0_4arch9wavefront6targetE1EEEvSE_,comdat
	.protected	_ZN7rocprim17ROCPRIM_400000_NS6detail17trampoline_kernelINS0_14default_configENS1_35radix_sort_onesweep_config_selectorIhNS0_10empty_typeEEEZZNS1_29radix_sort_onesweep_iterationIS3_Lb0EPhS8_PS5_S9_mNS0_19identity_decomposerENS1_16block_id_wrapperIjLb1EEEEE10hipError_tT1_PNSt15iterator_traitsISE_E10value_typeET2_T3_PNSF_ISK_E10value_typeET4_T5_PSP_SQ_PNS1_23onesweep_lookback_stateEbbT6_jjT7_P12ihipStream_tbENKUlT_T0_SE_SJ_E_clIS8_S8_S9_S9_EEDaSX_SY_SE_SJ_EUlSX_E_NS1_11comp_targetILNS1_3genE6ELNS1_11target_archE950ELNS1_3gpuE13ELNS1_3repE0EEENS1_47radix_sort_onesweep_sort_config_static_selectorELNS0_4arch9wavefront6targetE1EEEvSE_ ; -- Begin function _ZN7rocprim17ROCPRIM_400000_NS6detail17trampoline_kernelINS0_14default_configENS1_35radix_sort_onesweep_config_selectorIhNS0_10empty_typeEEEZZNS1_29radix_sort_onesweep_iterationIS3_Lb0EPhS8_PS5_S9_mNS0_19identity_decomposerENS1_16block_id_wrapperIjLb1EEEEE10hipError_tT1_PNSt15iterator_traitsISE_E10value_typeET2_T3_PNSF_ISK_E10value_typeET4_T5_PSP_SQ_PNS1_23onesweep_lookback_stateEbbT6_jjT7_P12ihipStream_tbENKUlT_T0_SE_SJ_E_clIS8_S8_S9_S9_EEDaSX_SY_SE_SJ_EUlSX_E_NS1_11comp_targetILNS1_3genE6ELNS1_11target_archE950ELNS1_3gpuE13ELNS1_3repE0EEENS1_47radix_sort_onesweep_sort_config_static_selectorELNS0_4arch9wavefront6targetE1EEEvSE_
	.globl	_ZN7rocprim17ROCPRIM_400000_NS6detail17trampoline_kernelINS0_14default_configENS1_35radix_sort_onesweep_config_selectorIhNS0_10empty_typeEEEZZNS1_29radix_sort_onesweep_iterationIS3_Lb0EPhS8_PS5_S9_mNS0_19identity_decomposerENS1_16block_id_wrapperIjLb1EEEEE10hipError_tT1_PNSt15iterator_traitsISE_E10value_typeET2_T3_PNSF_ISK_E10value_typeET4_T5_PSP_SQ_PNS1_23onesweep_lookback_stateEbbT6_jjT7_P12ihipStream_tbENKUlT_T0_SE_SJ_E_clIS8_S8_S9_S9_EEDaSX_SY_SE_SJ_EUlSX_E_NS1_11comp_targetILNS1_3genE6ELNS1_11target_archE950ELNS1_3gpuE13ELNS1_3repE0EEENS1_47radix_sort_onesweep_sort_config_static_selectorELNS0_4arch9wavefront6targetE1EEEvSE_
	.p2align	8
	.type	_ZN7rocprim17ROCPRIM_400000_NS6detail17trampoline_kernelINS0_14default_configENS1_35radix_sort_onesweep_config_selectorIhNS0_10empty_typeEEEZZNS1_29radix_sort_onesweep_iterationIS3_Lb0EPhS8_PS5_S9_mNS0_19identity_decomposerENS1_16block_id_wrapperIjLb1EEEEE10hipError_tT1_PNSt15iterator_traitsISE_E10value_typeET2_T3_PNSF_ISK_E10value_typeET4_T5_PSP_SQ_PNS1_23onesweep_lookback_stateEbbT6_jjT7_P12ihipStream_tbENKUlT_T0_SE_SJ_E_clIS8_S8_S9_S9_EEDaSX_SY_SE_SJ_EUlSX_E_NS1_11comp_targetILNS1_3genE6ELNS1_11target_archE950ELNS1_3gpuE13ELNS1_3repE0EEENS1_47radix_sort_onesweep_sort_config_static_selectorELNS0_4arch9wavefront6targetE1EEEvSE_,@function
_ZN7rocprim17ROCPRIM_400000_NS6detail17trampoline_kernelINS0_14default_configENS1_35radix_sort_onesweep_config_selectorIhNS0_10empty_typeEEEZZNS1_29radix_sort_onesweep_iterationIS3_Lb0EPhS8_PS5_S9_mNS0_19identity_decomposerENS1_16block_id_wrapperIjLb1EEEEE10hipError_tT1_PNSt15iterator_traitsISE_E10value_typeET2_T3_PNSF_ISK_E10value_typeET4_T5_PSP_SQ_PNS1_23onesweep_lookback_stateEbbT6_jjT7_P12ihipStream_tbENKUlT_T0_SE_SJ_E_clIS8_S8_S9_S9_EEDaSX_SY_SE_SJ_EUlSX_E_NS1_11comp_targetILNS1_3genE6ELNS1_11target_archE950ELNS1_3gpuE13ELNS1_3repE0EEENS1_47radix_sort_onesweep_sort_config_static_selectorELNS0_4arch9wavefront6targetE1EEEvSE_: ; @_ZN7rocprim17ROCPRIM_400000_NS6detail17trampoline_kernelINS0_14default_configENS1_35radix_sort_onesweep_config_selectorIhNS0_10empty_typeEEEZZNS1_29radix_sort_onesweep_iterationIS3_Lb0EPhS8_PS5_S9_mNS0_19identity_decomposerENS1_16block_id_wrapperIjLb1EEEEE10hipError_tT1_PNSt15iterator_traitsISE_E10value_typeET2_T3_PNSF_ISK_E10value_typeET4_T5_PSP_SQ_PNS1_23onesweep_lookback_stateEbbT6_jjT7_P12ihipStream_tbENKUlT_T0_SE_SJ_E_clIS8_S8_S9_S9_EEDaSX_SY_SE_SJ_EUlSX_E_NS1_11comp_targetILNS1_3genE6ELNS1_11target_archE950ELNS1_3gpuE13ELNS1_3repE0EEENS1_47radix_sort_onesweep_sort_config_static_selectorELNS0_4arch9wavefront6targetE1EEEvSE_
; %bb.0:
	.section	.rodata,"a",@progbits
	.p2align	6, 0x0
	.amdhsa_kernel _ZN7rocprim17ROCPRIM_400000_NS6detail17trampoline_kernelINS0_14default_configENS1_35radix_sort_onesweep_config_selectorIhNS0_10empty_typeEEEZZNS1_29radix_sort_onesweep_iterationIS3_Lb0EPhS8_PS5_S9_mNS0_19identity_decomposerENS1_16block_id_wrapperIjLb1EEEEE10hipError_tT1_PNSt15iterator_traitsISE_E10value_typeET2_T3_PNSF_ISK_E10value_typeET4_T5_PSP_SQ_PNS1_23onesweep_lookback_stateEbbT6_jjT7_P12ihipStream_tbENKUlT_T0_SE_SJ_E_clIS8_S8_S9_S9_EEDaSX_SY_SE_SJ_EUlSX_E_NS1_11comp_targetILNS1_3genE6ELNS1_11target_archE950ELNS1_3gpuE13ELNS1_3repE0EEENS1_47radix_sort_onesweep_sort_config_static_selectorELNS0_4arch9wavefront6targetE1EEEvSE_
		.amdhsa_group_segment_fixed_size 0
		.amdhsa_private_segment_fixed_size 0
		.amdhsa_kernarg_size 88
		.amdhsa_user_sgpr_count 6
		.amdhsa_user_sgpr_private_segment_buffer 1
		.amdhsa_user_sgpr_dispatch_ptr 0
		.amdhsa_user_sgpr_queue_ptr 0
		.amdhsa_user_sgpr_kernarg_segment_ptr 1
		.amdhsa_user_sgpr_dispatch_id 0
		.amdhsa_user_sgpr_flat_scratch_init 0
		.amdhsa_user_sgpr_kernarg_preload_length 0
		.amdhsa_user_sgpr_kernarg_preload_offset 0
		.amdhsa_user_sgpr_private_segment_size 0
		.amdhsa_uses_dynamic_stack 0
		.amdhsa_system_sgpr_private_segment_wavefront_offset 0
		.amdhsa_system_sgpr_workgroup_id_x 1
		.amdhsa_system_sgpr_workgroup_id_y 0
		.amdhsa_system_sgpr_workgroup_id_z 0
		.amdhsa_system_sgpr_workgroup_info 0
		.amdhsa_system_vgpr_workitem_id 0
		.amdhsa_next_free_vgpr 1
		.amdhsa_next_free_sgpr 0
		.amdhsa_accum_offset 4
		.amdhsa_reserve_vcc 0
		.amdhsa_reserve_flat_scratch 0
		.amdhsa_float_round_mode_32 0
		.amdhsa_float_round_mode_16_64 0
		.amdhsa_float_denorm_mode_32 3
		.amdhsa_float_denorm_mode_16_64 3
		.amdhsa_dx10_clamp 1
		.amdhsa_ieee_mode 1
		.amdhsa_fp16_overflow 0
		.amdhsa_tg_split 0
		.amdhsa_exception_fp_ieee_invalid_op 0
		.amdhsa_exception_fp_denorm_src 0
		.amdhsa_exception_fp_ieee_div_zero 0
		.amdhsa_exception_fp_ieee_overflow 0
		.amdhsa_exception_fp_ieee_underflow 0
		.amdhsa_exception_fp_ieee_inexact 0
		.amdhsa_exception_int_div_zero 0
	.end_amdhsa_kernel
	.section	.text._ZN7rocprim17ROCPRIM_400000_NS6detail17trampoline_kernelINS0_14default_configENS1_35radix_sort_onesweep_config_selectorIhNS0_10empty_typeEEEZZNS1_29radix_sort_onesweep_iterationIS3_Lb0EPhS8_PS5_S9_mNS0_19identity_decomposerENS1_16block_id_wrapperIjLb1EEEEE10hipError_tT1_PNSt15iterator_traitsISE_E10value_typeET2_T3_PNSF_ISK_E10value_typeET4_T5_PSP_SQ_PNS1_23onesweep_lookback_stateEbbT6_jjT7_P12ihipStream_tbENKUlT_T0_SE_SJ_E_clIS8_S8_S9_S9_EEDaSX_SY_SE_SJ_EUlSX_E_NS1_11comp_targetILNS1_3genE6ELNS1_11target_archE950ELNS1_3gpuE13ELNS1_3repE0EEENS1_47radix_sort_onesweep_sort_config_static_selectorELNS0_4arch9wavefront6targetE1EEEvSE_,"axG",@progbits,_ZN7rocprim17ROCPRIM_400000_NS6detail17trampoline_kernelINS0_14default_configENS1_35radix_sort_onesweep_config_selectorIhNS0_10empty_typeEEEZZNS1_29radix_sort_onesweep_iterationIS3_Lb0EPhS8_PS5_S9_mNS0_19identity_decomposerENS1_16block_id_wrapperIjLb1EEEEE10hipError_tT1_PNSt15iterator_traitsISE_E10value_typeET2_T3_PNSF_ISK_E10value_typeET4_T5_PSP_SQ_PNS1_23onesweep_lookback_stateEbbT6_jjT7_P12ihipStream_tbENKUlT_T0_SE_SJ_E_clIS8_S8_S9_S9_EEDaSX_SY_SE_SJ_EUlSX_E_NS1_11comp_targetILNS1_3genE6ELNS1_11target_archE950ELNS1_3gpuE13ELNS1_3repE0EEENS1_47radix_sort_onesweep_sort_config_static_selectorELNS0_4arch9wavefront6targetE1EEEvSE_,comdat
.Lfunc_end321:
	.size	_ZN7rocprim17ROCPRIM_400000_NS6detail17trampoline_kernelINS0_14default_configENS1_35radix_sort_onesweep_config_selectorIhNS0_10empty_typeEEEZZNS1_29radix_sort_onesweep_iterationIS3_Lb0EPhS8_PS5_S9_mNS0_19identity_decomposerENS1_16block_id_wrapperIjLb1EEEEE10hipError_tT1_PNSt15iterator_traitsISE_E10value_typeET2_T3_PNSF_ISK_E10value_typeET4_T5_PSP_SQ_PNS1_23onesweep_lookback_stateEbbT6_jjT7_P12ihipStream_tbENKUlT_T0_SE_SJ_E_clIS8_S8_S9_S9_EEDaSX_SY_SE_SJ_EUlSX_E_NS1_11comp_targetILNS1_3genE6ELNS1_11target_archE950ELNS1_3gpuE13ELNS1_3repE0EEENS1_47radix_sort_onesweep_sort_config_static_selectorELNS0_4arch9wavefront6targetE1EEEvSE_, .Lfunc_end321-_ZN7rocprim17ROCPRIM_400000_NS6detail17trampoline_kernelINS0_14default_configENS1_35radix_sort_onesweep_config_selectorIhNS0_10empty_typeEEEZZNS1_29radix_sort_onesweep_iterationIS3_Lb0EPhS8_PS5_S9_mNS0_19identity_decomposerENS1_16block_id_wrapperIjLb1EEEEE10hipError_tT1_PNSt15iterator_traitsISE_E10value_typeET2_T3_PNSF_ISK_E10value_typeET4_T5_PSP_SQ_PNS1_23onesweep_lookback_stateEbbT6_jjT7_P12ihipStream_tbENKUlT_T0_SE_SJ_E_clIS8_S8_S9_S9_EEDaSX_SY_SE_SJ_EUlSX_E_NS1_11comp_targetILNS1_3genE6ELNS1_11target_archE950ELNS1_3gpuE13ELNS1_3repE0EEENS1_47radix_sort_onesweep_sort_config_static_selectorELNS0_4arch9wavefront6targetE1EEEvSE_
                                        ; -- End function
	.section	.AMDGPU.csdata,"",@progbits
; Kernel info:
; codeLenInByte = 0
; NumSgprs: 4
; NumVgprs: 0
; NumAgprs: 0
; TotalNumVgprs: 0
; ScratchSize: 0
; MemoryBound: 0
; FloatMode: 240
; IeeeMode: 1
; LDSByteSize: 0 bytes/workgroup (compile time only)
; SGPRBlocks: 0
; VGPRBlocks: 0
; NumSGPRsForWavesPerEU: 4
; NumVGPRsForWavesPerEU: 1
; AccumOffset: 4
; Occupancy: 8
; WaveLimiterHint : 0
; COMPUTE_PGM_RSRC2:SCRATCH_EN: 0
; COMPUTE_PGM_RSRC2:USER_SGPR: 6
; COMPUTE_PGM_RSRC2:TRAP_HANDLER: 0
; COMPUTE_PGM_RSRC2:TGID_X_EN: 1
; COMPUTE_PGM_RSRC2:TGID_Y_EN: 0
; COMPUTE_PGM_RSRC2:TGID_Z_EN: 0
; COMPUTE_PGM_RSRC2:TIDIG_COMP_CNT: 0
; COMPUTE_PGM_RSRC3_GFX90A:ACCUM_OFFSET: 0
; COMPUTE_PGM_RSRC3_GFX90A:TG_SPLIT: 0
	.section	.text._ZN7rocprim17ROCPRIM_400000_NS6detail17trampoline_kernelINS0_14default_configENS1_35radix_sort_onesweep_config_selectorIhNS0_10empty_typeEEEZZNS1_29radix_sort_onesweep_iterationIS3_Lb0EPhS8_PS5_S9_mNS0_19identity_decomposerENS1_16block_id_wrapperIjLb1EEEEE10hipError_tT1_PNSt15iterator_traitsISE_E10value_typeET2_T3_PNSF_ISK_E10value_typeET4_T5_PSP_SQ_PNS1_23onesweep_lookback_stateEbbT6_jjT7_P12ihipStream_tbENKUlT_T0_SE_SJ_E_clIS8_S8_S9_S9_EEDaSX_SY_SE_SJ_EUlSX_E_NS1_11comp_targetILNS1_3genE5ELNS1_11target_archE942ELNS1_3gpuE9ELNS1_3repE0EEENS1_47radix_sort_onesweep_sort_config_static_selectorELNS0_4arch9wavefront6targetE1EEEvSE_,"axG",@progbits,_ZN7rocprim17ROCPRIM_400000_NS6detail17trampoline_kernelINS0_14default_configENS1_35radix_sort_onesweep_config_selectorIhNS0_10empty_typeEEEZZNS1_29radix_sort_onesweep_iterationIS3_Lb0EPhS8_PS5_S9_mNS0_19identity_decomposerENS1_16block_id_wrapperIjLb1EEEEE10hipError_tT1_PNSt15iterator_traitsISE_E10value_typeET2_T3_PNSF_ISK_E10value_typeET4_T5_PSP_SQ_PNS1_23onesweep_lookback_stateEbbT6_jjT7_P12ihipStream_tbENKUlT_T0_SE_SJ_E_clIS8_S8_S9_S9_EEDaSX_SY_SE_SJ_EUlSX_E_NS1_11comp_targetILNS1_3genE5ELNS1_11target_archE942ELNS1_3gpuE9ELNS1_3repE0EEENS1_47radix_sort_onesweep_sort_config_static_selectorELNS0_4arch9wavefront6targetE1EEEvSE_,comdat
	.protected	_ZN7rocprim17ROCPRIM_400000_NS6detail17trampoline_kernelINS0_14default_configENS1_35radix_sort_onesweep_config_selectorIhNS0_10empty_typeEEEZZNS1_29radix_sort_onesweep_iterationIS3_Lb0EPhS8_PS5_S9_mNS0_19identity_decomposerENS1_16block_id_wrapperIjLb1EEEEE10hipError_tT1_PNSt15iterator_traitsISE_E10value_typeET2_T3_PNSF_ISK_E10value_typeET4_T5_PSP_SQ_PNS1_23onesweep_lookback_stateEbbT6_jjT7_P12ihipStream_tbENKUlT_T0_SE_SJ_E_clIS8_S8_S9_S9_EEDaSX_SY_SE_SJ_EUlSX_E_NS1_11comp_targetILNS1_3genE5ELNS1_11target_archE942ELNS1_3gpuE9ELNS1_3repE0EEENS1_47radix_sort_onesweep_sort_config_static_selectorELNS0_4arch9wavefront6targetE1EEEvSE_ ; -- Begin function _ZN7rocprim17ROCPRIM_400000_NS6detail17trampoline_kernelINS0_14default_configENS1_35radix_sort_onesweep_config_selectorIhNS0_10empty_typeEEEZZNS1_29radix_sort_onesweep_iterationIS3_Lb0EPhS8_PS5_S9_mNS0_19identity_decomposerENS1_16block_id_wrapperIjLb1EEEEE10hipError_tT1_PNSt15iterator_traitsISE_E10value_typeET2_T3_PNSF_ISK_E10value_typeET4_T5_PSP_SQ_PNS1_23onesweep_lookback_stateEbbT6_jjT7_P12ihipStream_tbENKUlT_T0_SE_SJ_E_clIS8_S8_S9_S9_EEDaSX_SY_SE_SJ_EUlSX_E_NS1_11comp_targetILNS1_3genE5ELNS1_11target_archE942ELNS1_3gpuE9ELNS1_3repE0EEENS1_47radix_sort_onesweep_sort_config_static_selectorELNS0_4arch9wavefront6targetE1EEEvSE_
	.globl	_ZN7rocprim17ROCPRIM_400000_NS6detail17trampoline_kernelINS0_14default_configENS1_35radix_sort_onesweep_config_selectorIhNS0_10empty_typeEEEZZNS1_29radix_sort_onesweep_iterationIS3_Lb0EPhS8_PS5_S9_mNS0_19identity_decomposerENS1_16block_id_wrapperIjLb1EEEEE10hipError_tT1_PNSt15iterator_traitsISE_E10value_typeET2_T3_PNSF_ISK_E10value_typeET4_T5_PSP_SQ_PNS1_23onesweep_lookback_stateEbbT6_jjT7_P12ihipStream_tbENKUlT_T0_SE_SJ_E_clIS8_S8_S9_S9_EEDaSX_SY_SE_SJ_EUlSX_E_NS1_11comp_targetILNS1_3genE5ELNS1_11target_archE942ELNS1_3gpuE9ELNS1_3repE0EEENS1_47radix_sort_onesweep_sort_config_static_selectorELNS0_4arch9wavefront6targetE1EEEvSE_
	.p2align	8
	.type	_ZN7rocprim17ROCPRIM_400000_NS6detail17trampoline_kernelINS0_14default_configENS1_35radix_sort_onesweep_config_selectorIhNS0_10empty_typeEEEZZNS1_29radix_sort_onesweep_iterationIS3_Lb0EPhS8_PS5_S9_mNS0_19identity_decomposerENS1_16block_id_wrapperIjLb1EEEEE10hipError_tT1_PNSt15iterator_traitsISE_E10value_typeET2_T3_PNSF_ISK_E10value_typeET4_T5_PSP_SQ_PNS1_23onesweep_lookback_stateEbbT6_jjT7_P12ihipStream_tbENKUlT_T0_SE_SJ_E_clIS8_S8_S9_S9_EEDaSX_SY_SE_SJ_EUlSX_E_NS1_11comp_targetILNS1_3genE5ELNS1_11target_archE942ELNS1_3gpuE9ELNS1_3repE0EEENS1_47radix_sort_onesweep_sort_config_static_selectorELNS0_4arch9wavefront6targetE1EEEvSE_,@function
_ZN7rocprim17ROCPRIM_400000_NS6detail17trampoline_kernelINS0_14default_configENS1_35radix_sort_onesweep_config_selectorIhNS0_10empty_typeEEEZZNS1_29radix_sort_onesweep_iterationIS3_Lb0EPhS8_PS5_S9_mNS0_19identity_decomposerENS1_16block_id_wrapperIjLb1EEEEE10hipError_tT1_PNSt15iterator_traitsISE_E10value_typeET2_T3_PNSF_ISK_E10value_typeET4_T5_PSP_SQ_PNS1_23onesweep_lookback_stateEbbT6_jjT7_P12ihipStream_tbENKUlT_T0_SE_SJ_E_clIS8_S8_S9_S9_EEDaSX_SY_SE_SJ_EUlSX_E_NS1_11comp_targetILNS1_3genE5ELNS1_11target_archE942ELNS1_3gpuE9ELNS1_3repE0EEENS1_47radix_sort_onesweep_sort_config_static_selectorELNS0_4arch9wavefront6targetE1EEEvSE_: ; @_ZN7rocprim17ROCPRIM_400000_NS6detail17trampoline_kernelINS0_14default_configENS1_35radix_sort_onesweep_config_selectorIhNS0_10empty_typeEEEZZNS1_29radix_sort_onesweep_iterationIS3_Lb0EPhS8_PS5_S9_mNS0_19identity_decomposerENS1_16block_id_wrapperIjLb1EEEEE10hipError_tT1_PNSt15iterator_traitsISE_E10value_typeET2_T3_PNSF_ISK_E10value_typeET4_T5_PSP_SQ_PNS1_23onesweep_lookback_stateEbbT6_jjT7_P12ihipStream_tbENKUlT_T0_SE_SJ_E_clIS8_S8_S9_S9_EEDaSX_SY_SE_SJ_EUlSX_E_NS1_11comp_targetILNS1_3genE5ELNS1_11target_archE942ELNS1_3gpuE9ELNS1_3repE0EEENS1_47radix_sort_onesweep_sort_config_static_selectorELNS0_4arch9wavefront6targetE1EEEvSE_
; %bb.0:
	.section	.rodata,"a",@progbits
	.p2align	6, 0x0
	.amdhsa_kernel _ZN7rocprim17ROCPRIM_400000_NS6detail17trampoline_kernelINS0_14default_configENS1_35radix_sort_onesweep_config_selectorIhNS0_10empty_typeEEEZZNS1_29radix_sort_onesweep_iterationIS3_Lb0EPhS8_PS5_S9_mNS0_19identity_decomposerENS1_16block_id_wrapperIjLb1EEEEE10hipError_tT1_PNSt15iterator_traitsISE_E10value_typeET2_T3_PNSF_ISK_E10value_typeET4_T5_PSP_SQ_PNS1_23onesweep_lookback_stateEbbT6_jjT7_P12ihipStream_tbENKUlT_T0_SE_SJ_E_clIS8_S8_S9_S9_EEDaSX_SY_SE_SJ_EUlSX_E_NS1_11comp_targetILNS1_3genE5ELNS1_11target_archE942ELNS1_3gpuE9ELNS1_3repE0EEENS1_47radix_sort_onesweep_sort_config_static_selectorELNS0_4arch9wavefront6targetE1EEEvSE_
		.amdhsa_group_segment_fixed_size 0
		.amdhsa_private_segment_fixed_size 0
		.amdhsa_kernarg_size 88
		.amdhsa_user_sgpr_count 6
		.amdhsa_user_sgpr_private_segment_buffer 1
		.amdhsa_user_sgpr_dispatch_ptr 0
		.amdhsa_user_sgpr_queue_ptr 0
		.amdhsa_user_sgpr_kernarg_segment_ptr 1
		.amdhsa_user_sgpr_dispatch_id 0
		.amdhsa_user_sgpr_flat_scratch_init 0
		.amdhsa_user_sgpr_kernarg_preload_length 0
		.amdhsa_user_sgpr_kernarg_preload_offset 0
		.amdhsa_user_sgpr_private_segment_size 0
		.amdhsa_uses_dynamic_stack 0
		.amdhsa_system_sgpr_private_segment_wavefront_offset 0
		.amdhsa_system_sgpr_workgroup_id_x 1
		.amdhsa_system_sgpr_workgroup_id_y 0
		.amdhsa_system_sgpr_workgroup_id_z 0
		.amdhsa_system_sgpr_workgroup_info 0
		.amdhsa_system_vgpr_workitem_id 0
		.amdhsa_next_free_vgpr 1
		.amdhsa_next_free_sgpr 0
		.amdhsa_accum_offset 4
		.amdhsa_reserve_vcc 0
		.amdhsa_reserve_flat_scratch 0
		.amdhsa_float_round_mode_32 0
		.amdhsa_float_round_mode_16_64 0
		.amdhsa_float_denorm_mode_32 3
		.amdhsa_float_denorm_mode_16_64 3
		.amdhsa_dx10_clamp 1
		.amdhsa_ieee_mode 1
		.amdhsa_fp16_overflow 0
		.amdhsa_tg_split 0
		.amdhsa_exception_fp_ieee_invalid_op 0
		.amdhsa_exception_fp_denorm_src 0
		.amdhsa_exception_fp_ieee_div_zero 0
		.amdhsa_exception_fp_ieee_overflow 0
		.amdhsa_exception_fp_ieee_underflow 0
		.amdhsa_exception_fp_ieee_inexact 0
		.amdhsa_exception_int_div_zero 0
	.end_amdhsa_kernel
	.section	.text._ZN7rocprim17ROCPRIM_400000_NS6detail17trampoline_kernelINS0_14default_configENS1_35radix_sort_onesweep_config_selectorIhNS0_10empty_typeEEEZZNS1_29radix_sort_onesweep_iterationIS3_Lb0EPhS8_PS5_S9_mNS0_19identity_decomposerENS1_16block_id_wrapperIjLb1EEEEE10hipError_tT1_PNSt15iterator_traitsISE_E10value_typeET2_T3_PNSF_ISK_E10value_typeET4_T5_PSP_SQ_PNS1_23onesweep_lookback_stateEbbT6_jjT7_P12ihipStream_tbENKUlT_T0_SE_SJ_E_clIS8_S8_S9_S9_EEDaSX_SY_SE_SJ_EUlSX_E_NS1_11comp_targetILNS1_3genE5ELNS1_11target_archE942ELNS1_3gpuE9ELNS1_3repE0EEENS1_47radix_sort_onesweep_sort_config_static_selectorELNS0_4arch9wavefront6targetE1EEEvSE_,"axG",@progbits,_ZN7rocprim17ROCPRIM_400000_NS6detail17trampoline_kernelINS0_14default_configENS1_35radix_sort_onesweep_config_selectorIhNS0_10empty_typeEEEZZNS1_29radix_sort_onesweep_iterationIS3_Lb0EPhS8_PS5_S9_mNS0_19identity_decomposerENS1_16block_id_wrapperIjLb1EEEEE10hipError_tT1_PNSt15iterator_traitsISE_E10value_typeET2_T3_PNSF_ISK_E10value_typeET4_T5_PSP_SQ_PNS1_23onesweep_lookback_stateEbbT6_jjT7_P12ihipStream_tbENKUlT_T0_SE_SJ_E_clIS8_S8_S9_S9_EEDaSX_SY_SE_SJ_EUlSX_E_NS1_11comp_targetILNS1_3genE5ELNS1_11target_archE942ELNS1_3gpuE9ELNS1_3repE0EEENS1_47radix_sort_onesweep_sort_config_static_selectorELNS0_4arch9wavefront6targetE1EEEvSE_,comdat
.Lfunc_end322:
	.size	_ZN7rocprim17ROCPRIM_400000_NS6detail17trampoline_kernelINS0_14default_configENS1_35radix_sort_onesweep_config_selectorIhNS0_10empty_typeEEEZZNS1_29radix_sort_onesweep_iterationIS3_Lb0EPhS8_PS5_S9_mNS0_19identity_decomposerENS1_16block_id_wrapperIjLb1EEEEE10hipError_tT1_PNSt15iterator_traitsISE_E10value_typeET2_T3_PNSF_ISK_E10value_typeET4_T5_PSP_SQ_PNS1_23onesweep_lookback_stateEbbT6_jjT7_P12ihipStream_tbENKUlT_T0_SE_SJ_E_clIS8_S8_S9_S9_EEDaSX_SY_SE_SJ_EUlSX_E_NS1_11comp_targetILNS1_3genE5ELNS1_11target_archE942ELNS1_3gpuE9ELNS1_3repE0EEENS1_47radix_sort_onesweep_sort_config_static_selectorELNS0_4arch9wavefront6targetE1EEEvSE_, .Lfunc_end322-_ZN7rocprim17ROCPRIM_400000_NS6detail17trampoline_kernelINS0_14default_configENS1_35radix_sort_onesweep_config_selectorIhNS0_10empty_typeEEEZZNS1_29radix_sort_onesweep_iterationIS3_Lb0EPhS8_PS5_S9_mNS0_19identity_decomposerENS1_16block_id_wrapperIjLb1EEEEE10hipError_tT1_PNSt15iterator_traitsISE_E10value_typeET2_T3_PNSF_ISK_E10value_typeET4_T5_PSP_SQ_PNS1_23onesweep_lookback_stateEbbT6_jjT7_P12ihipStream_tbENKUlT_T0_SE_SJ_E_clIS8_S8_S9_S9_EEDaSX_SY_SE_SJ_EUlSX_E_NS1_11comp_targetILNS1_3genE5ELNS1_11target_archE942ELNS1_3gpuE9ELNS1_3repE0EEENS1_47radix_sort_onesweep_sort_config_static_selectorELNS0_4arch9wavefront6targetE1EEEvSE_
                                        ; -- End function
	.section	.AMDGPU.csdata,"",@progbits
; Kernel info:
; codeLenInByte = 0
; NumSgprs: 4
; NumVgprs: 0
; NumAgprs: 0
; TotalNumVgprs: 0
; ScratchSize: 0
; MemoryBound: 0
; FloatMode: 240
; IeeeMode: 1
; LDSByteSize: 0 bytes/workgroup (compile time only)
; SGPRBlocks: 0
; VGPRBlocks: 0
; NumSGPRsForWavesPerEU: 4
; NumVGPRsForWavesPerEU: 1
; AccumOffset: 4
; Occupancy: 8
; WaveLimiterHint : 0
; COMPUTE_PGM_RSRC2:SCRATCH_EN: 0
; COMPUTE_PGM_RSRC2:USER_SGPR: 6
; COMPUTE_PGM_RSRC2:TRAP_HANDLER: 0
; COMPUTE_PGM_RSRC2:TGID_X_EN: 1
; COMPUTE_PGM_RSRC2:TGID_Y_EN: 0
; COMPUTE_PGM_RSRC2:TGID_Z_EN: 0
; COMPUTE_PGM_RSRC2:TIDIG_COMP_CNT: 0
; COMPUTE_PGM_RSRC3_GFX90A:ACCUM_OFFSET: 0
; COMPUTE_PGM_RSRC3_GFX90A:TG_SPLIT: 0
	.section	.text._ZN7rocprim17ROCPRIM_400000_NS6detail17trampoline_kernelINS0_14default_configENS1_35radix_sort_onesweep_config_selectorIhNS0_10empty_typeEEEZZNS1_29radix_sort_onesweep_iterationIS3_Lb0EPhS8_PS5_S9_mNS0_19identity_decomposerENS1_16block_id_wrapperIjLb1EEEEE10hipError_tT1_PNSt15iterator_traitsISE_E10value_typeET2_T3_PNSF_ISK_E10value_typeET4_T5_PSP_SQ_PNS1_23onesweep_lookback_stateEbbT6_jjT7_P12ihipStream_tbENKUlT_T0_SE_SJ_E_clIS8_S8_S9_S9_EEDaSX_SY_SE_SJ_EUlSX_E_NS1_11comp_targetILNS1_3genE2ELNS1_11target_archE906ELNS1_3gpuE6ELNS1_3repE0EEENS1_47radix_sort_onesweep_sort_config_static_selectorELNS0_4arch9wavefront6targetE1EEEvSE_,"axG",@progbits,_ZN7rocprim17ROCPRIM_400000_NS6detail17trampoline_kernelINS0_14default_configENS1_35radix_sort_onesweep_config_selectorIhNS0_10empty_typeEEEZZNS1_29radix_sort_onesweep_iterationIS3_Lb0EPhS8_PS5_S9_mNS0_19identity_decomposerENS1_16block_id_wrapperIjLb1EEEEE10hipError_tT1_PNSt15iterator_traitsISE_E10value_typeET2_T3_PNSF_ISK_E10value_typeET4_T5_PSP_SQ_PNS1_23onesweep_lookback_stateEbbT6_jjT7_P12ihipStream_tbENKUlT_T0_SE_SJ_E_clIS8_S8_S9_S9_EEDaSX_SY_SE_SJ_EUlSX_E_NS1_11comp_targetILNS1_3genE2ELNS1_11target_archE906ELNS1_3gpuE6ELNS1_3repE0EEENS1_47radix_sort_onesweep_sort_config_static_selectorELNS0_4arch9wavefront6targetE1EEEvSE_,comdat
	.protected	_ZN7rocprim17ROCPRIM_400000_NS6detail17trampoline_kernelINS0_14default_configENS1_35radix_sort_onesweep_config_selectorIhNS0_10empty_typeEEEZZNS1_29radix_sort_onesweep_iterationIS3_Lb0EPhS8_PS5_S9_mNS0_19identity_decomposerENS1_16block_id_wrapperIjLb1EEEEE10hipError_tT1_PNSt15iterator_traitsISE_E10value_typeET2_T3_PNSF_ISK_E10value_typeET4_T5_PSP_SQ_PNS1_23onesweep_lookback_stateEbbT6_jjT7_P12ihipStream_tbENKUlT_T0_SE_SJ_E_clIS8_S8_S9_S9_EEDaSX_SY_SE_SJ_EUlSX_E_NS1_11comp_targetILNS1_3genE2ELNS1_11target_archE906ELNS1_3gpuE6ELNS1_3repE0EEENS1_47radix_sort_onesweep_sort_config_static_selectorELNS0_4arch9wavefront6targetE1EEEvSE_ ; -- Begin function _ZN7rocprim17ROCPRIM_400000_NS6detail17trampoline_kernelINS0_14default_configENS1_35radix_sort_onesweep_config_selectorIhNS0_10empty_typeEEEZZNS1_29radix_sort_onesweep_iterationIS3_Lb0EPhS8_PS5_S9_mNS0_19identity_decomposerENS1_16block_id_wrapperIjLb1EEEEE10hipError_tT1_PNSt15iterator_traitsISE_E10value_typeET2_T3_PNSF_ISK_E10value_typeET4_T5_PSP_SQ_PNS1_23onesweep_lookback_stateEbbT6_jjT7_P12ihipStream_tbENKUlT_T0_SE_SJ_E_clIS8_S8_S9_S9_EEDaSX_SY_SE_SJ_EUlSX_E_NS1_11comp_targetILNS1_3genE2ELNS1_11target_archE906ELNS1_3gpuE6ELNS1_3repE0EEENS1_47radix_sort_onesweep_sort_config_static_selectorELNS0_4arch9wavefront6targetE1EEEvSE_
	.globl	_ZN7rocprim17ROCPRIM_400000_NS6detail17trampoline_kernelINS0_14default_configENS1_35radix_sort_onesweep_config_selectorIhNS0_10empty_typeEEEZZNS1_29radix_sort_onesweep_iterationIS3_Lb0EPhS8_PS5_S9_mNS0_19identity_decomposerENS1_16block_id_wrapperIjLb1EEEEE10hipError_tT1_PNSt15iterator_traitsISE_E10value_typeET2_T3_PNSF_ISK_E10value_typeET4_T5_PSP_SQ_PNS1_23onesweep_lookback_stateEbbT6_jjT7_P12ihipStream_tbENKUlT_T0_SE_SJ_E_clIS8_S8_S9_S9_EEDaSX_SY_SE_SJ_EUlSX_E_NS1_11comp_targetILNS1_3genE2ELNS1_11target_archE906ELNS1_3gpuE6ELNS1_3repE0EEENS1_47radix_sort_onesweep_sort_config_static_selectorELNS0_4arch9wavefront6targetE1EEEvSE_
	.p2align	8
	.type	_ZN7rocprim17ROCPRIM_400000_NS6detail17trampoline_kernelINS0_14default_configENS1_35radix_sort_onesweep_config_selectorIhNS0_10empty_typeEEEZZNS1_29radix_sort_onesweep_iterationIS3_Lb0EPhS8_PS5_S9_mNS0_19identity_decomposerENS1_16block_id_wrapperIjLb1EEEEE10hipError_tT1_PNSt15iterator_traitsISE_E10value_typeET2_T3_PNSF_ISK_E10value_typeET4_T5_PSP_SQ_PNS1_23onesweep_lookback_stateEbbT6_jjT7_P12ihipStream_tbENKUlT_T0_SE_SJ_E_clIS8_S8_S9_S9_EEDaSX_SY_SE_SJ_EUlSX_E_NS1_11comp_targetILNS1_3genE2ELNS1_11target_archE906ELNS1_3gpuE6ELNS1_3repE0EEENS1_47radix_sort_onesweep_sort_config_static_selectorELNS0_4arch9wavefront6targetE1EEEvSE_,@function
_ZN7rocprim17ROCPRIM_400000_NS6detail17trampoline_kernelINS0_14default_configENS1_35radix_sort_onesweep_config_selectorIhNS0_10empty_typeEEEZZNS1_29radix_sort_onesweep_iterationIS3_Lb0EPhS8_PS5_S9_mNS0_19identity_decomposerENS1_16block_id_wrapperIjLb1EEEEE10hipError_tT1_PNSt15iterator_traitsISE_E10value_typeET2_T3_PNSF_ISK_E10value_typeET4_T5_PSP_SQ_PNS1_23onesweep_lookback_stateEbbT6_jjT7_P12ihipStream_tbENKUlT_T0_SE_SJ_E_clIS8_S8_S9_S9_EEDaSX_SY_SE_SJ_EUlSX_E_NS1_11comp_targetILNS1_3genE2ELNS1_11target_archE906ELNS1_3gpuE6ELNS1_3repE0EEENS1_47radix_sort_onesweep_sort_config_static_selectorELNS0_4arch9wavefront6targetE1EEEvSE_: ; @_ZN7rocprim17ROCPRIM_400000_NS6detail17trampoline_kernelINS0_14default_configENS1_35radix_sort_onesweep_config_selectorIhNS0_10empty_typeEEEZZNS1_29radix_sort_onesweep_iterationIS3_Lb0EPhS8_PS5_S9_mNS0_19identity_decomposerENS1_16block_id_wrapperIjLb1EEEEE10hipError_tT1_PNSt15iterator_traitsISE_E10value_typeET2_T3_PNSF_ISK_E10value_typeET4_T5_PSP_SQ_PNS1_23onesweep_lookback_stateEbbT6_jjT7_P12ihipStream_tbENKUlT_T0_SE_SJ_E_clIS8_S8_S9_S9_EEDaSX_SY_SE_SJ_EUlSX_E_NS1_11comp_targetILNS1_3genE2ELNS1_11target_archE906ELNS1_3gpuE6ELNS1_3repE0EEENS1_47radix_sort_onesweep_sort_config_static_selectorELNS0_4arch9wavefront6targetE1EEEvSE_
; %bb.0:
	.section	.rodata,"a",@progbits
	.p2align	6, 0x0
	.amdhsa_kernel _ZN7rocprim17ROCPRIM_400000_NS6detail17trampoline_kernelINS0_14default_configENS1_35radix_sort_onesweep_config_selectorIhNS0_10empty_typeEEEZZNS1_29radix_sort_onesweep_iterationIS3_Lb0EPhS8_PS5_S9_mNS0_19identity_decomposerENS1_16block_id_wrapperIjLb1EEEEE10hipError_tT1_PNSt15iterator_traitsISE_E10value_typeET2_T3_PNSF_ISK_E10value_typeET4_T5_PSP_SQ_PNS1_23onesweep_lookback_stateEbbT6_jjT7_P12ihipStream_tbENKUlT_T0_SE_SJ_E_clIS8_S8_S9_S9_EEDaSX_SY_SE_SJ_EUlSX_E_NS1_11comp_targetILNS1_3genE2ELNS1_11target_archE906ELNS1_3gpuE6ELNS1_3repE0EEENS1_47radix_sort_onesweep_sort_config_static_selectorELNS0_4arch9wavefront6targetE1EEEvSE_
		.amdhsa_group_segment_fixed_size 0
		.amdhsa_private_segment_fixed_size 0
		.amdhsa_kernarg_size 88
		.amdhsa_user_sgpr_count 6
		.amdhsa_user_sgpr_private_segment_buffer 1
		.amdhsa_user_sgpr_dispatch_ptr 0
		.amdhsa_user_sgpr_queue_ptr 0
		.amdhsa_user_sgpr_kernarg_segment_ptr 1
		.amdhsa_user_sgpr_dispatch_id 0
		.amdhsa_user_sgpr_flat_scratch_init 0
		.amdhsa_user_sgpr_kernarg_preload_length 0
		.amdhsa_user_sgpr_kernarg_preload_offset 0
		.amdhsa_user_sgpr_private_segment_size 0
		.amdhsa_uses_dynamic_stack 0
		.amdhsa_system_sgpr_private_segment_wavefront_offset 0
		.amdhsa_system_sgpr_workgroup_id_x 1
		.amdhsa_system_sgpr_workgroup_id_y 0
		.amdhsa_system_sgpr_workgroup_id_z 0
		.amdhsa_system_sgpr_workgroup_info 0
		.amdhsa_system_vgpr_workitem_id 0
		.amdhsa_next_free_vgpr 1
		.amdhsa_next_free_sgpr 0
		.amdhsa_accum_offset 4
		.amdhsa_reserve_vcc 0
		.amdhsa_reserve_flat_scratch 0
		.amdhsa_float_round_mode_32 0
		.amdhsa_float_round_mode_16_64 0
		.amdhsa_float_denorm_mode_32 3
		.amdhsa_float_denorm_mode_16_64 3
		.amdhsa_dx10_clamp 1
		.amdhsa_ieee_mode 1
		.amdhsa_fp16_overflow 0
		.amdhsa_tg_split 0
		.amdhsa_exception_fp_ieee_invalid_op 0
		.amdhsa_exception_fp_denorm_src 0
		.amdhsa_exception_fp_ieee_div_zero 0
		.amdhsa_exception_fp_ieee_overflow 0
		.amdhsa_exception_fp_ieee_underflow 0
		.amdhsa_exception_fp_ieee_inexact 0
		.amdhsa_exception_int_div_zero 0
	.end_amdhsa_kernel
	.section	.text._ZN7rocprim17ROCPRIM_400000_NS6detail17trampoline_kernelINS0_14default_configENS1_35radix_sort_onesweep_config_selectorIhNS0_10empty_typeEEEZZNS1_29radix_sort_onesweep_iterationIS3_Lb0EPhS8_PS5_S9_mNS0_19identity_decomposerENS1_16block_id_wrapperIjLb1EEEEE10hipError_tT1_PNSt15iterator_traitsISE_E10value_typeET2_T3_PNSF_ISK_E10value_typeET4_T5_PSP_SQ_PNS1_23onesweep_lookback_stateEbbT6_jjT7_P12ihipStream_tbENKUlT_T0_SE_SJ_E_clIS8_S8_S9_S9_EEDaSX_SY_SE_SJ_EUlSX_E_NS1_11comp_targetILNS1_3genE2ELNS1_11target_archE906ELNS1_3gpuE6ELNS1_3repE0EEENS1_47radix_sort_onesweep_sort_config_static_selectorELNS0_4arch9wavefront6targetE1EEEvSE_,"axG",@progbits,_ZN7rocprim17ROCPRIM_400000_NS6detail17trampoline_kernelINS0_14default_configENS1_35radix_sort_onesweep_config_selectorIhNS0_10empty_typeEEEZZNS1_29radix_sort_onesweep_iterationIS3_Lb0EPhS8_PS5_S9_mNS0_19identity_decomposerENS1_16block_id_wrapperIjLb1EEEEE10hipError_tT1_PNSt15iterator_traitsISE_E10value_typeET2_T3_PNSF_ISK_E10value_typeET4_T5_PSP_SQ_PNS1_23onesweep_lookback_stateEbbT6_jjT7_P12ihipStream_tbENKUlT_T0_SE_SJ_E_clIS8_S8_S9_S9_EEDaSX_SY_SE_SJ_EUlSX_E_NS1_11comp_targetILNS1_3genE2ELNS1_11target_archE906ELNS1_3gpuE6ELNS1_3repE0EEENS1_47radix_sort_onesweep_sort_config_static_selectorELNS0_4arch9wavefront6targetE1EEEvSE_,comdat
.Lfunc_end323:
	.size	_ZN7rocprim17ROCPRIM_400000_NS6detail17trampoline_kernelINS0_14default_configENS1_35radix_sort_onesweep_config_selectorIhNS0_10empty_typeEEEZZNS1_29radix_sort_onesweep_iterationIS3_Lb0EPhS8_PS5_S9_mNS0_19identity_decomposerENS1_16block_id_wrapperIjLb1EEEEE10hipError_tT1_PNSt15iterator_traitsISE_E10value_typeET2_T3_PNSF_ISK_E10value_typeET4_T5_PSP_SQ_PNS1_23onesweep_lookback_stateEbbT6_jjT7_P12ihipStream_tbENKUlT_T0_SE_SJ_E_clIS8_S8_S9_S9_EEDaSX_SY_SE_SJ_EUlSX_E_NS1_11comp_targetILNS1_3genE2ELNS1_11target_archE906ELNS1_3gpuE6ELNS1_3repE0EEENS1_47radix_sort_onesweep_sort_config_static_selectorELNS0_4arch9wavefront6targetE1EEEvSE_, .Lfunc_end323-_ZN7rocprim17ROCPRIM_400000_NS6detail17trampoline_kernelINS0_14default_configENS1_35radix_sort_onesweep_config_selectorIhNS0_10empty_typeEEEZZNS1_29radix_sort_onesweep_iterationIS3_Lb0EPhS8_PS5_S9_mNS0_19identity_decomposerENS1_16block_id_wrapperIjLb1EEEEE10hipError_tT1_PNSt15iterator_traitsISE_E10value_typeET2_T3_PNSF_ISK_E10value_typeET4_T5_PSP_SQ_PNS1_23onesweep_lookback_stateEbbT6_jjT7_P12ihipStream_tbENKUlT_T0_SE_SJ_E_clIS8_S8_S9_S9_EEDaSX_SY_SE_SJ_EUlSX_E_NS1_11comp_targetILNS1_3genE2ELNS1_11target_archE906ELNS1_3gpuE6ELNS1_3repE0EEENS1_47radix_sort_onesweep_sort_config_static_selectorELNS0_4arch9wavefront6targetE1EEEvSE_
                                        ; -- End function
	.section	.AMDGPU.csdata,"",@progbits
; Kernel info:
; codeLenInByte = 0
; NumSgprs: 4
; NumVgprs: 0
; NumAgprs: 0
; TotalNumVgprs: 0
; ScratchSize: 0
; MemoryBound: 0
; FloatMode: 240
; IeeeMode: 1
; LDSByteSize: 0 bytes/workgroup (compile time only)
; SGPRBlocks: 0
; VGPRBlocks: 0
; NumSGPRsForWavesPerEU: 4
; NumVGPRsForWavesPerEU: 1
; AccumOffset: 4
; Occupancy: 8
; WaveLimiterHint : 0
; COMPUTE_PGM_RSRC2:SCRATCH_EN: 0
; COMPUTE_PGM_RSRC2:USER_SGPR: 6
; COMPUTE_PGM_RSRC2:TRAP_HANDLER: 0
; COMPUTE_PGM_RSRC2:TGID_X_EN: 1
; COMPUTE_PGM_RSRC2:TGID_Y_EN: 0
; COMPUTE_PGM_RSRC2:TGID_Z_EN: 0
; COMPUTE_PGM_RSRC2:TIDIG_COMP_CNT: 0
; COMPUTE_PGM_RSRC3_GFX90A:ACCUM_OFFSET: 0
; COMPUTE_PGM_RSRC3_GFX90A:TG_SPLIT: 0
	.section	.text._ZN7rocprim17ROCPRIM_400000_NS6detail17trampoline_kernelINS0_14default_configENS1_35radix_sort_onesweep_config_selectorIhNS0_10empty_typeEEEZZNS1_29radix_sort_onesweep_iterationIS3_Lb0EPhS8_PS5_S9_mNS0_19identity_decomposerENS1_16block_id_wrapperIjLb1EEEEE10hipError_tT1_PNSt15iterator_traitsISE_E10value_typeET2_T3_PNSF_ISK_E10value_typeET4_T5_PSP_SQ_PNS1_23onesweep_lookback_stateEbbT6_jjT7_P12ihipStream_tbENKUlT_T0_SE_SJ_E_clIS8_S8_S9_S9_EEDaSX_SY_SE_SJ_EUlSX_E_NS1_11comp_targetILNS1_3genE4ELNS1_11target_archE910ELNS1_3gpuE8ELNS1_3repE0EEENS1_47radix_sort_onesweep_sort_config_static_selectorELNS0_4arch9wavefront6targetE1EEEvSE_,"axG",@progbits,_ZN7rocprim17ROCPRIM_400000_NS6detail17trampoline_kernelINS0_14default_configENS1_35radix_sort_onesweep_config_selectorIhNS0_10empty_typeEEEZZNS1_29radix_sort_onesweep_iterationIS3_Lb0EPhS8_PS5_S9_mNS0_19identity_decomposerENS1_16block_id_wrapperIjLb1EEEEE10hipError_tT1_PNSt15iterator_traitsISE_E10value_typeET2_T3_PNSF_ISK_E10value_typeET4_T5_PSP_SQ_PNS1_23onesweep_lookback_stateEbbT6_jjT7_P12ihipStream_tbENKUlT_T0_SE_SJ_E_clIS8_S8_S9_S9_EEDaSX_SY_SE_SJ_EUlSX_E_NS1_11comp_targetILNS1_3genE4ELNS1_11target_archE910ELNS1_3gpuE8ELNS1_3repE0EEENS1_47radix_sort_onesweep_sort_config_static_selectorELNS0_4arch9wavefront6targetE1EEEvSE_,comdat
	.protected	_ZN7rocprim17ROCPRIM_400000_NS6detail17trampoline_kernelINS0_14default_configENS1_35radix_sort_onesweep_config_selectorIhNS0_10empty_typeEEEZZNS1_29radix_sort_onesweep_iterationIS3_Lb0EPhS8_PS5_S9_mNS0_19identity_decomposerENS1_16block_id_wrapperIjLb1EEEEE10hipError_tT1_PNSt15iterator_traitsISE_E10value_typeET2_T3_PNSF_ISK_E10value_typeET4_T5_PSP_SQ_PNS1_23onesweep_lookback_stateEbbT6_jjT7_P12ihipStream_tbENKUlT_T0_SE_SJ_E_clIS8_S8_S9_S9_EEDaSX_SY_SE_SJ_EUlSX_E_NS1_11comp_targetILNS1_3genE4ELNS1_11target_archE910ELNS1_3gpuE8ELNS1_3repE0EEENS1_47radix_sort_onesweep_sort_config_static_selectorELNS0_4arch9wavefront6targetE1EEEvSE_ ; -- Begin function _ZN7rocprim17ROCPRIM_400000_NS6detail17trampoline_kernelINS0_14default_configENS1_35radix_sort_onesweep_config_selectorIhNS0_10empty_typeEEEZZNS1_29radix_sort_onesweep_iterationIS3_Lb0EPhS8_PS5_S9_mNS0_19identity_decomposerENS1_16block_id_wrapperIjLb1EEEEE10hipError_tT1_PNSt15iterator_traitsISE_E10value_typeET2_T3_PNSF_ISK_E10value_typeET4_T5_PSP_SQ_PNS1_23onesweep_lookback_stateEbbT6_jjT7_P12ihipStream_tbENKUlT_T0_SE_SJ_E_clIS8_S8_S9_S9_EEDaSX_SY_SE_SJ_EUlSX_E_NS1_11comp_targetILNS1_3genE4ELNS1_11target_archE910ELNS1_3gpuE8ELNS1_3repE0EEENS1_47radix_sort_onesweep_sort_config_static_selectorELNS0_4arch9wavefront6targetE1EEEvSE_
	.globl	_ZN7rocprim17ROCPRIM_400000_NS6detail17trampoline_kernelINS0_14default_configENS1_35radix_sort_onesweep_config_selectorIhNS0_10empty_typeEEEZZNS1_29radix_sort_onesweep_iterationIS3_Lb0EPhS8_PS5_S9_mNS0_19identity_decomposerENS1_16block_id_wrapperIjLb1EEEEE10hipError_tT1_PNSt15iterator_traitsISE_E10value_typeET2_T3_PNSF_ISK_E10value_typeET4_T5_PSP_SQ_PNS1_23onesweep_lookback_stateEbbT6_jjT7_P12ihipStream_tbENKUlT_T0_SE_SJ_E_clIS8_S8_S9_S9_EEDaSX_SY_SE_SJ_EUlSX_E_NS1_11comp_targetILNS1_3genE4ELNS1_11target_archE910ELNS1_3gpuE8ELNS1_3repE0EEENS1_47radix_sort_onesweep_sort_config_static_selectorELNS0_4arch9wavefront6targetE1EEEvSE_
	.p2align	8
	.type	_ZN7rocprim17ROCPRIM_400000_NS6detail17trampoline_kernelINS0_14default_configENS1_35radix_sort_onesweep_config_selectorIhNS0_10empty_typeEEEZZNS1_29radix_sort_onesweep_iterationIS3_Lb0EPhS8_PS5_S9_mNS0_19identity_decomposerENS1_16block_id_wrapperIjLb1EEEEE10hipError_tT1_PNSt15iterator_traitsISE_E10value_typeET2_T3_PNSF_ISK_E10value_typeET4_T5_PSP_SQ_PNS1_23onesweep_lookback_stateEbbT6_jjT7_P12ihipStream_tbENKUlT_T0_SE_SJ_E_clIS8_S8_S9_S9_EEDaSX_SY_SE_SJ_EUlSX_E_NS1_11comp_targetILNS1_3genE4ELNS1_11target_archE910ELNS1_3gpuE8ELNS1_3repE0EEENS1_47radix_sort_onesweep_sort_config_static_selectorELNS0_4arch9wavefront6targetE1EEEvSE_,@function
_ZN7rocprim17ROCPRIM_400000_NS6detail17trampoline_kernelINS0_14default_configENS1_35radix_sort_onesweep_config_selectorIhNS0_10empty_typeEEEZZNS1_29radix_sort_onesweep_iterationIS3_Lb0EPhS8_PS5_S9_mNS0_19identity_decomposerENS1_16block_id_wrapperIjLb1EEEEE10hipError_tT1_PNSt15iterator_traitsISE_E10value_typeET2_T3_PNSF_ISK_E10value_typeET4_T5_PSP_SQ_PNS1_23onesweep_lookback_stateEbbT6_jjT7_P12ihipStream_tbENKUlT_T0_SE_SJ_E_clIS8_S8_S9_S9_EEDaSX_SY_SE_SJ_EUlSX_E_NS1_11comp_targetILNS1_3genE4ELNS1_11target_archE910ELNS1_3gpuE8ELNS1_3repE0EEENS1_47radix_sort_onesweep_sort_config_static_selectorELNS0_4arch9wavefront6targetE1EEEvSE_: ; @_ZN7rocprim17ROCPRIM_400000_NS6detail17trampoline_kernelINS0_14default_configENS1_35radix_sort_onesweep_config_selectorIhNS0_10empty_typeEEEZZNS1_29radix_sort_onesweep_iterationIS3_Lb0EPhS8_PS5_S9_mNS0_19identity_decomposerENS1_16block_id_wrapperIjLb1EEEEE10hipError_tT1_PNSt15iterator_traitsISE_E10value_typeET2_T3_PNSF_ISK_E10value_typeET4_T5_PSP_SQ_PNS1_23onesweep_lookback_stateEbbT6_jjT7_P12ihipStream_tbENKUlT_T0_SE_SJ_E_clIS8_S8_S9_S9_EEDaSX_SY_SE_SJ_EUlSX_E_NS1_11comp_targetILNS1_3genE4ELNS1_11target_archE910ELNS1_3gpuE8ELNS1_3repE0EEENS1_47radix_sort_onesweep_sort_config_static_selectorELNS0_4arch9wavefront6targetE1EEEvSE_
; %bb.0:
	s_load_dwordx4 s[8:11], s[4:5], 0x28
	s_load_dwordx2 s[6:7], s[4:5], 0x38
	s_load_dwordx4 s[16:19], s[4:5], 0x44
	v_cmp_eq_u32_e32 vcc, 0, v0
	s_and_saveexec_b64 s[0:1], vcc
	s_cbranch_execz .LBB324_4
; %bb.1:
	s_mov_b64 s[12:13], exec
	v_mbcnt_lo_u32_b32 v1, s12, 0
	v_mbcnt_hi_u32_b32 v1, s13, v1
	v_cmp_eq_u32_e32 vcc, 0, v1
                                        ; implicit-def: $vgpr2
	s_and_saveexec_b64 s[2:3], vcc
	s_cbranch_execz .LBB324_3
; %bb.2:
	s_load_dwordx2 s[14:15], s[4:5], 0x50
	s_bcnt1_i32_b64 s12, s[12:13]
	v_mov_b32_e32 v2, 0
	v_mov_b32_e32 v3, s12
	s_waitcnt lgkmcnt(0)
	global_atomic_add v2, v2, v3, s[14:15] glc
.LBB324_3:
	s_or_b64 exec, exec, s[2:3]
	s_waitcnt vmcnt(0)
	v_readfirstlane_b32 s2, v2
	v_add_u32_e32 v1, s2, v1
	v_mov_b32_e32 v2, 0
	ds_write_b32 v2, v1 offset:16416
.LBB324_4:
	s_or_b64 exec, exec, s[0:1]
	v_mov_b32_e32 v1, 0
	s_load_dwordx4 s[12:15], s[4:5], 0x0
	s_load_dword s0, s[4:5], 0x20
	s_waitcnt lgkmcnt(0)
	s_barrier
	ds_read_b32 v1, v1 offset:16416
	v_mul_u32_u24_e32 v10, 22, v0
	s_waitcnt lgkmcnt(0)
	s_barrier
	v_readfirstlane_b32 s24, v1
	v_cmp_le_u32_e32 vcc, s18, v1
	s_mul_i32 s25, s24, 0x2c00
	s_cbranch_vccz .LBB324_124
; %bb.5:
	s_mul_i32 s26, s18, 0xffffd400
	s_add_i32 s26, s26, s0
	s_add_u32 s0, s12, s25
	s_addc_u32 s1, s13, 0
	v_mov_b32_e32 v1, s1
	v_add_co_u32_e32 v2, vcc, s0, v10
	v_addc_co_u32_e32 v3, vcc, 0, v1, vcc
	v_cmp_gt_u32_e32 vcc, s26, v10
	v_mov_b32_e32 v1, 0xff
	v_mov_b32_e32 v4, 0xff
	s_and_saveexec_b64 s[0:1], vcc
	s_cbranch_execz .LBB324_7
; %bb.6:
	global_load_ubyte v4, v[2:3], off
.LBB324_7:
	s_or_b64 exec, exec, s[0:1]
	v_or_b32_e32 v5, 1, v10
	v_cmp_gt_u32_e32 vcc, s26, v5
	s_and_saveexec_b64 s[0:1], vcc
	s_cbranch_execz .LBB324_9
; %bb.8:
	global_load_ubyte v1, v[2:3], off offset:1
.LBB324_9:
	s_or_b64 exec, exec, s[0:1]
	v_add_u32_e32 v5, 2, v10
	v_cmp_gt_u32_e32 vcc, s26, v5
	v_mov_b32_e32 v5, 0xff
	v_mov_b32_e32 v6, 0xff
	s_and_saveexec_b64 s[0:1], vcc
	s_cbranch_execz .LBB324_11
; %bb.10:
	global_load_ubyte v6, v[2:3], off offset:2
.LBB324_11:
	s_or_b64 exec, exec, s[0:1]
	v_add_u32_e32 v7, 3, v10
	v_cmp_gt_u32_e32 vcc, s26, v7
	s_and_saveexec_b64 s[0:1], vcc
	s_cbranch_execz .LBB324_13
; %bb.12:
	global_load_ubyte v5, v[2:3], off offset:3
.LBB324_13:
	s_or_b64 exec, exec, s[0:1]
	v_add_u32_e32 v7, 4, v10
	v_cmp_gt_u32_e32 vcc, s26, v7
	v_mov_b32_e32 v7, 0xff
	v_mov_b32_e32 v8, 0xff
	s_and_saveexec_b64 s[0:1], vcc
	s_cbranch_execz .LBB324_15
; %bb.14:
	global_load_ubyte v8, v[2:3], off offset:4
.LBB324_15:
	s_or_b64 exec, exec, s[0:1]
	v_add_u32_e32 v9, 5, v10
	v_cmp_gt_u32_e32 vcc, s26, v9
	s_and_saveexec_b64 s[0:1], vcc
	s_cbranch_execz .LBB324_17
; %bb.16:
	global_load_ubyte v7, v[2:3], off offset:5
.LBB324_17:
	s_or_b64 exec, exec, s[0:1]
	v_add_u32_e32 v9, 6, v10
	v_cmp_gt_u32_e32 vcc, s26, v9
	v_mov_b32_e32 v9, 0xff
	v_mov_b32_e32 v12, 0xff
	s_and_saveexec_b64 s[0:1], vcc
	s_cbranch_execz .LBB324_19
; %bb.18:
	global_load_ubyte v12, v[2:3], off offset:6
.LBB324_19:
	s_or_b64 exec, exec, s[0:1]
	v_add_u32_e32 v11, 7, v10
	v_cmp_gt_u32_e32 vcc, s26, v11
	s_and_saveexec_b64 s[0:1], vcc
	s_cbranch_execz .LBB324_21
; %bb.20:
	global_load_ubyte v9, v[2:3], off offset:7
.LBB324_21:
	s_or_b64 exec, exec, s[0:1]
	v_add_u32_e32 v11, 8, v10
	v_cmp_gt_u32_e32 vcc, s26, v11
	v_mov_b32_e32 v13, 0xff
	v_mov_b32_e32 v14, 0xff
	s_and_saveexec_b64 s[0:1], vcc
	s_cbranch_execz .LBB324_23
; %bb.22:
	global_load_ubyte v14, v[2:3], off offset:8
.LBB324_23:
	s_or_b64 exec, exec, s[0:1]
	v_add_u32_e32 v11, 9, v10
	v_cmp_gt_u32_e32 vcc, s26, v11
	s_and_saveexec_b64 s[0:1], vcc
	s_cbranch_execz .LBB324_25
; %bb.24:
	global_load_ubyte v13, v[2:3], off offset:9
.LBB324_25:
	s_or_b64 exec, exec, s[0:1]
	v_add_u32_e32 v11, 10, v10
	v_cmp_gt_u32_e32 vcc, s26, v11
	v_mov_b32_e32 v15, 0xff
	v_mov_b32_e32 v16, 0xff
	s_and_saveexec_b64 s[0:1], vcc
	s_cbranch_execz .LBB324_27
; %bb.26:
	global_load_ubyte v16, v[2:3], off offset:10
.LBB324_27:
	s_or_b64 exec, exec, s[0:1]
	v_add_u32_e32 v11, 11, v10
	v_cmp_gt_u32_e32 vcc, s26, v11
	s_and_saveexec_b64 s[0:1], vcc
	s_cbranch_execz .LBB324_29
; %bb.28:
	global_load_ubyte v15, v[2:3], off offset:11
.LBB324_29:
	s_or_b64 exec, exec, s[0:1]
	v_add_u32_e32 v11, 12, v10
	v_cmp_gt_u32_e32 vcc, s26, v11
	v_mov_b32_e32 v17, 0xff
	v_mov_b32_e32 v18, 0xff
	s_and_saveexec_b64 s[0:1], vcc
	s_cbranch_execz .LBB324_31
; %bb.30:
	global_load_ubyte v18, v[2:3], off offset:12
.LBB324_31:
	s_or_b64 exec, exec, s[0:1]
	v_add_u32_e32 v11, 13, v10
	v_cmp_gt_u32_e32 vcc, s26, v11
	s_and_saveexec_b64 s[0:1], vcc
	s_cbranch_execz .LBB324_33
; %bb.32:
	global_load_ubyte v17, v[2:3], off offset:13
.LBB324_33:
	s_or_b64 exec, exec, s[0:1]
	v_add_u32_e32 v11, 14, v10
	v_cmp_gt_u32_e32 vcc, s26, v11
	v_mov_b32_e32 v19, 0xff
	v_mov_b32_e32 v20, 0xff
	s_and_saveexec_b64 s[0:1], vcc
	s_cbranch_execz .LBB324_35
; %bb.34:
	global_load_ubyte v20, v[2:3], off offset:14
.LBB324_35:
	s_or_b64 exec, exec, s[0:1]
	v_add_u32_e32 v11, 15, v10
	v_cmp_gt_u32_e32 vcc, s26, v11
	s_and_saveexec_b64 s[0:1], vcc
	s_cbranch_execz .LBB324_37
; %bb.36:
	global_load_ubyte v19, v[2:3], off offset:15
.LBB324_37:
	s_or_b64 exec, exec, s[0:1]
	v_add_u32_e32 v11, 16, v10
	v_cmp_gt_u32_e32 vcc, s26, v11
	v_mov_b32_e32 v21, 0xff
	v_mov_b32_e32 v22, 0xff
	s_and_saveexec_b64 s[0:1], vcc
	s_cbranch_execz .LBB324_39
; %bb.38:
	global_load_ubyte v22, v[2:3], off offset:16
.LBB324_39:
	s_or_b64 exec, exec, s[0:1]
	v_add_u32_e32 v11, 17, v10
	v_cmp_gt_u32_e32 vcc, s26, v11
	s_and_saveexec_b64 s[0:1], vcc
	s_cbranch_execz .LBB324_41
; %bb.40:
	global_load_ubyte v21, v[2:3], off offset:17
.LBB324_41:
	s_or_b64 exec, exec, s[0:1]
	v_add_u32_e32 v11, 18, v10
	v_cmp_gt_u32_e32 vcc, s26, v11
	v_mov_b32_e32 v23, 0xff
	v_mov_b32_e32 v24, 0xff
	s_and_saveexec_b64 s[0:1], vcc
	s_cbranch_execz .LBB324_43
; %bb.42:
	global_load_ubyte v24, v[2:3], off offset:18
.LBB324_43:
	s_or_b64 exec, exec, s[0:1]
	v_add_u32_e32 v11, 19, v10
	v_cmp_gt_u32_e32 vcc, s26, v11
	s_and_saveexec_b64 s[0:1], vcc
	s_cbranch_execz .LBB324_45
; %bb.44:
	global_load_ubyte v23, v[2:3], off offset:19
.LBB324_45:
	s_or_b64 exec, exec, s[0:1]
	v_add_u32_e32 v11, 20, v10
	v_cmp_gt_u32_e32 vcc, s26, v11
	v_mov_b32_e32 v25, 0xff
	v_mov_b32_e32 v26, 0xff
	s_and_saveexec_b64 s[0:1], vcc
	s_cbranch_execz .LBB324_47
; %bb.46:
	global_load_ubyte v26, v[2:3], off offset:20
.LBB324_47:
	s_or_b64 exec, exec, s[0:1]
	v_add_u32_e32 v11, 21, v10
	v_cmp_gt_u32_e32 vcc, s26, v11
	s_and_saveexec_b64 s[0:1], vcc
	s_cbranch_execz .LBB324_49
; %bb.48:
	global_load_ubyte v25, v[2:3], off offset:21
.LBB324_49:
	s_or_b64 exec, exec, s[0:1]
	v_lshlrev_b32_e32 v2, 2, v0
	v_mov_b32_e32 v3, 0
	s_mov_b64 s[0:1], -1
	ds_write2st64_b32 v2, v3, v3 offset1:8
	ds_write2st64_b32 v2, v3, v3 offset0:16 offset1:24
	s_and_saveexec_b64 s[2:3], s[0:1]
	s_cbranch_execz .LBB324_51
; %bb.50:
	ds_write_b32 v2, v3 offset:8192
.LBB324_51:
	s_or_b64 exec, exec, s[2:3]
	s_and_saveexec_b64 s[2:3], s[0:1]
	s_cbranch_execz .LBB324_53
; %bb.52:
	v_mov_b32_e32 v3, 0
	ds_write_b32 v2, v3 offset:10240
.LBB324_53:
	s_or_b64 exec, exec, s[2:3]
	v_cmp_gt_u32_e64 s[0:1], 7, 6
	v_cmp_gt_u32_e64 s[18:19], 7, 5
	s_and_saveexec_b64 s[2:3], s[18:19]
	s_cbranch_execz .LBB324_55
; %bb.54:
	v_mov_b32_e32 v3, 0
	ds_write_b32 v2, v3 offset:12288
.LBB324_55:
	s_or_b64 exec, exec, s[2:3]
	s_and_saveexec_b64 s[2:3], s[0:1]
	s_cbranch_execz .LBB324_57
; %bb.56:
	v_mov_b32_e32 v3, 0
	ds_write_b32 v2, v3 offset:14336
.LBB324_57:
	s_or_b64 exec, exec, s[2:3]
	s_lshl_b32 s0, -1, s17
	s_not_b32 s27, s0
	s_waitcnt vmcnt(0)
	v_lshrrev_b32_sdwa v2, s16, v4 dst_sel:DWORD dst_unused:UNUSED_PAD src0_sel:DWORD src1_sel:BYTE_0
	v_and_b32_e32 v2, s27, v2
	v_lshrrev_b32_e32 v3, 3, v2
	v_lshlrev_b32_e32 v2, 9, v2
	s_movk_i32 s0, 0xe00
	v_and_or_b32 v2, v2, s0, v0
	v_lshlrev_b32_e32 v2, 1, v2
	v_add_lshl_u32 v2, v2, v3, 1
	ds_read_u16 v27, v2
	v_lshrrev_b32_sdwa v3, s16, v1 dst_sel:DWORD dst_unused:UNUSED_PAD src0_sel:DWORD src1_sel:BYTE_0
	v_and_b32_e32 v3, s27, v3
	s_waitcnt lgkmcnt(0)
	v_add_u16_e32 v11, 1, v27
	ds_write_b16 v2, v11
	v_lshrrev_b32_e32 v11, 3, v3
	v_lshlrev_b32_e32 v3, 9, v3
	v_and_or_b32 v3, v3, s0, v0
	v_lshlrev_b32_e32 v3, 1, v3
	v_add_lshl_u32 v3, v3, v11, 1
	ds_read_u16 v28, v3
	s_waitcnt lgkmcnt(0)
	v_add_u16_e32 v11, 1, v28
	ds_write_b16 v3, v11
	v_lshrrev_b32_sdwa v11, s16, v6 dst_sel:DWORD dst_unused:UNUSED_PAD src0_sel:DWORD src1_sel:BYTE_0
	v_and_b32_e32 v11, s27, v11
	v_lshrrev_b32_e32 v29, 3, v11
	v_lshlrev_b32_e32 v11, 9, v11
	v_and_or_b32 v11, v11, s0, v0
	v_lshlrev_b32_e32 v11, 1, v11
	v_add_lshl_u32 v11, v11, v29, 1
	ds_read_u16 v29, v11
	s_waitcnt lgkmcnt(0)
	v_add_u16_e32 v30, 1, v29
	ds_write_b16 v11, v30
	v_lshrrev_b32_sdwa v30, s16, v5 dst_sel:DWORD dst_unused:UNUSED_PAD src0_sel:DWORD src1_sel:BYTE_0
	v_and_b32_e32 v30, s27, v30
	;; [unrolled: 11-line block ×20, first 2 shown]
	v_lshrrev_b32_e32 v67, 3, v59
	v_lshlrev_b32_e32 v59, 9, v59
	v_and_or_b32 v59, v59, s0, v0
	v_lshlrev_b32_e32 v59, 1, v59
	v_add_lshl_u32 v67, v59, v67, 1
	ds_read_u16 v59, v67
	s_waitcnt lgkmcnt(0)
	v_add_u16_e32 v68, 1, v59
	ds_write_b16 v67, v68
	v_lshlrev_b32_e32 v68, 5, v0
	s_waitcnt lgkmcnt(0)
	s_barrier
	ds_read2_b64 v[70:73], v68 offset1:1
	ds_read2_b64 v[74:77], v68 offset0:2 offset1:3
	s_waitcnt lgkmcnt(1)
	v_add_u32_e32 v69, v71, v70
	v_add3_u32 v69, v69, v72, v73
	s_waitcnt lgkmcnt(0)
	v_add3_u32 v69, v69, v74, v75
	v_add3_u32 v70, v69, v76, v77
	v_mbcnt_lo_u32_b32 v69, -1, 0
	v_mbcnt_hi_u32_b32 v69, -1, v69
	v_and_b32_e32 v71, 15, v69
	v_mov_b32_dpp v72, v70 row_shr:1 row_mask:0xf bank_mask:0xf
	v_cmp_ne_u32_e32 vcc, 0, v71
	v_cndmask_b32_e32 v72, 0, v72, vcc
	v_add_u32_e32 v70, v72, v70
	v_cmp_lt_u32_e32 vcc, 1, v71
	s_nop 0
	v_mov_b32_dpp v72, v70 row_shr:2 row_mask:0xf bank_mask:0xf
	v_cndmask_b32_e32 v72, 0, v72, vcc
	v_add_u32_e32 v70, v70, v72
	v_cmp_lt_u32_e32 vcc, 3, v71
	s_nop 0
	v_mov_b32_dpp v72, v70 row_shr:4 row_mask:0xf bank_mask:0xf
	;; [unrolled: 5-line block ×3, first 2 shown]
	v_cndmask_b32_e32 v71, 0, v72, vcc
	v_add_u32_e32 v70, v70, v71
	v_bfe_i32 v72, v69, 4, 1
	v_cmp_lt_u32_e32 vcc, 31, v69
	v_mov_b32_dpp v71, v70 row_bcast:15 row_mask:0xf bank_mask:0xf
	v_and_b32_e32 v71, v72, v71
	v_add_u32_e32 v70, v70, v71
	v_or_b32_e32 v72, 63, v0
	s_nop 0
	v_mov_b32_dpp v71, v70 row_bcast:31 row_mask:0xf bank_mask:0xf
	v_cndmask_b32_e32 v71, 0, v71, vcc
	v_add_u32_e32 v70, v70, v71
	v_lshrrev_b32_e32 v71, 6, v0
	v_cmp_eq_u32_e32 vcc, v72, v0
	v_lshlrev_b32_e32 v71, 2, v71
	s_and_saveexec_b64 s[0:1], vcc
	s_cbranch_execz .LBB324_59
; %bb.58:
	ds_write_b32 v71, v70 offset:16384
.LBB324_59:
	s_or_b64 exec, exec, s[0:1]
	v_cmp_gt_u32_e32 vcc, 8, v0
	s_waitcnt lgkmcnt(0)
	s_barrier
	s_and_saveexec_b64 s[0:1], vcc
	s_cbranch_execz .LBB324_61
; %bb.60:
	s_movk_i32 s2, 0xffe4
	v_mad_i32_i24 v72, v0, s2, v68
	ds_read_b32 v73, v72 offset:16384
	v_and_b32_e32 v74, 7, v69
	v_cmp_ne_u32_e32 vcc, 0, v74
	s_waitcnt lgkmcnt(0)
	v_mov_b32_dpp v75, v73 row_shr:1 row_mask:0xf bank_mask:0xf
	v_cndmask_b32_e32 v75, 0, v75, vcc
	v_add_u32_e32 v73, v75, v73
	v_cmp_lt_u32_e32 vcc, 1, v74
	s_nop 0
	v_mov_b32_dpp v75, v73 row_shr:2 row_mask:0xf bank_mask:0xf
	v_cndmask_b32_e32 v75, 0, v75, vcc
	v_add_u32_e32 v73, v73, v75
	v_cmp_lt_u32_e32 vcc, 3, v74
	s_nop 0
	v_mov_b32_dpp v75, v73 row_shr:4 row_mask:0xf bank_mask:0xf
	v_cndmask_b32_e32 v74, 0, v75, vcc
	v_add_u32_e32 v73, v73, v74
	ds_write_b32 v72, v73 offset:16384
.LBB324_61:
	s_or_b64 exec, exec, s[0:1]
	v_cmp_lt_u32_e32 vcc, 63, v0
	v_mov_b32_e32 v73, 0
	v_mov_b32_e32 v72, 0
	s_waitcnt lgkmcnt(0)
	s_barrier
	s_and_saveexec_b64 s[0:1], vcc
	s_cbranch_execz .LBB324_63
; %bb.62:
	ds_read_b32 v72, v71 offset:16380
.LBB324_63:
	s_or_b64 exec, exec, s[0:1]
	v_add_u32_e32 v71, -1, v69
	v_and_b32_e32 v74, 64, v69
	v_cmp_lt_i32_e32 vcc, v71, v74
	v_cndmask_b32_e32 v71, v71, v69, vcc
	s_waitcnt lgkmcnt(0)
	v_add_u32_e32 v70, v72, v70
	v_lshlrev_b32_e32 v71, 2, v71
	ds_bpermute_b32 v70, v71, v70
	ds_read_b32 v71, v73 offset:16412
	ds_read2_b64 v[74:77], v68 offset1:1
	v_cmp_eq_u32_e32 vcc, 0, v69
	ds_read_b32 v78, v68 offset:24
	s_waitcnt lgkmcnt(3)
	v_cndmask_b32_e32 v69, v70, v72, vcc
	ds_read_b64 v[72:73], v68 offset:16
	s_waitcnt lgkmcnt(3)
	v_lshl_add_u32 v70, v71, 16, v69
	s_waitcnt lgkmcnt(2)
	v_add_u32_e32 v71, v70, v74
	v_add_u32_e32 v74, v75, v71
	;; [unrolled: 1-line block ×3, first 2 shown]
	ds_write2_b64 v68, v[70:71], v[74:75] offset1:1
	v_add_u32_e32 v70, v77, v75
	s_waitcnt lgkmcnt(1)
	v_add_u32_e32 v71, v72, v70
	v_add_u32_e32 v72, v73, v71
	;; [unrolled: 1-line block ×3, first 2 shown]
	ds_write2_b64 v68, v[70:71], v[72:73] offset0:2 offset1:3
	s_waitcnt lgkmcnt(0)
	s_barrier
	ds_read_u16 v68, v2
	ds_read_u16 v69, v3
	;; [unrolled: 1-line block ×22, first 2 shown]
	v_cmp_gt_u32_e32 vcc, 16, v0
	v_pk_mov_b32 v[2:3], 0, 0
                                        ; implicit-def: $vgpr11
	s_and_saveexec_b64 s[2:3], vcc
	s_cbranch_execz .LBB324_67
; %bb.64:
	v_lshrrev_b32_e32 v2, 3, v0
	v_lshlrev_b32_e32 v3, 10, v0
	s_movk_i32 s20, 0x1c00
	v_and_or_b32 v2, v3, s20, v2
	v_lshlrev_b32_e32 v2, 1, v2
	ds_read_u16 v2, v2
	v_add_u32_e32 v11, 1, v0
	v_cmp_ne_u32_e64 s[0:1], 16, v11
	v_mov_b32_e32 v3, 0x2c00
	s_and_saveexec_b64 s[18:19], s[0:1]
	s_cbranch_execz .LBB324_66
; %bb.65:
	v_lshlrev_b32_e32 v3, 10, v11
	v_lshrrev_b32_e32 v11, 3, v11
	v_and_or_b32 v3, v3, s20, v11
	v_lshlrev_b32_e32 v3, 1, v3
	ds_read_u16 v3, v3
.LBB324_66:
	s_or_b64 exec, exec, s[18:19]
	s_waitcnt lgkmcnt(0)
	v_and_b32_e32 v2, 0xffff, v2
	s_mov_b32 s0, 0
	v_sub_u32_e32 v11, v3, v2
	v_mov_b32_e32 v3, s0
.LBB324_67:
	s_or_b64 exec, exec, s[2:3]
	s_waitcnt lgkmcnt(14)
	v_add_u32_sdwa v27, v68, v27 dst_sel:DWORD dst_unused:UNUSED_PAD src0_sel:WORD_0 src1_sel:WORD_0
	v_add_u32_sdwa v28, v69, v28 dst_sel:DWORD dst_unused:UNUSED_PAD src0_sel:WORD_0 src1_sel:WORD_0
	;; [unrolled: 1-line block ×8, first 2 shown]
	s_waitcnt lgkmcnt(13)
	v_add_u32_sdwa v35, v48, v35 dst_sel:DWORD dst_unused:UNUSED_PAD src0_sel:WORD_0 src1_sel:WORD_0
	s_waitcnt lgkmcnt(12)
	v_add_u32_sdwa v36, v50, v36 dst_sel:DWORD dst_unused:UNUSED_PAD src0_sel:WORD_0 src1_sel:WORD_0
	;; [unrolled: 2-line block ×14, first 2 shown]
	s_barrier
	ds_write_b8 v27, v4 offset:128
	ds_write_b8 v28, v1 offset:128
	;; [unrolled: 1-line block ×22, first 2 shown]
	s_and_saveexec_b64 s[2:3], vcc
	s_cbranch_execz .LBB324_77
; %bb.68:
	v_lshl_or_b32 v4, s24, 4, v0
	v_mov_b32_e32 v5, 0
	v_lshlrev_b64 v[6:7], 2, v[4:5]
	v_mov_b32_e32 v1, s7
	v_add_co_u32_e64 v6, s[0:1], s6, v6
	v_addc_co_u32_e64 v7, s[0:1], v1, v7, s[0:1]
	v_or_b32_e32 v4, 2.0, v11
	s_mov_b64 s[18:19], 0
	s_brev_b32 s28, 1
	s_mov_b32 s29, s24
	v_mov_b32_e32 v12, 0
	global_store_dword v[6:7], v4, off
                                        ; implicit-def: $sgpr0_sgpr1
	s_branch .LBB324_70
.LBB324_69:                             ;   in Loop: Header=BB324_70 Depth=1
	s_or_b64 exec, exec, s[20:21]
	v_and_b32_e32 v8, 0x3fffffff, v13
	v_add_u32_e32 v12, v8, v12
	v_cmp_eq_u32_e64 s[0:1], s28, v4
	s_and_b64 s[20:21], exec, s[0:1]
	s_or_b64 s[18:19], s[20:21], s[18:19]
	s_andn2_b64 exec, exec, s[18:19]
	s_cbranch_execz .LBB324_76
.LBB324_70:                             ; =>This Loop Header: Depth=1
                                        ;     Child Loop BB324_73 Depth 2
	s_or_b64 s[0:1], s[0:1], exec
	s_cmp_eq_u32 s29, 0
	s_cbranch_scc1 .LBB324_75
; %bb.71:                               ;   in Loop: Header=BB324_70 Depth=1
	s_add_i32 s29, s29, -1
	v_lshl_or_b32 v4, s29, 4, v0
	v_lshlrev_b64 v[8:9], 2, v[4:5]
	v_add_co_u32_e64 v8, s[0:1], s6, v8
	v_addc_co_u32_e64 v9, s[0:1], v1, v9, s[0:1]
	global_load_dword v13, v[8:9], off glc
	s_waitcnt vmcnt(0)
	v_and_b32_e32 v4, -2.0, v13
	v_cmp_eq_u32_e64 s[0:1], 0, v4
	s_and_saveexec_b64 s[20:21], s[0:1]
	s_cbranch_execz .LBB324_69
; %bb.72:                               ;   in Loop: Header=BB324_70 Depth=1
	s_mov_b64 s[22:23], 0
.LBB324_73:                             ;   Parent Loop BB324_70 Depth=1
                                        ; =>  This Inner Loop Header: Depth=2
	global_load_dword v13, v[8:9], off glc
	s_waitcnt vmcnt(0)
	v_and_b32_e32 v4, -2.0, v13
	v_cmp_ne_u32_e64 s[0:1], 0, v4
	s_or_b64 s[22:23], s[0:1], s[22:23]
	s_andn2_b64 exec, exec, s[22:23]
	s_cbranch_execnz .LBB324_73
; %bb.74:                               ;   in Loop: Header=BB324_70 Depth=1
	s_or_b64 exec, exec, s[22:23]
	s_branch .LBB324_69
.LBB324_75:                             ;   in Loop: Header=BB324_70 Depth=1
                                        ; implicit-def: $sgpr29
	s_and_b64 s[20:21], exec, s[0:1]
	s_or_b64 s[18:19], s[20:21], s[18:19]
	s_andn2_b64 exec, exec, s[18:19]
	s_cbranch_execnz .LBB324_70
.LBB324_76:
	s_or_b64 exec, exec, s[18:19]
	v_add_u32_e32 v1, v12, v11
	v_or_b32_e32 v1, 0x80000000, v1
	global_store_dword v[6:7], v1, off
	v_lshlrev_b32_e32 v1, 3, v0
	global_load_dwordx2 v[4:5], v1, s[8:9]
	v_sub_co_u32_e64 v6, s[0:1], v12, v2
	v_subb_co_u32_e64 v7, s[0:1], 0, v3, s[0:1]
	s_waitcnt vmcnt(0)
	v_add_co_u32_e64 v4, s[0:1], v6, v4
	v_addc_co_u32_e64 v5, s[0:1], v7, v5, s[0:1]
	ds_write_b64 v1, v[4:5]
.LBB324_77:
	s_or_b64 exec, exec, s[2:3]
	v_cmp_gt_u32_e64 s[0:1], s26, v0
	s_waitcnt lgkmcnt(0)
	s_barrier
	s_and_saveexec_b64 s[2:3], s[0:1]
	s_cbranch_execz .LBB324_79
; %bb.78:
	ds_read_u8 v1, v0 offset:128
	v_mov_b32_e32 v6, s15
	s_waitcnt lgkmcnt(0)
	v_lshrrev_b32_sdwa v4, s16, v1 dst_sel:DWORD dst_unused:UNUSED_PAD src0_sel:DWORD src1_sel:BYTE_0
	v_and_b32_e32 v4, s27, v4
	v_lshlrev_b32_e32 v4, 3, v4
	ds_read_b64 v[4:5], v4
	s_waitcnt lgkmcnt(0)
	v_add_co_u32_e64 v4, s[0:1], s14, v4
	v_addc_co_u32_e64 v5, s[0:1], v6, v5, s[0:1]
	v_add_co_u32_e64 v4, s[0:1], v4, v0
	v_addc_co_u32_e64 v5, s[0:1], 0, v5, s[0:1]
	global_store_byte v[4:5], v1, off
.LBB324_79:
	s_or_b64 exec, exec, s[2:3]
	v_or_b32_e32 v1, 0x200, v0
	v_cmp_gt_u32_e64 s[0:1], s26, v1
	s_and_saveexec_b64 s[2:3], s[0:1]
	s_cbranch_execz .LBB324_81
; %bb.80:
	ds_read_u8 v1, v0 offset:640
	v_mov_b32_e32 v6, s15
	s_waitcnt lgkmcnt(0)
	v_lshrrev_b32_sdwa v4, s16, v1 dst_sel:DWORD dst_unused:UNUSED_PAD src0_sel:DWORD src1_sel:BYTE_0
	v_and_b32_e32 v4, s27, v4
	v_lshlrev_b32_e32 v4, 3, v4
	ds_read_b64 v[4:5], v4
	s_waitcnt lgkmcnt(0)
	v_add_co_u32_e64 v4, s[0:1], s14, v4
	v_addc_co_u32_e64 v5, s[0:1], v6, v5, s[0:1]
	v_add_co_u32_e64 v4, s[0:1], v4, v0
	v_addc_co_u32_e64 v5, s[0:1], 0, v5, s[0:1]
	global_store_byte v[4:5], v1, off offset:512
.LBB324_81:
	s_or_b64 exec, exec, s[2:3]
	v_or_b32_e32 v1, 0x400, v0
	v_cmp_gt_u32_e64 s[0:1], s26, v1
	s_and_saveexec_b64 s[2:3], s[0:1]
	s_cbranch_execz .LBB324_83
; %bb.82:
	ds_read_u8 v1, v0 offset:1152
	v_mov_b32_e32 v6, s15
	s_waitcnt lgkmcnt(0)
	v_lshrrev_b32_sdwa v4, s16, v1 dst_sel:DWORD dst_unused:UNUSED_PAD src0_sel:DWORD src1_sel:BYTE_0
	v_and_b32_e32 v4, s27, v4
	v_lshlrev_b32_e32 v4, 3, v4
	ds_read_b64 v[4:5], v4
	s_waitcnt lgkmcnt(0)
	v_add_co_u32_e64 v4, s[0:1], s14, v4
	v_addc_co_u32_e64 v5, s[0:1], v6, v5, s[0:1]
	v_add_co_u32_e64 v4, s[0:1], v4, v0
	v_addc_co_u32_e64 v5, s[0:1], 0, v5, s[0:1]
	global_store_byte v[4:5], v1, off offset:1024
.LBB324_83:
	;; [unrolled: 20-line block ×7, first 2 shown]
	s_or_b64 exec, exec, s[2:3]
	v_or_b32_e32 v1, 0x1000, v0
	v_cmp_gt_u32_e64 s[0:1], s26, v1
	s_and_saveexec_b64 s[2:3], s[0:1]
	s_cbranch_execz .LBB324_95
; %bb.94:
	ds_read_u8 v6, v0 offset:4224
	v_mov_b32_e32 v7, s15
	s_waitcnt lgkmcnt(0)
	v_lshrrev_b32_sdwa v4, s16, v6 dst_sel:DWORD dst_unused:UNUSED_PAD src0_sel:DWORD src1_sel:BYTE_0
	v_and_b32_e32 v4, s27, v4
	v_lshlrev_b32_e32 v4, 3, v4
	ds_read_b64 v[4:5], v4
	s_waitcnt lgkmcnt(0)
	v_add_co_u32_e64 v4, s[0:1], s14, v4
	v_addc_co_u32_e64 v5, s[0:1], v7, v5, s[0:1]
	v_add_co_u32_e64 v4, s[0:1], v4, v1
	v_addc_co_u32_e64 v5, s[0:1], 0, v5, s[0:1]
	global_store_byte v[4:5], v6, off
.LBB324_95:
	s_or_b64 exec, exec, s[2:3]
	v_or_b32_e32 v1, 0x1200, v0
	v_cmp_gt_u32_e64 s[0:1], s26, v1
	s_and_saveexec_b64 s[2:3], s[0:1]
	s_cbranch_execz .LBB324_97
; %bb.96:
	ds_read_u8 v6, v0 offset:4736
	v_mov_b32_e32 v7, s15
	s_waitcnt lgkmcnt(0)
	v_lshrrev_b32_sdwa v4, s16, v6 dst_sel:DWORD dst_unused:UNUSED_PAD src0_sel:DWORD src1_sel:BYTE_0
	v_and_b32_e32 v4, s27, v4
	v_lshlrev_b32_e32 v4, 3, v4
	ds_read_b64 v[4:5], v4
	s_waitcnt lgkmcnt(0)
	v_add_co_u32_e64 v4, s[0:1], s14, v4
	v_addc_co_u32_e64 v5, s[0:1], v7, v5, s[0:1]
	v_add_co_u32_e64 v4, s[0:1], v4, v1
	v_addc_co_u32_e64 v5, s[0:1], 0, v5, s[0:1]
	global_store_byte v[4:5], v6, off
.LBB324_97:
	s_or_b64 exec, exec, s[2:3]
	v_or_b32_e32 v1, 0x1400, v0
	v_cmp_gt_u32_e64 s[0:1], s26, v1
	s_and_saveexec_b64 s[2:3], s[0:1]
	s_cbranch_execz .LBB324_99
; %bb.98:
	ds_read_u8 v6, v0 offset:5248
	v_mov_b32_e32 v7, s15
	s_waitcnt lgkmcnt(0)
	v_lshrrev_b32_sdwa v4, s16, v6 dst_sel:DWORD dst_unused:UNUSED_PAD src0_sel:DWORD src1_sel:BYTE_0
	v_and_b32_e32 v4, s27, v4
	v_lshlrev_b32_e32 v4, 3, v4
	ds_read_b64 v[4:5], v4
	s_waitcnt lgkmcnt(0)
	v_add_co_u32_e64 v4, s[0:1], s14, v4
	v_addc_co_u32_e64 v5, s[0:1], v7, v5, s[0:1]
	v_add_co_u32_e64 v4, s[0:1], v4, v1
	v_addc_co_u32_e64 v5, s[0:1], 0, v5, s[0:1]
	global_store_byte v[4:5], v6, off
.LBB324_99:
	s_or_b64 exec, exec, s[2:3]
	v_or_b32_e32 v1, 0x1600, v0
	v_cmp_gt_u32_e64 s[0:1], s26, v1
	s_and_saveexec_b64 s[2:3], s[0:1]
	s_cbranch_execz .LBB324_101
; %bb.100:
	ds_read_u8 v6, v0 offset:5760
	v_mov_b32_e32 v7, s15
	s_waitcnt lgkmcnt(0)
	v_lshrrev_b32_sdwa v4, s16, v6 dst_sel:DWORD dst_unused:UNUSED_PAD src0_sel:DWORD src1_sel:BYTE_0
	v_and_b32_e32 v4, s27, v4
	v_lshlrev_b32_e32 v4, 3, v4
	ds_read_b64 v[4:5], v4
	s_waitcnt lgkmcnt(0)
	v_add_co_u32_e64 v4, s[0:1], s14, v4
	v_addc_co_u32_e64 v5, s[0:1], v7, v5, s[0:1]
	v_add_co_u32_e64 v4, s[0:1], v4, v1
	v_addc_co_u32_e64 v5, s[0:1], 0, v5, s[0:1]
	global_store_byte v[4:5], v6, off
.LBB324_101:
	s_or_b64 exec, exec, s[2:3]
	v_or_b32_e32 v1, 0x1800, v0
	v_cmp_gt_u32_e64 s[0:1], s26, v1
	s_and_saveexec_b64 s[2:3], s[0:1]
	s_cbranch_execz .LBB324_103
; %bb.102:
	ds_read_u8 v6, v0 offset:6272
	v_mov_b32_e32 v7, s15
	s_waitcnt lgkmcnt(0)
	v_lshrrev_b32_sdwa v4, s16, v6 dst_sel:DWORD dst_unused:UNUSED_PAD src0_sel:DWORD src1_sel:BYTE_0
	v_and_b32_e32 v4, s27, v4
	v_lshlrev_b32_e32 v4, 3, v4
	ds_read_b64 v[4:5], v4
	s_waitcnt lgkmcnt(0)
	v_add_co_u32_e64 v4, s[0:1], s14, v4
	v_addc_co_u32_e64 v5, s[0:1], v7, v5, s[0:1]
	v_add_co_u32_e64 v4, s[0:1], v4, v1
	v_addc_co_u32_e64 v5, s[0:1], 0, v5, s[0:1]
	global_store_byte v[4:5], v6, off
.LBB324_103:
	s_or_b64 exec, exec, s[2:3]
	v_or_b32_e32 v1, 0x1a00, v0
	v_cmp_gt_u32_e64 s[0:1], s26, v1
	s_and_saveexec_b64 s[2:3], s[0:1]
	s_cbranch_execz .LBB324_105
; %bb.104:
	ds_read_u8 v6, v0 offset:6784
	v_mov_b32_e32 v7, s15
	s_waitcnt lgkmcnt(0)
	v_lshrrev_b32_sdwa v4, s16, v6 dst_sel:DWORD dst_unused:UNUSED_PAD src0_sel:DWORD src1_sel:BYTE_0
	v_and_b32_e32 v4, s27, v4
	v_lshlrev_b32_e32 v4, 3, v4
	ds_read_b64 v[4:5], v4
	s_waitcnt lgkmcnt(0)
	v_add_co_u32_e64 v4, s[0:1], s14, v4
	v_addc_co_u32_e64 v5, s[0:1], v7, v5, s[0:1]
	v_add_co_u32_e64 v4, s[0:1], v4, v1
	v_addc_co_u32_e64 v5, s[0:1], 0, v5, s[0:1]
	global_store_byte v[4:5], v6, off
.LBB324_105:
	s_or_b64 exec, exec, s[2:3]
	v_or_b32_e32 v1, 0x1c00, v0
	v_cmp_gt_u32_e64 s[0:1], s26, v1
	s_and_saveexec_b64 s[2:3], s[0:1]
	s_cbranch_execz .LBB324_107
; %bb.106:
	ds_read_u8 v6, v0 offset:7296
	v_mov_b32_e32 v7, s15
	s_waitcnt lgkmcnt(0)
	v_lshrrev_b32_sdwa v4, s16, v6 dst_sel:DWORD dst_unused:UNUSED_PAD src0_sel:DWORD src1_sel:BYTE_0
	v_and_b32_e32 v4, s27, v4
	v_lshlrev_b32_e32 v4, 3, v4
	ds_read_b64 v[4:5], v4
	s_waitcnt lgkmcnt(0)
	v_add_co_u32_e64 v4, s[0:1], s14, v4
	v_addc_co_u32_e64 v5, s[0:1], v7, v5, s[0:1]
	v_add_co_u32_e64 v4, s[0:1], v4, v1
	v_addc_co_u32_e64 v5, s[0:1], 0, v5, s[0:1]
	global_store_byte v[4:5], v6, off
.LBB324_107:
	s_or_b64 exec, exec, s[2:3]
	v_or_b32_e32 v1, 0x1e00, v0
	v_cmp_gt_u32_e64 s[0:1], s26, v1
	s_and_saveexec_b64 s[2:3], s[0:1]
	s_cbranch_execz .LBB324_109
; %bb.108:
	ds_read_u8 v6, v0 offset:7808
	v_mov_b32_e32 v7, s15
	s_waitcnt lgkmcnt(0)
	v_lshrrev_b32_sdwa v4, s16, v6 dst_sel:DWORD dst_unused:UNUSED_PAD src0_sel:DWORD src1_sel:BYTE_0
	v_and_b32_e32 v4, s27, v4
	v_lshlrev_b32_e32 v4, 3, v4
	ds_read_b64 v[4:5], v4
	s_waitcnt lgkmcnt(0)
	v_add_co_u32_e64 v4, s[0:1], s14, v4
	v_addc_co_u32_e64 v5, s[0:1], v7, v5, s[0:1]
	v_add_co_u32_e64 v4, s[0:1], v4, v1
	v_addc_co_u32_e64 v5, s[0:1], 0, v5, s[0:1]
	global_store_byte v[4:5], v6, off
.LBB324_109:
	s_or_b64 exec, exec, s[2:3]
	v_or_b32_e32 v1, 0x2000, v0
	v_cmp_gt_u32_e64 s[0:1], s26, v1
	s_and_saveexec_b64 s[2:3], s[0:1]
	s_cbranch_execz .LBB324_111
; %bb.110:
	ds_read_u8 v6, v0 offset:8320
	v_mov_b32_e32 v7, s15
	s_waitcnt lgkmcnt(0)
	v_lshrrev_b32_sdwa v4, s16, v6 dst_sel:DWORD dst_unused:UNUSED_PAD src0_sel:DWORD src1_sel:BYTE_0
	v_and_b32_e32 v4, s27, v4
	v_lshlrev_b32_e32 v4, 3, v4
	ds_read_b64 v[4:5], v4
	s_waitcnt lgkmcnt(0)
	v_add_co_u32_e64 v4, s[0:1], s14, v4
	v_addc_co_u32_e64 v5, s[0:1], v7, v5, s[0:1]
	v_add_co_u32_e64 v4, s[0:1], v4, v1
	v_addc_co_u32_e64 v5, s[0:1], 0, v5, s[0:1]
	global_store_byte v[4:5], v6, off
.LBB324_111:
	s_or_b64 exec, exec, s[2:3]
	v_or_b32_e32 v1, 0x2200, v0
	v_cmp_gt_u32_e64 s[0:1], s26, v1
	s_and_saveexec_b64 s[2:3], s[0:1]
	s_cbranch_execz .LBB324_113
; %bb.112:
	ds_read_u8 v6, v0 offset:8832
	v_mov_b32_e32 v7, s15
	s_waitcnt lgkmcnt(0)
	v_lshrrev_b32_sdwa v4, s16, v6 dst_sel:DWORD dst_unused:UNUSED_PAD src0_sel:DWORD src1_sel:BYTE_0
	v_and_b32_e32 v4, s27, v4
	v_lshlrev_b32_e32 v4, 3, v4
	ds_read_b64 v[4:5], v4
	s_waitcnt lgkmcnt(0)
	v_add_co_u32_e64 v4, s[0:1], s14, v4
	v_addc_co_u32_e64 v5, s[0:1], v7, v5, s[0:1]
	v_add_co_u32_e64 v4, s[0:1], v4, v1
	v_addc_co_u32_e64 v5, s[0:1], 0, v5, s[0:1]
	global_store_byte v[4:5], v6, off
.LBB324_113:
	s_or_b64 exec, exec, s[2:3]
	v_or_b32_e32 v1, 0x2400, v0
	v_cmp_gt_u32_e64 s[0:1], s26, v1
	s_and_saveexec_b64 s[2:3], s[0:1]
	s_cbranch_execz .LBB324_115
; %bb.114:
	ds_read_u8 v6, v0 offset:9344
	v_mov_b32_e32 v7, s15
	s_waitcnt lgkmcnt(0)
	v_lshrrev_b32_sdwa v4, s16, v6 dst_sel:DWORD dst_unused:UNUSED_PAD src0_sel:DWORD src1_sel:BYTE_0
	v_and_b32_e32 v4, s27, v4
	v_lshlrev_b32_e32 v4, 3, v4
	ds_read_b64 v[4:5], v4
	s_waitcnt lgkmcnt(0)
	v_add_co_u32_e64 v4, s[0:1], s14, v4
	v_addc_co_u32_e64 v5, s[0:1], v7, v5, s[0:1]
	v_add_co_u32_e64 v4, s[0:1], v4, v1
	v_addc_co_u32_e64 v5, s[0:1], 0, v5, s[0:1]
	global_store_byte v[4:5], v6, off
.LBB324_115:
	s_or_b64 exec, exec, s[2:3]
	v_or_b32_e32 v1, 0x2600, v0
	v_cmp_gt_u32_e64 s[0:1], s26, v1
	s_and_saveexec_b64 s[2:3], s[0:1]
	s_cbranch_execz .LBB324_117
; %bb.116:
	ds_read_u8 v6, v0 offset:9856
	v_mov_b32_e32 v7, s15
	s_waitcnt lgkmcnt(0)
	v_lshrrev_b32_sdwa v4, s16, v6 dst_sel:DWORD dst_unused:UNUSED_PAD src0_sel:DWORD src1_sel:BYTE_0
	v_and_b32_e32 v4, s27, v4
	v_lshlrev_b32_e32 v4, 3, v4
	ds_read_b64 v[4:5], v4
	s_waitcnt lgkmcnt(0)
	v_add_co_u32_e64 v4, s[0:1], s14, v4
	v_addc_co_u32_e64 v5, s[0:1], v7, v5, s[0:1]
	v_add_co_u32_e64 v4, s[0:1], v4, v1
	v_addc_co_u32_e64 v5, s[0:1], 0, v5, s[0:1]
	global_store_byte v[4:5], v6, off
.LBB324_117:
	s_or_b64 exec, exec, s[2:3]
	v_or_b32_e32 v1, 0x2800, v0
	v_cmp_gt_u32_e64 s[0:1], s26, v1
	s_and_saveexec_b64 s[2:3], s[0:1]
	s_cbranch_execz .LBB324_119
; %bb.118:
	ds_read_u8 v6, v0 offset:10368
	v_mov_b32_e32 v7, s15
	s_waitcnt lgkmcnt(0)
	v_lshrrev_b32_sdwa v4, s16, v6 dst_sel:DWORD dst_unused:UNUSED_PAD src0_sel:DWORD src1_sel:BYTE_0
	v_and_b32_e32 v4, s27, v4
	v_lshlrev_b32_e32 v4, 3, v4
	ds_read_b64 v[4:5], v4
	s_waitcnt lgkmcnt(0)
	v_add_co_u32_e64 v4, s[0:1], s14, v4
	v_addc_co_u32_e64 v5, s[0:1], v7, v5, s[0:1]
	v_add_co_u32_e64 v4, s[0:1], v4, v1
	v_addc_co_u32_e64 v5, s[0:1], 0, v5, s[0:1]
	global_store_byte v[4:5], v6, off
.LBB324_119:
	s_or_b64 exec, exec, s[2:3]
	v_or_b32_e32 v1, 0x2a00, v0
	v_cmp_gt_u32_e64 s[0:1], s26, v1
	s_and_saveexec_b64 s[2:3], s[0:1]
	s_cbranch_execz .LBB324_121
; %bb.120:
	ds_read_u8 v6, v0 offset:10880
	v_mov_b32_e32 v7, s15
	s_waitcnt lgkmcnt(0)
	v_lshrrev_b32_sdwa v4, s16, v6 dst_sel:DWORD dst_unused:UNUSED_PAD src0_sel:DWORD src1_sel:BYTE_0
	v_and_b32_e32 v4, s27, v4
	v_lshlrev_b32_e32 v4, 3, v4
	ds_read_b64 v[4:5], v4
	s_waitcnt lgkmcnt(0)
	v_add_co_u32_e64 v4, s[0:1], s14, v4
	v_addc_co_u32_e64 v5, s[0:1], v7, v5, s[0:1]
	v_add_co_u32_e64 v4, s[0:1], v4, v1
	v_addc_co_u32_e64 v5, s[0:1], 0, v5, s[0:1]
	global_store_byte v[4:5], v6, off
.LBB324_121:
	s_or_b64 exec, exec, s[2:3]
	s_load_dword s2, s[4:5], 0x58
	s_mov_b64 s[0:1], 0
	s_mov_b64 s[18:19], 0
                                        ; implicit-def: $vgpr4_vgpr5
	s_waitcnt lgkmcnt(0)
	s_add_i32 s2, s2, -1
	s_cmp_eq_u32 s2, s24
	s_cselect_b64 s[2:3], -1, 0
	s_and_b64 s[2:3], vcc, s[2:3]
	s_and_saveexec_b64 s[20:21], s[2:3]
	s_xor_b64 s[2:3], exec, s[20:21]
; %bb.122:
	v_add_co_u32_e32 v4, vcc, v2, v11
	s_mov_b64 s[18:19], exec
	v_mov_b32_e32 v1, 0
	v_addc_co_u32_e32 v5, vcc, 0, v3, vcc
; %bb.123:
	s_or_b64 exec, exec, s[2:3]
	s_and_b64 vcc, exec, s[0:1]
	s_cbranch_vccnz .LBB324_125
	s_branch .LBB324_158
.LBB324_124:
	s_mov_b64 s[18:19], 0
                                        ; implicit-def: $vgpr4_vgpr5
	s_cbranch_execz .LBB324_158
.LBB324_125:
	s_add_u32 s0, s12, s25
	s_addc_u32 s1, s13, 0
	global_load_ushort v7, v10, s[0:1] offset:20
	global_load_dwordx4 v[2:5], v10, s[0:1]
	global_load_dword v6, v10, s[0:1] offset:16
	v_mov_b32_e32 v9, 8
	s_mov_b32 s12, 0x3020104
	v_lshlrev_b32_e32 v1, 2, v0
	v_mov_b32_e32 v8, 0
	s_mov_b64 s[0:1], -1
	ds_write2st64_b32 v1, v8, v8 offset1:8
	ds_write2st64_b32 v1, v8, v8 offset0:16 offset1:24
	s_waitcnt vmcnt(2)
	v_lshrrev_b32_sdwa v9, v9, v7 dst_sel:BYTE_1 dst_unused:UNUSED_PAD src0_sel:DWORD src1_sel:DWORD
	v_or_b32_sdwa v7, v7, v9 dst_sel:DWORD dst_unused:UNUSED_PAD src0_sel:BYTE_0 src1_sel:DWORD
	s_and_saveexec_b64 s[2:3], s[0:1]
	s_cbranch_execz .LBB324_127
; %bb.126:
	ds_write_b32 v1, v8 offset:8192
.LBB324_127:
	s_or_b64 exec, exec, s[2:3]
	v_and_b32_e32 v9, 0xffff, v7
	s_waitcnt vmcnt(0)
	v_perm_b32 v8, v6, v6, s12
	s_and_saveexec_b64 s[2:3], s[0:1]
	s_cbranch_execz .LBB324_129
; %bb.128:
	v_mov_b32_e32 v6, 0
	ds_write_b32 v1, v6 offset:10240
.LBB324_129:
	s_or_b64 exec, exec, s[2:3]
	v_cmp_gt_u32_e64 s[0:1], 7, 6
	v_cmp_gt_u32_e64 s[12:13], 7, 5
	s_and_saveexec_b64 s[2:3], s[12:13]
	s_cbranch_execz .LBB324_131
; %bb.130:
	v_mov_b32_e32 v6, 0
	ds_write_b32 v1, v6 offset:12288
.LBB324_131:
	s_or_b64 exec, exec, s[2:3]
	s_and_saveexec_b64 s[2:3], s[0:1]
	s_cbranch_execz .LBB324_133
; %bb.132:
	v_mov_b32_e32 v6, 0
	ds_write_b32 v1, v6 offset:14336
.LBB324_133:
	s_or_b64 exec, exec, s[2:3]
	s_lshl_b32 s0, -1, s17
	s_not_b32 s17, s0
	v_lshrrev_b32_sdwa v1, s16, v2 dst_sel:DWORD dst_unused:UNUSED_PAD src0_sel:DWORD src1_sel:BYTE_0
	v_and_b32_e32 v1, s17, v1
	v_lshrrev_b32_e32 v6, 3, v1
	v_lshlrev_b32_e32 v1, 9, v1
	s_movk_i32 s0, 0xe00
	v_and_or_b32 v1, v1, s0, v0
	v_lshlrev_b32_e32 v1, 1, v1
	v_add_lshl_u32 v6, v1, v6, 1
	ds_read_u16 v1, v6
	v_lshrrev_b32_sdwa v7, s16, v2 dst_sel:DWORD dst_unused:UNUSED_PAD src0_sel:DWORD src1_sel:BYTE_1
	v_and_b32_e32 v7, s17, v7
	v_lshrrev_b32_e32 v19, 24, v3
	v_lshrrev_b32_e32 v28, 24, v5
	s_waitcnt lgkmcnt(0)
	v_add_u16_e32 v10, 1, v1
	ds_write_b16 v6, v10
	v_lshrrev_b32_e32 v10, 3, v7
	v_lshlrev_b32_e32 v7, 9, v7
	v_and_or_b32 v7, v7, s0, v0
	v_lshlrev_b32_e32 v7, 1, v7
	v_add_lshl_u32 v7, v7, v10, 1
	ds_read_u16 v16, v7
	v_lshlrev_b32_e32 v57, 5, v0
	s_waitcnt lgkmcnt(0)
	v_add_u16_e32 v10, 1, v16
	ds_write_b16 v7, v10
	v_lshrrev_b32_sdwa v10, s16, v2 dst_sel:DWORD dst_unused:UNUSED_PAD src0_sel:DWORD src1_sel:BYTE_2
	v_and_b32_e32 v10, s17, v10
	v_lshrrev_b32_e32 v11, 3, v10
	v_lshlrev_b32_e32 v10, 9, v10
	v_and_or_b32 v10, v10, s0, v0
	v_lshlrev_b32_e32 v10, 1, v10
	v_add_lshl_u32 v14, v10, v11, 1
	ds_read_u16 v17, v14
	v_alignbit_b32 v10, v3, v2, 24
	v_lshrrev_b32_sdwa v10, s16, v10 dst_sel:DWORD dst_unused:UNUSED_PAD src0_sel:DWORD src1_sel:BYTE_0
	v_and_b32_e32 v10, s17, v10
	s_waitcnt lgkmcnt(0)
	v_add_u16_e32 v11, 1, v17
	ds_write_b16 v14, v11
	v_lshrrev_b32_e32 v11, 3, v10
	v_lshlrev_b32_e32 v10, 9, v10
	v_and_or_b32 v10, v10, s0, v0
	v_lshlrev_b32_e32 v10, 1, v10
	v_add_lshl_u32 v15, v10, v11, 1
	ds_read_u16 v18, v15
	s_waitcnt lgkmcnt(0)
	v_add_u16_e32 v10, 1, v18
	ds_write_b16 v15, v10
	v_lshrrev_b32_sdwa v10, s16, v3 dst_sel:DWORD dst_unused:UNUSED_PAD src0_sel:DWORD src1_sel:BYTE_0
	v_and_b32_e32 v10, s17, v10
	v_lshrrev_b32_e32 v11, 3, v10
	v_lshlrev_b32_e32 v10, 9, v10
	v_and_or_b32 v10, v10, s0, v0
	v_lshlrev_b32_e32 v10, 1, v10
	v_add_lshl_u32 v31, v10, v11, 1
	ds_read_u16 v20, v31
	s_waitcnt lgkmcnt(0)
	v_add_u16_e32 v10, 1, v20
	ds_write_b16 v31, v10
	v_lshrrev_b32_sdwa v10, s16, v3 dst_sel:DWORD dst_unused:UNUSED_PAD src0_sel:DWORD src1_sel:BYTE_1
	v_and_b32_e32 v10, s17, v10
	v_lshrrev_b32_e32 v11, 3, v10
	v_lshlrev_b32_e32 v10, 9, v10
	v_and_or_b32 v10, v10, s0, v0
	v_lshlrev_b32_e32 v10, 1, v10
	v_add_lshl_u32 v33, v10, v11, 1
	ds_read_u16 v21, v33
	s_waitcnt lgkmcnt(0)
	v_add_u16_e32 v10, 1, v21
	ds_write_b16 v33, v10
	v_lshrrev_b32_sdwa v10, s16, v3 dst_sel:DWORD dst_unused:UNUSED_PAD src0_sel:DWORD src1_sel:BYTE_2
	v_and_b32_e32 v10, s17, v10
	v_lshrrev_b32_e32 v11, 3, v10
	v_lshlrev_b32_e32 v10, 9, v10
	v_and_or_b32 v10, v10, s0, v0
	v_lshlrev_b32_e32 v10, 1, v10
	v_add_lshl_u32 v35, v10, v11, 1
	ds_read_u16 v22, v35
	s_waitcnt lgkmcnt(0)
	v_add_u16_e32 v10, 1, v22
	ds_write_b16 v35, v10
	v_lshrrev_b32_e32 v10, s16, v19
	v_and_b32_e32 v10, s17, v10
	v_lshrrev_b32_e32 v11, 3, v10
	v_lshlrev_b32_e32 v10, 9, v10
	v_and_or_b32 v10, v10, s0, v0
	v_lshlrev_b32_e32 v10, 1, v10
	v_add_lshl_u32 v37, v10, v11, 1
	ds_read_u16 v23, v37
	s_waitcnt lgkmcnt(0)
	v_add_u16_e32 v10, 1, v23
	ds_write_b16 v37, v10
	v_lshrrev_b32_sdwa v10, s16, v4 dst_sel:DWORD dst_unused:UNUSED_PAD src0_sel:DWORD src1_sel:BYTE_0
	v_and_b32_e32 v10, s17, v10
	v_lshrrev_b32_e32 v11, 3, v10
	v_lshlrev_b32_e32 v10, 9, v10
	v_and_or_b32 v10, v10, s0, v0
	v_lshlrev_b32_e32 v10, 1, v10
	v_add_lshl_u32 v39, v10, v11, 1
	ds_read_u16 v24, v39
	s_waitcnt lgkmcnt(0)
	v_add_u16_e32 v10, 1, v24
	ds_write_b16 v39, v10
	v_lshrrev_b32_sdwa v10, s16, v4 dst_sel:DWORD dst_unused:UNUSED_PAD src0_sel:DWORD src1_sel:BYTE_1
	v_and_b32_e32 v10, s17, v10
	v_lshrrev_b32_e32 v11, 3, v10
	v_lshlrev_b32_e32 v10, 9, v10
	v_and_or_b32 v10, v10, s0, v0
	v_lshlrev_b32_e32 v10, 1, v10
	v_add_lshl_u32 v41, v10, v11, 1
	ds_read_u16 v25, v41
	s_waitcnt lgkmcnt(0)
	v_add_u16_e32 v10, 1, v25
	ds_write_b16 v41, v10
	v_lshrrev_b32_sdwa v10, s16, v4 dst_sel:DWORD dst_unused:UNUSED_PAD src0_sel:DWORD src1_sel:BYTE_2
	v_and_b32_e32 v10, s17, v10
	v_lshrrev_b32_e32 v11, 3, v10
	v_lshlrev_b32_e32 v10, 9, v10
	v_and_or_b32 v10, v10, s0, v0
	v_lshlrev_b32_e32 v10, 1, v10
	v_add_lshl_u32 v43, v10, v11, 1
	ds_read_u16 v26, v43
	v_alignbit_b32 v10, v5, v4, 24
	v_lshrrev_b32_sdwa v10, s16, v10 dst_sel:DWORD dst_unused:UNUSED_PAD src0_sel:DWORD src1_sel:BYTE_0
	v_and_b32_e32 v10, s17, v10
	s_waitcnt lgkmcnt(0)
	v_add_u16_e32 v11, 1, v26
	ds_write_b16 v43, v11
	v_lshrrev_b32_e32 v11, 3, v10
	v_lshlrev_b32_e32 v10, 9, v10
	v_and_or_b32 v10, v10, s0, v0
	v_lshlrev_b32_e32 v10, 1, v10
	v_add_lshl_u32 v45, v10, v11, 1
	ds_read_u16 v27, v45
	s_waitcnt lgkmcnt(0)
	v_add_u16_e32 v10, 1, v27
	ds_write_b16 v45, v10
	v_lshrrev_b32_sdwa v10, s16, v5 dst_sel:DWORD dst_unused:UNUSED_PAD src0_sel:DWORD src1_sel:BYTE_0
	v_and_b32_e32 v10, s17, v10
	v_lshrrev_b32_e32 v11, 3, v10
	v_lshlrev_b32_e32 v10, 9, v10
	v_and_or_b32 v10, v10, s0, v0
	v_lshlrev_b32_e32 v10, 1, v10
	v_add_lshl_u32 v47, v10, v11, 1
	ds_read_u16 v29, v47
	s_waitcnt lgkmcnt(0)
	v_add_u16_e32 v10, 1, v29
	ds_write_b16 v47, v10
	v_lshrrev_b32_sdwa v10, s16, v5 dst_sel:DWORD dst_unused:UNUSED_PAD src0_sel:DWORD src1_sel:BYTE_1
	v_and_b32_e32 v10, s17, v10
	v_lshrrev_b32_e32 v11, 3, v10
	v_lshlrev_b32_e32 v10, 9, v10
	v_and_or_b32 v10, v10, s0, v0
	v_lshlrev_b32_e32 v10, 1, v10
	v_add_lshl_u32 v48, v10, v11, 1
	ds_read_u16 v30, v48
	s_waitcnt lgkmcnt(0)
	v_add_u16_e32 v10, 1, v30
	ds_write_b16 v48, v10
	v_lshrrev_b32_sdwa v10, s16, v5 dst_sel:DWORD dst_unused:UNUSED_PAD src0_sel:DWORD src1_sel:BYTE_2
	v_and_b32_e32 v10, s17, v10
	v_lshrrev_b32_e32 v11, 3, v10
	v_lshlrev_b32_e32 v10, 9, v10
	v_and_or_b32 v10, v10, s0, v0
	v_lshlrev_b32_e32 v10, 1, v10
	v_add_lshl_u32 v49, v10, v11, 1
	ds_read_u16 v32, v49
	s_waitcnt lgkmcnt(0)
	v_add_u16_e32 v10, 1, v32
	ds_write_b16 v49, v10
	v_lshrrev_b32_e32 v10, s16, v28
	v_and_b32_e32 v10, s17, v10
	v_lshrrev_b32_e32 v11, 3, v10
	v_lshlrev_b32_e32 v10, 9, v10
	v_and_or_b32 v10, v10, s0, v0
	v_lshlrev_b32_e32 v10, 1, v10
	v_add_lshl_u32 v50, v10, v11, 1
	ds_read_u16 v34, v50
	s_waitcnt lgkmcnt(0)
	v_add_u16_e32 v10, 1, v34
	ds_write_b16 v50, v10
	v_lshrrev_b32_sdwa v10, s16, v8 dst_sel:DWORD dst_unused:UNUSED_PAD src0_sel:DWORD src1_sel:BYTE_0
	v_and_b32_e32 v10, s17, v10
	v_lshrrev_b32_e32 v11, 3, v10
	v_lshlrev_b32_e32 v10, 9, v10
	v_and_or_b32 v10, v10, s0, v0
	v_lshlrev_b32_e32 v10, 1, v10
	v_add_lshl_u32 v51, v10, v11, 1
	ds_read_u16 v36, v51
	s_waitcnt lgkmcnt(0)
	v_add_u16_e32 v10, 1, v36
	ds_write_b16 v51, v10
	v_lshrrev_b32_sdwa v10, s16, v8 dst_sel:DWORD dst_unused:UNUSED_PAD src0_sel:DWORD src1_sel:BYTE_1
	v_and_b32_e32 v10, s17, v10
	v_lshrrev_b32_e32 v11, 3, v10
	v_lshlrev_b32_e32 v10, 9, v10
	v_and_or_b32 v10, v10, s0, v0
	v_lshlrev_b32_e32 v10, 1, v10
	v_add_lshl_u32 v52, v10, v11, 1
	ds_read_u16 v38, v52
	s_waitcnt lgkmcnt(0)
	v_add_u16_e32 v10, 1, v38
	ds_write_b16 v52, v10
	v_lshrrev_b32_sdwa v10, s16, v8 dst_sel:DWORD dst_unused:UNUSED_PAD src0_sel:DWORD src1_sel:BYTE_2
	v_and_b32_e32 v10, s17, v10
	v_lshrrev_b32_e32 v11, 3, v10
	v_lshlrev_b32_e32 v10, 9, v10
	v_and_or_b32 v10, v10, s0, v0
	v_lshlrev_b32_e32 v10, 1, v10
	v_add_lshl_u32 v53, v10, v11, 1
	ds_read_u16 v40, v53
	v_alignbit_b32 v10, v9, v8, 24
	v_lshrrev_b32_sdwa v10, s16, v10 dst_sel:DWORD dst_unused:UNUSED_PAD src0_sel:DWORD src1_sel:BYTE_0
	v_and_b32_e32 v10, s17, v10
	s_waitcnt lgkmcnt(0)
	v_add_u16_e32 v11, 1, v40
	ds_write_b16 v53, v11
	v_lshrrev_b32_e32 v11, 3, v10
	v_lshlrev_b32_e32 v10, 9, v10
	v_and_or_b32 v10, v10, s0, v0
	v_lshlrev_b32_e32 v10, 1, v10
	v_add_lshl_u32 v54, v10, v11, 1
	ds_read_u16 v42, v54
	s_waitcnt lgkmcnt(0)
	v_add_u16_e32 v10, 1, v42
	ds_write_b16 v54, v10
	v_lshrrev_b32_sdwa v10, s16, v9 dst_sel:DWORD dst_unused:UNUSED_PAD src0_sel:DWORD src1_sel:BYTE_0
	v_and_b32_e32 v10, s17, v10
	v_lshrrev_b32_e32 v11, 3, v10
	v_lshlrev_b32_e32 v10, 9, v10
	v_and_or_b32 v10, v10, s0, v0
	v_lshlrev_b32_e32 v10, 1, v10
	v_add_lshl_u32 v55, v10, v11, 1
	ds_read_u16 v44, v55
	s_waitcnt lgkmcnt(0)
	v_add_u16_e32 v10, 1, v44
	ds_write_b16 v55, v10
	v_lshrrev_b32_sdwa v10, s16, v9 dst_sel:DWORD dst_unused:UNUSED_PAD src0_sel:DWORD src1_sel:BYTE_1
	v_and_b32_e32 v10, s17, v10
	v_lshrrev_b32_e32 v11, 3, v10
	v_lshlrev_b32_e32 v10, 9, v10
	v_and_or_b32 v10, v10, s0, v0
	v_lshlrev_b32_e32 v10, 1, v10
	v_add_lshl_u32 v56, v10, v11, 1
	ds_read_u16 v46, v56
	s_waitcnt lgkmcnt(0)
	v_add_u16_e32 v10, 1, v46
	ds_write_b16 v56, v10
	s_waitcnt lgkmcnt(0)
	s_barrier
	ds_read2_b64 v[10:13], v57 offset1:1
	ds_read2_b64 v[58:61], v57 offset0:2 offset1:3
	s_waitcnt lgkmcnt(1)
	v_add_u32_e32 v10, v11, v10
	v_add3_u32 v10, v10, v12, v13
	v_mbcnt_lo_u32_b32 v11, -1, 0
	s_waitcnt lgkmcnt(0)
	v_add3_u32 v10, v10, v58, v59
	v_mbcnt_hi_u32_b32 v58, -1, v11
	v_add3_u32 v10, v10, v60, v61
	v_and_b32_e32 v11, 15, v58
	v_cmp_ne_u32_e32 vcc, 0, v11
	v_mov_b32_dpp v12, v10 row_shr:1 row_mask:0xf bank_mask:0xf
	v_cndmask_b32_e32 v12, 0, v12, vcc
	v_add_u32_e32 v10, v12, v10
	v_cmp_lt_u32_e32 vcc, 1, v11
	s_nop 0
	v_mov_b32_dpp v12, v10 row_shr:2 row_mask:0xf bank_mask:0xf
	v_cndmask_b32_e32 v12, 0, v12, vcc
	v_add_u32_e32 v10, v10, v12
	v_cmp_lt_u32_e32 vcc, 3, v11
	s_nop 0
	;; [unrolled: 5-line block ×3, first 2 shown]
	v_mov_b32_dpp v12, v10 row_shr:8 row_mask:0xf bank_mask:0xf
	v_cndmask_b32_e32 v11, 0, v12, vcc
	v_add_u32_e32 v10, v10, v11
	v_bfe_i32 v12, v58, 4, 1
	v_cmp_lt_u32_e32 vcc, 31, v58
	v_mov_b32_dpp v11, v10 row_bcast:15 row_mask:0xf bank_mask:0xf
	v_and_b32_e32 v11, v12, v11
	v_add_u32_e32 v10, v10, v11
	s_nop 1
	v_mov_b32_dpp v11, v10 row_bcast:31 row_mask:0xf bank_mask:0xf
	v_cndmask_b32_e32 v11, 0, v11, vcc
	v_add_u32_e32 v12, v10, v11
	v_lshrrev_b32_e32 v10, 6, v0
	v_or_b32_e32 v11, 63, v0
	v_cmp_eq_u32_e32 vcc, v11, v0
	v_lshlrev_b32_e32 v10, 2, v10
	s_and_saveexec_b64 s[0:1], vcc
	s_cbranch_execz .LBB324_135
; %bb.134:
	ds_write_b32 v10, v12 offset:16384
.LBB324_135:
	s_or_b64 exec, exec, s[0:1]
	v_cmp_gt_u32_e32 vcc, 8, v0
	s_waitcnt lgkmcnt(0)
	s_barrier
	s_and_saveexec_b64 s[0:1], vcc
	s_cbranch_execz .LBB324_137
; %bb.136:
	s_movk_i32 s2, 0xffe4
	v_mad_i32_i24 v11, v0, s2, v57
	ds_read_b32 v13, v11 offset:16384
	v_and_b32_e32 v59, 7, v58
	v_cmp_ne_u32_e32 vcc, 0, v59
	s_waitcnt lgkmcnt(0)
	v_mov_b32_dpp v60, v13 row_shr:1 row_mask:0xf bank_mask:0xf
	v_cndmask_b32_e32 v60, 0, v60, vcc
	v_add_u32_e32 v13, v60, v13
	v_cmp_lt_u32_e32 vcc, 1, v59
	s_nop 0
	v_mov_b32_dpp v60, v13 row_shr:2 row_mask:0xf bank_mask:0xf
	v_cndmask_b32_e32 v60, 0, v60, vcc
	v_add_u32_e32 v13, v13, v60
	v_cmp_lt_u32_e32 vcc, 3, v59
	s_nop 0
	v_mov_b32_dpp v60, v13 row_shr:4 row_mask:0xf bank_mask:0xf
	v_cndmask_b32_e32 v59, 0, v60, vcc
	v_add_u32_e32 v13, v13, v59
	ds_write_b32 v11, v13 offset:16384
.LBB324_137:
	s_or_b64 exec, exec, s[0:1]
	v_cmp_lt_u32_e32 vcc, 63, v0
	v_mov_b32_e32 v60, 0
	v_mov_b32_e32 v59, 0
	s_waitcnt lgkmcnt(0)
	s_barrier
	s_and_saveexec_b64 s[0:1], vcc
	s_cbranch_execz .LBB324_139
; %bb.138:
	ds_read_b32 v59, v10 offset:16380
.LBB324_139:
	s_or_b64 exec, exec, s[0:1]
	v_lshrrev_b64 v[10:11], 24, v[2:3]
	s_waitcnt lgkmcnt(0)
	v_add_u32_e32 v11, v59, v12
	v_add_u32_e32 v12, -1, v58
	v_and_b32_e32 v13, 64, v58
	v_cmp_lt_i32_e32 vcc, v12, v13
	v_cndmask_b32_e32 v12, v12, v58, vcc
	v_lshlrev_b32_e32 v12, 2, v12
	ds_bpermute_b32 v11, v12, v11
	v_lshrrev_b64 v[12:13], 24, v[4:5]
	ds_read_b32 v13, v60 offset:16412
	ds_read2_b64 v[60:63], v57 offset1:1
	v_cmp_eq_u32_e32 vcc, 0, v58
	ds_read_b32 v66, v57 offset:24
	ds_read_b64 v[64:65], v57 offset:16
	s_waitcnt lgkmcnt(4)
	v_cndmask_b32_e32 v11, v11, v59, vcc
	s_waitcnt lgkmcnt(3)
	v_lshl_add_u32 v58, v13, 16, v11
	s_waitcnt lgkmcnt(2)
	v_add_u32_e32 v59, v58, v60
	v_add_u32_e32 v60, v61, v59
	;; [unrolled: 1-line block ×3, first 2 shown]
	ds_write2_b64 v57, v[58:59], v[60:61] offset1:1
	v_add_u32_e32 v58, v63, v61
	s_waitcnt lgkmcnt(1)
	v_add_u32_e32 v59, v64, v58
	v_add_u32_e32 v60, v65, v59
	;; [unrolled: 1-line block ×3, first 2 shown]
	ds_write2_b64 v57, v[58:59], v[60:61] offset0:2 offset1:3
	s_waitcnt lgkmcnt(0)
	s_barrier
	ds_read_u16 v13, v6
	ds_read_u16 v57, v7
	;; [unrolled: 1-line block ×22, first 2 shown]
	v_lshrrev_b64 v[14:15], 24, v[8:9]
	v_cmp_lt_u32_e64 s[0:1], 15, v0
	v_cmp_gt_u32_e32 vcc, 16, v0
	v_pk_mov_b32 v[6:7], 0, 0
                                        ; implicit-def: $vgpr11
	s_and_saveexec_b64 s[12:13], vcc
	s_cbranch_execz .LBB324_143
; %bb.140:
	v_lshrrev_b32_e32 v6, 3, v0
	v_lshlrev_b32_e32 v7, 10, v0
	s_movk_i32 s22, 0x1c00
	v_and_or_b32 v6, v7, s22, v6
	v_lshlrev_b32_e32 v6, 1, v6
	ds_read_u16 v6, v6
	v_add_u32_e32 v11, 1, v0
	v_cmp_ne_u32_e64 s[2:3], 16, v11
	v_mov_b32_e32 v7, 0x2c00
	s_and_saveexec_b64 s[20:21], s[2:3]
	s_cbranch_execz .LBB324_142
; %bb.141:
	v_lshlrev_b32_e32 v7, 10, v11
	v_lshrrev_b32_e32 v11, 3, v11
	v_and_or_b32 v7, v7, s22, v11
	v_lshlrev_b32_e32 v7, 1, v7
	ds_read_u16 v7, v7
.LBB324_142:
	s_or_b64 exec, exec, s[20:21]
	s_waitcnt lgkmcnt(0)
	v_and_b32_e32 v6, 0xffff, v6
	s_mov_b32 s2, 0
	v_sub_u32_e32 v11, v7, v6
	v_mov_b32_e32 v7, s2
.LBB324_143:
	s_or_b64 exec, exec, s[12:13]
	s_waitcnt lgkmcnt(14)
	v_add_u32_sdwa v1, v13, v1 dst_sel:DWORD dst_unused:UNUSED_PAD src0_sel:WORD_0 src1_sel:WORD_0
	v_lshrrev_b32_e32 v68, 8, v2
	v_lshrrev_b32_e32 v69, 16, v2
	;; [unrolled: 1-line block ×11, first 2 shown]
	v_add_u32_sdwa v13, v57, v16 dst_sel:DWORD dst_unused:UNUSED_PAD src0_sel:WORD_0 src1_sel:WORD_0
	v_add_u32_sdwa v16, v58, v17 dst_sel:DWORD dst_unused:UNUSED_PAD src0_sel:WORD_0 src1_sel:WORD_0
	;; [unrolled: 1-line block ×7, first 2 shown]
	s_waitcnt lgkmcnt(13)
	v_add_u32_sdwa v23, v39, v24 dst_sel:DWORD dst_unused:UNUSED_PAD src0_sel:WORD_0 src1_sel:WORD_0
	s_waitcnt lgkmcnt(12)
	v_add_u32_sdwa v24, v41, v25 dst_sel:DWORD dst_unused:UNUSED_PAD src0_sel:WORD_0 src1_sel:WORD_0
	;; [unrolled: 2-line block ×14, first 2 shown]
	s_barrier
	ds_write_b8 v1, v2 offset:128
	ds_write_b8 v13, v68 offset:128
	;; [unrolled: 1-line block ×22, first 2 shown]
	s_and_saveexec_b64 s[2:3], s[0:1]
	s_xor_b64 s[0:1], exec, s[2:3]
; %bb.144:
	v_mov_b32_e32 v1, 0
; %bb.145:
	s_andn2_saveexec_b64 s[2:3], s[0:1]
	s_cbranch_execz .LBB324_155
; %bb.146:
	v_lshl_or_b32 v2, s24, 4, v0
	v_mov_b32_e32 v3, 0
	v_lshlrev_b64 v[4:5], 2, v[2:3]
	v_mov_b32_e32 v1, s7
	v_add_co_u32_e64 v4, s[0:1], s6, v4
	v_addc_co_u32_e64 v5, s[0:1], v1, v5, s[0:1]
	v_or_b32_e32 v2, 2.0, v11
	s_mov_b64 s[12:13], 0
	s_brev_b32 s7, 1
	s_mov_b32 s25, s24
	v_mov_b32_e32 v10, 0
	global_store_dword v[4:5], v2, off
                                        ; implicit-def: $sgpr0_sgpr1
	s_branch .LBB324_149
.LBB324_147:                            ;   in Loop: Header=BB324_149 Depth=1
	s_or_b64 exec, exec, s[22:23]
.LBB324_148:                            ;   in Loop: Header=BB324_149 Depth=1
	s_or_b64 exec, exec, s[20:21]
	v_and_b32_e32 v8, 0x3fffffff, v12
	v_add_u32_e32 v10, v8, v10
	v_cmp_eq_u32_e64 s[0:1], s7, v2
	s_and_b64 s[20:21], exec, s[0:1]
	s_or_b64 s[12:13], s[20:21], s[12:13]
	s_andn2_b64 exec, exec, s[12:13]
	s_cbranch_execz .LBB324_154
.LBB324_149:                            ; =>This Loop Header: Depth=1
                                        ;     Child Loop BB324_152 Depth 2
	s_or_b64 s[0:1], s[0:1], exec
	s_cmp_eq_u32 s25, 0
	s_cbranch_scc1 .LBB324_153
; %bb.150:                              ;   in Loop: Header=BB324_149 Depth=1
	s_add_i32 s25, s25, -1
	v_lshl_or_b32 v2, s25, 4, v0
	v_lshlrev_b64 v[8:9], 2, v[2:3]
	v_add_co_u32_e64 v8, s[0:1], s6, v8
	v_addc_co_u32_e64 v9, s[0:1], v1, v9, s[0:1]
	global_load_dword v12, v[8:9], off glc
	s_waitcnt vmcnt(0)
	v_and_b32_e32 v2, -2.0, v12
	v_cmp_eq_u32_e64 s[0:1], 0, v2
	s_and_saveexec_b64 s[20:21], s[0:1]
	s_cbranch_execz .LBB324_148
; %bb.151:                              ;   in Loop: Header=BB324_149 Depth=1
	s_mov_b64 s[22:23], 0
.LBB324_152:                            ;   Parent Loop BB324_149 Depth=1
                                        ; =>  This Inner Loop Header: Depth=2
	global_load_dword v12, v[8:9], off glc
	s_waitcnt vmcnt(0)
	v_and_b32_e32 v2, -2.0, v12
	v_cmp_ne_u32_e64 s[0:1], 0, v2
	s_or_b64 s[22:23], s[0:1], s[22:23]
	s_andn2_b64 exec, exec, s[22:23]
	s_cbranch_execnz .LBB324_152
	s_branch .LBB324_147
.LBB324_153:                            ;   in Loop: Header=BB324_149 Depth=1
                                        ; implicit-def: $sgpr25
	s_and_b64 s[20:21], exec, s[0:1]
	s_or_b64 s[12:13], s[20:21], s[12:13]
	s_andn2_b64 exec, exec, s[12:13]
	s_cbranch_execnz .LBB324_149
.LBB324_154:
	s_or_b64 exec, exec, s[12:13]
	v_add_u32_e32 v1, v10, v11
	v_or_b32_e32 v1, 0x80000000, v1
	global_store_dword v[4:5], v1, off
	v_lshlrev_b32_e32 v4, 3, v0
	global_load_dwordx2 v[2:3], v4, s[8:9]
	v_sub_co_u32_e64 v5, s[0:1], v10, v6
	v_subb_co_u32_e64 v8, s[0:1], 0, v7, s[0:1]
	v_mov_b32_e32 v1, 0
	s_waitcnt vmcnt(0)
	v_add_co_u32_e64 v2, s[0:1], v5, v2
	v_addc_co_u32_e64 v3, s[0:1], v8, v3, s[0:1]
	ds_write_b64 v4, v[2:3]
.LBB324_155:
	s_or_b64 exec, exec, s[2:3]
	s_waitcnt lgkmcnt(0)
	s_barrier
	ds_read_u8 v10, v0 offset:10368
	ds_read_u8 v18, v0 offset:9344
	;; [unrolled: 1-line block ×5, first 2 shown]
	s_waitcnt lgkmcnt(4)
	v_lshrrev_b32_sdwa v2, s16, v10 dst_sel:DWORD dst_unused:UNUSED_PAD src0_sel:DWORD src1_sel:BYTE_0
	v_and_b32_e32 v2, s17, v2
	v_lshlrev_b32_e32 v2, 3, v2
	ds_read_b64 v[2:3], v2
	ds_read_u8 v22, v0 offset:128
	s_waitcnt lgkmcnt(2)
	v_lshrrev_b32_sdwa v4, s16, v21 dst_sel:DWORD dst_unused:UNUSED_PAD src0_sel:DWORD src1_sel:BYTE_0
	v_and_b32_e32 v4, s17, v4
	v_lshrrev_b32_sdwa v9, s16, v20 dst_sel:DWORD dst_unused:UNUSED_PAD src0_sel:DWORD src1_sel:BYTE_0
	v_lshlrev_b32_e32 v4, 3, v4
	v_and_b32_e32 v9, s17, v9
	ds_read_b64 v[4:5], v4
	v_lshlrev_b32_e32 v12, 3, v9
	ds_read_u8 v24, v0 offset:1152
	ds_read_u8 v25, v0 offset:1664
	;; [unrolled: 1-line block ×8, first 2 shown]
	s_waitcnt lgkmcnt(7)
	v_lshrrev_b32_sdwa v9, s16, v24 dst_sel:DWORD dst_unused:UNUSED_PAD src0_sel:DWORD src1_sel:BYTE_0
	v_and_b32_e32 v9, s17, v9
	v_lshrrev_b32_sdwa v8, s16, v22 dst_sel:DWORD dst_unused:UNUSED_PAD src0_sel:DWORD src1_sel:BYTE_0
	v_lshlrev_b32_e32 v14, 3, v9
	s_waitcnt lgkmcnt(6)
	v_lshrrev_b32_sdwa v9, s16, v25 dst_sel:DWORD dst_unused:UNUSED_PAD src0_sel:DWORD src1_sel:BYTE_0
	v_and_b32_e32 v8, s17, v8
	v_and_b32_e32 v9, s17, v9
	v_lshlrev_b32_e32 v8, 3, v8
	v_lshlrev_b32_e32 v16, 3, v9
	ds_read_b64 v[8:9], v8
	ds_read_b64 v[12:13], v12
	;; [unrolled: 1-line block ×4, first 2 shown]
	v_mov_b32_e32 v23, s15
	s_waitcnt lgkmcnt(3)
	v_add_co_u32_e64 v8, s[0:1], s14, v8
	v_addc_co_u32_e64 v9, s[0:1], v23, v9, s[0:1]
	v_add_co_u32_e64 v8, s[0:1], v8, v0
	v_addc_co_u32_e64 v9, s[0:1], v9, v1, s[0:1]
	global_store_byte v[8:9], v22, off
	v_mov_b32_e32 v8, s15
	s_waitcnt lgkmcnt(2)
	v_add_co_u32_e64 v9, s[0:1], s14, v12
	v_addc_co_u32_e64 v12, s[0:1], v8, v13, s[0:1]
	v_add_co_u32_e64 v8, s[0:1], v9, v0
	v_addc_co_u32_e64 v9, s[0:1], v12, v1, s[0:1]
	global_store_byte v[8:9], v20, off offset:512
	v_mov_b32_e32 v8, s15
	s_waitcnt lgkmcnt(1)
	v_add_co_u32_e64 v9, s[0:1], s14, v14
	v_addc_co_u32_e64 v12, s[0:1], v8, v15, s[0:1]
	v_add_co_u32_e64 v8, s[0:1], v9, v0
	v_addc_co_u32_e64 v9, s[0:1], v12, v1, s[0:1]
	global_store_byte v[8:9], v24, off offset:1024
	;; [unrolled: 7-line block ×3, first 2 shown]
	v_lshrrev_b32_sdwa v9, s16, v27 dst_sel:DWORD dst_unused:UNUSED_PAD src0_sel:DWORD src1_sel:BYTE_0
	v_and_b32_e32 v9, s17, v9
	v_lshlrev_b32_e32 v12, 3, v9
	v_lshrrev_b32_sdwa v9, s16, v28 dst_sel:DWORD dst_unused:UNUSED_PAD src0_sel:DWORD src1_sel:BYTE_0
	v_and_b32_e32 v9, s17, v9
	v_lshrrev_b32_sdwa v8, s16, v26 dst_sel:DWORD dst_unused:UNUSED_PAD src0_sel:DWORD src1_sel:BYTE_0
	v_lshlrev_b32_e32 v14, 3, v9
	v_lshrrev_b32_sdwa v9, s16, v29 dst_sel:DWORD dst_unused:UNUSED_PAD src0_sel:DWORD src1_sel:BYTE_0
	v_and_b32_e32 v8, s17, v8
	v_and_b32_e32 v9, s17, v9
	v_lshlrev_b32_e32 v8, 3, v8
	v_lshlrev_b32_e32 v16, 3, v9
	ds_read_b64 v[8:9], v8
	ds_read_b64 v[12:13], v12
	ds_read_b64 v[14:15], v14
	ds_read_b64 v[16:17], v16
	v_mov_b32_e32 v20, s15
	s_waitcnt lgkmcnt(3)
	v_add_co_u32_e64 v8, s[0:1], s14, v8
	v_addc_co_u32_e64 v9, s[0:1], v20, v9, s[0:1]
	v_add_co_u32_e64 v8, s[0:1], v8, v0
	v_addc_co_u32_e64 v9, s[0:1], v9, v1, s[0:1]
	global_store_byte v[8:9], v26, off offset:2048
	v_mov_b32_e32 v8, s15
	s_waitcnt lgkmcnt(2)
	v_add_co_u32_e64 v9, s[0:1], s14, v12
	v_addc_co_u32_e64 v12, s[0:1], v8, v13, s[0:1]
	v_add_co_u32_e64 v8, s[0:1], v9, v0
	v_addc_co_u32_e64 v9, s[0:1], v12, v1, s[0:1]
	global_store_byte v[8:9], v27, off offset:2560
	;; [unrolled: 7-line block ×4, first 2 shown]
	v_lshrrev_b32_sdwa v9, s16, v31 dst_sel:DWORD dst_unused:UNUSED_PAD src0_sel:DWORD src1_sel:BYTE_0
	v_and_b32_e32 v9, s17, v9
	v_lshlrev_b32_e32 v12, 3, v9
	ds_read_u8 v23, v0 offset:5248
	ds_read_u8 v24, v0 offset:5760
	;; [unrolled: 1-line block ×8, first 2 shown]
	s_waitcnt lgkmcnt(7)
	v_lshrrev_b32_sdwa v9, s16, v23 dst_sel:DWORD dst_unused:UNUSED_PAD src0_sel:DWORD src1_sel:BYTE_0
	v_and_b32_e32 v9, s17, v9
	v_lshrrev_b32_sdwa v8, s16, v30 dst_sel:DWORD dst_unused:UNUSED_PAD src0_sel:DWORD src1_sel:BYTE_0
	v_lshlrev_b32_e32 v14, 3, v9
	s_waitcnt lgkmcnt(6)
	v_lshrrev_b32_sdwa v9, s16, v24 dst_sel:DWORD dst_unused:UNUSED_PAD src0_sel:DWORD src1_sel:BYTE_0
	v_and_b32_e32 v8, s17, v8
	v_and_b32_e32 v9, s17, v9
	v_lshlrev_b32_e32 v8, 3, v8
	v_lshlrev_b32_e32 v16, 3, v9
	ds_read_b64 v[8:9], v8
	ds_read_b64 v[12:13], v12
	;; [unrolled: 1-line block ×4, first 2 shown]
	v_mov_b32_e32 v22, s15
	s_waitcnt lgkmcnt(3)
	v_add_co_u32_e64 v8, s[0:1], s14, v8
	v_or_b32_e32 v20, 0x1000, v0
	v_addc_co_u32_e64 v9, s[0:1], v22, v9, s[0:1]
	v_add_co_u32_e64 v8, s[0:1], v8, v20
	v_addc_co_u32_e64 v9, s[0:1], 0, v9, s[0:1]
	global_store_byte v[8:9], v30, off
	v_mov_b32_e32 v9, s15
	s_waitcnt lgkmcnt(2)
	v_add_co_u32_e64 v12, s[0:1], s14, v12
	v_or_b32_e32 v8, 0x1200, v0
	v_addc_co_u32_e64 v9, s[0:1], v9, v13, s[0:1]
	v_add_co_u32_e64 v8, s[0:1], v12, v8
	v_addc_co_u32_e64 v9, s[0:1], 0, v9, s[0:1]
	global_store_byte v[8:9], v31, off
	;; [unrolled: 8-line block ×4, first 2 shown]
	v_lshrrev_b32_sdwa v9, s16, v26 dst_sel:DWORD dst_unused:UNUSED_PAD src0_sel:DWORD src1_sel:BYTE_0
	v_and_b32_e32 v9, s17, v9
	v_lshlrev_b32_e32 v12, 3, v9
	v_lshrrev_b32_sdwa v9, s16, v27 dst_sel:DWORD dst_unused:UNUSED_PAD src0_sel:DWORD src1_sel:BYTE_0
	v_and_b32_e32 v9, s17, v9
	v_lshrrev_b32_sdwa v8, s16, v25 dst_sel:DWORD dst_unused:UNUSED_PAD src0_sel:DWORD src1_sel:BYTE_0
	v_lshlrev_b32_e32 v14, 3, v9
	v_lshrrev_b32_sdwa v9, s16, v28 dst_sel:DWORD dst_unused:UNUSED_PAD src0_sel:DWORD src1_sel:BYTE_0
	v_and_b32_e32 v8, s17, v8
	v_and_b32_e32 v9, s17, v9
	v_lshlrev_b32_e32 v8, 3, v8
	v_lshlrev_b32_e32 v16, 3, v9
	ds_read_b64 v[8:9], v8
	ds_read_b64 v[12:13], v12
	ds_read_b64 v[14:15], v14
	ds_read_b64 v[16:17], v16
	v_or_b32_e32 v20, 0x1800, v0
	s_waitcnt lgkmcnt(3)
	v_add_co_u32_e64 v8, s[0:1], s14, v8
	v_addc_co_u32_e64 v9, s[0:1], v22, v9, s[0:1]
	v_add_co_u32_e64 v8, s[0:1], v8, v20
	v_addc_co_u32_e64 v9, s[0:1], 0, v9, s[0:1]
	global_store_byte v[8:9], v25, off
	v_mov_b32_e32 v9, s15
	s_waitcnt lgkmcnt(2)
	v_add_co_u32_e64 v12, s[0:1], s14, v12
	v_or_b32_e32 v8, 0x1a00, v0
	v_addc_co_u32_e64 v9, s[0:1], v9, v13, s[0:1]
	v_add_co_u32_e64 v8, s[0:1], v12, v8
	v_addc_co_u32_e64 v9, s[0:1], 0, v9, s[0:1]
	global_store_byte v[8:9], v26, off
	v_mov_b32_e32 v9, s15
	s_waitcnt lgkmcnt(1)
	v_add_co_u32_e64 v12, s[0:1], s14, v14
	v_or_b32_e32 v8, 0x1c00, v0
	;; [unrolled: 8-line block ×3, first 2 shown]
	v_addc_co_u32_e64 v9, s[0:1], v9, v17, s[0:1]
	v_add_co_u32_e64 v8, s[0:1], v12, v8
	v_addc_co_u32_e64 v9, s[0:1], 0, v9, s[0:1]
	global_store_byte v[8:9], v28, off
	v_lshrrev_b32_sdwa v9, s16, v32 dst_sel:DWORD dst_unused:UNUSED_PAD src0_sel:DWORD src1_sel:BYTE_0
	v_and_b32_e32 v9, s17, v9
	v_lshlrev_b32_e32 v12, 3, v9
	v_lshrrev_b32_sdwa v9, s16, v18 dst_sel:DWORD dst_unused:UNUSED_PAD src0_sel:DWORD src1_sel:BYTE_0
	v_and_b32_e32 v9, s17, v9
	v_lshrrev_b32_sdwa v8, s16, v29 dst_sel:DWORD dst_unused:UNUSED_PAD src0_sel:DWORD src1_sel:BYTE_0
	v_lshlrev_b32_e32 v14, 3, v9
	v_lshrrev_b32_sdwa v9, s16, v19 dst_sel:DWORD dst_unused:UNUSED_PAD src0_sel:DWORD src1_sel:BYTE_0
	v_and_b32_e32 v8, s17, v8
	v_and_b32_e32 v9, s17, v9
	v_lshlrev_b32_e32 v8, 3, v8
	v_lshlrev_b32_e32 v16, 3, v9
	ds_read_b64 v[8:9], v8
	ds_read_b64 v[12:13], v12
	;; [unrolled: 1-line block ×4, first 2 shown]
	v_or_b32_e32 v20, 0x2000, v0
	s_waitcnt lgkmcnt(3)
	v_add_co_u32_e64 v8, s[0:1], s14, v8
	v_addc_co_u32_e64 v9, s[0:1], v22, v9, s[0:1]
	v_add_co_u32_e64 v8, s[0:1], v8, v20
	v_addc_co_u32_e64 v9, s[0:1], 0, v9, s[0:1]
	global_store_byte v[8:9], v29, off
	v_mov_b32_e32 v9, s15
	s_waitcnt lgkmcnt(2)
	v_add_co_u32_e64 v12, s[0:1], s14, v12
	v_or_b32_e32 v8, 0x2200, v0
	v_addc_co_u32_e64 v9, s[0:1], v9, v13, s[0:1]
	v_add_co_u32_e64 v8, s[0:1], v12, v8
	v_addc_co_u32_e64 v9, s[0:1], 0, v9, s[0:1]
	global_store_byte v[8:9], v32, off
	v_mov_b32_e32 v9, s15
	s_waitcnt lgkmcnt(1)
	v_add_co_u32_e64 v12, s[0:1], s14, v14
	v_or_b32_e32 v8, 0x2400, v0
	v_addc_co_u32_e64 v9, s[0:1], v9, v15, s[0:1]
	v_add_co_u32_e64 v8, s[0:1], v12, v8
	v_addc_co_u32_e64 v9, s[0:1], 0, v9, s[0:1]
	global_store_byte v[8:9], v18, off
	v_mov_b32_e32 v9, s15
	s_waitcnt lgkmcnt(0)
	v_add_co_u32_e64 v12, s[0:1], s14, v16
	v_or_b32_e32 v8, 0x2600, v0
	v_addc_co_u32_e64 v9, s[0:1], v9, v17, s[0:1]
	v_add_co_u32_e64 v8, s[0:1], v12, v8
	v_addc_co_u32_e64 v9, s[0:1], 0, v9, s[0:1]
	global_store_byte v[8:9], v19, off
	v_mov_b32_e32 v9, s15
	v_add_co_u32_e64 v2, s[0:1], s14, v2
	v_or_b32_e32 v8, 0x2800, v0
	v_addc_co_u32_e64 v3, s[0:1], v9, v3, s[0:1]
	v_add_co_u32_e64 v2, s[0:1], v2, v8
	v_addc_co_u32_e64 v3, s[0:1], 0, v3, s[0:1]
	global_store_byte v[2:3], v10, off
	v_mov_b32_e32 v3, s15
	v_add_co_u32_e64 v4, s[0:1], s14, v4
	v_or_b32_e32 v2, 0x2a00, v0
	v_addc_co_u32_e64 v3, s[0:1], v3, v5, s[0:1]
	v_add_co_u32_e64 v2, s[0:1], v4, v2
	v_addc_co_u32_e64 v3, s[0:1], 0, v3, s[0:1]
	global_store_byte v[2:3], v21, off
	s_load_dword s0, s[4:5], 0x58
                                        ; implicit-def: $vgpr4_vgpr5
	s_waitcnt lgkmcnt(0)
	s_add_i32 s0, s0, -1
	s_cmp_eq_u32 s0, s24
	s_cselect_b64 s[0:1], -1, 0
	s_and_b64 s[2:3], vcc, s[0:1]
	s_and_saveexec_b64 s[0:1], s[2:3]
; %bb.156:
	v_add_co_u32_e32 v4, vcc, v6, v11
	v_addc_co_u32_e32 v5, vcc, 0, v7, vcc
	s_or_b64 s[18:19], s[18:19], exec
; %bb.157:
	s_or_b64 exec, exec, s[0:1]
.LBB324_158:
	s_and_saveexec_b64 s[0:1], s[18:19]
	s_cbranch_execnz .LBB324_160
; %bb.159:
	s_endpgm
.LBB324_160:
	v_lshlrev_b32_e32 v2, 3, v0
	ds_read_b64 v[2:3], v2
	v_lshlrev_b64 v[0:1], 3, v[0:1]
	v_mov_b32_e32 v6, s11
	v_add_co_u32_e32 v0, vcc, s10, v0
	v_addc_co_u32_e32 v1, vcc, v6, v1, vcc
	s_waitcnt lgkmcnt(0)
	v_add_co_u32_e32 v2, vcc, v2, v4
	v_addc_co_u32_e32 v3, vcc, v3, v5, vcc
	global_store_dwordx2 v[0:1], v[2:3], off
	s_endpgm
	.section	.rodata,"a",@progbits
	.p2align	6, 0x0
	.amdhsa_kernel _ZN7rocprim17ROCPRIM_400000_NS6detail17trampoline_kernelINS0_14default_configENS1_35radix_sort_onesweep_config_selectorIhNS0_10empty_typeEEEZZNS1_29radix_sort_onesweep_iterationIS3_Lb0EPhS8_PS5_S9_mNS0_19identity_decomposerENS1_16block_id_wrapperIjLb1EEEEE10hipError_tT1_PNSt15iterator_traitsISE_E10value_typeET2_T3_PNSF_ISK_E10value_typeET4_T5_PSP_SQ_PNS1_23onesweep_lookback_stateEbbT6_jjT7_P12ihipStream_tbENKUlT_T0_SE_SJ_E_clIS8_S8_S9_S9_EEDaSX_SY_SE_SJ_EUlSX_E_NS1_11comp_targetILNS1_3genE4ELNS1_11target_archE910ELNS1_3gpuE8ELNS1_3repE0EEENS1_47radix_sort_onesweep_sort_config_static_selectorELNS0_4arch9wavefront6targetE1EEEvSE_
		.amdhsa_group_segment_fixed_size 16424
		.amdhsa_private_segment_fixed_size 0
		.amdhsa_kernarg_size 344
		.amdhsa_user_sgpr_count 6
		.amdhsa_user_sgpr_private_segment_buffer 1
		.amdhsa_user_sgpr_dispatch_ptr 0
		.amdhsa_user_sgpr_queue_ptr 0
		.amdhsa_user_sgpr_kernarg_segment_ptr 1
		.amdhsa_user_sgpr_dispatch_id 0
		.amdhsa_user_sgpr_flat_scratch_init 0
		.amdhsa_user_sgpr_kernarg_preload_length 0
		.amdhsa_user_sgpr_kernarg_preload_offset 0
		.amdhsa_user_sgpr_private_segment_size 0
		.amdhsa_uses_dynamic_stack 0
		.amdhsa_system_sgpr_private_segment_wavefront_offset 0
		.amdhsa_system_sgpr_workgroup_id_x 1
		.amdhsa_system_sgpr_workgroup_id_y 0
		.amdhsa_system_sgpr_workgroup_id_z 0
		.amdhsa_system_sgpr_workgroup_info 0
		.amdhsa_system_vgpr_workitem_id 0
		.amdhsa_next_free_vgpr 79
		.amdhsa_next_free_sgpr 30
		.amdhsa_accum_offset 80
		.amdhsa_reserve_vcc 1
		.amdhsa_reserve_flat_scratch 0
		.amdhsa_float_round_mode_32 0
		.amdhsa_float_round_mode_16_64 0
		.amdhsa_float_denorm_mode_32 3
		.amdhsa_float_denorm_mode_16_64 3
		.amdhsa_dx10_clamp 1
		.amdhsa_ieee_mode 1
		.amdhsa_fp16_overflow 0
		.amdhsa_tg_split 0
		.amdhsa_exception_fp_ieee_invalid_op 0
		.amdhsa_exception_fp_denorm_src 0
		.amdhsa_exception_fp_ieee_div_zero 0
		.amdhsa_exception_fp_ieee_overflow 0
		.amdhsa_exception_fp_ieee_underflow 0
		.amdhsa_exception_fp_ieee_inexact 0
		.amdhsa_exception_int_div_zero 0
	.end_amdhsa_kernel
	.section	.text._ZN7rocprim17ROCPRIM_400000_NS6detail17trampoline_kernelINS0_14default_configENS1_35radix_sort_onesweep_config_selectorIhNS0_10empty_typeEEEZZNS1_29radix_sort_onesweep_iterationIS3_Lb0EPhS8_PS5_S9_mNS0_19identity_decomposerENS1_16block_id_wrapperIjLb1EEEEE10hipError_tT1_PNSt15iterator_traitsISE_E10value_typeET2_T3_PNSF_ISK_E10value_typeET4_T5_PSP_SQ_PNS1_23onesweep_lookback_stateEbbT6_jjT7_P12ihipStream_tbENKUlT_T0_SE_SJ_E_clIS8_S8_S9_S9_EEDaSX_SY_SE_SJ_EUlSX_E_NS1_11comp_targetILNS1_3genE4ELNS1_11target_archE910ELNS1_3gpuE8ELNS1_3repE0EEENS1_47radix_sort_onesweep_sort_config_static_selectorELNS0_4arch9wavefront6targetE1EEEvSE_,"axG",@progbits,_ZN7rocprim17ROCPRIM_400000_NS6detail17trampoline_kernelINS0_14default_configENS1_35radix_sort_onesweep_config_selectorIhNS0_10empty_typeEEEZZNS1_29radix_sort_onesweep_iterationIS3_Lb0EPhS8_PS5_S9_mNS0_19identity_decomposerENS1_16block_id_wrapperIjLb1EEEEE10hipError_tT1_PNSt15iterator_traitsISE_E10value_typeET2_T3_PNSF_ISK_E10value_typeET4_T5_PSP_SQ_PNS1_23onesweep_lookback_stateEbbT6_jjT7_P12ihipStream_tbENKUlT_T0_SE_SJ_E_clIS8_S8_S9_S9_EEDaSX_SY_SE_SJ_EUlSX_E_NS1_11comp_targetILNS1_3genE4ELNS1_11target_archE910ELNS1_3gpuE8ELNS1_3repE0EEENS1_47radix_sort_onesweep_sort_config_static_selectorELNS0_4arch9wavefront6targetE1EEEvSE_,comdat
.Lfunc_end324:
	.size	_ZN7rocprim17ROCPRIM_400000_NS6detail17trampoline_kernelINS0_14default_configENS1_35radix_sort_onesweep_config_selectorIhNS0_10empty_typeEEEZZNS1_29radix_sort_onesweep_iterationIS3_Lb0EPhS8_PS5_S9_mNS0_19identity_decomposerENS1_16block_id_wrapperIjLb1EEEEE10hipError_tT1_PNSt15iterator_traitsISE_E10value_typeET2_T3_PNSF_ISK_E10value_typeET4_T5_PSP_SQ_PNS1_23onesweep_lookback_stateEbbT6_jjT7_P12ihipStream_tbENKUlT_T0_SE_SJ_E_clIS8_S8_S9_S9_EEDaSX_SY_SE_SJ_EUlSX_E_NS1_11comp_targetILNS1_3genE4ELNS1_11target_archE910ELNS1_3gpuE8ELNS1_3repE0EEENS1_47radix_sort_onesweep_sort_config_static_selectorELNS0_4arch9wavefront6targetE1EEEvSE_, .Lfunc_end324-_ZN7rocprim17ROCPRIM_400000_NS6detail17trampoline_kernelINS0_14default_configENS1_35radix_sort_onesweep_config_selectorIhNS0_10empty_typeEEEZZNS1_29radix_sort_onesweep_iterationIS3_Lb0EPhS8_PS5_S9_mNS0_19identity_decomposerENS1_16block_id_wrapperIjLb1EEEEE10hipError_tT1_PNSt15iterator_traitsISE_E10value_typeET2_T3_PNSF_ISK_E10value_typeET4_T5_PSP_SQ_PNS1_23onesweep_lookback_stateEbbT6_jjT7_P12ihipStream_tbENKUlT_T0_SE_SJ_E_clIS8_S8_S9_S9_EEDaSX_SY_SE_SJ_EUlSX_E_NS1_11comp_targetILNS1_3genE4ELNS1_11target_archE910ELNS1_3gpuE8ELNS1_3repE0EEENS1_47radix_sort_onesweep_sort_config_static_selectorELNS0_4arch9wavefront6targetE1EEEvSE_
                                        ; -- End function
	.section	.AMDGPU.csdata,"",@progbits
; Kernel info:
; codeLenInByte = 12208
; NumSgprs: 34
; NumVgprs: 79
; NumAgprs: 0
; TotalNumVgprs: 79
; ScratchSize: 0
; MemoryBound: 0
; FloatMode: 240
; IeeeMode: 1
; LDSByteSize: 16424 bytes/workgroup (compile time only)
; SGPRBlocks: 4
; VGPRBlocks: 9
; NumSGPRsForWavesPerEU: 34
; NumVGPRsForWavesPerEU: 79
; AccumOffset: 80
; Occupancy: 6
; WaveLimiterHint : 0
; COMPUTE_PGM_RSRC2:SCRATCH_EN: 0
; COMPUTE_PGM_RSRC2:USER_SGPR: 6
; COMPUTE_PGM_RSRC2:TRAP_HANDLER: 0
; COMPUTE_PGM_RSRC2:TGID_X_EN: 1
; COMPUTE_PGM_RSRC2:TGID_Y_EN: 0
; COMPUTE_PGM_RSRC2:TGID_Z_EN: 0
; COMPUTE_PGM_RSRC2:TIDIG_COMP_CNT: 0
; COMPUTE_PGM_RSRC3_GFX90A:ACCUM_OFFSET: 19
; COMPUTE_PGM_RSRC3_GFX90A:TG_SPLIT: 0
	.section	.text._ZN7rocprim17ROCPRIM_400000_NS6detail17trampoline_kernelINS0_14default_configENS1_35radix_sort_onesweep_config_selectorIhNS0_10empty_typeEEEZZNS1_29radix_sort_onesweep_iterationIS3_Lb0EPhS8_PS5_S9_mNS0_19identity_decomposerENS1_16block_id_wrapperIjLb1EEEEE10hipError_tT1_PNSt15iterator_traitsISE_E10value_typeET2_T3_PNSF_ISK_E10value_typeET4_T5_PSP_SQ_PNS1_23onesweep_lookback_stateEbbT6_jjT7_P12ihipStream_tbENKUlT_T0_SE_SJ_E_clIS8_S8_S9_S9_EEDaSX_SY_SE_SJ_EUlSX_E_NS1_11comp_targetILNS1_3genE3ELNS1_11target_archE908ELNS1_3gpuE7ELNS1_3repE0EEENS1_47radix_sort_onesweep_sort_config_static_selectorELNS0_4arch9wavefront6targetE1EEEvSE_,"axG",@progbits,_ZN7rocprim17ROCPRIM_400000_NS6detail17trampoline_kernelINS0_14default_configENS1_35radix_sort_onesweep_config_selectorIhNS0_10empty_typeEEEZZNS1_29radix_sort_onesweep_iterationIS3_Lb0EPhS8_PS5_S9_mNS0_19identity_decomposerENS1_16block_id_wrapperIjLb1EEEEE10hipError_tT1_PNSt15iterator_traitsISE_E10value_typeET2_T3_PNSF_ISK_E10value_typeET4_T5_PSP_SQ_PNS1_23onesweep_lookback_stateEbbT6_jjT7_P12ihipStream_tbENKUlT_T0_SE_SJ_E_clIS8_S8_S9_S9_EEDaSX_SY_SE_SJ_EUlSX_E_NS1_11comp_targetILNS1_3genE3ELNS1_11target_archE908ELNS1_3gpuE7ELNS1_3repE0EEENS1_47radix_sort_onesweep_sort_config_static_selectorELNS0_4arch9wavefront6targetE1EEEvSE_,comdat
	.protected	_ZN7rocprim17ROCPRIM_400000_NS6detail17trampoline_kernelINS0_14default_configENS1_35radix_sort_onesweep_config_selectorIhNS0_10empty_typeEEEZZNS1_29radix_sort_onesweep_iterationIS3_Lb0EPhS8_PS5_S9_mNS0_19identity_decomposerENS1_16block_id_wrapperIjLb1EEEEE10hipError_tT1_PNSt15iterator_traitsISE_E10value_typeET2_T3_PNSF_ISK_E10value_typeET4_T5_PSP_SQ_PNS1_23onesweep_lookback_stateEbbT6_jjT7_P12ihipStream_tbENKUlT_T0_SE_SJ_E_clIS8_S8_S9_S9_EEDaSX_SY_SE_SJ_EUlSX_E_NS1_11comp_targetILNS1_3genE3ELNS1_11target_archE908ELNS1_3gpuE7ELNS1_3repE0EEENS1_47radix_sort_onesweep_sort_config_static_selectorELNS0_4arch9wavefront6targetE1EEEvSE_ ; -- Begin function _ZN7rocprim17ROCPRIM_400000_NS6detail17trampoline_kernelINS0_14default_configENS1_35radix_sort_onesweep_config_selectorIhNS0_10empty_typeEEEZZNS1_29radix_sort_onesweep_iterationIS3_Lb0EPhS8_PS5_S9_mNS0_19identity_decomposerENS1_16block_id_wrapperIjLb1EEEEE10hipError_tT1_PNSt15iterator_traitsISE_E10value_typeET2_T3_PNSF_ISK_E10value_typeET4_T5_PSP_SQ_PNS1_23onesweep_lookback_stateEbbT6_jjT7_P12ihipStream_tbENKUlT_T0_SE_SJ_E_clIS8_S8_S9_S9_EEDaSX_SY_SE_SJ_EUlSX_E_NS1_11comp_targetILNS1_3genE3ELNS1_11target_archE908ELNS1_3gpuE7ELNS1_3repE0EEENS1_47radix_sort_onesweep_sort_config_static_selectorELNS0_4arch9wavefront6targetE1EEEvSE_
	.globl	_ZN7rocprim17ROCPRIM_400000_NS6detail17trampoline_kernelINS0_14default_configENS1_35radix_sort_onesweep_config_selectorIhNS0_10empty_typeEEEZZNS1_29radix_sort_onesweep_iterationIS3_Lb0EPhS8_PS5_S9_mNS0_19identity_decomposerENS1_16block_id_wrapperIjLb1EEEEE10hipError_tT1_PNSt15iterator_traitsISE_E10value_typeET2_T3_PNSF_ISK_E10value_typeET4_T5_PSP_SQ_PNS1_23onesweep_lookback_stateEbbT6_jjT7_P12ihipStream_tbENKUlT_T0_SE_SJ_E_clIS8_S8_S9_S9_EEDaSX_SY_SE_SJ_EUlSX_E_NS1_11comp_targetILNS1_3genE3ELNS1_11target_archE908ELNS1_3gpuE7ELNS1_3repE0EEENS1_47radix_sort_onesweep_sort_config_static_selectorELNS0_4arch9wavefront6targetE1EEEvSE_
	.p2align	8
	.type	_ZN7rocprim17ROCPRIM_400000_NS6detail17trampoline_kernelINS0_14default_configENS1_35radix_sort_onesweep_config_selectorIhNS0_10empty_typeEEEZZNS1_29radix_sort_onesweep_iterationIS3_Lb0EPhS8_PS5_S9_mNS0_19identity_decomposerENS1_16block_id_wrapperIjLb1EEEEE10hipError_tT1_PNSt15iterator_traitsISE_E10value_typeET2_T3_PNSF_ISK_E10value_typeET4_T5_PSP_SQ_PNS1_23onesweep_lookback_stateEbbT6_jjT7_P12ihipStream_tbENKUlT_T0_SE_SJ_E_clIS8_S8_S9_S9_EEDaSX_SY_SE_SJ_EUlSX_E_NS1_11comp_targetILNS1_3genE3ELNS1_11target_archE908ELNS1_3gpuE7ELNS1_3repE0EEENS1_47radix_sort_onesweep_sort_config_static_selectorELNS0_4arch9wavefront6targetE1EEEvSE_,@function
_ZN7rocprim17ROCPRIM_400000_NS6detail17trampoline_kernelINS0_14default_configENS1_35radix_sort_onesweep_config_selectorIhNS0_10empty_typeEEEZZNS1_29radix_sort_onesweep_iterationIS3_Lb0EPhS8_PS5_S9_mNS0_19identity_decomposerENS1_16block_id_wrapperIjLb1EEEEE10hipError_tT1_PNSt15iterator_traitsISE_E10value_typeET2_T3_PNSF_ISK_E10value_typeET4_T5_PSP_SQ_PNS1_23onesweep_lookback_stateEbbT6_jjT7_P12ihipStream_tbENKUlT_T0_SE_SJ_E_clIS8_S8_S9_S9_EEDaSX_SY_SE_SJ_EUlSX_E_NS1_11comp_targetILNS1_3genE3ELNS1_11target_archE908ELNS1_3gpuE7ELNS1_3repE0EEENS1_47radix_sort_onesweep_sort_config_static_selectorELNS0_4arch9wavefront6targetE1EEEvSE_: ; @_ZN7rocprim17ROCPRIM_400000_NS6detail17trampoline_kernelINS0_14default_configENS1_35radix_sort_onesweep_config_selectorIhNS0_10empty_typeEEEZZNS1_29radix_sort_onesweep_iterationIS3_Lb0EPhS8_PS5_S9_mNS0_19identity_decomposerENS1_16block_id_wrapperIjLb1EEEEE10hipError_tT1_PNSt15iterator_traitsISE_E10value_typeET2_T3_PNSF_ISK_E10value_typeET4_T5_PSP_SQ_PNS1_23onesweep_lookback_stateEbbT6_jjT7_P12ihipStream_tbENKUlT_T0_SE_SJ_E_clIS8_S8_S9_S9_EEDaSX_SY_SE_SJ_EUlSX_E_NS1_11comp_targetILNS1_3genE3ELNS1_11target_archE908ELNS1_3gpuE7ELNS1_3repE0EEENS1_47radix_sort_onesweep_sort_config_static_selectorELNS0_4arch9wavefront6targetE1EEEvSE_
; %bb.0:
	.section	.rodata,"a",@progbits
	.p2align	6, 0x0
	.amdhsa_kernel _ZN7rocprim17ROCPRIM_400000_NS6detail17trampoline_kernelINS0_14default_configENS1_35radix_sort_onesweep_config_selectorIhNS0_10empty_typeEEEZZNS1_29radix_sort_onesweep_iterationIS3_Lb0EPhS8_PS5_S9_mNS0_19identity_decomposerENS1_16block_id_wrapperIjLb1EEEEE10hipError_tT1_PNSt15iterator_traitsISE_E10value_typeET2_T3_PNSF_ISK_E10value_typeET4_T5_PSP_SQ_PNS1_23onesweep_lookback_stateEbbT6_jjT7_P12ihipStream_tbENKUlT_T0_SE_SJ_E_clIS8_S8_S9_S9_EEDaSX_SY_SE_SJ_EUlSX_E_NS1_11comp_targetILNS1_3genE3ELNS1_11target_archE908ELNS1_3gpuE7ELNS1_3repE0EEENS1_47radix_sort_onesweep_sort_config_static_selectorELNS0_4arch9wavefront6targetE1EEEvSE_
		.amdhsa_group_segment_fixed_size 0
		.amdhsa_private_segment_fixed_size 0
		.amdhsa_kernarg_size 88
		.amdhsa_user_sgpr_count 6
		.amdhsa_user_sgpr_private_segment_buffer 1
		.amdhsa_user_sgpr_dispatch_ptr 0
		.amdhsa_user_sgpr_queue_ptr 0
		.amdhsa_user_sgpr_kernarg_segment_ptr 1
		.amdhsa_user_sgpr_dispatch_id 0
		.amdhsa_user_sgpr_flat_scratch_init 0
		.amdhsa_user_sgpr_kernarg_preload_length 0
		.amdhsa_user_sgpr_kernarg_preload_offset 0
		.amdhsa_user_sgpr_private_segment_size 0
		.amdhsa_uses_dynamic_stack 0
		.amdhsa_system_sgpr_private_segment_wavefront_offset 0
		.amdhsa_system_sgpr_workgroup_id_x 1
		.amdhsa_system_sgpr_workgroup_id_y 0
		.amdhsa_system_sgpr_workgroup_id_z 0
		.amdhsa_system_sgpr_workgroup_info 0
		.amdhsa_system_vgpr_workitem_id 0
		.amdhsa_next_free_vgpr 1
		.amdhsa_next_free_sgpr 0
		.amdhsa_accum_offset 4
		.amdhsa_reserve_vcc 0
		.amdhsa_reserve_flat_scratch 0
		.amdhsa_float_round_mode_32 0
		.amdhsa_float_round_mode_16_64 0
		.amdhsa_float_denorm_mode_32 3
		.amdhsa_float_denorm_mode_16_64 3
		.amdhsa_dx10_clamp 1
		.amdhsa_ieee_mode 1
		.amdhsa_fp16_overflow 0
		.amdhsa_tg_split 0
		.amdhsa_exception_fp_ieee_invalid_op 0
		.amdhsa_exception_fp_denorm_src 0
		.amdhsa_exception_fp_ieee_div_zero 0
		.amdhsa_exception_fp_ieee_overflow 0
		.amdhsa_exception_fp_ieee_underflow 0
		.amdhsa_exception_fp_ieee_inexact 0
		.amdhsa_exception_int_div_zero 0
	.end_amdhsa_kernel
	.section	.text._ZN7rocprim17ROCPRIM_400000_NS6detail17trampoline_kernelINS0_14default_configENS1_35radix_sort_onesweep_config_selectorIhNS0_10empty_typeEEEZZNS1_29radix_sort_onesweep_iterationIS3_Lb0EPhS8_PS5_S9_mNS0_19identity_decomposerENS1_16block_id_wrapperIjLb1EEEEE10hipError_tT1_PNSt15iterator_traitsISE_E10value_typeET2_T3_PNSF_ISK_E10value_typeET4_T5_PSP_SQ_PNS1_23onesweep_lookback_stateEbbT6_jjT7_P12ihipStream_tbENKUlT_T0_SE_SJ_E_clIS8_S8_S9_S9_EEDaSX_SY_SE_SJ_EUlSX_E_NS1_11comp_targetILNS1_3genE3ELNS1_11target_archE908ELNS1_3gpuE7ELNS1_3repE0EEENS1_47radix_sort_onesweep_sort_config_static_selectorELNS0_4arch9wavefront6targetE1EEEvSE_,"axG",@progbits,_ZN7rocprim17ROCPRIM_400000_NS6detail17trampoline_kernelINS0_14default_configENS1_35radix_sort_onesweep_config_selectorIhNS0_10empty_typeEEEZZNS1_29radix_sort_onesweep_iterationIS3_Lb0EPhS8_PS5_S9_mNS0_19identity_decomposerENS1_16block_id_wrapperIjLb1EEEEE10hipError_tT1_PNSt15iterator_traitsISE_E10value_typeET2_T3_PNSF_ISK_E10value_typeET4_T5_PSP_SQ_PNS1_23onesweep_lookback_stateEbbT6_jjT7_P12ihipStream_tbENKUlT_T0_SE_SJ_E_clIS8_S8_S9_S9_EEDaSX_SY_SE_SJ_EUlSX_E_NS1_11comp_targetILNS1_3genE3ELNS1_11target_archE908ELNS1_3gpuE7ELNS1_3repE0EEENS1_47radix_sort_onesweep_sort_config_static_selectorELNS0_4arch9wavefront6targetE1EEEvSE_,comdat
.Lfunc_end325:
	.size	_ZN7rocprim17ROCPRIM_400000_NS6detail17trampoline_kernelINS0_14default_configENS1_35radix_sort_onesweep_config_selectorIhNS0_10empty_typeEEEZZNS1_29radix_sort_onesweep_iterationIS3_Lb0EPhS8_PS5_S9_mNS0_19identity_decomposerENS1_16block_id_wrapperIjLb1EEEEE10hipError_tT1_PNSt15iterator_traitsISE_E10value_typeET2_T3_PNSF_ISK_E10value_typeET4_T5_PSP_SQ_PNS1_23onesweep_lookback_stateEbbT6_jjT7_P12ihipStream_tbENKUlT_T0_SE_SJ_E_clIS8_S8_S9_S9_EEDaSX_SY_SE_SJ_EUlSX_E_NS1_11comp_targetILNS1_3genE3ELNS1_11target_archE908ELNS1_3gpuE7ELNS1_3repE0EEENS1_47radix_sort_onesweep_sort_config_static_selectorELNS0_4arch9wavefront6targetE1EEEvSE_, .Lfunc_end325-_ZN7rocprim17ROCPRIM_400000_NS6detail17trampoline_kernelINS0_14default_configENS1_35radix_sort_onesweep_config_selectorIhNS0_10empty_typeEEEZZNS1_29radix_sort_onesweep_iterationIS3_Lb0EPhS8_PS5_S9_mNS0_19identity_decomposerENS1_16block_id_wrapperIjLb1EEEEE10hipError_tT1_PNSt15iterator_traitsISE_E10value_typeET2_T3_PNSF_ISK_E10value_typeET4_T5_PSP_SQ_PNS1_23onesweep_lookback_stateEbbT6_jjT7_P12ihipStream_tbENKUlT_T0_SE_SJ_E_clIS8_S8_S9_S9_EEDaSX_SY_SE_SJ_EUlSX_E_NS1_11comp_targetILNS1_3genE3ELNS1_11target_archE908ELNS1_3gpuE7ELNS1_3repE0EEENS1_47radix_sort_onesweep_sort_config_static_selectorELNS0_4arch9wavefront6targetE1EEEvSE_
                                        ; -- End function
	.section	.AMDGPU.csdata,"",@progbits
; Kernel info:
; codeLenInByte = 0
; NumSgprs: 4
; NumVgprs: 0
; NumAgprs: 0
; TotalNumVgprs: 0
; ScratchSize: 0
; MemoryBound: 0
; FloatMode: 240
; IeeeMode: 1
; LDSByteSize: 0 bytes/workgroup (compile time only)
; SGPRBlocks: 0
; VGPRBlocks: 0
; NumSGPRsForWavesPerEU: 4
; NumVGPRsForWavesPerEU: 1
; AccumOffset: 4
; Occupancy: 8
; WaveLimiterHint : 0
; COMPUTE_PGM_RSRC2:SCRATCH_EN: 0
; COMPUTE_PGM_RSRC2:USER_SGPR: 6
; COMPUTE_PGM_RSRC2:TRAP_HANDLER: 0
; COMPUTE_PGM_RSRC2:TGID_X_EN: 1
; COMPUTE_PGM_RSRC2:TGID_Y_EN: 0
; COMPUTE_PGM_RSRC2:TGID_Z_EN: 0
; COMPUTE_PGM_RSRC2:TIDIG_COMP_CNT: 0
; COMPUTE_PGM_RSRC3_GFX90A:ACCUM_OFFSET: 0
; COMPUTE_PGM_RSRC3_GFX90A:TG_SPLIT: 0
	.section	.text._ZN7rocprim17ROCPRIM_400000_NS6detail17trampoline_kernelINS0_14default_configENS1_35radix_sort_onesweep_config_selectorIhNS0_10empty_typeEEEZZNS1_29radix_sort_onesweep_iterationIS3_Lb0EPhS8_PS5_S9_mNS0_19identity_decomposerENS1_16block_id_wrapperIjLb1EEEEE10hipError_tT1_PNSt15iterator_traitsISE_E10value_typeET2_T3_PNSF_ISK_E10value_typeET4_T5_PSP_SQ_PNS1_23onesweep_lookback_stateEbbT6_jjT7_P12ihipStream_tbENKUlT_T0_SE_SJ_E_clIS8_S8_S9_S9_EEDaSX_SY_SE_SJ_EUlSX_E_NS1_11comp_targetILNS1_3genE10ELNS1_11target_archE1201ELNS1_3gpuE5ELNS1_3repE0EEENS1_47radix_sort_onesweep_sort_config_static_selectorELNS0_4arch9wavefront6targetE1EEEvSE_,"axG",@progbits,_ZN7rocprim17ROCPRIM_400000_NS6detail17trampoline_kernelINS0_14default_configENS1_35radix_sort_onesweep_config_selectorIhNS0_10empty_typeEEEZZNS1_29radix_sort_onesweep_iterationIS3_Lb0EPhS8_PS5_S9_mNS0_19identity_decomposerENS1_16block_id_wrapperIjLb1EEEEE10hipError_tT1_PNSt15iterator_traitsISE_E10value_typeET2_T3_PNSF_ISK_E10value_typeET4_T5_PSP_SQ_PNS1_23onesweep_lookback_stateEbbT6_jjT7_P12ihipStream_tbENKUlT_T0_SE_SJ_E_clIS8_S8_S9_S9_EEDaSX_SY_SE_SJ_EUlSX_E_NS1_11comp_targetILNS1_3genE10ELNS1_11target_archE1201ELNS1_3gpuE5ELNS1_3repE0EEENS1_47radix_sort_onesweep_sort_config_static_selectorELNS0_4arch9wavefront6targetE1EEEvSE_,comdat
	.protected	_ZN7rocprim17ROCPRIM_400000_NS6detail17trampoline_kernelINS0_14default_configENS1_35radix_sort_onesweep_config_selectorIhNS0_10empty_typeEEEZZNS1_29radix_sort_onesweep_iterationIS3_Lb0EPhS8_PS5_S9_mNS0_19identity_decomposerENS1_16block_id_wrapperIjLb1EEEEE10hipError_tT1_PNSt15iterator_traitsISE_E10value_typeET2_T3_PNSF_ISK_E10value_typeET4_T5_PSP_SQ_PNS1_23onesweep_lookback_stateEbbT6_jjT7_P12ihipStream_tbENKUlT_T0_SE_SJ_E_clIS8_S8_S9_S9_EEDaSX_SY_SE_SJ_EUlSX_E_NS1_11comp_targetILNS1_3genE10ELNS1_11target_archE1201ELNS1_3gpuE5ELNS1_3repE0EEENS1_47radix_sort_onesweep_sort_config_static_selectorELNS0_4arch9wavefront6targetE1EEEvSE_ ; -- Begin function _ZN7rocprim17ROCPRIM_400000_NS6detail17trampoline_kernelINS0_14default_configENS1_35radix_sort_onesweep_config_selectorIhNS0_10empty_typeEEEZZNS1_29radix_sort_onesweep_iterationIS3_Lb0EPhS8_PS5_S9_mNS0_19identity_decomposerENS1_16block_id_wrapperIjLb1EEEEE10hipError_tT1_PNSt15iterator_traitsISE_E10value_typeET2_T3_PNSF_ISK_E10value_typeET4_T5_PSP_SQ_PNS1_23onesweep_lookback_stateEbbT6_jjT7_P12ihipStream_tbENKUlT_T0_SE_SJ_E_clIS8_S8_S9_S9_EEDaSX_SY_SE_SJ_EUlSX_E_NS1_11comp_targetILNS1_3genE10ELNS1_11target_archE1201ELNS1_3gpuE5ELNS1_3repE0EEENS1_47radix_sort_onesweep_sort_config_static_selectorELNS0_4arch9wavefront6targetE1EEEvSE_
	.globl	_ZN7rocprim17ROCPRIM_400000_NS6detail17trampoline_kernelINS0_14default_configENS1_35radix_sort_onesweep_config_selectorIhNS0_10empty_typeEEEZZNS1_29radix_sort_onesweep_iterationIS3_Lb0EPhS8_PS5_S9_mNS0_19identity_decomposerENS1_16block_id_wrapperIjLb1EEEEE10hipError_tT1_PNSt15iterator_traitsISE_E10value_typeET2_T3_PNSF_ISK_E10value_typeET4_T5_PSP_SQ_PNS1_23onesweep_lookback_stateEbbT6_jjT7_P12ihipStream_tbENKUlT_T0_SE_SJ_E_clIS8_S8_S9_S9_EEDaSX_SY_SE_SJ_EUlSX_E_NS1_11comp_targetILNS1_3genE10ELNS1_11target_archE1201ELNS1_3gpuE5ELNS1_3repE0EEENS1_47radix_sort_onesweep_sort_config_static_selectorELNS0_4arch9wavefront6targetE1EEEvSE_
	.p2align	8
	.type	_ZN7rocprim17ROCPRIM_400000_NS6detail17trampoline_kernelINS0_14default_configENS1_35radix_sort_onesweep_config_selectorIhNS0_10empty_typeEEEZZNS1_29radix_sort_onesweep_iterationIS3_Lb0EPhS8_PS5_S9_mNS0_19identity_decomposerENS1_16block_id_wrapperIjLb1EEEEE10hipError_tT1_PNSt15iterator_traitsISE_E10value_typeET2_T3_PNSF_ISK_E10value_typeET4_T5_PSP_SQ_PNS1_23onesweep_lookback_stateEbbT6_jjT7_P12ihipStream_tbENKUlT_T0_SE_SJ_E_clIS8_S8_S9_S9_EEDaSX_SY_SE_SJ_EUlSX_E_NS1_11comp_targetILNS1_3genE10ELNS1_11target_archE1201ELNS1_3gpuE5ELNS1_3repE0EEENS1_47radix_sort_onesweep_sort_config_static_selectorELNS0_4arch9wavefront6targetE1EEEvSE_,@function
_ZN7rocprim17ROCPRIM_400000_NS6detail17trampoline_kernelINS0_14default_configENS1_35radix_sort_onesweep_config_selectorIhNS0_10empty_typeEEEZZNS1_29radix_sort_onesweep_iterationIS3_Lb0EPhS8_PS5_S9_mNS0_19identity_decomposerENS1_16block_id_wrapperIjLb1EEEEE10hipError_tT1_PNSt15iterator_traitsISE_E10value_typeET2_T3_PNSF_ISK_E10value_typeET4_T5_PSP_SQ_PNS1_23onesweep_lookback_stateEbbT6_jjT7_P12ihipStream_tbENKUlT_T0_SE_SJ_E_clIS8_S8_S9_S9_EEDaSX_SY_SE_SJ_EUlSX_E_NS1_11comp_targetILNS1_3genE10ELNS1_11target_archE1201ELNS1_3gpuE5ELNS1_3repE0EEENS1_47radix_sort_onesweep_sort_config_static_selectorELNS0_4arch9wavefront6targetE1EEEvSE_: ; @_ZN7rocprim17ROCPRIM_400000_NS6detail17trampoline_kernelINS0_14default_configENS1_35radix_sort_onesweep_config_selectorIhNS0_10empty_typeEEEZZNS1_29radix_sort_onesweep_iterationIS3_Lb0EPhS8_PS5_S9_mNS0_19identity_decomposerENS1_16block_id_wrapperIjLb1EEEEE10hipError_tT1_PNSt15iterator_traitsISE_E10value_typeET2_T3_PNSF_ISK_E10value_typeET4_T5_PSP_SQ_PNS1_23onesweep_lookback_stateEbbT6_jjT7_P12ihipStream_tbENKUlT_T0_SE_SJ_E_clIS8_S8_S9_S9_EEDaSX_SY_SE_SJ_EUlSX_E_NS1_11comp_targetILNS1_3genE10ELNS1_11target_archE1201ELNS1_3gpuE5ELNS1_3repE0EEENS1_47radix_sort_onesweep_sort_config_static_selectorELNS0_4arch9wavefront6targetE1EEEvSE_
; %bb.0:
	.section	.rodata,"a",@progbits
	.p2align	6, 0x0
	.amdhsa_kernel _ZN7rocprim17ROCPRIM_400000_NS6detail17trampoline_kernelINS0_14default_configENS1_35radix_sort_onesweep_config_selectorIhNS0_10empty_typeEEEZZNS1_29radix_sort_onesweep_iterationIS3_Lb0EPhS8_PS5_S9_mNS0_19identity_decomposerENS1_16block_id_wrapperIjLb1EEEEE10hipError_tT1_PNSt15iterator_traitsISE_E10value_typeET2_T3_PNSF_ISK_E10value_typeET4_T5_PSP_SQ_PNS1_23onesweep_lookback_stateEbbT6_jjT7_P12ihipStream_tbENKUlT_T0_SE_SJ_E_clIS8_S8_S9_S9_EEDaSX_SY_SE_SJ_EUlSX_E_NS1_11comp_targetILNS1_3genE10ELNS1_11target_archE1201ELNS1_3gpuE5ELNS1_3repE0EEENS1_47radix_sort_onesweep_sort_config_static_selectorELNS0_4arch9wavefront6targetE1EEEvSE_
		.amdhsa_group_segment_fixed_size 0
		.amdhsa_private_segment_fixed_size 0
		.amdhsa_kernarg_size 88
		.amdhsa_user_sgpr_count 6
		.amdhsa_user_sgpr_private_segment_buffer 1
		.amdhsa_user_sgpr_dispatch_ptr 0
		.amdhsa_user_sgpr_queue_ptr 0
		.amdhsa_user_sgpr_kernarg_segment_ptr 1
		.amdhsa_user_sgpr_dispatch_id 0
		.amdhsa_user_sgpr_flat_scratch_init 0
		.amdhsa_user_sgpr_kernarg_preload_length 0
		.amdhsa_user_sgpr_kernarg_preload_offset 0
		.amdhsa_user_sgpr_private_segment_size 0
		.amdhsa_uses_dynamic_stack 0
		.amdhsa_system_sgpr_private_segment_wavefront_offset 0
		.amdhsa_system_sgpr_workgroup_id_x 1
		.amdhsa_system_sgpr_workgroup_id_y 0
		.amdhsa_system_sgpr_workgroup_id_z 0
		.amdhsa_system_sgpr_workgroup_info 0
		.amdhsa_system_vgpr_workitem_id 0
		.amdhsa_next_free_vgpr 1
		.amdhsa_next_free_sgpr 0
		.amdhsa_accum_offset 4
		.amdhsa_reserve_vcc 0
		.amdhsa_reserve_flat_scratch 0
		.amdhsa_float_round_mode_32 0
		.amdhsa_float_round_mode_16_64 0
		.amdhsa_float_denorm_mode_32 3
		.amdhsa_float_denorm_mode_16_64 3
		.amdhsa_dx10_clamp 1
		.amdhsa_ieee_mode 1
		.amdhsa_fp16_overflow 0
		.amdhsa_tg_split 0
		.amdhsa_exception_fp_ieee_invalid_op 0
		.amdhsa_exception_fp_denorm_src 0
		.amdhsa_exception_fp_ieee_div_zero 0
		.amdhsa_exception_fp_ieee_overflow 0
		.amdhsa_exception_fp_ieee_underflow 0
		.amdhsa_exception_fp_ieee_inexact 0
		.amdhsa_exception_int_div_zero 0
	.end_amdhsa_kernel
	.section	.text._ZN7rocprim17ROCPRIM_400000_NS6detail17trampoline_kernelINS0_14default_configENS1_35radix_sort_onesweep_config_selectorIhNS0_10empty_typeEEEZZNS1_29radix_sort_onesweep_iterationIS3_Lb0EPhS8_PS5_S9_mNS0_19identity_decomposerENS1_16block_id_wrapperIjLb1EEEEE10hipError_tT1_PNSt15iterator_traitsISE_E10value_typeET2_T3_PNSF_ISK_E10value_typeET4_T5_PSP_SQ_PNS1_23onesweep_lookback_stateEbbT6_jjT7_P12ihipStream_tbENKUlT_T0_SE_SJ_E_clIS8_S8_S9_S9_EEDaSX_SY_SE_SJ_EUlSX_E_NS1_11comp_targetILNS1_3genE10ELNS1_11target_archE1201ELNS1_3gpuE5ELNS1_3repE0EEENS1_47radix_sort_onesweep_sort_config_static_selectorELNS0_4arch9wavefront6targetE1EEEvSE_,"axG",@progbits,_ZN7rocprim17ROCPRIM_400000_NS6detail17trampoline_kernelINS0_14default_configENS1_35radix_sort_onesweep_config_selectorIhNS0_10empty_typeEEEZZNS1_29radix_sort_onesweep_iterationIS3_Lb0EPhS8_PS5_S9_mNS0_19identity_decomposerENS1_16block_id_wrapperIjLb1EEEEE10hipError_tT1_PNSt15iterator_traitsISE_E10value_typeET2_T3_PNSF_ISK_E10value_typeET4_T5_PSP_SQ_PNS1_23onesweep_lookback_stateEbbT6_jjT7_P12ihipStream_tbENKUlT_T0_SE_SJ_E_clIS8_S8_S9_S9_EEDaSX_SY_SE_SJ_EUlSX_E_NS1_11comp_targetILNS1_3genE10ELNS1_11target_archE1201ELNS1_3gpuE5ELNS1_3repE0EEENS1_47radix_sort_onesweep_sort_config_static_selectorELNS0_4arch9wavefront6targetE1EEEvSE_,comdat
.Lfunc_end326:
	.size	_ZN7rocprim17ROCPRIM_400000_NS6detail17trampoline_kernelINS0_14default_configENS1_35radix_sort_onesweep_config_selectorIhNS0_10empty_typeEEEZZNS1_29radix_sort_onesweep_iterationIS3_Lb0EPhS8_PS5_S9_mNS0_19identity_decomposerENS1_16block_id_wrapperIjLb1EEEEE10hipError_tT1_PNSt15iterator_traitsISE_E10value_typeET2_T3_PNSF_ISK_E10value_typeET4_T5_PSP_SQ_PNS1_23onesweep_lookback_stateEbbT6_jjT7_P12ihipStream_tbENKUlT_T0_SE_SJ_E_clIS8_S8_S9_S9_EEDaSX_SY_SE_SJ_EUlSX_E_NS1_11comp_targetILNS1_3genE10ELNS1_11target_archE1201ELNS1_3gpuE5ELNS1_3repE0EEENS1_47radix_sort_onesweep_sort_config_static_selectorELNS0_4arch9wavefront6targetE1EEEvSE_, .Lfunc_end326-_ZN7rocprim17ROCPRIM_400000_NS6detail17trampoline_kernelINS0_14default_configENS1_35radix_sort_onesweep_config_selectorIhNS0_10empty_typeEEEZZNS1_29radix_sort_onesweep_iterationIS3_Lb0EPhS8_PS5_S9_mNS0_19identity_decomposerENS1_16block_id_wrapperIjLb1EEEEE10hipError_tT1_PNSt15iterator_traitsISE_E10value_typeET2_T3_PNSF_ISK_E10value_typeET4_T5_PSP_SQ_PNS1_23onesweep_lookback_stateEbbT6_jjT7_P12ihipStream_tbENKUlT_T0_SE_SJ_E_clIS8_S8_S9_S9_EEDaSX_SY_SE_SJ_EUlSX_E_NS1_11comp_targetILNS1_3genE10ELNS1_11target_archE1201ELNS1_3gpuE5ELNS1_3repE0EEENS1_47radix_sort_onesweep_sort_config_static_selectorELNS0_4arch9wavefront6targetE1EEEvSE_
                                        ; -- End function
	.section	.AMDGPU.csdata,"",@progbits
; Kernel info:
; codeLenInByte = 0
; NumSgprs: 4
; NumVgprs: 0
; NumAgprs: 0
; TotalNumVgprs: 0
; ScratchSize: 0
; MemoryBound: 0
; FloatMode: 240
; IeeeMode: 1
; LDSByteSize: 0 bytes/workgroup (compile time only)
; SGPRBlocks: 0
; VGPRBlocks: 0
; NumSGPRsForWavesPerEU: 4
; NumVGPRsForWavesPerEU: 1
; AccumOffset: 4
; Occupancy: 8
; WaveLimiterHint : 0
; COMPUTE_PGM_RSRC2:SCRATCH_EN: 0
; COMPUTE_PGM_RSRC2:USER_SGPR: 6
; COMPUTE_PGM_RSRC2:TRAP_HANDLER: 0
; COMPUTE_PGM_RSRC2:TGID_X_EN: 1
; COMPUTE_PGM_RSRC2:TGID_Y_EN: 0
; COMPUTE_PGM_RSRC2:TGID_Z_EN: 0
; COMPUTE_PGM_RSRC2:TIDIG_COMP_CNT: 0
; COMPUTE_PGM_RSRC3_GFX90A:ACCUM_OFFSET: 0
; COMPUTE_PGM_RSRC3_GFX90A:TG_SPLIT: 0
	.section	.text._ZN7rocprim17ROCPRIM_400000_NS6detail17trampoline_kernelINS0_14default_configENS1_35radix_sort_onesweep_config_selectorIhNS0_10empty_typeEEEZZNS1_29radix_sort_onesweep_iterationIS3_Lb0EPhS8_PS5_S9_mNS0_19identity_decomposerENS1_16block_id_wrapperIjLb1EEEEE10hipError_tT1_PNSt15iterator_traitsISE_E10value_typeET2_T3_PNSF_ISK_E10value_typeET4_T5_PSP_SQ_PNS1_23onesweep_lookback_stateEbbT6_jjT7_P12ihipStream_tbENKUlT_T0_SE_SJ_E_clIS8_S8_S9_S9_EEDaSX_SY_SE_SJ_EUlSX_E_NS1_11comp_targetILNS1_3genE9ELNS1_11target_archE1100ELNS1_3gpuE3ELNS1_3repE0EEENS1_47radix_sort_onesweep_sort_config_static_selectorELNS0_4arch9wavefront6targetE1EEEvSE_,"axG",@progbits,_ZN7rocprim17ROCPRIM_400000_NS6detail17trampoline_kernelINS0_14default_configENS1_35radix_sort_onesweep_config_selectorIhNS0_10empty_typeEEEZZNS1_29radix_sort_onesweep_iterationIS3_Lb0EPhS8_PS5_S9_mNS0_19identity_decomposerENS1_16block_id_wrapperIjLb1EEEEE10hipError_tT1_PNSt15iterator_traitsISE_E10value_typeET2_T3_PNSF_ISK_E10value_typeET4_T5_PSP_SQ_PNS1_23onesweep_lookback_stateEbbT6_jjT7_P12ihipStream_tbENKUlT_T0_SE_SJ_E_clIS8_S8_S9_S9_EEDaSX_SY_SE_SJ_EUlSX_E_NS1_11comp_targetILNS1_3genE9ELNS1_11target_archE1100ELNS1_3gpuE3ELNS1_3repE0EEENS1_47radix_sort_onesweep_sort_config_static_selectorELNS0_4arch9wavefront6targetE1EEEvSE_,comdat
	.protected	_ZN7rocprim17ROCPRIM_400000_NS6detail17trampoline_kernelINS0_14default_configENS1_35radix_sort_onesweep_config_selectorIhNS0_10empty_typeEEEZZNS1_29radix_sort_onesweep_iterationIS3_Lb0EPhS8_PS5_S9_mNS0_19identity_decomposerENS1_16block_id_wrapperIjLb1EEEEE10hipError_tT1_PNSt15iterator_traitsISE_E10value_typeET2_T3_PNSF_ISK_E10value_typeET4_T5_PSP_SQ_PNS1_23onesweep_lookback_stateEbbT6_jjT7_P12ihipStream_tbENKUlT_T0_SE_SJ_E_clIS8_S8_S9_S9_EEDaSX_SY_SE_SJ_EUlSX_E_NS1_11comp_targetILNS1_3genE9ELNS1_11target_archE1100ELNS1_3gpuE3ELNS1_3repE0EEENS1_47radix_sort_onesweep_sort_config_static_selectorELNS0_4arch9wavefront6targetE1EEEvSE_ ; -- Begin function _ZN7rocprim17ROCPRIM_400000_NS6detail17trampoline_kernelINS0_14default_configENS1_35radix_sort_onesweep_config_selectorIhNS0_10empty_typeEEEZZNS1_29radix_sort_onesweep_iterationIS3_Lb0EPhS8_PS5_S9_mNS0_19identity_decomposerENS1_16block_id_wrapperIjLb1EEEEE10hipError_tT1_PNSt15iterator_traitsISE_E10value_typeET2_T3_PNSF_ISK_E10value_typeET4_T5_PSP_SQ_PNS1_23onesweep_lookback_stateEbbT6_jjT7_P12ihipStream_tbENKUlT_T0_SE_SJ_E_clIS8_S8_S9_S9_EEDaSX_SY_SE_SJ_EUlSX_E_NS1_11comp_targetILNS1_3genE9ELNS1_11target_archE1100ELNS1_3gpuE3ELNS1_3repE0EEENS1_47radix_sort_onesweep_sort_config_static_selectorELNS0_4arch9wavefront6targetE1EEEvSE_
	.globl	_ZN7rocprim17ROCPRIM_400000_NS6detail17trampoline_kernelINS0_14default_configENS1_35radix_sort_onesweep_config_selectorIhNS0_10empty_typeEEEZZNS1_29radix_sort_onesweep_iterationIS3_Lb0EPhS8_PS5_S9_mNS0_19identity_decomposerENS1_16block_id_wrapperIjLb1EEEEE10hipError_tT1_PNSt15iterator_traitsISE_E10value_typeET2_T3_PNSF_ISK_E10value_typeET4_T5_PSP_SQ_PNS1_23onesweep_lookback_stateEbbT6_jjT7_P12ihipStream_tbENKUlT_T0_SE_SJ_E_clIS8_S8_S9_S9_EEDaSX_SY_SE_SJ_EUlSX_E_NS1_11comp_targetILNS1_3genE9ELNS1_11target_archE1100ELNS1_3gpuE3ELNS1_3repE0EEENS1_47radix_sort_onesweep_sort_config_static_selectorELNS0_4arch9wavefront6targetE1EEEvSE_
	.p2align	8
	.type	_ZN7rocprim17ROCPRIM_400000_NS6detail17trampoline_kernelINS0_14default_configENS1_35radix_sort_onesweep_config_selectorIhNS0_10empty_typeEEEZZNS1_29radix_sort_onesweep_iterationIS3_Lb0EPhS8_PS5_S9_mNS0_19identity_decomposerENS1_16block_id_wrapperIjLb1EEEEE10hipError_tT1_PNSt15iterator_traitsISE_E10value_typeET2_T3_PNSF_ISK_E10value_typeET4_T5_PSP_SQ_PNS1_23onesweep_lookback_stateEbbT6_jjT7_P12ihipStream_tbENKUlT_T0_SE_SJ_E_clIS8_S8_S9_S9_EEDaSX_SY_SE_SJ_EUlSX_E_NS1_11comp_targetILNS1_3genE9ELNS1_11target_archE1100ELNS1_3gpuE3ELNS1_3repE0EEENS1_47radix_sort_onesweep_sort_config_static_selectorELNS0_4arch9wavefront6targetE1EEEvSE_,@function
_ZN7rocprim17ROCPRIM_400000_NS6detail17trampoline_kernelINS0_14default_configENS1_35radix_sort_onesweep_config_selectorIhNS0_10empty_typeEEEZZNS1_29radix_sort_onesweep_iterationIS3_Lb0EPhS8_PS5_S9_mNS0_19identity_decomposerENS1_16block_id_wrapperIjLb1EEEEE10hipError_tT1_PNSt15iterator_traitsISE_E10value_typeET2_T3_PNSF_ISK_E10value_typeET4_T5_PSP_SQ_PNS1_23onesweep_lookback_stateEbbT6_jjT7_P12ihipStream_tbENKUlT_T0_SE_SJ_E_clIS8_S8_S9_S9_EEDaSX_SY_SE_SJ_EUlSX_E_NS1_11comp_targetILNS1_3genE9ELNS1_11target_archE1100ELNS1_3gpuE3ELNS1_3repE0EEENS1_47radix_sort_onesweep_sort_config_static_selectorELNS0_4arch9wavefront6targetE1EEEvSE_: ; @_ZN7rocprim17ROCPRIM_400000_NS6detail17trampoline_kernelINS0_14default_configENS1_35radix_sort_onesweep_config_selectorIhNS0_10empty_typeEEEZZNS1_29radix_sort_onesweep_iterationIS3_Lb0EPhS8_PS5_S9_mNS0_19identity_decomposerENS1_16block_id_wrapperIjLb1EEEEE10hipError_tT1_PNSt15iterator_traitsISE_E10value_typeET2_T3_PNSF_ISK_E10value_typeET4_T5_PSP_SQ_PNS1_23onesweep_lookback_stateEbbT6_jjT7_P12ihipStream_tbENKUlT_T0_SE_SJ_E_clIS8_S8_S9_S9_EEDaSX_SY_SE_SJ_EUlSX_E_NS1_11comp_targetILNS1_3genE9ELNS1_11target_archE1100ELNS1_3gpuE3ELNS1_3repE0EEENS1_47radix_sort_onesweep_sort_config_static_selectorELNS0_4arch9wavefront6targetE1EEEvSE_
; %bb.0:
	.section	.rodata,"a",@progbits
	.p2align	6, 0x0
	.amdhsa_kernel _ZN7rocprim17ROCPRIM_400000_NS6detail17trampoline_kernelINS0_14default_configENS1_35radix_sort_onesweep_config_selectorIhNS0_10empty_typeEEEZZNS1_29radix_sort_onesweep_iterationIS3_Lb0EPhS8_PS5_S9_mNS0_19identity_decomposerENS1_16block_id_wrapperIjLb1EEEEE10hipError_tT1_PNSt15iterator_traitsISE_E10value_typeET2_T3_PNSF_ISK_E10value_typeET4_T5_PSP_SQ_PNS1_23onesweep_lookback_stateEbbT6_jjT7_P12ihipStream_tbENKUlT_T0_SE_SJ_E_clIS8_S8_S9_S9_EEDaSX_SY_SE_SJ_EUlSX_E_NS1_11comp_targetILNS1_3genE9ELNS1_11target_archE1100ELNS1_3gpuE3ELNS1_3repE0EEENS1_47radix_sort_onesweep_sort_config_static_selectorELNS0_4arch9wavefront6targetE1EEEvSE_
		.amdhsa_group_segment_fixed_size 0
		.amdhsa_private_segment_fixed_size 0
		.amdhsa_kernarg_size 88
		.amdhsa_user_sgpr_count 6
		.amdhsa_user_sgpr_private_segment_buffer 1
		.amdhsa_user_sgpr_dispatch_ptr 0
		.amdhsa_user_sgpr_queue_ptr 0
		.amdhsa_user_sgpr_kernarg_segment_ptr 1
		.amdhsa_user_sgpr_dispatch_id 0
		.amdhsa_user_sgpr_flat_scratch_init 0
		.amdhsa_user_sgpr_kernarg_preload_length 0
		.amdhsa_user_sgpr_kernarg_preload_offset 0
		.amdhsa_user_sgpr_private_segment_size 0
		.amdhsa_uses_dynamic_stack 0
		.amdhsa_system_sgpr_private_segment_wavefront_offset 0
		.amdhsa_system_sgpr_workgroup_id_x 1
		.amdhsa_system_sgpr_workgroup_id_y 0
		.amdhsa_system_sgpr_workgroup_id_z 0
		.amdhsa_system_sgpr_workgroup_info 0
		.amdhsa_system_vgpr_workitem_id 0
		.amdhsa_next_free_vgpr 1
		.amdhsa_next_free_sgpr 0
		.amdhsa_accum_offset 4
		.amdhsa_reserve_vcc 0
		.amdhsa_reserve_flat_scratch 0
		.amdhsa_float_round_mode_32 0
		.amdhsa_float_round_mode_16_64 0
		.amdhsa_float_denorm_mode_32 3
		.amdhsa_float_denorm_mode_16_64 3
		.amdhsa_dx10_clamp 1
		.amdhsa_ieee_mode 1
		.amdhsa_fp16_overflow 0
		.amdhsa_tg_split 0
		.amdhsa_exception_fp_ieee_invalid_op 0
		.amdhsa_exception_fp_denorm_src 0
		.amdhsa_exception_fp_ieee_div_zero 0
		.amdhsa_exception_fp_ieee_overflow 0
		.amdhsa_exception_fp_ieee_underflow 0
		.amdhsa_exception_fp_ieee_inexact 0
		.amdhsa_exception_int_div_zero 0
	.end_amdhsa_kernel
	.section	.text._ZN7rocprim17ROCPRIM_400000_NS6detail17trampoline_kernelINS0_14default_configENS1_35radix_sort_onesweep_config_selectorIhNS0_10empty_typeEEEZZNS1_29radix_sort_onesweep_iterationIS3_Lb0EPhS8_PS5_S9_mNS0_19identity_decomposerENS1_16block_id_wrapperIjLb1EEEEE10hipError_tT1_PNSt15iterator_traitsISE_E10value_typeET2_T3_PNSF_ISK_E10value_typeET4_T5_PSP_SQ_PNS1_23onesweep_lookback_stateEbbT6_jjT7_P12ihipStream_tbENKUlT_T0_SE_SJ_E_clIS8_S8_S9_S9_EEDaSX_SY_SE_SJ_EUlSX_E_NS1_11comp_targetILNS1_3genE9ELNS1_11target_archE1100ELNS1_3gpuE3ELNS1_3repE0EEENS1_47radix_sort_onesweep_sort_config_static_selectorELNS0_4arch9wavefront6targetE1EEEvSE_,"axG",@progbits,_ZN7rocprim17ROCPRIM_400000_NS6detail17trampoline_kernelINS0_14default_configENS1_35radix_sort_onesweep_config_selectorIhNS0_10empty_typeEEEZZNS1_29radix_sort_onesweep_iterationIS3_Lb0EPhS8_PS5_S9_mNS0_19identity_decomposerENS1_16block_id_wrapperIjLb1EEEEE10hipError_tT1_PNSt15iterator_traitsISE_E10value_typeET2_T3_PNSF_ISK_E10value_typeET4_T5_PSP_SQ_PNS1_23onesweep_lookback_stateEbbT6_jjT7_P12ihipStream_tbENKUlT_T0_SE_SJ_E_clIS8_S8_S9_S9_EEDaSX_SY_SE_SJ_EUlSX_E_NS1_11comp_targetILNS1_3genE9ELNS1_11target_archE1100ELNS1_3gpuE3ELNS1_3repE0EEENS1_47radix_sort_onesweep_sort_config_static_selectorELNS0_4arch9wavefront6targetE1EEEvSE_,comdat
.Lfunc_end327:
	.size	_ZN7rocprim17ROCPRIM_400000_NS6detail17trampoline_kernelINS0_14default_configENS1_35radix_sort_onesweep_config_selectorIhNS0_10empty_typeEEEZZNS1_29radix_sort_onesweep_iterationIS3_Lb0EPhS8_PS5_S9_mNS0_19identity_decomposerENS1_16block_id_wrapperIjLb1EEEEE10hipError_tT1_PNSt15iterator_traitsISE_E10value_typeET2_T3_PNSF_ISK_E10value_typeET4_T5_PSP_SQ_PNS1_23onesweep_lookback_stateEbbT6_jjT7_P12ihipStream_tbENKUlT_T0_SE_SJ_E_clIS8_S8_S9_S9_EEDaSX_SY_SE_SJ_EUlSX_E_NS1_11comp_targetILNS1_3genE9ELNS1_11target_archE1100ELNS1_3gpuE3ELNS1_3repE0EEENS1_47radix_sort_onesweep_sort_config_static_selectorELNS0_4arch9wavefront6targetE1EEEvSE_, .Lfunc_end327-_ZN7rocprim17ROCPRIM_400000_NS6detail17trampoline_kernelINS0_14default_configENS1_35radix_sort_onesweep_config_selectorIhNS0_10empty_typeEEEZZNS1_29radix_sort_onesweep_iterationIS3_Lb0EPhS8_PS5_S9_mNS0_19identity_decomposerENS1_16block_id_wrapperIjLb1EEEEE10hipError_tT1_PNSt15iterator_traitsISE_E10value_typeET2_T3_PNSF_ISK_E10value_typeET4_T5_PSP_SQ_PNS1_23onesweep_lookback_stateEbbT6_jjT7_P12ihipStream_tbENKUlT_T0_SE_SJ_E_clIS8_S8_S9_S9_EEDaSX_SY_SE_SJ_EUlSX_E_NS1_11comp_targetILNS1_3genE9ELNS1_11target_archE1100ELNS1_3gpuE3ELNS1_3repE0EEENS1_47radix_sort_onesweep_sort_config_static_selectorELNS0_4arch9wavefront6targetE1EEEvSE_
                                        ; -- End function
	.section	.AMDGPU.csdata,"",@progbits
; Kernel info:
; codeLenInByte = 0
; NumSgprs: 4
; NumVgprs: 0
; NumAgprs: 0
; TotalNumVgprs: 0
; ScratchSize: 0
; MemoryBound: 0
; FloatMode: 240
; IeeeMode: 1
; LDSByteSize: 0 bytes/workgroup (compile time only)
; SGPRBlocks: 0
; VGPRBlocks: 0
; NumSGPRsForWavesPerEU: 4
; NumVGPRsForWavesPerEU: 1
; AccumOffset: 4
; Occupancy: 8
; WaveLimiterHint : 0
; COMPUTE_PGM_RSRC2:SCRATCH_EN: 0
; COMPUTE_PGM_RSRC2:USER_SGPR: 6
; COMPUTE_PGM_RSRC2:TRAP_HANDLER: 0
; COMPUTE_PGM_RSRC2:TGID_X_EN: 1
; COMPUTE_PGM_RSRC2:TGID_Y_EN: 0
; COMPUTE_PGM_RSRC2:TGID_Z_EN: 0
; COMPUTE_PGM_RSRC2:TIDIG_COMP_CNT: 0
; COMPUTE_PGM_RSRC3_GFX90A:ACCUM_OFFSET: 0
; COMPUTE_PGM_RSRC3_GFX90A:TG_SPLIT: 0
	.section	.text._ZN7rocprim17ROCPRIM_400000_NS6detail17trampoline_kernelINS0_14default_configENS1_35radix_sort_onesweep_config_selectorIhNS0_10empty_typeEEEZZNS1_29radix_sort_onesweep_iterationIS3_Lb0EPhS8_PS5_S9_mNS0_19identity_decomposerENS1_16block_id_wrapperIjLb1EEEEE10hipError_tT1_PNSt15iterator_traitsISE_E10value_typeET2_T3_PNSF_ISK_E10value_typeET4_T5_PSP_SQ_PNS1_23onesweep_lookback_stateEbbT6_jjT7_P12ihipStream_tbENKUlT_T0_SE_SJ_E_clIS8_S8_S9_S9_EEDaSX_SY_SE_SJ_EUlSX_E_NS1_11comp_targetILNS1_3genE8ELNS1_11target_archE1030ELNS1_3gpuE2ELNS1_3repE0EEENS1_47radix_sort_onesweep_sort_config_static_selectorELNS0_4arch9wavefront6targetE1EEEvSE_,"axG",@progbits,_ZN7rocprim17ROCPRIM_400000_NS6detail17trampoline_kernelINS0_14default_configENS1_35radix_sort_onesweep_config_selectorIhNS0_10empty_typeEEEZZNS1_29radix_sort_onesweep_iterationIS3_Lb0EPhS8_PS5_S9_mNS0_19identity_decomposerENS1_16block_id_wrapperIjLb1EEEEE10hipError_tT1_PNSt15iterator_traitsISE_E10value_typeET2_T3_PNSF_ISK_E10value_typeET4_T5_PSP_SQ_PNS1_23onesweep_lookback_stateEbbT6_jjT7_P12ihipStream_tbENKUlT_T0_SE_SJ_E_clIS8_S8_S9_S9_EEDaSX_SY_SE_SJ_EUlSX_E_NS1_11comp_targetILNS1_3genE8ELNS1_11target_archE1030ELNS1_3gpuE2ELNS1_3repE0EEENS1_47radix_sort_onesweep_sort_config_static_selectorELNS0_4arch9wavefront6targetE1EEEvSE_,comdat
	.protected	_ZN7rocprim17ROCPRIM_400000_NS6detail17trampoline_kernelINS0_14default_configENS1_35radix_sort_onesweep_config_selectorIhNS0_10empty_typeEEEZZNS1_29radix_sort_onesweep_iterationIS3_Lb0EPhS8_PS5_S9_mNS0_19identity_decomposerENS1_16block_id_wrapperIjLb1EEEEE10hipError_tT1_PNSt15iterator_traitsISE_E10value_typeET2_T3_PNSF_ISK_E10value_typeET4_T5_PSP_SQ_PNS1_23onesweep_lookback_stateEbbT6_jjT7_P12ihipStream_tbENKUlT_T0_SE_SJ_E_clIS8_S8_S9_S9_EEDaSX_SY_SE_SJ_EUlSX_E_NS1_11comp_targetILNS1_3genE8ELNS1_11target_archE1030ELNS1_3gpuE2ELNS1_3repE0EEENS1_47radix_sort_onesweep_sort_config_static_selectorELNS0_4arch9wavefront6targetE1EEEvSE_ ; -- Begin function _ZN7rocprim17ROCPRIM_400000_NS6detail17trampoline_kernelINS0_14default_configENS1_35radix_sort_onesweep_config_selectorIhNS0_10empty_typeEEEZZNS1_29radix_sort_onesweep_iterationIS3_Lb0EPhS8_PS5_S9_mNS0_19identity_decomposerENS1_16block_id_wrapperIjLb1EEEEE10hipError_tT1_PNSt15iterator_traitsISE_E10value_typeET2_T3_PNSF_ISK_E10value_typeET4_T5_PSP_SQ_PNS1_23onesweep_lookback_stateEbbT6_jjT7_P12ihipStream_tbENKUlT_T0_SE_SJ_E_clIS8_S8_S9_S9_EEDaSX_SY_SE_SJ_EUlSX_E_NS1_11comp_targetILNS1_3genE8ELNS1_11target_archE1030ELNS1_3gpuE2ELNS1_3repE0EEENS1_47radix_sort_onesweep_sort_config_static_selectorELNS0_4arch9wavefront6targetE1EEEvSE_
	.globl	_ZN7rocprim17ROCPRIM_400000_NS6detail17trampoline_kernelINS0_14default_configENS1_35radix_sort_onesweep_config_selectorIhNS0_10empty_typeEEEZZNS1_29radix_sort_onesweep_iterationIS3_Lb0EPhS8_PS5_S9_mNS0_19identity_decomposerENS1_16block_id_wrapperIjLb1EEEEE10hipError_tT1_PNSt15iterator_traitsISE_E10value_typeET2_T3_PNSF_ISK_E10value_typeET4_T5_PSP_SQ_PNS1_23onesweep_lookback_stateEbbT6_jjT7_P12ihipStream_tbENKUlT_T0_SE_SJ_E_clIS8_S8_S9_S9_EEDaSX_SY_SE_SJ_EUlSX_E_NS1_11comp_targetILNS1_3genE8ELNS1_11target_archE1030ELNS1_3gpuE2ELNS1_3repE0EEENS1_47radix_sort_onesweep_sort_config_static_selectorELNS0_4arch9wavefront6targetE1EEEvSE_
	.p2align	8
	.type	_ZN7rocprim17ROCPRIM_400000_NS6detail17trampoline_kernelINS0_14default_configENS1_35radix_sort_onesweep_config_selectorIhNS0_10empty_typeEEEZZNS1_29radix_sort_onesweep_iterationIS3_Lb0EPhS8_PS5_S9_mNS0_19identity_decomposerENS1_16block_id_wrapperIjLb1EEEEE10hipError_tT1_PNSt15iterator_traitsISE_E10value_typeET2_T3_PNSF_ISK_E10value_typeET4_T5_PSP_SQ_PNS1_23onesweep_lookback_stateEbbT6_jjT7_P12ihipStream_tbENKUlT_T0_SE_SJ_E_clIS8_S8_S9_S9_EEDaSX_SY_SE_SJ_EUlSX_E_NS1_11comp_targetILNS1_3genE8ELNS1_11target_archE1030ELNS1_3gpuE2ELNS1_3repE0EEENS1_47radix_sort_onesweep_sort_config_static_selectorELNS0_4arch9wavefront6targetE1EEEvSE_,@function
_ZN7rocprim17ROCPRIM_400000_NS6detail17trampoline_kernelINS0_14default_configENS1_35radix_sort_onesweep_config_selectorIhNS0_10empty_typeEEEZZNS1_29radix_sort_onesweep_iterationIS3_Lb0EPhS8_PS5_S9_mNS0_19identity_decomposerENS1_16block_id_wrapperIjLb1EEEEE10hipError_tT1_PNSt15iterator_traitsISE_E10value_typeET2_T3_PNSF_ISK_E10value_typeET4_T5_PSP_SQ_PNS1_23onesweep_lookback_stateEbbT6_jjT7_P12ihipStream_tbENKUlT_T0_SE_SJ_E_clIS8_S8_S9_S9_EEDaSX_SY_SE_SJ_EUlSX_E_NS1_11comp_targetILNS1_3genE8ELNS1_11target_archE1030ELNS1_3gpuE2ELNS1_3repE0EEENS1_47radix_sort_onesweep_sort_config_static_selectorELNS0_4arch9wavefront6targetE1EEEvSE_: ; @_ZN7rocprim17ROCPRIM_400000_NS6detail17trampoline_kernelINS0_14default_configENS1_35radix_sort_onesweep_config_selectorIhNS0_10empty_typeEEEZZNS1_29radix_sort_onesweep_iterationIS3_Lb0EPhS8_PS5_S9_mNS0_19identity_decomposerENS1_16block_id_wrapperIjLb1EEEEE10hipError_tT1_PNSt15iterator_traitsISE_E10value_typeET2_T3_PNSF_ISK_E10value_typeET4_T5_PSP_SQ_PNS1_23onesweep_lookback_stateEbbT6_jjT7_P12ihipStream_tbENKUlT_T0_SE_SJ_E_clIS8_S8_S9_S9_EEDaSX_SY_SE_SJ_EUlSX_E_NS1_11comp_targetILNS1_3genE8ELNS1_11target_archE1030ELNS1_3gpuE2ELNS1_3repE0EEENS1_47radix_sort_onesweep_sort_config_static_selectorELNS0_4arch9wavefront6targetE1EEEvSE_
; %bb.0:
	.section	.rodata,"a",@progbits
	.p2align	6, 0x0
	.amdhsa_kernel _ZN7rocprim17ROCPRIM_400000_NS6detail17trampoline_kernelINS0_14default_configENS1_35radix_sort_onesweep_config_selectorIhNS0_10empty_typeEEEZZNS1_29radix_sort_onesweep_iterationIS3_Lb0EPhS8_PS5_S9_mNS0_19identity_decomposerENS1_16block_id_wrapperIjLb1EEEEE10hipError_tT1_PNSt15iterator_traitsISE_E10value_typeET2_T3_PNSF_ISK_E10value_typeET4_T5_PSP_SQ_PNS1_23onesweep_lookback_stateEbbT6_jjT7_P12ihipStream_tbENKUlT_T0_SE_SJ_E_clIS8_S8_S9_S9_EEDaSX_SY_SE_SJ_EUlSX_E_NS1_11comp_targetILNS1_3genE8ELNS1_11target_archE1030ELNS1_3gpuE2ELNS1_3repE0EEENS1_47radix_sort_onesweep_sort_config_static_selectorELNS0_4arch9wavefront6targetE1EEEvSE_
		.amdhsa_group_segment_fixed_size 0
		.amdhsa_private_segment_fixed_size 0
		.amdhsa_kernarg_size 88
		.amdhsa_user_sgpr_count 6
		.amdhsa_user_sgpr_private_segment_buffer 1
		.amdhsa_user_sgpr_dispatch_ptr 0
		.amdhsa_user_sgpr_queue_ptr 0
		.amdhsa_user_sgpr_kernarg_segment_ptr 1
		.amdhsa_user_sgpr_dispatch_id 0
		.amdhsa_user_sgpr_flat_scratch_init 0
		.amdhsa_user_sgpr_kernarg_preload_length 0
		.amdhsa_user_sgpr_kernarg_preload_offset 0
		.amdhsa_user_sgpr_private_segment_size 0
		.amdhsa_uses_dynamic_stack 0
		.amdhsa_system_sgpr_private_segment_wavefront_offset 0
		.amdhsa_system_sgpr_workgroup_id_x 1
		.amdhsa_system_sgpr_workgroup_id_y 0
		.amdhsa_system_sgpr_workgroup_id_z 0
		.amdhsa_system_sgpr_workgroup_info 0
		.amdhsa_system_vgpr_workitem_id 0
		.amdhsa_next_free_vgpr 1
		.amdhsa_next_free_sgpr 0
		.amdhsa_accum_offset 4
		.amdhsa_reserve_vcc 0
		.amdhsa_reserve_flat_scratch 0
		.amdhsa_float_round_mode_32 0
		.amdhsa_float_round_mode_16_64 0
		.amdhsa_float_denorm_mode_32 3
		.amdhsa_float_denorm_mode_16_64 3
		.amdhsa_dx10_clamp 1
		.amdhsa_ieee_mode 1
		.amdhsa_fp16_overflow 0
		.amdhsa_tg_split 0
		.amdhsa_exception_fp_ieee_invalid_op 0
		.amdhsa_exception_fp_denorm_src 0
		.amdhsa_exception_fp_ieee_div_zero 0
		.amdhsa_exception_fp_ieee_overflow 0
		.amdhsa_exception_fp_ieee_underflow 0
		.amdhsa_exception_fp_ieee_inexact 0
		.amdhsa_exception_int_div_zero 0
	.end_amdhsa_kernel
	.section	.text._ZN7rocprim17ROCPRIM_400000_NS6detail17trampoline_kernelINS0_14default_configENS1_35radix_sort_onesweep_config_selectorIhNS0_10empty_typeEEEZZNS1_29radix_sort_onesweep_iterationIS3_Lb0EPhS8_PS5_S9_mNS0_19identity_decomposerENS1_16block_id_wrapperIjLb1EEEEE10hipError_tT1_PNSt15iterator_traitsISE_E10value_typeET2_T3_PNSF_ISK_E10value_typeET4_T5_PSP_SQ_PNS1_23onesweep_lookback_stateEbbT6_jjT7_P12ihipStream_tbENKUlT_T0_SE_SJ_E_clIS8_S8_S9_S9_EEDaSX_SY_SE_SJ_EUlSX_E_NS1_11comp_targetILNS1_3genE8ELNS1_11target_archE1030ELNS1_3gpuE2ELNS1_3repE0EEENS1_47radix_sort_onesweep_sort_config_static_selectorELNS0_4arch9wavefront6targetE1EEEvSE_,"axG",@progbits,_ZN7rocprim17ROCPRIM_400000_NS6detail17trampoline_kernelINS0_14default_configENS1_35radix_sort_onesweep_config_selectorIhNS0_10empty_typeEEEZZNS1_29radix_sort_onesweep_iterationIS3_Lb0EPhS8_PS5_S9_mNS0_19identity_decomposerENS1_16block_id_wrapperIjLb1EEEEE10hipError_tT1_PNSt15iterator_traitsISE_E10value_typeET2_T3_PNSF_ISK_E10value_typeET4_T5_PSP_SQ_PNS1_23onesweep_lookback_stateEbbT6_jjT7_P12ihipStream_tbENKUlT_T0_SE_SJ_E_clIS8_S8_S9_S9_EEDaSX_SY_SE_SJ_EUlSX_E_NS1_11comp_targetILNS1_3genE8ELNS1_11target_archE1030ELNS1_3gpuE2ELNS1_3repE0EEENS1_47radix_sort_onesweep_sort_config_static_selectorELNS0_4arch9wavefront6targetE1EEEvSE_,comdat
.Lfunc_end328:
	.size	_ZN7rocprim17ROCPRIM_400000_NS6detail17trampoline_kernelINS0_14default_configENS1_35radix_sort_onesweep_config_selectorIhNS0_10empty_typeEEEZZNS1_29radix_sort_onesweep_iterationIS3_Lb0EPhS8_PS5_S9_mNS0_19identity_decomposerENS1_16block_id_wrapperIjLb1EEEEE10hipError_tT1_PNSt15iterator_traitsISE_E10value_typeET2_T3_PNSF_ISK_E10value_typeET4_T5_PSP_SQ_PNS1_23onesweep_lookback_stateEbbT6_jjT7_P12ihipStream_tbENKUlT_T0_SE_SJ_E_clIS8_S8_S9_S9_EEDaSX_SY_SE_SJ_EUlSX_E_NS1_11comp_targetILNS1_3genE8ELNS1_11target_archE1030ELNS1_3gpuE2ELNS1_3repE0EEENS1_47radix_sort_onesweep_sort_config_static_selectorELNS0_4arch9wavefront6targetE1EEEvSE_, .Lfunc_end328-_ZN7rocprim17ROCPRIM_400000_NS6detail17trampoline_kernelINS0_14default_configENS1_35radix_sort_onesweep_config_selectorIhNS0_10empty_typeEEEZZNS1_29radix_sort_onesweep_iterationIS3_Lb0EPhS8_PS5_S9_mNS0_19identity_decomposerENS1_16block_id_wrapperIjLb1EEEEE10hipError_tT1_PNSt15iterator_traitsISE_E10value_typeET2_T3_PNSF_ISK_E10value_typeET4_T5_PSP_SQ_PNS1_23onesweep_lookback_stateEbbT6_jjT7_P12ihipStream_tbENKUlT_T0_SE_SJ_E_clIS8_S8_S9_S9_EEDaSX_SY_SE_SJ_EUlSX_E_NS1_11comp_targetILNS1_3genE8ELNS1_11target_archE1030ELNS1_3gpuE2ELNS1_3repE0EEENS1_47radix_sort_onesweep_sort_config_static_selectorELNS0_4arch9wavefront6targetE1EEEvSE_
                                        ; -- End function
	.section	.AMDGPU.csdata,"",@progbits
; Kernel info:
; codeLenInByte = 0
; NumSgprs: 4
; NumVgprs: 0
; NumAgprs: 0
; TotalNumVgprs: 0
; ScratchSize: 0
; MemoryBound: 0
; FloatMode: 240
; IeeeMode: 1
; LDSByteSize: 0 bytes/workgroup (compile time only)
; SGPRBlocks: 0
; VGPRBlocks: 0
; NumSGPRsForWavesPerEU: 4
; NumVGPRsForWavesPerEU: 1
; AccumOffset: 4
; Occupancy: 8
; WaveLimiterHint : 0
; COMPUTE_PGM_RSRC2:SCRATCH_EN: 0
; COMPUTE_PGM_RSRC2:USER_SGPR: 6
; COMPUTE_PGM_RSRC2:TRAP_HANDLER: 0
; COMPUTE_PGM_RSRC2:TGID_X_EN: 1
; COMPUTE_PGM_RSRC2:TGID_Y_EN: 0
; COMPUTE_PGM_RSRC2:TGID_Z_EN: 0
; COMPUTE_PGM_RSRC2:TIDIG_COMP_CNT: 0
; COMPUTE_PGM_RSRC3_GFX90A:ACCUM_OFFSET: 0
; COMPUTE_PGM_RSRC3_GFX90A:TG_SPLIT: 0
	.section	.text._ZN7rocprim17ROCPRIM_400000_NS6detail17trampoline_kernelINS0_14default_configENS1_35radix_sort_onesweep_config_selectorIhNS0_10empty_typeEEEZZNS1_29radix_sort_onesweep_iterationIS3_Lb0EPhS8_PS5_S9_mNS0_19identity_decomposerENS1_16block_id_wrapperIjLb0EEEEE10hipError_tT1_PNSt15iterator_traitsISE_E10value_typeET2_T3_PNSF_ISK_E10value_typeET4_T5_PSP_SQ_PNS1_23onesweep_lookback_stateEbbT6_jjT7_P12ihipStream_tbENKUlT_T0_SE_SJ_E_clIS8_S8_S9_S9_EEDaSX_SY_SE_SJ_EUlSX_E_NS1_11comp_targetILNS1_3genE0ELNS1_11target_archE4294967295ELNS1_3gpuE0ELNS1_3repE0EEENS1_47radix_sort_onesweep_sort_config_static_selectorELNS0_4arch9wavefront6targetE1EEEvSE_,"axG",@progbits,_ZN7rocprim17ROCPRIM_400000_NS6detail17trampoline_kernelINS0_14default_configENS1_35radix_sort_onesweep_config_selectorIhNS0_10empty_typeEEEZZNS1_29radix_sort_onesweep_iterationIS3_Lb0EPhS8_PS5_S9_mNS0_19identity_decomposerENS1_16block_id_wrapperIjLb0EEEEE10hipError_tT1_PNSt15iterator_traitsISE_E10value_typeET2_T3_PNSF_ISK_E10value_typeET4_T5_PSP_SQ_PNS1_23onesweep_lookback_stateEbbT6_jjT7_P12ihipStream_tbENKUlT_T0_SE_SJ_E_clIS8_S8_S9_S9_EEDaSX_SY_SE_SJ_EUlSX_E_NS1_11comp_targetILNS1_3genE0ELNS1_11target_archE4294967295ELNS1_3gpuE0ELNS1_3repE0EEENS1_47radix_sort_onesweep_sort_config_static_selectorELNS0_4arch9wavefront6targetE1EEEvSE_,comdat
	.protected	_ZN7rocprim17ROCPRIM_400000_NS6detail17trampoline_kernelINS0_14default_configENS1_35radix_sort_onesweep_config_selectorIhNS0_10empty_typeEEEZZNS1_29radix_sort_onesweep_iterationIS3_Lb0EPhS8_PS5_S9_mNS0_19identity_decomposerENS1_16block_id_wrapperIjLb0EEEEE10hipError_tT1_PNSt15iterator_traitsISE_E10value_typeET2_T3_PNSF_ISK_E10value_typeET4_T5_PSP_SQ_PNS1_23onesweep_lookback_stateEbbT6_jjT7_P12ihipStream_tbENKUlT_T0_SE_SJ_E_clIS8_S8_S9_S9_EEDaSX_SY_SE_SJ_EUlSX_E_NS1_11comp_targetILNS1_3genE0ELNS1_11target_archE4294967295ELNS1_3gpuE0ELNS1_3repE0EEENS1_47radix_sort_onesweep_sort_config_static_selectorELNS0_4arch9wavefront6targetE1EEEvSE_ ; -- Begin function _ZN7rocprim17ROCPRIM_400000_NS6detail17trampoline_kernelINS0_14default_configENS1_35radix_sort_onesweep_config_selectorIhNS0_10empty_typeEEEZZNS1_29radix_sort_onesweep_iterationIS3_Lb0EPhS8_PS5_S9_mNS0_19identity_decomposerENS1_16block_id_wrapperIjLb0EEEEE10hipError_tT1_PNSt15iterator_traitsISE_E10value_typeET2_T3_PNSF_ISK_E10value_typeET4_T5_PSP_SQ_PNS1_23onesweep_lookback_stateEbbT6_jjT7_P12ihipStream_tbENKUlT_T0_SE_SJ_E_clIS8_S8_S9_S9_EEDaSX_SY_SE_SJ_EUlSX_E_NS1_11comp_targetILNS1_3genE0ELNS1_11target_archE4294967295ELNS1_3gpuE0ELNS1_3repE0EEENS1_47radix_sort_onesweep_sort_config_static_selectorELNS0_4arch9wavefront6targetE1EEEvSE_
	.globl	_ZN7rocprim17ROCPRIM_400000_NS6detail17trampoline_kernelINS0_14default_configENS1_35radix_sort_onesweep_config_selectorIhNS0_10empty_typeEEEZZNS1_29radix_sort_onesweep_iterationIS3_Lb0EPhS8_PS5_S9_mNS0_19identity_decomposerENS1_16block_id_wrapperIjLb0EEEEE10hipError_tT1_PNSt15iterator_traitsISE_E10value_typeET2_T3_PNSF_ISK_E10value_typeET4_T5_PSP_SQ_PNS1_23onesweep_lookback_stateEbbT6_jjT7_P12ihipStream_tbENKUlT_T0_SE_SJ_E_clIS8_S8_S9_S9_EEDaSX_SY_SE_SJ_EUlSX_E_NS1_11comp_targetILNS1_3genE0ELNS1_11target_archE4294967295ELNS1_3gpuE0ELNS1_3repE0EEENS1_47radix_sort_onesweep_sort_config_static_selectorELNS0_4arch9wavefront6targetE1EEEvSE_
	.p2align	8
	.type	_ZN7rocprim17ROCPRIM_400000_NS6detail17trampoline_kernelINS0_14default_configENS1_35radix_sort_onesweep_config_selectorIhNS0_10empty_typeEEEZZNS1_29radix_sort_onesweep_iterationIS3_Lb0EPhS8_PS5_S9_mNS0_19identity_decomposerENS1_16block_id_wrapperIjLb0EEEEE10hipError_tT1_PNSt15iterator_traitsISE_E10value_typeET2_T3_PNSF_ISK_E10value_typeET4_T5_PSP_SQ_PNS1_23onesweep_lookback_stateEbbT6_jjT7_P12ihipStream_tbENKUlT_T0_SE_SJ_E_clIS8_S8_S9_S9_EEDaSX_SY_SE_SJ_EUlSX_E_NS1_11comp_targetILNS1_3genE0ELNS1_11target_archE4294967295ELNS1_3gpuE0ELNS1_3repE0EEENS1_47radix_sort_onesweep_sort_config_static_selectorELNS0_4arch9wavefront6targetE1EEEvSE_,@function
_ZN7rocprim17ROCPRIM_400000_NS6detail17trampoline_kernelINS0_14default_configENS1_35radix_sort_onesweep_config_selectorIhNS0_10empty_typeEEEZZNS1_29radix_sort_onesweep_iterationIS3_Lb0EPhS8_PS5_S9_mNS0_19identity_decomposerENS1_16block_id_wrapperIjLb0EEEEE10hipError_tT1_PNSt15iterator_traitsISE_E10value_typeET2_T3_PNSF_ISK_E10value_typeET4_T5_PSP_SQ_PNS1_23onesweep_lookback_stateEbbT6_jjT7_P12ihipStream_tbENKUlT_T0_SE_SJ_E_clIS8_S8_S9_S9_EEDaSX_SY_SE_SJ_EUlSX_E_NS1_11comp_targetILNS1_3genE0ELNS1_11target_archE4294967295ELNS1_3gpuE0ELNS1_3repE0EEENS1_47radix_sort_onesweep_sort_config_static_selectorELNS0_4arch9wavefront6targetE1EEEvSE_: ; @_ZN7rocprim17ROCPRIM_400000_NS6detail17trampoline_kernelINS0_14default_configENS1_35radix_sort_onesweep_config_selectorIhNS0_10empty_typeEEEZZNS1_29radix_sort_onesweep_iterationIS3_Lb0EPhS8_PS5_S9_mNS0_19identity_decomposerENS1_16block_id_wrapperIjLb0EEEEE10hipError_tT1_PNSt15iterator_traitsISE_E10value_typeET2_T3_PNSF_ISK_E10value_typeET4_T5_PSP_SQ_PNS1_23onesweep_lookback_stateEbbT6_jjT7_P12ihipStream_tbENKUlT_T0_SE_SJ_E_clIS8_S8_S9_S9_EEDaSX_SY_SE_SJ_EUlSX_E_NS1_11comp_targetILNS1_3genE0ELNS1_11target_archE4294967295ELNS1_3gpuE0ELNS1_3repE0EEENS1_47radix_sort_onesweep_sort_config_static_selectorELNS0_4arch9wavefront6targetE1EEEvSE_
; %bb.0:
	.section	.rodata,"a",@progbits
	.p2align	6, 0x0
	.amdhsa_kernel _ZN7rocprim17ROCPRIM_400000_NS6detail17trampoline_kernelINS0_14default_configENS1_35radix_sort_onesweep_config_selectorIhNS0_10empty_typeEEEZZNS1_29radix_sort_onesweep_iterationIS3_Lb0EPhS8_PS5_S9_mNS0_19identity_decomposerENS1_16block_id_wrapperIjLb0EEEEE10hipError_tT1_PNSt15iterator_traitsISE_E10value_typeET2_T3_PNSF_ISK_E10value_typeET4_T5_PSP_SQ_PNS1_23onesweep_lookback_stateEbbT6_jjT7_P12ihipStream_tbENKUlT_T0_SE_SJ_E_clIS8_S8_S9_S9_EEDaSX_SY_SE_SJ_EUlSX_E_NS1_11comp_targetILNS1_3genE0ELNS1_11target_archE4294967295ELNS1_3gpuE0ELNS1_3repE0EEENS1_47radix_sort_onesweep_sort_config_static_selectorELNS0_4arch9wavefront6targetE1EEEvSE_
		.amdhsa_group_segment_fixed_size 0
		.amdhsa_private_segment_fixed_size 0
		.amdhsa_kernarg_size 88
		.amdhsa_user_sgpr_count 6
		.amdhsa_user_sgpr_private_segment_buffer 1
		.amdhsa_user_sgpr_dispatch_ptr 0
		.amdhsa_user_sgpr_queue_ptr 0
		.amdhsa_user_sgpr_kernarg_segment_ptr 1
		.amdhsa_user_sgpr_dispatch_id 0
		.amdhsa_user_sgpr_flat_scratch_init 0
		.amdhsa_user_sgpr_kernarg_preload_length 0
		.amdhsa_user_sgpr_kernarg_preload_offset 0
		.amdhsa_user_sgpr_private_segment_size 0
		.amdhsa_uses_dynamic_stack 0
		.amdhsa_system_sgpr_private_segment_wavefront_offset 0
		.amdhsa_system_sgpr_workgroup_id_x 1
		.amdhsa_system_sgpr_workgroup_id_y 0
		.amdhsa_system_sgpr_workgroup_id_z 0
		.amdhsa_system_sgpr_workgroup_info 0
		.amdhsa_system_vgpr_workitem_id 0
		.amdhsa_next_free_vgpr 1
		.amdhsa_next_free_sgpr 0
		.amdhsa_accum_offset 4
		.amdhsa_reserve_vcc 0
		.amdhsa_reserve_flat_scratch 0
		.amdhsa_float_round_mode_32 0
		.amdhsa_float_round_mode_16_64 0
		.amdhsa_float_denorm_mode_32 3
		.amdhsa_float_denorm_mode_16_64 3
		.amdhsa_dx10_clamp 1
		.amdhsa_ieee_mode 1
		.amdhsa_fp16_overflow 0
		.amdhsa_tg_split 0
		.amdhsa_exception_fp_ieee_invalid_op 0
		.amdhsa_exception_fp_denorm_src 0
		.amdhsa_exception_fp_ieee_div_zero 0
		.amdhsa_exception_fp_ieee_overflow 0
		.amdhsa_exception_fp_ieee_underflow 0
		.amdhsa_exception_fp_ieee_inexact 0
		.amdhsa_exception_int_div_zero 0
	.end_amdhsa_kernel
	.section	.text._ZN7rocprim17ROCPRIM_400000_NS6detail17trampoline_kernelINS0_14default_configENS1_35radix_sort_onesweep_config_selectorIhNS0_10empty_typeEEEZZNS1_29radix_sort_onesweep_iterationIS3_Lb0EPhS8_PS5_S9_mNS0_19identity_decomposerENS1_16block_id_wrapperIjLb0EEEEE10hipError_tT1_PNSt15iterator_traitsISE_E10value_typeET2_T3_PNSF_ISK_E10value_typeET4_T5_PSP_SQ_PNS1_23onesweep_lookback_stateEbbT6_jjT7_P12ihipStream_tbENKUlT_T0_SE_SJ_E_clIS8_S8_S9_S9_EEDaSX_SY_SE_SJ_EUlSX_E_NS1_11comp_targetILNS1_3genE0ELNS1_11target_archE4294967295ELNS1_3gpuE0ELNS1_3repE0EEENS1_47radix_sort_onesweep_sort_config_static_selectorELNS0_4arch9wavefront6targetE1EEEvSE_,"axG",@progbits,_ZN7rocprim17ROCPRIM_400000_NS6detail17trampoline_kernelINS0_14default_configENS1_35radix_sort_onesweep_config_selectorIhNS0_10empty_typeEEEZZNS1_29radix_sort_onesweep_iterationIS3_Lb0EPhS8_PS5_S9_mNS0_19identity_decomposerENS1_16block_id_wrapperIjLb0EEEEE10hipError_tT1_PNSt15iterator_traitsISE_E10value_typeET2_T3_PNSF_ISK_E10value_typeET4_T5_PSP_SQ_PNS1_23onesweep_lookback_stateEbbT6_jjT7_P12ihipStream_tbENKUlT_T0_SE_SJ_E_clIS8_S8_S9_S9_EEDaSX_SY_SE_SJ_EUlSX_E_NS1_11comp_targetILNS1_3genE0ELNS1_11target_archE4294967295ELNS1_3gpuE0ELNS1_3repE0EEENS1_47radix_sort_onesweep_sort_config_static_selectorELNS0_4arch9wavefront6targetE1EEEvSE_,comdat
.Lfunc_end329:
	.size	_ZN7rocprim17ROCPRIM_400000_NS6detail17trampoline_kernelINS0_14default_configENS1_35radix_sort_onesweep_config_selectorIhNS0_10empty_typeEEEZZNS1_29radix_sort_onesweep_iterationIS3_Lb0EPhS8_PS5_S9_mNS0_19identity_decomposerENS1_16block_id_wrapperIjLb0EEEEE10hipError_tT1_PNSt15iterator_traitsISE_E10value_typeET2_T3_PNSF_ISK_E10value_typeET4_T5_PSP_SQ_PNS1_23onesweep_lookback_stateEbbT6_jjT7_P12ihipStream_tbENKUlT_T0_SE_SJ_E_clIS8_S8_S9_S9_EEDaSX_SY_SE_SJ_EUlSX_E_NS1_11comp_targetILNS1_3genE0ELNS1_11target_archE4294967295ELNS1_3gpuE0ELNS1_3repE0EEENS1_47radix_sort_onesweep_sort_config_static_selectorELNS0_4arch9wavefront6targetE1EEEvSE_, .Lfunc_end329-_ZN7rocprim17ROCPRIM_400000_NS6detail17trampoline_kernelINS0_14default_configENS1_35radix_sort_onesweep_config_selectorIhNS0_10empty_typeEEEZZNS1_29radix_sort_onesweep_iterationIS3_Lb0EPhS8_PS5_S9_mNS0_19identity_decomposerENS1_16block_id_wrapperIjLb0EEEEE10hipError_tT1_PNSt15iterator_traitsISE_E10value_typeET2_T3_PNSF_ISK_E10value_typeET4_T5_PSP_SQ_PNS1_23onesweep_lookback_stateEbbT6_jjT7_P12ihipStream_tbENKUlT_T0_SE_SJ_E_clIS8_S8_S9_S9_EEDaSX_SY_SE_SJ_EUlSX_E_NS1_11comp_targetILNS1_3genE0ELNS1_11target_archE4294967295ELNS1_3gpuE0ELNS1_3repE0EEENS1_47radix_sort_onesweep_sort_config_static_selectorELNS0_4arch9wavefront6targetE1EEEvSE_
                                        ; -- End function
	.section	.AMDGPU.csdata,"",@progbits
; Kernel info:
; codeLenInByte = 0
; NumSgprs: 4
; NumVgprs: 0
; NumAgprs: 0
; TotalNumVgprs: 0
; ScratchSize: 0
; MemoryBound: 0
; FloatMode: 240
; IeeeMode: 1
; LDSByteSize: 0 bytes/workgroup (compile time only)
; SGPRBlocks: 0
; VGPRBlocks: 0
; NumSGPRsForWavesPerEU: 4
; NumVGPRsForWavesPerEU: 1
; AccumOffset: 4
; Occupancy: 8
; WaveLimiterHint : 0
; COMPUTE_PGM_RSRC2:SCRATCH_EN: 0
; COMPUTE_PGM_RSRC2:USER_SGPR: 6
; COMPUTE_PGM_RSRC2:TRAP_HANDLER: 0
; COMPUTE_PGM_RSRC2:TGID_X_EN: 1
; COMPUTE_PGM_RSRC2:TGID_Y_EN: 0
; COMPUTE_PGM_RSRC2:TGID_Z_EN: 0
; COMPUTE_PGM_RSRC2:TIDIG_COMP_CNT: 0
; COMPUTE_PGM_RSRC3_GFX90A:ACCUM_OFFSET: 0
; COMPUTE_PGM_RSRC3_GFX90A:TG_SPLIT: 0
	.section	.text._ZN7rocprim17ROCPRIM_400000_NS6detail17trampoline_kernelINS0_14default_configENS1_35radix_sort_onesweep_config_selectorIhNS0_10empty_typeEEEZZNS1_29radix_sort_onesweep_iterationIS3_Lb0EPhS8_PS5_S9_mNS0_19identity_decomposerENS1_16block_id_wrapperIjLb0EEEEE10hipError_tT1_PNSt15iterator_traitsISE_E10value_typeET2_T3_PNSF_ISK_E10value_typeET4_T5_PSP_SQ_PNS1_23onesweep_lookback_stateEbbT6_jjT7_P12ihipStream_tbENKUlT_T0_SE_SJ_E_clIS8_S8_S9_S9_EEDaSX_SY_SE_SJ_EUlSX_E_NS1_11comp_targetILNS1_3genE6ELNS1_11target_archE950ELNS1_3gpuE13ELNS1_3repE0EEENS1_47radix_sort_onesweep_sort_config_static_selectorELNS0_4arch9wavefront6targetE1EEEvSE_,"axG",@progbits,_ZN7rocprim17ROCPRIM_400000_NS6detail17trampoline_kernelINS0_14default_configENS1_35radix_sort_onesweep_config_selectorIhNS0_10empty_typeEEEZZNS1_29radix_sort_onesweep_iterationIS3_Lb0EPhS8_PS5_S9_mNS0_19identity_decomposerENS1_16block_id_wrapperIjLb0EEEEE10hipError_tT1_PNSt15iterator_traitsISE_E10value_typeET2_T3_PNSF_ISK_E10value_typeET4_T5_PSP_SQ_PNS1_23onesweep_lookback_stateEbbT6_jjT7_P12ihipStream_tbENKUlT_T0_SE_SJ_E_clIS8_S8_S9_S9_EEDaSX_SY_SE_SJ_EUlSX_E_NS1_11comp_targetILNS1_3genE6ELNS1_11target_archE950ELNS1_3gpuE13ELNS1_3repE0EEENS1_47radix_sort_onesweep_sort_config_static_selectorELNS0_4arch9wavefront6targetE1EEEvSE_,comdat
	.protected	_ZN7rocprim17ROCPRIM_400000_NS6detail17trampoline_kernelINS0_14default_configENS1_35radix_sort_onesweep_config_selectorIhNS0_10empty_typeEEEZZNS1_29radix_sort_onesweep_iterationIS3_Lb0EPhS8_PS5_S9_mNS0_19identity_decomposerENS1_16block_id_wrapperIjLb0EEEEE10hipError_tT1_PNSt15iterator_traitsISE_E10value_typeET2_T3_PNSF_ISK_E10value_typeET4_T5_PSP_SQ_PNS1_23onesweep_lookback_stateEbbT6_jjT7_P12ihipStream_tbENKUlT_T0_SE_SJ_E_clIS8_S8_S9_S9_EEDaSX_SY_SE_SJ_EUlSX_E_NS1_11comp_targetILNS1_3genE6ELNS1_11target_archE950ELNS1_3gpuE13ELNS1_3repE0EEENS1_47radix_sort_onesweep_sort_config_static_selectorELNS0_4arch9wavefront6targetE1EEEvSE_ ; -- Begin function _ZN7rocprim17ROCPRIM_400000_NS6detail17trampoline_kernelINS0_14default_configENS1_35radix_sort_onesweep_config_selectorIhNS0_10empty_typeEEEZZNS1_29radix_sort_onesweep_iterationIS3_Lb0EPhS8_PS5_S9_mNS0_19identity_decomposerENS1_16block_id_wrapperIjLb0EEEEE10hipError_tT1_PNSt15iterator_traitsISE_E10value_typeET2_T3_PNSF_ISK_E10value_typeET4_T5_PSP_SQ_PNS1_23onesweep_lookback_stateEbbT6_jjT7_P12ihipStream_tbENKUlT_T0_SE_SJ_E_clIS8_S8_S9_S9_EEDaSX_SY_SE_SJ_EUlSX_E_NS1_11comp_targetILNS1_3genE6ELNS1_11target_archE950ELNS1_3gpuE13ELNS1_3repE0EEENS1_47radix_sort_onesweep_sort_config_static_selectorELNS0_4arch9wavefront6targetE1EEEvSE_
	.globl	_ZN7rocprim17ROCPRIM_400000_NS6detail17trampoline_kernelINS0_14default_configENS1_35radix_sort_onesweep_config_selectorIhNS0_10empty_typeEEEZZNS1_29radix_sort_onesweep_iterationIS3_Lb0EPhS8_PS5_S9_mNS0_19identity_decomposerENS1_16block_id_wrapperIjLb0EEEEE10hipError_tT1_PNSt15iterator_traitsISE_E10value_typeET2_T3_PNSF_ISK_E10value_typeET4_T5_PSP_SQ_PNS1_23onesweep_lookback_stateEbbT6_jjT7_P12ihipStream_tbENKUlT_T0_SE_SJ_E_clIS8_S8_S9_S9_EEDaSX_SY_SE_SJ_EUlSX_E_NS1_11comp_targetILNS1_3genE6ELNS1_11target_archE950ELNS1_3gpuE13ELNS1_3repE0EEENS1_47radix_sort_onesweep_sort_config_static_selectorELNS0_4arch9wavefront6targetE1EEEvSE_
	.p2align	8
	.type	_ZN7rocprim17ROCPRIM_400000_NS6detail17trampoline_kernelINS0_14default_configENS1_35radix_sort_onesweep_config_selectorIhNS0_10empty_typeEEEZZNS1_29radix_sort_onesweep_iterationIS3_Lb0EPhS8_PS5_S9_mNS0_19identity_decomposerENS1_16block_id_wrapperIjLb0EEEEE10hipError_tT1_PNSt15iterator_traitsISE_E10value_typeET2_T3_PNSF_ISK_E10value_typeET4_T5_PSP_SQ_PNS1_23onesweep_lookback_stateEbbT6_jjT7_P12ihipStream_tbENKUlT_T0_SE_SJ_E_clIS8_S8_S9_S9_EEDaSX_SY_SE_SJ_EUlSX_E_NS1_11comp_targetILNS1_3genE6ELNS1_11target_archE950ELNS1_3gpuE13ELNS1_3repE0EEENS1_47radix_sort_onesweep_sort_config_static_selectorELNS0_4arch9wavefront6targetE1EEEvSE_,@function
_ZN7rocprim17ROCPRIM_400000_NS6detail17trampoline_kernelINS0_14default_configENS1_35radix_sort_onesweep_config_selectorIhNS0_10empty_typeEEEZZNS1_29radix_sort_onesweep_iterationIS3_Lb0EPhS8_PS5_S9_mNS0_19identity_decomposerENS1_16block_id_wrapperIjLb0EEEEE10hipError_tT1_PNSt15iterator_traitsISE_E10value_typeET2_T3_PNSF_ISK_E10value_typeET4_T5_PSP_SQ_PNS1_23onesweep_lookback_stateEbbT6_jjT7_P12ihipStream_tbENKUlT_T0_SE_SJ_E_clIS8_S8_S9_S9_EEDaSX_SY_SE_SJ_EUlSX_E_NS1_11comp_targetILNS1_3genE6ELNS1_11target_archE950ELNS1_3gpuE13ELNS1_3repE0EEENS1_47radix_sort_onesweep_sort_config_static_selectorELNS0_4arch9wavefront6targetE1EEEvSE_: ; @_ZN7rocprim17ROCPRIM_400000_NS6detail17trampoline_kernelINS0_14default_configENS1_35radix_sort_onesweep_config_selectorIhNS0_10empty_typeEEEZZNS1_29radix_sort_onesweep_iterationIS3_Lb0EPhS8_PS5_S9_mNS0_19identity_decomposerENS1_16block_id_wrapperIjLb0EEEEE10hipError_tT1_PNSt15iterator_traitsISE_E10value_typeET2_T3_PNSF_ISK_E10value_typeET4_T5_PSP_SQ_PNS1_23onesweep_lookback_stateEbbT6_jjT7_P12ihipStream_tbENKUlT_T0_SE_SJ_E_clIS8_S8_S9_S9_EEDaSX_SY_SE_SJ_EUlSX_E_NS1_11comp_targetILNS1_3genE6ELNS1_11target_archE950ELNS1_3gpuE13ELNS1_3repE0EEENS1_47radix_sort_onesweep_sort_config_static_selectorELNS0_4arch9wavefront6targetE1EEEvSE_
; %bb.0:
	.section	.rodata,"a",@progbits
	.p2align	6, 0x0
	.amdhsa_kernel _ZN7rocprim17ROCPRIM_400000_NS6detail17trampoline_kernelINS0_14default_configENS1_35radix_sort_onesweep_config_selectorIhNS0_10empty_typeEEEZZNS1_29radix_sort_onesweep_iterationIS3_Lb0EPhS8_PS5_S9_mNS0_19identity_decomposerENS1_16block_id_wrapperIjLb0EEEEE10hipError_tT1_PNSt15iterator_traitsISE_E10value_typeET2_T3_PNSF_ISK_E10value_typeET4_T5_PSP_SQ_PNS1_23onesweep_lookback_stateEbbT6_jjT7_P12ihipStream_tbENKUlT_T0_SE_SJ_E_clIS8_S8_S9_S9_EEDaSX_SY_SE_SJ_EUlSX_E_NS1_11comp_targetILNS1_3genE6ELNS1_11target_archE950ELNS1_3gpuE13ELNS1_3repE0EEENS1_47radix_sort_onesweep_sort_config_static_selectorELNS0_4arch9wavefront6targetE1EEEvSE_
		.amdhsa_group_segment_fixed_size 0
		.amdhsa_private_segment_fixed_size 0
		.amdhsa_kernarg_size 88
		.amdhsa_user_sgpr_count 6
		.amdhsa_user_sgpr_private_segment_buffer 1
		.amdhsa_user_sgpr_dispatch_ptr 0
		.amdhsa_user_sgpr_queue_ptr 0
		.amdhsa_user_sgpr_kernarg_segment_ptr 1
		.amdhsa_user_sgpr_dispatch_id 0
		.amdhsa_user_sgpr_flat_scratch_init 0
		.amdhsa_user_sgpr_kernarg_preload_length 0
		.amdhsa_user_sgpr_kernarg_preload_offset 0
		.amdhsa_user_sgpr_private_segment_size 0
		.amdhsa_uses_dynamic_stack 0
		.amdhsa_system_sgpr_private_segment_wavefront_offset 0
		.amdhsa_system_sgpr_workgroup_id_x 1
		.amdhsa_system_sgpr_workgroup_id_y 0
		.amdhsa_system_sgpr_workgroup_id_z 0
		.amdhsa_system_sgpr_workgroup_info 0
		.amdhsa_system_vgpr_workitem_id 0
		.amdhsa_next_free_vgpr 1
		.amdhsa_next_free_sgpr 0
		.amdhsa_accum_offset 4
		.amdhsa_reserve_vcc 0
		.amdhsa_reserve_flat_scratch 0
		.amdhsa_float_round_mode_32 0
		.amdhsa_float_round_mode_16_64 0
		.amdhsa_float_denorm_mode_32 3
		.amdhsa_float_denorm_mode_16_64 3
		.amdhsa_dx10_clamp 1
		.amdhsa_ieee_mode 1
		.amdhsa_fp16_overflow 0
		.amdhsa_tg_split 0
		.amdhsa_exception_fp_ieee_invalid_op 0
		.amdhsa_exception_fp_denorm_src 0
		.amdhsa_exception_fp_ieee_div_zero 0
		.amdhsa_exception_fp_ieee_overflow 0
		.amdhsa_exception_fp_ieee_underflow 0
		.amdhsa_exception_fp_ieee_inexact 0
		.amdhsa_exception_int_div_zero 0
	.end_amdhsa_kernel
	.section	.text._ZN7rocprim17ROCPRIM_400000_NS6detail17trampoline_kernelINS0_14default_configENS1_35radix_sort_onesweep_config_selectorIhNS0_10empty_typeEEEZZNS1_29radix_sort_onesweep_iterationIS3_Lb0EPhS8_PS5_S9_mNS0_19identity_decomposerENS1_16block_id_wrapperIjLb0EEEEE10hipError_tT1_PNSt15iterator_traitsISE_E10value_typeET2_T3_PNSF_ISK_E10value_typeET4_T5_PSP_SQ_PNS1_23onesweep_lookback_stateEbbT6_jjT7_P12ihipStream_tbENKUlT_T0_SE_SJ_E_clIS8_S8_S9_S9_EEDaSX_SY_SE_SJ_EUlSX_E_NS1_11comp_targetILNS1_3genE6ELNS1_11target_archE950ELNS1_3gpuE13ELNS1_3repE0EEENS1_47radix_sort_onesweep_sort_config_static_selectorELNS0_4arch9wavefront6targetE1EEEvSE_,"axG",@progbits,_ZN7rocprim17ROCPRIM_400000_NS6detail17trampoline_kernelINS0_14default_configENS1_35radix_sort_onesweep_config_selectorIhNS0_10empty_typeEEEZZNS1_29radix_sort_onesweep_iterationIS3_Lb0EPhS8_PS5_S9_mNS0_19identity_decomposerENS1_16block_id_wrapperIjLb0EEEEE10hipError_tT1_PNSt15iterator_traitsISE_E10value_typeET2_T3_PNSF_ISK_E10value_typeET4_T5_PSP_SQ_PNS1_23onesweep_lookback_stateEbbT6_jjT7_P12ihipStream_tbENKUlT_T0_SE_SJ_E_clIS8_S8_S9_S9_EEDaSX_SY_SE_SJ_EUlSX_E_NS1_11comp_targetILNS1_3genE6ELNS1_11target_archE950ELNS1_3gpuE13ELNS1_3repE0EEENS1_47radix_sort_onesweep_sort_config_static_selectorELNS0_4arch9wavefront6targetE1EEEvSE_,comdat
.Lfunc_end330:
	.size	_ZN7rocprim17ROCPRIM_400000_NS6detail17trampoline_kernelINS0_14default_configENS1_35radix_sort_onesweep_config_selectorIhNS0_10empty_typeEEEZZNS1_29radix_sort_onesweep_iterationIS3_Lb0EPhS8_PS5_S9_mNS0_19identity_decomposerENS1_16block_id_wrapperIjLb0EEEEE10hipError_tT1_PNSt15iterator_traitsISE_E10value_typeET2_T3_PNSF_ISK_E10value_typeET4_T5_PSP_SQ_PNS1_23onesweep_lookback_stateEbbT6_jjT7_P12ihipStream_tbENKUlT_T0_SE_SJ_E_clIS8_S8_S9_S9_EEDaSX_SY_SE_SJ_EUlSX_E_NS1_11comp_targetILNS1_3genE6ELNS1_11target_archE950ELNS1_3gpuE13ELNS1_3repE0EEENS1_47radix_sort_onesweep_sort_config_static_selectorELNS0_4arch9wavefront6targetE1EEEvSE_, .Lfunc_end330-_ZN7rocprim17ROCPRIM_400000_NS6detail17trampoline_kernelINS0_14default_configENS1_35radix_sort_onesweep_config_selectorIhNS0_10empty_typeEEEZZNS1_29radix_sort_onesweep_iterationIS3_Lb0EPhS8_PS5_S9_mNS0_19identity_decomposerENS1_16block_id_wrapperIjLb0EEEEE10hipError_tT1_PNSt15iterator_traitsISE_E10value_typeET2_T3_PNSF_ISK_E10value_typeET4_T5_PSP_SQ_PNS1_23onesweep_lookback_stateEbbT6_jjT7_P12ihipStream_tbENKUlT_T0_SE_SJ_E_clIS8_S8_S9_S9_EEDaSX_SY_SE_SJ_EUlSX_E_NS1_11comp_targetILNS1_3genE6ELNS1_11target_archE950ELNS1_3gpuE13ELNS1_3repE0EEENS1_47radix_sort_onesweep_sort_config_static_selectorELNS0_4arch9wavefront6targetE1EEEvSE_
                                        ; -- End function
	.section	.AMDGPU.csdata,"",@progbits
; Kernel info:
; codeLenInByte = 0
; NumSgprs: 4
; NumVgprs: 0
; NumAgprs: 0
; TotalNumVgprs: 0
; ScratchSize: 0
; MemoryBound: 0
; FloatMode: 240
; IeeeMode: 1
; LDSByteSize: 0 bytes/workgroup (compile time only)
; SGPRBlocks: 0
; VGPRBlocks: 0
; NumSGPRsForWavesPerEU: 4
; NumVGPRsForWavesPerEU: 1
; AccumOffset: 4
; Occupancy: 8
; WaveLimiterHint : 0
; COMPUTE_PGM_RSRC2:SCRATCH_EN: 0
; COMPUTE_PGM_RSRC2:USER_SGPR: 6
; COMPUTE_PGM_RSRC2:TRAP_HANDLER: 0
; COMPUTE_PGM_RSRC2:TGID_X_EN: 1
; COMPUTE_PGM_RSRC2:TGID_Y_EN: 0
; COMPUTE_PGM_RSRC2:TGID_Z_EN: 0
; COMPUTE_PGM_RSRC2:TIDIG_COMP_CNT: 0
; COMPUTE_PGM_RSRC3_GFX90A:ACCUM_OFFSET: 0
; COMPUTE_PGM_RSRC3_GFX90A:TG_SPLIT: 0
	.section	.text._ZN7rocprim17ROCPRIM_400000_NS6detail17trampoline_kernelINS0_14default_configENS1_35radix_sort_onesweep_config_selectorIhNS0_10empty_typeEEEZZNS1_29radix_sort_onesweep_iterationIS3_Lb0EPhS8_PS5_S9_mNS0_19identity_decomposerENS1_16block_id_wrapperIjLb0EEEEE10hipError_tT1_PNSt15iterator_traitsISE_E10value_typeET2_T3_PNSF_ISK_E10value_typeET4_T5_PSP_SQ_PNS1_23onesweep_lookback_stateEbbT6_jjT7_P12ihipStream_tbENKUlT_T0_SE_SJ_E_clIS8_S8_S9_S9_EEDaSX_SY_SE_SJ_EUlSX_E_NS1_11comp_targetILNS1_3genE5ELNS1_11target_archE942ELNS1_3gpuE9ELNS1_3repE0EEENS1_47radix_sort_onesweep_sort_config_static_selectorELNS0_4arch9wavefront6targetE1EEEvSE_,"axG",@progbits,_ZN7rocprim17ROCPRIM_400000_NS6detail17trampoline_kernelINS0_14default_configENS1_35radix_sort_onesweep_config_selectorIhNS0_10empty_typeEEEZZNS1_29radix_sort_onesweep_iterationIS3_Lb0EPhS8_PS5_S9_mNS0_19identity_decomposerENS1_16block_id_wrapperIjLb0EEEEE10hipError_tT1_PNSt15iterator_traitsISE_E10value_typeET2_T3_PNSF_ISK_E10value_typeET4_T5_PSP_SQ_PNS1_23onesweep_lookback_stateEbbT6_jjT7_P12ihipStream_tbENKUlT_T0_SE_SJ_E_clIS8_S8_S9_S9_EEDaSX_SY_SE_SJ_EUlSX_E_NS1_11comp_targetILNS1_3genE5ELNS1_11target_archE942ELNS1_3gpuE9ELNS1_3repE0EEENS1_47radix_sort_onesweep_sort_config_static_selectorELNS0_4arch9wavefront6targetE1EEEvSE_,comdat
	.protected	_ZN7rocprim17ROCPRIM_400000_NS6detail17trampoline_kernelINS0_14default_configENS1_35radix_sort_onesweep_config_selectorIhNS0_10empty_typeEEEZZNS1_29radix_sort_onesweep_iterationIS3_Lb0EPhS8_PS5_S9_mNS0_19identity_decomposerENS1_16block_id_wrapperIjLb0EEEEE10hipError_tT1_PNSt15iterator_traitsISE_E10value_typeET2_T3_PNSF_ISK_E10value_typeET4_T5_PSP_SQ_PNS1_23onesweep_lookback_stateEbbT6_jjT7_P12ihipStream_tbENKUlT_T0_SE_SJ_E_clIS8_S8_S9_S9_EEDaSX_SY_SE_SJ_EUlSX_E_NS1_11comp_targetILNS1_3genE5ELNS1_11target_archE942ELNS1_3gpuE9ELNS1_3repE0EEENS1_47radix_sort_onesweep_sort_config_static_selectorELNS0_4arch9wavefront6targetE1EEEvSE_ ; -- Begin function _ZN7rocprim17ROCPRIM_400000_NS6detail17trampoline_kernelINS0_14default_configENS1_35radix_sort_onesweep_config_selectorIhNS0_10empty_typeEEEZZNS1_29radix_sort_onesweep_iterationIS3_Lb0EPhS8_PS5_S9_mNS0_19identity_decomposerENS1_16block_id_wrapperIjLb0EEEEE10hipError_tT1_PNSt15iterator_traitsISE_E10value_typeET2_T3_PNSF_ISK_E10value_typeET4_T5_PSP_SQ_PNS1_23onesweep_lookback_stateEbbT6_jjT7_P12ihipStream_tbENKUlT_T0_SE_SJ_E_clIS8_S8_S9_S9_EEDaSX_SY_SE_SJ_EUlSX_E_NS1_11comp_targetILNS1_3genE5ELNS1_11target_archE942ELNS1_3gpuE9ELNS1_3repE0EEENS1_47radix_sort_onesweep_sort_config_static_selectorELNS0_4arch9wavefront6targetE1EEEvSE_
	.globl	_ZN7rocprim17ROCPRIM_400000_NS6detail17trampoline_kernelINS0_14default_configENS1_35radix_sort_onesweep_config_selectorIhNS0_10empty_typeEEEZZNS1_29radix_sort_onesweep_iterationIS3_Lb0EPhS8_PS5_S9_mNS0_19identity_decomposerENS1_16block_id_wrapperIjLb0EEEEE10hipError_tT1_PNSt15iterator_traitsISE_E10value_typeET2_T3_PNSF_ISK_E10value_typeET4_T5_PSP_SQ_PNS1_23onesweep_lookback_stateEbbT6_jjT7_P12ihipStream_tbENKUlT_T0_SE_SJ_E_clIS8_S8_S9_S9_EEDaSX_SY_SE_SJ_EUlSX_E_NS1_11comp_targetILNS1_3genE5ELNS1_11target_archE942ELNS1_3gpuE9ELNS1_3repE0EEENS1_47radix_sort_onesweep_sort_config_static_selectorELNS0_4arch9wavefront6targetE1EEEvSE_
	.p2align	8
	.type	_ZN7rocprim17ROCPRIM_400000_NS6detail17trampoline_kernelINS0_14default_configENS1_35radix_sort_onesweep_config_selectorIhNS0_10empty_typeEEEZZNS1_29radix_sort_onesweep_iterationIS3_Lb0EPhS8_PS5_S9_mNS0_19identity_decomposerENS1_16block_id_wrapperIjLb0EEEEE10hipError_tT1_PNSt15iterator_traitsISE_E10value_typeET2_T3_PNSF_ISK_E10value_typeET4_T5_PSP_SQ_PNS1_23onesweep_lookback_stateEbbT6_jjT7_P12ihipStream_tbENKUlT_T0_SE_SJ_E_clIS8_S8_S9_S9_EEDaSX_SY_SE_SJ_EUlSX_E_NS1_11comp_targetILNS1_3genE5ELNS1_11target_archE942ELNS1_3gpuE9ELNS1_3repE0EEENS1_47radix_sort_onesweep_sort_config_static_selectorELNS0_4arch9wavefront6targetE1EEEvSE_,@function
_ZN7rocprim17ROCPRIM_400000_NS6detail17trampoline_kernelINS0_14default_configENS1_35radix_sort_onesweep_config_selectorIhNS0_10empty_typeEEEZZNS1_29radix_sort_onesweep_iterationIS3_Lb0EPhS8_PS5_S9_mNS0_19identity_decomposerENS1_16block_id_wrapperIjLb0EEEEE10hipError_tT1_PNSt15iterator_traitsISE_E10value_typeET2_T3_PNSF_ISK_E10value_typeET4_T5_PSP_SQ_PNS1_23onesweep_lookback_stateEbbT6_jjT7_P12ihipStream_tbENKUlT_T0_SE_SJ_E_clIS8_S8_S9_S9_EEDaSX_SY_SE_SJ_EUlSX_E_NS1_11comp_targetILNS1_3genE5ELNS1_11target_archE942ELNS1_3gpuE9ELNS1_3repE0EEENS1_47radix_sort_onesweep_sort_config_static_selectorELNS0_4arch9wavefront6targetE1EEEvSE_: ; @_ZN7rocprim17ROCPRIM_400000_NS6detail17trampoline_kernelINS0_14default_configENS1_35radix_sort_onesweep_config_selectorIhNS0_10empty_typeEEEZZNS1_29radix_sort_onesweep_iterationIS3_Lb0EPhS8_PS5_S9_mNS0_19identity_decomposerENS1_16block_id_wrapperIjLb0EEEEE10hipError_tT1_PNSt15iterator_traitsISE_E10value_typeET2_T3_PNSF_ISK_E10value_typeET4_T5_PSP_SQ_PNS1_23onesweep_lookback_stateEbbT6_jjT7_P12ihipStream_tbENKUlT_T0_SE_SJ_E_clIS8_S8_S9_S9_EEDaSX_SY_SE_SJ_EUlSX_E_NS1_11comp_targetILNS1_3genE5ELNS1_11target_archE942ELNS1_3gpuE9ELNS1_3repE0EEENS1_47radix_sort_onesweep_sort_config_static_selectorELNS0_4arch9wavefront6targetE1EEEvSE_
; %bb.0:
	.section	.rodata,"a",@progbits
	.p2align	6, 0x0
	.amdhsa_kernel _ZN7rocprim17ROCPRIM_400000_NS6detail17trampoline_kernelINS0_14default_configENS1_35radix_sort_onesweep_config_selectorIhNS0_10empty_typeEEEZZNS1_29radix_sort_onesweep_iterationIS3_Lb0EPhS8_PS5_S9_mNS0_19identity_decomposerENS1_16block_id_wrapperIjLb0EEEEE10hipError_tT1_PNSt15iterator_traitsISE_E10value_typeET2_T3_PNSF_ISK_E10value_typeET4_T5_PSP_SQ_PNS1_23onesweep_lookback_stateEbbT6_jjT7_P12ihipStream_tbENKUlT_T0_SE_SJ_E_clIS8_S8_S9_S9_EEDaSX_SY_SE_SJ_EUlSX_E_NS1_11comp_targetILNS1_3genE5ELNS1_11target_archE942ELNS1_3gpuE9ELNS1_3repE0EEENS1_47radix_sort_onesweep_sort_config_static_selectorELNS0_4arch9wavefront6targetE1EEEvSE_
		.amdhsa_group_segment_fixed_size 0
		.amdhsa_private_segment_fixed_size 0
		.amdhsa_kernarg_size 88
		.amdhsa_user_sgpr_count 6
		.amdhsa_user_sgpr_private_segment_buffer 1
		.amdhsa_user_sgpr_dispatch_ptr 0
		.amdhsa_user_sgpr_queue_ptr 0
		.amdhsa_user_sgpr_kernarg_segment_ptr 1
		.amdhsa_user_sgpr_dispatch_id 0
		.amdhsa_user_sgpr_flat_scratch_init 0
		.amdhsa_user_sgpr_kernarg_preload_length 0
		.amdhsa_user_sgpr_kernarg_preload_offset 0
		.amdhsa_user_sgpr_private_segment_size 0
		.amdhsa_uses_dynamic_stack 0
		.amdhsa_system_sgpr_private_segment_wavefront_offset 0
		.amdhsa_system_sgpr_workgroup_id_x 1
		.amdhsa_system_sgpr_workgroup_id_y 0
		.amdhsa_system_sgpr_workgroup_id_z 0
		.amdhsa_system_sgpr_workgroup_info 0
		.amdhsa_system_vgpr_workitem_id 0
		.amdhsa_next_free_vgpr 1
		.amdhsa_next_free_sgpr 0
		.amdhsa_accum_offset 4
		.amdhsa_reserve_vcc 0
		.amdhsa_reserve_flat_scratch 0
		.amdhsa_float_round_mode_32 0
		.amdhsa_float_round_mode_16_64 0
		.amdhsa_float_denorm_mode_32 3
		.amdhsa_float_denorm_mode_16_64 3
		.amdhsa_dx10_clamp 1
		.amdhsa_ieee_mode 1
		.amdhsa_fp16_overflow 0
		.amdhsa_tg_split 0
		.amdhsa_exception_fp_ieee_invalid_op 0
		.amdhsa_exception_fp_denorm_src 0
		.amdhsa_exception_fp_ieee_div_zero 0
		.amdhsa_exception_fp_ieee_overflow 0
		.amdhsa_exception_fp_ieee_underflow 0
		.amdhsa_exception_fp_ieee_inexact 0
		.amdhsa_exception_int_div_zero 0
	.end_amdhsa_kernel
	.section	.text._ZN7rocprim17ROCPRIM_400000_NS6detail17trampoline_kernelINS0_14default_configENS1_35radix_sort_onesweep_config_selectorIhNS0_10empty_typeEEEZZNS1_29radix_sort_onesweep_iterationIS3_Lb0EPhS8_PS5_S9_mNS0_19identity_decomposerENS1_16block_id_wrapperIjLb0EEEEE10hipError_tT1_PNSt15iterator_traitsISE_E10value_typeET2_T3_PNSF_ISK_E10value_typeET4_T5_PSP_SQ_PNS1_23onesweep_lookback_stateEbbT6_jjT7_P12ihipStream_tbENKUlT_T0_SE_SJ_E_clIS8_S8_S9_S9_EEDaSX_SY_SE_SJ_EUlSX_E_NS1_11comp_targetILNS1_3genE5ELNS1_11target_archE942ELNS1_3gpuE9ELNS1_3repE0EEENS1_47radix_sort_onesweep_sort_config_static_selectorELNS0_4arch9wavefront6targetE1EEEvSE_,"axG",@progbits,_ZN7rocprim17ROCPRIM_400000_NS6detail17trampoline_kernelINS0_14default_configENS1_35radix_sort_onesweep_config_selectorIhNS0_10empty_typeEEEZZNS1_29radix_sort_onesweep_iterationIS3_Lb0EPhS8_PS5_S9_mNS0_19identity_decomposerENS1_16block_id_wrapperIjLb0EEEEE10hipError_tT1_PNSt15iterator_traitsISE_E10value_typeET2_T3_PNSF_ISK_E10value_typeET4_T5_PSP_SQ_PNS1_23onesweep_lookback_stateEbbT6_jjT7_P12ihipStream_tbENKUlT_T0_SE_SJ_E_clIS8_S8_S9_S9_EEDaSX_SY_SE_SJ_EUlSX_E_NS1_11comp_targetILNS1_3genE5ELNS1_11target_archE942ELNS1_3gpuE9ELNS1_3repE0EEENS1_47radix_sort_onesweep_sort_config_static_selectorELNS0_4arch9wavefront6targetE1EEEvSE_,comdat
.Lfunc_end331:
	.size	_ZN7rocprim17ROCPRIM_400000_NS6detail17trampoline_kernelINS0_14default_configENS1_35radix_sort_onesweep_config_selectorIhNS0_10empty_typeEEEZZNS1_29radix_sort_onesweep_iterationIS3_Lb0EPhS8_PS5_S9_mNS0_19identity_decomposerENS1_16block_id_wrapperIjLb0EEEEE10hipError_tT1_PNSt15iterator_traitsISE_E10value_typeET2_T3_PNSF_ISK_E10value_typeET4_T5_PSP_SQ_PNS1_23onesweep_lookback_stateEbbT6_jjT7_P12ihipStream_tbENKUlT_T0_SE_SJ_E_clIS8_S8_S9_S9_EEDaSX_SY_SE_SJ_EUlSX_E_NS1_11comp_targetILNS1_3genE5ELNS1_11target_archE942ELNS1_3gpuE9ELNS1_3repE0EEENS1_47radix_sort_onesweep_sort_config_static_selectorELNS0_4arch9wavefront6targetE1EEEvSE_, .Lfunc_end331-_ZN7rocprim17ROCPRIM_400000_NS6detail17trampoline_kernelINS0_14default_configENS1_35radix_sort_onesweep_config_selectorIhNS0_10empty_typeEEEZZNS1_29radix_sort_onesweep_iterationIS3_Lb0EPhS8_PS5_S9_mNS0_19identity_decomposerENS1_16block_id_wrapperIjLb0EEEEE10hipError_tT1_PNSt15iterator_traitsISE_E10value_typeET2_T3_PNSF_ISK_E10value_typeET4_T5_PSP_SQ_PNS1_23onesweep_lookback_stateEbbT6_jjT7_P12ihipStream_tbENKUlT_T0_SE_SJ_E_clIS8_S8_S9_S9_EEDaSX_SY_SE_SJ_EUlSX_E_NS1_11comp_targetILNS1_3genE5ELNS1_11target_archE942ELNS1_3gpuE9ELNS1_3repE0EEENS1_47radix_sort_onesweep_sort_config_static_selectorELNS0_4arch9wavefront6targetE1EEEvSE_
                                        ; -- End function
	.section	.AMDGPU.csdata,"",@progbits
; Kernel info:
; codeLenInByte = 0
; NumSgprs: 4
; NumVgprs: 0
; NumAgprs: 0
; TotalNumVgprs: 0
; ScratchSize: 0
; MemoryBound: 0
; FloatMode: 240
; IeeeMode: 1
; LDSByteSize: 0 bytes/workgroup (compile time only)
; SGPRBlocks: 0
; VGPRBlocks: 0
; NumSGPRsForWavesPerEU: 4
; NumVGPRsForWavesPerEU: 1
; AccumOffset: 4
; Occupancy: 8
; WaveLimiterHint : 0
; COMPUTE_PGM_RSRC2:SCRATCH_EN: 0
; COMPUTE_PGM_RSRC2:USER_SGPR: 6
; COMPUTE_PGM_RSRC2:TRAP_HANDLER: 0
; COMPUTE_PGM_RSRC2:TGID_X_EN: 1
; COMPUTE_PGM_RSRC2:TGID_Y_EN: 0
; COMPUTE_PGM_RSRC2:TGID_Z_EN: 0
; COMPUTE_PGM_RSRC2:TIDIG_COMP_CNT: 0
; COMPUTE_PGM_RSRC3_GFX90A:ACCUM_OFFSET: 0
; COMPUTE_PGM_RSRC3_GFX90A:TG_SPLIT: 0
	.section	.text._ZN7rocprim17ROCPRIM_400000_NS6detail17trampoline_kernelINS0_14default_configENS1_35radix_sort_onesweep_config_selectorIhNS0_10empty_typeEEEZZNS1_29radix_sort_onesweep_iterationIS3_Lb0EPhS8_PS5_S9_mNS0_19identity_decomposerENS1_16block_id_wrapperIjLb0EEEEE10hipError_tT1_PNSt15iterator_traitsISE_E10value_typeET2_T3_PNSF_ISK_E10value_typeET4_T5_PSP_SQ_PNS1_23onesweep_lookback_stateEbbT6_jjT7_P12ihipStream_tbENKUlT_T0_SE_SJ_E_clIS8_S8_S9_S9_EEDaSX_SY_SE_SJ_EUlSX_E_NS1_11comp_targetILNS1_3genE2ELNS1_11target_archE906ELNS1_3gpuE6ELNS1_3repE0EEENS1_47radix_sort_onesweep_sort_config_static_selectorELNS0_4arch9wavefront6targetE1EEEvSE_,"axG",@progbits,_ZN7rocprim17ROCPRIM_400000_NS6detail17trampoline_kernelINS0_14default_configENS1_35radix_sort_onesweep_config_selectorIhNS0_10empty_typeEEEZZNS1_29radix_sort_onesweep_iterationIS3_Lb0EPhS8_PS5_S9_mNS0_19identity_decomposerENS1_16block_id_wrapperIjLb0EEEEE10hipError_tT1_PNSt15iterator_traitsISE_E10value_typeET2_T3_PNSF_ISK_E10value_typeET4_T5_PSP_SQ_PNS1_23onesweep_lookback_stateEbbT6_jjT7_P12ihipStream_tbENKUlT_T0_SE_SJ_E_clIS8_S8_S9_S9_EEDaSX_SY_SE_SJ_EUlSX_E_NS1_11comp_targetILNS1_3genE2ELNS1_11target_archE906ELNS1_3gpuE6ELNS1_3repE0EEENS1_47radix_sort_onesweep_sort_config_static_selectorELNS0_4arch9wavefront6targetE1EEEvSE_,comdat
	.protected	_ZN7rocprim17ROCPRIM_400000_NS6detail17trampoline_kernelINS0_14default_configENS1_35radix_sort_onesweep_config_selectorIhNS0_10empty_typeEEEZZNS1_29radix_sort_onesweep_iterationIS3_Lb0EPhS8_PS5_S9_mNS0_19identity_decomposerENS1_16block_id_wrapperIjLb0EEEEE10hipError_tT1_PNSt15iterator_traitsISE_E10value_typeET2_T3_PNSF_ISK_E10value_typeET4_T5_PSP_SQ_PNS1_23onesweep_lookback_stateEbbT6_jjT7_P12ihipStream_tbENKUlT_T0_SE_SJ_E_clIS8_S8_S9_S9_EEDaSX_SY_SE_SJ_EUlSX_E_NS1_11comp_targetILNS1_3genE2ELNS1_11target_archE906ELNS1_3gpuE6ELNS1_3repE0EEENS1_47radix_sort_onesweep_sort_config_static_selectorELNS0_4arch9wavefront6targetE1EEEvSE_ ; -- Begin function _ZN7rocprim17ROCPRIM_400000_NS6detail17trampoline_kernelINS0_14default_configENS1_35radix_sort_onesweep_config_selectorIhNS0_10empty_typeEEEZZNS1_29radix_sort_onesweep_iterationIS3_Lb0EPhS8_PS5_S9_mNS0_19identity_decomposerENS1_16block_id_wrapperIjLb0EEEEE10hipError_tT1_PNSt15iterator_traitsISE_E10value_typeET2_T3_PNSF_ISK_E10value_typeET4_T5_PSP_SQ_PNS1_23onesweep_lookback_stateEbbT6_jjT7_P12ihipStream_tbENKUlT_T0_SE_SJ_E_clIS8_S8_S9_S9_EEDaSX_SY_SE_SJ_EUlSX_E_NS1_11comp_targetILNS1_3genE2ELNS1_11target_archE906ELNS1_3gpuE6ELNS1_3repE0EEENS1_47radix_sort_onesweep_sort_config_static_selectorELNS0_4arch9wavefront6targetE1EEEvSE_
	.globl	_ZN7rocprim17ROCPRIM_400000_NS6detail17trampoline_kernelINS0_14default_configENS1_35radix_sort_onesweep_config_selectorIhNS0_10empty_typeEEEZZNS1_29radix_sort_onesweep_iterationIS3_Lb0EPhS8_PS5_S9_mNS0_19identity_decomposerENS1_16block_id_wrapperIjLb0EEEEE10hipError_tT1_PNSt15iterator_traitsISE_E10value_typeET2_T3_PNSF_ISK_E10value_typeET4_T5_PSP_SQ_PNS1_23onesweep_lookback_stateEbbT6_jjT7_P12ihipStream_tbENKUlT_T0_SE_SJ_E_clIS8_S8_S9_S9_EEDaSX_SY_SE_SJ_EUlSX_E_NS1_11comp_targetILNS1_3genE2ELNS1_11target_archE906ELNS1_3gpuE6ELNS1_3repE0EEENS1_47radix_sort_onesweep_sort_config_static_selectorELNS0_4arch9wavefront6targetE1EEEvSE_
	.p2align	8
	.type	_ZN7rocprim17ROCPRIM_400000_NS6detail17trampoline_kernelINS0_14default_configENS1_35radix_sort_onesweep_config_selectorIhNS0_10empty_typeEEEZZNS1_29radix_sort_onesweep_iterationIS3_Lb0EPhS8_PS5_S9_mNS0_19identity_decomposerENS1_16block_id_wrapperIjLb0EEEEE10hipError_tT1_PNSt15iterator_traitsISE_E10value_typeET2_T3_PNSF_ISK_E10value_typeET4_T5_PSP_SQ_PNS1_23onesweep_lookback_stateEbbT6_jjT7_P12ihipStream_tbENKUlT_T0_SE_SJ_E_clIS8_S8_S9_S9_EEDaSX_SY_SE_SJ_EUlSX_E_NS1_11comp_targetILNS1_3genE2ELNS1_11target_archE906ELNS1_3gpuE6ELNS1_3repE0EEENS1_47radix_sort_onesweep_sort_config_static_selectorELNS0_4arch9wavefront6targetE1EEEvSE_,@function
_ZN7rocprim17ROCPRIM_400000_NS6detail17trampoline_kernelINS0_14default_configENS1_35radix_sort_onesweep_config_selectorIhNS0_10empty_typeEEEZZNS1_29radix_sort_onesweep_iterationIS3_Lb0EPhS8_PS5_S9_mNS0_19identity_decomposerENS1_16block_id_wrapperIjLb0EEEEE10hipError_tT1_PNSt15iterator_traitsISE_E10value_typeET2_T3_PNSF_ISK_E10value_typeET4_T5_PSP_SQ_PNS1_23onesweep_lookback_stateEbbT6_jjT7_P12ihipStream_tbENKUlT_T0_SE_SJ_E_clIS8_S8_S9_S9_EEDaSX_SY_SE_SJ_EUlSX_E_NS1_11comp_targetILNS1_3genE2ELNS1_11target_archE906ELNS1_3gpuE6ELNS1_3repE0EEENS1_47radix_sort_onesweep_sort_config_static_selectorELNS0_4arch9wavefront6targetE1EEEvSE_: ; @_ZN7rocprim17ROCPRIM_400000_NS6detail17trampoline_kernelINS0_14default_configENS1_35radix_sort_onesweep_config_selectorIhNS0_10empty_typeEEEZZNS1_29radix_sort_onesweep_iterationIS3_Lb0EPhS8_PS5_S9_mNS0_19identity_decomposerENS1_16block_id_wrapperIjLb0EEEEE10hipError_tT1_PNSt15iterator_traitsISE_E10value_typeET2_T3_PNSF_ISK_E10value_typeET4_T5_PSP_SQ_PNS1_23onesweep_lookback_stateEbbT6_jjT7_P12ihipStream_tbENKUlT_T0_SE_SJ_E_clIS8_S8_S9_S9_EEDaSX_SY_SE_SJ_EUlSX_E_NS1_11comp_targetILNS1_3genE2ELNS1_11target_archE906ELNS1_3gpuE6ELNS1_3repE0EEENS1_47radix_sort_onesweep_sort_config_static_selectorELNS0_4arch9wavefront6targetE1EEEvSE_
; %bb.0:
	.section	.rodata,"a",@progbits
	.p2align	6, 0x0
	.amdhsa_kernel _ZN7rocprim17ROCPRIM_400000_NS6detail17trampoline_kernelINS0_14default_configENS1_35radix_sort_onesweep_config_selectorIhNS0_10empty_typeEEEZZNS1_29radix_sort_onesweep_iterationIS3_Lb0EPhS8_PS5_S9_mNS0_19identity_decomposerENS1_16block_id_wrapperIjLb0EEEEE10hipError_tT1_PNSt15iterator_traitsISE_E10value_typeET2_T3_PNSF_ISK_E10value_typeET4_T5_PSP_SQ_PNS1_23onesweep_lookback_stateEbbT6_jjT7_P12ihipStream_tbENKUlT_T0_SE_SJ_E_clIS8_S8_S9_S9_EEDaSX_SY_SE_SJ_EUlSX_E_NS1_11comp_targetILNS1_3genE2ELNS1_11target_archE906ELNS1_3gpuE6ELNS1_3repE0EEENS1_47radix_sort_onesweep_sort_config_static_selectorELNS0_4arch9wavefront6targetE1EEEvSE_
		.amdhsa_group_segment_fixed_size 0
		.amdhsa_private_segment_fixed_size 0
		.amdhsa_kernarg_size 88
		.amdhsa_user_sgpr_count 6
		.amdhsa_user_sgpr_private_segment_buffer 1
		.amdhsa_user_sgpr_dispatch_ptr 0
		.amdhsa_user_sgpr_queue_ptr 0
		.amdhsa_user_sgpr_kernarg_segment_ptr 1
		.amdhsa_user_sgpr_dispatch_id 0
		.amdhsa_user_sgpr_flat_scratch_init 0
		.amdhsa_user_sgpr_kernarg_preload_length 0
		.amdhsa_user_sgpr_kernarg_preload_offset 0
		.amdhsa_user_sgpr_private_segment_size 0
		.amdhsa_uses_dynamic_stack 0
		.amdhsa_system_sgpr_private_segment_wavefront_offset 0
		.amdhsa_system_sgpr_workgroup_id_x 1
		.amdhsa_system_sgpr_workgroup_id_y 0
		.amdhsa_system_sgpr_workgroup_id_z 0
		.amdhsa_system_sgpr_workgroup_info 0
		.amdhsa_system_vgpr_workitem_id 0
		.amdhsa_next_free_vgpr 1
		.amdhsa_next_free_sgpr 0
		.amdhsa_accum_offset 4
		.amdhsa_reserve_vcc 0
		.amdhsa_reserve_flat_scratch 0
		.amdhsa_float_round_mode_32 0
		.amdhsa_float_round_mode_16_64 0
		.amdhsa_float_denorm_mode_32 3
		.amdhsa_float_denorm_mode_16_64 3
		.amdhsa_dx10_clamp 1
		.amdhsa_ieee_mode 1
		.amdhsa_fp16_overflow 0
		.amdhsa_tg_split 0
		.amdhsa_exception_fp_ieee_invalid_op 0
		.amdhsa_exception_fp_denorm_src 0
		.amdhsa_exception_fp_ieee_div_zero 0
		.amdhsa_exception_fp_ieee_overflow 0
		.amdhsa_exception_fp_ieee_underflow 0
		.amdhsa_exception_fp_ieee_inexact 0
		.amdhsa_exception_int_div_zero 0
	.end_amdhsa_kernel
	.section	.text._ZN7rocprim17ROCPRIM_400000_NS6detail17trampoline_kernelINS0_14default_configENS1_35radix_sort_onesweep_config_selectorIhNS0_10empty_typeEEEZZNS1_29radix_sort_onesweep_iterationIS3_Lb0EPhS8_PS5_S9_mNS0_19identity_decomposerENS1_16block_id_wrapperIjLb0EEEEE10hipError_tT1_PNSt15iterator_traitsISE_E10value_typeET2_T3_PNSF_ISK_E10value_typeET4_T5_PSP_SQ_PNS1_23onesweep_lookback_stateEbbT6_jjT7_P12ihipStream_tbENKUlT_T0_SE_SJ_E_clIS8_S8_S9_S9_EEDaSX_SY_SE_SJ_EUlSX_E_NS1_11comp_targetILNS1_3genE2ELNS1_11target_archE906ELNS1_3gpuE6ELNS1_3repE0EEENS1_47radix_sort_onesweep_sort_config_static_selectorELNS0_4arch9wavefront6targetE1EEEvSE_,"axG",@progbits,_ZN7rocprim17ROCPRIM_400000_NS6detail17trampoline_kernelINS0_14default_configENS1_35radix_sort_onesweep_config_selectorIhNS0_10empty_typeEEEZZNS1_29radix_sort_onesweep_iterationIS3_Lb0EPhS8_PS5_S9_mNS0_19identity_decomposerENS1_16block_id_wrapperIjLb0EEEEE10hipError_tT1_PNSt15iterator_traitsISE_E10value_typeET2_T3_PNSF_ISK_E10value_typeET4_T5_PSP_SQ_PNS1_23onesweep_lookback_stateEbbT6_jjT7_P12ihipStream_tbENKUlT_T0_SE_SJ_E_clIS8_S8_S9_S9_EEDaSX_SY_SE_SJ_EUlSX_E_NS1_11comp_targetILNS1_3genE2ELNS1_11target_archE906ELNS1_3gpuE6ELNS1_3repE0EEENS1_47radix_sort_onesweep_sort_config_static_selectorELNS0_4arch9wavefront6targetE1EEEvSE_,comdat
.Lfunc_end332:
	.size	_ZN7rocprim17ROCPRIM_400000_NS6detail17trampoline_kernelINS0_14default_configENS1_35radix_sort_onesweep_config_selectorIhNS0_10empty_typeEEEZZNS1_29radix_sort_onesweep_iterationIS3_Lb0EPhS8_PS5_S9_mNS0_19identity_decomposerENS1_16block_id_wrapperIjLb0EEEEE10hipError_tT1_PNSt15iterator_traitsISE_E10value_typeET2_T3_PNSF_ISK_E10value_typeET4_T5_PSP_SQ_PNS1_23onesweep_lookback_stateEbbT6_jjT7_P12ihipStream_tbENKUlT_T0_SE_SJ_E_clIS8_S8_S9_S9_EEDaSX_SY_SE_SJ_EUlSX_E_NS1_11comp_targetILNS1_3genE2ELNS1_11target_archE906ELNS1_3gpuE6ELNS1_3repE0EEENS1_47radix_sort_onesweep_sort_config_static_selectorELNS0_4arch9wavefront6targetE1EEEvSE_, .Lfunc_end332-_ZN7rocprim17ROCPRIM_400000_NS6detail17trampoline_kernelINS0_14default_configENS1_35radix_sort_onesweep_config_selectorIhNS0_10empty_typeEEEZZNS1_29radix_sort_onesweep_iterationIS3_Lb0EPhS8_PS5_S9_mNS0_19identity_decomposerENS1_16block_id_wrapperIjLb0EEEEE10hipError_tT1_PNSt15iterator_traitsISE_E10value_typeET2_T3_PNSF_ISK_E10value_typeET4_T5_PSP_SQ_PNS1_23onesweep_lookback_stateEbbT6_jjT7_P12ihipStream_tbENKUlT_T0_SE_SJ_E_clIS8_S8_S9_S9_EEDaSX_SY_SE_SJ_EUlSX_E_NS1_11comp_targetILNS1_3genE2ELNS1_11target_archE906ELNS1_3gpuE6ELNS1_3repE0EEENS1_47radix_sort_onesweep_sort_config_static_selectorELNS0_4arch9wavefront6targetE1EEEvSE_
                                        ; -- End function
	.section	.AMDGPU.csdata,"",@progbits
; Kernel info:
; codeLenInByte = 0
; NumSgprs: 4
; NumVgprs: 0
; NumAgprs: 0
; TotalNumVgprs: 0
; ScratchSize: 0
; MemoryBound: 0
; FloatMode: 240
; IeeeMode: 1
; LDSByteSize: 0 bytes/workgroup (compile time only)
; SGPRBlocks: 0
; VGPRBlocks: 0
; NumSGPRsForWavesPerEU: 4
; NumVGPRsForWavesPerEU: 1
; AccumOffset: 4
; Occupancy: 8
; WaveLimiterHint : 0
; COMPUTE_PGM_RSRC2:SCRATCH_EN: 0
; COMPUTE_PGM_RSRC2:USER_SGPR: 6
; COMPUTE_PGM_RSRC2:TRAP_HANDLER: 0
; COMPUTE_PGM_RSRC2:TGID_X_EN: 1
; COMPUTE_PGM_RSRC2:TGID_Y_EN: 0
; COMPUTE_PGM_RSRC2:TGID_Z_EN: 0
; COMPUTE_PGM_RSRC2:TIDIG_COMP_CNT: 0
; COMPUTE_PGM_RSRC3_GFX90A:ACCUM_OFFSET: 0
; COMPUTE_PGM_RSRC3_GFX90A:TG_SPLIT: 0
	.section	.text._ZN7rocprim17ROCPRIM_400000_NS6detail17trampoline_kernelINS0_14default_configENS1_35radix_sort_onesweep_config_selectorIhNS0_10empty_typeEEEZZNS1_29radix_sort_onesweep_iterationIS3_Lb0EPhS8_PS5_S9_mNS0_19identity_decomposerENS1_16block_id_wrapperIjLb0EEEEE10hipError_tT1_PNSt15iterator_traitsISE_E10value_typeET2_T3_PNSF_ISK_E10value_typeET4_T5_PSP_SQ_PNS1_23onesweep_lookback_stateEbbT6_jjT7_P12ihipStream_tbENKUlT_T0_SE_SJ_E_clIS8_S8_S9_S9_EEDaSX_SY_SE_SJ_EUlSX_E_NS1_11comp_targetILNS1_3genE4ELNS1_11target_archE910ELNS1_3gpuE8ELNS1_3repE0EEENS1_47radix_sort_onesweep_sort_config_static_selectorELNS0_4arch9wavefront6targetE1EEEvSE_,"axG",@progbits,_ZN7rocprim17ROCPRIM_400000_NS6detail17trampoline_kernelINS0_14default_configENS1_35radix_sort_onesweep_config_selectorIhNS0_10empty_typeEEEZZNS1_29radix_sort_onesweep_iterationIS3_Lb0EPhS8_PS5_S9_mNS0_19identity_decomposerENS1_16block_id_wrapperIjLb0EEEEE10hipError_tT1_PNSt15iterator_traitsISE_E10value_typeET2_T3_PNSF_ISK_E10value_typeET4_T5_PSP_SQ_PNS1_23onesweep_lookback_stateEbbT6_jjT7_P12ihipStream_tbENKUlT_T0_SE_SJ_E_clIS8_S8_S9_S9_EEDaSX_SY_SE_SJ_EUlSX_E_NS1_11comp_targetILNS1_3genE4ELNS1_11target_archE910ELNS1_3gpuE8ELNS1_3repE0EEENS1_47radix_sort_onesweep_sort_config_static_selectorELNS0_4arch9wavefront6targetE1EEEvSE_,comdat
	.protected	_ZN7rocprim17ROCPRIM_400000_NS6detail17trampoline_kernelINS0_14default_configENS1_35radix_sort_onesweep_config_selectorIhNS0_10empty_typeEEEZZNS1_29radix_sort_onesweep_iterationIS3_Lb0EPhS8_PS5_S9_mNS0_19identity_decomposerENS1_16block_id_wrapperIjLb0EEEEE10hipError_tT1_PNSt15iterator_traitsISE_E10value_typeET2_T3_PNSF_ISK_E10value_typeET4_T5_PSP_SQ_PNS1_23onesweep_lookback_stateEbbT6_jjT7_P12ihipStream_tbENKUlT_T0_SE_SJ_E_clIS8_S8_S9_S9_EEDaSX_SY_SE_SJ_EUlSX_E_NS1_11comp_targetILNS1_3genE4ELNS1_11target_archE910ELNS1_3gpuE8ELNS1_3repE0EEENS1_47radix_sort_onesweep_sort_config_static_selectorELNS0_4arch9wavefront6targetE1EEEvSE_ ; -- Begin function _ZN7rocprim17ROCPRIM_400000_NS6detail17trampoline_kernelINS0_14default_configENS1_35radix_sort_onesweep_config_selectorIhNS0_10empty_typeEEEZZNS1_29radix_sort_onesweep_iterationIS3_Lb0EPhS8_PS5_S9_mNS0_19identity_decomposerENS1_16block_id_wrapperIjLb0EEEEE10hipError_tT1_PNSt15iterator_traitsISE_E10value_typeET2_T3_PNSF_ISK_E10value_typeET4_T5_PSP_SQ_PNS1_23onesweep_lookback_stateEbbT6_jjT7_P12ihipStream_tbENKUlT_T0_SE_SJ_E_clIS8_S8_S9_S9_EEDaSX_SY_SE_SJ_EUlSX_E_NS1_11comp_targetILNS1_3genE4ELNS1_11target_archE910ELNS1_3gpuE8ELNS1_3repE0EEENS1_47radix_sort_onesweep_sort_config_static_selectorELNS0_4arch9wavefront6targetE1EEEvSE_
	.globl	_ZN7rocprim17ROCPRIM_400000_NS6detail17trampoline_kernelINS0_14default_configENS1_35radix_sort_onesweep_config_selectorIhNS0_10empty_typeEEEZZNS1_29radix_sort_onesweep_iterationIS3_Lb0EPhS8_PS5_S9_mNS0_19identity_decomposerENS1_16block_id_wrapperIjLb0EEEEE10hipError_tT1_PNSt15iterator_traitsISE_E10value_typeET2_T3_PNSF_ISK_E10value_typeET4_T5_PSP_SQ_PNS1_23onesweep_lookback_stateEbbT6_jjT7_P12ihipStream_tbENKUlT_T0_SE_SJ_E_clIS8_S8_S9_S9_EEDaSX_SY_SE_SJ_EUlSX_E_NS1_11comp_targetILNS1_3genE4ELNS1_11target_archE910ELNS1_3gpuE8ELNS1_3repE0EEENS1_47radix_sort_onesweep_sort_config_static_selectorELNS0_4arch9wavefront6targetE1EEEvSE_
	.p2align	8
	.type	_ZN7rocprim17ROCPRIM_400000_NS6detail17trampoline_kernelINS0_14default_configENS1_35radix_sort_onesweep_config_selectorIhNS0_10empty_typeEEEZZNS1_29radix_sort_onesweep_iterationIS3_Lb0EPhS8_PS5_S9_mNS0_19identity_decomposerENS1_16block_id_wrapperIjLb0EEEEE10hipError_tT1_PNSt15iterator_traitsISE_E10value_typeET2_T3_PNSF_ISK_E10value_typeET4_T5_PSP_SQ_PNS1_23onesweep_lookback_stateEbbT6_jjT7_P12ihipStream_tbENKUlT_T0_SE_SJ_E_clIS8_S8_S9_S9_EEDaSX_SY_SE_SJ_EUlSX_E_NS1_11comp_targetILNS1_3genE4ELNS1_11target_archE910ELNS1_3gpuE8ELNS1_3repE0EEENS1_47radix_sort_onesweep_sort_config_static_selectorELNS0_4arch9wavefront6targetE1EEEvSE_,@function
_ZN7rocprim17ROCPRIM_400000_NS6detail17trampoline_kernelINS0_14default_configENS1_35radix_sort_onesweep_config_selectorIhNS0_10empty_typeEEEZZNS1_29radix_sort_onesweep_iterationIS3_Lb0EPhS8_PS5_S9_mNS0_19identity_decomposerENS1_16block_id_wrapperIjLb0EEEEE10hipError_tT1_PNSt15iterator_traitsISE_E10value_typeET2_T3_PNSF_ISK_E10value_typeET4_T5_PSP_SQ_PNS1_23onesweep_lookback_stateEbbT6_jjT7_P12ihipStream_tbENKUlT_T0_SE_SJ_E_clIS8_S8_S9_S9_EEDaSX_SY_SE_SJ_EUlSX_E_NS1_11comp_targetILNS1_3genE4ELNS1_11target_archE910ELNS1_3gpuE8ELNS1_3repE0EEENS1_47radix_sort_onesweep_sort_config_static_selectorELNS0_4arch9wavefront6targetE1EEEvSE_: ; @_ZN7rocprim17ROCPRIM_400000_NS6detail17trampoline_kernelINS0_14default_configENS1_35radix_sort_onesweep_config_selectorIhNS0_10empty_typeEEEZZNS1_29radix_sort_onesweep_iterationIS3_Lb0EPhS8_PS5_S9_mNS0_19identity_decomposerENS1_16block_id_wrapperIjLb0EEEEE10hipError_tT1_PNSt15iterator_traitsISE_E10value_typeET2_T3_PNSF_ISK_E10value_typeET4_T5_PSP_SQ_PNS1_23onesweep_lookback_stateEbbT6_jjT7_P12ihipStream_tbENKUlT_T0_SE_SJ_E_clIS8_S8_S9_S9_EEDaSX_SY_SE_SJ_EUlSX_E_NS1_11comp_targetILNS1_3genE4ELNS1_11target_archE910ELNS1_3gpuE8ELNS1_3repE0EEENS1_47radix_sort_onesweep_sort_config_static_selectorELNS0_4arch9wavefront6targetE1EEEvSE_
; %bb.0:
	s_load_dwordx4 s[16:19], s[4:5], 0x44
	s_load_dwordx2 s[20:21], s[4:5], 0x38
	s_load_dwordx4 s[12:15], s[4:5], 0x0
	s_load_dwordx4 s[8:11], s[4:5], 0x28
	s_mul_i32 s7, s6, 0x2c00
	s_waitcnt lgkmcnt(0)
	s_cmp_ge_u32 s6, s18
	v_mul_u32_u24_e32 v10, 22, v0
	s_cbranch_scc0 .LBB333_120
; %bb.1:
	s_load_dword s26, s[4:5], 0x20
	s_mul_i32 s0, s18, 0xffffd400
	v_mov_b32_e32 v4, 0xff
	s_waitcnt lgkmcnt(0)
	s_add_i32 s26, s26, s0
	s_add_u32 s0, s12, s7
	s_addc_u32 s1, s13, 0
	v_mov_b32_e32 v1, s1
	v_add_co_u32_e32 v2, vcc, s0, v10
	v_addc_co_u32_e32 v3, vcc, 0, v1, vcc
	v_cmp_gt_u32_e32 vcc, s26, v10
	v_mov_b32_e32 v1, 0xff
	s_and_saveexec_b64 s[0:1], vcc
	s_cbranch_execz .LBB333_3
; %bb.2:
	global_load_ubyte v4, v[2:3], off
.LBB333_3:
	s_or_b64 exec, exec, s[0:1]
	v_or_b32_e32 v5, 1, v10
	v_cmp_gt_u32_e32 vcc, s26, v5
	s_and_saveexec_b64 s[0:1], vcc
	s_cbranch_execz .LBB333_5
; %bb.4:
	global_load_ubyte v1, v[2:3], off offset:1
.LBB333_5:
	s_or_b64 exec, exec, s[0:1]
	v_add_u32_e32 v5, 2, v10
	v_cmp_gt_u32_e32 vcc, s26, v5
	v_mov_b32_e32 v5, 0xff
	v_mov_b32_e32 v6, 0xff
	s_and_saveexec_b64 s[0:1], vcc
	s_cbranch_execz .LBB333_7
; %bb.6:
	global_load_ubyte v6, v[2:3], off offset:2
.LBB333_7:
	s_or_b64 exec, exec, s[0:1]
	v_add_u32_e32 v7, 3, v10
	v_cmp_gt_u32_e32 vcc, s26, v7
	s_and_saveexec_b64 s[0:1], vcc
	s_cbranch_execz .LBB333_9
; %bb.8:
	global_load_ubyte v5, v[2:3], off offset:3
.LBB333_9:
	s_or_b64 exec, exec, s[0:1]
	v_add_u32_e32 v7, 4, v10
	v_cmp_gt_u32_e32 vcc, s26, v7
	v_mov_b32_e32 v7, 0xff
	v_mov_b32_e32 v8, 0xff
	s_and_saveexec_b64 s[0:1], vcc
	s_cbranch_execz .LBB333_11
; %bb.10:
	global_load_ubyte v8, v[2:3], off offset:4
.LBB333_11:
	s_or_b64 exec, exec, s[0:1]
	v_add_u32_e32 v9, 5, v10
	;; [unrolled: 18-line block ×10, first 2 shown]
	v_cmp_gt_u32_e32 vcc, s26, v11
	s_and_saveexec_b64 s[0:1], vcc
	s_cbranch_execz .LBB333_45
; %bb.44:
	global_load_ubyte v25, v[2:3], off offset:21
.LBB333_45:
	s_or_b64 exec, exec, s[0:1]
	v_lshlrev_b32_e32 v2, 2, v0
	v_mov_b32_e32 v3, 0
	s_mov_b64 s[0:1], -1
	ds_write2st64_b32 v2, v3, v3 offset1:8
	ds_write2st64_b32 v2, v3, v3 offset0:16 offset1:24
	s_and_saveexec_b64 s[2:3], s[0:1]
	s_cbranch_execz .LBB333_47
; %bb.46:
	ds_write_b32 v2, v3 offset:8192
.LBB333_47:
	s_or_b64 exec, exec, s[2:3]
	s_and_saveexec_b64 s[2:3], s[0:1]
	s_cbranch_execz .LBB333_49
; %bb.48:
	v_mov_b32_e32 v3, 0
	ds_write_b32 v2, v3 offset:10240
.LBB333_49:
	s_or_b64 exec, exec, s[2:3]
	v_cmp_gt_u32_e64 s[0:1], 7, 6
	v_cmp_gt_u32_e64 s[18:19], 7, 5
	s_and_saveexec_b64 s[2:3], s[18:19]
	s_cbranch_execz .LBB333_51
; %bb.50:
	v_mov_b32_e32 v3, 0
	ds_write_b32 v2, v3 offset:12288
.LBB333_51:
	s_or_b64 exec, exec, s[2:3]
	s_and_saveexec_b64 s[2:3], s[0:1]
	s_cbranch_execz .LBB333_53
; %bb.52:
	v_mov_b32_e32 v3, 0
	ds_write_b32 v2, v3 offset:14336
.LBB333_53:
	s_or_b64 exec, exec, s[2:3]
	s_lshl_b32 s0, -1, s17
	s_not_b32 s27, s0
	s_waitcnt vmcnt(0)
	v_lshrrev_b32_sdwa v2, s16, v4 dst_sel:DWORD dst_unused:UNUSED_PAD src0_sel:DWORD src1_sel:BYTE_0
	v_and_b32_e32 v2, s27, v2
	v_lshrrev_b32_e32 v3, 3, v2
	v_lshlrev_b32_e32 v2, 9, v2
	s_movk_i32 s0, 0xe00
	v_and_or_b32 v2, v2, s0, v0
	v_lshlrev_b32_e32 v2, 1, v2
	v_add_lshl_u32 v2, v2, v3, 1
	ds_read_u16 v27, v2
	v_lshrrev_b32_sdwa v3, s16, v1 dst_sel:DWORD dst_unused:UNUSED_PAD src0_sel:DWORD src1_sel:BYTE_0
	v_and_b32_e32 v3, s27, v3
	s_waitcnt lgkmcnt(0)
	v_add_u16_e32 v11, 1, v27
	ds_write_b16 v2, v11
	v_lshrrev_b32_e32 v11, 3, v3
	v_lshlrev_b32_e32 v3, 9, v3
	v_and_or_b32 v3, v3, s0, v0
	v_lshlrev_b32_e32 v3, 1, v3
	v_add_lshl_u32 v3, v3, v11, 1
	ds_read_u16 v28, v3
	s_waitcnt lgkmcnt(0)
	v_add_u16_e32 v11, 1, v28
	ds_write_b16 v3, v11
	v_lshrrev_b32_sdwa v11, s16, v6 dst_sel:DWORD dst_unused:UNUSED_PAD src0_sel:DWORD src1_sel:BYTE_0
	v_and_b32_e32 v11, s27, v11
	v_lshrrev_b32_e32 v29, 3, v11
	v_lshlrev_b32_e32 v11, 9, v11
	v_and_or_b32 v11, v11, s0, v0
	v_lshlrev_b32_e32 v11, 1, v11
	v_add_lshl_u32 v11, v11, v29, 1
	ds_read_u16 v29, v11
	s_waitcnt lgkmcnt(0)
	v_add_u16_e32 v30, 1, v29
	ds_write_b16 v11, v30
	v_lshrrev_b32_sdwa v30, s16, v5 dst_sel:DWORD dst_unused:UNUSED_PAD src0_sel:DWORD src1_sel:BYTE_0
	v_and_b32_e32 v30, s27, v30
	;; [unrolled: 11-line block ×20, first 2 shown]
	v_lshrrev_b32_e32 v67, 3, v58
	v_lshlrev_b32_e32 v58, 9, v58
	v_and_or_b32 v58, v58, s0, v0
	v_lshlrev_b32_e32 v58, 1, v58
	v_add_lshl_u32 v67, v58, v67, 1
	ds_read_u16 v58, v67
	s_waitcnt lgkmcnt(0)
	v_add_u16_e32 v68, 1, v58
	ds_write_b16 v67, v68
	v_lshlrev_b32_e32 v68, 5, v0
	s_waitcnt lgkmcnt(0)
	s_barrier
	ds_read2_b64 v[70:73], v68 offset1:1
	ds_read2_b64 v[74:77], v68 offset0:2 offset1:3
	s_waitcnt lgkmcnt(1)
	v_add_u32_e32 v69, v71, v70
	v_add3_u32 v69, v69, v72, v73
	s_waitcnt lgkmcnt(0)
	v_add3_u32 v69, v69, v74, v75
	v_add3_u32 v70, v69, v76, v77
	v_mbcnt_lo_u32_b32 v69, -1, 0
	v_mbcnt_hi_u32_b32 v69, -1, v69
	v_and_b32_e32 v71, 15, v69
	v_mov_b32_dpp v72, v70 row_shr:1 row_mask:0xf bank_mask:0xf
	v_cmp_ne_u32_e32 vcc, 0, v71
	v_cndmask_b32_e32 v72, 0, v72, vcc
	v_add_u32_e32 v70, v72, v70
	v_cmp_lt_u32_e32 vcc, 1, v71
	s_nop 0
	v_mov_b32_dpp v72, v70 row_shr:2 row_mask:0xf bank_mask:0xf
	v_cndmask_b32_e32 v72, 0, v72, vcc
	v_add_u32_e32 v70, v70, v72
	v_cmp_lt_u32_e32 vcc, 3, v71
	s_nop 0
	v_mov_b32_dpp v72, v70 row_shr:4 row_mask:0xf bank_mask:0xf
	;; [unrolled: 5-line block ×3, first 2 shown]
	v_cndmask_b32_e32 v71, 0, v72, vcc
	v_add_u32_e32 v70, v70, v71
	v_bfe_i32 v72, v69, 4, 1
	v_cmp_lt_u32_e32 vcc, 31, v69
	v_mov_b32_dpp v71, v70 row_bcast:15 row_mask:0xf bank_mask:0xf
	v_and_b32_e32 v71, v72, v71
	v_add_u32_e32 v70, v70, v71
	v_or_b32_e32 v72, 63, v0
	s_nop 0
	v_mov_b32_dpp v71, v70 row_bcast:31 row_mask:0xf bank_mask:0xf
	v_cndmask_b32_e32 v71, 0, v71, vcc
	v_add_u32_e32 v70, v70, v71
	v_lshrrev_b32_e32 v71, 6, v0
	v_cmp_eq_u32_e32 vcc, v72, v0
	v_lshlrev_b32_e32 v71, 2, v71
	s_and_saveexec_b64 s[0:1], vcc
	s_cbranch_execz .LBB333_55
; %bb.54:
	ds_write_b32 v71, v70 offset:16384
.LBB333_55:
	s_or_b64 exec, exec, s[0:1]
	v_cmp_gt_u32_e32 vcc, 8, v0
	s_waitcnt lgkmcnt(0)
	s_barrier
	s_and_saveexec_b64 s[0:1], vcc
	s_cbranch_execz .LBB333_57
; %bb.56:
	s_movk_i32 s2, 0xffe4
	v_mad_i32_i24 v72, v0, s2, v68
	ds_read_b32 v73, v72 offset:16384
	v_and_b32_e32 v74, 7, v69
	v_cmp_ne_u32_e32 vcc, 0, v74
	s_waitcnt lgkmcnt(0)
	v_mov_b32_dpp v75, v73 row_shr:1 row_mask:0xf bank_mask:0xf
	v_cndmask_b32_e32 v75, 0, v75, vcc
	v_add_u32_e32 v73, v75, v73
	v_cmp_lt_u32_e32 vcc, 1, v74
	s_nop 0
	v_mov_b32_dpp v75, v73 row_shr:2 row_mask:0xf bank_mask:0xf
	v_cndmask_b32_e32 v75, 0, v75, vcc
	v_add_u32_e32 v73, v73, v75
	v_cmp_lt_u32_e32 vcc, 3, v74
	s_nop 0
	v_mov_b32_dpp v75, v73 row_shr:4 row_mask:0xf bank_mask:0xf
	v_cndmask_b32_e32 v74, 0, v75, vcc
	v_add_u32_e32 v73, v73, v74
	ds_write_b32 v72, v73 offset:16384
.LBB333_57:
	s_or_b64 exec, exec, s[0:1]
	v_cmp_lt_u32_e32 vcc, 63, v0
	v_mov_b32_e32 v73, 0
	v_mov_b32_e32 v72, 0
	s_waitcnt lgkmcnt(0)
	s_barrier
	s_and_saveexec_b64 s[0:1], vcc
	s_cbranch_execz .LBB333_59
; %bb.58:
	ds_read_b32 v72, v71 offset:16380
.LBB333_59:
	s_or_b64 exec, exec, s[0:1]
	v_add_u32_e32 v71, -1, v69
	v_and_b32_e32 v74, 64, v69
	v_cmp_lt_i32_e32 vcc, v71, v74
	v_cndmask_b32_e32 v71, v71, v69, vcc
	s_waitcnt lgkmcnt(0)
	v_add_u32_e32 v70, v72, v70
	v_lshlrev_b32_e32 v71, 2, v71
	ds_bpermute_b32 v70, v71, v70
	ds_read_b32 v71, v73 offset:16412
	ds_read2_b64 v[74:77], v68 offset1:1
	v_cmp_eq_u32_e32 vcc, 0, v69
	ds_read_b32 v78, v68 offset:24
	s_waitcnt lgkmcnt(3)
	v_cndmask_b32_e32 v69, v70, v72, vcc
	ds_read_b64 v[72:73], v68 offset:16
	s_waitcnt lgkmcnt(3)
	v_lshl_add_u32 v70, v71, 16, v69
	s_waitcnt lgkmcnt(2)
	v_add_u32_e32 v71, v70, v74
	v_add_u32_e32 v74, v75, v71
	;; [unrolled: 1-line block ×3, first 2 shown]
	ds_write2_b64 v68, v[70:71], v[74:75] offset1:1
	v_add_u32_e32 v70, v77, v75
	s_waitcnt lgkmcnt(1)
	v_add_u32_e32 v71, v72, v70
	v_add_u32_e32 v72, v73, v71
	v_add_u32_e32 v73, v78, v72
	ds_write2_b64 v68, v[70:71], v[72:73] offset0:2 offset1:3
	s_waitcnt lgkmcnt(0)
	s_barrier
	ds_read_u16 v68, v2
	ds_read_u16 v69, v3
	;; [unrolled: 1-line block ×22, first 2 shown]
	v_cmp_gt_u32_e32 vcc, 16, v0
	v_pk_mov_b32 v[2:3], 0, 0
                                        ; implicit-def: $vgpr11
	s_and_saveexec_b64 s[2:3], vcc
	s_cbranch_execz .LBB333_63
; %bb.60:
	v_lshrrev_b32_e32 v2, 3, v0
	v_lshlrev_b32_e32 v3, 10, v0
	s_movk_i32 s22, 0x1c00
	v_and_or_b32 v2, v3, s22, v2
	v_lshlrev_b32_e32 v2, 1, v2
	ds_read_u16 v2, v2
	v_add_u32_e32 v11, 1, v0
	v_cmp_ne_u32_e64 s[0:1], 16, v11
	v_mov_b32_e32 v3, 0x2c00
	s_and_saveexec_b64 s[18:19], s[0:1]
	s_cbranch_execz .LBB333_62
; %bb.61:
	v_lshlrev_b32_e32 v3, 10, v11
	v_lshrrev_b32_e32 v11, 3, v11
	v_and_or_b32 v3, v3, s22, v11
	v_lshlrev_b32_e32 v3, 1, v3
	ds_read_u16 v3, v3
.LBB333_62:
	s_or_b64 exec, exec, s[18:19]
	s_waitcnt lgkmcnt(0)
	v_and_b32_e32 v2, 0xffff, v2
	s_mov_b32 s0, 0
	v_sub_u32_e32 v11, v3, v2
	v_mov_b32_e32 v3, s0
.LBB333_63:
	s_or_b64 exec, exec, s[2:3]
	s_waitcnt lgkmcnt(14)
	v_add_u32_sdwa v27, v68, v27 dst_sel:DWORD dst_unused:UNUSED_PAD src0_sel:WORD_0 src1_sel:WORD_0
	v_add_u32_sdwa v28, v69, v28 dst_sel:DWORD dst_unused:UNUSED_PAD src0_sel:WORD_0 src1_sel:WORD_0
	;; [unrolled: 1-line block ×8, first 2 shown]
	s_waitcnt lgkmcnt(13)
	v_add_u32_sdwa v35, v49, v35 dst_sel:DWORD dst_unused:UNUSED_PAD src0_sel:WORD_0 src1_sel:WORD_0
	s_waitcnt lgkmcnt(12)
	v_add_u32_sdwa v36, v51, v36 dst_sel:DWORD dst_unused:UNUSED_PAD src0_sel:WORD_0 src1_sel:WORD_0
	;; [unrolled: 2-line block ×14, first 2 shown]
	s_barrier
	ds_write_b8 v27, v4 offset:128
	ds_write_b8 v28, v1 offset:128
	ds_write_b8 v29, v6 offset:128
	ds_write_b8 v30, v5 offset:128
	ds_write_b8 v31, v8 offset:128
	ds_write_b8 v32, v7 offset:128
	ds_write_b8 v33, v12 offset:128
	ds_write_b8 v34, v9 offset:128
	ds_write_b8 v35, v14 offset:128
	ds_write_b8 v36, v13 offset:128
	ds_write_b8 v37, v16 offset:128
	ds_write_b8 v38, v15 offset:128
	ds_write_b8 v39, v18 offset:128
	ds_write_b8 v40, v17 offset:128
	ds_write_b8 v41, v20 offset:128
	ds_write_b8 v42, v19 offset:128
	ds_write_b8 v43, v22 offset:128
	ds_write_b8 v44, v21 offset:128
	ds_write_b8 v45, v24 offset:128
	ds_write_b8 v46, v23 offset:128
	ds_write_b8 v47, v26 offset:128
	ds_write_b8 v48, v25 offset:128
	s_and_saveexec_b64 s[2:3], vcc
	s_cbranch_execz .LBB333_73
; %bb.64:
	v_lshl_or_b32 v4, s6, 4, v0
	v_mov_b32_e32 v5, 0
	v_lshlrev_b64 v[6:7], 2, v[4:5]
	v_mov_b32_e32 v1, s21
	v_add_co_u32_e64 v6, s[0:1], s20, v6
	v_addc_co_u32_e64 v7, s[0:1], v1, v7, s[0:1]
	v_or_b32_e32 v4, 2.0, v11
	s_mov_b64 s[18:19], 0
	s_brev_b32 s28, 1
	s_mov_b32 s29, s6
	v_mov_b32_e32 v12, 0
	global_store_dword v[6:7], v4, off
                                        ; implicit-def: $sgpr0_sgpr1
	s_branch .LBB333_66
.LBB333_65:                             ;   in Loop: Header=BB333_66 Depth=1
	s_or_b64 exec, exec, s[22:23]
	v_and_b32_e32 v8, 0x3fffffff, v13
	v_add_u32_e32 v12, v8, v12
	v_cmp_eq_u32_e64 s[0:1], s28, v4
	s_and_b64 s[22:23], exec, s[0:1]
	s_or_b64 s[18:19], s[22:23], s[18:19]
	s_andn2_b64 exec, exec, s[18:19]
	s_cbranch_execz .LBB333_72
.LBB333_66:                             ; =>This Loop Header: Depth=1
                                        ;     Child Loop BB333_69 Depth 2
	s_or_b64 s[0:1], s[0:1], exec
	s_cmp_eq_u32 s29, 0
	s_cbranch_scc1 .LBB333_71
; %bb.67:                               ;   in Loop: Header=BB333_66 Depth=1
	s_add_i32 s29, s29, -1
	v_lshl_or_b32 v4, s29, 4, v0
	v_lshlrev_b64 v[8:9], 2, v[4:5]
	v_add_co_u32_e64 v8, s[0:1], s20, v8
	v_addc_co_u32_e64 v9, s[0:1], v1, v9, s[0:1]
	global_load_dword v13, v[8:9], off glc
	s_waitcnt vmcnt(0)
	v_and_b32_e32 v4, -2.0, v13
	v_cmp_eq_u32_e64 s[0:1], 0, v4
	s_and_saveexec_b64 s[22:23], s[0:1]
	s_cbranch_execz .LBB333_65
; %bb.68:                               ;   in Loop: Header=BB333_66 Depth=1
	s_mov_b64 s[24:25], 0
.LBB333_69:                             ;   Parent Loop BB333_66 Depth=1
                                        ; =>  This Inner Loop Header: Depth=2
	global_load_dword v13, v[8:9], off glc
	s_waitcnt vmcnt(0)
	v_and_b32_e32 v4, -2.0, v13
	v_cmp_ne_u32_e64 s[0:1], 0, v4
	s_or_b64 s[24:25], s[0:1], s[24:25]
	s_andn2_b64 exec, exec, s[24:25]
	s_cbranch_execnz .LBB333_69
; %bb.70:                               ;   in Loop: Header=BB333_66 Depth=1
	s_or_b64 exec, exec, s[24:25]
	s_branch .LBB333_65
.LBB333_71:                             ;   in Loop: Header=BB333_66 Depth=1
                                        ; implicit-def: $sgpr29
	s_and_b64 s[22:23], exec, s[0:1]
	s_or_b64 s[18:19], s[22:23], s[18:19]
	s_andn2_b64 exec, exec, s[18:19]
	s_cbranch_execnz .LBB333_66
.LBB333_72:
	s_or_b64 exec, exec, s[18:19]
	v_add_u32_e32 v1, v12, v11
	v_or_b32_e32 v1, 0x80000000, v1
	global_store_dword v[6:7], v1, off
	v_lshlrev_b32_e32 v1, 3, v0
	global_load_dwordx2 v[4:5], v1, s[8:9]
	v_sub_co_u32_e64 v6, s[0:1], v12, v2
	v_subb_co_u32_e64 v7, s[0:1], 0, v3, s[0:1]
	s_waitcnt vmcnt(0)
	v_add_co_u32_e64 v4, s[0:1], v6, v4
	v_addc_co_u32_e64 v5, s[0:1], v7, v5, s[0:1]
	ds_write_b64 v1, v[4:5]
.LBB333_73:
	s_or_b64 exec, exec, s[2:3]
	v_cmp_gt_u32_e64 s[0:1], s26, v0
	s_waitcnt lgkmcnt(0)
	s_barrier
	s_and_saveexec_b64 s[2:3], s[0:1]
	s_cbranch_execz .LBB333_75
; %bb.74:
	ds_read_u8 v1, v0 offset:128
	v_mov_b32_e32 v6, s15
	s_waitcnt lgkmcnt(0)
	v_lshrrev_b32_sdwa v4, s16, v1 dst_sel:DWORD dst_unused:UNUSED_PAD src0_sel:DWORD src1_sel:BYTE_0
	v_and_b32_e32 v4, s27, v4
	v_lshlrev_b32_e32 v4, 3, v4
	ds_read_b64 v[4:5], v4
	s_waitcnt lgkmcnt(0)
	v_add_co_u32_e64 v4, s[0:1], s14, v4
	v_addc_co_u32_e64 v5, s[0:1], v6, v5, s[0:1]
	v_add_co_u32_e64 v4, s[0:1], v4, v0
	v_addc_co_u32_e64 v5, s[0:1], 0, v5, s[0:1]
	global_store_byte v[4:5], v1, off
.LBB333_75:
	s_or_b64 exec, exec, s[2:3]
	v_or_b32_e32 v1, 0x200, v0
	v_cmp_gt_u32_e64 s[0:1], s26, v1
	s_and_saveexec_b64 s[2:3], s[0:1]
	s_cbranch_execz .LBB333_77
; %bb.76:
	ds_read_u8 v1, v0 offset:640
	v_mov_b32_e32 v6, s15
	s_waitcnt lgkmcnt(0)
	v_lshrrev_b32_sdwa v4, s16, v1 dst_sel:DWORD dst_unused:UNUSED_PAD src0_sel:DWORD src1_sel:BYTE_0
	v_and_b32_e32 v4, s27, v4
	v_lshlrev_b32_e32 v4, 3, v4
	ds_read_b64 v[4:5], v4
	s_waitcnt lgkmcnt(0)
	v_add_co_u32_e64 v4, s[0:1], s14, v4
	v_addc_co_u32_e64 v5, s[0:1], v6, v5, s[0:1]
	v_add_co_u32_e64 v4, s[0:1], v4, v0
	v_addc_co_u32_e64 v5, s[0:1], 0, v5, s[0:1]
	global_store_byte v[4:5], v1, off offset:512
.LBB333_77:
	s_or_b64 exec, exec, s[2:3]
	v_or_b32_e32 v1, 0x400, v0
	v_cmp_gt_u32_e64 s[0:1], s26, v1
	s_and_saveexec_b64 s[2:3], s[0:1]
	s_cbranch_execz .LBB333_79
; %bb.78:
	ds_read_u8 v1, v0 offset:1152
	v_mov_b32_e32 v6, s15
	s_waitcnt lgkmcnt(0)
	v_lshrrev_b32_sdwa v4, s16, v1 dst_sel:DWORD dst_unused:UNUSED_PAD src0_sel:DWORD src1_sel:BYTE_0
	v_and_b32_e32 v4, s27, v4
	v_lshlrev_b32_e32 v4, 3, v4
	ds_read_b64 v[4:5], v4
	s_waitcnt lgkmcnt(0)
	v_add_co_u32_e64 v4, s[0:1], s14, v4
	v_addc_co_u32_e64 v5, s[0:1], v6, v5, s[0:1]
	v_add_co_u32_e64 v4, s[0:1], v4, v0
	v_addc_co_u32_e64 v5, s[0:1], 0, v5, s[0:1]
	global_store_byte v[4:5], v1, off offset:1024
.LBB333_79:
	;; [unrolled: 20-line block ×7, first 2 shown]
	s_or_b64 exec, exec, s[2:3]
	v_or_b32_e32 v1, 0x1000, v0
	v_cmp_gt_u32_e64 s[0:1], s26, v1
	s_and_saveexec_b64 s[2:3], s[0:1]
	s_cbranch_execz .LBB333_91
; %bb.90:
	ds_read_u8 v6, v0 offset:4224
	v_mov_b32_e32 v7, s15
	s_waitcnt lgkmcnt(0)
	v_lshrrev_b32_sdwa v4, s16, v6 dst_sel:DWORD dst_unused:UNUSED_PAD src0_sel:DWORD src1_sel:BYTE_0
	v_and_b32_e32 v4, s27, v4
	v_lshlrev_b32_e32 v4, 3, v4
	ds_read_b64 v[4:5], v4
	s_waitcnt lgkmcnt(0)
	v_add_co_u32_e64 v4, s[0:1], s14, v4
	v_addc_co_u32_e64 v5, s[0:1], v7, v5, s[0:1]
	v_add_co_u32_e64 v4, s[0:1], v4, v1
	v_addc_co_u32_e64 v5, s[0:1], 0, v5, s[0:1]
	global_store_byte v[4:5], v6, off
.LBB333_91:
	s_or_b64 exec, exec, s[2:3]
	v_or_b32_e32 v1, 0x1200, v0
	v_cmp_gt_u32_e64 s[0:1], s26, v1
	s_and_saveexec_b64 s[2:3], s[0:1]
	s_cbranch_execz .LBB333_93
; %bb.92:
	ds_read_u8 v6, v0 offset:4736
	v_mov_b32_e32 v7, s15
	s_waitcnt lgkmcnt(0)
	v_lshrrev_b32_sdwa v4, s16, v6 dst_sel:DWORD dst_unused:UNUSED_PAD src0_sel:DWORD src1_sel:BYTE_0
	v_and_b32_e32 v4, s27, v4
	v_lshlrev_b32_e32 v4, 3, v4
	ds_read_b64 v[4:5], v4
	s_waitcnt lgkmcnt(0)
	v_add_co_u32_e64 v4, s[0:1], s14, v4
	v_addc_co_u32_e64 v5, s[0:1], v7, v5, s[0:1]
	v_add_co_u32_e64 v4, s[0:1], v4, v1
	v_addc_co_u32_e64 v5, s[0:1], 0, v5, s[0:1]
	global_store_byte v[4:5], v6, off
.LBB333_93:
	;; [unrolled: 20-line block ×14, first 2 shown]
	s_or_b64 exec, exec, s[2:3]
	s_load_dword s2, s[4:5], 0x58
	s_mov_b64 s[0:1], 0
	s_mov_b64 s[18:19], 0
                                        ; implicit-def: $vgpr4_vgpr5
	s_waitcnt lgkmcnt(0)
	s_add_i32 s2, s2, -1
	s_cmp_eq_u32 s2, s6
	s_cselect_b64 s[2:3], -1, 0
	s_and_b64 s[2:3], vcc, s[2:3]
	s_and_saveexec_b64 s[22:23], s[2:3]
	s_xor_b64 s[2:3], exec, s[22:23]
; %bb.118:
	v_add_co_u32_e32 v4, vcc, v2, v11
	s_mov_b64 s[18:19], exec
	v_mov_b32_e32 v1, 0
	v_addc_co_u32_e32 v5, vcc, 0, v3, vcc
; %bb.119:
	s_or_b64 exec, exec, s[2:3]
	s_and_b64 vcc, exec, s[0:1]
	s_cbranch_vccnz .LBB333_121
	s_branch .LBB333_154
.LBB333_120:
	s_mov_b64 s[18:19], 0
                                        ; implicit-def: $vgpr4_vgpr5
	s_cbranch_execz .LBB333_154
.LBB333_121:
	s_add_u32 s0, s12, s7
	s_addc_u32 s1, s13, 0
	global_load_ushort v7, v10, s[0:1] offset:20
	global_load_dwordx4 v[2:5], v10, s[0:1]
	global_load_dword v6, v10, s[0:1] offset:16
	v_mov_b32_e32 v9, 8
	s_mov_b32 s7, 0x3020104
	v_lshlrev_b32_e32 v1, 2, v0
	v_mov_b32_e32 v8, 0
	s_mov_b64 s[0:1], -1
	ds_write2st64_b32 v1, v8, v8 offset1:8
	ds_write2st64_b32 v1, v8, v8 offset0:16 offset1:24
	s_waitcnt vmcnt(2)
	v_lshrrev_b32_sdwa v9, v9, v7 dst_sel:BYTE_1 dst_unused:UNUSED_PAD src0_sel:DWORD src1_sel:DWORD
	v_or_b32_sdwa v7, v7, v9 dst_sel:DWORD dst_unused:UNUSED_PAD src0_sel:BYTE_0 src1_sel:DWORD
	s_and_saveexec_b64 s[2:3], s[0:1]
	s_cbranch_execz .LBB333_123
; %bb.122:
	ds_write_b32 v1, v8 offset:8192
.LBB333_123:
	s_or_b64 exec, exec, s[2:3]
	v_and_b32_e32 v9, 0xffff, v7
	s_waitcnt vmcnt(0)
	v_perm_b32 v8, v6, v6, s7
	s_and_saveexec_b64 s[2:3], s[0:1]
	s_cbranch_execz .LBB333_125
; %bb.124:
	v_mov_b32_e32 v6, 0
	ds_write_b32 v1, v6 offset:10240
.LBB333_125:
	s_or_b64 exec, exec, s[2:3]
	v_cmp_gt_u32_e64 s[0:1], 7, 6
	v_cmp_gt_u32_e64 s[12:13], 7, 5
	s_and_saveexec_b64 s[2:3], s[12:13]
	s_cbranch_execz .LBB333_127
; %bb.126:
	v_mov_b32_e32 v6, 0
	ds_write_b32 v1, v6 offset:12288
.LBB333_127:
	s_or_b64 exec, exec, s[2:3]
	s_and_saveexec_b64 s[2:3], s[0:1]
	s_cbranch_execz .LBB333_129
; %bb.128:
	v_mov_b32_e32 v6, 0
	ds_write_b32 v1, v6 offset:14336
.LBB333_129:
	s_or_b64 exec, exec, s[2:3]
	s_lshl_b32 s0, -1, s17
	s_not_b32 s7, s0
	v_lshrrev_b32_sdwa v1, s16, v2 dst_sel:DWORD dst_unused:UNUSED_PAD src0_sel:DWORD src1_sel:BYTE_0
	v_and_b32_e32 v1, s7, v1
	v_lshrrev_b32_e32 v6, 3, v1
	v_lshlrev_b32_e32 v1, 9, v1
	s_movk_i32 s0, 0xe00
	v_and_or_b32 v1, v1, s0, v0
	v_lshlrev_b32_e32 v1, 1, v1
	v_add_lshl_u32 v6, v1, v6, 1
	ds_read_u16 v1, v6
	v_lshrrev_b32_sdwa v7, s16, v2 dst_sel:DWORD dst_unused:UNUSED_PAD src0_sel:DWORD src1_sel:BYTE_1
	v_and_b32_e32 v7, s7, v7
	v_lshrrev_b32_e32 v19, 24, v3
	v_lshrrev_b32_e32 v28, 24, v5
	s_waitcnt lgkmcnt(0)
	v_add_u16_e32 v10, 1, v1
	ds_write_b16 v6, v10
	v_lshrrev_b32_e32 v10, 3, v7
	v_lshlrev_b32_e32 v7, 9, v7
	v_and_or_b32 v7, v7, s0, v0
	v_lshlrev_b32_e32 v7, 1, v7
	v_add_lshl_u32 v7, v7, v10, 1
	ds_read_u16 v16, v7
	v_lshlrev_b32_e32 v57, 5, v0
	s_waitcnt lgkmcnt(0)
	v_add_u16_e32 v10, 1, v16
	ds_write_b16 v7, v10
	v_lshrrev_b32_sdwa v10, s16, v2 dst_sel:DWORD dst_unused:UNUSED_PAD src0_sel:DWORD src1_sel:BYTE_2
	v_and_b32_e32 v10, s7, v10
	v_lshrrev_b32_e32 v11, 3, v10
	v_lshlrev_b32_e32 v10, 9, v10
	v_and_or_b32 v10, v10, s0, v0
	v_lshlrev_b32_e32 v10, 1, v10
	v_add_lshl_u32 v14, v10, v11, 1
	ds_read_u16 v17, v14
	v_alignbit_b32 v10, v3, v2, 24
	v_lshrrev_b32_sdwa v10, s16, v10 dst_sel:DWORD dst_unused:UNUSED_PAD src0_sel:DWORD src1_sel:BYTE_0
	v_and_b32_e32 v10, s7, v10
	s_waitcnt lgkmcnt(0)
	v_add_u16_e32 v11, 1, v17
	ds_write_b16 v14, v11
	v_lshrrev_b32_e32 v11, 3, v10
	v_lshlrev_b32_e32 v10, 9, v10
	v_and_or_b32 v10, v10, s0, v0
	v_lshlrev_b32_e32 v10, 1, v10
	v_add_lshl_u32 v15, v10, v11, 1
	ds_read_u16 v18, v15
	s_waitcnt lgkmcnt(0)
	v_add_u16_e32 v10, 1, v18
	ds_write_b16 v15, v10
	v_lshrrev_b32_sdwa v10, s16, v3 dst_sel:DWORD dst_unused:UNUSED_PAD src0_sel:DWORD src1_sel:BYTE_0
	v_and_b32_e32 v10, s7, v10
	v_lshrrev_b32_e32 v11, 3, v10
	v_lshlrev_b32_e32 v10, 9, v10
	v_and_or_b32 v10, v10, s0, v0
	v_lshlrev_b32_e32 v10, 1, v10
	v_add_lshl_u32 v31, v10, v11, 1
	ds_read_u16 v20, v31
	s_waitcnt lgkmcnt(0)
	v_add_u16_e32 v10, 1, v20
	ds_write_b16 v31, v10
	v_lshrrev_b32_sdwa v10, s16, v3 dst_sel:DWORD dst_unused:UNUSED_PAD src0_sel:DWORD src1_sel:BYTE_1
	v_and_b32_e32 v10, s7, v10
	v_lshrrev_b32_e32 v11, 3, v10
	v_lshlrev_b32_e32 v10, 9, v10
	v_and_or_b32 v10, v10, s0, v0
	v_lshlrev_b32_e32 v10, 1, v10
	v_add_lshl_u32 v33, v10, v11, 1
	ds_read_u16 v21, v33
	s_waitcnt lgkmcnt(0)
	v_add_u16_e32 v10, 1, v21
	ds_write_b16 v33, v10
	v_lshrrev_b32_sdwa v10, s16, v3 dst_sel:DWORD dst_unused:UNUSED_PAD src0_sel:DWORD src1_sel:BYTE_2
	v_and_b32_e32 v10, s7, v10
	v_lshrrev_b32_e32 v11, 3, v10
	v_lshlrev_b32_e32 v10, 9, v10
	v_and_or_b32 v10, v10, s0, v0
	v_lshlrev_b32_e32 v10, 1, v10
	v_add_lshl_u32 v35, v10, v11, 1
	ds_read_u16 v22, v35
	s_waitcnt lgkmcnt(0)
	v_add_u16_e32 v10, 1, v22
	ds_write_b16 v35, v10
	v_lshrrev_b32_e32 v10, s16, v19
	v_and_b32_e32 v10, s7, v10
	v_lshrrev_b32_e32 v11, 3, v10
	v_lshlrev_b32_e32 v10, 9, v10
	v_and_or_b32 v10, v10, s0, v0
	v_lshlrev_b32_e32 v10, 1, v10
	v_add_lshl_u32 v37, v10, v11, 1
	ds_read_u16 v23, v37
	s_waitcnt lgkmcnt(0)
	v_add_u16_e32 v10, 1, v23
	ds_write_b16 v37, v10
	v_lshrrev_b32_sdwa v10, s16, v4 dst_sel:DWORD dst_unused:UNUSED_PAD src0_sel:DWORD src1_sel:BYTE_0
	v_and_b32_e32 v10, s7, v10
	v_lshrrev_b32_e32 v11, 3, v10
	v_lshlrev_b32_e32 v10, 9, v10
	v_and_or_b32 v10, v10, s0, v0
	v_lshlrev_b32_e32 v10, 1, v10
	v_add_lshl_u32 v39, v10, v11, 1
	ds_read_u16 v24, v39
	s_waitcnt lgkmcnt(0)
	v_add_u16_e32 v10, 1, v24
	ds_write_b16 v39, v10
	v_lshrrev_b32_sdwa v10, s16, v4 dst_sel:DWORD dst_unused:UNUSED_PAD src0_sel:DWORD src1_sel:BYTE_1
	v_and_b32_e32 v10, s7, v10
	v_lshrrev_b32_e32 v11, 3, v10
	v_lshlrev_b32_e32 v10, 9, v10
	v_and_or_b32 v10, v10, s0, v0
	v_lshlrev_b32_e32 v10, 1, v10
	v_add_lshl_u32 v41, v10, v11, 1
	ds_read_u16 v25, v41
	s_waitcnt lgkmcnt(0)
	v_add_u16_e32 v10, 1, v25
	ds_write_b16 v41, v10
	v_lshrrev_b32_sdwa v10, s16, v4 dst_sel:DWORD dst_unused:UNUSED_PAD src0_sel:DWORD src1_sel:BYTE_2
	v_and_b32_e32 v10, s7, v10
	v_lshrrev_b32_e32 v11, 3, v10
	v_lshlrev_b32_e32 v10, 9, v10
	v_and_or_b32 v10, v10, s0, v0
	v_lshlrev_b32_e32 v10, 1, v10
	v_add_lshl_u32 v43, v10, v11, 1
	ds_read_u16 v26, v43
	v_alignbit_b32 v10, v5, v4, 24
	v_lshrrev_b32_sdwa v10, s16, v10 dst_sel:DWORD dst_unused:UNUSED_PAD src0_sel:DWORD src1_sel:BYTE_0
	v_and_b32_e32 v10, s7, v10
	s_waitcnt lgkmcnt(0)
	v_add_u16_e32 v11, 1, v26
	ds_write_b16 v43, v11
	v_lshrrev_b32_e32 v11, 3, v10
	v_lshlrev_b32_e32 v10, 9, v10
	v_and_or_b32 v10, v10, s0, v0
	v_lshlrev_b32_e32 v10, 1, v10
	v_add_lshl_u32 v45, v10, v11, 1
	ds_read_u16 v27, v45
	s_waitcnt lgkmcnt(0)
	v_add_u16_e32 v10, 1, v27
	ds_write_b16 v45, v10
	v_lshrrev_b32_sdwa v10, s16, v5 dst_sel:DWORD dst_unused:UNUSED_PAD src0_sel:DWORD src1_sel:BYTE_0
	v_and_b32_e32 v10, s7, v10
	v_lshrrev_b32_e32 v11, 3, v10
	v_lshlrev_b32_e32 v10, 9, v10
	v_and_or_b32 v10, v10, s0, v0
	v_lshlrev_b32_e32 v10, 1, v10
	v_add_lshl_u32 v47, v10, v11, 1
	ds_read_u16 v29, v47
	s_waitcnt lgkmcnt(0)
	v_add_u16_e32 v10, 1, v29
	ds_write_b16 v47, v10
	v_lshrrev_b32_sdwa v10, s16, v5 dst_sel:DWORD dst_unused:UNUSED_PAD src0_sel:DWORD src1_sel:BYTE_1
	v_and_b32_e32 v10, s7, v10
	v_lshrrev_b32_e32 v11, 3, v10
	v_lshlrev_b32_e32 v10, 9, v10
	v_and_or_b32 v10, v10, s0, v0
	v_lshlrev_b32_e32 v10, 1, v10
	v_add_lshl_u32 v48, v10, v11, 1
	ds_read_u16 v30, v48
	s_waitcnt lgkmcnt(0)
	v_add_u16_e32 v10, 1, v30
	ds_write_b16 v48, v10
	v_lshrrev_b32_sdwa v10, s16, v5 dst_sel:DWORD dst_unused:UNUSED_PAD src0_sel:DWORD src1_sel:BYTE_2
	v_and_b32_e32 v10, s7, v10
	v_lshrrev_b32_e32 v11, 3, v10
	v_lshlrev_b32_e32 v10, 9, v10
	v_and_or_b32 v10, v10, s0, v0
	v_lshlrev_b32_e32 v10, 1, v10
	v_add_lshl_u32 v49, v10, v11, 1
	ds_read_u16 v32, v49
	s_waitcnt lgkmcnt(0)
	v_add_u16_e32 v10, 1, v32
	ds_write_b16 v49, v10
	v_lshrrev_b32_e32 v10, s16, v28
	v_and_b32_e32 v10, s7, v10
	v_lshrrev_b32_e32 v11, 3, v10
	v_lshlrev_b32_e32 v10, 9, v10
	v_and_or_b32 v10, v10, s0, v0
	v_lshlrev_b32_e32 v10, 1, v10
	v_add_lshl_u32 v50, v10, v11, 1
	ds_read_u16 v34, v50
	s_waitcnt lgkmcnt(0)
	v_add_u16_e32 v10, 1, v34
	ds_write_b16 v50, v10
	v_lshrrev_b32_sdwa v10, s16, v8 dst_sel:DWORD dst_unused:UNUSED_PAD src0_sel:DWORD src1_sel:BYTE_0
	v_and_b32_e32 v10, s7, v10
	v_lshrrev_b32_e32 v11, 3, v10
	v_lshlrev_b32_e32 v10, 9, v10
	v_and_or_b32 v10, v10, s0, v0
	v_lshlrev_b32_e32 v10, 1, v10
	v_add_lshl_u32 v51, v10, v11, 1
	ds_read_u16 v36, v51
	s_waitcnt lgkmcnt(0)
	v_add_u16_e32 v10, 1, v36
	ds_write_b16 v51, v10
	v_lshrrev_b32_sdwa v10, s16, v8 dst_sel:DWORD dst_unused:UNUSED_PAD src0_sel:DWORD src1_sel:BYTE_1
	v_and_b32_e32 v10, s7, v10
	v_lshrrev_b32_e32 v11, 3, v10
	v_lshlrev_b32_e32 v10, 9, v10
	v_and_or_b32 v10, v10, s0, v0
	v_lshlrev_b32_e32 v10, 1, v10
	v_add_lshl_u32 v52, v10, v11, 1
	ds_read_u16 v38, v52
	s_waitcnt lgkmcnt(0)
	v_add_u16_e32 v10, 1, v38
	ds_write_b16 v52, v10
	v_lshrrev_b32_sdwa v10, s16, v8 dst_sel:DWORD dst_unused:UNUSED_PAD src0_sel:DWORD src1_sel:BYTE_2
	v_and_b32_e32 v10, s7, v10
	v_lshrrev_b32_e32 v11, 3, v10
	v_lshlrev_b32_e32 v10, 9, v10
	v_and_or_b32 v10, v10, s0, v0
	v_lshlrev_b32_e32 v10, 1, v10
	v_add_lshl_u32 v53, v10, v11, 1
	ds_read_u16 v40, v53
	v_alignbit_b32 v10, v9, v8, 24
	v_lshrrev_b32_sdwa v10, s16, v10 dst_sel:DWORD dst_unused:UNUSED_PAD src0_sel:DWORD src1_sel:BYTE_0
	v_and_b32_e32 v10, s7, v10
	s_waitcnt lgkmcnt(0)
	v_add_u16_e32 v11, 1, v40
	ds_write_b16 v53, v11
	v_lshrrev_b32_e32 v11, 3, v10
	v_lshlrev_b32_e32 v10, 9, v10
	v_and_or_b32 v10, v10, s0, v0
	v_lshlrev_b32_e32 v10, 1, v10
	v_add_lshl_u32 v54, v10, v11, 1
	ds_read_u16 v42, v54
	s_waitcnt lgkmcnt(0)
	v_add_u16_e32 v10, 1, v42
	ds_write_b16 v54, v10
	v_lshrrev_b32_sdwa v10, s16, v9 dst_sel:DWORD dst_unused:UNUSED_PAD src0_sel:DWORD src1_sel:BYTE_0
	v_and_b32_e32 v10, s7, v10
	v_lshrrev_b32_e32 v11, 3, v10
	v_lshlrev_b32_e32 v10, 9, v10
	v_and_or_b32 v10, v10, s0, v0
	v_lshlrev_b32_e32 v10, 1, v10
	v_add_lshl_u32 v55, v10, v11, 1
	ds_read_u16 v44, v55
	s_waitcnt lgkmcnt(0)
	v_add_u16_e32 v10, 1, v44
	ds_write_b16 v55, v10
	v_lshrrev_b32_sdwa v10, s16, v9 dst_sel:DWORD dst_unused:UNUSED_PAD src0_sel:DWORD src1_sel:BYTE_1
	v_and_b32_e32 v10, s7, v10
	v_lshrrev_b32_e32 v11, 3, v10
	v_lshlrev_b32_e32 v10, 9, v10
	v_and_or_b32 v10, v10, s0, v0
	v_lshlrev_b32_e32 v10, 1, v10
	v_add_lshl_u32 v56, v10, v11, 1
	ds_read_u16 v46, v56
	s_waitcnt lgkmcnt(0)
	v_add_u16_e32 v10, 1, v46
	ds_write_b16 v56, v10
	s_waitcnt lgkmcnt(0)
	s_barrier
	ds_read2_b64 v[10:13], v57 offset1:1
	ds_read2_b64 v[58:61], v57 offset0:2 offset1:3
	s_waitcnt lgkmcnt(1)
	v_add_u32_e32 v10, v11, v10
	v_add3_u32 v10, v10, v12, v13
	v_mbcnt_lo_u32_b32 v11, -1, 0
	s_waitcnt lgkmcnt(0)
	v_add3_u32 v10, v10, v58, v59
	v_mbcnt_hi_u32_b32 v58, -1, v11
	v_add3_u32 v10, v10, v60, v61
	v_and_b32_e32 v11, 15, v58
	v_cmp_ne_u32_e32 vcc, 0, v11
	v_mov_b32_dpp v12, v10 row_shr:1 row_mask:0xf bank_mask:0xf
	v_cndmask_b32_e32 v12, 0, v12, vcc
	v_add_u32_e32 v10, v12, v10
	v_cmp_lt_u32_e32 vcc, 1, v11
	s_nop 0
	v_mov_b32_dpp v12, v10 row_shr:2 row_mask:0xf bank_mask:0xf
	v_cndmask_b32_e32 v12, 0, v12, vcc
	v_add_u32_e32 v10, v10, v12
	v_cmp_lt_u32_e32 vcc, 3, v11
	s_nop 0
	;; [unrolled: 5-line block ×3, first 2 shown]
	v_mov_b32_dpp v12, v10 row_shr:8 row_mask:0xf bank_mask:0xf
	v_cndmask_b32_e32 v11, 0, v12, vcc
	v_add_u32_e32 v10, v10, v11
	v_bfe_i32 v12, v58, 4, 1
	v_cmp_lt_u32_e32 vcc, 31, v58
	v_mov_b32_dpp v11, v10 row_bcast:15 row_mask:0xf bank_mask:0xf
	v_and_b32_e32 v11, v12, v11
	v_add_u32_e32 v10, v10, v11
	s_nop 1
	v_mov_b32_dpp v11, v10 row_bcast:31 row_mask:0xf bank_mask:0xf
	v_cndmask_b32_e32 v11, 0, v11, vcc
	v_add_u32_e32 v12, v10, v11
	v_lshrrev_b32_e32 v10, 6, v0
	v_or_b32_e32 v11, 63, v0
	v_cmp_eq_u32_e32 vcc, v11, v0
	v_lshlrev_b32_e32 v10, 2, v10
	s_and_saveexec_b64 s[0:1], vcc
	s_cbranch_execz .LBB333_131
; %bb.130:
	ds_write_b32 v10, v12 offset:16384
.LBB333_131:
	s_or_b64 exec, exec, s[0:1]
	v_cmp_gt_u32_e32 vcc, 8, v0
	s_waitcnt lgkmcnt(0)
	s_barrier
	s_and_saveexec_b64 s[0:1], vcc
	s_cbranch_execz .LBB333_133
; %bb.132:
	s_movk_i32 s2, 0xffe4
	v_mad_i32_i24 v11, v0, s2, v57
	ds_read_b32 v13, v11 offset:16384
	v_and_b32_e32 v59, 7, v58
	v_cmp_ne_u32_e32 vcc, 0, v59
	s_waitcnt lgkmcnt(0)
	v_mov_b32_dpp v60, v13 row_shr:1 row_mask:0xf bank_mask:0xf
	v_cndmask_b32_e32 v60, 0, v60, vcc
	v_add_u32_e32 v13, v60, v13
	v_cmp_lt_u32_e32 vcc, 1, v59
	s_nop 0
	v_mov_b32_dpp v60, v13 row_shr:2 row_mask:0xf bank_mask:0xf
	v_cndmask_b32_e32 v60, 0, v60, vcc
	v_add_u32_e32 v13, v13, v60
	v_cmp_lt_u32_e32 vcc, 3, v59
	s_nop 0
	v_mov_b32_dpp v60, v13 row_shr:4 row_mask:0xf bank_mask:0xf
	v_cndmask_b32_e32 v59, 0, v60, vcc
	v_add_u32_e32 v13, v13, v59
	ds_write_b32 v11, v13 offset:16384
.LBB333_133:
	s_or_b64 exec, exec, s[0:1]
	v_cmp_lt_u32_e32 vcc, 63, v0
	v_mov_b32_e32 v60, 0
	v_mov_b32_e32 v59, 0
	s_waitcnt lgkmcnt(0)
	s_barrier
	s_and_saveexec_b64 s[0:1], vcc
	s_cbranch_execz .LBB333_135
; %bb.134:
	ds_read_b32 v59, v10 offset:16380
.LBB333_135:
	s_or_b64 exec, exec, s[0:1]
	v_lshrrev_b64 v[10:11], 24, v[2:3]
	s_waitcnt lgkmcnt(0)
	v_add_u32_e32 v11, v59, v12
	v_add_u32_e32 v12, -1, v58
	v_and_b32_e32 v13, 64, v58
	v_cmp_lt_i32_e32 vcc, v12, v13
	v_cndmask_b32_e32 v12, v12, v58, vcc
	v_lshlrev_b32_e32 v12, 2, v12
	ds_bpermute_b32 v11, v12, v11
	v_lshrrev_b64 v[12:13], 24, v[4:5]
	ds_read_b32 v13, v60 offset:16412
	ds_read2_b64 v[60:63], v57 offset1:1
	v_cmp_eq_u32_e32 vcc, 0, v58
	ds_read_b32 v66, v57 offset:24
	ds_read_b64 v[64:65], v57 offset:16
	s_waitcnt lgkmcnt(4)
	v_cndmask_b32_e32 v11, v11, v59, vcc
	s_waitcnt lgkmcnt(3)
	v_lshl_add_u32 v58, v13, 16, v11
	s_waitcnt lgkmcnt(2)
	v_add_u32_e32 v59, v58, v60
	v_add_u32_e32 v60, v61, v59
	;; [unrolled: 1-line block ×3, first 2 shown]
	ds_write2_b64 v57, v[58:59], v[60:61] offset1:1
	v_add_u32_e32 v58, v63, v61
	s_waitcnt lgkmcnt(1)
	v_add_u32_e32 v59, v64, v58
	v_add_u32_e32 v60, v65, v59
	;; [unrolled: 1-line block ×3, first 2 shown]
	ds_write2_b64 v57, v[58:59], v[60:61] offset0:2 offset1:3
	s_waitcnt lgkmcnt(0)
	s_barrier
	ds_read_u16 v13, v6
	ds_read_u16 v57, v7
	ds_read_u16 v58, v14
	ds_read_u16 v59, v15
	ds_read_u16 v31, v31
	ds_read_u16 v33, v33
	ds_read_u16 v35, v35
	ds_read_u16 v37, v37
	ds_read_u16 v39, v39
	ds_read_u16 v41, v41
	ds_read_u16 v43, v43
	ds_read_u16 v45, v45
	ds_read_u16 v47, v47
	ds_read_u16 v48, v48
	ds_read_u16 v49, v49
	ds_read_u16 v50, v50
	ds_read_u16 v51, v51
	ds_read_u16 v52, v52
	ds_read_u16 v53, v53
	ds_read_u16 v54, v54
	ds_read_u16 v55, v55
	ds_read_u16 v56, v56
	v_lshrrev_b64 v[14:15], 24, v[8:9]
	v_cmp_lt_u32_e64 s[0:1], 15, v0
	v_cmp_gt_u32_e32 vcc, 16, v0
	v_pk_mov_b32 v[6:7], 0, 0
                                        ; implicit-def: $vgpr11
	s_and_saveexec_b64 s[12:13], vcc
	s_cbranch_execz .LBB333_139
; %bb.136:
	v_lshrrev_b32_e32 v6, 3, v0
	v_lshlrev_b32_e32 v7, 10, v0
	s_movk_i32 s17, 0x1c00
	v_and_or_b32 v6, v7, s17, v6
	v_lshlrev_b32_e32 v6, 1, v6
	ds_read_u16 v6, v6
	v_add_u32_e32 v11, 1, v0
	v_cmp_ne_u32_e64 s[2:3], 16, v11
	v_mov_b32_e32 v7, 0x2c00
	s_and_saveexec_b64 s[22:23], s[2:3]
	s_cbranch_execz .LBB333_138
; %bb.137:
	v_lshlrev_b32_e32 v7, 10, v11
	v_lshrrev_b32_e32 v11, 3, v11
	v_and_or_b32 v7, v7, s17, v11
	v_lshlrev_b32_e32 v7, 1, v7
	ds_read_u16 v7, v7
.LBB333_138:
	s_or_b64 exec, exec, s[22:23]
	s_waitcnt lgkmcnt(0)
	v_and_b32_e32 v6, 0xffff, v6
	s_mov_b32 s2, 0
	v_sub_u32_e32 v11, v7, v6
	v_mov_b32_e32 v7, s2
.LBB333_139:
	s_or_b64 exec, exec, s[12:13]
	s_waitcnt lgkmcnt(14)
	v_add_u32_sdwa v1, v13, v1 dst_sel:DWORD dst_unused:UNUSED_PAD src0_sel:WORD_0 src1_sel:WORD_0
	v_lshrrev_b32_e32 v68, 8, v2
	v_lshrrev_b32_e32 v69, 16, v2
	;; [unrolled: 1-line block ×11, first 2 shown]
	v_add_u32_sdwa v13, v57, v16 dst_sel:DWORD dst_unused:UNUSED_PAD src0_sel:WORD_0 src1_sel:WORD_0
	v_add_u32_sdwa v16, v58, v17 dst_sel:DWORD dst_unused:UNUSED_PAD src0_sel:WORD_0 src1_sel:WORD_0
	;; [unrolled: 1-line block ×7, first 2 shown]
	s_waitcnt lgkmcnt(13)
	v_add_u32_sdwa v23, v39, v24 dst_sel:DWORD dst_unused:UNUSED_PAD src0_sel:WORD_0 src1_sel:WORD_0
	s_waitcnt lgkmcnt(12)
	v_add_u32_sdwa v24, v41, v25 dst_sel:DWORD dst_unused:UNUSED_PAD src0_sel:WORD_0 src1_sel:WORD_0
	;; [unrolled: 2-line block ×14, first 2 shown]
	s_barrier
	ds_write_b8 v1, v2 offset:128
	ds_write_b8 v13, v68 offset:128
	;; [unrolled: 1-line block ×22, first 2 shown]
	s_and_saveexec_b64 s[2:3], s[0:1]
	s_xor_b64 s[0:1], exec, s[2:3]
; %bb.140:
	v_mov_b32_e32 v1, 0
; %bb.141:
	s_andn2_saveexec_b64 s[2:3], s[0:1]
	s_cbranch_execz .LBB333_151
; %bb.142:
	v_lshl_or_b32 v2, s6, 4, v0
	v_mov_b32_e32 v3, 0
	v_lshlrev_b64 v[4:5], 2, v[2:3]
	v_mov_b32_e32 v1, s21
	v_add_co_u32_e64 v4, s[0:1], s20, v4
	v_addc_co_u32_e64 v5, s[0:1], v1, v5, s[0:1]
	v_or_b32_e32 v2, 2.0, v11
	s_mov_b64 s[12:13], 0
	s_brev_b32 s17, 1
	s_mov_b32 s21, s6
	v_mov_b32_e32 v10, 0
	global_store_dword v[4:5], v2, off
                                        ; implicit-def: $sgpr0_sgpr1
	s_branch .LBB333_145
.LBB333_143:                            ;   in Loop: Header=BB333_145 Depth=1
	s_or_b64 exec, exec, s[24:25]
.LBB333_144:                            ;   in Loop: Header=BB333_145 Depth=1
	s_or_b64 exec, exec, s[22:23]
	v_and_b32_e32 v8, 0x3fffffff, v12
	v_add_u32_e32 v10, v8, v10
	v_cmp_eq_u32_e64 s[0:1], s17, v2
	s_and_b64 s[22:23], exec, s[0:1]
	s_or_b64 s[12:13], s[22:23], s[12:13]
	s_andn2_b64 exec, exec, s[12:13]
	s_cbranch_execz .LBB333_150
.LBB333_145:                            ; =>This Loop Header: Depth=1
                                        ;     Child Loop BB333_148 Depth 2
	s_or_b64 s[0:1], s[0:1], exec
	s_cmp_eq_u32 s21, 0
	s_cbranch_scc1 .LBB333_149
; %bb.146:                              ;   in Loop: Header=BB333_145 Depth=1
	s_add_i32 s21, s21, -1
	v_lshl_or_b32 v2, s21, 4, v0
	v_lshlrev_b64 v[8:9], 2, v[2:3]
	v_add_co_u32_e64 v8, s[0:1], s20, v8
	v_addc_co_u32_e64 v9, s[0:1], v1, v9, s[0:1]
	global_load_dword v12, v[8:9], off glc
	s_waitcnt vmcnt(0)
	v_and_b32_e32 v2, -2.0, v12
	v_cmp_eq_u32_e64 s[0:1], 0, v2
	s_and_saveexec_b64 s[22:23], s[0:1]
	s_cbranch_execz .LBB333_144
; %bb.147:                              ;   in Loop: Header=BB333_145 Depth=1
	s_mov_b64 s[24:25], 0
.LBB333_148:                            ;   Parent Loop BB333_145 Depth=1
                                        ; =>  This Inner Loop Header: Depth=2
	global_load_dword v12, v[8:9], off glc
	s_waitcnt vmcnt(0)
	v_and_b32_e32 v2, -2.0, v12
	v_cmp_ne_u32_e64 s[0:1], 0, v2
	s_or_b64 s[24:25], s[0:1], s[24:25]
	s_andn2_b64 exec, exec, s[24:25]
	s_cbranch_execnz .LBB333_148
	s_branch .LBB333_143
.LBB333_149:                            ;   in Loop: Header=BB333_145 Depth=1
                                        ; implicit-def: $sgpr21
	s_and_b64 s[22:23], exec, s[0:1]
	s_or_b64 s[12:13], s[22:23], s[12:13]
	s_andn2_b64 exec, exec, s[12:13]
	s_cbranch_execnz .LBB333_145
.LBB333_150:
	s_or_b64 exec, exec, s[12:13]
	v_add_u32_e32 v1, v10, v11
	v_or_b32_e32 v1, 0x80000000, v1
	global_store_dword v[4:5], v1, off
	v_lshlrev_b32_e32 v4, 3, v0
	global_load_dwordx2 v[2:3], v4, s[8:9]
	v_sub_co_u32_e64 v5, s[0:1], v10, v6
	v_subb_co_u32_e64 v8, s[0:1], 0, v7, s[0:1]
	v_mov_b32_e32 v1, 0
	s_waitcnt vmcnt(0)
	v_add_co_u32_e64 v2, s[0:1], v5, v2
	v_addc_co_u32_e64 v3, s[0:1], v8, v3, s[0:1]
	ds_write_b64 v4, v[2:3]
.LBB333_151:
	s_or_b64 exec, exec, s[2:3]
	s_waitcnt lgkmcnt(0)
	s_barrier
	ds_read_u8 v10, v0 offset:10368
	ds_read_u8 v18, v0 offset:9344
	;; [unrolled: 1-line block ×5, first 2 shown]
	s_waitcnt lgkmcnt(4)
	v_lshrrev_b32_sdwa v2, s16, v10 dst_sel:DWORD dst_unused:UNUSED_PAD src0_sel:DWORD src1_sel:BYTE_0
	v_and_b32_e32 v2, s7, v2
	v_lshlrev_b32_e32 v2, 3, v2
	ds_read_b64 v[2:3], v2
	ds_read_u8 v22, v0 offset:128
	s_waitcnt lgkmcnt(2)
	v_lshrrev_b32_sdwa v4, s16, v21 dst_sel:DWORD dst_unused:UNUSED_PAD src0_sel:DWORD src1_sel:BYTE_0
	v_and_b32_e32 v4, s7, v4
	v_lshrrev_b32_sdwa v9, s16, v20 dst_sel:DWORD dst_unused:UNUSED_PAD src0_sel:DWORD src1_sel:BYTE_0
	v_lshlrev_b32_e32 v4, 3, v4
	v_and_b32_e32 v9, s7, v9
	ds_read_b64 v[4:5], v4
	v_lshlrev_b32_e32 v12, 3, v9
	ds_read_u8 v24, v0 offset:1152
	ds_read_u8 v25, v0 offset:1664
	;; [unrolled: 1-line block ×8, first 2 shown]
	s_waitcnt lgkmcnt(7)
	v_lshrrev_b32_sdwa v9, s16, v24 dst_sel:DWORD dst_unused:UNUSED_PAD src0_sel:DWORD src1_sel:BYTE_0
	v_and_b32_e32 v9, s7, v9
	v_lshrrev_b32_sdwa v8, s16, v22 dst_sel:DWORD dst_unused:UNUSED_PAD src0_sel:DWORD src1_sel:BYTE_0
	v_lshlrev_b32_e32 v14, 3, v9
	s_waitcnt lgkmcnt(6)
	v_lshrrev_b32_sdwa v9, s16, v25 dst_sel:DWORD dst_unused:UNUSED_PAD src0_sel:DWORD src1_sel:BYTE_0
	v_and_b32_e32 v8, s7, v8
	v_and_b32_e32 v9, s7, v9
	v_lshlrev_b32_e32 v8, 3, v8
	v_lshlrev_b32_e32 v16, 3, v9
	ds_read_b64 v[8:9], v8
	ds_read_b64 v[12:13], v12
	;; [unrolled: 1-line block ×4, first 2 shown]
	v_mov_b32_e32 v23, s15
	s_waitcnt lgkmcnt(3)
	v_add_co_u32_e64 v8, s[0:1], s14, v8
	v_addc_co_u32_e64 v9, s[0:1], v23, v9, s[0:1]
	v_add_co_u32_e64 v8, s[0:1], v8, v0
	v_addc_co_u32_e64 v9, s[0:1], v9, v1, s[0:1]
	global_store_byte v[8:9], v22, off
	v_mov_b32_e32 v8, s15
	s_waitcnt lgkmcnt(2)
	v_add_co_u32_e64 v9, s[0:1], s14, v12
	v_addc_co_u32_e64 v12, s[0:1], v8, v13, s[0:1]
	v_add_co_u32_e64 v8, s[0:1], v9, v0
	v_addc_co_u32_e64 v9, s[0:1], v12, v1, s[0:1]
	global_store_byte v[8:9], v20, off offset:512
	v_mov_b32_e32 v8, s15
	s_waitcnt lgkmcnt(1)
	v_add_co_u32_e64 v9, s[0:1], s14, v14
	v_addc_co_u32_e64 v12, s[0:1], v8, v15, s[0:1]
	v_add_co_u32_e64 v8, s[0:1], v9, v0
	v_addc_co_u32_e64 v9, s[0:1], v12, v1, s[0:1]
	global_store_byte v[8:9], v24, off offset:1024
	;; [unrolled: 7-line block ×3, first 2 shown]
	v_lshrrev_b32_sdwa v9, s16, v27 dst_sel:DWORD dst_unused:UNUSED_PAD src0_sel:DWORD src1_sel:BYTE_0
	v_and_b32_e32 v9, s7, v9
	v_lshlrev_b32_e32 v12, 3, v9
	v_lshrrev_b32_sdwa v9, s16, v28 dst_sel:DWORD dst_unused:UNUSED_PAD src0_sel:DWORD src1_sel:BYTE_0
	v_and_b32_e32 v9, s7, v9
	v_lshrrev_b32_sdwa v8, s16, v26 dst_sel:DWORD dst_unused:UNUSED_PAD src0_sel:DWORD src1_sel:BYTE_0
	v_lshlrev_b32_e32 v14, 3, v9
	v_lshrrev_b32_sdwa v9, s16, v29 dst_sel:DWORD dst_unused:UNUSED_PAD src0_sel:DWORD src1_sel:BYTE_0
	v_and_b32_e32 v8, s7, v8
	v_and_b32_e32 v9, s7, v9
	v_lshlrev_b32_e32 v8, 3, v8
	v_lshlrev_b32_e32 v16, 3, v9
	ds_read_b64 v[8:9], v8
	ds_read_b64 v[12:13], v12
	;; [unrolled: 1-line block ×4, first 2 shown]
	v_mov_b32_e32 v20, s15
	s_waitcnt lgkmcnt(3)
	v_add_co_u32_e64 v8, s[0:1], s14, v8
	v_addc_co_u32_e64 v9, s[0:1], v20, v9, s[0:1]
	v_add_co_u32_e64 v8, s[0:1], v8, v0
	v_addc_co_u32_e64 v9, s[0:1], v9, v1, s[0:1]
	global_store_byte v[8:9], v26, off offset:2048
	v_mov_b32_e32 v8, s15
	s_waitcnt lgkmcnt(2)
	v_add_co_u32_e64 v9, s[0:1], s14, v12
	v_addc_co_u32_e64 v12, s[0:1], v8, v13, s[0:1]
	v_add_co_u32_e64 v8, s[0:1], v9, v0
	v_addc_co_u32_e64 v9, s[0:1], v12, v1, s[0:1]
	global_store_byte v[8:9], v27, off offset:2560
	;; [unrolled: 7-line block ×4, first 2 shown]
	v_lshrrev_b32_sdwa v9, s16, v31 dst_sel:DWORD dst_unused:UNUSED_PAD src0_sel:DWORD src1_sel:BYTE_0
	v_and_b32_e32 v9, s7, v9
	v_lshlrev_b32_e32 v12, 3, v9
	ds_read_u8 v23, v0 offset:5248
	ds_read_u8 v24, v0 offset:5760
	;; [unrolled: 1-line block ×8, first 2 shown]
	s_waitcnt lgkmcnt(7)
	v_lshrrev_b32_sdwa v9, s16, v23 dst_sel:DWORD dst_unused:UNUSED_PAD src0_sel:DWORD src1_sel:BYTE_0
	v_and_b32_e32 v9, s7, v9
	v_lshrrev_b32_sdwa v8, s16, v30 dst_sel:DWORD dst_unused:UNUSED_PAD src0_sel:DWORD src1_sel:BYTE_0
	v_lshlrev_b32_e32 v14, 3, v9
	s_waitcnt lgkmcnt(6)
	v_lshrrev_b32_sdwa v9, s16, v24 dst_sel:DWORD dst_unused:UNUSED_PAD src0_sel:DWORD src1_sel:BYTE_0
	v_and_b32_e32 v8, s7, v8
	v_and_b32_e32 v9, s7, v9
	v_lshlrev_b32_e32 v8, 3, v8
	v_lshlrev_b32_e32 v16, 3, v9
	ds_read_b64 v[8:9], v8
	ds_read_b64 v[12:13], v12
	;; [unrolled: 1-line block ×4, first 2 shown]
	v_mov_b32_e32 v22, s15
	s_waitcnt lgkmcnt(3)
	v_add_co_u32_e64 v8, s[0:1], s14, v8
	v_or_b32_e32 v20, 0x1000, v0
	v_addc_co_u32_e64 v9, s[0:1], v22, v9, s[0:1]
	v_add_co_u32_e64 v8, s[0:1], v8, v20
	v_addc_co_u32_e64 v9, s[0:1], 0, v9, s[0:1]
	global_store_byte v[8:9], v30, off
	v_mov_b32_e32 v9, s15
	s_waitcnt lgkmcnt(2)
	v_add_co_u32_e64 v12, s[0:1], s14, v12
	v_or_b32_e32 v8, 0x1200, v0
	v_addc_co_u32_e64 v9, s[0:1], v9, v13, s[0:1]
	v_add_co_u32_e64 v8, s[0:1], v12, v8
	v_addc_co_u32_e64 v9, s[0:1], 0, v9, s[0:1]
	global_store_byte v[8:9], v31, off
	;; [unrolled: 8-line block ×4, first 2 shown]
	v_lshrrev_b32_sdwa v9, s16, v26 dst_sel:DWORD dst_unused:UNUSED_PAD src0_sel:DWORD src1_sel:BYTE_0
	v_and_b32_e32 v9, s7, v9
	v_lshlrev_b32_e32 v12, 3, v9
	v_lshrrev_b32_sdwa v9, s16, v27 dst_sel:DWORD dst_unused:UNUSED_PAD src0_sel:DWORD src1_sel:BYTE_0
	v_and_b32_e32 v9, s7, v9
	v_lshrrev_b32_sdwa v8, s16, v25 dst_sel:DWORD dst_unused:UNUSED_PAD src0_sel:DWORD src1_sel:BYTE_0
	v_lshlrev_b32_e32 v14, 3, v9
	v_lshrrev_b32_sdwa v9, s16, v28 dst_sel:DWORD dst_unused:UNUSED_PAD src0_sel:DWORD src1_sel:BYTE_0
	v_and_b32_e32 v8, s7, v8
	v_and_b32_e32 v9, s7, v9
	v_lshlrev_b32_e32 v8, 3, v8
	v_lshlrev_b32_e32 v16, 3, v9
	ds_read_b64 v[8:9], v8
	ds_read_b64 v[12:13], v12
	ds_read_b64 v[14:15], v14
	ds_read_b64 v[16:17], v16
	v_or_b32_e32 v20, 0x1800, v0
	s_waitcnt lgkmcnt(3)
	v_add_co_u32_e64 v8, s[0:1], s14, v8
	v_addc_co_u32_e64 v9, s[0:1], v22, v9, s[0:1]
	v_add_co_u32_e64 v8, s[0:1], v8, v20
	v_addc_co_u32_e64 v9, s[0:1], 0, v9, s[0:1]
	global_store_byte v[8:9], v25, off
	v_mov_b32_e32 v9, s15
	s_waitcnt lgkmcnt(2)
	v_add_co_u32_e64 v12, s[0:1], s14, v12
	v_or_b32_e32 v8, 0x1a00, v0
	v_addc_co_u32_e64 v9, s[0:1], v9, v13, s[0:1]
	v_add_co_u32_e64 v8, s[0:1], v12, v8
	v_addc_co_u32_e64 v9, s[0:1], 0, v9, s[0:1]
	global_store_byte v[8:9], v26, off
	v_mov_b32_e32 v9, s15
	s_waitcnt lgkmcnt(1)
	v_add_co_u32_e64 v12, s[0:1], s14, v14
	v_or_b32_e32 v8, 0x1c00, v0
	v_addc_co_u32_e64 v9, s[0:1], v9, v15, s[0:1]
	v_add_co_u32_e64 v8, s[0:1], v12, v8
	v_addc_co_u32_e64 v9, s[0:1], 0, v9, s[0:1]
	global_store_byte v[8:9], v27, off
	v_mov_b32_e32 v9, s15
	s_waitcnt lgkmcnt(0)
	v_add_co_u32_e64 v12, s[0:1], s14, v16
	v_or_b32_e32 v8, 0x1e00, v0
	v_addc_co_u32_e64 v9, s[0:1], v9, v17, s[0:1]
	v_add_co_u32_e64 v8, s[0:1], v12, v8
	v_addc_co_u32_e64 v9, s[0:1], 0, v9, s[0:1]
	global_store_byte v[8:9], v28, off
	v_lshrrev_b32_sdwa v9, s16, v32 dst_sel:DWORD dst_unused:UNUSED_PAD src0_sel:DWORD src1_sel:BYTE_0
	v_and_b32_e32 v9, s7, v9
	v_lshlrev_b32_e32 v12, 3, v9
	v_lshrrev_b32_sdwa v9, s16, v18 dst_sel:DWORD dst_unused:UNUSED_PAD src0_sel:DWORD src1_sel:BYTE_0
	v_and_b32_e32 v9, s7, v9
	v_lshrrev_b32_sdwa v8, s16, v29 dst_sel:DWORD dst_unused:UNUSED_PAD src0_sel:DWORD src1_sel:BYTE_0
	v_lshlrev_b32_e32 v14, 3, v9
	v_lshrrev_b32_sdwa v9, s16, v19 dst_sel:DWORD dst_unused:UNUSED_PAD src0_sel:DWORD src1_sel:BYTE_0
	v_and_b32_e32 v8, s7, v8
	v_and_b32_e32 v9, s7, v9
	v_lshlrev_b32_e32 v8, 3, v8
	v_lshlrev_b32_e32 v16, 3, v9
	ds_read_b64 v[8:9], v8
	ds_read_b64 v[12:13], v12
	;; [unrolled: 1-line block ×4, first 2 shown]
	v_or_b32_e32 v20, 0x2000, v0
	s_waitcnt lgkmcnt(3)
	v_add_co_u32_e64 v8, s[0:1], s14, v8
	v_addc_co_u32_e64 v9, s[0:1], v22, v9, s[0:1]
	v_add_co_u32_e64 v8, s[0:1], v8, v20
	v_addc_co_u32_e64 v9, s[0:1], 0, v9, s[0:1]
	global_store_byte v[8:9], v29, off
	v_mov_b32_e32 v9, s15
	s_waitcnt lgkmcnt(2)
	v_add_co_u32_e64 v12, s[0:1], s14, v12
	v_or_b32_e32 v8, 0x2200, v0
	v_addc_co_u32_e64 v9, s[0:1], v9, v13, s[0:1]
	v_add_co_u32_e64 v8, s[0:1], v12, v8
	v_addc_co_u32_e64 v9, s[0:1], 0, v9, s[0:1]
	global_store_byte v[8:9], v32, off
	v_mov_b32_e32 v9, s15
	s_waitcnt lgkmcnt(1)
	v_add_co_u32_e64 v12, s[0:1], s14, v14
	v_or_b32_e32 v8, 0x2400, v0
	;; [unrolled: 8-line block ×3, first 2 shown]
	v_addc_co_u32_e64 v9, s[0:1], v9, v17, s[0:1]
	v_add_co_u32_e64 v8, s[0:1], v12, v8
	v_addc_co_u32_e64 v9, s[0:1], 0, v9, s[0:1]
	global_store_byte v[8:9], v19, off
	v_mov_b32_e32 v9, s15
	v_add_co_u32_e64 v2, s[0:1], s14, v2
	v_or_b32_e32 v8, 0x2800, v0
	v_addc_co_u32_e64 v3, s[0:1], v9, v3, s[0:1]
	v_add_co_u32_e64 v2, s[0:1], v2, v8
	v_addc_co_u32_e64 v3, s[0:1], 0, v3, s[0:1]
	global_store_byte v[2:3], v10, off
	v_mov_b32_e32 v3, s15
	v_add_co_u32_e64 v4, s[0:1], s14, v4
	v_or_b32_e32 v2, 0x2a00, v0
	v_addc_co_u32_e64 v3, s[0:1], v3, v5, s[0:1]
	v_add_co_u32_e64 v2, s[0:1], v4, v2
	v_addc_co_u32_e64 v3, s[0:1], 0, v3, s[0:1]
	global_store_byte v[2:3], v21, off
	s_load_dword s0, s[4:5], 0x58
                                        ; implicit-def: $vgpr4_vgpr5
	s_waitcnt lgkmcnt(0)
	s_add_i32 s0, s0, -1
	s_cmp_eq_u32 s0, s6
	s_cselect_b64 s[0:1], -1, 0
	s_and_b64 s[2:3], vcc, s[0:1]
	s_and_saveexec_b64 s[0:1], s[2:3]
; %bb.152:
	v_add_co_u32_e32 v4, vcc, v6, v11
	v_addc_co_u32_e32 v5, vcc, 0, v7, vcc
	s_or_b64 s[18:19], s[18:19], exec
; %bb.153:
	s_or_b64 exec, exec, s[0:1]
.LBB333_154:
	s_and_saveexec_b64 s[0:1], s[18:19]
	s_cbranch_execnz .LBB333_156
; %bb.155:
	s_endpgm
.LBB333_156:
	v_lshlrev_b32_e32 v2, 3, v0
	ds_read_b64 v[2:3], v2
	v_lshlrev_b64 v[0:1], 3, v[0:1]
	v_mov_b32_e32 v6, s11
	v_add_co_u32_e32 v0, vcc, s10, v0
	v_addc_co_u32_e32 v1, vcc, v6, v1, vcc
	s_waitcnt lgkmcnt(0)
	v_add_co_u32_e32 v2, vcc, v2, v4
	v_addc_co_u32_e32 v3, vcc, v3, v5, vcc
	global_store_dwordx2 v[0:1], v[2:3], off
	s_endpgm
	.section	.rodata,"a",@progbits
	.p2align	6, 0x0
	.amdhsa_kernel _ZN7rocprim17ROCPRIM_400000_NS6detail17trampoline_kernelINS0_14default_configENS1_35radix_sort_onesweep_config_selectorIhNS0_10empty_typeEEEZZNS1_29radix_sort_onesweep_iterationIS3_Lb0EPhS8_PS5_S9_mNS0_19identity_decomposerENS1_16block_id_wrapperIjLb0EEEEE10hipError_tT1_PNSt15iterator_traitsISE_E10value_typeET2_T3_PNSF_ISK_E10value_typeET4_T5_PSP_SQ_PNS1_23onesweep_lookback_stateEbbT6_jjT7_P12ihipStream_tbENKUlT_T0_SE_SJ_E_clIS8_S8_S9_S9_EEDaSX_SY_SE_SJ_EUlSX_E_NS1_11comp_targetILNS1_3genE4ELNS1_11target_archE910ELNS1_3gpuE8ELNS1_3repE0EEENS1_47radix_sort_onesweep_sort_config_static_selectorELNS0_4arch9wavefront6targetE1EEEvSE_
		.amdhsa_group_segment_fixed_size 16424
		.amdhsa_private_segment_fixed_size 0
		.amdhsa_kernarg_size 344
		.amdhsa_user_sgpr_count 6
		.amdhsa_user_sgpr_private_segment_buffer 1
		.amdhsa_user_sgpr_dispatch_ptr 0
		.amdhsa_user_sgpr_queue_ptr 0
		.amdhsa_user_sgpr_kernarg_segment_ptr 1
		.amdhsa_user_sgpr_dispatch_id 0
		.amdhsa_user_sgpr_flat_scratch_init 0
		.amdhsa_user_sgpr_kernarg_preload_length 0
		.amdhsa_user_sgpr_kernarg_preload_offset 0
		.amdhsa_user_sgpr_private_segment_size 0
		.amdhsa_uses_dynamic_stack 0
		.amdhsa_system_sgpr_private_segment_wavefront_offset 0
		.amdhsa_system_sgpr_workgroup_id_x 1
		.amdhsa_system_sgpr_workgroup_id_y 0
		.amdhsa_system_sgpr_workgroup_id_z 0
		.amdhsa_system_sgpr_workgroup_info 0
		.amdhsa_system_vgpr_workitem_id 0
		.amdhsa_next_free_vgpr 79
		.amdhsa_next_free_sgpr 30
		.amdhsa_accum_offset 80
		.amdhsa_reserve_vcc 1
		.amdhsa_reserve_flat_scratch 0
		.amdhsa_float_round_mode_32 0
		.amdhsa_float_round_mode_16_64 0
		.amdhsa_float_denorm_mode_32 3
		.amdhsa_float_denorm_mode_16_64 3
		.amdhsa_dx10_clamp 1
		.amdhsa_ieee_mode 1
		.amdhsa_fp16_overflow 0
		.amdhsa_tg_split 0
		.amdhsa_exception_fp_ieee_invalid_op 0
		.amdhsa_exception_fp_denorm_src 0
		.amdhsa_exception_fp_ieee_div_zero 0
		.amdhsa_exception_fp_ieee_overflow 0
		.amdhsa_exception_fp_ieee_underflow 0
		.amdhsa_exception_fp_ieee_inexact 0
		.amdhsa_exception_int_div_zero 0
	.end_amdhsa_kernel
	.section	.text._ZN7rocprim17ROCPRIM_400000_NS6detail17trampoline_kernelINS0_14default_configENS1_35radix_sort_onesweep_config_selectorIhNS0_10empty_typeEEEZZNS1_29radix_sort_onesweep_iterationIS3_Lb0EPhS8_PS5_S9_mNS0_19identity_decomposerENS1_16block_id_wrapperIjLb0EEEEE10hipError_tT1_PNSt15iterator_traitsISE_E10value_typeET2_T3_PNSF_ISK_E10value_typeET4_T5_PSP_SQ_PNS1_23onesweep_lookback_stateEbbT6_jjT7_P12ihipStream_tbENKUlT_T0_SE_SJ_E_clIS8_S8_S9_S9_EEDaSX_SY_SE_SJ_EUlSX_E_NS1_11comp_targetILNS1_3genE4ELNS1_11target_archE910ELNS1_3gpuE8ELNS1_3repE0EEENS1_47radix_sort_onesweep_sort_config_static_selectorELNS0_4arch9wavefront6targetE1EEEvSE_,"axG",@progbits,_ZN7rocprim17ROCPRIM_400000_NS6detail17trampoline_kernelINS0_14default_configENS1_35radix_sort_onesweep_config_selectorIhNS0_10empty_typeEEEZZNS1_29radix_sort_onesweep_iterationIS3_Lb0EPhS8_PS5_S9_mNS0_19identity_decomposerENS1_16block_id_wrapperIjLb0EEEEE10hipError_tT1_PNSt15iterator_traitsISE_E10value_typeET2_T3_PNSF_ISK_E10value_typeET4_T5_PSP_SQ_PNS1_23onesweep_lookback_stateEbbT6_jjT7_P12ihipStream_tbENKUlT_T0_SE_SJ_E_clIS8_S8_S9_S9_EEDaSX_SY_SE_SJ_EUlSX_E_NS1_11comp_targetILNS1_3genE4ELNS1_11target_archE910ELNS1_3gpuE8ELNS1_3repE0EEENS1_47radix_sort_onesweep_sort_config_static_selectorELNS0_4arch9wavefront6targetE1EEEvSE_,comdat
.Lfunc_end333:
	.size	_ZN7rocprim17ROCPRIM_400000_NS6detail17trampoline_kernelINS0_14default_configENS1_35radix_sort_onesweep_config_selectorIhNS0_10empty_typeEEEZZNS1_29radix_sort_onesweep_iterationIS3_Lb0EPhS8_PS5_S9_mNS0_19identity_decomposerENS1_16block_id_wrapperIjLb0EEEEE10hipError_tT1_PNSt15iterator_traitsISE_E10value_typeET2_T3_PNSF_ISK_E10value_typeET4_T5_PSP_SQ_PNS1_23onesweep_lookback_stateEbbT6_jjT7_P12ihipStream_tbENKUlT_T0_SE_SJ_E_clIS8_S8_S9_S9_EEDaSX_SY_SE_SJ_EUlSX_E_NS1_11comp_targetILNS1_3genE4ELNS1_11target_archE910ELNS1_3gpuE8ELNS1_3repE0EEENS1_47radix_sort_onesweep_sort_config_static_selectorELNS0_4arch9wavefront6targetE1EEEvSE_, .Lfunc_end333-_ZN7rocprim17ROCPRIM_400000_NS6detail17trampoline_kernelINS0_14default_configENS1_35radix_sort_onesweep_config_selectorIhNS0_10empty_typeEEEZZNS1_29radix_sort_onesweep_iterationIS3_Lb0EPhS8_PS5_S9_mNS0_19identity_decomposerENS1_16block_id_wrapperIjLb0EEEEE10hipError_tT1_PNSt15iterator_traitsISE_E10value_typeET2_T3_PNSF_ISK_E10value_typeET4_T5_PSP_SQ_PNS1_23onesweep_lookback_stateEbbT6_jjT7_P12ihipStream_tbENKUlT_T0_SE_SJ_E_clIS8_S8_S9_S9_EEDaSX_SY_SE_SJ_EUlSX_E_NS1_11comp_targetILNS1_3genE4ELNS1_11target_archE910ELNS1_3gpuE8ELNS1_3repE0EEENS1_47radix_sort_onesweep_sort_config_static_selectorELNS0_4arch9wavefront6targetE1EEEvSE_
                                        ; -- End function
	.section	.AMDGPU.csdata,"",@progbits
; Kernel info:
; codeLenInByte = 12076
; NumSgprs: 34
; NumVgprs: 79
; NumAgprs: 0
; TotalNumVgprs: 79
; ScratchSize: 0
; MemoryBound: 0
; FloatMode: 240
; IeeeMode: 1
; LDSByteSize: 16424 bytes/workgroup (compile time only)
; SGPRBlocks: 4
; VGPRBlocks: 9
; NumSGPRsForWavesPerEU: 34
; NumVGPRsForWavesPerEU: 79
; AccumOffset: 80
; Occupancy: 6
; WaveLimiterHint : 0
; COMPUTE_PGM_RSRC2:SCRATCH_EN: 0
; COMPUTE_PGM_RSRC2:USER_SGPR: 6
; COMPUTE_PGM_RSRC2:TRAP_HANDLER: 0
; COMPUTE_PGM_RSRC2:TGID_X_EN: 1
; COMPUTE_PGM_RSRC2:TGID_Y_EN: 0
; COMPUTE_PGM_RSRC2:TGID_Z_EN: 0
; COMPUTE_PGM_RSRC2:TIDIG_COMP_CNT: 0
; COMPUTE_PGM_RSRC3_GFX90A:ACCUM_OFFSET: 19
; COMPUTE_PGM_RSRC3_GFX90A:TG_SPLIT: 0
	.section	.text._ZN7rocprim17ROCPRIM_400000_NS6detail17trampoline_kernelINS0_14default_configENS1_35radix_sort_onesweep_config_selectorIhNS0_10empty_typeEEEZZNS1_29radix_sort_onesweep_iterationIS3_Lb0EPhS8_PS5_S9_mNS0_19identity_decomposerENS1_16block_id_wrapperIjLb0EEEEE10hipError_tT1_PNSt15iterator_traitsISE_E10value_typeET2_T3_PNSF_ISK_E10value_typeET4_T5_PSP_SQ_PNS1_23onesweep_lookback_stateEbbT6_jjT7_P12ihipStream_tbENKUlT_T0_SE_SJ_E_clIS8_S8_S9_S9_EEDaSX_SY_SE_SJ_EUlSX_E_NS1_11comp_targetILNS1_3genE3ELNS1_11target_archE908ELNS1_3gpuE7ELNS1_3repE0EEENS1_47radix_sort_onesweep_sort_config_static_selectorELNS0_4arch9wavefront6targetE1EEEvSE_,"axG",@progbits,_ZN7rocprim17ROCPRIM_400000_NS6detail17trampoline_kernelINS0_14default_configENS1_35radix_sort_onesweep_config_selectorIhNS0_10empty_typeEEEZZNS1_29radix_sort_onesweep_iterationIS3_Lb0EPhS8_PS5_S9_mNS0_19identity_decomposerENS1_16block_id_wrapperIjLb0EEEEE10hipError_tT1_PNSt15iterator_traitsISE_E10value_typeET2_T3_PNSF_ISK_E10value_typeET4_T5_PSP_SQ_PNS1_23onesweep_lookback_stateEbbT6_jjT7_P12ihipStream_tbENKUlT_T0_SE_SJ_E_clIS8_S8_S9_S9_EEDaSX_SY_SE_SJ_EUlSX_E_NS1_11comp_targetILNS1_3genE3ELNS1_11target_archE908ELNS1_3gpuE7ELNS1_3repE0EEENS1_47radix_sort_onesweep_sort_config_static_selectorELNS0_4arch9wavefront6targetE1EEEvSE_,comdat
	.protected	_ZN7rocprim17ROCPRIM_400000_NS6detail17trampoline_kernelINS0_14default_configENS1_35radix_sort_onesweep_config_selectorIhNS0_10empty_typeEEEZZNS1_29radix_sort_onesweep_iterationIS3_Lb0EPhS8_PS5_S9_mNS0_19identity_decomposerENS1_16block_id_wrapperIjLb0EEEEE10hipError_tT1_PNSt15iterator_traitsISE_E10value_typeET2_T3_PNSF_ISK_E10value_typeET4_T5_PSP_SQ_PNS1_23onesweep_lookback_stateEbbT6_jjT7_P12ihipStream_tbENKUlT_T0_SE_SJ_E_clIS8_S8_S9_S9_EEDaSX_SY_SE_SJ_EUlSX_E_NS1_11comp_targetILNS1_3genE3ELNS1_11target_archE908ELNS1_3gpuE7ELNS1_3repE0EEENS1_47radix_sort_onesweep_sort_config_static_selectorELNS0_4arch9wavefront6targetE1EEEvSE_ ; -- Begin function _ZN7rocprim17ROCPRIM_400000_NS6detail17trampoline_kernelINS0_14default_configENS1_35radix_sort_onesweep_config_selectorIhNS0_10empty_typeEEEZZNS1_29radix_sort_onesweep_iterationIS3_Lb0EPhS8_PS5_S9_mNS0_19identity_decomposerENS1_16block_id_wrapperIjLb0EEEEE10hipError_tT1_PNSt15iterator_traitsISE_E10value_typeET2_T3_PNSF_ISK_E10value_typeET4_T5_PSP_SQ_PNS1_23onesweep_lookback_stateEbbT6_jjT7_P12ihipStream_tbENKUlT_T0_SE_SJ_E_clIS8_S8_S9_S9_EEDaSX_SY_SE_SJ_EUlSX_E_NS1_11comp_targetILNS1_3genE3ELNS1_11target_archE908ELNS1_3gpuE7ELNS1_3repE0EEENS1_47radix_sort_onesweep_sort_config_static_selectorELNS0_4arch9wavefront6targetE1EEEvSE_
	.globl	_ZN7rocprim17ROCPRIM_400000_NS6detail17trampoline_kernelINS0_14default_configENS1_35radix_sort_onesweep_config_selectorIhNS0_10empty_typeEEEZZNS1_29radix_sort_onesweep_iterationIS3_Lb0EPhS8_PS5_S9_mNS0_19identity_decomposerENS1_16block_id_wrapperIjLb0EEEEE10hipError_tT1_PNSt15iterator_traitsISE_E10value_typeET2_T3_PNSF_ISK_E10value_typeET4_T5_PSP_SQ_PNS1_23onesweep_lookback_stateEbbT6_jjT7_P12ihipStream_tbENKUlT_T0_SE_SJ_E_clIS8_S8_S9_S9_EEDaSX_SY_SE_SJ_EUlSX_E_NS1_11comp_targetILNS1_3genE3ELNS1_11target_archE908ELNS1_3gpuE7ELNS1_3repE0EEENS1_47radix_sort_onesweep_sort_config_static_selectorELNS0_4arch9wavefront6targetE1EEEvSE_
	.p2align	8
	.type	_ZN7rocprim17ROCPRIM_400000_NS6detail17trampoline_kernelINS0_14default_configENS1_35radix_sort_onesweep_config_selectorIhNS0_10empty_typeEEEZZNS1_29radix_sort_onesweep_iterationIS3_Lb0EPhS8_PS5_S9_mNS0_19identity_decomposerENS1_16block_id_wrapperIjLb0EEEEE10hipError_tT1_PNSt15iterator_traitsISE_E10value_typeET2_T3_PNSF_ISK_E10value_typeET4_T5_PSP_SQ_PNS1_23onesweep_lookback_stateEbbT6_jjT7_P12ihipStream_tbENKUlT_T0_SE_SJ_E_clIS8_S8_S9_S9_EEDaSX_SY_SE_SJ_EUlSX_E_NS1_11comp_targetILNS1_3genE3ELNS1_11target_archE908ELNS1_3gpuE7ELNS1_3repE0EEENS1_47radix_sort_onesweep_sort_config_static_selectorELNS0_4arch9wavefront6targetE1EEEvSE_,@function
_ZN7rocprim17ROCPRIM_400000_NS6detail17trampoline_kernelINS0_14default_configENS1_35radix_sort_onesweep_config_selectorIhNS0_10empty_typeEEEZZNS1_29radix_sort_onesweep_iterationIS3_Lb0EPhS8_PS5_S9_mNS0_19identity_decomposerENS1_16block_id_wrapperIjLb0EEEEE10hipError_tT1_PNSt15iterator_traitsISE_E10value_typeET2_T3_PNSF_ISK_E10value_typeET4_T5_PSP_SQ_PNS1_23onesweep_lookback_stateEbbT6_jjT7_P12ihipStream_tbENKUlT_T0_SE_SJ_E_clIS8_S8_S9_S9_EEDaSX_SY_SE_SJ_EUlSX_E_NS1_11comp_targetILNS1_3genE3ELNS1_11target_archE908ELNS1_3gpuE7ELNS1_3repE0EEENS1_47radix_sort_onesweep_sort_config_static_selectorELNS0_4arch9wavefront6targetE1EEEvSE_: ; @_ZN7rocprim17ROCPRIM_400000_NS6detail17trampoline_kernelINS0_14default_configENS1_35radix_sort_onesweep_config_selectorIhNS0_10empty_typeEEEZZNS1_29radix_sort_onesweep_iterationIS3_Lb0EPhS8_PS5_S9_mNS0_19identity_decomposerENS1_16block_id_wrapperIjLb0EEEEE10hipError_tT1_PNSt15iterator_traitsISE_E10value_typeET2_T3_PNSF_ISK_E10value_typeET4_T5_PSP_SQ_PNS1_23onesweep_lookback_stateEbbT6_jjT7_P12ihipStream_tbENKUlT_T0_SE_SJ_E_clIS8_S8_S9_S9_EEDaSX_SY_SE_SJ_EUlSX_E_NS1_11comp_targetILNS1_3genE3ELNS1_11target_archE908ELNS1_3gpuE7ELNS1_3repE0EEENS1_47radix_sort_onesweep_sort_config_static_selectorELNS0_4arch9wavefront6targetE1EEEvSE_
; %bb.0:
	.section	.rodata,"a",@progbits
	.p2align	6, 0x0
	.amdhsa_kernel _ZN7rocprim17ROCPRIM_400000_NS6detail17trampoline_kernelINS0_14default_configENS1_35radix_sort_onesweep_config_selectorIhNS0_10empty_typeEEEZZNS1_29radix_sort_onesweep_iterationIS3_Lb0EPhS8_PS5_S9_mNS0_19identity_decomposerENS1_16block_id_wrapperIjLb0EEEEE10hipError_tT1_PNSt15iterator_traitsISE_E10value_typeET2_T3_PNSF_ISK_E10value_typeET4_T5_PSP_SQ_PNS1_23onesweep_lookback_stateEbbT6_jjT7_P12ihipStream_tbENKUlT_T0_SE_SJ_E_clIS8_S8_S9_S9_EEDaSX_SY_SE_SJ_EUlSX_E_NS1_11comp_targetILNS1_3genE3ELNS1_11target_archE908ELNS1_3gpuE7ELNS1_3repE0EEENS1_47radix_sort_onesweep_sort_config_static_selectorELNS0_4arch9wavefront6targetE1EEEvSE_
		.amdhsa_group_segment_fixed_size 0
		.amdhsa_private_segment_fixed_size 0
		.amdhsa_kernarg_size 88
		.amdhsa_user_sgpr_count 6
		.amdhsa_user_sgpr_private_segment_buffer 1
		.amdhsa_user_sgpr_dispatch_ptr 0
		.amdhsa_user_sgpr_queue_ptr 0
		.amdhsa_user_sgpr_kernarg_segment_ptr 1
		.amdhsa_user_sgpr_dispatch_id 0
		.amdhsa_user_sgpr_flat_scratch_init 0
		.amdhsa_user_sgpr_kernarg_preload_length 0
		.amdhsa_user_sgpr_kernarg_preload_offset 0
		.amdhsa_user_sgpr_private_segment_size 0
		.amdhsa_uses_dynamic_stack 0
		.amdhsa_system_sgpr_private_segment_wavefront_offset 0
		.amdhsa_system_sgpr_workgroup_id_x 1
		.amdhsa_system_sgpr_workgroup_id_y 0
		.amdhsa_system_sgpr_workgroup_id_z 0
		.amdhsa_system_sgpr_workgroup_info 0
		.amdhsa_system_vgpr_workitem_id 0
		.amdhsa_next_free_vgpr 1
		.amdhsa_next_free_sgpr 0
		.amdhsa_accum_offset 4
		.amdhsa_reserve_vcc 0
		.amdhsa_reserve_flat_scratch 0
		.amdhsa_float_round_mode_32 0
		.amdhsa_float_round_mode_16_64 0
		.amdhsa_float_denorm_mode_32 3
		.amdhsa_float_denorm_mode_16_64 3
		.amdhsa_dx10_clamp 1
		.amdhsa_ieee_mode 1
		.amdhsa_fp16_overflow 0
		.amdhsa_tg_split 0
		.amdhsa_exception_fp_ieee_invalid_op 0
		.amdhsa_exception_fp_denorm_src 0
		.amdhsa_exception_fp_ieee_div_zero 0
		.amdhsa_exception_fp_ieee_overflow 0
		.amdhsa_exception_fp_ieee_underflow 0
		.amdhsa_exception_fp_ieee_inexact 0
		.amdhsa_exception_int_div_zero 0
	.end_amdhsa_kernel
	.section	.text._ZN7rocprim17ROCPRIM_400000_NS6detail17trampoline_kernelINS0_14default_configENS1_35radix_sort_onesweep_config_selectorIhNS0_10empty_typeEEEZZNS1_29radix_sort_onesweep_iterationIS3_Lb0EPhS8_PS5_S9_mNS0_19identity_decomposerENS1_16block_id_wrapperIjLb0EEEEE10hipError_tT1_PNSt15iterator_traitsISE_E10value_typeET2_T3_PNSF_ISK_E10value_typeET4_T5_PSP_SQ_PNS1_23onesweep_lookback_stateEbbT6_jjT7_P12ihipStream_tbENKUlT_T0_SE_SJ_E_clIS8_S8_S9_S9_EEDaSX_SY_SE_SJ_EUlSX_E_NS1_11comp_targetILNS1_3genE3ELNS1_11target_archE908ELNS1_3gpuE7ELNS1_3repE0EEENS1_47radix_sort_onesweep_sort_config_static_selectorELNS0_4arch9wavefront6targetE1EEEvSE_,"axG",@progbits,_ZN7rocprim17ROCPRIM_400000_NS6detail17trampoline_kernelINS0_14default_configENS1_35radix_sort_onesweep_config_selectorIhNS0_10empty_typeEEEZZNS1_29radix_sort_onesweep_iterationIS3_Lb0EPhS8_PS5_S9_mNS0_19identity_decomposerENS1_16block_id_wrapperIjLb0EEEEE10hipError_tT1_PNSt15iterator_traitsISE_E10value_typeET2_T3_PNSF_ISK_E10value_typeET4_T5_PSP_SQ_PNS1_23onesweep_lookback_stateEbbT6_jjT7_P12ihipStream_tbENKUlT_T0_SE_SJ_E_clIS8_S8_S9_S9_EEDaSX_SY_SE_SJ_EUlSX_E_NS1_11comp_targetILNS1_3genE3ELNS1_11target_archE908ELNS1_3gpuE7ELNS1_3repE0EEENS1_47radix_sort_onesweep_sort_config_static_selectorELNS0_4arch9wavefront6targetE1EEEvSE_,comdat
.Lfunc_end334:
	.size	_ZN7rocprim17ROCPRIM_400000_NS6detail17trampoline_kernelINS0_14default_configENS1_35radix_sort_onesweep_config_selectorIhNS0_10empty_typeEEEZZNS1_29radix_sort_onesweep_iterationIS3_Lb0EPhS8_PS5_S9_mNS0_19identity_decomposerENS1_16block_id_wrapperIjLb0EEEEE10hipError_tT1_PNSt15iterator_traitsISE_E10value_typeET2_T3_PNSF_ISK_E10value_typeET4_T5_PSP_SQ_PNS1_23onesweep_lookback_stateEbbT6_jjT7_P12ihipStream_tbENKUlT_T0_SE_SJ_E_clIS8_S8_S9_S9_EEDaSX_SY_SE_SJ_EUlSX_E_NS1_11comp_targetILNS1_3genE3ELNS1_11target_archE908ELNS1_3gpuE7ELNS1_3repE0EEENS1_47radix_sort_onesweep_sort_config_static_selectorELNS0_4arch9wavefront6targetE1EEEvSE_, .Lfunc_end334-_ZN7rocprim17ROCPRIM_400000_NS6detail17trampoline_kernelINS0_14default_configENS1_35radix_sort_onesweep_config_selectorIhNS0_10empty_typeEEEZZNS1_29radix_sort_onesweep_iterationIS3_Lb0EPhS8_PS5_S9_mNS0_19identity_decomposerENS1_16block_id_wrapperIjLb0EEEEE10hipError_tT1_PNSt15iterator_traitsISE_E10value_typeET2_T3_PNSF_ISK_E10value_typeET4_T5_PSP_SQ_PNS1_23onesweep_lookback_stateEbbT6_jjT7_P12ihipStream_tbENKUlT_T0_SE_SJ_E_clIS8_S8_S9_S9_EEDaSX_SY_SE_SJ_EUlSX_E_NS1_11comp_targetILNS1_3genE3ELNS1_11target_archE908ELNS1_3gpuE7ELNS1_3repE0EEENS1_47radix_sort_onesweep_sort_config_static_selectorELNS0_4arch9wavefront6targetE1EEEvSE_
                                        ; -- End function
	.section	.AMDGPU.csdata,"",@progbits
; Kernel info:
; codeLenInByte = 0
; NumSgprs: 4
; NumVgprs: 0
; NumAgprs: 0
; TotalNumVgprs: 0
; ScratchSize: 0
; MemoryBound: 0
; FloatMode: 240
; IeeeMode: 1
; LDSByteSize: 0 bytes/workgroup (compile time only)
; SGPRBlocks: 0
; VGPRBlocks: 0
; NumSGPRsForWavesPerEU: 4
; NumVGPRsForWavesPerEU: 1
; AccumOffset: 4
; Occupancy: 8
; WaveLimiterHint : 0
; COMPUTE_PGM_RSRC2:SCRATCH_EN: 0
; COMPUTE_PGM_RSRC2:USER_SGPR: 6
; COMPUTE_PGM_RSRC2:TRAP_HANDLER: 0
; COMPUTE_PGM_RSRC2:TGID_X_EN: 1
; COMPUTE_PGM_RSRC2:TGID_Y_EN: 0
; COMPUTE_PGM_RSRC2:TGID_Z_EN: 0
; COMPUTE_PGM_RSRC2:TIDIG_COMP_CNT: 0
; COMPUTE_PGM_RSRC3_GFX90A:ACCUM_OFFSET: 0
; COMPUTE_PGM_RSRC3_GFX90A:TG_SPLIT: 0
	.section	.text._ZN7rocprim17ROCPRIM_400000_NS6detail17trampoline_kernelINS0_14default_configENS1_35radix_sort_onesweep_config_selectorIhNS0_10empty_typeEEEZZNS1_29radix_sort_onesweep_iterationIS3_Lb0EPhS8_PS5_S9_mNS0_19identity_decomposerENS1_16block_id_wrapperIjLb0EEEEE10hipError_tT1_PNSt15iterator_traitsISE_E10value_typeET2_T3_PNSF_ISK_E10value_typeET4_T5_PSP_SQ_PNS1_23onesweep_lookback_stateEbbT6_jjT7_P12ihipStream_tbENKUlT_T0_SE_SJ_E_clIS8_S8_S9_S9_EEDaSX_SY_SE_SJ_EUlSX_E_NS1_11comp_targetILNS1_3genE10ELNS1_11target_archE1201ELNS1_3gpuE5ELNS1_3repE0EEENS1_47radix_sort_onesweep_sort_config_static_selectorELNS0_4arch9wavefront6targetE1EEEvSE_,"axG",@progbits,_ZN7rocprim17ROCPRIM_400000_NS6detail17trampoline_kernelINS0_14default_configENS1_35radix_sort_onesweep_config_selectorIhNS0_10empty_typeEEEZZNS1_29radix_sort_onesweep_iterationIS3_Lb0EPhS8_PS5_S9_mNS0_19identity_decomposerENS1_16block_id_wrapperIjLb0EEEEE10hipError_tT1_PNSt15iterator_traitsISE_E10value_typeET2_T3_PNSF_ISK_E10value_typeET4_T5_PSP_SQ_PNS1_23onesweep_lookback_stateEbbT6_jjT7_P12ihipStream_tbENKUlT_T0_SE_SJ_E_clIS8_S8_S9_S9_EEDaSX_SY_SE_SJ_EUlSX_E_NS1_11comp_targetILNS1_3genE10ELNS1_11target_archE1201ELNS1_3gpuE5ELNS1_3repE0EEENS1_47radix_sort_onesweep_sort_config_static_selectorELNS0_4arch9wavefront6targetE1EEEvSE_,comdat
	.protected	_ZN7rocprim17ROCPRIM_400000_NS6detail17trampoline_kernelINS0_14default_configENS1_35radix_sort_onesweep_config_selectorIhNS0_10empty_typeEEEZZNS1_29radix_sort_onesweep_iterationIS3_Lb0EPhS8_PS5_S9_mNS0_19identity_decomposerENS1_16block_id_wrapperIjLb0EEEEE10hipError_tT1_PNSt15iterator_traitsISE_E10value_typeET2_T3_PNSF_ISK_E10value_typeET4_T5_PSP_SQ_PNS1_23onesweep_lookback_stateEbbT6_jjT7_P12ihipStream_tbENKUlT_T0_SE_SJ_E_clIS8_S8_S9_S9_EEDaSX_SY_SE_SJ_EUlSX_E_NS1_11comp_targetILNS1_3genE10ELNS1_11target_archE1201ELNS1_3gpuE5ELNS1_3repE0EEENS1_47radix_sort_onesweep_sort_config_static_selectorELNS0_4arch9wavefront6targetE1EEEvSE_ ; -- Begin function _ZN7rocprim17ROCPRIM_400000_NS6detail17trampoline_kernelINS0_14default_configENS1_35radix_sort_onesweep_config_selectorIhNS0_10empty_typeEEEZZNS1_29radix_sort_onesweep_iterationIS3_Lb0EPhS8_PS5_S9_mNS0_19identity_decomposerENS1_16block_id_wrapperIjLb0EEEEE10hipError_tT1_PNSt15iterator_traitsISE_E10value_typeET2_T3_PNSF_ISK_E10value_typeET4_T5_PSP_SQ_PNS1_23onesweep_lookback_stateEbbT6_jjT7_P12ihipStream_tbENKUlT_T0_SE_SJ_E_clIS8_S8_S9_S9_EEDaSX_SY_SE_SJ_EUlSX_E_NS1_11comp_targetILNS1_3genE10ELNS1_11target_archE1201ELNS1_3gpuE5ELNS1_3repE0EEENS1_47radix_sort_onesweep_sort_config_static_selectorELNS0_4arch9wavefront6targetE1EEEvSE_
	.globl	_ZN7rocprim17ROCPRIM_400000_NS6detail17trampoline_kernelINS0_14default_configENS1_35radix_sort_onesweep_config_selectorIhNS0_10empty_typeEEEZZNS1_29radix_sort_onesweep_iterationIS3_Lb0EPhS8_PS5_S9_mNS0_19identity_decomposerENS1_16block_id_wrapperIjLb0EEEEE10hipError_tT1_PNSt15iterator_traitsISE_E10value_typeET2_T3_PNSF_ISK_E10value_typeET4_T5_PSP_SQ_PNS1_23onesweep_lookback_stateEbbT6_jjT7_P12ihipStream_tbENKUlT_T0_SE_SJ_E_clIS8_S8_S9_S9_EEDaSX_SY_SE_SJ_EUlSX_E_NS1_11comp_targetILNS1_3genE10ELNS1_11target_archE1201ELNS1_3gpuE5ELNS1_3repE0EEENS1_47radix_sort_onesweep_sort_config_static_selectorELNS0_4arch9wavefront6targetE1EEEvSE_
	.p2align	8
	.type	_ZN7rocprim17ROCPRIM_400000_NS6detail17trampoline_kernelINS0_14default_configENS1_35radix_sort_onesweep_config_selectorIhNS0_10empty_typeEEEZZNS1_29radix_sort_onesweep_iterationIS3_Lb0EPhS8_PS5_S9_mNS0_19identity_decomposerENS1_16block_id_wrapperIjLb0EEEEE10hipError_tT1_PNSt15iterator_traitsISE_E10value_typeET2_T3_PNSF_ISK_E10value_typeET4_T5_PSP_SQ_PNS1_23onesweep_lookback_stateEbbT6_jjT7_P12ihipStream_tbENKUlT_T0_SE_SJ_E_clIS8_S8_S9_S9_EEDaSX_SY_SE_SJ_EUlSX_E_NS1_11comp_targetILNS1_3genE10ELNS1_11target_archE1201ELNS1_3gpuE5ELNS1_3repE0EEENS1_47radix_sort_onesweep_sort_config_static_selectorELNS0_4arch9wavefront6targetE1EEEvSE_,@function
_ZN7rocprim17ROCPRIM_400000_NS6detail17trampoline_kernelINS0_14default_configENS1_35radix_sort_onesweep_config_selectorIhNS0_10empty_typeEEEZZNS1_29radix_sort_onesweep_iterationIS3_Lb0EPhS8_PS5_S9_mNS0_19identity_decomposerENS1_16block_id_wrapperIjLb0EEEEE10hipError_tT1_PNSt15iterator_traitsISE_E10value_typeET2_T3_PNSF_ISK_E10value_typeET4_T5_PSP_SQ_PNS1_23onesweep_lookback_stateEbbT6_jjT7_P12ihipStream_tbENKUlT_T0_SE_SJ_E_clIS8_S8_S9_S9_EEDaSX_SY_SE_SJ_EUlSX_E_NS1_11comp_targetILNS1_3genE10ELNS1_11target_archE1201ELNS1_3gpuE5ELNS1_3repE0EEENS1_47radix_sort_onesweep_sort_config_static_selectorELNS0_4arch9wavefront6targetE1EEEvSE_: ; @_ZN7rocprim17ROCPRIM_400000_NS6detail17trampoline_kernelINS0_14default_configENS1_35radix_sort_onesweep_config_selectorIhNS0_10empty_typeEEEZZNS1_29radix_sort_onesweep_iterationIS3_Lb0EPhS8_PS5_S9_mNS0_19identity_decomposerENS1_16block_id_wrapperIjLb0EEEEE10hipError_tT1_PNSt15iterator_traitsISE_E10value_typeET2_T3_PNSF_ISK_E10value_typeET4_T5_PSP_SQ_PNS1_23onesweep_lookback_stateEbbT6_jjT7_P12ihipStream_tbENKUlT_T0_SE_SJ_E_clIS8_S8_S9_S9_EEDaSX_SY_SE_SJ_EUlSX_E_NS1_11comp_targetILNS1_3genE10ELNS1_11target_archE1201ELNS1_3gpuE5ELNS1_3repE0EEENS1_47radix_sort_onesweep_sort_config_static_selectorELNS0_4arch9wavefront6targetE1EEEvSE_
; %bb.0:
	.section	.rodata,"a",@progbits
	.p2align	6, 0x0
	.amdhsa_kernel _ZN7rocprim17ROCPRIM_400000_NS6detail17trampoline_kernelINS0_14default_configENS1_35radix_sort_onesweep_config_selectorIhNS0_10empty_typeEEEZZNS1_29radix_sort_onesweep_iterationIS3_Lb0EPhS8_PS5_S9_mNS0_19identity_decomposerENS1_16block_id_wrapperIjLb0EEEEE10hipError_tT1_PNSt15iterator_traitsISE_E10value_typeET2_T3_PNSF_ISK_E10value_typeET4_T5_PSP_SQ_PNS1_23onesweep_lookback_stateEbbT6_jjT7_P12ihipStream_tbENKUlT_T0_SE_SJ_E_clIS8_S8_S9_S9_EEDaSX_SY_SE_SJ_EUlSX_E_NS1_11comp_targetILNS1_3genE10ELNS1_11target_archE1201ELNS1_3gpuE5ELNS1_3repE0EEENS1_47radix_sort_onesweep_sort_config_static_selectorELNS0_4arch9wavefront6targetE1EEEvSE_
		.amdhsa_group_segment_fixed_size 0
		.amdhsa_private_segment_fixed_size 0
		.amdhsa_kernarg_size 88
		.amdhsa_user_sgpr_count 6
		.amdhsa_user_sgpr_private_segment_buffer 1
		.amdhsa_user_sgpr_dispatch_ptr 0
		.amdhsa_user_sgpr_queue_ptr 0
		.amdhsa_user_sgpr_kernarg_segment_ptr 1
		.amdhsa_user_sgpr_dispatch_id 0
		.amdhsa_user_sgpr_flat_scratch_init 0
		.amdhsa_user_sgpr_kernarg_preload_length 0
		.amdhsa_user_sgpr_kernarg_preload_offset 0
		.amdhsa_user_sgpr_private_segment_size 0
		.amdhsa_uses_dynamic_stack 0
		.amdhsa_system_sgpr_private_segment_wavefront_offset 0
		.amdhsa_system_sgpr_workgroup_id_x 1
		.amdhsa_system_sgpr_workgroup_id_y 0
		.amdhsa_system_sgpr_workgroup_id_z 0
		.amdhsa_system_sgpr_workgroup_info 0
		.amdhsa_system_vgpr_workitem_id 0
		.amdhsa_next_free_vgpr 1
		.amdhsa_next_free_sgpr 0
		.amdhsa_accum_offset 4
		.amdhsa_reserve_vcc 0
		.amdhsa_reserve_flat_scratch 0
		.amdhsa_float_round_mode_32 0
		.amdhsa_float_round_mode_16_64 0
		.amdhsa_float_denorm_mode_32 3
		.amdhsa_float_denorm_mode_16_64 3
		.amdhsa_dx10_clamp 1
		.amdhsa_ieee_mode 1
		.amdhsa_fp16_overflow 0
		.amdhsa_tg_split 0
		.amdhsa_exception_fp_ieee_invalid_op 0
		.amdhsa_exception_fp_denorm_src 0
		.amdhsa_exception_fp_ieee_div_zero 0
		.amdhsa_exception_fp_ieee_overflow 0
		.amdhsa_exception_fp_ieee_underflow 0
		.amdhsa_exception_fp_ieee_inexact 0
		.amdhsa_exception_int_div_zero 0
	.end_amdhsa_kernel
	.section	.text._ZN7rocprim17ROCPRIM_400000_NS6detail17trampoline_kernelINS0_14default_configENS1_35radix_sort_onesweep_config_selectorIhNS0_10empty_typeEEEZZNS1_29radix_sort_onesweep_iterationIS3_Lb0EPhS8_PS5_S9_mNS0_19identity_decomposerENS1_16block_id_wrapperIjLb0EEEEE10hipError_tT1_PNSt15iterator_traitsISE_E10value_typeET2_T3_PNSF_ISK_E10value_typeET4_T5_PSP_SQ_PNS1_23onesweep_lookback_stateEbbT6_jjT7_P12ihipStream_tbENKUlT_T0_SE_SJ_E_clIS8_S8_S9_S9_EEDaSX_SY_SE_SJ_EUlSX_E_NS1_11comp_targetILNS1_3genE10ELNS1_11target_archE1201ELNS1_3gpuE5ELNS1_3repE0EEENS1_47radix_sort_onesweep_sort_config_static_selectorELNS0_4arch9wavefront6targetE1EEEvSE_,"axG",@progbits,_ZN7rocprim17ROCPRIM_400000_NS6detail17trampoline_kernelINS0_14default_configENS1_35radix_sort_onesweep_config_selectorIhNS0_10empty_typeEEEZZNS1_29radix_sort_onesweep_iterationIS3_Lb0EPhS8_PS5_S9_mNS0_19identity_decomposerENS1_16block_id_wrapperIjLb0EEEEE10hipError_tT1_PNSt15iterator_traitsISE_E10value_typeET2_T3_PNSF_ISK_E10value_typeET4_T5_PSP_SQ_PNS1_23onesweep_lookback_stateEbbT6_jjT7_P12ihipStream_tbENKUlT_T0_SE_SJ_E_clIS8_S8_S9_S9_EEDaSX_SY_SE_SJ_EUlSX_E_NS1_11comp_targetILNS1_3genE10ELNS1_11target_archE1201ELNS1_3gpuE5ELNS1_3repE0EEENS1_47radix_sort_onesweep_sort_config_static_selectorELNS0_4arch9wavefront6targetE1EEEvSE_,comdat
.Lfunc_end335:
	.size	_ZN7rocprim17ROCPRIM_400000_NS6detail17trampoline_kernelINS0_14default_configENS1_35radix_sort_onesweep_config_selectorIhNS0_10empty_typeEEEZZNS1_29radix_sort_onesweep_iterationIS3_Lb0EPhS8_PS5_S9_mNS0_19identity_decomposerENS1_16block_id_wrapperIjLb0EEEEE10hipError_tT1_PNSt15iterator_traitsISE_E10value_typeET2_T3_PNSF_ISK_E10value_typeET4_T5_PSP_SQ_PNS1_23onesweep_lookback_stateEbbT6_jjT7_P12ihipStream_tbENKUlT_T0_SE_SJ_E_clIS8_S8_S9_S9_EEDaSX_SY_SE_SJ_EUlSX_E_NS1_11comp_targetILNS1_3genE10ELNS1_11target_archE1201ELNS1_3gpuE5ELNS1_3repE0EEENS1_47radix_sort_onesweep_sort_config_static_selectorELNS0_4arch9wavefront6targetE1EEEvSE_, .Lfunc_end335-_ZN7rocprim17ROCPRIM_400000_NS6detail17trampoline_kernelINS0_14default_configENS1_35radix_sort_onesweep_config_selectorIhNS0_10empty_typeEEEZZNS1_29radix_sort_onesweep_iterationIS3_Lb0EPhS8_PS5_S9_mNS0_19identity_decomposerENS1_16block_id_wrapperIjLb0EEEEE10hipError_tT1_PNSt15iterator_traitsISE_E10value_typeET2_T3_PNSF_ISK_E10value_typeET4_T5_PSP_SQ_PNS1_23onesweep_lookback_stateEbbT6_jjT7_P12ihipStream_tbENKUlT_T0_SE_SJ_E_clIS8_S8_S9_S9_EEDaSX_SY_SE_SJ_EUlSX_E_NS1_11comp_targetILNS1_3genE10ELNS1_11target_archE1201ELNS1_3gpuE5ELNS1_3repE0EEENS1_47radix_sort_onesweep_sort_config_static_selectorELNS0_4arch9wavefront6targetE1EEEvSE_
                                        ; -- End function
	.section	.AMDGPU.csdata,"",@progbits
; Kernel info:
; codeLenInByte = 0
; NumSgprs: 4
; NumVgprs: 0
; NumAgprs: 0
; TotalNumVgprs: 0
; ScratchSize: 0
; MemoryBound: 0
; FloatMode: 240
; IeeeMode: 1
; LDSByteSize: 0 bytes/workgroup (compile time only)
; SGPRBlocks: 0
; VGPRBlocks: 0
; NumSGPRsForWavesPerEU: 4
; NumVGPRsForWavesPerEU: 1
; AccumOffset: 4
; Occupancy: 8
; WaveLimiterHint : 0
; COMPUTE_PGM_RSRC2:SCRATCH_EN: 0
; COMPUTE_PGM_RSRC2:USER_SGPR: 6
; COMPUTE_PGM_RSRC2:TRAP_HANDLER: 0
; COMPUTE_PGM_RSRC2:TGID_X_EN: 1
; COMPUTE_PGM_RSRC2:TGID_Y_EN: 0
; COMPUTE_PGM_RSRC2:TGID_Z_EN: 0
; COMPUTE_PGM_RSRC2:TIDIG_COMP_CNT: 0
; COMPUTE_PGM_RSRC3_GFX90A:ACCUM_OFFSET: 0
; COMPUTE_PGM_RSRC3_GFX90A:TG_SPLIT: 0
	.section	.text._ZN7rocprim17ROCPRIM_400000_NS6detail17trampoline_kernelINS0_14default_configENS1_35radix_sort_onesweep_config_selectorIhNS0_10empty_typeEEEZZNS1_29radix_sort_onesweep_iterationIS3_Lb0EPhS8_PS5_S9_mNS0_19identity_decomposerENS1_16block_id_wrapperIjLb0EEEEE10hipError_tT1_PNSt15iterator_traitsISE_E10value_typeET2_T3_PNSF_ISK_E10value_typeET4_T5_PSP_SQ_PNS1_23onesweep_lookback_stateEbbT6_jjT7_P12ihipStream_tbENKUlT_T0_SE_SJ_E_clIS8_S8_S9_S9_EEDaSX_SY_SE_SJ_EUlSX_E_NS1_11comp_targetILNS1_3genE9ELNS1_11target_archE1100ELNS1_3gpuE3ELNS1_3repE0EEENS1_47radix_sort_onesweep_sort_config_static_selectorELNS0_4arch9wavefront6targetE1EEEvSE_,"axG",@progbits,_ZN7rocprim17ROCPRIM_400000_NS6detail17trampoline_kernelINS0_14default_configENS1_35radix_sort_onesweep_config_selectorIhNS0_10empty_typeEEEZZNS1_29radix_sort_onesweep_iterationIS3_Lb0EPhS8_PS5_S9_mNS0_19identity_decomposerENS1_16block_id_wrapperIjLb0EEEEE10hipError_tT1_PNSt15iterator_traitsISE_E10value_typeET2_T3_PNSF_ISK_E10value_typeET4_T5_PSP_SQ_PNS1_23onesweep_lookback_stateEbbT6_jjT7_P12ihipStream_tbENKUlT_T0_SE_SJ_E_clIS8_S8_S9_S9_EEDaSX_SY_SE_SJ_EUlSX_E_NS1_11comp_targetILNS1_3genE9ELNS1_11target_archE1100ELNS1_3gpuE3ELNS1_3repE0EEENS1_47radix_sort_onesweep_sort_config_static_selectorELNS0_4arch9wavefront6targetE1EEEvSE_,comdat
	.protected	_ZN7rocprim17ROCPRIM_400000_NS6detail17trampoline_kernelINS0_14default_configENS1_35radix_sort_onesweep_config_selectorIhNS0_10empty_typeEEEZZNS1_29radix_sort_onesweep_iterationIS3_Lb0EPhS8_PS5_S9_mNS0_19identity_decomposerENS1_16block_id_wrapperIjLb0EEEEE10hipError_tT1_PNSt15iterator_traitsISE_E10value_typeET2_T3_PNSF_ISK_E10value_typeET4_T5_PSP_SQ_PNS1_23onesweep_lookback_stateEbbT6_jjT7_P12ihipStream_tbENKUlT_T0_SE_SJ_E_clIS8_S8_S9_S9_EEDaSX_SY_SE_SJ_EUlSX_E_NS1_11comp_targetILNS1_3genE9ELNS1_11target_archE1100ELNS1_3gpuE3ELNS1_3repE0EEENS1_47radix_sort_onesweep_sort_config_static_selectorELNS0_4arch9wavefront6targetE1EEEvSE_ ; -- Begin function _ZN7rocprim17ROCPRIM_400000_NS6detail17trampoline_kernelINS0_14default_configENS1_35radix_sort_onesweep_config_selectorIhNS0_10empty_typeEEEZZNS1_29radix_sort_onesweep_iterationIS3_Lb0EPhS8_PS5_S9_mNS0_19identity_decomposerENS1_16block_id_wrapperIjLb0EEEEE10hipError_tT1_PNSt15iterator_traitsISE_E10value_typeET2_T3_PNSF_ISK_E10value_typeET4_T5_PSP_SQ_PNS1_23onesweep_lookback_stateEbbT6_jjT7_P12ihipStream_tbENKUlT_T0_SE_SJ_E_clIS8_S8_S9_S9_EEDaSX_SY_SE_SJ_EUlSX_E_NS1_11comp_targetILNS1_3genE9ELNS1_11target_archE1100ELNS1_3gpuE3ELNS1_3repE0EEENS1_47radix_sort_onesweep_sort_config_static_selectorELNS0_4arch9wavefront6targetE1EEEvSE_
	.globl	_ZN7rocprim17ROCPRIM_400000_NS6detail17trampoline_kernelINS0_14default_configENS1_35radix_sort_onesweep_config_selectorIhNS0_10empty_typeEEEZZNS1_29radix_sort_onesweep_iterationIS3_Lb0EPhS8_PS5_S9_mNS0_19identity_decomposerENS1_16block_id_wrapperIjLb0EEEEE10hipError_tT1_PNSt15iterator_traitsISE_E10value_typeET2_T3_PNSF_ISK_E10value_typeET4_T5_PSP_SQ_PNS1_23onesweep_lookback_stateEbbT6_jjT7_P12ihipStream_tbENKUlT_T0_SE_SJ_E_clIS8_S8_S9_S9_EEDaSX_SY_SE_SJ_EUlSX_E_NS1_11comp_targetILNS1_3genE9ELNS1_11target_archE1100ELNS1_3gpuE3ELNS1_3repE0EEENS1_47radix_sort_onesweep_sort_config_static_selectorELNS0_4arch9wavefront6targetE1EEEvSE_
	.p2align	8
	.type	_ZN7rocprim17ROCPRIM_400000_NS6detail17trampoline_kernelINS0_14default_configENS1_35radix_sort_onesweep_config_selectorIhNS0_10empty_typeEEEZZNS1_29radix_sort_onesweep_iterationIS3_Lb0EPhS8_PS5_S9_mNS0_19identity_decomposerENS1_16block_id_wrapperIjLb0EEEEE10hipError_tT1_PNSt15iterator_traitsISE_E10value_typeET2_T3_PNSF_ISK_E10value_typeET4_T5_PSP_SQ_PNS1_23onesweep_lookback_stateEbbT6_jjT7_P12ihipStream_tbENKUlT_T0_SE_SJ_E_clIS8_S8_S9_S9_EEDaSX_SY_SE_SJ_EUlSX_E_NS1_11comp_targetILNS1_3genE9ELNS1_11target_archE1100ELNS1_3gpuE3ELNS1_3repE0EEENS1_47radix_sort_onesweep_sort_config_static_selectorELNS0_4arch9wavefront6targetE1EEEvSE_,@function
_ZN7rocprim17ROCPRIM_400000_NS6detail17trampoline_kernelINS0_14default_configENS1_35radix_sort_onesweep_config_selectorIhNS0_10empty_typeEEEZZNS1_29radix_sort_onesweep_iterationIS3_Lb0EPhS8_PS5_S9_mNS0_19identity_decomposerENS1_16block_id_wrapperIjLb0EEEEE10hipError_tT1_PNSt15iterator_traitsISE_E10value_typeET2_T3_PNSF_ISK_E10value_typeET4_T5_PSP_SQ_PNS1_23onesweep_lookback_stateEbbT6_jjT7_P12ihipStream_tbENKUlT_T0_SE_SJ_E_clIS8_S8_S9_S9_EEDaSX_SY_SE_SJ_EUlSX_E_NS1_11comp_targetILNS1_3genE9ELNS1_11target_archE1100ELNS1_3gpuE3ELNS1_3repE0EEENS1_47radix_sort_onesweep_sort_config_static_selectorELNS0_4arch9wavefront6targetE1EEEvSE_: ; @_ZN7rocprim17ROCPRIM_400000_NS6detail17trampoline_kernelINS0_14default_configENS1_35radix_sort_onesweep_config_selectorIhNS0_10empty_typeEEEZZNS1_29radix_sort_onesweep_iterationIS3_Lb0EPhS8_PS5_S9_mNS0_19identity_decomposerENS1_16block_id_wrapperIjLb0EEEEE10hipError_tT1_PNSt15iterator_traitsISE_E10value_typeET2_T3_PNSF_ISK_E10value_typeET4_T5_PSP_SQ_PNS1_23onesweep_lookback_stateEbbT6_jjT7_P12ihipStream_tbENKUlT_T0_SE_SJ_E_clIS8_S8_S9_S9_EEDaSX_SY_SE_SJ_EUlSX_E_NS1_11comp_targetILNS1_3genE9ELNS1_11target_archE1100ELNS1_3gpuE3ELNS1_3repE0EEENS1_47radix_sort_onesweep_sort_config_static_selectorELNS0_4arch9wavefront6targetE1EEEvSE_
; %bb.0:
	.section	.rodata,"a",@progbits
	.p2align	6, 0x0
	.amdhsa_kernel _ZN7rocprim17ROCPRIM_400000_NS6detail17trampoline_kernelINS0_14default_configENS1_35radix_sort_onesweep_config_selectorIhNS0_10empty_typeEEEZZNS1_29radix_sort_onesweep_iterationIS3_Lb0EPhS8_PS5_S9_mNS0_19identity_decomposerENS1_16block_id_wrapperIjLb0EEEEE10hipError_tT1_PNSt15iterator_traitsISE_E10value_typeET2_T3_PNSF_ISK_E10value_typeET4_T5_PSP_SQ_PNS1_23onesweep_lookback_stateEbbT6_jjT7_P12ihipStream_tbENKUlT_T0_SE_SJ_E_clIS8_S8_S9_S9_EEDaSX_SY_SE_SJ_EUlSX_E_NS1_11comp_targetILNS1_3genE9ELNS1_11target_archE1100ELNS1_3gpuE3ELNS1_3repE0EEENS1_47radix_sort_onesweep_sort_config_static_selectorELNS0_4arch9wavefront6targetE1EEEvSE_
		.amdhsa_group_segment_fixed_size 0
		.amdhsa_private_segment_fixed_size 0
		.amdhsa_kernarg_size 88
		.amdhsa_user_sgpr_count 6
		.amdhsa_user_sgpr_private_segment_buffer 1
		.amdhsa_user_sgpr_dispatch_ptr 0
		.amdhsa_user_sgpr_queue_ptr 0
		.amdhsa_user_sgpr_kernarg_segment_ptr 1
		.amdhsa_user_sgpr_dispatch_id 0
		.amdhsa_user_sgpr_flat_scratch_init 0
		.amdhsa_user_sgpr_kernarg_preload_length 0
		.amdhsa_user_sgpr_kernarg_preload_offset 0
		.amdhsa_user_sgpr_private_segment_size 0
		.amdhsa_uses_dynamic_stack 0
		.amdhsa_system_sgpr_private_segment_wavefront_offset 0
		.amdhsa_system_sgpr_workgroup_id_x 1
		.amdhsa_system_sgpr_workgroup_id_y 0
		.amdhsa_system_sgpr_workgroup_id_z 0
		.amdhsa_system_sgpr_workgroup_info 0
		.amdhsa_system_vgpr_workitem_id 0
		.amdhsa_next_free_vgpr 1
		.amdhsa_next_free_sgpr 0
		.amdhsa_accum_offset 4
		.amdhsa_reserve_vcc 0
		.amdhsa_reserve_flat_scratch 0
		.amdhsa_float_round_mode_32 0
		.amdhsa_float_round_mode_16_64 0
		.amdhsa_float_denorm_mode_32 3
		.amdhsa_float_denorm_mode_16_64 3
		.amdhsa_dx10_clamp 1
		.amdhsa_ieee_mode 1
		.amdhsa_fp16_overflow 0
		.amdhsa_tg_split 0
		.amdhsa_exception_fp_ieee_invalid_op 0
		.amdhsa_exception_fp_denorm_src 0
		.amdhsa_exception_fp_ieee_div_zero 0
		.amdhsa_exception_fp_ieee_overflow 0
		.amdhsa_exception_fp_ieee_underflow 0
		.amdhsa_exception_fp_ieee_inexact 0
		.amdhsa_exception_int_div_zero 0
	.end_amdhsa_kernel
	.section	.text._ZN7rocprim17ROCPRIM_400000_NS6detail17trampoline_kernelINS0_14default_configENS1_35radix_sort_onesweep_config_selectorIhNS0_10empty_typeEEEZZNS1_29radix_sort_onesweep_iterationIS3_Lb0EPhS8_PS5_S9_mNS0_19identity_decomposerENS1_16block_id_wrapperIjLb0EEEEE10hipError_tT1_PNSt15iterator_traitsISE_E10value_typeET2_T3_PNSF_ISK_E10value_typeET4_T5_PSP_SQ_PNS1_23onesweep_lookback_stateEbbT6_jjT7_P12ihipStream_tbENKUlT_T0_SE_SJ_E_clIS8_S8_S9_S9_EEDaSX_SY_SE_SJ_EUlSX_E_NS1_11comp_targetILNS1_3genE9ELNS1_11target_archE1100ELNS1_3gpuE3ELNS1_3repE0EEENS1_47radix_sort_onesweep_sort_config_static_selectorELNS0_4arch9wavefront6targetE1EEEvSE_,"axG",@progbits,_ZN7rocprim17ROCPRIM_400000_NS6detail17trampoline_kernelINS0_14default_configENS1_35radix_sort_onesweep_config_selectorIhNS0_10empty_typeEEEZZNS1_29radix_sort_onesweep_iterationIS3_Lb0EPhS8_PS5_S9_mNS0_19identity_decomposerENS1_16block_id_wrapperIjLb0EEEEE10hipError_tT1_PNSt15iterator_traitsISE_E10value_typeET2_T3_PNSF_ISK_E10value_typeET4_T5_PSP_SQ_PNS1_23onesweep_lookback_stateEbbT6_jjT7_P12ihipStream_tbENKUlT_T0_SE_SJ_E_clIS8_S8_S9_S9_EEDaSX_SY_SE_SJ_EUlSX_E_NS1_11comp_targetILNS1_3genE9ELNS1_11target_archE1100ELNS1_3gpuE3ELNS1_3repE0EEENS1_47radix_sort_onesweep_sort_config_static_selectorELNS0_4arch9wavefront6targetE1EEEvSE_,comdat
.Lfunc_end336:
	.size	_ZN7rocprim17ROCPRIM_400000_NS6detail17trampoline_kernelINS0_14default_configENS1_35radix_sort_onesweep_config_selectorIhNS0_10empty_typeEEEZZNS1_29radix_sort_onesweep_iterationIS3_Lb0EPhS8_PS5_S9_mNS0_19identity_decomposerENS1_16block_id_wrapperIjLb0EEEEE10hipError_tT1_PNSt15iterator_traitsISE_E10value_typeET2_T3_PNSF_ISK_E10value_typeET4_T5_PSP_SQ_PNS1_23onesweep_lookback_stateEbbT6_jjT7_P12ihipStream_tbENKUlT_T0_SE_SJ_E_clIS8_S8_S9_S9_EEDaSX_SY_SE_SJ_EUlSX_E_NS1_11comp_targetILNS1_3genE9ELNS1_11target_archE1100ELNS1_3gpuE3ELNS1_3repE0EEENS1_47radix_sort_onesweep_sort_config_static_selectorELNS0_4arch9wavefront6targetE1EEEvSE_, .Lfunc_end336-_ZN7rocprim17ROCPRIM_400000_NS6detail17trampoline_kernelINS0_14default_configENS1_35radix_sort_onesweep_config_selectorIhNS0_10empty_typeEEEZZNS1_29radix_sort_onesweep_iterationIS3_Lb0EPhS8_PS5_S9_mNS0_19identity_decomposerENS1_16block_id_wrapperIjLb0EEEEE10hipError_tT1_PNSt15iterator_traitsISE_E10value_typeET2_T3_PNSF_ISK_E10value_typeET4_T5_PSP_SQ_PNS1_23onesweep_lookback_stateEbbT6_jjT7_P12ihipStream_tbENKUlT_T0_SE_SJ_E_clIS8_S8_S9_S9_EEDaSX_SY_SE_SJ_EUlSX_E_NS1_11comp_targetILNS1_3genE9ELNS1_11target_archE1100ELNS1_3gpuE3ELNS1_3repE0EEENS1_47radix_sort_onesweep_sort_config_static_selectorELNS0_4arch9wavefront6targetE1EEEvSE_
                                        ; -- End function
	.section	.AMDGPU.csdata,"",@progbits
; Kernel info:
; codeLenInByte = 0
; NumSgprs: 4
; NumVgprs: 0
; NumAgprs: 0
; TotalNumVgprs: 0
; ScratchSize: 0
; MemoryBound: 0
; FloatMode: 240
; IeeeMode: 1
; LDSByteSize: 0 bytes/workgroup (compile time only)
; SGPRBlocks: 0
; VGPRBlocks: 0
; NumSGPRsForWavesPerEU: 4
; NumVGPRsForWavesPerEU: 1
; AccumOffset: 4
; Occupancy: 8
; WaveLimiterHint : 0
; COMPUTE_PGM_RSRC2:SCRATCH_EN: 0
; COMPUTE_PGM_RSRC2:USER_SGPR: 6
; COMPUTE_PGM_RSRC2:TRAP_HANDLER: 0
; COMPUTE_PGM_RSRC2:TGID_X_EN: 1
; COMPUTE_PGM_RSRC2:TGID_Y_EN: 0
; COMPUTE_PGM_RSRC2:TGID_Z_EN: 0
; COMPUTE_PGM_RSRC2:TIDIG_COMP_CNT: 0
; COMPUTE_PGM_RSRC3_GFX90A:ACCUM_OFFSET: 0
; COMPUTE_PGM_RSRC3_GFX90A:TG_SPLIT: 0
	.section	.text._ZN7rocprim17ROCPRIM_400000_NS6detail17trampoline_kernelINS0_14default_configENS1_35radix_sort_onesweep_config_selectorIhNS0_10empty_typeEEEZZNS1_29radix_sort_onesweep_iterationIS3_Lb0EPhS8_PS5_S9_mNS0_19identity_decomposerENS1_16block_id_wrapperIjLb0EEEEE10hipError_tT1_PNSt15iterator_traitsISE_E10value_typeET2_T3_PNSF_ISK_E10value_typeET4_T5_PSP_SQ_PNS1_23onesweep_lookback_stateEbbT6_jjT7_P12ihipStream_tbENKUlT_T0_SE_SJ_E_clIS8_S8_S9_S9_EEDaSX_SY_SE_SJ_EUlSX_E_NS1_11comp_targetILNS1_3genE8ELNS1_11target_archE1030ELNS1_3gpuE2ELNS1_3repE0EEENS1_47radix_sort_onesweep_sort_config_static_selectorELNS0_4arch9wavefront6targetE1EEEvSE_,"axG",@progbits,_ZN7rocprim17ROCPRIM_400000_NS6detail17trampoline_kernelINS0_14default_configENS1_35radix_sort_onesweep_config_selectorIhNS0_10empty_typeEEEZZNS1_29radix_sort_onesweep_iterationIS3_Lb0EPhS8_PS5_S9_mNS0_19identity_decomposerENS1_16block_id_wrapperIjLb0EEEEE10hipError_tT1_PNSt15iterator_traitsISE_E10value_typeET2_T3_PNSF_ISK_E10value_typeET4_T5_PSP_SQ_PNS1_23onesweep_lookback_stateEbbT6_jjT7_P12ihipStream_tbENKUlT_T0_SE_SJ_E_clIS8_S8_S9_S9_EEDaSX_SY_SE_SJ_EUlSX_E_NS1_11comp_targetILNS1_3genE8ELNS1_11target_archE1030ELNS1_3gpuE2ELNS1_3repE0EEENS1_47radix_sort_onesweep_sort_config_static_selectorELNS0_4arch9wavefront6targetE1EEEvSE_,comdat
	.protected	_ZN7rocprim17ROCPRIM_400000_NS6detail17trampoline_kernelINS0_14default_configENS1_35radix_sort_onesweep_config_selectorIhNS0_10empty_typeEEEZZNS1_29radix_sort_onesweep_iterationIS3_Lb0EPhS8_PS5_S9_mNS0_19identity_decomposerENS1_16block_id_wrapperIjLb0EEEEE10hipError_tT1_PNSt15iterator_traitsISE_E10value_typeET2_T3_PNSF_ISK_E10value_typeET4_T5_PSP_SQ_PNS1_23onesweep_lookback_stateEbbT6_jjT7_P12ihipStream_tbENKUlT_T0_SE_SJ_E_clIS8_S8_S9_S9_EEDaSX_SY_SE_SJ_EUlSX_E_NS1_11comp_targetILNS1_3genE8ELNS1_11target_archE1030ELNS1_3gpuE2ELNS1_3repE0EEENS1_47radix_sort_onesweep_sort_config_static_selectorELNS0_4arch9wavefront6targetE1EEEvSE_ ; -- Begin function _ZN7rocprim17ROCPRIM_400000_NS6detail17trampoline_kernelINS0_14default_configENS1_35radix_sort_onesweep_config_selectorIhNS0_10empty_typeEEEZZNS1_29radix_sort_onesweep_iterationIS3_Lb0EPhS8_PS5_S9_mNS0_19identity_decomposerENS1_16block_id_wrapperIjLb0EEEEE10hipError_tT1_PNSt15iterator_traitsISE_E10value_typeET2_T3_PNSF_ISK_E10value_typeET4_T5_PSP_SQ_PNS1_23onesweep_lookback_stateEbbT6_jjT7_P12ihipStream_tbENKUlT_T0_SE_SJ_E_clIS8_S8_S9_S9_EEDaSX_SY_SE_SJ_EUlSX_E_NS1_11comp_targetILNS1_3genE8ELNS1_11target_archE1030ELNS1_3gpuE2ELNS1_3repE0EEENS1_47radix_sort_onesweep_sort_config_static_selectorELNS0_4arch9wavefront6targetE1EEEvSE_
	.globl	_ZN7rocprim17ROCPRIM_400000_NS6detail17trampoline_kernelINS0_14default_configENS1_35radix_sort_onesweep_config_selectorIhNS0_10empty_typeEEEZZNS1_29radix_sort_onesweep_iterationIS3_Lb0EPhS8_PS5_S9_mNS0_19identity_decomposerENS1_16block_id_wrapperIjLb0EEEEE10hipError_tT1_PNSt15iterator_traitsISE_E10value_typeET2_T3_PNSF_ISK_E10value_typeET4_T5_PSP_SQ_PNS1_23onesweep_lookback_stateEbbT6_jjT7_P12ihipStream_tbENKUlT_T0_SE_SJ_E_clIS8_S8_S9_S9_EEDaSX_SY_SE_SJ_EUlSX_E_NS1_11comp_targetILNS1_3genE8ELNS1_11target_archE1030ELNS1_3gpuE2ELNS1_3repE0EEENS1_47radix_sort_onesweep_sort_config_static_selectorELNS0_4arch9wavefront6targetE1EEEvSE_
	.p2align	8
	.type	_ZN7rocprim17ROCPRIM_400000_NS6detail17trampoline_kernelINS0_14default_configENS1_35radix_sort_onesweep_config_selectorIhNS0_10empty_typeEEEZZNS1_29radix_sort_onesweep_iterationIS3_Lb0EPhS8_PS5_S9_mNS0_19identity_decomposerENS1_16block_id_wrapperIjLb0EEEEE10hipError_tT1_PNSt15iterator_traitsISE_E10value_typeET2_T3_PNSF_ISK_E10value_typeET4_T5_PSP_SQ_PNS1_23onesweep_lookback_stateEbbT6_jjT7_P12ihipStream_tbENKUlT_T0_SE_SJ_E_clIS8_S8_S9_S9_EEDaSX_SY_SE_SJ_EUlSX_E_NS1_11comp_targetILNS1_3genE8ELNS1_11target_archE1030ELNS1_3gpuE2ELNS1_3repE0EEENS1_47radix_sort_onesweep_sort_config_static_selectorELNS0_4arch9wavefront6targetE1EEEvSE_,@function
_ZN7rocprim17ROCPRIM_400000_NS6detail17trampoline_kernelINS0_14default_configENS1_35radix_sort_onesweep_config_selectorIhNS0_10empty_typeEEEZZNS1_29radix_sort_onesweep_iterationIS3_Lb0EPhS8_PS5_S9_mNS0_19identity_decomposerENS1_16block_id_wrapperIjLb0EEEEE10hipError_tT1_PNSt15iterator_traitsISE_E10value_typeET2_T3_PNSF_ISK_E10value_typeET4_T5_PSP_SQ_PNS1_23onesweep_lookback_stateEbbT6_jjT7_P12ihipStream_tbENKUlT_T0_SE_SJ_E_clIS8_S8_S9_S9_EEDaSX_SY_SE_SJ_EUlSX_E_NS1_11comp_targetILNS1_3genE8ELNS1_11target_archE1030ELNS1_3gpuE2ELNS1_3repE0EEENS1_47radix_sort_onesweep_sort_config_static_selectorELNS0_4arch9wavefront6targetE1EEEvSE_: ; @_ZN7rocprim17ROCPRIM_400000_NS6detail17trampoline_kernelINS0_14default_configENS1_35radix_sort_onesweep_config_selectorIhNS0_10empty_typeEEEZZNS1_29radix_sort_onesweep_iterationIS3_Lb0EPhS8_PS5_S9_mNS0_19identity_decomposerENS1_16block_id_wrapperIjLb0EEEEE10hipError_tT1_PNSt15iterator_traitsISE_E10value_typeET2_T3_PNSF_ISK_E10value_typeET4_T5_PSP_SQ_PNS1_23onesweep_lookback_stateEbbT6_jjT7_P12ihipStream_tbENKUlT_T0_SE_SJ_E_clIS8_S8_S9_S9_EEDaSX_SY_SE_SJ_EUlSX_E_NS1_11comp_targetILNS1_3genE8ELNS1_11target_archE1030ELNS1_3gpuE2ELNS1_3repE0EEENS1_47radix_sort_onesweep_sort_config_static_selectorELNS0_4arch9wavefront6targetE1EEEvSE_
; %bb.0:
	.section	.rodata,"a",@progbits
	.p2align	6, 0x0
	.amdhsa_kernel _ZN7rocprim17ROCPRIM_400000_NS6detail17trampoline_kernelINS0_14default_configENS1_35radix_sort_onesweep_config_selectorIhNS0_10empty_typeEEEZZNS1_29radix_sort_onesweep_iterationIS3_Lb0EPhS8_PS5_S9_mNS0_19identity_decomposerENS1_16block_id_wrapperIjLb0EEEEE10hipError_tT1_PNSt15iterator_traitsISE_E10value_typeET2_T3_PNSF_ISK_E10value_typeET4_T5_PSP_SQ_PNS1_23onesweep_lookback_stateEbbT6_jjT7_P12ihipStream_tbENKUlT_T0_SE_SJ_E_clIS8_S8_S9_S9_EEDaSX_SY_SE_SJ_EUlSX_E_NS1_11comp_targetILNS1_3genE8ELNS1_11target_archE1030ELNS1_3gpuE2ELNS1_3repE0EEENS1_47radix_sort_onesweep_sort_config_static_selectorELNS0_4arch9wavefront6targetE1EEEvSE_
		.amdhsa_group_segment_fixed_size 0
		.amdhsa_private_segment_fixed_size 0
		.amdhsa_kernarg_size 88
		.amdhsa_user_sgpr_count 6
		.amdhsa_user_sgpr_private_segment_buffer 1
		.amdhsa_user_sgpr_dispatch_ptr 0
		.amdhsa_user_sgpr_queue_ptr 0
		.amdhsa_user_sgpr_kernarg_segment_ptr 1
		.amdhsa_user_sgpr_dispatch_id 0
		.amdhsa_user_sgpr_flat_scratch_init 0
		.amdhsa_user_sgpr_kernarg_preload_length 0
		.amdhsa_user_sgpr_kernarg_preload_offset 0
		.amdhsa_user_sgpr_private_segment_size 0
		.amdhsa_uses_dynamic_stack 0
		.amdhsa_system_sgpr_private_segment_wavefront_offset 0
		.amdhsa_system_sgpr_workgroup_id_x 1
		.amdhsa_system_sgpr_workgroup_id_y 0
		.amdhsa_system_sgpr_workgroup_id_z 0
		.amdhsa_system_sgpr_workgroup_info 0
		.amdhsa_system_vgpr_workitem_id 0
		.amdhsa_next_free_vgpr 1
		.amdhsa_next_free_sgpr 0
		.amdhsa_accum_offset 4
		.amdhsa_reserve_vcc 0
		.amdhsa_reserve_flat_scratch 0
		.amdhsa_float_round_mode_32 0
		.amdhsa_float_round_mode_16_64 0
		.amdhsa_float_denorm_mode_32 3
		.amdhsa_float_denorm_mode_16_64 3
		.amdhsa_dx10_clamp 1
		.amdhsa_ieee_mode 1
		.amdhsa_fp16_overflow 0
		.amdhsa_tg_split 0
		.amdhsa_exception_fp_ieee_invalid_op 0
		.amdhsa_exception_fp_denorm_src 0
		.amdhsa_exception_fp_ieee_div_zero 0
		.amdhsa_exception_fp_ieee_overflow 0
		.amdhsa_exception_fp_ieee_underflow 0
		.amdhsa_exception_fp_ieee_inexact 0
		.amdhsa_exception_int_div_zero 0
	.end_amdhsa_kernel
	.section	.text._ZN7rocprim17ROCPRIM_400000_NS6detail17trampoline_kernelINS0_14default_configENS1_35radix_sort_onesweep_config_selectorIhNS0_10empty_typeEEEZZNS1_29radix_sort_onesweep_iterationIS3_Lb0EPhS8_PS5_S9_mNS0_19identity_decomposerENS1_16block_id_wrapperIjLb0EEEEE10hipError_tT1_PNSt15iterator_traitsISE_E10value_typeET2_T3_PNSF_ISK_E10value_typeET4_T5_PSP_SQ_PNS1_23onesweep_lookback_stateEbbT6_jjT7_P12ihipStream_tbENKUlT_T0_SE_SJ_E_clIS8_S8_S9_S9_EEDaSX_SY_SE_SJ_EUlSX_E_NS1_11comp_targetILNS1_3genE8ELNS1_11target_archE1030ELNS1_3gpuE2ELNS1_3repE0EEENS1_47radix_sort_onesweep_sort_config_static_selectorELNS0_4arch9wavefront6targetE1EEEvSE_,"axG",@progbits,_ZN7rocprim17ROCPRIM_400000_NS6detail17trampoline_kernelINS0_14default_configENS1_35radix_sort_onesweep_config_selectorIhNS0_10empty_typeEEEZZNS1_29radix_sort_onesweep_iterationIS3_Lb0EPhS8_PS5_S9_mNS0_19identity_decomposerENS1_16block_id_wrapperIjLb0EEEEE10hipError_tT1_PNSt15iterator_traitsISE_E10value_typeET2_T3_PNSF_ISK_E10value_typeET4_T5_PSP_SQ_PNS1_23onesweep_lookback_stateEbbT6_jjT7_P12ihipStream_tbENKUlT_T0_SE_SJ_E_clIS8_S8_S9_S9_EEDaSX_SY_SE_SJ_EUlSX_E_NS1_11comp_targetILNS1_3genE8ELNS1_11target_archE1030ELNS1_3gpuE2ELNS1_3repE0EEENS1_47radix_sort_onesweep_sort_config_static_selectorELNS0_4arch9wavefront6targetE1EEEvSE_,comdat
.Lfunc_end337:
	.size	_ZN7rocprim17ROCPRIM_400000_NS6detail17trampoline_kernelINS0_14default_configENS1_35radix_sort_onesweep_config_selectorIhNS0_10empty_typeEEEZZNS1_29radix_sort_onesweep_iterationIS3_Lb0EPhS8_PS5_S9_mNS0_19identity_decomposerENS1_16block_id_wrapperIjLb0EEEEE10hipError_tT1_PNSt15iterator_traitsISE_E10value_typeET2_T3_PNSF_ISK_E10value_typeET4_T5_PSP_SQ_PNS1_23onesweep_lookback_stateEbbT6_jjT7_P12ihipStream_tbENKUlT_T0_SE_SJ_E_clIS8_S8_S9_S9_EEDaSX_SY_SE_SJ_EUlSX_E_NS1_11comp_targetILNS1_3genE8ELNS1_11target_archE1030ELNS1_3gpuE2ELNS1_3repE0EEENS1_47radix_sort_onesweep_sort_config_static_selectorELNS0_4arch9wavefront6targetE1EEEvSE_, .Lfunc_end337-_ZN7rocprim17ROCPRIM_400000_NS6detail17trampoline_kernelINS0_14default_configENS1_35radix_sort_onesweep_config_selectorIhNS0_10empty_typeEEEZZNS1_29radix_sort_onesweep_iterationIS3_Lb0EPhS8_PS5_S9_mNS0_19identity_decomposerENS1_16block_id_wrapperIjLb0EEEEE10hipError_tT1_PNSt15iterator_traitsISE_E10value_typeET2_T3_PNSF_ISK_E10value_typeET4_T5_PSP_SQ_PNS1_23onesweep_lookback_stateEbbT6_jjT7_P12ihipStream_tbENKUlT_T0_SE_SJ_E_clIS8_S8_S9_S9_EEDaSX_SY_SE_SJ_EUlSX_E_NS1_11comp_targetILNS1_3genE8ELNS1_11target_archE1030ELNS1_3gpuE2ELNS1_3repE0EEENS1_47radix_sort_onesweep_sort_config_static_selectorELNS0_4arch9wavefront6targetE1EEEvSE_
                                        ; -- End function
	.section	.AMDGPU.csdata,"",@progbits
; Kernel info:
; codeLenInByte = 0
; NumSgprs: 4
; NumVgprs: 0
; NumAgprs: 0
; TotalNumVgprs: 0
; ScratchSize: 0
; MemoryBound: 0
; FloatMode: 240
; IeeeMode: 1
; LDSByteSize: 0 bytes/workgroup (compile time only)
; SGPRBlocks: 0
; VGPRBlocks: 0
; NumSGPRsForWavesPerEU: 4
; NumVGPRsForWavesPerEU: 1
; AccumOffset: 4
; Occupancy: 8
; WaveLimiterHint : 0
; COMPUTE_PGM_RSRC2:SCRATCH_EN: 0
; COMPUTE_PGM_RSRC2:USER_SGPR: 6
; COMPUTE_PGM_RSRC2:TRAP_HANDLER: 0
; COMPUTE_PGM_RSRC2:TGID_X_EN: 1
; COMPUTE_PGM_RSRC2:TGID_Y_EN: 0
; COMPUTE_PGM_RSRC2:TGID_Z_EN: 0
; COMPUTE_PGM_RSRC2:TIDIG_COMP_CNT: 0
; COMPUTE_PGM_RSRC3_GFX90A:ACCUM_OFFSET: 0
; COMPUTE_PGM_RSRC3_GFX90A:TG_SPLIT: 0
	.section	.text._ZN7rocprim17ROCPRIM_400000_NS6detail17trampoline_kernelINS0_13kernel_configILj256ELj4ELj4294967295EEENS1_37radix_sort_block_sort_config_selectorIsNS0_10empty_typeEEEZNS1_21radix_sort_block_sortIS4_Lb0EPsS9_PS6_SA_NS0_19identity_decomposerEEE10hipError_tT1_T2_T3_T4_jRjT5_jjP12ihipStream_tbEUlT_E_NS1_11comp_targetILNS1_3genE0ELNS1_11target_archE4294967295ELNS1_3gpuE0ELNS1_3repE0EEENS1_44radix_sort_block_sort_config_static_selectorELNS0_4arch9wavefront6targetE1EEEvSD_,"axG",@progbits,_ZN7rocprim17ROCPRIM_400000_NS6detail17trampoline_kernelINS0_13kernel_configILj256ELj4ELj4294967295EEENS1_37radix_sort_block_sort_config_selectorIsNS0_10empty_typeEEEZNS1_21radix_sort_block_sortIS4_Lb0EPsS9_PS6_SA_NS0_19identity_decomposerEEE10hipError_tT1_T2_T3_T4_jRjT5_jjP12ihipStream_tbEUlT_E_NS1_11comp_targetILNS1_3genE0ELNS1_11target_archE4294967295ELNS1_3gpuE0ELNS1_3repE0EEENS1_44radix_sort_block_sort_config_static_selectorELNS0_4arch9wavefront6targetE1EEEvSD_,comdat
	.protected	_ZN7rocprim17ROCPRIM_400000_NS6detail17trampoline_kernelINS0_13kernel_configILj256ELj4ELj4294967295EEENS1_37radix_sort_block_sort_config_selectorIsNS0_10empty_typeEEEZNS1_21radix_sort_block_sortIS4_Lb0EPsS9_PS6_SA_NS0_19identity_decomposerEEE10hipError_tT1_T2_T3_T4_jRjT5_jjP12ihipStream_tbEUlT_E_NS1_11comp_targetILNS1_3genE0ELNS1_11target_archE4294967295ELNS1_3gpuE0ELNS1_3repE0EEENS1_44radix_sort_block_sort_config_static_selectorELNS0_4arch9wavefront6targetE1EEEvSD_ ; -- Begin function _ZN7rocprim17ROCPRIM_400000_NS6detail17trampoline_kernelINS0_13kernel_configILj256ELj4ELj4294967295EEENS1_37radix_sort_block_sort_config_selectorIsNS0_10empty_typeEEEZNS1_21radix_sort_block_sortIS4_Lb0EPsS9_PS6_SA_NS0_19identity_decomposerEEE10hipError_tT1_T2_T3_T4_jRjT5_jjP12ihipStream_tbEUlT_E_NS1_11comp_targetILNS1_3genE0ELNS1_11target_archE4294967295ELNS1_3gpuE0ELNS1_3repE0EEENS1_44radix_sort_block_sort_config_static_selectorELNS0_4arch9wavefront6targetE1EEEvSD_
	.globl	_ZN7rocprim17ROCPRIM_400000_NS6detail17trampoline_kernelINS0_13kernel_configILj256ELj4ELj4294967295EEENS1_37radix_sort_block_sort_config_selectorIsNS0_10empty_typeEEEZNS1_21radix_sort_block_sortIS4_Lb0EPsS9_PS6_SA_NS0_19identity_decomposerEEE10hipError_tT1_T2_T3_T4_jRjT5_jjP12ihipStream_tbEUlT_E_NS1_11comp_targetILNS1_3genE0ELNS1_11target_archE4294967295ELNS1_3gpuE0ELNS1_3repE0EEENS1_44radix_sort_block_sort_config_static_selectorELNS0_4arch9wavefront6targetE1EEEvSD_
	.p2align	8
	.type	_ZN7rocprim17ROCPRIM_400000_NS6detail17trampoline_kernelINS0_13kernel_configILj256ELj4ELj4294967295EEENS1_37radix_sort_block_sort_config_selectorIsNS0_10empty_typeEEEZNS1_21radix_sort_block_sortIS4_Lb0EPsS9_PS6_SA_NS0_19identity_decomposerEEE10hipError_tT1_T2_T3_T4_jRjT5_jjP12ihipStream_tbEUlT_E_NS1_11comp_targetILNS1_3genE0ELNS1_11target_archE4294967295ELNS1_3gpuE0ELNS1_3repE0EEENS1_44radix_sort_block_sort_config_static_selectorELNS0_4arch9wavefront6targetE1EEEvSD_,@function
_ZN7rocprim17ROCPRIM_400000_NS6detail17trampoline_kernelINS0_13kernel_configILj256ELj4ELj4294967295EEENS1_37radix_sort_block_sort_config_selectorIsNS0_10empty_typeEEEZNS1_21radix_sort_block_sortIS4_Lb0EPsS9_PS6_SA_NS0_19identity_decomposerEEE10hipError_tT1_T2_T3_T4_jRjT5_jjP12ihipStream_tbEUlT_E_NS1_11comp_targetILNS1_3genE0ELNS1_11target_archE4294967295ELNS1_3gpuE0ELNS1_3repE0EEENS1_44radix_sort_block_sort_config_static_selectorELNS0_4arch9wavefront6targetE1EEEvSD_: ; @_ZN7rocprim17ROCPRIM_400000_NS6detail17trampoline_kernelINS0_13kernel_configILj256ELj4ELj4294967295EEENS1_37radix_sort_block_sort_config_selectorIsNS0_10empty_typeEEEZNS1_21radix_sort_block_sortIS4_Lb0EPsS9_PS6_SA_NS0_19identity_decomposerEEE10hipError_tT1_T2_T3_T4_jRjT5_jjP12ihipStream_tbEUlT_E_NS1_11comp_targetILNS1_3genE0ELNS1_11target_archE4294967295ELNS1_3gpuE0ELNS1_3repE0EEENS1_44radix_sort_block_sort_config_static_selectorELNS0_4arch9wavefront6targetE1EEEvSD_
; %bb.0:
	.section	.rodata,"a",@progbits
	.p2align	6, 0x0
	.amdhsa_kernel _ZN7rocprim17ROCPRIM_400000_NS6detail17trampoline_kernelINS0_13kernel_configILj256ELj4ELj4294967295EEENS1_37radix_sort_block_sort_config_selectorIsNS0_10empty_typeEEEZNS1_21radix_sort_block_sortIS4_Lb0EPsS9_PS6_SA_NS0_19identity_decomposerEEE10hipError_tT1_T2_T3_T4_jRjT5_jjP12ihipStream_tbEUlT_E_NS1_11comp_targetILNS1_3genE0ELNS1_11target_archE4294967295ELNS1_3gpuE0ELNS1_3repE0EEENS1_44radix_sort_block_sort_config_static_selectorELNS0_4arch9wavefront6targetE1EEEvSD_
		.amdhsa_group_segment_fixed_size 0
		.amdhsa_private_segment_fixed_size 0
		.amdhsa_kernarg_size 48
		.amdhsa_user_sgpr_count 6
		.amdhsa_user_sgpr_private_segment_buffer 1
		.amdhsa_user_sgpr_dispatch_ptr 0
		.amdhsa_user_sgpr_queue_ptr 0
		.amdhsa_user_sgpr_kernarg_segment_ptr 1
		.amdhsa_user_sgpr_dispatch_id 0
		.amdhsa_user_sgpr_flat_scratch_init 0
		.amdhsa_user_sgpr_kernarg_preload_length 0
		.amdhsa_user_sgpr_kernarg_preload_offset 0
		.amdhsa_user_sgpr_private_segment_size 0
		.amdhsa_uses_dynamic_stack 0
		.amdhsa_system_sgpr_private_segment_wavefront_offset 0
		.amdhsa_system_sgpr_workgroup_id_x 1
		.amdhsa_system_sgpr_workgroup_id_y 0
		.amdhsa_system_sgpr_workgroup_id_z 0
		.amdhsa_system_sgpr_workgroup_info 0
		.amdhsa_system_vgpr_workitem_id 0
		.amdhsa_next_free_vgpr 1
		.amdhsa_next_free_sgpr 0
		.amdhsa_accum_offset 4
		.amdhsa_reserve_vcc 0
		.amdhsa_reserve_flat_scratch 0
		.amdhsa_float_round_mode_32 0
		.amdhsa_float_round_mode_16_64 0
		.amdhsa_float_denorm_mode_32 3
		.amdhsa_float_denorm_mode_16_64 3
		.amdhsa_dx10_clamp 1
		.amdhsa_ieee_mode 1
		.amdhsa_fp16_overflow 0
		.amdhsa_tg_split 0
		.amdhsa_exception_fp_ieee_invalid_op 0
		.amdhsa_exception_fp_denorm_src 0
		.amdhsa_exception_fp_ieee_div_zero 0
		.amdhsa_exception_fp_ieee_overflow 0
		.amdhsa_exception_fp_ieee_underflow 0
		.amdhsa_exception_fp_ieee_inexact 0
		.amdhsa_exception_int_div_zero 0
	.end_amdhsa_kernel
	.section	.text._ZN7rocprim17ROCPRIM_400000_NS6detail17trampoline_kernelINS0_13kernel_configILj256ELj4ELj4294967295EEENS1_37radix_sort_block_sort_config_selectorIsNS0_10empty_typeEEEZNS1_21radix_sort_block_sortIS4_Lb0EPsS9_PS6_SA_NS0_19identity_decomposerEEE10hipError_tT1_T2_T3_T4_jRjT5_jjP12ihipStream_tbEUlT_E_NS1_11comp_targetILNS1_3genE0ELNS1_11target_archE4294967295ELNS1_3gpuE0ELNS1_3repE0EEENS1_44radix_sort_block_sort_config_static_selectorELNS0_4arch9wavefront6targetE1EEEvSD_,"axG",@progbits,_ZN7rocprim17ROCPRIM_400000_NS6detail17trampoline_kernelINS0_13kernel_configILj256ELj4ELj4294967295EEENS1_37radix_sort_block_sort_config_selectorIsNS0_10empty_typeEEEZNS1_21radix_sort_block_sortIS4_Lb0EPsS9_PS6_SA_NS0_19identity_decomposerEEE10hipError_tT1_T2_T3_T4_jRjT5_jjP12ihipStream_tbEUlT_E_NS1_11comp_targetILNS1_3genE0ELNS1_11target_archE4294967295ELNS1_3gpuE0ELNS1_3repE0EEENS1_44radix_sort_block_sort_config_static_selectorELNS0_4arch9wavefront6targetE1EEEvSD_,comdat
.Lfunc_end338:
	.size	_ZN7rocprim17ROCPRIM_400000_NS6detail17trampoline_kernelINS0_13kernel_configILj256ELj4ELj4294967295EEENS1_37radix_sort_block_sort_config_selectorIsNS0_10empty_typeEEEZNS1_21radix_sort_block_sortIS4_Lb0EPsS9_PS6_SA_NS0_19identity_decomposerEEE10hipError_tT1_T2_T3_T4_jRjT5_jjP12ihipStream_tbEUlT_E_NS1_11comp_targetILNS1_3genE0ELNS1_11target_archE4294967295ELNS1_3gpuE0ELNS1_3repE0EEENS1_44radix_sort_block_sort_config_static_selectorELNS0_4arch9wavefront6targetE1EEEvSD_, .Lfunc_end338-_ZN7rocprim17ROCPRIM_400000_NS6detail17trampoline_kernelINS0_13kernel_configILj256ELj4ELj4294967295EEENS1_37radix_sort_block_sort_config_selectorIsNS0_10empty_typeEEEZNS1_21radix_sort_block_sortIS4_Lb0EPsS9_PS6_SA_NS0_19identity_decomposerEEE10hipError_tT1_T2_T3_T4_jRjT5_jjP12ihipStream_tbEUlT_E_NS1_11comp_targetILNS1_3genE0ELNS1_11target_archE4294967295ELNS1_3gpuE0ELNS1_3repE0EEENS1_44radix_sort_block_sort_config_static_selectorELNS0_4arch9wavefront6targetE1EEEvSD_
                                        ; -- End function
	.section	.AMDGPU.csdata,"",@progbits
; Kernel info:
; codeLenInByte = 0
; NumSgprs: 4
; NumVgprs: 0
; NumAgprs: 0
; TotalNumVgprs: 0
; ScratchSize: 0
; MemoryBound: 0
; FloatMode: 240
; IeeeMode: 1
; LDSByteSize: 0 bytes/workgroup (compile time only)
; SGPRBlocks: 0
; VGPRBlocks: 0
; NumSGPRsForWavesPerEU: 4
; NumVGPRsForWavesPerEU: 1
; AccumOffset: 4
; Occupancy: 8
; WaveLimiterHint : 0
; COMPUTE_PGM_RSRC2:SCRATCH_EN: 0
; COMPUTE_PGM_RSRC2:USER_SGPR: 6
; COMPUTE_PGM_RSRC2:TRAP_HANDLER: 0
; COMPUTE_PGM_RSRC2:TGID_X_EN: 1
; COMPUTE_PGM_RSRC2:TGID_Y_EN: 0
; COMPUTE_PGM_RSRC2:TGID_Z_EN: 0
; COMPUTE_PGM_RSRC2:TIDIG_COMP_CNT: 0
; COMPUTE_PGM_RSRC3_GFX90A:ACCUM_OFFSET: 0
; COMPUTE_PGM_RSRC3_GFX90A:TG_SPLIT: 0
	.section	.text._ZN7rocprim17ROCPRIM_400000_NS6detail17trampoline_kernelINS0_13kernel_configILj256ELj4ELj4294967295EEENS1_37radix_sort_block_sort_config_selectorIsNS0_10empty_typeEEEZNS1_21radix_sort_block_sortIS4_Lb0EPsS9_PS6_SA_NS0_19identity_decomposerEEE10hipError_tT1_T2_T3_T4_jRjT5_jjP12ihipStream_tbEUlT_E_NS1_11comp_targetILNS1_3genE5ELNS1_11target_archE942ELNS1_3gpuE9ELNS1_3repE0EEENS1_44radix_sort_block_sort_config_static_selectorELNS0_4arch9wavefront6targetE1EEEvSD_,"axG",@progbits,_ZN7rocprim17ROCPRIM_400000_NS6detail17trampoline_kernelINS0_13kernel_configILj256ELj4ELj4294967295EEENS1_37radix_sort_block_sort_config_selectorIsNS0_10empty_typeEEEZNS1_21radix_sort_block_sortIS4_Lb0EPsS9_PS6_SA_NS0_19identity_decomposerEEE10hipError_tT1_T2_T3_T4_jRjT5_jjP12ihipStream_tbEUlT_E_NS1_11comp_targetILNS1_3genE5ELNS1_11target_archE942ELNS1_3gpuE9ELNS1_3repE0EEENS1_44radix_sort_block_sort_config_static_selectorELNS0_4arch9wavefront6targetE1EEEvSD_,comdat
	.protected	_ZN7rocprim17ROCPRIM_400000_NS6detail17trampoline_kernelINS0_13kernel_configILj256ELj4ELj4294967295EEENS1_37radix_sort_block_sort_config_selectorIsNS0_10empty_typeEEEZNS1_21radix_sort_block_sortIS4_Lb0EPsS9_PS6_SA_NS0_19identity_decomposerEEE10hipError_tT1_T2_T3_T4_jRjT5_jjP12ihipStream_tbEUlT_E_NS1_11comp_targetILNS1_3genE5ELNS1_11target_archE942ELNS1_3gpuE9ELNS1_3repE0EEENS1_44radix_sort_block_sort_config_static_selectorELNS0_4arch9wavefront6targetE1EEEvSD_ ; -- Begin function _ZN7rocprim17ROCPRIM_400000_NS6detail17trampoline_kernelINS0_13kernel_configILj256ELj4ELj4294967295EEENS1_37radix_sort_block_sort_config_selectorIsNS0_10empty_typeEEEZNS1_21radix_sort_block_sortIS4_Lb0EPsS9_PS6_SA_NS0_19identity_decomposerEEE10hipError_tT1_T2_T3_T4_jRjT5_jjP12ihipStream_tbEUlT_E_NS1_11comp_targetILNS1_3genE5ELNS1_11target_archE942ELNS1_3gpuE9ELNS1_3repE0EEENS1_44radix_sort_block_sort_config_static_selectorELNS0_4arch9wavefront6targetE1EEEvSD_
	.globl	_ZN7rocprim17ROCPRIM_400000_NS6detail17trampoline_kernelINS0_13kernel_configILj256ELj4ELj4294967295EEENS1_37radix_sort_block_sort_config_selectorIsNS0_10empty_typeEEEZNS1_21radix_sort_block_sortIS4_Lb0EPsS9_PS6_SA_NS0_19identity_decomposerEEE10hipError_tT1_T2_T3_T4_jRjT5_jjP12ihipStream_tbEUlT_E_NS1_11comp_targetILNS1_3genE5ELNS1_11target_archE942ELNS1_3gpuE9ELNS1_3repE0EEENS1_44radix_sort_block_sort_config_static_selectorELNS0_4arch9wavefront6targetE1EEEvSD_
	.p2align	8
	.type	_ZN7rocprim17ROCPRIM_400000_NS6detail17trampoline_kernelINS0_13kernel_configILj256ELj4ELj4294967295EEENS1_37radix_sort_block_sort_config_selectorIsNS0_10empty_typeEEEZNS1_21radix_sort_block_sortIS4_Lb0EPsS9_PS6_SA_NS0_19identity_decomposerEEE10hipError_tT1_T2_T3_T4_jRjT5_jjP12ihipStream_tbEUlT_E_NS1_11comp_targetILNS1_3genE5ELNS1_11target_archE942ELNS1_3gpuE9ELNS1_3repE0EEENS1_44radix_sort_block_sort_config_static_selectorELNS0_4arch9wavefront6targetE1EEEvSD_,@function
_ZN7rocprim17ROCPRIM_400000_NS6detail17trampoline_kernelINS0_13kernel_configILj256ELj4ELj4294967295EEENS1_37radix_sort_block_sort_config_selectorIsNS0_10empty_typeEEEZNS1_21radix_sort_block_sortIS4_Lb0EPsS9_PS6_SA_NS0_19identity_decomposerEEE10hipError_tT1_T2_T3_T4_jRjT5_jjP12ihipStream_tbEUlT_E_NS1_11comp_targetILNS1_3genE5ELNS1_11target_archE942ELNS1_3gpuE9ELNS1_3repE0EEENS1_44radix_sort_block_sort_config_static_selectorELNS0_4arch9wavefront6targetE1EEEvSD_: ; @_ZN7rocprim17ROCPRIM_400000_NS6detail17trampoline_kernelINS0_13kernel_configILj256ELj4ELj4294967295EEENS1_37radix_sort_block_sort_config_selectorIsNS0_10empty_typeEEEZNS1_21radix_sort_block_sortIS4_Lb0EPsS9_PS6_SA_NS0_19identity_decomposerEEE10hipError_tT1_T2_T3_T4_jRjT5_jjP12ihipStream_tbEUlT_E_NS1_11comp_targetILNS1_3genE5ELNS1_11target_archE942ELNS1_3gpuE9ELNS1_3repE0EEENS1_44radix_sort_block_sort_config_static_selectorELNS0_4arch9wavefront6targetE1EEEvSD_
; %bb.0:
	.section	.rodata,"a",@progbits
	.p2align	6, 0x0
	.amdhsa_kernel _ZN7rocprim17ROCPRIM_400000_NS6detail17trampoline_kernelINS0_13kernel_configILj256ELj4ELj4294967295EEENS1_37radix_sort_block_sort_config_selectorIsNS0_10empty_typeEEEZNS1_21radix_sort_block_sortIS4_Lb0EPsS9_PS6_SA_NS0_19identity_decomposerEEE10hipError_tT1_T2_T3_T4_jRjT5_jjP12ihipStream_tbEUlT_E_NS1_11comp_targetILNS1_3genE5ELNS1_11target_archE942ELNS1_3gpuE9ELNS1_3repE0EEENS1_44radix_sort_block_sort_config_static_selectorELNS0_4arch9wavefront6targetE1EEEvSD_
		.amdhsa_group_segment_fixed_size 0
		.amdhsa_private_segment_fixed_size 0
		.amdhsa_kernarg_size 48
		.amdhsa_user_sgpr_count 6
		.amdhsa_user_sgpr_private_segment_buffer 1
		.amdhsa_user_sgpr_dispatch_ptr 0
		.amdhsa_user_sgpr_queue_ptr 0
		.amdhsa_user_sgpr_kernarg_segment_ptr 1
		.amdhsa_user_sgpr_dispatch_id 0
		.amdhsa_user_sgpr_flat_scratch_init 0
		.amdhsa_user_sgpr_kernarg_preload_length 0
		.amdhsa_user_sgpr_kernarg_preload_offset 0
		.amdhsa_user_sgpr_private_segment_size 0
		.amdhsa_uses_dynamic_stack 0
		.amdhsa_system_sgpr_private_segment_wavefront_offset 0
		.amdhsa_system_sgpr_workgroup_id_x 1
		.amdhsa_system_sgpr_workgroup_id_y 0
		.amdhsa_system_sgpr_workgroup_id_z 0
		.amdhsa_system_sgpr_workgroup_info 0
		.amdhsa_system_vgpr_workitem_id 0
		.amdhsa_next_free_vgpr 1
		.amdhsa_next_free_sgpr 0
		.amdhsa_accum_offset 4
		.amdhsa_reserve_vcc 0
		.amdhsa_reserve_flat_scratch 0
		.amdhsa_float_round_mode_32 0
		.amdhsa_float_round_mode_16_64 0
		.amdhsa_float_denorm_mode_32 3
		.amdhsa_float_denorm_mode_16_64 3
		.amdhsa_dx10_clamp 1
		.amdhsa_ieee_mode 1
		.amdhsa_fp16_overflow 0
		.amdhsa_tg_split 0
		.amdhsa_exception_fp_ieee_invalid_op 0
		.amdhsa_exception_fp_denorm_src 0
		.amdhsa_exception_fp_ieee_div_zero 0
		.amdhsa_exception_fp_ieee_overflow 0
		.amdhsa_exception_fp_ieee_underflow 0
		.amdhsa_exception_fp_ieee_inexact 0
		.amdhsa_exception_int_div_zero 0
	.end_amdhsa_kernel
	.section	.text._ZN7rocprim17ROCPRIM_400000_NS6detail17trampoline_kernelINS0_13kernel_configILj256ELj4ELj4294967295EEENS1_37radix_sort_block_sort_config_selectorIsNS0_10empty_typeEEEZNS1_21radix_sort_block_sortIS4_Lb0EPsS9_PS6_SA_NS0_19identity_decomposerEEE10hipError_tT1_T2_T3_T4_jRjT5_jjP12ihipStream_tbEUlT_E_NS1_11comp_targetILNS1_3genE5ELNS1_11target_archE942ELNS1_3gpuE9ELNS1_3repE0EEENS1_44radix_sort_block_sort_config_static_selectorELNS0_4arch9wavefront6targetE1EEEvSD_,"axG",@progbits,_ZN7rocprim17ROCPRIM_400000_NS6detail17trampoline_kernelINS0_13kernel_configILj256ELj4ELj4294967295EEENS1_37radix_sort_block_sort_config_selectorIsNS0_10empty_typeEEEZNS1_21radix_sort_block_sortIS4_Lb0EPsS9_PS6_SA_NS0_19identity_decomposerEEE10hipError_tT1_T2_T3_T4_jRjT5_jjP12ihipStream_tbEUlT_E_NS1_11comp_targetILNS1_3genE5ELNS1_11target_archE942ELNS1_3gpuE9ELNS1_3repE0EEENS1_44radix_sort_block_sort_config_static_selectorELNS0_4arch9wavefront6targetE1EEEvSD_,comdat
.Lfunc_end339:
	.size	_ZN7rocprim17ROCPRIM_400000_NS6detail17trampoline_kernelINS0_13kernel_configILj256ELj4ELj4294967295EEENS1_37radix_sort_block_sort_config_selectorIsNS0_10empty_typeEEEZNS1_21radix_sort_block_sortIS4_Lb0EPsS9_PS6_SA_NS0_19identity_decomposerEEE10hipError_tT1_T2_T3_T4_jRjT5_jjP12ihipStream_tbEUlT_E_NS1_11comp_targetILNS1_3genE5ELNS1_11target_archE942ELNS1_3gpuE9ELNS1_3repE0EEENS1_44radix_sort_block_sort_config_static_selectorELNS0_4arch9wavefront6targetE1EEEvSD_, .Lfunc_end339-_ZN7rocprim17ROCPRIM_400000_NS6detail17trampoline_kernelINS0_13kernel_configILj256ELj4ELj4294967295EEENS1_37radix_sort_block_sort_config_selectorIsNS0_10empty_typeEEEZNS1_21radix_sort_block_sortIS4_Lb0EPsS9_PS6_SA_NS0_19identity_decomposerEEE10hipError_tT1_T2_T3_T4_jRjT5_jjP12ihipStream_tbEUlT_E_NS1_11comp_targetILNS1_3genE5ELNS1_11target_archE942ELNS1_3gpuE9ELNS1_3repE0EEENS1_44radix_sort_block_sort_config_static_selectorELNS0_4arch9wavefront6targetE1EEEvSD_
                                        ; -- End function
	.section	.AMDGPU.csdata,"",@progbits
; Kernel info:
; codeLenInByte = 0
; NumSgprs: 4
; NumVgprs: 0
; NumAgprs: 0
; TotalNumVgprs: 0
; ScratchSize: 0
; MemoryBound: 0
; FloatMode: 240
; IeeeMode: 1
; LDSByteSize: 0 bytes/workgroup (compile time only)
; SGPRBlocks: 0
; VGPRBlocks: 0
; NumSGPRsForWavesPerEU: 4
; NumVGPRsForWavesPerEU: 1
; AccumOffset: 4
; Occupancy: 8
; WaveLimiterHint : 0
; COMPUTE_PGM_RSRC2:SCRATCH_EN: 0
; COMPUTE_PGM_RSRC2:USER_SGPR: 6
; COMPUTE_PGM_RSRC2:TRAP_HANDLER: 0
; COMPUTE_PGM_RSRC2:TGID_X_EN: 1
; COMPUTE_PGM_RSRC2:TGID_Y_EN: 0
; COMPUTE_PGM_RSRC2:TGID_Z_EN: 0
; COMPUTE_PGM_RSRC2:TIDIG_COMP_CNT: 0
; COMPUTE_PGM_RSRC3_GFX90A:ACCUM_OFFSET: 0
; COMPUTE_PGM_RSRC3_GFX90A:TG_SPLIT: 0
	.section	.text._ZN7rocprim17ROCPRIM_400000_NS6detail17trampoline_kernelINS0_13kernel_configILj256ELj4ELj4294967295EEENS1_37radix_sort_block_sort_config_selectorIsNS0_10empty_typeEEEZNS1_21radix_sort_block_sortIS4_Lb0EPsS9_PS6_SA_NS0_19identity_decomposerEEE10hipError_tT1_T2_T3_T4_jRjT5_jjP12ihipStream_tbEUlT_E_NS1_11comp_targetILNS1_3genE4ELNS1_11target_archE910ELNS1_3gpuE8ELNS1_3repE0EEENS1_44radix_sort_block_sort_config_static_selectorELNS0_4arch9wavefront6targetE1EEEvSD_,"axG",@progbits,_ZN7rocprim17ROCPRIM_400000_NS6detail17trampoline_kernelINS0_13kernel_configILj256ELj4ELj4294967295EEENS1_37radix_sort_block_sort_config_selectorIsNS0_10empty_typeEEEZNS1_21radix_sort_block_sortIS4_Lb0EPsS9_PS6_SA_NS0_19identity_decomposerEEE10hipError_tT1_T2_T3_T4_jRjT5_jjP12ihipStream_tbEUlT_E_NS1_11comp_targetILNS1_3genE4ELNS1_11target_archE910ELNS1_3gpuE8ELNS1_3repE0EEENS1_44radix_sort_block_sort_config_static_selectorELNS0_4arch9wavefront6targetE1EEEvSD_,comdat
	.protected	_ZN7rocprim17ROCPRIM_400000_NS6detail17trampoline_kernelINS0_13kernel_configILj256ELj4ELj4294967295EEENS1_37radix_sort_block_sort_config_selectorIsNS0_10empty_typeEEEZNS1_21radix_sort_block_sortIS4_Lb0EPsS9_PS6_SA_NS0_19identity_decomposerEEE10hipError_tT1_T2_T3_T4_jRjT5_jjP12ihipStream_tbEUlT_E_NS1_11comp_targetILNS1_3genE4ELNS1_11target_archE910ELNS1_3gpuE8ELNS1_3repE0EEENS1_44radix_sort_block_sort_config_static_selectorELNS0_4arch9wavefront6targetE1EEEvSD_ ; -- Begin function _ZN7rocprim17ROCPRIM_400000_NS6detail17trampoline_kernelINS0_13kernel_configILj256ELj4ELj4294967295EEENS1_37radix_sort_block_sort_config_selectorIsNS0_10empty_typeEEEZNS1_21radix_sort_block_sortIS4_Lb0EPsS9_PS6_SA_NS0_19identity_decomposerEEE10hipError_tT1_T2_T3_T4_jRjT5_jjP12ihipStream_tbEUlT_E_NS1_11comp_targetILNS1_3genE4ELNS1_11target_archE910ELNS1_3gpuE8ELNS1_3repE0EEENS1_44radix_sort_block_sort_config_static_selectorELNS0_4arch9wavefront6targetE1EEEvSD_
	.globl	_ZN7rocprim17ROCPRIM_400000_NS6detail17trampoline_kernelINS0_13kernel_configILj256ELj4ELj4294967295EEENS1_37radix_sort_block_sort_config_selectorIsNS0_10empty_typeEEEZNS1_21radix_sort_block_sortIS4_Lb0EPsS9_PS6_SA_NS0_19identity_decomposerEEE10hipError_tT1_T2_T3_T4_jRjT5_jjP12ihipStream_tbEUlT_E_NS1_11comp_targetILNS1_3genE4ELNS1_11target_archE910ELNS1_3gpuE8ELNS1_3repE0EEENS1_44radix_sort_block_sort_config_static_selectorELNS0_4arch9wavefront6targetE1EEEvSD_
	.p2align	8
	.type	_ZN7rocprim17ROCPRIM_400000_NS6detail17trampoline_kernelINS0_13kernel_configILj256ELj4ELj4294967295EEENS1_37radix_sort_block_sort_config_selectorIsNS0_10empty_typeEEEZNS1_21radix_sort_block_sortIS4_Lb0EPsS9_PS6_SA_NS0_19identity_decomposerEEE10hipError_tT1_T2_T3_T4_jRjT5_jjP12ihipStream_tbEUlT_E_NS1_11comp_targetILNS1_3genE4ELNS1_11target_archE910ELNS1_3gpuE8ELNS1_3repE0EEENS1_44radix_sort_block_sort_config_static_selectorELNS0_4arch9wavefront6targetE1EEEvSD_,@function
_ZN7rocprim17ROCPRIM_400000_NS6detail17trampoline_kernelINS0_13kernel_configILj256ELj4ELj4294967295EEENS1_37radix_sort_block_sort_config_selectorIsNS0_10empty_typeEEEZNS1_21radix_sort_block_sortIS4_Lb0EPsS9_PS6_SA_NS0_19identity_decomposerEEE10hipError_tT1_T2_T3_T4_jRjT5_jjP12ihipStream_tbEUlT_E_NS1_11comp_targetILNS1_3genE4ELNS1_11target_archE910ELNS1_3gpuE8ELNS1_3repE0EEENS1_44radix_sort_block_sort_config_static_selectorELNS0_4arch9wavefront6targetE1EEEvSD_: ; @_ZN7rocprim17ROCPRIM_400000_NS6detail17trampoline_kernelINS0_13kernel_configILj256ELj4ELj4294967295EEENS1_37radix_sort_block_sort_config_selectorIsNS0_10empty_typeEEEZNS1_21radix_sort_block_sortIS4_Lb0EPsS9_PS6_SA_NS0_19identity_decomposerEEE10hipError_tT1_T2_T3_T4_jRjT5_jjP12ihipStream_tbEUlT_E_NS1_11comp_targetILNS1_3genE4ELNS1_11target_archE910ELNS1_3gpuE8ELNS1_3repE0EEENS1_44radix_sort_block_sort_config_static_selectorELNS0_4arch9wavefront6targetE1EEEvSD_
; %bb.0:
	s_load_dword s7, s[4:5], 0x20
	s_load_dwordx4 s[28:31], s[4:5], 0x0
	s_lshl_b32 s0, s6, 10
	s_mov_b32 s1, 0
	v_mbcnt_lo_u32_b32 v1, -1, 0
	s_waitcnt lgkmcnt(0)
	s_lshr_b32 s2, s7, 10
	s_cmp_lg_u32 s6, s2
	s_cselect_b64 s[34:35], -1, 0
	s_lshl_b64 s[36:37], s[0:1], 1
	v_mbcnt_hi_u32_b32 v1, -1, v1
	v_and_b32_e32 v4, 0x3ff, v0
	s_add_u32 s1, s28, s36
	v_and_b32_e32 v2, 63, v1
	s_addc_u32 s3, s29, s37
	v_lshlrev_b32_e32 v5, 2, v4
	v_lshlrev_b32_e32 v6, 1, v2
	v_and_b32_e32 v3, 0x300, v5
	v_mov_b32_e32 v7, s3
	v_add_co_u32_e32 v6, vcc, s1, v6
	v_addc_co_u32_e32 v7, vcc, 0, v7, vcc
	v_lshlrev_b32_e32 v8, 1, v3
	v_add_co_u32_e32 v6, vcc, v6, v8
	s_cmp_eq_u32 s6, s2
	v_addc_co_u32_e32 v7, vcc, 0, v7, vcc
	v_or_b32_e32 v9, v2, v3
	s_cbranch_scc1 .LBB340_2
; %bb.1:
	global_load_ushort v12, v[6:7], off offset:256
	global_load_ushort v13, v[6:7], off offset:384
	global_load_ushort v14, v[6:7], off
	global_load_ushort v15, v[6:7], off offset:128
	s_mov_b32 s1, 0x5040100
	v_or_b32_e32 v16, v2, v3
	v_or_b32_e32 v8, 64, v16
	v_or_b32_e32 v10, 0x80, v16
	v_or_b32_e32 v11, 0xc0, v16
	s_waitcnt vmcnt(2)
	v_perm_b32 v3, v13, v12, s1
	s_waitcnt vmcnt(0)
	v_perm_b32 v2, v15, v14, s1
	s_load_dwordx2 s[28:29], s[4:5], 0x28
	s_sub_i32 s33, s7, s0
	s_cbranch_execz .LBB340_3
	s_branch .LBB340_12
.LBB340_2:
                                        ; implicit-def: $vgpr2_vgpr3
                                        ; implicit-def: $vgpr16
                                        ; implicit-def: $vgpr8
                                        ; implicit-def: $vgpr10
                                        ; implicit-def: $vgpr11
	s_load_dwordx2 s[28:29], s[4:5], 0x28
	s_sub_i32 s33, s7, s0
.LBB340_3:
	s_mov_b32 s0, 0x7fff7fff
	s_mov_b32 s1, s0
	v_cmp_gt_u32_e32 vcc, s33, v9
	v_pk_mov_b32 v[2:3], s[0:1], s[0:1] op_sel:[0,1]
	s_and_saveexec_b64 s[0:1], vcc
	s_cbranch_execz .LBB340_5
; %bb.4:
	global_load_ushort v2, v[6:7], off
	s_movk_i32 s2, 0x7fff
	v_mov_b32_e32 v3, 0x5040100
	s_waitcnt vmcnt(0)
	v_perm_b32 v2, s2, v2, v3
	v_mov_b32_e32 v3, 0x7fff7fff
.LBB340_5:
	s_or_b64 exec, exec, s[0:1]
	v_or_b32_e32 v8, 64, v9
	v_cmp_gt_u32_e32 vcc, s33, v8
	s_and_saveexec_b64 s[0:1], vcc
	s_cbranch_execz .LBB340_7
; %bb.6:
	global_load_ushort v10, v[6:7], off offset:128
	s_mov_b32 s2, 0x5040100
	s_waitcnt vmcnt(0)
	v_perm_b32 v2, v10, v2, s2
.LBB340_7:
	s_or_b64 exec, exec, s[0:1]
	v_or_b32_e32 v10, 0x80, v9
	v_cmp_gt_u32_e32 vcc, s33, v10
	s_and_saveexec_b64 s[0:1], vcc
	s_cbranch_execz .LBB340_9
; %bb.8:
	global_load_ushort v11, v[6:7], off offset:256
	s_mov_b32 s2, 0xffff
	s_waitcnt vmcnt(0)
	v_bfi_b32 v3, s2, v11, v3
.LBB340_9:
	s_or_b64 exec, exec, s[0:1]
	v_or_b32_e32 v11, 0xc0, v9
	v_cmp_gt_u32_e32 vcc, s33, v11
	s_and_saveexec_b64 s[0:1], vcc
	s_cbranch_execz .LBB340_11
; %bb.10:
	global_load_ushort v6, v[6:7], off offset:384
	s_mov_b32 s2, 0x5040100
	s_waitcnt vmcnt(0)
	v_perm_b32 v3, v6, v3, s2
.LBB340_11:
	s_or_b64 exec, exec, s[0:1]
	v_mov_b32_e32 v16, v9
.LBB340_12:
	s_load_dword s2, s[4:5], 0x3c
	s_waitcnt lgkmcnt(0)
	s_add_i32 s38, s29, s28
	s_getpc_b64 s[0:1]
	s_add_u32 s0, s0, _ZN7rocprim17ROCPRIM_400000_NS16block_radix_sortIsLj256ELj4ENS0_10empty_typeELj1ELj1ELj0ELNS0_26block_radix_rank_algorithmE1ELNS0_18block_padding_hintE2ELNS0_4arch9wavefront6targetE1EE19radix_bits_per_passE@rel32@lo+4
	s_addc_u32 s1, s1, _ZN7rocprim17ROCPRIM_400000_NS16block_radix_sortIsLj256ELj4ENS0_10empty_typeELj1ELj1ELj0ELNS0_26block_radix_rank_algorithmE1ELNS0_18block_padding_hintE2ELNS0_4arch9wavefront6targetE1EE19radix_bits_per_passE@rel32@hi+12
	s_load_dword s39, s[0:1], 0x0
	v_bfe_u32 v6, v0, 10, 10
	s_lshr_b32 s0, s2, 16
	v_bfe_u32 v0, v0, 20, 10
	s_and_b32 s1, s2, 0xffff
	v_mad_u32_u24 v0, v0, s0, v6
	v_mad_u64_u32 v[6:7], s[0:1], v0, s1, v[4:5]
	v_and_b32_e32 v0, 15, v1
	v_cmp_eq_u32_e64 s[0:1], 0, v0
	v_cmp_lt_u32_e64 s[2:3], 1, v0
	v_cmp_lt_u32_e64 s[4:5], 3, v0
	;; [unrolled: 1-line block ×3, first 2 shown]
	v_and_b32_e32 v0, 16, v1
	v_cmp_eq_u32_e64 s[8:9], 0, v0
	v_and_b32_e32 v0, 0x3c0, v4
	v_min_u32_e32 v0, 0xc0, v0
	v_or_b32_e32 v0, 63, v0
	v_lshrrev_b32_e32 v12, 6, v6
	v_cmp_eq_u32_e64 s[12:13], v0, v4
	v_add_u32_e32 v0, -1, v1
	v_and_b32_e32 v6, 64, v1
	v_cmp_lt_i32_e32 vcc, v0, v6
	v_cndmask_b32_e32 v0, v0, v1, vcc
	s_mov_b32 s26, 0
	v_lshlrev_b32_e32 v13, 2, v0
	v_lshrrev_b32_e32 v0, 4, v4
	v_lshlrev_b32_e32 v5, 2, v5
	v_cmp_lt_u32_e64 s[10:11], 31, v1
	v_cmp_eq_u32_e64 s[18:19], 0, v1
	v_and_b32_e32 v14, 60, v0
	v_mul_i32_i24_e32 v0, -12, v4
	v_and_b32_e32 v1, 3, v1
	s_mov_b32 s27, s26
	s_mov_b32 s40, s26
	s_mov_b32 s41, s26
	v_xor_b32_e32 v3, 0x80008000, v3
	v_cmp_gt_u32_e64 s[14:15], 4, v4
	v_cmp_lt_u32_e64 s[16:17], 63, v4
	v_cmp_eq_u32_e64 s[20:21], 0, v4
	v_cmp_eq_u32_e64 s[22:23], 0, v1
	v_cmp_lt_u32_e64 s[24:25], 1, v1
	v_add_u32_e32 v15, -4, v14
	v_lshlrev_b32_e32 v16, 1, v16
	v_lshlrev_b32_e32 v17, 1, v8
	;; [unrolled: 1-line block ×4, first 2 shown]
	v_xor_b32_e32 v22, 0x80008000, v2
	v_pk_mov_b32 v[6:7], s[26:27], s[26:27] op_sel:[0,1]
	v_pk_mov_b32 v[8:9], s[40:41], s[40:41] op_sel:[0,1]
	v_add_u32_e32 v20, v5, v0
	s_mov_b32 s40, 0x5040100
	v_mov_b32_e32 v10, 0
	s_branch .LBB340_14
.LBB340_13:                             ;   in Loop: Header=BB340_14 Depth=1
	s_barrier
	ds_write_b16 v0, v22
	ds_write_b16 v1, v24
	;; [unrolled: 1-line block ×4, first 2 shown]
	s_waitcnt lgkmcnt(0)
	s_barrier
	ds_read_u16 v3, v16
	ds_read_u16 v22, v17
	;; [unrolled: 1-line block ×4, first 2 shown]
	s_add_i32 s29, s29, -8
	s_waitcnt lgkmcnt(2)
	v_perm_b32 v22, v22, v3, s40
	s_waitcnt lgkmcnt(0)
	v_perm_b32 v3, v25, v23, s40
	s_barrier
	s_cbranch_execz .LBB340_30
.LBB340_14:                             ; =>This Inner Loop Header: Depth=1
	s_waitcnt lgkmcnt(0)
	s_min_u32 s26, s39, s29
	s_lshl_b32 s26, -1, s26
	s_not_b32 s41, s26
	v_lshrrev_b32_sdwa v0, s28, v22 dst_sel:DWORD dst_unused:UNUSED_PAD src0_sel:DWORD src1_sel:WORD_0
	v_and_b32_e32 v0, s41, v0
	v_lshl_add_u32 v1, v0, 2, v12
	v_lshl_add_u32 v23, v1, 2, 16
	v_and_b32_e32 v1, 1, v0
	v_add_co_u32_e32 v2, vcc, -1, v1
	v_mov_b32_e32 v21, v3
	v_addc_co_u32_e64 v3, s[26:27], 0, -1, vcc
	v_cmp_ne_u32_e32 vcc, 0, v1
	v_lshlrev_b32_e32 v11, 30, v0
	v_xor_b32_e32 v1, vcc_hi, v3
	v_not_b32_e32 v3, v11
	v_xor_b32_e32 v2, vcc_lo, v2
	v_cmp_gt_i64_e32 vcc, 0, v[10:11]
	v_ashrrev_i32_e32 v3, 31, v3
	v_and_b32_e32 v1, exec_hi, v1
	v_xor_b32_e32 v11, vcc_hi, v3
	v_and_b32_e32 v2, exec_lo, v2
	v_xor_b32_e32 v3, vcc_lo, v3
	v_and_b32_e32 v1, v1, v11
	v_lshlrev_b32_e32 v11, 29, v0
	v_and_b32_e32 v2, v2, v3
	v_not_b32_e32 v3, v11
	v_cmp_gt_i64_e32 vcc, 0, v[10:11]
	v_ashrrev_i32_e32 v3, 31, v3
	v_xor_b32_e32 v11, vcc_hi, v3
	v_xor_b32_e32 v3, vcc_lo, v3
	v_and_b32_e32 v1, v1, v11
	v_lshlrev_b32_e32 v11, 28, v0
	v_and_b32_e32 v2, v2, v3
	v_not_b32_e32 v3, v11
	v_cmp_gt_i64_e32 vcc, 0, v[10:11]
	v_ashrrev_i32_e32 v3, 31, v3
	v_xor_b32_e32 v11, vcc_hi, v3
	;; [unrolled: 8-line block ×5, first 2 shown]
	v_and_b32_e32 v1, v1, v11
	v_lshlrev_b32_e32 v11, 24, v0
	v_not_b32_e32 v0, v11
	v_xor_b32_e32 v3, vcc_lo, v3
	v_cmp_gt_i64_e32 vcc, 0, v[10:11]
	v_ashrrev_i32_e32 v0, 31, v0
	v_and_b32_e32 v2, v2, v3
	v_xor_b32_e32 v3, vcc_hi, v0
	v_xor_b32_e32 v0, vcc_lo, v0
	v_and_b32_e32 v0, v2, v0
	v_and_b32_e32 v1, v1, v3
	v_mbcnt_lo_u32_b32 v2, v0, 0
	v_mbcnt_hi_u32_b32 v25, v1, v2
	v_cmp_eq_u32_e32 vcc, 0, v25
	v_cmp_ne_u64_e64 s[26:27], 0, v[0:1]
	s_and_b64 s[42:43], s[26:27], vcc
	ds_write2_b64 v5, v[6:7], v[8:9] offset0:2 offset1:3
	s_waitcnt lgkmcnt(0)
	s_barrier
	s_waitcnt lgkmcnt(0)
	; wave barrier
	s_and_saveexec_b64 s[26:27], s[42:43]
	s_cbranch_execz .LBB340_16
; %bb.15:                               ;   in Loop: Header=BB340_14 Depth=1
	v_bcnt_u32_b32 v0, v0, 0
	v_bcnt_u32_b32 v0, v1, v0
	ds_write_b32 v23, v0
.LBB340_16:                             ;   in Loop: Header=BB340_14 Depth=1
	s_or_b64 exec, exec, s[26:27]
	v_lshrrev_b32_e32 v24, 16, v22
	v_lshrrev_b32_e32 v0, s28, v24
	v_and_b32_e32 v0, s41, v0
	v_lshlrev_b32_e32 v1, 2, v0
	v_add_lshl_u32 v1, v1, v12, 2
	; wave barrier
	v_add_u32_e32 v27, 16, v1
	ds_read_b32 v26, v1 offset:16
	v_and_b32_e32 v1, 1, v0
	v_add_co_u32_e32 v2, vcc, -1, v1
	v_addc_co_u32_e64 v3, s[26:27], 0, -1, vcc
	v_cmp_ne_u32_e32 vcc, 0, v1
	v_lshlrev_b32_e32 v11, 30, v0
	v_xor_b32_e32 v1, vcc_hi, v3
	v_not_b32_e32 v3, v11
	v_xor_b32_e32 v2, vcc_lo, v2
	v_cmp_gt_i64_e32 vcc, 0, v[10:11]
	v_ashrrev_i32_e32 v3, 31, v3
	v_and_b32_e32 v1, exec_hi, v1
	v_xor_b32_e32 v11, vcc_hi, v3
	v_and_b32_e32 v2, exec_lo, v2
	v_xor_b32_e32 v3, vcc_lo, v3
	v_and_b32_e32 v1, v1, v11
	v_lshlrev_b32_e32 v11, 29, v0
	v_and_b32_e32 v2, v2, v3
	v_not_b32_e32 v3, v11
	v_cmp_gt_i64_e32 vcc, 0, v[10:11]
	v_ashrrev_i32_e32 v3, 31, v3
	v_xor_b32_e32 v11, vcc_hi, v3
	v_xor_b32_e32 v3, vcc_lo, v3
	v_and_b32_e32 v1, v1, v11
	v_lshlrev_b32_e32 v11, 28, v0
	v_and_b32_e32 v2, v2, v3
	v_not_b32_e32 v3, v11
	v_cmp_gt_i64_e32 vcc, 0, v[10:11]
	v_ashrrev_i32_e32 v3, 31, v3
	v_xor_b32_e32 v11, vcc_hi, v3
	;; [unrolled: 8-line block ×5, first 2 shown]
	v_and_b32_e32 v1, v1, v11
	v_lshlrev_b32_e32 v11, 24, v0
	v_not_b32_e32 v0, v11
	v_xor_b32_e32 v3, vcc_lo, v3
	v_cmp_gt_i64_e32 vcc, 0, v[10:11]
	v_ashrrev_i32_e32 v0, 31, v0
	v_and_b32_e32 v2, v2, v3
	v_xor_b32_e32 v3, vcc_hi, v0
	v_xor_b32_e32 v0, vcc_lo, v0
	v_and_b32_e32 v0, v2, v0
	v_and_b32_e32 v1, v1, v3
	v_mbcnt_lo_u32_b32 v2, v0, 0
	v_mbcnt_hi_u32_b32 v28, v1, v2
	v_cmp_eq_u32_e32 vcc, 0, v28
	v_cmp_ne_u64_e64 s[26:27], 0, v[0:1]
	s_and_b64 s[42:43], s[26:27], vcc
	; wave barrier
	s_and_saveexec_b64 s[26:27], s[42:43]
	s_cbranch_execz .LBB340_18
; %bb.17:                               ;   in Loop: Header=BB340_14 Depth=1
	v_bcnt_u32_b32 v0, v0, 0
	v_bcnt_u32_b32 v0, v1, v0
	s_waitcnt lgkmcnt(0)
	v_add_u32_e32 v0, v26, v0
	ds_write_b32 v27, v0
.LBB340_18:                             ;   in Loop: Header=BB340_14 Depth=1
	s_or_b64 exec, exec, s[26:27]
	v_lshrrev_b32_sdwa v0, s28, v21 dst_sel:DWORD dst_unused:UNUSED_PAD src0_sel:DWORD src1_sel:WORD_0
	v_and_b32_e32 v0, s41, v0
	v_lshlrev_b32_e32 v1, 2, v0
	v_add_lshl_u32 v1, v1, v12, 2
	; wave barrier
	v_add_u32_e32 v30, 16, v1
	ds_read_b32 v29, v1 offset:16
	v_and_b32_e32 v1, 1, v0
	v_add_co_u32_e32 v2, vcc, -1, v1
	v_addc_co_u32_e64 v3, s[26:27], 0, -1, vcc
	v_cmp_ne_u32_e32 vcc, 0, v1
	v_lshlrev_b32_e32 v11, 30, v0
	v_xor_b32_e32 v1, vcc_hi, v3
	v_not_b32_e32 v3, v11
	v_xor_b32_e32 v2, vcc_lo, v2
	v_cmp_gt_i64_e32 vcc, 0, v[10:11]
	v_ashrrev_i32_e32 v3, 31, v3
	v_and_b32_e32 v1, exec_hi, v1
	v_xor_b32_e32 v11, vcc_hi, v3
	v_and_b32_e32 v2, exec_lo, v2
	v_xor_b32_e32 v3, vcc_lo, v3
	v_and_b32_e32 v1, v1, v11
	v_lshlrev_b32_e32 v11, 29, v0
	v_and_b32_e32 v2, v2, v3
	v_not_b32_e32 v3, v11
	v_cmp_gt_i64_e32 vcc, 0, v[10:11]
	v_ashrrev_i32_e32 v3, 31, v3
	v_xor_b32_e32 v11, vcc_hi, v3
	v_xor_b32_e32 v3, vcc_lo, v3
	v_and_b32_e32 v1, v1, v11
	v_lshlrev_b32_e32 v11, 28, v0
	v_and_b32_e32 v2, v2, v3
	v_not_b32_e32 v3, v11
	v_cmp_gt_i64_e32 vcc, 0, v[10:11]
	v_ashrrev_i32_e32 v3, 31, v3
	v_xor_b32_e32 v11, vcc_hi, v3
	v_xor_b32_e32 v3, vcc_lo, v3
	v_and_b32_e32 v1, v1, v11
	v_lshlrev_b32_e32 v11, 27, v0
	v_and_b32_e32 v2, v2, v3
	v_not_b32_e32 v3, v11
	v_cmp_gt_i64_e32 vcc, 0, v[10:11]
	v_ashrrev_i32_e32 v3, 31, v3
	v_xor_b32_e32 v11, vcc_hi, v3
	v_xor_b32_e32 v3, vcc_lo, v3
	v_and_b32_e32 v1, v1, v11
	v_lshlrev_b32_e32 v11, 26, v0
	v_and_b32_e32 v2, v2, v3
	v_not_b32_e32 v3, v11
	v_cmp_gt_i64_e32 vcc, 0, v[10:11]
	v_ashrrev_i32_e32 v3, 31, v3
	v_xor_b32_e32 v11, vcc_hi, v3
	v_xor_b32_e32 v3, vcc_lo, v3
	v_and_b32_e32 v1, v1, v11
	v_lshlrev_b32_e32 v11, 25, v0
	v_and_b32_e32 v2, v2, v3
	v_not_b32_e32 v3, v11
	v_cmp_gt_i64_e32 vcc, 0, v[10:11]
	v_ashrrev_i32_e32 v3, 31, v3
	v_xor_b32_e32 v11, vcc_hi, v3
	v_and_b32_e32 v1, v1, v11
	v_lshlrev_b32_e32 v11, 24, v0
	v_not_b32_e32 v0, v11
	v_xor_b32_e32 v3, vcc_lo, v3
	v_cmp_gt_i64_e32 vcc, 0, v[10:11]
	v_ashrrev_i32_e32 v0, 31, v0
	v_and_b32_e32 v2, v2, v3
	v_xor_b32_e32 v3, vcc_hi, v0
	v_xor_b32_e32 v0, vcc_lo, v0
	v_and_b32_e32 v0, v2, v0
	v_and_b32_e32 v1, v1, v3
	v_mbcnt_lo_u32_b32 v2, v0, 0
	v_mbcnt_hi_u32_b32 v32, v1, v2
	v_cmp_eq_u32_e32 vcc, 0, v32
	v_cmp_ne_u64_e64 s[26:27], 0, v[0:1]
	s_and_b64 s[42:43], s[26:27], vcc
	; wave barrier
	s_and_saveexec_b64 s[26:27], s[42:43]
	s_cbranch_execz .LBB340_20
; %bb.19:                               ;   in Loop: Header=BB340_14 Depth=1
	v_bcnt_u32_b32 v0, v0, 0
	v_bcnt_u32_b32 v0, v1, v0
	s_waitcnt lgkmcnt(0)
	v_add_u32_e32 v0, v29, v0
	ds_write_b32 v30, v0
.LBB340_20:                             ;   in Loop: Header=BB340_14 Depth=1
	s_or_b64 exec, exec, s[26:27]
	v_lshrrev_b32_e32 v31, 16, v21
	v_lshrrev_b32_e32 v0, s28, v31
	v_and_b32_e32 v0, s41, v0
	v_lshlrev_b32_e32 v1, 2, v0
	v_add_lshl_u32 v1, v1, v12, 2
	; wave barrier
	v_add_u32_e32 v34, 16, v1
	ds_read_b32 v33, v1 offset:16
	v_and_b32_e32 v1, 1, v0
	v_add_co_u32_e32 v2, vcc, -1, v1
	v_addc_co_u32_e64 v3, s[26:27], 0, -1, vcc
	v_cmp_ne_u32_e32 vcc, 0, v1
	v_lshlrev_b32_e32 v11, 30, v0
	v_xor_b32_e32 v1, vcc_hi, v3
	v_not_b32_e32 v3, v11
	v_xor_b32_e32 v2, vcc_lo, v2
	v_cmp_gt_i64_e32 vcc, 0, v[10:11]
	v_ashrrev_i32_e32 v3, 31, v3
	v_and_b32_e32 v1, exec_hi, v1
	v_xor_b32_e32 v11, vcc_hi, v3
	v_and_b32_e32 v2, exec_lo, v2
	v_xor_b32_e32 v3, vcc_lo, v3
	v_and_b32_e32 v1, v1, v11
	v_lshlrev_b32_e32 v11, 29, v0
	v_and_b32_e32 v2, v2, v3
	v_not_b32_e32 v3, v11
	v_cmp_gt_i64_e32 vcc, 0, v[10:11]
	v_ashrrev_i32_e32 v3, 31, v3
	v_xor_b32_e32 v11, vcc_hi, v3
	v_xor_b32_e32 v3, vcc_lo, v3
	v_and_b32_e32 v1, v1, v11
	v_lshlrev_b32_e32 v11, 28, v0
	v_and_b32_e32 v2, v2, v3
	v_not_b32_e32 v3, v11
	v_cmp_gt_i64_e32 vcc, 0, v[10:11]
	v_ashrrev_i32_e32 v3, 31, v3
	v_xor_b32_e32 v11, vcc_hi, v3
	;; [unrolled: 8-line block ×5, first 2 shown]
	v_and_b32_e32 v1, v1, v11
	v_lshlrev_b32_e32 v11, 24, v0
	v_not_b32_e32 v0, v11
	v_xor_b32_e32 v3, vcc_lo, v3
	v_cmp_gt_i64_e32 vcc, 0, v[10:11]
	v_ashrrev_i32_e32 v0, 31, v0
	v_and_b32_e32 v2, v2, v3
	v_xor_b32_e32 v3, vcc_hi, v0
	v_xor_b32_e32 v0, vcc_lo, v0
	v_and_b32_e32 v0, v2, v0
	v_and_b32_e32 v1, v1, v3
	v_mbcnt_lo_u32_b32 v2, v0, 0
	v_mbcnt_hi_u32_b32 v11, v1, v2
	v_cmp_eq_u32_e32 vcc, 0, v11
	v_cmp_ne_u64_e64 s[26:27], 0, v[0:1]
	s_and_b64 s[42:43], s[26:27], vcc
	; wave barrier
	s_and_saveexec_b64 s[26:27], s[42:43]
	s_cbranch_execz .LBB340_22
; %bb.21:                               ;   in Loop: Header=BB340_14 Depth=1
	v_bcnt_u32_b32 v0, v0, 0
	v_bcnt_u32_b32 v0, v1, v0
	s_waitcnt lgkmcnt(0)
	v_add_u32_e32 v0, v33, v0
	ds_write_b32 v34, v0
.LBB340_22:                             ;   in Loop: Header=BB340_14 Depth=1
	s_or_b64 exec, exec, s[26:27]
	; wave barrier
	s_waitcnt lgkmcnt(0)
	s_barrier
	ds_read2_b64 v[0:3], v5 offset0:2 offset1:3
	s_waitcnt lgkmcnt(0)
	v_add_u32_e32 v35, v1, v0
	v_add3_u32 v3, v35, v2, v3
	s_nop 1
	v_mov_b32_dpp v35, v3 row_shr:1 row_mask:0xf bank_mask:0xf
	v_cndmask_b32_e64 v35, v35, 0, s[0:1]
	v_add_u32_e32 v3, v35, v3
	s_nop 1
	v_mov_b32_dpp v35, v3 row_shr:2 row_mask:0xf bank_mask:0xf
	v_cndmask_b32_e64 v35, 0, v35, s[2:3]
	v_add_u32_e32 v3, v3, v35
	s_nop 1
	v_mov_b32_dpp v35, v3 row_shr:4 row_mask:0xf bank_mask:0xf
	v_cndmask_b32_e64 v35, 0, v35, s[4:5]
	v_add_u32_e32 v3, v3, v35
	s_nop 1
	v_mov_b32_dpp v35, v3 row_shr:8 row_mask:0xf bank_mask:0xf
	v_cndmask_b32_e64 v35, 0, v35, s[6:7]
	v_add_u32_e32 v3, v3, v35
	s_nop 1
	v_mov_b32_dpp v35, v3 row_bcast:15 row_mask:0xf bank_mask:0xf
	v_cndmask_b32_e64 v35, v35, 0, s[8:9]
	v_add_u32_e32 v3, v3, v35
	s_nop 1
	v_mov_b32_dpp v35, v3 row_bcast:31 row_mask:0xf bank_mask:0xf
	v_cndmask_b32_e64 v35, 0, v35, s[10:11]
	v_add_u32_e32 v3, v3, v35
	s_and_saveexec_b64 s[26:27], s[12:13]
	s_cbranch_execz .LBB340_24
; %bb.23:                               ;   in Loop: Header=BB340_14 Depth=1
	ds_write_b32 v14, v3
.LBB340_24:                             ;   in Loop: Header=BB340_14 Depth=1
	s_or_b64 exec, exec, s[26:27]
	s_waitcnt lgkmcnt(0)
	s_barrier
	s_and_saveexec_b64 s[26:27], s[14:15]
	s_cbranch_execz .LBB340_26
; %bb.25:                               ;   in Loop: Header=BB340_14 Depth=1
	ds_read_b32 v35, v20
	s_waitcnt lgkmcnt(0)
	s_nop 0
	v_mov_b32_dpp v36, v35 row_shr:1 row_mask:0xf bank_mask:0xf
	v_cndmask_b32_e64 v36, v36, 0, s[22:23]
	v_add_u32_e32 v35, v36, v35
	s_nop 1
	v_mov_b32_dpp v36, v35 row_shr:2 row_mask:0xf bank_mask:0xf
	v_cndmask_b32_e64 v36, 0, v36, s[24:25]
	v_add_u32_e32 v35, v35, v36
	ds_write_b32 v20, v35
.LBB340_26:                             ;   in Loop: Header=BB340_14 Depth=1
	s_or_b64 exec, exec, s[26:27]
	v_mov_b32_e32 v36, 0
	s_waitcnt lgkmcnt(0)
	s_barrier
	s_and_saveexec_b64 s[26:27], s[16:17]
	s_cbranch_execz .LBB340_28
; %bb.27:                               ;   in Loop: Header=BB340_14 Depth=1
	ds_read_b32 v36, v15
.LBB340_28:                             ;   in Loop: Header=BB340_14 Depth=1
	s_or_b64 exec, exec, s[26:27]
	s_waitcnt lgkmcnt(0)
	v_add_u32_e32 v3, v36, v3
	ds_bpermute_b32 v3, v13, v3
	s_add_i32 s28, s28, 8
	v_lshlrev_b32_e32 v11, 1, v11
	v_mov_b32_e32 v35, v22
	s_cmp_ge_u32 s28, s38
	s_waitcnt lgkmcnt(0)
	v_cndmask_b32_e64 v3, v3, v36, s[18:19]
	v_cndmask_b32_e64 v36, v3, 0, s[20:21]
	v_add_u32_e32 v37, v36, v0
	v_add_u32_e32 v0, v37, v1
	;; [unrolled: 1-line block ×3, first 2 shown]
	ds_write2_b64 v5, v[36:37], v[0:1] offset0:2 offset1:3
	s_waitcnt lgkmcnt(0)
	s_barrier
	ds_read_b32 v0, v23
	ds_read_b32 v1, v27
	;; [unrolled: 1-line block ×4, first 2 shown]
	v_lshlrev_b32_e32 v23, 1, v25
	s_waitcnt lgkmcnt(3)
	v_lshl_add_u32 v0, v0, 1, v23
	v_lshlrev_b32_e32 v23, 1, v28
	v_lshlrev_b32_e32 v25, 1, v26
	s_waitcnt lgkmcnt(2)
	v_lshlrev_b32_e32 v1, 1, v1
	v_add3_u32 v1, v23, v25, v1
	v_lshlrev_b32_e32 v23, 1, v32
	v_lshlrev_b32_e32 v25, 1, v29
	s_waitcnt lgkmcnt(1)
	v_lshlrev_b32_e32 v2, 1, v2
	v_add3_u32 v2, v23, v25, v2
	v_lshlrev_b32_e32 v23, 1, v33
	s_waitcnt lgkmcnt(0)
	v_lshlrev_b32_e32 v3, 1, v3
	v_add3_u32 v11, v11, v23, v3
	s_cbranch_scc0 .LBB340_13
; %bb.29:
                                        ; implicit-def: $vgpr3
                                        ; implicit-def: $vgpr22
                                        ; implicit-def: $sgpr28
.LBB340_30:
	s_barrier
	ds_write_b16 v0, v35
	ds_write_b16 v1, v24
	;; [unrolled: 1-line block ×4, first 2 shown]
	v_lshlrev_b32_e32 v0, 1, v4
	s_waitcnt lgkmcnt(0)
	s_barrier
	ds_read_u16 v1, v0
	ds_read_u16 v3, v0 offset:512
	ds_read_u16 v7, v0 offset:1024
	;; [unrolled: 1-line block ×3, first 2 shown]
	s_add_u32 s0, s30, s36
	s_addc_u32 s1, s31, s37
	s_waitcnt lgkmcnt(3)
	v_xor_b32_e32 v6, 0xffff8000, v1
	v_mov_b32_e32 v1, s1
	v_add_co_u32_e64 v0, s[0:1], s0, v0
	s_waitcnt lgkmcnt(2)
	v_xor_b32_e32 v5, 0xffff8000, v3
	s_waitcnt lgkmcnt(1)
	v_xor_b32_e32 v3, 0xffff8000, v7
	s_andn2_b64 vcc, exec, s[34:35]
	v_addc_co_u32_e64 v1, s[0:1], 0, v1, s[0:1]
	s_cbranch_vccnz .LBB340_32
; %bb.31:
	s_mov_b64 s[0:1], -1
	global_store_short v[0:1], v6, off
	global_store_short v[0:1], v5, off offset:512
	global_store_short v[0:1], v3, off offset:1024
	s_cbranch_execz .LBB340_33
	s_branch .LBB340_40
.LBB340_32:
	s_mov_b64 s[0:1], 0
.LBB340_33:
	v_cmp_gt_u32_e32 vcc, s33, v4
	s_and_saveexec_b64 s[0:1], vcc
	s_cbranch_execz .LBB340_35
; %bb.34:
	global_store_short v[0:1], v6, off
.LBB340_35:
	s_or_b64 exec, exec, s[0:1]
	v_add_u32_e32 v6, 0x100, v4
	v_cmp_gt_u32_e32 vcc, s33, v6
	s_and_saveexec_b64 s[0:1], vcc
	s_cbranch_execz .LBB340_37
; %bb.36:
	global_store_short v[0:1], v5, off offset:512
.LBB340_37:
	s_or_b64 exec, exec, s[0:1]
	v_add_u32_e32 v5, 0x200, v4
	v_cmp_gt_u32_e32 vcc, s33, v5
	s_and_saveexec_b64 s[0:1], vcc
	s_cbranch_execz .LBB340_39
; %bb.38:
	global_store_short v[0:1], v3, off offset:1024
.LBB340_39:
	s_or_b64 exec, exec, s[0:1]
	v_add_u32_e32 v3, 0x300, v4
	v_cmp_gt_u32_e64 s[0:1], s33, v3
.LBB340_40:
	s_and_saveexec_b64 s[2:3], s[0:1]
	s_cbranch_execnz .LBB340_42
; %bb.41:
	s_endpgm
.LBB340_42:
	s_waitcnt lgkmcnt(0)
	v_xor_b32_e32 v2, 0xffff8000, v2
	global_store_short v[0:1], v2, off offset:1536
	s_endpgm
	.section	.rodata,"a",@progbits
	.p2align	6, 0x0
	.amdhsa_kernel _ZN7rocprim17ROCPRIM_400000_NS6detail17trampoline_kernelINS0_13kernel_configILj256ELj4ELj4294967295EEENS1_37radix_sort_block_sort_config_selectorIsNS0_10empty_typeEEEZNS1_21radix_sort_block_sortIS4_Lb0EPsS9_PS6_SA_NS0_19identity_decomposerEEE10hipError_tT1_T2_T3_T4_jRjT5_jjP12ihipStream_tbEUlT_E_NS1_11comp_targetILNS1_3genE4ELNS1_11target_archE910ELNS1_3gpuE8ELNS1_3repE0EEENS1_44radix_sort_block_sort_config_static_selectorELNS0_4arch9wavefront6targetE1EEEvSD_
		.amdhsa_group_segment_fixed_size 4112
		.amdhsa_private_segment_fixed_size 0
		.amdhsa_kernarg_size 304
		.amdhsa_user_sgpr_count 6
		.amdhsa_user_sgpr_private_segment_buffer 1
		.amdhsa_user_sgpr_dispatch_ptr 0
		.amdhsa_user_sgpr_queue_ptr 0
		.amdhsa_user_sgpr_kernarg_segment_ptr 1
		.amdhsa_user_sgpr_dispatch_id 0
		.amdhsa_user_sgpr_flat_scratch_init 0
		.amdhsa_user_sgpr_kernarg_preload_length 0
		.amdhsa_user_sgpr_kernarg_preload_offset 0
		.amdhsa_user_sgpr_private_segment_size 0
		.amdhsa_uses_dynamic_stack 0
		.amdhsa_system_sgpr_private_segment_wavefront_offset 0
		.amdhsa_system_sgpr_workgroup_id_x 1
		.amdhsa_system_sgpr_workgroup_id_y 0
		.amdhsa_system_sgpr_workgroup_id_z 0
		.amdhsa_system_sgpr_workgroup_info 0
		.amdhsa_system_vgpr_workitem_id 2
		.amdhsa_next_free_vgpr 38
		.amdhsa_next_free_sgpr 44
		.amdhsa_accum_offset 40
		.amdhsa_reserve_vcc 1
		.amdhsa_reserve_flat_scratch 0
		.amdhsa_float_round_mode_32 0
		.amdhsa_float_round_mode_16_64 0
		.amdhsa_float_denorm_mode_32 3
		.amdhsa_float_denorm_mode_16_64 3
		.amdhsa_dx10_clamp 1
		.amdhsa_ieee_mode 1
		.amdhsa_fp16_overflow 0
		.amdhsa_tg_split 0
		.amdhsa_exception_fp_ieee_invalid_op 0
		.amdhsa_exception_fp_denorm_src 0
		.amdhsa_exception_fp_ieee_div_zero 0
		.amdhsa_exception_fp_ieee_overflow 0
		.amdhsa_exception_fp_ieee_underflow 0
		.amdhsa_exception_fp_ieee_inexact 0
		.amdhsa_exception_int_div_zero 0
	.end_amdhsa_kernel
	.section	.text._ZN7rocprim17ROCPRIM_400000_NS6detail17trampoline_kernelINS0_13kernel_configILj256ELj4ELj4294967295EEENS1_37radix_sort_block_sort_config_selectorIsNS0_10empty_typeEEEZNS1_21radix_sort_block_sortIS4_Lb0EPsS9_PS6_SA_NS0_19identity_decomposerEEE10hipError_tT1_T2_T3_T4_jRjT5_jjP12ihipStream_tbEUlT_E_NS1_11comp_targetILNS1_3genE4ELNS1_11target_archE910ELNS1_3gpuE8ELNS1_3repE0EEENS1_44radix_sort_block_sort_config_static_selectorELNS0_4arch9wavefront6targetE1EEEvSD_,"axG",@progbits,_ZN7rocprim17ROCPRIM_400000_NS6detail17trampoline_kernelINS0_13kernel_configILj256ELj4ELj4294967295EEENS1_37radix_sort_block_sort_config_selectorIsNS0_10empty_typeEEEZNS1_21radix_sort_block_sortIS4_Lb0EPsS9_PS6_SA_NS0_19identity_decomposerEEE10hipError_tT1_T2_T3_T4_jRjT5_jjP12ihipStream_tbEUlT_E_NS1_11comp_targetILNS1_3genE4ELNS1_11target_archE910ELNS1_3gpuE8ELNS1_3repE0EEENS1_44radix_sort_block_sort_config_static_selectorELNS0_4arch9wavefront6targetE1EEEvSD_,comdat
.Lfunc_end340:
	.size	_ZN7rocprim17ROCPRIM_400000_NS6detail17trampoline_kernelINS0_13kernel_configILj256ELj4ELj4294967295EEENS1_37radix_sort_block_sort_config_selectorIsNS0_10empty_typeEEEZNS1_21radix_sort_block_sortIS4_Lb0EPsS9_PS6_SA_NS0_19identity_decomposerEEE10hipError_tT1_T2_T3_T4_jRjT5_jjP12ihipStream_tbEUlT_E_NS1_11comp_targetILNS1_3genE4ELNS1_11target_archE910ELNS1_3gpuE8ELNS1_3repE0EEENS1_44radix_sort_block_sort_config_static_selectorELNS0_4arch9wavefront6targetE1EEEvSD_, .Lfunc_end340-_ZN7rocprim17ROCPRIM_400000_NS6detail17trampoline_kernelINS0_13kernel_configILj256ELj4ELj4294967295EEENS1_37radix_sort_block_sort_config_selectorIsNS0_10empty_typeEEEZNS1_21radix_sort_block_sortIS4_Lb0EPsS9_PS6_SA_NS0_19identity_decomposerEEE10hipError_tT1_T2_T3_T4_jRjT5_jjP12ihipStream_tbEUlT_E_NS1_11comp_targetILNS1_3genE4ELNS1_11target_archE910ELNS1_3gpuE8ELNS1_3repE0EEENS1_44radix_sort_block_sort_config_static_selectorELNS0_4arch9wavefront6targetE1EEEvSD_
                                        ; -- End function
	.section	.AMDGPU.csdata,"",@progbits
; Kernel info:
; codeLenInByte = 3308
; NumSgprs: 48
; NumVgprs: 38
; NumAgprs: 0
; TotalNumVgprs: 38
; ScratchSize: 0
; MemoryBound: 0
; FloatMode: 240
; IeeeMode: 1
; LDSByteSize: 4112 bytes/workgroup (compile time only)
; SGPRBlocks: 5
; VGPRBlocks: 4
; NumSGPRsForWavesPerEU: 48
; NumVGPRsForWavesPerEU: 38
; AccumOffset: 40
; Occupancy: 8
; WaveLimiterHint : 1
; COMPUTE_PGM_RSRC2:SCRATCH_EN: 0
; COMPUTE_PGM_RSRC2:USER_SGPR: 6
; COMPUTE_PGM_RSRC2:TRAP_HANDLER: 0
; COMPUTE_PGM_RSRC2:TGID_X_EN: 1
; COMPUTE_PGM_RSRC2:TGID_Y_EN: 0
; COMPUTE_PGM_RSRC2:TGID_Z_EN: 0
; COMPUTE_PGM_RSRC2:TIDIG_COMP_CNT: 2
; COMPUTE_PGM_RSRC3_GFX90A:ACCUM_OFFSET: 9
; COMPUTE_PGM_RSRC3_GFX90A:TG_SPLIT: 0
	.section	.text._ZN7rocprim17ROCPRIM_400000_NS6detail17trampoline_kernelINS0_13kernel_configILj256ELj4ELj4294967295EEENS1_37radix_sort_block_sort_config_selectorIsNS0_10empty_typeEEEZNS1_21radix_sort_block_sortIS4_Lb0EPsS9_PS6_SA_NS0_19identity_decomposerEEE10hipError_tT1_T2_T3_T4_jRjT5_jjP12ihipStream_tbEUlT_E_NS1_11comp_targetILNS1_3genE3ELNS1_11target_archE908ELNS1_3gpuE7ELNS1_3repE0EEENS1_44radix_sort_block_sort_config_static_selectorELNS0_4arch9wavefront6targetE1EEEvSD_,"axG",@progbits,_ZN7rocprim17ROCPRIM_400000_NS6detail17trampoline_kernelINS0_13kernel_configILj256ELj4ELj4294967295EEENS1_37radix_sort_block_sort_config_selectorIsNS0_10empty_typeEEEZNS1_21radix_sort_block_sortIS4_Lb0EPsS9_PS6_SA_NS0_19identity_decomposerEEE10hipError_tT1_T2_T3_T4_jRjT5_jjP12ihipStream_tbEUlT_E_NS1_11comp_targetILNS1_3genE3ELNS1_11target_archE908ELNS1_3gpuE7ELNS1_3repE0EEENS1_44radix_sort_block_sort_config_static_selectorELNS0_4arch9wavefront6targetE1EEEvSD_,comdat
	.protected	_ZN7rocprim17ROCPRIM_400000_NS6detail17trampoline_kernelINS0_13kernel_configILj256ELj4ELj4294967295EEENS1_37radix_sort_block_sort_config_selectorIsNS0_10empty_typeEEEZNS1_21radix_sort_block_sortIS4_Lb0EPsS9_PS6_SA_NS0_19identity_decomposerEEE10hipError_tT1_T2_T3_T4_jRjT5_jjP12ihipStream_tbEUlT_E_NS1_11comp_targetILNS1_3genE3ELNS1_11target_archE908ELNS1_3gpuE7ELNS1_3repE0EEENS1_44radix_sort_block_sort_config_static_selectorELNS0_4arch9wavefront6targetE1EEEvSD_ ; -- Begin function _ZN7rocprim17ROCPRIM_400000_NS6detail17trampoline_kernelINS0_13kernel_configILj256ELj4ELj4294967295EEENS1_37radix_sort_block_sort_config_selectorIsNS0_10empty_typeEEEZNS1_21radix_sort_block_sortIS4_Lb0EPsS9_PS6_SA_NS0_19identity_decomposerEEE10hipError_tT1_T2_T3_T4_jRjT5_jjP12ihipStream_tbEUlT_E_NS1_11comp_targetILNS1_3genE3ELNS1_11target_archE908ELNS1_3gpuE7ELNS1_3repE0EEENS1_44radix_sort_block_sort_config_static_selectorELNS0_4arch9wavefront6targetE1EEEvSD_
	.globl	_ZN7rocprim17ROCPRIM_400000_NS6detail17trampoline_kernelINS0_13kernel_configILj256ELj4ELj4294967295EEENS1_37radix_sort_block_sort_config_selectorIsNS0_10empty_typeEEEZNS1_21radix_sort_block_sortIS4_Lb0EPsS9_PS6_SA_NS0_19identity_decomposerEEE10hipError_tT1_T2_T3_T4_jRjT5_jjP12ihipStream_tbEUlT_E_NS1_11comp_targetILNS1_3genE3ELNS1_11target_archE908ELNS1_3gpuE7ELNS1_3repE0EEENS1_44radix_sort_block_sort_config_static_selectorELNS0_4arch9wavefront6targetE1EEEvSD_
	.p2align	8
	.type	_ZN7rocprim17ROCPRIM_400000_NS6detail17trampoline_kernelINS0_13kernel_configILj256ELj4ELj4294967295EEENS1_37radix_sort_block_sort_config_selectorIsNS0_10empty_typeEEEZNS1_21radix_sort_block_sortIS4_Lb0EPsS9_PS6_SA_NS0_19identity_decomposerEEE10hipError_tT1_T2_T3_T4_jRjT5_jjP12ihipStream_tbEUlT_E_NS1_11comp_targetILNS1_3genE3ELNS1_11target_archE908ELNS1_3gpuE7ELNS1_3repE0EEENS1_44radix_sort_block_sort_config_static_selectorELNS0_4arch9wavefront6targetE1EEEvSD_,@function
_ZN7rocprim17ROCPRIM_400000_NS6detail17trampoline_kernelINS0_13kernel_configILj256ELj4ELj4294967295EEENS1_37radix_sort_block_sort_config_selectorIsNS0_10empty_typeEEEZNS1_21radix_sort_block_sortIS4_Lb0EPsS9_PS6_SA_NS0_19identity_decomposerEEE10hipError_tT1_T2_T3_T4_jRjT5_jjP12ihipStream_tbEUlT_E_NS1_11comp_targetILNS1_3genE3ELNS1_11target_archE908ELNS1_3gpuE7ELNS1_3repE0EEENS1_44radix_sort_block_sort_config_static_selectorELNS0_4arch9wavefront6targetE1EEEvSD_: ; @_ZN7rocprim17ROCPRIM_400000_NS6detail17trampoline_kernelINS0_13kernel_configILj256ELj4ELj4294967295EEENS1_37radix_sort_block_sort_config_selectorIsNS0_10empty_typeEEEZNS1_21radix_sort_block_sortIS4_Lb0EPsS9_PS6_SA_NS0_19identity_decomposerEEE10hipError_tT1_T2_T3_T4_jRjT5_jjP12ihipStream_tbEUlT_E_NS1_11comp_targetILNS1_3genE3ELNS1_11target_archE908ELNS1_3gpuE7ELNS1_3repE0EEENS1_44radix_sort_block_sort_config_static_selectorELNS0_4arch9wavefront6targetE1EEEvSD_
; %bb.0:
	.section	.rodata,"a",@progbits
	.p2align	6, 0x0
	.amdhsa_kernel _ZN7rocprim17ROCPRIM_400000_NS6detail17trampoline_kernelINS0_13kernel_configILj256ELj4ELj4294967295EEENS1_37radix_sort_block_sort_config_selectorIsNS0_10empty_typeEEEZNS1_21radix_sort_block_sortIS4_Lb0EPsS9_PS6_SA_NS0_19identity_decomposerEEE10hipError_tT1_T2_T3_T4_jRjT5_jjP12ihipStream_tbEUlT_E_NS1_11comp_targetILNS1_3genE3ELNS1_11target_archE908ELNS1_3gpuE7ELNS1_3repE0EEENS1_44radix_sort_block_sort_config_static_selectorELNS0_4arch9wavefront6targetE1EEEvSD_
		.amdhsa_group_segment_fixed_size 0
		.amdhsa_private_segment_fixed_size 0
		.amdhsa_kernarg_size 48
		.amdhsa_user_sgpr_count 6
		.amdhsa_user_sgpr_private_segment_buffer 1
		.amdhsa_user_sgpr_dispatch_ptr 0
		.amdhsa_user_sgpr_queue_ptr 0
		.amdhsa_user_sgpr_kernarg_segment_ptr 1
		.amdhsa_user_sgpr_dispatch_id 0
		.amdhsa_user_sgpr_flat_scratch_init 0
		.amdhsa_user_sgpr_kernarg_preload_length 0
		.amdhsa_user_sgpr_kernarg_preload_offset 0
		.amdhsa_user_sgpr_private_segment_size 0
		.amdhsa_uses_dynamic_stack 0
		.amdhsa_system_sgpr_private_segment_wavefront_offset 0
		.amdhsa_system_sgpr_workgroup_id_x 1
		.amdhsa_system_sgpr_workgroup_id_y 0
		.amdhsa_system_sgpr_workgroup_id_z 0
		.amdhsa_system_sgpr_workgroup_info 0
		.amdhsa_system_vgpr_workitem_id 0
		.amdhsa_next_free_vgpr 1
		.amdhsa_next_free_sgpr 0
		.amdhsa_accum_offset 4
		.amdhsa_reserve_vcc 0
		.amdhsa_reserve_flat_scratch 0
		.amdhsa_float_round_mode_32 0
		.amdhsa_float_round_mode_16_64 0
		.amdhsa_float_denorm_mode_32 3
		.amdhsa_float_denorm_mode_16_64 3
		.amdhsa_dx10_clamp 1
		.amdhsa_ieee_mode 1
		.amdhsa_fp16_overflow 0
		.amdhsa_tg_split 0
		.amdhsa_exception_fp_ieee_invalid_op 0
		.amdhsa_exception_fp_denorm_src 0
		.amdhsa_exception_fp_ieee_div_zero 0
		.amdhsa_exception_fp_ieee_overflow 0
		.amdhsa_exception_fp_ieee_underflow 0
		.amdhsa_exception_fp_ieee_inexact 0
		.amdhsa_exception_int_div_zero 0
	.end_amdhsa_kernel
	.section	.text._ZN7rocprim17ROCPRIM_400000_NS6detail17trampoline_kernelINS0_13kernel_configILj256ELj4ELj4294967295EEENS1_37radix_sort_block_sort_config_selectorIsNS0_10empty_typeEEEZNS1_21radix_sort_block_sortIS4_Lb0EPsS9_PS6_SA_NS0_19identity_decomposerEEE10hipError_tT1_T2_T3_T4_jRjT5_jjP12ihipStream_tbEUlT_E_NS1_11comp_targetILNS1_3genE3ELNS1_11target_archE908ELNS1_3gpuE7ELNS1_3repE0EEENS1_44radix_sort_block_sort_config_static_selectorELNS0_4arch9wavefront6targetE1EEEvSD_,"axG",@progbits,_ZN7rocprim17ROCPRIM_400000_NS6detail17trampoline_kernelINS0_13kernel_configILj256ELj4ELj4294967295EEENS1_37radix_sort_block_sort_config_selectorIsNS0_10empty_typeEEEZNS1_21radix_sort_block_sortIS4_Lb0EPsS9_PS6_SA_NS0_19identity_decomposerEEE10hipError_tT1_T2_T3_T4_jRjT5_jjP12ihipStream_tbEUlT_E_NS1_11comp_targetILNS1_3genE3ELNS1_11target_archE908ELNS1_3gpuE7ELNS1_3repE0EEENS1_44radix_sort_block_sort_config_static_selectorELNS0_4arch9wavefront6targetE1EEEvSD_,comdat
.Lfunc_end341:
	.size	_ZN7rocprim17ROCPRIM_400000_NS6detail17trampoline_kernelINS0_13kernel_configILj256ELj4ELj4294967295EEENS1_37radix_sort_block_sort_config_selectorIsNS0_10empty_typeEEEZNS1_21radix_sort_block_sortIS4_Lb0EPsS9_PS6_SA_NS0_19identity_decomposerEEE10hipError_tT1_T2_T3_T4_jRjT5_jjP12ihipStream_tbEUlT_E_NS1_11comp_targetILNS1_3genE3ELNS1_11target_archE908ELNS1_3gpuE7ELNS1_3repE0EEENS1_44radix_sort_block_sort_config_static_selectorELNS0_4arch9wavefront6targetE1EEEvSD_, .Lfunc_end341-_ZN7rocprim17ROCPRIM_400000_NS6detail17trampoline_kernelINS0_13kernel_configILj256ELj4ELj4294967295EEENS1_37radix_sort_block_sort_config_selectorIsNS0_10empty_typeEEEZNS1_21radix_sort_block_sortIS4_Lb0EPsS9_PS6_SA_NS0_19identity_decomposerEEE10hipError_tT1_T2_T3_T4_jRjT5_jjP12ihipStream_tbEUlT_E_NS1_11comp_targetILNS1_3genE3ELNS1_11target_archE908ELNS1_3gpuE7ELNS1_3repE0EEENS1_44radix_sort_block_sort_config_static_selectorELNS0_4arch9wavefront6targetE1EEEvSD_
                                        ; -- End function
	.section	.AMDGPU.csdata,"",@progbits
; Kernel info:
; codeLenInByte = 0
; NumSgprs: 4
; NumVgprs: 0
; NumAgprs: 0
; TotalNumVgprs: 0
; ScratchSize: 0
; MemoryBound: 0
; FloatMode: 240
; IeeeMode: 1
; LDSByteSize: 0 bytes/workgroup (compile time only)
; SGPRBlocks: 0
; VGPRBlocks: 0
; NumSGPRsForWavesPerEU: 4
; NumVGPRsForWavesPerEU: 1
; AccumOffset: 4
; Occupancy: 8
; WaveLimiterHint : 0
; COMPUTE_PGM_RSRC2:SCRATCH_EN: 0
; COMPUTE_PGM_RSRC2:USER_SGPR: 6
; COMPUTE_PGM_RSRC2:TRAP_HANDLER: 0
; COMPUTE_PGM_RSRC2:TGID_X_EN: 1
; COMPUTE_PGM_RSRC2:TGID_Y_EN: 0
; COMPUTE_PGM_RSRC2:TGID_Z_EN: 0
; COMPUTE_PGM_RSRC2:TIDIG_COMP_CNT: 0
; COMPUTE_PGM_RSRC3_GFX90A:ACCUM_OFFSET: 0
; COMPUTE_PGM_RSRC3_GFX90A:TG_SPLIT: 0
	.section	.text._ZN7rocprim17ROCPRIM_400000_NS6detail17trampoline_kernelINS0_13kernel_configILj256ELj4ELj4294967295EEENS1_37radix_sort_block_sort_config_selectorIsNS0_10empty_typeEEEZNS1_21radix_sort_block_sortIS4_Lb0EPsS9_PS6_SA_NS0_19identity_decomposerEEE10hipError_tT1_T2_T3_T4_jRjT5_jjP12ihipStream_tbEUlT_E_NS1_11comp_targetILNS1_3genE2ELNS1_11target_archE906ELNS1_3gpuE6ELNS1_3repE0EEENS1_44radix_sort_block_sort_config_static_selectorELNS0_4arch9wavefront6targetE1EEEvSD_,"axG",@progbits,_ZN7rocprim17ROCPRIM_400000_NS6detail17trampoline_kernelINS0_13kernel_configILj256ELj4ELj4294967295EEENS1_37radix_sort_block_sort_config_selectorIsNS0_10empty_typeEEEZNS1_21radix_sort_block_sortIS4_Lb0EPsS9_PS6_SA_NS0_19identity_decomposerEEE10hipError_tT1_T2_T3_T4_jRjT5_jjP12ihipStream_tbEUlT_E_NS1_11comp_targetILNS1_3genE2ELNS1_11target_archE906ELNS1_3gpuE6ELNS1_3repE0EEENS1_44radix_sort_block_sort_config_static_selectorELNS0_4arch9wavefront6targetE1EEEvSD_,comdat
	.protected	_ZN7rocprim17ROCPRIM_400000_NS6detail17trampoline_kernelINS0_13kernel_configILj256ELj4ELj4294967295EEENS1_37radix_sort_block_sort_config_selectorIsNS0_10empty_typeEEEZNS1_21radix_sort_block_sortIS4_Lb0EPsS9_PS6_SA_NS0_19identity_decomposerEEE10hipError_tT1_T2_T3_T4_jRjT5_jjP12ihipStream_tbEUlT_E_NS1_11comp_targetILNS1_3genE2ELNS1_11target_archE906ELNS1_3gpuE6ELNS1_3repE0EEENS1_44radix_sort_block_sort_config_static_selectorELNS0_4arch9wavefront6targetE1EEEvSD_ ; -- Begin function _ZN7rocprim17ROCPRIM_400000_NS6detail17trampoline_kernelINS0_13kernel_configILj256ELj4ELj4294967295EEENS1_37radix_sort_block_sort_config_selectorIsNS0_10empty_typeEEEZNS1_21radix_sort_block_sortIS4_Lb0EPsS9_PS6_SA_NS0_19identity_decomposerEEE10hipError_tT1_T2_T3_T4_jRjT5_jjP12ihipStream_tbEUlT_E_NS1_11comp_targetILNS1_3genE2ELNS1_11target_archE906ELNS1_3gpuE6ELNS1_3repE0EEENS1_44radix_sort_block_sort_config_static_selectorELNS0_4arch9wavefront6targetE1EEEvSD_
	.globl	_ZN7rocprim17ROCPRIM_400000_NS6detail17trampoline_kernelINS0_13kernel_configILj256ELj4ELj4294967295EEENS1_37radix_sort_block_sort_config_selectorIsNS0_10empty_typeEEEZNS1_21radix_sort_block_sortIS4_Lb0EPsS9_PS6_SA_NS0_19identity_decomposerEEE10hipError_tT1_T2_T3_T4_jRjT5_jjP12ihipStream_tbEUlT_E_NS1_11comp_targetILNS1_3genE2ELNS1_11target_archE906ELNS1_3gpuE6ELNS1_3repE0EEENS1_44radix_sort_block_sort_config_static_selectorELNS0_4arch9wavefront6targetE1EEEvSD_
	.p2align	8
	.type	_ZN7rocprim17ROCPRIM_400000_NS6detail17trampoline_kernelINS0_13kernel_configILj256ELj4ELj4294967295EEENS1_37radix_sort_block_sort_config_selectorIsNS0_10empty_typeEEEZNS1_21radix_sort_block_sortIS4_Lb0EPsS9_PS6_SA_NS0_19identity_decomposerEEE10hipError_tT1_T2_T3_T4_jRjT5_jjP12ihipStream_tbEUlT_E_NS1_11comp_targetILNS1_3genE2ELNS1_11target_archE906ELNS1_3gpuE6ELNS1_3repE0EEENS1_44radix_sort_block_sort_config_static_selectorELNS0_4arch9wavefront6targetE1EEEvSD_,@function
_ZN7rocprim17ROCPRIM_400000_NS6detail17trampoline_kernelINS0_13kernel_configILj256ELj4ELj4294967295EEENS1_37radix_sort_block_sort_config_selectorIsNS0_10empty_typeEEEZNS1_21radix_sort_block_sortIS4_Lb0EPsS9_PS6_SA_NS0_19identity_decomposerEEE10hipError_tT1_T2_T3_T4_jRjT5_jjP12ihipStream_tbEUlT_E_NS1_11comp_targetILNS1_3genE2ELNS1_11target_archE906ELNS1_3gpuE6ELNS1_3repE0EEENS1_44radix_sort_block_sort_config_static_selectorELNS0_4arch9wavefront6targetE1EEEvSD_: ; @_ZN7rocprim17ROCPRIM_400000_NS6detail17trampoline_kernelINS0_13kernel_configILj256ELj4ELj4294967295EEENS1_37radix_sort_block_sort_config_selectorIsNS0_10empty_typeEEEZNS1_21radix_sort_block_sortIS4_Lb0EPsS9_PS6_SA_NS0_19identity_decomposerEEE10hipError_tT1_T2_T3_T4_jRjT5_jjP12ihipStream_tbEUlT_E_NS1_11comp_targetILNS1_3genE2ELNS1_11target_archE906ELNS1_3gpuE6ELNS1_3repE0EEENS1_44radix_sort_block_sort_config_static_selectorELNS0_4arch9wavefront6targetE1EEEvSD_
; %bb.0:
	.section	.rodata,"a",@progbits
	.p2align	6, 0x0
	.amdhsa_kernel _ZN7rocprim17ROCPRIM_400000_NS6detail17trampoline_kernelINS0_13kernel_configILj256ELj4ELj4294967295EEENS1_37radix_sort_block_sort_config_selectorIsNS0_10empty_typeEEEZNS1_21radix_sort_block_sortIS4_Lb0EPsS9_PS6_SA_NS0_19identity_decomposerEEE10hipError_tT1_T2_T3_T4_jRjT5_jjP12ihipStream_tbEUlT_E_NS1_11comp_targetILNS1_3genE2ELNS1_11target_archE906ELNS1_3gpuE6ELNS1_3repE0EEENS1_44radix_sort_block_sort_config_static_selectorELNS0_4arch9wavefront6targetE1EEEvSD_
		.amdhsa_group_segment_fixed_size 0
		.amdhsa_private_segment_fixed_size 0
		.amdhsa_kernarg_size 48
		.amdhsa_user_sgpr_count 6
		.amdhsa_user_sgpr_private_segment_buffer 1
		.amdhsa_user_sgpr_dispatch_ptr 0
		.amdhsa_user_sgpr_queue_ptr 0
		.amdhsa_user_sgpr_kernarg_segment_ptr 1
		.amdhsa_user_sgpr_dispatch_id 0
		.amdhsa_user_sgpr_flat_scratch_init 0
		.amdhsa_user_sgpr_kernarg_preload_length 0
		.amdhsa_user_sgpr_kernarg_preload_offset 0
		.amdhsa_user_sgpr_private_segment_size 0
		.amdhsa_uses_dynamic_stack 0
		.amdhsa_system_sgpr_private_segment_wavefront_offset 0
		.amdhsa_system_sgpr_workgroup_id_x 1
		.amdhsa_system_sgpr_workgroup_id_y 0
		.amdhsa_system_sgpr_workgroup_id_z 0
		.amdhsa_system_sgpr_workgroup_info 0
		.amdhsa_system_vgpr_workitem_id 0
		.amdhsa_next_free_vgpr 1
		.amdhsa_next_free_sgpr 0
		.amdhsa_accum_offset 4
		.amdhsa_reserve_vcc 0
		.amdhsa_reserve_flat_scratch 0
		.amdhsa_float_round_mode_32 0
		.amdhsa_float_round_mode_16_64 0
		.amdhsa_float_denorm_mode_32 3
		.amdhsa_float_denorm_mode_16_64 3
		.amdhsa_dx10_clamp 1
		.amdhsa_ieee_mode 1
		.amdhsa_fp16_overflow 0
		.amdhsa_tg_split 0
		.amdhsa_exception_fp_ieee_invalid_op 0
		.amdhsa_exception_fp_denorm_src 0
		.amdhsa_exception_fp_ieee_div_zero 0
		.amdhsa_exception_fp_ieee_overflow 0
		.amdhsa_exception_fp_ieee_underflow 0
		.amdhsa_exception_fp_ieee_inexact 0
		.amdhsa_exception_int_div_zero 0
	.end_amdhsa_kernel
	.section	.text._ZN7rocprim17ROCPRIM_400000_NS6detail17trampoline_kernelINS0_13kernel_configILj256ELj4ELj4294967295EEENS1_37radix_sort_block_sort_config_selectorIsNS0_10empty_typeEEEZNS1_21radix_sort_block_sortIS4_Lb0EPsS9_PS6_SA_NS0_19identity_decomposerEEE10hipError_tT1_T2_T3_T4_jRjT5_jjP12ihipStream_tbEUlT_E_NS1_11comp_targetILNS1_3genE2ELNS1_11target_archE906ELNS1_3gpuE6ELNS1_3repE0EEENS1_44radix_sort_block_sort_config_static_selectorELNS0_4arch9wavefront6targetE1EEEvSD_,"axG",@progbits,_ZN7rocprim17ROCPRIM_400000_NS6detail17trampoline_kernelINS0_13kernel_configILj256ELj4ELj4294967295EEENS1_37radix_sort_block_sort_config_selectorIsNS0_10empty_typeEEEZNS1_21radix_sort_block_sortIS4_Lb0EPsS9_PS6_SA_NS0_19identity_decomposerEEE10hipError_tT1_T2_T3_T4_jRjT5_jjP12ihipStream_tbEUlT_E_NS1_11comp_targetILNS1_3genE2ELNS1_11target_archE906ELNS1_3gpuE6ELNS1_3repE0EEENS1_44radix_sort_block_sort_config_static_selectorELNS0_4arch9wavefront6targetE1EEEvSD_,comdat
.Lfunc_end342:
	.size	_ZN7rocprim17ROCPRIM_400000_NS6detail17trampoline_kernelINS0_13kernel_configILj256ELj4ELj4294967295EEENS1_37radix_sort_block_sort_config_selectorIsNS0_10empty_typeEEEZNS1_21radix_sort_block_sortIS4_Lb0EPsS9_PS6_SA_NS0_19identity_decomposerEEE10hipError_tT1_T2_T3_T4_jRjT5_jjP12ihipStream_tbEUlT_E_NS1_11comp_targetILNS1_3genE2ELNS1_11target_archE906ELNS1_3gpuE6ELNS1_3repE0EEENS1_44radix_sort_block_sort_config_static_selectorELNS0_4arch9wavefront6targetE1EEEvSD_, .Lfunc_end342-_ZN7rocprim17ROCPRIM_400000_NS6detail17trampoline_kernelINS0_13kernel_configILj256ELj4ELj4294967295EEENS1_37radix_sort_block_sort_config_selectorIsNS0_10empty_typeEEEZNS1_21radix_sort_block_sortIS4_Lb0EPsS9_PS6_SA_NS0_19identity_decomposerEEE10hipError_tT1_T2_T3_T4_jRjT5_jjP12ihipStream_tbEUlT_E_NS1_11comp_targetILNS1_3genE2ELNS1_11target_archE906ELNS1_3gpuE6ELNS1_3repE0EEENS1_44radix_sort_block_sort_config_static_selectorELNS0_4arch9wavefront6targetE1EEEvSD_
                                        ; -- End function
	.section	.AMDGPU.csdata,"",@progbits
; Kernel info:
; codeLenInByte = 0
; NumSgprs: 4
; NumVgprs: 0
; NumAgprs: 0
; TotalNumVgprs: 0
; ScratchSize: 0
; MemoryBound: 0
; FloatMode: 240
; IeeeMode: 1
; LDSByteSize: 0 bytes/workgroup (compile time only)
; SGPRBlocks: 0
; VGPRBlocks: 0
; NumSGPRsForWavesPerEU: 4
; NumVGPRsForWavesPerEU: 1
; AccumOffset: 4
; Occupancy: 8
; WaveLimiterHint : 0
; COMPUTE_PGM_RSRC2:SCRATCH_EN: 0
; COMPUTE_PGM_RSRC2:USER_SGPR: 6
; COMPUTE_PGM_RSRC2:TRAP_HANDLER: 0
; COMPUTE_PGM_RSRC2:TGID_X_EN: 1
; COMPUTE_PGM_RSRC2:TGID_Y_EN: 0
; COMPUTE_PGM_RSRC2:TGID_Z_EN: 0
; COMPUTE_PGM_RSRC2:TIDIG_COMP_CNT: 0
; COMPUTE_PGM_RSRC3_GFX90A:ACCUM_OFFSET: 0
; COMPUTE_PGM_RSRC3_GFX90A:TG_SPLIT: 0
	.section	.text._ZN7rocprim17ROCPRIM_400000_NS6detail17trampoline_kernelINS0_13kernel_configILj256ELj4ELj4294967295EEENS1_37radix_sort_block_sort_config_selectorIsNS0_10empty_typeEEEZNS1_21radix_sort_block_sortIS4_Lb0EPsS9_PS6_SA_NS0_19identity_decomposerEEE10hipError_tT1_T2_T3_T4_jRjT5_jjP12ihipStream_tbEUlT_E_NS1_11comp_targetILNS1_3genE10ELNS1_11target_archE1201ELNS1_3gpuE5ELNS1_3repE0EEENS1_44radix_sort_block_sort_config_static_selectorELNS0_4arch9wavefront6targetE1EEEvSD_,"axG",@progbits,_ZN7rocprim17ROCPRIM_400000_NS6detail17trampoline_kernelINS0_13kernel_configILj256ELj4ELj4294967295EEENS1_37radix_sort_block_sort_config_selectorIsNS0_10empty_typeEEEZNS1_21radix_sort_block_sortIS4_Lb0EPsS9_PS6_SA_NS0_19identity_decomposerEEE10hipError_tT1_T2_T3_T4_jRjT5_jjP12ihipStream_tbEUlT_E_NS1_11comp_targetILNS1_3genE10ELNS1_11target_archE1201ELNS1_3gpuE5ELNS1_3repE0EEENS1_44radix_sort_block_sort_config_static_selectorELNS0_4arch9wavefront6targetE1EEEvSD_,comdat
	.protected	_ZN7rocprim17ROCPRIM_400000_NS6detail17trampoline_kernelINS0_13kernel_configILj256ELj4ELj4294967295EEENS1_37radix_sort_block_sort_config_selectorIsNS0_10empty_typeEEEZNS1_21radix_sort_block_sortIS4_Lb0EPsS9_PS6_SA_NS0_19identity_decomposerEEE10hipError_tT1_T2_T3_T4_jRjT5_jjP12ihipStream_tbEUlT_E_NS1_11comp_targetILNS1_3genE10ELNS1_11target_archE1201ELNS1_3gpuE5ELNS1_3repE0EEENS1_44radix_sort_block_sort_config_static_selectorELNS0_4arch9wavefront6targetE1EEEvSD_ ; -- Begin function _ZN7rocprim17ROCPRIM_400000_NS6detail17trampoline_kernelINS0_13kernel_configILj256ELj4ELj4294967295EEENS1_37radix_sort_block_sort_config_selectorIsNS0_10empty_typeEEEZNS1_21radix_sort_block_sortIS4_Lb0EPsS9_PS6_SA_NS0_19identity_decomposerEEE10hipError_tT1_T2_T3_T4_jRjT5_jjP12ihipStream_tbEUlT_E_NS1_11comp_targetILNS1_3genE10ELNS1_11target_archE1201ELNS1_3gpuE5ELNS1_3repE0EEENS1_44radix_sort_block_sort_config_static_selectorELNS0_4arch9wavefront6targetE1EEEvSD_
	.globl	_ZN7rocprim17ROCPRIM_400000_NS6detail17trampoline_kernelINS0_13kernel_configILj256ELj4ELj4294967295EEENS1_37radix_sort_block_sort_config_selectorIsNS0_10empty_typeEEEZNS1_21radix_sort_block_sortIS4_Lb0EPsS9_PS6_SA_NS0_19identity_decomposerEEE10hipError_tT1_T2_T3_T4_jRjT5_jjP12ihipStream_tbEUlT_E_NS1_11comp_targetILNS1_3genE10ELNS1_11target_archE1201ELNS1_3gpuE5ELNS1_3repE0EEENS1_44radix_sort_block_sort_config_static_selectorELNS0_4arch9wavefront6targetE1EEEvSD_
	.p2align	8
	.type	_ZN7rocprim17ROCPRIM_400000_NS6detail17trampoline_kernelINS0_13kernel_configILj256ELj4ELj4294967295EEENS1_37radix_sort_block_sort_config_selectorIsNS0_10empty_typeEEEZNS1_21radix_sort_block_sortIS4_Lb0EPsS9_PS6_SA_NS0_19identity_decomposerEEE10hipError_tT1_T2_T3_T4_jRjT5_jjP12ihipStream_tbEUlT_E_NS1_11comp_targetILNS1_3genE10ELNS1_11target_archE1201ELNS1_3gpuE5ELNS1_3repE0EEENS1_44radix_sort_block_sort_config_static_selectorELNS0_4arch9wavefront6targetE1EEEvSD_,@function
_ZN7rocprim17ROCPRIM_400000_NS6detail17trampoline_kernelINS0_13kernel_configILj256ELj4ELj4294967295EEENS1_37radix_sort_block_sort_config_selectorIsNS0_10empty_typeEEEZNS1_21radix_sort_block_sortIS4_Lb0EPsS9_PS6_SA_NS0_19identity_decomposerEEE10hipError_tT1_T2_T3_T4_jRjT5_jjP12ihipStream_tbEUlT_E_NS1_11comp_targetILNS1_3genE10ELNS1_11target_archE1201ELNS1_3gpuE5ELNS1_3repE0EEENS1_44radix_sort_block_sort_config_static_selectorELNS0_4arch9wavefront6targetE1EEEvSD_: ; @_ZN7rocprim17ROCPRIM_400000_NS6detail17trampoline_kernelINS0_13kernel_configILj256ELj4ELj4294967295EEENS1_37radix_sort_block_sort_config_selectorIsNS0_10empty_typeEEEZNS1_21radix_sort_block_sortIS4_Lb0EPsS9_PS6_SA_NS0_19identity_decomposerEEE10hipError_tT1_T2_T3_T4_jRjT5_jjP12ihipStream_tbEUlT_E_NS1_11comp_targetILNS1_3genE10ELNS1_11target_archE1201ELNS1_3gpuE5ELNS1_3repE0EEENS1_44radix_sort_block_sort_config_static_selectorELNS0_4arch9wavefront6targetE1EEEvSD_
; %bb.0:
	.section	.rodata,"a",@progbits
	.p2align	6, 0x0
	.amdhsa_kernel _ZN7rocprim17ROCPRIM_400000_NS6detail17trampoline_kernelINS0_13kernel_configILj256ELj4ELj4294967295EEENS1_37radix_sort_block_sort_config_selectorIsNS0_10empty_typeEEEZNS1_21radix_sort_block_sortIS4_Lb0EPsS9_PS6_SA_NS0_19identity_decomposerEEE10hipError_tT1_T2_T3_T4_jRjT5_jjP12ihipStream_tbEUlT_E_NS1_11comp_targetILNS1_3genE10ELNS1_11target_archE1201ELNS1_3gpuE5ELNS1_3repE0EEENS1_44radix_sort_block_sort_config_static_selectorELNS0_4arch9wavefront6targetE1EEEvSD_
		.amdhsa_group_segment_fixed_size 0
		.amdhsa_private_segment_fixed_size 0
		.amdhsa_kernarg_size 48
		.amdhsa_user_sgpr_count 6
		.amdhsa_user_sgpr_private_segment_buffer 1
		.amdhsa_user_sgpr_dispatch_ptr 0
		.amdhsa_user_sgpr_queue_ptr 0
		.amdhsa_user_sgpr_kernarg_segment_ptr 1
		.amdhsa_user_sgpr_dispatch_id 0
		.amdhsa_user_sgpr_flat_scratch_init 0
		.amdhsa_user_sgpr_kernarg_preload_length 0
		.amdhsa_user_sgpr_kernarg_preload_offset 0
		.amdhsa_user_sgpr_private_segment_size 0
		.amdhsa_uses_dynamic_stack 0
		.amdhsa_system_sgpr_private_segment_wavefront_offset 0
		.amdhsa_system_sgpr_workgroup_id_x 1
		.amdhsa_system_sgpr_workgroup_id_y 0
		.amdhsa_system_sgpr_workgroup_id_z 0
		.amdhsa_system_sgpr_workgroup_info 0
		.amdhsa_system_vgpr_workitem_id 0
		.amdhsa_next_free_vgpr 1
		.amdhsa_next_free_sgpr 0
		.amdhsa_accum_offset 4
		.amdhsa_reserve_vcc 0
		.amdhsa_reserve_flat_scratch 0
		.amdhsa_float_round_mode_32 0
		.amdhsa_float_round_mode_16_64 0
		.amdhsa_float_denorm_mode_32 3
		.amdhsa_float_denorm_mode_16_64 3
		.amdhsa_dx10_clamp 1
		.amdhsa_ieee_mode 1
		.amdhsa_fp16_overflow 0
		.amdhsa_tg_split 0
		.amdhsa_exception_fp_ieee_invalid_op 0
		.amdhsa_exception_fp_denorm_src 0
		.amdhsa_exception_fp_ieee_div_zero 0
		.amdhsa_exception_fp_ieee_overflow 0
		.amdhsa_exception_fp_ieee_underflow 0
		.amdhsa_exception_fp_ieee_inexact 0
		.amdhsa_exception_int_div_zero 0
	.end_amdhsa_kernel
	.section	.text._ZN7rocprim17ROCPRIM_400000_NS6detail17trampoline_kernelINS0_13kernel_configILj256ELj4ELj4294967295EEENS1_37radix_sort_block_sort_config_selectorIsNS0_10empty_typeEEEZNS1_21radix_sort_block_sortIS4_Lb0EPsS9_PS6_SA_NS0_19identity_decomposerEEE10hipError_tT1_T2_T3_T4_jRjT5_jjP12ihipStream_tbEUlT_E_NS1_11comp_targetILNS1_3genE10ELNS1_11target_archE1201ELNS1_3gpuE5ELNS1_3repE0EEENS1_44radix_sort_block_sort_config_static_selectorELNS0_4arch9wavefront6targetE1EEEvSD_,"axG",@progbits,_ZN7rocprim17ROCPRIM_400000_NS6detail17trampoline_kernelINS0_13kernel_configILj256ELj4ELj4294967295EEENS1_37radix_sort_block_sort_config_selectorIsNS0_10empty_typeEEEZNS1_21radix_sort_block_sortIS4_Lb0EPsS9_PS6_SA_NS0_19identity_decomposerEEE10hipError_tT1_T2_T3_T4_jRjT5_jjP12ihipStream_tbEUlT_E_NS1_11comp_targetILNS1_3genE10ELNS1_11target_archE1201ELNS1_3gpuE5ELNS1_3repE0EEENS1_44radix_sort_block_sort_config_static_selectorELNS0_4arch9wavefront6targetE1EEEvSD_,comdat
.Lfunc_end343:
	.size	_ZN7rocprim17ROCPRIM_400000_NS6detail17trampoline_kernelINS0_13kernel_configILj256ELj4ELj4294967295EEENS1_37radix_sort_block_sort_config_selectorIsNS0_10empty_typeEEEZNS1_21radix_sort_block_sortIS4_Lb0EPsS9_PS6_SA_NS0_19identity_decomposerEEE10hipError_tT1_T2_T3_T4_jRjT5_jjP12ihipStream_tbEUlT_E_NS1_11comp_targetILNS1_3genE10ELNS1_11target_archE1201ELNS1_3gpuE5ELNS1_3repE0EEENS1_44radix_sort_block_sort_config_static_selectorELNS0_4arch9wavefront6targetE1EEEvSD_, .Lfunc_end343-_ZN7rocprim17ROCPRIM_400000_NS6detail17trampoline_kernelINS0_13kernel_configILj256ELj4ELj4294967295EEENS1_37radix_sort_block_sort_config_selectorIsNS0_10empty_typeEEEZNS1_21radix_sort_block_sortIS4_Lb0EPsS9_PS6_SA_NS0_19identity_decomposerEEE10hipError_tT1_T2_T3_T4_jRjT5_jjP12ihipStream_tbEUlT_E_NS1_11comp_targetILNS1_3genE10ELNS1_11target_archE1201ELNS1_3gpuE5ELNS1_3repE0EEENS1_44radix_sort_block_sort_config_static_selectorELNS0_4arch9wavefront6targetE1EEEvSD_
                                        ; -- End function
	.section	.AMDGPU.csdata,"",@progbits
; Kernel info:
; codeLenInByte = 0
; NumSgprs: 4
; NumVgprs: 0
; NumAgprs: 0
; TotalNumVgprs: 0
; ScratchSize: 0
; MemoryBound: 0
; FloatMode: 240
; IeeeMode: 1
; LDSByteSize: 0 bytes/workgroup (compile time only)
; SGPRBlocks: 0
; VGPRBlocks: 0
; NumSGPRsForWavesPerEU: 4
; NumVGPRsForWavesPerEU: 1
; AccumOffset: 4
; Occupancy: 8
; WaveLimiterHint : 0
; COMPUTE_PGM_RSRC2:SCRATCH_EN: 0
; COMPUTE_PGM_RSRC2:USER_SGPR: 6
; COMPUTE_PGM_RSRC2:TRAP_HANDLER: 0
; COMPUTE_PGM_RSRC2:TGID_X_EN: 1
; COMPUTE_PGM_RSRC2:TGID_Y_EN: 0
; COMPUTE_PGM_RSRC2:TGID_Z_EN: 0
; COMPUTE_PGM_RSRC2:TIDIG_COMP_CNT: 0
; COMPUTE_PGM_RSRC3_GFX90A:ACCUM_OFFSET: 0
; COMPUTE_PGM_RSRC3_GFX90A:TG_SPLIT: 0
	.section	.text._ZN7rocprim17ROCPRIM_400000_NS6detail17trampoline_kernelINS0_13kernel_configILj256ELj4ELj4294967295EEENS1_37radix_sort_block_sort_config_selectorIsNS0_10empty_typeEEEZNS1_21radix_sort_block_sortIS4_Lb0EPsS9_PS6_SA_NS0_19identity_decomposerEEE10hipError_tT1_T2_T3_T4_jRjT5_jjP12ihipStream_tbEUlT_E_NS1_11comp_targetILNS1_3genE10ELNS1_11target_archE1200ELNS1_3gpuE4ELNS1_3repE0EEENS1_44radix_sort_block_sort_config_static_selectorELNS0_4arch9wavefront6targetE1EEEvSD_,"axG",@progbits,_ZN7rocprim17ROCPRIM_400000_NS6detail17trampoline_kernelINS0_13kernel_configILj256ELj4ELj4294967295EEENS1_37radix_sort_block_sort_config_selectorIsNS0_10empty_typeEEEZNS1_21radix_sort_block_sortIS4_Lb0EPsS9_PS6_SA_NS0_19identity_decomposerEEE10hipError_tT1_T2_T3_T4_jRjT5_jjP12ihipStream_tbEUlT_E_NS1_11comp_targetILNS1_3genE10ELNS1_11target_archE1200ELNS1_3gpuE4ELNS1_3repE0EEENS1_44radix_sort_block_sort_config_static_selectorELNS0_4arch9wavefront6targetE1EEEvSD_,comdat
	.protected	_ZN7rocprim17ROCPRIM_400000_NS6detail17trampoline_kernelINS0_13kernel_configILj256ELj4ELj4294967295EEENS1_37radix_sort_block_sort_config_selectorIsNS0_10empty_typeEEEZNS1_21radix_sort_block_sortIS4_Lb0EPsS9_PS6_SA_NS0_19identity_decomposerEEE10hipError_tT1_T2_T3_T4_jRjT5_jjP12ihipStream_tbEUlT_E_NS1_11comp_targetILNS1_3genE10ELNS1_11target_archE1200ELNS1_3gpuE4ELNS1_3repE0EEENS1_44radix_sort_block_sort_config_static_selectorELNS0_4arch9wavefront6targetE1EEEvSD_ ; -- Begin function _ZN7rocprim17ROCPRIM_400000_NS6detail17trampoline_kernelINS0_13kernel_configILj256ELj4ELj4294967295EEENS1_37radix_sort_block_sort_config_selectorIsNS0_10empty_typeEEEZNS1_21radix_sort_block_sortIS4_Lb0EPsS9_PS6_SA_NS0_19identity_decomposerEEE10hipError_tT1_T2_T3_T4_jRjT5_jjP12ihipStream_tbEUlT_E_NS1_11comp_targetILNS1_3genE10ELNS1_11target_archE1200ELNS1_3gpuE4ELNS1_3repE0EEENS1_44radix_sort_block_sort_config_static_selectorELNS0_4arch9wavefront6targetE1EEEvSD_
	.globl	_ZN7rocprim17ROCPRIM_400000_NS6detail17trampoline_kernelINS0_13kernel_configILj256ELj4ELj4294967295EEENS1_37radix_sort_block_sort_config_selectorIsNS0_10empty_typeEEEZNS1_21radix_sort_block_sortIS4_Lb0EPsS9_PS6_SA_NS0_19identity_decomposerEEE10hipError_tT1_T2_T3_T4_jRjT5_jjP12ihipStream_tbEUlT_E_NS1_11comp_targetILNS1_3genE10ELNS1_11target_archE1200ELNS1_3gpuE4ELNS1_3repE0EEENS1_44radix_sort_block_sort_config_static_selectorELNS0_4arch9wavefront6targetE1EEEvSD_
	.p2align	8
	.type	_ZN7rocprim17ROCPRIM_400000_NS6detail17trampoline_kernelINS0_13kernel_configILj256ELj4ELj4294967295EEENS1_37radix_sort_block_sort_config_selectorIsNS0_10empty_typeEEEZNS1_21radix_sort_block_sortIS4_Lb0EPsS9_PS6_SA_NS0_19identity_decomposerEEE10hipError_tT1_T2_T3_T4_jRjT5_jjP12ihipStream_tbEUlT_E_NS1_11comp_targetILNS1_3genE10ELNS1_11target_archE1200ELNS1_3gpuE4ELNS1_3repE0EEENS1_44radix_sort_block_sort_config_static_selectorELNS0_4arch9wavefront6targetE1EEEvSD_,@function
_ZN7rocprim17ROCPRIM_400000_NS6detail17trampoline_kernelINS0_13kernel_configILj256ELj4ELj4294967295EEENS1_37radix_sort_block_sort_config_selectorIsNS0_10empty_typeEEEZNS1_21radix_sort_block_sortIS4_Lb0EPsS9_PS6_SA_NS0_19identity_decomposerEEE10hipError_tT1_T2_T3_T4_jRjT5_jjP12ihipStream_tbEUlT_E_NS1_11comp_targetILNS1_3genE10ELNS1_11target_archE1200ELNS1_3gpuE4ELNS1_3repE0EEENS1_44radix_sort_block_sort_config_static_selectorELNS0_4arch9wavefront6targetE1EEEvSD_: ; @_ZN7rocprim17ROCPRIM_400000_NS6detail17trampoline_kernelINS0_13kernel_configILj256ELj4ELj4294967295EEENS1_37radix_sort_block_sort_config_selectorIsNS0_10empty_typeEEEZNS1_21radix_sort_block_sortIS4_Lb0EPsS9_PS6_SA_NS0_19identity_decomposerEEE10hipError_tT1_T2_T3_T4_jRjT5_jjP12ihipStream_tbEUlT_E_NS1_11comp_targetILNS1_3genE10ELNS1_11target_archE1200ELNS1_3gpuE4ELNS1_3repE0EEENS1_44radix_sort_block_sort_config_static_selectorELNS0_4arch9wavefront6targetE1EEEvSD_
; %bb.0:
	.section	.rodata,"a",@progbits
	.p2align	6, 0x0
	.amdhsa_kernel _ZN7rocprim17ROCPRIM_400000_NS6detail17trampoline_kernelINS0_13kernel_configILj256ELj4ELj4294967295EEENS1_37radix_sort_block_sort_config_selectorIsNS0_10empty_typeEEEZNS1_21radix_sort_block_sortIS4_Lb0EPsS9_PS6_SA_NS0_19identity_decomposerEEE10hipError_tT1_T2_T3_T4_jRjT5_jjP12ihipStream_tbEUlT_E_NS1_11comp_targetILNS1_3genE10ELNS1_11target_archE1200ELNS1_3gpuE4ELNS1_3repE0EEENS1_44radix_sort_block_sort_config_static_selectorELNS0_4arch9wavefront6targetE1EEEvSD_
		.amdhsa_group_segment_fixed_size 0
		.amdhsa_private_segment_fixed_size 0
		.amdhsa_kernarg_size 48
		.amdhsa_user_sgpr_count 6
		.amdhsa_user_sgpr_private_segment_buffer 1
		.amdhsa_user_sgpr_dispatch_ptr 0
		.amdhsa_user_sgpr_queue_ptr 0
		.amdhsa_user_sgpr_kernarg_segment_ptr 1
		.amdhsa_user_sgpr_dispatch_id 0
		.amdhsa_user_sgpr_flat_scratch_init 0
		.amdhsa_user_sgpr_kernarg_preload_length 0
		.amdhsa_user_sgpr_kernarg_preload_offset 0
		.amdhsa_user_sgpr_private_segment_size 0
		.amdhsa_uses_dynamic_stack 0
		.amdhsa_system_sgpr_private_segment_wavefront_offset 0
		.amdhsa_system_sgpr_workgroup_id_x 1
		.amdhsa_system_sgpr_workgroup_id_y 0
		.amdhsa_system_sgpr_workgroup_id_z 0
		.amdhsa_system_sgpr_workgroup_info 0
		.amdhsa_system_vgpr_workitem_id 0
		.amdhsa_next_free_vgpr 1
		.amdhsa_next_free_sgpr 0
		.amdhsa_accum_offset 4
		.amdhsa_reserve_vcc 0
		.amdhsa_reserve_flat_scratch 0
		.amdhsa_float_round_mode_32 0
		.amdhsa_float_round_mode_16_64 0
		.amdhsa_float_denorm_mode_32 3
		.amdhsa_float_denorm_mode_16_64 3
		.amdhsa_dx10_clamp 1
		.amdhsa_ieee_mode 1
		.amdhsa_fp16_overflow 0
		.amdhsa_tg_split 0
		.amdhsa_exception_fp_ieee_invalid_op 0
		.amdhsa_exception_fp_denorm_src 0
		.amdhsa_exception_fp_ieee_div_zero 0
		.amdhsa_exception_fp_ieee_overflow 0
		.amdhsa_exception_fp_ieee_underflow 0
		.amdhsa_exception_fp_ieee_inexact 0
		.amdhsa_exception_int_div_zero 0
	.end_amdhsa_kernel
	.section	.text._ZN7rocprim17ROCPRIM_400000_NS6detail17trampoline_kernelINS0_13kernel_configILj256ELj4ELj4294967295EEENS1_37radix_sort_block_sort_config_selectorIsNS0_10empty_typeEEEZNS1_21radix_sort_block_sortIS4_Lb0EPsS9_PS6_SA_NS0_19identity_decomposerEEE10hipError_tT1_T2_T3_T4_jRjT5_jjP12ihipStream_tbEUlT_E_NS1_11comp_targetILNS1_3genE10ELNS1_11target_archE1200ELNS1_3gpuE4ELNS1_3repE0EEENS1_44radix_sort_block_sort_config_static_selectorELNS0_4arch9wavefront6targetE1EEEvSD_,"axG",@progbits,_ZN7rocprim17ROCPRIM_400000_NS6detail17trampoline_kernelINS0_13kernel_configILj256ELj4ELj4294967295EEENS1_37radix_sort_block_sort_config_selectorIsNS0_10empty_typeEEEZNS1_21radix_sort_block_sortIS4_Lb0EPsS9_PS6_SA_NS0_19identity_decomposerEEE10hipError_tT1_T2_T3_T4_jRjT5_jjP12ihipStream_tbEUlT_E_NS1_11comp_targetILNS1_3genE10ELNS1_11target_archE1200ELNS1_3gpuE4ELNS1_3repE0EEENS1_44radix_sort_block_sort_config_static_selectorELNS0_4arch9wavefront6targetE1EEEvSD_,comdat
.Lfunc_end344:
	.size	_ZN7rocprim17ROCPRIM_400000_NS6detail17trampoline_kernelINS0_13kernel_configILj256ELj4ELj4294967295EEENS1_37radix_sort_block_sort_config_selectorIsNS0_10empty_typeEEEZNS1_21radix_sort_block_sortIS4_Lb0EPsS9_PS6_SA_NS0_19identity_decomposerEEE10hipError_tT1_T2_T3_T4_jRjT5_jjP12ihipStream_tbEUlT_E_NS1_11comp_targetILNS1_3genE10ELNS1_11target_archE1200ELNS1_3gpuE4ELNS1_3repE0EEENS1_44radix_sort_block_sort_config_static_selectorELNS0_4arch9wavefront6targetE1EEEvSD_, .Lfunc_end344-_ZN7rocprim17ROCPRIM_400000_NS6detail17trampoline_kernelINS0_13kernel_configILj256ELj4ELj4294967295EEENS1_37radix_sort_block_sort_config_selectorIsNS0_10empty_typeEEEZNS1_21radix_sort_block_sortIS4_Lb0EPsS9_PS6_SA_NS0_19identity_decomposerEEE10hipError_tT1_T2_T3_T4_jRjT5_jjP12ihipStream_tbEUlT_E_NS1_11comp_targetILNS1_3genE10ELNS1_11target_archE1200ELNS1_3gpuE4ELNS1_3repE0EEENS1_44radix_sort_block_sort_config_static_selectorELNS0_4arch9wavefront6targetE1EEEvSD_
                                        ; -- End function
	.section	.AMDGPU.csdata,"",@progbits
; Kernel info:
; codeLenInByte = 0
; NumSgprs: 4
; NumVgprs: 0
; NumAgprs: 0
; TotalNumVgprs: 0
; ScratchSize: 0
; MemoryBound: 0
; FloatMode: 240
; IeeeMode: 1
; LDSByteSize: 0 bytes/workgroup (compile time only)
; SGPRBlocks: 0
; VGPRBlocks: 0
; NumSGPRsForWavesPerEU: 4
; NumVGPRsForWavesPerEU: 1
; AccumOffset: 4
; Occupancy: 8
; WaveLimiterHint : 0
; COMPUTE_PGM_RSRC2:SCRATCH_EN: 0
; COMPUTE_PGM_RSRC2:USER_SGPR: 6
; COMPUTE_PGM_RSRC2:TRAP_HANDLER: 0
; COMPUTE_PGM_RSRC2:TGID_X_EN: 1
; COMPUTE_PGM_RSRC2:TGID_Y_EN: 0
; COMPUTE_PGM_RSRC2:TGID_Z_EN: 0
; COMPUTE_PGM_RSRC2:TIDIG_COMP_CNT: 0
; COMPUTE_PGM_RSRC3_GFX90A:ACCUM_OFFSET: 0
; COMPUTE_PGM_RSRC3_GFX90A:TG_SPLIT: 0
	.section	.text._ZN7rocprim17ROCPRIM_400000_NS6detail17trampoline_kernelINS0_13kernel_configILj256ELj4ELj4294967295EEENS1_37radix_sort_block_sort_config_selectorIsNS0_10empty_typeEEEZNS1_21radix_sort_block_sortIS4_Lb0EPsS9_PS6_SA_NS0_19identity_decomposerEEE10hipError_tT1_T2_T3_T4_jRjT5_jjP12ihipStream_tbEUlT_E_NS1_11comp_targetILNS1_3genE9ELNS1_11target_archE1100ELNS1_3gpuE3ELNS1_3repE0EEENS1_44radix_sort_block_sort_config_static_selectorELNS0_4arch9wavefront6targetE1EEEvSD_,"axG",@progbits,_ZN7rocprim17ROCPRIM_400000_NS6detail17trampoline_kernelINS0_13kernel_configILj256ELj4ELj4294967295EEENS1_37radix_sort_block_sort_config_selectorIsNS0_10empty_typeEEEZNS1_21radix_sort_block_sortIS4_Lb0EPsS9_PS6_SA_NS0_19identity_decomposerEEE10hipError_tT1_T2_T3_T4_jRjT5_jjP12ihipStream_tbEUlT_E_NS1_11comp_targetILNS1_3genE9ELNS1_11target_archE1100ELNS1_3gpuE3ELNS1_3repE0EEENS1_44radix_sort_block_sort_config_static_selectorELNS0_4arch9wavefront6targetE1EEEvSD_,comdat
	.protected	_ZN7rocprim17ROCPRIM_400000_NS6detail17trampoline_kernelINS0_13kernel_configILj256ELj4ELj4294967295EEENS1_37radix_sort_block_sort_config_selectorIsNS0_10empty_typeEEEZNS1_21radix_sort_block_sortIS4_Lb0EPsS9_PS6_SA_NS0_19identity_decomposerEEE10hipError_tT1_T2_T3_T4_jRjT5_jjP12ihipStream_tbEUlT_E_NS1_11comp_targetILNS1_3genE9ELNS1_11target_archE1100ELNS1_3gpuE3ELNS1_3repE0EEENS1_44radix_sort_block_sort_config_static_selectorELNS0_4arch9wavefront6targetE1EEEvSD_ ; -- Begin function _ZN7rocprim17ROCPRIM_400000_NS6detail17trampoline_kernelINS0_13kernel_configILj256ELj4ELj4294967295EEENS1_37radix_sort_block_sort_config_selectorIsNS0_10empty_typeEEEZNS1_21radix_sort_block_sortIS4_Lb0EPsS9_PS6_SA_NS0_19identity_decomposerEEE10hipError_tT1_T2_T3_T4_jRjT5_jjP12ihipStream_tbEUlT_E_NS1_11comp_targetILNS1_3genE9ELNS1_11target_archE1100ELNS1_3gpuE3ELNS1_3repE0EEENS1_44radix_sort_block_sort_config_static_selectorELNS0_4arch9wavefront6targetE1EEEvSD_
	.globl	_ZN7rocprim17ROCPRIM_400000_NS6detail17trampoline_kernelINS0_13kernel_configILj256ELj4ELj4294967295EEENS1_37radix_sort_block_sort_config_selectorIsNS0_10empty_typeEEEZNS1_21radix_sort_block_sortIS4_Lb0EPsS9_PS6_SA_NS0_19identity_decomposerEEE10hipError_tT1_T2_T3_T4_jRjT5_jjP12ihipStream_tbEUlT_E_NS1_11comp_targetILNS1_3genE9ELNS1_11target_archE1100ELNS1_3gpuE3ELNS1_3repE0EEENS1_44radix_sort_block_sort_config_static_selectorELNS0_4arch9wavefront6targetE1EEEvSD_
	.p2align	8
	.type	_ZN7rocprim17ROCPRIM_400000_NS6detail17trampoline_kernelINS0_13kernel_configILj256ELj4ELj4294967295EEENS1_37radix_sort_block_sort_config_selectorIsNS0_10empty_typeEEEZNS1_21radix_sort_block_sortIS4_Lb0EPsS9_PS6_SA_NS0_19identity_decomposerEEE10hipError_tT1_T2_T3_T4_jRjT5_jjP12ihipStream_tbEUlT_E_NS1_11comp_targetILNS1_3genE9ELNS1_11target_archE1100ELNS1_3gpuE3ELNS1_3repE0EEENS1_44radix_sort_block_sort_config_static_selectorELNS0_4arch9wavefront6targetE1EEEvSD_,@function
_ZN7rocprim17ROCPRIM_400000_NS6detail17trampoline_kernelINS0_13kernel_configILj256ELj4ELj4294967295EEENS1_37radix_sort_block_sort_config_selectorIsNS0_10empty_typeEEEZNS1_21radix_sort_block_sortIS4_Lb0EPsS9_PS6_SA_NS0_19identity_decomposerEEE10hipError_tT1_T2_T3_T4_jRjT5_jjP12ihipStream_tbEUlT_E_NS1_11comp_targetILNS1_3genE9ELNS1_11target_archE1100ELNS1_3gpuE3ELNS1_3repE0EEENS1_44radix_sort_block_sort_config_static_selectorELNS0_4arch9wavefront6targetE1EEEvSD_: ; @_ZN7rocprim17ROCPRIM_400000_NS6detail17trampoline_kernelINS0_13kernel_configILj256ELj4ELj4294967295EEENS1_37radix_sort_block_sort_config_selectorIsNS0_10empty_typeEEEZNS1_21radix_sort_block_sortIS4_Lb0EPsS9_PS6_SA_NS0_19identity_decomposerEEE10hipError_tT1_T2_T3_T4_jRjT5_jjP12ihipStream_tbEUlT_E_NS1_11comp_targetILNS1_3genE9ELNS1_11target_archE1100ELNS1_3gpuE3ELNS1_3repE0EEENS1_44radix_sort_block_sort_config_static_selectorELNS0_4arch9wavefront6targetE1EEEvSD_
; %bb.0:
	.section	.rodata,"a",@progbits
	.p2align	6, 0x0
	.amdhsa_kernel _ZN7rocprim17ROCPRIM_400000_NS6detail17trampoline_kernelINS0_13kernel_configILj256ELj4ELj4294967295EEENS1_37radix_sort_block_sort_config_selectorIsNS0_10empty_typeEEEZNS1_21radix_sort_block_sortIS4_Lb0EPsS9_PS6_SA_NS0_19identity_decomposerEEE10hipError_tT1_T2_T3_T4_jRjT5_jjP12ihipStream_tbEUlT_E_NS1_11comp_targetILNS1_3genE9ELNS1_11target_archE1100ELNS1_3gpuE3ELNS1_3repE0EEENS1_44radix_sort_block_sort_config_static_selectorELNS0_4arch9wavefront6targetE1EEEvSD_
		.amdhsa_group_segment_fixed_size 0
		.amdhsa_private_segment_fixed_size 0
		.amdhsa_kernarg_size 48
		.amdhsa_user_sgpr_count 6
		.amdhsa_user_sgpr_private_segment_buffer 1
		.amdhsa_user_sgpr_dispatch_ptr 0
		.amdhsa_user_sgpr_queue_ptr 0
		.amdhsa_user_sgpr_kernarg_segment_ptr 1
		.amdhsa_user_sgpr_dispatch_id 0
		.amdhsa_user_sgpr_flat_scratch_init 0
		.amdhsa_user_sgpr_kernarg_preload_length 0
		.amdhsa_user_sgpr_kernarg_preload_offset 0
		.amdhsa_user_sgpr_private_segment_size 0
		.amdhsa_uses_dynamic_stack 0
		.amdhsa_system_sgpr_private_segment_wavefront_offset 0
		.amdhsa_system_sgpr_workgroup_id_x 1
		.amdhsa_system_sgpr_workgroup_id_y 0
		.amdhsa_system_sgpr_workgroup_id_z 0
		.amdhsa_system_sgpr_workgroup_info 0
		.amdhsa_system_vgpr_workitem_id 0
		.amdhsa_next_free_vgpr 1
		.amdhsa_next_free_sgpr 0
		.amdhsa_accum_offset 4
		.amdhsa_reserve_vcc 0
		.amdhsa_reserve_flat_scratch 0
		.amdhsa_float_round_mode_32 0
		.amdhsa_float_round_mode_16_64 0
		.amdhsa_float_denorm_mode_32 3
		.amdhsa_float_denorm_mode_16_64 3
		.amdhsa_dx10_clamp 1
		.amdhsa_ieee_mode 1
		.amdhsa_fp16_overflow 0
		.amdhsa_tg_split 0
		.amdhsa_exception_fp_ieee_invalid_op 0
		.amdhsa_exception_fp_denorm_src 0
		.amdhsa_exception_fp_ieee_div_zero 0
		.amdhsa_exception_fp_ieee_overflow 0
		.amdhsa_exception_fp_ieee_underflow 0
		.amdhsa_exception_fp_ieee_inexact 0
		.amdhsa_exception_int_div_zero 0
	.end_amdhsa_kernel
	.section	.text._ZN7rocprim17ROCPRIM_400000_NS6detail17trampoline_kernelINS0_13kernel_configILj256ELj4ELj4294967295EEENS1_37radix_sort_block_sort_config_selectorIsNS0_10empty_typeEEEZNS1_21radix_sort_block_sortIS4_Lb0EPsS9_PS6_SA_NS0_19identity_decomposerEEE10hipError_tT1_T2_T3_T4_jRjT5_jjP12ihipStream_tbEUlT_E_NS1_11comp_targetILNS1_3genE9ELNS1_11target_archE1100ELNS1_3gpuE3ELNS1_3repE0EEENS1_44radix_sort_block_sort_config_static_selectorELNS0_4arch9wavefront6targetE1EEEvSD_,"axG",@progbits,_ZN7rocprim17ROCPRIM_400000_NS6detail17trampoline_kernelINS0_13kernel_configILj256ELj4ELj4294967295EEENS1_37radix_sort_block_sort_config_selectorIsNS0_10empty_typeEEEZNS1_21radix_sort_block_sortIS4_Lb0EPsS9_PS6_SA_NS0_19identity_decomposerEEE10hipError_tT1_T2_T3_T4_jRjT5_jjP12ihipStream_tbEUlT_E_NS1_11comp_targetILNS1_3genE9ELNS1_11target_archE1100ELNS1_3gpuE3ELNS1_3repE0EEENS1_44radix_sort_block_sort_config_static_selectorELNS0_4arch9wavefront6targetE1EEEvSD_,comdat
.Lfunc_end345:
	.size	_ZN7rocprim17ROCPRIM_400000_NS6detail17trampoline_kernelINS0_13kernel_configILj256ELj4ELj4294967295EEENS1_37radix_sort_block_sort_config_selectorIsNS0_10empty_typeEEEZNS1_21radix_sort_block_sortIS4_Lb0EPsS9_PS6_SA_NS0_19identity_decomposerEEE10hipError_tT1_T2_T3_T4_jRjT5_jjP12ihipStream_tbEUlT_E_NS1_11comp_targetILNS1_3genE9ELNS1_11target_archE1100ELNS1_3gpuE3ELNS1_3repE0EEENS1_44radix_sort_block_sort_config_static_selectorELNS0_4arch9wavefront6targetE1EEEvSD_, .Lfunc_end345-_ZN7rocprim17ROCPRIM_400000_NS6detail17trampoline_kernelINS0_13kernel_configILj256ELj4ELj4294967295EEENS1_37radix_sort_block_sort_config_selectorIsNS0_10empty_typeEEEZNS1_21radix_sort_block_sortIS4_Lb0EPsS9_PS6_SA_NS0_19identity_decomposerEEE10hipError_tT1_T2_T3_T4_jRjT5_jjP12ihipStream_tbEUlT_E_NS1_11comp_targetILNS1_3genE9ELNS1_11target_archE1100ELNS1_3gpuE3ELNS1_3repE0EEENS1_44radix_sort_block_sort_config_static_selectorELNS0_4arch9wavefront6targetE1EEEvSD_
                                        ; -- End function
	.section	.AMDGPU.csdata,"",@progbits
; Kernel info:
; codeLenInByte = 0
; NumSgprs: 4
; NumVgprs: 0
; NumAgprs: 0
; TotalNumVgprs: 0
; ScratchSize: 0
; MemoryBound: 0
; FloatMode: 240
; IeeeMode: 1
; LDSByteSize: 0 bytes/workgroup (compile time only)
; SGPRBlocks: 0
; VGPRBlocks: 0
; NumSGPRsForWavesPerEU: 4
; NumVGPRsForWavesPerEU: 1
; AccumOffset: 4
; Occupancy: 8
; WaveLimiterHint : 0
; COMPUTE_PGM_RSRC2:SCRATCH_EN: 0
; COMPUTE_PGM_RSRC2:USER_SGPR: 6
; COMPUTE_PGM_RSRC2:TRAP_HANDLER: 0
; COMPUTE_PGM_RSRC2:TGID_X_EN: 1
; COMPUTE_PGM_RSRC2:TGID_Y_EN: 0
; COMPUTE_PGM_RSRC2:TGID_Z_EN: 0
; COMPUTE_PGM_RSRC2:TIDIG_COMP_CNT: 0
; COMPUTE_PGM_RSRC3_GFX90A:ACCUM_OFFSET: 0
; COMPUTE_PGM_RSRC3_GFX90A:TG_SPLIT: 0
	.section	.text._ZN7rocprim17ROCPRIM_400000_NS6detail17trampoline_kernelINS0_13kernel_configILj256ELj4ELj4294967295EEENS1_37radix_sort_block_sort_config_selectorIsNS0_10empty_typeEEEZNS1_21radix_sort_block_sortIS4_Lb0EPsS9_PS6_SA_NS0_19identity_decomposerEEE10hipError_tT1_T2_T3_T4_jRjT5_jjP12ihipStream_tbEUlT_E_NS1_11comp_targetILNS1_3genE8ELNS1_11target_archE1030ELNS1_3gpuE2ELNS1_3repE0EEENS1_44radix_sort_block_sort_config_static_selectorELNS0_4arch9wavefront6targetE1EEEvSD_,"axG",@progbits,_ZN7rocprim17ROCPRIM_400000_NS6detail17trampoline_kernelINS0_13kernel_configILj256ELj4ELj4294967295EEENS1_37radix_sort_block_sort_config_selectorIsNS0_10empty_typeEEEZNS1_21radix_sort_block_sortIS4_Lb0EPsS9_PS6_SA_NS0_19identity_decomposerEEE10hipError_tT1_T2_T3_T4_jRjT5_jjP12ihipStream_tbEUlT_E_NS1_11comp_targetILNS1_3genE8ELNS1_11target_archE1030ELNS1_3gpuE2ELNS1_3repE0EEENS1_44radix_sort_block_sort_config_static_selectorELNS0_4arch9wavefront6targetE1EEEvSD_,comdat
	.protected	_ZN7rocprim17ROCPRIM_400000_NS6detail17trampoline_kernelINS0_13kernel_configILj256ELj4ELj4294967295EEENS1_37radix_sort_block_sort_config_selectorIsNS0_10empty_typeEEEZNS1_21radix_sort_block_sortIS4_Lb0EPsS9_PS6_SA_NS0_19identity_decomposerEEE10hipError_tT1_T2_T3_T4_jRjT5_jjP12ihipStream_tbEUlT_E_NS1_11comp_targetILNS1_3genE8ELNS1_11target_archE1030ELNS1_3gpuE2ELNS1_3repE0EEENS1_44radix_sort_block_sort_config_static_selectorELNS0_4arch9wavefront6targetE1EEEvSD_ ; -- Begin function _ZN7rocprim17ROCPRIM_400000_NS6detail17trampoline_kernelINS0_13kernel_configILj256ELj4ELj4294967295EEENS1_37radix_sort_block_sort_config_selectorIsNS0_10empty_typeEEEZNS1_21radix_sort_block_sortIS4_Lb0EPsS9_PS6_SA_NS0_19identity_decomposerEEE10hipError_tT1_T2_T3_T4_jRjT5_jjP12ihipStream_tbEUlT_E_NS1_11comp_targetILNS1_3genE8ELNS1_11target_archE1030ELNS1_3gpuE2ELNS1_3repE0EEENS1_44radix_sort_block_sort_config_static_selectorELNS0_4arch9wavefront6targetE1EEEvSD_
	.globl	_ZN7rocprim17ROCPRIM_400000_NS6detail17trampoline_kernelINS0_13kernel_configILj256ELj4ELj4294967295EEENS1_37radix_sort_block_sort_config_selectorIsNS0_10empty_typeEEEZNS1_21radix_sort_block_sortIS4_Lb0EPsS9_PS6_SA_NS0_19identity_decomposerEEE10hipError_tT1_T2_T3_T4_jRjT5_jjP12ihipStream_tbEUlT_E_NS1_11comp_targetILNS1_3genE8ELNS1_11target_archE1030ELNS1_3gpuE2ELNS1_3repE0EEENS1_44radix_sort_block_sort_config_static_selectorELNS0_4arch9wavefront6targetE1EEEvSD_
	.p2align	8
	.type	_ZN7rocprim17ROCPRIM_400000_NS6detail17trampoline_kernelINS0_13kernel_configILj256ELj4ELj4294967295EEENS1_37radix_sort_block_sort_config_selectorIsNS0_10empty_typeEEEZNS1_21radix_sort_block_sortIS4_Lb0EPsS9_PS6_SA_NS0_19identity_decomposerEEE10hipError_tT1_T2_T3_T4_jRjT5_jjP12ihipStream_tbEUlT_E_NS1_11comp_targetILNS1_3genE8ELNS1_11target_archE1030ELNS1_3gpuE2ELNS1_3repE0EEENS1_44radix_sort_block_sort_config_static_selectorELNS0_4arch9wavefront6targetE1EEEvSD_,@function
_ZN7rocprim17ROCPRIM_400000_NS6detail17trampoline_kernelINS0_13kernel_configILj256ELj4ELj4294967295EEENS1_37radix_sort_block_sort_config_selectorIsNS0_10empty_typeEEEZNS1_21radix_sort_block_sortIS4_Lb0EPsS9_PS6_SA_NS0_19identity_decomposerEEE10hipError_tT1_T2_T3_T4_jRjT5_jjP12ihipStream_tbEUlT_E_NS1_11comp_targetILNS1_3genE8ELNS1_11target_archE1030ELNS1_3gpuE2ELNS1_3repE0EEENS1_44radix_sort_block_sort_config_static_selectorELNS0_4arch9wavefront6targetE1EEEvSD_: ; @_ZN7rocprim17ROCPRIM_400000_NS6detail17trampoline_kernelINS0_13kernel_configILj256ELj4ELj4294967295EEENS1_37radix_sort_block_sort_config_selectorIsNS0_10empty_typeEEEZNS1_21radix_sort_block_sortIS4_Lb0EPsS9_PS6_SA_NS0_19identity_decomposerEEE10hipError_tT1_T2_T3_T4_jRjT5_jjP12ihipStream_tbEUlT_E_NS1_11comp_targetILNS1_3genE8ELNS1_11target_archE1030ELNS1_3gpuE2ELNS1_3repE0EEENS1_44radix_sort_block_sort_config_static_selectorELNS0_4arch9wavefront6targetE1EEEvSD_
; %bb.0:
	.section	.rodata,"a",@progbits
	.p2align	6, 0x0
	.amdhsa_kernel _ZN7rocprim17ROCPRIM_400000_NS6detail17trampoline_kernelINS0_13kernel_configILj256ELj4ELj4294967295EEENS1_37radix_sort_block_sort_config_selectorIsNS0_10empty_typeEEEZNS1_21radix_sort_block_sortIS4_Lb0EPsS9_PS6_SA_NS0_19identity_decomposerEEE10hipError_tT1_T2_T3_T4_jRjT5_jjP12ihipStream_tbEUlT_E_NS1_11comp_targetILNS1_3genE8ELNS1_11target_archE1030ELNS1_3gpuE2ELNS1_3repE0EEENS1_44radix_sort_block_sort_config_static_selectorELNS0_4arch9wavefront6targetE1EEEvSD_
		.amdhsa_group_segment_fixed_size 0
		.amdhsa_private_segment_fixed_size 0
		.amdhsa_kernarg_size 48
		.amdhsa_user_sgpr_count 6
		.amdhsa_user_sgpr_private_segment_buffer 1
		.amdhsa_user_sgpr_dispatch_ptr 0
		.amdhsa_user_sgpr_queue_ptr 0
		.amdhsa_user_sgpr_kernarg_segment_ptr 1
		.amdhsa_user_sgpr_dispatch_id 0
		.amdhsa_user_sgpr_flat_scratch_init 0
		.amdhsa_user_sgpr_kernarg_preload_length 0
		.amdhsa_user_sgpr_kernarg_preload_offset 0
		.amdhsa_user_sgpr_private_segment_size 0
		.amdhsa_uses_dynamic_stack 0
		.amdhsa_system_sgpr_private_segment_wavefront_offset 0
		.amdhsa_system_sgpr_workgroup_id_x 1
		.amdhsa_system_sgpr_workgroup_id_y 0
		.amdhsa_system_sgpr_workgroup_id_z 0
		.amdhsa_system_sgpr_workgroup_info 0
		.amdhsa_system_vgpr_workitem_id 0
		.amdhsa_next_free_vgpr 1
		.amdhsa_next_free_sgpr 0
		.amdhsa_accum_offset 4
		.amdhsa_reserve_vcc 0
		.amdhsa_reserve_flat_scratch 0
		.amdhsa_float_round_mode_32 0
		.amdhsa_float_round_mode_16_64 0
		.amdhsa_float_denorm_mode_32 3
		.amdhsa_float_denorm_mode_16_64 3
		.amdhsa_dx10_clamp 1
		.amdhsa_ieee_mode 1
		.amdhsa_fp16_overflow 0
		.amdhsa_tg_split 0
		.amdhsa_exception_fp_ieee_invalid_op 0
		.amdhsa_exception_fp_denorm_src 0
		.amdhsa_exception_fp_ieee_div_zero 0
		.amdhsa_exception_fp_ieee_overflow 0
		.amdhsa_exception_fp_ieee_underflow 0
		.amdhsa_exception_fp_ieee_inexact 0
		.amdhsa_exception_int_div_zero 0
	.end_amdhsa_kernel
	.section	.text._ZN7rocprim17ROCPRIM_400000_NS6detail17trampoline_kernelINS0_13kernel_configILj256ELj4ELj4294967295EEENS1_37radix_sort_block_sort_config_selectorIsNS0_10empty_typeEEEZNS1_21radix_sort_block_sortIS4_Lb0EPsS9_PS6_SA_NS0_19identity_decomposerEEE10hipError_tT1_T2_T3_T4_jRjT5_jjP12ihipStream_tbEUlT_E_NS1_11comp_targetILNS1_3genE8ELNS1_11target_archE1030ELNS1_3gpuE2ELNS1_3repE0EEENS1_44radix_sort_block_sort_config_static_selectorELNS0_4arch9wavefront6targetE1EEEvSD_,"axG",@progbits,_ZN7rocprim17ROCPRIM_400000_NS6detail17trampoline_kernelINS0_13kernel_configILj256ELj4ELj4294967295EEENS1_37radix_sort_block_sort_config_selectorIsNS0_10empty_typeEEEZNS1_21radix_sort_block_sortIS4_Lb0EPsS9_PS6_SA_NS0_19identity_decomposerEEE10hipError_tT1_T2_T3_T4_jRjT5_jjP12ihipStream_tbEUlT_E_NS1_11comp_targetILNS1_3genE8ELNS1_11target_archE1030ELNS1_3gpuE2ELNS1_3repE0EEENS1_44radix_sort_block_sort_config_static_selectorELNS0_4arch9wavefront6targetE1EEEvSD_,comdat
.Lfunc_end346:
	.size	_ZN7rocprim17ROCPRIM_400000_NS6detail17trampoline_kernelINS0_13kernel_configILj256ELj4ELj4294967295EEENS1_37radix_sort_block_sort_config_selectorIsNS0_10empty_typeEEEZNS1_21radix_sort_block_sortIS4_Lb0EPsS9_PS6_SA_NS0_19identity_decomposerEEE10hipError_tT1_T2_T3_T4_jRjT5_jjP12ihipStream_tbEUlT_E_NS1_11comp_targetILNS1_3genE8ELNS1_11target_archE1030ELNS1_3gpuE2ELNS1_3repE0EEENS1_44radix_sort_block_sort_config_static_selectorELNS0_4arch9wavefront6targetE1EEEvSD_, .Lfunc_end346-_ZN7rocprim17ROCPRIM_400000_NS6detail17trampoline_kernelINS0_13kernel_configILj256ELj4ELj4294967295EEENS1_37radix_sort_block_sort_config_selectorIsNS0_10empty_typeEEEZNS1_21radix_sort_block_sortIS4_Lb0EPsS9_PS6_SA_NS0_19identity_decomposerEEE10hipError_tT1_T2_T3_T4_jRjT5_jjP12ihipStream_tbEUlT_E_NS1_11comp_targetILNS1_3genE8ELNS1_11target_archE1030ELNS1_3gpuE2ELNS1_3repE0EEENS1_44radix_sort_block_sort_config_static_selectorELNS0_4arch9wavefront6targetE1EEEvSD_
                                        ; -- End function
	.section	.AMDGPU.csdata,"",@progbits
; Kernel info:
; codeLenInByte = 0
; NumSgprs: 4
; NumVgprs: 0
; NumAgprs: 0
; TotalNumVgprs: 0
; ScratchSize: 0
; MemoryBound: 0
; FloatMode: 240
; IeeeMode: 1
; LDSByteSize: 0 bytes/workgroup (compile time only)
; SGPRBlocks: 0
; VGPRBlocks: 0
; NumSGPRsForWavesPerEU: 4
; NumVGPRsForWavesPerEU: 1
; AccumOffset: 4
; Occupancy: 8
; WaveLimiterHint : 0
; COMPUTE_PGM_RSRC2:SCRATCH_EN: 0
; COMPUTE_PGM_RSRC2:USER_SGPR: 6
; COMPUTE_PGM_RSRC2:TRAP_HANDLER: 0
; COMPUTE_PGM_RSRC2:TGID_X_EN: 1
; COMPUTE_PGM_RSRC2:TGID_Y_EN: 0
; COMPUTE_PGM_RSRC2:TGID_Z_EN: 0
; COMPUTE_PGM_RSRC2:TIDIG_COMP_CNT: 0
; COMPUTE_PGM_RSRC3_GFX90A:ACCUM_OFFSET: 0
; COMPUTE_PGM_RSRC3_GFX90A:TG_SPLIT: 0
	.section	.text._ZN7rocprim17ROCPRIM_400000_NS6detail44device_merge_sort_compile_time_verifier_archINS1_11comp_targetILNS1_3genE0ELNS1_11target_archE4294967295ELNS1_3gpuE0ELNS1_3repE0EEES8_NS1_28merge_sort_block_sort_configILj256ELj4ELNS0_20block_sort_algorithmE0EEENS0_14default_configENS1_37merge_sort_block_sort_config_selectorIsNS0_10empty_typeEEENS1_38merge_sort_block_merge_config_selectorIsSE_EEEEvv,"axG",@progbits,_ZN7rocprim17ROCPRIM_400000_NS6detail44device_merge_sort_compile_time_verifier_archINS1_11comp_targetILNS1_3genE0ELNS1_11target_archE4294967295ELNS1_3gpuE0ELNS1_3repE0EEES8_NS1_28merge_sort_block_sort_configILj256ELj4ELNS0_20block_sort_algorithmE0EEENS0_14default_configENS1_37merge_sort_block_sort_config_selectorIsNS0_10empty_typeEEENS1_38merge_sort_block_merge_config_selectorIsSE_EEEEvv,comdat
	.protected	_ZN7rocprim17ROCPRIM_400000_NS6detail44device_merge_sort_compile_time_verifier_archINS1_11comp_targetILNS1_3genE0ELNS1_11target_archE4294967295ELNS1_3gpuE0ELNS1_3repE0EEES8_NS1_28merge_sort_block_sort_configILj256ELj4ELNS0_20block_sort_algorithmE0EEENS0_14default_configENS1_37merge_sort_block_sort_config_selectorIsNS0_10empty_typeEEENS1_38merge_sort_block_merge_config_selectorIsSE_EEEEvv ; -- Begin function _ZN7rocprim17ROCPRIM_400000_NS6detail44device_merge_sort_compile_time_verifier_archINS1_11comp_targetILNS1_3genE0ELNS1_11target_archE4294967295ELNS1_3gpuE0ELNS1_3repE0EEES8_NS1_28merge_sort_block_sort_configILj256ELj4ELNS0_20block_sort_algorithmE0EEENS0_14default_configENS1_37merge_sort_block_sort_config_selectorIsNS0_10empty_typeEEENS1_38merge_sort_block_merge_config_selectorIsSE_EEEEvv
	.globl	_ZN7rocprim17ROCPRIM_400000_NS6detail44device_merge_sort_compile_time_verifier_archINS1_11comp_targetILNS1_3genE0ELNS1_11target_archE4294967295ELNS1_3gpuE0ELNS1_3repE0EEES8_NS1_28merge_sort_block_sort_configILj256ELj4ELNS0_20block_sort_algorithmE0EEENS0_14default_configENS1_37merge_sort_block_sort_config_selectorIsNS0_10empty_typeEEENS1_38merge_sort_block_merge_config_selectorIsSE_EEEEvv
	.p2align	8
	.type	_ZN7rocprim17ROCPRIM_400000_NS6detail44device_merge_sort_compile_time_verifier_archINS1_11comp_targetILNS1_3genE0ELNS1_11target_archE4294967295ELNS1_3gpuE0ELNS1_3repE0EEES8_NS1_28merge_sort_block_sort_configILj256ELj4ELNS0_20block_sort_algorithmE0EEENS0_14default_configENS1_37merge_sort_block_sort_config_selectorIsNS0_10empty_typeEEENS1_38merge_sort_block_merge_config_selectorIsSE_EEEEvv,@function
_ZN7rocprim17ROCPRIM_400000_NS6detail44device_merge_sort_compile_time_verifier_archINS1_11comp_targetILNS1_3genE0ELNS1_11target_archE4294967295ELNS1_3gpuE0ELNS1_3repE0EEES8_NS1_28merge_sort_block_sort_configILj256ELj4ELNS0_20block_sort_algorithmE0EEENS0_14default_configENS1_37merge_sort_block_sort_config_selectorIsNS0_10empty_typeEEENS1_38merge_sort_block_merge_config_selectorIsSE_EEEEvv: ; @_ZN7rocprim17ROCPRIM_400000_NS6detail44device_merge_sort_compile_time_verifier_archINS1_11comp_targetILNS1_3genE0ELNS1_11target_archE4294967295ELNS1_3gpuE0ELNS1_3repE0EEES8_NS1_28merge_sort_block_sort_configILj256ELj4ELNS0_20block_sort_algorithmE0EEENS0_14default_configENS1_37merge_sort_block_sort_config_selectorIsNS0_10empty_typeEEENS1_38merge_sort_block_merge_config_selectorIsSE_EEEEvv
; %bb.0:
	s_endpgm
	.section	.rodata,"a",@progbits
	.p2align	6, 0x0
	.amdhsa_kernel _ZN7rocprim17ROCPRIM_400000_NS6detail44device_merge_sort_compile_time_verifier_archINS1_11comp_targetILNS1_3genE0ELNS1_11target_archE4294967295ELNS1_3gpuE0ELNS1_3repE0EEES8_NS1_28merge_sort_block_sort_configILj256ELj4ELNS0_20block_sort_algorithmE0EEENS0_14default_configENS1_37merge_sort_block_sort_config_selectorIsNS0_10empty_typeEEENS1_38merge_sort_block_merge_config_selectorIsSE_EEEEvv
		.amdhsa_group_segment_fixed_size 0
		.amdhsa_private_segment_fixed_size 0
		.amdhsa_kernarg_size 0
		.amdhsa_user_sgpr_count 4
		.amdhsa_user_sgpr_private_segment_buffer 1
		.amdhsa_user_sgpr_dispatch_ptr 0
		.amdhsa_user_sgpr_queue_ptr 0
		.amdhsa_user_sgpr_kernarg_segment_ptr 0
		.amdhsa_user_sgpr_dispatch_id 0
		.amdhsa_user_sgpr_flat_scratch_init 0
		.amdhsa_user_sgpr_kernarg_preload_length 0
		.amdhsa_user_sgpr_kernarg_preload_offset 0
		.amdhsa_user_sgpr_private_segment_size 0
		.amdhsa_uses_dynamic_stack 0
		.amdhsa_system_sgpr_private_segment_wavefront_offset 0
		.amdhsa_system_sgpr_workgroup_id_x 1
		.amdhsa_system_sgpr_workgroup_id_y 0
		.amdhsa_system_sgpr_workgroup_id_z 0
		.amdhsa_system_sgpr_workgroup_info 0
		.amdhsa_system_vgpr_workitem_id 0
		.amdhsa_next_free_vgpr 1
		.amdhsa_next_free_sgpr 0
		.amdhsa_accum_offset 4
		.amdhsa_reserve_vcc 0
		.amdhsa_reserve_flat_scratch 0
		.amdhsa_float_round_mode_32 0
		.amdhsa_float_round_mode_16_64 0
		.amdhsa_float_denorm_mode_32 3
		.amdhsa_float_denorm_mode_16_64 3
		.amdhsa_dx10_clamp 1
		.amdhsa_ieee_mode 1
		.amdhsa_fp16_overflow 0
		.amdhsa_tg_split 0
		.amdhsa_exception_fp_ieee_invalid_op 0
		.amdhsa_exception_fp_denorm_src 0
		.amdhsa_exception_fp_ieee_div_zero 0
		.amdhsa_exception_fp_ieee_overflow 0
		.amdhsa_exception_fp_ieee_underflow 0
		.amdhsa_exception_fp_ieee_inexact 0
		.amdhsa_exception_int_div_zero 0
	.end_amdhsa_kernel
	.section	.text._ZN7rocprim17ROCPRIM_400000_NS6detail44device_merge_sort_compile_time_verifier_archINS1_11comp_targetILNS1_3genE0ELNS1_11target_archE4294967295ELNS1_3gpuE0ELNS1_3repE0EEES8_NS1_28merge_sort_block_sort_configILj256ELj4ELNS0_20block_sort_algorithmE0EEENS0_14default_configENS1_37merge_sort_block_sort_config_selectorIsNS0_10empty_typeEEENS1_38merge_sort_block_merge_config_selectorIsSE_EEEEvv,"axG",@progbits,_ZN7rocprim17ROCPRIM_400000_NS6detail44device_merge_sort_compile_time_verifier_archINS1_11comp_targetILNS1_3genE0ELNS1_11target_archE4294967295ELNS1_3gpuE0ELNS1_3repE0EEES8_NS1_28merge_sort_block_sort_configILj256ELj4ELNS0_20block_sort_algorithmE0EEENS0_14default_configENS1_37merge_sort_block_sort_config_selectorIsNS0_10empty_typeEEENS1_38merge_sort_block_merge_config_selectorIsSE_EEEEvv,comdat
.Lfunc_end347:
	.size	_ZN7rocprim17ROCPRIM_400000_NS6detail44device_merge_sort_compile_time_verifier_archINS1_11comp_targetILNS1_3genE0ELNS1_11target_archE4294967295ELNS1_3gpuE0ELNS1_3repE0EEES8_NS1_28merge_sort_block_sort_configILj256ELj4ELNS0_20block_sort_algorithmE0EEENS0_14default_configENS1_37merge_sort_block_sort_config_selectorIsNS0_10empty_typeEEENS1_38merge_sort_block_merge_config_selectorIsSE_EEEEvv, .Lfunc_end347-_ZN7rocprim17ROCPRIM_400000_NS6detail44device_merge_sort_compile_time_verifier_archINS1_11comp_targetILNS1_3genE0ELNS1_11target_archE4294967295ELNS1_3gpuE0ELNS1_3repE0EEES8_NS1_28merge_sort_block_sort_configILj256ELj4ELNS0_20block_sort_algorithmE0EEENS0_14default_configENS1_37merge_sort_block_sort_config_selectorIsNS0_10empty_typeEEENS1_38merge_sort_block_merge_config_selectorIsSE_EEEEvv
                                        ; -- End function
	.section	.AMDGPU.csdata,"",@progbits
; Kernel info:
; codeLenInByte = 4
; NumSgprs: 4
; NumVgprs: 0
; NumAgprs: 0
; TotalNumVgprs: 0
; ScratchSize: 0
; MemoryBound: 0
; FloatMode: 240
; IeeeMode: 1
; LDSByteSize: 0 bytes/workgroup (compile time only)
; SGPRBlocks: 0
; VGPRBlocks: 0
; NumSGPRsForWavesPerEU: 4
; NumVGPRsForWavesPerEU: 1
; AccumOffset: 4
; Occupancy: 8
; WaveLimiterHint : 0
; COMPUTE_PGM_RSRC2:SCRATCH_EN: 0
; COMPUTE_PGM_RSRC2:USER_SGPR: 4
; COMPUTE_PGM_RSRC2:TRAP_HANDLER: 0
; COMPUTE_PGM_RSRC2:TGID_X_EN: 1
; COMPUTE_PGM_RSRC2:TGID_Y_EN: 0
; COMPUTE_PGM_RSRC2:TGID_Z_EN: 0
; COMPUTE_PGM_RSRC2:TIDIG_COMP_CNT: 0
; COMPUTE_PGM_RSRC3_GFX90A:ACCUM_OFFSET: 0
; COMPUTE_PGM_RSRC3_GFX90A:TG_SPLIT: 0
	.section	.text._ZN7rocprim17ROCPRIM_400000_NS6detail44device_merge_sort_compile_time_verifier_archINS1_11comp_targetILNS1_3genE5ELNS1_11target_archE942ELNS1_3gpuE9ELNS1_3repE0EEES8_NS1_28merge_sort_block_sort_configILj256ELj4ELNS0_20block_sort_algorithmE0EEENS0_14default_configENS1_37merge_sort_block_sort_config_selectorIsNS0_10empty_typeEEENS1_38merge_sort_block_merge_config_selectorIsSE_EEEEvv,"axG",@progbits,_ZN7rocprim17ROCPRIM_400000_NS6detail44device_merge_sort_compile_time_verifier_archINS1_11comp_targetILNS1_3genE5ELNS1_11target_archE942ELNS1_3gpuE9ELNS1_3repE0EEES8_NS1_28merge_sort_block_sort_configILj256ELj4ELNS0_20block_sort_algorithmE0EEENS0_14default_configENS1_37merge_sort_block_sort_config_selectorIsNS0_10empty_typeEEENS1_38merge_sort_block_merge_config_selectorIsSE_EEEEvv,comdat
	.protected	_ZN7rocprim17ROCPRIM_400000_NS6detail44device_merge_sort_compile_time_verifier_archINS1_11comp_targetILNS1_3genE5ELNS1_11target_archE942ELNS1_3gpuE9ELNS1_3repE0EEES8_NS1_28merge_sort_block_sort_configILj256ELj4ELNS0_20block_sort_algorithmE0EEENS0_14default_configENS1_37merge_sort_block_sort_config_selectorIsNS0_10empty_typeEEENS1_38merge_sort_block_merge_config_selectorIsSE_EEEEvv ; -- Begin function _ZN7rocprim17ROCPRIM_400000_NS6detail44device_merge_sort_compile_time_verifier_archINS1_11comp_targetILNS1_3genE5ELNS1_11target_archE942ELNS1_3gpuE9ELNS1_3repE0EEES8_NS1_28merge_sort_block_sort_configILj256ELj4ELNS0_20block_sort_algorithmE0EEENS0_14default_configENS1_37merge_sort_block_sort_config_selectorIsNS0_10empty_typeEEENS1_38merge_sort_block_merge_config_selectorIsSE_EEEEvv
	.globl	_ZN7rocprim17ROCPRIM_400000_NS6detail44device_merge_sort_compile_time_verifier_archINS1_11comp_targetILNS1_3genE5ELNS1_11target_archE942ELNS1_3gpuE9ELNS1_3repE0EEES8_NS1_28merge_sort_block_sort_configILj256ELj4ELNS0_20block_sort_algorithmE0EEENS0_14default_configENS1_37merge_sort_block_sort_config_selectorIsNS0_10empty_typeEEENS1_38merge_sort_block_merge_config_selectorIsSE_EEEEvv
	.p2align	8
	.type	_ZN7rocprim17ROCPRIM_400000_NS6detail44device_merge_sort_compile_time_verifier_archINS1_11comp_targetILNS1_3genE5ELNS1_11target_archE942ELNS1_3gpuE9ELNS1_3repE0EEES8_NS1_28merge_sort_block_sort_configILj256ELj4ELNS0_20block_sort_algorithmE0EEENS0_14default_configENS1_37merge_sort_block_sort_config_selectorIsNS0_10empty_typeEEENS1_38merge_sort_block_merge_config_selectorIsSE_EEEEvv,@function
_ZN7rocprim17ROCPRIM_400000_NS6detail44device_merge_sort_compile_time_verifier_archINS1_11comp_targetILNS1_3genE5ELNS1_11target_archE942ELNS1_3gpuE9ELNS1_3repE0EEES8_NS1_28merge_sort_block_sort_configILj256ELj4ELNS0_20block_sort_algorithmE0EEENS0_14default_configENS1_37merge_sort_block_sort_config_selectorIsNS0_10empty_typeEEENS1_38merge_sort_block_merge_config_selectorIsSE_EEEEvv: ; @_ZN7rocprim17ROCPRIM_400000_NS6detail44device_merge_sort_compile_time_verifier_archINS1_11comp_targetILNS1_3genE5ELNS1_11target_archE942ELNS1_3gpuE9ELNS1_3repE0EEES8_NS1_28merge_sort_block_sort_configILj256ELj4ELNS0_20block_sort_algorithmE0EEENS0_14default_configENS1_37merge_sort_block_sort_config_selectorIsNS0_10empty_typeEEENS1_38merge_sort_block_merge_config_selectorIsSE_EEEEvv
; %bb.0:
	s_endpgm
	.section	.rodata,"a",@progbits
	.p2align	6, 0x0
	.amdhsa_kernel _ZN7rocprim17ROCPRIM_400000_NS6detail44device_merge_sort_compile_time_verifier_archINS1_11comp_targetILNS1_3genE5ELNS1_11target_archE942ELNS1_3gpuE9ELNS1_3repE0EEES8_NS1_28merge_sort_block_sort_configILj256ELj4ELNS0_20block_sort_algorithmE0EEENS0_14default_configENS1_37merge_sort_block_sort_config_selectorIsNS0_10empty_typeEEENS1_38merge_sort_block_merge_config_selectorIsSE_EEEEvv
		.amdhsa_group_segment_fixed_size 0
		.amdhsa_private_segment_fixed_size 0
		.amdhsa_kernarg_size 0
		.amdhsa_user_sgpr_count 4
		.amdhsa_user_sgpr_private_segment_buffer 1
		.amdhsa_user_sgpr_dispatch_ptr 0
		.amdhsa_user_sgpr_queue_ptr 0
		.amdhsa_user_sgpr_kernarg_segment_ptr 0
		.amdhsa_user_sgpr_dispatch_id 0
		.amdhsa_user_sgpr_flat_scratch_init 0
		.amdhsa_user_sgpr_kernarg_preload_length 0
		.amdhsa_user_sgpr_kernarg_preload_offset 0
		.amdhsa_user_sgpr_private_segment_size 0
		.amdhsa_uses_dynamic_stack 0
		.amdhsa_system_sgpr_private_segment_wavefront_offset 0
		.amdhsa_system_sgpr_workgroup_id_x 1
		.amdhsa_system_sgpr_workgroup_id_y 0
		.amdhsa_system_sgpr_workgroup_id_z 0
		.amdhsa_system_sgpr_workgroup_info 0
		.amdhsa_system_vgpr_workitem_id 0
		.amdhsa_next_free_vgpr 1
		.amdhsa_next_free_sgpr 0
		.amdhsa_accum_offset 4
		.amdhsa_reserve_vcc 0
		.amdhsa_reserve_flat_scratch 0
		.amdhsa_float_round_mode_32 0
		.amdhsa_float_round_mode_16_64 0
		.amdhsa_float_denorm_mode_32 3
		.amdhsa_float_denorm_mode_16_64 3
		.amdhsa_dx10_clamp 1
		.amdhsa_ieee_mode 1
		.amdhsa_fp16_overflow 0
		.amdhsa_tg_split 0
		.amdhsa_exception_fp_ieee_invalid_op 0
		.amdhsa_exception_fp_denorm_src 0
		.amdhsa_exception_fp_ieee_div_zero 0
		.amdhsa_exception_fp_ieee_overflow 0
		.amdhsa_exception_fp_ieee_underflow 0
		.amdhsa_exception_fp_ieee_inexact 0
		.amdhsa_exception_int_div_zero 0
	.end_amdhsa_kernel
	.section	.text._ZN7rocprim17ROCPRIM_400000_NS6detail44device_merge_sort_compile_time_verifier_archINS1_11comp_targetILNS1_3genE5ELNS1_11target_archE942ELNS1_3gpuE9ELNS1_3repE0EEES8_NS1_28merge_sort_block_sort_configILj256ELj4ELNS0_20block_sort_algorithmE0EEENS0_14default_configENS1_37merge_sort_block_sort_config_selectorIsNS0_10empty_typeEEENS1_38merge_sort_block_merge_config_selectorIsSE_EEEEvv,"axG",@progbits,_ZN7rocprim17ROCPRIM_400000_NS6detail44device_merge_sort_compile_time_verifier_archINS1_11comp_targetILNS1_3genE5ELNS1_11target_archE942ELNS1_3gpuE9ELNS1_3repE0EEES8_NS1_28merge_sort_block_sort_configILj256ELj4ELNS0_20block_sort_algorithmE0EEENS0_14default_configENS1_37merge_sort_block_sort_config_selectorIsNS0_10empty_typeEEENS1_38merge_sort_block_merge_config_selectorIsSE_EEEEvv,comdat
.Lfunc_end348:
	.size	_ZN7rocprim17ROCPRIM_400000_NS6detail44device_merge_sort_compile_time_verifier_archINS1_11comp_targetILNS1_3genE5ELNS1_11target_archE942ELNS1_3gpuE9ELNS1_3repE0EEES8_NS1_28merge_sort_block_sort_configILj256ELj4ELNS0_20block_sort_algorithmE0EEENS0_14default_configENS1_37merge_sort_block_sort_config_selectorIsNS0_10empty_typeEEENS1_38merge_sort_block_merge_config_selectorIsSE_EEEEvv, .Lfunc_end348-_ZN7rocprim17ROCPRIM_400000_NS6detail44device_merge_sort_compile_time_verifier_archINS1_11comp_targetILNS1_3genE5ELNS1_11target_archE942ELNS1_3gpuE9ELNS1_3repE0EEES8_NS1_28merge_sort_block_sort_configILj256ELj4ELNS0_20block_sort_algorithmE0EEENS0_14default_configENS1_37merge_sort_block_sort_config_selectorIsNS0_10empty_typeEEENS1_38merge_sort_block_merge_config_selectorIsSE_EEEEvv
                                        ; -- End function
	.section	.AMDGPU.csdata,"",@progbits
; Kernel info:
; codeLenInByte = 4
; NumSgprs: 4
; NumVgprs: 0
; NumAgprs: 0
; TotalNumVgprs: 0
; ScratchSize: 0
; MemoryBound: 0
; FloatMode: 240
; IeeeMode: 1
; LDSByteSize: 0 bytes/workgroup (compile time only)
; SGPRBlocks: 0
; VGPRBlocks: 0
; NumSGPRsForWavesPerEU: 4
; NumVGPRsForWavesPerEU: 1
; AccumOffset: 4
; Occupancy: 8
; WaveLimiterHint : 0
; COMPUTE_PGM_RSRC2:SCRATCH_EN: 0
; COMPUTE_PGM_RSRC2:USER_SGPR: 4
; COMPUTE_PGM_RSRC2:TRAP_HANDLER: 0
; COMPUTE_PGM_RSRC2:TGID_X_EN: 1
; COMPUTE_PGM_RSRC2:TGID_Y_EN: 0
; COMPUTE_PGM_RSRC2:TGID_Z_EN: 0
; COMPUTE_PGM_RSRC2:TIDIG_COMP_CNT: 0
; COMPUTE_PGM_RSRC3_GFX90A:ACCUM_OFFSET: 0
; COMPUTE_PGM_RSRC3_GFX90A:TG_SPLIT: 0
	.section	.text._ZN7rocprim17ROCPRIM_400000_NS6detail44device_merge_sort_compile_time_verifier_archINS1_11comp_targetILNS1_3genE4ELNS1_11target_archE910ELNS1_3gpuE8ELNS1_3repE0EEES8_NS1_28merge_sort_block_sort_configILj256ELj4ELNS0_20block_sort_algorithmE0EEENS0_14default_configENS1_37merge_sort_block_sort_config_selectorIsNS0_10empty_typeEEENS1_38merge_sort_block_merge_config_selectorIsSE_EEEEvv,"axG",@progbits,_ZN7rocprim17ROCPRIM_400000_NS6detail44device_merge_sort_compile_time_verifier_archINS1_11comp_targetILNS1_3genE4ELNS1_11target_archE910ELNS1_3gpuE8ELNS1_3repE0EEES8_NS1_28merge_sort_block_sort_configILj256ELj4ELNS0_20block_sort_algorithmE0EEENS0_14default_configENS1_37merge_sort_block_sort_config_selectorIsNS0_10empty_typeEEENS1_38merge_sort_block_merge_config_selectorIsSE_EEEEvv,comdat
	.protected	_ZN7rocprim17ROCPRIM_400000_NS6detail44device_merge_sort_compile_time_verifier_archINS1_11comp_targetILNS1_3genE4ELNS1_11target_archE910ELNS1_3gpuE8ELNS1_3repE0EEES8_NS1_28merge_sort_block_sort_configILj256ELj4ELNS0_20block_sort_algorithmE0EEENS0_14default_configENS1_37merge_sort_block_sort_config_selectorIsNS0_10empty_typeEEENS1_38merge_sort_block_merge_config_selectorIsSE_EEEEvv ; -- Begin function _ZN7rocprim17ROCPRIM_400000_NS6detail44device_merge_sort_compile_time_verifier_archINS1_11comp_targetILNS1_3genE4ELNS1_11target_archE910ELNS1_3gpuE8ELNS1_3repE0EEES8_NS1_28merge_sort_block_sort_configILj256ELj4ELNS0_20block_sort_algorithmE0EEENS0_14default_configENS1_37merge_sort_block_sort_config_selectorIsNS0_10empty_typeEEENS1_38merge_sort_block_merge_config_selectorIsSE_EEEEvv
	.globl	_ZN7rocprim17ROCPRIM_400000_NS6detail44device_merge_sort_compile_time_verifier_archINS1_11comp_targetILNS1_3genE4ELNS1_11target_archE910ELNS1_3gpuE8ELNS1_3repE0EEES8_NS1_28merge_sort_block_sort_configILj256ELj4ELNS0_20block_sort_algorithmE0EEENS0_14default_configENS1_37merge_sort_block_sort_config_selectorIsNS0_10empty_typeEEENS1_38merge_sort_block_merge_config_selectorIsSE_EEEEvv
	.p2align	8
	.type	_ZN7rocprim17ROCPRIM_400000_NS6detail44device_merge_sort_compile_time_verifier_archINS1_11comp_targetILNS1_3genE4ELNS1_11target_archE910ELNS1_3gpuE8ELNS1_3repE0EEES8_NS1_28merge_sort_block_sort_configILj256ELj4ELNS0_20block_sort_algorithmE0EEENS0_14default_configENS1_37merge_sort_block_sort_config_selectorIsNS0_10empty_typeEEENS1_38merge_sort_block_merge_config_selectorIsSE_EEEEvv,@function
_ZN7rocprim17ROCPRIM_400000_NS6detail44device_merge_sort_compile_time_verifier_archINS1_11comp_targetILNS1_3genE4ELNS1_11target_archE910ELNS1_3gpuE8ELNS1_3repE0EEES8_NS1_28merge_sort_block_sort_configILj256ELj4ELNS0_20block_sort_algorithmE0EEENS0_14default_configENS1_37merge_sort_block_sort_config_selectorIsNS0_10empty_typeEEENS1_38merge_sort_block_merge_config_selectorIsSE_EEEEvv: ; @_ZN7rocprim17ROCPRIM_400000_NS6detail44device_merge_sort_compile_time_verifier_archINS1_11comp_targetILNS1_3genE4ELNS1_11target_archE910ELNS1_3gpuE8ELNS1_3repE0EEES8_NS1_28merge_sort_block_sort_configILj256ELj4ELNS0_20block_sort_algorithmE0EEENS0_14default_configENS1_37merge_sort_block_sort_config_selectorIsNS0_10empty_typeEEENS1_38merge_sort_block_merge_config_selectorIsSE_EEEEvv
; %bb.0:
	s_endpgm
	.section	.rodata,"a",@progbits
	.p2align	6, 0x0
	.amdhsa_kernel _ZN7rocprim17ROCPRIM_400000_NS6detail44device_merge_sort_compile_time_verifier_archINS1_11comp_targetILNS1_3genE4ELNS1_11target_archE910ELNS1_3gpuE8ELNS1_3repE0EEES8_NS1_28merge_sort_block_sort_configILj256ELj4ELNS0_20block_sort_algorithmE0EEENS0_14default_configENS1_37merge_sort_block_sort_config_selectorIsNS0_10empty_typeEEENS1_38merge_sort_block_merge_config_selectorIsSE_EEEEvv
		.amdhsa_group_segment_fixed_size 0
		.amdhsa_private_segment_fixed_size 0
		.amdhsa_kernarg_size 0
		.amdhsa_user_sgpr_count 4
		.amdhsa_user_sgpr_private_segment_buffer 1
		.amdhsa_user_sgpr_dispatch_ptr 0
		.amdhsa_user_sgpr_queue_ptr 0
		.amdhsa_user_sgpr_kernarg_segment_ptr 0
		.amdhsa_user_sgpr_dispatch_id 0
		.amdhsa_user_sgpr_flat_scratch_init 0
		.amdhsa_user_sgpr_kernarg_preload_length 0
		.amdhsa_user_sgpr_kernarg_preload_offset 0
		.amdhsa_user_sgpr_private_segment_size 0
		.amdhsa_uses_dynamic_stack 0
		.amdhsa_system_sgpr_private_segment_wavefront_offset 0
		.amdhsa_system_sgpr_workgroup_id_x 1
		.amdhsa_system_sgpr_workgroup_id_y 0
		.amdhsa_system_sgpr_workgroup_id_z 0
		.amdhsa_system_sgpr_workgroup_info 0
		.amdhsa_system_vgpr_workitem_id 0
		.amdhsa_next_free_vgpr 1
		.amdhsa_next_free_sgpr 0
		.amdhsa_accum_offset 4
		.amdhsa_reserve_vcc 0
		.amdhsa_reserve_flat_scratch 0
		.amdhsa_float_round_mode_32 0
		.amdhsa_float_round_mode_16_64 0
		.amdhsa_float_denorm_mode_32 3
		.amdhsa_float_denorm_mode_16_64 3
		.amdhsa_dx10_clamp 1
		.amdhsa_ieee_mode 1
		.amdhsa_fp16_overflow 0
		.amdhsa_tg_split 0
		.amdhsa_exception_fp_ieee_invalid_op 0
		.amdhsa_exception_fp_denorm_src 0
		.amdhsa_exception_fp_ieee_div_zero 0
		.amdhsa_exception_fp_ieee_overflow 0
		.amdhsa_exception_fp_ieee_underflow 0
		.amdhsa_exception_fp_ieee_inexact 0
		.amdhsa_exception_int_div_zero 0
	.end_amdhsa_kernel
	.section	.text._ZN7rocprim17ROCPRIM_400000_NS6detail44device_merge_sort_compile_time_verifier_archINS1_11comp_targetILNS1_3genE4ELNS1_11target_archE910ELNS1_3gpuE8ELNS1_3repE0EEES8_NS1_28merge_sort_block_sort_configILj256ELj4ELNS0_20block_sort_algorithmE0EEENS0_14default_configENS1_37merge_sort_block_sort_config_selectorIsNS0_10empty_typeEEENS1_38merge_sort_block_merge_config_selectorIsSE_EEEEvv,"axG",@progbits,_ZN7rocprim17ROCPRIM_400000_NS6detail44device_merge_sort_compile_time_verifier_archINS1_11comp_targetILNS1_3genE4ELNS1_11target_archE910ELNS1_3gpuE8ELNS1_3repE0EEES8_NS1_28merge_sort_block_sort_configILj256ELj4ELNS0_20block_sort_algorithmE0EEENS0_14default_configENS1_37merge_sort_block_sort_config_selectorIsNS0_10empty_typeEEENS1_38merge_sort_block_merge_config_selectorIsSE_EEEEvv,comdat
.Lfunc_end349:
	.size	_ZN7rocprim17ROCPRIM_400000_NS6detail44device_merge_sort_compile_time_verifier_archINS1_11comp_targetILNS1_3genE4ELNS1_11target_archE910ELNS1_3gpuE8ELNS1_3repE0EEES8_NS1_28merge_sort_block_sort_configILj256ELj4ELNS0_20block_sort_algorithmE0EEENS0_14default_configENS1_37merge_sort_block_sort_config_selectorIsNS0_10empty_typeEEENS1_38merge_sort_block_merge_config_selectorIsSE_EEEEvv, .Lfunc_end349-_ZN7rocprim17ROCPRIM_400000_NS6detail44device_merge_sort_compile_time_verifier_archINS1_11comp_targetILNS1_3genE4ELNS1_11target_archE910ELNS1_3gpuE8ELNS1_3repE0EEES8_NS1_28merge_sort_block_sort_configILj256ELj4ELNS0_20block_sort_algorithmE0EEENS0_14default_configENS1_37merge_sort_block_sort_config_selectorIsNS0_10empty_typeEEENS1_38merge_sort_block_merge_config_selectorIsSE_EEEEvv
                                        ; -- End function
	.section	.AMDGPU.csdata,"",@progbits
; Kernel info:
; codeLenInByte = 4
; NumSgprs: 4
; NumVgprs: 0
; NumAgprs: 0
; TotalNumVgprs: 0
; ScratchSize: 0
; MemoryBound: 0
; FloatMode: 240
; IeeeMode: 1
; LDSByteSize: 0 bytes/workgroup (compile time only)
; SGPRBlocks: 0
; VGPRBlocks: 0
; NumSGPRsForWavesPerEU: 4
; NumVGPRsForWavesPerEU: 1
; AccumOffset: 4
; Occupancy: 8
; WaveLimiterHint : 0
; COMPUTE_PGM_RSRC2:SCRATCH_EN: 0
; COMPUTE_PGM_RSRC2:USER_SGPR: 4
; COMPUTE_PGM_RSRC2:TRAP_HANDLER: 0
; COMPUTE_PGM_RSRC2:TGID_X_EN: 1
; COMPUTE_PGM_RSRC2:TGID_Y_EN: 0
; COMPUTE_PGM_RSRC2:TGID_Z_EN: 0
; COMPUTE_PGM_RSRC2:TIDIG_COMP_CNT: 0
; COMPUTE_PGM_RSRC3_GFX90A:ACCUM_OFFSET: 0
; COMPUTE_PGM_RSRC3_GFX90A:TG_SPLIT: 0
	.section	.text._ZN7rocprim17ROCPRIM_400000_NS6detail44device_merge_sort_compile_time_verifier_archINS1_11comp_targetILNS1_3genE3ELNS1_11target_archE908ELNS1_3gpuE7ELNS1_3repE0EEES8_NS1_28merge_sort_block_sort_configILj256ELj4ELNS0_20block_sort_algorithmE0EEENS0_14default_configENS1_37merge_sort_block_sort_config_selectorIsNS0_10empty_typeEEENS1_38merge_sort_block_merge_config_selectorIsSE_EEEEvv,"axG",@progbits,_ZN7rocprim17ROCPRIM_400000_NS6detail44device_merge_sort_compile_time_verifier_archINS1_11comp_targetILNS1_3genE3ELNS1_11target_archE908ELNS1_3gpuE7ELNS1_3repE0EEES8_NS1_28merge_sort_block_sort_configILj256ELj4ELNS0_20block_sort_algorithmE0EEENS0_14default_configENS1_37merge_sort_block_sort_config_selectorIsNS0_10empty_typeEEENS1_38merge_sort_block_merge_config_selectorIsSE_EEEEvv,comdat
	.protected	_ZN7rocprim17ROCPRIM_400000_NS6detail44device_merge_sort_compile_time_verifier_archINS1_11comp_targetILNS1_3genE3ELNS1_11target_archE908ELNS1_3gpuE7ELNS1_3repE0EEES8_NS1_28merge_sort_block_sort_configILj256ELj4ELNS0_20block_sort_algorithmE0EEENS0_14default_configENS1_37merge_sort_block_sort_config_selectorIsNS0_10empty_typeEEENS1_38merge_sort_block_merge_config_selectorIsSE_EEEEvv ; -- Begin function _ZN7rocprim17ROCPRIM_400000_NS6detail44device_merge_sort_compile_time_verifier_archINS1_11comp_targetILNS1_3genE3ELNS1_11target_archE908ELNS1_3gpuE7ELNS1_3repE0EEES8_NS1_28merge_sort_block_sort_configILj256ELj4ELNS0_20block_sort_algorithmE0EEENS0_14default_configENS1_37merge_sort_block_sort_config_selectorIsNS0_10empty_typeEEENS1_38merge_sort_block_merge_config_selectorIsSE_EEEEvv
	.globl	_ZN7rocprim17ROCPRIM_400000_NS6detail44device_merge_sort_compile_time_verifier_archINS1_11comp_targetILNS1_3genE3ELNS1_11target_archE908ELNS1_3gpuE7ELNS1_3repE0EEES8_NS1_28merge_sort_block_sort_configILj256ELj4ELNS0_20block_sort_algorithmE0EEENS0_14default_configENS1_37merge_sort_block_sort_config_selectorIsNS0_10empty_typeEEENS1_38merge_sort_block_merge_config_selectorIsSE_EEEEvv
	.p2align	8
	.type	_ZN7rocprim17ROCPRIM_400000_NS6detail44device_merge_sort_compile_time_verifier_archINS1_11comp_targetILNS1_3genE3ELNS1_11target_archE908ELNS1_3gpuE7ELNS1_3repE0EEES8_NS1_28merge_sort_block_sort_configILj256ELj4ELNS0_20block_sort_algorithmE0EEENS0_14default_configENS1_37merge_sort_block_sort_config_selectorIsNS0_10empty_typeEEENS1_38merge_sort_block_merge_config_selectorIsSE_EEEEvv,@function
_ZN7rocprim17ROCPRIM_400000_NS6detail44device_merge_sort_compile_time_verifier_archINS1_11comp_targetILNS1_3genE3ELNS1_11target_archE908ELNS1_3gpuE7ELNS1_3repE0EEES8_NS1_28merge_sort_block_sort_configILj256ELj4ELNS0_20block_sort_algorithmE0EEENS0_14default_configENS1_37merge_sort_block_sort_config_selectorIsNS0_10empty_typeEEENS1_38merge_sort_block_merge_config_selectorIsSE_EEEEvv: ; @_ZN7rocprim17ROCPRIM_400000_NS6detail44device_merge_sort_compile_time_verifier_archINS1_11comp_targetILNS1_3genE3ELNS1_11target_archE908ELNS1_3gpuE7ELNS1_3repE0EEES8_NS1_28merge_sort_block_sort_configILj256ELj4ELNS0_20block_sort_algorithmE0EEENS0_14default_configENS1_37merge_sort_block_sort_config_selectorIsNS0_10empty_typeEEENS1_38merge_sort_block_merge_config_selectorIsSE_EEEEvv
; %bb.0:
	s_endpgm
	.section	.rodata,"a",@progbits
	.p2align	6, 0x0
	.amdhsa_kernel _ZN7rocprim17ROCPRIM_400000_NS6detail44device_merge_sort_compile_time_verifier_archINS1_11comp_targetILNS1_3genE3ELNS1_11target_archE908ELNS1_3gpuE7ELNS1_3repE0EEES8_NS1_28merge_sort_block_sort_configILj256ELj4ELNS0_20block_sort_algorithmE0EEENS0_14default_configENS1_37merge_sort_block_sort_config_selectorIsNS0_10empty_typeEEENS1_38merge_sort_block_merge_config_selectorIsSE_EEEEvv
		.amdhsa_group_segment_fixed_size 0
		.amdhsa_private_segment_fixed_size 0
		.amdhsa_kernarg_size 0
		.amdhsa_user_sgpr_count 4
		.amdhsa_user_sgpr_private_segment_buffer 1
		.amdhsa_user_sgpr_dispatch_ptr 0
		.amdhsa_user_sgpr_queue_ptr 0
		.amdhsa_user_sgpr_kernarg_segment_ptr 0
		.amdhsa_user_sgpr_dispatch_id 0
		.amdhsa_user_sgpr_flat_scratch_init 0
		.amdhsa_user_sgpr_kernarg_preload_length 0
		.amdhsa_user_sgpr_kernarg_preload_offset 0
		.amdhsa_user_sgpr_private_segment_size 0
		.amdhsa_uses_dynamic_stack 0
		.amdhsa_system_sgpr_private_segment_wavefront_offset 0
		.amdhsa_system_sgpr_workgroup_id_x 1
		.amdhsa_system_sgpr_workgroup_id_y 0
		.amdhsa_system_sgpr_workgroup_id_z 0
		.amdhsa_system_sgpr_workgroup_info 0
		.amdhsa_system_vgpr_workitem_id 0
		.amdhsa_next_free_vgpr 1
		.amdhsa_next_free_sgpr 0
		.amdhsa_accum_offset 4
		.amdhsa_reserve_vcc 0
		.amdhsa_reserve_flat_scratch 0
		.amdhsa_float_round_mode_32 0
		.amdhsa_float_round_mode_16_64 0
		.amdhsa_float_denorm_mode_32 3
		.amdhsa_float_denorm_mode_16_64 3
		.amdhsa_dx10_clamp 1
		.amdhsa_ieee_mode 1
		.amdhsa_fp16_overflow 0
		.amdhsa_tg_split 0
		.amdhsa_exception_fp_ieee_invalid_op 0
		.amdhsa_exception_fp_denorm_src 0
		.amdhsa_exception_fp_ieee_div_zero 0
		.amdhsa_exception_fp_ieee_overflow 0
		.amdhsa_exception_fp_ieee_underflow 0
		.amdhsa_exception_fp_ieee_inexact 0
		.amdhsa_exception_int_div_zero 0
	.end_amdhsa_kernel
	.section	.text._ZN7rocprim17ROCPRIM_400000_NS6detail44device_merge_sort_compile_time_verifier_archINS1_11comp_targetILNS1_3genE3ELNS1_11target_archE908ELNS1_3gpuE7ELNS1_3repE0EEES8_NS1_28merge_sort_block_sort_configILj256ELj4ELNS0_20block_sort_algorithmE0EEENS0_14default_configENS1_37merge_sort_block_sort_config_selectorIsNS0_10empty_typeEEENS1_38merge_sort_block_merge_config_selectorIsSE_EEEEvv,"axG",@progbits,_ZN7rocprim17ROCPRIM_400000_NS6detail44device_merge_sort_compile_time_verifier_archINS1_11comp_targetILNS1_3genE3ELNS1_11target_archE908ELNS1_3gpuE7ELNS1_3repE0EEES8_NS1_28merge_sort_block_sort_configILj256ELj4ELNS0_20block_sort_algorithmE0EEENS0_14default_configENS1_37merge_sort_block_sort_config_selectorIsNS0_10empty_typeEEENS1_38merge_sort_block_merge_config_selectorIsSE_EEEEvv,comdat
.Lfunc_end350:
	.size	_ZN7rocprim17ROCPRIM_400000_NS6detail44device_merge_sort_compile_time_verifier_archINS1_11comp_targetILNS1_3genE3ELNS1_11target_archE908ELNS1_3gpuE7ELNS1_3repE0EEES8_NS1_28merge_sort_block_sort_configILj256ELj4ELNS0_20block_sort_algorithmE0EEENS0_14default_configENS1_37merge_sort_block_sort_config_selectorIsNS0_10empty_typeEEENS1_38merge_sort_block_merge_config_selectorIsSE_EEEEvv, .Lfunc_end350-_ZN7rocprim17ROCPRIM_400000_NS6detail44device_merge_sort_compile_time_verifier_archINS1_11comp_targetILNS1_3genE3ELNS1_11target_archE908ELNS1_3gpuE7ELNS1_3repE0EEES8_NS1_28merge_sort_block_sort_configILj256ELj4ELNS0_20block_sort_algorithmE0EEENS0_14default_configENS1_37merge_sort_block_sort_config_selectorIsNS0_10empty_typeEEENS1_38merge_sort_block_merge_config_selectorIsSE_EEEEvv
                                        ; -- End function
	.section	.AMDGPU.csdata,"",@progbits
; Kernel info:
; codeLenInByte = 4
; NumSgprs: 4
; NumVgprs: 0
; NumAgprs: 0
; TotalNumVgprs: 0
; ScratchSize: 0
; MemoryBound: 0
; FloatMode: 240
; IeeeMode: 1
; LDSByteSize: 0 bytes/workgroup (compile time only)
; SGPRBlocks: 0
; VGPRBlocks: 0
; NumSGPRsForWavesPerEU: 4
; NumVGPRsForWavesPerEU: 1
; AccumOffset: 4
; Occupancy: 8
; WaveLimiterHint : 0
; COMPUTE_PGM_RSRC2:SCRATCH_EN: 0
; COMPUTE_PGM_RSRC2:USER_SGPR: 4
; COMPUTE_PGM_RSRC2:TRAP_HANDLER: 0
; COMPUTE_PGM_RSRC2:TGID_X_EN: 1
; COMPUTE_PGM_RSRC2:TGID_Y_EN: 0
; COMPUTE_PGM_RSRC2:TGID_Z_EN: 0
; COMPUTE_PGM_RSRC2:TIDIG_COMP_CNT: 0
; COMPUTE_PGM_RSRC3_GFX90A:ACCUM_OFFSET: 0
; COMPUTE_PGM_RSRC3_GFX90A:TG_SPLIT: 0
	.section	.text._ZN7rocprim17ROCPRIM_400000_NS6detail44device_merge_sort_compile_time_verifier_archINS1_11comp_targetILNS1_3genE2ELNS1_11target_archE906ELNS1_3gpuE6ELNS1_3repE0EEES8_NS1_28merge_sort_block_sort_configILj256ELj4ELNS0_20block_sort_algorithmE0EEENS0_14default_configENS1_37merge_sort_block_sort_config_selectorIsNS0_10empty_typeEEENS1_38merge_sort_block_merge_config_selectorIsSE_EEEEvv,"axG",@progbits,_ZN7rocprim17ROCPRIM_400000_NS6detail44device_merge_sort_compile_time_verifier_archINS1_11comp_targetILNS1_3genE2ELNS1_11target_archE906ELNS1_3gpuE6ELNS1_3repE0EEES8_NS1_28merge_sort_block_sort_configILj256ELj4ELNS0_20block_sort_algorithmE0EEENS0_14default_configENS1_37merge_sort_block_sort_config_selectorIsNS0_10empty_typeEEENS1_38merge_sort_block_merge_config_selectorIsSE_EEEEvv,comdat
	.protected	_ZN7rocprim17ROCPRIM_400000_NS6detail44device_merge_sort_compile_time_verifier_archINS1_11comp_targetILNS1_3genE2ELNS1_11target_archE906ELNS1_3gpuE6ELNS1_3repE0EEES8_NS1_28merge_sort_block_sort_configILj256ELj4ELNS0_20block_sort_algorithmE0EEENS0_14default_configENS1_37merge_sort_block_sort_config_selectorIsNS0_10empty_typeEEENS1_38merge_sort_block_merge_config_selectorIsSE_EEEEvv ; -- Begin function _ZN7rocprim17ROCPRIM_400000_NS6detail44device_merge_sort_compile_time_verifier_archINS1_11comp_targetILNS1_3genE2ELNS1_11target_archE906ELNS1_3gpuE6ELNS1_3repE0EEES8_NS1_28merge_sort_block_sort_configILj256ELj4ELNS0_20block_sort_algorithmE0EEENS0_14default_configENS1_37merge_sort_block_sort_config_selectorIsNS0_10empty_typeEEENS1_38merge_sort_block_merge_config_selectorIsSE_EEEEvv
	.globl	_ZN7rocprim17ROCPRIM_400000_NS6detail44device_merge_sort_compile_time_verifier_archINS1_11comp_targetILNS1_3genE2ELNS1_11target_archE906ELNS1_3gpuE6ELNS1_3repE0EEES8_NS1_28merge_sort_block_sort_configILj256ELj4ELNS0_20block_sort_algorithmE0EEENS0_14default_configENS1_37merge_sort_block_sort_config_selectorIsNS0_10empty_typeEEENS1_38merge_sort_block_merge_config_selectorIsSE_EEEEvv
	.p2align	8
	.type	_ZN7rocprim17ROCPRIM_400000_NS6detail44device_merge_sort_compile_time_verifier_archINS1_11comp_targetILNS1_3genE2ELNS1_11target_archE906ELNS1_3gpuE6ELNS1_3repE0EEES8_NS1_28merge_sort_block_sort_configILj256ELj4ELNS0_20block_sort_algorithmE0EEENS0_14default_configENS1_37merge_sort_block_sort_config_selectorIsNS0_10empty_typeEEENS1_38merge_sort_block_merge_config_selectorIsSE_EEEEvv,@function
_ZN7rocprim17ROCPRIM_400000_NS6detail44device_merge_sort_compile_time_verifier_archINS1_11comp_targetILNS1_3genE2ELNS1_11target_archE906ELNS1_3gpuE6ELNS1_3repE0EEES8_NS1_28merge_sort_block_sort_configILj256ELj4ELNS0_20block_sort_algorithmE0EEENS0_14default_configENS1_37merge_sort_block_sort_config_selectorIsNS0_10empty_typeEEENS1_38merge_sort_block_merge_config_selectorIsSE_EEEEvv: ; @_ZN7rocprim17ROCPRIM_400000_NS6detail44device_merge_sort_compile_time_verifier_archINS1_11comp_targetILNS1_3genE2ELNS1_11target_archE906ELNS1_3gpuE6ELNS1_3repE0EEES8_NS1_28merge_sort_block_sort_configILj256ELj4ELNS0_20block_sort_algorithmE0EEENS0_14default_configENS1_37merge_sort_block_sort_config_selectorIsNS0_10empty_typeEEENS1_38merge_sort_block_merge_config_selectorIsSE_EEEEvv
; %bb.0:
	s_endpgm
	.section	.rodata,"a",@progbits
	.p2align	6, 0x0
	.amdhsa_kernel _ZN7rocprim17ROCPRIM_400000_NS6detail44device_merge_sort_compile_time_verifier_archINS1_11comp_targetILNS1_3genE2ELNS1_11target_archE906ELNS1_3gpuE6ELNS1_3repE0EEES8_NS1_28merge_sort_block_sort_configILj256ELj4ELNS0_20block_sort_algorithmE0EEENS0_14default_configENS1_37merge_sort_block_sort_config_selectorIsNS0_10empty_typeEEENS1_38merge_sort_block_merge_config_selectorIsSE_EEEEvv
		.amdhsa_group_segment_fixed_size 0
		.amdhsa_private_segment_fixed_size 0
		.amdhsa_kernarg_size 0
		.amdhsa_user_sgpr_count 4
		.amdhsa_user_sgpr_private_segment_buffer 1
		.amdhsa_user_sgpr_dispatch_ptr 0
		.amdhsa_user_sgpr_queue_ptr 0
		.amdhsa_user_sgpr_kernarg_segment_ptr 0
		.amdhsa_user_sgpr_dispatch_id 0
		.amdhsa_user_sgpr_flat_scratch_init 0
		.amdhsa_user_sgpr_kernarg_preload_length 0
		.amdhsa_user_sgpr_kernarg_preload_offset 0
		.amdhsa_user_sgpr_private_segment_size 0
		.amdhsa_uses_dynamic_stack 0
		.amdhsa_system_sgpr_private_segment_wavefront_offset 0
		.amdhsa_system_sgpr_workgroup_id_x 1
		.amdhsa_system_sgpr_workgroup_id_y 0
		.amdhsa_system_sgpr_workgroup_id_z 0
		.amdhsa_system_sgpr_workgroup_info 0
		.amdhsa_system_vgpr_workitem_id 0
		.amdhsa_next_free_vgpr 1
		.amdhsa_next_free_sgpr 0
		.amdhsa_accum_offset 4
		.amdhsa_reserve_vcc 0
		.amdhsa_reserve_flat_scratch 0
		.amdhsa_float_round_mode_32 0
		.amdhsa_float_round_mode_16_64 0
		.amdhsa_float_denorm_mode_32 3
		.amdhsa_float_denorm_mode_16_64 3
		.amdhsa_dx10_clamp 1
		.amdhsa_ieee_mode 1
		.amdhsa_fp16_overflow 0
		.amdhsa_tg_split 0
		.amdhsa_exception_fp_ieee_invalid_op 0
		.amdhsa_exception_fp_denorm_src 0
		.amdhsa_exception_fp_ieee_div_zero 0
		.amdhsa_exception_fp_ieee_overflow 0
		.amdhsa_exception_fp_ieee_underflow 0
		.amdhsa_exception_fp_ieee_inexact 0
		.amdhsa_exception_int_div_zero 0
	.end_amdhsa_kernel
	.section	.text._ZN7rocprim17ROCPRIM_400000_NS6detail44device_merge_sort_compile_time_verifier_archINS1_11comp_targetILNS1_3genE2ELNS1_11target_archE906ELNS1_3gpuE6ELNS1_3repE0EEES8_NS1_28merge_sort_block_sort_configILj256ELj4ELNS0_20block_sort_algorithmE0EEENS0_14default_configENS1_37merge_sort_block_sort_config_selectorIsNS0_10empty_typeEEENS1_38merge_sort_block_merge_config_selectorIsSE_EEEEvv,"axG",@progbits,_ZN7rocprim17ROCPRIM_400000_NS6detail44device_merge_sort_compile_time_verifier_archINS1_11comp_targetILNS1_3genE2ELNS1_11target_archE906ELNS1_3gpuE6ELNS1_3repE0EEES8_NS1_28merge_sort_block_sort_configILj256ELj4ELNS0_20block_sort_algorithmE0EEENS0_14default_configENS1_37merge_sort_block_sort_config_selectorIsNS0_10empty_typeEEENS1_38merge_sort_block_merge_config_selectorIsSE_EEEEvv,comdat
.Lfunc_end351:
	.size	_ZN7rocprim17ROCPRIM_400000_NS6detail44device_merge_sort_compile_time_verifier_archINS1_11comp_targetILNS1_3genE2ELNS1_11target_archE906ELNS1_3gpuE6ELNS1_3repE0EEES8_NS1_28merge_sort_block_sort_configILj256ELj4ELNS0_20block_sort_algorithmE0EEENS0_14default_configENS1_37merge_sort_block_sort_config_selectorIsNS0_10empty_typeEEENS1_38merge_sort_block_merge_config_selectorIsSE_EEEEvv, .Lfunc_end351-_ZN7rocprim17ROCPRIM_400000_NS6detail44device_merge_sort_compile_time_verifier_archINS1_11comp_targetILNS1_3genE2ELNS1_11target_archE906ELNS1_3gpuE6ELNS1_3repE0EEES8_NS1_28merge_sort_block_sort_configILj256ELj4ELNS0_20block_sort_algorithmE0EEENS0_14default_configENS1_37merge_sort_block_sort_config_selectorIsNS0_10empty_typeEEENS1_38merge_sort_block_merge_config_selectorIsSE_EEEEvv
                                        ; -- End function
	.section	.AMDGPU.csdata,"",@progbits
; Kernel info:
; codeLenInByte = 4
; NumSgprs: 4
; NumVgprs: 0
; NumAgprs: 0
; TotalNumVgprs: 0
; ScratchSize: 0
; MemoryBound: 0
; FloatMode: 240
; IeeeMode: 1
; LDSByteSize: 0 bytes/workgroup (compile time only)
; SGPRBlocks: 0
; VGPRBlocks: 0
; NumSGPRsForWavesPerEU: 4
; NumVGPRsForWavesPerEU: 1
; AccumOffset: 4
; Occupancy: 8
; WaveLimiterHint : 0
; COMPUTE_PGM_RSRC2:SCRATCH_EN: 0
; COMPUTE_PGM_RSRC2:USER_SGPR: 4
; COMPUTE_PGM_RSRC2:TRAP_HANDLER: 0
; COMPUTE_PGM_RSRC2:TGID_X_EN: 1
; COMPUTE_PGM_RSRC2:TGID_Y_EN: 0
; COMPUTE_PGM_RSRC2:TGID_Z_EN: 0
; COMPUTE_PGM_RSRC2:TIDIG_COMP_CNT: 0
; COMPUTE_PGM_RSRC3_GFX90A:ACCUM_OFFSET: 0
; COMPUTE_PGM_RSRC3_GFX90A:TG_SPLIT: 0
	.section	.text._ZN7rocprim17ROCPRIM_400000_NS6detail44device_merge_sort_compile_time_verifier_archINS1_11comp_targetILNS1_3genE10ELNS1_11target_archE1201ELNS1_3gpuE5ELNS1_3repE0EEES8_NS1_28merge_sort_block_sort_configILj256ELj4ELNS0_20block_sort_algorithmE0EEENS0_14default_configENS1_37merge_sort_block_sort_config_selectorIsNS0_10empty_typeEEENS1_38merge_sort_block_merge_config_selectorIsSE_EEEEvv,"axG",@progbits,_ZN7rocprim17ROCPRIM_400000_NS6detail44device_merge_sort_compile_time_verifier_archINS1_11comp_targetILNS1_3genE10ELNS1_11target_archE1201ELNS1_3gpuE5ELNS1_3repE0EEES8_NS1_28merge_sort_block_sort_configILj256ELj4ELNS0_20block_sort_algorithmE0EEENS0_14default_configENS1_37merge_sort_block_sort_config_selectorIsNS0_10empty_typeEEENS1_38merge_sort_block_merge_config_selectorIsSE_EEEEvv,comdat
	.protected	_ZN7rocprim17ROCPRIM_400000_NS6detail44device_merge_sort_compile_time_verifier_archINS1_11comp_targetILNS1_3genE10ELNS1_11target_archE1201ELNS1_3gpuE5ELNS1_3repE0EEES8_NS1_28merge_sort_block_sort_configILj256ELj4ELNS0_20block_sort_algorithmE0EEENS0_14default_configENS1_37merge_sort_block_sort_config_selectorIsNS0_10empty_typeEEENS1_38merge_sort_block_merge_config_selectorIsSE_EEEEvv ; -- Begin function _ZN7rocprim17ROCPRIM_400000_NS6detail44device_merge_sort_compile_time_verifier_archINS1_11comp_targetILNS1_3genE10ELNS1_11target_archE1201ELNS1_3gpuE5ELNS1_3repE0EEES8_NS1_28merge_sort_block_sort_configILj256ELj4ELNS0_20block_sort_algorithmE0EEENS0_14default_configENS1_37merge_sort_block_sort_config_selectorIsNS0_10empty_typeEEENS1_38merge_sort_block_merge_config_selectorIsSE_EEEEvv
	.globl	_ZN7rocprim17ROCPRIM_400000_NS6detail44device_merge_sort_compile_time_verifier_archINS1_11comp_targetILNS1_3genE10ELNS1_11target_archE1201ELNS1_3gpuE5ELNS1_3repE0EEES8_NS1_28merge_sort_block_sort_configILj256ELj4ELNS0_20block_sort_algorithmE0EEENS0_14default_configENS1_37merge_sort_block_sort_config_selectorIsNS0_10empty_typeEEENS1_38merge_sort_block_merge_config_selectorIsSE_EEEEvv
	.p2align	8
	.type	_ZN7rocprim17ROCPRIM_400000_NS6detail44device_merge_sort_compile_time_verifier_archINS1_11comp_targetILNS1_3genE10ELNS1_11target_archE1201ELNS1_3gpuE5ELNS1_3repE0EEES8_NS1_28merge_sort_block_sort_configILj256ELj4ELNS0_20block_sort_algorithmE0EEENS0_14default_configENS1_37merge_sort_block_sort_config_selectorIsNS0_10empty_typeEEENS1_38merge_sort_block_merge_config_selectorIsSE_EEEEvv,@function
_ZN7rocprim17ROCPRIM_400000_NS6detail44device_merge_sort_compile_time_verifier_archINS1_11comp_targetILNS1_3genE10ELNS1_11target_archE1201ELNS1_3gpuE5ELNS1_3repE0EEES8_NS1_28merge_sort_block_sort_configILj256ELj4ELNS0_20block_sort_algorithmE0EEENS0_14default_configENS1_37merge_sort_block_sort_config_selectorIsNS0_10empty_typeEEENS1_38merge_sort_block_merge_config_selectorIsSE_EEEEvv: ; @_ZN7rocprim17ROCPRIM_400000_NS6detail44device_merge_sort_compile_time_verifier_archINS1_11comp_targetILNS1_3genE10ELNS1_11target_archE1201ELNS1_3gpuE5ELNS1_3repE0EEES8_NS1_28merge_sort_block_sort_configILj256ELj4ELNS0_20block_sort_algorithmE0EEENS0_14default_configENS1_37merge_sort_block_sort_config_selectorIsNS0_10empty_typeEEENS1_38merge_sort_block_merge_config_selectorIsSE_EEEEvv
; %bb.0:
	s_endpgm
	.section	.rodata,"a",@progbits
	.p2align	6, 0x0
	.amdhsa_kernel _ZN7rocprim17ROCPRIM_400000_NS6detail44device_merge_sort_compile_time_verifier_archINS1_11comp_targetILNS1_3genE10ELNS1_11target_archE1201ELNS1_3gpuE5ELNS1_3repE0EEES8_NS1_28merge_sort_block_sort_configILj256ELj4ELNS0_20block_sort_algorithmE0EEENS0_14default_configENS1_37merge_sort_block_sort_config_selectorIsNS0_10empty_typeEEENS1_38merge_sort_block_merge_config_selectorIsSE_EEEEvv
		.amdhsa_group_segment_fixed_size 0
		.amdhsa_private_segment_fixed_size 0
		.amdhsa_kernarg_size 0
		.amdhsa_user_sgpr_count 4
		.amdhsa_user_sgpr_private_segment_buffer 1
		.amdhsa_user_sgpr_dispatch_ptr 0
		.amdhsa_user_sgpr_queue_ptr 0
		.amdhsa_user_sgpr_kernarg_segment_ptr 0
		.amdhsa_user_sgpr_dispatch_id 0
		.amdhsa_user_sgpr_flat_scratch_init 0
		.amdhsa_user_sgpr_kernarg_preload_length 0
		.amdhsa_user_sgpr_kernarg_preload_offset 0
		.amdhsa_user_sgpr_private_segment_size 0
		.amdhsa_uses_dynamic_stack 0
		.amdhsa_system_sgpr_private_segment_wavefront_offset 0
		.amdhsa_system_sgpr_workgroup_id_x 1
		.amdhsa_system_sgpr_workgroup_id_y 0
		.amdhsa_system_sgpr_workgroup_id_z 0
		.amdhsa_system_sgpr_workgroup_info 0
		.amdhsa_system_vgpr_workitem_id 0
		.amdhsa_next_free_vgpr 1
		.amdhsa_next_free_sgpr 0
		.amdhsa_accum_offset 4
		.amdhsa_reserve_vcc 0
		.amdhsa_reserve_flat_scratch 0
		.amdhsa_float_round_mode_32 0
		.amdhsa_float_round_mode_16_64 0
		.amdhsa_float_denorm_mode_32 3
		.amdhsa_float_denorm_mode_16_64 3
		.amdhsa_dx10_clamp 1
		.amdhsa_ieee_mode 1
		.amdhsa_fp16_overflow 0
		.amdhsa_tg_split 0
		.amdhsa_exception_fp_ieee_invalid_op 0
		.amdhsa_exception_fp_denorm_src 0
		.amdhsa_exception_fp_ieee_div_zero 0
		.amdhsa_exception_fp_ieee_overflow 0
		.amdhsa_exception_fp_ieee_underflow 0
		.amdhsa_exception_fp_ieee_inexact 0
		.amdhsa_exception_int_div_zero 0
	.end_amdhsa_kernel
	.section	.text._ZN7rocprim17ROCPRIM_400000_NS6detail44device_merge_sort_compile_time_verifier_archINS1_11comp_targetILNS1_3genE10ELNS1_11target_archE1201ELNS1_3gpuE5ELNS1_3repE0EEES8_NS1_28merge_sort_block_sort_configILj256ELj4ELNS0_20block_sort_algorithmE0EEENS0_14default_configENS1_37merge_sort_block_sort_config_selectorIsNS0_10empty_typeEEENS1_38merge_sort_block_merge_config_selectorIsSE_EEEEvv,"axG",@progbits,_ZN7rocprim17ROCPRIM_400000_NS6detail44device_merge_sort_compile_time_verifier_archINS1_11comp_targetILNS1_3genE10ELNS1_11target_archE1201ELNS1_3gpuE5ELNS1_3repE0EEES8_NS1_28merge_sort_block_sort_configILj256ELj4ELNS0_20block_sort_algorithmE0EEENS0_14default_configENS1_37merge_sort_block_sort_config_selectorIsNS0_10empty_typeEEENS1_38merge_sort_block_merge_config_selectorIsSE_EEEEvv,comdat
.Lfunc_end352:
	.size	_ZN7rocprim17ROCPRIM_400000_NS6detail44device_merge_sort_compile_time_verifier_archINS1_11comp_targetILNS1_3genE10ELNS1_11target_archE1201ELNS1_3gpuE5ELNS1_3repE0EEES8_NS1_28merge_sort_block_sort_configILj256ELj4ELNS0_20block_sort_algorithmE0EEENS0_14default_configENS1_37merge_sort_block_sort_config_selectorIsNS0_10empty_typeEEENS1_38merge_sort_block_merge_config_selectorIsSE_EEEEvv, .Lfunc_end352-_ZN7rocprim17ROCPRIM_400000_NS6detail44device_merge_sort_compile_time_verifier_archINS1_11comp_targetILNS1_3genE10ELNS1_11target_archE1201ELNS1_3gpuE5ELNS1_3repE0EEES8_NS1_28merge_sort_block_sort_configILj256ELj4ELNS0_20block_sort_algorithmE0EEENS0_14default_configENS1_37merge_sort_block_sort_config_selectorIsNS0_10empty_typeEEENS1_38merge_sort_block_merge_config_selectorIsSE_EEEEvv
                                        ; -- End function
	.section	.AMDGPU.csdata,"",@progbits
; Kernel info:
; codeLenInByte = 4
; NumSgprs: 4
; NumVgprs: 0
; NumAgprs: 0
; TotalNumVgprs: 0
; ScratchSize: 0
; MemoryBound: 0
; FloatMode: 240
; IeeeMode: 1
; LDSByteSize: 0 bytes/workgroup (compile time only)
; SGPRBlocks: 0
; VGPRBlocks: 0
; NumSGPRsForWavesPerEU: 4
; NumVGPRsForWavesPerEU: 1
; AccumOffset: 4
; Occupancy: 8
; WaveLimiterHint : 0
; COMPUTE_PGM_RSRC2:SCRATCH_EN: 0
; COMPUTE_PGM_RSRC2:USER_SGPR: 4
; COMPUTE_PGM_RSRC2:TRAP_HANDLER: 0
; COMPUTE_PGM_RSRC2:TGID_X_EN: 1
; COMPUTE_PGM_RSRC2:TGID_Y_EN: 0
; COMPUTE_PGM_RSRC2:TGID_Z_EN: 0
; COMPUTE_PGM_RSRC2:TIDIG_COMP_CNT: 0
; COMPUTE_PGM_RSRC3_GFX90A:ACCUM_OFFSET: 0
; COMPUTE_PGM_RSRC3_GFX90A:TG_SPLIT: 0
	.section	.text._ZN7rocprim17ROCPRIM_400000_NS6detail44device_merge_sort_compile_time_verifier_archINS1_11comp_targetILNS1_3genE10ELNS1_11target_archE1200ELNS1_3gpuE4ELNS1_3repE0EEENS3_ILS4_10ELS5_1201ELS6_5ELS7_0EEENS1_28merge_sort_block_sort_configILj256ELj4ELNS0_20block_sort_algorithmE0EEENS0_14default_configENS1_37merge_sort_block_sort_config_selectorIsNS0_10empty_typeEEENS1_38merge_sort_block_merge_config_selectorIsSF_EEEEvv,"axG",@progbits,_ZN7rocprim17ROCPRIM_400000_NS6detail44device_merge_sort_compile_time_verifier_archINS1_11comp_targetILNS1_3genE10ELNS1_11target_archE1200ELNS1_3gpuE4ELNS1_3repE0EEENS3_ILS4_10ELS5_1201ELS6_5ELS7_0EEENS1_28merge_sort_block_sort_configILj256ELj4ELNS0_20block_sort_algorithmE0EEENS0_14default_configENS1_37merge_sort_block_sort_config_selectorIsNS0_10empty_typeEEENS1_38merge_sort_block_merge_config_selectorIsSF_EEEEvv,comdat
	.protected	_ZN7rocprim17ROCPRIM_400000_NS6detail44device_merge_sort_compile_time_verifier_archINS1_11comp_targetILNS1_3genE10ELNS1_11target_archE1200ELNS1_3gpuE4ELNS1_3repE0EEENS3_ILS4_10ELS5_1201ELS6_5ELS7_0EEENS1_28merge_sort_block_sort_configILj256ELj4ELNS0_20block_sort_algorithmE0EEENS0_14default_configENS1_37merge_sort_block_sort_config_selectorIsNS0_10empty_typeEEENS1_38merge_sort_block_merge_config_selectorIsSF_EEEEvv ; -- Begin function _ZN7rocprim17ROCPRIM_400000_NS6detail44device_merge_sort_compile_time_verifier_archINS1_11comp_targetILNS1_3genE10ELNS1_11target_archE1200ELNS1_3gpuE4ELNS1_3repE0EEENS3_ILS4_10ELS5_1201ELS6_5ELS7_0EEENS1_28merge_sort_block_sort_configILj256ELj4ELNS0_20block_sort_algorithmE0EEENS0_14default_configENS1_37merge_sort_block_sort_config_selectorIsNS0_10empty_typeEEENS1_38merge_sort_block_merge_config_selectorIsSF_EEEEvv
	.globl	_ZN7rocprim17ROCPRIM_400000_NS6detail44device_merge_sort_compile_time_verifier_archINS1_11comp_targetILNS1_3genE10ELNS1_11target_archE1200ELNS1_3gpuE4ELNS1_3repE0EEENS3_ILS4_10ELS5_1201ELS6_5ELS7_0EEENS1_28merge_sort_block_sort_configILj256ELj4ELNS0_20block_sort_algorithmE0EEENS0_14default_configENS1_37merge_sort_block_sort_config_selectorIsNS0_10empty_typeEEENS1_38merge_sort_block_merge_config_selectorIsSF_EEEEvv
	.p2align	8
	.type	_ZN7rocprim17ROCPRIM_400000_NS6detail44device_merge_sort_compile_time_verifier_archINS1_11comp_targetILNS1_3genE10ELNS1_11target_archE1200ELNS1_3gpuE4ELNS1_3repE0EEENS3_ILS4_10ELS5_1201ELS6_5ELS7_0EEENS1_28merge_sort_block_sort_configILj256ELj4ELNS0_20block_sort_algorithmE0EEENS0_14default_configENS1_37merge_sort_block_sort_config_selectorIsNS0_10empty_typeEEENS1_38merge_sort_block_merge_config_selectorIsSF_EEEEvv,@function
_ZN7rocprim17ROCPRIM_400000_NS6detail44device_merge_sort_compile_time_verifier_archINS1_11comp_targetILNS1_3genE10ELNS1_11target_archE1200ELNS1_3gpuE4ELNS1_3repE0EEENS3_ILS4_10ELS5_1201ELS6_5ELS7_0EEENS1_28merge_sort_block_sort_configILj256ELj4ELNS0_20block_sort_algorithmE0EEENS0_14default_configENS1_37merge_sort_block_sort_config_selectorIsNS0_10empty_typeEEENS1_38merge_sort_block_merge_config_selectorIsSF_EEEEvv: ; @_ZN7rocprim17ROCPRIM_400000_NS6detail44device_merge_sort_compile_time_verifier_archINS1_11comp_targetILNS1_3genE10ELNS1_11target_archE1200ELNS1_3gpuE4ELNS1_3repE0EEENS3_ILS4_10ELS5_1201ELS6_5ELS7_0EEENS1_28merge_sort_block_sort_configILj256ELj4ELNS0_20block_sort_algorithmE0EEENS0_14default_configENS1_37merge_sort_block_sort_config_selectorIsNS0_10empty_typeEEENS1_38merge_sort_block_merge_config_selectorIsSF_EEEEvv
; %bb.0:
	s_endpgm
	.section	.rodata,"a",@progbits
	.p2align	6, 0x0
	.amdhsa_kernel _ZN7rocprim17ROCPRIM_400000_NS6detail44device_merge_sort_compile_time_verifier_archINS1_11comp_targetILNS1_3genE10ELNS1_11target_archE1200ELNS1_3gpuE4ELNS1_3repE0EEENS3_ILS4_10ELS5_1201ELS6_5ELS7_0EEENS1_28merge_sort_block_sort_configILj256ELj4ELNS0_20block_sort_algorithmE0EEENS0_14default_configENS1_37merge_sort_block_sort_config_selectorIsNS0_10empty_typeEEENS1_38merge_sort_block_merge_config_selectorIsSF_EEEEvv
		.amdhsa_group_segment_fixed_size 0
		.amdhsa_private_segment_fixed_size 0
		.amdhsa_kernarg_size 0
		.amdhsa_user_sgpr_count 4
		.amdhsa_user_sgpr_private_segment_buffer 1
		.amdhsa_user_sgpr_dispatch_ptr 0
		.amdhsa_user_sgpr_queue_ptr 0
		.amdhsa_user_sgpr_kernarg_segment_ptr 0
		.amdhsa_user_sgpr_dispatch_id 0
		.amdhsa_user_sgpr_flat_scratch_init 0
		.amdhsa_user_sgpr_kernarg_preload_length 0
		.amdhsa_user_sgpr_kernarg_preload_offset 0
		.amdhsa_user_sgpr_private_segment_size 0
		.amdhsa_uses_dynamic_stack 0
		.amdhsa_system_sgpr_private_segment_wavefront_offset 0
		.amdhsa_system_sgpr_workgroup_id_x 1
		.amdhsa_system_sgpr_workgroup_id_y 0
		.amdhsa_system_sgpr_workgroup_id_z 0
		.amdhsa_system_sgpr_workgroup_info 0
		.amdhsa_system_vgpr_workitem_id 0
		.amdhsa_next_free_vgpr 1
		.amdhsa_next_free_sgpr 0
		.amdhsa_accum_offset 4
		.amdhsa_reserve_vcc 0
		.amdhsa_reserve_flat_scratch 0
		.amdhsa_float_round_mode_32 0
		.amdhsa_float_round_mode_16_64 0
		.amdhsa_float_denorm_mode_32 3
		.amdhsa_float_denorm_mode_16_64 3
		.amdhsa_dx10_clamp 1
		.amdhsa_ieee_mode 1
		.amdhsa_fp16_overflow 0
		.amdhsa_tg_split 0
		.amdhsa_exception_fp_ieee_invalid_op 0
		.amdhsa_exception_fp_denorm_src 0
		.amdhsa_exception_fp_ieee_div_zero 0
		.amdhsa_exception_fp_ieee_overflow 0
		.amdhsa_exception_fp_ieee_underflow 0
		.amdhsa_exception_fp_ieee_inexact 0
		.amdhsa_exception_int_div_zero 0
	.end_amdhsa_kernel
	.section	.text._ZN7rocprim17ROCPRIM_400000_NS6detail44device_merge_sort_compile_time_verifier_archINS1_11comp_targetILNS1_3genE10ELNS1_11target_archE1200ELNS1_3gpuE4ELNS1_3repE0EEENS3_ILS4_10ELS5_1201ELS6_5ELS7_0EEENS1_28merge_sort_block_sort_configILj256ELj4ELNS0_20block_sort_algorithmE0EEENS0_14default_configENS1_37merge_sort_block_sort_config_selectorIsNS0_10empty_typeEEENS1_38merge_sort_block_merge_config_selectorIsSF_EEEEvv,"axG",@progbits,_ZN7rocprim17ROCPRIM_400000_NS6detail44device_merge_sort_compile_time_verifier_archINS1_11comp_targetILNS1_3genE10ELNS1_11target_archE1200ELNS1_3gpuE4ELNS1_3repE0EEENS3_ILS4_10ELS5_1201ELS6_5ELS7_0EEENS1_28merge_sort_block_sort_configILj256ELj4ELNS0_20block_sort_algorithmE0EEENS0_14default_configENS1_37merge_sort_block_sort_config_selectorIsNS0_10empty_typeEEENS1_38merge_sort_block_merge_config_selectorIsSF_EEEEvv,comdat
.Lfunc_end353:
	.size	_ZN7rocprim17ROCPRIM_400000_NS6detail44device_merge_sort_compile_time_verifier_archINS1_11comp_targetILNS1_3genE10ELNS1_11target_archE1200ELNS1_3gpuE4ELNS1_3repE0EEENS3_ILS4_10ELS5_1201ELS6_5ELS7_0EEENS1_28merge_sort_block_sort_configILj256ELj4ELNS0_20block_sort_algorithmE0EEENS0_14default_configENS1_37merge_sort_block_sort_config_selectorIsNS0_10empty_typeEEENS1_38merge_sort_block_merge_config_selectorIsSF_EEEEvv, .Lfunc_end353-_ZN7rocprim17ROCPRIM_400000_NS6detail44device_merge_sort_compile_time_verifier_archINS1_11comp_targetILNS1_3genE10ELNS1_11target_archE1200ELNS1_3gpuE4ELNS1_3repE0EEENS3_ILS4_10ELS5_1201ELS6_5ELS7_0EEENS1_28merge_sort_block_sort_configILj256ELj4ELNS0_20block_sort_algorithmE0EEENS0_14default_configENS1_37merge_sort_block_sort_config_selectorIsNS0_10empty_typeEEENS1_38merge_sort_block_merge_config_selectorIsSF_EEEEvv
                                        ; -- End function
	.section	.AMDGPU.csdata,"",@progbits
; Kernel info:
; codeLenInByte = 4
; NumSgprs: 4
; NumVgprs: 0
; NumAgprs: 0
; TotalNumVgprs: 0
; ScratchSize: 0
; MemoryBound: 0
; FloatMode: 240
; IeeeMode: 1
; LDSByteSize: 0 bytes/workgroup (compile time only)
; SGPRBlocks: 0
; VGPRBlocks: 0
; NumSGPRsForWavesPerEU: 4
; NumVGPRsForWavesPerEU: 1
; AccumOffset: 4
; Occupancy: 8
; WaveLimiterHint : 0
; COMPUTE_PGM_RSRC2:SCRATCH_EN: 0
; COMPUTE_PGM_RSRC2:USER_SGPR: 4
; COMPUTE_PGM_RSRC2:TRAP_HANDLER: 0
; COMPUTE_PGM_RSRC2:TGID_X_EN: 1
; COMPUTE_PGM_RSRC2:TGID_Y_EN: 0
; COMPUTE_PGM_RSRC2:TGID_Z_EN: 0
; COMPUTE_PGM_RSRC2:TIDIG_COMP_CNT: 0
; COMPUTE_PGM_RSRC3_GFX90A:ACCUM_OFFSET: 0
; COMPUTE_PGM_RSRC3_GFX90A:TG_SPLIT: 0
	.section	.text._ZN7rocprim17ROCPRIM_400000_NS6detail44device_merge_sort_compile_time_verifier_archINS1_11comp_targetILNS1_3genE9ELNS1_11target_archE1100ELNS1_3gpuE3ELNS1_3repE0EEES8_NS1_28merge_sort_block_sort_configILj256ELj4ELNS0_20block_sort_algorithmE0EEENS0_14default_configENS1_37merge_sort_block_sort_config_selectorIsNS0_10empty_typeEEENS1_38merge_sort_block_merge_config_selectorIsSE_EEEEvv,"axG",@progbits,_ZN7rocprim17ROCPRIM_400000_NS6detail44device_merge_sort_compile_time_verifier_archINS1_11comp_targetILNS1_3genE9ELNS1_11target_archE1100ELNS1_3gpuE3ELNS1_3repE0EEES8_NS1_28merge_sort_block_sort_configILj256ELj4ELNS0_20block_sort_algorithmE0EEENS0_14default_configENS1_37merge_sort_block_sort_config_selectorIsNS0_10empty_typeEEENS1_38merge_sort_block_merge_config_selectorIsSE_EEEEvv,comdat
	.protected	_ZN7rocprim17ROCPRIM_400000_NS6detail44device_merge_sort_compile_time_verifier_archINS1_11comp_targetILNS1_3genE9ELNS1_11target_archE1100ELNS1_3gpuE3ELNS1_3repE0EEES8_NS1_28merge_sort_block_sort_configILj256ELj4ELNS0_20block_sort_algorithmE0EEENS0_14default_configENS1_37merge_sort_block_sort_config_selectorIsNS0_10empty_typeEEENS1_38merge_sort_block_merge_config_selectorIsSE_EEEEvv ; -- Begin function _ZN7rocprim17ROCPRIM_400000_NS6detail44device_merge_sort_compile_time_verifier_archINS1_11comp_targetILNS1_3genE9ELNS1_11target_archE1100ELNS1_3gpuE3ELNS1_3repE0EEES8_NS1_28merge_sort_block_sort_configILj256ELj4ELNS0_20block_sort_algorithmE0EEENS0_14default_configENS1_37merge_sort_block_sort_config_selectorIsNS0_10empty_typeEEENS1_38merge_sort_block_merge_config_selectorIsSE_EEEEvv
	.globl	_ZN7rocprim17ROCPRIM_400000_NS6detail44device_merge_sort_compile_time_verifier_archINS1_11comp_targetILNS1_3genE9ELNS1_11target_archE1100ELNS1_3gpuE3ELNS1_3repE0EEES8_NS1_28merge_sort_block_sort_configILj256ELj4ELNS0_20block_sort_algorithmE0EEENS0_14default_configENS1_37merge_sort_block_sort_config_selectorIsNS0_10empty_typeEEENS1_38merge_sort_block_merge_config_selectorIsSE_EEEEvv
	.p2align	8
	.type	_ZN7rocprim17ROCPRIM_400000_NS6detail44device_merge_sort_compile_time_verifier_archINS1_11comp_targetILNS1_3genE9ELNS1_11target_archE1100ELNS1_3gpuE3ELNS1_3repE0EEES8_NS1_28merge_sort_block_sort_configILj256ELj4ELNS0_20block_sort_algorithmE0EEENS0_14default_configENS1_37merge_sort_block_sort_config_selectorIsNS0_10empty_typeEEENS1_38merge_sort_block_merge_config_selectorIsSE_EEEEvv,@function
_ZN7rocprim17ROCPRIM_400000_NS6detail44device_merge_sort_compile_time_verifier_archINS1_11comp_targetILNS1_3genE9ELNS1_11target_archE1100ELNS1_3gpuE3ELNS1_3repE0EEES8_NS1_28merge_sort_block_sort_configILj256ELj4ELNS0_20block_sort_algorithmE0EEENS0_14default_configENS1_37merge_sort_block_sort_config_selectorIsNS0_10empty_typeEEENS1_38merge_sort_block_merge_config_selectorIsSE_EEEEvv: ; @_ZN7rocprim17ROCPRIM_400000_NS6detail44device_merge_sort_compile_time_verifier_archINS1_11comp_targetILNS1_3genE9ELNS1_11target_archE1100ELNS1_3gpuE3ELNS1_3repE0EEES8_NS1_28merge_sort_block_sort_configILj256ELj4ELNS0_20block_sort_algorithmE0EEENS0_14default_configENS1_37merge_sort_block_sort_config_selectorIsNS0_10empty_typeEEENS1_38merge_sort_block_merge_config_selectorIsSE_EEEEvv
; %bb.0:
	s_endpgm
	.section	.rodata,"a",@progbits
	.p2align	6, 0x0
	.amdhsa_kernel _ZN7rocprim17ROCPRIM_400000_NS6detail44device_merge_sort_compile_time_verifier_archINS1_11comp_targetILNS1_3genE9ELNS1_11target_archE1100ELNS1_3gpuE3ELNS1_3repE0EEES8_NS1_28merge_sort_block_sort_configILj256ELj4ELNS0_20block_sort_algorithmE0EEENS0_14default_configENS1_37merge_sort_block_sort_config_selectorIsNS0_10empty_typeEEENS1_38merge_sort_block_merge_config_selectorIsSE_EEEEvv
		.amdhsa_group_segment_fixed_size 0
		.amdhsa_private_segment_fixed_size 0
		.amdhsa_kernarg_size 0
		.amdhsa_user_sgpr_count 4
		.amdhsa_user_sgpr_private_segment_buffer 1
		.amdhsa_user_sgpr_dispatch_ptr 0
		.amdhsa_user_sgpr_queue_ptr 0
		.amdhsa_user_sgpr_kernarg_segment_ptr 0
		.amdhsa_user_sgpr_dispatch_id 0
		.amdhsa_user_sgpr_flat_scratch_init 0
		.amdhsa_user_sgpr_kernarg_preload_length 0
		.amdhsa_user_sgpr_kernarg_preload_offset 0
		.amdhsa_user_sgpr_private_segment_size 0
		.amdhsa_uses_dynamic_stack 0
		.amdhsa_system_sgpr_private_segment_wavefront_offset 0
		.amdhsa_system_sgpr_workgroup_id_x 1
		.amdhsa_system_sgpr_workgroup_id_y 0
		.amdhsa_system_sgpr_workgroup_id_z 0
		.amdhsa_system_sgpr_workgroup_info 0
		.amdhsa_system_vgpr_workitem_id 0
		.amdhsa_next_free_vgpr 1
		.amdhsa_next_free_sgpr 0
		.amdhsa_accum_offset 4
		.amdhsa_reserve_vcc 0
		.amdhsa_reserve_flat_scratch 0
		.amdhsa_float_round_mode_32 0
		.amdhsa_float_round_mode_16_64 0
		.amdhsa_float_denorm_mode_32 3
		.amdhsa_float_denorm_mode_16_64 3
		.amdhsa_dx10_clamp 1
		.amdhsa_ieee_mode 1
		.amdhsa_fp16_overflow 0
		.amdhsa_tg_split 0
		.amdhsa_exception_fp_ieee_invalid_op 0
		.amdhsa_exception_fp_denorm_src 0
		.amdhsa_exception_fp_ieee_div_zero 0
		.amdhsa_exception_fp_ieee_overflow 0
		.amdhsa_exception_fp_ieee_underflow 0
		.amdhsa_exception_fp_ieee_inexact 0
		.amdhsa_exception_int_div_zero 0
	.end_amdhsa_kernel
	.section	.text._ZN7rocprim17ROCPRIM_400000_NS6detail44device_merge_sort_compile_time_verifier_archINS1_11comp_targetILNS1_3genE9ELNS1_11target_archE1100ELNS1_3gpuE3ELNS1_3repE0EEES8_NS1_28merge_sort_block_sort_configILj256ELj4ELNS0_20block_sort_algorithmE0EEENS0_14default_configENS1_37merge_sort_block_sort_config_selectorIsNS0_10empty_typeEEENS1_38merge_sort_block_merge_config_selectorIsSE_EEEEvv,"axG",@progbits,_ZN7rocprim17ROCPRIM_400000_NS6detail44device_merge_sort_compile_time_verifier_archINS1_11comp_targetILNS1_3genE9ELNS1_11target_archE1100ELNS1_3gpuE3ELNS1_3repE0EEES8_NS1_28merge_sort_block_sort_configILj256ELj4ELNS0_20block_sort_algorithmE0EEENS0_14default_configENS1_37merge_sort_block_sort_config_selectorIsNS0_10empty_typeEEENS1_38merge_sort_block_merge_config_selectorIsSE_EEEEvv,comdat
.Lfunc_end354:
	.size	_ZN7rocprim17ROCPRIM_400000_NS6detail44device_merge_sort_compile_time_verifier_archINS1_11comp_targetILNS1_3genE9ELNS1_11target_archE1100ELNS1_3gpuE3ELNS1_3repE0EEES8_NS1_28merge_sort_block_sort_configILj256ELj4ELNS0_20block_sort_algorithmE0EEENS0_14default_configENS1_37merge_sort_block_sort_config_selectorIsNS0_10empty_typeEEENS1_38merge_sort_block_merge_config_selectorIsSE_EEEEvv, .Lfunc_end354-_ZN7rocprim17ROCPRIM_400000_NS6detail44device_merge_sort_compile_time_verifier_archINS1_11comp_targetILNS1_3genE9ELNS1_11target_archE1100ELNS1_3gpuE3ELNS1_3repE0EEES8_NS1_28merge_sort_block_sort_configILj256ELj4ELNS0_20block_sort_algorithmE0EEENS0_14default_configENS1_37merge_sort_block_sort_config_selectorIsNS0_10empty_typeEEENS1_38merge_sort_block_merge_config_selectorIsSE_EEEEvv
                                        ; -- End function
	.section	.AMDGPU.csdata,"",@progbits
; Kernel info:
; codeLenInByte = 4
; NumSgprs: 4
; NumVgprs: 0
; NumAgprs: 0
; TotalNumVgprs: 0
; ScratchSize: 0
; MemoryBound: 0
; FloatMode: 240
; IeeeMode: 1
; LDSByteSize: 0 bytes/workgroup (compile time only)
; SGPRBlocks: 0
; VGPRBlocks: 0
; NumSGPRsForWavesPerEU: 4
; NumVGPRsForWavesPerEU: 1
; AccumOffset: 4
; Occupancy: 8
; WaveLimiterHint : 0
; COMPUTE_PGM_RSRC2:SCRATCH_EN: 0
; COMPUTE_PGM_RSRC2:USER_SGPR: 4
; COMPUTE_PGM_RSRC2:TRAP_HANDLER: 0
; COMPUTE_PGM_RSRC2:TGID_X_EN: 1
; COMPUTE_PGM_RSRC2:TGID_Y_EN: 0
; COMPUTE_PGM_RSRC2:TGID_Z_EN: 0
; COMPUTE_PGM_RSRC2:TIDIG_COMP_CNT: 0
; COMPUTE_PGM_RSRC3_GFX90A:ACCUM_OFFSET: 0
; COMPUTE_PGM_RSRC3_GFX90A:TG_SPLIT: 0
	.section	.text._ZN7rocprim17ROCPRIM_400000_NS6detail44device_merge_sort_compile_time_verifier_archINS1_11comp_targetILNS1_3genE8ELNS1_11target_archE1030ELNS1_3gpuE2ELNS1_3repE0EEES8_NS1_28merge_sort_block_sort_configILj256ELj4ELNS0_20block_sort_algorithmE0EEENS0_14default_configENS1_37merge_sort_block_sort_config_selectorIsNS0_10empty_typeEEENS1_38merge_sort_block_merge_config_selectorIsSE_EEEEvv,"axG",@progbits,_ZN7rocprim17ROCPRIM_400000_NS6detail44device_merge_sort_compile_time_verifier_archINS1_11comp_targetILNS1_3genE8ELNS1_11target_archE1030ELNS1_3gpuE2ELNS1_3repE0EEES8_NS1_28merge_sort_block_sort_configILj256ELj4ELNS0_20block_sort_algorithmE0EEENS0_14default_configENS1_37merge_sort_block_sort_config_selectorIsNS0_10empty_typeEEENS1_38merge_sort_block_merge_config_selectorIsSE_EEEEvv,comdat
	.protected	_ZN7rocprim17ROCPRIM_400000_NS6detail44device_merge_sort_compile_time_verifier_archINS1_11comp_targetILNS1_3genE8ELNS1_11target_archE1030ELNS1_3gpuE2ELNS1_3repE0EEES8_NS1_28merge_sort_block_sort_configILj256ELj4ELNS0_20block_sort_algorithmE0EEENS0_14default_configENS1_37merge_sort_block_sort_config_selectorIsNS0_10empty_typeEEENS1_38merge_sort_block_merge_config_selectorIsSE_EEEEvv ; -- Begin function _ZN7rocprim17ROCPRIM_400000_NS6detail44device_merge_sort_compile_time_verifier_archINS1_11comp_targetILNS1_3genE8ELNS1_11target_archE1030ELNS1_3gpuE2ELNS1_3repE0EEES8_NS1_28merge_sort_block_sort_configILj256ELj4ELNS0_20block_sort_algorithmE0EEENS0_14default_configENS1_37merge_sort_block_sort_config_selectorIsNS0_10empty_typeEEENS1_38merge_sort_block_merge_config_selectorIsSE_EEEEvv
	.globl	_ZN7rocprim17ROCPRIM_400000_NS6detail44device_merge_sort_compile_time_verifier_archINS1_11comp_targetILNS1_3genE8ELNS1_11target_archE1030ELNS1_3gpuE2ELNS1_3repE0EEES8_NS1_28merge_sort_block_sort_configILj256ELj4ELNS0_20block_sort_algorithmE0EEENS0_14default_configENS1_37merge_sort_block_sort_config_selectorIsNS0_10empty_typeEEENS1_38merge_sort_block_merge_config_selectorIsSE_EEEEvv
	.p2align	8
	.type	_ZN7rocprim17ROCPRIM_400000_NS6detail44device_merge_sort_compile_time_verifier_archINS1_11comp_targetILNS1_3genE8ELNS1_11target_archE1030ELNS1_3gpuE2ELNS1_3repE0EEES8_NS1_28merge_sort_block_sort_configILj256ELj4ELNS0_20block_sort_algorithmE0EEENS0_14default_configENS1_37merge_sort_block_sort_config_selectorIsNS0_10empty_typeEEENS1_38merge_sort_block_merge_config_selectorIsSE_EEEEvv,@function
_ZN7rocprim17ROCPRIM_400000_NS6detail44device_merge_sort_compile_time_verifier_archINS1_11comp_targetILNS1_3genE8ELNS1_11target_archE1030ELNS1_3gpuE2ELNS1_3repE0EEES8_NS1_28merge_sort_block_sort_configILj256ELj4ELNS0_20block_sort_algorithmE0EEENS0_14default_configENS1_37merge_sort_block_sort_config_selectorIsNS0_10empty_typeEEENS1_38merge_sort_block_merge_config_selectorIsSE_EEEEvv: ; @_ZN7rocprim17ROCPRIM_400000_NS6detail44device_merge_sort_compile_time_verifier_archINS1_11comp_targetILNS1_3genE8ELNS1_11target_archE1030ELNS1_3gpuE2ELNS1_3repE0EEES8_NS1_28merge_sort_block_sort_configILj256ELj4ELNS0_20block_sort_algorithmE0EEENS0_14default_configENS1_37merge_sort_block_sort_config_selectorIsNS0_10empty_typeEEENS1_38merge_sort_block_merge_config_selectorIsSE_EEEEvv
; %bb.0:
	s_endpgm
	.section	.rodata,"a",@progbits
	.p2align	6, 0x0
	.amdhsa_kernel _ZN7rocprim17ROCPRIM_400000_NS6detail44device_merge_sort_compile_time_verifier_archINS1_11comp_targetILNS1_3genE8ELNS1_11target_archE1030ELNS1_3gpuE2ELNS1_3repE0EEES8_NS1_28merge_sort_block_sort_configILj256ELj4ELNS0_20block_sort_algorithmE0EEENS0_14default_configENS1_37merge_sort_block_sort_config_selectorIsNS0_10empty_typeEEENS1_38merge_sort_block_merge_config_selectorIsSE_EEEEvv
		.amdhsa_group_segment_fixed_size 0
		.amdhsa_private_segment_fixed_size 0
		.amdhsa_kernarg_size 0
		.amdhsa_user_sgpr_count 4
		.amdhsa_user_sgpr_private_segment_buffer 1
		.amdhsa_user_sgpr_dispatch_ptr 0
		.amdhsa_user_sgpr_queue_ptr 0
		.amdhsa_user_sgpr_kernarg_segment_ptr 0
		.amdhsa_user_sgpr_dispatch_id 0
		.amdhsa_user_sgpr_flat_scratch_init 0
		.amdhsa_user_sgpr_kernarg_preload_length 0
		.amdhsa_user_sgpr_kernarg_preload_offset 0
		.amdhsa_user_sgpr_private_segment_size 0
		.amdhsa_uses_dynamic_stack 0
		.amdhsa_system_sgpr_private_segment_wavefront_offset 0
		.amdhsa_system_sgpr_workgroup_id_x 1
		.amdhsa_system_sgpr_workgroup_id_y 0
		.amdhsa_system_sgpr_workgroup_id_z 0
		.amdhsa_system_sgpr_workgroup_info 0
		.amdhsa_system_vgpr_workitem_id 0
		.amdhsa_next_free_vgpr 1
		.amdhsa_next_free_sgpr 0
		.amdhsa_accum_offset 4
		.amdhsa_reserve_vcc 0
		.amdhsa_reserve_flat_scratch 0
		.amdhsa_float_round_mode_32 0
		.amdhsa_float_round_mode_16_64 0
		.amdhsa_float_denorm_mode_32 3
		.amdhsa_float_denorm_mode_16_64 3
		.amdhsa_dx10_clamp 1
		.amdhsa_ieee_mode 1
		.amdhsa_fp16_overflow 0
		.amdhsa_tg_split 0
		.amdhsa_exception_fp_ieee_invalid_op 0
		.amdhsa_exception_fp_denorm_src 0
		.amdhsa_exception_fp_ieee_div_zero 0
		.amdhsa_exception_fp_ieee_overflow 0
		.amdhsa_exception_fp_ieee_underflow 0
		.amdhsa_exception_fp_ieee_inexact 0
		.amdhsa_exception_int_div_zero 0
	.end_amdhsa_kernel
	.section	.text._ZN7rocprim17ROCPRIM_400000_NS6detail44device_merge_sort_compile_time_verifier_archINS1_11comp_targetILNS1_3genE8ELNS1_11target_archE1030ELNS1_3gpuE2ELNS1_3repE0EEES8_NS1_28merge_sort_block_sort_configILj256ELj4ELNS0_20block_sort_algorithmE0EEENS0_14default_configENS1_37merge_sort_block_sort_config_selectorIsNS0_10empty_typeEEENS1_38merge_sort_block_merge_config_selectorIsSE_EEEEvv,"axG",@progbits,_ZN7rocprim17ROCPRIM_400000_NS6detail44device_merge_sort_compile_time_verifier_archINS1_11comp_targetILNS1_3genE8ELNS1_11target_archE1030ELNS1_3gpuE2ELNS1_3repE0EEES8_NS1_28merge_sort_block_sort_configILj256ELj4ELNS0_20block_sort_algorithmE0EEENS0_14default_configENS1_37merge_sort_block_sort_config_selectorIsNS0_10empty_typeEEENS1_38merge_sort_block_merge_config_selectorIsSE_EEEEvv,comdat
.Lfunc_end355:
	.size	_ZN7rocprim17ROCPRIM_400000_NS6detail44device_merge_sort_compile_time_verifier_archINS1_11comp_targetILNS1_3genE8ELNS1_11target_archE1030ELNS1_3gpuE2ELNS1_3repE0EEES8_NS1_28merge_sort_block_sort_configILj256ELj4ELNS0_20block_sort_algorithmE0EEENS0_14default_configENS1_37merge_sort_block_sort_config_selectorIsNS0_10empty_typeEEENS1_38merge_sort_block_merge_config_selectorIsSE_EEEEvv, .Lfunc_end355-_ZN7rocprim17ROCPRIM_400000_NS6detail44device_merge_sort_compile_time_verifier_archINS1_11comp_targetILNS1_3genE8ELNS1_11target_archE1030ELNS1_3gpuE2ELNS1_3repE0EEES8_NS1_28merge_sort_block_sort_configILj256ELj4ELNS0_20block_sort_algorithmE0EEENS0_14default_configENS1_37merge_sort_block_sort_config_selectorIsNS0_10empty_typeEEENS1_38merge_sort_block_merge_config_selectorIsSE_EEEEvv
                                        ; -- End function
	.section	.AMDGPU.csdata,"",@progbits
; Kernel info:
; codeLenInByte = 4
; NumSgprs: 4
; NumVgprs: 0
; NumAgprs: 0
; TotalNumVgprs: 0
; ScratchSize: 0
; MemoryBound: 0
; FloatMode: 240
; IeeeMode: 1
; LDSByteSize: 0 bytes/workgroup (compile time only)
; SGPRBlocks: 0
; VGPRBlocks: 0
; NumSGPRsForWavesPerEU: 4
; NumVGPRsForWavesPerEU: 1
; AccumOffset: 4
; Occupancy: 8
; WaveLimiterHint : 0
; COMPUTE_PGM_RSRC2:SCRATCH_EN: 0
; COMPUTE_PGM_RSRC2:USER_SGPR: 4
; COMPUTE_PGM_RSRC2:TRAP_HANDLER: 0
; COMPUTE_PGM_RSRC2:TGID_X_EN: 1
; COMPUTE_PGM_RSRC2:TGID_Y_EN: 0
; COMPUTE_PGM_RSRC2:TGID_Z_EN: 0
; COMPUTE_PGM_RSRC2:TIDIG_COMP_CNT: 0
; COMPUTE_PGM_RSRC3_GFX90A:ACCUM_OFFSET: 0
; COMPUTE_PGM_RSRC3_GFX90A:TG_SPLIT: 0
	.section	.text._ZN7rocprim17ROCPRIM_400000_NS6detail17trampoline_kernelINS0_14default_configENS1_38merge_sort_block_merge_config_selectorIsNS0_10empty_typeEEEZZNS1_27merge_sort_block_merge_implIS3_PsPS5_jNS1_19radix_merge_compareILb0ELb0EsNS0_19identity_decomposerEEEEE10hipError_tT0_T1_T2_jT3_P12ihipStream_tbPNSt15iterator_traitsISE_E10value_typeEPNSK_ISF_E10value_typeEPSG_NS1_7vsmem_tEENKUlT_SE_SF_SG_E_clIS8_S8_S9_S9_EESD_ST_SE_SF_SG_EUlST_E_NS1_11comp_targetILNS1_3genE0ELNS1_11target_archE4294967295ELNS1_3gpuE0ELNS1_3repE0EEENS1_48merge_mergepath_partition_config_static_selectorELNS0_4arch9wavefront6targetE1EEEvSF_,"axG",@progbits,_ZN7rocprim17ROCPRIM_400000_NS6detail17trampoline_kernelINS0_14default_configENS1_38merge_sort_block_merge_config_selectorIsNS0_10empty_typeEEEZZNS1_27merge_sort_block_merge_implIS3_PsPS5_jNS1_19radix_merge_compareILb0ELb0EsNS0_19identity_decomposerEEEEE10hipError_tT0_T1_T2_jT3_P12ihipStream_tbPNSt15iterator_traitsISE_E10value_typeEPNSK_ISF_E10value_typeEPSG_NS1_7vsmem_tEENKUlT_SE_SF_SG_E_clIS8_S8_S9_S9_EESD_ST_SE_SF_SG_EUlST_E_NS1_11comp_targetILNS1_3genE0ELNS1_11target_archE4294967295ELNS1_3gpuE0ELNS1_3repE0EEENS1_48merge_mergepath_partition_config_static_selectorELNS0_4arch9wavefront6targetE1EEEvSF_,comdat
	.protected	_ZN7rocprim17ROCPRIM_400000_NS6detail17trampoline_kernelINS0_14default_configENS1_38merge_sort_block_merge_config_selectorIsNS0_10empty_typeEEEZZNS1_27merge_sort_block_merge_implIS3_PsPS5_jNS1_19radix_merge_compareILb0ELb0EsNS0_19identity_decomposerEEEEE10hipError_tT0_T1_T2_jT3_P12ihipStream_tbPNSt15iterator_traitsISE_E10value_typeEPNSK_ISF_E10value_typeEPSG_NS1_7vsmem_tEENKUlT_SE_SF_SG_E_clIS8_S8_S9_S9_EESD_ST_SE_SF_SG_EUlST_E_NS1_11comp_targetILNS1_3genE0ELNS1_11target_archE4294967295ELNS1_3gpuE0ELNS1_3repE0EEENS1_48merge_mergepath_partition_config_static_selectorELNS0_4arch9wavefront6targetE1EEEvSF_ ; -- Begin function _ZN7rocprim17ROCPRIM_400000_NS6detail17trampoline_kernelINS0_14default_configENS1_38merge_sort_block_merge_config_selectorIsNS0_10empty_typeEEEZZNS1_27merge_sort_block_merge_implIS3_PsPS5_jNS1_19radix_merge_compareILb0ELb0EsNS0_19identity_decomposerEEEEE10hipError_tT0_T1_T2_jT3_P12ihipStream_tbPNSt15iterator_traitsISE_E10value_typeEPNSK_ISF_E10value_typeEPSG_NS1_7vsmem_tEENKUlT_SE_SF_SG_E_clIS8_S8_S9_S9_EESD_ST_SE_SF_SG_EUlST_E_NS1_11comp_targetILNS1_3genE0ELNS1_11target_archE4294967295ELNS1_3gpuE0ELNS1_3repE0EEENS1_48merge_mergepath_partition_config_static_selectorELNS0_4arch9wavefront6targetE1EEEvSF_
	.globl	_ZN7rocprim17ROCPRIM_400000_NS6detail17trampoline_kernelINS0_14default_configENS1_38merge_sort_block_merge_config_selectorIsNS0_10empty_typeEEEZZNS1_27merge_sort_block_merge_implIS3_PsPS5_jNS1_19radix_merge_compareILb0ELb0EsNS0_19identity_decomposerEEEEE10hipError_tT0_T1_T2_jT3_P12ihipStream_tbPNSt15iterator_traitsISE_E10value_typeEPNSK_ISF_E10value_typeEPSG_NS1_7vsmem_tEENKUlT_SE_SF_SG_E_clIS8_S8_S9_S9_EESD_ST_SE_SF_SG_EUlST_E_NS1_11comp_targetILNS1_3genE0ELNS1_11target_archE4294967295ELNS1_3gpuE0ELNS1_3repE0EEENS1_48merge_mergepath_partition_config_static_selectorELNS0_4arch9wavefront6targetE1EEEvSF_
	.p2align	8
	.type	_ZN7rocprim17ROCPRIM_400000_NS6detail17trampoline_kernelINS0_14default_configENS1_38merge_sort_block_merge_config_selectorIsNS0_10empty_typeEEEZZNS1_27merge_sort_block_merge_implIS3_PsPS5_jNS1_19radix_merge_compareILb0ELb0EsNS0_19identity_decomposerEEEEE10hipError_tT0_T1_T2_jT3_P12ihipStream_tbPNSt15iterator_traitsISE_E10value_typeEPNSK_ISF_E10value_typeEPSG_NS1_7vsmem_tEENKUlT_SE_SF_SG_E_clIS8_S8_S9_S9_EESD_ST_SE_SF_SG_EUlST_E_NS1_11comp_targetILNS1_3genE0ELNS1_11target_archE4294967295ELNS1_3gpuE0ELNS1_3repE0EEENS1_48merge_mergepath_partition_config_static_selectorELNS0_4arch9wavefront6targetE1EEEvSF_,@function
_ZN7rocprim17ROCPRIM_400000_NS6detail17trampoline_kernelINS0_14default_configENS1_38merge_sort_block_merge_config_selectorIsNS0_10empty_typeEEEZZNS1_27merge_sort_block_merge_implIS3_PsPS5_jNS1_19radix_merge_compareILb0ELb0EsNS0_19identity_decomposerEEEEE10hipError_tT0_T1_T2_jT3_P12ihipStream_tbPNSt15iterator_traitsISE_E10value_typeEPNSK_ISF_E10value_typeEPSG_NS1_7vsmem_tEENKUlT_SE_SF_SG_E_clIS8_S8_S9_S9_EESD_ST_SE_SF_SG_EUlST_E_NS1_11comp_targetILNS1_3genE0ELNS1_11target_archE4294967295ELNS1_3gpuE0ELNS1_3repE0EEENS1_48merge_mergepath_partition_config_static_selectorELNS0_4arch9wavefront6targetE1EEEvSF_: ; @_ZN7rocprim17ROCPRIM_400000_NS6detail17trampoline_kernelINS0_14default_configENS1_38merge_sort_block_merge_config_selectorIsNS0_10empty_typeEEEZZNS1_27merge_sort_block_merge_implIS3_PsPS5_jNS1_19radix_merge_compareILb0ELb0EsNS0_19identity_decomposerEEEEE10hipError_tT0_T1_T2_jT3_P12ihipStream_tbPNSt15iterator_traitsISE_E10value_typeEPNSK_ISF_E10value_typeEPSG_NS1_7vsmem_tEENKUlT_SE_SF_SG_E_clIS8_S8_S9_S9_EESD_ST_SE_SF_SG_EUlST_E_NS1_11comp_targetILNS1_3genE0ELNS1_11target_archE4294967295ELNS1_3gpuE0ELNS1_3repE0EEENS1_48merge_mergepath_partition_config_static_selectorELNS0_4arch9wavefront6targetE1EEEvSF_
; %bb.0:
	.section	.rodata,"a",@progbits
	.p2align	6, 0x0
	.amdhsa_kernel _ZN7rocprim17ROCPRIM_400000_NS6detail17trampoline_kernelINS0_14default_configENS1_38merge_sort_block_merge_config_selectorIsNS0_10empty_typeEEEZZNS1_27merge_sort_block_merge_implIS3_PsPS5_jNS1_19radix_merge_compareILb0ELb0EsNS0_19identity_decomposerEEEEE10hipError_tT0_T1_T2_jT3_P12ihipStream_tbPNSt15iterator_traitsISE_E10value_typeEPNSK_ISF_E10value_typeEPSG_NS1_7vsmem_tEENKUlT_SE_SF_SG_E_clIS8_S8_S9_S9_EESD_ST_SE_SF_SG_EUlST_E_NS1_11comp_targetILNS1_3genE0ELNS1_11target_archE4294967295ELNS1_3gpuE0ELNS1_3repE0EEENS1_48merge_mergepath_partition_config_static_selectorELNS0_4arch9wavefront6targetE1EEEvSF_
		.amdhsa_group_segment_fixed_size 0
		.amdhsa_private_segment_fixed_size 0
		.amdhsa_kernarg_size 40
		.amdhsa_user_sgpr_count 6
		.amdhsa_user_sgpr_private_segment_buffer 1
		.amdhsa_user_sgpr_dispatch_ptr 0
		.amdhsa_user_sgpr_queue_ptr 0
		.amdhsa_user_sgpr_kernarg_segment_ptr 1
		.amdhsa_user_sgpr_dispatch_id 0
		.amdhsa_user_sgpr_flat_scratch_init 0
		.amdhsa_user_sgpr_kernarg_preload_length 0
		.amdhsa_user_sgpr_kernarg_preload_offset 0
		.amdhsa_user_sgpr_private_segment_size 0
		.amdhsa_uses_dynamic_stack 0
		.amdhsa_system_sgpr_private_segment_wavefront_offset 0
		.amdhsa_system_sgpr_workgroup_id_x 1
		.amdhsa_system_sgpr_workgroup_id_y 0
		.amdhsa_system_sgpr_workgroup_id_z 0
		.amdhsa_system_sgpr_workgroup_info 0
		.amdhsa_system_vgpr_workitem_id 0
		.amdhsa_next_free_vgpr 1
		.amdhsa_next_free_sgpr 0
		.amdhsa_accum_offset 4
		.amdhsa_reserve_vcc 0
		.amdhsa_reserve_flat_scratch 0
		.amdhsa_float_round_mode_32 0
		.amdhsa_float_round_mode_16_64 0
		.amdhsa_float_denorm_mode_32 3
		.amdhsa_float_denorm_mode_16_64 3
		.amdhsa_dx10_clamp 1
		.amdhsa_ieee_mode 1
		.amdhsa_fp16_overflow 0
		.amdhsa_tg_split 0
		.amdhsa_exception_fp_ieee_invalid_op 0
		.amdhsa_exception_fp_denorm_src 0
		.amdhsa_exception_fp_ieee_div_zero 0
		.amdhsa_exception_fp_ieee_overflow 0
		.amdhsa_exception_fp_ieee_underflow 0
		.amdhsa_exception_fp_ieee_inexact 0
		.amdhsa_exception_int_div_zero 0
	.end_amdhsa_kernel
	.section	.text._ZN7rocprim17ROCPRIM_400000_NS6detail17trampoline_kernelINS0_14default_configENS1_38merge_sort_block_merge_config_selectorIsNS0_10empty_typeEEEZZNS1_27merge_sort_block_merge_implIS3_PsPS5_jNS1_19radix_merge_compareILb0ELb0EsNS0_19identity_decomposerEEEEE10hipError_tT0_T1_T2_jT3_P12ihipStream_tbPNSt15iterator_traitsISE_E10value_typeEPNSK_ISF_E10value_typeEPSG_NS1_7vsmem_tEENKUlT_SE_SF_SG_E_clIS8_S8_S9_S9_EESD_ST_SE_SF_SG_EUlST_E_NS1_11comp_targetILNS1_3genE0ELNS1_11target_archE4294967295ELNS1_3gpuE0ELNS1_3repE0EEENS1_48merge_mergepath_partition_config_static_selectorELNS0_4arch9wavefront6targetE1EEEvSF_,"axG",@progbits,_ZN7rocprim17ROCPRIM_400000_NS6detail17trampoline_kernelINS0_14default_configENS1_38merge_sort_block_merge_config_selectorIsNS0_10empty_typeEEEZZNS1_27merge_sort_block_merge_implIS3_PsPS5_jNS1_19radix_merge_compareILb0ELb0EsNS0_19identity_decomposerEEEEE10hipError_tT0_T1_T2_jT3_P12ihipStream_tbPNSt15iterator_traitsISE_E10value_typeEPNSK_ISF_E10value_typeEPSG_NS1_7vsmem_tEENKUlT_SE_SF_SG_E_clIS8_S8_S9_S9_EESD_ST_SE_SF_SG_EUlST_E_NS1_11comp_targetILNS1_3genE0ELNS1_11target_archE4294967295ELNS1_3gpuE0ELNS1_3repE0EEENS1_48merge_mergepath_partition_config_static_selectorELNS0_4arch9wavefront6targetE1EEEvSF_,comdat
.Lfunc_end356:
	.size	_ZN7rocprim17ROCPRIM_400000_NS6detail17trampoline_kernelINS0_14default_configENS1_38merge_sort_block_merge_config_selectorIsNS0_10empty_typeEEEZZNS1_27merge_sort_block_merge_implIS3_PsPS5_jNS1_19radix_merge_compareILb0ELb0EsNS0_19identity_decomposerEEEEE10hipError_tT0_T1_T2_jT3_P12ihipStream_tbPNSt15iterator_traitsISE_E10value_typeEPNSK_ISF_E10value_typeEPSG_NS1_7vsmem_tEENKUlT_SE_SF_SG_E_clIS8_S8_S9_S9_EESD_ST_SE_SF_SG_EUlST_E_NS1_11comp_targetILNS1_3genE0ELNS1_11target_archE4294967295ELNS1_3gpuE0ELNS1_3repE0EEENS1_48merge_mergepath_partition_config_static_selectorELNS0_4arch9wavefront6targetE1EEEvSF_, .Lfunc_end356-_ZN7rocprim17ROCPRIM_400000_NS6detail17trampoline_kernelINS0_14default_configENS1_38merge_sort_block_merge_config_selectorIsNS0_10empty_typeEEEZZNS1_27merge_sort_block_merge_implIS3_PsPS5_jNS1_19radix_merge_compareILb0ELb0EsNS0_19identity_decomposerEEEEE10hipError_tT0_T1_T2_jT3_P12ihipStream_tbPNSt15iterator_traitsISE_E10value_typeEPNSK_ISF_E10value_typeEPSG_NS1_7vsmem_tEENKUlT_SE_SF_SG_E_clIS8_S8_S9_S9_EESD_ST_SE_SF_SG_EUlST_E_NS1_11comp_targetILNS1_3genE0ELNS1_11target_archE4294967295ELNS1_3gpuE0ELNS1_3repE0EEENS1_48merge_mergepath_partition_config_static_selectorELNS0_4arch9wavefront6targetE1EEEvSF_
                                        ; -- End function
	.section	.AMDGPU.csdata,"",@progbits
; Kernel info:
; codeLenInByte = 0
; NumSgprs: 4
; NumVgprs: 0
; NumAgprs: 0
; TotalNumVgprs: 0
; ScratchSize: 0
; MemoryBound: 0
; FloatMode: 240
; IeeeMode: 1
; LDSByteSize: 0 bytes/workgroup (compile time only)
; SGPRBlocks: 0
; VGPRBlocks: 0
; NumSGPRsForWavesPerEU: 4
; NumVGPRsForWavesPerEU: 1
; AccumOffset: 4
; Occupancy: 8
; WaveLimiterHint : 0
; COMPUTE_PGM_RSRC2:SCRATCH_EN: 0
; COMPUTE_PGM_RSRC2:USER_SGPR: 6
; COMPUTE_PGM_RSRC2:TRAP_HANDLER: 0
; COMPUTE_PGM_RSRC2:TGID_X_EN: 1
; COMPUTE_PGM_RSRC2:TGID_Y_EN: 0
; COMPUTE_PGM_RSRC2:TGID_Z_EN: 0
; COMPUTE_PGM_RSRC2:TIDIG_COMP_CNT: 0
; COMPUTE_PGM_RSRC3_GFX90A:ACCUM_OFFSET: 0
; COMPUTE_PGM_RSRC3_GFX90A:TG_SPLIT: 0
	.section	.text._ZN7rocprim17ROCPRIM_400000_NS6detail17trampoline_kernelINS0_14default_configENS1_38merge_sort_block_merge_config_selectorIsNS0_10empty_typeEEEZZNS1_27merge_sort_block_merge_implIS3_PsPS5_jNS1_19radix_merge_compareILb0ELb0EsNS0_19identity_decomposerEEEEE10hipError_tT0_T1_T2_jT3_P12ihipStream_tbPNSt15iterator_traitsISE_E10value_typeEPNSK_ISF_E10value_typeEPSG_NS1_7vsmem_tEENKUlT_SE_SF_SG_E_clIS8_S8_S9_S9_EESD_ST_SE_SF_SG_EUlST_E_NS1_11comp_targetILNS1_3genE10ELNS1_11target_archE1201ELNS1_3gpuE5ELNS1_3repE0EEENS1_48merge_mergepath_partition_config_static_selectorELNS0_4arch9wavefront6targetE1EEEvSF_,"axG",@progbits,_ZN7rocprim17ROCPRIM_400000_NS6detail17trampoline_kernelINS0_14default_configENS1_38merge_sort_block_merge_config_selectorIsNS0_10empty_typeEEEZZNS1_27merge_sort_block_merge_implIS3_PsPS5_jNS1_19radix_merge_compareILb0ELb0EsNS0_19identity_decomposerEEEEE10hipError_tT0_T1_T2_jT3_P12ihipStream_tbPNSt15iterator_traitsISE_E10value_typeEPNSK_ISF_E10value_typeEPSG_NS1_7vsmem_tEENKUlT_SE_SF_SG_E_clIS8_S8_S9_S9_EESD_ST_SE_SF_SG_EUlST_E_NS1_11comp_targetILNS1_3genE10ELNS1_11target_archE1201ELNS1_3gpuE5ELNS1_3repE0EEENS1_48merge_mergepath_partition_config_static_selectorELNS0_4arch9wavefront6targetE1EEEvSF_,comdat
	.protected	_ZN7rocprim17ROCPRIM_400000_NS6detail17trampoline_kernelINS0_14default_configENS1_38merge_sort_block_merge_config_selectorIsNS0_10empty_typeEEEZZNS1_27merge_sort_block_merge_implIS3_PsPS5_jNS1_19radix_merge_compareILb0ELb0EsNS0_19identity_decomposerEEEEE10hipError_tT0_T1_T2_jT3_P12ihipStream_tbPNSt15iterator_traitsISE_E10value_typeEPNSK_ISF_E10value_typeEPSG_NS1_7vsmem_tEENKUlT_SE_SF_SG_E_clIS8_S8_S9_S9_EESD_ST_SE_SF_SG_EUlST_E_NS1_11comp_targetILNS1_3genE10ELNS1_11target_archE1201ELNS1_3gpuE5ELNS1_3repE0EEENS1_48merge_mergepath_partition_config_static_selectorELNS0_4arch9wavefront6targetE1EEEvSF_ ; -- Begin function _ZN7rocprim17ROCPRIM_400000_NS6detail17trampoline_kernelINS0_14default_configENS1_38merge_sort_block_merge_config_selectorIsNS0_10empty_typeEEEZZNS1_27merge_sort_block_merge_implIS3_PsPS5_jNS1_19radix_merge_compareILb0ELb0EsNS0_19identity_decomposerEEEEE10hipError_tT0_T1_T2_jT3_P12ihipStream_tbPNSt15iterator_traitsISE_E10value_typeEPNSK_ISF_E10value_typeEPSG_NS1_7vsmem_tEENKUlT_SE_SF_SG_E_clIS8_S8_S9_S9_EESD_ST_SE_SF_SG_EUlST_E_NS1_11comp_targetILNS1_3genE10ELNS1_11target_archE1201ELNS1_3gpuE5ELNS1_3repE0EEENS1_48merge_mergepath_partition_config_static_selectorELNS0_4arch9wavefront6targetE1EEEvSF_
	.globl	_ZN7rocprim17ROCPRIM_400000_NS6detail17trampoline_kernelINS0_14default_configENS1_38merge_sort_block_merge_config_selectorIsNS0_10empty_typeEEEZZNS1_27merge_sort_block_merge_implIS3_PsPS5_jNS1_19radix_merge_compareILb0ELb0EsNS0_19identity_decomposerEEEEE10hipError_tT0_T1_T2_jT3_P12ihipStream_tbPNSt15iterator_traitsISE_E10value_typeEPNSK_ISF_E10value_typeEPSG_NS1_7vsmem_tEENKUlT_SE_SF_SG_E_clIS8_S8_S9_S9_EESD_ST_SE_SF_SG_EUlST_E_NS1_11comp_targetILNS1_3genE10ELNS1_11target_archE1201ELNS1_3gpuE5ELNS1_3repE0EEENS1_48merge_mergepath_partition_config_static_selectorELNS0_4arch9wavefront6targetE1EEEvSF_
	.p2align	8
	.type	_ZN7rocprim17ROCPRIM_400000_NS6detail17trampoline_kernelINS0_14default_configENS1_38merge_sort_block_merge_config_selectorIsNS0_10empty_typeEEEZZNS1_27merge_sort_block_merge_implIS3_PsPS5_jNS1_19radix_merge_compareILb0ELb0EsNS0_19identity_decomposerEEEEE10hipError_tT0_T1_T2_jT3_P12ihipStream_tbPNSt15iterator_traitsISE_E10value_typeEPNSK_ISF_E10value_typeEPSG_NS1_7vsmem_tEENKUlT_SE_SF_SG_E_clIS8_S8_S9_S9_EESD_ST_SE_SF_SG_EUlST_E_NS1_11comp_targetILNS1_3genE10ELNS1_11target_archE1201ELNS1_3gpuE5ELNS1_3repE0EEENS1_48merge_mergepath_partition_config_static_selectorELNS0_4arch9wavefront6targetE1EEEvSF_,@function
_ZN7rocprim17ROCPRIM_400000_NS6detail17trampoline_kernelINS0_14default_configENS1_38merge_sort_block_merge_config_selectorIsNS0_10empty_typeEEEZZNS1_27merge_sort_block_merge_implIS3_PsPS5_jNS1_19radix_merge_compareILb0ELb0EsNS0_19identity_decomposerEEEEE10hipError_tT0_T1_T2_jT3_P12ihipStream_tbPNSt15iterator_traitsISE_E10value_typeEPNSK_ISF_E10value_typeEPSG_NS1_7vsmem_tEENKUlT_SE_SF_SG_E_clIS8_S8_S9_S9_EESD_ST_SE_SF_SG_EUlST_E_NS1_11comp_targetILNS1_3genE10ELNS1_11target_archE1201ELNS1_3gpuE5ELNS1_3repE0EEENS1_48merge_mergepath_partition_config_static_selectorELNS0_4arch9wavefront6targetE1EEEvSF_: ; @_ZN7rocprim17ROCPRIM_400000_NS6detail17trampoline_kernelINS0_14default_configENS1_38merge_sort_block_merge_config_selectorIsNS0_10empty_typeEEEZZNS1_27merge_sort_block_merge_implIS3_PsPS5_jNS1_19radix_merge_compareILb0ELb0EsNS0_19identity_decomposerEEEEE10hipError_tT0_T1_T2_jT3_P12ihipStream_tbPNSt15iterator_traitsISE_E10value_typeEPNSK_ISF_E10value_typeEPSG_NS1_7vsmem_tEENKUlT_SE_SF_SG_E_clIS8_S8_S9_S9_EESD_ST_SE_SF_SG_EUlST_E_NS1_11comp_targetILNS1_3genE10ELNS1_11target_archE1201ELNS1_3gpuE5ELNS1_3repE0EEENS1_48merge_mergepath_partition_config_static_selectorELNS0_4arch9wavefront6targetE1EEEvSF_
; %bb.0:
	.section	.rodata,"a",@progbits
	.p2align	6, 0x0
	.amdhsa_kernel _ZN7rocprim17ROCPRIM_400000_NS6detail17trampoline_kernelINS0_14default_configENS1_38merge_sort_block_merge_config_selectorIsNS0_10empty_typeEEEZZNS1_27merge_sort_block_merge_implIS3_PsPS5_jNS1_19radix_merge_compareILb0ELb0EsNS0_19identity_decomposerEEEEE10hipError_tT0_T1_T2_jT3_P12ihipStream_tbPNSt15iterator_traitsISE_E10value_typeEPNSK_ISF_E10value_typeEPSG_NS1_7vsmem_tEENKUlT_SE_SF_SG_E_clIS8_S8_S9_S9_EESD_ST_SE_SF_SG_EUlST_E_NS1_11comp_targetILNS1_3genE10ELNS1_11target_archE1201ELNS1_3gpuE5ELNS1_3repE0EEENS1_48merge_mergepath_partition_config_static_selectorELNS0_4arch9wavefront6targetE1EEEvSF_
		.amdhsa_group_segment_fixed_size 0
		.amdhsa_private_segment_fixed_size 0
		.amdhsa_kernarg_size 40
		.amdhsa_user_sgpr_count 6
		.amdhsa_user_sgpr_private_segment_buffer 1
		.amdhsa_user_sgpr_dispatch_ptr 0
		.amdhsa_user_sgpr_queue_ptr 0
		.amdhsa_user_sgpr_kernarg_segment_ptr 1
		.amdhsa_user_sgpr_dispatch_id 0
		.amdhsa_user_sgpr_flat_scratch_init 0
		.amdhsa_user_sgpr_kernarg_preload_length 0
		.amdhsa_user_sgpr_kernarg_preload_offset 0
		.amdhsa_user_sgpr_private_segment_size 0
		.amdhsa_uses_dynamic_stack 0
		.amdhsa_system_sgpr_private_segment_wavefront_offset 0
		.amdhsa_system_sgpr_workgroup_id_x 1
		.amdhsa_system_sgpr_workgroup_id_y 0
		.amdhsa_system_sgpr_workgroup_id_z 0
		.amdhsa_system_sgpr_workgroup_info 0
		.amdhsa_system_vgpr_workitem_id 0
		.amdhsa_next_free_vgpr 1
		.amdhsa_next_free_sgpr 0
		.amdhsa_accum_offset 4
		.amdhsa_reserve_vcc 0
		.amdhsa_reserve_flat_scratch 0
		.amdhsa_float_round_mode_32 0
		.amdhsa_float_round_mode_16_64 0
		.amdhsa_float_denorm_mode_32 3
		.amdhsa_float_denorm_mode_16_64 3
		.amdhsa_dx10_clamp 1
		.amdhsa_ieee_mode 1
		.amdhsa_fp16_overflow 0
		.amdhsa_tg_split 0
		.amdhsa_exception_fp_ieee_invalid_op 0
		.amdhsa_exception_fp_denorm_src 0
		.amdhsa_exception_fp_ieee_div_zero 0
		.amdhsa_exception_fp_ieee_overflow 0
		.amdhsa_exception_fp_ieee_underflow 0
		.amdhsa_exception_fp_ieee_inexact 0
		.amdhsa_exception_int_div_zero 0
	.end_amdhsa_kernel
	.section	.text._ZN7rocprim17ROCPRIM_400000_NS6detail17trampoline_kernelINS0_14default_configENS1_38merge_sort_block_merge_config_selectorIsNS0_10empty_typeEEEZZNS1_27merge_sort_block_merge_implIS3_PsPS5_jNS1_19radix_merge_compareILb0ELb0EsNS0_19identity_decomposerEEEEE10hipError_tT0_T1_T2_jT3_P12ihipStream_tbPNSt15iterator_traitsISE_E10value_typeEPNSK_ISF_E10value_typeEPSG_NS1_7vsmem_tEENKUlT_SE_SF_SG_E_clIS8_S8_S9_S9_EESD_ST_SE_SF_SG_EUlST_E_NS1_11comp_targetILNS1_3genE10ELNS1_11target_archE1201ELNS1_3gpuE5ELNS1_3repE0EEENS1_48merge_mergepath_partition_config_static_selectorELNS0_4arch9wavefront6targetE1EEEvSF_,"axG",@progbits,_ZN7rocprim17ROCPRIM_400000_NS6detail17trampoline_kernelINS0_14default_configENS1_38merge_sort_block_merge_config_selectorIsNS0_10empty_typeEEEZZNS1_27merge_sort_block_merge_implIS3_PsPS5_jNS1_19radix_merge_compareILb0ELb0EsNS0_19identity_decomposerEEEEE10hipError_tT0_T1_T2_jT3_P12ihipStream_tbPNSt15iterator_traitsISE_E10value_typeEPNSK_ISF_E10value_typeEPSG_NS1_7vsmem_tEENKUlT_SE_SF_SG_E_clIS8_S8_S9_S9_EESD_ST_SE_SF_SG_EUlST_E_NS1_11comp_targetILNS1_3genE10ELNS1_11target_archE1201ELNS1_3gpuE5ELNS1_3repE0EEENS1_48merge_mergepath_partition_config_static_selectorELNS0_4arch9wavefront6targetE1EEEvSF_,comdat
.Lfunc_end357:
	.size	_ZN7rocprim17ROCPRIM_400000_NS6detail17trampoline_kernelINS0_14default_configENS1_38merge_sort_block_merge_config_selectorIsNS0_10empty_typeEEEZZNS1_27merge_sort_block_merge_implIS3_PsPS5_jNS1_19radix_merge_compareILb0ELb0EsNS0_19identity_decomposerEEEEE10hipError_tT0_T1_T2_jT3_P12ihipStream_tbPNSt15iterator_traitsISE_E10value_typeEPNSK_ISF_E10value_typeEPSG_NS1_7vsmem_tEENKUlT_SE_SF_SG_E_clIS8_S8_S9_S9_EESD_ST_SE_SF_SG_EUlST_E_NS1_11comp_targetILNS1_3genE10ELNS1_11target_archE1201ELNS1_3gpuE5ELNS1_3repE0EEENS1_48merge_mergepath_partition_config_static_selectorELNS0_4arch9wavefront6targetE1EEEvSF_, .Lfunc_end357-_ZN7rocprim17ROCPRIM_400000_NS6detail17trampoline_kernelINS0_14default_configENS1_38merge_sort_block_merge_config_selectorIsNS0_10empty_typeEEEZZNS1_27merge_sort_block_merge_implIS3_PsPS5_jNS1_19radix_merge_compareILb0ELb0EsNS0_19identity_decomposerEEEEE10hipError_tT0_T1_T2_jT3_P12ihipStream_tbPNSt15iterator_traitsISE_E10value_typeEPNSK_ISF_E10value_typeEPSG_NS1_7vsmem_tEENKUlT_SE_SF_SG_E_clIS8_S8_S9_S9_EESD_ST_SE_SF_SG_EUlST_E_NS1_11comp_targetILNS1_3genE10ELNS1_11target_archE1201ELNS1_3gpuE5ELNS1_3repE0EEENS1_48merge_mergepath_partition_config_static_selectorELNS0_4arch9wavefront6targetE1EEEvSF_
                                        ; -- End function
	.section	.AMDGPU.csdata,"",@progbits
; Kernel info:
; codeLenInByte = 0
; NumSgprs: 4
; NumVgprs: 0
; NumAgprs: 0
; TotalNumVgprs: 0
; ScratchSize: 0
; MemoryBound: 0
; FloatMode: 240
; IeeeMode: 1
; LDSByteSize: 0 bytes/workgroup (compile time only)
; SGPRBlocks: 0
; VGPRBlocks: 0
; NumSGPRsForWavesPerEU: 4
; NumVGPRsForWavesPerEU: 1
; AccumOffset: 4
; Occupancy: 8
; WaveLimiterHint : 0
; COMPUTE_PGM_RSRC2:SCRATCH_EN: 0
; COMPUTE_PGM_RSRC2:USER_SGPR: 6
; COMPUTE_PGM_RSRC2:TRAP_HANDLER: 0
; COMPUTE_PGM_RSRC2:TGID_X_EN: 1
; COMPUTE_PGM_RSRC2:TGID_Y_EN: 0
; COMPUTE_PGM_RSRC2:TGID_Z_EN: 0
; COMPUTE_PGM_RSRC2:TIDIG_COMP_CNT: 0
; COMPUTE_PGM_RSRC3_GFX90A:ACCUM_OFFSET: 0
; COMPUTE_PGM_RSRC3_GFX90A:TG_SPLIT: 0
	.section	.text._ZN7rocprim17ROCPRIM_400000_NS6detail17trampoline_kernelINS0_14default_configENS1_38merge_sort_block_merge_config_selectorIsNS0_10empty_typeEEEZZNS1_27merge_sort_block_merge_implIS3_PsPS5_jNS1_19radix_merge_compareILb0ELb0EsNS0_19identity_decomposerEEEEE10hipError_tT0_T1_T2_jT3_P12ihipStream_tbPNSt15iterator_traitsISE_E10value_typeEPNSK_ISF_E10value_typeEPSG_NS1_7vsmem_tEENKUlT_SE_SF_SG_E_clIS8_S8_S9_S9_EESD_ST_SE_SF_SG_EUlST_E_NS1_11comp_targetILNS1_3genE5ELNS1_11target_archE942ELNS1_3gpuE9ELNS1_3repE0EEENS1_48merge_mergepath_partition_config_static_selectorELNS0_4arch9wavefront6targetE1EEEvSF_,"axG",@progbits,_ZN7rocprim17ROCPRIM_400000_NS6detail17trampoline_kernelINS0_14default_configENS1_38merge_sort_block_merge_config_selectorIsNS0_10empty_typeEEEZZNS1_27merge_sort_block_merge_implIS3_PsPS5_jNS1_19radix_merge_compareILb0ELb0EsNS0_19identity_decomposerEEEEE10hipError_tT0_T1_T2_jT3_P12ihipStream_tbPNSt15iterator_traitsISE_E10value_typeEPNSK_ISF_E10value_typeEPSG_NS1_7vsmem_tEENKUlT_SE_SF_SG_E_clIS8_S8_S9_S9_EESD_ST_SE_SF_SG_EUlST_E_NS1_11comp_targetILNS1_3genE5ELNS1_11target_archE942ELNS1_3gpuE9ELNS1_3repE0EEENS1_48merge_mergepath_partition_config_static_selectorELNS0_4arch9wavefront6targetE1EEEvSF_,comdat
	.protected	_ZN7rocprim17ROCPRIM_400000_NS6detail17trampoline_kernelINS0_14default_configENS1_38merge_sort_block_merge_config_selectorIsNS0_10empty_typeEEEZZNS1_27merge_sort_block_merge_implIS3_PsPS5_jNS1_19radix_merge_compareILb0ELb0EsNS0_19identity_decomposerEEEEE10hipError_tT0_T1_T2_jT3_P12ihipStream_tbPNSt15iterator_traitsISE_E10value_typeEPNSK_ISF_E10value_typeEPSG_NS1_7vsmem_tEENKUlT_SE_SF_SG_E_clIS8_S8_S9_S9_EESD_ST_SE_SF_SG_EUlST_E_NS1_11comp_targetILNS1_3genE5ELNS1_11target_archE942ELNS1_3gpuE9ELNS1_3repE0EEENS1_48merge_mergepath_partition_config_static_selectorELNS0_4arch9wavefront6targetE1EEEvSF_ ; -- Begin function _ZN7rocprim17ROCPRIM_400000_NS6detail17trampoline_kernelINS0_14default_configENS1_38merge_sort_block_merge_config_selectorIsNS0_10empty_typeEEEZZNS1_27merge_sort_block_merge_implIS3_PsPS5_jNS1_19radix_merge_compareILb0ELb0EsNS0_19identity_decomposerEEEEE10hipError_tT0_T1_T2_jT3_P12ihipStream_tbPNSt15iterator_traitsISE_E10value_typeEPNSK_ISF_E10value_typeEPSG_NS1_7vsmem_tEENKUlT_SE_SF_SG_E_clIS8_S8_S9_S9_EESD_ST_SE_SF_SG_EUlST_E_NS1_11comp_targetILNS1_3genE5ELNS1_11target_archE942ELNS1_3gpuE9ELNS1_3repE0EEENS1_48merge_mergepath_partition_config_static_selectorELNS0_4arch9wavefront6targetE1EEEvSF_
	.globl	_ZN7rocprim17ROCPRIM_400000_NS6detail17trampoline_kernelINS0_14default_configENS1_38merge_sort_block_merge_config_selectorIsNS0_10empty_typeEEEZZNS1_27merge_sort_block_merge_implIS3_PsPS5_jNS1_19radix_merge_compareILb0ELb0EsNS0_19identity_decomposerEEEEE10hipError_tT0_T1_T2_jT3_P12ihipStream_tbPNSt15iterator_traitsISE_E10value_typeEPNSK_ISF_E10value_typeEPSG_NS1_7vsmem_tEENKUlT_SE_SF_SG_E_clIS8_S8_S9_S9_EESD_ST_SE_SF_SG_EUlST_E_NS1_11comp_targetILNS1_3genE5ELNS1_11target_archE942ELNS1_3gpuE9ELNS1_3repE0EEENS1_48merge_mergepath_partition_config_static_selectorELNS0_4arch9wavefront6targetE1EEEvSF_
	.p2align	8
	.type	_ZN7rocprim17ROCPRIM_400000_NS6detail17trampoline_kernelINS0_14default_configENS1_38merge_sort_block_merge_config_selectorIsNS0_10empty_typeEEEZZNS1_27merge_sort_block_merge_implIS3_PsPS5_jNS1_19radix_merge_compareILb0ELb0EsNS0_19identity_decomposerEEEEE10hipError_tT0_T1_T2_jT3_P12ihipStream_tbPNSt15iterator_traitsISE_E10value_typeEPNSK_ISF_E10value_typeEPSG_NS1_7vsmem_tEENKUlT_SE_SF_SG_E_clIS8_S8_S9_S9_EESD_ST_SE_SF_SG_EUlST_E_NS1_11comp_targetILNS1_3genE5ELNS1_11target_archE942ELNS1_3gpuE9ELNS1_3repE0EEENS1_48merge_mergepath_partition_config_static_selectorELNS0_4arch9wavefront6targetE1EEEvSF_,@function
_ZN7rocprim17ROCPRIM_400000_NS6detail17trampoline_kernelINS0_14default_configENS1_38merge_sort_block_merge_config_selectorIsNS0_10empty_typeEEEZZNS1_27merge_sort_block_merge_implIS3_PsPS5_jNS1_19radix_merge_compareILb0ELb0EsNS0_19identity_decomposerEEEEE10hipError_tT0_T1_T2_jT3_P12ihipStream_tbPNSt15iterator_traitsISE_E10value_typeEPNSK_ISF_E10value_typeEPSG_NS1_7vsmem_tEENKUlT_SE_SF_SG_E_clIS8_S8_S9_S9_EESD_ST_SE_SF_SG_EUlST_E_NS1_11comp_targetILNS1_3genE5ELNS1_11target_archE942ELNS1_3gpuE9ELNS1_3repE0EEENS1_48merge_mergepath_partition_config_static_selectorELNS0_4arch9wavefront6targetE1EEEvSF_: ; @_ZN7rocprim17ROCPRIM_400000_NS6detail17trampoline_kernelINS0_14default_configENS1_38merge_sort_block_merge_config_selectorIsNS0_10empty_typeEEEZZNS1_27merge_sort_block_merge_implIS3_PsPS5_jNS1_19radix_merge_compareILb0ELb0EsNS0_19identity_decomposerEEEEE10hipError_tT0_T1_T2_jT3_P12ihipStream_tbPNSt15iterator_traitsISE_E10value_typeEPNSK_ISF_E10value_typeEPSG_NS1_7vsmem_tEENKUlT_SE_SF_SG_E_clIS8_S8_S9_S9_EESD_ST_SE_SF_SG_EUlST_E_NS1_11comp_targetILNS1_3genE5ELNS1_11target_archE942ELNS1_3gpuE9ELNS1_3repE0EEENS1_48merge_mergepath_partition_config_static_selectorELNS0_4arch9wavefront6targetE1EEEvSF_
; %bb.0:
	.section	.rodata,"a",@progbits
	.p2align	6, 0x0
	.amdhsa_kernel _ZN7rocprim17ROCPRIM_400000_NS6detail17trampoline_kernelINS0_14default_configENS1_38merge_sort_block_merge_config_selectorIsNS0_10empty_typeEEEZZNS1_27merge_sort_block_merge_implIS3_PsPS5_jNS1_19radix_merge_compareILb0ELb0EsNS0_19identity_decomposerEEEEE10hipError_tT0_T1_T2_jT3_P12ihipStream_tbPNSt15iterator_traitsISE_E10value_typeEPNSK_ISF_E10value_typeEPSG_NS1_7vsmem_tEENKUlT_SE_SF_SG_E_clIS8_S8_S9_S9_EESD_ST_SE_SF_SG_EUlST_E_NS1_11comp_targetILNS1_3genE5ELNS1_11target_archE942ELNS1_3gpuE9ELNS1_3repE0EEENS1_48merge_mergepath_partition_config_static_selectorELNS0_4arch9wavefront6targetE1EEEvSF_
		.amdhsa_group_segment_fixed_size 0
		.amdhsa_private_segment_fixed_size 0
		.amdhsa_kernarg_size 40
		.amdhsa_user_sgpr_count 6
		.amdhsa_user_sgpr_private_segment_buffer 1
		.amdhsa_user_sgpr_dispatch_ptr 0
		.amdhsa_user_sgpr_queue_ptr 0
		.amdhsa_user_sgpr_kernarg_segment_ptr 1
		.amdhsa_user_sgpr_dispatch_id 0
		.amdhsa_user_sgpr_flat_scratch_init 0
		.amdhsa_user_sgpr_kernarg_preload_length 0
		.amdhsa_user_sgpr_kernarg_preload_offset 0
		.amdhsa_user_sgpr_private_segment_size 0
		.amdhsa_uses_dynamic_stack 0
		.amdhsa_system_sgpr_private_segment_wavefront_offset 0
		.amdhsa_system_sgpr_workgroup_id_x 1
		.amdhsa_system_sgpr_workgroup_id_y 0
		.amdhsa_system_sgpr_workgroup_id_z 0
		.amdhsa_system_sgpr_workgroup_info 0
		.amdhsa_system_vgpr_workitem_id 0
		.amdhsa_next_free_vgpr 1
		.amdhsa_next_free_sgpr 0
		.amdhsa_accum_offset 4
		.amdhsa_reserve_vcc 0
		.amdhsa_reserve_flat_scratch 0
		.amdhsa_float_round_mode_32 0
		.amdhsa_float_round_mode_16_64 0
		.amdhsa_float_denorm_mode_32 3
		.amdhsa_float_denorm_mode_16_64 3
		.amdhsa_dx10_clamp 1
		.amdhsa_ieee_mode 1
		.amdhsa_fp16_overflow 0
		.amdhsa_tg_split 0
		.amdhsa_exception_fp_ieee_invalid_op 0
		.amdhsa_exception_fp_denorm_src 0
		.amdhsa_exception_fp_ieee_div_zero 0
		.amdhsa_exception_fp_ieee_overflow 0
		.amdhsa_exception_fp_ieee_underflow 0
		.amdhsa_exception_fp_ieee_inexact 0
		.amdhsa_exception_int_div_zero 0
	.end_amdhsa_kernel
	.section	.text._ZN7rocprim17ROCPRIM_400000_NS6detail17trampoline_kernelINS0_14default_configENS1_38merge_sort_block_merge_config_selectorIsNS0_10empty_typeEEEZZNS1_27merge_sort_block_merge_implIS3_PsPS5_jNS1_19radix_merge_compareILb0ELb0EsNS0_19identity_decomposerEEEEE10hipError_tT0_T1_T2_jT3_P12ihipStream_tbPNSt15iterator_traitsISE_E10value_typeEPNSK_ISF_E10value_typeEPSG_NS1_7vsmem_tEENKUlT_SE_SF_SG_E_clIS8_S8_S9_S9_EESD_ST_SE_SF_SG_EUlST_E_NS1_11comp_targetILNS1_3genE5ELNS1_11target_archE942ELNS1_3gpuE9ELNS1_3repE0EEENS1_48merge_mergepath_partition_config_static_selectorELNS0_4arch9wavefront6targetE1EEEvSF_,"axG",@progbits,_ZN7rocprim17ROCPRIM_400000_NS6detail17trampoline_kernelINS0_14default_configENS1_38merge_sort_block_merge_config_selectorIsNS0_10empty_typeEEEZZNS1_27merge_sort_block_merge_implIS3_PsPS5_jNS1_19radix_merge_compareILb0ELb0EsNS0_19identity_decomposerEEEEE10hipError_tT0_T1_T2_jT3_P12ihipStream_tbPNSt15iterator_traitsISE_E10value_typeEPNSK_ISF_E10value_typeEPSG_NS1_7vsmem_tEENKUlT_SE_SF_SG_E_clIS8_S8_S9_S9_EESD_ST_SE_SF_SG_EUlST_E_NS1_11comp_targetILNS1_3genE5ELNS1_11target_archE942ELNS1_3gpuE9ELNS1_3repE0EEENS1_48merge_mergepath_partition_config_static_selectorELNS0_4arch9wavefront6targetE1EEEvSF_,comdat
.Lfunc_end358:
	.size	_ZN7rocprim17ROCPRIM_400000_NS6detail17trampoline_kernelINS0_14default_configENS1_38merge_sort_block_merge_config_selectorIsNS0_10empty_typeEEEZZNS1_27merge_sort_block_merge_implIS3_PsPS5_jNS1_19radix_merge_compareILb0ELb0EsNS0_19identity_decomposerEEEEE10hipError_tT0_T1_T2_jT3_P12ihipStream_tbPNSt15iterator_traitsISE_E10value_typeEPNSK_ISF_E10value_typeEPSG_NS1_7vsmem_tEENKUlT_SE_SF_SG_E_clIS8_S8_S9_S9_EESD_ST_SE_SF_SG_EUlST_E_NS1_11comp_targetILNS1_3genE5ELNS1_11target_archE942ELNS1_3gpuE9ELNS1_3repE0EEENS1_48merge_mergepath_partition_config_static_selectorELNS0_4arch9wavefront6targetE1EEEvSF_, .Lfunc_end358-_ZN7rocprim17ROCPRIM_400000_NS6detail17trampoline_kernelINS0_14default_configENS1_38merge_sort_block_merge_config_selectorIsNS0_10empty_typeEEEZZNS1_27merge_sort_block_merge_implIS3_PsPS5_jNS1_19radix_merge_compareILb0ELb0EsNS0_19identity_decomposerEEEEE10hipError_tT0_T1_T2_jT3_P12ihipStream_tbPNSt15iterator_traitsISE_E10value_typeEPNSK_ISF_E10value_typeEPSG_NS1_7vsmem_tEENKUlT_SE_SF_SG_E_clIS8_S8_S9_S9_EESD_ST_SE_SF_SG_EUlST_E_NS1_11comp_targetILNS1_3genE5ELNS1_11target_archE942ELNS1_3gpuE9ELNS1_3repE0EEENS1_48merge_mergepath_partition_config_static_selectorELNS0_4arch9wavefront6targetE1EEEvSF_
                                        ; -- End function
	.section	.AMDGPU.csdata,"",@progbits
; Kernel info:
; codeLenInByte = 0
; NumSgprs: 4
; NumVgprs: 0
; NumAgprs: 0
; TotalNumVgprs: 0
; ScratchSize: 0
; MemoryBound: 0
; FloatMode: 240
; IeeeMode: 1
; LDSByteSize: 0 bytes/workgroup (compile time only)
; SGPRBlocks: 0
; VGPRBlocks: 0
; NumSGPRsForWavesPerEU: 4
; NumVGPRsForWavesPerEU: 1
; AccumOffset: 4
; Occupancy: 8
; WaveLimiterHint : 0
; COMPUTE_PGM_RSRC2:SCRATCH_EN: 0
; COMPUTE_PGM_RSRC2:USER_SGPR: 6
; COMPUTE_PGM_RSRC2:TRAP_HANDLER: 0
; COMPUTE_PGM_RSRC2:TGID_X_EN: 1
; COMPUTE_PGM_RSRC2:TGID_Y_EN: 0
; COMPUTE_PGM_RSRC2:TGID_Z_EN: 0
; COMPUTE_PGM_RSRC2:TIDIG_COMP_CNT: 0
; COMPUTE_PGM_RSRC3_GFX90A:ACCUM_OFFSET: 0
; COMPUTE_PGM_RSRC3_GFX90A:TG_SPLIT: 0
	.section	.text._ZN7rocprim17ROCPRIM_400000_NS6detail17trampoline_kernelINS0_14default_configENS1_38merge_sort_block_merge_config_selectorIsNS0_10empty_typeEEEZZNS1_27merge_sort_block_merge_implIS3_PsPS5_jNS1_19radix_merge_compareILb0ELb0EsNS0_19identity_decomposerEEEEE10hipError_tT0_T1_T2_jT3_P12ihipStream_tbPNSt15iterator_traitsISE_E10value_typeEPNSK_ISF_E10value_typeEPSG_NS1_7vsmem_tEENKUlT_SE_SF_SG_E_clIS8_S8_S9_S9_EESD_ST_SE_SF_SG_EUlST_E_NS1_11comp_targetILNS1_3genE4ELNS1_11target_archE910ELNS1_3gpuE8ELNS1_3repE0EEENS1_48merge_mergepath_partition_config_static_selectorELNS0_4arch9wavefront6targetE1EEEvSF_,"axG",@progbits,_ZN7rocprim17ROCPRIM_400000_NS6detail17trampoline_kernelINS0_14default_configENS1_38merge_sort_block_merge_config_selectorIsNS0_10empty_typeEEEZZNS1_27merge_sort_block_merge_implIS3_PsPS5_jNS1_19radix_merge_compareILb0ELb0EsNS0_19identity_decomposerEEEEE10hipError_tT0_T1_T2_jT3_P12ihipStream_tbPNSt15iterator_traitsISE_E10value_typeEPNSK_ISF_E10value_typeEPSG_NS1_7vsmem_tEENKUlT_SE_SF_SG_E_clIS8_S8_S9_S9_EESD_ST_SE_SF_SG_EUlST_E_NS1_11comp_targetILNS1_3genE4ELNS1_11target_archE910ELNS1_3gpuE8ELNS1_3repE0EEENS1_48merge_mergepath_partition_config_static_selectorELNS0_4arch9wavefront6targetE1EEEvSF_,comdat
	.protected	_ZN7rocprim17ROCPRIM_400000_NS6detail17trampoline_kernelINS0_14default_configENS1_38merge_sort_block_merge_config_selectorIsNS0_10empty_typeEEEZZNS1_27merge_sort_block_merge_implIS3_PsPS5_jNS1_19radix_merge_compareILb0ELb0EsNS0_19identity_decomposerEEEEE10hipError_tT0_T1_T2_jT3_P12ihipStream_tbPNSt15iterator_traitsISE_E10value_typeEPNSK_ISF_E10value_typeEPSG_NS1_7vsmem_tEENKUlT_SE_SF_SG_E_clIS8_S8_S9_S9_EESD_ST_SE_SF_SG_EUlST_E_NS1_11comp_targetILNS1_3genE4ELNS1_11target_archE910ELNS1_3gpuE8ELNS1_3repE0EEENS1_48merge_mergepath_partition_config_static_selectorELNS0_4arch9wavefront6targetE1EEEvSF_ ; -- Begin function _ZN7rocprim17ROCPRIM_400000_NS6detail17trampoline_kernelINS0_14default_configENS1_38merge_sort_block_merge_config_selectorIsNS0_10empty_typeEEEZZNS1_27merge_sort_block_merge_implIS3_PsPS5_jNS1_19radix_merge_compareILb0ELb0EsNS0_19identity_decomposerEEEEE10hipError_tT0_T1_T2_jT3_P12ihipStream_tbPNSt15iterator_traitsISE_E10value_typeEPNSK_ISF_E10value_typeEPSG_NS1_7vsmem_tEENKUlT_SE_SF_SG_E_clIS8_S8_S9_S9_EESD_ST_SE_SF_SG_EUlST_E_NS1_11comp_targetILNS1_3genE4ELNS1_11target_archE910ELNS1_3gpuE8ELNS1_3repE0EEENS1_48merge_mergepath_partition_config_static_selectorELNS0_4arch9wavefront6targetE1EEEvSF_
	.globl	_ZN7rocprim17ROCPRIM_400000_NS6detail17trampoline_kernelINS0_14default_configENS1_38merge_sort_block_merge_config_selectorIsNS0_10empty_typeEEEZZNS1_27merge_sort_block_merge_implIS3_PsPS5_jNS1_19radix_merge_compareILb0ELb0EsNS0_19identity_decomposerEEEEE10hipError_tT0_T1_T2_jT3_P12ihipStream_tbPNSt15iterator_traitsISE_E10value_typeEPNSK_ISF_E10value_typeEPSG_NS1_7vsmem_tEENKUlT_SE_SF_SG_E_clIS8_S8_S9_S9_EESD_ST_SE_SF_SG_EUlST_E_NS1_11comp_targetILNS1_3genE4ELNS1_11target_archE910ELNS1_3gpuE8ELNS1_3repE0EEENS1_48merge_mergepath_partition_config_static_selectorELNS0_4arch9wavefront6targetE1EEEvSF_
	.p2align	8
	.type	_ZN7rocprim17ROCPRIM_400000_NS6detail17trampoline_kernelINS0_14default_configENS1_38merge_sort_block_merge_config_selectorIsNS0_10empty_typeEEEZZNS1_27merge_sort_block_merge_implIS3_PsPS5_jNS1_19radix_merge_compareILb0ELb0EsNS0_19identity_decomposerEEEEE10hipError_tT0_T1_T2_jT3_P12ihipStream_tbPNSt15iterator_traitsISE_E10value_typeEPNSK_ISF_E10value_typeEPSG_NS1_7vsmem_tEENKUlT_SE_SF_SG_E_clIS8_S8_S9_S9_EESD_ST_SE_SF_SG_EUlST_E_NS1_11comp_targetILNS1_3genE4ELNS1_11target_archE910ELNS1_3gpuE8ELNS1_3repE0EEENS1_48merge_mergepath_partition_config_static_selectorELNS0_4arch9wavefront6targetE1EEEvSF_,@function
_ZN7rocprim17ROCPRIM_400000_NS6detail17trampoline_kernelINS0_14default_configENS1_38merge_sort_block_merge_config_selectorIsNS0_10empty_typeEEEZZNS1_27merge_sort_block_merge_implIS3_PsPS5_jNS1_19radix_merge_compareILb0ELb0EsNS0_19identity_decomposerEEEEE10hipError_tT0_T1_T2_jT3_P12ihipStream_tbPNSt15iterator_traitsISE_E10value_typeEPNSK_ISF_E10value_typeEPSG_NS1_7vsmem_tEENKUlT_SE_SF_SG_E_clIS8_S8_S9_S9_EESD_ST_SE_SF_SG_EUlST_E_NS1_11comp_targetILNS1_3genE4ELNS1_11target_archE910ELNS1_3gpuE8ELNS1_3repE0EEENS1_48merge_mergepath_partition_config_static_selectorELNS0_4arch9wavefront6targetE1EEEvSF_: ; @_ZN7rocprim17ROCPRIM_400000_NS6detail17trampoline_kernelINS0_14default_configENS1_38merge_sort_block_merge_config_selectorIsNS0_10empty_typeEEEZZNS1_27merge_sort_block_merge_implIS3_PsPS5_jNS1_19radix_merge_compareILb0ELb0EsNS0_19identity_decomposerEEEEE10hipError_tT0_T1_T2_jT3_P12ihipStream_tbPNSt15iterator_traitsISE_E10value_typeEPNSK_ISF_E10value_typeEPSG_NS1_7vsmem_tEENKUlT_SE_SF_SG_E_clIS8_S8_S9_S9_EESD_ST_SE_SF_SG_EUlST_E_NS1_11comp_targetILNS1_3genE4ELNS1_11target_archE910ELNS1_3gpuE8ELNS1_3repE0EEENS1_48merge_mergepath_partition_config_static_selectorELNS0_4arch9wavefront6targetE1EEEvSF_
; %bb.0:
	s_load_dword s0, s[4:5], 0x0
	v_lshl_or_b32 v0, s6, 7, v0
	s_waitcnt lgkmcnt(0)
	v_cmp_gt_u32_e32 vcc, s0, v0
	s_and_saveexec_b64 s[0:1], vcc
	s_cbranch_execz .LBB359_6
; %bb.1:
	s_load_dwordx2 s[2:3], s[4:5], 0x4
	s_load_dwordx2 s[0:1], s[4:5], 0x20
	s_waitcnt lgkmcnt(0)
	s_lshr_b32 s6, s2, 9
	s_and_b32 s6, s6, 0x7ffffe
	s_add_i32 s7, s6, -1
	s_sub_i32 s6, 0, s6
	v_and_b32_e32 v1, s6, v0
	v_lshlrev_b32_e32 v1, 10, v1
	v_min_u32_e32 v2, s3, v1
	v_add_u32_e32 v1, s2, v1
	v_min_u32_e32 v4, s3, v1
	v_add_u32_e32 v1, s2, v4
	v_and_b32_e32 v3, s7, v0
	v_min_u32_e32 v1, s3, v1
	v_sub_u32_e32 v5, v1, v2
	v_lshlrev_b32_e32 v3, 10, v3
	v_min_u32_e32 v6, v5, v3
	v_sub_u32_e32 v3, v4, v2
	v_sub_u32_e32 v1, v1, v4
	v_sub_u32_e64 v1, v6, v1 clamp
	v_min_u32_e32 v7, v6, v3
	v_cmp_lt_u32_e32 vcc, v1, v7
	s_and_saveexec_b64 s[2:3], vcc
	s_cbranch_execz .LBB359_5
; %bb.2:
	s_load_dwordx2 s[4:5], s[4:5], 0x10
	v_mov_b32_e32 v5, 0
	v_mov_b32_e32 v3, v5
	v_lshlrev_b64 v[8:9], 1, v[2:3]
	v_lshlrev_b64 v[10:11], 1, v[4:5]
	s_waitcnt lgkmcnt(0)
	v_mov_b32_e32 v12, s5
	v_add_co_u32_e32 v3, vcc, s4, v8
	v_addc_co_u32_e32 v8, vcc, v12, v9, vcc
	v_add_co_u32_e32 v9, vcc, s4, v10
	v_addc_co_u32_e32 v10, vcc, v12, v11, vcc
	s_mov_b64 s[4:5], 0
.LBB359_3:                              ; =>This Inner Loop Header: Depth=1
	v_add_u32_e32 v4, v7, v1
	v_and_b32_e32 v12, -2, v4
	v_lshrrev_b32_e32 v11, 1, v4
	v_add_co_u32_e32 v12, vcc, v3, v12
	v_xad_u32 v4, v11, -1, v6
	v_addc_co_u32_e32 v13, vcc, 0, v8, vcc
	global_load_ushort v14, v[12:13], off
	v_lshlrev_b64 v[12:13], 1, v[4:5]
	v_add_co_u32_e32 v12, vcc, v9, v12
	v_addc_co_u32_e32 v13, vcc, v10, v13, vcc
	global_load_ushort v4, v[12:13], off
	v_add_u32_e32 v12, 1, v11
	s_waitcnt vmcnt(0)
	v_cmp_gt_i16_e32 vcc, v14, v4
	v_cndmask_b32_e32 v7, v7, v11, vcc
	v_cndmask_b32_e32 v1, v12, v1, vcc
	v_cmp_ge_u32_e32 vcc, v1, v7
	s_or_b64 s[4:5], vcc, s[4:5]
	s_andn2_b64 exec, exec, s[4:5]
	s_cbranch_execnz .LBB359_3
; %bb.4:
	s_or_b64 exec, exec, s[4:5]
.LBB359_5:
	s_or_b64 exec, exec, s[2:3]
	v_add_u32_e32 v2, v1, v2
	v_mov_b32_e32 v1, 0
	v_lshlrev_b64 v[0:1], 2, v[0:1]
	v_mov_b32_e32 v3, s1
	v_add_co_u32_e32 v0, vcc, s0, v0
	v_addc_co_u32_e32 v1, vcc, v3, v1, vcc
	global_store_dword v[0:1], v2, off
.LBB359_6:
	s_endpgm
	.section	.rodata,"a",@progbits
	.p2align	6, 0x0
	.amdhsa_kernel _ZN7rocprim17ROCPRIM_400000_NS6detail17trampoline_kernelINS0_14default_configENS1_38merge_sort_block_merge_config_selectorIsNS0_10empty_typeEEEZZNS1_27merge_sort_block_merge_implIS3_PsPS5_jNS1_19radix_merge_compareILb0ELb0EsNS0_19identity_decomposerEEEEE10hipError_tT0_T1_T2_jT3_P12ihipStream_tbPNSt15iterator_traitsISE_E10value_typeEPNSK_ISF_E10value_typeEPSG_NS1_7vsmem_tEENKUlT_SE_SF_SG_E_clIS8_S8_S9_S9_EESD_ST_SE_SF_SG_EUlST_E_NS1_11comp_targetILNS1_3genE4ELNS1_11target_archE910ELNS1_3gpuE8ELNS1_3repE0EEENS1_48merge_mergepath_partition_config_static_selectorELNS0_4arch9wavefront6targetE1EEEvSF_
		.amdhsa_group_segment_fixed_size 0
		.amdhsa_private_segment_fixed_size 0
		.amdhsa_kernarg_size 40
		.amdhsa_user_sgpr_count 6
		.amdhsa_user_sgpr_private_segment_buffer 1
		.amdhsa_user_sgpr_dispatch_ptr 0
		.amdhsa_user_sgpr_queue_ptr 0
		.amdhsa_user_sgpr_kernarg_segment_ptr 1
		.amdhsa_user_sgpr_dispatch_id 0
		.amdhsa_user_sgpr_flat_scratch_init 0
		.amdhsa_user_sgpr_kernarg_preload_length 0
		.amdhsa_user_sgpr_kernarg_preload_offset 0
		.amdhsa_user_sgpr_private_segment_size 0
		.amdhsa_uses_dynamic_stack 0
		.amdhsa_system_sgpr_private_segment_wavefront_offset 0
		.amdhsa_system_sgpr_workgroup_id_x 1
		.amdhsa_system_sgpr_workgroup_id_y 0
		.amdhsa_system_sgpr_workgroup_id_z 0
		.amdhsa_system_sgpr_workgroup_info 0
		.amdhsa_system_vgpr_workitem_id 0
		.amdhsa_next_free_vgpr 15
		.amdhsa_next_free_sgpr 8
		.amdhsa_accum_offset 16
		.amdhsa_reserve_vcc 1
		.amdhsa_reserve_flat_scratch 0
		.amdhsa_float_round_mode_32 0
		.amdhsa_float_round_mode_16_64 0
		.amdhsa_float_denorm_mode_32 3
		.amdhsa_float_denorm_mode_16_64 3
		.amdhsa_dx10_clamp 1
		.amdhsa_ieee_mode 1
		.amdhsa_fp16_overflow 0
		.amdhsa_tg_split 0
		.amdhsa_exception_fp_ieee_invalid_op 0
		.amdhsa_exception_fp_denorm_src 0
		.amdhsa_exception_fp_ieee_div_zero 0
		.amdhsa_exception_fp_ieee_overflow 0
		.amdhsa_exception_fp_ieee_underflow 0
		.amdhsa_exception_fp_ieee_inexact 0
		.amdhsa_exception_int_div_zero 0
	.end_amdhsa_kernel
	.section	.text._ZN7rocprim17ROCPRIM_400000_NS6detail17trampoline_kernelINS0_14default_configENS1_38merge_sort_block_merge_config_selectorIsNS0_10empty_typeEEEZZNS1_27merge_sort_block_merge_implIS3_PsPS5_jNS1_19radix_merge_compareILb0ELb0EsNS0_19identity_decomposerEEEEE10hipError_tT0_T1_T2_jT3_P12ihipStream_tbPNSt15iterator_traitsISE_E10value_typeEPNSK_ISF_E10value_typeEPSG_NS1_7vsmem_tEENKUlT_SE_SF_SG_E_clIS8_S8_S9_S9_EESD_ST_SE_SF_SG_EUlST_E_NS1_11comp_targetILNS1_3genE4ELNS1_11target_archE910ELNS1_3gpuE8ELNS1_3repE0EEENS1_48merge_mergepath_partition_config_static_selectorELNS0_4arch9wavefront6targetE1EEEvSF_,"axG",@progbits,_ZN7rocprim17ROCPRIM_400000_NS6detail17trampoline_kernelINS0_14default_configENS1_38merge_sort_block_merge_config_selectorIsNS0_10empty_typeEEEZZNS1_27merge_sort_block_merge_implIS3_PsPS5_jNS1_19radix_merge_compareILb0ELb0EsNS0_19identity_decomposerEEEEE10hipError_tT0_T1_T2_jT3_P12ihipStream_tbPNSt15iterator_traitsISE_E10value_typeEPNSK_ISF_E10value_typeEPSG_NS1_7vsmem_tEENKUlT_SE_SF_SG_E_clIS8_S8_S9_S9_EESD_ST_SE_SF_SG_EUlST_E_NS1_11comp_targetILNS1_3genE4ELNS1_11target_archE910ELNS1_3gpuE8ELNS1_3repE0EEENS1_48merge_mergepath_partition_config_static_selectorELNS0_4arch9wavefront6targetE1EEEvSF_,comdat
.Lfunc_end359:
	.size	_ZN7rocprim17ROCPRIM_400000_NS6detail17trampoline_kernelINS0_14default_configENS1_38merge_sort_block_merge_config_selectorIsNS0_10empty_typeEEEZZNS1_27merge_sort_block_merge_implIS3_PsPS5_jNS1_19radix_merge_compareILb0ELb0EsNS0_19identity_decomposerEEEEE10hipError_tT0_T1_T2_jT3_P12ihipStream_tbPNSt15iterator_traitsISE_E10value_typeEPNSK_ISF_E10value_typeEPSG_NS1_7vsmem_tEENKUlT_SE_SF_SG_E_clIS8_S8_S9_S9_EESD_ST_SE_SF_SG_EUlST_E_NS1_11comp_targetILNS1_3genE4ELNS1_11target_archE910ELNS1_3gpuE8ELNS1_3repE0EEENS1_48merge_mergepath_partition_config_static_selectorELNS0_4arch9wavefront6targetE1EEEvSF_, .Lfunc_end359-_ZN7rocprim17ROCPRIM_400000_NS6detail17trampoline_kernelINS0_14default_configENS1_38merge_sort_block_merge_config_selectorIsNS0_10empty_typeEEEZZNS1_27merge_sort_block_merge_implIS3_PsPS5_jNS1_19radix_merge_compareILb0ELb0EsNS0_19identity_decomposerEEEEE10hipError_tT0_T1_T2_jT3_P12ihipStream_tbPNSt15iterator_traitsISE_E10value_typeEPNSK_ISF_E10value_typeEPSG_NS1_7vsmem_tEENKUlT_SE_SF_SG_E_clIS8_S8_S9_S9_EESD_ST_SE_SF_SG_EUlST_E_NS1_11comp_targetILNS1_3genE4ELNS1_11target_archE910ELNS1_3gpuE8ELNS1_3repE0EEENS1_48merge_mergepath_partition_config_static_selectorELNS0_4arch9wavefront6targetE1EEEvSF_
                                        ; -- End function
	.section	.AMDGPU.csdata,"",@progbits
; Kernel info:
; codeLenInByte = 352
; NumSgprs: 12
; NumVgprs: 15
; NumAgprs: 0
; TotalNumVgprs: 15
; ScratchSize: 0
; MemoryBound: 0
; FloatMode: 240
; IeeeMode: 1
; LDSByteSize: 0 bytes/workgroup (compile time only)
; SGPRBlocks: 1
; VGPRBlocks: 1
; NumSGPRsForWavesPerEU: 12
; NumVGPRsForWavesPerEU: 15
; AccumOffset: 16
; Occupancy: 8
; WaveLimiterHint : 0
; COMPUTE_PGM_RSRC2:SCRATCH_EN: 0
; COMPUTE_PGM_RSRC2:USER_SGPR: 6
; COMPUTE_PGM_RSRC2:TRAP_HANDLER: 0
; COMPUTE_PGM_RSRC2:TGID_X_EN: 1
; COMPUTE_PGM_RSRC2:TGID_Y_EN: 0
; COMPUTE_PGM_RSRC2:TGID_Z_EN: 0
; COMPUTE_PGM_RSRC2:TIDIG_COMP_CNT: 0
; COMPUTE_PGM_RSRC3_GFX90A:ACCUM_OFFSET: 3
; COMPUTE_PGM_RSRC3_GFX90A:TG_SPLIT: 0
	.section	.text._ZN7rocprim17ROCPRIM_400000_NS6detail17trampoline_kernelINS0_14default_configENS1_38merge_sort_block_merge_config_selectorIsNS0_10empty_typeEEEZZNS1_27merge_sort_block_merge_implIS3_PsPS5_jNS1_19radix_merge_compareILb0ELb0EsNS0_19identity_decomposerEEEEE10hipError_tT0_T1_T2_jT3_P12ihipStream_tbPNSt15iterator_traitsISE_E10value_typeEPNSK_ISF_E10value_typeEPSG_NS1_7vsmem_tEENKUlT_SE_SF_SG_E_clIS8_S8_S9_S9_EESD_ST_SE_SF_SG_EUlST_E_NS1_11comp_targetILNS1_3genE3ELNS1_11target_archE908ELNS1_3gpuE7ELNS1_3repE0EEENS1_48merge_mergepath_partition_config_static_selectorELNS0_4arch9wavefront6targetE1EEEvSF_,"axG",@progbits,_ZN7rocprim17ROCPRIM_400000_NS6detail17trampoline_kernelINS0_14default_configENS1_38merge_sort_block_merge_config_selectorIsNS0_10empty_typeEEEZZNS1_27merge_sort_block_merge_implIS3_PsPS5_jNS1_19radix_merge_compareILb0ELb0EsNS0_19identity_decomposerEEEEE10hipError_tT0_T1_T2_jT3_P12ihipStream_tbPNSt15iterator_traitsISE_E10value_typeEPNSK_ISF_E10value_typeEPSG_NS1_7vsmem_tEENKUlT_SE_SF_SG_E_clIS8_S8_S9_S9_EESD_ST_SE_SF_SG_EUlST_E_NS1_11comp_targetILNS1_3genE3ELNS1_11target_archE908ELNS1_3gpuE7ELNS1_3repE0EEENS1_48merge_mergepath_partition_config_static_selectorELNS0_4arch9wavefront6targetE1EEEvSF_,comdat
	.protected	_ZN7rocprim17ROCPRIM_400000_NS6detail17trampoline_kernelINS0_14default_configENS1_38merge_sort_block_merge_config_selectorIsNS0_10empty_typeEEEZZNS1_27merge_sort_block_merge_implIS3_PsPS5_jNS1_19radix_merge_compareILb0ELb0EsNS0_19identity_decomposerEEEEE10hipError_tT0_T1_T2_jT3_P12ihipStream_tbPNSt15iterator_traitsISE_E10value_typeEPNSK_ISF_E10value_typeEPSG_NS1_7vsmem_tEENKUlT_SE_SF_SG_E_clIS8_S8_S9_S9_EESD_ST_SE_SF_SG_EUlST_E_NS1_11comp_targetILNS1_3genE3ELNS1_11target_archE908ELNS1_3gpuE7ELNS1_3repE0EEENS1_48merge_mergepath_partition_config_static_selectorELNS0_4arch9wavefront6targetE1EEEvSF_ ; -- Begin function _ZN7rocprim17ROCPRIM_400000_NS6detail17trampoline_kernelINS0_14default_configENS1_38merge_sort_block_merge_config_selectorIsNS0_10empty_typeEEEZZNS1_27merge_sort_block_merge_implIS3_PsPS5_jNS1_19radix_merge_compareILb0ELb0EsNS0_19identity_decomposerEEEEE10hipError_tT0_T1_T2_jT3_P12ihipStream_tbPNSt15iterator_traitsISE_E10value_typeEPNSK_ISF_E10value_typeEPSG_NS1_7vsmem_tEENKUlT_SE_SF_SG_E_clIS8_S8_S9_S9_EESD_ST_SE_SF_SG_EUlST_E_NS1_11comp_targetILNS1_3genE3ELNS1_11target_archE908ELNS1_3gpuE7ELNS1_3repE0EEENS1_48merge_mergepath_partition_config_static_selectorELNS0_4arch9wavefront6targetE1EEEvSF_
	.globl	_ZN7rocprim17ROCPRIM_400000_NS6detail17trampoline_kernelINS0_14default_configENS1_38merge_sort_block_merge_config_selectorIsNS0_10empty_typeEEEZZNS1_27merge_sort_block_merge_implIS3_PsPS5_jNS1_19radix_merge_compareILb0ELb0EsNS0_19identity_decomposerEEEEE10hipError_tT0_T1_T2_jT3_P12ihipStream_tbPNSt15iterator_traitsISE_E10value_typeEPNSK_ISF_E10value_typeEPSG_NS1_7vsmem_tEENKUlT_SE_SF_SG_E_clIS8_S8_S9_S9_EESD_ST_SE_SF_SG_EUlST_E_NS1_11comp_targetILNS1_3genE3ELNS1_11target_archE908ELNS1_3gpuE7ELNS1_3repE0EEENS1_48merge_mergepath_partition_config_static_selectorELNS0_4arch9wavefront6targetE1EEEvSF_
	.p2align	8
	.type	_ZN7rocprim17ROCPRIM_400000_NS6detail17trampoline_kernelINS0_14default_configENS1_38merge_sort_block_merge_config_selectorIsNS0_10empty_typeEEEZZNS1_27merge_sort_block_merge_implIS3_PsPS5_jNS1_19radix_merge_compareILb0ELb0EsNS0_19identity_decomposerEEEEE10hipError_tT0_T1_T2_jT3_P12ihipStream_tbPNSt15iterator_traitsISE_E10value_typeEPNSK_ISF_E10value_typeEPSG_NS1_7vsmem_tEENKUlT_SE_SF_SG_E_clIS8_S8_S9_S9_EESD_ST_SE_SF_SG_EUlST_E_NS1_11comp_targetILNS1_3genE3ELNS1_11target_archE908ELNS1_3gpuE7ELNS1_3repE0EEENS1_48merge_mergepath_partition_config_static_selectorELNS0_4arch9wavefront6targetE1EEEvSF_,@function
_ZN7rocprim17ROCPRIM_400000_NS6detail17trampoline_kernelINS0_14default_configENS1_38merge_sort_block_merge_config_selectorIsNS0_10empty_typeEEEZZNS1_27merge_sort_block_merge_implIS3_PsPS5_jNS1_19radix_merge_compareILb0ELb0EsNS0_19identity_decomposerEEEEE10hipError_tT0_T1_T2_jT3_P12ihipStream_tbPNSt15iterator_traitsISE_E10value_typeEPNSK_ISF_E10value_typeEPSG_NS1_7vsmem_tEENKUlT_SE_SF_SG_E_clIS8_S8_S9_S9_EESD_ST_SE_SF_SG_EUlST_E_NS1_11comp_targetILNS1_3genE3ELNS1_11target_archE908ELNS1_3gpuE7ELNS1_3repE0EEENS1_48merge_mergepath_partition_config_static_selectorELNS0_4arch9wavefront6targetE1EEEvSF_: ; @_ZN7rocprim17ROCPRIM_400000_NS6detail17trampoline_kernelINS0_14default_configENS1_38merge_sort_block_merge_config_selectorIsNS0_10empty_typeEEEZZNS1_27merge_sort_block_merge_implIS3_PsPS5_jNS1_19radix_merge_compareILb0ELb0EsNS0_19identity_decomposerEEEEE10hipError_tT0_T1_T2_jT3_P12ihipStream_tbPNSt15iterator_traitsISE_E10value_typeEPNSK_ISF_E10value_typeEPSG_NS1_7vsmem_tEENKUlT_SE_SF_SG_E_clIS8_S8_S9_S9_EESD_ST_SE_SF_SG_EUlST_E_NS1_11comp_targetILNS1_3genE3ELNS1_11target_archE908ELNS1_3gpuE7ELNS1_3repE0EEENS1_48merge_mergepath_partition_config_static_selectorELNS0_4arch9wavefront6targetE1EEEvSF_
; %bb.0:
	.section	.rodata,"a",@progbits
	.p2align	6, 0x0
	.amdhsa_kernel _ZN7rocprim17ROCPRIM_400000_NS6detail17trampoline_kernelINS0_14default_configENS1_38merge_sort_block_merge_config_selectorIsNS0_10empty_typeEEEZZNS1_27merge_sort_block_merge_implIS3_PsPS5_jNS1_19radix_merge_compareILb0ELb0EsNS0_19identity_decomposerEEEEE10hipError_tT0_T1_T2_jT3_P12ihipStream_tbPNSt15iterator_traitsISE_E10value_typeEPNSK_ISF_E10value_typeEPSG_NS1_7vsmem_tEENKUlT_SE_SF_SG_E_clIS8_S8_S9_S9_EESD_ST_SE_SF_SG_EUlST_E_NS1_11comp_targetILNS1_3genE3ELNS1_11target_archE908ELNS1_3gpuE7ELNS1_3repE0EEENS1_48merge_mergepath_partition_config_static_selectorELNS0_4arch9wavefront6targetE1EEEvSF_
		.amdhsa_group_segment_fixed_size 0
		.amdhsa_private_segment_fixed_size 0
		.amdhsa_kernarg_size 40
		.amdhsa_user_sgpr_count 6
		.amdhsa_user_sgpr_private_segment_buffer 1
		.amdhsa_user_sgpr_dispatch_ptr 0
		.amdhsa_user_sgpr_queue_ptr 0
		.amdhsa_user_sgpr_kernarg_segment_ptr 1
		.amdhsa_user_sgpr_dispatch_id 0
		.amdhsa_user_sgpr_flat_scratch_init 0
		.amdhsa_user_sgpr_kernarg_preload_length 0
		.amdhsa_user_sgpr_kernarg_preload_offset 0
		.amdhsa_user_sgpr_private_segment_size 0
		.amdhsa_uses_dynamic_stack 0
		.amdhsa_system_sgpr_private_segment_wavefront_offset 0
		.amdhsa_system_sgpr_workgroup_id_x 1
		.amdhsa_system_sgpr_workgroup_id_y 0
		.amdhsa_system_sgpr_workgroup_id_z 0
		.amdhsa_system_sgpr_workgroup_info 0
		.amdhsa_system_vgpr_workitem_id 0
		.amdhsa_next_free_vgpr 1
		.amdhsa_next_free_sgpr 0
		.amdhsa_accum_offset 4
		.amdhsa_reserve_vcc 0
		.amdhsa_reserve_flat_scratch 0
		.amdhsa_float_round_mode_32 0
		.amdhsa_float_round_mode_16_64 0
		.amdhsa_float_denorm_mode_32 3
		.amdhsa_float_denorm_mode_16_64 3
		.amdhsa_dx10_clamp 1
		.amdhsa_ieee_mode 1
		.amdhsa_fp16_overflow 0
		.amdhsa_tg_split 0
		.amdhsa_exception_fp_ieee_invalid_op 0
		.amdhsa_exception_fp_denorm_src 0
		.amdhsa_exception_fp_ieee_div_zero 0
		.amdhsa_exception_fp_ieee_overflow 0
		.amdhsa_exception_fp_ieee_underflow 0
		.amdhsa_exception_fp_ieee_inexact 0
		.amdhsa_exception_int_div_zero 0
	.end_amdhsa_kernel
	.section	.text._ZN7rocprim17ROCPRIM_400000_NS6detail17trampoline_kernelINS0_14default_configENS1_38merge_sort_block_merge_config_selectorIsNS0_10empty_typeEEEZZNS1_27merge_sort_block_merge_implIS3_PsPS5_jNS1_19radix_merge_compareILb0ELb0EsNS0_19identity_decomposerEEEEE10hipError_tT0_T1_T2_jT3_P12ihipStream_tbPNSt15iterator_traitsISE_E10value_typeEPNSK_ISF_E10value_typeEPSG_NS1_7vsmem_tEENKUlT_SE_SF_SG_E_clIS8_S8_S9_S9_EESD_ST_SE_SF_SG_EUlST_E_NS1_11comp_targetILNS1_3genE3ELNS1_11target_archE908ELNS1_3gpuE7ELNS1_3repE0EEENS1_48merge_mergepath_partition_config_static_selectorELNS0_4arch9wavefront6targetE1EEEvSF_,"axG",@progbits,_ZN7rocprim17ROCPRIM_400000_NS6detail17trampoline_kernelINS0_14default_configENS1_38merge_sort_block_merge_config_selectorIsNS0_10empty_typeEEEZZNS1_27merge_sort_block_merge_implIS3_PsPS5_jNS1_19radix_merge_compareILb0ELb0EsNS0_19identity_decomposerEEEEE10hipError_tT0_T1_T2_jT3_P12ihipStream_tbPNSt15iterator_traitsISE_E10value_typeEPNSK_ISF_E10value_typeEPSG_NS1_7vsmem_tEENKUlT_SE_SF_SG_E_clIS8_S8_S9_S9_EESD_ST_SE_SF_SG_EUlST_E_NS1_11comp_targetILNS1_3genE3ELNS1_11target_archE908ELNS1_3gpuE7ELNS1_3repE0EEENS1_48merge_mergepath_partition_config_static_selectorELNS0_4arch9wavefront6targetE1EEEvSF_,comdat
.Lfunc_end360:
	.size	_ZN7rocprim17ROCPRIM_400000_NS6detail17trampoline_kernelINS0_14default_configENS1_38merge_sort_block_merge_config_selectorIsNS0_10empty_typeEEEZZNS1_27merge_sort_block_merge_implIS3_PsPS5_jNS1_19radix_merge_compareILb0ELb0EsNS0_19identity_decomposerEEEEE10hipError_tT0_T1_T2_jT3_P12ihipStream_tbPNSt15iterator_traitsISE_E10value_typeEPNSK_ISF_E10value_typeEPSG_NS1_7vsmem_tEENKUlT_SE_SF_SG_E_clIS8_S8_S9_S9_EESD_ST_SE_SF_SG_EUlST_E_NS1_11comp_targetILNS1_3genE3ELNS1_11target_archE908ELNS1_3gpuE7ELNS1_3repE0EEENS1_48merge_mergepath_partition_config_static_selectorELNS0_4arch9wavefront6targetE1EEEvSF_, .Lfunc_end360-_ZN7rocprim17ROCPRIM_400000_NS6detail17trampoline_kernelINS0_14default_configENS1_38merge_sort_block_merge_config_selectorIsNS0_10empty_typeEEEZZNS1_27merge_sort_block_merge_implIS3_PsPS5_jNS1_19radix_merge_compareILb0ELb0EsNS0_19identity_decomposerEEEEE10hipError_tT0_T1_T2_jT3_P12ihipStream_tbPNSt15iterator_traitsISE_E10value_typeEPNSK_ISF_E10value_typeEPSG_NS1_7vsmem_tEENKUlT_SE_SF_SG_E_clIS8_S8_S9_S9_EESD_ST_SE_SF_SG_EUlST_E_NS1_11comp_targetILNS1_3genE3ELNS1_11target_archE908ELNS1_3gpuE7ELNS1_3repE0EEENS1_48merge_mergepath_partition_config_static_selectorELNS0_4arch9wavefront6targetE1EEEvSF_
                                        ; -- End function
	.section	.AMDGPU.csdata,"",@progbits
; Kernel info:
; codeLenInByte = 0
; NumSgprs: 4
; NumVgprs: 0
; NumAgprs: 0
; TotalNumVgprs: 0
; ScratchSize: 0
; MemoryBound: 0
; FloatMode: 240
; IeeeMode: 1
; LDSByteSize: 0 bytes/workgroup (compile time only)
; SGPRBlocks: 0
; VGPRBlocks: 0
; NumSGPRsForWavesPerEU: 4
; NumVGPRsForWavesPerEU: 1
; AccumOffset: 4
; Occupancy: 8
; WaveLimiterHint : 0
; COMPUTE_PGM_RSRC2:SCRATCH_EN: 0
; COMPUTE_PGM_RSRC2:USER_SGPR: 6
; COMPUTE_PGM_RSRC2:TRAP_HANDLER: 0
; COMPUTE_PGM_RSRC2:TGID_X_EN: 1
; COMPUTE_PGM_RSRC2:TGID_Y_EN: 0
; COMPUTE_PGM_RSRC2:TGID_Z_EN: 0
; COMPUTE_PGM_RSRC2:TIDIG_COMP_CNT: 0
; COMPUTE_PGM_RSRC3_GFX90A:ACCUM_OFFSET: 0
; COMPUTE_PGM_RSRC3_GFX90A:TG_SPLIT: 0
	.section	.text._ZN7rocprim17ROCPRIM_400000_NS6detail17trampoline_kernelINS0_14default_configENS1_38merge_sort_block_merge_config_selectorIsNS0_10empty_typeEEEZZNS1_27merge_sort_block_merge_implIS3_PsPS5_jNS1_19radix_merge_compareILb0ELb0EsNS0_19identity_decomposerEEEEE10hipError_tT0_T1_T2_jT3_P12ihipStream_tbPNSt15iterator_traitsISE_E10value_typeEPNSK_ISF_E10value_typeEPSG_NS1_7vsmem_tEENKUlT_SE_SF_SG_E_clIS8_S8_S9_S9_EESD_ST_SE_SF_SG_EUlST_E_NS1_11comp_targetILNS1_3genE2ELNS1_11target_archE906ELNS1_3gpuE6ELNS1_3repE0EEENS1_48merge_mergepath_partition_config_static_selectorELNS0_4arch9wavefront6targetE1EEEvSF_,"axG",@progbits,_ZN7rocprim17ROCPRIM_400000_NS6detail17trampoline_kernelINS0_14default_configENS1_38merge_sort_block_merge_config_selectorIsNS0_10empty_typeEEEZZNS1_27merge_sort_block_merge_implIS3_PsPS5_jNS1_19radix_merge_compareILb0ELb0EsNS0_19identity_decomposerEEEEE10hipError_tT0_T1_T2_jT3_P12ihipStream_tbPNSt15iterator_traitsISE_E10value_typeEPNSK_ISF_E10value_typeEPSG_NS1_7vsmem_tEENKUlT_SE_SF_SG_E_clIS8_S8_S9_S9_EESD_ST_SE_SF_SG_EUlST_E_NS1_11comp_targetILNS1_3genE2ELNS1_11target_archE906ELNS1_3gpuE6ELNS1_3repE0EEENS1_48merge_mergepath_partition_config_static_selectorELNS0_4arch9wavefront6targetE1EEEvSF_,comdat
	.protected	_ZN7rocprim17ROCPRIM_400000_NS6detail17trampoline_kernelINS0_14default_configENS1_38merge_sort_block_merge_config_selectorIsNS0_10empty_typeEEEZZNS1_27merge_sort_block_merge_implIS3_PsPS5_jNS1_19radix_merge_compareILb0ELb0EsNS0_19identity_decomposerEEEEE10hipError_tT0_T1_T2_jT3_P12ihipStream_tbPNSt15iterator_traitsISE_E10value_typeEPNSK_ISF_E10value_typeEPSG_NS1_7vsmem_tEENKUlT_SE_SF_SG_E_clIS8_S8_S9_S9_EESD_ST_SE_SF_SG_EUlST_E_NS1_11comp_targetILNS1_3genE2ELNS1_11target_archE906ELNS1_3gpuE6ELNS1_3repE0EEENS1_48merge_mergepath_partition_config_static_selectorELNS0_4arch9wavefront6targetE1EEEvSF_ ; -- Begin function _ZN7rocprim17ROCPRIM_400000_NS6detail17trampoline_kernelINS0_14default_configENS1_38merge_sort_block_merge_config_selectorIsNS0_10empty_typeEEEZZNS1_27merge_sort_block_merge_implIS3_PsPS5_jNS1_19radix_merge_compareILb0ELb0EsNS0_19identity_decomposerEEEEE10hipError_tT0_T1_T2_jT3_P12ihipStream_tbPNSt15iterator_traitsISE_E10value_typeEPNSK_ISF_E10value_typeEPSG_NS1_7vsmem_tEENKUlT_SE_SF_SG_E_clIS8_S8_S9_S9_EESD_ST_SE_SF_SG_EUlST_E_NS1_11comp_targetILNS1_3genE2ELNS1_11target_archE906ELNS1_3gpuE6ELNS1_3repE0EEENS1_48merge_mergepath_partition_config_static_selectorELNS0_4arch9wavefront6targetE1EEEvSF_
	.globl	_ZN7rocprim17ROCPRIM_400000_NS6detail17trampoline_kernelINS0_14default_configENS1_38merge_sort_block_merge_config_selectorIsNS0_10empty_typeEEEZZNS1_27merge_sort_block_merge_implIS3_PsPS5_jNS1_19radix_merge_compareILb0ELb0EsNS0_19identity_decomposerEEEEE10hipError_tT0_T1_T2_jT3_P12ihipStream_tbPNSt15iterator_traitsISE_E10value_typeEPNSK_ISF_E10value_typeEPSG_NS1_7vsmem_tEENKUlT_SE_SF_SG_E_clIS8_S8_S9_S9_EESD_ST_SE_SF_SG_EUlST_E_NS1_11comp_targetILNS1_3genE2ELNS1_11target_archE906ELNS1_3gpuE6ELNS1_3repE0EEENS1_48merge_mergepath_partition_config_static_selectorELNS0_4arch9wavefront6targetE1EEEvSF_
	.p2align	8
	.type	_ZN7rocprim17ROCPRIM_400000_NS6detail17trampoline_kernelINS0_14default_configENS1_38merge_sort_block_merge_config_selectorIsNS0_10empty_typeEEEZZNS1_27merge_sort_block_merge_implIS3_PsPS5_jNS1_19radix_merge_compareILb0ELb0EsNS0_19identity_decomposerEEEEE10hipError_tT0_T1_T2_jT3_P12ihipStream_tbPNSt15iterator_traitsISE_E10value_typeEPNSK_ISF_E10value_typeEPSG_NS1_7vsmem_tEENKUlT_SE_SF_SG_E_clIS8_S8_S9_S9_EESD_ST_SE_SF_SG_EUlST_E_NS1_11comp_targetILNS1_3genE2ELNS1_11target_archE906ELNS1_3gpuE6ELNS1_3repE0EEENS1_48merge_mergepath_partition_config_static_selectorELNS0_4arch9wavefront6targetE1EEEvSF_,@function
_ZN7rocprim17ROCPRIM_400000_NS6detail17trampoline_kernelINS0_14default_configENS1_38merge_sort_block_merge_config_selectorIsNS0_10empty_typeEEEZZNS1_27merge_sort_block_merge_implIS3_PsPS5_jNS1_19radix_merge_compareILb0ELb0EsNS0_19identity_decomposerEEEEE10hipError_tT0_T1_T2_jT3_P12ihipStream_tbPNSt15iterator_traitsISE_E10value_typeEPNSK_ISF_E10value_typeEPSG_NS1_7vsmem_tEENKUlT_SE_SF_SG_E_clIS8_S8_S9_S9_EESD_ST_SE_SF_SG_EUlST_E_NS1_11comp_targetILNS1_3genE2ELNS1_11target_archE906ELNS1_3gpuE6ELNS1_3repE0EEENS1_48merge_mergepath_partition_config_static_selectorELNS0_4arch9wavefront6targetE1EEEvSF_: ; @_ZN7rocprim17ROCPRIM_400000_NS6detail17trampoline_kernelINS0_14default_configENS1_38merge_sort_block_merge_config_selectorIsNS0_10empty_typeEEEZZNS1_27merge_sort_block_merge_implIS3_PsPS5_jNS1_19radix_merge_compareILb0ELb0EsNS0_19identity_decomposerEEEEE10hipError_tT0_T1_T2_jT3_P12ihipStream_tbPNSt15iterator_traitsISE_E10value_typeEPNSK_ISF_E10value_typeEPSG_NS1_7vsmem_tEENKUlT_SE_SF_SG_E_clIS8_S8_S9_S9_EESD_ST_SE_SF_SG_EUlST_E_NS1_11comp_targetILNS1_3genE2ELNS1_11target_archE906ELNS1_3gpuE6ELNS1_3repE0EEENS1_48merge_mergepath_partition_config_static_selectorELNS0_4arch9wavefront6targetE1EEEvSF_
; %bb.0:
	.section	.rodata,"a",@progbits
	.p2align	6, 0x0
	.amdhsa_kernel _ZN7rocprim17ROCPRIM_400000_NS6detail17trampoline_kernelINS0_14default_configENS1_38merge_sort_block_merge_config_selectorIsNS0_10empty_typeEEEZZNS1_27merge_sort_block_merge_implIS3_PsPS5_jNS1_19radix_merge_compareILb0ELb0EsNS0_19identity_decomposerEEEEE10hipError_tT0_T1_T2_jT3_P12ihipStream_tbPNSt15iterator_traitsISE_E10value_typeEPNSK_ISF_E10value_typeEPSG_NS1_7vsmem_tEENKUlT_SE_SF_SG_E_clIS8_S8_S9_S9_EESD_ST_SE_SF_SG_EUlST_E_NS1_11comp_targetILNS1_3genE2ELNS1_11target_archE906ELNS1_3gpuE6ELNS1_3repE0EEENS1_48merge_mergepath_partition_config_static_selectorELNS0_4arch9wavefront6targetE1EEEvSF_
		.amdhsa_group_segment_fixed_size 0
		.amdhsa_private_segment_fixed_size 0
		.amdhsa_kernarg_size 40
		.amdhsa_user_sgpr_count 6
		.amdhsa_user_sgpr_private_segment_buffer 1
		.amdhsa_user_sgpr_dispatch_ptr 0
		.amdhsa_user_sgpr_queue_ptr 0
		.amdhsa_user_sgpr_kernarg_segment_ptr 1
		.amdhsa_user_sgpr_dispatch_id 0
		.amdhsa_user_sgpr_flat_scratch_init 0
		.amdhsa_user_sgpr_kernarg_preload_length 0
		.amdhsa_user_sgpr_kernarg_preload_offset 0
		.amdhsa_user_sgpr_private_segment_size 0
		.amdhsa_uses_dynamic_stack 0
		.amdhsa_system_sgpr_private_segment_wavefront_offset 0
		.amdhsa_system_sgpr_workgroup_id_x 1
		.amdhsa_system_sgpr_workgroup_id_y 0
		.amdhsa_system_sgpr_workgroup_id_z 0
		.amdhsa_system_sgpr_workgroup_info 0
		.amdhsa_system_vgpr_workitem_id 0
		.amdhsa_next_free_vgpr 1
		.amdhsa_next_free_sgpr 0
		.amdhsa_accum_offset 4
		.amdhsa_reserve_vcc 0
		.amdhsa_reserve_flat_scratch 0
		.amdhsa_float_round_mode_32 0
		.amdhsa_float_round_mode_16_64 0
		.amdhsa_float_denorm_mode_32 3
		.amdhsa_float_denorm_mode_16_64 3
		.amdhsa_dx10_clamp 1
		.amdhsa_ieee_mode 1
		.amdhsa_fp16_overflow 0
		.amdhsa_tg_split 0
		.amdhsa_exception_fp_ieee_invalid_op 0
		.amdhsa_exception_fp_denorm_src 0
		.amdhsa_exception_fp_ieee_div_zero 0
		.amdhsa_exception_fp_ieee_overflow 0
		.amdhsa_exception_fp_ieee_underflow 0
		.amdhsa_exception_fp_ieee_inexact 0
		.amdhsa_exception_int_div_zero 0
	.end_amdhsa_kernel
	.section	.text._ZN7rocprim17ROCPRIM_400000_NS6detail17trampoline_kernelINS0_14default_configENS1_38merge_sort_block_merge_config_selectorIsNS0_10empty_typeEEEZZNS1_27merge_sort_block_merge_implIS3_PsPS5_jNS1_19radix_merge_compareILb0ELb0EsNS0_19identity_decomposerEEEEE10hipError_tT0_T1_T2_jT3_P12ihipStream_tbPNSt15iterator_traitsISE_E10value_typeEPNSK_ISF_E10value_typeEPSG_NS1_7vsmem_tEENKUlT_SE_SF_SG_E_clIS8_S8_S9_S9_EESD_ST_SE_SF_SG_EUlST_E_NS1_11comp_targetILNS1_3genE2ELNS1_11target_archE906ELNS1_3gpuE6ELNS1_3repE0EEENS1_48merge_mergepath_partition_config_static_selectorELNS0_4arch9wavefront6targetE1EEEvSF_,"axG",@progbits,_ZN7rocprim17ROCPRIM_400000_NS6detail17trampoline_kernelINS0_14default_configENS1_38merge_sort_block_merge_config_selectorIsNS0_10empty_typeEEEZZNS1_27merge_sort_block_merge_implIS3_PsPS5_jNS1_19radix_merge_compareILb0ELb0EsNS0_19identity_decomposerEEEEE10hipError_tT0_T1_T2_jT3_P12ihipStream_tbPNSt15iterator_traitsISE_E10value_typeEPNSK_ISF_E10value_typeEPSG_NS1_7vsmem_tEENKUlT_SE_SF_SG_E_clIS8_S8_S9_S9_EESD_ST_SE_SF_SG_EUlST_E_NS1_11comp_targetILNS1_3genE2ELNS1_11target_archE906ELNS1_3gpuE6ELNS1_3repE0EEENS1_48merge_mergepath_partition_config_static_selectorELNS0_4arch9wavefront6targetE1EEEvSF_,comdat
.Lfunc_end361:
	.size	_ZN7rocprim17ROCPRIM_400000_NS6detail17trampoline_kernelINS0_14default_configENS1_38merge_sort_block_merge_config_selectorIsNS0_10empty_typeEEEZZNS1_27merge_sort_block_merge_implIS3_PsPS5_jNS1_19radix_merge_compareILb0ELb0EsNS0_19identity_decomposerEEEEE10hipError_tT0_T1_T2_jT3_P12ihipStream_tbPNSt15iterator_traitsISE_E10value_typeEPNSK_ISF_E10value_typeEPSG_NS1_7vsmem_tEENKUlT_SE_SF_SG_E_clIS8_S8_S9_S9_EESD_ST_SE_SF_SG_EUlST_E_NS1_11comp_targetILNS1_3genE2ELNS1_11target_archE906ELNS1_3gpuE6ELNS1_3repE0EEENS1_48merge_mergepath_partition_config_static_selectorELNS0_4arch9wavefront6targetE1EEEvSF_, .Lfunc_end361-_ZN7rocprim17ROCPRIM_400000_NS6detail17trampoline_kernelINS0_14default_configENS1_38merge_sort_block_merge_config_selectorIsNS0_10empty_typeEEEZZNS1_27merge_sort_block_merge_implIS3_PsPS5_jNS1_19radix_merge_compareILb0ELb0EsNS0_19identity_decomposerEEEEE10hipError_tT0_T1_T2_jT3_P12ihipStream_tbPNSt15iterator_traitsISE_E10value_typeEPNSK_ISF_E10value_typeEPSG_NS1_7vsmem_tEENKUlT_SE_SF_SG_E_clIS8_S8_S9_S9_EESD_ST_SE_SF_SG_EUlST_E_NS1_11comp_targetILNS1_3genE2ELNS1_11target_archE906ELNS1_3gpuE6ELNS1_3repE0EEENS1_48merge_mergepath_partition_config_static_selectorELNS0_4arch9wavefront6targetE1EEEvSF_
                                        ; -- End function
	.section	.AMDGPU.csdata,"",@progbits
; Kernel info:
; codeLenInByte = 0
; NumSgprs: 4
; NumVgprs: 0
; NumAgprs: 0
; TotalNumVgprs: 0
; ScratchSize: 0
; MemoryBound: 0
; FloatMode: 240
; IeeeMode: 1
; LDSByteSize: 0 bytes/workgroup (compile time only)
; SGPRBlocks: 0
; VGPRBlocks: 0
; NumSGPRsForWavesPerEU: 4
; NumVGPRsForWavesPerEU: 1
; AccumOffset: 4
; Occupancy: 8
; WaveLimiterHint : 0
; COMPUTE_PGM_RSRC2:SCRATCH_EN: 0
; COMPUTE_PGM_RSRC2:USER_SGPR: 6
; COMPUTE_PGM_RSRC2:TRAP_HANDLER: 0
; COMPUTE_PGM_RSRC2:TGID_X_EN: 1
; COMPUTE_PGM_RSRC2:TGID_Y_EN: 0
; COMPUTE_PGM_RSRC2:TGID_Z_EN: 0
; COMPUTE_PGM_RSRC2:TIDIG_COMP_CNT: 0
; COMPUTE_PGM_RSRC3_GFX90A:ACCUM_OFFSET: 0
; COMPUTE_PGM_RSRC3_GFX90A:TG_SPLIT: 0
	.section	.text._ZN7rocprim17ROCPRIM_400000_NS6detail17trampoline_kernelINS0_14default_configENS1_38merge_sort_block_merge_config_selectorIsNS0_10empty_typeEEEZZNS1_27merge_sort_block_merge_implIS3_PsPS5_jNS1_19radix_merge_compareILb0ELb0EsNS0_19identity_decomposerEEEEE10hipError_tT0_T1_T2_jT3_P12ihipStream_tbPNSt15iterator_traitsISE_E10value_typeEPNSK_ISF_E10value_typeEPSG_NS1_7vsmem_tEENKUlT_SE_SF_SG_E_clIS8_S8_S9_S9_EESD_ST_SE_SF_SG_EUlST_E_NS1_11comp_targetILNS1_3genE9ELNS1_11target_archE1100ELNS1_3gpuE3ELNS1_3repE0EEENS1_48merge_mergepath_partition_config_static_selectorELNS0_4arch9wavefront6targetE1EEEvSF_,"axG",@progbits,_ZN7rocprim17ROCPRIM_400000_NS6detail17trampoline_kernelINS0_14default_configENS1_38merge_sort_block_merge_config_selectorIsNS0_10empty_typeEEEZZNS1_27merge_sort_block_merge_implIS3_PsPS5_jNS1_19radix_merge_compareILb0ELb0EsNS0_19identity_decomposerEEEEE10hipError_tT0_T1_T2_jT3_P12ihipStream_tbPNSt15iterator_traitsISE_E10value_typeEPNSK_ISF_E10value_typeEPSG_NS1_7vsmem_tEENKUlT_SE_SF_SG_E_clIS8_S8_S9_S9_EESD_ST_SE_SF_SG_EUlST_E_NS1_11comp_targetILNS1_3genE9ELNS1_11target_archE1100ELNS1_3gpuE3ELNS1_3repE0EEENS1_48merge_mergepath_partition_config_static_selectorELNS0_4arch9wavefront6targetE1EEEvSF_,comdat
	.protected	_ZN7rocprim17ROCPRIM_400000_NS6detail17trampoline_kernelINS0_14default_configENS1_38merge_sort_block_merge_config_selectorIsNS0_10empty_typeEEEZZNS1_27merge_sort_block_merge_implIS3_PsPS5_jNS1_19radix_merge_compareILb0ELb0EsNS0_19identity_decomposerEEEEE10hipError_tT0_T1_T2_jT3_P12ihipStream_tbPNSt15iterator_traitsISE_E10value_typeEPNSK_ISF_E10value_typeEPSG_NS1_7vsmem_tEENKUlT_SE_SF_SG_E_clIS8_S8_S9_S9_EESD_ST_SE_SF_SG_EUlST_E_NS1_11comp_targetILNS1_3genE9ELNS1_11target_archE1100ELNS1_3gpuE3ELNS1_3repE0EEENS1_48merge_mergepath_partition_config_static_selectorELNS0_4arch9wavefront6targetE1EEEvSF_ ; -- Begin function _ZN7rocprim17ROCPRIM_400000_NS6detail17trampoline_kernelINS0_14default_configENS1_38merge_sort_block_merge_config_selectorIsNS0_10empty_typeEEEZZNS1_27merge_sort_block_merge_implIS3_PsPS5_jNS1_19radix_merge_compareILb0ELb0EsNS0_19identity_decomposerEEEEE10hipError_tT0_T1_T2_jT3_P12ihipStream_tbPNSt15iterator_traitsISE_E10value_typeEPNSK_ISF_E10value_typeEPSG_NS1_7vsmem_tEENKUlT_SE_SF_SG_E_clIS8_S8_S9_S9_EESD_ST_SE_SF_SG_EUlST_E_NS1_11comp_targetILNS1_3genE9ELNS1_11target_archE1100ELNS1_3gpuE3ELNS1_3repE0EEENS1_48merge_mergepath_partition_config_static_selectorELNS0_4arch9wavefront6targetE1EEEvSF_
	.globl	_ZN7rocprim17ROCPRIM_400000_NS6detail17trampoline_kernelINS0_14default_configENS1_38merge_sort_block_merge_config_selectorIsNS0_10empty_typeEEEZZNS1_27merge_sort_block_merge_implIS3_PsPS5_jNS1_19radix_merge_compareILb0ELb0EsNS0_19identity_decomposerEEEEE10hipError_tT0_T1_T2_jT3_P12ihipStream_tbPNSt15iterator_traitsISE_E10value_typeEPNSK_ISF_E10value_typeEPSG_NS1_7vsmem_tEENKUlT_SE_SF_SG_E_clIS8_S8_S9_S9_EESD_ST_SE_SF_SG_EUlST_E_NS1_11comp_targetILNS1_3genE9ELNS1_11target_archE1100ELNS1_3gpuE3ELNS1_3repE0EEENS1_48merge_mergepath_partition_config_static_selectorELNS0_4arch9wavefront6targetE1EEEvSF_
	.p2align	8
	.type	_ZN7rocprim17ROCPRIM_400000_NS6detail17trampoline_kernelINS0_14default_configENS1_38merge_sort_block_merge_config_selectorIsNS0_10empty_typeEEEZZNS1_27merge_sort_block_merge_implIS3_PsPS5_jNS1_19radix_merge_compareILb0ELb0EsNS0_19identity_decomposerEEEEE10hipError_tT0_T1_T2_jT3_P12ihipStream_tbPNSt15iterator_traitsISE_E10value_typeEPNSK_ISF_E10value_typeEPSG_NS1_7vsmem_tEENKUlT_SE_SF_SG_E_clIS8_S8_S9_S9_EESD_ST_SE_SF_SG_EUlST_E_NS1_11comp_targetILNS1_3genE9ELNS1_11target_archE1100ELNS1_3gpuE3ELNS1_3repE0EEENS1_48merge_mergepath_partition_config_static_selectorELNS0_4arch9wavefront6targetE1EEEvSF_,@function
_ZN7rocprim17ROCPRIM_400000_NS6detail17trampoline_kernelINS0_14default_configENS1_38merge_sort_block_merge_config_selectorIsNS0_10empty_typeEEEZZNS1_27merge_sort_block_merge_implIS3_PsPS5_jNS1_19radix_merge_compareILb0ELb0EsNS0_19identity_decomposerEEEEE10hipError_tT0_T1_T2_jT3_P12ihipStream_tbPNSt15iterator_traitsISE_E10value_typeEPNSK_ISF_E10value_typeEPSG_NS1_7vsmem_tEENKUlT_SE_SF_SG_E_clIS8_S8_S9_S9_EESD_ST_SE_SF_SG_EUlST_E_NS1_11comp_targetILNS1_3genE9ELNS1_11target_archE1100ELNS1_3gpuE3ELNS1_3repE0EEENS1_48merge_mergepath_partition_config_static_selectorELNS0_4arch9wavefront6targetE1EEEvSF_: ; @_ZN7rocprim17ROCPRIM_400000_NS6detail17trampoline_kernelINS0_14default_configENS1_38merge_sort_block_merge_config_selectorIsNS0_10empty_typeEEEZZNS1_27merge_sort_block_merge_implIS3_PsPS5_jNS1_19radix_merge_compareILb0ELb0EsNS0_19identity_decomposerEEEEE10hipError_tT0_T1_T2_jT3_P12ihipStream_tbPNSt15iterator_traitsISE_E10value_typeEPNSK_ISF_E10value_typeEPSG_NS1_7vsmem_tEENKUlT_SE_SF_SG_E_clIS8_S8_S9_S9_EESD_ST_SE_SF_SG_EUlST_E_NS1_11comp_targetILNS1_3genE9ELNS1_11target_archE1100ELNS1_3gpuE3ELNS1_3repE0EEENS1_48merge_mergepath_partition_config_static_selectorELNS0_4arch9wavefront6targetE1EEEvSF_
; %bb.0:
	.section	.rodata,"a",@progbits
	.p2align	6, 0x0
	.amdhsa_kernel _ZN7rocprim17ROCPRIM_400000_NS6detail17trampoline_kernelINS0_14default_configENS1_38merge_sort_block_merge_config_selectorIsNS0_10empty_typeEEEZZNS1_27merge_sort_block_merge_implIS3_PsPS5_jNS1_19radix_merge_compareILb0ELb0EsNS0_19identity_decomposerEEEEE10hipError_tT0_T1_T2_jT3_P12ihipStream_tbPNSt15iterator_traitsISE_E10value_typeEPNSK_ISF_E10value_typeEPSG_NS1_7vsmem_tEENKUlT_SE_SF_SG_E_clIS8_S8_S9_S9_EESD_ST_SE_SF_SG_EUlST_E_NS1_11comp_targetILNS1_3genE9ELNS1_11target_archE1100ELNS1_3gpuE3ELNS1_3repE0EEENS1_48merge_mergepath_partition_config_static_selectorELNS0_4arch9wavefront6targetE1EEEvSF_
		.amdhsa_group_segment_fixed_size 0
		.amdhsa_private_segment_fixed_size 0
		.amdhsa_kernarg_size 40
		.amdhsa_user_sgpr_count 6
		.amdhsa_user_sgpr_private_segment_buffer 1
		.amdhsa_user_sgpr_dispatch_ptr 0
		.amdhsa_user_sgpr_queue_ptr 0
		.amdhsa_user_sgpr_kernarg_segment_ptr 1
		.amdhsa_user_sgpr_dispatch_id 0
		.amdhsa_user_sgpr_flat_scratch_init 0
		.amdhsa_user_sgpr_kernarg_preload_length 0
		.amdhsa_user_sgpr_kernarg_preload_offset 0
		.amdhsa_user_sgpr_private_segment_size 0
		.amdhsa_uses_dynamic_stack 0
		.amdhsa_system_sgpr_private_segment_wavefront_offset 0
		.amdhsa_system_sgpr_workgroup_id_x 1
		.amdhsa_system_sgpr_workgroup_id_y 0
		.amdhsa_system_sgpr_workgroup_id_z 0
		.amdhsa_system_sgpr_workgroup_info 0
		.amdhsa_system_vgpr_workitem_id 0
		.amdhsa_next_free_vgpr 1
		.amdhsa_next_free_sgpr 0
		.amdhsa_accum_offset 4
		.amdhsa_reserve_vcc 0
		.amdhsa_reserve_flat_scratch 0
		.amdhsa_float_round_mode_32 0
		.amdhsa_float_round_mode_16_64 0
		.amdhsa_float_denorm_mode_32 3
		.amdhsa_float_denorm_mode_16_64 3
		.amdhsa_dx10_clamp 1
		.amdhsa_ieee_mode 1
		.amdhsa_fp16_overflow 0
		.amdhsa_tg_split 0
		.amdhsa_exception_fp_ieee_invalid_op 0
		.amdhsa_exception_fp_denorm_src 0
		.amdhsa_exception_fp_ieee_div_zero 0
		.amdhsa_exception_fp_ieee_overflow 0
		.amdhsa_exception_fp_ieee_underflow 0
		.amdhsa_exception_fp_ieee_inexact 0
		.amdhsa_exception_int_div_zero 0
	.end_amdhsa_kernel
	.section	.text._ZN7rocprim17ROCPRIM_400000_NS6detail17trampoline_kernelINS0_14default_configENS1_38merge_sort_block_merge_config_selectorIsNS0_10empty_typeEEEZZNS1_27merge_sort_block_merge_implIS3_PsPS5_jNS1_19radix_merge_compareILb0ELb0EsNS0_19identity_decomposerEEEEE10hipError_tT0_T1_T2_jT3_P12ihipStream_tbPNSt15iterator_traitsISE_E10value_typeEPNSK_ISF_E10value_typeEPSG_NS1_7vsmem_tEENKUlT_SE_SF_SG_E_clIS8_S8_S9_S9_EESD_ST_SE_SF_SG_EUlST_E_NS1_11comp_targetILNS1_3genE9ELNS1_11target_archE1100ELNS1_3gpuE3ELNS1_3repE0EEENS1_48merge_mergepath_partition_config_static_selectorELNS0_4arch9wavefront6targetE1EEEvSF_,"axG",@progbits,_ZN7rocprim17ROCPRIM_400000_NS6detail17trampoline_kernelINS0_14default_configENS1_38merge_sort_block_merge_config_selectorIsNS0_10empty_typeEEEZZNS1_27merge_sort_block_merge_implIS3_PsPS5_jNS1_19radix_merge_compareILb0ELb0EsNS0_19identity_decomposerEEEEE10hipError_tT0_T1_T2_jT3_P12ihipStream_tbPNSt15iterator_traitsISE_E10value_typeEPNSK_ISF_E10value_typeEPSG_NS1_7vsmem_tEENKUlT_SE_SF_SG_E_clIS8_S8_S9_S9_EESD_ST_SE_SF_SG_EUlST_E_NS1_11comp_targetILNS1_3genE9ELNS1_11target_archE1100ELNS1_3gpuE3ELNS1_3repE0EEENS1_48merge_mergepath_partition_config_static_selectorELNS0_4arch9wavefront6targetE1EEEvSF_,comdat
.Lfunc_end362:
	.size	_ZN7rocprim17ROCPRIM_400000_NS6detail17trampoline_kernelINS0_14default_configENS1_38merge_sort_block_merge_config_selectorIsNS0_10empty_typeEEEZZNS1_27merge_sort_block_merge_implIS3_PsPS5_jNS1_19radix_merge_compareILb0ELb0EsNS0_19identity_decomposerEEEEE10hipError_tT0_T1_T2_jT3_P12ihipStream_tbPNSt15iterator_traitsISE_E10value_typeEPNSK_ISF_E10value_typeEPSG_NS1_7vsmem_tEENKUlT_SE_SF_SG_E_clIS8_S8_S9_S9_EESD_ST_SE_SF_SG_EUlST_E_NS1_11comp_targetILNS1_3genE9ELNS1_11target_archE1100ELNS1_3gpuE3ELNS1_3repE0EEENS1_48merge_mergepath_partition_config_static_selectorELNS0_4arch9wavefront6targetE1EEEvSF_, .Lfunc_end362-_ZN7rocprim17ROCPRIM_400000_NS6detail17trampoline_kernelINS0_14default_configENS1_38merge_sort_block_merge_config_selectorIsNS0_10empty_typeEEEZZNS1_27merge_sort_block_merge_implIS3_PsPS5_jNS1_19radix_merge_compareILb0ELb0EsNS0_19identity_decomposerEEEEE10hipError_tT0_T1_T2_jT3_P12ihipStream_tbPNSt15iterator_traitsISE_E10value_typeEPNSK_ISF_E10value_typeEPSG_NS1_7vsmem_tEENKUlT_SE_SF_SG_E_clIS8_S8_S9_S9_EESD_ST_SE_SF_SG_EUlST_E_NS1_11comp_targetILNS1_3genE9ELNS1_11target_archE1100ELNS1_3gpuE3ELNS1_3repE0EEENS1_48merge_mergepath_partition_config_static_selectorELNS0_4arch9wavefront6targetE1EEEvSF_
                                        ; -- End function
	.section	.AMDGPU.csdata,"",@progbits
; Kernel info:
; codeLenInByte = 0
; NumSgprs: 4
; NumVgprs: 0
; NumAgprs: 0
; TotalNumVgprs: 0
; ScratchSize: 0
; MemoryBound: 0
; FloatMode: 240
; IeeeMode: 1
; LDSByteSize: 0 bytes/workgroup (compile time only)
; SGPRBlocks: 0
; VGPRBlocks: 0
; NumSGPRsForWavesPerEU: 4
; NumVGPRsForWavesPerEU: 1
; AccumOffset: 4
; Occupancy: 8
; WaveLimiterHint : 0
; COMPUTE_PGM_RSRC2:SCRATCH_EN: 0
; COMPUTE_PGM_RSRC2:USER_SGPR: 6
; COMPUTE_PGM_RSRC2:TRAP_HANDLER: 0
; COMPUTE_PGM_RSRC2:TGID_X_EN: 1
; COMPUTE_PGM_RSRC2:TGID_Y_EN: 0
; COMPUTE_PGM_RSRC2:TGID_Z_EN: 0
; COMPUTE_PGM_RSRC2:TIDIG_COMP_CNT: 0
; COMPUTE_PGM_RSRC3_GFX90A:ACCUM_OFFSET: 0
; COMPUTE_PGM_RSRC3_GFX90A:TG_SPLIT: 0
	.section	.text._ZN7rocprim17ROCPRIM_400000_NS6detail17trampoline_kernelINS0_14default_configENS1_38merge_sort_block_merge_config_selectorIsNS0_10empty_typeEEEZZNS1_27merge_sort_block_merge_implIS3_PsPS5_jNS1_19radix_merge_compareILb0ELb0EsNS0_19identity_decomposerEEEEE10hipError_tT0_T1_T2_jT3_P12ihipStream_tbPNSt15iterator_traitsISE_E10value_typeEPNSK_ISF_E10value_typeEPSG_NS1_7vsmem_tEENKUlT_SE_SF_SG_E_clIS8_S8_S9_S9_EESD_ST_SE_SF_SG_EUlST_E_NS1_11comp_targetILNS1_3genE8ELNS1_11target_archE1030ELNS1_3gpuE2ELNS1_3repE0EEENS1_48merge_mergepath_partition_config_static_selectorELNS0_4arch9wavefront6targetE1EEEvSF_,"axG",@progbits,_ZN7rocprim17ROCPRIM_400000_NS6detail17trampoline_kernelINS0_14default_configENS1_38merge_sort_block_merge_config_selectorIsNS0_10empty_typeEEEZZNS1_27merge_sort_block_merge_implIS3_PsPS5_jNS1_19radix_merge_compareILb0ELb0EsNS0_19identity_decomposerEEEEE10hipError_tT0_T1_T2_jT3_P12ihipStream_tbPNSt15iterator_traitsISE_E10value_typeEPNSK_ISF_E10value_typeEPSG_NS1_7vsmem_tEENKUlT_SE_SF_SG_E_clIS8_S8_S9_S9_EESD_ST_SE_SF_SG_EUlST_E_NS1_11comp_targetILNS1_3genE8ELNS1_11target_archE1030ELNS1_3gpuE2ELNS1_3repE0EEENS1_48merge_mergepath_partition_config_static_selectorELNS0_4arch9wavefront6targetE1EEEvSF_,comdat
	.protected	_ZN7rocprim17ROCPRIM_400000_NS6detail17trampoline_kernelINS0_14default_configENS1_38merge_sort_block_merge_config_selectorIsNS0_10empty_typeEEEZZNS1_27merge_sort_block_merge_implIS3_PsPS5_jNS1_19radix_merge_compareILb0ELb0EsNS0_19identity_decomposerEEEEE10hipError_tT0_T1_T2_jT3_P12ihipStream_tbPNSt15iterator_traitsISE_E10value_typeEPNSK_ISF_E10value_typeEPSG_NS1_7vsmem_tEENKUlT_SE_SF_SG_E_clIS8_S8_S9_S9_EESD_ST_SE_SF_SG_EUlST_E_NS1_11comp_targetILNS1_3genE8ELNS1_11target_archE1030ELNS1_3gpuE2ELNS1_3repE0EEENS1_48merge_mergepath_partition_config_static_selectorELNS0_4arch9wavefront6targetE1EEEvSF_ ; -- Begin function _ZN7rocprim17ROCPRIM_400000_NS6detail17trampoline_kernelINS0_14default_configENS1_38merge_sort_block_merge_config_selectorIsNS0_10empty_typeEEEZZNS1_27merge_sort_block_merge_implIS3_PsPS5_jNS1_19radix_merge_compareILb0ELb0EsNS0_19identity_decomposerEEEEE10hipError_tT0_T1_T2_jT3_P12ihipStream_tbPNSt15iterator_traitsISE_E10value_typeEPNSK_ISF_E10value_typeEPSG_NS1_7vsmem_tEENKUlT_SE_SF_SG_E_clIS8_S8_S9_S9_EESD_ST_SE_SF_SG_EUlST_E_NS1_11comp_targetILNS1_3genE8ELNS1_11target_archE1030ELNS1_3gpuE2ELNS1_3repE0EEENS1_48merge_mergepath_partition_config_static_selectorELNS0_4arch9wavefront6targetE1EEEvSF_
	.globl	_ZN7rocprim17ROCPRIM_400000_NS6detail17trampoline_kernelINS0_14default_configENS1_38merge_sort_block_merge_config_selectorIsNS0_10empty_typeEEEZZNS1_27merge_sort_block_merge_implIS3_PsPS5_jNS1_19radix_merge_compareILb0ELb0EsNS0_19identity_decomposerEEEEE10hipError_tT0_T1_T2_jT3_P12ihipStream_tbPNSt15iterator_traitsISE_E10value_typeEPNSK_ISF_E10value_typeEPSG_NS1_7vsmem_tEENKUlT_SE_SF_SG_E_clIS8_S8_S9_S9_EESD_ST_SE_SF_SG_EUlST_E_NS1_11comp_targetILNS1_3genE8ELNS1_11target_archE1030ELNS1_3gpuE2ELNS1_3repE0EEENS1_48merge_mergepath_partition_config_static_selectorELNS0_4arch9wavefront6targetE1EEEvSF_
	.p2align	8
	.type	_ZN7rocprim17ROCPRIM_400000_NS6detail17trampoline_kernelINS0_14default_configENS1_38merge_sort_block_merge_config_selectorIsNS0_10empty_typeEEEZZNS1_27merge_sort_block_merge_implIS3_PsPS5_jNS1_19radix_merge_compareILb0ELb0EsNS0_19identity_decomposerEEEEE10hipError_tT0_T1_T2_jT3_P12ihipStream_tbPNSt15iterator_traitsISE_E10value_typeEPNSK_ISF_E10value_typeEPSG_NS1_7vsmem_tEENKUlT_SE_SF_SG_E_clIS8_S8_S9_S9_EESD_ST_SE_SF_SG_EUlST_E_NS1_11comp_targetILNS1_3genE8ELNS1_11target_archE1030ELNS1_3gpuE2ELNS1_3repE0EEENS1_48merge_mergepath_partition_config_static_selectorELNS0_4arch9wavefront6targetE1EEEvSF_,@function
_ZN7rocprim17ROCPRIM_400000_NS6detail17trampoline_kernelINS0_14default_configENS1_38merge_sort_block_merge_config_selectorIsNS0_10empty_typeEEEZZNS1_27merge_sort_block_merge_implIS3_PsPS5_jNS1_19radix_merge_compareILb0ELb0EsNS0_19identity_decomposerEEEEE10hipError_tT0_T1_T2_jT3_P12ihipStream_tbPNSt15iterator_traitsISE_E10value_typeEPNSK_ISF_E10value_typeEPSG_NS1_7vsmem_tEENKUlT_SE_SF_SG_E_clIS8_S8_S9_S9_EESD_ST_SE_SF_SG_EUlST_E_NS1_11comp_targetILNS1_3genE8ELNS1_11target_archE1030ELNS1_3gpuE2ELNS1_3repE0EEENS1_48merge_mergepath_partition_config_static_selectorELNS0_4arch9wavefront6targetE1EEEvSF_: ; @_ZN7rocprim17ROCPRIM_400000_NS6detail17trampoline_kernelINS0_14default_configENS1_38merge_sort_block_merge_config_selectorIsNS0_10empty_typeEEEZZNS1_27merge_sort_block_merge_implIS3_PsPS5_jNS1_19radix_merge_compareILb0ELb0EsNS0_19identity_decomposerEEEEE10hipError_tT0_T1_T2_jT3_P12ihipStream_tbPNSt15iterator_traitsISE_E10value_typeEPNSK_ISF_E10value_typeEPSG_NS1_7vsmem_tEENKUlT_SE_SF_SG_E_clIS8_S8_S9_S9_EESD_ST_SE_SF_SG_EUlST_E_NS1_11comp_targetILNS1_3genE8ELNS1_11target_archE1030ELNS1_3gpuE2ELNS1_3repE0EEENS1_48merge_mergepath_partition_config_static_selectorELNS0_4arch9wavefront6targetE1EEEvSF_
; %bb.0:
	.section	.rodata,"a",@progbits
	.p2align	6, 0x0
	.amdhsa_kernel _ZN7rocprim17ROCPRIM_400000_NS6detail17trampoline_kernelINS0_14default_configENS1_38merge_sort_block_merge_config_selectorIsNS0_10empty_typeEEEZZNS1_27merge_sort_block_merge_implIS3_PsPS5_jNS1_19radix_merge_compareILb0ELb0EsNS0_19identity_decomposerEEEEE10hipError_tT0_T1_T2_jT3_P12ihipStream_tbPNSt15iterator_traitsISE_E10value_typeEPNSK_ISF_E10value_typeEPSG_NS1_7vsmem_tEENKUlT_SE_SF_SG_E_clIS8_S8_S9_S9_EESD_ST_SE_SF_SG_EUlST_E_NS1_11comp_targetILNS1_3genE8ELNS1_11target_archE1030ELNS1_3gpuE2ELNS1_3repE0EEENS1_48merge_mergepath_partition_config_static_selectorELNS0_4arch9wavefront6targetE1EEEvSF_
		.amdhsa_group_segment_fixed_size 0
		.amdhsa_private_segment_fixed_size 0
		.amdhsa_kernarg_size 40
		.amdhsa_user_sgpr_count 6
		.amdhsa_user_sgpr_private_segment_buffer 1
		.amdhsa_user_sgpr_dispatch_ptr 0
		.amdhsa_user_sgpr_queue_ptr 0
		.amdhsa_user_sgpr_kernarg_segment_ptr 1
		.amdhsa_user_sgpr_dispatch_id 0
		.amdhsa_user_sgpr_flat_scratch_init 0
		.amdhsa_user_sgpr_kernarg_preload_length 0
		.amdhsa_user_sgpr_kernarg_preload_offset 0
		.amdhsa_user_sgpr_private_segment_size 0
		.amdhsa_uses_dynamic_stack 0
		.amdhsa_system_sgpr_private_segment_wavefront_offset 0
		.amdhsa_system_sgpr_workgroup_id_x 1
		.amdhsa_system_sgpr_workgroup_id_y 0
		.amdhsa_system_sgpr_workgroup_id_z 0
		.amdhsa_system_sgpr_workgroup_info 0
		.amdhsa_system_vgpr_workitem_id 0
		.amdhsa_next_free_vgpr 1
		.amdhsa_next_free_sgpr 0
		.amdhsa_accum_offset 4
		.amdhsa_reserve_vcc 0
		.amdhsa_reserve_flat_scratch 0
		.amdhsa_float_round_mode_32 0
		.amdhsa_float_round_mode_16_64 0
		.amdhsa_float_denorm_mode_32 3
		.amdhsa_float_denorm_mode_16_64 3
		.amdhsa_dx10_clamp 1
		.amdhsa_ieee_mode 1
		.amdhsa_fp16_overflow 0
		.amdhsa_tg_split 0
		.amdhsa_exception_fp_ieee_invalid_op 0
		.amdhsa_exception_fp_denorm_src 0
		.amdhsa_exception_fp_ieee_div_zero 0
		.amdhsa_exception_fp_ieee_overflow 0
		.amdhsa_exception_fp_ieee_underflow 0
		.amdhsa_exception_fp_ieee_inexact 0
		.amdhsa_exception_int_div_zero 0
	.end_amdhsa_kernel
	.section	.text._ZN7rocprim17ROCPRIM_400000_NS6detail17trampoline_kernelINS0_14default_configENS1_38merge_sort_block_merge_config_selectorIsNS0_10empty_typeEEEZZNS1_27merge_sort_block_merge_implIS3_PsPS5_jNS1_19radix_merge_compareILb0ELb0EsNS0_19identity_decomposerEEEEE10hipError_tT0_T1_T2_jT3_P12ihipStream_tbPNSt15iterator_traitsISE_E10value_typeEPNSK_ISF_E10value_typeEPSG_NS1_7vsmem_tEENKUlT_SE_SF_SG_E_clIS8_S8_S9_S9_EESD_ST_SE_SF_SG_EUlST_E_NS1_11comp_targetILNS1_3genE8ELNS1_11target_archE1030ELNS1_3gpuE2ELNS1_3repE0EEENS1_48merge_mergepath_partition_config_static_selectorELNS0_4arch9wavefront6targetE1EEEvSF_,"axG",@progbits,_ZN7rocprim17ROCPRIM_400000_NS6detail17trampoline_kernelINS0_14default_configENS1_38merge_sort_block_merge_config_selectorIsNS0_10empty_typeEEEZZNS1_27merge_sort_block_merge_implIS3_PsPS5_jNS1_19radix_merge_compareILb0ELb0EsNS0_19identity_decomposerEEEEE10hipError_tT0_T1_T2_jT3_P12ihipStream_tbPNSt15iterator_traitsISE_E10value_typeEPNSK_ISF_E10value_typeEPSG_NS1_7vsmem_tEENKUlT_SE_SF_SG_E_clIS8_S8_S9_S9_EESD_ST_SE_SF_SG_EUlST_E_NS1_11comp_targetILNS1_3genE8ELNS1_11target_archE1030ELNS1_3gpuE2ELNS1_3repE0EEENS1_48merge_mergepath_partition_config_static_selectorELNS0_4arch9wavefront6targetE1EEEvSF_,comdat
.Lfunc_end363:
	.size	_ZN7rocprim17ROCPRIM_400000_NS6detail17trampoline_kernelINS0_14default_configENS1_38merge_sort_block_merge_config_selectorIsNS0_10empty_typeEEEZZNS1_27merge_sort_block_merge_implIS3_PsPS5_jNS1_19radix_merge_compareILb0ELb0EsNS0_19identity_decomposerEEEEE10hipError_tT0_T1_T2_jT3_P12ihipStream_tbPNSt15iterator_traitsISE_E10value_typeEPNSK_ISF_E10value_typeEPSG_NS1_7vsmem_tEENKUlT_SE_SF_SG_E_clIS8_S8_S9_S9_EESD_ST_SE_SF_SG_EUlST_E_NS1_11comp_targetILNS1_3genE8ELNS1_11target_archE1030ELNS1_3gpuE2ELNS1_3repE0EEENS1_48merge_mergepath_partition_config_static_selectorELNS0_4arch9wavefront6targetE1EEEvSF_, .Lfunc_end363-_ZN7rocprim17ROCPRIM_400000_NS6detail17trampoline_kernelINS0_14default_configENS1_38merge_sort_block_merge_config_selectorIsNS0_10empty_typeEEEZZNS1_27merge_sort_block_merge_implIS3_PsPS5_jNS1_19radix_merge_compareILb0ELb0EsNS0_19identity_decomposerEEEEE10hipError_tT0_T1_T2_jT3_P12ihipStream_tbPNSt15iterator_traitsISE_E10value_typeEPNSK_ISF_E10value_typeEPSG_NS1_7vsmem_tEENKUlT_SE_SF_SG_E_clIS8_S8_S9_S9_EESD_ST_SE_SF_SG_EUlST_E_NS1_11comp_targetILNS1_3genE8ELNS1_11target_archE1030ELNS1_3gpuE2ELNS1_3repE0EEENS1_48merge_mergepath_partition_config_static_selectorELNS0_4arch9wavefront6targetE1EEEvSF_
                                        ; -- End function
	.section	.AMDGPU.csdata,"",@progbits
; Kernel info:
; codeLenInByte = 0
; NumSgprs: 4
; NumVgprs: 0
; NumAgprs: 0
; TotalNumVgprs: 0
; ScratchSize: 0
; MemoryBound: 0
; FloatMode: 240
; IeeeMode: 1
; LDSByteSize: 0 bytes/workgroup (compile time only)
; SGPRBlocks: 0
; VGPRBlocks: 0
; NumSGPRsForWavesPerEU: 4
; NumVGPRsForWavesPerEU: 1
; AccumOffset: 4
; Occupancy: 8
; WaveLimiterHint : 0
; COMPUTE_PGM_RSRC2:SCRATCH_EN: 0
; COMPUTE_PGM_RSRC2:USER_SGPR: 6
; COMPUTE_PGM_RSRC2:TRAP_HANDLER: 0
; COMPUTE_PGM_RSRC2:TGID_X_EN: 1
; COMPUTE_PGM_RSRC2:TGID_Y_EN: 0
; COMPUTE_PGM_RSRC2:TGID_Z_EN: 0
; COMPUTE_PGM_RSRC2:TIDIG_COMP_CNT: 0
; COMPUTE_PGM_RSRC3_GFX90A:ACCUM_OFFSET: 0
; COMPUTE_PGM_RSRC3_GFX90A:TG_SPLIT: 0
	.section	.text._ZN7rocprim17ROCPRIM_400000_NS6detail17trampoline_kernelINS0_14default_configENS1_38merge_sort_block_merge_config_selectorIsNS0_10empty_typeEEEZZNS1_27merge_sort_block_merge_implIS3_PsPS5_jNS1_19radix_merge_compareILb0ELb0EsNS0_19identity_decomposerEEEEE10hipError_tT0_T1_T2_jT3_P12ihipStream_tbPNSt15iterator_traitsISE_E10value_typeEPNSK_ISF_E10value_typeEPSG_NS1_7vsmem_tEENKUlT_SE_SF_SG_E_clIS8_S8_S9_S9_EESD_ST_SE_SF_SG_EUlST_E0_NS1_11comp_targetILNS1_3genE0ELNS1_11target_archE4294967295ELNS1_3gpuE0ELNS1_3repE0EEENS1_38merge_mergepath_config_static_selectorELNS0_4arch9wavefront6targetE1EEEvSF_,"axG",@progbits,_ZN7rocprim17ROCPRIM_400000_NS6detail17trampoline_kernelINS0_14default_configENS1_38merge_sort_block_merge_config_selectorIsNS0_10empty_typeEEEZZNS1_27merge_sort_block_merge_implIS3_PsPS5_jNS1_19radix_merge_compareILb0ELb0EsNS0_19identity_decomposerEEEEE10hipError_tT0_T1_T2_jT3_P12ihipStream_tbPNSt15iterator_traitsISE_E10value_typeEPNSK_ISF_E10value_typeEPSG_NS1_7vsmem_tEENKUlT_SE_SF_SG_E_clIS8_S8_S9_S9_EESD_ST_SE_SF_SG_EUlST_E0_NS1_11comp_targetILNS1_3genE0ELNS1_11target_archE4294967295ELNS1_3gpuE0ELNS1_3repE0EEENS1_38merge_mergepath_config_static_selectorELNS0_4arch9wavefront6targetE1EEEvSF_,comdat
	.protected	_ZN7rocprim17ROCPRIM_400000_NS6detail17trampoline_kernelINS0_14default_configENS1_38merge_sort_block_merge_config_selectorIsNS0_10empty_typeEEEZZNS1_27merge_sort_block_merge_implIS3_PsPS5_jNS1_19radix_merge_compareILb0ELb0EsNS0_19identity_decomposerEEEEE10hipError_tT0_T1_T2_jT3_P12ihipStream_tbPNSt15iterator_traitsISE_E10value_typeEPNSK_ISF_E10value_typeEPSG_NS1_7vsmem_tEENKUlT_SE_SF_SG_E_clIS8_S8_S9_S9_EESD_ST_SE_SF_SG_EUlST_E0_NS1_11comp_targetILNS1_3genE0ELNS1_11target_archE4294967295ELNS1_3gpuE0ELNS1_3repE0EEENS1_38merge_mergepath_config_static_selectorELNS0_4arch9wavefront6targetE1EEEvSF_ ; -- Begin function _ZN7rocprim17ROCPRIM_400000_NS6detail17trampoline_kernelINS0_14default_configENS1_38merge_sort_block_merge_config_selectorIsNS0_10empty_typeEEEZZNS1_27merge_sort_block_merge_implIS3_PsPS5_jNS1_19radix_merge_compareILb0ELb0EsNS0_19identity_decomposerEEEEE10hipError_tT0_T1_T2_jT3_P12ihipStream_tbPNSt15iterator_traitsISE_E10value_typeEPNSK_ISF_E10value_typeEPSG_NS1_7vsmem_tEENKUlT_SE_SF_SG_E_clIS8_S8_S9_S9_EESD_ST_SE_SF_SG_EUlST_E0_NS1_11comp_targetILNS1_3genE0ELNS1_11target_archE4294967295ELNS1_3gpuE0ELNS1_3repE0EEENS1_38merge_mergepath_config_static_selectorELNS0_4arch9wavefront6targetE1EEEvSF_
	.globl	_ZN7rocprim17ROCPRIM_400000_NS6detail17trampoline_kernelINS0_14default_configENS1_38merge_sort_block_merge_config_selectorIsNS0_10empty_typeEEEZZNS1_27merge_sort_block_merge_implIS3_PsPS5_jNS1_19radix_merge_compareILb0ELb0EsNS0_19identity_decomposerEEEEE10hipError_tT0_T1_T2_jT3_P12ihipStream_tbPNSt15iterator_traitsISE_E10value_typeEPNSK_ISF_E10value_typeEPSG_NS1_7vsmem_tEENKUlT_SE_SF_SG_E_clIS8_S8_S9_S9_EESD_ST_SE_SF_SG_EUlST_E0_NS1_11comp_targetILNS1_3genE0ELNS1_11target_archE4294967295ELNS1_3gpuE0ELNS1_3repE0EEENS1_38merge_mergepath_config_static_selectorELNS0_4arch9wavefront6targetE1EEEvSF_
	.p2align	8
	.type	_ZN7rocprim17ROCPRIM_400000_NS6detail17trampoline_kernelINS0_14default_configENS1_38merge_sort_block_merge_config_selectorIsNS0_10empty_typeEEEZZNS1_27merge_sort_block_merge_implIS3_PsPS5_jNS1_19radix_merge_compareILb0ELb0EsNS0_19identity_decomposerEEEEE10hipError_tT0_T1_T2_jT3_P12ihipStream_tbPNSt15iterator_traitsISE_E10value_typeEPNSK_ISF_E10value_typeEPSG_NS1_7vsmem_tEENKUlT_SE_SF_SG_E_clIS8_S8_S9_S9_EESD_ST_SE_SF_SG_EUlST_E0_NS1_11comp_targetILNS1_3genE0ELNS1_11target_archE4294967295ELNS1_3gpuE0ELNS1_3repE0EEENS1_38merge_mergepath_config_static_selectorELNS0_4arch9wavefront6targetE1EEEvSF_,@function
_ZN7rocprim17ROCPRIM_400000_NS6detail17trampoline_kernelINS0_14default_configENS1_38merge_sort_block_merge_config_selectorIsNS0_10empty_typeEEEZZNS1_27merge_sort_block_merge_implIS3_PsPS5_jNS1_19radix_merge_compareILb0ELb0EsNS0_19identity_decomposerEEEEE10hipError_tT0_T1_T2_jT3_P12ihipStream_tbPNSt15iterator_traitsISE_E10value_typeEPNSK_ISF_E10value_typeEPSG_NS1_7vsmem_tEENKUlT_SE_SF_SG_E_clIS8_S8_S9_S9_EESD_ST_SE_SF_SG_EUlST_E0_NS1_11comp_targetILNS1_3genE0ELNS1_11target_archE4294967295ELNS1_3gpuE0ELNS1_3repE0EEENS1_38merge_mergepath_config_static_selectorELNS0_4arch9wavefront6targetE1EEEvSF_: ; @_ZN7rocprim17ROCPRIM_400000_NS6detail17trampoline_kernelINS0_14default_configENS1_38merge_sort_block_merge_config_selectorIsNS0_10empty_typeEEEZZNS1_27merge_sort_block_merge_implIS3_PsPS5_jNS1_19radix_merge_compareILb0ELb0EsNS0_19identity_decomposerEEEEE10hipError_tT0_T1_T2_jT3_P12ihipStream_tbPNSt15iterator_traitsISE_E10value_typeEPNSK_ISF_E10value_typeEPSG_NS1_7vsmem_tEENKUlT_SE_SF_SG_E_clIS8_S8_S9_S9_EESD_ST_SE_SF_SG_EUlST_E0_NS1_11comp_targetILNS1_3genE0ELNS1_11target_archE4294967295ELNS1_3gpuE0ELNS1_3repE0EEENS1_38merge_mergepath_config_static_selectorELNS0_4arch9wavefront6targetE1EEEvSF_
; %bb.0:
	.section	.rodata,"a",@progbits
	.p2align	6, 0x0
	.amdhsa_kernel _ZN7rocprim17ROCPRIM_400000_NS6detail17trampoline_kernelINS0_14default_configENS1_38merge_sort_block_merge_config_selectorIsNS0_10empty_typeEEEZZNS1_27merge_sort_block_merge_implIS3_PsPS5_jNS1_19radix_merge_compareILb0ELb0EsNS0_19identity_decomposerEEEEE10hipError_tT0_T1_T2_jT3_P12ihipStream_tbPNSt15iterator_traitsISE_E10value_typeEPNSK_ISF_E10value_typeEPSG_NS1_7vsmem_tEENKUlT_SE_SF_SG_E_clIS8_S8_S9_S9_EESD_ST_SE_SF_SG_EUlST_E0_NS1_11comp_targetILNS1_3genE0ELNS1_11target_archE4294967295ELNS1_3gpuE0ELNS1_3repE0EEENS1_38merge_mergepath_config_static_selectorELNS0_4arch9wavefront6targetE1EEEvSF_
		.amdhsa_group_segment_fixed_size 0
		.amdhsa_private_segment_fixed_size 0
		.amdhsa_kernarg_size 64
		.amdhsa_user_sgpr_count 6
		.amdhsa_user_sgpr_private_segment_buffer 1
		.amdhsa_user_sgpr_dispatch_ptr 0
		.amdhsa_user_sgpr_queue_ptr 0
		.amdhsa_user_sgpr_kernarg_segment_ptr 1
		.amdhsa_user_sgpr_dispatch_id 0
		.amdhsa_user_sgpr_flat_scratch_init 0
		.amdhsa_user_sgpr_kernarg_preload_length 0
		.amdhsa_user_sgpr_kernarg_preload_offset 0
		.amdhsa_user_sgpr_private_segment_size 0
		.amdhsa_uses_dynamic_stack 0
		.amdhsa_system_sgpr_private_segment_wavefront_offset 0
		.amdhsa_system_sgpr_workgroup_id_x 1
		.amdhsa_system_sgpr_workgroup_id_y 0
		.amdhsa_system_sgpr_workgroup_id_z 0
		.amdhsa_system_sgpr_workgroup_info 0
		.amdhsa_system_vgpr_workitem_id 0
		.amdhsa_next_free_vgpr 1
		.amdhsa_next_free_sgpr 0
		.amdhsa_accum_offset 4
		.amdhsa_reserve_vcc 0
		.amdhsa_reserve_flat_scratch 0
		.amdhsa_float_round_mode_32 0
		.amdhsa_float_round_mode_16_64 0
		.amdhsa_float_denorm_mode_32 3
		.amdhsa_float_denorm_mode_16_64 3
		.amdhsa_dx10_clamp 1
		.amdhsa_ieee_mode 1
		.amdhsa_fp16_overflow 0
		.amdhsa_tg_split 0
		.amdhsa_exception_fp_ieee_invalid_op 0
		.amdhsa_exception_fp_denorm_src 0
		.amdhsa_exception_fp_ieee_div_zero 0
		.amdhsa_exception_fp_ieee_overflow 0
		.amdhsa_exception_fp_ieee_underflow 0
		.amdhsa_exception_fp_ieee_inexact 0
		.amdhsa_exception_int_div_zero 0
	.end_amdhsa_kernel
	.section	.text._ZN7rocprim17ROCPRIM_400000_NS6detail17trampoline_kernelINS0_14default_configENS1_38merge_sort_block_merge_config_selectorIsNS0_10empty_typeEEEZZNS1_27merge_sort_block_merge_implIS3_PsPS5_jNS1_19radix_merge_compareILb0ELb0EsNS0_19identity_decomposerEEEEE10hipError_tT0_T1_T2_jT3_P12ihipStream_tbPNSt15iterator_traitsISE_E10value_typeEPNSK_ISF_E10value_typeEPSG_NS1_7vsmem_tEENKUlT_SE_SF_SG_E_clIS8_S8_S9_S9_EESD_ST_SE_SF_SG_EUlST_E0_NS1_11comp_targetILNS1_3genE0ELNS1_11target_archE4294967295ELNS1_3gpuE0ELNS1_3repE0EEENS1_38merge_mergepath_config_static_selectorELNS0_4arch9wavefront6targetE1EEEvSF_,"axG",@progbits,_ZN7rocprim17ROCPRIM_400000_NS6detail17trampoline_kernelINS0_14default_configENS1_38merge_sort_block_merge_config_selectorIsNS0_10empty_typeEEEZZNS1_27merge_sort_block_merge_implIS3_PsPS5_jNS1_19radix_merge_compareILb0ELb0EsNS0_19identity_decomposerEEEEE10hipError_tT0_T1_T2_jT3_P12ihipStream_tbPNSt15iterator_traitsISE_E10value_typeEPNSK_ISF_E10value_typeEPSG_NS1_7vsmem_tEENKUlT_SE_SF_SG_E_clIS8_S8_S9_S9_EESD_ST_SE_SF_SG_EUlST_E0_NS1_11comp_targetILNS1_3genE0ELNS1_11target_archE4294967295ELNS1_3gpuE0ELNS1_3repE0EEENS1_38merge_mergepath_config_static_selectorELNS0_4arch9wavefront6targetE1EEEvSF_,comdat
.Lfunc_end364:
	.size	_ZN7rocprim17ROCPRIM_400000_NS6detail17trampoline_kernelINS0_14default_configENS1_38merge_sort_block_merge_config_selectorIsNS0_10empty_typeEEEZZNS1_27merge_sort_block_merge_implIS3_PsPS5_jNS1_19radix_merge_compareILb0ELb0EsNS0_19identity_decomposerEEEEE10hipError_tT0_T1_T2_jT3_P12ihipStream_tbPNSt15iterator_traitsISE_E10value_typeEPNSK_ISF_E10value_typeEPSG_NS1_7vsmem_tEENKUlT_SE_SF_SG_E_clIS8_S8_S9_S9_EESD_ST_SE_SF_SG_EUlST_E0_NS1_11comp_targetILNS1_3genE0ELNS1_11target_archE4294967295ELNS1_3gpuE0ELNS1_3repE0EEENS1_38merge_mergepath_config_static_selectorELNS0_4arch9wavefront6targetE1EEEvSF_, .Lfunc_end364-_ZN7rocprim17ROCPRIM_400000_NS6detail17trampoline_kernelINS0_14default_configENS1_38merge_sort_block_merge_config_selectorIsNS0_10empty_typeEEEZZNS1_27merge_sort_block_merge_implIS3_PsPS5_jNS1_19radix_merge_compareILb0ELb0EsNS0_19identity_decomposerEEEEE10hipError_tT0_T1_T2_jT3_P12ihipStream_tbPNSt15iterator_traitsISE_E10value_typeEPNSK_ISF_E10value_typeEPSG_NS1_7vsmem_tEENKUlT_SE_SF_SG_E_clIS8_S8_S9_S9_EESD_ST_SE_SF_SG_EUlST_E0_NS1_11comp_targetILNS1_3genE0ELNS1_11target_archE4294967295ELNS1_3gpuE0ELNS1_3repE0EEENS1_38merge_mergepath_config_static_selectorELNS0_4arch9wavefront6targetE1EEEvSF_
                                        ; -- End function
	.section	.AMDGPU.csdata,"",@progbits
; Kernel info:
; codeLenInByte = 0
; NumSgprs: 4
; NumVgprs: 0
; NumAgprs: 0
; TotalNumVgprs: 0
; ScratchSize: 0
; MemoryBound: 0
; FloatMode: 240
; IeeeMode: 1
; LDSByteSize: 0 bytes/workgroup (compile time only)
; SGPRBlocks: 0
; VGPRBlocks: 0
; NumSGPRsForWavesPerEU: 4
; NumVGPRsForWavesPerEU: 1
; AccumOffset: 4
; Occupancy: 8
; WaveLimiterHint : 0
; COMPUTE_PGM_RSRC2:SCRATCH_EN: 0
; COMPUTE_PGM_RSRC2:USER_SGPR: 6
; COMPUTE_PGM_RSRC2:TRAP_HANDLER: 0
; COMPUTE_PGM_RSRC2:TGID_X_EN: 1
; COMPUTE_PGM_RSRC2:TGID_Y_EN: 0
; COMPUTE_PGM_RSRC2:TGID_Z_EN: 0
; COMPUTE_PGM_RSRC2:TIDIG_COMP_CNT: 0
; COMPUTE_PGM_RSRC3_GFX90A:ACCUM_OFFSET: 0
; COMPUTE_PGM_RSRC3_GFX90A:TG_SPLIT: 0
	.section	.text._ZN7rocprim17ROCPRIM_400000_NS6detail17trampoline_kernelINS0_14default_configENS1_38merge_sort_block_merge_config_selectorIsNS0_10empty_typeEEEZZNS1_27merge_sort_block_merge_implIS3_PsPS5_jNS1_19radix_merge_compareILb0ELb0EsNS0_19identity_decomposerEEEEE10hipError_tT0_T1_T2_jT3_P12ihipStream_tbPNSt15iterator_traitsISE_E10value_typeEPNSK_ISF_E10value_typeEPSG_NS1_7vsmem_tEENKUlT_SE_SF_SG_E_clIS8_S8_S9_S9_EESD_ST_SE_SF_SG_EUlST_E0_NS1_11comp_targetILNS1_3genE10ELNS1_11target_archE1201ELNS1_3gpuE5ELNS1_3repE0EEENS1_38merge_mergepath_config_static_selectorELNS0_4arch9wavefront6targetE1EEEvSF_,"axG",@progbits,_ZN7rocprim17ROCPRIM_400000_NS6detail17trampoline_kernelINS0_14default_configENS1_38merge_sort_block_merge_config_selectorIsNS0_10empty_typeEEEZZNS1_27merge_sort_block_merge_implIS3_PsPS5_jNS1_19radix_merge_compareILb0ELb0EsNS0_19identity_decomposerEEEEE10hipError_tT0_T1_T2_jT3_P12ihipStream_tbPNSt15iterator_traitsISE_E10value_typeEPNSK_ISF_E10value_typeEPSG_NS1_7vsmem_tEENKUlT_SE_SF_SG_E_clIS8_S8_S9_S9_EESD_ST_SE_SF_SG_EUlST_E0_NS1_11comp_targetILNS1_3genE10ELNS1_11target_archE1201ELNS1_3gpuE5ELNS1_3repE0EEENS1_38merge_mergepath_config_static_selectorELNS0_4arch9wavefront6targetE1EEEvSF_,comdat
	.protected	_ZN7rocprim17ROCPRIM_400000_NS6detail17trampoline_kernelINS0_14default_configENS1_38merge_sort_block_merge_config_selectorIsNS0_10empty_typeEEEZZNS1_27merge_sort_block_merge_implIS3_PsPS5_jNS1_19radix_merge_compareILb0ELb0EsNS0_19identity_decomposerEEEEE10hipError_tT0_T1_T2_jT3_P12ihipStream_tbPNSt15iterator_traitsISE_E10value_typeEPNSK_ISF_E10value_typeEPSG_NS1_7vsmem_tEENKUlT_SE_SF_SG_E_clIS8_S8_S9_S9_EESD_ST_SE_SF_SG_EUlST_E0_NS1_11comp_targetILNS1_3genE10ELNS1_11target_archE1201ELNS1_3gpuE5ELNS1_3repE0EEENS1_38merge_mergepath_config_static_selectorELNS0_4arch9wavefront6targetE1EEEvSF_ ; -- Begin function _ZN7rocprim17ROCPRIM_400000_NS6detail17trampoline_kernelINS0_14default_configENS1_38merge_sort_block_merge_config_selectorIsNS0_10empty_typeEEEZZNS1_27merge_sort_block_merge_implIS3_PsPS5_jNS1_19radix_merge_compareILb0ELb0EsNS0_19identity_decomposerEEEEE10hipError_tT0_T1_T2_jT3_P12ihipStream_tbPNSt15iterator_traitsISE_E10value_typeEPNSK_ISF_E10value_typeEPSG_NS1_7vsmem_tEENKUlT_SE_SF_SG_E_clIS8_S8_S9_S9_EESD_ST_SE_SF_SG_EUlST_E0_NS1_11comp_targetILNS1_3genE10ELNS1_11target_archE1201ELNS1_3gpuE5ELNS1_3repE0EEENS1_38merge_mergepath_config_static_selectorELNS0_4arch9wavefront6targetE1EEEvSF_
	.globl	_ZN7rocprim17ROCPRIM_400000_NS6detail17trampoline_kernelINS0_14default_configENS1_38merge_sort_block_merge_config_selectorIsNS0_10empty_typeEEEZZNS1_27merge_sort_block_merge_implIS3_PsPS5_jNS1_19radix_merge_compareILb0ELb0EsNS0_19identity_decomposerEEEEE10hipError_tT0_T1_T2_jT3_P12ihipStream_tbPNSt15iterator_traitsISE_E10value_typeEPNSK_ISF_E10value_typeEPSG_NS1_7vsmem_tEENKUlT_SE_SF_SG_E_clIS8_S8_S9_S9_EESD_ST_SE_SF_SG_EUlST_E0_NS1_11comp_targetILNS1_3genE10ELNS1_11target_archE1201ELNS1_3gpuE5ELNS1_3repE0EEENS1_38merge_mergepath_config_static_selectorELNS0_4arch9wavefront6targetE1EEEvSF_
	.p2align	8
	.type	_ZN7rocprim17ROCPRIM_400000_NS6detail17trampoline_kernelINS0_14default_configENS1_38merge_sort_block_merge_config_selectorIsNS0_10empty_typeEEEZZNS1_27merge_sort_block_merge_implIS3_PsPS5_jNS1_19radix_merge_compareILb0ELb0EsNS0_19identity_decomposerEEEEE10hipError_tT0_T1_T2_jT3_P12ihipStream_tbPNSt15iterator_traitsISE_E10value_typeEPNSK_ISF_E10value_typeEPSG_NS1_7vsmem_tEENKUlT_SE_SF_SG_E_clIS8_S8_S9_S9_EESD_ST_SE_SF_SG_EUlST_E0_NS1_11comp_targetILNS1_3genE10ELNS1_11target_archE1201ELNS1_3gpuE5ELNS1_3repE0EEENS1_38merge_mergepath_config_static_selectorELNS0_4arch9wavefront6targetE1EEEvSF_,@function
_ZN7rocprim17ROCPRIM_400000_NS6detail17trampoline_kernelINS0_14default_configENS1_38merge_sort_block_merge_config_selectorIsNS0_10empty_typeEEEZZNS1_27merge_sort_block_merge_implIS3_PsPS5_jNS1_19radix_merge_compareILb0ELb0EsNS0_19identity_decomposerEEEEE10hipError_tT0_T1_T2_jT3_P12ihipStream_tbPNSt15iterator_traitsISE_E10value_typeEPNSK_ISF_E10value_typeEPSG_NS1_7vsmem_tEENKUlT_SE_SF_SG_E_clIS8_S8_S9_S9_EESD_ST_SE_SF_SG_EUlST_E0_NS1_11comp_targetILNS1_3genE10ELNS1_11target_archE1201ELNS1_3gpuE5ELNS1_3repE0EEENS1_38merge_mergepath_config_static_selectorELNS0_4arch9wavefront6targetE1EEEvSF_: ; @_ZN7rocprim17ROCPRIM_400000_NS6detail17trampoline_kernelINS0_14default_configENS1_38merge_sort_block_merge_config_selectorIsNS0_10empty_typeEEEZZNS1_27merge_sort_block_merge_implIS3_PsPS5_jNS1_19radix_merge_compareILb0ELb0EsNS0_19identity_decomposerEEEEE10hipError_tT0_T1_T2_jT3_P12ihipStream_tbPNSt15iterator_traitsISE_E10value_typeEPNSK_ISF_E10value_typeEPSG_NS1_7vsmem_tEENKUlT_SE_SF_SG_E_clIS8_S8_S9_S9_EESD_ST_SE_SF_SG_EUlST_E0_NS1_11comp_targetILNS1_3genE10ELNS1_11target_archE1201ELNS1_3gpuE5ELNS1_3repE0EEENS1_38merge_mergepath_config_static_selectorELNS0_4arch9wavefront6targetE1EEEvSF_
; %bb.0:
	.section	.rodata,"a",@progbits
	.p2align	6, 0x0
	.amdhsa_kernel _ZN7rocprim17ROCPRIM_400000_NS6detail17trampoline_kernelINS0_14default_configENS1_38merge_sort_block_merge_config_selectorIsNS0_10empty_typeEEEZZNS1_27merge_sort_block_merge_implIS3_PsPS5_jNS1_19radix_merge_compareILb0ELb0EsNS0_19identity_decomposerEEEEE10hipError_tT0_T1_T2_jT3_P12ihipStream_tbPNSt15iterator_traitsISE_E10value_typeEPNSK_ISF_E10value_typeEPSG_NS1_7vsmem_tEENKUlT_SE_SF_SG_E_clIS8_S8_S9_S9_EESD_ST_SE_SF_SG_EUlST_E0_NS1_11comp_targetILNS1_3genE10ELNS1_11target_archE1201ELNS1_3gpuE5ELNS1_3repE0EEENS1_38merge_mergepath_config_static_selectorELNS0_4arch9wavefront6targetE1EEEvSF_
		.amdhsa_group_segment_fixed_size 0
		.amdhsa_private_segment_fixed_size 0
		.amdhsa_kernarg_size 64
		.amdhsa_user_sgpr_count 6
		.amdhsa_user_sgpr_private_segment_buffer 1
		.amdhsa_user_sgpr_dispatch_ptr 0
		.amdhsa_user_sgpr_queue_ptr 0
		.amdhsa_user_sgpr_kernarg_segment_ptr 1
		.amdhsa_user_sgpr_dispatch_id 0
		.amdhsa_user_sgpr_flat_scratch_init 0
		.amdhsa_user_sgpr_kernarg_preload_length 0
		.amdhsa_user_sgpr_kernarg_preload_offset 0
		.amdhsa_user_sgpr_private_segment_size 0
		.amdhsa_uses_dynamic_stack 0
		.amdhsa_system_sgpr_private_segment_wavefront_offset 0
		.amdhsa_system_sgpr_workgroup_id_x 1
		.amdhsa_system_sgpr_workgroup_id_y 0
		.amdhsa_system_sgpr_workgroup_id_z 0
		.amdhsa_system_sgpr_workgroup_info 0
		.amdhsa_system_vgpr_workitem_id 0
		.amdhsa_next_free_vgpr 1
		.amdhsa_next_free_sgpr 0
		.amdhsa_accum_offset 4
		.amdhsa_reserve_vcc 0
		.amdhsa_reserve_flat_scratch 0
		.amdhsa_float_round_mode_32 0
		.amdhsa_float_round_mode_16_64 0
		.amdhsa_float_denorm_mode_32 3
		.amdhsa_float_denorm_mode_16_64 3
		.amdhsa_dx10_clamp 1
		.amdhsa_ieee_mode 1
		.amdhsa_fp16_overflow 0
		.amdhsa_tg_split 0
		.amdhsa_exception_fp_ieee_invalid_op 0
		.amdhsa_exception_fp_denorm_src 0
		.amdhsa_exception_fp_ieee_div_zero 0
		.amdhsa_exception_fp_ieee_overflow 0
		.amdhsa_exception_fp_ieee_underflow 0
		.amdhsa_exception_fp_ieee_inexact 0
		.amdhsa_exception_int_div_zero 0
	.end_amdhsa_kernel
	.section	.text._ZN7rocprim17ROCPRIM_400000_NS6detail17trampoline_kernelINS0_14default_configENS1_38merge_sort_block_merge_config_selectorIsNS0_10empty_typeEEEZZNS1_27merge_sort_block_merge_implIS3_PsPS5_jNS1_19radix_merge_compareILb0ELb0EsNS0_19identity_decomposerEEEEE10hipError_tT0_T1_T2_jT3_P12ihipStream_tbPNSt15iterator_traitsISE_E10value_typeEPNSK_ISF_E10value_typeEPSG_NS1_7vsmem_tEENKUlT_SE_SF_SG_E_clIS8_S8_S9_S9_EESD_ST_SE_SF_SG_EUlST_E0_NS1_11comp_targetILNS1_3genE10ELNS1_11target_archE1201ELNS1_3gpuE5ELNS1_3repE0EEENS1_38merge_mergepath_config_static_selectorELNS0_4arch9wavefront6targetE1EEEvSF_,"axG",@progbits,_ZN7rocprim17ROCPRIM_400000_NS6detail17trampoline_kernelINS0_14default_configENS1_38merge_sort_block_merge_config_selectorIsNS0_10empty_typeEEEZZNS1_27merge_sort_block_merge_implIS3_PsPS5_jNS1_19radix_merge_compareILb0ELb0EsNS0_19identity_decomposerEEEEE10hipError_tT0_T1_T2_jT3_P12ihipStream_tbPNSt15iterator_traitsISE_E10value_typeEPNSK_ISF_E10value_typeEPSG_NS1_7vsmem_tEENKUlT_SE_SF_SG_E_clIS8_S8_S9_S9_EESD_ST_SE_SF_SG_EUlST_E0_NS1_11comp_targetILNS1_3genE10ELNS1_11target_archE1201ELNS1_3gpuE5ELNS1_3repE0EEENS1_38merge_mergepath_config_static_selectorELNS0_4arch9wavefront6targetE1EEEvSF_,comdat
.Lfunc_end365:
	.size	_ZN7rocprim17ROCPRIM_400000_NS6detail17trampoline_kernelINS0_14default_configENS1_38merge_sort_block_merge_config_selectorIsNS0_10empty_typeEEEZZNS1_27merge_sort_block_merge_implIS3_PsPS5_jNS1_19radix_merge_compareILb0ELb0EsNS0_19identity_decomposerEEEEE10hipError_tT0_T1_T2_jT3_P12ihipStream_tbPNSt15iterator_traitsISE_E10value_typeEPNSK_ISF_E10value_typeEPSG_NS1_7vsmem_tEENKUlT_SE_SF_SG_E_clIS8_S8_S9_S9_EESD_ST_SE_SF_SG_EUlST_E0_NS1_11comp_targetILNS1_3genE10ELNS1_11target_archE1201ELNS1_3gpuE5ELNS1_3repE0EEENS1_38merge_mergepath_config_static_selectorELNS0_4arch9wavefront6targetE1EEEvSF_, .Lfunc_end365-_ZN7rocprim17ROCPRIM_400000_NS6detail17trampoline_kernelINS0_14default_configENS1_38merge_sort_block_merge_config_selectorIsNS0_10empty_typeEEEZZNS1_27merge_sort_block_merge_implIS3_PsPS5_jNS1_19radix_merge_compareILb0ELb0EsNS0_19identity_decomposerEEEEE10hipError_tT0_T1_T2_jT3_P12ihipStream_tbPNSt15iterator_traitsISE_E10value_typeEPNSK_ISF_E10value_typeEPSG_NS1_7vsmem_tEENKUlT_SE_SF_SG_E_clIS8_S8_S9_S9_EESD_ST_SE_SF_SG_EUlST_E0_NS1_11comp_targetILNS1_3genE10ELNS1_11target_archE1201ELNS1_3gpuE5ELNS1_3repE0EEENS1_38merge_mergepath_config_static_selectorELNS0_4arch9wavefront6targetE1EEEvSF_
                                        ; -- End function
	.section	.AMDGPU.csdata,"",@progbits
; Kernel info:
; codeLenInByte = 0
; NumSgprs: 4
; NumVgprs: 0
; NumAgprs: 0
; TotalNumVgprs: 0
; ScratchSize: 0
; MemoryBound: 0
; FloatMode: 240
; IeeeMode: 1
; LDSByteSize: 0 bytes/workgroup (compile time only)
; SGPRBlocks: 0
; VGPRBlocks: 0
; NumSGPRsForWavesPerEU: 4
; NumVGPRsForWavesPerEU: 1
; AccumOffset: 4
; Occupancy: 8
; WaveLimiterHint : 0
; COMPUTE_PGM_RSRC2:SCRATCH_EN: 0
; COMPUTE_PGM_RSRC2:USER_SGPR: 6
; COMPUTE_PGM_RSRC2:TRAP_HANDLER: 0
; COMPUTE_PGM_RSRC2:TGID_X_EN: 1
; COMPUTE_PGM_RSRC2:TGID_Y_EN: 0
; COMPUTE_PGM_RSRC2:TGID_Z_EN: 0
; COMPUTE_PGM_RSRC2:TIDIG_COMP_CNT: 0
; COMPUTE_PGM_RSRC3_GFX90A:ACCUM_OFFSET: 0
; COMPUTE_PGM_RSRC3_GFX90A:TG_SPLIT: 0
	.section	.text._ZN7rocprim17ROCPRIM_400000_NS6detail17trampoline_kernelINS0_14default_configENS1_38merge_sort_block_merge_config_selectorIsNS0_10empty_typeEEEZZNS1_27merge_sort_block_merge_implIS3_PsPS5_jNS1_19radix_merge_compareILb0ELb0EsNS0_19identity_decomposerEEEEE10hipError_tT0_T1_T2_jT3_P12ihipStream_tbPNSt15iterator_traitsISE_E10value_typeEPNSK_ISF_E10value_typeEPSG_NS1_7vsmem_tEENKUlT_SE_SF_SG_E_clIS8_S8_S9_S9_EESD_ST_SE_SF_SG_EUlST_E0_NS1_11comp_targetILNS1_3genE5ELNS1_11target_archE942ELNS1_3gpuE9ELNS1_3repE0EEENS1_38merge_mergepath_config_static_selectorELNS0_4arch9wavefront6targetE1EEEvSF_,"axG",@progbits,_ZN7rocprim17ROCPRIM_400000_NS6detail17trampoline_kernelINS0_14default_configENS1_38merge_sort_block_merge_config_selectorIsNS0_10empty_typeEEEZZNS1_27merge_sort_block_merge_implIS3_PsPS5_jNS1_19radix_merge_compareILb0ELb0EsNS0_19identity_decomposerEEEEE10hipError_tT0_T1_T2_jT3_P12ihipStream_tbPNSt15iterator_traitsISE_E10value_typeEPNSK_ISF_E10value_typeEPSG_NS1_7vsmem_tEENKUlT_SE_SF_SG_E_clIS8_S8_S9_S9_EESD_ST_SE_SF_SG_EUlST_E0_NS1_11comp_targetILNS1_3genE5ELNS1_11target_archE942ELNS1_3gpuE9ELNS1_3repE0EEENS1_38merge_mergepath_config_static_selectorELNS0_4arch9wavefront6targetE1EEEvSF_,comdat
	.protected	_ZN7rocprim17ROCPRIM_400000_NS6detail17trampoline_kernelINS0_14default_configENS1_38merge_sort_block_merge_config_selectorIsNS0_10empty_typeEEEZZNS1_27merge_sort_block_merge_implIS3_PsPS5_jNS1_19radix_merge_compareILb0ELb0EsNS0_19identity_decomposerEEEEE10hipError_tT0_T1_T2_jT3_P12ihipStream_tbPNSt15iterator_traitsISE_E10value_typeEPNSK_ISF_E10value_typeEPSG_NS1_7vsmem_tEENKUlT_SE_SF_SG_E_clIS8_S8_S9_S9_EESD_ST_SE_SF_SG_EUlST_E0_NS1_11comp_targetILNS1_3genE5ELNS1_11target_archE942ELNS1_3gpuE9ELNS1_3repE0EEENS1_38merge_mergepath_config_static_selectorELNS0_4arch9wavefront6targetE1EEEvSF_ ; -- Begin function _ZN7rocprim17ROCPRIM_400000_NS6detail17trampoline_kernelINS0_14default_configENS1_38merge_sort_block_merge_config_selectorIsNS0_10empty_typeEEEZZNS1_27merge_sort_block_merge_implIS3_PsPS5_jNS1_19radix_merge_compareILb0ELb0EsNS0_19identity_decomposerEEEEE10hipError_tT0_T1_T2_jT3_P12ihipStream_tbPNSt15iterator_traitsISE_E10value_typeEPNSK_ISF_E10value_typeEPSG_NS1_7vsmem_tEENKUlT_SE_SF_SG_E_clIS8_S8_S9_S9_EESD_ST_SE_SF_SG_EUlST_E0_NS1_11comp_targetILNS1_3genE5ELNS1_11target_archE942ELNS1_3gpuE9ELNS1_3repE0EEENS1_38merge_mergepath_config_static_selectorELNS0_4arch9wavefront6targetE1EEEvSF_
	.globl	_ZN7rocprim17ROCPRIM_400000_NS6detail17trampoline_kernelINS0_14default_configENS1_38merge_sort_block_merge_config_selectorIsNS0_10empty_typeEEEZZNS1_27merge_sort_block_merge_implIS3_PsPS5_jNS1_19radix_merge_compareILb0ELb0EsNS0_19identity_decomposerEEEEE10hipError_tT0_T1_T2_jT3_P12ihipStream_tbPNSt15iterator_traitsISE_E10value_typeEPNSK_ISF_E10value_typeEPSG_NS1_7vsmem_tEENKUlT_SE_SF_SG_E_clIS8_S8_S9_S9_EESD_ST_SE_SF_SG_EUlST_E0_NS1_11comp_targetILNS1_3genE5ELNS1_11target_archE942ELNS1_3gpuE9ELNS1_3repE0EEENS1_38merge_mergepath_config_static_selectorELNS0_4arch9wavefront6targetE1EEEvSF_
	.p2align	8
	.type	_ZN7rocprim17ROCPRIM_400000_NS6detail17trampoline_kernelINS0_14default_configENS1_38merge_sort_block_merge_config_selectorIsNS0_10empty_typeEEEZZNS1_27merge_sort_block_merge_implIS3_PsPS5_jNS1_19radix_merge_compareILb0ELb0EsNS0_19identity_decomposerEEEEE10hipError_tT0_T1_T2_jT3_P12ihipStream_tbPNSt15iterator_traitsISE_E10value_typeEPNSK_ISF_E10value_typeEPSG_NS1_7vsmem_tEENKUlT_SE_SF_SG_E_clIS8_S8_S9_S9_EESD_ST_SE_SF_SG_EUlST_E0_NS1_11comp_targetILNS1_3genE5ELNS1_11target_archE942ELNS1_3gpuE9ELNS1_3repE0EEENS1_38merge_mergepath_config_static_selectorELNS0_4arch9wavefront6targetE1EEEvSF_,@function
_ZN7rocprim17ROCPRIM_400000_NS6detail17trampoline_kernelINS0_14default_configENS1_38merge_sort_block_merge_config_selectorIsNS0_10empty_typeEEEZZNS1_27merge_sort_block_merge_implIS3_PsPS5_jNS1_19radix_merge_compareILb0ELb0EsNS0_19identity_decomposerEEEEE10hipError_tT0_T1_T2_jT3_P12ihipStream_tbPNSt15iterator_traitsISE_E10value_typeEPNSK_ISF_E10value_typeEPSG_NS1_7vsmem_tEENKUlT_SE_SF_SG_E_clIS8_S8_S9_S9_EESD_ST_SE_SF_SG_EUlST_E0_NS1_11comp_targetILNS1_3genE5ELNS1_11target_archE942ELNS1_3gpuE9ELNS1_3repE0EEENS1_38merge_mergepath_config_static_selectorELNS0_4arch9wavefront6targetE1EEEvSF_: ; @_ZN7rocprim17ROCPRIM_400000_NS6detail17trampoline_kernelINS0_14default_configENS1_38merge_sort_block_merge_config_selectorIsNS0_10empty_typeEEEZZNS1_27merge_sort_block_merge_implIS3_PsPS5_jNS1_19radix_merge_compareILb0ELb0EsNS0_19identity_decomposerEEEEE10hipError_tT0_T1_T2_jT3_P12ihipStream_tbPNSt15iterator_traitsISE_E10value_typeEPNSK_ISF_E10value_typeEPSG_NS1_7vsmem_tEENKUlT_SE_SF_SG_E_clIS8_S8_S9_S9_EESD_ST_SE_SF_SG_EUlST_E0_NS1_11comp_targetILNS1_3genE5ELNS1_11target_archE942ELNS1_3gpuE9ELNS1_3repE0EEENS1_38merge_mergepath_config_static_selectorELNS0_4arch9wavefront6targetE1EEEvSF_
; %bb.0:
	.section	.rodata,"a",@progbits
	.p2align	6, 0x0
	.amdhsa_kernel _ZN7rocprim17ROCPRIM_400000_NS6detail17trampoline_kernelINS0_14default_configENS1_38merge_sort_block_merge_config_selectorIsNS0_10empty_typeEEEZZNS1_27merge_sort_block_merge_implIS3_PsPS5_jNS1_19radix_merge_compareILb0ELb0EsNS0_19identity_decomposerEEEEE10hipError_tT0_T1_T2_jT3_P12ihipStream_tbPNSt15iterator_traitsISE_E10value_typeEPNSK_ISF_E10value_typeEPSG_NS1_7vsmem_tEENKUlT_SE_SF_SG_E_clIS8_S8_S9_S9_EESD_ST_SE_SF_SG_EUlST_E0_NS1_11comp_targetILNS1_3genE5ELNS1_11target_archE942ELNS1_3gpuE9ELNS1_3repE0EEENS1_38merge_mergepath_config_static_selectorELNS0_4arch9wavefront6targetE1EEEvSF_
		.amdhsa_group_segment_fixed_size 0
		.amdhsa_private_segment_fixed_size 0
		.amdhsa_kernarg_size 64
		.amdhsa_user_sgpr_count 6
		.amdhsa_user_sgpr_private_segment_buffer 1
		.amdhsa_user_sgpr_dispatch_ptr 0
		.amdhsa_user_sgpr_queue_ptr 0
		.amdhsa_user_sgpr_kernarg_segment_ptr 1
		.amdhsa_user_sgpr_dispatch_id 0
		.amdhsa_user_sgpr_flat_scratch_init 0
		.amdhsa_user_sgpr_kernarg_preload_length 0
		.amdhsa_user_sgpr_kernarg_preload_offset 0
		.amdhsa_user_sgpr_private_segment_size 0
		.amdhsa_uses_dynamic_stack 0
		.amdhsa_system_sgpr_private_segment_wavefront_offset 0
		.amdhsa_system_sgpr_workgroup_id_x 1
		.amdhsa_system_sgpr_workgroup_id_y 0
		.amdhsa_system_sgpr_workgroup_id_z 0
		.amdhsa_system_sgpr_workgroup_info 0
		.amdhsa_system_vgpr_workitem_id 0
		.amdhsa_next_free_vgpr 1
		.amdhsa_next_free_sgpr 0
		.amdhsa_accum_offset 4
		.amdhsa_reserve_vcc 0
		.amdhsa_reserve_flat_scratch 0
		.amdhsa_float_round_mode_32 0
		.amdhsa_float_round_mode_16_64 0
		.amdhsa_float_denorm_mode_32 3
		.amdhsa_float_denorm_mode_16_64 3
		.amdhsa_dx10_clamp 1
		.amdhsa_ieee_mode 1
		.amdhsa_fp16_overflow 0
		.amdhsa_tg_split 0
		.amdhsa_exception_fp_ieee_invalid_op 0
		.amdhsa_exception_fp_denorm_src 0
		.amdhsa_exception_fp_ieee_div_zero 0
		.amdhsa_exception_fp_ieee_overflow 0
		.amdhsa_exception_fp_ieee_underflow 0
		.amdhsa_exception_fp_ieee_inexact 0
		.amdhsa_exception_int_div_zero 0
	.end_amdhsa_kernel
	.section	.text._ZN7rocprim17ROCPRIM_400000_NS6detail17trampoline_kernelINS0_14default_configENS1_38merge_sort_block_merge_config_selectorIsNS0_10empty_typeEEEZZNS1_27merge_sort_block_merge_implIS3_PsPS5_jNS1_19radix_merge_compareILb0ELb0EsNS0_19identity_decomposerEEEEE10hipError_tT0_T1_T2_jT3_P12ihipStream_tbPNSt15iterator_traitsISE_E10value_typeEPNSK_ISF_E10value_typeEPSG_NS1_7vsmem_tEENKUlT_SE_SF_SG_E_clIS8_S8_S9_S9_EESD_ST_SE_SF_SG_EUlST_E0_NS1_11comp_targetILNS1_3genE5ELNS1_11target_archE942ELNS1_3gpuE9ELNS1_3repE0EEENS1_38merge_mergepath_config_static_selectorELNS0_4arch9wavefront6targetE1EEEvSF_,"axG",@progbits,_ZN7rocprim17ROCPRIM_400000_NS6detail17trampoline_kernelINS0_14default_configENS1_38merge_sort_block_merge_config_selectorIsNS0_10empty_typeEEEZZNS1_27merge_sort_block_merge_implIS3_PsPS5_jNS1_19radix_merge_compareILb0ELb0EsNS0_19identity_decomposerEEEEE10hipError_tT0_T1_T2_jT3_P12ihipStream_tbPNSt15iterator_traitsISE_E10value_typeEPNSK_ISF_E10value_typeEPSG_NS1_7vsmem_tEENKUlT_SE_SF_SG_E_clIS8_S8_S9_S9_EESD_ST_SE_SF_SG_EUlST_E0_NS1_11comp_targetILNS1_3genE5ELNS1_11target_archE942ELNS1_3gpuE9ELNS1_3repE0EEENS1_38merge_mergepath_config_static_selectorELNS0_4arch9wavefront6targetE1EEEvSF_,comdat
.Lfunc_end366:
	.size	_ZN7rocprim17ROCPRIM_400000_NS6detail17trampoline_kernelINS0_14default_configENS1_38merge_sort_block_merge_config_selectorIsNS0_10empty_typeEEEZZNS1_27merge_sort_block_merge_implIS3_PsPS5_jNS1_19radix_merge_compareILb0ELb0EsNS0_19identity_decomposerEEEEE10hipError_tT0_T1_T2_jT3_P12ihipStream_tbPNSt15iterator_traitsISE_E10value_typeEPNSK_ISF_E10value_typeEPSG_NS1_7vsmem_tEENKUlT_SE_SF_SG_E_clIS8_S8_S9_S9_EESD_ST_SE_SF_SG_EUlST_E0_NS1_11comp_targetILNS1_3genE5ELNS1_11target_archE942ELNS1_3gpuE9ELNS1_3repE0EEENS1_38merge_mergepath_config_static_selectorELNS0_4arch9wavefront6targetE1EEEvSF_, .Lfunc_end366-_ZN7rocprim17ROCPRIM_400000_NS6detail17trampoline_kernelINS0_14default_configENS1_38merge_sort_block_merge_config_selectorIsNS0_10empty_typeEEEZZNS1_27merge_sort_block_merge_implIS3_PsPS5_jNS1_19radix_merge_compareILb0ELb0EsNS0_19identity_decomposerEEEEE10hipError_tT0_T1_T2_jT3_P12ihipStream_tbPNSt15iterator_traitsISE_E10value_typeEPNSK_ISF_E10value_typeEPSG_NS1_7vsmem_tEENKUlT_SE_SF_SG_E_clIS8_S8_S9_S9_EESD_ST_SE_SF_SG_EUlST_E0_NS1_11comp_targetILNS1_3genE5ELNS1_11target_archE942ELNS1_3gpuE9ELNS1_3repE0EEENS1_38merge_mergepath_config_static_selectorELNS0_4arch9wavefront6targetE1EEEvSF_
                                        ; -- End function
	.section	.AMDGPU.csdata,"",@progbits
; Kernel info:
; codeLenInByte = 0
; NumSgprs: 4
; NumVgprs: 0
; NumAgprs: 0
; TotalNumVgprs: 0
; ScratchSize: 0
; MemoryBound: 0
; FloatMode: 240
; IeeeMode: 1
; LDSByteSize: 0 bytes/workgroup (compile time only)
; SGPRBlocks: 0
; VGPRBlocks: 0
; NumSGPRsForWavesPerEU: 4
; NumVGPRsForWavesPerEU: 1
; AccumOffset: 4
; Occupancy: 8
; WaveLimiterHint : 0
; COMPUTE_PGM_RSRC2:SCRATCH_EN: 0
; COMPUTE_PGM_RSRC2:USER_SGPR: 6
; COMPUTE_PGM_RSRC2:TRAP_HANDLER: 0
; COMPUTE_PGM_RSRC2:TGID_X_EN: 1
; COMPUTE_PGM_RSRC2:TGID_Y_EN: 0
; COMPUTE_PGM_RSRC2:TGID_Z_EN: 0
; COMPUTE_PGM_RSRC2:TIDIG_COMP_CNT: 0
; COMPUTE_PGM_RSRC3_GFX90A:ACCUM_OFFSET: 0
; COMPUTE_PGM_RSRC3_GFX90A:TG_SPLIT: 0
	.section	.text._ZN7rocprim17ROCPRIM_400000_NS6detail17trampoline_kernelINS0_14default_configENS1_38merge_sort_block_merge_config_selectorIsNS0_10empty_typeEEEZZNS1_27merge_sort_block_merge_implIS3_PsPS5_jNS1_19radix_merge_compareILb0ELb0EsNS0_19identity_decomposerEEEEE10hipError_tT0_T1_T2_jT3_P12ihipStream_tbPNSt15iterator_traitsISE_E10value_typeEPNSK_ISF_E10value_typeEPSG_NS1_7vsmem_tEENKUlT_SE_SF_SG_E_clIS8_S8_S9_S9_EESD_ST_SE_SF_SG_EUlST_E0_NS1_11comp_targetILNS1_3genE4ELNS1_11target_archE910ELNS1_3gpuE8ELNS1_3repE0EEENS1_38merge_mergepath_config_static_selectorELNS0_4arch9wavefront6targetE1EEEvSF_,"axG",@progbits,_ZN7rocprim17ROCPRIM_400000_NS6detail17trampoline_kernelINS0_14default_configENS1_38merge_sort_block_merge_config_selectorIsNS0_10empty_typeEEEZZNS1_27merge_sort_block_merge_implIS3_PsPS5_jNS1_19radix_merge_compareILb0ELb0EsNS0_19identity_decomposerEEEEE10hipError_tT0_T1_T2_jT3_P12ihipStream_tbPNSt15iterator_traitsISE_E10value_typeEPNSK_ISF_E10value_typeEPSG_NS1_7vsmem_tEENKUlT_SE_SF_SG_E_clIS8_S8_S9_S9_EESD_ST_SE_SF_SG_EUlST_E0_NS1_11comp_targetILNS1_3genE4ELNS1_11target_archE910ELNS1_3gpuE8ELNS1_3repE0EEENS1_38merge_mergepath_config_static_selectorELNS0_4arch9wavefront6targetE1EEEvSF_,comdat
	.protected	_ZN7rocprim17ROCPRIM_400000_NS6detail17trampoline_kernelINS0_14default_configENS1_38merge_sort_block_merge_config_selectorIsNS0_10empty_typeEEEZZNS1_27merge_sort_block_merge_implIS3_PsPS5_jNS1_19radix_merge_compareILb0ELb0EsNS0_19identity_decomposerEEEEE10hipError_tT0_T1_T2_jT3_P12ihipStream_tbPNSt15iterator_traitsISE_E10value_typeEPNSK_ISF_E10value_typeEPSG_NS1_7vsmem_tEENKUlT_SE_SF_SG_E_clIS8_S8_S9_S9_EESD_ST_SE_SF_SG_EUlST_E0_NS1_11comp_targetILNS1_3genE4ELNS1_11target_archE910ELNS1_3gpuE8ELNS1_3repE0EEENS1_38merge_mergepath_config_static_selectorELNS0_4arch9wavefront6targetE1EEEvSF_ ; -- Begin function _ZN7rocprim17ROCPRIM_400000_NS6detail17trampoline_kernelINS0_14default_configENS1_38merge_sort_block_merge_config_selectorIsNS0_10empty_typeEEEZZNS1_27merge_sort_block_merge_implIS3_PsPS5_jNS1_19radix_merge_compareILb0ELb0EsNS0_19identity_decomposerEEEEE10hipError_tT0_T1_T2_jT3_P12ihipStream_tbPNSt15iterator_traitsISE_E10value_typeEPNSK_ISF_E10value_typeEPSG_NS1_7vsmem_tEENKUlT_SE_SF_SG_E_clIS8_S8_S9_S9_EESD_ST_SE_SF_SG_EUlST_E0_NS1_11comp_targetILNS1_3genE4ELNS1_11target_archE910ELNS1_3gpuE8ELNS1_3repE0EEENS1_38merge_mergepath_config_static_selectorELNS0_4arch9wavefront6targetE1EEEvSF_
	.globl	_ZN7rocprim17ROCPRIM_400000_NS6detail17trampoline_kernelINS0_14default_configENS1_38merge_sort_block_merge_config_selectorIsNS0_10empty_typeEEEZZNS1_27merge_sort_block_merge_implIS3_PsPS5_jNS1_19radix_merge_compareILb0ELb0EsNS0_19identity_decomposerEEEEE10hipError_tT0_T1_T2_jT3_P12ihipStream_tbPNSt15iterator_traitsISE_E10value_typeEPNSK_ISF_E10value_typeEPSG_NS1_7vsmem_tEENKUlT_SE_SF_SG_E_clIS8_S8_S9_S9_EESD_ST_SE_SF_SG_EUlST_E0_NS1_11comp_targetILNS1_3genE4ELNS1_11target_archE910ELNS1_3gpuE8ELNS1_3repE0EEENS1_38merge_mergepath_config_static_selectorELNS0_4arch9wavefront6targetE1EEEvSF_
	.p2align	8
	.type	_ZN7rocprim17ROCPRIM_400000_NS6detail17trampoline_kernelINS0_14default_configENS1_38merge_sort_block_merge_config_selectorIsNS0_10empty_typeEEEZZNS1_27merge_sort_block_merge_implIS3_PsPS5_jNS1_19radix_merge_compareILb0ELb0EsNS0_19identity_decomposerEEEEE10hipError_tT0_T1_T2_jT3_P12ihipStream_tbPNSt15iterator_traitsISE_E10value_typeEPNSK_ISF_E10value_typeEPSG_NS1_7vsmem_tEENKUlT_SE_SF_SG_E_clIS8_S8_S9_S9_EESD_ST_SE_SF_SG_EUlST_E0_NS1_11comp_targetILNS1_3genE4ELNS1_11target_archE910ELNS1_3gpuE8ELNS1_3repE0EEENS1_38merge_mergepath_config_static_selectorELNS0_4arch9wavefront6targetE1EEEvSF_,@function
_ZN7rocprim17ROCPRIM_400000_NS6detail17trampoline_kernelINS0_14default_configENS1_38merge_sort_block_merge_config_selectorIsNS0_10empty_typeEEEZZNS1_27merge_sort_block_merge_implIS3_PsPS5_jNS1_19radix_merge_compareILb0ELb0EsNS0_19identity_decomposerEEEEE10hipError_tT0_T1_T2_jT3_P12ihipStream_tbPNSt15iterator_traitsISE_E10value_typeEPNSK_ISF_E10value_typeEPSG_NS1_7vsmem_tEENKUlT_SE_SF_SG_E_clIS8_S8_S9_S9_EESD_ST_SE_SF_SG_EUlST_E0_NS1_11comp_targetILNS1_3genE4ELNS1_11target_archE910ELNS1_3gpuE8ELNS1_3repE0EEENS1_38merge_mergepath_config_static_selectorELNS0_4arch9wavefront6targetE1EEEvSF_: ; @_ZN7rocprim17ROCPRIM_400000_NS6detail17trampoline_kernelINS0_14default_configENS1_38merge_sort_block_merge_config_selectorIsNS0_10empty_typeEEEZZNS1_27merge_sort_block_merge_implIS3_PsPS5_jNS1_19radix_merge_compareILb0ELb0EsNS0_19identity_decomposerEEEEE10hipError_tT0_T1_T2_jT3_P12ihipStream_tbPNSt15iterator_traitsISE_E10value_typeEPNSK_ISF_E10value_typeEPSG_NS1_7vsmem_tEENKUlT_SE_SF_SG_E_clIS8_S8_S9_S9_EESD_ST_SE_SF_SG_EUlST_E0_NS1_11comp_targetILNS1_3genE4ELNS1_11target_archE910ELNS1_3gpuE8ELNS1_3repE0EEENS1_38merge_mergepath_config_static_selectorELNS0_4arch9wavefront6targetE1EEEvSF_
; %bb.0:
	s_load_dwordx2 s[10:11], s[4:5], 0x40
	s_load_dword s3, s[4:5], 0x30
	s_add_u32 s0, s4, 64
	s_addc_u32 s1, s5, 0
	s_waitcnt lgkmcnt(0)
	s_mul_i32 s2, s11, s8
	s_add_i32 s2, s2, s7
	s_mul_i32 s2, s2, s10
	s_add_i32 s2, s2, s6
	s_cmp_ge_u32 s2, s3
	s_cbranch_scc1 .LBB367_43
; %bb.1:
	s_load_dwordx2 s[14:15], s[4:5], 0x28
	s_load_dwordx2 s[8:9], s[4:5], 0x38
	;; [unrolled: 1-line block ×3, first 2 shown]
	s_mov_b32 s3, 0
	s_mov_b32 s23, s3
	s_waitcnt lgkmcnt(0)
	s_lshr_b32 s17, s14, 10
	s_cmp_lg_u32 s2, s17
	s_cselect_b64 s[18:19], -1, 0
	s_lshl_b64 s[12:13], s[2:3], 2
	s_add_u32 s8, s8, s12
	s_addc_u32 s9, s9, s13
	s_lshr_b32 s7, s15, 9
	s_and_b32 s7, s7, 0x7ffffe
	s_load_dwordx2 s[8:9], s[8:9], 0x0
	s_sub_i32 s7, 0, s7
	s_and_b32 s11, s2, s7
	s_lshl_b32 s12, s11, 10
	s_lshl_b32 s16, s2, 10
	;; [unrolled: 1-line block ×3, first 2 shown]
	s_sub_i32 s13, s16, s12
	s_add_i32 s11, s11, s15
	s_add_i32 s13, s11, s13
	s_waitcnt lgkmcnt(0)
	s_sub_i32 s22, s13, s8
	s_sub_i32 s13, s13, s9
	;; [unrolled: 1-line block ×3, first 2 shown]
	s_min_u32 s22, s14, s22
	s_addk_i32 s13, 0x400
	s_or_b32 s7, s2, s7
	s_min_u32 s12, s14, s11
	s_add_i32 s11, s11, s15
	s_cmp_eq_u32 s7, -1
	s_cselect_b32 s7, s11, s13
	s_cselect_b32 s9, s12, s9
	s_min_u32 s7, s7, s14
	s_sub_i32 s15, s9, s8
	s_mov_b32 s9, s3
	s_sub_i32 s7, s7, s22
	s_lshl_b64 s[8:9], s[8:9], 1
	s_add_u32 s11, s20, s8
	s_addc_u32 s12, s21, s9
	s_lshl_b64 s[8:9], s[22:23], 1
	s_add_u32 s8, s20, s8
	s_addc_u32 s9, s21, s9
	s_cmp_lt_u32 s6, s10
	v_mov_b32_e32 v3, 0
	s_cselect_b32 s3, 12, 18
	global_load_dword v1, v3, s[0:1] offset:14
	s_add_u32 s0, s0, s3
	s_addc_u32 s1, s1, 0
	global_load_ushort v2, v3, s[0:1]
	s_cmp_eq_u32 s2, s17
	s_waitcnt vmcnt(1)
	v_lshrrev_b32_e32 v4, 16, v1
	v_and_b32_e32 v1, 0xffff, v1
	v_mul_lo_u32 v1, v1, v4
	s_waitcnt vmcnt(0)
	v_mul_lo_u32 v10, v1, v2
	v_add_u32_e32 v8, v10, v0
	v_lshlrev_b32_e32 v1, 1, v0
	v_add_u32_e32 v6, v8, v10
	s_cbranch_scc1 .LBB367_3
; %bb.2:
	v_mov_b32_e32 v2, s12
	v_add_co_u32_e32 v7, vcc, s11, v1
	v_addc_co_u32_e32 v9, vcc, 0, v2, vcc
	v_subrev_u32_e32 v2, s15, v0
	v_lshlrev_b64 v[4:5], 1, v[2:3]
	v_mov_b32_e32 v2, s9
	v_add_co_u32_e32 v4, vcc, s8, v4
	v_addc_co_u32_e32 v2, vcc, v2, v5, vcc
	v_cmp_gt_u32_e32 vcc, s15, v0
	v_cndmask_b32_e32 v5, v2, v9, vcc
	v_cndmask_b32_e32 v4, v4, v7, vcc
	v_mov_b32_e32 v9, v3
	global_load_ushort v11, v[4:5], off
	v_lshlrev_b64 v[4:5], 1, v[8:9]
	v_mov_b32_e32 v2, s12
	v_add_co_u32_e32 v7, vcc, s11, v4
	v_addc_co_u32_e32 v9, vcc, v2, v5, vcc
	v_subrev_u32_e32 v2, s15, v8
	v_lshlrev_b64 v[4:5], 1, v[2:3]
	v_mov_b32_e32 v2, s9
	v_add_co_u32_e32 v4, vcc, s8, v4
	v_addc_co_u32_e32 v2, vcc, v2, v5, vcc
	v_cmp_gt_u32_e32 vcc, s15, v8
	v_cndmask_b32_e32 v5, v2, v9, vcc
	v_cndmask_b32_e32 v4, v4, v7, vcc
	v_mov_b32_e32 v7, v3
	global_load_ushort v9, v[4:5], off
	v_lshlrev_b64 v[4:5], 1, v[6:7]
	v_mov_b32_e32 v2, s12
	v_add_co_u32_e32 v7, vcc, s11, v4
	v_addc_co_u32_e32 v12, vcc, v2, v5, vcc
	v_subrev_u32_e32 v2, s15, v6
	v_lshlrev_b64 v[4:5], 1, v[2:3]
	v_mov_b32_e32 v2, s9
	v_add_co_u32_e32 v4, vcc, s8, v4
	v_addc_co_u32_e32 v2, vcc, v2, v5, vcc
	v_cmp_gt_u32_e32 vcc, s15, v6
	v_cndmask_b32_e32 v5, v2, v12, vcc
	v_cndmask_b32_e32 v4, v4, v7, vcc
	v_add_u32_e32 v2, v6, v10
	global_load_ushort v7, v[4:5], off
	v_lshlrev_b64 v[4:5], 1, v[2:3]
	v_mov_b32_e32 v12, s12
	v_add_co_u32_e32 v13, vcc, s11, v4
	v_addc_co_u32_e32 v12, vcc, v12, v5, vcc
	v_subrev_u32_e32 v4, s15, v2
	v_mov_b32_e32 v5, v3
	v_lshlrev_b64 v[4:5], 1, v[4:5]
	v_mov_b32_e32 v14, s9
	v_add_co_u32_e32 v4, vcc, s8, v4
	v_addc_co_u32_e32 v5, vcc, v14, v5, vcc
	v_cmp_gt_u32_e32 vcc, s15, v2
	v_cndmask_b32_e32 v5, v5, v12, vcc
	v_cndmask_b32_e32 v4, v4, v13, vcc
	v_add_u32_e32 v2, v2, v10
	global_load_ushort v12, v[4:5], off
	v_lshlrev_b64 v[4:5], 1, v[2:3]
	v_mov_b32_e32 v13, s12
	v_add_co_u32_e32 v14, vcc, s11, v4
	v_addc_co_u32_e32 v13, vcc, v13, v5, vcc
	v_subrev_u32_e32 v4, s15, v2
	v_mov_b32_e32 v5, v3
	;; [unrolled: 15-line block ×4, first 2 shown]
	v_lshlrev_b64 v[4:5], 1, v[4:5]
	v_mov_b32_e32 v17, s9
	v_add_co_u32_e32 v4, vcc, s8, v4
	v_addc_co_u32_e32 v5, vcc, v17, v5, vcc
	v_cmp_gt_u32_e32 vcc, s15, v2
	v_cndmask_b32_e32 v5, v5, v15, vcc
	v_cndmask_b32_e32 v4, v4, v16, vcc
	v_add_u32_e32 v2, v2, v10
	global_load_ushort v15, v[4:5], off
	v_lshlrev_b64 v[4:5], 1, v[2:3]
	v_mov_b32_e32 v16, s12
	v_add_co_u32_e32 v4, vcc, s11, v4
	v_addc_co_u32_e32 v5, vcc, v16, v5, vcc
	v_cmp_gt_u32_e32 vcc, s15, v2
	v_subrev_u32_e32 v2, s15, v2
	v_lshlrev_b64 v[2:3], 1, v[2:3]
	v_mov_b32_e32 v16, s9
	v_add_co_u32_e64 v2, s[0:1], s8, v2
	v_addc_co_u32_e64 v3, s[0:1], v16, v3, s[0:1]
	v_cndmask_b32_e32 v3, v3, v5, vcc
	v_cndmask_b32_e32 v2, v2, v4, vcc
	global_load_ushort v5, v[2:3], off
	s_mov_b32 s0, 0x5040100
	s_waitcnt vmcnt(6)
	v_perm_b32 v2, v9, v11, s0
	s_add_i32 s17, s7, s15
	s_waitcnt vmcnt(4)
	v_perm_b32 v3, v12, v7, s0
	s_waitcnt vmcnt(2)
	v_perm_b32 v4, v14, v13, s0
	s_waitcnt vmcnt(0)
	v_perm_b32 v5, v5, v15, s0
	s_load_dwordx2 s[20:21], s[4:5], 0x10
	s_cbranch_execz .LBB367_4
	s_branch .LBB367_19
.LBB367_3:
                                        ; implicit-def: $vgpr2_vgpr3_vgpr4_vgpr5
                                        ; implicit-def: $sgpr17
	s_load_dwordx2 s[20:21], s[4:5], 0x10
.LBB367_4:
	s_add_i32 s17, s7, s15
	v_cmp_gt_u32_e32 vcc, s17, v0
                                        ; implicit-def: $vgpr2_vgpr3_vgpr4_vgpr5
	s_and_saveexec_b64 s[0:1], vcc
	s_cbranch_execnz .LBB367_44
; %bb.5:
	s_or_b64 exec, exec, s[0:1]
	v_cmp_gt_u32_e32 vcc, s17, v8
	s_and_saveexec_b64 s[2:3], vcc
	s_cbranch_execnz .LBB367_45
.LBB367_6:
	s_or_b64 exec, exec, s[2:3]
	v_cmp_gt_u32_e32 vcc, s17, v6
	s_and_saveexec_b64 s[0:1], vcc
	s_cbranch_execz .LBB367_8
.LBB367_7:
	v_mov_b32_e32 v7, 0
	v_lshlrev_b64 v[8:9], 1, v[6:7]
	v_mov_b32_e32 v11, s12
	v_add_co_u32_e32 v12, vcc, s11, v8
	v_addc_co_u32_e32 v11, vcc, v11, v9, vcc
	v_subrev_u32_e32 v8, s15, v6
	v_mov_b32_e32 v9, v7
	v_lshlrev_b64 v[8:9], 1, v[8:9]
	v_mov_b32_e32 v7, s9
	v_add_co_u32_e32 v8, vcc, s8, v8
	v_addc_co_u32_e32 v7, vcc, v7, v9, vcc
	v_cmp_gt_u32_e32 vcc, s15, v6
	v_cndmask_b32_e32 v9, v7, v11, vcc
	v_cndmask_b32_e32 v8, v8, v12, vcc
	global_load_ushort v7, v[8:9], off
	s_mov_b32 s2, 0xffff
	s_waitcnt vmcnt(0)
	v_bfi_b32 v3, s2, v7, v3
.LBB367_8:
	s_or_b64 exec, exec, s[0:1]
	v_add_u32_e32 v6, v6, v10
	v_cmp_gt_u32_e32 vcc, s17, v6
	s_and_saveexec_b64 s[0:1], vcc
	s_cbranch_execz .LBB367_10
; %bb.9:
	v_mov_b32_e32 v7, 0
	v_lshlrev_b64 v[8:9], 1, v[6:7]
	v_mov_b32_e32 v11, s12
	v_add_co_u32_e32 v12, vcc, s11, v8
	v_addc_co_u32_e32 v11, vcc, v11, v9, vcc
	v_subrev_u32_e32 v8, s15, v6
	v_mov_b32_e32 v9, v7
	v_lshlrev_b64 v[8:9], 1, v[8:9]
	v_mov_b32_e32 v7, s9
	v_add_co_u32_e32 v8, vcc, s8, v8
	v_addc_co_u32_e32 v7, vcc, v7, v9, vcc
	v_cmp_gt_u32_e32 vcc, s15, v6
	v_cndmask_b32_e32 v9, v7, v11, vcc
	v_cndmask_b32_e32 v8, v8, v12, vcc
	global_load_ushort v7, v[8:9], off
	s_mov_b32 s2, 0x5040100
	s_waitcnt vmcnt(0)
	v_perm_b32 v3, v7, v3, s2
.LBB367_10:
	s_or_b64 exec, exec, s[0:1]
	v_add_u32_e32 v6, v6, v10
	v_cmp_gt_u32_e32 vcc, s17, v6
	s_and_saveexec_b64 s[0:1], vcc
	s_cbranch_execz .LBB367_12
; %bb.11:
	v_mov_b32_e32 v7, 0
	v_lshlrev_b64 v[8:9], 1, v[6:7]
	v_mov_b32_e32 v11, s12
	v_add_co_u32_e32 v12, vcc, s11, v8
	v_addc_co_u32_e32 v11, vcc, v11, v9, vcc
	v_subrev_u32_e32 v8, s15, v6
	v_mov_b32_e32 v9, v7
	v_lshlrev_b64 v[8:9], 1, v[8:9]
	v_mov_b32_e32 v7, s9
	v_add_co_u32_e32 v8, vcc, s8, v8
	v_addc_co_u32_e32 v7, vcc, v7, v9, vcc
	v_cmp_gt_u32_e32 vcc, s15, v6
	v_cndmask_b32_e32 v9, v7, v11, vcc
	v_cndmask_b32_e32 v8, v8, v12, vcc
	global_load_ushort v7, v[8:9], off
	s_mov_b32 s2, 0xffff
	s_waitcnt vmcnt(0)
	v_bfi_b32 v4, s2, v7, v4
.LBB367_12:
	s_or_b64 exec, exec, s[0:1]
	v_add_u32_e32 v6, v6, v10
	v_cmp_gt_u32_e32 vcc, s17, v6
	s_and_saveexec_b64 s[0:1], vcc
	s_cbranch_execz .LBB367_14
; %bb.13:
	v_mov_b32_e32 v7, 0
	v_lshlrev_b64 v[8:9], 1, v[6:7]
	v_mov_b32_e32 v11, s12
	v_add_co_u32_e32 v12, vcc, s11, v8
	v_addc_co_u32_e32 v11, vcc, v11, v9, vcc
	v_subrev_u32_e32 v8, s15, v6
	v_mov_b32_e32 v9, v7
	v_lshlrev_b64 v[8:9], 1, v[8:9]
	v_mov_b32_e32 v7, s9
	v_add_co_u32_e32 v8, vcc, s8, v8
	v_addc_co_u32_e32 v7, vcc, v7, v9, vcc
	v_cmp_gt_u32_e32 vcc, s15, v6
	v_cndmask_b32_e32 v9, v7, v11, vcc
	v_cndmask_b32_e32 v8, v8, v12, vcc
	global_load_ushort v7, v[8:9], off
	s_mov_b32 s2, 0x5040100
	s_waitcnt vmcnt(0)
	v_perm_b32 v4, v7, v4, s2
.LBB367_14:
	s_or_b64 exec, exec, s[0:1]
	v_add_u32_e32 v6, v6, v10
	v_cmp_gt_u32_e32 vcc, s17, v6
	s_and_saveexec_b64 s[0:1], vcc
	s_cbranch_execz .LBB367_16
; %bb.15:
	v_mov_b32_e32 v7, 0
	v_lshlrev_b64 v[8:9], 1, v[6:7]
	v_mov_b32_e32 v11, s12
	v_add_co_u32_e32 v12, vcc, s11, v8
	v_addc_co_u32_e32 v11, vcc, v11, v9, vcc
	v_subrev_u32_e32 v8, s15, v6
	v_mov_b32_e32 v9, v7
	v_lshlrev_b64 v[8:9], 1, v[8:9]
	v_mov_b32_e32 v7, s9
	v_add_co_u32_e32 v8, vcc, s8, v8
	v_addc_co_u32_e32 v7, vcc, v7, v9, vcc
	v_cmp_gt_u32_e32 vcc, s15, v6
	v_cndmask_b32_e32 v9, v7, v11, vcc
	v_cndmask_b32_e32 v8, v8, v12, vcc
	global_load_ushort v7, v[8:9], off
	s_mov_b32 s2, 0xffff
	s_waitcnt vmcnt(0)
	v_bfi_b32 v5, s2, v7, v5
.LBB367_16:
	s_or_b64 exec, exec, s[0:1]
	v_add_u32_e32 v6, v6, v10
	v_cmp_gt_u32_e32 vcc, s17, v6
	s_and_saveexec_b64 s[2:3], vcc
	s_cbranch_execz .LBB367_18
; %bb.17:
	v_mov_b32_e32 v7, 0
	v_lshlrev_b64 v[8:9], 1, v[6:7]
	v_mov_b32_e32 v10, s12
	v_add_co_u32_e32 v8, vcc, s11, v8
	v_addc_co_u32_e32 v9, vcc, v10, v9, vcc
	v_cmp_gt_u32_e32 vcc, s15, v6
	v_subrev_u32_e32 v6, s15, v6
	v_lshlrev_b64 v[6:7], 1, v[6:7]
	v_mov_b32_e32 v10, s9
	v_add_co_u32_e64 v6, s[0:1], s8, v6
	v_addc_co_u32_e64 v7, s[0:1], v10, v7, s[0:1]
	v_cndmask_b32_e32 v7, v7, v9, vcc
	v_cndmask_b32_e32 v6, v6, v8, vcc
	global_load_ushort v6, v[6:7], off
	s_mov_b32 s0, 0x5040100
	s_waitcnt vmcnt(0)
	v_perm_b32 v5, v6, v5, s0
.LBB367_18:
	s_or_b64 exec, exec, s[2:3]
.LBB367_19:
	v_lshlrev_b32_e32 v6, 3, v0
	v_min_u32_e32 v12, s17, v6
	v_sub_u32_e64 v11, v12, s7 clamp
	v_min_u32_e32 v13, s15, v12
	s_waitcnt vmcnt(0)
	v_lshrrev_b32_e32 v7, 16, v2
	v_lshrrev_b32_e32 v8, 16, v3
	;; [unrolled: 1-line block ×4, first 2 shown]
	v_cmp_lt_u32_e32 vcc, v11, v13
	ds_write_b16 v1, v2
	ds_write_b16 v1, v7 offset:256
	ds_write_b16 v1, v3 offset:512
	;; [unrolled: 1-line block ×7, first 2 shown]
	s_waitcnt lgkmcnt(0)
	s_barrier
	s_and_saveexec_b64 s[0:1], vcc
	s_cbranch_execz .LBB367_23
; %bb.20:
	v_lshlrev_b32_e32 v14, 1, v12
	v_lshl_add_u32 v14, s15, 1, v14
	s_mov_b64 s[2:3], 0
.LBB367_21:                             ; =>This Inner Loop Header: Depth=1
	v_add_u32_e32 v15, v13, v11
	v_lshrrev_b32_e32 v16, 1, v15
	v_not_b32_e32 v17, v16
	v_and_b32_e32 v15, -2, v15
	v_lshl_add_u32 v17, v17, 1, v14
	ds_read_u16 v15, v15
	ds_read_u16 v17, v17
	v_add_u32_e32 v18, 1, v16
	s_waitcnt lgkmcnt(0)
	v_cmp_gt_i16_e32 vcc, v15, v17
	v_cndmask_b32_e32 v13, v13, v16, vcc
	v_cndmask_b32_e32 v11, v18, v11, vcc
	v_cmp_ge_u32_e32 vcc, v11, v13
	s_or_b64 s[2:3], vcc, s[2:3]
	s_andn2_b64 exec, exec, s[2:3]
	s_cbranch_execnz .LBB367_21
; %bb.22:
	s_or_b64 exec, exec, s[2:3]
.LBB367_23:
	s_or_b64 exec, exec, s[0:1]
	v_sub_u32_e32 v12, v12, v11
	v_add_u32_e32 v12, s15, v12
	v_cmp_ge_u32_e32 vcc, s15, v11
	v_cmp_ge_u32_e64 s[0:1], s17, v12
	s_or_b64 s[0:1], vcc, s[0:1]
	s_and_saveexec_b64 s[22:23], s[0:1]
	s_cbranch_execz .LBB367_29
; %bb.24:
	v_cmp_gt_u32_e32 vcc, s15, v11
                                        ; implicit-def: $vgpr2
	s_and_saveexec_b64 s[0:1], vcc
	s_cbranch_execz .LBB367_26
; %bb.25:
	v_lshlrev_b32_e32 v2, 1, v11
	ds_read_u16 v2, v2
.LBB367_26:
	s_or_b64 exec, exec, s[0:1]
	v_cmp_le_u32_e64 s[0:1], s17, v12
	v_cmp_gt_u32_e64 s[2:3], s17, v12
                                        ; implicit-def: $vgpr3
	s_and_saveexec_b64 s[4:5], s[2:3]
	s_cbranch_execz .LBB367_28
; %bb.27:
	v_lshlrev_b32_e32 v3, 1, v12
	ds_read_u16 v3, v3
.LBB367_28:
	s_or_b64 exec, exec, s[4:5]
	s_waitcnt lgkmcnt(0)
	v_cmp_le_i16_e64 s[2:3], v2, v3
	s_and_b64 s[2:3], vcc, s[2:3]
	s_or_b64 vcc, s[0:1], s[2:3]
	v_mov_b32_e32 v5, s17
	v_mov_b32_e32 v8, s15
	v_cndmask_b32_e32 v4, v12, v11, vcc
	v_cndmask_b32_e32 v7, v5, v8, vcc
	v_add_u32_e32 v4, 1, v4
	v_add_u32_e32 v7, -1, v7
	v_min_u32_e32 v7, v4, v7
	v_lshlrev_b32_e32 v7, 1, v7
	ds_read_u16 v7, v7
	v_cndmask_b32_e32 v10, v4, v12, vcc
	v_cndmask_b32_e32 v4, v11, v4, vcc
	v_cmp_gt_u32_e64 s[2:3], s15, v4
	v_cmp_le_u32_e64 s[0:1], s17, v10
	s_waitcnt lgkmcnt(0)
	v_cndmask_b32_e32 v9, v7, v3, vcc
	v_cndmask_b32_e32 v7, v2, v7, vcc
	v_cmp_le_i16_e64 s[4:5], v7, v9
	s_and_b64 s[2:3], s[2:3], s[4:5]
	s_or_b64 s[0:1], s[0:1], s[2:3]
	v_cndmask_b32_e64 v11, v10, v4, s[0:1]
	v_cndmask_b32_e64 v12, v5, v8, s[0:1]
	v_add_u32_e32 v11, 1, v11
	v_add_u32_e32 v12, -1, v12
	v_min_u32_e32 v12, v11, v12
	v_lshlrev_b32_e32 v12, 1, v12
	ds_read_u16 v12, v12
	v_cndmask_b32_e64 v4, v4, v11, s[0:1]
	v_cndmask_b32_e64 v10, v11, v10, s[0:1]
	v_cmp_gt_u32_e64 s[4:5], s15, v4
	v_cmp_le_u32_e64 s[2:3], s17, v10
	s_waitcnt lgkmcnt(0)
	v_cndmask_b32_e64 v13, v12, v9, s[0:1]
	v_cndmask_b32_e64 v12, v7, v12, s[0:1]
	v_cmp_le_i16_e64 s[6:7], v12, v13
	s_and_b64 s[4:5], s[4:5], s[6:7]
	s_or_b64 s[2:3], s[2:3], s[4:5]
	v_cndmask_b32_e64 v11, v10, v4, s[2:3]
	v_cndmask_b32_e64 v14, v5, v8, s[2:3]
	v_add_u32_e32 v11, 1, v11
	v_add_u32_e32 v14, -1, v14
	v_min_u32_e32 v14, v11, v14
	v_lshlrev_b32_e32 v14, 1, v14
	ds_read_u16 v14, v14
	v_cndmask_b32_e64 v4, v4, v11, s[2:3]
	v_cndmask_b32_e64 v10, v11, v10, s[2:3]
	v_cmp_gt_u32_e64 s[6:7], s15, v4
	v_cmp_le_u32_e64 s[4:5], s17, v10
	s_waitcnt lgkmcnt(0)
	v_cndmask_b32_e64 v15, v14, v13, s[2:3]
	v_cndmask_b32_e64 v14, v12, v14, s[2:3]
	v_cmp_le_i16_e64 s[8:9], v14, v15
	s_and_b64 s[6:7], s[6:7], s[8:9]
	s_or_b64 s[4:5], s[4:5], s[6:7]
	v_cndmask_b32_e64 v11, v10, v4, s[4:5]
	v_cndmask_b32_e64 v16, v5, v8, s[4:5]
	v_add_u32_e32 v11, 1, v11
	v_add_u32_e32 v16, -1, v16
	v_min_u32_e32 v16, v11, v16
	v_lshlrev_b32_e32 v16, 1, v16
	ds_read_u16 v16, v16
	v_cndmask_b32_e64 v4, v4, v11, s[4:5]
	v_cndmask_b32_e64 v10, v11, v10, s[4:5]
	v_cmp_gt_u32_e64 s[8:9], s15, v4
	v_cmp_le_u32_e64 s[6:7], s17, v10
	s_waitcnt lgkmcnt(0)
	v_cndmask_b32_e64 v17, v16, v15, s[4:5]
	v_cndmask_b32_e64 v16, v14, v16, s[4:5]
	v_cmp_le_i16_e64 s[10:11], v16, v17
	s_and_b64 s[8:9], s[8:9], s[10:11]
	s_or_b64 s[6:7], s[6:7], s[8:9]
	v_cndmask_b32_e64 v11, v10, v4, s[6:7]
	v_cndmask_b32_e64 v18, v5, v8, s[6:7]
	v_add_u32_e32 v11, 1, v11
	v_add_u32_e32 v18, -1, v18
	v_min_u32_e32 v18, v11, v18
	v_lshlrev_b32_e32 v18, 1, v18
	ds_read_u16 v18, v18
	v_cndmask_b32_e64 v4, v4, v11, s[6:7]
	v_cndmask_b32_e64 v10, v11, v10, s[6:7]
	v_cmp_gt_u32_e64 s[10:11], s15, v4
	v_cmp_le_u32_e64 s[8:9], s17, v10
	s_waitcnt lgkmcnt(0)
	v_cndmask_b32_e64 v19, v18, v17, s[6:7]
	v_cndmask_b32_e64 v18, v16, v18, s[6:7]
	v_cmp_le_i16_e64 s[12:13], v18, v19
	s_and_b64 s[10:11], s[10:11], s[12:13]
	s_or_b64 s[8:9], s[8:9], s[10:11]
	v_cndmask_b32_e64 v11, v10, v4, s[8:9]
	v_cndmask_b32_e64 v20, v5, v8, s[8:9]
	v_add_u32_e32 v11, 1, v11
	v_add_u32_e32 v20, -1, v20
	v_min_u32_e32 v20, v11, v20
	v_lshlrev_b32_e32 v20, 1, v20
	ds_read_u16 v20, v20
	v_cndmask_b32_e32 v2, v3, v2, vcc
	v_cndmask_b32_e64 v3, v13, v12, s[2:3]
	v_cndmask_b32_e64 v10, v11, v10, s[8:9]
	;; [unrolled: 1-line block ×3, first 2 shown]
	s_waitcnt lgkmcnt(0)
	v_cndmask_b32_e64 v12, v20, v19, s[8:9]
	v_cndmask_b32_e64 v13, v18, v20, s[8:9]
	;; [unrolled: 1-line block ×3, first 2 shown]
	v_cmp_gt_u32_e64 s[0:1], s15, v11
	v_cmp_le_i16_e64 s[2:3], v13, v12
	v_cmp_le_u32_e32 vcc, s17, v10
	s_and_b64 s[0:1], s[0:1], s[2:3]
	s_or_b64 vcc, vcc, s[0:1]
	v_cndmask_b32_e32 v4, v10, v11, vcc
	v_cndmask_b32_e32 v5, v5, v8, vcc
	v_add_u32_e32 v20, 1, v4
	v_add_u32_e32 v4, -1, v5
	v_min_u32_e32 v4, v20, v4
	v_lshlrev_b32_e32 v4, 1, v4
	ds_read_u16 v21, v4
	v_cndmask_b32_e32 v5, v12, v13, vcc
	v_cndmask_b32_e32 v11, v11, v20, vcc
	;; [unrolled: 1-line block ×3, first 2 shown]
	v_cmp_gt_u32_e64 s[0:1], s15, v11
	s_waitcnt lgkmcnt(0)
	v_cndmask_b32_e32 v12, v21, v12, vcc
	v_cndmask_b32_e32 v13, v13, v21, vcc
	v_cmp_le_i16_e64 s[2:3], v13, v12
	v_cmp_le_u32_e32 vcc, s17, v10
	s_and_b64 s[0:1], s[0:1], s[2:3]
	s_or_b64 vcc, vcc, s[0:1]
	v_cndmask_b32_e64 v8, v15, v14, s[4:5]
	v_cndmask_b32_e64 v4, v17, v16, s[6:7]
	;; [unrolled: 1-line block ×3, first 2 shown]
	v_cndmask_b32_e32 v10, v12, v13, vcc
.LBB367_29:
	s_or_b64 exec, exec, s[22:23]
	v_lshrrev_b32_e32 v11, 2, v0
	v_and_b32_e32 v11, 30, v11
	s_mov_b32 s2, 0x5040100
	v_add_lshl_u32 v6, v11, v6, 1
	v_perm_b32 v3, v8, v3, s2
	v_perm_b32 v2, v7, v2, s2
	s_barrier
	s_barrier
	ds_write2_b32 v6, v2, v3 offset1:1
	v_perm_b32 v2, v10, v5, s2
	v_perm_b32 v3, v9, v4, s2
	ds_write2_b32 v6, v3, v2 offset0:2 offset1:3
	v_lshrrev_b32_e32 v2, 4, v0
	v_and_b32_e32 v2, 4, v2
	v_or_b32_e32 v10, 0x80, v0
	v_add_u32_e32 v11, v1, v2
	v_lshrrev_b32_e32 v2, 4, v10
	v_and_b32_e32 v2, 12, v2
	v_or_b32_e32 v9, 0x100, v0
	v_add_u32_e32 v12, v1, v2
	;; [unrolled: 4-line block ×5, first 2 shown]
	v_lshrrev_b32_e32 v2, 4, v6
	v_and_b32_e32 v2, 44, v2
	v_or_b32_e32 v5, 0x300, v0
	s_mov_b32 s17, 0
	v_add_u32_e32 v16, v1, v2
	v_lshrrev_b32_e32 v2, 4, v5
	s_lshl_b64 s[0:1], s[16:17], 1
	v_and_b32_e32 v2, 52, v2
	v_or_b32_e32 v4, 0x380, v0
	s_add_u32 s0, s20, s0
	v_add_u32_e32 v17, v1, v2
	v_lshrrev_b32_e32 v2, 4, v4
	s_addc_u32 s1, s21, s1
	v_and_b32_e32 v2, 60, v2
	v_add_u32_e32 v18, v1, v2
	v_mov_b32_e32 v3, s1
	v_add_co_u32_e32 v2, vcc, s0, v1
	v_addc_co_u32_e32 v3, vcc, 0, v3, vcc
	s_and_b64 vcc, exec, s[18:19]
	s_waitcnt lgkmcnt(0)
	s_cbranch_vccz .LBB367_31
; %bb.30:
	s_barrier
	ds_read_u16 v19, v11
	ds_read_u16 v20, v12 offset:256
	ds_read_u16 v21, v13 offset:512
	;; [unrolled: 1-line block ×7, first 2 shown]
	s_waitcnt lgkmcnt(7)
	global_store_short v[2:3], v19, off
	s_waitcnt lgkmcnt(6)
	global_store_short v[2:3], v20, off offset:256
	s_waitcnt lgkmcnt(5)
	global_store_short v[2:3], v21, off offset:512
	;; [unrolled: 2-line block ×6, first 2 shown]
	s_mov_b64 s[0:1], -1
	s_cbranch_execz .LBB367_32
	s_branch .LBB367_41
.LBB367_31:
	s_mov_b64 s[0:1], 0
                                        ; implicit-def: $vgpr1
.LBB367_32:
	s_barrier
	s_waitcnt lgkmcnt(0)
	ds_read_u16 v21, v12 offset:256
	ds_read_u16 v20, v13 offset:512
	;; [unrolled: 1-line block ×7, first 2 shown]
	s_sub_i32 s2, s14, s16
	v_cmp_gt_u32_e32 vcc, s2, v0
	s_and_saveexec_b64 s[0:1], vcc
	s_cbranch_execnz .LBB367_46
; %bb.33:
	s_or_b64 exec, exec, s[0:1]
	v_cmp_gt_u32_e32 vcc, s2, v10
	s_and_saveexec_b64 s[0:1], vcc
	s_cbranch_execnz .LBB367_47
.LBB367_34:
	s_or_b64 exec, exec, s[0:1]
	v_cmp_gt_u32_e32 vcc, s2, v9
	s_and_saveexec_b64 s[0:1], vcc
	s_cbranch_execnz .LBB367_48
.LBB367_35:
	s_or_b64 exec, exec, s[0:1]
	v_cmp_gt_u32_e32 vcc, s2, v8
	s_and_saveexec_b64 s[0:1], vcc
	s_cbranch_execnz .LBB367_49
.LBB367_36:
	s_or_b64 exec, exec, s[0:1]
	v_cmp_gt_u32_e32 vcc, s2, v7
	s_and_saveexec_b64 s[0:1], vcc
	s_cbranch_execnz .LBB367_50
.LBB367_37:
	s_or_b64 exec, exec, s[0:1]
	v_cmp_gt_u32_e32 vcc, s2, v6
	s_and_saveexec_b64 s[0:1], vcc
	s_cbranch_execnz .LBB367_51
.LBB367_38:
	s_or_b64 exec, exec, s[0:1]
	v_cmp_gt_u32_e32 vcc, s2, v5
	s_and_saveexec_b64 s[0:1], vcc
	s_cbranch_execz .LBB367_40
.LBB367_39:
	s_waitcnt lgkmcnt(1)
	global_store_short v[2:3], v12, off offset:1536
.LBB367_40:
	s_or_b64 exec, exec, s[0:1]
	v_cmp_gt_u32_e64 s[0:1], s2, v4
.LBB367_41:
	s_and_saveexec_b64 s[2:3], s[0:1]
	s_cbranch_execz .LBB367_43
; %bb.42:
	s_waitcnt lgkmcnt(0)
	global_store_short v[2:3], v1, off offset:1792
.LBB367_43:
	s_endpgm
.LBB367_44:
	v_mov_b32_e32 v2, s12
	v_add_co_u32_e32 v4, vcc, s11, v1
	v_mov_b32_e32 v3, 0
	v_addc_co_u32_e32 v5, vcc, 0, v2, vcc
	v_subrev_u32_e32 v2, s15, v0
	v_lshlrev_b64 v[2:3], 1, v[2:3]
	v_mov_b32_e32 v7, s9
	v_add_co_u32_e32 v2, vcc, s8, v2
	v_addc_co_u32_e32 v3, vcc, v7, v3, vcc
	v_cmp_gt_u32_e32 vcc, s15, v0
	v_cndmask_b32_e32 v3, v3, v5, vcc
	v_cndmask_b32_e32 v2, v2, v4, vcc
	global_load_ushort v2, v[2:3], off
	s_or_b64 exec, exec, s[0:1]
	v_cmp_gt_u32_e32 vcc, s17, v8
	s_and_saveexec_b64 s[2:3], vcc
	s_cbranch_execz .LBB367_6
.LBB367_45:
	v_mov_b32_e32 v9, 0
	v_lshlrev_b64 v[12:13], 1, v[8:9]
	v_mov_b32_e32 v7, s12
	v_add_co_u32_e32 v11, vcc, s11, v12
	v_addc_co_u32_e32 v7, vcc, v7, v13, vcc
	v_cmp_gt_u32_e32 vcc, s15, v8
	v_subrev_u32_e32 v8, s15, v8
	v_lshlrev_b64 v[8:9], 1, v[8:9]
	v_mov_b32_e32 v12, s9
	v_add_co_u32_e64 v8, s[0:1], s8, v8
	v_addc_co_u32_e64 v9, s[0:1], v12, v9, s[0:1]
	v_cndmask_b32_e32 v9, v9, v7, vcc
	v_cndmask_b32_e32 v8, v8, v11, vcc
	global_load_ushort v7, v[8:9], off
	s_mov_b32 s0, 0x5040100
	s_waitcnt vmcnt(0)
	v_perm_b32 v2, v7, v2, s0
	s_or_b64 exec, exec, s[2:3]
	v_cmp_gt_u32_e32 vcc, s17, v6
	s_and_saveexec_b64 s[0:1], vcc
	s_cbranch_execnz .LBB367_7
	s_branch .LBB367_8
.LBB367_46:
	ds_read_u16 v0, v11
	s_waitcnt lgkmcnt(0)
	global_store_short v[2:3], v0, off
	s_or_b64 exec, exec, s[0:1]
	v_cmp_gt_u32_e32 vcc, s2, v10
	s_and_saveexec_b64 s[0:1], vcc
	s_cbranch_execz .LBB367_34
.LBB367_47:
	s_waitcnt lgkmcnt(6)
	global_store_short v[2:3], v21, off offset:256
	s_or_b64 exec, exec, s[0:1]
	v_cmp_gt_u32_e32 vcc, s2, v9
	s_and_saveexec_b64 s[0:1], vcc
	s_cbranch_execz .LBB367_35
.LBB367_48:
	s_waitcnt lgkmcnt(5)
	global_store_short v[2:3], v20, off offset:512
	s_or_b64 exec, exec, s[0:1]
	v_cmp_gt_u32_e32 vcc, s2, v8
	s_and_saveexec_b64 s[0:1], vcc
	s_cbranch_execz .LBB367_36
.LBB367_49:
	s_waitcnt lgkmcnt(4)
	global_store_short v[2:3], v19, off offset:768
	s_or_b64 exec, exec, s[0:1]
	v_cmp_gt_u32_e32 vcc, s2, v7
	s_and_saveexec_b64 s[0:1], vcc
	s_cbranch_execz .LBB367_37
.LBB367_50:
	s_waitcnt lgkmcnt(3)
	global_store_short v[2:3], v14, off offset:1024
	s_or_b64 exec, exec, s[0:1]
	v_cmp_gt_u32_e32 vcc, s2, v6
	s_and_saveexec_b64 s[0:1], vcc
	s_cbranch_execz .LBB367_38
.LBB367_51:
	s_waitcnt lgkmcnt(2)
	global_store_short v[2:3], v13, off offset:1280
	s_or_b64 exec, exec, s[0:1]
	v_cmp_gt_u32_e32 vcc, s2, v5
	s_and_saveexec_b64 s[0:1], vcc
	s_cbranch_execnz .LBB367_39
	s_branch .LBB367_40
	.section	.rodata,"a",@progbits
	.p2align	6, 0x0
	.amdhsa_kernel _ZN7rocprim17ROCPRIM_400000_NS6detail17trampoline_kernelINS0_14default_configENS1_38merge_sort_block_merge_config_selectorIsNS0_10empty_typeEEEZZNS1_27merge_sort_block_merge_implIS3_PsPS5_jNS1_19radix_merge_compareILb0ELb0EsNS0_19identity_decomposerEEEEE10hipError_tT0_T1_T2_jT3_P12ihipStream_tbPNSt15iterator_traitsISE_E10value_typeEPNSK_ISF_E10value_typeEPSG_NS1_7vsmem_tEENKUlT_SE_SF_SG_E_clIS8_S8_S9_S9_EESD_ST_SE_SF_SG_EUlST_E0_NS1_11comp_targetILNS1_3genE4ELNS1_11target_archE910ELNS1_3gpuE8ELNS1_3repE0EEENS1_38merge_mergepath_config_static_selectorELNS0_4arch9wavefront6targetE1EEEvSF_
		.amdhsa_group_segment_fixed_size 2112
		.amdhsa_private_segment_fixed_size 0
		.amdhsa_kernarg_size 320
		.amdhsa_user_sgpr_count 6
		.amdhsa_user_sgpr_private_segment_buffer 1
		.amdhsa_user_sgpr_dispatch_ptr 0
		.amdhsa_user_sgpr_queue_ptr 0
		.amdhsa_user_sgpr_kernarg_segment_ptr 1
		.amdhsa_user_sgpr_dispatch_id 0
		.amdhsa_user_sgpr_flat_scratch_init 0
		.amdhsa_user_sgpr_kernarg_preload_length 0
		.amdhsa_user_sgpr_kernarg_preload_offset 0
		.amdhsa_user_sgpr_private_segment_size 0
		.amdhsa_uses_dynamic_stack 0
		.amdhsa_system_sgpr_private_segment_wavefront_offset 0
		.amdhsa_system_sgpr_workgroup_id_x 1
		.amdhsa_system_sgpr_workgroup_id_y 1
		.amdhsa_system_sgpr_workgroup_id_z 1
		.amdhsa_system_sgpr_workgroup_info 0
		.amdhsa_system_vgpr_workitem_id 0
		.amdhsa_next_free_vgpr 26
		.amdhsa_next_free_sgpr 24
		.amdhsa_accum_offset 28
		.amdhsa_reserve_vcc 1
		.amdhsa_reserve_flat_scratch 0
		.amdhsa_float_round_mode_32 0
		.amdhsa_float_round_mode_16_64 0
		.amdhsa_float_denorm_mode_32 3
		.amdhsa_float_denorm_mode_16_64 3
		.amdhsa_dx10_clamp 1
		.amdhsa_ieee_mode 1
		.amdhsa_fp16_overflow 0
		.amdhsa_tg_split 0
		.amdhsa_exception_fp_ieee_invalid_op 0
		.amdhsa_exception_fp_denorm_src 0
		.amdhsa_exception_fp_ieee_div_zero 0
		.amdhsa_exception_fp_ieee_overflow 0
		.amdhsa_exception_fp_ieee_underflow 0
		.amdhsa_exception_fp_ieee_inexact 0
		.amdhsa_exception_int_div_zero 0
	.end_amdhsa_kernel
	.section	.text._ZN7rocprim17ROCPRIM_400000_NS6detail17trampoline_kernelINS0_14default_configENS1_38merge_sort_block_merge_config_selectorIsNS0_10empty_typeEEEZZNS1_27merge_sort_block_merge_implIS3_PsPS5_jNS1_19radix_merge_compareILb0ELb0EsNS0_19identity_decomposerEEEEE10hipError_tT0_T1_T2_jT3_P12ihipStream_tbPNSt15iterator_traitsISE_E10value_typeEPNSK_ISF_E10value_typeEPSG_NS1_7vsmem_tEENKUlT_SE_SF_SG_E_clIS8_S8_S9_S9_EESD_ST_SE_SF_SG_EUlST_E0_NS1_11comp_targetILNS1_3genE4ELNS1_11target_archE910ELNS1_3gpuE8ELNS1_3repE0EEENS1_38merge_mergepath_config_static_selectorELNS0_4arch9wavefront6targetE1EEEvSF_,"axG",@progbits,_ZN7rocprim17ROCPRIM_400000_NS6detail17trampoline_kernelINS0_14default_configENS1_38merge_sort_block_merge_config_selectorIsNS0_10empty_typeEEEZZNS1_27merge_sort_block_merge_implIS3_PsPS5_jNS1_19radix_merge_compareILb0ELb0EsNS0_19identity_decomposerEEEEE10hipError_tT0_T1_T2_jT3_P12ihipStream_tbPNSt15iterator_traitsISE_E10value_typeEPNSK_ISF_E10value_typeEPSG_NS1_7vsmem_tEENKUlT_SE_SF_SG_E_clIS8_S8_S9_S9_EESD_ST_SE_SF_SG_EUlST_E0_NS1_11comp_targetILNS1_3genE4ELNS1_11target_archE910ELNS1_3gpuE8ELNS1_3repE0EEENS1_38merge_mergepath_config_static_selectorELNS0_4arch9wavefront6targetE1EEEvSF_,comdat
.Lfunc_end367:
	.size	_ZN7rocprim17ROCPRIM_400000_NS6detail17trampoline_kernelINS0_14default_configENS1_38merge_sort_block_merge_config_selectorIsNS0_10empty_typeEEEZZNS1_27merge_sort_block_merge_implIS3_PsPS5_jNS1_19radix_merge_compareILb0ELb0EsNS0_19identity_decomposerEEEEE10hipError_tT0_T1_T2_jT3_P12ihipStream_tbPNSt15iterator_traitsISE_E10value_typeEPNSK_ISF_E10value_typeEPSG_NS1_7vsmem_tEENKUlT_SE_SF_SG_E_clIS8_S8_S9_S9_EESD_ST_SE_SF_SG_EUlST_E0_NS1_11comp_targetILNS1_3genE4ELNS1_11target_archE910ELNS1_3gpuE8ELNS1_3repE0EEENS1_38merge_mergepath_config_static_selectorELNS0_4arch9wavefront6targetE1EEEvSF_, .Lfunc_end367-_ZN7rocprim17ROCPRIM_400000_NS6detail17trampoline_kernelINS0_14default_configENS1_38merge_sort_block_merge_config_selectorIsNS0_10empty_typeEEEZZNS1_27merge_sort_block_merge_implIS3_PsPS5_jNS1_19radix_merge_compareILb0ELb0EsNS0_19identity_decomposerEEEEE10hipError_tT0_T1_T2_jT3_P12ihipStream_tbPNSt15iterator_traitsISE_E10value_typeEPNSK_ISF_E10value_typeEPSG_NS1_7vsmem_tEENKUlT_SE_SF_SG_E_clIS8_S8_S9_S9_EESD_ST_SE_SF_SG_EUlST_E0_NS1_11comp_targetILNS1_3genE4ELNS1_11target_archE910ELNS1_3gpuE8ELNS1_3repE0EEENS1_38merge_mergepath_config_static_selectorELNS0_4arch9wavefront6targetE1EEEvSF_
                                        ; -- End function
	.section	.AMDGPU.csdata,"",@progbits
; Kernel info:
; codeLenInByte = 3836
; NumSgprs: 28
; NumVgprs: 26
; NumAgprs: 0
; TotalNumVgprs: 26
; ScratchSize: 0
; MemoryBound: 0
; FloatMode: 240
; IeeeMode: 1
; LDSByteSize: 2112 bytes/workgroup (compile time only)
; SGPRBlocks: 3
; VGPRBlocks: 3
; NumSGPRsForWavesPerEU: 28
; NumVGPRsForWavesPerEU: 26
; AccumOffset: 28
; Occupancy: 8
; WaveLimiterHint : 1
; COMPUTE_PGM_RSRC2:SCRATCH_EN: 0
; COMPUTE_PGM_RSRC2:USER_SGPR: 6
; COMPUTE_PGM_RSRC2:TRAP_HANDLER: 0
; COMPUTE_PGM_RSRC2:TGID_X_EN: 1
; COMPUTE_PGM_RSRC2:TGID_Y_EN: 1
; COMPUTE_PGM_RSRC2:TGID_Z_EN: 1
; COMPUTE_PGM_RSRC2:TIDIG_COMP_CNT: 0
; COMPUTE_PGM_RSRC3_GFX90A:ACCUM_OFFSET: 6
; COMPUTE_PGM_RSRC3_GFX90A:TG_SPLIT: 0
	.section	.text._ZN7rocprim17ROCPRIM_400000_NS6detail17trampoline_kernelINS0_14default_configENS1_38merge_sort_block_merge_config_selectorIsNS0_10empty_typeEEEZZNS1_27merge_sort_block_merge_implIS3_PsPS5_jNS1_19radix_merge_compareILb0ELb0EsNS0_19identity_decomposerEEEEE10hipError_tT0_T1_T2_jT3_P12ihipStream_tbPNSt15iterator_traitsISE_E10value_typeEPNSK_ISF_E10value_typeEPSG_NS1_7vsmem_tEENKUlT_SE_SF_SG_E_clIS8_S8_S9_S9_EESD_ST_SE_SF_SG_EUlST_E0_NS1_11comp_targetILNS1_3genE3ELNS1_11target_archE908ELNS1_3gpuE7ELNS1_3repE0EEENS1_38merge_mergepath_config_static_selectorELNS0_4arch9wavefront6targetE1EEEvSF_,"axG",@progbits,_ZN7rocprim17ROCPRIM_400000_NS6detail17trampoline_kernelINS0_14default_configENS1_38merge_sort_block_merge_config_selectorIsNS0_10empty_typeEEEZZNS1_27merge_sort_block_merge_implIS3_PsPS5_jNS1_19radix_merge_compareILb0ELb0EsNS0_19identity_decomposerEEEEE10hipError_tT0_T1_T2_jT3_P12ihipStream_tbPNSt15iterator_traitsISE_E10value_typeEPNSK_ISF_E10value_typeEPSG_NS1_7vsmem_tEENKUlT_SE_SF_SG_E_clIS8_S8_S9_S9_EESD_ST_SE_SF_SG_EUlST_E0_NS1_11comp_targetILNS1_3genE3ELNS1_11target_archE908ELNS1_3gpuE7ELNS1_3repE0EEENS1_38merge_mergepath_config_static_selectorELNS0_4arch9wavefront6targetE1EEEvSF_,comdat
	.protected	_ZN7rocprim17ROCPRIM_400000_NS6detail17trampoline_kernelINS0_14default_configENS1_38merge_sort_block_merge_config_selectorIsNS0_10empty_typeEEEZZNS1_27merge_sort_block_merge_implIS3_PsPS5_jNS1_19radix_merge_compareILb0ELb0EsNS0_19identity_decomposerEEEEE10hipError_tT0_T1_T2_jT3_P12ihipStream_tbPNSt15iterator_traitsISE_E10value_typeEPNSK_ISF_E10value_typeEPSG_NS1_7vsmem_tEENKUlT_SE_SF_SG_E_clIS8_S8_S9_S9_EESD_ST_SE_SF_SG_EUlST_E0_NS1_11comp_targetILNS1_3genE3ELNS1_11target_archE908ELNS1_3gpuE7ELNS1_3repE0EEENS1_38merge_mergepath_config_static_selectorELNS0_4arch9wavefront6targetE1EEEvSF_ ; -- Begin function _ZN7rocprim17ROCPRIM_400000_NS6detail17trampoline_kernelINS0_14default_configENS1_38merge_sort_block_merge_config_selectorIsNS0_10empty_typeEEEZZNS1_27merge_sort_block_merge_implIS3_PsPS5_jNS1_19radix_merge_compareILb0ELb0EsNS0_19identity_decomposerEEEEE10hipError_tT0_T1_T2_jT3_P12ihipStream_tbPNSt15iterator_traitsISE_E10value_typeEPNSK_ISF_E10value_typeEPSG_NS1_7vsmem_tEENKUlT_SE_SF_SG_E_clIS8_S8_S9_S9_EESD_ST_SE_SF_SG_EUlST_E0_NS1_11comp_targetILNS1_3genE3ELNS1_11target_archE908ELNS1_3gpuE7ELNS1_3repE0EEENS1_38merge_mergepath_config_static_selectorELNS0_4arch9wavefront6targetE1EEEvSF_
	.globl	_ZN7rocprim17ROCPRIM_400000_NS6detail17trampoline_kernelINS0_14default_configENS1_38merge_sort_block_merge_config_selectorIsNS0_10empty_typeEEEZZNS1_27merge_sort_block_merge_implIS3_PsPS5_jNS1_19radix_merge_compareILb0ELb0EsNS0_19identity_decomposerEEEEE10hipError_tT0_T1_T2_jT3_P12ihipStream_tbPNSt15iterator_traitsISE_E10value_typeEPNSK_ISF_E10value_typeEPSG_NS1_7vsmem_tEENKUlT_SE_SF_SG_E_clIS8_S8_S9_S9_EESD_ST_SE_SF_SG_EUlST_E0_NS1_11comp_targetILNS1_3genE3ELNS1_11target_archE908ELNS1_3gpuE7ELNS1_3repE0EEENS1_38merge_mergepath_config_static_selectorELNS0_4arch9wavefront6targetE1EEEvSF_
	.p2align	8
	.type	_ZN7rocprim17ROCPRIM_400000_NS6detail17trampoline_kernelINS0_14default_configENS1_38merge_sort_block_merge_config_selectorIsNS0_10empty_typeEEEZZNS1_27merge_sort_block_merge_implIS3_PsPS5_jNS1_19radix_merge_compareILb0ELb0EsNS0_19identity_decomposerEEEEE10hipError_tT0_T1_T2_jT3_P12ihipStream_tbPNSt15iterator_traitsISE_E10value_typeEPNSK_ISF_E10value_typeEPSG_NS1_7vsmem_tEENKUlT_SE_SF_SG_E_clIS8_S8_S9_S9_EESD_ST_SE_SF_SG_EUlST_E0_NS1_11comp_targetILNS1_3genE3ELNS1_11target_archE908ELNS1_3gpuE7ELNS1_3repE0EEENS1_38merge_mergepath_config_static_selectorELNS0_4arch9wavefront6targetE1EEEvSF_,@function
_ZN7rocprim17ROCPRIM_400000_NS6detail17trampoline_kernelINS0_14default_configENS1_38merge_sort_block_merge_config_selectorIsNS0_10empty_typeEEEZZNS1_27merge_sort_block_merge_implIS3_PsPS5_jNS1_19radix_merge_compareILb0ELb0EsNS0_19identity_decomposerEEEEE10hipError_tT0_T1_T2_jT3_P12ihipStream_tbPNSt15iterator_traitsISE_E10value_typeEPNSK_ISF_E10value_typeEPSG_NS1_7vsmem_tEENKUlT_SE_SF_SG_E_clIS8_S8_S9_S9_EESD_ST_SE_SF_SG_EUlST_E0_NS1_11comp_targetILNS1_3genE3ELNS1_11target_archE908ELNS1_3gpuE7ELNS1_3repE0EEENS1_38merge_mergepath_config_static_selectorELNS0_4arch9wavefront6targetE1EEEvSF_: ; @_ZN7rocprim17ROCPRIM_400000_NS6detail17trampoline_kernelINS0_14default_configENS1_38merge_sort_block_merge_config_selectorIsNS0_10empty_typeEEEZZNS1_27merge_sort_block_merge_implIS3_PsPS5_jNS1_19radix_merge_compareILb0ELb0EsNS0_19identity_decomposerEEEEE10hipError_tT0_T1_T2_jT3_P12ihipStream_tbPNSt15iterator_traitsISE_E10value_typeEPNSK_ISF_E10value_typeEPSG_NS1_7vsmem_tEENKUlT_SE_SF_SG_E_clIS8_S8_S9_S9_EESD_ST_SE_SF_SG_EUlST_E0_NS1_11comp_targetILNS1_3genE3ELNS1_11target_archE908ELNS1_3gpuE7ELNS1_3repE0EEENS1_38merge_mergepath_config_static_selectorELNS0_4arch9wavefront6targetE1EEEvSF_
; %bb.0:
	.section	.rodata,"a",@progbits
	.p2align	6, 0x0
	.amdhsa_kernel _ZN7rocprim17ROCPRIM_400000_NS6detail17trampoline_kernelINS0_14default_configENS1_38merge_sort_block_merge_config_selectorIsNS0_10empty_typeEEEZZNS1_27merge_sort_block_merge_implIS3_PsPS5_jNS1_19radix_merge_compareILb0ELb0EsNS0_19identity_decomposerEEEEE10hipError_tT0_T1_T2_jT3_P12ihipStream_tbPNSt15iterator_traitsISE_E10value_typeEPNSK_ISF_E10value_typeEPSG_NS1_7vsmem_tEENKUlT_SE_SF_SG_E_clIS8_S8_S9_S9_EESD_ST_SE_SF_SG_EUlST_E0_NS1_11comp_targetILNS1_3genE3ELNS1_11target_archE908ELNS1_3gpuE7ELNS1_3repE0EEENS1_38merge_mergepath_config_static_selectorELNS0_4arch9wavefront6targetE1EEEvSF_
		.amdhsa_group_segment_fixed_size 0
		.amdhsa_private_segment_fixed_size 0
		.amdhsa_kernarg_size 64
		.amdhsa_user_sgpr_count 6
		.amdhsa_user_sgpr_private_segment_buffer 1
		.amdhsa_user_sgpr_dispatch_ptr 0
		.amdhsa_user_sgpr_queue_ptr 0
		.amdhsa_user_sgpr_kernarg_segment_ptr 1
		.amdhsa_user_sgpr_dispatch_id 0
		.amdhsa_user_sgpr_flat_scratch_init 0
		.amdhsa_user_sgpr_kernarg_preload_length 0
		.amdhsa_user_sgpr_kernarg_preload_offset 0
		.amdhsa_user_sgpr_private_segment_size 0
		.amdhsa_uses_dynamic_stack 0
		.amdhsa_system_sgpr_private_segment_wavefront_offset 0
		.amdhsa_system_sgpr_workgroup_id_x 1
		.amdhsa_system_sgpr_workgroup_id_y 0
		.amdhsa_system_sgpr_workgroup_id_z 0
		.amdhsa_system_sgpr_workgroup_info 0
		.amdhsa_system_vgpr_workitem_id 0
		.amdhsa_next_free_vgpr 1
		.amdhsa_next_free_sgpr 0
		.amdhsa_accum_offset 4
		.amdhsa_reserve_vcc 0
		.amdhsa_reserve_flat_scratch 0
		.amdhsa_float_round_mode_32 0
		.amdhsa_float_round_mode_16_64 0
		.amdhsa_float_denorm_mode_32 3
		.amdhsa_float_denorm_mode_16_64 3
		.amdhsa_dx10_clamp 1
		.amdhsa_ieee_mode 1
		.amdhsa_fp16_overflow 0
		.amdhsa_tg_split 0
		.amdhsa_exception_fp_ieee_invalid_op 0
		.amdhsa_exception_fp_denorm_src 0
		.amdhsa_exception_fp_ieee_div_zero 0
		.amdhsa_exception_fp_ieee_overflow 0
		.amdhsa_exception_fp_ieee_underflow 0
		.amdhsa_exception_fp_ieee_inexact 0
		.amdhsa_exception_int_div_zero 0
	.end_amdhsa_kernel
	.section	.text._ZN7rocprim17ROCPRIM_400000_NS6detail17trampoline_kernelINS0_14default_configENS1_38merge_sort_block_merge_config_selectorIsNS0_10empty_typeEEEZZNS1_27merge_sort_block_merge_implIS3_PsPS5_jNS1_19radix_merge_compareILb0ELb0EsNS0_19identity_decomposerEEEEE10hipError_tT0_T1_T2_jT3_P12ihipStream_tbPNSt15iterator_traitsISE_E10value_typeEPNSK_ISF_E10value_typeEPSG_NS1_7vsmem_tEENKUlT_SE_SF_SG_E_clIS8_S8_S9_S9_EESD_ST_SE_SF_SG_EUlST_E0_NS1_11comp_targetILNS1_3genE3ELNS1_11target_archE908ELNS1_3gpuE7ELNS1_3repE0EEENS1_38merge_mergepath_config_static_selectorELNS0_4arch9wavefront6targetE1EEEvSF_,"axG",@progbits,_ZN7rocprim17ROCPRIM_400000_NS6detail17trampoline_kernelINS0_14default_configENS1_38merge_sort_block_merge_config_selectorIsNS0_10empty_typeEEEZZNS1_27merge_sort_block_merge_implIS3_PsPS5_jNS1_19radix_merge_compareILb0ELb0EsNS0_19identity_decomposerEEEEE10hipError_tT0_T1_T2_jT3_P12ihipStream_tbPNSt15iterator_traitsISE_E10value_typeEPNSK_ISF_E10value_typeEPSG_NS1_7vsmem_tEENKUlT_SE_SF_SG_E_clIS8_S8_S9_S9_EESD_ST_SE_SF_SG_EUlST_E0_NS1_11comp_targetILNS1_3genE3ELNS1_11target_archE908ELNS1_3gpuE7ELNS1_3repE0EEENS1_38merge_mergepath_config_static_selectorELNS0_4arch9wavefront6targetE1EEEvSF_,comdat
.Lfunc_end368:
	.size	_ZN7rocprim17ROCPRIM_400000_NS6detail17trampoline_kernelINS0_14default_configENS1_38merge_sort_block_merge_config_selectorIsNS0_10empty_typeEEEZZNS1_27merge_sort_block_merge_implIS3_PsPS5_jNS1_19radix_merge_compareILb0ELb0EsNS0_19identity_decomposerEEEEE10hipError_tT0_T1_T2_jT3_P12ihipStream_tbPNSt15iterator_traitsISE_E10value_typeEPNSK_ISF_E10value_typeEPSG_NS1_7vsmem_tEENKUlT_SE_SF_SG_E_clIS8_S8_S9_S9_EESD_ST_SE_SF_SG_EUlST_E0_NS1_11comp_targetILNS1_3genE3ELNS1_11target_archE908ELNS1_3gpuE7ELNS1_3repE0EEENS1_38merge_mergepath_config_static_selectorELNS0_4arch9wavefront6targetE1EEEvSF_, .Lfunc_end368-_ZN7rocprim17ROCPRIM_400000_NS6detail17trampoline_kernelINS0_14default_configENS1_38merge_sort_block_merge_config_selectorIsNS0_10empty_typeEEEZZNS1_27merge_sort_block_merge_implIS3_PsPS5_jNS1_19radix_merge_compareILb0ELb0EsNS0_19identity_decomposerEEEEE10hipError_tT0_T1_T2_jT3_P12ihipStream_tbPNSt15iterator_traitsISE_E10value_typeEPNSK_ISF_E10value_typeEPSG_NS1_7vsmem_tEENKUlT_SE_SF_SG_E_clIS8_S8_S9_S9_EESD_ST_SE_SF_SG_EUlST_E0_NS1_11comp_targetILNS1_3genE3ELNS1_11target_archE908ELNS1_3gpuE7ELNS1_3repE0EEENS1_38merge_mergepath_config_static_selectorELNS0_4arch9wavefront6targetE1EEEvSF_
                                        ; -- End function
	.section	.AMDGPU.csdata,"",@progbits
; Kernel info:
; codeLenInByte = 0
; NumSgprs: 4
; NumVgprs: 0
; NumAgprs: 0
; TotalNumVgprs: 0
; ScratchSize: 0
; MemoryBound: 0
; FloatMode: 240
; IeeeMode: 1
; LDSByteSize: 0 bytes/workgroup (compile time only)
; SGPRBlocks: 0
; VGPRBlocks: 0
; NumSGPRsForWavesPerEU: 4
; NumVGPRsForWavesPerEU: 1
; AccumOffset: 4
; Occupancy: 8
; WaveLimiterHint : 0
; COMPUTE_PGM_RSRC2:SCRATCH_EN: 0
; COMPUTE_PGM_RSRC2:USER_SGPR: 6
; COMPUTE_PGM_RSRC2:TRAP_HANDLER: 0
; COMPUTE_PGM_RSRC2:TGID_X_EN: 1
; COMPUTE_PGM_RSRC2:TGID_Y_EN: 0
; COMPUTE_PGM_RSRC2:TGID_Z_EN: 0
; COMPUTE_PGM_RSRC2:TIDIG_COMP_CNT: 0
; COMPUTE_PGM_RSRC3_GFX90A:ACCUM_OFFSET: 0
; COMPUTE_PGM_RSRC3_GFX90A:TG_SPLIT: 0
	.section	.text._ZN7rocprim17ROCPRIM_400000_NS6detail17trampoline_kernelINS0_14default_configENS1_38merge_sort_block_merge_config_selectorIsNS0_10empty_typeEEEZZNS1_27merge_sort_block_merge_implIS3_PsPS5_jNS1_19radix_merge_compareILb0ELb0EsNS0_19identity_decomposerEEEEE10hipError_tT0_T1_T2_jT3_P12ihipStream_tbPNSt15iterator_traitsISE_E10value_typeEPNSK_ISF_E10value_typeEPSG_NS1_7vsmem_tEENKUlT_SE_SF_SG_E_clIS8_S8_S9_S9_EESD_ST_SE_SF_SG_EUlST_E0_NS1_11comp_targetILNS1_3genE2ELNS1_11target_archE906ELNS1_3gpuE6ELNS1_3repE0EEENS1_38merge_mergepath_config_static_selectorELNS0_4arch9wavefront6targetE1EEEvSF_,"axG",@progbits,_ZN7rocprim17ROCPRIM_400000_NS6detail17trampoline_kernelINS0_14default_configENS1_38merge_sort_block_merge_config_selectorIsNS0_10empty_typeEEEZZNS1_27merge_sort_block_merge_implIS3_PsPS5_jNS1_19radix_merge_compareILb0ELb0EsNS0_19identity_decomposerEEEEE10hipError_tT0_T1_T2_jT3_P12ihipStream_tbPNSt15iterator_traitsISE_E10value_typeEPNSK_ISF_E10value_typeEPSG_NS1_7vsmem_tEENKUlT_SE_SF_SG_E_clIS8_S8_S9_S9_EESD_ST_SE_SF_SG_EUlST_E0_NS1_11comp_targetILNS1_3genE2ELNS1_11target_archE906ELNS1_3gpuE6ELNS1_3repE0EEENS1_38merge_mergepath_config_static_selectorELNS0_4arch9wavefront6targetE1EEEvSF_,comdat
	.protected	_ZN7rocprim17ROCPRIM_400000_NS6detail17trampoline_kernelINS0_14default_configENS1_38merge_sort_block_merge_config_selectorIsNS0_10empty_typeEEEZZNS1_27merge_sort_block_merge_implIS3_PsPS5_jNS1_19radix_merge_compareILb0ELb0EsNS0_19identity_decomposerEEEEE10hipError_tT0_T1_T2_jT3_P12ihipStream_tbPNSt15iterator_traitsISE_E10value_typeEPNSK_ISF_E10value_typeEPSG_NS1_7vsmem_tEENKUlT_SE_SF_SG_E_clIS8_S8_S9_S9_EESD_ST_SE_SF_SG_EUlST_E0_NS1_11comp_targetILNS1_3genE2ELNS1_11target_archE906ELNS1_3gpuE6ELNS1_3repE0EEENS1_38merge_mergepath_config_static_selectorELNS0_4arch9wavefront6targetE1EEEvSF_ ; -- Begin function _ZN7rocprim17ROCPRIM_400000_NS6detail17trampoline_kernelINS0_14default_configENS1_38merge_sort_block_merge_config_selectorIsNS0_10empty_typeEEEZZNS1_27merge_sort_block_merge_implIS3_PsPS5_jNS1_19radix_merge_compareILb0ELb0EsNS0_19identity_decomposerEEEEE10hipError_tT0_T1_T2_jT3_P12ihipStream_tbPNSt15iterator_traitsISE_E10value_typeEPNSK_ISF_E10value_typeEPSG_NS1_7vsmem_tEENKUlT_SE_SF_SG_E_clIS8_S8_S9_S9_EESD_ST_SE_SF_SG_EUlST_E0_NS1_11comp_targetILNS1_3genE2ELNS1_11target_archE906ELNS1_3gpuE6ELNS1_3repE0EEENS1_38merge_mergepath_config_static_selectorELNS0_4arch9wavefront6targetE1EEEvSF_
	.globl	_ZN7rocprim17ROCPRIM_400000_NS6detail17trampoline_kernelINS0_14default_configENS1_38merge_sort_block_merge_config_selectorIsNS0_10empty_typeEEEZZNS1_27merge_sort_block_merge_implIS3_PsPS5_jNS1_19radix_merge_compareILb0ELb0EsNS0_19identity_decomposerEEEEE10hipError_tT0_T1_T2_jT3_P12ihipStream_tbPNSt15iterator_traitsISE_E10value_typeEPNSK_ISF_E10value_typeEPSG_NS1_7vsmem_tEENKUlT_SE_SF_SG_E_clIS8_S8_S9_S9_EESD_ST_SE_SF_SG_EUlST_E0_NS1_11comp_targetILNS1_3genE2ELNS1_11target_archE906ELNS1_3gpuE6ELNS1_3repE0EEENS1_38merge_mergepath_config_static_selectorELNS0_4arch9wavefront6targetE1EEEvSF_
	.p2align	8
	.type	_ZN7rocprim17ROCPRIM_400000_NS6detail17trampoline_kernelINS0_14default_configENS1_38merge_sort_block_merge_config_selectorIsNS0_10empty_typeEEEZZNS1_27merge_sort_block_merge_implIS3_PsPS5_jNS1_19radix_merge_compareILb0ELb0EsNS0_19identity_decomposerEEEEE10hipError_tT0_T1_T2_jT3_P12ihipStream_tbPNSt15iterator_traitsISE_E10value_typeEPNSK_ISF_E10value_typeEPSG_NS1_7vsmem_tEENKUlT_SE_SF_SG_E_clIS8_S8_S9_S9_EESD_ST_SE_SF_SG_EUlST_E0_NS1_11comp_targetILNS1_3genE2ELNS1_11target_archE906ELNS1_3gpuE6ELNS1_3repE0EEENS1_38merge_mergepath_config_static_selectorELNS0_4arch9wavefront6targetE1EEEvSF_,@function
_ZN7rocprim17ROCPRIM_400000_NS6detail17trampoline_kernelINS0_14default_configENS1_38merge_sort_block_merge_config_selectorIsNS0_10empty_typeEEEZZNS1_27merge_sort_block_merge_implIS3_PsPS5_jNS1_19radix_merge_compareILb0ELb0EsNS0_19identity_decomposerEEEEE10hipError_tT0_T1_T2_jT3_P12ihipStream_tbPNSt15iterator_traitsISE_E10value_typeEPNSK_ISF_E10value_typeEPSG_NS1_7vsmem_tEENKUlT_SE_SF_SG_E_clIS8_S8_S9_S9_EESD_ST_SE_SF_SG_EUlST_E0_NS1_11comp_targetILNS1_3genE2ELNS1_11target_archE906ELNS1_3gpuE6ELNS1_3repE0EEENS1_38merge_mergepath_config_static_selectorELNS0_4arch9wavefront6targetE1EEEvSF_: ; @_ZN7rocprim17ROCPRIM_400000_NS6detail17trampoline_kernelINS0_14default_configENS1_38merge_sort_block_merge_config_selectorIsNS0_10empty_typeEEEZZNS1_27merge_sort_block_merge_implIS3_PsPS5_jNS1_19radix_merge_compareILb0ELb0EsNS0_19identity_decomposerEEEEE10hipError_tT0_T1_T2_jT3_P12ihipStream_tbPNSt15iterator_traitsISE_E10value_typeEPNSK_ISF_E10value_typeEPSG_NS1_7vsmem_tEENKUlT_SE_SF_SG_E_clIS8_S8_S9_S9_EESD_ST_SE_SF_SG_EUlST_E0_NS1_11comp_targetILNS1_3genE2ELNS1_11target_archE906ELNS1_3gpuE6ELNS1_3repE0EEENS1_38merge_mergepath_config_static_selectorELNS0_4arch9wavefront6targetE1EEEvSF_
; %bb.0:
	.section	.rodata,"a",@progbits
	.p2align	6, 0x0
	.amdhsa_kernel _ZN7rocprim17ROCPRIM_400000_NS6detail17trampoline_kernelINS0_14default_configENS1_38merge_sort_block_merge_config_selectorIsNS0_10empty_typeEEEZZNS1_27merge_sort_block_merge_implIS3_PsPS5_jNS1_19radix_merge_compareILb0ELb0EsNS0_19identity_decomposerEEEEE10hipError_tT0_T1_T2_jT3_P12ihipStream_tbPNSt15iterator_traitsISE_E10value_typeEPNSK_ISF_E10value_typeEPSG_NS1_7vsmem_tEENKUlT_SE_SF_SG_E_clIS8_S8_S9_S9_EESD_ST_SE_SF_SG_EUlST_E0_NS1_11comp_targetILNS1_3genE2ELNS1_11target_archE906ELNS1_3gpuE6ELNS1_3repE0EEENS1_38merge_mergepath_config_static_selectorELNS0_4arch9wavefront6targetE1EEEvSF_
		.amdhsa_group_segment_fixed_size 0
		.amdhsa_private_segment_fixed_size 0
		.amdhsa_kernarg_size 64
		.amdhsa_user_sgpr_count 6
		.amdhsa_user_sgpr_private_segment_buffer 1
		.amdhsa_user_sgpr_dispatch_ptr 0
		.amdhsa_user_sgpr_queue_ptr 0
		.amdhsa_user_sgpr_kernarg_segment_ptr 1
		.amdhsa_user_sgpr_dispatch_id 0
		.amdhsa_user_sgpr_flat_scratch_init 0
		.amdhsa_user_sgpr_kernarg_preload_length 0
		.amdhsa_user_sgpr_kernarg_preload_offset 0
		.amdhsa_user_sgpr_private_segment_size 0
		.amdhsa_uses_dynamic_stack 0
		.amdhsa_system_sgpr_private_segment_wavefront_offset 0
		.amdhsa_system_sgpr_workgroup_id_x 1
		.amdhsa_system_sgpr_workgroup_id_y 0
		.amdhsa_system_sgpr_workgroup_id_z 0
		.amdhsa_system_sgpr_workgroup_info 0
		.amdhsa_system_vgpr_workitem_id 0
		.amdhsa_next_free_vgpr 1
		.amdhsa_next_free_sgpr 0
		.amdhsa_accum_offset 4
		.amdhsa_reserve_vcc 0
		.amdhsa_reserve_flat_scratch 0
		.amdhsa_float_round_mode_32 0
		.amdhsa_float_round_mode_16_64 0
		.amdhsa_float_denorm_mode_32 3
		.amdhsa_float_denorm_mode_16_64 3
		.amdhsa_dx10_clamp 1
		.amdhsa_ieee_mode 1
		.amdhsa_fp16_overflow 0
		.amdhsa_tg_split 0
		.amdhsa_exception_fp_ieee_invalid_op 0
		.amdhsa_exception_fp_denorm_src 0
		.amdhsa_exception_fp_ieee_div_zero 0
		.amdhsa_exception_fp_ieee_overflow 0
		.amdhsa_exception_fp_ieee_underflow 0
		.amdhsa_exception_fp_ieee_inexact 0
		.amdhsa_exception_int_div_zero 0
	.end_amdhsa_kernel
	.section	.text._ZN7rocprim17ROCPRIM_400000_NS6detail17trampoline_kernelINS0_14default_configENS1_38merge_sort_block_merge_config_selectorIsNS0_10empty_typeEEEZZNS1_27merge_sort_block_merge_implIS3_PsPS5_jNS1_19radix_merge_compareILb0ELb0EsNS0_19identity_decomposerEEEEE10hipError_tT0_T1_T2_jT3_P12ihipStream_tbPNSt15iterator_traitsISE_E10value_typeEPNSK_ISF_E10value_typeEPSG_NS1_7vsmem_tEENKUlT_SE_SF_SG_E_clIS8_S8_S9_S9_EESD_ST_SE_SF_SG_EUlST_E0_NS1_11comp_targetILNS1_3genE2ELNS1_11target_archE906ELNS1_3gpuE6ELNS1_3repE0EEENS1_38merge_mergepath_config_static_selectorELNS0_4arch9wavefront6targetE1EEEvSF_,"axG",@progbits,_ZN7rocprim17ROCPRIM_400000_NS6detail17trampoline_kernelINS0_14default_configENS1_38merge_sort_block_merge_config_selectorIsNS0_10empty_typeEEEZZNS1_27merge_sort_block_merge_implIS3_PsPS5_jNS1_19radix_merge_compareILb0ELb0EsNS0_19identity_decomposerEEEEE10hipError_tT0_T1_T2_jT3_P12ihipStream_tbPNSt15iterator_traitsISE_E10value_typeEPNSK_ISF_E10value_typeEPSG_NS1_7vsmem_tEENKUlT_SE_SF_SG_E_clIS8_S8_S9_S9_EESD_ST_SE_SF_SG_EUlST_E0_NS1_11comp_targetILNS1_3genE2ELNS1_11target_archE906ELNS1_3gpuE6ELNS1_3repE0EEENS1_38merge_mergepath_config_static_selectorELNS0_4arch9wavefront6targetE1EEEvSF_,comdat
.Lfunc_end369:
	.size	_ZN7rocprim17ROCPRIM_400000_NS6detail17trampoline_kernelINS0_14default_configENS1_38merge_sort_block_merge_config_selectorIsNS0_10empty_typeEEEZZNS1_27merge_sort_block_merge_implIS3_PsPS5_jNS1_19radix_merge_compareILb0ELb0EsNS0_19identity_decomposerEEEEE10hipError_tT0_T1_T2_jT3_P12ihipStream_tbPNSt15iterator_traitsISE_E10value_typeEPNSK_ISF_E10value_typeEPSG_NS1_7vsmem_tEENKUlT_SE_SF_SG_E_clIS8_S8_S9_S9_EESD_ST_SE_SF_SG_EUlST_E0_NS1_11comp_targetILNS1_3genE2ELNS1_11target_archE906ELNS1_3gpuE6ELNS1_3repE0EEENS1_38merge_mergepath_config_static_selectorELNS0_4arch9wavefront6targetE1EEEvSF_, .Lfunc_end369-_ZN7rocprim17ROCPRIM_400000_NS6detail17trampoline_kernelINS0_14default_configENS1_38merge_sort_block_merge_config_selectorIsNS0_10empty_typeEEEZZNS1_27merge_sort_block_merge_implIS3_PsPS5_jNS1_19radix_merge_compareILb0ELb0EsNS0_19identity_decomposerEEEEE10hipError_tT0_T1_T2_jT3_P12ihipStream_tbPNSt15iterator_traitsISE_E10value_typeEPNSK_ISF_E10value_typeEPSG_NS1_7vsmem_tEENKUlT_SE_SF_SG_E_clIS8_S8_S9_S9_EESD_ST_SE_SF_SG_EUlST_E0_NS1_11comp_targetILNS1_3genE2ELNS1_11target_archE906ELNS1_3gpuE6ELNS1_3repE0EEENS1_38merge_mergepath_config_static_selectorELNS0_4arch9wavefront6targetE1EEEvSF_
                                        ; -- End function
	.section	.AMDGPU.csdata,"",@progbits
; Kernel info:
; codeLenInByte = 0
; NumSgprs: 4
; NumVgprs: 0
; NumAgprs: 0
; TotalNumVgprs: 0
; ScratchSize: 0
; MemoryBound: 0
; FloatMode: 240
; IeeeMode: 1
; LDSByteSize: 0 bytes/workgroup (compile time only)
; SGPRBlocks: 0
; VGPRBlocks: 0
; NumSGPRsForWavesPerEU: 4
; NumVGPRsForWavesPerEU: 1
; AccumOffset: 4
; Occupancy: 8
; WaveLimiterHint : 0
; COMPUTE_PGM_RSRC2:SCRATCH_EN: 0
; COMPUTE_PGM_RSRC2:USER_SGPR: 6
; COMPUTE_PGM_RSRC2:TRAP_HANDLER: 0
; COMPUTE_PGM_RSRC2:TGID_X_EN: 1
; COMPUTE_PGM_RSRC2:TGID_Y_EN: 0
; COMPUTE_PGM_RSRC2:TGID_Z_EN: 0
; COMPUTE_PGM_RSRC2:TIDIG_COMP_CNT: 0
; COMPUTE_PGM_RSRC3_GFX90A:ACCUM_OFFSET: 0
; COMPUTE_PGM_RSRC3_GFX90A:TG_SPLIT: 0
	.section	.text._ZN7rocprim17ROCPRIM_400000_NS6detail17trampoline_kernelINS0_14default_configENS1_38merge_sort_block_merge_config_selectorIsNS0_10empty_typeEEEZZNS1_27merge_sort_block_merge_implIS3_PsPS5_jNS1_19radix_merge_compareILb0ELb0EsNS0_19identity_decomposerEEEEE10hipError_tT0_T1_T2_jT3_P12ihipStream_tbPNSt15iterator_traitsISE_E10value_typeEPNSK_ISF_E10value_typeEPSG_NS1_7vsmem_tEENKUlT_SE_SF_SG_E_clIS8_S8_S9_S9_EESD_ST_SE_SF_SG_EUlST_E0_NS1_11comp_targetILNS1_3genE9ELNS1_11target_archE1100ELNS1_3gpuE3ELNS1_3repE0EEENS1_38merge_mergepath_config_static_selectorELNS0_4arch9wavefront6targetE1EEEvSF_,"axG",@progbits,_ZN7rocprim17ROCPRIM_400000_NS6detail17trampoline_kernelINS0_14default_configENS1_38merge_sort_block_merge_config_selectorIsNS0_10empty_typeEEEZZNS1_27merge_sort_block_merge_implIS3_PsPS5_jNS1_19radix_merge_compareILb0ELb0EsNS0_19identity_decomposerEEEEE10hipError_tT0_T1_T2_jT3_P12ihipStream_tbPNSt15iterator_traitsISE_E10value_typeEPNSK_ISF_E10value_typeEPSG_NS1_7vsmem_tEENKUlT_SE_SF_SG_E_clIS8_S8_S9_S9_EESD_ST_SE_SF_SG_EUlST_E0_NS1_11comp_targetILNS1_3genE9ELNS1_11target_archE1100ELNS1_3gpuE3ELNS1_3repE0EEENS1_38merge_mergepath_config_static_selectorELNS0_4arch9wavefront6targetE1EEEvSF_,comdat
	.protected	_ZN7rocprim17ROCPRIM_400000_NS6detail17trampoline_kernelINS0_14default_configENS1_38merge_sort_block_merge_config_selectorIsNS0_10empty_typeEEEZZNS1_27merge_sort_block_merge_implIS3_PsPS5_jNS1_19radix_merge_compareILb0ELb0EsNS0_19identity_decomposerEEEEE10hipError_tT0_T1_T2_jT3_P12ihipStream_tbPNSt15iterator_traitsISE_E10value_typeEPNSK_ISF_E10value_typeEPSG_NS1_7vsmem_tEENKUlT_SE_SF_SG_E_clIS8_S8_S9_S9_EESD_ST_SE_SF_SG_EUlST_E0_NS1_11comp_targetILNS1_3genE9ELNS1_11target_archE1100ELNS1_3gpuE3ELNS1_3repE0EEENS1_38merge_mergepath_config_static_selectorELNS0_4arch9wavefront6targetE1EEEvSF_ ; -- Begin function _ZN7rocprim17ROCPRIM_400000_NS6detail17trampoline_kernelINS0_14default_configENS1_38merge_sort_block_merge_config_selectorIsNS0_10empty_typeEEEZZNS1_27merge_sort_block_merge_implIS3_PsPS5_jNS1_19radix_merge_compareILb0ELb0EsNS0_19identity_decomposerEEEEE10hipError_tT0_T1_T2_jT3_P12ihipStream_tbPNSt15iterator_traitsISE_E10value_typeEPNSK_ISF_E10value_typeEPSG_NS1_7vsmem_tEENKUlT_SE_SF_SG_E_clIS8_S8_S9_S9_EESD_ST_SE_SF_SG_EUlST_E0_NS1_11comp_targetILNS1_3genE9ELNS1_11target_archE1100ELNS1_3gpuE3ELNS1_3repE0EEENS1_38merge_mergepath_config_static_selectorELNS0_4arch9wavefront6targetE1EEEvSF_
	.globl	_ZN7rocprim17ROCPRIM_400000_NS6detail17trampoline_kernelINS0_14default_configENS1_38merge_sort_block_merge_config_selectorIsNS0_10empty_typeEEEZZNS1_27merge_sort_block_merge_implIS3_PsPS5_jNS1_19radix_merge_compareILb0ELb0EsNS0_19identity_decomposerEEEEE10hipError_tT0_T1_T2_jT3_P12ihipStream_tbPNSt15iterator_traitsISE_E10value_typeEPNSK_ISF_E10value_typeEPSG_NS1_7vsmem_tEENKUlT_SE_SF_SG_E_clIS8_S8_S9_S9_EESD_ST_SE_SF_SG_EUlST_E0_NS1_11comp_targetILNS1_3genE9ELNS1_11target_archE1100ELNS1_3gpuE3ELNS1_3repE0EEENS1_38merge_mergepath_config_static_selectorELNS0_4arch9wavefront6targetE1EEEvSF_
	.p2align	8
	.type	_ZN7rocprim17ROCPRIM_400000_NS6detail17trampoline_kernelINS0_14default_configENS1_38merge_sort_block_merge_config_selectorIsNS0_10empty_typeEEEZZNS1_27merge_sort_block_merge_implIS3_PsPS5_jNS1_19radix_merge_compareILb0ELb0EsNS0_19identity_decomposerEEEEE10hipError_tT0_T1_T2_jT3_P12ihipStream_tbPNSt15iterator_traitsISE_E10value_typeEPNSK_ISF_E10value_typeEPSG_NS1_7vsmem_tEENKUlT_SE_SF_SG_E_clIS8_S8_S9_S9_EESD_ST_SE_SF_SG_EUlST_E0_NS1_11comp_targetILNS1_3genE9ELNS1_11target_archE1100ELNS1_3gpuE3ELNS1_3repE0EEENS1_38merge_mergepath_config_static_selectorELNS0_4arch9wavefront6targetE1EEEvSF_,@function
_ZN7rocprim17ROCPRIM_400000_NS6detail17trampoline_kernelINS0_14default_configENS1_38merge_sort_block_merge_config_selectorIsNS0_10empty_typeEEEZZNS1_27merge_sort_block_merge_implIS3_PsPS5_jNS1_19radix_merge_compareILb0ELb0EsNS0_19identity_decomposerEEEEE10hipError_tT0_T1_T2_jT3_P12ihipStream_tbPNSt15iterator_traitsISE_E10value_typeEPNSK_ISF_E10value_typeEPSG_NS1_7vsmem_tEENKUlT_SE_SF_SG_E_clIS8_S8_S9_S9_EESD_ST_SE_SF_SG_EUlST_E0_NS1_11comp_targetILNS1_3genE9ELNS1_11target_archE1100ELNS1_3gpuE3ELNS1_3repE0EEENS1_38merge_mergepath_config_static_selectorELNS0_4arch9wavefront6targetE1EEEvSF_: ; @_ZN7rocprim17ROCPRIM_400000_NS6detail17trampoline_kernelINS0_14default_configENS1_38merge_sort_block_merge_config_selectorIsNS0_10empty_typeEEEZZNS1_27merge_sort_block_merge_implIS3_PsPS5_jNS1_19radix_merge_compareILb0ELb0EsNS0_19identity_decomposerEEEEE10hipError_tT0_T1_T2_jT3_P12ihipStream_tbPNSt15iterator_traitsISE_E10value_typeEPNSK_ISF_E10value_typeEPSG_NS1_7vsmem_tEENKUlT_SE_SF_SG_E_clIS8_S8_S9_S9_EESD_ST_SE_SF_SG_EUlST_E0_NS1_11comp_targetILNS1_3genE9ELNS1_11target_archE1100ELNS1_3gpuE3ELNS1_3repE0EEENS1_38merge_mergepath_config_static_selectorELNS0_4arch9wavefront6targetE1EEEvSF_
; %bb.0:
	.section	.rodata,"a",@progbits
	.p2align	6, 0x0
	.amdhsa_kernel _ZN7rocprim17ROCPRIM_400000_NS6detail17trampoline_kernelINS0_14default_configENS1_38merge_sort_block_merge_config_selectorIsNS0_10empty_typeEEEZZNS1_27merge_sort_block_merge_implIS3_PsPS5_jNS1_19radix_merge_compareILb0ELb0EsNS0_19identity_decomposerEEEEE10hipError_tT0_T1_T2_jT3_P12ihipStream_tbPNSt15iterator_traitsISE_E10value_typeEPNSK_ISF_E10value_typeEPSG_NS1_7vsmem_tEENKUlT_SE_SF_SG_E_clIS8_S8_S9_S9_EESD_ST_SE_SF_SG_EUlST_E0_NS1_11comp_targetILNS1_3genE9ELNS1_11target_archE1100ELNS1_3gpuE3ELNS1_3repE0EEENS1_38merge_mergepath_config_static_selectorELNS0_4arch9wavefront6targetE1EEEvSF_
		.amdhsa_group_segment_fixed_size 0
		.amdhsa_private_segment_fixed_size 0
		.amdhsa_kernarg_size 64
		.amdhsa_user_sgpr_count 6
		.amdhsa_user_sgpr_private_segment_buffer 1
		.amdhsa_user_sgpr_dispatch_ptr 0
		.amdhsa_user_sgpr_queue_ptr 0
		.amdhsa_user_sgpr_kernarg_segment_ptr 1
		.amdhsa_user_sgpr_dispatch_id 0
		.amdhsa_user_sgpr_flat_scratch_init 0
		.amdhsa_user_sgpr_kernarg_preload_length 0
		.amdhsa_user_sgpr_kernarg_preload_offset 0
		.amdhsa_user_sgpr_private_segment_size 0
		.amdhsa_uses_dynamic_stack 0
		.amdhsa_system_sgpr_private_segment_wavefront_offset 0
		.amdhsa_system_sgpr_workgroup_id_x 1
		.amdhsa_system_sgpr_workgroup_id_y 0
		.amdhsa_system_sgpr_workgroup_id_z 0
		.amdhsa_system_sgpr_workgroup_info 0
		.amdhsa_system_vgpr_workitem_id 0
		.amdhsa_next_free_vgpr 1
		.amdhsa_next_free_sgpr 0
		.amdhsa_accum_offset 4
		.amdhsa_reserve_vcc 0
		.amdhsa_reserve_flat_scratch 0
		.amdhsa_float_round_mode_32 0
		.amdhsa_float_round_mode_16_64 0
		.amdhsa_float_denorm_mode_32 3
		.amdhsa_float_denorm_mode_16_64 3
		.amdhsa_dx10_clamp 1
		.amdhsa_ieee_mode 1
		.amdhsa_fp16_overflow 0
		.amdhsa_tg_split 0
		.amdhsa_exception_fp_ieee_invalid_op 0
		.amdhsa_exception_fp_denorm_src 0
		.amdhsa_exception_fp_ieee_div_zero 0
		.amdhsa_exception_fp_ieee_overflow 0
		.amdhsa_exception_fp_ieee_underflow 0
		.amdhsa_exception_fp_ieee_inexact 0
		.amdhsa_exception_int_div_zero 0
	.end_amdhsa_kernel
	.section	.text._ZN7rocprim17ROCPRIM_400000_NS6detail17trampoline_kernelINS0_14default_configENS1_38merge_sort_block_merge_config_selectorIsNS0_10empty_typeEEEZZNS1_27merge_sort_block_merge_implIS3_PsPS5_jNS1_19radix_merge_compareILb0ELb0EsNS0_19identity_decomposerEEEEE10hipError_tT0_T1_T2_jT3_P12ihipStream_tbPNSt15iterator_traitsISE_E10value_typeEPNSK_ISF_E10value_typeEPSG_NS1_7vsmem_tEENKUlT_SE_SF_SG_E_clIS8_S8_S9_S9_EESD_ST_SE_SF_SG_EUlST_E0_NS1_11comp_targetILNS1_3genE9ELNS1_11target_archE1100ELNS1_3gpuE3ELNS1_3repE0EEENS1_38merge_mergepath_config_static_selectorELNS0_4arch9wavefront6targetE1EEEvSF_,"axG",@progbits,_ZN7rocprim17ROCPRIM_400000_NS6detail17trampoline_kernelINS0_14default_configENS1_38merge_sort_block_merge_config_selectorIsNS0_10empty_typeEEEZZNS1_27merge_sort_block_merge_implIS3_PsPS5_jNS1_19radix_merge_compareILb0ELb0EsNS0_19identity_decomposerEEEEE10hipError_tT0_T1_T2_jT3_P12ihipStream_tbPNSt15iterator_traitsISE_E10value_typeEPNSK_ISF_E10value_typeEPSG_NS1_7vsmem_tEENKUlT_SE_SF_SG_E_clIS8_S8_S9_S9_EESD_ST_SE_SF_SG_EUlST_E0_NS1_11comp_targetILNS1_3genE9ELNS1_11target_archE1100ELNS1_3gpuE3ELNS1_3repE0EEENS1_38merge_mergepath_config_static_selectorELNS0_4arch9wavefront6targetE1EEEvSF_,comdat
.Lfunc_end370:
	.size	_ZN7rocprim17ROCPRIM_400000_NS6detail17trampoline_kernelINS0_14default_configENS1_38merge_sort_block_merge_config_selectorIsNS0_10empty_typeEEEZZNS1_27merge_sort_block_merge_implIS3_PsPS5_jNS1_19radix_merge_compareILb0ELb0EsNS0_19identity_decomposerEEEEE10hipError_tT0_T1_T2_jT3_P12ihipStream_tbPNSt15iterator_traitsISE_E10value_typeEPNSK_ISF_E10value_typeEPSG_NS1_7vsmem_tEENKUlT_SE_SF_SG_E_clIS8_S8_S9_S9_EESD_ST_SE_SF_SG_EUlST_E0_NS1_11comp_targetILNS1_3genE9ELNS1_11target_archE1100ELNS1_3gpuE3ELNS1_3repE0EEENS1_38merge_mergepath_config_static_selectorELNS0_4arch9wavefront6targetE1EEEvSF_, .Lfunc_end370-_ZN7rocprim17ROCPRIM_400000_NS6detail17trampoline_kernelINS0_14default_configENS1_38merge_sort_block_merge_config_selectorIsNS0_10empty_typeEEEZZNS1_27merge_sort_block_merge_implIS3_PsPS5_jNS1_19radix_merge_compareILb0ELb0EsNS0_19identity_decomposerEEEEE10hipError_tT0_T1_T2_jT3_P12ihipStream_tbPNSt15iterator_traitsISE_E10value_typeEPNSK_ISF_E10value_typeEPSG_NS1_7vsmem_tEENKUlT_SE_SF_SG_E_clIS8_S8_S9_S9_EESD_ST_SE_SF_SG_EUlST_E0_NS1_11comp_targetILNS1_3genE9ELNS1_11target_archE1100ELNS1_3gpuE3ELNS1_3repE0EEENS1_38merge_mergepath_config_static_selectorELNS0_4arch9wavefront6targetE1EEEvSF_
                                        ; -- End function
	.section	.AMDGPU.csdata,"",@progbits
; Kernel info:
; codeLenInByte = 0
; NumSgprs: 4
; NumVgprs: 0
; NumAgprs: 0
; TotalNumVgprs: 0
; ScratchSize: 0
; MemoryBound: 0
; FloatMode: 240
; IeeeMode: 1
; LDSByteSize: 0 bytes/workgroup (compile time only)
; SGPRBlocks: 0
; VGPRBlocks: 0
; NumSGPRsForWavesPerEU: 4
; NumVGPRsForWavesPerEU: 1
; AccumOffset: 4
; Occupancy: 8
; WaveLimiterHint : 0
; COMPUTE_PGM_RSRC2:SCRATCH_EN: 0
; COMPUTE_PGM_RSRC2:USER_SGPR: 6
; COMPUTE_PGM_RSRC2:TRAP_HANDLER: 0
; COMPUTE_PGM_RSRC2:TGID_X_EN: 1
; COMPUTE_PGM_RSRC2:TGID_Y_EN: 0
; COMPUTE_PGM_RSRC2:TGID_Z_EN: 0
; COMPUTE_PGM_RSRC2:TIDIG_COMP_CNT: 0
; COMPUTE_PGM_RSRC3_GFX90A:ACCUM_OFFSET: 0
; COMPUTE_PGM_RSRC3_GFX90A:TG_SPLIT: 0
	.section	.text._ZN7rocprim17ROCPRIM_400000_NS6detail17trampoline_kernelINS0_14default_configENS1_38merge_sort_block_merge_config_selectorIsNS0_10empty_typeEEEZZNS1_27merge_sort_block_merge_implIS3_PsPS5_jNS1_19radix_merge_compareILb0ELb0EsNS0_19identity_decomposerEEEEE10hipError_tT0_T1_T2_jT3_P12ihipStream_tbPNSt15iterator_traitsISE_E10value_typeEPNSK_ISF_E10value_typeEPSG_NS1_7vsmem_tEENKUlT_SE_SF_SG_E_clIS8_S8_S9_S9_EESD_ST_SE_SF_SG_EUlST_E0_NS1_11comp_targetILNS1_3genE8ELNS1_11target_archE1030ELNS1_3gpuE2ELNS1_3repE0EEENS1_38merge_mergepath_config_static_selectorELNS0_4arch9wavefront6targetE1EEEvSF_,"axG",@progbits,_ZN7rocprim17ROCPRIM_400000_NS6detail17trampoline_kernelINS0_14default_configENS1_38merge_sort_block_merge_config_selectorIsNS0_10empty_typeEEEZZNS1_27merge_sort_block_merge_implIS3_PsPS5_jNS1_19radix_merge_compareILb0ELb0EsNS0_19identity_decomposerEEEEE10hipError_tT0_T1_T2_jT3_P12ihipStream_tbPNSt15iterator_traitsISE_E10value_typeEPNSK_ISF_E10value_typeEPSG_NS1_7vsmem_tEENKUlT_SE_SF_SG_E_clIS8_S8_S9_S9_EESD_ST_SE_SF_SG_EUlST_E0_NS1_11comp_targetILNS1_3genE8ELNS1_11target_archE1030ELNS1_3gpuE2ELNS1_3repE0EEENS1_38merge_mergepath_config_static_selectorELNS0_4arch9wavefront6targetE1EEEvSF_,comdat
	.protected	_ZN7rocprim17ROCPRIM_400000_NS6detail17trampoline_kernelINS0_14default_configENS1_38merge_sort_block_merge_config_selectorIsNS0_10empty_typeEEEZZNS1_27merge_sort_block_merge_implIS3_PsPS5_jNS1_19radix_merge_compareILb0ELb0EsNS0_19identity_decomposerEEEEE10hipError_tT0_T1_T2_jT3_P12ihipStream_tbPNSt15iterator_traitsISE_E10value_typeEPNSK_ISF_E10value_typeEPSG_NS1_7vsmem_tEENKUlT_SE_SF_SG_E_clIS8_S8_S9_S9_EESD_ST_SE_SF_SG_EUlST_E0_NS1_11comp_targetILNS1_3genE8ELNS1_11target_archE1030ELNS1_3gpuE2ELNS1_3repE0EEENS1_38merge_mergepath_config_static_selectorELNS0_4arch9wavefront6targetE1EEEvSF_ ; -- Begin function _ZN7rocprim17ROCPRIM_400000_NS6detail17trampoline_kernelINS0_14default_configENS1_38merge_sort_block_merge_config_selectorIsNS0_10empty_typeEEEZZNS1_27merge_sort_block_merge_implIS3_PsPS5_jNS1_19radix_merge_compareILb0ELb0EsNS0_19identity_decomposerEEEEE10hipError_tT0_T1_T2_jT3_P12ihipStream_tbPNSt15iterator_traitsISE_E10value_typeEPNSK_ISF_E10value_typeEPSG_NS1_7vsmem_tEENKUlT_SE_SF_SG_E_clIS8_S8_S9_S9_EESD_ST_SE_SF_SG_EUlST_E0_NS1_11comp_targetILNS1_3genE8ELNS1_11target_archE1030ELNS1_3gpuE2ELNS1_3repE0EEENS1_38merge_mergepath_config_static_selectorELNS0_4arch9wavefront6targetE1EEEvSF_
	.globl	_ZN7rocprim17ROCPRIM_400000_NS6detail17trampoline_kernelINS0_14default_configENS1_38merge_sort_block_merge_config_selectorIsNS0_10empty_typeEEEZZNS1_27merge_sort_block_merge_implIS3_PsPS5_jNS1_19radix_merge_compareILb0ELb0EsNS0_19identity_decomposerEEEEE10hipError_tT0_T1_T2_jT3_P12ihipStream_tbPNSt15iterator_traitsISE_E10value_typeEPNSK_ISF_E10value_typeEPSG_NS1_7vsmem_tEENKUlT_SE_SF_SG_E_clIS8_S8_S9_S9_EESD_ST_SE_SF_SG_EUlST_E0_NS1_11comp_targetILNS1_3genE8ELNS1_11target_archE1030ELNS1_3gpuE2ELNS1_3repE0EEENS1_38merge_mergepath_config_static_selectorELNS0_4arch9wavefront6targetE1EEEvSF_
	.p2align	8
	.type	_ZN7rocprim17ROCPRIM_400000_NS6detail17trampoline_kernelINS0_14default_configENS1_38merge_sort_block_merge_config_selectorIsNS0_10empty_typeEEEZZNS1_27merge_sort_block_merge_implIS3_PsPS5_jNS1_19radix_merge_compareILb0ELb0EsNS0_19identity_decomposerEEEEE10hipError_tT0_T1_T2_jT3_P12ihipStream_tbPNSt15iterator_traitsISE_E10value_typeEPNSK_ISF_E10value_typeEPSG_NS1_7vsmem_tEENKUlT_SE_SF_SG_E_clIS8_S8_S9_S9_EESD_ST_SE_SF_SG_EUlST_E0_NS1_11comp_targetILNS1_3genE8ELNS1_11target_archE1030ELNS1_3gpuE2ELNS1_3repE0EEENS1_38merge_mergepath_config_static_selectorELNS0_4arch9wavefront6targetE1EEEvSF_,@function
_ZN7rocprim17ROCPRIM_400000_NS6detail17trampoline_kernelINS0_14default_configENS1_38merge_sort_block_merge_config_selectorIsNS0_10empty_typeEEEZZNS1_27merge_sort_block_merge_implIS3_PsPS5_jNS1_19radix_merge_compareILb0ELb0EsNS0_19identity_decomposerEEEEE10hipError_tT0_T1_T2_jT3_P12ihipStream_tbPNSt15iterator_traitsISE_E10value_typeEPNSK_ISF_E10value_typeEPSG_NS1_7vsmem_tEENKUlT_SE_SF_SG_E_clIS8_S8_S9_S9_EESD_ST_SE_SF_SG_EUlST_E0_NS1_11comp_targetILNS1_3genE8ELNS1_11target_archE1030ELNS1_3gpuE2ELNS1_3repE0EEENS1_38merge_mergepath_config_static_selectorELNS0_4arch9wavefront6targetE1EEEvSF_: ; @_ZN7rocprim17ROCPRIM_400000_NS6detail17trampoline_kernelINS0_14default_configENS1_38merge_sort_block_merge_config_selectorIsNS0_10empty_typeEEEZZNS1_27merge_sort_block_merge_implIS3_PsPS5_jNS1_19radix_merge_compareILb0ELb0EsNS0_19identity_decomposerEEEEE10hipError_tT0_T1_T2_jT3_P12ihipStream_tbPNSt15iterator_traitsISE_E10value_typeEPNSK_ISF_E10value_typeEPSG_NS1_7vsmem_tEENKUlT_SE_SF_SG_E_clIS8_S8_S9_S9_EESD_ST_SE_SF_SG_EUlST_E0_NS1_11comp_targetILNS1_3genE8ELNS1_11target_archE1030ELNS1_3gpuE2ELNS1_3repE0EEENS1_38merge_mergepath_config_static_selectorELNS0_4arch9wavefront6targetE1EEEvSF_
; %bb.0:
	.section	.rodata,"a",@progbits
	.p2align	6, 0x0
	.amdhsa_kernel _ZN7rocprim17ROCPRIM_400000_NS6detail17trampoline_kernelINS0_14default_configENS1_38merge_sort_block_merge_config_selectorIsNS0_10empty_typeEEEZZNS1_27merge_sort_block_merge_implIS3_PsPS5_jNS1_19radix_merge_compareILb0ELb0EsNS0_19identity_decomposerEEEEE10hipError_tT0_T1_T2_jT3_P12ihipStream_tbPNSt15iterator_traitsISE_E10value_typeEPNSK_ISF_E10value_typeEPSG_NS1_7vsmem_tEENKUlT_SE_SF_SG_E_clIS8_S8_S9_S9_EESD_ST_SE_SF_SG_EUlST_E0_NS1_11comp_targetILNS1_3genE8ELNS1_11target_archE1030ELNS1_3gpuE2ELNS1_3repE0EEENS1_38merge_mergepath_config_static_selectorELNS0_4arch9wavefront6targetE1EEEvSF_
		.amdhsa_group_segment_fixed_size 0
		.amdhsa_private_segment_fixed_size 0
		.amdhsa_kernarg_size 64
		.amdhsa_user_sgpr_count 6
		.amdhsa_user_sgpr_private_segment_buffer 1
		.amdhsa_user_sgpr_dispatch_ptr 0
		.amdhsa_user_sgpr_queue_ptr 0
		.amdhsa_user_sgpr_kernarg_segment_ptr 1
		.amdhsa_user_sgpr_dispatch_id 0
		.amdhsa_user_sgpr_flat_scratch_init 0
		.amdhsa_user_sgpr_kernarg_preload_length 0
		.amdhsa_user_sgpr_kernarg_preload_offset 0
		.amdhsa_user_sgpr_private_segment_size 0
		.amdhsa_uses_dynamic_stack 0
		.amdhsa_system_sgpr_private_segment_wavefront_offset 0
		.amdhsa_system_sgpr_workgroup_id_x 1
		.amdhsa_system_sgpr_workgroup_id_y 0
		.amdhsa_system_sgpr_workgroup_id_z 0
		.amdhsa_system_sgpr_workgroup_info 0
		.amdhsa_system_vgpr_workitem_id 0
		.amdhsa_next_free_vgpr 1
		.amdhsa_next_free_sgpr 0
		.amdhsa_accum_offset 4
		.amdhsa_reserve_vcc 0
		.amdhsa_reserve_flat_scratch 0
		.amdhsa_float_round_mode_32 0
		.amdhsa_float_round_mode_16_64 0
		.amdhsa_float_denorm_mode_32 3
		.amdhsa_float_denorm_mode_16_64 3
		.amdhsa_dx10_clamp 1
		.amdhsa_ieee_mode 1
		.amdhsa_fp16_overflow 0
		.amdhsa_tg_split 0
		.amdhsa_exception_fp_ieee_invalid_op 0
		.amdhsa_exception_fp_denorm_src 0
		.amdhsa_exception_fp_ieee_div_zero 0
		.amdhsa_exception_fp_ieee_overflow 0
		.amdhsa_exception_fp_ieee_underflow 0
		.amdhsa_exception_fp_ieee_inexact 0
		.amdhsa_exception_int_div_zero 0
	.end_amdhsa_kernel
	.section	.text._ZN7rocprim17ROCPRIM_400000_NS6detail17trampoline_kernelINS0_14default_configENS1_38merge_sort_block_merge_config_selectorIsNS0_10empty_typeEEEZZNS1_27merge_sort_block_merge_implIS3_PsPS5_jNS1_19radix_merge_compareILb0ELb0EsNS0_19identity_decomposerEEEEE10hipError_tT0_T1_T2_jT3_P12ihipStream_tbPNSt15iterator_traitsISE_E10value_typeEPNSK_ISF_E10value_typeEPSG_NS1_7vsmem_tEENKUlT_SE_SF_SG_E_clIS8_S8_S9_S9_EESD_ST_SE_SF_SG_EUlST_E0_NS1_11comp_targetILNS1_3genE8ELNS1_11target_archE1030ELNS1_3gpuE2ELNS1_3repE0EEENS1_38merge_mergepath_config_static_selectorELNS0_4arch9wavefront6targetE1EEEvSF_,"axG",@progbits,_ZN7rocprim17ROCPRIM_400000_NS6detail17trampoline_kernelINS0_14default_configENS1_38merge_sort_block_merge_config_selectorIsNS0_10empty_typeEEEZZNS1_27merge_sort_block_merge_implIS3_PsPS5_jNS1_19radix_merge_compareILb0ELb0EsNS0_19identity_decomposerEEEEE10hipError_tT0_T1_T2_jT3_P12ihipStream_tbPNSt15iterator_traitsISE_E10value_typeEPNSK_ISF_E10value_typeEPSG_NS1_7vsmem_tEENKUlT_SE_SF_SG_E_clIS8_S8_S9_S9_EESD_ST_SE_SF_SG_EUlST_E0_NS1_11comp_targetILNS1_3genE8ELNS1_11target_archE1030ELNS1_3gpuE2ELNS1_3repE0EEENS1_38merge_mergepath_config_static_selectorELNS0_4arch9wavefront6targetE1EEEvSF_,comdat
.Lfunc_end371:
	.size	_ZN7rocprim17ROCPRIM_400000_NS6detail17trampoline_kernelINS0_14default_configENS1_38merge_sort_block_merge_config_selectorIsNS0_10empty_typeEEEZZNS1_27merge_sort_block_merge_implIS3_PsPS5_jNS1_19radix_merge_compareILb0ELb0EsNS0_19identity_decomposerEEEEE10hipError_tT0_T1_T2_jT3_P12ihipStream_tbPNSt15iterator_traitsISE_E10value_typeEPNSK_ISF_E10value_typeEPSG_NS1_7vsmem_tEENKUlT_SE_SF_SG_E_clIS8_S8_S9_S9_EESD_ST_SE_SF_SG_EUlST_E0_NS1_11comp_targetILNS1_3genE8ELNS1_11target_archE1030ELNS1_3gpuE2ELNS1_3repE0EEENS1_38merge_mergepath_config_static_selectorELNS0_4arch9wavefront6targetE1EEEvSF_, .Lfunc_end371-_ZN7rocprim17ROCPRIM_400000_NS6detail17trampoline_kernelINS0_14default_configENS1_38merge_sort_block_merge_config_selectorIsNS0_10empty_typeEEEZZNS1_27merge_sort_block_merge_implIS3_PsPS5_jNS1_19radix_merge_compareILb0ELb0EsNS0_19identity_decomposerEEEEE10hipError_tT0_T1_T2_jT3_P12ihipStream_tbPNSt15iterator_traitsISE_E10value_typeEPNSK_ISF_E10value_typeEPSG_NS1_7vsmem_tEENKUlT_SE_SF_SG_E_clIS8_S8_S9_S9_EESD_ST_SE_SF_SG_EUlST_E0_NS1_11comp_targetILNS1_3genE8ELNS1_11target_archE1030ELNS1_3gpuE2ELNS1_3repE0EEENS1_38merge_mergepath_config_static_selectorELNS0_4arch9wavefront6targetE1EEEvSF_
                                        ; -- End function
	.section	.AMDGPU.csdata,"",@progbits
; Kernel info:
; codeLenInByte = 0
; NumSgprs: 4
; NumVgprs: 0
; NumAgprs: 0
; TotalNumVgprs: 0
; ScratchSize: 0
; MemoryBound: 0
; FloatMode: 240
; IeeeMode: 1
; LDSByteSize: 0 bytes/workgroup (compile time only)
; SGPRBlocks: 0
; VGPRBlocks: 0
; NumSGPRsForWavesPerEU: 4
; NumVGPRsForWavesPerEU: 1
; AccumOffset: 4
; Occupancy: 8
; WaveLimiterHint : 0
; COMPUTE_PGM_RSRC2:SCRATCH_EN: 0
; COMPUTE_PGM_RSRC2:USER_SGPR: 6
; COMPUTE_PGM_RSRC2:TRAP_HANDLER: 0
; COMPUTE_PGM_RSRC2:TGID_X_EN: 1
; COMPUTE_PGM_RSRC2:TGID_Y_EN: 0
; COMPUTE_PGM_RSRC2:TGID_Z_EN: 0
; COMPUTE_PGM_RSRC2:TIDIG_COMP_CNT: 0
; COMPUTE_PGM_RSRC3_GFX90A:ACCUM_OFFSET: 0
; COMPUTE_PGM_RSRC3_GFX90A:TG_SPLIT: 0
	.section	.text._ZN7rocprim17ROCPRIM_400000_NS6detail17trampoline_kernelINS0_14default_configENS1_38merge_sort_block_merge_config_selectorIsNS0_10empty_typeEEEZZNS1_27merge_sort_block_merge_implIS3_PsPS5_jNS1_19radix_merge_compareILb0ELb0EsNS0_19identity_decomposerEEEEE10hipError_tT0_T1_T2_jT3_P12ihipStream_tbPNSt15iterator_traitsISE_E10value_typeEPNSK_ISF_E10value_typeEPSG_NS1_7vsmem_tEENKUlT_SE_SF_SG_E_clIS8_S8_S9_S9_EESD_ST_SE_SF_SG_EUlST_E1_NS1_11comp_targetILNS1_3genE0ELNS1_11target_archE4294967295ELNS1_3gpuE0ELNS1_3repE0EEENS1_36merge_oddeven_config_static_selectorELNS0_4arch9wavefront6targetE1EEEvSF_,"axG",@progbits,_ZN7rocprim17ROCPRIM_400000_NS6detail17trampoline_kernelINS0_14default_configENS1_38merge_sort_block_merge_config_selectorIsNS0_10empty_typeEEEZZNS1_27merge_sort_block_merge_implIS3_PsPS5_jNS1_19radix_merge_compareILb0ELb0EsNS0_19identity_decomposerEEEEE10hipError_tT0_T1_T2_jT3_P12ihipStream_tbPNSt15iterator_traitsISE_E10value_typeEPNSK_ISF_E10value_typeEPSG_NS1_7vsmem_tEENKUlT_SE_SF_SG_E_clIS8_S8_S9_S9_EESD_ST_SE_SF_SG_EUlST_E1_NS1_11comp_targetILNS1_3genE0ELNS1_11target_archE4294967295ELNS1_3gpuE0ELNS1_3repE0EEENS1_36merge_oddeven_config_static_selectorELNS0_4arch9wavefront6targetE1EEEvSF_,comdat
	.protected	_ZN7rocprim17ROCPRIM_400000_NS6detail17trampoline_kernelINS0_14default_configENS1_38merge_sort_block_merge_config_selectorIsNS0_10empty_typeEEEZZNS1_27merge_sort_block_merge_implIS3_PsPS5_jNS1_19radix_merge_compareILb0ELb0EsNS0_19identity_decomposerEEEEE10hipError_tT0_T1_T2_jT3_P12ihipStream_tbPNSt15iterator_traitsISE_E10value_typeEPNSK_ISF_E10value_typeEPSG_NS1_7vsmem_tEENKUlT_SE_SF_SG_E_clIS8_S8_S9_S9_EESD_ST_SE_SF_SG_EUlST_E1_NS1_11comp_targetILNS1_3genE0ELNS1_11target_archE4294967295ELNS1_3gpuE0ELNS1_3repE0EEENS1_36merge_oddeven_config_static_selectorELNS0_4arch9wavefront6targetE1EEEvSF_ ; -- Begin function _ZN7rocprim17ROCPRIM_400000_NS6detail17trampoline_kernelINS0_14default_configENS1_38merge_sort_block_merge_config_selectorIsNS0_10empty_typeEEEZZNS1_27merge_sort_block_merge_implIS3_PsPS5_jNS1_19radix_merge_compareILb0ELb0EsNS0_19identity_decomposerEEEEE10hipError_tT0_T1_T2_jT3_P12ihipStream_tbPNSt15iterator_traitsISE_E10value_typeEPNSK_ISF_E10value_typeEPSG_NS1_7vsmem_tEENKUlT_SE_SF_SG_E_clIS8_S8_S9_S9_EESD_ST_SE_SF_SG_EUlST_E1_NS1_11comp_targetILNS1_3genE0ELNS1_11target_archE4294967295ELNS1_3gpuE0ELNS1_3repE0EEENS1_36merge_oddeven_config_static_selectorELNS0_4arch9wavefront6targetE1EEEvSF_
	.globl	_ZN7rocprim17ROCPRIM_400000_NS6detail17trampoline_kernelINS0_14default_configENS1_38merge_sort_block_merge_config_selectorIsNS0_10empty_typeEEEZZNS1_27merge_sort_block_merge_implIS3_PsPS5_jNS1_19radix_merge_compareILb0ELb0EsNS0_19identity_decomposerEEEEE10hipError_tT0_T1_T2_jT3_P12ihipStream_tbPNSt15iterator_traitsISE_E10value_typeEPNSK_ISF_E10value_typeEPSG_NS1_7vsmem_tEENKUlT_SE_SF_SG_E_clIS8_S8_S9_S9_EESD_ST_SE_SF_SG_EUlST_E1_NS1_11comp_targetILNS1_3genE0ELNS1_11target_archE4294967295ELNS1_3gpuE0ELNS1_3repE0EEENS1_36merge_oddeven_config_static_selectorELNS0_4arch9wavefront6targetE1EEEvSF_
	.p2align	8
	.type	_ZN7rocprim17ROCPRIM_400000_NS6detail17trampoline_kernelINS0_14default_configENS1_38merge_sort_block_merge_config_selectorIsNS0_10empty_typeEEEZZNS1_27merge_sort_block_merge_implIS3_PsPS5_jNS1_19radix_merge_compareILb0ELb0EsNS0_19identity_decomposerEEEEE10hipError_tT0_T1_T2_jT3_P12ihipStream_tbPNSt15iterator_traitsISE_E10value_typeEPNSK_ISF_E10value_typeEPSG_NS1_7vsmem_tEENKUlT_SE_SF_SG_E_clIS8_S8_S9_S9_EESD_ST_SE_SF_SG_EUlST_E1_NS1_11comp_targetILNS1_3genE0ELNS1_11target_archE4294967295ELNS1_3gpuE0ELNS1_3repE0EEENS1_36merge_oddeven_config_static_selectorELNS0_4arch9wavefront6targetE1EEEvSF_,@function
_ZN7rocprim17ROCPRIM_400000_NS6detail17trampoline_kernelINS0_14default_configENS1_38merge_sort_block_merge_config_selectorIsNS0_10empty_typeEEEZZNS1_27merge_sort_block_merge_implIS3_PsPS5_jNS1_19radix_merge_compareILb0ELb0EsNS0_19identity_decomposerEEEEE10hipError_tT0_T1_T2_jT3_P12ihipStream_tbPNSt15iterator_traitsISE_E10value_typeEPNSK_ISF_E10value_typeEPSG_NS1_7vsmem_tEENKUlT_SE_SF_SG_E_clIS8_S8_S9_S9_EESD_ST_SE_SF_SG_EUlST_E1_NS1_11comp_targetILNS1_3genE0ELNS1_11target_archE4294967295ELNS1_3gpuE0ELNS1_3repE0EEENS1_36merge_oddeven_config_static_selectorELNS0_4arch9wavefront6targetE1EEEvSF_: ; @_ZN7rocprim17ROCPRIM_400000_NS6detail17trampoline_kernelINS0_14default_configENS1_38merge_sort_block_merge_config_selectorIsNS0_10empty_typeEEEZZNS1_27merge_sort_block_merge_implIS3_PsPS5_jNS1_19radix_merge_compareILb0ELb0EsNS0_19identity_decomposerEEEEE10hipError_tT0_T1_T2_jT3_P12ihipStream_tbPNSt15iterator_traitsISE_E10value_typeEPNSK_ISF_E10value_typeEPSG_NS1_7vsmem_tEENKUlT_SE_SF_SG_E_clIS8_S8_S9_S9_EESD_ST_SE_SF_SG_EUlST_E1_NS1_11comp_targetILNS1_3genE0ELNS1_11target_archE4294967295ELNS1_3gpuE0ELNS1_3repE0EEENS1_36merge_oddeven_config_static_selectorELNS0_4arch9wavefront6targetE1EEEvSF_
; %bb.0:
	.section	.rodata,"a",@progbits
	.p2align	6, 0x0
	.amdhsa_kernel _ZN7rocprim17ROCPRIM_400000_NS6detail17trampoline_kernelINS0_14default_configENS1_38merge_sort_block_merge_config_selectorIsNS0_10empty_typeEEEZZNS1_27merge_sort_block_merge_implIS3_PsPS5_jNS1_19radix_merge_compareILb0ELb0EsNS0_19identity_decomposerEEEEE10hipError_tT0_T1_T2_jT3_P12ihipStream_tbPNSt15iterator_traitsISE_E10value_typeEPNSK_ISF_E10value_typeEPSG_NS1_7vsmem_tEENKUlT_SE_SF_SG_E_clIS8_S8_S9_S9_EESD_ST_SE_SF_SG_EUlST_E1_NS1_11comp_targetILNS1_3genE0ELNS1_11target_archE4294967295ELNS1_3gpuE0ELNS1_3repE0EEENS1_36merge_oddeven_config_static_selectorELNS0_4arch9wavefront6targetE1EEEvSF_
		.amdhsa_group_segment_fixed_size 0
		.amdhsa_private_segment_fixed_size 0
		.amdhsa_kernarg_size 48
		.amdhsa_user_sgpr_count 6
		.amdhsa_user_sgpr_private_segment_buffer 1
		.amdhsa_user_sgpr_dispatch_ptr 0
		.amdhsa_user_sgpr_queue_ptr 0
		.amdhsa_user_sgpr_kernarg_segment_ptr 1
		.amdhsa_user_sgpr_dispatch_id 0
		.amdhsa_user_sgpr_flat_scratch_init 0
		.amdhsa_user_sgpr_kernarg_preload_length 0
		.amdhsa_user_sgpr_kernarg_preload_offset 0
		.amdhsa_user_sgpr_private_segment_size 0
		.amdhsa_uses_dynamic_stack 0
		.amdhsa_system_sgpr_private_segment_wavefront_offset 0
		.amdhsa_system_sgpr_workgroup_id_x 1
		.amdhsa_system_sgpr_workgroup_id_y 0
		.amdhsa_system_sgpr_workgroup_id_z 0
		.amdhsa_system_sgpr_workgroup_info 0
		.amdhsa_system_vgpr_workitem_id 0
		.amdhsa_next_free_vgpr 1
		.amdhsa_next_free_sgpr 0
		.amdhsa_accum_offset 4
		.amdhsa_reserve_vcc 0
		.amdhsa_reserve_flat_scratch 0
		.amdhsa_float_round_mode_32 0
		.amdhsa_float_round_mode_16_64 0
		.amdhsa_float_denorm_mode_32 3
		.amdhsa_float_denorm_mode_16_64 3
		.amdhsa_dx10_clamp 1
		.amdhsa_ieee_mode 1
		.amdhsa_fp16_overflow 0
		.amdhsa_tg_split 0
		.amdhsa_exception_fp_ieee_invalid_op 0
		.amdhsa_exception_fp_denorm_src 0
		.amdhsa_exception_fp_ieee_div_zero 0
		.amdhsa_exception_fp_ieee_overflow 0
		.amdhsa_exception_fp_ieee_underflow 0
		.amdhsa_exception_fp_ieee_inexact 0
		.amdhsa_exception_int_div_zero 0
	.end_amdhsa_kernel
	.section	.text._ZN7rocprim17ROCPRIM_400000_NS6detail17trampoline_kernelINS0_14default_configENS1_38merge_sort_block_merge_config_selectorIsNS0_10empty_typeEEEZZNS1_27merge_sort_block_merge_implIS3_PsPS5_jNS1_19radix_merge_compareILb0ELb0EsNS0_19identity_decomposerEEEEE10hipError_tT0_T1_T2_jT3_P12ihipStream_tbPNSt15iterator_traitsISE_E10value_typeEPNSK_ISF_E10value_typeEPSG_NS1_7vsmem_tEENKUlT_SE_SF_SG_E_clIS8_S8_S9_S9_EESD_ST_SE_SF_SG_EUlST_E1_NS1_11comp_targetILNS1_3genE0ELNS1_11target_archE4294967295ELNS1_3gpuE0ELNS1_3repE0EEENS1_36merge_oddeven_config_static_selectorELNS0_4arch9wavefront6targetE1EEEvSF_,"axG",@progbits,_ZN7rocprim17ROCPRIM_400000_NS6detail17trampoline_kernelINS0_14default_configENS1_38merge_sort_block_merge_config_selectorIsNS0_10empty_typeEEEZZNS1_27merge_sort_block_merge_implIS3_PsPS5_jNS1_19radix_merge_compareILb0ELb0EsNS0_19identity_decomposerEEEEE10hipError_tT0_T1_T2_jT3_P12ihipStream_tbPNSt15iterator_traitsISE_E10value_typeEPNSK_ISF_E10value_typeEPSG_NS1_7vsmem_tEENKUlT_SE_SF_SG_E_clIS8_S8_S9_S9_EESD_ST_SE_SF_SG_EUlST_E1_NS1_11comp_targetILNS1_3genE0ELNS1_11target_archE4294967295ELNS1_3gpuE0ELNS1_3repE0EEENS1_36merge_oddeven_config_static_selectorELNS0_4arch9wavefront6targetE1EEEvSF_,comdat
.Lfunc_end372:
	.size	_ZN7rocprim17ROCPRIM_400000_NS6detail17trampoline_kernelINS0_14default_configENS1_38merge_sort_block_merge_config_selectorIsNS0_10empty_typeEEEZZNS1_27merge_sort_block_merge_implIS3_PsPS5_jNS1_19radix_merge_compareILb0ELb0EsNS0_19identity_decomposerEEEEE10hipError_tT0_T1_T2_jT3_P12ihipStream_tbPNSt15iterator_traitsISE_E10value_typeEPNSK_ISF_E10value_typeEPSG_NS1_7vsmem_tEENKUlT_SE_SF_SG_E_clIS8_S8_S9_S9_EESD_ST_SE_SF_SG_EUlST_E1_NS1_11comp_targetILNS1_3genE0ELNS1_11target_archE4294967295ELNS1_3gpuE0ELNS1_3repE0EEENS1_36merge_oddeven_config_static_selectorELNS0_4arch9wavefront6targetE1EEEvSF_, .Lfunc_end372-_ZN7rocprim17ROCPRIM_400000_NS6detail17trampoline_kernelINS0_14default_configENS1_38merge_sort_block_merge_config_selectorIsNS0_10empty_typeEEEZZNS1_27merge_sort_block_merge_implIS3_PsPS5_jNS1_19radix_merge_compareILb0ELb0EsNS0_19identity_decomposerEEEEE10hipError_tT0_T1_T2_jT3_P12ihipStream_tbPNSt15iterator_traitsISE_E10value_typeEPNSK_ISF_E10value_typeEPSG_NS1_7vsmem_tEENKUlT_SE_SF_SG_E_clIS8_S8_S9_S9_EESD_ST_SE_SF_SG_EUlST_E1_NS1_11comp_targetILNS1_3genE0ELNS1_11target_archE4294967295ELNS1_3gpuE0ELNS1_3repE0EEENS1_36merge_oddeven_config_static_selectorELNS0_4arch9wavefront6targetE1EEEvSF_
                                        ; -- End function
	.section	.AMDGPU.csdata,"",@progbits
; Kernel info:
; codeLenInByte = 0
; NumSgprs: 4
; NumVgprs: 0
; NumAgprs: 0
; TotalNumVgprs: 0
; ScratchSize: 0
; MemoryBound: 0
; FloatMode: 240
; IeeeMode: 1
; LDSByteSize: 0 bytes/workgroup (compile time only)
; SGPRBlocks: 0
; VGPRBlocks: 0
; NumSGPRsForWavesPerEU: 4
; NumVGPRsForWavesPerEU: 1
; AccumOffset: 4
; Occupancy: 8
; WaveLimiterHint : 0
; COMPUTE_PGM_RSRC2:SCRATCH_EN: 0
; COMPUTE_PGM_RSRC2:USER_SGPR: 6
; COMPUTE_PGM_RSRC2:TRAP_HANDLER: 0
; COMPUTE_PGM_RSRC2:TGID_X_EN: 1
; COMPUTE_PGM_RSRC2:TGID_Y_EN: 0
; COMPUTE_PGM_RSRC2:TGID_Z_EN: 0
; COMPUTE_PGM_RSRC2:TIDIG_COMP_CNT: 0
; COMPUTE_PGM_RSRC3_GFX90A:ACCUM_OFFSET: 0
; COMPUTE_PGM_RSRC3_GFX90A:TG_SPLIT: 0
	.section	.text._ZN7rocprim17ROCPRIM_400000_NS6detail17trampoline_kernelINS0_14default_configENS1_38merge_sort_block_merge_config_selectorIsNS0_10empty_typeEEEZZNS1_27merge_sort_block_merge_implIS3_PsPS5_jNS1_19radix_merge_compareILb0ELb0EsNS0_19identity_decomposerEEEEE10hipError_tT0_T1_T2_jT3_P12ihipStream_tbPNSt15iterator_traitsISE_E10value_typeEPNSK_ISF_E10value_typeEPSG_NS1_7vsmem_tEENKUlT_SE_SF_SG_E_clIS8_S8_S9_S9_EESD_ST_SE_SF_SG_EUlST_E1_NS1_11comp_targetILNS1_3genE10ELNS1_11target_archE1201ELNS1_3gpuE5ELNS1_3repE0EEENS1_36merge_oddeven_config_static_selectorELNS0_4arch9wavefront6targetE1EEEvSF_,"axG",@progbits,_ZN7rocprim17ROCPRIM_400000_NS6detail17trampoline_kernelINS0_14default_configENS1_38merge_sort_block_merge_config_selectorIsNS0_10empty_typeEEEZZNS1_27merge_sort_block_merge_implIS3_PsPS5_jNS1_19radix_merge_compareILb0ELb0EsNS0_19identity_decomposerEEEEE10hipError_tT0_T1_T2_jT3_P12ihipStream_tbPNSt15iterator_traitsISE_E10value_typeEPNSK_ISF_E10value_typeEPSG_NS1_7vsmem_tEENKUlT_SE_SF_SG_E_clIS8_S8_S9_S9_EESD_ST_SE_SF_SG_EUlST_E1_NS1_11comp_targetILNS1_3genE10ELNS1_11target_archE1201ELNS1_3gpuE5ELNS1_3repE0EEENS1_36merge_oddeven_config_static_selectorELNS0_4arch9wavefront6targetE1EEEvSF_,comdat
	.protected	_ZN7rocprim17ROCPRIM_400000_NS6detail17trampoline_kernelINS0_14default_configENS1_38merge_sort_block_merge_config_selectorIsNS0_10empty_typeEEEZZNS1_27merge_sort_block_merge_implIS3_PsPS5_jNS1_19radix_merge_compareILb0ELb0EsNS0_19identity_decomposerEEEEE10hipError_tT0_T1_T2_jT3_P12ihipStream_tbPNSt15iterator_traitsISE_E10value_typeEPNSK_ISF_E10value_typeEPSG_NS1_7vsmem_tEENKUlT_SE_SF_SG_E_clIS8_S8_S9_S9_EESD_ST_SE_SF_SG_EUlST_E1_NS1_11comp_targetILNS1_3genE10ELNS1_11target_archE1201ELNS1_3gpuE5ELNS1_3repE0EEENS1_36merge_oddeven_config_static_selectorELNS0_4arch9wavefront6targetE1EEEvSF_ ; -- Begin function _ZN7rocprim17ROCPRIM_400000_NS6detail17trampoline_kernelINS0_14default_configENS1_38merge_sort_block_merge_config_selectorIsNS0_10empty_typeEEEZZNS1_27merge_sort_block_merge_implIS3_PsPS5_jNS1_19radix_merge_compareILb0ELb0EsNS0_19identity_decomposerEEEEE10hipError_tT0_T1_T2_jT3_P12ihipStream_tbPNSt15iterator_traitsISE_E10value_typeEPNSK_ISF_E10value_typeEPSG_NS1_7vsmem_tEENKUlT_SE_SF_SG_E_clIS8_S8_S9_S9_EESD_ST_SE_SF_SG_EUlST_E1_NS1_11comp_targetILNS1_3genE10ELNS1_11target_archE1201ELNS1_3gpuE5ELNS1_3repE0EEENS1_36merge_oddeven_config_static_selectorELNS0_4arch9wavefront6targetE1EEEvSF_
	.globl	_ZN7rocprim17ROCPRIM_400000_NS6detail17trampoline_kernelINS0_14default_configENS1_38merge_sort_block_merge_config_selectorIsNS0_10empty_typeEEEZZNS1_27merge_sort_block_merge_implIS3_PsPS5_jNS1_19radix_merge_compareILb0ELb0EsNS0_19identity_decomposerEEEEE10hipError_tT0_T1_T2_jT3_P12ihipStream_tbPNSt15iterator_traitsISE_E10value_typeEPNSK_ISF_E10value_typeEPSG_NS1_7vsmem_tEENKUlT_SE_SF_SG_E_clIS8_S8_S9_S9_EESD_ST_SE_SF_SG_EUlST_E1_NS1_11comp_targetILNS1_3genE10ELNS1_11target_archE1201ELNS1_3gpuE5ELNS1_3repE0EEENS1_36merge_oddeven_config_static_selectorELNS0_4arch9wavefront6targetE1EEEvSF_
	.p2align	8
	.type	_ZN7rocprim17ROCPRIM_400000_NS6detail17trampoline_kernelINS0_14default_configENS1_38merge_sort_block_merge_config_selectorIsNS0_10empty_typeEEEZZNS1_27merge_sort_block_merge_implIS3_PsPS5_jNS1_19radix_merge_compareILb0ELb0EsNS0_19identity_decomposerEEEEE10hipError_tT0_T1_T2_jT3_P12ihipStream_tbPNSt15iterator_traitsISE_E10value_typeEPNSK_ISF_E10value_typeEPSG_NS1_7vsmem_tEENKUlT_SE_SF_SG_E_clIS8_S8_S9_S9_EESD_ST_SE_SF_SG_EUlST_E1_NS1_11comp_targetILNS1_3genE10ELNS1_11target_archE1201ELNS1_3gpuE5ELNS1_3repE0EEENS1_36merge_oddeven_config_static_selectorELNS0_4arch9wavefront6targetE1EEEvSF_,@function
_ZN7rocprim17ROCPRIM_400000_NS6detail17trampoline_kernelINS0_14default_configENS1_38merge_sort_block_merge_config_selectorIsNS0_10empty_typeEEEZZNS1_27merge_sort_block_merge_implIS3_PsPS5_jNS1_19radix_merge_compareILb0ELb0EsNS0_19identity_decomposerEEEEE10hipError_tT0_T1_T2_jT3_P12ihipStream_tbPNSt15iterator_traitsISE_E10value_typeEPNSK_ISF_E10value_typeEPSG_NS1_7vsmem_tEENKUlT_SE_SF_SG_E_clIS8_S8_S9_S9_EESD_ST_SE_SF_SG_EUlST_E1_NS1_11comp_targetILNS1_3genE10ELNS1_11target_archE1201ELNS1_3gpuE5ELNS1_3repE0EEENS1_36merge_oddeven_config_static_selectorELNS0_4arch9wavefront6targetE1EEEvSF_: ; @_ZN7rocprim17ROCPRIM_400000_NS6detail17trampoline_kernelINS0_14default_configENS1_38merge_sort_block_merge_config_selectorIsNS0_10empty_typeEEEZZNS1_27merge_sort_block_merge_implIS3_PsPS5_jNS1_19radix_merge_compareILb0ELb0EsNS0_19identity_decomposerEEEEE10hipError_tT0_T1_T2_jT3_P12ihipStream_tbPNSt15iterator_traitsISE_E10value_typeEPNSK_ISF_E10value_typeEPSG_NS1_7vsmem_tEENKUlT_SE_SF_SG_E_clIS8_S8_S9_S9_EESD_ST_SE_SF_SG_EUlST_E1_NS1_11comp_targetILNS1_3genE10ELNS1_11target_archE1201ELNS1_3gpuE5ELNS1_3repE0EEENS1_36merge_oddeven_config_static_selectorELNS0_4arch9wavefront6targetE1EEEvSF_
; %bb.0:
	.section	.rodata,"a",@progbits
	.p2align	6, 0x0
	.amdhsa_kernel _ZN7rocprim17ROCPRIM_400000_NS6detail17trampoline_kernelINS0_14default_configENS1_38merge_sort_block_merge_config_selectorIsNS0_10empty_typeEEEZZNS1_27merge_sort_block_merge_implIS3_PsPS5_jNS1_19radix_merge_compareILb0ELb0EsNS0_19identity_decomposerEEEEE10hipError_tT0_T1_T2_jT3_P12ihipStream_tbPNSt15iterator_traitsISE_E10value_typeEPNSK_ISF_E10value_typeEPSG_NS1_7vsmem_tEENKUlT_SE_SF_SG_E_clIS8_S8_S9_S9_EESD_ST_SE_SF_SG_EUlST_E1_NS1_11comp_targetILNS1_3genE10ELNS1_11target_archE1201ELNS1_3gpuE5ELNS1_3repE0EEENS1_36merge_oddeven_config_static_selectorELNS0_4arch9wavefront6targetE1EEEvSF_
		.amdhsa_group_segment_fixed_size 0
		.amdhsa_private_segment_fixed_size 0
		.amdhsa_kernarg_size 48
		.amdhsa_user_sgpr_count 6
		.amdhsa_user_sgpr_private_segment_buffer 1
		.amdhsa_user_sgpr_dispatch_ptr 0
		.amdhsa_user_sgpr_queue_ptr 0
		.amdhsa_user_sgpr_kernarg_segment_ptr 1
		.amdhsa_user_sgpr_dispatch_id 0
		.amdhsa_user_sgpr_flat_scratch_init 0
		.amdhsa_user_sgpr_kernarg_preload_length 0
		.amdhsa_user_sgpr_kernarg_preload_offset 0
		.amdhsa_user_sgpr_private_segment_size 0
		.amdhsa_uses_dynamic_stack 0
		.amdhsa_system_sgpr_private_segment_wavefront_offset 0
		.amdhsa_system_sgpr_workgroup_id_x 1
		.amdhsa_system_sgpr_workgroup_id_y 0
		.amdhsa_system_sgpr_workgroup_id_z 0
		.amdhsa_system_sgpr_workgroup_info 0
		.amdhsa_system_vgpr_workitem_id 0
		.amdhsa_next_free_vgpr 1
		.amdhsa_next_free_sgpr 0
		.amdhsa_accum_offset 4
		.amdhsa_reserve_vcc 0
		.amdhsa_reserve_flat_scratch 0
		.amdhsa_float_round_mode_32 0
		.amdhsa_float_round_mode_16_64 0
		.amdhsa_float_denorm_mode_32 3
		.amdhsa_float_denorm_mode_16_64 3
		.amdhsa_dx10_clamp 1
		.amdhsa_ieee_mode 1
		.amdhsa_fp16_overflow 0
		.amdhsa_tg_split 0
		.amdhsa_exception_fp_ieee_invalid_op 0
		.amdhsa_exception_fp_denorm_src 0
		.amdhsa_exception_fp_ieee_div_zero 0
		.amdhsa_exception_fp_ieee_overflow 0
		.amdhsa_exception_fp_ieee_underflow 0
		.amdhsa_exception_fp_ieee_inexact 0
		.amdhsa_exception_int_div_zero 0
	.end_amdhsa_kernel
	.section	.text._ZN7rocprim17ROCPRIM_400000_NS6detail17trampoline_kernelINS0_14default_configENS1_38merge_sort_block_merge_config_selectorIsNS0_10empty_typeEEEZZNS1_27merge_sort_block_merge_implIS3_PsPS5_jNS1_19radix_merge_compareILb0ELb0EsNS0_19identity_decomposerEEEEE10hipError_tT0_T1_T2_jT3_P12ihipStream_tbPNSt15iterator_traitsISE_E10value_typeEPNSK_ISF_E10value_typeEPSG_NS1_7vsmem_tEENKUlT_SE_SF_SG_E_clIS8_S8_S9_S9_EESD_ST_SE_SF_SG_EUlST_E1_NS1_11comp_targetILNS1_3genE10ELNS1_11target_archE1201ELNS1_3gpuE5ELNS1_3repE0EEENS1_36merge_oddeven_config_static_selectorELNS0_4arch9wavefront6targetE1EEEvSF_,"axG",@progbits,_ZN7rocprim17ROCPRIM_400000_NS6detail17trampoline_kernelINS0_14default_configENS1_38merge_sort_block_merge_config_selectorIsNS0_10empty_typeEEEZZNS1_27merge_sort_block_merge_implIS3_PsPS5_jNS1_19radix_merge_compareILb0ELb0EsNS0_19identity_decomposerEEEEE10hipError_tT0_T1_T2_jT3_P12ihipStream_tbPNSt15iterator_traitsISE_E10value_typeEPNSK_ISF_E10value_typeEPSG_NS1_7vsmem_tEENKUlT_SE_SF_SG_E_clIS8_S8_S9_S9_EESD_ST_SE_SF_SG_EUlST_E1_NS1_11comp_targetILNS1_3genE10ELNS1_11target_archE1201ELNS1_3gpuE5ELNS1_3repE0EEENS1_36merge_oddeven_config_static_selectorELNS0_4arch9wavefront6targetE1EEEvSF_,comdat
.Lfunc_end373:
	.size	_ZN7rocprim17ROCPRIM_400000_NS6detail17trampoline_kernelINS0_14default_configENS1_38merge_sort_block_merge_config_selectorIsNS0_10empty_typeEEEZZNS1_27merge_sort_block_merge_implIS3_PsPS5_jNS1_19radix_merge_compareILb0ELb0EsNS0_19identity_decomposerEEEEE10hipError_tT0_T1_T2_jT3_P12ihipStream_tbPNSt15iterator_traitsISE_E10value_typeEPNSK_ISF_E10value_typeEPSG_NS1_7vsmem_tEENKUlT_SE_SF_SG_E_clIS8_S8_S9_S9_EESD_ST_SE_SF_SG_EUlST_E1_NS1_11comp_targetILNS1_3genE10ELNS1_11target_archE1201ELNS1_3gpuE5ELNS1_3repE0EEENS1_36merge_oddeven_config_static_selectorELNS0_4arch9wavefront6targetE1EEEvSF_, .Lfunc_end373-_ZN7rocprim17ROCPRIM_400000_NS6detail17trampoline_kernelINS0_14default_configENS1_38merge_sort_block_merge_config_selectorIsNS0_10empty_typeEEEZZNS1_27merge_sort_block_merge_implIS3_PsPS5_jNS1_19radix_merge_compareILb0ELb0EsNS0_19identity_decomposerEEEEE10hipError_tT0_T1_T2_jT3_P12ihipStream_tbPNSt15iterator_traitsISE_E10value_typeEPNSK_ISF_E10value_typeEPSG_NS1_7vsmem_tEENKUlT_SE_SF_SG_E_clIS8_S8_S9_S9_EESD_ST_SE_SF_SG_EUlST_E1_NS1_11comp_targetILNS1_3genE10ELNS1_11target_archE1201ELNS1_3gpuE5ELNS1_3repE0EEENS1_36merge_oddeven_config_static_selectorELNS0_4arch9wavefront6targetE1EEEvSF_
                                        ; -- End function
	.section	.AMDGPU.csdata,"",@progbits
; Kernel info:
; codeLenInByte = 0
; NumSgprs: 4
; NumVgprs: 0
; NumAgprs: 0
; TotalNumVgprs: 0
; ScratchSize: 0
; MemoryBound: 0
; FloatMode: 240
; IeeeMode: 1
; LDSByteSize: 0 bytes/workgroup (compile time only)
; SGPRBlocks: 0
; VGPRBlocks: 0
; NumSGPRsForWavesPerEU: 4
; NumVGPRsForWavesPerEU: 1
; AccumOffset: 4
; Occupancy: 8
; WaveLimiterHint : 0
; COMPUTE_PGM_RSRC2:SCRATCH_EN: 0
; COMPUTE_PGM_RSRC2:USER_SGPR: 6
; COMPUTE_PGM_RSRC2:TRAP_HANDLER: 0
; COMPUTE_PGM_RSRC2:TGID_X_EN: 1
; COMPUTE_PGM_RSRC2:TGID_Y_EN: 0
; COMPUTE_PGM_RSRC2:TGID_Z_EN: 0
; COMPUTE_PGM_RSRC2:TIDIG_COMP_CNT: 0
; COMPUTE_PGM_RSRC3_GFX90A:ACCUM_OFFSET: 0
; COMPUTE_PGM_RSRC3_GFX90A:TG_SPLIT: 0
	.section	.text._ZN7rocprim17ROCPRIM_400000_NS6detail17trampoline_kernelINS0_14default_configENS1_38merge_sort_block_merge_config_selectorIsNS0_10empty_typeEEEZZNS1_27merge_sort_block_merge_implIS3_PsPS5_jNS1_19radix_merge_compareILb0ELb0EsNS0_19identity_decomposerEEEEE10hipError_tT0_T1_T2_jT3_P12ihipStream_tbPNSt15iterator_traitsISE_E10value_typeEPNSK_ISF_E10value_typeEPSG_NS1_7vsmem_tEENKUlT_SE_SF_SG_E_clIS8_S8_S9_S9_EESD_ST_SE_SF_SG_EUlST_E1_NS1_11comp_targetILNS1_3genE5ELNS1_11target_archE942ELNS1_3gpuE9ELNS1_3repE0EEENS1_36merge_oddeven_config_static_selectorELNS0_4arch9wavefront6targetE1EEEvSF_,"axG",@progbits,_ZN7rocprim17ROCPRIM_400000_NS6detail17trampoline_kernelINS0_14default_configENS1_38merge_sort_block_merge_config_selectorIsNS0_10empty_typeEEEZZNS1_27merge_sort_block_merge_implIS3_PsPS5_jNS1_19radix_merge_compareILb0ELb0EsNS0_19identity_decomposerEEEEE10hipError_tT0_T1_T2_jT3_P12ihipStream_tbPNSt15iterator_traitsISE_E10value_typeEPNSK_ISF_E10value_typeEPSG_NS1_7vsmem_tEENKUlT_SE_SF_SG_E_clIS8_S8_S9_S9_EESD_ST_SE_SF_SG_EUlST_E1_NS1_11comp_targetILNS1_3genE5ELNS1_11target_archE942ELNS1_3gpuE9ELNS1_3repE0EEENS1_36merge_oddeven_config_static_selectorELNS0_4arch9wavefront6targetE1EEEvSF_,comdat
	.protected	_ZN7rocprim17ROCPRIM_400000_NS6detail17trampoline_kernelINS0_14default_configENS1_38merge_sort_block_merge_config_selectorIsNS0_10empty_typeEEEZZNS1_27merge_sort_block_merge_implIS3_PsPS5_jNS1_19radix_merge_compareILb0ELb0EsNS0_19identity_decomposerEEEEE10hipError_tT0_T1_T2_jT3_P12ihipStream_tbPNSt15iterator_traitsISE_E10value_typeEPNSK_ISF_E10value_typeEPSG_NS1_7vsmem_tEENKUlT_SE_SF_SG_E_clIS8_S8_S9_S9_EESD_ST_SE_SF_SG_EUlST_E1_NS1_11comp_targetILNS1_3genE5ELNS1_11target_archE942ELNS1_3gpuE9ELNS1_3repE0EEENS1_36merge_oddeven_config_static_selectorELNS0_4arch9wavefront6targetE1EEEvSF_ ; -- Begin function _ZN7rocprim17ROCPRIM_400000_NS6detail17trampoline_kernelINS0_14default_configENS1_38merge_sort_block_merge_config_selectorIsNS0_10empty_typeEEEZZNS1_27merge_sort_block_merge_implIS3_PsPS5_jNS1_19radix_merge_compareILb0ELb0EsNS0_19identity_decomposerEEEEE10hipError_tT0_T1_T2_jT3_P12ihipStream_tbPNSt15iterator_traitsISE_E10value_typeEPNSK_ISF_E10value_typeEPSG_NS1_7vsmem_tEENKUlT_SE_SF_SG_E_clIS8_S8_S9_S9_EESD_ST_SE_SF_SG_EUlST_E1_NS1_11comp_targetILNS1_3genE5ELNS1_11target_archE942ELNS1_3gpuE9ELNS1_3repE0EEENS1_36merge_oddeven_config_static_selectorELNS0_4arch9wavefront6targetE1EEEvSF_
	.globl	_ZN7rocprim17ROCPRIM_400000_NS6detail17trampoline_kernelINS0_14default_configENS1_38merge_sort_block_merge_config_selectorIsNS0_10empty_typeEEEZZNS1_27merge_sort_block_merge_implIS3_PsPS5_jNS1_19radix_merge_compareILb0ELb0EsNS0_19identity_decomposerEEEEE10hipError_tT0_T1_T2_jT3_P12ihipStream_tbPNSt15iterator_traitsISE_E10value_typeEPNSK_ISF_E10value_typeEPSG_NS1_7vsmem_tEENKUlT_SE_SF_SG_E_clIS8_S8_S9_S9_EESD_ST_SE_SF_SG_EUlST_E1_NS1_11comp_targetILNS1_3genE5ELNS1_11target_archE942ELNS1_3gpuE9ELNS1_3repE0EEENS1_36merge_oddeven_config_static_selectorELNS0_4arch9wavefront6targetE1EEEvSF_
	.p2align	8
	.type	_ZN7rocprim17ROCPRIM_400000_NS6detail17trampoline_kernelINS0_14default_configENS1_38merge_sort_block_merge_config_selectorIsNS0_10empty_typeEEEZZNS1_27merge_sort_block_merge_implIS3_PsPS5_jNS1_19radix_merge_compareILb0ELb0EsNS0_19identity_decomposerEEEEE10hipError_tT0_T1_T2_jT3_P12ihipStream_tbPNSt15iterator_traitsISE_E10value_typeEPNSK_ISF_E10value_typeEPSG_NS1_7vsmem_tEENKUlT_SE_SF_SG_E_clIS8_S8_S9_S9_EESD_ST_SE_SF_SG_EUlST_E1_NS1_11comp_targetILNS1_3genE5ELNS1_11target_archE942ELNS1_3gpuE9ELNS1_3repE0EEENS1_36merge_oddeven_config_static_selectorELNS0_4arch9wavefront6targetE1EEEvSF_,@function
_ZN7rocprim17ROCPRIM_400000_NS6detail17trampoline_kernelINS0_14default_configENS1_38merge_sort_block_merge_config_selectorIsNS0_10empty_typeEEEZZNS1_27merge_sort_block_merge_implIS3_PsPS5_jNS1_19radix_merge_compareILb0ELb0EsNS0_19identity_decomposerEEEEE10hipError_tT0_T1_T2_jT3_P12ihipStream_tbPNSt15iterator_traitsISE_E10value_typeEPNSK_ISF_E10value_typeEPSG_NS1_7vsmem_tEENKUlT_SE_SF_SG_E_clIS8_S8_S9_S9_EESD_ST_SE_SF_SG_EUlST_E1_NS1_11comp_targetILNS1_3genE5ELNS1_11target_archE942ELNS1_3gpuE9ELNS1_3repE0EEENS1_36merge_oddeven_config_static_selectorELNS0_4arch9wavefront6targetE1EEEvSF_: ; @_ZN7rocprim17ROCPRIM_400000_NS6detail17trampoline_kernelINS0_14default_configENS1_38merge_sort_block_merge_config_selectorIsNS0_10empty_typeEEEZZNS1_27merge_sort_block_merge_implIS3_PsPS5_jNS1_19radix_merge_compareILb0ELb0EsNS0_19identity_decomposerEEEEE10hipError_tT0_T1_T2_jT3_P12ihipStream_tbPNSt15iterator_traitsISE_E10value_typeEPNSK_ISF_E10value_typeEPSG_NS1_7vsmem_tEENKUlT_SE_SF_SG_E_clIS8_S8_S9_S9_EESD_ST_SE_SF_SG_EUlST_E1_NS1_11comp_targetILNS1_3genE5ELNS1_11target_archE942ELNS1_3gpuE9ELNS1_3repE0EEENS1_36merge_oddeven_config_static_selectorELNS0_4arch9wavefront6targetE1EEEvSF_
; %bb.0:
	.section	.rodata,"a",@progbits
	.p2align	6, 0x0
	.amdhsa_kernel _ZN7rocprim17ROCPRIM_400000_NS6detail17trampoline_kernelINS0_14default_configENS1_38merge_sort_block_merge_config_selectorIsNS0_10empty_typeEEEZZNS1_27merge_sort_block_merge_implIS3_PsPS5_jNS1_19radix_merge_compareILb0ELb0EsNS0_19identity_decomposerEEEEE10hipError_tT0_T1_T2_jT3_P12ihipStream_tbPNSt15iterator_traitsISE_E10value_typeEPNSK_ISF_E10value_typeEPSG_NS1_7vsmem_tEENKUlT_SE_SF_SG_E_clIS8_S8_S9_S9_EESD_ST_SE_SF_SG_EUlST_E1_NS1_11comp_targetILNS1_3genE5ELNS1_11target_archE942ELNS1_3gpuE9ELNS1_3repE0EEENS1_36merge_oddeven_config_static_selectorELNS0_4arch9wavefront6targetE1EEEvSF_
		.amdhsa_group_segment_fixed_size 0
		.amdhsa_private_segment_fixed_size 0
		.amdhsa_kernarg_size 48
		.amdhsa_user_sgpr_count 6
		.amdhsa_user_sgpr_private_segment_buffer 1
		.amdhsa_user_sgpr_dispatch_ptr 0
		.amdhsa_user_sgpr_queue_ptr 0
		.amdhsa_user_sgpr_kernarg_segment_ptr 1
		.amdhsa_user_sgpr_dispatch_id 0
		.amdhsa_user_sgpr_flat_scratch_init 0
		.amdhsa_user_sgpr_kernarg_preload_length 0
		.amdhsa_user_sgpr_kernarg_preload_offset 0
		.amdhsa_user_sgpr_private_segment_size 0
		.amdhsa_uses_dynamic_stack 0
		.amdhsa_system_sgpr_private_segment_wavefront_offset 0
		.amdhsa_system_sgpr_workgroup_id_x 1
		.amdhsa_system_sgpr_workgroup_id_y 0
		.amdhsa_system_sgpr_workgroup_id_z 0
		.amdhsa_system_sgpr_workgroup_info 0
		.amdhsa_system_vgpr_workitem_id 0
		.amdhsa_next_free_vgpr 1
		.amdhsa_next_free_sgpr 0
		.amdhsa_accum_offset 4
		.amdhsa_reserve_vcc 0
		.amdhsa_reserve_flat_scratch 0
		.amdhsa_float_round_mode_32 0
		.amdhsa_float_round_mode_16_64 0
		.amdhsa_float_denorm_mode_32 3
		.amdhsa_float_denorm_mode_16_64 3
		.amdhsa_dx10_clamp 1
		.amdhsa_ieee_mode 1
		.amdhsa_fp16_overflow 0
		.amdhsa_tg_split 0
		.amdhsa_exception_fp_ieee_invalid_op 0
		.amdhsa_exception_fp_denorm_src 0
		.amdhsa_exception_fp_ieee_div_zero 0
		.amdhsa_exception_fp_ieee_overflow 0
		.amdhsa_exception_fp_ieee_underflow 0
		.amdhsa_exception_fp_ieee_inexact 0
		.amdhsa_exception_int_div_zero 0
	.end_amdhsa_kernel
	.section	.text._ZN7rocprim17ROCPRIM_400000_NS6detail17trampoline_kernelINS0_14default_configENS1_38merge_sort_block_merge_config_selectorIsNS0_10empty_typeEEEZZNS1_27merge_sort_block_merge_implIS3_PsPS5_jNS1_19radix_merge_compareILb0ELb0EsNS0_19identity_decomposerEEEEE10hipError_tT0_T1_T2_jT3_P12ihipStream_tbPNSt15iterator_traitsISE_E10value_typeEPNSK_ISF_E10value_typeEPSG_NS1_7vsmem_tEENKUlT_SE_SF_SG_E_clIS8_S8_S9_S9_EESD_ST_SE_SF_SG_EUlST_E1_NS1_11comp_targetILNS1_3genE5ELNS1_11target_archE942ELNS1_3gpuE9ELNS1_3repE0EEENS1_36merge_oddeven_config_static_selectorELNS0_4arch9wavefront6targetE1EEEvSF_,"axG",@progbits,_ZN7rocprim17ROCPRIM_400000_NS6detail17trampoline_kernelINS0_14default_configENS1_38merge_sort_block_merge_config_selectorIsNS0_10empty_typeEEEZZNS1_27merge_sort_block_merge_implIS3_PsPS5_jNS1_19radix_merge_compareILb0ELb0EsNS0_19identity_decomposerEEEEE10hipError_tT0_T1_T2_jT3_P12ihipStream_tbPNSt15iterator_traitsISE_E10value_typeEPNSK_ISF_E10value_typeEPSG_NS1_7vsmem_tEENKUlT_SE_SF_SG_E_clIS8_S8_S9_S9_EESD_ST_SE_SF_SG_EUlST_E1_NS1_11comp_targetILNS1_3genE5ELNS1_11target_archE942ELNS1_3gpuE9ELNS1_3repE0EEENS1_36merge_oddeven_config_static_selectorELNS0_4arch9wavefront6targetE1EEEvSF_,comdat
.Lfunc_end374:
	.size	_ZN7rocprim17ROCPRIM_400000_NS6detail17trampoline_kernelINS0_14default_configENS1_38merge_sort_block_merge_config_selectorIsNS0_10empty_typeEEEZZNS1_27merge_sort_block_merge_implIS3_PsPS5_jNS1_19radix_merge_compareILb0ELb0EsNS0_19identity_decomposerEEEEE10hipError_tT0_T1_T2_jT3_P12ihipStream_tbPNSt15iterator_traitsISE_E10value_typeEPNSK_ISF_E10value_typeEPSG_NS1_7vsmem_tEENKUlT_SE_SF_SG_E_clIS8_S8_S9_S9_EESD_ST_SE_SF_SG_EUlST_E1_NS1_11comp_targetILNS1_3genE5ELNS1_11target_archE942ELNS1_3gpuE9ELNS1_3repE0EEENS1_36merge_oddeven_config_static_selectorELNS0_4arch9wavefront6targetE1EEEvSF_, .Lfunc_end374-_ZN7rocprim17ROCPRIM_400000_NS6detail17trampoline_kernelINS0_14default_configENS1_38merge_sort_block_merge_config_selectorIsNS0_10empty_typeEEEZZNS1_27merge_sort_block_merge_implIS3_PsPS5_jNS1_19radix_merge_compareILb0ELb0EsNS0_19identity_decomposerEEEEE10hipError_tT0_T1_T2_jT3_P12ihipStream_tbPNSt15iterator_traitsISE_E10value_typeEPNSK_ISF_E10value_typeEPSG_NS1_7vsmem_tEENKUlT_SE_SF_SG_E_clIS8_S8_S9_S9_EESD_ST_SE_SF_SG_EUlST_E1_NS1_11comp_targetILNS1_3genE5ELNS1_11target_archE942ELNS1_3gpuE9ELNS1_3repE0EEENS1_36merge_oddeven_config_static_selectorELNS0_4arch9wavefront6targetE1EEEvSF_
                                        ; -- End function
	.section	.AMDGPU.csdata,"",@progbits
; Kernel info:
; codeLenInByte = 0
; NumSgprs: 4
; NumVgprs: 0
; NumAgprs: 0
; TotalNumVgprs: 0
; ScratchSize: 0
; MemoryBound: 0
; FloatMode: 240
; IeeeMode: 1
; LDSByteSize: 0 bytes/workgroup (compile time only)
; SGPRBlocks: 0
; VGPRBlocks: 0
; NumSGPRsForWavesPerEU: 4
; NumVGPRsForWavesPerEU: 1
; AccumOffset: 4
; Occupancy: 8
; WaveLimiterHint : 0
; COMPUTE_PGM_RSRC2:SCRATCH_EN: 0
; COMPUTE_PGM_RSRC2:USER_SGPR: 6
; COMPUTE_PGM_RSRC2:TRAP_HANDLER: 0
; COMPUTE_PGM_RSRC2:TGID_X_EN: 1
; COMPUTE_PGM_RSRC2:TGID_Y_EN: 0
; COMPUTE_PGM_RSRC2:TGID_Z_EN: 0
; COMPUTE_PGM_RSRC2:TIDIG_COMP_CNT: 0
; COMPUTE_PGM_RSRC3_GFX90A:ACCUM_OFFSET: 0
; COMPUTE_PGM_RSRC3_GFX90A:TG_SPLIT: 0
	.section	.text._ZN7rocprim17ROCPRIM_400000_NS6detail17trampoline_kernelINS0_14default_configENS1_38merge_sort_block_merge_config_selectorIsNS0_10empty_typeEEEZZNS1_27merge_sort_block_merge_implIS3_PsPS5_jNS1_19radix_merge_compareILb0ELb0EsNS0_19identity_decomposerEEEEE10hipError_tT0_T1_T2_jT3_P12ihipStream_tbPNSt15iterator_traitsISE_E10value_typeEPNSK_ISF_E10value_typeEPSG_NS1_7vsmem_tEENKUlT_SE_SF_SG_E_clIS8_S8_S9_S9_EESD_ST_SE_SF_SG_EUlST_E1_NS1_11comp_targetILNS1_3genE4ELNS1_11target_archE910ELNS1_3gpuE8ELNS1_3repE0EEENS1_36merge_oddeven_config_static_selectorELNS0_4arch9wavefront6targetE1EEEvSF_,"axG",@progbits,_ZN7rocprim17ROCPRIM_400000_NS6detail17trampoline_kernelINS0_14default_configENS1_38merge_sort_block_merge_config_selectorIsNS0_10empty_typeEEEZZNS1_27merge_sort_block_merge_implIS3_PsPS5_jNS1_19radix_merge_compareILb0ELb0EsNS0_19identity_decomposerEEEEE10hipError_tT0_T1_T2_jT3_P12ihipStream_tbPNSt15iterator_traitsISE_E10value_typeEPNSK_ISF_E10value_typeEPSG_NS1_7vsmem_tEENKUlT_SE_SF_SG_E_clIS8_S8_S9_S9_EESD_ST_SE_SF_SG_EUlST_E1_NS1_11comp_targetILNS1_3genE4ELNS1_11target_archE910ELNS1_3gpuE8ELNS1_3repE0EEENS1_36merge_oddeven_config_static_selectorELNS0_4arch9wavefront6targetE1EEEvSF_,comdat
	.protected	_ZN7rocprim17ROCPRIM_400000_NS6detail17trampoline_kernelINS0_14default_configENS1_38merge_sort_block_merge_config_selectorIsNS0_10empty_typeEEEZZNS1_27merge_sort_block_merge_implIS3_PsPS5_jNS1_19radix_merge_compareILb0ELb0EsNS0_19identity_decomposerEEEEE10hipError_tT0_T1_T2_jT3_P12ihipStream_tbPNSt15iterator_traitsISE_E10value_typeEPNSK_ISF_E10value_typeEPSG_NS1_7vsmem_tEENKUlT_SE_SF_SG_E_clIS8_S8_S9_S9_EESD_ST_SE_SF_SG_EUlST_E1_NS1_11comp_targetILNS1_3genE4ELNS1_11target_archE910ELNS1_3gpuE8ELNS1_3repE0EEENS1_36merge_oddeven_config_static_selectorELNS0_4arch9wavefront6targetE1EEEvSF_ ; -- Begin function _ZN7rocprim17ROCPRIM_400000_NS6detail17trampoline_kernelINS0_14default_configENS1_38merge_sort_block_merge_config_selectorIsNS0_10empty_typeEEEZZNS1_27merge_sort_block_merge_implIS3_PsPS5_jNS1_19radix_merge_compareILb0ELb0EsNS0_19identity_decomposerEEEEE10hipError_tT0_T1_T2_jT3_P12ihipStream_tbPNSt15iterator_traitsISE_E10value_typeEPNSK_ISF_E10value_typeEPSG_NS1_7vsmem_tEENKUlT_SE_SF_SG_E_clIS8_S8_S9_S9_EESD_ST_SE_SF_SG_EUlST_E1_NS1_11comp_targetILNS1_3genE4ELNS1_11target_archE910ELNS1_3gpuE8ELNS1_3repE0EEENS1_36merge_oddeven_config_static_selectorELNS0_4arch9wavefront6targetE1EEEvSF_
	.globl	_ZN7rocprim17ROCPRIM_400000_NS6detail17trampoline_kernelINS0_14default_configENS1_38merge_sort_block_merge_config_selectorIsNS0_10empty_typeEEEZZNS1_27merge_sort_block_merge_implIS3_PsPS5_jNS1_19radix_merge_compareILb0ELb0EsNS0_19identity_decomposerEEEEE10hipError_tT0_T1_T2_jT3_P12ihipStream_tbPNSt15iterator_traitsISE_E10value_typeEPNSK_ISF_E10value_typeEPSG_NS1_7vsmem_tEENKUlT_SE_SF_SG_E_clIS8_S8_S9_S9_EESD_ST_SE_SF_SG_EUlST_E1_NS1_11comp_targetILNS1_3genE4ELNS1_11target_archE910ELNS1_3gpuE8ELNS1_3repE0EEENS1_36merge_oddeven_config_static_selectorELNS0_4arch9wavefront6targetE1EEEvSF_
	.p2align	8
	.type	_ZN7rocprim17ROCPRIM_400000_NS6detail17trampoline_kernelINS0_14default_configENS1_38merge_sort_block_merge_config_selectorIsNS0_10empty_typeEEEZZNS1_27merge_sort_block_merge_implIS3_PsPS5_jNS1_19radix_merge_compareILb0ELb0EsNS0_19identity_decomposerEEEEE10hipError_tT0_T1_T2_jT3_P12ihipStream_tbPNSt15iterator_traitsISE_E10value_typeEPNSK_ISF_E10value_typeEPSG_NS1_7vsmem_tEENKUlT_SE_SF_SG_E_clIS8_S8_S9_S9_EESD_ST_SE_SF_SG_EUlST_E1_NS1_11comp_targetILNS1_3genE4ELNS1_11target_archE910ELNS1_3gpuE8ELNS1_3repE0EEENS1_36merge_oddeven_config_static_selectorELNS0_4arch9wavefront6targetE1EEEvSF_,@function
_ZN7rocprim17ROCPRIM_400000_NS6detail17trampoline_kernelINS0_14default_configENS1_38merge_sort_block_merge_config_selectorIsNS0_10empty_typeEEEZZNS1_27merge_sort_block_merge_implIS3_PsPS5_jNS1_19radix_merge_compareILb0ELb0EsNS0_19identity_decomposerEEEEE10hipError_tT0_T1_T2_jT3_P12ihipStream_tbPNSt15iterator_traitsISE_E10value_typeEPNSK_ISF_E10value_typeEPSG_NS1_7vsmem_tEENKUlT_SE_SF_SG_E_clIS8_S8_S9_S9_EESD_ST_SE_SF_SG_EUlST_E1_NS1_11comp_targetILNS1_3genE4ELNS1_11target_archE910ELNS1_3gpuE8ELNS1_3repE0EEENS1_36merge_oddeven_config_static_selectorELNS0_4arch9wavefront6targetE1EEEvSF_: ; @_ZN7rocprim17ROCPRIM_400000_NS6detail17trampoline_kernelINS0_14default_configENS1_38merge_sort_block_merge_config_selectorIsNS0_10empty_typeEEEZZNS1_27merge_sort_block_merge_implIS3_PsPS5_jNS1_19radix_merge_compareILb0ELb0EsNS0_19identity_decomposerEEEEE10hipError_tT0_T1_T2_jT3_P12ihipStream_tbPNSt15iterator_traitsISE_E10value_typeEPNSK_ISF_E10value_typeEPSG_NS1_7vsmem_tEENKUlT_SE_SF_SG_E_clIS8_S8_S9_S9_EESD_ST_SE_SF_SG_EUlST_E1_NS1_11comp_targetILNS1_3genE4ELNS1_11target_archE910ELNS1_3gpuE8ELNS1_3repE0EEENS1_36merge_oddeven_config_static_selectorELNS0_4arch9wavefront6targetE1EEEvSF_
; %bb.0:
	s_load_dword s18, s[4:5], 0x20
	s_waitcnt lgkmcnt(0)
	s_lshr_b32 s0, s18, 8
	s_cmp_lg_u32 s6, s0
	s_cselect_b64 s[14:15], -1, 0
	s_cmp_eq_u32 s6, s0
	s_cselect_b64 s[12:13], -1, 0
	s_lshl_b32 s16, s6, 8
	s_sub_i32 s0, s18, s16
	v_cmp_gt_u32_e64 s[2:3], s0, v0
	s_or_b64 s[0:1], s[14:15], s[2:3]
	s_and_saveexec_b64 s[8:9], s[0:1]
	s_cbranch_execz .LBB375_20
; %bb.1:
	s_load_dwordx4 s[8:11], s[4:5], 0x0
	s_load_dword s19, s[4:5], 0x24
	s_mov_b32 s17, 0
	s_lshl_b64 s[0:1], s[16:17], 1
	v_lshlrev_b32_e32 v1, 1, v0
	s_waitcnt lgkmcnt(0)
	s_add_u32 s0, s8, s0
	s_addc_u32 s1, s9, s1
	global_load_ushort v2, v1, s[0:1]
	s_lshr_b32 s0, s19, 8
	s_sub_i32 s1, 0, s0
	s_and_b32 s1, s6, s1
	s_and_b32 s0, s1, s0
	s_lshl_b32 s20, s1, 8
	s_sub_i32 s6, 0, s19
	s_cmp_eq_u32 s0, 0
	s_cselect_b64 s[0:1], -1, 0
	s_and_b64 s[4:5], s[0:1], exec
	s_cselect_b32 s17, s19, s6
	s_add_i32 s17, s17, s20
	s_cmp_lt_u32 s17, s18
	v_add_u32_e32 v0, s16, v0
	s_cbranch_scc1 .LBB375_3
; %bb.2:
	v_cmp_gt_u32_e32 vcc, s18, v0
	s_or_b64 s[4:5], vcc, s[14:15]
	s_and_b64 s[4:5], s[4:5], exec
	s_cbranch_execz .LBB375_4
	s_branch .LBB375_18
.LBB375_3:
	s_mov_b64 s[4:5], 0
.LBB375_4:
	s_min_u32 s14, s17, s18
	s_add_i32 s6, s14, s19
	s_min_u32 s15, s6, s18
	s_min_u32 s6, s20, s14
	s_add_i32 s20, s20, s14
	v_subrev_u32_e32 v0, s20, v0
	v_add_u32_e32 v1, s6, v0
	s_and_b64 vcc, exec, s[12:13]
	s_cbranch_vccz .LBB375_12
; %bb.5:
                                        ; implicit-def: $vgpr0
	s_and_saveexec_b64 s[6:7], s[2:3]
	s_cbranch_execz .LBB375_11
; %bb.6:
	s_cmp_ge_u32 s17, s15
	v_mov_b32_e32 v0, s14
	s_cbranch_scc1 .LBB375_10
; %bb.7:
	s_mov_b64 s[2:3], 0
	v_mov_b32_e32 v3, s15
	v_mov_b32_e32 v0, s14
.LBB375_8:                              ; =>This Inner Loop Header: Depth=1
	v_add_u32_e32 v4, v0, v3
	v_and_b32_e32 v5, -2, v4
	global_load_ushort v5, v5, s[8:9]
	v_lshrrev_b32_e32 v4, 1, v4
	v_add_u32_e32 v6, 1, v4
	s_waitcnt vmcnt(0)
	v_cmp_gt_i16_e32 vcc, v2, v5
	v_cndmask_b32_e64 v7, 0, 1, vcc
	v_cmp_le_i16_e32 vcc, v5, v2
	v_cndmask_b32_e64 v5, 0, 1, vcc
	v_cndmask_b32_e64 v5, v5, v7, s[0:1]
	v_and_b32_e32 v5, 1, v5
	v_cmp_eq_u32_e32 vcc, 1, v5
	v_cndmask_b32_e32 v3, v4, v3, vcc
	v_cndmask_b32_e32 v0, v0, v6, vcc
	v_cmp_ge_u32_e32 vcc, v0, v3
	s_or_b64 s[2:3], vcc, s[2:3]
	s_andn2_b64 exec, exec, s[2:3]
	s_cbranch_execnz .LBB375_8
; %bb.9:
	s_or_b64 exec, exec, s[2:3]
.LBB375_10:
	v_add_u32_e32 v0, v0, v1
	s_or_b64 s[4:5], s[4:5], exec
.LBB375_11:
	s_or_b64 exec, exec, s[6:7]
	s_branch .LBB375_18
.LBB375_12:
                                        ; implicit-def: $vgpr0
	s_cbranch_execz .LBB375_18
; %bb.13:
	s_cmp_ge_u32 s17, s15
	v_mov_b32_e32 v0, s14
	s_cbranch_scc1 .LBB375_17
; %bb.14:
	s_mov_b64 s[2:3], 0
	v_mov_b32_e32 v3, s15
	v_mov_b32_e32 v0, s14
.LBB375_15:                             ; =>This Inner Loop Header: Depth=1
	v_add_u32_e32 v4, v0, v3
	v_and_b32_e32 v5, -2, v4
	global_load_ushort v5, v5, s[8:9]
	v_lshrrev_b32_e32 v4, 1, v4
	v_add_u32_e32 v6, 1, v4
	s_waitcnt vmcnt(0)
	v_cmp_gt_i16_e32 vcc, v2, v5
	v_cndmask_b32_e64 v7, 0, 1, vcc
	v_cmp_le_i16_e32 vcc, v5, v2
	v_cndmask_b32_e64 v5, 0, 1, vcc
	v_cndmask_b32_e64 v5, v5, v7, s[0:1]
	v_and_b32_e32 v5, 1, v5
	v_cmp_eq_u32_e32 vcc, 1, v5
	v_cndmask_b32_e32 v3, v4, v3, vcc
	v_cndmask_b32_e32 v0, v0, v6, vcc
	v_cmp_ge_u32_e32 vcc, v0, v3
	s_or_b64 s[2:3], vcc, s[2:3]
	s_andn2_b64 exec, exec, s[2:3]
	s_cbranch_execnz .LBB375_15
; %bb.16:
	s_or_b64 exec, exec, s[2:3]
.LBB375_17:
	v_add_u32_e32 v0, v0, v1
	s_mov_b64 s[4:5], -1
.LBB375_18:
	s_and_b64 exec, exec, s[4:5]
	s_cbranch_execz .LBB375_20
; %bb.19:
	v_mov_b32_e32 v1, 0
	v_lshlrev_b64 v[0:1], 1, v[0:1]
	v_mov_b32_e32 v3, s11
	v_add_co_u32_e32 v0, vcc, s10, v0
	v_addc_co_u32_e32 v1, vcc, v3, v1, vcc
	s_waitcnt vmcnt(0)
	global_store_short v[0:1], v2, off
.LBB375_20:
	s_endpgm
	.section	.rodata,"a",@progbits
	.p2align	6, 0x0
	.amdhsa_kernel _ZN7rocprim17ROCPRIM_400000_NS6detail17trampoline_kernelINS0_14default_configENS1_38merge_sort_block_merge_config_selectorIsNS0_10empty_typeEEEZZNS1_27merge_sort_block_merge_implIS3_PsPS5_jNS1_19radix_merge_compareILb0ELb0EsNS0_19identity_decomposerEEEEE10hipError_tT0_T1_T2_jT3_P12ihipStream_tbPNSt15iterator_traitsISE_E10value_typeEPNSK_ISF_E10value_typeEPSG_NS1_7vsmem_tEENKUlT_SE_SF_SG_E_clIS8_S8_S9_S9_EESD_ST_SE_SF_SG_EUlST_E1_NS1_11comp_targetILNS1_3genE4ELNS1_11target_archE910ELNS1_3gpuE8ELNS1_3repE0EEENS1_36merge_oddeven_config_static_selectorELNS0_4arch9wavefront6targetE1EEEvSF_
		.amdhsa_group_segment_fixed_size 0
		.amdhsa_private_segment_fixed_size 0
		.amdhsa_kernarg_size 48
		.amdhsa_user_sgpr_count 6
		.amdhsa_user_sgpr_private_segment_buffer 1
		.amdhsa_user_sgpr_dispatch_ptr 0
		.amdhsa_user_sgpr_queue_ptr 0
		.amdhsa_user_sgpr_kernarg_segment_ptr 1
		.amdhsa_user_sgpr_dispatch_id 0
		.amdhsa_user_sgpr_flat_scratch_init 0
		.amdhsa_user_sgpr_kernarg_preload_length 0
		.amdhsa_user_sgpr_kernarg_preload_offset 0
		.amdhsa_user_sgpr_private_segment_size 0
		.amdhsa_uses_dynamic_stack 0
		.amdhsa_system_sgpr_private_segment_wavefront_offset 0
		.amdhsa_system_sgpr_workgroup_id_x 1
		.amdhsa_system_sgpr_workgroup_id_y 0
		.amdhsa_system_sgpr_workgroup_id_z 0
		.amdhsa_system_sgpr_workgroup_info 0
		.amdhsa_system_vgpr_workitem_id 0
		.amdhsa_next_free_vgpr 8
		.amdhsa_next_free_sgpr 21
		.amdhsa_accum_offset 8
		.amdhsa_reserve_vcc 1
		.amdhsa_reserve_flat_scratch 0
		.amdhsa_float_round_mode_32 0
		.amdhsa_float_round_mode_16_64 0
		.amdhsa_float_denorm_mode_32 3
		.amdhsa_float_denorm_mode_16_64 3
		.amdhsa_dx10_clamp 1
		.amdhsa_ieee_mode 1
		.amdhsa_fp16_overflow 0
		.amdhsa_tg_split 0
		.amdhsa_exception_fp_ieee_invalid_op 0
		.amdhsa_exception_fp_denorm_src 0
		.amdhsa_exception_fp_ieee_div_zero 0
		.amdhsa_exception_fp_ieee_overflow 0
		.amdhsa_exception_fp_ieee_underflow 0
		.amdhsa_exception_fp_ieee_inexact 0
		.amdhsa_exception_int_div_zero 0
	.end_amdhsa_kernel
	.section	.text._ZN7rocprim17ROCPRIM_400000_NS6detail17trampoline_kernelINS0_14default_configENS1_38merge_sort_block_merge_config_selectorIsNS0_10empty_typeEEEZZNS1_27merge_sort_block_merge_implIS3_PsPS5_jNS1_19radix_merge_compareILb0ELb0EsNS0_19identity_decomposerEEEEE10hipError_tT0_T1_T2_jT3_P12ihipStream_tbPNSt15iterator_traitsISE_E10value_typeEPNSK_ISF_E10value_typeEPSG_NS1_7vsmem_tEENKUlT_SE_SF_SG_E_clIS8_S8_S9_S9_EESD_ST_SE_SF_SG_EUlST_E1_NS1_11comp_targetILNS1_3genE4ELNS1_11target_archE910ELNS1_3gpuE8ELNS1_3repE0EEENS1_36merge_oddeven_config_static_selectorELNS0_4arch9wavefront6targetE1EEEvSF_,"axG",@progbits,_ZN7rocprim17ROCPRIM_400000_NS6detail17trampoline_kernelINS0_14default_configENS1_38merge_sort_block_merge_config_selectorIsNS0_10empty_typeEEEZZNS1_27merge_sort_block_merge_implIS3_PsPS5_jNS1_19radix_merge_compareILb0ELb0EsNS0_19identity_decomposerEEEEE10hipError_tT0_T1_T2_jT3_P12ihipStream_tbPNSt15iterator_traitsISE_E10value_typeEPNSK_ISF_E10value_typeEPSG_NS1_7vsmem_tEENKUlT_SE_SF_SG_E_clIS8_S8_S9_S9_EESD_ST_SE_SF_SG_EUlST_E1_NS1_11comp_targetILNS1_3genE4ELNS1_11target_archE910ELNS1_3gpuE8ELNS1_3repE0EEENS1_36merge_oddeven_config_static_selectorELNS0_4arch9wavefront6targetE1EEEvSF_,comdat
.Lfunc_end375:
	.size	_ZN7rocprim17ROCPRIM_400000_NS6detail17trampoline_kernelINS0_14default_configENS1_38merge_sort_block_merge_config_selectorIsNS0_10empty_typeEEEZZNS1_27merge_sort_block_merge_implIS3_PsPS5_jNS1_19radix_merge_compareILb0ELb0EsNS0_19identity_decomposerEEEEE10hipError_tT0_T1_T2_jT3_P12ihipStream_tbPNSt15iterator_traitsISE_E10value_typeEPNSK_ISF_E10value_typeEPSG_NS1_7vsmem_tEENKUlT_SE_SF_SG_E_clIS8_S8_S9_S9_EESD_ST_SE_SF_SG_EUlST_E1_NS1_11comp_targetILNS1_3genE4ELNS1_11target_archE910ELNS1_3gpuE8ELNS1_3repE0EEENS1_36merge_oddeven_config_static_selectorELNS0_4arch9wavefront6targetE1EEEvSF_, .Lfunc_end375-_ZN7rocprim17ROCPRIM_400000_NS6detail17trampoline_kernelINS0_14default_configENS1_38merge_sort_block_merge_config_selectorIsNS0_10empty_typeEEEZZNS1_27merge_sort_block_merge_implIS3_PsPS5_jNS1_19radix_merge_compareILb0ELb0EsNS0_19identity_decomposerEEEEE10hipError_tT0_T1_T2_jT3_P12ihipStream_tbPNSt15iterator_traitsISE_E10value_typeEPNSK_ISF_E10value_typeEPSG_NS1_7vsmem_tEENKUlT_SE_SF_SG_E_clIS8_S8_S9_S9_EESD_ST_SE_SF_SG_EUlST_E1_NS1_11comp_targetILNS1_3genE4ELNS1_11target_archE910ELNS1_3gpuE8ELNS1_3repE0EEENS1_36merge_oddeven_config_static_selectorELNS0_4arch9wavefront6targetE1EEEvSF_
                                        ; -- End function
	.section	.AMDGPU.csdata,"",@progbits
; Kernel info:
; codeLenInByte = 548
; NumSgprs: 25
; NumVgprs: 8
; NumAgprs: 0
; TotalNumVgprs: 8
; ScratchSize: 0
; MemoryBound: 0
; FloatMode: 240
; IeeeMode: 1
; LDSByteSize: 0 bytes/workgroup (compile time only)
; SGPRBlocks: 3
; VGPRBlocks: 0
; NumSGPRsForWavesPerEU: 25
; NumVGPRsForWavesPerEU: 8
; AccumOffset: 8
; Occupancy: 8
; WaveLimiterHint : 0
; COMPUTE_PGM_RSRC2:SCRATCH_EN: 0
; COMPUTE_PGM_RSRC2:USER_SGPR: 6
; COMPUTE_PGM_RSRC2:TRAP_HANDLER: 0
; COMPUTE_PGM_RSRC2:TGID_X_EN: 1
; COMPUTE_PGM_RSRC2:TGID_Y_EN: 0
; COMPUTE_PGM_RSRC2:TGID_Z_EN: 0
; COMPUTE_PGM_RSRC2:TIDIG_COMP_CNT: 0
; COMPUTE_PGM_RSRC3_GFX90A:ACCUM_OFFSET: 1
; COMPUTE_PGM_RSRC3_GFX90A:TG_SPLIT: 0
	.section	.text._ZN7rocprim17ROCPRIM_400000_NS6detail17trampoline_kernelINS0_14default_configENS1_38merge_sort_block_merge_config_selectorIsNS0_10empty_typeEEEZZNS1_27merge_sort_block_merge_implIS3_PsPS5_jNS1_19radix_merge_compareILb0ELb0EsNS0_19identity_decomposerEEEEE10hipError_tT0_T1_T2_jT3_P12ihipStream_tbPNSt15iterator_traitsISE_E10value_typeEPNSK_ISF_E10value_typeEPSG_NS1_7vsmem_tEENKUlT_SE_SF_SG_E_clIS8_S8_S9_S9_EESD_ST_SE_SF_SG_EUlST_E1_NS1_11comp_targetILNS1_3genE3ELNS1_11target_archE908ELNS1_3gpuE7ELNS1_3repE0EEENS1_36merge_oddeven_config_static_selectorELNS0_4arch9wavefront6targetE1EEEvSF_,"axG",@progbits,_ZN7rocprim17ROCPRIM_400000_NS6detail17trampoline_kernelINS0_14default_configENS1_38merge_sort_block_merge_config_selectorIsNS0_10empty_typeEEEZZNS1_27merge_sort_block_merge_implIS3_PsPS5_jNS1_19radix_merge_compareILb0ELb0EsNS0_19identity_decomposerEEEEE10hipError_tT0_T1_T2_jT3_P12ihipStream_tbPNSt15iterator_traitsISE_E10value_typeEPNSK_ISF_E10value_typeEPSG_NS1_7vsmem_tEENKUlT_SE_SF_SG_E_clIS8_S8_S9_S9_EESD_ST_SE_SF_SG_EUlST_E1_NS1_11comp_targetILNS1_3genE3ELNS1_11target_archE908ELNS1_3gpuE7ELNS1_3repE0EEENS1_36merge_oddeven_config_static_selectorELNS0_4arch9wavefront6targetE1EEEvSF_,comdat
	.protected	_ZN7rocprim17ROCPRIM_400000_NS6detail17trampoline_kernelINS0_14default_configENS1_38merge_sort_block_merge_config_selectorIsNS0_10empty_typeEEEZZNS1_27merge_sort_block_merge_implIS3_PsPS5_jNS1_19radix_merge_compareILb0ELb0EsNS0_19identity_decomposerEEEEE10hipError_tT0_T1_T2_jT3_P12ihipStream_tbPNSt15iterator_traitsISE_E10value_typeEPNSK_ISF_E10value_typeEPSG_NS1_7vsmem_tEENKUlT_SE_SF_SG_E_clIS8_S8_S9_S9_EESD_ST_SE_SF_SG_EUlST_E1_NS1_11comp_targetILNS1_3genE3ELNS1_11target_archE908ELNS1_3gpuE7ELNS1_3repE0EEENS1_36merge_oddeven_config_static_selectorELNS0_4arch9wavefront6targetE1EEEvSF_ ; -- Begin function _ZN7rocprim17ROCPRIM_400000_NS6detail17trampoline_kernelINS0_14default_configENS1_38merge_sort_block_merge_config_selectorIsNS0_10empty_typeEEEZZNS1_27merge_sort_block_merge_implIS3_PsPS5_jNS1_19radix_merge_compareILb0ELb0EsNS0_19identity_decomposerEEEEE10hipError_tT0_T1_T2_jT3_P12ihipStream_tbPNSt15iterator_traitsISE_E10value_typeEPNSK_ISF_E10value_typeEPSG_NS1_7vsmem_tEENKUlT_SE_SF_SG_E_clIS8_S8_S9_S9_EESD_ST_SE_SF_SG_EUlST_E1_NS1_11comp_targetILNS1_3genE3ELNS1_11target_archE908ELNS1_3gpuE7ELNS1_3repE0EEENS1_36merge_oddeven_config_static_selectorELNS0_4arch9wavefront6targetE1EEEvSF_
	.globl	_ZN7rocprim17ROCPRIM_400000_NS6detail17trampoline_kernelINS0_14default_configENS1_38merge_sort_block_merge_config_selectorIsNS0_10empty_typeEEEZZNS1_27merge_sort_block_merge_implIS3_PsPS5_jNS1_19radix_merge_compareILb0ELb0EsNS0_19identity_decomposerEEEEE10hipError_tT0_T1_T2_jT3_P12ihipStream_tbPNSt15iterator_traitsISE_E10value_typeEPNSK_ISF_E10value_typeEPSG_NS1_7vsmem_tEENKUlT_SE_SF_SG_E_clIS8_S8_S9_S9_EESD_ST_SE_SF_SG_EUlST_E1_NS1_11comp_targetILNS1_3genE3ELNS1_11target_archE908ELNS1_3gpuE7ELNS1_3repE0EEENS1_36merge_oddeven_config_static_selectorELNS0_4arch9wavefront6targetE1EEEvSF_
	.p2align	8
	.type	_ZN7rocprim17ROCPRIM_400000_NS6detail17trampoline_kernelINS0_14default_configENS1_38merge_sort_block_merge_config_selectorIsNS0_10empty_typeEEEZZNS1_27merge_sort_block_merge_implIS3_PsPS5_jNS1_19radix_merge_compareILb0ELb0EsNS0_19identity_decomposerEEEEE10hipError_tT0_T1_T2_jT3_P12ihipStream_tbPNSt15iterator_traitsISE_E10value_typeEPNSK_ISF_E10value_typeEPSG_NS1_7vsmem_tEENKUlT_SE_SF_SG_E_clIS8_S8_S9_S9_EESD_ST_SE_SF_SG_EUlST_E1_NS1_11comp_targetILNS1_3genE3ELNS1_11target_archE908ELNS1_3gpuE7ELNS1_3repE0EEENS1_36merge_oddeven_config_static_selectorELNS0_4arch9wavefront6targetE1EEEvSF_,@function
_ZN7rocprim17ROCPRIM_400000_NS6detail17trampoline_kernelINS0_14default_configENS1_38merge_sort_block_merge_config_selectorIsNS0_10empty_typeEEEZZNS1_27merge_sort_block_merge_implIS3_PsPS5_jNS1_19radix_merge_compareILb0ELb0EsNS0_19identity_decomposerEEEEE10hipError_tT0_T1_T2_jT3_P12ihipStream_tbPNSt15iterator_traitsISE_E10value_typeEPNSK_ISF_E10value_typeEPSG_NS1_7vsmem_tEENKUlT_SE_SF_SG_E_clIS8_S8_S9_S9_EESD_ST_SE_SF_SG_EUlST_E1_NS1_11comp_targetILNS1_3genE3ELNS1_11target_archE908ELNS1_3gpuE7ELNS1_3repE0EEENS1_36merge_oddeven_config_static_selectorELNS0_4arch9wavefront6targetE1EEEvSF_: ; @_ZN7rocprim17ROCPRIM_400000_NS6detail17trampoline_kernelINS0_14default_configENS1_38merge_sort_block_merge_config_selectorIsNS0_10empty_typeEEEZZNS1_27merge_sort_block_merge_implIS3_PsPS5_jNS1_19radix_merge_compareILb0ELb0EsNS0_19identity_decomposerEEEEE10hipError_tT0_T1_T2_jT3_P12ihipStream_tbPNSt15iterator_traitsISE_E10value_typeEPNSK_ISF_E10value_typeEPSG_NS1_7vsmem_tEENKUlT_SE_SF_SG_E_clIS8_S8_S9_S9_EESD_ST_SE_SF_SG_EUlST_E1_NS1_11comp_targetILNS1_3genE3ELNS1_11target_archE908ELNS1_3gpuE7ELNS1_3repE0EEENS1_36merge_oddeven_config_static_selectorELNS0_4arch9wavefront6targetE1EEEvSF_
; %bb.0:
	.section	.rodata,"a",@progbits
	.p2align	6, 0x0
	.amdhsa_kernel _ZN7rocprim17ROCPRIM_400000_NS6detail17trampoline_kernelINS0_14default_configENS1_38merge_sort_block_merge_config_selectorIsNS0_10empty_typeEEEZZNS1_27merge_sort_block_merge_implIS3_PsPS5_jNS1_19radix_merge_compareILb0ELb0EsNS0_19identity_decomposerEEEEE10hipError_tT0_T1_T2_jT3_P12ihipStream_tbPNSt15iterator_traitsISE_E10value_typeEPNSK_ISF_E10value_typeEPSG_NS1_7vsmem_tEENKUlT_SE_SF_SG_E_clIS8_S8_S9_S9_EESD_ST_SE_SF_SG_EUlST_E1_NS1_11comp_targetILNS1_3genE3ELNS1_11target_archE908ELNS1_3gpuE7ELNS1_3repE0EEENS1_36merge_oddeven_config_static_selectorELNS0_4arch9wavefront6targetE1EEEvSF_
		.amdhsa_group_segment_fixed_size 0
		.amdhsa_private_segment_fixed_size 0
		.amdhsa_kernarg_size 48
		.amdhsa_user_sgpr_count 6
		.amdhsa_user_sgpr_private_segment_buffer 1
		.amdhsa_user_sgpr_dispatch_ptr 0
		.amdhsa_user_sgpr_queue_ptr 0
		.amdhsa_user_sgpr_kernarg_segment_ptr 1
		.amdhsa_user_sgpr_dispatch_id 0
		.amdhsa_user_sgpr_flat_scratch_init 0
		.amdhsa_user_sgpr_kernarg_preload_length 0
		.amdhsa_user_sgpr_kernarg_preload_offset 0
		.amdhsa_user_sgpr_private_segment_size 0
		.amdhsa_uses_dynamic_stack 0
		.amdhsa_system_sgpr_private_segment_wavefront_offset 0
		.amdhsa_system_sgpr_workgroup_id_x 1
		.amdhsa_system_sgpr_workgroup_id_y 0
		.amdhsa_system_sgpr_workgroup_id_z 0
		.amdhsa_system_sgpr_workgroup_info 0
		.amdhsa_system_vgpr_workitem_id 0
		.amdhsa_next_free_vgpr 1
		.amdhsa_next_free_sgpr 0
		.amdhsa_accum_offset 4
		.amdhsa_reserve_vcc 0
		.amdhsa_reserve_flat_scratch 0
		.amdhsa_float_round_mode_32 0
		.amdhsa_float_round_mode_16_64 0
		.amdhsa_float_denorm_mode_32 3
		.amdhsa_float_denorm_mode_16_64 3
		.amdhsa_dx10_clamp 1
		.amdhsa_ieee_mode 1
		.amdhsa_fp16_overflow 0
		.amdhsa_tg_split 0
		.amdhsa_exception_fp_ieee_invalid_op 0
		.amdhsa_exception_fp_denorm_src 0
		.amdhsa_exception_fp_ieee_div_zero 0
		.amdhsa_exception_fp_ieee_overflow 0
		.amdhsa_exception_fp_ieee_underflow 0
		.amdhsa_exception_fp_ieee_inexact 0
		.amdhsa_exception_int_div_zero 0
	.end_amdhsa_kernel
	.section	.text._ZN7rocprim17ROCPRIM_400000_NS6detail17trampoline_kernelINS0_14default_configENS1_38merge_sort_block_merge_config_selectorIsNS0_10empty_typeEEEZZNS1_27merge_sort_block_merge_implIS3_PsPS5_jNS1_19radix_merge_compareILb0ELb0EsNS0_19identity_decomposerEEEEE10hipError_tT0_T1_T2_jT3_P12ihipStream_tbPNSt15iterator_traitsISE_E10value_typeEPNSK_ISF_E10value_typeEPSG_NS1_7vsmem_tEENKUlT_SE_SF_SG_E_clIS8_S8_S9_S9_EESD_ST_SE_SF_SG_EUlST_E1_NS1_11comp_targetILNS1_3genE3ELNS1_11target_archE908ELNS1_3gpuE7ELNS1_3repE0EEENS1_36merge_oddeven_config_static_selectorELNS0_4arch9wavefront6targetE1EEEvSF_,"axG",@progbits,_ZN7rocprim17ROCPRIM_400000_NS6detail17trampoline_kernelINS0_14default_configENS1_38merge_sort_block_merge_config_selectorIsNS0_10empty_typeEEEZZNS1_27merge_sort_block_merge_implIS3_PsPS5_jNS1_19radix_merge_compareILb0ELb0EsNS0_19identity_decomposerEEEEE10hipError_tT0_T1_T2_jT3_P12ihipStream_tbPNSt15iterator_traitsISE_E10value_typeEPNSK_ISF_E10value_typeEPSG_NS1_7vsmem_tEENKUlT_SE_SF_SG_E_clIS8_S8_S9_S9_EESD_ST_SE_SF_SG_EUlST_E1_NS1_11comp_targetILNS1_3genE3ELNS1_11target_archE908ELNS1_3gpuE7ELNS1_3repE0EEENS1_36merge_oddeven_config_static_selectorELNS0_4arch9wavefront6targetE1EEEvSF_,comdat
.Lfunc_end376:
	.size	_ZN7rocprim17ROCPRIM_400000_NS6detail17trampoline_kernelINS0_14default_configENS1_38merge_sort_block_merge_config_selectorIsNS0_10empty_typeEEEZZNS1_27merge_sort_block_merge_implIS3_PsPS5_jNS1_19radix_merge_compareILb0ELb0EsNS0_19identity_decomposerEEEEE10hipError_tT0_T1_T2_jT3_P12ihipStream_tbPNSt15iterator_traitsISE_E10value_typeEPNSK_ISF_E10value_typeEPSG_NS1_7vsmem_tEENKUlT_SE_SF_SG_E_clIS8_S8_S9_S9_EESD_ST_SE_SF_SG_EUlST_E1_NS1_11comp_targetILNS1_3genE3ELNS1_11target_archE908ELNS1_3gpuE7ELNS1_3repE0EEENS1_36merge_oddeven_config_static_selectorELNS0_4arch9wavefront6targetE1EEEvSF_, .Lfunc_end376-_ZN7rocprim17ROCPRIM_400000_NS6detail17trampoline_kernelINS0_14default_configENS1_38merge_sort_block_merge_config_selectorIsNS0_10empty_typeEEEZZNS1_27merge_sort_block_merge_implIS3_PsPS5_jNS1_19radix_merge_compareILb0ELb0EsNS0_19identity_decomposerEEEEE10hipError_tT0_T1_T2_jT3_P12ihipStream_tbPNSt15iterator_traitsISE_E10value_typeEPNSK_ISF_E10value_typeEPSG_NS1_7vsmem_tEENKUlT_SE_SF_SG_E_clIS8_S8_S9_S9_EESD_ST_SE_SF_SG_EUlST_E1_NS1_11comp_targetILNS1_3genE3ELNS1_11target_archE908ELNS1_3gpuE7ELNS1_3repE0EEENS1_36merge_oddeven_config_static_selectorELNS0_4arch9wavefront6targetE1EEEvSF_
                                        ; -- End function
	.section	.AMDGPU.csdata,"",@progbits
; Kernel info:
; codeLenInByte = 0
; NumSgprs: 4
; NumVgprs: 0
; NumAgprs: 0
; TotalNumVgprs: 0
; ScratchSize: 0
; MemoryBound: 0
; FloatMode: 240
; IeeeMode: 1
; LDSByteSize: 0 bytes/workgroup (compile time only)
; SGPRBlocks: 0
; VGPRBlocks: 0
; NumSGPRsForWavesPerEU: 4
; NumVGPRsForWavesPerEU: 1
; AccumOffset: 4
; Occupancy: 8
; WaveLimiterHint : 0
; COMPUTE_PGM_RSRC2:SCRATCH_EN: 0
; COMPUTE_PGM_RSRC2:USER_SGPR: 6
; COMPUTE_PGM_RSRC2:TRAP_HANDLER: 0
; COMPUTE_PGM_RSRC2:TGID_X_EN: 1
; COMPUTE_PGM_RSRC2:TGID_Y_EN: 0
; COMPUTE_PGM_RSRC2:TGID_Z_EN: 0
; COMPUTE_PGM_RSRC2:TIDIG_COMP_CNT: 0
; COMPUTE_PGM_RSRC3_GFX90A:ACCUM_OFFSET: 0
; COMPUTE_PGM_RSRC3_GFX90A:TG_SPLIT: 0
	.section	.text._ZN7rocprim17ROCPRIM_400000_NS6detail17trampoline_kernelINS0_14default_configENS1_38merge_sort_block_merge_config_selectorIsNS0_10empty_typeEEEZZNS1_27merge_sort_block_merge_implIS3_PsPS5_jNS1_19radix_merge_compareILb0ELb0EsNS0_19identity_decomposerEEEEE10hipError_tT0_T1_T2_jT3_P12ihipStream_tbPNSt15iterator_traitsISE_E10value_typeEPNSK_ISF_E10value_typeEPSG_NS1_7vsmem_tEENKUlT_SE_SF_SG_E_clIS8_S8_S9_S9_EESD_ST_SE_SF_SG_EUlST_E1_NS1_11comp_targetILNS1_3genE2ELNS1_11target_archE906ELNS1_3gpuE6ELNS1_3repE0EEENS1_36merge_oddeven_config_static_selectorELNS0_4arch9wavefront6targetE1EEEvSF_,"axG",@progbits,_ZN7rocprim17ROCPRIM_400000_NS6detail17trampoline_kernelINS0_14default_configENS1_38merge_sort_block_merge_config_selectorIsNS0_10empty_typeEEEZZNS1_27merge_sort_block_merge_implIS3_PsPS5_jNS1_19radix_merge_compareILb0ELb0EsNS0_19identity_decomposerEEEEE10hipError_tT0_T1_T2_jT3_P12ihipStream_tbPNSt15iterator_traitsISE_E10value_typeEPNSK_ISF_E10value_typeEPSG_NS1_7vsmem_tEENKUlT_SE_SF_SG_E_clIS8_S8_S9_S9_EESD_ST_SE_SF_SG_EUlST_E1_NS1_11comp_targetILNS1_3genE2ELNS1_11target_archE906ELNS1_3gpuE6ELNS1_3repE0EEENS1_36merge_oddeven_config_static_selectorELNS0_4arch9wavefront6targetE1EEEvSF_,comdat
	.protected	_ZN7rocprim17ROCPRIM_400000_NS6detail17trampoline_kernelINS0_14default_configENS1_38merge_sort_block_merge_config_selectorIsNS0_10empty_typeEEEZZNS1_27merge_sort_block_merge_implIS3_PsPS5_jNS1_19radix_merge_compareILb0ELb0EsNS0_19identity_decomposerEEEEE10hipError_tT0_T1_T2_jT3_P12ihipStream_tbPNSt15iterator_traitsISE_E10value_typeEPNSK_ISF_E10value_typeEPSG_NS1_7vsmem_tEENKUlT_SE_SF_SG_E_clIS8_S8_S9_S9_EESD_ST_SE_SF_SG_EUlST_E1_NS1_11comp_targetILNS1_3genE2ELNS1_11target_archE906ELNS1_3gpuE6ELNS1_3repE0EEENS1_36merge_oddeven_config_static_selectorELNS0_4arch9wavefront6targetE1EEEvSF_ ; -- Begin function _ZN7rocprim17ROCPRIM_400000_NS6detail17trampoline_kernelINS0_14default_configENS1_38merge_sort_block_merge_config_selectorIsNS0_10empty_typeEEEZZNS1_27merge_sort_block_merge_implIS3_PsPS5_jNS1_19radix_merge_compareILb0ELb0EsNS0_19identity_decomposerEEEEE10hipError_tT0_T1_T2_jT3_P12ihipStream_tbPNSt15iterator_traitsISE_E10value_typeEPNSK_ISF_E10value_typeEPSG_NS1_7vsmem_tEENKUlT_SE_SF_SG_E_clIS8_S8_S9_S9_EESD_ST_SE_SF_SG_EUlST_E1_NS1_11comp_targetILNS1_3genE2ELNS1_11target_archE906ELNS1_3gpuE6ELNS1_3repE0EEENS1_36merge_oddeven_config_static_selectorELNS0_4arch9wavefront6targetE1EEEvSF_
	.globl	_ZN7rocprim17ROCPRIM_400000_NS6detail17trampoline_kernelINS0_14default_configENS1_38merge_sort_block_merge_config_selectorIsNS0_10empty_typeEEEZZNS1_27merge_sort_block_merge_implIS3_PsPS5_jNS1_19radix_merge_compareILb0ELb0EsNS0_19identity_decomposerEEEEE10hipError_tT0_T1_T2_jT3_P12ihipStream_tbPNSt15iterator_traitsISE_E10value_typeEPNSK_ISF_E10value_typeEPSG_NS1_7vsmem_tEENKUlT_SE_SF_SG_E_clIS8_S8_S9_S9_EESD_ST_SE_SF_SG_EUlST_E1_NS1_11comp_targetILNS1_3genE2ELNS1_11target_archE906ELNS1_3gpuE6ELNS1_3repE0EEENS1_36merge_oddeven_config_static_selectorELNS0_4arch9wavefront6targetE1EEEvSF_
	.p2align	8
	.type	_ZN7rocprim17ROCPRIM_400000_NS6detail17trampoline_kernelINS0_14default_configENS1_38merge_sort_block_merge_config_selectorIsNS0_10empty_typeEEEZZNS1_27merge_sort_block_merge_implIS3_PsPS5_jNS1_19radix_merge_compareILb0ELb0EsNS0_19identity_decomposerEEEEE10hipError_tT0_T1_T2_jT3_P12ihipStream_tbPNSt15iterator_traitsISE_E10value_typeEPNSK_ISF_E10value_typeEPSG_NS1_7vsmem_tEENKUlT_SE_SF_SG_E_clIS8_S8_S9_S9_EESD_ST_SE_SF_SG_EUlST_E1_NS1_11comp_targetILNS1_3genE2ELNS1_11target_archE906ELNS1_3gpuE6ELNS1_3repE0EEENS1_36merge_oddeven_config_static_selectorELNS0_4arch9wavefront6targetE1EEEvSF_,@function
_ZN7rocprim17ROCPRIM_400000_NS6detail17trampoline_kernelINS0_14default_configENS1_38merge_sort_block_merge_config_selectorIsNS0_10empty_typeEEEZZNS1_27merge_sort_block_merge_implIS3_PsPS5_jNS1_19radix_merge_compareILb0ELb0EsNS0_19identity_decomposerEEEEE10hipError_tT0_T1_T2_jT3_P12ihipStream_tbPNSt15iterator_traitsISE_E10value_typeEPNSK_ISF_E10value_typeEPSG_NS1_7vsmem_tEENKUlT_SE_SF_SG_E_clIS8_S8_S9_S9_EESD_ST_SE_SF_SG_EUlST_E1_NS1_11comp_targetILNS1_3genE2ELNS1_11target_archE906ELNS1_3gpuE6ELNS1_3repE0EEENS1_36merge_oddeven_config_static_selectorELNS0_4arch9wavefront6targetE1EEEvSF_: ; @_ZN7rocprim17ROCPRIM_400000_NS6detail17trampoline_kernelINS0_14default_configENS1_38merge_sort_block_merge_config_selectorIsNS0_10empty_typeEEEZZNS1_27merge_sort_block_merge_implIS3_PsPS5_jNS1_19radix_merge_compareILb0ELb0EsNS0_19identity_decomposerEEEEE10hipError_tT0_T1_T2_jT3_P12ihipStream_tbPNSt15iterator_traitsISE_E10value_typeEPNSK_ISF_E10value_typeEPSG_NS1_7vsmem_tEENKUlT_SE_SF_SG_E_clIS8_S8_S9_S9_EESD_ST_SE_SF_SG_EUlST_E1_NS1_11comp_targetILNS1_3genE2ELNS1_11target_archE906ELNS1_3gpuE6ELNS1_3repE0EEENS1_36merge_oddeven_config_static_selectorELNS0_4arch9wavefront6targetE1EEEvSF_
; %bb.0:
	.section	.rodata,"a",@progbits
	.p2align	6, 0x0
	.amdhsa_kernel _ZN7rocprim17ROCPRIM_400000_NS6detail17trampoline_kernelINS0_14default_configENS1_38merge_sort_block_merge_config_selectorIsNS0_10empty_typeEEEZZNS1_27merge_sort_block_merge_implIS3_PsPS5_jNS1_19radix_merge_compareILb0ELb0EsNS0_19identity_decomposerEEEEE10hipError_tT0_T1_T2_jT3_P12ihipStream_tbPNSt15iterator_traitsISE_E10value_typeEPNSK_ISF_E10value_typeEPSG_NS1_7vsmem_tEENKUlT_SE_SF_SG_E_clIS8_S8_S9_S9_EESD_ST_SE_SF_SG_EUlST_E1_NS1_11comp_targetILNS1_3genE2ELNS1_11target_archE906ELNS1_3gpuE6ELNS1_3repE0EEENS1_36merge_oddeven_config_static_selectorELNS0_4arch9wavefront6targetE1EEEvSF_
		.amdhsa_group_segment_fixed_size 0
		.amdhsa_private_segment_fixed_size 0
		.amdhsa_kernarg_size 48
		.amdhsa_user_sgpr_count 6
		.amdhsa_user_sgpr_private_segment_buffer 1
		.amdhsa_user_sgpr_dispatch_ptr 0
		.amdhsa_user_sgpr_queue_ptr 0
		.amdhsa_user_sgpr_kernarg_segment_ptr 1
		.amdhsa_user_sgpr_dispatch_id 0
		.amdhsa_user_sgpr_flat_scratch_init 0
		.amdhsa_user_sgpr_kernarg_preload_length 0
		.amdhsa_user_sgpr_kernarg_preload_offset 0
		.amdhsa_user_sgpr_private_segment_size 0
		.amdhsa_uses_dynamic_stack 0
		.amdhsa_system_sgpr_private_segment_wavefront_offset 0
		.amdhsa_system_sgpr_workgroup_id_x 1
		.amdhsa_system_sgpr_workgroup_id_y 0
		.amdhsa_system_sgpr_workgroup_id_z 0
		.amdhsa_system_sgpr_workgroup_info 0
		.amdhsa_system_vgpr_workitem_id 0
		.amdhsa_next_free_vgpr 1
		.amdhsa_next_free_sgpr 0
		.amdhsa_accum_offset 4
		.amdhsa_reserve_vcc 0
		.amdhsa_reserve_flat_scratch 0
		.amdhsa_float_round_mode_32 0
		.amdhsa_float_round_mode_16_64 0
		.amdhsa_float_denorm_mode_32 3
		.amdhsa_float_denorm_mode_16_64 3
		.amdhsa_dx10_clamp 1
		.amdhsa_ieee_mode 1
		.amdhsa_fp16_overflow 0
		.amdhsa_tg_split 0
		.amdhsa_exception_fp_ieee_invalid_op 0
		.amdhsa_exception_fp_denorm_src 0
		.amdhsa_exception_fp_ieee_div_zero 0
		.amdhsa_exception_fp_ieee_overflow 0
		.amdhsa_exception_fp_ieee_underflow 0
		.amdhsa_exception_fp_ieee_inexact 0
		.amdhsa_exception_int_div_zero 0
	.end_amdhsa_kernel
	.section	.text._ZN7rocprim17ROCPRIM_400000_NS6detail17trampoline_kernelINS0_14default_configENS1_38merge_sort_block_merge_config_selectorIsNS0_10empty_typeEEEZZNS1_27merge_sort_block_merge_implIS3_PsPS5_jNS1_19radix_merge_compareILb0ELb0EsNS0_19identity_decomposerEEEEE10hipError_tT0_T1_T2_jT3_P12ihipStream_tbPNSt15iterator_traitsISE_E10value_typeEPNSK_ISF_E10value_typeEPSG_NS1_7vsmem_tEENKUlT_SE_SF_SG_E_clIS8_S8_S9_S9_EESD_ST_SE_SF_SG_EUlST_E1_NS1_11comp_targetILNS1_3genE2ELNS1_11target_archE906ELNS1_3gpuE6ELNS1_3repE0EEENS1_36merge_oddeven_config_static_selectorELNS0_4arch9wavefront6targetE1EEEvSF_,"axG",@progbits,_ZN7rocprim17ROCPRIM_400000_NS6detail17trampoline_kernelINS0_14default_configENS1_38merge_sort_block_merge_config_selectorIsNS0_10empty_typeEEEZZNS1_27merge_sort_block_merge_implIS3_PsPS5_jNS1_19radix_merge_compareILb0ELb0EsNS0_19identity_decomposerEEEEE10hipError_tT0_T1_T2_jT3_P12ihipStream_tbPNSt15iterator_traitsISE_E10value_typeEPNSK_ISF_E10value_typeEPSG_NS1_7vsmem_tEENKUlT_SE_SF_SG_E_clIS8_S8_S9_S9_EESD_ST_SE_SF_SG_EUlST_E1_NS1_11comp_targetILNS1_3genE2ELNS1_11target_archE906ELNS1_3gpuE6ELNS1_3repE0EEENS1_36merge_oddeven_config_static_selectorELNS0_4arch9wavefront6targetE1EEEvSF_,comdat
.Lfunc_end377:
	.size	_ZN7rocprim17ROCPRIM_400000_NS6detail17trampoline_kernelINS0_14default_configENS1_38merge_sort_block_merge_config_selectorIsNS0_10empty_typeEEEZZNS1_27merge_sort_block_merge_implIS3_PsPS5_jNS1_19radix_merge_compareILb0ELb0EsNS0_19identity_decomposerEEEEE10hipError_tT0_T1_T2_jT3_P12ihipStream_tbPNSt15iterator_traitsISE_E10value_typeEPNSK_ISF_E10value_typeEPSG_NS1_7vsmem_tEENKUlT_SE_SF_SG_E_clIS8_S8_S9_S9_EESD_ST_SE_SF_SG_EUlST_E1_NS1_11comp_targetILNS1_3genE2ELNS1_11target_archE906ELNS1_3gpuE6ELNS1_3repE0EEENS1_36merge_oddeven_config_static_selectorELNS0_4arch9wavefront6targetE1EEEvSF_, .Lfunc_end377-_ZN7rocprim17ROCPRIM_400000_NS6detail17trampoline_kernelINS0_14default_configENS1_38merge_sort_block_merge_config_selectorIsNS0_10empty_typeEEEZZNS1_27merge_sort_block_merge_implIS3_PsPS5_jNS1_19radix_merge_compareILb0ELb0EsNS0_19identity_decomposerEEEEE10hipError_tT0_T1_T2_jT3_P12ihipStream_tbPNSt15iterator_traitsISE_E10value_typeEPNSK_ISF_E10value_typeEPSG_NS1_7vsmem_tEENKUlT_SE_SF_SG_E_clIS8_S8_S9_S9_EESD_ST_SE_SF_SG_EUlST_E1_NS1_11comp_targetILNS1_3genE2ELNS1_11target_archE906ELNS1_3gpuE6ELNS1_3repE0EEENS1_36merge_oddeven_config_static_selectorELNS0_4arch9wavefront6targetE1EEEvSF_
                                        ; -- End function
	.section	.AMDGPU.csdata,"",@progbits
; Kernel info:
; codeLenInByte = 0
; NumSgprs: 4
; NumVgprs: 0
; NumAgprs: 0
; TotalNumVgprs: 0
; ScratchSize: 0
; MemoryBound: 0
; FloatMode: 240
; IeeeMode: 1
; LDSByteSize: 0 bytes/workgroup (compile time only)
; SGPRBlocks: 0
; VGPRBlocks: 0
; NumSGPRsForWavesPerEU: 4
; NumVGPRsForWavesPerEU: 1
; AccumOffset: 4
; Occupancy: 8
; WaveLimiterHint : 0
; COMPUTE_PGM_RSRC2:SCRATCH_EN: 0
; COMPUTE_PGM_RSRC2:USER_SGPR: 6
; COMPUTE_PGM_RSRC2:TRAP_HANDLER: 0
; COMPUTE_PGM_RSRC2:TGID_X_EN: 1
; COMPUTE_PGM_RSRC2:TGID_Y_EN: 0
; COMPUTE_PGM_RSRC2:TGID_Z_EN: 0
; COMPUTE_PGM_RSRC2:TIDIG_COMP_CNT: 0
; COMPUTE_PGM_RSRC3_GFX90A:ACCUM_OFFSET: 0
; COMPUTE_PGM_RSRC3_GFX90A:TG_SPLIT: 0
	.section	.text._ZN7rocprim17ROCPRIM_400000_NS6detail17trampoline_kernelINS0_14default_configENS1_38merge_sort_block_merge_config_selectorIsNS0_10empty_typeEEEZZNS1_27merge_sort_block_merge_implIS3_PsPS5_jNS1_19radix_merge_compareILb0ELb0EsNS0_19identity_decomposerEEEEE10hipError_tT0_T1_T2_jT3_P12ihipStream_tbPNSt15iterator_traitsISE_E10value_typeEPNSK_ISF_E10value_typeEPSG_NS1_7vsmem_tEENKUlT_SE_SF_SG_E_clIS8_S8_S9_S9_EESD_ST_SE_SF_SG_EUlST_E1_NS1_11comp_targetILNS1_3genE9ELNS1_11target_archE1100ELNS1_3gpuE3ELNS1_3repE0EEENS1_36merge_oddeven_config_static_selectorELNS0_4arch9wavefront6targetE1EEEvSF_,"axG",@progbits,_ZN7rocprim17ROCPRIM_400000_NS6detail17trampoline_kernelINS0_14default_configENS1_38merge_sort_block_merge_config_selectorIsNS0_10empty_typeEEEZZNS1_27merge_sort_block_merge_implIS3_PsPS5_jNS1_19radix_merge_compareILb0ELb0EsNS0_19identity_decomposerEEEEE10hipError_tT0_T1_T2_jT3_P12ihipStream_tbPNSt15iterator_traitsISE_E10value_typeEPNSK_ISF_E10value_typeEPSG_NS1_7vsmem_tEENKUlT_SE_SF_SG_E_clIS8_S8_S9_S9_EESD_ST_SE_SF_SG_EUlST_E1_NS1_11comp_targetILNS1_3genE9ELNS1_11target_archE1100ELNS1_3gpuE3ELNS1_3repE0EEENS1_36merge_oddeven_config_static_selectorELNS0_4arch9wavefront6targetE1EEEvSF_,comdat
	.protected	_ZN7rocprim17ROCPRIM_400000_NS6detail17trampoline_kernelINS0_14default_configENS1_38merge_sort_block_merge_config_selectorIsNS0_10empty_typeEEEZZNS1_27merge_sort_block_merge_implIS3_PsPS5_jNS1_19radix_merge_compareILb0ELb0EsNS0_19identity_decomposerEEEEE10hipError_tT0_T1_T2_jT3_P12ihipStream_tbPNSt15iterator_traitsISE_E10value_typeEPNSK_ISF_E10value_typeEPSG_NS1_7vsmem_tEENKUlT_SE_SF_SG_E_clIS8_S8_S9_S9_EESD_ST_SE_SF_SG_EUlST_E1_NS1_11comp_targetILNS1_3genE9ELNS1_11target_archE1100ELNS1_3gpuE3ELNS1_3repE0EEENS1_36merge_oddeven_config_static_selectorELNS0_4arch9wavefront6targetE1EEEvSF_ ; -- Begin function _ZN7rocprim17ROCPRIM_400000_NS6detail17trampoline_kernelINS0_14default_configENS1_38merge_sort_block_merge_config_selectorIsNS0_10empty_typeEEEZZNS1_27merge_sort_block_merge_implIS3_PsPS5_jNS1_19radix_merge_compareILb0ELb0EsNS0_19identity_decomposerEEEEE10hipError_tT0_T1_T2_jT3_P12ihipStream_tbPNSt15iterator_traitsISE_E10value_typeEPNSK_ISF_E10value_typeEPSG_NS1_7vsmem_tEENKUlT_SE_SF_SG_E_clIS8_S8_S9_S9_EESD_ST_SE_SF_SG_EUlST_E1_NS1_11comp_targetILNS1_3genE9ELNS1_11target_archE1100ELNS1_3gpuE3ELNS1_3repE0EEENS1_36merge_oddeven_config_static_selectorELNS0_4arch9wavefront6targetE1EEEvSF_
	.globl	_ZN7rocprim17ROCPRIM_400000_NS6detail17trampoline_kernelINS0_14default_configENS1_38merge_sort_block_merge_config_selectorIsNS0_10empty_typeEEEZZNS1_27merge_sort_block_merge_implIS3_PsPS5_jNS1_19radix_merge_compareILb0ELb0EsNS0_19identity_decomposerEEEEE10hipError_tT0_T1_T2_jT3_P12ihipStream_tbPNSt15iterator_traitsISE_E10value_typeEPNSK_ISF_E10value_typeEPSG_NS1_7vsmem_tEENKUlT_SE_SF_SG_E_clIS8_S8_S9_S9_EESD_ST_SE_SF_SG_EUlST_E1_NS1_11comp_targetILNS1_3genE9ELNS1_11target_archE1100ELNS1_3gpuE3ELNS1_3repE0EEENS1_36merge_oddeven_config_static_selectorELNS0_4arch9wavefront6targetE1EEEvSF_
	.p2align	8
	.type	_ZN7rocprim17ROCPRIM_400000_NS6detail17trampoline_kernelINS0_14default_configENS1_38merge_sort_block_merge_config_selectorIsNS0_10empty_typeEEEZZNS1_27merge_sort_block_merge_implIS3_PsPS5_jNS1_19radix_merge_compareILb0ELb0EsNS0_19identity_decomposerEEEEE10hipError_tT0_T1_T2_jT3_P12ihipStream_tbPNSt15iterator_traitsISE_E10value_typeEPNSK_ISF_E10value_typeEPSG_NS1_7vsmem_tEENKUlT_SE_SF_SG_E_clIS8_S8_S9_S9_EESD_ST_SE_SF_SG_EUlST_E1_NS1_11comp_targetILNS1_3genE9ELNS1_11target_archE1100ELNS1_3gpuE3ELNS1_3repE0EEENS1_36merge_oddeven_config_static_selectorELNS0_4arch9wavefront6targetE1EEEvSF_,@function
_ZN7rocprim17ROCPRIM_400000_NS6detail17trampoline_kernelINS0_14default_configENS1_38merge_sort_block_merge_config_selectorIsNS0_10empty_typeEEEZZNS1_27merge_sort_block_merge_implIS3_PsPS5_jNS1_19radix_merge_compareILb0ELb0EsNS0_19identity_decomposerEEEEE10hipError_tT0_T1_T2_jT3_P12ihipStream_tbPNSt15iterator_traitsISE_E10value_typeEPNSK_ISF_E10value_typeEPSG_NS1_7vsmem_tEENKUlT_SE_SF_SG_E_clIS8_S8_S9_S9_EESD_ST_SE_SF_SG_EUlST_E1_NS1_11comp_targetILNS1_3genE9ELNS1_11target_archE1100ELNS1_3gpuE3ELNS1_3repE0EEENS1_36merge_oddeven_config_static_selectorELNS0_4arch9wavefront6targetE1EEEvSF_: ; @_ZN7rocprim17ROCPRIM_400000_NS6detail17trampoline_kernelINS0_14default_configENS1_38merge_sort_block_merge_config_selectorIsNS0_10empty_typeEEEZZNS1_27merge_sort_block_merge_implIS3_PsPS5_jNS1_19radix_merge_compareILb0ELb0EsNS0_19identity_decomposerEEEEE10hipError_tT0_T1_T2_jT3_P12ihipStream_tbPNSt15iterator_traitsISE_E10value_typeEPNSK_ISF_E10value_typeEPSG_NS1_7vsmem_tEENKUlT_SE_SF_SG_E_clIS8_S8_S9_S9_EESD_ST_SE_SF_SG_EUlST_E1_NS1_11comp_targetILNS1_3genE9ELNS1_11target_archE1100ELNS1_3gpuE3ELNS1_3repE0EEENS1_36merge_oddeven_config_static_selectorELNS0_4arch9wavefront6targetE1EEEvSF_
; %bb.0:
	.section	.rodata,"a",@progbits
	.p2align	6, 0x0
	.amdhsa_kernel _ZN7rocprim17ROCPRIM_400000_NS6detail17trampoline_kernelINS0_14default_configENS1_38merge_sort_block_merge_config_selectorIsNS0_10empty_typeEEEZZNS1_27merge_sort_block_merge_implIS3_PsPS5_jNS1_19radix_merge_compareILb0ELb0EsNS0_19identity_decomposerEEEEE10hipError_tT0_T1_T2_jT3_P12ihipStream_tbPNSt15iterator_traitsISE_E10value_typeEPNSK_ISF_E10value_typeEPSG_NS1_7vsmem_tEENKUlT_SE_SF_SG_E_clIS8_S8_S9_S9_EESD_ST_SE_SF_SG_EUlST_E1_NS1_11comp_targetILNS1_3genE9ELNS1_11target_archE1100ELNS1_3gpuE3ELNS1_3repE0EEENS1_36merge_oddeven_config_static_selectorELNS0_4arch9wavefront6targetE1EEEvSF_
		.amdhsa_group_segment_fixed_size 0
		.amdhsa_private_segment_fixed_size 0
		.amdhsa_kernarg_size 48
		.amdhsa_user_sgpr_count 6
		.amdhsa_user_sgpr_private_segment_buffer 1
		.amdhsa_user_sgpr_dispatch_ptr 0
		.amdhsa_user_sgpr_queue_ptr 0
		.amdhsa_user_sgpr_kernarg_segment_ptr 1
		.amdhsa_user_sgpr_dispatch_id 0
		.amdhsa_user_sgpr_flat_scratch_init 0
		.amdhsa_user_sgpr_kernarg_preload_length 0
		.amdhsa_user_sgpr_kernarg_preload_offset 0
		.amdhsa_user_sgpr_private_segment_size 0
		.amdhsa_uses_dynamic_stack 0
		.amdhsa_system_sgpr_private_segment_wavefront_offset 0
		.amdhsa_system_sgpr_workgroup_id_x 1
		.amdhsa_system_sgpr_workgroup_id_y 0
		.amdhsa_system_sgpr_workgroup_id_z 0
		.amdhsa_system_sgpr_workgroup_info 0
		.amdhsa_system_vgpr_workitem_id 0
		.amdhsa_next_free_vgpr 1
		.amdhsa_next_free_sgpr 0
		.amdhsa_accum_offset 4
		.amdhsa_reserve_vcc 0
		.amdhsa_reserve_flat_scratch 0
		.amdhsa_float_round_mode_32 0
		.amdhsa_float_round_mode_16_64 0
		.amdhsa_float_denorm_mode_32 3
		.amdhsa_float_denorm_mode_16_64 3
		.amdhsa_dx10_clamp 1
		.amdhsa_ieee_mode 1
		.amdhsa_fp16_overflow 0
		.amdhsa_tg_split 0
		.amdhsa_exception_fp_ieee_invalid_op 0
		.amdhsa_exception_fp_denorm_src 0
		.amdhsa_exception_fp_ieee_div_zero 0
		.amdhsa_exception_fp_ieee_overflow 0
		.amdhsa_exception_fp_ieee_underflow 0
		.amdhsa_exception_fp_ieee_inexact 0
		.amdhsa_exception_int_div_zero 0
	.end_amdhsa_kernel
	.section	.text._ZN7rocprim17ROCPRIM_400000_NS6detail17trampoline_kernelINS0_14default_configENS1_38merge_sort_block_merge_config_selectorIsNS0_10empty_typeEEEZZNS1_27merge_sort_block_merge_implIS3_PsPS5_jNS1_19radix_merge_compareILb0ELb0EsNS0_19identity_decomposerEEEEE10hipError_tT0_T1_T2_jT3_P12ihipStream_tbPNSt15iterator_traitsISE_E10value_typeEPNSK_ISF_E10value_typeEPSG_NS1_7vsmem_tEENKUlT_SE_SF_SG_E_clIS8_S8_S9_S9_EESD_ST_SE_SF_SG_EUlST_E1_NS1_11comp_targetILNS1_3genE9ELNS1_11target_archE1100ELNS1_3gpuE3ELNS1_3repE0EEENS1_36merge_oddeven_config_static_selectorELNS0_4arch9wavefront6targetE1EEEvSF_,"axG",@progbits,_ZN7rocprim17ROCPRIM_400000_NS6detail17trampoline_kernelINS0_14default_configENS1_38merge_sort_block_merge_config_selectorIsNS0_10empty_typeEEEZZNS1_27merge_sort_block_merge_implIS3_PsPS5_jNS1_19radix_merge_compareILb0ELb0EsNS0_19identity_decomposerEEEEE10hipError_tT0_T1_T2_jT3_P12ihipStream_tbPNSt15iterator_traitsISE_E10value_typeEPNSK_ISF_E10value_typeEPSG_NS1_7vsmem_tEENKUlT_SE_SF_SG_E_clIS8_S8_S9_S9_EESD_ST_SE_SF_SG_EUlST_E1_NS1_11comp_targetILNS1_3genE9ELNS1_11target_archE1100ELNS1_3gpuE3ELNS1_3repE0EEENS1_36merge_oddeven_config_static_selectorELNS0_4arch9wavefront6targetE1EEEvSF_,comdat
.Lfunc_end378:
	.size	_ZN7rocprim17ROCPRIM_400000_NS6detail17trampoline_kernelINS0_14default_configENS1_38merge_sort_block_merge_config_selectorIsNS0_10empty_typeEEEZZNS1_27merge_sort_block_merge_implIS3_PsPS5_jNS1_19radix_merge_compareILb0ELb0EsNS0_19identity_decomposerEEEEE10hipError_tT0_T1_T2_jT3_P12ihipStream_tbPNSt15iterator_traitsISE_E10value_typeEPNSK_ISF_E10value_typeEPSG_NS1_7vsmem_tEENKUlT_SE_SF_SG_E_clIS8_S8_S9_S9_EESD_ST_SE_SF_SG_EUlST_E1_NS1_11comp_targetILNS1_3genE9ELNS1_11target_archE1100ELNS1_3gpuE3ELNS1_3repE0EEENS1_36merge_oddeven_config_static_selectorELNS0_4arch9wavefront6targetE1EEEvSF_, .Lfunc_end378-_ZN7rocprim17ROCPRIM_400000_NS6detail17trampoline_kernelINS0_14default_configENS1_38merge_sort_block_merge_config_selectorIsNS0_10empty_typeEEEZZNS1_27merge_sort_block_merge_implIS3_PsPS5_jNS1_19radix_merge_compareILb0ELb0EsNS0_19identity_decomposerEEEEE10hipError_tT0_T1_T2_jT3_P12ihipStream_tbPNSt15iterator_traitsISE_E10value_typeEPNSK_ISF_E10value_typeEPSG_NS1_7vsmem_tEENKUlT_SE_SF_SG_E_clIS8_S8_S9_S9_EESD_ST_SE_SF_SG_EUlST_E1_NS1_11comp_targetILNS1_3genE9ELNS1_11target_archE1100ELNS1_3gpuE3ELNS1_3repE0EEENS1_36merge_oddeven_config_static_selectorELNS0_4arch9wavefront6targetE1EEEvSF_
                                        ; -- End function
	.section	.AMDGPU.csdata,"",@progbits
; Kernel info:
; codeLenInByte = 0
; NumSgprs: 4
; NumVgprs: 0
; NumAgprs: 0
; TotalNumVgprs: 0
; ScratchSize: 0
; MemoryBound: 0
; FloatMode: 240
; IeeeMode: 1
; LDSByteSize: 0 bytes/workgroup (compile time only)
; SGPRBlocks: 0
; VGPRBlocks: 0
; NumSGPRsForWavesPerEU: 4
; NumVGPRsForWavesPerEU: 1
; AccumOffset: 4
; Occupancy: 8
; WaveLimiterHint : 0
; COMPUTE_PGM_RSRC2:SCRATCH_EN: 0
; COMPUTE_PGM_RSRC2:USER_SGPR: 6
; COMPUTE_PGM_RSRC2:TRAP_HANDLER: 0
; COMPUTE_PGM_RSRC2:TGID_X_EN: 1
; COMPUTE_PGM_RSRC2:TGID_Y_EN: 0
; COMPUTE_PGM_RSRC2:TGID_Z_EN: 0
; COMPUTE_PGM_RSRC2:TIDIG_COMP_CNT: 0
; COMPUTE_PGM_RSRC3_GFX90A:ACCUM_OFFSET: 0
; COMPUTE_PGM_RSRC3_GFX90A:TG_SPLIT: 0
	.section	.text._ZN7rocprim17ROCPRIM_400000_NS6detail17trampoline_kernelINS0_14default_configENS1_38merge_sort_block_merge_config_selectorIsNS0_10empty_typeEEEZZNS1_27merge_sort_block_merge_implIS3_PsPS5_jNS1_19radix_merge_compareILb0ELb0EsNS0_19identity_decomposerEEEEE10hipError_tT0_T1_T2_jT3_P12ihipStream_tbPNSt15iterator_traitsISE_E10value_typeEPNSK_ISF_E10value_typeEPSG_NS1_7vsmem_tEENKUlT_SE_SF_SG_E_clIS8_S8_S9_S9_EESD_ST_SE_SF_SG_EUlST_E1_NS1_11comp_targetILNS1_3genE8ELNS1_11target_archE1030ELNS1_3gpuE2ELNS1_3repE0EEENS1_36merge_oddeven_config_static_selectorELNS0_4arch9wavefront6targetE1EEEvSF_,"axG",@progbits,_ZN7rocprim17ROCPRIM_400000_NS6detail17trampoline_kernelINS0_14default_configENS1_38merge_sort_block_merge_config_selectorIsNS0_10empty_typeEEEZZNS1_27merge_sort_block_merge_implIS3_PsPS5_jNS1_19radix_merge_compareILb0ELb0EsNS0_19identity_decomposerEEEEE10hipError_tT0_T1_T2_jT3_P12ihipStream_tbPNSt15iterator_traitsISE_E10value_typeEPNSK_ISF_E10value_typeEPSG_NS1_7vsmem_tEENKUlT_SE_SF_SG_E_clIS8_S8_S9_S9_EESD_ST_SE_SF_SG_EUlST_E1_NS1_11comp_targetILNS1_3genE8ELNS1_11target_archE1030ELNS1_3gpuE2ELNS1_3repE0EEENS1_36merge_oddeven_config_static_selectorELNS0_4arch9wavefront6targetE1EEEvSF_,comdat
	.protected	_ZN7rocprim17ROCPRIM_400000_NS6detail17trampoline_kernelINS0_14default_configENS1_38merge_sort_block_merge_config_selectorIsNS0_10empty_typeEEEZZNS1_27merge_sort_block_merge_implIS3_PsPS5_jNS1_19radix_merge_compareILb0ELb0EsNS0_19identity_decomposerEEEEE10hipError_tT0_T1_T2_jT3_P12ihipStream_tbPNSt15iterator_traitsISE_E10value_typeEPNSK_ISF_E10value_typeEPSG_NS1_7vsmem_tEENKUlT_SE_SF_SG_E_clIS8_S8_S9_S9_EESD_ST_SE_SF_SG_EUlST_E1_NS1_11comp_targetILNS1_3genE8ELNS1_11target_archE1030ELNS1_3gpuE2ELNS1_3repE0EEENS1_36merge_oddeven_config_static_selectorELNS0_4arch9wavefront6targetE1EEEvSF_ ; -- Begin function _ZN7rocprim17ROCPRIM_400000_NS6detail17trampoline_kernelINS0_14default_configENS1_38merge_sort_block_merge_config_selectorIsNS0_10empty_typeEEEZZNS1_27merge_sort_block_merge_implIS3_PsPS5_jNS1_19radix_merge_compareILb0ELb0EsNS0_19identity_decomposerEEEEE10hipError_tT0_T1_T2_jT3_P12ihipStream_tbPNSt15iterator_traitsISE_E10value_typeEPNSK_ISF_E10value_typeEPSG_NS1_7vsmem_tEENKUlT_SE_SF_SG_E_clIS8_S8_S9_S9_EESD_ST_SE_SF_SG_EUlST_E1_NS1_11comp_targetILNS1_3genE8ELNS1_11target_archE1030ELNS1_3gpuE2ELNS1_3repE0EEENS1_36merge_oddeven_config_static_selectorELNS0_4arch9wavefront6targetE1EEEvSF_
	.globl	_ZN7rocprim17ROCPRIM_400000_NS6detail17trampoline_kernelINS0_14default_configENS1_38merge_sort_block_merge_config_selectorIsNS0_10empty_typeEEEZZNS1_27merge_sort_block_merge_implIS3_PsPS5_jNS1_19radix_merge_compareILb0ELb0EsNS0_19identity_decomposerEEEEE10hipError_tT0_T1_T2_jT3_P12ihipStream_tbPNSt15iterator_traitsISE_E10value_typeEPNSK_ISF_E10value_typeEPSG_NS1_7vsmem_tEENKUlT_SE_SF_SG_E_clIS8_S8_S9_S9_EESD_ST_SE_SF_SG_EUlST_E1_NS1_11comp_targetILNS1_3genE8ELNS1_11target_archE1030ELNS1_3gpuE2ELNS1_3repE0EEENS1_36merge_oddeven_config_static_selectorELNS0_4arch9wavefront6targetE1EEEvSF_
	.p2align	8
	.type	_ZN7rocprim17ROCPRIM_400000_NS6detail17trampoline_kernelINS0_14default_configENS1_38merge_sort_block_merge_config_selectorIsNS0_10empty_typeEEEZZNS1_27merge_sort_block_merge_implIS3_PsPS5_jNS1_19radix_merge_compareILb0ELb0EsNS0_19identity_decomposerEEEEE10hipError_tT0_T1_T2_jT3_P12ihipStream_tbPNSt15iterator_traitsISE_E10value_typeEPNSK_ISF_E10value_typeEPSG_NS1_7vsmem_tEENKUlT_SE_SF_SG_E_clIS8_S8_S9_S9_EESD_ST_SE_SF_SG_EUlST_E1_NS1_11comp_targetILNS1_3genE8ELNS1_11target_archE1030ELNS1_3gpuE2ELNS1_3repE0EEENS1_36merge_oddeven_config_static_selectorELNS0_4arch9wavefront6targetE1EEEvSF_,@function
_ZN7rocprim17ROCPRIM_400000_NS6detail17trampoline_kernelINS0_14default_configENS1_38merge_sort_block_merge_config_selectorIsNS0_10empty_typeEEEZZNS1_27merge_sort_block_merge_implIS3_PsPS5_jNS1_19radix_merge_compareILb0ELb0EsNS0_19identity_decomposerEEEEE10hipError_tT0_T1_T2_jT3_P12ihipStream_tbPNSt15iterator_traitsISE_E10value_typeEPNSK_ISF_E10value_typeEPSG_NS1_7vsmem_tEENKUlT_SE_SF_SG_E_clIS8_S8_S9_S9_EESD_ST_SE_SF_SG_EUlST_E1_NS1_11comp_targetILNS1_3genE8ELNS1_11target_archE1030ELNS1_3gpuE2ELNS1_3repE0EEENS1_36merge_oddeven_config_static_selectorELNS0_4arch9wavefront6targetE1EEEvSF_: ; @_ZN7rocprim17ROCPRIM_400000_NS6detail17trampoline_kernelINS0_14default_configENS1_38merge_sort_block_merge_config_selectorIsNS0_10empty_typeEEEZZNS1_27merge_sort_block_merge_implIS3_PsPS5_jNS1_19radix_merge_compareILb0ELb0EsNS0_19identity_decomposerEEEEE10hipError_tT0_T1_T2_jT3_P12ihipStream_tbPNSt15iterator_traitsISE_E10value_typeEPNSK_ISF_E10value_typeEPSG_NS1_7vsmem_tEENKUlT_SE_SF_SG_E_clIS8_S8_S9_S9_EESD_ST_SE_SF_SG_EUlST_E1_NS1_11comp_targetILNS1_3genE8ELNS1_11target_archE1030ELNS1_3gpuE2ELNS1_3repE0EEENS1_36merge_oddeven_config_static_selectorELNS0_4arch9wavefront6targetE1EEEvSF_
; %bb.0:
	.section	.rodata,"a",@progbits
	.p2align	6, 0x0
	.amdhsa_kernel _ZN7rocprim17ROCPRIM_400000_NS6detail17trampoline_kernelINS0_14default_configENS1_38merge_sort_block_merge_config_selectorIsNS0_10empty_typeEEEZZNS1_27merge_sort_block_merge_implIS3_PsPS5_jNS1_19radix_merge_compareILb0ELb0EsNS0_19identity_decomposerEEEEE10hipError_tT0_T1_T2_jT3_P12ihipStream_tbPNSt15iterator_traitsISE_E10value_typeEPNSK_ISF_E10value_typeEPSG_NS1_7vsmem_tEENKUlT_SE_SF_SG_E_clIS8_S8_S9_S9_EESD_ST_SE_SF_SG_EUlST_E1_NS1_11comp_targetILNS1_3genE8ELNS1_11target_archE1030ELNS1_3gpuE2ELNS1_3repE0EEENS1_36merge_oddeven_config_static_selectorELNS0_4arch9wavefront6targetE1EEEvSF_
		.amdhsa_group_segment_fixed_size 0
		.amdhsa_private_segment_fixed_size 0
		.amdhsa_kernarg_size 48
		.amdhsa_user_sgpr_count 6
		.amdhsa_user_sgpr_private_segment_buffer 1
		.amdhsa_user_sgpr_dispatch_ptr 0
		.amdhsa_user_sgpr_queue_ptr 0
		.amdhsa_user_sgpr_kernarg_segment_ptr 1
		.amdhsa_user_sgpr_dispatch_id 0
		.amdhsa_user_sgpr_flat_scratch_init 0
		.amdhsa_user_sgpr_kernarg_preload_length 0
		.amdhsa_user_sgpr_kernarg_preload_offset 0
		.amdhsa_user_sgpr_private_segment_size 0
		.amdhsa_uses_dynamic_stack 0
		.amdhsa_system_sgpr_private_segment_wavefront_offset 0
		.amdhsa_system_sgpr_workgroup_id_x 1
		.amdhsa_system_sgpr_workgroup_id_y 0
		.amdhsa_system_sgpr_workgroup_id_z 0
		.amdhsa_system_sgpr_workgroup_info 0
		.amdhsa_system_vgpr_workitem_id 0
		.amdhsa_next_free_vgpr 1
		.amdhsa_next_free_sgpr 0
		.amdhsa_accum_offset 4
		.amdhsa_reserve_vcc 0
		.amdhsa_reserve_flat_scratch 0
		.amdhsa_float_round_mode_32 0
		.amdhsa_float_round_mode_16_64 0
		.amdhsa_float_denorm_mode_32 3
		.amdhsa_float_denorm_mode_16_64 3
		.amdhsa_dx10_clamp 1
		.amdhsa_ieee_mode 1
		.amdhsa_fp16_overflow 0
		.amdhsa_tg_split 0
		.amdhsa_exception_fp_ieee_invalid_op 0
		.amdhsa_exception_fp_denorm_src 0
		.amdhsa_exception_fp_ieee_div_zero 0
		.amdhsa_exception_fp_ieee_overflow 0
		.amdhsa_exception_fp_ieee_underflow 0
		.amdhsa_exception_fp_ieee_inexact 0
		.amdhsa_exception_int_div_zero 0
	.end_amdhsa_kernel
	.section	.text._ZN7rocprim17ROCPRIM_400000_NS6detail17trampoline_kernelINS0_14default_configENS1_38merge_sort_block_merge_config_selectorIsNS0_10empty_typeEEEZZNS1_27merge_sort_block_merge_implIS3_PsPS5_jNS1_19radix_merge_compareILb0ELb0EsNS0_19identity_decomposerEEEEE10hipError_tT0_T1_T2_jT3_P12ihipStream_tbPNSt15iterator_traitsISE_E10value_typeEPNSK_ISF_E10value_typeEPSG_NS1_7vsmem_tEENKUlT_SE_SF_SG_E_clIS8_S8_S9_S9_EESD_ST_SE_SF_SG_EUlST_E1_NS1_11comp_targetILNS1_3genE8ELNS1_11target_archE1030ELNS1_3gpuE2ELNS1_3repE0EEENS1_36merge_oddeven_config_static_selectorELNS0_4arch9wavefront6targetE1EEEvSF_,"axG",@progbits,_ZN7rocprim17ROCPRIM_400000_NS6detail17trampoline_kernelINS0_14default_configENS1_38merge_sort_block_merge_config_selectorIsNS0_10empty_typeEEEZZNS1_27merge_sort_block_merge_implIS3_PsPS5_jNS1_19radix_merge_compareILb0ELb0EsNS0_19identity_decomposerEEEEE10hipError_tT0_T1_T2_jT3_P12ihipStream_tbPNSt15iterator_traitsISE_E10value_typeEPNSK_ISF_E10value_typeEPSG_NS1_7vsmem_tEENKUlT_SE_SF_SG_E_clIS8_S8_S9_S9_EESD_ST_SE_SF_SG_EUlST_E1_NS1_11comp_targetILNS1_3genE8ELNS1_11target_archE1030ELNS1_3gpuE2ELNS1_3repE0EEENS1_36merge_oddeven_config_static_selectorELNS0_4arch9wavefront6targetE1EEEvSF_,comdat
.Lfunc_end379:
	.size	_ZN7rocprim17ROCPRIM_400000_NS6detail17trampoline_kernelINS0_14default_configENS1_38merge_sort_block_merge_config_selectorIsNS0_10empty_typeEEEZZNS1_27merge_sort_block_merge_implIS3_PsPS5_jNS1_19radix_merge_compareILb0ELb0EsNS0_19identity_decomposerEEEEE10hipError_tT0_T1_T2_jT3_P12ihipStream_tbPNSt15iterator_traitsISE_E10value_typeEPNSK_ISF_E10value_typeEPSG_NS1_7vsmem_tEENKUlT_SE_SF_SG_E_clIS8_S8_S9_S9_EESD_ST_SE_SF_SG_EUlST_E1_NS1_11comp_targetILNS1_3genE8ELNS1_11target_archE1030ELNS1_3gpuE2ELNS1_3repE0EEENS1_36merge_oddeven_config_static_selectorELNS0_4arch9wavefront6targetE1EEEvSF_, .Lfunc_end379-_ZN7rocprim17ROCPRIM_400000_NS6detail17trampoline_kernelINS0_14default_configENS1_38merge_sort_block_merge_config_selectorIsNS0_10empty_typeEEEZZNS1_27merge_sort_block_merge_implIS3_PsPS5_jNS1_19radix_merge_compareILb0ELb0EsNS0_19identity_decomposerEEEEE10hipError_tT0_T1_T2_jT3_P12ihipStream_tbPNSt15iterator_traitsISE_E10value_typeEPNSK_ISF_E10value_typeEPSG_NS1_7vsmem_tEENKUlT_SE_SF_SG_E_clIS8_S8_S9_S9_EESD_ST_SE_SF_SG_EUlST_E1_NS1_11comp_targetILNS1_3genE8ELNS1_11target_archE1030ELNS1_3gpuE2ELNS1_3repE0EEENS1_36merge_oddeven_config_static_selectorELNS0_4arch9wavefront6targetE1EEEvSF_
                                        ; -- End function
	.section	.AMDGPU.csdata,"",@progbits
; Kernel info:
; codeLenInByte = 0
; NumSgprs: 4
; NumVgprs: 0
; NumAgprs: 0
; TotalNumVgprs: 0
; ScratchSize: 0
; MemoryBound: 0
; FloatMode: 240
; IeeeMode: 1
; LDSByteSize: 0 bytes/workgroup (compile time only)
; SGPRBlocks: 0
; VGPRBlocks: 0
; NumSGPRsForWavesPerEU: 4
; NumVGPRsForWavesPerEU: 1
; AccumOffset: 4
; Occupancy: 8
; WaveLimiterHint : 0
; COMPUTE_PGM_RSRC2:SCRATCH_EN: 0
; COMPUTE_PGM_RSRC2:USER_SGPR: 6
; COMPUTE_PGM_RSRC2:TRAP_HANDLER: 0
; COMPUTE_PGM_RSRC2:TGID_X_EN: 1
; COMPUTE_PGM_RSRC2:TGID_Y_EN: 0
; COMPUTE_PGM_RSRC2:TGID_Z_EN: 0
; COMPUTE_PGM_RSRC2:TIDIG_COMP_CNT: 0
; COMPUTE_PGM_RSRC3_GFX90A:ACCUM_OFFSET: 0
; COMPUTE_PGM_RSRC3_GFX90A:TG_SPLIT: 0
	.section	.text._ZN7rocprim17ROCPRIM_400000_NS6detail17trampoline_kernelINS0_14default_configENS1_25transform_config_selectorIsLb1EEEZNS1_14transform_implILb1ES3_S5_PsS7_NS0_8identityIsEEEE10hipError_tT2_T3_mT4_P12ihipStream_tbEUlT_E_NS1_11comp_targetILNS1_3genE0ELNS1_11target_archE4294967295ELNS1_3gpuE0ELNS1_3repE0EEENS1_30default_config_static_selectorELNS0_4arch9wavefront6targetE1EEEvT1_,"axG",@progbits,_ZN7rocprim17ROCPRIM_400000_NS6detail17trampoline_kernelINS0_14default_configENS1_25transform_config_selectorIsLb1EEEZNS1_14transform_implILb1ES3_S5_PsS7_NS0_8identityIsEEEE10hipError_tT2_T3_mT4_P12ihipStream_tbEUlT_E_NS1_11comp_targetILNS1_3genE0ELNS1_11target_archE4294967295ELNS1_3gpuE0ELNS1_3repE0EEENS1_30default_config_static_selectorELNS0_4arch9wavefront6targetE1EEEvT1_,comdat
	.protected	_ZN7rocprim17ROCPRIM_400000_NS6detail17trampoline_kernelINS0_14default_configENS1_25transform_config_selectorIsLb1EEEZNS1_14transform_implILb1ES3_S5_PsS7_NS0_8identityIsEEEE10hipError_tT2_T3_mT4_P12ihipStream_tbEUlT_E_NS1_11comp_targetILNS1_3genE0ELNS1_11target_archE4294967295ELNS1_3gpuE0ELNS1_3repE0EEENS1_30default_config_static_selectorELNS0_4arch9wavefront6targetE1EEEvT1_ ; -- Begin function _ZN7rocprim17ROCPRIM_400000_NS6detail17trampoline_kernelINS0_14default_configENS1_25transform_config_selectorIsLb1EEEZNS1_14transform_implILb1ES3_S5_PsS7_NS0_8identityIsEEEE10hipError_tT2_T3_mT4_P12ihipStream_tbEUlT_E_NS1_11comp_targetILNS1_3genE0ELNS1_11target_archE4294967295ELNS1_3gpuE0ELNS1_3repE0EEENS1_30default_config_static_selectorELNS0_4arch9wavefront6targetE1EEEvT1_
	.globl	_ZN7rocprim17ROCPRIM_400000_NS6detail17trampoline_kernelINS0_14default_configENS1_25transform_config_selectorIsLb1EEEZNS1_14transform_implILb1ES3_S5_PsS7_NS0_8identityIsEEEE10hipError_tT2_T3_mT4_P12ihipStream_tbEUlT_E_NS1_11comp_targetILNS1_3genE0ELNS1_11target_archE4294967295ELNS1_3gpuE0ELNS1_3repE0EEENS1_30default_config_static_selectorELNS0_4arch9wavefront6targetE1EEEvT1_
	.p2align	8
	.type	_ZN7rocprim17ROCPRIM_400000_NS6detail17trampoline_kernelINS0_14default_configENS1_25transform_config_selectorIsLb1EEEZNS1_14transform_implILb1ES3_S5_PsS7_NS0_8identityIsEEEE10hipError_tT2_T3_mT4_P12ihipStream_tbEUlT_E_NS1_11comp_targetILNS1_3genE0ELNS1_11target_archE4294967295ELNS1_3gpuE0ELNS1_3repE0EEENS1_30default_config_static_selectorELNS0_4arch9wavefront6targetE1EEEvT1_,@function
_ZN7rocprim17ROCPRIM_400000_NS6detail17trampoline_kernelINS0_14default_configENS1_25transform_config_selectorIsLb1EEEZNS1_14transform_implILb1ES3_S5_PsS7_NS0_8identityIsEEEE10hipError_tT2_T3_mT4_P12ihipStream_tbEUlT_E_NS1_11comp_targetILNS1_3genE0ELNS1_11target_archE4294967295ELNS1_3gpuE0ELNS1_3repE0EEENS1_30default_config_static_selectorELNS0_4arch9wavefront6targetE1EEEvT1_: ; @_ZN7rocprim17ROCPRIM_400000_NS6detail17trampoline_kernelINS0_14default_configENS1_25transform_config_selectorIsLb1EEEZNS1_14transform_implILb1ES3_S5_PsS7_NS0_8identityIsEEEE10hipError_tT2_T3_mT4_P12ihipStream_tbEUlT_E_NS1_11comp_targetILNS1_3genE0ELNS1_11target_archE4294967295ELNS1_3gpuE0ELNS1_3repE0EEENS1_30default_config_static_selectorELNS0_4arch9wavefront6targetE1EEEvT1_
; %bb.0:
	.section	.rodata,"a",@progbits
	.p2align	6, 0x0
	.amdhsa_kernel _ZN7rocprim17ROCPRIM_400000_NS6detail17trampoline_kernelINS0_14default_configENS1_25transform_config_selectorIsLb1EEEZNS1_14transform_implILb1ES3_S5_PsS7_NS0_8identityIsEEEE10hipError_tT2_T3_mT4_P12ihipStream_tbEUlT_E_NS1_11comp_targetILNS1_3genE0ELNS1_11target_archE4294967295ELNS1_3gpuE0ELNS1_3repE0EEENS1_30default_config_static_selectorELNS0_4arch9wavefront6targetE1EEEvT1_
		.amdhsa_group_segment_fixed_size 0
		.amdhsa_private_segment_fixed_size 0
		.amdhsa_kernarg_size 40
		.amdhsa_user_sgpr_count 6
		.amdhsa_user_sgpr_private_segment_buffer 1
		.amdhsa_user_sgpr_dispatch_ptr 0
		.amdhsa_user_sgpr_queue_ptr 0
		.amdhsa_user_sgpr_kernarg_segment_ptr 1
		.amdhsa_user_sgpr_dispatch_id 0
		.amdhsa_user_sgpr_flat_scratch_init 0
		.amdhsa_user_sgpr_kernarg_preload_length 0
		.amdhsa_user_sgpr_kernarg_preload_offset 0
		.amdhsa_user_sgpr_private_segment_size 0
		.amdhsa_uses_dynamic_stack 0
		.amdhsa_system_sgpr_private_segment_wavefront_offset 0
		.amdhsa_system_sgpr_workgroup_id_x 1
		.amdhsa_system_sgpr_workgroup_id_y 0
		.amdhsa_system_sgpr_workgroup_id_z 0
		.amdhsa_system_sgpr_workgroup_info 0
		.amdhsa_system_vgpr_workitem_id 0
		.amdhsa_next_free_vgpr 1
		.amdhsa_next_free_sgpr 0
		.amdhsa_accum_offset 4
		.amdhsa_reserve_vcc 0
		.amdhsa_reserve_flat_scratch 0
		.amdhsa_float_round_mode_32 0
		.amdhsa_float_round_mode_16_64 0
		.amdhsa_float_denorm_mode_32 3
		.amdhsa_float_denorm_mode_16_64 3
		.amdhsa_dx10_clamp 1
		.amdhsa_ieee_mode 1
		.amdhsa_fp16_overflow 0
		.amdhsa_tg_split 0
		.amdhsa_exception_fp_ieee_invalid_op 0
		.amdhsa_exception_fp_denorm_src 0
		.amdhsa_exception_fp_ieee_div_zero 0
		.amdhsa_exception_fp_ieee_overflow 0
		.amdhsa_exception_fp_ieee_underflow 0
		.amdhsa_exception_fp_ieee_inexact 0
		.amdhsa_exception_int_div_zero 0
	.end_amdhsa_kernel
	.section	.text._ZN7rocprim17ROCPRIM_400000_NS6detail17trampoline_kernelINS0_14default_configENS1_25transform_config_selectorIsLb1EEEZNS1_14transform_implILb1ES3_S5_PsS7_NS0_8identityIsEEEE10hipError_tT2_T3_mT4_P12ihipStream_tbEUlT_E_NS1_11comp_targetILNS1_3genE0ELNS1_11target_archE4294967295ELNS1_3gpuE0ELNS1_3repE0EEENS1_30default_config_static_selectorELNS0_4arch9wavefront6targetE1EEEvT1_,"axG",@progbits,_ZN7rocprim17ROCPRIM_400000_NS6detail17trampoline_kernelINS0_14default_configENS1_25transform_config_selectorIsLb1EEEZNS1_14transform_implILb1ES3_S5_PsS7_NS0_8identityIsEEEE10hipError_tT2_T3_mT4_P12ihipStream_tbEUlT_E_NS1_11comp_targetILNS1_3genE0ELNS1_11target_archE4294967295ELNS1_3gpuE0ELNS1_3repE0EEENS1_30default_config_static_selectorELNS0_4arch9wavefront6targetE1EEEvT1_,comdat
.Lfunc_end380:
	.size	_ZN7rocprim17ROCPRIM_400000_NS6detail17trampoline_kernelINS0_14default_configENS1_25transform_config_selectorIsLb1EEEZNS1_14transform_implILb1ES3_S5_PsS7_NS0_8identityIsEEEE10hipError_tT2_T3_mT4_P12ihipStream_tbEUlT_E_NS1_11comp_targetILNS1_3genE0ELNS1_11target_archE4294967295ELNS1_3gpuE0ELNS1_3repE0EEENS1_30default_config_static_selectorELNS0_4arch9wavefront6targetE1EEEvT1_, .Lfunc_end380-_ZN7rocprim17ROCPRIM_400000_NS6detail17trampoline_kernelINS0_14default_configENS1_25transform_config_selectorIsLb1EEEZNS1_14transform_implILb1ES3_S5_PsS7_NS0_8identityIsEEEE10hipError_tT2_T3_mT4_P12ihipStream_tbEUlT_E_NS1_11comp_targetILNS1_3genE0ELNS1_11target_archE4294967295ELNS1_3gpuE0ELNS1_3repE0EEENS1_30default_config_static_selectorELNS0_4arch9wavefront6targetE1EEEvT1_
                                        ; -- End function
	.section	.AMDGPU.csdata,"",@progbits
; Kernel info:
; codeLenInByte = 0
; NumSgprs: 4
; NumVgprs: 0
; NumAgprs: 0
; TotalNumVgprs: 0
; ScratchSize: 0
; MemoryBound: 0
; FloatMode: 240
; IeeeMode: 1
; LDSByteSize: 0 bytes/workgroup (compile time only)
; SGPRBlocks: 0
; VGPRBlocks: 0
; NumSGPRsForWavesPerEU: 4
; NumVGPRsForWavesPerEU: 1
; AccumOffset: 4
; Occupancy: 8
; WaveLimiterHint : 0
; COMPUTE_PGM_RSRC2:SCRATCH_EN: 0
; COMPUTE_PGM_RSRC2:USER_SGPR: 6
; COMPUTE_PGM_RSRC2:TRAP_HANDLER: 0
; COMPUTE_PGM_RSRC2:TGID_X_EN: 1
; COMPUTE_PGM_RSRC2:TGID_Y_EN: 0
; COMPUTE_PGM_RSRC2:TGID_Z_EN: 0
; COMPUTE_PGM_RSRC2:TIDIG_COMP_CNT: 0
; COMPUTE_PGM_RSRC3_GFX90A:ACCUM_OFFSET: 0
; COMPUTE_PGM_RSRC3_GFX90A:TG_SPLIT: 0
	.section	.text._ZN7rocprim17ROCPRIM_400000_NS6detail17trampoline_kernelINS0_14default_configENS1_25transform_config_selectorIsLb1EEEZNS1_14transform_implILb1ES3_S5_PsS7_NS0_8identityIsEEEE10hipError_tT2_T3_mT4_P12ihipStream_tbEUlT_E_NS1_11comp_targetILNS1_3genE10ELNS1_11target_archE1201ELNS1_3gpuE5ELNS1_3repE0EEENS1_30default_config_static_selectorELNS0_4arch9wavefront6targetE1EEEvT1_,"axG",@progbits,_ZN7rocprim17ROCPRIM_400000_NS6detail17trampoline_kernelINS0_14default_configENS1_25transform_config_selectorIsLb1EEEZNS1_14transform_implILb1ES3_S5_PsS7_NS0_8identityIsEEEE10hipError_tT2_T3_mT4_P12ihipStream_tbEUlT_E_NS1_11comp_targetILNS1_3genE10ELNS1_11target_archE1201ELNS1_3gpuE5ELNS1_3repE0EEENS1_30default_config_static_selectorELNS0_4arch9wavefront6targetE1EEEvT1_,comdat
	.protected	_ZN7rocprim17ROCPRIM_400000_NS6detail17trampoline_kernelINS0_14default_configENS1_25transform_config_selectorIsLb1EEEZNS1_14transform_implILb1ES3_S5_PsS7_NS0_8identityIsEEEE10hipError_tT2_T3_mT4_P12ihipStream_tbEUlT_E_NS1_11comp_targetILNS1_3genE10ELNS1_11target_archE1201ELNS1_3gpuE5ELNS1_3repE0EEENS1_30default_config_static_selectorELNS0_4arch9wavefront6targetE1EEEvT1_ ; -- Begin function _ZN7rocprim17ROCPRIM_400000_NS6detail17trampoline_kernelINS0_14default_configENS1_25transform_config_selectorIsLb1EEEZNS1_14transform_implILb1ES3_S5_PsS7_NS0_8identityIsEEEE10hipError_tT2_T3_mT4_P12ihipStream_tbEUlT_E_NS1_11comp_targetILNS1_3genE10ELNS1_11target_archE1201ELNS1_3gpuE5ELNS1_3repE0EEENS1_30default_config_static_selectorELNS0_4arch9wavefront6targetE1EEEvT1_
	.globl	_ZN7rocprim17ROCPRIM_400000_NS6detail17trampoline_kernelINS0_14default_configENS1_25transform_config_selectorIsLb1EEEZNS1_14transform_implILb1ES3_S5_PsS7_NS0_8identityIsEEEE10hipError_tT2_T3_mT4_P12ihipStream_tbEUlT_E_NS1_11comp_targetILNS1_3genE10ELNS1_11target_archE1201ELNS1_3gpuE5ELNS1_3repE0EEENS1_30default_config_static_selectorELNS0_4arch9wavefront6targetE1EEEvT1_
	.p2align	8
	.type	_ZN7rocprim17ROCPRIM_400000_NS6detail17trampoline_kernelINS0_14default_configENS1_25transform_config_selectorIsLb1EEEZNS1_14transform_implILb1ES3_S5_PsS7_NS0_8identityIsEEEE10hipError_tT2_T3_mT4_P12ihipStream_tbEUlT_E_NS1_11comp_targetILNS1_3genE10ELNS1_11target_archE1201ELNS1_3gpuE5ELNS1_3repE0EEENS1_30default_config_static_selectorELNS0_4arch9wavefront6targetE1EEEvT1_,@function
_ZN7rocprim17ROCPRIM_400000_NS6detail17trampoline_kernelINS0_14default_configENS1_25transform_config_selectorIsLb1EEEZNS1_14transform_implILb1ES3_S5_PsS7_NS0_8identityIsEEEE10hipError_tT2_T3_mT4_P12ihipStream_tbEUlT_E_NS1_11comp_targetILNS1_3genE10ELNS1_11target_archE1201ELNS1_3gpuE5ELNS1_3repE0EEENS1_30default_config_static_selectorELNS0_4arch9wavefront6targetE1EEEvT1_: ; @_ZN7rocprim17ROCPRIM_400000_NS6detail17trampoline_kernelINS0_14default_configENS1_25transform_config_selectorIsLb1EEEZNS1_14transform_implILb1ES3_S5_PsS7_NS0_8identityIsEEEE10hipError_tT2_T3_mT4_P12ihipStream_tbEUlT_E_NS1_11comp_targetILNS1_3genE10ELNS1_11target_archE1201ELNS1_3gpuE5ELNS1_3repE0EEENS1_30default_config_static_selectorELNS0_4arch9wavefront6targetE1EEEvT1_
; %bb.0:
	.section	.rodata,"a",@progbits
	.p2align	6, 0x0
	.amdhsa_kernel _ZN7rocprim17ROCPRIM_400000_NS6detail17trampoline_kernelINS0_14default_configENS1_25transform_config_selectorIsLb1EEEZNS1_14transform_implILb1ES3_S5_PsS7_NS0_8identityIsEEEE10hipError_tT2_T3_mT4_P12ihipStream_tbEUlT_E_NS1_11comp_targetILNS1_3genE10ELNS1_11target_archE1201ELNS1_3gpuE5ELNS1_3repE0EEENS1_30default_config_static_selectorELNS0_4arch9wavefront6targetE1EEEvT1_
		.amdhsa_group_segment_fixed_size 0
		.amdhsa_private_segment_fixed_size 0
		.amdhsa_kernarg_size 40
		.amdhsa_user_sgpr_count 6
		.amdhsa_user_sgpr_private_segment_buffer 1
		.amdhsa_user_sgpr_dispatch_ptr 0
		.amdhsa_user_sgpr_queue_ptr 0
		.amdhsa_user_sgpr_kernarg_segment_ptr 1
		.amdhsa_user_sgpr_dispatch_id 0
		.amdhsa_user_sgpr_flat_scratch_init 0
		.amdhsa_user_sgpr_kernarg_preload_length 0
		.amdhsa_user_sgpr_kernarg_preload_offset 0
		.amdhsa_user_sgpr_private_segment_size 0
		.amdhsa_uses_dynamic_stack 0
		.amdhsa_system_sgpr_private_segment_wavefront_offset 0
		.amdhsa_system_sgpr_workgroup_id_x 1
		.amdhsa_system_sgpr_workgroup_id_y 0
		.amdhsa_system_sgpr_workgroup_id_z 0
		.amdhsa_system_sgpr_workgroup_info 0
		.amdhsa_system_vgpr_workitem_id 0
		.amdhsa_next_free_vgpr 1
		.amdhsa_next_free_sgpr 0
		.amdhsa_accum_offset 4
		.amdhsa_reserve_vcc 0
		.amdhsa_reserve_flat_scratch 0
		.amdhsa_float_round_mode_32 0
		.amdhsa_float_round_mode_16_64 0
		.amdhsa_float_denorm_mode_32 3
		.amdhsa_float_denorm_mode_16_64 3
		.amdhsa_dx10_clamp 1
		.amdhsa_ieee_mode 1
		.amdhsa_fp16_overflow 0
		.amdhsa_tg_split 0
		.amdhsa_exception_fp_ieee_invalid_op 0
		.amdhsa_exception_fp_denorm_src 0
		.amdhsa_exception_fp_ieee_div_zero 0
		.amdhsa_exception_fp_ieee_overflow 0
		.amdhsa_exception_fp_ieee_underflow 0
		.amdhsa_exception_fp_ieee_inexact 0
		.amdhsa_exception_int_div_zero 0
	.end_amdhsa_kernel
	.section	.text._ZN7rocprim17ROCPRIM_400000_NS6detail17trampoline_kernelINS0_14default_configENS1_25transform_config_selectorIsLb1EEEZNS1_14transform_implILb1ES3_S5_PsS7_NS0_8identityIsEEEE10hipError_tT2_T3_mT4_P12ihipStream_tbEUlT_E_NS1_11comp_targetILNS1_3genE10ELNS1_11target_archE1201ELNS1_3gpuE5ELNS1_3repE0EEENS1_30default_config_static_selectorELNS0_4arch9wavefront6targetE1EEEvT1_,"axG",@progbits,_ZN7rocprim17ROCPRIM_400000_NS6detail17trampoline_kernelINS0_14default_configENS1_25transform_config_selectorIsLb1EEEZNS1_14transform_implILb1ES3_S5_PsS7_NS0_8identityIsEEEE10hipError_tT2_T3_mT4_P12ihipStream_tbEUlT_E_NS1_11comp_targetILNS1_3genE10ELNS1_11target_archE1201ELNS1_3gpuE5ELNS1_3repE0EEENS1_30default_config_static_selectorELNS0_4arch9wavefront6targetE1EEEvT1_,comdat
.Lfunc_end381:
	.size	_ZN7rocprim17ROCPRIM_400000_NS6detail17trampoline_kernelINS0_14default_configENS1_25transform_config_selectorIsLb1EEEZNS1_14transform_implILb1ES3_S5_PsS7_NS0_8identityIsEEEE10hipError_tT2_T3_mT4_P12ihipStream_tbEUlT_E_NS1_11comp_targetILNS1_3genE10ELNS1_11target_archE1201ELNS1_3gpuE5ELNS1_3repE0EEENS1_30default_config_static_selectorELNS0_4arch9wavefront6targetE1EEEvT1_, .Lfunc_end381-_ZN7rocprim17ROCPRIM_400000_NS6detail17trampoline_kernelINS0_14default_configENS1_25transform_config_selectorIsLb1EEEZNS1_14transform_implILb1ES3_S5_PsS7_NS0_8identityIsEEEE10hipError_tT2_T3_mT4_P12ihipStream_tbEUlT_E_NS1_11comp_targetILNS1_3genE10ELNS1_11target_archE1201ELNS1_3gpuE5ELNS1_3repE0EEENS1_30default_config_static_selectorELNS0_4arch9wavefront6targetE1EEEvT1_
                                        ; -- End function
	.section	.AMDGPU.csdata,"",@progbits
; Kernel info:
; codeLenInByte = 0
; NumSgprs: 4
; NumVgprs: 0
; NumAgprs: 0
; TotalNumVgprs: 0
; ScratchSize: 0
; MemoryBound: 0
; FloatMode: 240
; IeeeMode: 1
; LDSByteSize: 0 bytes/workgroup (compile time only)
; SGPRBlocks: 0
; VGPRBlocks: 0
; NumSGPRsForWavesPerEU: 4
; NumVGPRsForWavesPerEU: 1
; AccumOffset: 4
; Occupancy: 8
; WaveLimiterHint : 0
; COMPUTE_PGM_RSRC2:SCRATCH_EN: 0
; COMPUTE_PGM_RSRC2:USER_SGPR: 6
; COMPUTE_PGM_RSRC2:TRAP_HANDLER: 0
; COMPUTE_PGM_RSRC2:TGID_X_EN: 1
; COMPUTE_PGM_RSRC2:TGID_Y_EN: 0
; COMPUTE_PGM_RSRC2:TGID_Z_EN: 0
; COMPUTE_PGM_RSRC2:TIDIG_COMP_CNT: 0
; COMPUTE_PGM_RSRC3_GFX90A:ACCUM_OFFSET: 0
; COMPUTE_PGM_RSRC3_GFX90A:TG_SPLIT: 0
	.section	.text._ZN7rocprim17ROCPRIM_400000_NS6detail17trampoline_kernelINS0_14default_configENS1_25transform_config_selectorIsLb1EEEZNS1_14transform_implILb1ES3_S5_PsS7_NS0_8identityIsEEEE10hipError_tT2_T3_mT4_P12ihipStream_tbEUlT_E_NS1_11comp_targetILNS1_3genE5ELNS1_11target_archE942ELNS1_3gpuE9ELNS1_3repE0EEENS1_30default_config_static_selectorELNS0_4arch9wavefront6targetE1EEEvT1_,"axG",@progbits,_ZN7rocprim17ROCPRIM_400000_NS6detail17trampoline_kernelINS0_14default_configENS1_25transform_config_selectorIsLb1EEEZNS1_14transform_implILb1ES3_S5_PsS7_NS0_8identityIsEEEE10hipError_tT2_T3_mT4_P12ihipStream_tbEUlT_E_NS1_11comp_targetILNS1_3genE5ELNS1_11target_archE942ELNS1_3gpuE9ELNS1_3repE0EEENS1_30default_config_static_selectorELNS0_4arch9wavefront6targetE1EEEvT1_,comdat
	.protected	_ZN7rocprim17ROCPRIM_400000_NS6detail17trampoline_kernelINS0_14default_configENS1_25transform_config_selectorIsLb1EEEZNS1_14transform_implILb1ES3_S5_PsS7_NS0_8identityIsEEEE10hipError_tT2_T3_mT4_P12ihipStream_tbEUlT_E_NS1_11comp_targetILNS1_3genE5ELNS1_11target_archE942ELNS1_3gpuE9ELNS1_3repE0EEENS1_30default_config_static_selectorELNS0_4arch9wavefront6targetE1EEEvT1_ ; -- Begin function _ZN7rocprim17ROCPRIM_400000_NS6detail17trampoline_kernelINS0_14default_configENS1_25transform_config_selectorIsLb1EEEZNS1_14transform_implILb1ES3_S5_PsS7_NS0_8identityIsEEEE10hipError_tT2_T3_mT4_P12ihipStream_tbEUlT_E_NS1_11comp_targetILNS1_3genE5ELNS1_11target_archE942ELNS1_3gpuE9ELNS1_3repE0EEENS1_30default_config_static_selectorELNS0_4arch9wavefront6targetE1EEEvT1_
	.globl	_ZN7rocprim17ROCPRIM_400000_NS6detail17trampoline_kernelINS0_14default_configENS1_25transform_config_selectorIsLb1EEEZNS1_14transform_implILb1ES3_S5_PsS7_NS0_8identityIsEEEE10hipError_tT2_T3_mT4_P12ihipStream_tbEUlT_E_NS1_11comp_targetILNS1_3genE5ELNS1_11target_archE942ELNS1_3gpuE9ELNS1_3repE0EEENS1_30default_config_static_selectorELNS0_4arch9wavefront6targetE1EEEvT1_
	.p2align	8
	.type	_ZN7rocprim17ROCPRIM_400000_NS6detail17trampoline_kernelINS0_14default_configENS1_25transform_config_selectorIsLb1EEEZNS1_14transform_implILb1ES3_S5_PsS7_NS0_8identityIsEEEE10hipError_tT2_T3_mT4_P12ihipStream_tbEUlT_E_NS1_11comp_targetILNS1_3genE5ELNS1_11target_archE942ELNS1_3gpuE9ELNS1_3repE0EEENS1_30default_config_static_selectorELNS0_4arch9wavefront6targetE1EEEvT1_,@function
_ZN7rocprim17ROCPRIM_400000_NS6detail17trampoline_kernelINS0_14default_configENS1_25transform_config_selectorIsLb1EEEZNS1_14transform_implILb1ES3_S5_PsS7_NS0_8identityIsEEEE10hipError_tT2_T3_mT4_P12ihipStream_tbEUlT_E_NS1_11comp_targetILNS1_3genE5ELNS1_11target_archE942ELNS1_3gpuE9ELNS1_3repE0EEENS1_30default_config_static_selectorELNS0_4arch9wavefront6targetE1EEEvT1_: ; @_ZN7rocprim17ROCPRIM_400000_NS6detail17trampoline_kernelINS0_14default_configENS1_25transform_config_selectorIsLb1EEEZNS1_14transform_implILb1ES3_S5_PsS7_NS0_8identityIsEEEE10hipError_tT2_T3_mT4_P12ihipStream_tbEUlT_E_NS1_11comp_targetILNS1_3genE5ELNS1_11target_archE942ELNS1_3gpuE9ELNS1_3repE0EEENS1_30default_config_static_selectorELNS0_4arch9wavefront6targetE1EEEvT1_
; %bb.0:
	.section	.rodata,"a",@progbits
	.p2align	6, 0x0
	.amdhsa_kernel _ZN7rocprim17ROCPRIM_400000_NS6detail17trampoline_kernelINS0_14default_configENS1_25transform_config_selectorIsLb1EEEZNS1_14transform_implILb1ES3_S5_PsS7_NS0_8identityIsEEEE10hipError_tT2_T3_mT4_P12ihipStream_tbEUlT_E_NS1_11comp_targetILNS1_3genE5ELNS1_11target_archE942ELNS1_3gpuE9ELNS1_3repE0EEENS1_30default_config_static_selectorELNS0_4arch9wavefront6targetE1EEEvT1_
		.amdhsa_group_segment_fixed_size 0
		.amdhsa_private_segment_fixed_size 0
		.amdhsa_kernarg_size 40
		.amdhsa_user_sgpr_count 6
		.amdhsa_user_sgpr_private_segment_buffer 1
		.amdhsa_user_sgpr_dispatch_ptr 0
		.amdhsa_user_sgpr_queue_ptr 0
		.amdhsa_user_sgpr_kernarg_segment_ptr 1
		.amdhsa_user_sgpr_dispatch_id 0
		.amdhsa_user_sgpr_flat_scratch_init 0
		.amdhsa_user_sgpr_kernarg_preload_length 0
		.amdhsa_user_sgpr_kernarg_preload_offset 0
		.amdhsa_user_sgpr_private_segment_size 0
		.amdhsa_uses_dynamic_stack 0
		.amdhsa_system_sgpr_private_segment_wavefront_offset 0
		.amdhsa_system_sgpr_workgroup_id_x 1
		.amdhsa_system_sgpr_workgroup_id_y 0
		.amdhsa_system_sgpr_workgroup_id_z 0
		.amdhsa_system_sgpr_workgroup_info 0
		.amdhsa_system_vgpr_workitem_id 0
		.amdhsa_next_free_vgpr 1
		.amdhsa_next_free_sgpr 0
		.amdhsa_accum_offset 4
		.amdhsa_reserve_vcc 0
		.amdhsa_reserve_flat_scratch 0
		.amdhsa_float_round_mode_32 0
		.amdhsa_float_round_mode_16_64 0
		.amdhsa_float_denorm_mode_32 3
		.amdhsa_float_denorm_mode_16_64 3
		.amdhsa_dx10_clamp 1
		.amdhsa_ieee_mode 1
		.amdhsa_fp16_overflow 0
		.amdhsa_tg_split 0
		.amdhsa_exception_fp_ieee_invalid_op 0
		.amdhsa_exception_fp_denorm_src 0
		.amdhsa_exception_fp_ieee_div_zero 0
		.amdhsa_exception_fp_ieee_overflow 0
		.amdhsa_exception_fp_ieee_underflow 0
		.amdhsa_exception_fp_ieee_inexact 0
		.amdhsa_exception_int_div_zero 0
	.end_amdhsa_kernel
	.section	.text._ZN7rocprim17ROCPRIM_400000_NS6detail17trampoline_kernelINS0_14default_configENS1_25transform_config_selectorIsLb1EEEZNS1_14transform_implILb1ES3_S5_PsS7_NS0_8identityIsEEEE10hipError_tT2_T3_mT4_P12ihipStream_tbEUlT_E_NS1_11comp_targetILNS1_3genE5ELNS1_11target_archE942ELNS1_3gpuE9ELNS1_3repE0EEENS1_30default_config_static_selectorELNS0_4arch9wavefront6targetE1EEEvT1_,"axG",@progbits,_ZN7rocprim17ROCPRIM_400000_NS6detail17trampoline_kernelINS0_14default_configENS1_25transform_config_selectorIsLb1EEEZNS1_14transform_implILb1ES3_S5_PsS7_NS0_8identityIsEEEE10hipError_tT2_T3_mT4_P12ihipStream_tbEUlT_E_NS1_11comp_targetILNS1_3genE5ELNS1_11target_archE942ELNS1_3gpuE9ELNS1_3repE0EEENS1_30default_config_static_selectorELNS0_4arch9wavefront6targetE1EEEvT1_,comdat
.Lfunc_end382:
	.size	_ZN7rocprim17ROCPRIM_400000_NS6detail17trampoline_kernelINS0_14default_configENS1_25transform_config_selectorIsLb1EEEZNS1_14transform_implILb1ES3_S5_PsS7_NS0_8identityIsEEEE10hipError_tT2_T3_mT4_P12ihipStream_tbEUlT_E_NS1_11comp_targetILNS1_3genE5ELNS1_11target_archE942ELNS1_3gpuE9ELNS1_3repE0EEENS1_30default_config_static_selectorELNS0_4arch9wavefront6targetE1EEEvT1_, .Lfunc_end382-_ZN7rocprim17ROCPRIM_400000_NS6detail17trampoline_kernelINS0_14default_configENS1_25transform_config_selectorIsLb1EEEZNS1_14transform_implILb1ES3_S5_PsS7_NS0_8identityIsEEEE10hipError_tT2_T3_mT4_P12ihipStream_tbEUlT_E_NS1_11comp_targetILNS1_3genE5ELNS1_11target_archE942ELNS1_3gpuE9ELNS1_3repE0EEENS1_30default_config_static_selectorELNS0_4arch9wavefront6targetE1EEEvT1_
                                        ; -- End function
	.section	.AMDGPU.csdata,"",@progbits
; Kernel info:
; codeLenInByte = 0
; NumSgprs: 4
; NumVgprs: 0
; NumAgprs: 0
; TotalNumVgprs: 0
; ScratchSize: 0
; MemoryBound: 0
; FloatMode: 240
; IeeeMode: 1
; LDSByteSize: 0 bytes/workgroup (compile time only)
; SGPRBlocks: 0
; VGPRBlocks: 0
; NumSGPRsForWavesPerEU: 4
; NumVGPRsForWavesPerEU: 1
; AccumOffset: 4
; Occupancy: 8
; WaveLimiterHint : 0
; COMPUTE_PGM_RSRC2:SCRATCH_EN: 0
; COMPUTE_PGM_RSRC2:USER_SGPR: 6
; COMPUTE_PGM_RSRC2:TRAP_HANDLER: 0
; COMPUTE_PGM_RSRC2:TGID_X_EN: 1
; COMPUTE_PGM_RSRC2:TGID_Y_EN: 0
; COMPUTE_PGM_RSRC2:TGID_Z_EN: 0
; COMPUTE_PGM_RSRC2:TIDIG_COMP_CNT: 0
; COMPUTE_PGM_RSRC3_GFX90A:ACCUM_OFFSET: 0
; COMPUTE_PGM_RSRC3_GFX90A:TG_SPLIT: 0
	.section	.text._ZN7rocprim17ROCPRIM_400000_NS6detail17trampoline_kernelINS0_14default_configENS1_25transform_config_selectorIsLb1EEEZNS1_14transform_implILb1ES3_S5_PsS7_NS0_8identityIsEEEE10hipError_tT2_T3_mT4_P12ihipStream_tbEUlT_E_NS1_11comp_targetILNS1_3genE4ELNS1_11target_archE910ELNS1_3gpuE8ELNS1_3repE0EEENS1_30default_config_static_selectorELNS0_4arch9wavefront6targetE1EEEvT1_,"axG",@progbits,_ZN7rocprim17ROCPRIM_400000_NS6detail17trampoline_kernelINS0_14default_configENS1_25transform_config_selectorIsLb1EEEZNS1_14transform_implILb1ES3_S5_PsS7_NS0_8identityIsEEEE10hipError_tT2_T3_mT4_P12ihipStream_tbEUlT_E_NS1_11comp_targetILNS1_3genE4ELNS1_11target_archE910ELNS1_3gpuE8ELNS1_3repE0EEENS1_30default_config_static_selectorELNS0_4arch9wavefront6targetE1EEEvT1_,comdat
	.protected	_ZN7rocprim17ROCPRIM_400000_NS6detail17trampoline_kernelINS0_14default_configENS1_25transform_config_selectorIsLb1EEEZNS1_14transform_implILb1ES3_S5_PsS7_NS0_8identityIsEEEE10hipError_tT2_T3_mT4_P12ihipStream_tbEUlT_E_NS1_11comp_targetILNS1_3genE4ELNS1_11target_archE910ELNS1_3gpuE8ELNS1_3repE0EEENS1_30default_config_static_selectorELNS0_4arch9wavefront6targetE1EEEvT1_ ; -- Begin function _ZN7rocprim17ROCPRIM_400000_NS6detail17trampoline_kernelINS0_14default_configENS1_25transform_config_selectorIsLb1EEEZNS1_14transform_implILb1ES3_S5_PsS7_NS0_8identityIsEEEE10hipError_tT2_T3_mT4_P12ihipStream_tbEUlT_E_NS1_11comp_targetILNS1_3genE4ELNS1_11target_archE910ELNS1_3gpuE8ELNS1_3repE0EEENS1_30default_config_static_selectorELNS0_4arch9wavefront6targetE1EEEvT1_
	.globl	_ZN7rocprim17ROCPRIM_400000_NS6detail17trampoline_kernelINS0_14default_configENS1_25transform_config_selectorIsLb1EEEZNS1_14transform_implILb1ES3_S5_PsS7_NS0_8identityIsEEEE10hipError_tT2_T3_mT4_P12ihipStream_tbEUlT_E_NS1_11comp_targetILNS1_3genE4ELNS1_11target_archE910ELNS1_3gpuE8ELNS1_3repE0EEENS1_30default_config_static_selectorELNS0_4arch9wavefront6targetE1EEEvT1_
	.p2align	8
	.type	_ZN7rocprim17ROCPRIM_400000_NS6detail17trampoline_kernelINS0_14default_configENS1_25transform_config_selectorIsLb1EEEZNS1_14transform_implILb1ES3_S5_PsS7_NS0_8identityIsEEEE10hipError_tT2_T3_mT4_P12ihipStream_tbEUlT_E_NS1_11comp_targetILNS1_3genE4ELNS1_11target_archE910ELNS1_3gpuE8ELNS1_3repE0EEENS1_30default_config_static_selectorELNS0_4arch9wavefront6targetE1EEEvT1_,@function
_ZN7rocprim17ROCPRIM_400000_NS6detail17trampoline_kernelINS0_14default_configENS1_25transform_config_selectorIsLb1EEEZNS1_14transform_implILb1ES3_S5_PsS7_NS0_8identityIsEEEE10hipError_tT2_T3_mT4_P12ihipStream_tbEUlT_E_NS1_11comp_targetILNS1_3genE4ELNS1_11target_archE910ELNS1_3gpuE8ELNS1_3repE0EEENS1_30default_config_static_selectorELNS0_4arch9wavefront6targetE1EEEvT1_: ; @_ZN7rocprim17ROCPRIM_400000_NS6detail17trampoline_kernelINS0_14default_configENS1_25transform_config_selectorIsLb1EEEZNS1_14transform_implILb1ES3_S5_PsS7_NS0_8identityIsEEEE10hipError_tT2_T3_mT4_P12ihipStream_tbEUlT_E_NS1_11comp_targetILNS1_3genE4ELNS1_11target_archE910ELNS1_3gpuE8ELNS1_3repE0EEENS1_30default_config_static_selectorELNS0_4arch9wavefront6targetE1EEEvT1_
; %bb.0:
	s_load_dwordx8 s[8:15], s[4:5], 0x0
	s_load_dword s2, s[4:5], 0x28
	s_waitcnt lgkmcnt(0)
	s_lshl_b64 s[0:1], s[10:11], 1
	s_add_u32 s3, s8, s0
	s_addc_u32 s4, s9, s1
	s_add_u32 s20, s14, s0
	s_addc_u32 s21, s15, s1
	s_lshl_b32 s0, s6, 13
	s_mov_b32 s1, 0
	s_add_i32 s2, s2, -1
	s_lshl_b64 s[14:15], s[0:1], 1
	s_add_u32 s16, s3, s14
	s_addc_u32 s17, s4, s15
	s_cmp_lg_u32 s6, s2
	s_mov_b64 s[2:3], -1
	s_cbranch_scc0 .LBB383_2
; %bb.1:
	v_lshlrev_b32_e32 v1, 4, v0
	global_load_dwordx4 v[2:5], v1, s[16:17]
	s_add_u32 s2, s20, s14
	s_addc_u32 s3, s21, s15
	s_waitcnt vmcnt(0)
	global_store_dwordx4 v1, v[2:5], s[2:3]
	s_mov_b64 s[2:3], 0
.LBB383_2:
	s_andn2_b64 vcc, exec, s[2:3]
	s_cbranch_vccnz .LBB383_31
; %bb.3:
	s_sub_i32 s18, s12, s0
	v_cmp_gt_u32_e32 vcc, s18, v0
	v_lshlrev_b32_e32 v1, 1, v0
                                        ; implicit-def: $vgpr2_vgpr3_vgpr4_vgpr5
	s_and_saveexec_b64 s[0:1], vcc
	s_cbranch_execz .LBB383_5
; %bb.4:
	global_load_ushort v2, v1, s[16:17]
.LBB383_5:
	s_or_b64 exec, exec, s[0:1]
	v_or_b32_e32 v6, 0x400, v0
	v_cmp_gt_u32_e64 s[0:1], s18, v6
	s_and_saveexec_b64 s[2:3], s[0:1]
	s_cbranch_execz .LBB383_7
; %bb.6:
	global_load_ushort v6, v1, s[16:17] offset:2048
	s_mov_b32 s4, 0x5040100
	s_waitcnt vmcnt(0)
	v_perm_b32 v2, v6, v2, s4
.LBB383_7:
	s_or_b64 exec, exec, s[2:3]
	v_or_b32_e32 v6, 0x800, v0
	v_cmp_gt_u32_e64 s[2:3], s18, v6
	s_and_saveexec_b64 s[4:5], s[2:3]
	s_cbranch_execz .LBB383_9
; %bb.8:
	v_lshlrev_b32_e32 v6, 1, v6
	global_load_ushort v6, v6, s[16:17]
	s_mov_b32 s6, 0xffff
	s_waitcnt vmcnt(0)
	v_bfi_b32 v3, s6, v6, v3
.LBB383_9:
	s_or_b64 exec, exec, s[4:5]
	v_or_b32_e32 v6, 0xc00, v0
	v_cmp_gt_u32_e64 s[4:5], s18, v6
	s_and_saveexec_b64 s[6:7], s[4:5]
	s_cbranch_execz .LBB383_11
; %bb.10:
	v_lshlrev_b32_e32 v6, 1, v6
	global_load_ushort v6, v6, s[16:17]
	s_mov_b32 s8, 0x5040100
	s_waitcnt vmcnt(0)
	v_perm_b32 v3, v6, v3, s8
.LBB383_11:
	s_or_b64 exec, exec, s[6:7]
	v_or_b32_e32 v6, 0x1000, v0
	v_cmp_gt_u32_e64 s[6:7], s18, v6
	s_and_saveexec_b64 s[8:9], s[6:7]
	s_cbranch_execz .LBB383_13
; %bb.12:
	v_lshlrev_b32_e32 v6, 1, v6
	global_load_ushort v6, v6, s[16:17]
	s_mov_b32 s10, 0xffff
	s_waitcnt vmcnt(0)
	v_bfi_b32 v4, s10, v6, v4
.LBB383_13:
	s_or_b64 exec, exec, s[8:9]
	v_or_b32_e32 v6, 0x1400, v0
	v_cmp_gt_u32_e64 s[8:9], s18, v6
	s_and_saveexec_b64 s[10:11], s[8:9]
	s_cbranch_execz .LBB383_15
; %bb.14:
	v_lshlrev_b32_e32 v6, 1, v6
	global_load_ushort v6, v6, s[16:17]
	s_mov_b32 s12, 0x5040100
	s_waitcnt vmcnt(0)
	v_perm_b32 v4, v6, v4, s12
.LBB383_15:
	;; [unrolled: 24-line block ×3, first 2 shown]
	s_or_b64 exec, exec, s[18:19]
	s_add_u32 s14, s20, s14
	s_addc_u32 s15, s21, s15
	v_mov_b32_e32 v6, s15
	v_add_co_u32_e64 v0, s[14:15], s14, v1
	v_addc_co_u32_e64 v1, s[14:15], 0, v6, s[14:15]
	s_and_saveexec_b64 s[14:15], vcc
	s_cbranch_execnz .LBB383_32
; %bb.20:
	s_or_b64 exec, exec, s[14:15]
	s_and_saveexec_b64 s[14:15], s[0:1]
	s_cbranch_execnz .LBB383_33
.LBB383_21:
	s_or_b64 exec, exec, s[14:15]
	s_mov_b32 s14, 0xffff
	s_and_saveexec_b64 s[0:1], s[2:3]
	s_cbranch_execz .LBB383_23
.LBB383_22:
	v_add_co_u32_e32 v6, vcc, 0x1000, v0
	v_addc_co_u32_e32 v7, vcc, 0, v1, vcc
	global_store_short v[6:7], v3, off
.LBB383_23:
	s_or_b64 exec, exec, s[0:1]
	s_waitcnt vmcnt(0)
	v_bfi_b32 v2, s14, v3, v3
	v_cndmask_b32_e64 v2, v2, v3, s[4:5]
	s_and_saveexec_b64 s[0:1], s[4:5]
	s_cbranch_execz .LBB383_25
; %bb.24:
	v_add_co_u32_e32 v6, vcc, 0x1000, v0
	v_addc_co_u32_e32 v7, vcc, 0, v1, vcc
	global_store_short_d16_hi v[6:7], v2, off offset:2048
.LBB383_25:
	s_or_b64 exec, exec, s[0:1]
	s_mov_b32 s2, 0xffff
	v_cndmask_b32_e64 v2, v4, v4, s[6:7]
	s_and_saveexec_b64 s[0:1], s[6:7]
	s_cbranch_execz .LBB383_27
; %bb.26:
	v_add_co_u32_e32 v6, vcc, 0x2000, v0
	v_addc_co_u32_e32 v7, vcc, 0, v1, vcc
	global_store_short v[6:7], v2, off
.LBB383_27:
	s_or_b64 exec, exec, s[0:1]
	v_bfi_b32 v2, s2, v2, v4
	v_cndmask_b32_e64 v2, v2, v4, s[8:9]
	s_and_saveexec_b64 s[0:1], s[8:9]
	s_cbranch_execnz .LBB383_34
; %bb.28:
	s_or_b64 exec, exec, s[0:1]
	s_and_saveexec_b64 s[0:1], s[10:11]
	s_cbranch_execnz .LBB383_35
.LBB383_29:
	s_or_b64 exec, exec, s[0:1]
	s_and_saveexec_b64 s[0:1], s[12:13]
	s_cbranch_execz .LBB383_31
.LBB383_30:
	v_add_co_u32_e32 v0, vcc, 0x3000, v0
	v_cndmask_b32_e64 v2, v5, v5, s[12:13]
	v_addc_co_u32_e32 v1, vcc, 0, v1, vcc
	global_store_short_d16_hi v[0:1], v2, off offset:2048
.LBB383_31:
	s_endpgm
.LBB383_32:
	s_waitcnt vmcnt(0)
	global_store_short v[0:1], v2, off
	s_or_b64 exec, exec, s[14:15]
	s_and_saveexec_b64 s[14:15], s[0:1]
	s_cbranch_execz .LBB383_21
.LBB383_33:
	s_waitcnt vmcnt(0)
	global_store_short_d16_hi v[0:1], v2, off offset:2048
	s_or_b64 exec, exec, s[14:15]
	s_mov_b32 s14, 0xffff
	s_and_saveexec_b64 s[0:1], s[2:3]
	s_cbranch_execnz .LBB383_22
	s_branch .LBB383_23
.LBB383_34:
	v_add_co_u32_e32 v6, vcc, 0x2000, v0
	v_addc_co_u32_e32 v7, vcc, 0, v1, vcc
	global_store_short_d16_hi v[6:7], v2, off offset:2048
	s_or_b64 exec, exec, s[0:1]
	s_and_saveexec_b64 s[0:1], s[10:11]
	s_cbranch_execz .LBB383_29
.LBB383_35:
	v_add_co_u32_e32 v2, vcc, 0x3000, v0
	v_cndmask_b32_e64 v4, v5, v5, s[10:11]
	v_addc_co_u32_e32 v3, vcc, 0, v1, vcc
	global_store_short v[2:3], v4, off
	s_or_b64 exec, exec, s[0:1]
	s_and_saveexec_b64 s[0:1], s[12:13]
	s_cbranch_execnz .LBB383_30
	s_branch .LBB383_31
	.section	.rodata,"a",@progbits
	.p2align	6, 0x0
	.amdhsa_kernel _ZN7rocprim17ROCPRIM_400000_NS6detail17trampoline_kernelINS0_14default_configENS1_25transform_config_selectorIsLb1EEEZNS1_14transform_implILb1ES3_S5_PsS7_NS0_8identityIsEEEE10hipError_tT2_T3_mT4_P12ihipStream_tbEUlT_E_NS1_11comp_targetILNS1_3genE4ELNS1_11target_archE910ELNS1_3gpuE8ELNS1_3repE0EEENS1_30default_config_static_selectorELNS0_4arch9wavefront6targetE1EEEvT1_
		.amdhsa_group_segment_fixed_size 0
		.amdhsa_private_segment_fixed_size 0
		.amdhsa_kernarg_size 296
		.amdhsa_user_sgpr_count 6
		.amdhsa_user_sgpr_private_segment_buffer 1
		.amdhsa_user_sgpr_dispatch_ptr 0
		.amdhsa_user_sgpr_queue_ptr 0
		.amdhsa_user_sgpr_kernarg_segment_ptr 1
		.amdhsa_user_sgpr_dispatch_id 0
		.amdhsa_user_sgpr_flat_scratch_init 0
		.amdhsa_user_sgpr_kernarg_preload_length 0
		.amdhsa_user_sgpr_kernarg_preload_offset 0
		.amdhsa_user_sgpr_private_segment_size 0
		.amdhsa_uses_dynamic_stack 0
		.amdhsa_system_sgpr_private_segment_wavefront_offset 0
		.amdhsa_system_sgpr_workgroup_id_x 1
		.amdhsa_system_sgpr_workgroup_id_y 0
		.amdhsa_system_sgpr_workgroup_id_z 0
		.amdhsa_system_sgpr_workgroup_info 0
		.amdhsa_system_vgpr_workitem_id 0
		.amdhsa_next_free_vgpr 8
		.amdhsa_next_free_sgpr 22
		.amdhsa_accum_offset 8
		.amdhsa_reserve_vcc 1
		.amdhsa_reserve_flat_scratch 0
		.amdhsa_float_round_mode_32 0
		.amdhsa_float_round_mode_16_64 0
		.amdhsa_float_denorm_mode_32 3
		.amdhsa_float_denorm_mode_16_64 3
		.amdhsa_dx10_clamp 1
		.amdhsa_ieee_mode 1
		.amdhsa_fp16_overflow 0
		.amdhsa_tg_split 0
		.amdhsa_exception_fp_ieee_invalid_op 0
		.amdhsa_exception_fp_denorm_src 0
		.amdhsa_exception_fp_ieee_div_zero 0
		.amdhsa_exception_fp_ieee_overflow 0
		.amdhsa_exception_fp_ieee_underflow 0
		.amdhsa_exception_fp_ieee_inexact 0
		.amdhsa_exception_int_div_zero 0
	.end_amdhsa_kernel
	.section	.text._ZN7rocprim17ROCPRIM_400000_NS6detail17trampoline_kernelINS0_14default_configENS1_25transform_config_selectorIsLb1EEEZNS1_14transform_implILb1ES3_S5_PsS7_NS0_8identityIsEEEE10hipError_tT2_T3_mT4_P12ihipStream_tbEUlT_E_NS1_11comp_targetILNS1_3genE4ELNS1_11target_archE910ELNS1_3gpuE8ELNS1_3repE0EEENS1_30default_config_static_selectorELNS0_4arch9wavefront6targetE1EEEvT1_,"axG",@progbits,_ZN7rocprim17ROCPRIM_400000_NS6detail17trampoline_kernelINS0_14default_configENS1_25transform_config_selectorIsLb1EEEZNS1_14transform_implILb1ES3_S5_PsS7_NS0_8identityIsEEEE10hipError_tT2_T3_mT4_P12ihipStream_tbEUlT_E_NS1_11comp_targetILNS1_3genE4ELNS1_11target_archE910ELNS1_3gpuE8ELNS1_3repE0EEENS1_30default_config_static_selectorELNS0_4arch9wavefront6targetE1EEEvT1_,comdat
.Lfunc_end383:
	.size	_ZN7rocprim17ROCPRIM_400000_NS6detail17trampoline_kernelINS0_14default_configENS1_25transform_config_selectorIsLb1EEEZNS1_14transform_implILb1ES3_S5_PsS7_NS0_8identityIsEEEE10hipError_tT2_T3_mT4_P12ihipStream_tbEUlT_E_NS1_11comp_targetILNS1_3genE4ELNS1_11target_archE910ELNS1_3gpuE8ELNS1_3repE0EEENS1_30default_config_static_selectorELNS0_4arch9wavefront6targetE1EEEvT1_, .Lfunc_end383-_ZN7rocprim17ROCPRIM_400000_NS6detail17trampoline_kernelINS0_14default_configENS1_25transform_config_selectorIsLb1EEEZNS1_14transform_implILb1ES3_S5_PsS7_NS0_8identityIsEEEE10hipError_tT2_T3_mT4_P12ihipStream_tbEUlT_E_NS1_11comp_targetILNS1_3genE4ELNS1_11target_archE910ELNS1_3gpuE8ELNS1_3repE0EEENS1_30default_config_static_selectorELNS0_4arch9wavefront6targetE1EEEvT1_
                                        ; -- End function
	.section	.AMDGPU.csdata,"",@progbits
; Kernel info:
; codeLenInByte = 976
; NumSgprs: 26
; NumVgprs: 8
; NumAgprs: 0
; TotalNumVgprs: 8
; ScratchSize: 0
; MemoryBound: 1
; FloatMode: 240
; IeeeMode: 1
; LDSByteSize: 0 bytes/workgroup (compile time only)
; SGPRBlocks: 3
; VGPRBlocks: 0
; NumSGPRsForWavesPerEU: 26
; NumVGPRsForWavesPerEU: 8
; AccumOffset: 8
; Occupancy: 8
; WaveLimiterHint : 0
; COMPUTE_PGM_RSRC2:SCRATCH_EN: 0
; COMPUTE_PGM_RSRC2:USER_SGPR: 6
; COMPUTE_PGM_RSRC2:TRAP_HANDLER: 0
; COMPUTE_PGM_RSRC2:TGID_X_EN: 1
; COMPUTE_PGM_RSRC2:TGID_Y_EN: 0
; COMPUTE_PGM_RSRC2:TGID_Z_EN: 0
; COMPUTE_PGM_RSRC2:TIDIG_COMP_CNT: 0
; COMPUTE_PGM_RSRC3_GFX90A:ACCUM_OFFSET: 1
; COMPUTE_PGM_RSRC3_GFX90A:TG_SPLIT: 0
	.section	.text._ZN7rocprim17ROCPRIM_400000_NS6detail17trampoline_kernelINS0_14default_configENS1_25transform_config_selectorIsLb1EEEZNS1_14transform_implILb1ES3_S5_PsS7_NS0_8identityIsEEEE10hipError_tT2_T3_mT4_P12ihipStream_tbEUlT_E_NS1_11comp_targetILNS1_3genE3ELNS1_11target_archE908ELNS1_3gpuE7ELNS1_3repE0EEENS1_30default_config_static_selectorELNS0_4arch9wavefront6targetE1EEEvT1_,"axG",@progbits,_ZN7rocprim17ROCPRIM_400000_NS6detail17trampoline_kernelINS0_14default_configENS1_25transform_config_selectorIsLb1EEEZNS1_14transform_implILb1ES3_S5_PsS7_NS0_8identityIsEEEE10hipError_tT2_T3_mT4_P12ihipStream_tbEUlT_E_NS1_11comp_targetILNS1_3genE3ELNS1_11target_archE908ELNS1_3gpuE7ELNS1_3repE0EEENS1_30default_config_static_selectorELNS0_4arch9wavefront6targetE1EEEvT1_,comdat
	.protected	_ZN7rocprim17ROCPRIM_400000_NS6detail17trampoline_kernelINS0_14default_configENS1_25transform_config_selectorIsLb1EEEZNS1_14transform_implILb1ES3_S5_PsS7_NS0_8identityIsEEEE10hipError_tT2_T3_mT4_P12ihipStream_tbEUlT_E_NS1_11comp_targetILNS1_3genE3ELNS1_11target_archE908ELNS1_3gpuE7ELNS1_3repE0EEENS1_30default_config_static_selectorELNS0_4arch9wavefront6targetE1EEEvT1_ ; -- Begin function _ZN7rocprim17ROCPRIM_400000_NS6detail17trampoline_kernelINS0_14default_configENS1_25transform_config_selectorIsLb1EEEZNS1_14transform_implILb1ES3_S5_PsS7_NS0_8identityIsEEEE10hipError_tT2_T3_mT4_P12ihipStream_tbEUlT_E_NS1_11comp_targetILNS1_3genE3ELNS1_11target_archE908ELNS1_3gpuE7ELNS1_3repE0EEENS1_30default_config_static_selectorELNS0_4arch9wavefront6targetE1EEEvT1_
	.globl	_ZN7rocprim17ROCPRIM_400000_NS6detail17trampoline_kernelINS0_14default_configENS1_25transform_config_selectorIsLb1EEEZNS1_14transform_implILb1ES3_S5_PsS7_NS0_8identityIsEEEE10hipError_tT2_T3_mT4_P12ihipStream_tbEUlT_E_NS1_11comp_targetILNS1_3genE3ELNS1_11target_archE908ELNS1_3gpuE7ELNS1_3repE0EEENS1_30default_config_static_selectorELNS0_4arch9wavefront6targetE1EEEvT1_
	.p2align	8
	.type	_ZN7rocprim17ROCPRIM_400000_NS6detail17trampoline_kernelINS0_14default_configENS1_25transform_config_selectorIsLb1EEEZNS1_14transform_implILb1ES3_S5_PsS7_NS0_8identityIsEEEE10hipError_tT2_T3_mT4_P12ihipStream_tbEUlT_E_NS1_11comp_targetILNS1_3genE3ELNS1_11target_archE908ELNS1_3gpuE7ELNS1_3repE0EEENS1_30default_config_static_selectorELNS0_4arch9wavefront6targetE1EEEvT1_,@function
_ZN7rocprim17ROCPRIM_400000_NS6detail17trampoline_kernelINS0_14default_configENS1_25transform_config_selectorIsLb1EEEZNS1_14transform_implILb1ES3_S5_PsS7_NS0_8identityIsEEEE10hipError_tT2_T3_mT4_P12ihipStream_tbEUlT_E_NS1_11comp_targetILNS1_3genE3ELNS1_11target_archE908ELNS1_3gpuE7ELNS1_3repE0EEENS1_30default_config_static_selectorELNS0_4arch9wavefront6targetE1EEEvT1_: ; @_ZN7rocprim17ROCPRIM_400000_NS6detail17trampoline_kernelINS0_14default_configENS1_25transform_config_selectorIsLb1EEEZNS1_14transform_implILb1ES3_S5_PsS7_NS0_8identityIsEEEE10hipError_tT2_T3_mT4_P12ihipStream_tbEUlT_E_NS1_11comp_targetILNS1_3genE3ELNS1_11target_archE908ELNS1_3gpuE7ELNS1_3repE0EEENS1_30default_config_static_selectorELNS0_4arch9wavefront6targetE1EEEvT1_
; %bb.0:
	.section	.rodata,"a",@progbits
	.p2align	6, 0x0
	.amdhsa_kernel _ZN7rocprim17ROCPRIM_400000_NS6detail17trampoline_kernelINS0_14default_configENS1_25transform_config_selectorIsLb1EEEZNS1_14transform_implILb1ES3_S5_PsS7_NS0_8identityIsEEEE10hipError_tT2_T3_mT4_P12ihipStream_tbEUlT_E_NS1_11comp_targetILNS1_3genE3ELNS1_11target_archE908ELNS1_3gpuE7ELNS1_3repE0EEENS1_30default_config_static_selectorELNS0_4arch9wavefront6targetE1EEEvT1_
		.amdhsa_group_segment_fixed_size 0
		.amdhsa_private_segment_fixed_size 0
		.amdhsa_kernarg_size 40
		.amdhsa_user_sgpr_count 6
		.amdhsa_user_sgpr_private_segment_buffer 1
		.amdhsa_user_sgpr_dispatch_ptr 0
		.amdhsa_user_sgpr_queue_ptr 0
		.amdhsa_user_sgpr_kernarg_segment_ptr 1
		.amdhsa_user_sgpr_dispatch_id 0
		.amdhsa_user_sgpr_flat_scratch_init 0
		.amdhsa_user_sgpr_kernarg_preload_length 0
		.amdhsa_user_sgpr_kernarg_preload_offset 0
		.amdhsa_user_sgpr_private_segment_size 0
		.amdhsa_uses_dynamic_stack 0
		.amdhsa_system_sgpr_private_segment_wavefront_offset 0
		.amdhsa_system_sgpr_workgroup_id_x 1
		.amdhsa_system_sgpr_workgroup_id_y 0
		.amdhsa_system_sgpr_workgroup_id_z 0
		.amdhsa_system_sgpr_workgroup_info 0
		.amdhsa_system_vgpr_workitem_id 0
		.amdhsa_next_free_vgpr 1
		.amdhsa_next_free_sgpr 0
		.amdhsa_accum_offset 4
		.amdhsa_reserve_vcc 0
		.amdhsa_reserve_flat_scratch 0
		.amdhsa_float_round_mode_32 0
		.amdhsa_float_round_mode_16_64 0
		.amdhsa_float_denorm_mode_32 3
		.amdhsa_float_denorm_mode_16_64 3
		.amdhsa_dx10_clamp 1
		.amdhsa_ieee_mode 1
		.amdhsa_fp16_overflow 0
		.amdhsa_tg_split 0
		.amdhsa_exception_fp_ieee_invalid_op 0
		.amdhsa_exception_fp_denorm_src 0
		.amdhsa_exception_fp_ieee_div_zero 0
		.amdhsa_exception_fp_ieee_overflow 0
		.amdhsa_exception_fp_ieee_underflow 0
		.amdhsa_exception_fp_ieee_inexact 0
		.amdhsa_exception_int_div_zero 0
	.end_amdhsa_kernel
	.section	.text._ZN7rocprim17ROCPRIM_400000_NS6detail17trampoline_kernelINS0_14default_configENS1_25transform_config_selectorIsLb1EEEZNS1_14transform_implILb1ES3_S5_PsS7_NS0_8identityIsEEEE10hipError_tT2_T3_mT4_P12ihipStream_tbEUlT_E_NS1_11comp_targetILNS1_3genE3ELNS1_11target_archE908ELNS1_3gpuE7ELNS1_3repE0EEENS1_30default_config_static_selectorELNS0_4arch9wavefront6targetE1EEEvT1_,"axG",@progbits,_ZN7rocprim17ROCPRIM_400000_NS6detail17trampoline_kernelINS0_14default_configENS1_25transform_config_selectorIsLb1EEEZNS1_14transform_implILb1ES3_S5_PsS7_NS0_8identityIsEEEE10hipError_tT2_T3_mT4_P12ihipStream_tbEUlT_E_NS1_11comp_targetILNS1_3genE3ELNS1_11target_archE908ELNS1_3gpuE7ELNS1_3repE0EEENS1_30default_config_static_selectorELNS0_4arch9wavefront6targetE1EEEvT1_,comdat
.Lfunc_end384:
	.size	_ZN7rocprim17ROCPRIM_400000_NS6detail17trampoline_kernelINS0_14default_configENS1_25transform_config_selectorIsLb1EEEZNS1_14transform_implILb1ES3_S5_PsS7_NS0_8identityIsEEEE10hipError_tT2_T3_mT4_P12ihipStream_tbEUlT_E_NS1_11comp_targetILNS1_3genE3ELNS1_11target_archE908ELNS1_3gpuE7ELNS1_3repE0EEENS1_30default_config_static_selectorELNS0_4arch9wavefront6targetE1EEEvT1_, .Lfunc_end384-_ZN7rocprim17ROCPRIM_400000_NS6detail17trampoline_kernelINS0_14default_configENS1_25transform_config_selectorIsLb1EEEZNS1_14transform_implILb1ES3_S5_PsS7_NS0_8identityIsEEEE10hipError_tT2_T3_mT4_P12ihipStream_tbEUlT_E_NS1_11comp_targetILNS1_3genE3ELNS1_11target_archE908ELNS1_3gpuE7ELNS1_3repE0EEENS1_30default_config_static_selectorELNS0_4arch9wavefront6targetE1EEEvT1_
                                        ; -- End function
	.section	.AMDGPU.csdata,"",@progbits
; Kernel info:
; codeLenInByte = 0
; NumSgprs: 4
; NumVgprs: 0
; NumAgprs: 0
; TotalNumVgprs: 0
; ScratchSize: 0
; MemoryBound: 0
; FloatMode: 240
; IeeeMode: 1
; LDSByteSize: 0 bytes/workgroup (compile time only)
; SGPRBlocks: 0
; VGPRBlocks: 0
; NumSGPRsForWavesPerEU: 4
; NumVGPRsForWavesPerEU: 1
; AccumOffset: 4
; Occupancy: 8
; WaveLimiterHint : 0
; COMPUTE_PGM_RSRC2:SCRATCH_EN: 0
; COMPUTE_PGM_RSRC2:USER_SGPR: 6
; COMPUTE_PGM_RSRC2:TRAP_HANDLER: 0
; COMPUTE_PGM_RSRC2:TGID_X_EN: 1
; COMPUTE_PGM_RSRC2:TGID_Y_EN: 0
; COMPUTE_PGM_RSRC2:TGID_Z_EN: 0
; COMPUTE_PGM_RSRC2:TIDIG_COMP_CNT: 0
; COMPUTE_PGM_RSRC3_GFX90A:ACCUM_OFFSET: 0
; COMPUTE_PGM_RSRC3_GFX90A:TG_SPLIT: 0
	.section	.text._ZN7rocprim17ROCPRIM_400000_NS6detail17trampoline_kernelINS0_14default_configENS1_25transform_config_selectorIsLb1EEEZNS1_14transform_implILb1ES3_S5_PsS7_NS0_8identityIsEEEE10hipError_tT2_T3_mT4_P12ihipStream_tbEUlT_E_NS1_11comp_targetILNS1_3genE2ELNS1_11target_archE906ELNS1_3gpuE6ELNS1_3repE0EEENS1_30default_config_static_selectorELNS0_4arch9wavefront6targetE1EEEvT1_,"axG",@progbits,_ZN7rocprim17ROCPRIM_400000_NS6detail17trampoline_kernelINS0_14default_configENS1_25transform_config_selectorIsLb1EEEZNS1_14transform_implILb1ES3_S5_PsS7_NS0_8identityIsEEEE10hipError_tT2_T3_mT4_P12ihipStream_tbEUlT_E_NS1_11comp_targetILNS1_3genE2ELNS1_11target_archE906ELNS1_3gpuE6ELNS1_3repE0EEENS1_30default_config_static_selectorELNS0_4arch9wavefront6targetE1EEEvT1_,comdat
	.protected	_ZN7rocprim17ROCPRIM_400000_NS6detail17trampoline_kernelINS0_14default_configENS1_25transform_config_selectorIsLb1EEEZNS1_14transform_implILb1ES3_S5_PsS7_NS0_8identityIsEEEE10hipError_tT2_T3_mT4_P12ihipStream_tbEUlT_E_NS1_11comp_targetILNS1_3genE2ELNS1_11target_archE906ELNS1_3gpuE6ELNS1_3repE0EEENS1_30default_config_static_selectorELNS0_4arch9wavefront6targetE1EEEvT1_ ; -- Begin function _ZN7rocprim17ROCPRIM_400000_NS6detail17trampoline_kernelINS0_14default_configENS1_25transform_config_selectorIsLb1EEEZNS1_14transform_implILb1ES3_S5_PsS7_NS0_8identityIsEEEE10hipError_tT2_T3_mT4_P12ihipStream_tbEUlT_E_NS1_11comp_targetILNS1_3genE2ELNS1_11target_archE906ELNS1_3gpuE6ELNS1_3repE0EEENS1_30default_config_static_selectorELNS0_4arch9wavefront6targetE1EEEvT1_
	.globl	_ZN7rocprim17ROCPRIM_400000_NS6detail17trampoline_kernelINS0_14default_configENS1_25transform_config_selectorIsLb1EEEZNS1_14transform_implILb1ES3_S5_PsS7_NS0_8identityIsEEEE10hipError_tT2_T3_mT4_P12ihipStream_tbEUlT_E_NS1_11comp_targetILNS1_3genE2ELNS1_11target_archE906ELNS1_3gpuE6ELNS1_3repE0EEENS1_30default_config_static_selectorELNS0_4arch9wavefront6targetE1EEEvT1_
	.p2align	8
	.type	_ZN7rocprim17ROCPRIM_400000_NS6detail17trampoline_kernelINS0_14default_configENS1_25transform_config_selectorIsLb1EEEZNS1_14transform_implILb1ES3_S5_PsS7_NS0_8identityIsEEEE10hipError_tT2_T3_mT4_P12ihipStream_tbEUlT_E_NS1_11comp_targetILNS1_3genE2ELNS1_11target_archE906ELNS1_3gpuE6ELNS1_3repE0EEENS1_30default_config_static_selectorELNS0_4arch9wavefront6targetE1EEEvT1_,@function
_ZN7rocprim17ROCPRIM_400000_NS6detail17trampoline_kernelINS0_14default_configENS1_25transform_config_selectorIsLb1EEEZNS1_14transform_implILb1ES3_S5_PsS7_NS0_8identityIsEEEE10hipError_tT2_T3_mT4_P12ihipStream_tbEUlT_E_NS1_11comp_targetILNS1_3genE2ELNS1_11target_archE906ELNS1_3gpuE6ELNS1_3repE0EEENS1_30default_config_static_selectorELNS0_4arch9wavefront6targetE1EEEvT1_: ; @_ZN7rocprim17ROCPRIM_400000_NS6detail17trampoline_kernelINS0_14default_configENS1_25transform_config_selectorIsLb1EEEZNS1_14transform_implILb1ES3_S5_PsS7_NS0_8identityIsEEEE10hipError_tT2_T3_mT4_P12ihipStream_tbEUlT_E_NS1_11comp_targetILNS1_3genE2ELNS1_11target_archE906ELNS1_3gpuE6ELNS1_3repE0EEENS1_30default_config_static_selectorELNS0_4arch9wavefront6targetE1EEEvT1_
; %bb.0:
	.section	.rodata,"a",@progbits
	.p2align	6, 0x0
	.amdhsa_kernel _ZN7rocprim17ROCPRIM_400000_NS6detail17trampoline_kernelINS0_14default_configENS1_25transform_config_selectorIsLb1EEEZNS1_14transform_implILb1ES3_S5_PsS7_NS0_8identityIsEEEE10hipError_tT2_T3_mT4_P12ihipStream_tbEUlT_E_NS1_11comp_targetILNS1_3genE2ELNS1_11target_archE906ELNS1_3gpuE6ELNS1_3repE0EEENS1_30default_config_static_selectorELNS0_4arch9wavefront6targetE1EEEvT1_
		.amdhsa_group_segment_fixed_size 0
		.amdhsa_private_segment_fixed_size 0
		.amdhsa_kernarg_size 40
		.amdhsa_user_sgpr_count 6
		.amdhsa_user_sgpr_private_segment_buffer 1
		.amdhsa_user_sgpr_dispatch_ptr 0
		.amdhsa_user_sgpr_queue_ptr 0
		.amdhsa_user_sgpr_kernarg_segment_ptr 1
		.amdhsa_user_sgpr_dispatch_id 0
		.amdhsa_user_sgpr_flat_scratch_init 0
		.amdhsa_user_sgpr_kernarg_preload_length 0
		.amdhsa_user_sgpr_kernarg_preload_offset 0
		.amdhsa_user_sgpr_private_segment_size 0
		.amdhsa_uses_dynamic_stack 0
		.amdhsa_system_sgpr_private_segment_wavefront_offset 0
		.amdhsa_system_sgpr_workgroup_id_x 1
		.amdhsa_system_sgpr_workgroup_id_y 0
		.amdhsa_system_sgpr_workgroup_id_z 0
		.amdhsa_system_sgpr_workgroup_info 0
		.amdhsa_system_vgpr_workitem_id 0
		.amdhsa_next_free_vgpr 1
		.amdhsa_next_free_sgpr 0
		.amdhsa_accum_offset 4
		.amdhsa_reserve_vcc 0
		.amdhsa_reserve_flat_scratch 0
		.amdhsa_float_round_mode_32 0
		.amdhsa_float_round_mode_16_64 0
		.amdhsa_float_denorm_mode_32 3
		.amdhsa_float_denorm_mode_16_64 3
		.amdhsa_dx10_clamp 1
		.amdhsa_ieee_mode 1
		.amdhsa_fp16_overflow 0
		.amdhsa_tg_split 0
		.amdhsa_exception_fp_ieee_invalid_op 0
		.amdhsa_exception_fp_denorm_src 0
		.amdhsa_exception_fp_ieee_div_zero 0
		.amdhsa_exception_fp_ieee_overflow 0
		.amdhsa_exception_fp_ieee_underflow 0
		.amdhsa_exception_fp_ieee_inexact 0
		.amdhsa_exception_int_div_zero 0
	.end_amdhsa_kernel
	.section	.text._ZN7rocprim17ROCPRIM_400000_NS6detail17trampoline_kernelINS0_14default_configENS1_25transform_config_selectorIsLb1EEEZNS1_14transform_implILb1ES3_S5_PsS7_NS0_8identityIsEEEE10hipError_tT2_T3_mT4_P12ihipStream_tbEUlT_E_NS1_11comp_targetILNS1_3genE2ELNS1_11target_archE906ELNS1_3gpuE6ELNS1_3repE0EEENS1_30default_config_static_selectorELNS0_4arch9wavefront6targetE1EEEvT1_,"axG",@progbits,_ZN7rocprim17ROCPRIM_400000_NS6detail17trampoline_kernelINS0_14default_configENS1_25transform_config_selectorIsLb1EEEZNS1_14transform_implILb1ES3_S5_PsS7_NS0_8identityIsEEEE10hipError_tT2_T3_mT4_P12ihipStream_tbEUlT_E_NS1_11comp_targetILNS1_3genE2ELNS1_11target_archE906ELNS1_3gpuE6ELNS1_3repE0EEENS1_30default_config_static_selectorELNS0_4arch9wavefront6targetE1EEEvT1_,comdat
.Lfunc_end385:
	.size	_ZN7rocprim17ROCPRIM_400000_NS6detail17trampoline_kernelINS0_14default_configENS1_25transform_config_selectorIsLb1EEEZNS1_14transform_implILb1ES3_S5_PsS7_NS0_8identityIsEEEE10hipError_tT2_T3_mT4_P12ihipStream_tbEUlT_E_NS1_11comp_targetILNS1_3genE2ELNS1_11target_archE906ELNS1_3gpuE6ELNS1_3repE0EEENS1_30default_config_static_selectorELNS0_4arch9wavefront6targetE1EEEvT1_, .Lfunc_end385-_ZN7rocprim17ROCPRIM_400000_NS6detail17trampoline_kernelINS0_14default_configENS1_25transform_config_selectorIsLb1EEEZNS1_14transform_implILb1ES3_S5_PsS7_NS0_8identityIsEEEE10hipError_tT2_T3_mT4_P12ihipStream_tbEUlT_E_NS1_11comp_targetILNS1_3genE2ELNS1_11target_archE906ELNS1_3gpuE6ELNS1_3repE0EEENS1_30default_config_static_selectorELNS0_4arch9wavefront6targetE1EEEvT1_
                                        ; -- End function
	.section	.AMDGPU.csdata,"",@progbits
; Kernel info:
; codeLenInByte = 0
; NumSgprs: 4
; NumVgprs: 0
; NumAgprs: 0
; TotalNumVgprs: 0
; ScratchSize: 0
; MemoryBound: 0
; FloatMode: 240
; IeeeMode: 1
; LDSByteSize: 0 bytes/workgroup (compile time only)
; SGPRBlocks: 0
; VGPRBlocks: 0
; NumSGPRsForWavesPerEU: 4
; NumVGPRsForWavesPerEU: 1
; AccumOffset: 4
; Occupancy: 8
; WaveLimiterHint : 0
; COMPUTE_PGM_RSRC2:SCRATCH_EN: 0
; COMPUTE_PGM_RSRC2:USER_SGPR: 6
; COMPUTE_PGM_RSRC2:TRAP_HANDLER: 0
; COMPUTE_PGM_RSRC2:TGID_X_EN: 1
; COMPUTE_PGM_RSRC2:TGID_Y_EN: 0
; COMPUTE_PGM_RSRC2:TGID_Z_EN: 0
; COMPUTE_PGM_RSRC2:TIDIG_COMP_CNT: 0
; COMPUTE_PGM_RSRC3_GFX90A:ACCUM_OFFSET: 0
; COMPUTE_PGM_RSRC3_GFX90A:TG_SPLIT: 0
	.section	.text._ZN7rocprim17ROCPRIM_400000_NS6detail17trampoline_kernelINS0_14default_configENS1_25transform_config_selectorIsLb1EEEZNS1_14transform_implILb1ES3_S5_PsS7_NS0_8identityIsEEEE10hipError_tT2_T3_mT4_P12ihipStream_tbEUlT_E_NS1_11comp_targetILNS1_3genE9ELNS1_11target_archE1100ELNS1_3gpuE3ELNS1_3repE0EEENS1_30default_config_static_selectorELNS0_4arch9wavefront6targetE1EEEvT1_,"axG",@progbits,_ZN7rocprim17ROCPRIM_400000_NS6detail17trampoline_kernelINS0_14default_configENS1_25transform_config_selectorIsLb1EEEZNS1_14transform_implILb1ES3_S5_PsS7_NS0_8identityIsEEEE10hipError_tT2_T3_mT4_P12ihipStream_tbEUlT_E_NS1_11comp_targetILNS1_3genE9ELNS1_11target_archE1100ELNS1_3gpuE3ELNS1_3repE0EEENS1_30default_config_static_selectorELNS0_4arch9wavefront6targetE1EEEvT1_,comdat
	.protected	_ZN7rocprim17ROCPRIM_400000_NS6detail17trampoline_kernelINS0_14default_configENS1_25transform_config_selectorIsLb1EEEZNS1_14transform_implILb1ES3_S5_PsS7_NS0_8identityIsEEEE10hipError_tT2_T3_mT4_P12ihipStream_tbEUlT_E_NS1_11comp_targetILNS1_3genE9ELNS1_11target_archE1100ELNS1_3gpuE3ELNS1_3repE0EEENS1_30default_config_static_selectorELNS0_4arch9wavefront6targetE1EEEvT1_ ; -- Begin function _ZN7rocprim17ROCPRIM_400000_NS6detail17trampoline_kernelINS0_14default_configENS1_25transform_config_selectorIsLb1EEEZNS1_14transform_implILb1ES3_S5_PsS7_NS0_8identityIsEEEE10hipError_tT2_T3_mT4_P12ihipStream_tbEUlT_E_NS1_11comp_targetILNS1_3genE9ELNS1_11target_archE1100ELNS1_3gpuE3ELNS1_3repE0EEENS1_30default_config_static_selectorELNS0_4arch9wavefront6targetE1EEEvT1_
	.globl	_ZN7rocprim17ROCPRIM_400000_NS6detail17trampoline_kernelINS0_14default_configENS1_25transform_config_selectorIsLb1EEEZNS1_14transform_implILb1ES3_S5_PsS7_NS0_8identityIsEEEE10hipError_tT2_T3_mT4_P12ihipStream_tbEUlT_E_NS1_11comp_targetILNS1_3genE9ELNS1_11target_archE1100ELNS1_3gpuE3ELNS1_3repE0EEENS1_30default_config_static_selectorELNS0_4arch9wavefront6targetE1EEEvT1_
	.p2align	8
	.type	_ZN7rocprim17ROCPRIM_400000_NS6detail17trampoline_kernelINS0_14default_configENS1_25transform_config_selectorIsLb1EEEZNS1_14transform_implILb1ES3_S5_PsS7_NS0_8identityIsEEEE10hipError_tT2_T3_mT4_P12ihipStream_tbEUlT_E_NS1_11comp_targetILNS1_3genE9ELNS1_11target_archE1100ELNS1_3gpuE3ELNS1_3repE0EEENS1_30default_config_static_selectorELNS0_4arch9wavefront6targetE1EEEvT1_,@function
_ZN7rocprim17ROCPRIM_400000_NS6detail17trampoline_kernelINS0_14default_configENS1_25transform_config_selectorIsLb1EEEZNS1_14transform_implILb1ES3_S5_PsS7_NS0_8identityIsEEEE10hipError_tT2_T3_mT4_P12ihipStream_tbEUlT_E_NS1_11comp_targetILNS1_3genE9ELNS1_11target_archE1100ELNS1_3gpuE3ELNS1_3repE0EEENS1_30default_config_static_selectorELNS0_4arch9wavefront6targetE1EEEvT1_: ; @_ZN7rocprim17ROCPRIM_400000_NS6detail17trampoline_kernelINS0_14default_configENS1_25transform_config_selectorIsLb1EEEZNS1_14transform_implILb1ES3_S5_PsS7_NS0_8identityIsEEEE10hipError_tT2_T3_mT4_P12ihipStream_tbEUlT_E_NS1_11comp_targetILNS1_3genE9ELNS1_11target_archE1100ELNS1_3gpuE3ELNS1_3repE0EEENS1_30default_config_static_selectorELNS0_4arch9wavefront6targetE1EEEvT1_
; %bb.0:
	.section	.rodata,"a",@progbits
	.p2align	6, 0x0
	.amdhsa_kernel _ZN7rocprim17ROCPRIM_400000_NS6detail17trampoline_kernelINS0_14default_configENS1_25transform_config_selectorIsLb1EEEZNS1_14transform_implILb1ES3_S5_PsS7_NS0_8identityIsEEEE10hipError_tT2_T3_mT4_P12ihipStream_tbEUlT_E_NS1_11comp_targetILNS1_3genE9ELNS1_11target_archE1100ELNS1_3gpuE3ELNS1_3repE0EEENS1_30default_config_static_selectorELNS0_4arch9wavefront6targetE1EEEvT1_
		.amdhsa_group_segment_fixed_size 0
		.amdhsa_private_segment_fixed_size 0
		.amdhsa_kernarg_size 40
		.amdhsa_user_sgpr_count 6
		.amdhsa_user_sgpr_private_segment_buffer 1
		.amdhsa_user_sgpr_dispatch_ptr 0
		.amdhsa_user_sgpr_queue_ptr 0
		.amdhsa_user_sgpr_kernarg_segment_ptr 1
		.amdhsa_user_sgpr_dispatch_id 0
		.amdhsa_user_sgpr_flat_scratch_init 0
		.amdhsa_user_sgpr_kernarg_preload_length 0
		.amdhsa_user_sgpr_kernarg_preload_offset 0
		.amdhsa_user_sgpr_private_segment_size 0
		.amdhsa_uses_dynamic_stack 0
		.amdhsa_system_sgpr_private_segment_wavefront_offset 0
		.amdhsa_system_sgpr_workgroup_id_x 1
		.amdhsa_system_sgpr_workgroup_id_y 0
		.amdhsa_system_sgpr_workgroup_id_z 0
		.amdhsa_system_sgpr_workgroup_info 0
		.amdhsa_system_vgpr_workitem_id 0
		.amdhsa_next_free_vgpr 1
		.amdhsa_next_free_sgpr 0
		.amdhsa_accum_offset 4
		.amdhsa_reserve_vcc 0
		.amdhsa_reserve_flat_scratch 0
		.amdhsa_float_round_mode_32 0
		.amdhsa_float_round_mode_16_64 0
		.amdhsa_float_denorm_mode_32 3
		.amdhsa_float_denorm_mode_16_64 3
		.amdhsa_dx10_clamp 1
		.amdhsa_ieee_mode 1
		.amdhsa_fp16_overflow 0
		.amdhsa_tg_split 0
		.amdhsa_exception_fp_ieee_invalid_op 0
		.amdhsa_exception_fp_denorm_src 0
		.amdhsa_exception_fp_ieee_div_zero 0
		.amdhsa_exception_fp_ieee_overflow 0
		.amdhsa_exception_fp_ieee_underflow 0
		.amdhsa_exception_fp_ieee_inexact 0
		.amdhsa_exception_int_div_zero 0
	.end_amdhsa_kernel
	.section	.text._ZN7rocprim17ROCPRIM_400000_NS6detail17trampoline_kernelINS0_14default_configENS1_25transform_config_selectorIsLb1EEEZNS1_14transform_implILb1ES3_S5_PsS7_NS0_8identityIsEEEE10hipError_tT2_T3_mT4_P12ihipStream_tbEUlT_E_NS1_11comp_targetILNS1_3genE9ELNS1_11target_archE1100ELNS1_3gpuE3ELNS1_3repE0EEENS1_30default_config_static_selectorELNS0_4arch9wavefront6targetE1EEEvT1_,"axG",@progbits,_ZN7rocprim17ROCPRIM_400000_NS6detail17trampoline_kernelINS0_14default_configENS1_25transform_config_selectorIsLb1EEEZNS1_14transform_implILb1ES3_S5_PsS7_NS0_8identityIsEEEE10hipError_tT2_T3_mT4_P12ihipStream_tbEUlT_E_NS1_11comp_targetILNS1_3genE9ELNS1_11target_archE1100ELNS1_3gpuE3ELNS1_3repE0EEENS1_30default_config_static_selectorELNS0_4arch9wavefront6targetE1EEEvT1_,comdat
.Lfunc_end386:
	.size	_ZN7rocprim17ROCPRIM_400000_NS6detail17trampoline_kernelINS0_14default_configENS1_25transform_config_selectorIsLb1EEEZNS1_14transform_implILb1ES3_S5_PsS7_NS0_8identityIsEEEE10hipError_tT2_T3_mT4_P12ihipStream_tbEUlT_E_NS1_11comp_targetILNS1_3genE9ELNS1_11target_archE1100ELNS1_3gpuE3ELNS1_3repE0EEENS1_30default_config_static_selectorELNS0_4arch9wavefront6targetE1EEEvT1_, .Lfunc_end386-_ZN7rocprim17ROCPRIM_400000_NS6detail17trampoline_kernelINS0_14default_configENS1_25transform_config_selectorIsLb1EEEZNS1_14transform_implILb1ES3_S5_PsS7_NS0_8identityIsEEEE10hipError_tT2_T3_mT4_P12ihipStream_tbEUlT_E_NS1_11comp_targetILNS1_3genE9ELNS1_11target_archE1100ELNS1_3gpuE3ELNS1_3repE0EEENS1_30default_config_static_selectorELNS0_4arch9wavefront6targetE1EEEvT1_
                                        ; -- End function
	.section	.AMDGPU.csdata,"",@progbits
; Kernel info:
; codeLenInByte = 0
; NumSgprs: 4
; NumVgprs: 0
; NumAgprs: 0
; TotalNumVgprs: 0
; ScratchSize: 0
; MemoryBound: 0
; FloatMode: 240
; IeeeMode: 1
; LDSByteSize: 0 bytes/workgroup (compile time only)
; SGPRBlocks: 0
; VGPRBlocks: 0
; NumSGPRsForWavesPerEU: 4
; NumVGPRsForWavesPerEU: 1
; AccumOffset: 4
; Occupancy: 8
; WaveLimiterHint : 0
; COMPUTE_PGM_RSRC2:SCRATCH_EN: 0
; COMPUTE_PGM_RSRC2:USER_SGPR: 6
; COMPUTE_PGM_RSRC2:TRAP_HANDLER: 0
; COMPUTE_PGM_RSRC2:TGID_X_EN: 1
; COMPUTE_PGM_RSRC2:TGID_Y_EN: 0
; COMPUTE_PGM_RSRC2:TGID_Z_EN: 0
; COMPUTE_PGM_RSRC2:TIDIG_COMP_CNT: 0
; COMPUTE_PGM_RSRC3_GFX90A:ACCUM_OFFSET: 0
; COMPUTE_PGM_RSRC3_GFX90A:TG_SPLIT: 0
	.section	.text._ZN7rocprim17ROCPRIM_400000_NS6detail17trampoline_kernelINS0_14default_configENS1_25transform_config_selectorIsLb1EEEZNS1_14transform_implILb1ES3_S5_PsS7_NS0_8identityIsEEEE10hipError_tT2_T3_mT4_P12ihipStream_tbEUlT_E_NS1_11comp_targetILNS1_3genE8ELNS1_11target_archE1030ELNS1_3gpuE2ELNS1_3repE0EEENS1_30default_config_static_selectorELNS0_4arch9wavefront6targetE1EEEvT1_,"axG",@progbits,_ZN7rocprim17ROCPRIM_400000_NS6detail17trampoline_kernelINS0_14default_configENS1_25transform_config_selectorIsLb1EEEZNS1_14transform_implILb1ES3_S5_PsS7_NS0_8identityIsEEEE10hipError_tT2_T3_mT4_P12ihipStream_tbEUlT_E_NS1_11comp_targetILNS1_3genE8ELNS1_11target_archE1030ELNS1_3gpuE2ELNS1_3repE0EEENS1_30default_config_static_selectorELNS0_4arch9wavefront6targetE1EEEvT1_,comdat
	.protected	_ZN7rocprim17ROCPRIM_400000_NS6detail17trampoline_kernelINS0_14default_configENS1_25transform_config_selectorIsLb1EEEZNS1_14transform_implILb1ES3_S5_PsS7_NS0_8identityIsEEEE10hipError_tT2_T3_mT4_P12ihipStream_tbEUlT_E_NS1_11comp_targetILNS1_3genE8ELNS1_11target_archE1030ELNS1_3gpuE2ELNS1_3repE0EEENS1_30default_config_static_selectorELNS0_4arch9wavefront6targetE1EEEvT1_ ; -- Begin function _ZN7rocprim17ROCPRIM_400000_NS6detail17trampoline_kernelINS0_14default_configENS1_25transform_config_selectorIsLb1EEEZNS1_14transform_implILb1ES3_S5_PsS7_NS0_8identityIsEEEE10hipError_tT2_T3_mT4_P12ihipStream_tbEUlT_E_NS1_11comp_targetILNS1_3genE8ELNS1_11target_archE1030ELNS1_3gpuE2ELNS1_3repE0EEENS1_30default_config_static_selectorELNS0_4arch9wavefront6targetE1EEEvT1_
	.globl	_ZN7rocprim17ROCPRIM_400000_NS6detail17trampoline_kernelINS0_14default_configENS1_25transform_config_selectorIsLb1EEEZNS1_14transform_implILb1ES3_S5_PsS7_NS0_8identityIsEEEE10hipError_tT2_T3_mT4_P12ihipStream_tbEUlT_E_NS1_11comp_targetILNS1_3genE8ELNS1_11target_archE1030ELNS1_3gpuE2ELNS1_3repE0EEENS1_30default_config_static_selectorELNS0_4arch9wavefront6targetE1EEEvT1_
	.p2align	8
	.type	_ZN7rocprim17ROCPRIM_400000_NS6detail17trampoline_kernelINS0_14default_configENS1_25transform_config_selectorIsLb1EEEZNS1_14transform_implILb1ES3_S5_PsS7_NS0_8identityIsEEEE10hipError_tT2_T3_mT4_P12ihipStream_tbEUlT_E_NS1_11comp_targetILNS1_3genE8ELNS1_11target_archE1030ELNS1_3gpuE2ELNS1_3repE0EEENS1_30default_config_static_selectorELNS0_4arch9wavefront6targetE1EEEvT1_,@function
_ZN7rocprim17ROCPRIM_400000_NS6detail17trampoline_kernelINS0_14default_configENS1_25transform_config_selectorIsLb1EEEZNS1_14transform_implILb1ES3_S5_PsS7_NS0_8identityIsEEEE10hipError_tT2_T3_mT4_P12ihipStream_tbEUlT_E_NS1_11comp_targetILNS1_3genE8ELNS1_11target_archE1030ELNS1_3gpuE2ELNS1_3repE0EEENS1_30default_config_static_selectorELNS0_4arch9wavefront6targetE1EEEvT1_: ; @_ZN7rocprim17ROCPRIM_400000_NS6detail17trampoline_kernelINS0_14default_configENS1_25transform_config_selectorIsLb1EEEZNS1_14transform_implILb1ES3_S5_PsS7_NS0_8identityIsEEEE10hipError_tT2_T3_mT4_P12ihipStream_tbEUlT_E_NS1_11comp_targetILNS1_3genE8ELNS1_11target_archE1030ELNS1_3gpuE2ELNS1_3repE0EEENS1_30default_config_static_selectorELNS0_4arch9wavefront6targetE1EEEvT1_
; %bb.0:
	.section	.rodata,"a",@progbits
	.p2align	6, 0x0
	.amdhsa_kernel _ZN7rocprim17ROCPRIM_400000_NS6detail17trampoline_kernelINS0_14default_configENS1_25transform_config_selectorIsLb1EEEZNS1_14transform_implILb1ES3_S5_PsS7_NS0_8identityIsEEEE10hipError_tT2_T3_mT4_P12ihipStream_tbEUlT_E_NS1_11comp_targetILNS1_3genE8ELNS1_11target_archE1030ELNS1_3gpuE2ELNS1_3repE0EEENS1_30default_config_static_selectorELNS0_4arch9wavefront6targetE1EEEvT1_
		.amdhsa_group_segment_fixed_size 0
		.amdhsa_private_segment_fixed_size 0
		.amdhsa_kernarg_size 40
		.amdhsa_user_sgpr_count 6
		.amdhsa_user_sgpr_private_segment_buffer 1
		.amdhsa_user_sgpr_dispatch_ptr 0
		.amdhsa_user_sgpr_queue_ptr 0
		.amdhsa_user_sgpr_kernarg_segment_ptr 1
		.amdhsa_user_sgpr_dispatch_id 0
		.amdhsa_user_sgpr_flat_scratch_init 0
		.amdhsa_user_sgpr_kernarg_preload_length 0
		.amdhsa_user_sgpr_kernarg_preload_offset 0
		.amdhsa_user_sgpr_private_segment_size 0
		.amdhsa_uses_dynamic_stack 0
		.amdhsa_system_sgpr_private_segment_wavefront_offset 0
		.amdhsa_system_sgpr_workgroup_id_x 1
		.amdhsa_system_sgpr_workgroup_id_y 0
		.amdhsa_system_sgpr_workgroup_id_z 0
		.amdhsa_system_sgpr_workgroup_info 0
		.amdhsa_system_vgpr_workitem_id 0
		.amdhsa_next_free_vgpr 1
		.amdhsa_next_free_sgpr 0
		.amdhsa_accum_offset 4
		.amdhsa_reserve_vcc 0
		.amdhsa_reserve_flat_scratch 0
		.amdhsa_float_round_mode_32 0
		.amdhsa_float_round_mode_16_64 0
		.amdhsa_float_denorm_mode_32 3
		.amdhsa_float_denorm_mode_16_64 3
		.amdhsa_dx10_clamp 1
		.amdhsa_ieee_mode 1
		.amdhsa_fp16_overflow 0
		.amdhsa_tg_split 0
		.amdhsa_exception_fp_ieee_invalid_op 0
		.amdhsa_exception_fp_denorm_src 0
		.amdhsa_exception_fp_ieee_div_zero 0
		.amdhsa_exception_fp_ieee_overflow 0
		.amdhsa_exception_fp_ieee_underflow 0
		.amdhsa_exception_fp_ieee_inexact 0
		.amdhsa_exception_int_div_zero 0
	.end_amdhsa_kernel
	.section	.text._ZN7rocprim17ROCPRIM_400000_NS6detail17trampoline_kernelINS0_14default_configENS1_25transform_config_selectorIsLb1EEEZNS1_14transform_implILb1ES3_S5_PsS7_NS0_8identityIsEEEE10hipError_tT2_T3_mT4_P12ihipStream_tbEUlT_E_NS1_11comp_targetILNS1_3genE8ELNS1_11target_archE1030ELNS1_3gpuE2ELNS1_3repE0EEENS1_30default_config_static_selectorELNS0_4arch9wavefront6targetE1EEEvT1_,"axG",@progbits,_ZN7rocprim17ROCPRIM_400000_NS6detail17trampoline_kernelINS0_14default_configENS1_25transform_config_selectorIsLb1EEEZNS1_14transform_implILb1ES3_S5_PsS7_NS0_8identityIsEEEE10hipError_tT2_T3_mT4_P12ihipStream_tbEUlT_E_NS1_11comp_targetILNS1_3genE8ELNS1_11target_archE1030ELNS1_3gpuE2ELNS1_3repE0EEENS1_30default_config_static_selectorELNS0_4arch9wavefront6targetE1EEEvT1_,comdat
.Lfunc_end387:
	.size	_ZN7rocprim17ROCPRIM_400000_NS6detail17trampoline_kernelINS0_14default_configENS1_25transform_config_selectorIsLb1EEEZNS1_14transform_implILb1ES3_S5_PsS7_NS0_8identityIsEEEE10hipError_tT2_T3_mT4_P12ihipStream_tbEUlT_E_NS1_11comp_targetILNS1_3genE8ELNS1_11target_archE1030ELNS1_3gpuE2ELNS1_3repE0EEENS1_30default_config_static_selectorELNS0_4arch9wavefront6targetE1EEEvT1_, .Lfunc_end387-_ZN7rocprim17ROCPRIM_400000_NS6detail17trampoline_kernelINS0_14default_configENS1_25transform_config_selectorIsLb1EEEZNS1_14transform_implILb1ES3_S5_PsS7_NS0_8identityIsEEEE10hipError_tT2_T3_mT4_P12ihipStream_tbEUlT_E_NS1_11comp_targetILNS1_3genE8ELNS1_11target_archE1030ELNS1_3gpuE2ELNS1_3repE0EEENS1_30default_config_static_selectorELNS0_4arch9wavefront6targetE1EEEvT1_
                                        ; -- End function
	.section	.AMDGPU.csdata,"",@progbits
; Kernel info:
; codeLenInByte = 0
; NumSgprs: 4
; NumVgprs: 0
; NumAgprs: 0
; TotalNumVgprs: 0
; ScratchSize: 0
; MemoryBound: 0
; FloatMode: 240
; IeeeMode: 1
; LDSByteSize: 0 bytes/workgroup (compile time only)
; SGPRBlocks: 0
; VGPRBlocks: 0
; NumSGPRsForWavesPerEU: 4
; NumVGPRsForWavesPerEU: 1
; AccumOffset: 4
; Occupancy: 8
; WaveLimiterHint : 0
; COMPUTE_PGM_RSRC2:SCRATCH_EN: 0
; COMPUTE_PGM_RSRC2:USER_SGPR: 6
; COMPUTE_PGM_RSRC2:TRAP_HANDLER: 0
; COMPUTE_PGM_RSRC2:TGID_X_EN: 1
; COMPUTE_PGM_RSRC2:TGID_Y_EN: 0
; COMPUTE_PGM_RSRC2:TGID_Z_EN: 0
; COMPUTE_PGM_RSRC2:TIDIG_COMP_CNT: 0
; COMPUTE_PGM_RSRC3_GFX90A:ACCUM_OFFSET: 0
; COMPUTE_PGM_RSRC3_GFX90A:TG_SPLIT: 0
	.section	.text._ZN7rocprim17ROCPRIM_400000_NS6detail17trampoline_kernelINS0_14default_configENS1_38merge_sort_block_merge_config_selectorIsNS0_10empty_typeEEEZZNS1_27merge_sort_block_merge_implIS3_PsPS5_jNS1_19radix_merge_compareILb0ELb1EsNS0_19identity_decomposerEEEEE10hipError_tT0_T1_T2_jT3_P12ihipStream_tbPNSt15iterator_traitsISE_E10value_typeEPNSK_ISF_E10value_typeEPSG_NS1_7vsmem_tEENKUlT_SE_SF_SG_E_clIS8_S8_S9_S9_EESD_ST_SE_SF_SG_EUlST_E_NS1_11comp_targetILNS1_3genE0ELNS1_11target_archE4294967295ELNS1_3gpuE0ELNS1_3repE0EEENS1_48merge_mergepath_partition_config_static_selectorELNS0_4arch9wavefront6targetE1EEEvSF_,"axG",@progbits,_ZN7rocprim17ROCPRIM_400000_NS6detail17trampoline_kernelINS0_14default_configENS1_38merge_sort_block_merge_config_selectorIsNS0_10empty_typeEEEZZNS1_27merge_sort_block_merge_implIS3_PsPS5_jNS1_19radix_merge_compareILb0ELb1EsNS0_19identity_decomposerEEEEE10hipError_tT0_T1_T2_jT3_P12ihipStream_tbPNSt15iterator_traitsISE_E10value_typeEPNSK_ISF_E10value_typeEPSG_NS1_7vsmem_tEENKUlT_SE_SF_SG_E_clIS8_S8_S9_S9_EESD_ST_SE_SF_SG_EUlST_E_NS1_11comp_targetILNS1_3genE0ELNS1_11target_archE4294967295ELNS1_3gpuE0ELNS1_3repE0EEENS1_48merge_mergepath_partition_config_static_selectorELNS0_4arch9wavefront6targetE1EEEvSF_,comdat
	.protected	_ZN7rocprim17ROCPRIM_400000_NS6detail17trampoline_kernelINS0_14default_configENS1_38merge_sort_block_merge_config_selectorIsNS0_10empty_typeEEEZZNS1_27merge_sort_block_merge_implIS3_PsPS5_jNS1_19radix_merge_compareILb0ELb1EsNS0_19identity_decomposerEEEEE10hipError_tT0_T1_T2_jT3_P12ihipStream_tbPNSt15iterator_traitsISE_E10value_typeEPNSK_ISF_E10value_typeEPSG_NS1_7vsmem_tEENKUlT_SE_SF_SG_E_clIS8_S8_S9_S9_EESD_ST_SE_SF_SG_EUlST_E_NS1_11comp_targetILNS1_3genE0ELNS1_11target_archE4294967295ELNS1_3gpuE0ELNS1_3repE0EEENS1_48merge_mergepath_partition_config_static_selectorELNS0_4arch9wavefront6targetE1EEEvSF_ ; -- Begin function _ZN7rocprim17ROCPRIM_400000_NS6detail17trampoline_kernelINS0_14default_configENS1_38merge_sort_block_merge_config_selectorIsNS0_10empty_typeEEEZZNS1_27merge_sort_block_merge_implIS3_PsPS5_jNS1_19radix_merge_compareILb0ELb1EsNS0_19identity_decomposerEEEEE10hipError_tT0_T1_T2_jT3_P12ihipStream_tbPNSt15iterator_traitsISE_E10value_typeEPNSK_ISF_E10value_typeEPSG_NS1_7vsmem_tEENKUlT_SE_SF_SG_E_clIS8_S8_S9_S9_EESD_ST_SE_SF_SG_EUlST_E_NS1_11comp_targetILNS1_3genE0ELNS1_11target_archE4294967295ELNS1_3gpuE0ELNS1_3repE0EEENS1_48merge_mergepath_partition_config_static_selectorELNS0_4arch9wavefront6targetE1EEEvSF_
	.globl	_ZN7rocprim17ROCPRIM_400000_NS6detail17trampoline_kernelINS0_14default_configENS1_38merge_sort_block_merge_config_selectorIsNS0_10empty_typeEEEZZNS1_27merge_sort_block_merge_implIS3_PsPS5_jNS1_19radix_merge_compareILb0ELb1EsNS0_19identity_decomposerEEEEE10hipError_tT0_T1_T2_jT3_P12ihipStream_tbPNSt15iterator_traitsISE_E10value_typeEPNSK_ISF_E10value_typeEPSG_NS1_7vsmem_tEENKUlT_SE_SF_SG_E_clIS8_S8_S9_S9_EESD_ST_SE_SF_SG_EUlST_E_NS1_11comp_targetILNS1_3genE0ELNS1_11target_archE4294967295ELNS1_3gpuE0ELNS1_3repE0EEENS1_48merge_mergepath_partition_config_static_selectorELNS0_4arch9wavefront6targetE1EEEvSF_
	.p2align	8
	.type	_ZN7rocprim17ROCPRIM_400000_NS6detail17trampoline_kernelINS0_14default_configENS1_38merge_sort_block_merge_config_selectorIsNS0_10empty_typeEEEZZNS1_27merge_sort_block_merge_implIS3_PsPS5_jNS1_19radix_merge_compareILb0ELb1EsNS0_19identity_decomposerEEEEE10hipError_tT0_T1_T2_jT3_P12ihipStream_tbPNSt15iterator_traitsISE_E10value_typeEPNSK_ISF_E10value_typeEPSG_NS1_7vsmem_tEENKUlT_SE_SF_SG_E_clIS8_S8_S9_S9_EESD_ST_SE_SF_SG_EUlST_E_NS1_11comp_targetILNS1_3genE0ELNS1_11target_archE4294967295ELNS1_3gpuE0ELNS1_3repE0EEENS1_48merge_mergepath_partition_config_static_selectorELNS0_4arch9wavefront6targetE1EEEvSF_,@function
_ZN7rocprim17ROCPRIM_400000_NS6detail17trampoline_kernelINS0_14default_configENS1_38merge_sort_block_merge_config_selectorIsNS0_10empty_typeEEEZZNS1_27merge_sort_block_merge_implIS3_PsPS5_jNS1_19radix_merge_compareILb0ELb1EsNS0_19identity_decomposerEEEEE10hipError_tT0_T1_T2_jT3_P12ihipStream_tbPNSt15iterator_traitsISE_E10value_typeEPNSK_ISF_E10value_typeEPSG_NS1_7vsmem_tEENKUlT_SE_SF_SG_E_clIS8_S8_S9_S9_EESD_ST_SE_SF_SG_EUlST_E_NS1_11comp_targetILNS1_3genE0ELNS1_11target_archE4294967295ELNS1_3gpuE0ELNS1_3repE0EEENS1_48merge_mergepath_partition_config_static_selectorELNS0_4arch9wavefront6targetE1EEEvSF_: ; @_ZN7rocprim17ROCPRIM_400000_NS6detail17trampoline_kernelINS0_14default_configENS1_38merge_sort_block_merge_config_selectorIsNS0_10empty_typeEEEZZNS1_27merge_sort_block_merge_implIS3_PsPS5_jNS1_19radix_merge_compareILb0ELb1EsNS0_19identity_decomposerEEEEE10hipError_tT0_T1_T2_jT3_P12ihipStream_tbPNSt15iterator_traitsISE_E10value_typeEPNSK_ISF_E10value_typeEPSG_NS1_7vsmem_tEENKUlT_SE_SF_SG_E_clIS8_S8_S9_S9_EESD_ST_SE_SF_SG_EUlST_E_NS1_11comp_targetILNS1_3genE0ELNS1_11target_archE4294967295ELNS1_3gpuE0ELNS1_3repE0EEENS1_48merge_mergepath_partition_config_static_selectorELNS0_4arch9wavefront6targetE1EEEvSF_
; %bb.0:
	.section	.rodata,"a",@progbits
	.p2align	6, 0x0
	.amdhsa_kernel _ZN7rocprim17ROCPRIM_400000_NS6detail17trampoline_kernelINS0_14default_configENS1_38merge_sort_block_merge_config_selectorIsNS0_10empty_typeEEEZZNS1_27merge_sort_block_merge_implIS3_PsPS5_jNS1_19radix_merge_compareILb0ELb1EsNS0_19identity_decomposerEEEEE10hipError_tT0_T1_T2_jT3_P12ihipStream_tbPNSt15iterator_traitsISE_E10value_typeEPNSK_ISF_E10value_typeEPSG_NS1_7vsmem_tEENKUlT_SE_SF_SG_E_clIS8_S8_S9_S9_EESD_ST_SE_SF_SG_EUlST_E_NS1_11comp_targetILNS1_3genE0ELNS1_11target_archE4294967295ELNS1_3gpuE0ELNS1_3repE0EEENS1_48merge_mergepath_partition_config_static_selectorELNS0_4arch9wavefront6targetE1EEEvSF_
		.amdhsa_group_segment_fixed_size 0
		.amdhsa_private_segment_fixed_size 0
		.amdhsa_kernarg_size 40
		.amdhsa_user_sgpr_count 6
		.amdhsa_user_sgpr_private_segment_buffer 1
		.amdhsa_user_sgpr_dispatch_ptr 0
		.amdhsa_user_sgpr_queue_ptr 0
		.amdhsa_user_sgpr_kernarg_segment_ptr 1
		.amdhsa_user_sgpr_dispatch_id 0
		.amdhsa_user_sgpr_flat_scratch_init 0
		.amdhsa_user_sgpr_kernarg_preload_length 0
		.amdhsa_user_sgpr_kernarg_preload_offset 0
		.amdhsa_user_sgpr_private_segment_size 0
		.amdhsa_uses_dynamic_stack 0
		.amdhsa_system_sgpr_private_segment_wavefront_offset 0
		.amdhsa_system_sgpr_workgroup_id_x 1
		.amdhsa_system_sgpr_workgroup_id_y 0
		.amdhsa_system_sgpr_workgroup_id_z 0
		.amdhsa_system_sgpr_workgroup_info 0
		.amdhsa_system_vgpr_workitem_id 0
		.amdhsa_next_free_vgpr 1
		.amdhsa_next_free_sgpr 0
		.amdhsa_accum_offset 4
		.amdhsa_reserve_vcc 0
		.amdhsa_reserve_flat_scratch 0
		.amdhsa_float_round_mode_32 0
		.amdhsa_float_round_mode_16_64 0
		.amdhsa_float_denorm_mode_32 3
		.amdhsa_float_denorm_mode_16_64 3
		.amdhsa_dx10_clamp 1
		.amdhsa_ieee_mode 1
		.amdhsa_fp16_overflow 0
		.amdhsa_tg_split 0
		.amdhsa_exception_fp_ieee_invalid_op 0
		.amdhsa_exception_fp_denorm_src 0
		.amdhsa_exception_fp_ieee_div_zero 0
		.amdhsa_exception_fp_ieee_overflow 0
		.amdhsa_exception_fp_ieee_underflow 0
		.amdhsa_exception_fp_ieee_inexact 0
		.amdhsa_exception_int_div_zero 0
	.end_amdhsa_kernel
	.section	.text._ZN7rocprim17ROCPRIM_400000_NS6detail17trampoline_kernelINS0_14default_configENS1_38merge_sort_block_merge_config_selectorIsNS0_10empty_typeEEEZZNS1_27merge_sort_block_merge_implIS3_PsPS5_jNS1_19radix_merge_compareILb0ELb1EsNS0_19identity_decomposerEEEEE10hipError_tT0_T1_T2_jT3_P12ihipStream_tbPNSt15iterator_traitsISE_E10value_typeEPNSK_ISF_E10value_typeEPSG_NS1_7vsmem_tEENKUlT_SE_SF_SG_E_clIS8_S8_S9_S9_EESD_ST_SE_SF_SG_EUlST_E_NS1_11comp_targetILNS1_3genE0ELNS1_11target_archE4294967295ELNS1_3gpuE0ELNS1_3repE0EEENS1_48merge_mergepath_partition_config_static_selectorELNS0_4arch9wavefront6targetE1EEEvSF_,"axG",@progbits,_ZN7rocprim17ROCPRIM_400000_NS6detail17trampoline_kernelINS0_14default_configENS1_38merge_sort_block_merge_config_selectorIsNS0_10empty_typeEEEZZNS1_27merge_sort_block_merge_implIS3_PsPS5_jNS1_19radix_merge_compareILb0ELb1EsNS0_19identity_decomposerEEEEE10hipError_tT0_T1_T2_jT3_P12ihipStream_tbPNSt15iterator_traitsISE_E10value_typeEPNSK_ISF_E10value_typeEPSG_NS1_7vsmem_tEENKUlT_SE_SF_SG_E_clIS8_S8_S9_S9_EESD_ST_SE_SF_SG_EUlST_E_NS1_11comp_targetILNS1_3genE0ELNS1_11target_archE4294967295ELNS1_3gpuE0ELNS1_3repE0EEENS1_48merge_mergepath_partition_config_static_selectorELNS0_4arch9wavefront6targetE1EEEvSF_,comdat
.Lfunc_end388:
	.size	_ZN7rocprim17ROCPRIM_400000_NS6detail17trampoline_kernelINS0_14default_configENS1_38merge_sort_block_merge_config_selectorIsNS0_10empty_typeEEEZZNS1_27merge_sort_block_merge_implIS3_PsPS5_jNS1_19radix_merge_compareILb0ELb1EsNS0_19identity_decomposerEEEEE10hipError_tT0_T1_T2_jT3_P12ihipStream_tbPNSt15iterator_traitsISE_E10value_typeEPNSK_ISF_E10value_typeEPSG_NS1_7vsmem_tEENKUlT_SE_SF_SG_E_clIS8_S8_S9_S9_EESD_ST_SE_SF_SG_EUlST_E_NS1_11comp_targetILNS1_3genE0ELNS1_11target_archE4294967295ELNS1_3gpuE0ELNS1_3repE0EEENS1_48merge_mergepath_partition_config_static_selectorELNS0_4arch9wavefront6targetE1EEEvSF_, .Lfunc_end388-_ZN7rocprim17ROCPRIM_400000_NS6detail17trampoline_kernelINS0_14default_configENS1_38merge_sort_block_merge_config_selectorIsNS0_10empty_typeEEEZZNS1_27merge_sort_block_merge_implIS3_PsPS5_jNS1_19radix_merge_compareILb0ELb1EsNS0_19identity_decomposerEEEEE10hipError_tT0_T1_T2_jT3_P12ihipStream_tbPNSt15iterator_traitsISE_E10value_typeEPNSK_ISF_E10value_typeEPSG_NS1_7vsmem_tEENKUlT_SE_SF_SG_E_clIS8_S8_S9_S9_EESD_ST_SE_SF_SG_EUlST_E_NS1_11comp_targetILNS1_3genE0ELNS1_11target_archE4294967295ELNS1_3gpuE0ELNS1_3repE0EEENS1_48merge_mergepath_partition_config_static_selectorELNS0_4arch9wavefront6targetE1EEEvSF_
                                        ; -- End function
	.section	.AMDGPU.csdata,"",@progbits
; Kernel info:
; codeLenInByte = 0
; NumSgprs: 4
; NumVgprs: 0
; NumAgprs: 0
; TotalNumVgprs: 0
; ScratchSize: 0
; MemoryBound: 0
; FloatMode: 240
; IeeeMode: 1
; LDSByteSize: 0 bytes/workgroup (compile time only)
; SGPRBlocks: 0
; VGPRBlocks: 0
; NumSGPRsForWavesPerEU: 4
; NumVGPRsForWavesPerEU: 1
; AccumOffset: 4
; Occupancy: 8
; WaveLimiterHint : 0
; COMPUTE_PGM_RSRC2:SCRATCH_EN: 0
; COMPUTE_PGM_RSRC2:USER_SGPR: 6
; COMPUTE_PGM_RSRC2:TRAP_HANDLER: 0
; COMPUTE_PGM_RSRC2:TGID_X_EN: 1
; COMPUTE_PGM_RSRC2:TGID_Y_EN: 0
; COMPUTE_PGM_RSRC2:TGID_Z_EN: 0
; COMPUTE_PGM_RSRC2:TIDIG_COMP_CNT: 0
; COMPUTE_PGM_RSRC3_GFX90A:ACCUM_OFFSET: 0
; COMPUTE_PGM_RSRC3_GFX90A:TG_SPLIT: 0
	.section	.text._ZN7rocprim17ROCPRIM_400000_NS6detail17trampoline_kernelINS0_14default_configENS1_38merge_sort_block_merge_config_selectorIsNS0_10empty_typeEEEZZNS1_27merge_sort_block_merge_implIS3_PsPS5_jNS1_19radix_merge_compareILb0ELb1EsNS0_19identity_decomposerEEEEE10hipError_tT0_T1_T2_jT3_P12ihipStream_tbPNSt15iterator_traitsISE_E10value_typeEPNSK_ISF_E10value_typeEPSG_NS1_7vsmem_tEENKUlT_SE_SF_SG_E_clIS8_S8_S9_S9_EESD_ST_SE_SF_SG_EUlST_E_NS1_11comp_targetILNS1_3genE10ELNS1_11target_archE1201ELNS1_3gpuE5ELNS1_3repE0EEENS1_48merge_mergepath_partition_config_static_selectorELNS0_4arch9wavefront6targetE1EEEvSF_,"axG",@progbits,_ZN7rocprim17ROCPRIM_400000_NS6detail17trampoline_kernelINS0_14default_configENS1_38merge_sort_block_merge_config_selectorIsNS0_10empty_typeEEEZZNS1_27merge_sort_block_merge_implIS3_PsPS5_jNS1_19radix_merge_compareILb0ELb1EsNS0_19identity_decomposerEEEEE10hipError_tT0_T1_T2_jT3_P12ihipStream_tbPNSt15iterator_traitsISE_E10value_typeEPNSK_ISF_E10value_typeEPSG_NS1_7vsmem_tEENKUlT_SE_SF_SG_E_clIS8_S8_S9_S9_EESD_ST_SE_SF_SG_EUlST_E_NS1_11comp_targetILNS1_3genE10ELNS1_11target_archE1201ELNS1_3gpuE5ELNS1_3repE0EEENS1_48merge_mergepath_partition_config_static_selectorELNS0_4arch9wavefront6targetE1EEEvSF_,comdat
	.protected	_ZN7rocprim17ROCPRIM_400000_NS6detail17trampoline_kernelINS0_14default_configENS1_38merge_sort_block_merge_config_selectorIsNS0_10empty_typeEEEZZNS1_27merge_sort_block_merge_implIS3_PsPS5_jNS1_19radix_merge_compareILb0ELb1EsNS0_19identity_decomposerEEEEE10hipError_tT0_T1_T2_jT3_P12ihipStream_tbPNSt15iterator_traitsISE_E10value_typeEPNSK_ISF_E10value_typeEPSG_NS1_7vsmem_tEENKUlT_SE_SF_SG_E_clIS8_S8_S9_S9_EESD_ST_SE_SF_SG_EUlST_E_NS1_11comp_targetILNS1_3genE10ELNS1_11target_archE1201ELNS1_3gpuE5ELNS1_3repE0EEENS1_48merge_mergepath_partition_config_static_selectorELNS0_4arch9wavefront6targetE1EEEvSF_ ; -- Begin function _ZN7rocprim17ROCPRIM_400000_NS6detail17trampoline_kernelINS0_14default_configENS1_38merge_sort_block_merge_config_selectorIsNS0_10empty_typeEEEZZNS1_27merge_sort_block_merge_implIS3_PsPS5_jNS1_19radix_merge_compareILb0ELb1EsNS0_19identity_decomposerEEEEE10hipError_tT0_T1_T2_jT3_P12ihipStream_tbPNSt15iterator_traitsISE_E10value_typeEPNSK_ISF_E10value_typeEPSG_NS1_7vsmem_tEENKUlT_SE_SF_SG_E_clIS8_S8_S9_S9_EESD_ST_SE_SF_SG_EUlST_E_NS1_11comp_targetILNS1_3genE10ELNS1_11target_archE1201ELNS1_3gpuE5ELNS1_3repE0EEENS1_48merge_mergepath_partition_config_static_selectorELNS0_4arch9wavefront6targetE1EEEvSF_
	.globl	_ZN7rocprim17ROCPRIM_400000_NS6detail17trampoline_kernelINS0_14default_configENS1_38merge_sort_block_merge_config_selectorIsNS0_10empty_typeEEEZZNS1_27merge_sort_block_merge_implIS3_PsPS5_jNS1_19radix_merge_compareILb0ELb1EsNS0_19identity_decomposerEEEEE10hipError_tT0_T1_T2_jT3_P12ihipStream_tbPNSt15iterator_traitsISE_E10value_typeEPNSK_ISF_E10value_typeEPSG_NS1_7vsmem_tEENKUlT_SE_SF_SG_E_clIS8_S8_S9_S9_EESD_ST_SE_SF_SG_EUlST_E_NS1_11comp_targetILNS1_3genE10ELNS1_11target_archE1201ELNS1_3gpuE5ELNS1_3repE0EEENS1_48merge_mergepath_partition_config_static_selectorELNS0_4arch9wavefront6targetE1EEEvSF_
	.p2align	8
	.type	_ZN7rocprim17ROCPRIM_400000_NS6detail17trampoline_kernelINS0_14default_configENS1_38merge_sort_block_merge_config_selectorIsNS0_10empty_typeEEEZZNS1_27merge_sort_block_merge_implIS3_PsPS5_jNS1_19radix_merge_compareILb0ELb1EsNS0_19identity_decomposerEEEEE10hipError_tT0_T1_T2_jT3_P12ihipStream_tbPNSt15iterator_traitsISE_E10value_typeEPNSK_ISF_E10value_typeEPSG_NS1_7vsmem_tEENKUlT_SE_SF_SG_E_clIS8_S8_S9_S9_EESD_ST_SE_SF_SG_EUlST_E_NS1_11comp_targetILNS1_3genE10ELNS1_11target_archE1201ELNS1_3gpuE5ELNS1_3repE0EEENS1_48merge_mergepath_partition_config_static_selectorELNS0_4arch9wavefront6targetE1EEEvSF_,@function
_ZN7rocprim17ROCPRIM_400000_NS6detail17trampoline_kernelINS0_14default_configENS1_38merge_sort_block_merge_config_selectorIsNS0_10empty_typeEEEZZNS1_27merge_sort_block_merge_implIS3_PsPS5_jNS1_19radix_merge_compareILb0ELb1EsNS0_19identity_decomposerEEEEE10hipError_tT0_T1_T2_jT3_P12ihipStream_tbPNSt15iterator_traitsISE_E10value_typeEPNSK_ISF_E10value_typeEPSG_NS1_7vsmem_tEENKUlT_SE_SF_SG_E_clIS8_S8_S9_S9_EESD_ST_SE_SF_SG_EUlST_E_NS1_11comp_targetILNS1_3genE10ELNS1_11target_archE1201ELNS1_3gpuE5ELNS1_3repE0EEENS1_48merge_mergepath_partition_config_static_selectorELNS0_4arch9wavefront6targetE1EEEvSF_: ; @_ZN7rocprim17ROCPRIM_400000_NS6detail17trampoline_kernelINS0_14default_configENS1_38merge_sort_block_merge_config_selectorIsNS0_10empty_typeEEEZZNS1_27merge_sort_block_merge_implIS3_PsPS5_jNS1_19radix_merge_compareILb0ELb1EsNS0_19identity_decomposerEEEEE10hipError_tT0_T1_T2_jT3_P12ihipStream_tbPNSt15iterator_traitsISE_E10value_typeEPNSK_ISF_E10value_typeEPSG_NS1_7vsmem_tEENKUlT_SE_SF_SG_E_clIS8_S8_S9_S9_EESD_ST_SE_SF_SG_EUlST_E_NS1_11comp_targetILNS1_3genE10ELNS1_11target_archE1201ELNS1_3gpuE5ELNS1_3repE0EEENS1_48merge_mergepath_partition_config_static_selectorELNS0_4arch9wavefront6targetE1EEEvSF_
; %bb.0:
	.section	.rodata,"a",@progbits
	.p2align	6, 0x0
	.amdhsa_kernel _ZN7rocprim17ROCPRIM_400000_NS6detail17trampoline_kernelINS0_14default_configENS1_38merge_sort_block_merge_config_selectorIsNS0_10empty_typeEEEZZNS1_27merge_sort_block_merge_implIS3_PsPS5_jNS1_19radix_merge_compareILb0ELb1EsNS0_19identity_decomposerEEEEE10hipError_tT0_T1_T2_jT3_P12ihipStream_tbPNSt15iterator_traitsISE_E10value_typeEPNSK_ISF_E10value_typeEPSG_NS1_7vsmem_tEENKUlT_SE_SF_SG_E_clIS8_S8_S9_S9_EESD_ST_SE_SF_SG_EUlST_E_NS1_11comp_targetILNS1_3genE10ELNS1_11target_archE1201ELNS1_3gpuE5ELNS1_3repE0EEENS1_48merge_mergepath_partition_config_static_selectorELNS0_4arch9wavefront6targetE1EEEvSF_
		.amdhsa_group_segment_fixed_size 0
		.amdhsa_private_segment_fixed_size 0
		.amdhsa_kernarg_size 40
		.amdhsa_user_sgpr_count 6
		.amdhsa_user_sgpr_private_segment_buffer 1
		.amdhsa_user_sgpr_dispatch_ptr 0
		.amdhsa_user_sgpr_queue_ptr 0
		.amdhsa_user_sgpr_kernarg_segment_ptr 1
		.amdhsa_user_sgpr_dispatch_id 0
		.amdhsa_user_sgpr_flat_scratch_init 0
		.amdhsa_user_sgpr_kernarg_preload_length 0
		.amdhsa_user_sgpr_kernarg_preload_offset 0
		.amdhsa_user_sgpr_private_segment_size 0
		.amdhsa_uses_dynamic_stack 0
		.amdhsa_system_sgpr_private_segment_wavefront_offset 0
		.amdhsa_system_sgpr_workgroup_id_x 1
		.amdhsa_system_sgpr_workgroup_id_y 0
		.amdhsa_system_sgpr_workgroup_id_z 0
		.amdhsa_system_sgpr_workgroup_info 0
		.amdhsa_system_vgpr_workitem_id 0
		.amdhsa_next_free_vgpr 1
		.amdhsa_next_free_sgpr 0
		.amdhsa_accum_offset 4
		.amdhsa_reserve_vcc 0
		.amdhsa_reserve_flat_scratch 0
		.amdhsa_float_round_mode_32 0
		.amdhsa_float_round_mode_16_64 0
		.amdhsa_float_denorm_mode_32 3
		.amdhsa_float_denorm_mode_16_64 3
		.amdhsa_dx10_clamp 1
		.amdhsa_ieee_mode 1
		.amdhsa_fp16_overflow 0
		.amdhsa_tg_split 0
		.amdhsa_exception_fp_ieee_invalid_op 0
		.amdhsa_exception_fp_denorm_src 0
		.amdhsa_exception_fp_ieee_div_zero 0
		.amdhsa_exception_fp_ieee_overflow 0
		.amdhsa_exception_fp_ieee_underflow 0
		.amdhsa_exception_fp_ieee_inexact 0
		.amdhsa_exception_int_div_zero 0
	.end_amdhsa_kernel
	.section	.text._ZN7rocprim17ROCPRIM_400000_NS6detail17trampoline_kernelINS0_14default_configENS1_38merge_sort_block_merge_config_selectorIsNS0_10empty_typeEEEZZNS1_27merge_sort_block_merge_implIS3_PsPS5_jNS1_19radix_merge_compareILb0ELb1EsNS0_19identity_decomposerEEEEE10hipError_tT0_T1_T2_jT3_P12ihipStream_tbPNSt15iterator_traitsISE_E10value_typeEPNSK_ISF_E10value_typeEPSG_NS1_7vsmem_tEENKUlT_SE_SF_SG_E_clIS8_S8_S9_S9_EESD_ST_SE_SF_SG_EUlST_E_NS1_11comp_targetILNS1_3genE10ELNS1_11target_archE1201ELNS1_3gpuE5ELNS1_3repE0EEENS1_48merge_mergepath_partition_config_static_selectorELNS0_4arch9wavefront6targetE1EEEvSF_,"axG",@progbits,_ZN7rocprim17ROCPRIM_400000_NS6detail17trampoline_kernelINS0_14default_configENS1_38merge_sort_block_merge_config_selectorIsNS0_10empty_typeEEEZZNS1_27merge_sort_block_merge_implIS3_PsPS5_jNS1_19radix_merge_compareILb0ELb1EsNS0_19identity_decomposerEEEEE10hipError_tT0_T1_T2_jT3_P12ihipStream_tbPNSt15iterator_traitsISE_E10value_typeEPNSK_ISF_E10value_typeEPSG_NS1_7vsmem_tEENKUlT_SE_SF_SG_E_clIS8_S8_S9_S9_EESD_ST_SE_SF_SG_EUlST_E_NS1_11comp_targetILNS1_3genE10ELNS1_11target_archE1201ELNS1_3gpuE5ELNS1_3repE0EEENS1_48merge_mergepath_partition_config_static_selectorELNS0_4arch9wavefront6targetE1EEEvSF_,comdat
.Lfunc_end389:
	.size	_ZN7rocprim17ROCPRIM_400000_NS6detail17trampoline_kernelINS0_14default_configENS1_38merge_sort_block_merge_config_selectorIsNS0_10empty_typeEEEZZNS1_27merge_sort_block_merge_implIS3_PsPS5_jNS1_19radix_merge_compareILb0ELb1EsNS0_19identity_decomposerEEEEE10hipError_tT0_T1_T2_jT3_P12ihipStream_tbPNSt15iterator_traitsISE_E10value_typeEPNSK_ISF_E10value_typeEPSG_NS1_7vsmem_tEENKUlT_SE_SF_SG_E_clIS8_S8_S9_S9_EESD_ST_SE_SF_SG_EUlST_E_NS1_11comp_targetILNS1_3genE10ELNS1_11target_archE1201ELNS1_3gpuE5ELNS1_3repE0EEENS1_48merge_mergepath_partition_config_static_selectorELNS0_4arch9wavefront6targetE1EEEvSF_, .Lfunc_end389-_ZN7rocprim17ROCPRIM_400000_NS6detail17trampoline_kernelINS0_14default_configENS1_38merge_sort_block_merge_config_selectorIsNS0_10empty_typeEEEZZNS1_27merge_sort_block_merge_implIS3_PsPS5_jNS1_19radix_merge_compareILb0ELb1EsNS0_19identity_decomposerEEEEE10hipError_tT0_T1_T2_jT3_P12ihipStream_tbPNSt15iterator_traitsISE_E10value_typeEPNSK_ISF_E10value_typeEPSG_NS1_7vsmem_tEENKUlT_SE_SF_SG_E_clIS8_S8_S9_S9_EESD_ST_SE_SF_SG_EUlST_E_NS1_11comp_targetILNS1_3genE10ELNS1_11target_archE1201ELNS1_3gpuE5ELNS1_3repE0EEENS1_48merge_mergepath_partition_config_static_selectorELNS0_4arch9wavefront6targetE1EEEvSF_
                                        ; -- End function
	.section	.AMDGPU.csdata,"",@progbits
; Kernel info:
; codeLenInByte = 0
; NumSgprs: 4
; NumVgprs: 0
; NumAgprs: 0
; TotalNumVgprs: 0
; ScratchSize: 0
; MemoryBound: 0
; FloatMode: 240
; IeeeMode: 1
; LDSByteSize: 0 bytes/workgroup (compile time only)
; SGPRBlocks: 0
; VGPRBlocks: 0
; NumSGPRsForWavesPerEU: 4
; NumVGPRsForWavesPerEU: 1
; AccumOffset: 4
; Occupancy: 8
; WaveLimiterHint : 0
; COMPUTE_PGM_RSRC2:SCRATCH_EN: 0
; COMPUTE_PGM_RSRC2:USER_SGPR: 6
; COMPUTE_PGM_RSRC2:TRAP_HANDLER: 0
; COMPUTE_PGM_RSRC2:TGID_X_EN: 1
; COMPUTE_PGM_RSRC2:TGID_Y_EN: 0
; COMPUTE_PGM_RSRC2:TGID_Z_EN: 0
; COMPUTE_PGM_RSRC2:TIDIG_COMP_CNT: 0
; COMPUTE_PGM_RSRC3_GFX90A:ACCUM_OFFSET: 0
; COMPUTE_PGM_RSRC3_GFX90A:TG_SPLIT: 0
	.section	.text._ZN7rocprim17ROCPRIM_400000_NS6detail17trampoline_kernelINS0_14default_configENS1_38merge_sort_block_merge_config_selectorIsNS0_10empty_typeEEEZZNS1_27merge_sort_block_merge_implIS3_PsPS5_jNS1_19radix_merge_compareILb0ELb1EsNS0_19identity_decomposerEEEEE10hipError_tT0_T1_T2_jT3_P12ihipStream_tbPNSt15iterator_traitsISE_E10value_typeEPNSK_ISF_E10value_typeEPSG_NS1_7vsmem_tEENKUlT_SE_SF_SG_E_clIS8_S8_S9_S9_EESD_ST_SE_SF_SG_EUlST_E_NS1_11comp_targetILNS1_3genE5ELNS1_11target_archE942ELNS1_3gpuE9ELNS1_3repE0EEENS1_48merge_mergepath_partition_config_static_selectorELNS0_4arch9wavefront6targetE1EEEvSF_,"axG",@progbits,_ZN7rocprim17ROCPRIM_400000_NS6detail17trampoline_kernelINS0_14default_configENS1_38merge_sort_block_merge_config_selectorIsNS0_10empty_typeEEEZZNS1_27merge_sort_block_merge_implIS3_PsPS5_jNS1_19radix_merge_compareILb0ELb1EsNS0_19identity_decomposerEEEEE10hipError_tT0_T1_T2_jT3_P12ihipStream_tbPNSt15iterator_traitsISE_E10value_typeEPNSK_ISF_E10value_typeEPSG_NS1_7vsmem_tEENKUlT_SE_SF_SG_E_clIS8_S8_S9_S9_EESD_ST_SE_SF_SG_EUlST_E_NS1_11comp_targetILNS1_3genE5ELNS1_11target_archE942ELNS1_3gpuE9ELNS1_3repE0EEENS1_48merge_mergepath_partition_config_static_selectorELNS0_4arch9wavefront6targetE1EEEvSF_,comdat
	.protected	_ZN7rocprim17ROCPRIM_400000_NS6detail17trampoline_kernelINS0_14default_configENS1_38merge_sort_block_merge_config_selectorIsNS0_10empty_typeEEEZZNS1_27merge_sort_block_merge_implIS3_PsPS5_jNS1_19radix_merge_compareILb0ELb1EsNS0_19identity_decomposerEEEEE10hipError_tT0_T1_T2_jT3_P12ihipStream_tbPNSt15iterator_traitsISE_E10value_typeEPNSK_ISF_E10value_typeEPSG_NS1_7vsmem_tEENKUlT_SE_SF_SG_E_clIS8_S8_S9_S9_EESD_ST_SE_SF_SG_EUlST_E_NS1_11comp_targetILNS1_3genE5ELNS1_11target_archE942ELNS1_3gpuE9ELNS1_3repE0EEENS1_48merge_mergepath_partition_config_static_selectorELNS0_4arch9wavefront6targetE1EEEvSF_ ; -- Begin function _ZN7rocprim17ROCPRIM_400000_NS6detail17trampoline_kernelINS0_14default_configENS1_38merge_sort_block_merge_config_selectorIsNS0_10empty_typeEEEZZNS1_27merge_sort_block_merge_implIS3_PsPS5_jNS1_19radix_merge_compareILb0ELb1EsNS0_19identity_decomposerEEEEE10hipError_tT0_T1_T2_jT3_P12ihipStream_tbPNSt15iterator_traitsISE_E10value_typeEPNSK_ISF_E10value_typeEPSG_NS1_7vsmem_tEENKUlT_SE_SF_SG_E_clIS8_S8_S9_S9_EESD_ST_SE_SF_SG_EUlST_E_NS1_11comp_targetILNS1_3genE5ELNS1_11target_archE942ELNS1_3gpuE9ELNS1_3repE0EEENS1_48merge_mergepath_partition_config_static_selectorELNS0_4arch9wavefront6targetE1EEEvSF_
	.globl	_ZN7rocprim17ROCPRIM_400000_NS6detail17trampoline_kernelINS0_14default_configENS1_38merge_sort_block_merge_config_selectorIsNS0_10empty_typeEEEZZNS1_27merge_sort_block_merge_implIS3_PsPS5_jNS1_19radix_merge_compareILb0ELb1EsNS0_19identity_decomposerEEEEE10hipError_tT0_T1_T2_jT3_P12ihipStream_tbPNSt15iterator_traitsISE_E10value_typeEPNSK_ISF_E10value_typeEPSG_NS1_7vsmem_tEENKUlT_SE_SF_SG_E_clIS8_S8_S9_S9_EESD_ST_SE_SF_SG_EUlST_E_NS1_11comp_targetILNS1_3genE5ELNS1_11target_archE942ELNS1_3gpuE9ELNS1_3repE0EEENS1_48merge_mergepath_partition_config_static_selectorELNS0_4arch9wavefront6targetE1EEEvSF_
	.p2align	8
	.type	_ZN7rocprim17ROCPRIM_400000_NS6detail17trampoline_kernelINS0_14default_configENS1_38merge_sort_block_merge_config_selectorIsNS0_10empty_typeEEEZZNS1_27merge_sort_block_merge_implIS3_PsPS5_jNS1_19radix_merge_compareILb0ELb1EsNS0_19identity_decomposerEEEEE10hipError_tT0_T1_T2_jT3_P12ihipStream_tbPNSt15iterator_traitsISE_E10value_typeEPNSK_ISF_E10value_typeEPSG_NS1_7vsmem_tEENKUlT_SE_SF_SG_E_clIS8_S8_S9_S9_EESD_ST_SE_SF_SG_EUlST_E_NS1_11comp_targetILNS1_3genE5ELNS1_11target_archE942ELNS1_3gpuE9ELNS1_3repE0EEENS1_48merge_mergepath_partition_config_static_selectorELNS0_4arch9wavefront6targetE1EEEvSF_,@function
_ZN7rocprim17ROCPRIM_400000_NS6detail17trampoline_kernelINS0_14default_configENS1_38merge_sort_block_merge_config_selectorIsNS0_10empty_typeEEEZZNS1_27merge_sort_block_merge_implIS3_PsPS5_jNS1_19radix_merge_compareILb0ELb1EsNS0_19identity_decomposerEEEEE10hipError_tT0_T1_T2_jT3_P12ihipStream_tbPNSt15iterator_traitsISE_E10value_typeEPNSK_ISF_E10value_typeEPSG_NS1_7vsmem_tEENKUlT_SE_SF_SG_E_clIS8_S8_S9_S9_EESD_ST_SE_SF_SG_EUlST_E_NS1_11comp_targetILNS1_3genE5ELNS1_11target_archE942ELNS1_3gpuE9ELNS1_3repE0EEENS1_48merge_mergepath_partition_config_static_selectorELNS0_4arch9wavefront6targetE1EEEvSF_: ; @_ZN7rocprim17ROCPRIM_400000_NS6detail17trampoline_kernelINS0_14default_configENS1_38merge_sort_block_merge_config_selectorIsNS0_10empty_typeEEEZZNS1_27merge_sort_block_merge_implIS3_PsPS5_jNS1_19radix_merge_compareILb0ELb1EsNS0_19identity_decomposerEEEEE10hipError_tT0_T1_T2_jT3_P12ihipStream_tbPNSt15iterator_traitsISE_E10value_typeEPNSK_ISF_E10value_typeEPSG_NS1_7vsmem_tEENKUlT_SE_SF_SG_E_clIS8_S8_S9_S9_EESD_ST_SE_SF_SG_EUlST_E_NS1_11comp_targetILNS1_3genE5ELNS1_11target_archE942ELNS1_3gpuE9ELNS1_3repE0EEENS1_48merge_mergepath_partition_config_static_selectorELNS0_4arch9wavefront6targetE1EEEvSF_
; %bb.0:
	.section	.rodata,"a",@progbits
	.p2align	6, 0x0
	.amdhsa_kernel _ZN7rocprim17ROCPRIM_400000_NS6detail17trampoline_kernelINS0_14default_configENS1_38merge_sort_block_merge_config_selectorIsNS0_10empty_typeEEEZZNS1_27merge_sort_block_merge_implIS3_PsPS5_jNS1_19radix_merge_compareILb0ELb1EsNS0_19identity_decomposerEEEEE10hipError_tT0_T1_T2_jT3_P12ihipStream_tbPNSt15iterator_traitsISE_E10value_typeEPNSK_ISF_E10value_typeEPSG_NS1_7vsmem_tEENKUlT_SE_SF_SG_E_clIS8_S8_S9_S9_EESD_ST_SE_SF_SG_EUlST_E_NS1_11comp_targetILNS1_3genE5ELNS1_11target_archE942ELNS1_3gpuE9ELNS1_3repE0EEENS1_48merge_mergepath_partition_config_static_selectorELNS0_4arch9wavefront6targetE1EEEvSF_
		.amdhsa_group_segment_fixed_size 0
		.amdhsa_private_segment_fixed_size 0
		.amdhsa_kernarg_size 40
		.amdhsa_user_sgpr_count 6
		.amdhsa_user_sgpr_private_segment_buffer 1
		.amdhsa_user_sgpr_dispatch_ptr 0
		.amdhsa_user_sgpr_queue_ptr 0
		.amdhsa_user_sgpr_kernarg_segment_ptr 1
		.amdhsa_user_sgpr_dispatch_id 0
		.amdhsa_user_sgpr_flat_scratch_init 0
		.amdhsa_user_sgpr_kernarg_preload_length 0
		.amdhsa_user_sgpr_kernarg_preload_offset 0
		.amdhsa_user_sgpr_private_segment_size 0
		.amdhsa_uses_dynamic_stack 0
		.amdhsa_system_sgpr_private_segment_wavefront_offset 0
		.amdhsa_system_sgpr_workgroup_id_x 1
		.amdhsa_system_sgpr_workgroup_id_y 0
		.amdhsa_system_sgpr_workgroup_id_z 0
		.amdhsa_system_sgpr_workgroup_info 0
		.amdhsa_system_vgpr_workitem_id 0
		.amdhsa_next_free_vgpr 1
		.amdhsa_next_free_sgpr 0
		.amdhsa_accum_offset 4
		.amdhsa_reserve_vcc 0
		.amdhsa_reserve_flat_scratch 0
		.amdhsa_float_round_mode_32 0
		.amdhsa_float_round_mode_16_64 0
		.amdhsa_float_denorm_mode_32 3
		.amdhsa_float_denorm_mode_16_64 3
		.amdhsa_dx10_clamp 1
		.amdhsa_ieee_mode 1
		.amdhsa_fp16_overflow 0
		.amdhsa_tg_split 0
		.amdhsa_exception_fp_ieee_invalid_op 0
		.amdhsa_exception_fp_denorm_src 0
		.amdhsa_exception_fp_ieee_div_zero 0
		.amdhsa_exception_fp_ieee_overflow 0
		.amdhsa_exception_fp_ieee_underflow 0
		.amdhsa_exception_fp_ieee_inexact 0
		.amdhsa_exception_int_div_zero 0
	.end_amdhsa_kernel
	.section	.text._ZN7rocprim17ROCPRIM_400000_NS6detail17trampoline_kernelINS0_14default_configENS1_38merge_sort_block_merge_config_selectorIsNS0_10empty_typeEEEZZNS1_27merge_sort_block_merge_implIS3_PsPS5_jNS1_19radix_merge_compareILb0ELb1EsNS0_19identity_decomposerEEEEE10hipError_tT0_T1_T2_jT3_P12ihipStream_tbPNSt15iterator_traitsISE_E10value_typeEPNSK_ISF_E10value_typeEPSG_NS1_7vsmem_tEENKUlT_SE_SF_SG_E_clIS8_S8_S9_S9_EESD_ST_SE_SF_SG_EUlST_E_NS1_11comp_targetILNS1_3genE5ELNS1_11target_archE942ELNS1_3gpuE9ELNS1_3repE0EEENS1_48merge_mergepath_partition_config_static_selectorELNS0_4arch9wavefront6targetE1EEEvSF_,"axG",@progbits,_ZN7rocprim17ROCPRIM_400000_NS6detail17trampoline_kernelINS0_14default_configENS1_38merge_sort_block_merge_config_selectorIsNS0_10empty_typeEEEZZNS1_27merge_sort_block_merge_implIS3_PsPS5_jNS1_19radix_merge_compareILb0ELb1EsNS0_19identity_decomposerEEEEE10hipError_tT0_T1_T2_jT3_P12ihipStream_tbPNSt15iterator_traitsISE_E10value_typeEPNSK_ISF_E10value_typeEPSG_NS1_7vsmem_tEENKUlT_SE_SF_SG_E_clIS8_S8_S9_S9_EESD_ST_SE_SF_SG_EUlST_E_NS1_11comp_targetILNS1_3genE5ELNS1_11target_archE942ELNS1_3gpuE9ELNS1_3repE0EEENS1_48merge_mergepath_partition_config_static_selectorELNS0_4arch9wavefront6targetE1EEEvSF_,comdat
.Lfunc_end390:
	.size	_ZN7rocprim17ROCPRIM_400000_NS6detail17trampoline_kernelINS0_14default_configENS1_38merge_sort_block_merge_config_selectorIsNS0_10empty_typeEEEZZNS1_27merge_sort_block_merge_implIS3_PsPS5_jNS1_19radix_merge_compareILb0ELb1EsNS0_19identity_decomposerEEEEE10hipError_tT0_T1_T2_jT3_P12ihipStream_tbPNSt15iterator_traitsISE_E10value_typeEPNSK_ISF_E10value_typeEPSG_NS1_7vsmem_tEENKUlT_SE_SF_SG_E_clIS8_S8_S9_S9_EESD_ST_SE_SF_SG_EUlST_E_NS1_11comp_targetILNS1_3genE5ELNS1_11target_archE942ELNS1_3gpuE9ELNS1_3repE0EEENS1_48merge_mergepath_partition_config_static_selectorELNS0_4arch9wavefront6targetE1EEEvSF_, .Lfunc_end390-_ZN7rocprim17ROCPRIM_400000_NS6detail17trampoline_kernelINS0_14default_configENS1_38merge_sort_block_merge_config_selectorIsNS0_10empty_typeEEEZZNS1_27merge_sort_block_merge_implIS3_PsPS5_jNS1_19radix_merge_compareILb0ELb1EsNS0_19identity_decomposerEEEEE10hipError_tT0_T1_T2_jT3_P12ihipStream_tbPNSt15iterator_traitsISE_E10value_typeEPNSK_ISF_E10value_typeEPSG_NS1_7vsmem_tEENKUlT_SE_SF_SG_E_clIS8_S8_S9_S9_EESD_ST_SE_SF_SG_EUlST_E_NS1_11comp_targetILNS1_3genE5ELNS1_11target_archE942ELNS1_3gpuE9ELNS1_3repE0EEENS1_48merge_mergepath_partition_config_static_selectorELNS0_4arch9wavefront6targetE1EEEvSF_
                                        ; -- End function
	.section	.AMDGPU.csdata,"",@progbits
; Kernel info:
; codeLenInByte = 0
; NumSgprs: 4
; NumVgprs: 0
; NumAgprs: 0
; TotalNumVgprs: 0
; ScratchSize: 0
; MemoryBound: 0
; FloatMode: 240
; IeeeMode: 1
; LDSByteSize: 0 bytes/workgroup (compile time only)
; SGPRBlocks: 0
; VGPRBlocks: 0
; NumSGPRsForWavesPerEU: 4
; NumVGPRsForWavesPerEU: 1
; AccumOffset: 4
; Occupancy: 8
; WaveLimiterHint : 0
; COMPUTE_PGM_RSRC2:SCRATCH_EN: 0
; COMPUTE_PGM_RSRC2:USER_SGPR: 6
; COMPUTE_PGM_RSRC2:TRAP_HANDLER: 0
; COMPUTE_PGM_RSRC2:TGID_X_EN: 1
; COMPUTE_PGM_RSRC2:TGID_Y_EN: 0
; COMPUTE_PGM_RSRC2:TGID_Z_EN: 0
; COMPUTE_PGM_RSRC2:TIDIG_COMP_CNT: 0
; COMPUTE_PGM_RSRC3_GFX90A:ACCUM_OFFSET: 0
; COMPUTE_PGM_RSRC3_GFX90A:TG_SPLIT: 0
	.section	.text._ZN7rocprim17ROCPRIM_400000_NS6detail17trampoline_kernelINS0_14default_configENS1_38merge_sort_block_merge_config_selectorIsNS0_10empty_typeEEEZZNS1_27merge_sort_block_merge_implIS3_PsPS5_jNS1_19radix_merge_compareILb0ELb1EsNS0_19identity_decomposerEEEEE10hipError_tT0_T1_T2_jT3_P12ihipStream_tbPNSt15iterator_traitsISE_E10value_typeEPNSK_ISF_E10value_typeEPSG_NS1_7vsmem_tEENKUlT_SE_SF_SG_E_clIS8_S8_S9_S9_EESD_ST_SE_SF_SG_EUlST_E_NS1_11comp_targetILNS1_3genE4ELNS1_11target_archE910ELNS1_3gpuE8ELNS1_3repE0EEENS1_48merge_mergepath_partition_config_static_selectorELNS0_4arch9wavefront6targetE1EEEvSF_,"axG",@progbits,_ZN7rocprim17ROCPRIM_400000_NS6detail17trampoline_kernelINS0_14default_configENS1_38merge_sort_block_merge_config_selectorIsNS0_10empty_typeEEEZZNS1_27merge_sort_block_merge_implIS3_PsPS5_jNS1_19radix_merge_compareILb0ELb1EsNS0_19identity_decomposerEEEEE10hipError_tT0_T1_T2_jT3_P12ihipStream_tbPNSt15iterator_traitsISE_E10value_typeEPNSK_ISF_E10value_typeEPSG_NS1_7vsmem_tEENKUlT_SE_SF_SG_E_clIS8_S8_S9_S9_EESD_ST_SE_SF_SG_EUlST_E_NS1_11comp_targetILNS1_3genE4ELNS1_11target_archE910ELNS1_3gpuE8ELNS1_3repE0EEENS1_48merge_mergepath_partition_config_static_selectorELNS0_4arch9wavefront6targetE1EEEvSF_,comdat
	.protected	_ZN7rocprim17ROCPRIM_400000_NS6detail17trampoline_kernelINS0_14default_configENS1_38merge_sort_block_merge_config_selectorIsNS0_10empty_typeEEEZZNS1_27merge_sort_block_merge_implIS3_PsPS5_jNS1_19radix_merge_compareILb0ELb1EsNS0_19identity_decomposerEEEEE10hipError_tT0_T1_T2_jT3_P12ihipStream_tbPNSt15iterator_traitsISE_E10value_typeEPNSK_ISF_E10value_typeEPSG_NS1_7vsmem_tEENKUlT_SE_SF_SG_E_clIS8_S8_S9_S9_EESD_ST_SE_SF_SG_EUlST_E_NS1_11comp_targetILNS1_3genE4ELNS1_11target_archE910ELNS1_3gpuE8ELNS1_3repE0EEENS1_48merge_mergepath_partition_config_static_selectorELNS0_4arch9wavefront6targetE1EEEvSF_ ; -- Begin function _ZN7rocprim17ROCPRIM_400000_NS6detail17trampoline_kernelINS0_14default_configENS1_38merge_sort_block_merge_config_selectorIsNS0_10empty_typeEEEZZNS1_27merge_sort_block_merge_implIS3_PsPS5_jNS1_19radix_merge_compareILb0ELb1EsNS0_19identity_decomposerEEEEE10hipError_tT0_T1_T2_jT3_P12ihipStream_tbPNSt15iterator_traitsISE_E10value_typeEPNSK_ISF_E10value_typeEPSG_NS1_7vsmem_tEENKUlT_SE_SF_SG_E_clIS8_S8_S9_S9_EESD_ST_SE_SF_SG_EUlST_E_NS1_11comp_targetILNS1_3genE4ELNS1_11target_archE910ELNS1_3gpuE8ELNS1_3repE0EEENS1_48merge_mergepath_partition_config_static_selectorELNS0_4arch9wavefront6targetE1EEEvSF_
	.globl	_ZN7rocprim17ROCPRIM_400000_NS6detail17trampoline_kernelINS0_14default_configENS1_38merge_sort_block_merge_config_selectorIsNS0_10empty_typeEEEZZNS1_27merge_sort_block_merge_implIS3_PsPS5_jNS1_19radix_merge_compareILb0ELb1EsNS0_19identity_decomposerEEEEE10hipError_tT0_T1_T2_jT3_P12ihipStream_tbPNSt15iterator_traitsISE_E10value_typeEPNSK_ISF_E10value_typeEPSG_NS1_7vsmem_tEENKUlT_SE_SF_SG_E_clIS8_S8_S9_S9_EESD_ST_SE_SF_SG_EUlST_E_NS1_11comp_targetILNS1_3genE4ELNS1_11target_archE910ELNS1_3gpuE8ELNS1_3repE0EEENS1_48merge_mergepath_partition_config_static_selectorELNS0_4arch9wavefront6targetE1EEEvSF_
	.p2align	8
	.type	_ZN7rocprim17ROCPRIM_400000_NS6detail17trampoline_kernelINS0_14default_configENS1_38merge_sort_block_merge_config_selectorIsNS0_10empty_typeEEEZZNS1_27merge_sort_block_merge_implIS3_PsPS5_jNS1_19radix_merge_compareILb0ELb1EsNS0_19identity_decomposerEEEEE10hipError_tT0_T1_T2_jT3_P12ihipStream_tbPNSt15iterator_traitsISE_E10value_typeEPNSK_ISF_E10value_typeEPSG_NS1_7vsmem_tEENKUlT_SE_SF_SG_E_clIS8_S8_S9_S9_EESD_ST_SE_SF_SG_EUlST_E_NS1_11comp_targetILNS1_3genE4ELNS1_11target_archE910ELNS1_3gpuE8ELNS1_3repE0EEENS1_48merge_mergepath_partition_config_static_selectorELNS0_4arch9wavefront6targetE1EEEvSF_,@function
_ZN7rocprim17ROCPRIM_400000_NS6detail17trampoline_kernelINS0_14default_configENS1_38merge_sort_block_merge_config_selectorIsNS0_10empty_typeEEEZZNS1_27merge_sort_block_merge_implIS3_PsPS5_jNS1_19radix_merge_compareILb0ELb1EsNS0_19identity_decomposerEEEEE10hipError_tT0_T1_T2_jT3_P12ihipStream_tbPNSt15iterator_traitsISE_E10value_typeEPNSK_ISF_E10value_typeEPSG_NS1_7vsmem_tEENKUlT_SE_SF_SG_E_clIS8_S8_S9_S9_EESD_ST_SE_SF_SG_EUlST_E_NS1_11comp_targetILNS1_3genE4ELNS1_11target_archE910ELNS1_3gpuE8ELNS1_3repE0EEENS1_48merge_mergepath_partition_config_static_selectorELNS0_4arch9wavefront6targetE1EEEvSF_: ; @_ZN7rocprim17ROCPRIM_400000_NS6detail17trampoline_kernelINS0_14default_configENS1_38merge_sort_block_merge_config_selectorIsNS0_10empty_typeEEEZZNS1_27merge_sort_block_merge_implIS3_PsPS5_jNS1_19radix_merge_compareILb0ELb1EsNS0_19identity_decomposerEEEEE10hipError_tT0_T1_T2_jT3_P12ihipStream_tbPNSt15iterator_traitsISE_E10value_typeEPNSK_ISF_E10value_typeEPSG_NS1_7vsmem_tEENKUlT_SE_SF_SG_E_clIS8_S8_S9_S9_EESD_ST_SE_SF_SG_EUlST_E_NS1_11comp_targetILNS1_3genE4ELNS1_11target_archE910ELNS1_3gpuE8ELNS1_3repE0EEENS1_48merge_mergepath_partition_config_static_selectorELNS0_4arch9wavefront6targetE1EEEvSF_
; %bb.0:
	s_load_dword s0, s[4:5], 0x0
	v_lshl_or_b32 v0, s6, 7, v0
	s_waitcnt lgkmcnt(0)
	v_cmp_gt_u32_e32 vcc, s0, v0
	s_and_saveexec_b64 s[0:1], vcc
	s_cbranch_execz .LBB391_6
; %bb.1:
	s_load_dwordx2 s[2:3], s[4:5], 0x4
	s_load_dwordx2 s[0:1], s[4:5], 0x20
	s_waitcnt lgkmcnt(0)
	s_lshr_b32 s6, s2, 9
	s_and_b32 s6, s6, 0x7ffffe
	s_add_i32 s7, s6, -1
	s_sub_i32 s6, 0, s6
	v_and_b32_e32 v1, s6, v0
	v_lshlrev_b32_e32 v1, 10, v1
	v_min_u32_e32 v2, s3, v1
	v_add_u32_e32 v1, s2, v1
	v_min_u32_e32 v4, s3, v1
	v_add_u32_e32 v1, s2, v4
	v_and_b32_e32 v3, s7, v0
	v_min_u32_e32 v1, s3, v1
	v_sub_u32_e32 v5, v1, v2
	v_lshlrev_b32_e32 v3, 10, v3
	v_min_u32_e32 v6, v5, v3
	v_sub_u32_e32 v3, v4, v2
	v_sub_u32_e32 v1, v1, v4
	v_sub_u32_e64 v1, v6, v1 clamp
	v_min_u32_e32 v7, v6, v3
	v_cmp_lt_u32_e32 vcc, v1, v7
	s_and_saveexec_b64 s[2:3], vcc
	s_cbranch_execz .LBB391_5
; %bb.2:
	s_load_dwordx2 s[8:9], s[4:5], 0x10
	s_load_dword s6, s[4:5], 0x18
	v_mov_b32_e32 v5, 0
	v_mov_b32_e32 v3, v5
	v_lshlrev_b64 v[8:9], 1, v[2:3]
	s_waitcnt lgkmcnt(0)
	v_mov_b32_e32 v12, s9
	v_add_co_u32_e32 v3, vcc, s8, v8
	v_addc_co_u32_e32 v8, vcc, v12, v9, vcc
	v_lshlrev_b64 v[10:11], 1, v[4:5]
	v_add_co_u32_e32 v9, vcc, s8, v10
	v_addc_co_u32_e32 v10, vcc, v12, v11, vcc
	s_mov_b64 s[4:5], 0
.LBB391_3:                              ; =>This Inner Loop Header: Depth=1
	v_add_u32_e32 v4, v7, v1
	v_and_b32_e32 v12, -2, v4
	v_lshrrev_b32_e32 v11, 1, v4
	v_add_co_u32_e32 v12, vcc, v3, v12
	v_xad_u32 v4, v11, -1, v6
	v_addc_co_u32_e32 v13, vcc, 0, v8, vcc
	global_load_ushort v14, v[12:13], off
	v_lshlrev_b64 v[12:13], 1, v[4:5]
	v_add_co_u32_e32 v12, vcc, v9, v12
	v_addc_co_u32_e32 v13, vcc, v10, v13, vcc
	global_load_ushort v4, v[12:13], off
	v_add_u32_e32 v12, 1, v11
	s_waitcnt vmcnt(1)
	v_and_b32_e32 v13, s6, v14
	s_waitcnt vmcnt(0)
	v_and_b32_e32 v4, s6, v4
	v_cmp_gt_i16_e32 vcc, v13, v4
	v_cndmask_b32_e32 v7, v7, v11, vcc
	v_cndmask_b32_e32 v1, v12, v1, vcc
	v_cmp_ge_u32_e32 vcc, v1, v7
	s_or_b64 s[4:5], vcc, s[4:5]
	s_andn2_b64 exec, exec, s[4:5]
	s_cbranch_execnz .LBB391_3
; %bb.4:
	s_or_b64 exec, exec, s[4:5]
.LBB391_5:
	s_or_b64 exec, exec, s[2:3]
	v_add_u32_e32 v2, v1, v2
	v_mov_b32_e32 v1, 0
	v_lshlrev_b64 v[0:1], 2, v[0:1]
	v_mov_b32_e32 v3, s1
	v_add_co_u32_e32 v0, vcc, s0, v0
	v_addc_co_u32_e32 v1, vcc, v3, v1, vcc
	global_store_dword v[0:1], v2, off
.LBB391_6:
	s_endpgm
	.section	.rodata,"a",@progbits
	.p2align	6, 0x0
	.amdhsa_kernel _ZN7rocprim17ROCPRIM_400000_NS6detail17trampoline_kernelINS0_14default_configENS1_38merge_sort_block_merge_config_selectorIsNS0_10empty_typeEEEZZNS1_27merge_sort_block_merge_implIS3_PsPS5_jNS1_19radix_merge_compareILb0ELb1EsNS0_19identity_decomposerEEEEE10hipError_tT0_T1_T2_jT3_P12ihipStream_tbPNSt15iterator_traitsISE_E10value_typeEPNSK_ISF_E10value_typeEPSG_NS1_7vsmem_tEENKUlT_SE_SF_SG_E_clIS8_S8_S9_S9_EESD_ST_SE_SF_SG_EUlST_E_NS1_11comp_targetILNS1_3genE4ELNS1_11target_archE910ELNS1_3gpuE8ELNS1_3repE0EEENS1_48merge_mergepath_partition_config_static_selectorELNS0_4arch9wavefront6targetE1EEEvSF_
		.amdhsa_group_segment_fixed_size 0
		.amdhsa_private_segment_fixed_size 0
		.amdhsa_kernarg_size 40
		.amdhsa_user_sgpr_count 6
		.amdhsa_user_sgpr_private_segment_buffer 1
		.amdhsa_user_sgpr_dispatch_ptr 0
		.amdhsa_user_sgpr_queue_ptr 0
		.amdhsa_user_sgpr_kernarg_segment_ptr 1
		.amdhsa_user_sgpr_dispatch_id 0
		.amdhsa_user_sgpr_flat_scratch_init 0
		.amdhsa_user_sgpr_kernarg_preload_length 0
		.amdhsa_user_sgpr_kernarg_preload_offset 0
		.amdhsa_user_sgpr_private_segment_size 0
		.amdhsa_uses_dynamic_stack 0
		.amdhsa_system_sgpr_private_segment_wavefront_offset 0
		.amdhsa_system_sgpr_workgroup_id_x 1
		.amdhsa_system_sgpr_workgroup_id_y 0
		.amdhsa_system_sgpr_workgroup_id_z 0
		.amdhsa_system_sgpr_workgroup_info 0
		.amdhsa_system_vgpr_workitem_id 0
		.amdhsa_next_free_vgpr 15
		.amdhsa_next_free_sgpr 10
		.amdhsa_accum_offset 16
		.amdhsa_reserve_vcc 1
		.amdhsa_reserve_flat_scratch 0
		.amdhsa_float_round_mode_32 0
		.amdhsa_float_round_mode_16_64 0
		.amdhsa_float_denorm_mode_32 3
		.amdhsa_float_denorm_mode_16_64 3
		.amdhsa_dx10_clamp 1
		.amdhsa_ieee_mode 1
		.amdhsa_fp16_overflow 0
		.amdhsa_tg_split 0
		.amdhsa_exception_fp_ieee_invalid_op 0
		.amdhsa_exception_fp_denorm_src 0
		.amdhsa_exception_fp_ieee_div_zero 0
		.amdhsa_exception_fp_ieee_overflow 0
		.amdhsa_exception_fp_ieee_underflow 0
		.amdhsa_exception_fp_ieee_inexact 0
		.amdhsa_exception_int_div_zero 0
	.end_amdhsa_kernel
	.section	.text._ZN7rocprim17ROCPRIM_400000_NS6detail17trampoline_kernelINS0_14default_configENS1_38merge_sort_block_merge_config_selectorIsNS0_10empty_typeEEEZZNS1_27merge_sort_block_merge_implIS3_PsPS5_jNS1_19radix_merge_compareILb0ELb1EsNS0_19identity_decomposerEEEEE10hipError_tT0_T1_T2_jT3_P12ihipStream_tbPNSt15iterator_traitsISE_E10value_typeEPNSK_ISF_E10value_typeEPSG_NS1_7vsmem_tEENKUlT_SE_SF_SG_E_clIS8_S8_S9_S9_EESD_ST_SE_SF_SG_EUlST_E_NS1_11comp_targetILNS1_3genE4ELNS1_11target_archE910ELNS1_3gpuE8ELNS1_3repE0EEENS1_48merge_mergepath_partition_config_static_selectorELNS0_4arch9wavefront6targetE1EEEvSF_,"axG",@progbits,_ZN7rocprim17ROCPRIM_400000_NS6detail17trampoline_kernelINS0_14default_configENS1_38merge_sort_block_merge_config_selectorIsNS0_10empty_typeEEEZZNS1_27merge_sort_block_merge_implIS3_PsPS5_jNS1_19radix_merge_compareILb0ELb1EsNS0_19identity_decomposerEEEEE10hipError_tT0_T1_T2_jT3_P12ihipStream_tbPNSt15iterator_traitsISE_E10value_typeEPNSK_ISF_E10value_typeEPSG_NS1_7vsmem_tEENKUlT_SE_SF_SG_E_clIS8_S8_S9_S9_EESD_ST_SE_SF_SG_EUlST_E_NS1_11comp_targetILNS1_3genE4ELNS1_11target_archE910ELNS1_3gpuE8ELNS1_3repE0EEENS1_48merge_mergepath_partition_config_static_selectorELNS0_4arch9wavefront6targetE1EEEvSF_,comdat
.Lfunc_end391:
	.size	_ZN7rocprim17ROCPRIM_400000_NS6detail17trampoline_kernelINS0_14default_configENS1_38merge_sort_block_merge_config_selectorIsNS0_10empty_typeEEEZZNS1_27merge_sort_block_merge_implIS3_PsPS5_jNS1_19radix_merge_compareILb0ELb1EsNS0_19identity_decomposerEEEEE10hipError_tT0_T1_T2_jT3_P12ihipStream_tbPNSt15iterator_traitsISE_E10value_typeEPNSK_ISF_E10value_typeEPSG_NS1_7vsmem_tEENKUlT_SE_SF_SG_E_clIS8_S8_S9_S9_EESD_ST_SE_SF_SG_EUlST_E_NS1_11comp_targetILNS1_3genE4ELNS1_11target_archE910ELNS1_3gpuE8ELNS1_3repE0EEENS1_48merge_mergepath_partition_config_static_selectorELNS0_4arch9wavefront6targetE1EEEvSF_, .Lfunc_end391-_ZN7rocprim17ROCPRIM_400000_NS6detail17trampoline_kernelINS0_14default_configENS1_38merge_sort_block_merge_config_selectorIsNS0_10empty_typeEEEZZNS1_27merge_sort_block_merge_implIS3_PsPS5_jNS1_19radix_merge_compareILb0ELb1EsNS0_19identity_decomposerEEEEE10hipError_tT0_T1_T2_jT3_P12ihipStream_tbPNSt15iterator_traitsISE_E10value_typeEPNSK_ISF_E10value_typeEPSG_NS1_7vsmem_tEENKUlT_SE_SF_SG_E_clIS8_S8_S9_S9_EESD_ST_SE_SF_SG_EUlST_E_NS1_11comp_targetILNS1_3genE4ELNS1_11target_archE910ELNS1_3gpuE8ELNS1_3repE0EEENS1_48merge_mergepath_partition_config_static_selectorELNS0_4arch9wavefront6targetE1EEEvSF_
                                        ; -- End function
	.section	.AMDGPU.csdata,"",@progbits
; Kernel info:
; codeLenInByte = 372
; NumSgprs: 14
; NumVgprs: 15
; NumAgprs: 0
; TotalNumVgprs: 15
; ScratchSize: 0
; MemoryBound: 0
; FloatMode: 240
; IeeeMode: 1
; LDSByteSize: 0 bytes/workgroup (compile time only)
; SGPRBlocks: 1
; VGPRBlocks: 1
; NumSGPRsForWavesPerEU: 14
; NumVGPRsForWavesPerEU: 15
; AccumOffset: 16
; Occupancy: 8
; WaveLimiterHint : 0
; COMPUTE_PGM_RSRC2:SCRATCH_EN: 0
; COMPUTE_PGM_RSRC2:USER_SGPR: 6
; COMPUTE_PGM_RSRC2:TRAP_HANDLER: 0
; COMPUTE_PGM_RSRC2:TGID_X_EN: 1
; COMPUTE_PGM_RSRC2:TGID_Y_EN: 0
; COMPUTE_PGM_RSRC2:TGID_Z_EN: 0
; COMPUTE_PGM_RSRC2:TIDIG_COMP_CNT: 0
; COMPUTE_PGM_RSRC3_GFX90A:ACCUM_OFFSET: 3
; COMPUTE_PGM_RSRC3_GFX90A:TG_SPLIT: 0
	.section	.text._ZN7rocprim17ROCPRIM_400000_NS6detail17trampoline_kernelINS0_14default_configENS1_38merge_sort_block_merge_config_selectorIsNS0_10empty_typeEEEZZNS1_27merge_sort_block_merge_implIS3_PsPS5_jNS1_19radix_merge_compareILb0ELb1EsNS0_19identity_decomposerEEEEE10hipError_tT0_T1_T2_jT3_P12ihipStream_tbPNSt15iterator_traitsISE_E10value_typeEPNSK_ISF_E10value_typeEPSG_NS1_7vsmem_tEENKUlT_SE_SF_SG_E_clIS8_S8_S9_S9_EESD_ST_SE_SF_SG_EUlST_E_NS1_11comp_targetILNS1_3genE3ELNS1_11target_archE908ELNS1_3gpuE7ELNS1_3repE0EEENS1_48merge_mergepath_partition_config_static_selectorELNS0_4arch9wavefront6targetE1EEEvSF_,"axG",@progbits,_ZN7rocprim17ROCPRIM_400000_NS6detail17trampoline_kernelINS0_14default_configENS1_38merge_sort_block_merge_config_selectorIsNS0_10empty_typeEEEZZNS1_27merge_sort_block_merge_implIS3_PsPS5_jNS1_19radix_merge_compareILb0ELb1EsNS0_19identity_decomposerEEEEE10hipError_tT0_T1_T2_jT3_P12ihipStream_tbPNSt15iterator_traitsISE_E10value_typeEPNSK_ISF_E10value_typeEPSG_NS1_7vsmem_tEENKUlT_SE_SF_SG_E_clIS8_S8_S9_S9_EESD_ST_SE_SF_SG_EUlST_E_NS1_11comp_targetILNS1_3genE3ELNS1_11target_archE908ELNS1_3gpuE7ELNS1_3repE0EEENS1_48merge_mergepath_partition_config_static_selectorELNS0_4arch9wavefront6targetE1EEEvSF_,comdat
	.protected	_ZN7rocprim17ROCPRIM_400000_NS6detail17trampoline_kernelINS0_14default_configENS1_38merge_sort_block_merge_config_selectorIsNS0_10empty_typeEEEZZNS1_27merge_sort_block_merge_implIS3_PsPS5_jNS1_19radix_merge_compareILb0ELb1EsNS0_19identity_decomposerEEEEE10hipError_tT0_T1_T2_jT3_P12ihipStream_tbPNSt15iterator_traitsISE_E10value_typeEPNSK_ISF_E10value_typeEPSG_NS1_7vsmem_tEENKUlT_SE_SF_SG_E_clIS8_S8_S9_S9_EESD_ST_SE_SF_SG_EUlST_E_NS1_11comp_targetILNS1_3genE3ELNS1_11target_archE908ELNS1_3gpuE7ELNS1_3repE0EEENS1_48merge_mergepath_partition_config_static_selectorELNS0_4arch9wavefront6targetE1EEEvSF_ ; -- Begin function _ZN7rocprim17ROCPRIM_400000_NS6detail17trampoline_kernelINS0_14default_configENS1_38merge_sort_block_merge_config_selectorIsNS0_10empty_typeEEEZZNS1_27merge_sort_block_merge_implIS3_PsPS5_jNS1_19radix_merge_compareILb0ELb1EsNS0_19identity_decomposerEEEEE10hipError_tT0_T1_T2_jT3_P12ihipStream_tbPNSt15iterator_traitsISE_E10value_typeEPNSK_ISF_E10value_typeEPSG_NS1_7vsmem_tEENKUlT_SE_SF_SG_E_clIS8_S8_S9_S9_EESD_ST_SE_SF_SG_EUlST_E_NS1_11comp_targetILNS1_3genE3ELNS1_11target_archE908ELNS1_3gpuE7ELNS1_3repE0EEENS1_48merge_mergepath_partition_config_static_selectorELNS0_4arch9wavefront6targetE1EEEvSF_
	.globl	_ZN7rocprim17ROCPRIM_400000_NS6detail17trampoline_kernelINS0_14default_configENS1_38merge_sort_block_merge_config_selectorIsNS0_10empty_typeEEEZZNS1_27merge_sort_block_merge_implIS3_PsPS5_jNS1_19radix_merge_compareILb0ELb1EsNS0_19identity_decomposerEEEEE10hipError_tT0_T1_T2_jT3_P12ihipStream_tbPNSt15iterator_traitsISE_E10value_typeEPNSK_ISF_E10value_typeEPSG_NS1_7vsmem_tEENKUlT_SE_SF_SG_E_clIS8_S8_S9_S9_EESD_ST_SE_SF_SG_EUlST_E_NS1_11comp_targetILNS1_3genE3ELNS1_11target_archE908ELNS1_3gpuE7ELNS1_3repE0EEENS1_48merge_mergepath_partition_config_static_selectorELNS0_4arch9wavefront6targetE1EEEvSF_
	.p2align	8
	.type	_ZN7rocprim17ROCPRIM_400000_NS6detail17trampoline_kernelINS0_14default_configENS1_38merge_sort_block_merge_config_selectorIsNS0_10empty_typeEEEZZNS1_27merge_sort_block_merge_implIS3_PsPS5_jNS1_19radix_merge_compareILb0ELb1EsNS0_19identity_decomposerEEEEE10hipError_tT0_T1_T2_jT3_P12ihipStream_tbPNSt15iterator_traitsISE_E10value_typeEPNSK_ISF_E10value_typeEPSG_NS1_7vsmem_tEENKUlT_SE_SF_SG_E_clIS8_S8_S9_S9_EESD_ST_SE_SF_SG_EUlST_E_NS1_11comp_targetILNS1_3genE3ELNS1_11target_archE908ELNS1_3gpuE7ELNS1_3repE0EEENS1_48merge_mergepath_partition_config_static_selectorELNS0_4arch9wavefront6targetE1EEEvSF_,@function
_ZN7rocprim17ROCPRIM_400000_NS6detail17trampoline_kernelINS0_14default_configENS1_38merge_sort_block_merge_config_selectorIsNS0_10empty_typeEEEZZNS1_27merge_sort_block_merge_implIS3_PsPS5_jNS1_19radix_merge_compareILb0ELb1EsNS0_19identity_decomposerEEEEE10hipError_tT0_T1_T2_jT3_P12ihipStream_tbPNSt15iterator_traitsISE_E10value_typeEPNSK_ISF_E10value_typeEPSG_NS1_7vsmem_tEENKUlT_SE_SF_SG_E_clIS8_S8_S9_S9_EESD_ST_SE_SF_SG_EUlST_E_NS1_11comp_targetILNS1_3genE3ELNS1_11target_archE908ELNS1_3gpuE7ELNS1_3repE0EEENS1_48merge_mergepath_partition_config_static_selectorELNS0_4arch9wavefront6targetE1EEEvSF_: ; @_ZN7rocprim17ROCPRIM_400000_NS6detail17trampoline_kernelINS0_14default_configENS1_38merge_sort_block_merge_config_selectorIsNS0_10empty_typeEEEZZNS1_27merge_sort_block_merge_implIS3_PsPS5_jNS1_19radix_merge_compareILb0ELb1EsNS0_19identity_decomposerEEEEE10hipError_tT0_T1_T2_jT3_P12ihipStream_tbPNSt15iterator_traitsISE_E10value_typeEPNSK_ISF_E10value_typeEPSG_NS1_7vsmem_tEENKUlT_SE_SF_SG_E_clIS8_S8_S9_S9_EESD_ST_SE_SF_SG_EUlST_E_NS1_11comp_targetILNS1_3genE3ELNS1_11target_archE908ELNS1_3gpuE7ELNS1_3repE0EEENS1_48merge_mergepath_partition_config_static_selectorELNS0_4arch9wavefront6targetE1EEEvSF_
; %bb.0:
	.section	.rodata,"a",@progbits
	.p2align	6, 0x0
	.amdhsa_kernel _ZN7rocprim17ROCPRIM_400000_NS6detail17trampoline_kernelINS0_14default_configENS1_38merge_sort_block_merge_config_selectorIsNS0_10empty_typeEEEZZNS1_27merge_sort_block_merge_implIS3_PsPS5_jNS1_19radix_merge_compareILb0ELb1EsNS0_19identity_decomposerEEEEE10hipError_tT0_T1_T2_jT3_P12ihipStream_tbPNSt15iterator_traitsISE_E10value_typeEPNSK_ISF_E10value_typeEPSG_NS1_7vsmem_tEENKUlT_SE_SF_SG_E_clIS8_S8_S9_S9_EESD_ST_SE_SF_SG_EUlST_E_NS1_11comp_targetILNS1_3genE3ELNS1_11target_archE908ELNS1_3gpuE7ELNS1_3repE0EEENS1_48merge_mergepath_partition_config_static_selectorELNS0_4arch9wavefront6targetE1EEEvSF_
		.amdhsa_group_segment_fixed_size 0
		.amdhsa_private_segment_fixed_size 0
		.amdhsa_kernarg_size 40
		.amdhsa_user_sgpr_count 6
		.amdhsa_user_sgpr_private_segment_buffer 1
		.amdhsa_user_sgpr_dispatch_ptr 0
		.amdhsa_user_sgpr_queue_ptr 0
		.amdhsa_user_sgpr_kernarg_segment_ptr 1
		.amdhsa_user_sgpr_dispatch_id 0
		.amdhsa_user_sgpr_flat_scratch_init 0
		.amdhsa_user_sgpr_kernarg_preload_length 0
		.amdhsa_user_sgpr_kernarg_preload_offset 0
		.amdhsa_user_sgpr_private_segment_size 0
		.amdhsa_uses_dynamic_stack 0
		.amdhsa_system_sgpr_private_segment_wavefront_offset 0
		.amdhsa_system_sgpr_workgroup_id_x 1
		.amdhsa_system_sgpr_workgroup_id_y 0
		.amdhsa_system_sgpr_workgroup_id_z 0
		.amdhsa_system_sgpr_workgroup_info 0
		.amdhsa_system_vgpr_workitem_id 0
		.amdhsa_next_free_vgpr 1
		.amdhsa_next_free_sgpr 0
		.amdhsa_accum_offset 4
		.amdhsa_reserve_vcc 0
		.amdhsa_reserve_flat_scratch 0
		.amdhsa_float_round_mode_32 0
		.amdhsa_float_round_mode_16_64 0
		.amdhsa_float_denorm_mode_32 3
		.amdhsa_float_denorm_mode_16_64 3
		.amdhsa_dx10_clamp 1
		.amdhsa_ieee_mode 1
		.amdhsa_fp16_overflow 0
		.amdhsa_tg_split 0
		.amdhsa_exception_fp_ieee_invalid_op 0
		.amdhsa_exception_fp_denorm_src 0
		.amdhsa_exception_fp_ieee_div_zero 0
		.amdhsa_exception_fp_ieee_overflow 0
		.amdhsa_exception_fp_ieee_underflow 0
		.amdhsa_exception_fp_ieee_inexact 0
		.amdhsa_exception_int_div_zero 0
	.end_amdhsa_kernel
	.section	.text._ZN7rocprim17ROCPRIM_400000_NS6detail17trampoline_kernelINS0_14default_configENS1_38merge_sort_block_merge_config_selectorIsNS0_10empty_typeEEEZZNS1_27merge_sort_block_merge_implIS3_PsPS5_jNS1_19radix_merge_compareILb0ELb1EsNS0_19identity_decomposerEEEEE10hipError_tT0_T1_T2_jT3_P12ihipStream_tbPNSt15iterator_traitsISE_E10value_typeEPNSK_ISF_E10value_typeEPSG_NS1_7vsmem_tEENKUlT_SE_SF_SG_E_clIS8_S8_S9_S9_EESD_ST_SE_SF_SG_EUlST_E_NS1_11comp_targetILNS1_3genE3ELNS1_11target_archE908ELNS1_3gpuE7ELNS1_3repE0EEENS1_48merge_mergepath_partition_config_static_selectorELNS0_4arch9wavefront6targetE1EEEvSF_,"axG",@progbits,_ZN7rocprim17ROCPRIM_400000_NS6detail17trampoline_kernelINS0_14default_configENS1_38merge_sort_block_merge_config_selectorIsNS0_10empty_typeEEEZZNS1_27merge_sort_block_merge_implIS3_PsPS5_jNS1_19radix_merge_compareILb0ELb1EsNS0_19identity_decomposerEEEEE10hipError_tT0_T1_T2_jT3_P12ihipStream_tbPNSt15iterator_traitsISE_E10value_typeEPNSK_ISF_E10value_typeEPSG_NS1_7vsmem_tEENKUlT_SE_SF_SG_E_clIS8_S8_S9_S9_EESD_ST_SE_SF_SG_EUlST_E_NS1_11comp_targetILNS1_3genE3ELNS1_11target_archE908ELNS1_3gpuE7ELNS1_3repE0EEENS1_48merge_mergepath_partition_config_static_selectorELNS0_4arch9wavefront6targetE1EEEvSF_,comdat
.Lfunc_end392:
	.size	_ZN7rocprim17ROCPRIM_400000_NS6detail17trampoline_kernelINS0_14default_configENS1_38merge_sort_block_merge_config_selectorIsNS0_10empty_typeEEEZZNS1_27merge_sort_block_merge_implIS3_PsPS5_jNS1_19radix_merge_compareILb0ELb1EsNS0_19identity_decomposerEEEEE10hipError_tT0_T1_T2_jT3_P12ihipStream_tbPNSt15iterator_traitsISE_E10value_typeEPNSK_ISF_E10value_typeEPSG_NS1_7vsmem_tEENKUlT_SE_SF_SG_E_clIS8_S8_S9_S9_EESD_ST_SE_SF_SG_EUlST_E_NS1_11comp_targetILNS1_3genE3ELNS1_11target_archE908ELNS1_3gpuE7ELNS1_3repE0EEENS1_48merge_mergepath_partition_config_static_selectorELNS0_4arch9wavefront6targetE1EEEvSF_, .Lfunc_end392-_ZN7rocprim17ROCPRIM_400000_NS6detail17trampoline_kernelINS0_14default_configENS1_38merge_sort_block_merge_config_selectorIsNS0_10empty_typeEEEZZNS1_27merge_sort_block_merge_implIS3_PsPS5_jNS1_19radix_merge_compareILb0ELb1EsNS0_19identity_decomposerEEEEE10hipError_tT0_T1_T2_jT3_P12ihipStream_tbPNSt15iterator_traitsISE_E10value_typeEPNSK_ISF_E10value_typeEPSG_NS1_7vsmem_tEENKUlT_SE_SF_SG_E_clIS8_S8_S9_S9_EESD_ST_SE_SF_SG_EUlST_E_NS1_11comp_targetILNS1_3genE3ELNS1_11target_archE908ELNS1_3gpuE7ELNS1_3repE0EEENS1_48merge_mergepath_partition_config_static_selectorELNS0_4arch9wavefront6targetE1EEEvSF_
                                        ; -- End function
	.section	.AMDGPU.csdata,"",@progbits
; Kernel info:
; codeLenInByte = 0
; NumSgprs: 4
; NumVgprs: 0
; NumAgprs: 0
; TotalNumVgprs: 0
; ScratchSize: 0
; MemoryBound: 0
; FloatMode: 240
; IeeeMode: 1
; LDSByteSize: 0 bytes/workgroup (compile time only)
; SGPRBlocks: 0
; VGPRBlocks: 0
; NumSGPRsForWavesPerEU: 4
; NumVGPRsForWavesPerEU: 1
; AccumOffset: 4
; Occupancy: 8
; WaveLimiterHint : 0
; COMPUTE_PGM_RSRC2:SCRATCH_EN: 0
; COMPUTE_PGM_RSRC2:USER_SGPR: 6
; COMPUTE_PGM_RSRC2:TRAP_HANDLER: 0
; COMPUTE_PGM_RSRC2:TGID_X_EN: 1
; COMPUTE_PGM_RSRC2:TGID_Y_EN: 0
; COMPUTE_PGM_RSRC2:TGID_Z_EN: 0
; COMPUTE_PGM_RSRC2:TIDIG_COMP_CNT: 0
; COMPUTE_PGM_RSRC3_GFX90A:ACCUM_OFFSET: 0
; COMPUTE_PGM_RSRC3_GFX90A:TG_SPLIT: 0
	.section	.text._ZN7rocprim17ROCPRIM_400000_NS6detail17trampoline_kernelINS0_14default_configENS1_38merge_sort_block_merge_config_selectorIsNS0_10empty_typeEEEZZNS1_27merge_sort_block_merge_implIS3_PsPS5_jNS1_19radix_merge_compareILb0ELb1EsNS0_19identity_decomposerEEEEE10hipError_tT0_T1_T2_jT3_P12ihipStream_tbPNSt15iterator_traitsISE_E10value_typeEPNSK_ISF_E10value_typeEPSG_NS1_7vsmem_tEENKUlT_SE_SF_SG_E_clIS8_S8_S9_S9_EESD_ST_SE_SF_SG_EUlST_E_NS1_11comp_targetILNS1_3genE2ELNS1_11target_archE906ELNS1_3gpuE6ELNS1_3repE0EEENS1_48merge_mergepath_partition_config_static_selectorELNS0_4arch9wavefront6targetE1EEEvSF_,"axG",@progbits,_ZN7rocprim17ROCPRIM_400000_NS6detail17trampoline_kernelINS0_14default_configENS1_38merge_sort_block_merge_config_selectorIsNS0_10empty_typeEEEZZNS1_27merge_sort_block_merge_implIS3_PsPS5_jNS1_19radix_merge_compareILb0ELb1EsNS0_19identity_decomposerEEEEE10hipError_tT0_T1_T2_jT3_P12ihipStream_tbPNSt15iterator_traitsISE_E10value_typeEPNSK_ISF_E10value_typeEPSG_NS1_7vsmem_tEENKUlT_SE_SF_SG_E_clIS8_S8_S9_S9_EESD_ST_SE_SF_SG_EUlST_E_NS1_11comp_targetILNS1_3genE2ELNS1_11target_archE906ELNS1_3gpuE6ELNS1_3repE0EEENS1_48merge_mergepath_partition_config_static_selectorELNS0_4arch9wavefront6targetE1EEEvSF_,comdat
	.protected	_ZN7rocprim17ROCPRIM_400000_NS6detail17trampoline_kernelINS0_14default_configENS1_38merge_sort_block_merge_config_selectorIsNS0_10empty_typeEEEZZNS1_27merge_sort_block_merge_implIS3_PsPS5_jNS1_19radix_merge_compareILb0ELb1EsNS0_19identity_decomposerEEEEE10hipError_tT0_T1_T2_jT3_P12ihipStream_tbPNSt15iterator_traitsISE_E10value_typeEPNSK_ISF_E10value_typeEPSG_NS1_7vsmem_tEENKUlT_SE_SF_SG_E_clIS8_S8_S9_S9_EESD_ST_SE_SF_SG_EUlST_E_NS1_11comp_targetILNS1_3genE2ELNS1_11target_archE906ELNS1_3gpuE6ELNS1_3repE0EEENS1_48merge_mergepath_partition_config_static_selectorELNS0_4arch9wavefront6targetE1EEEvSF_ ; -- Begin function _ZN7rocprim17ROCPRIM_400000_NS6detail17trampoline_kernelINS0_14default_configENS1_38merge_sort_block_merge_config_selectorIsNS0_10empty_typeEEEZZNS1_27merge_sort_block_merge_implIS3_PsPS5_jNS1_19radix_merge_compareILb0ELb1EsNS0_19identity_decomposerEEEEE10hipError_tT0_T1_T2_jT3_P12ihipStream_tbPNSt15iterator_traitsISE_E10value_typeEPNSK_ISF_E10value_typeEPSG_NS1_7vsmem_tEENKUlT_SE_SF_SG_E_clIS8_S8_S9_S9_EESD_ST_SE_SF_SG_EUlST_E_NS1_11comp_targetILNS1_3genE2ELNS1_11target_archE906ELNS1_3gpuE6ELNS1_3repE0EEENS1_48merge_mergepath_partition_config_static_selectorELNS0_4arch9wavefront6targetE1EEEvSF_
	.globl	_ZN7rocprim17ROCPRIM_400000_NS6detail17trampoline_kernelINS0_14default_configENS1_38merge_sort_block_merge_config_selectorIsNS0_10empty_typeEEEZZNS1_27merge_sort_block_merge_implIS3_PsPS5_jNS1_19radix_merge_compareILb0ELb1EsNS0_19identity_decomposerEEEEE10hipError_tT0_T1_T2_jT3_P12ihipStream_tbPNSt15iterator_traitsISE_E10value_typeEPNSK_ISF_E10value_typeEPSG_NS1_7vsmem_tEENKUlT_SE_SF_SG_E_clIS8_S8_S9_S9_EESD_ST_SE_SF_SG_EUlST_E_NS1_11comp_targetILNS1_3genE2ELNS1_11target_archE906ELNS1_3gpuE6ELNS1_3repE0EEENS1_48merge_mergepath_partition_config_static_selectorELNS0_4arch9wavefront6targetE1EEEvSF_
	.p2align	8
	.type	_ZN7rocprim17ROCPRIM_400000_NS6detail17trampoline_kernelINS0_14default_configENS1_38merge_sort_block_merge_config_selectorIsNS0_10empty_typeEEEZZNS1_27merge_sort_block_merge_implIS3_PsPS5_jNS1_19radix_merge_compareILb0ELb1EsNS0_19identity_decomposerEEEEE10hipError_tT0_T1_T2_jT3_P12ihipStream_tbPNSt15iterator_traitsISE_E10value_typeEPNSK_ISF_E10value_typeEPSG_NS1_7vsmem_tEENKUlT_SE_SF_SG_E_clIS8_S8_S9_S9_EESD_ST_SE_SF_SG_EUlST_E_NS1_11comp_targetILNS1_3genE2ELNS1_11target_archE906ELNS1_3gpuE6ELNS1_3repE0EEENS1_48merge_mergepath_partition_config_static_selectorELNS0_4arch9wavefront6targetE1EEEvSF_,@function
_ZN7rocprim17ROCPRIM_400000_NS6detail17trampoline_kernelINS0_14default_configENS1_38merge_sort_block_merge_config_selectorIsNS0_10empty_typeEEEZZNS1_27merge_sort_block_merge_implIS3_PsPS5_jNS1_19radix_merge_compareILb0ELb1EsNS0_19identity_decomposerEEEEE10hipError_tT0_T1_T2_jT3_P12ihipStream_tbPNSt15iterator_traitsISE_E10value_typeEPNSK_ISF_E10value_typeEPSG_NS1_7vsmem_tEENKUlT_SE_SF_SG_E_clIS8_S8_S9_S9_EESD_ST_SE_SF_SG_EUlST_E_NS1_11comp_targetILNS1_3genE2ELNS1_11target_archE906ELNS1_3gpuE6ELNS1_3repE0EEENS1_48merge_mergepath_partition_config_static_selectorELNS0_4arch9wavefront6targetE1EEEvSF_: ; @_ZN7rocprim17ROCPRIM_400000_NS6detail17trampoline_kernelINS0_14default_configENS1_38merge_sort_block_merge_config_selectorIsNS0_10empty_typeEEEZZNS1_27merge_sort_block_merge_implIS3_PsPS5_jNS1_19radix_merge_compareILb0ELb1EsNS0_19identity_decomposerEEEEE10hipError_tT0_T1_T2_jT3_P12ihipStream_tbPNSt15iterator_traitsISE_E10value_typeEPNSK_ISF_E10value_typeEPSG_NS1_7vsmem_tEENKUlT_SE_SF_SG_E_clIS8_S8_S9_S9_EESD_ST_SE_SF_SG_EUlST_E_NS1_11comp_targetILNS1_3genE2ELNS1_11target_archE906ELNS1_3gpuE6ELNS1_3repE0EEENS1_48merge_mergepath_partition_config_static_selectorELNS0_4arch9wavefront6targetE1EEEvSF_
; %bb.0:
	.section	.rodata,"a",@progbits
	.p2align	6, 0x0
	.amdhsa_kernel _ZN7rocprim17ROCPRIM_400000_NS6detail17trampoline_kernelINS0_14default_configENS1_38merge_sort_block_merge_config_selectorIsNS0_10empty_typeEEEZZNS1_27merge_sort_block_merge_implIS3_PsPS5_jNS1_19radix_merge_compareILb0ELb1EsNS0_19identity_decomposerEEEEE10hipError_tT0_T1_T2_jT3_P12ihipStream_tbPNSt15iterator_traitsISE_E10value_typeEPNSK_ISF_E10value_typeEPSG_NS1_7vsmem_tEENKUlT_SE_SF_SG_E_clIS8_S8_S9_S9_EESD_ST_SE_SF_SG_EUlST_E_NS1_11comp_targetILNS1_3genE2ELNS1_11target_archE906ELNS1_3gpuE6ELNS1_3repE0EEENS1_48merge_mergepath_partition_config_static_selectorELNS0_4arch9wavefront6targetE1EEEvSF_
		.amdhsa_group_segment_fixed_size 0
		.amdhsa_private_segment_fixed_size 0
		.amdhsa_kernarg_size 40
		.amdhsa_user_sgpr_count 6
		.amdhsa_user_sgpr_private_segment_buffer 1
		.amdhsa_user_sgpr_dispatch_ptr 0
		.amdhsa_user_sgpr_queue_ptr 0
		.amdhsa_user_sgpr_kernarg_segment_ptr 1
		.amdhsa_user_sgpr_dispatch_id 0
		.amdhsa_user_sgpr_flat_scratch_init 0
		.amdhsa_user_sgpr_kernarg_preload_length 0
		.amdhsa_user_sgpr_kernarg_preload_offset 0
		.amdhsa_user_sgpr_private_segment_size 0
		.amdhsa_uses_dynamic_stack 0
		.amdhsa_system_sgpr_private_segment_wavefront_offset 0
		.amdhsa_system_sgpr_workgroup_id_x 1
		.amdhsa_system_sgpr_workgroup_id_y 0
		.amdhsa_system_sgpr_workgroup_id_z 0
		.amdhsa_system_sgpr_workgroup_info 0
		.amdhsa_system_vgpr_workitem_id 0
		.amdhsa_next_free_vgpr 1
		.amdhsa_next_free_sgpr 0
		.amdhsa_accum_offset 4
		.amdhsa_reserve_vcc 0
		.amdhsa_reserve_flat_scratch 0
		.amdhsa_float_round_mode_32 0
		.amdhsa_float_round_mode_16_64 0
		.amdhsa_float_denorm_mode_32 3
		.amdhsa_float_denorm_mode_16_64 3
		.amdhsa_dx10_clamp 1
		.amdhsa_ieee_mode 1
		.amdhsa_fp16_overflow 0
		.amdhsa_tg_split 0
		.amdhsa_exception_fp_ieee_invalid_op 0
		.amdhsa_exception_fp_denorm_src 0
		.amdhsa_exception_fp_ieee_div_zero 0
		.amdhsa_exception_fp_ieee_overflow 0
		.amdhsa_exception_fp_ieee_underflow 0
		.amdhsa_exception_fp_ieee_inexact 0
		.amdhsa_exception_int_div_zero 0
	.end_amdhsa_kernel
	.section	.text._ZN7rocprim17ROCPRIM_400000_NS6detail17trampoline_kernelINS0_14default_configENS1_38merge_sort_block_merge_config_selectorIsNS0_10empty_typeEEEZZNS1_27merge_sort_block_merge_implIS3_PsPS5_jNS1_19radix_merge_compareILb0ELb1EsNS0_19identity_decomposerEEEEE10hipError_tT0_T1_T2_jT3_P12ihipStream_tbPNSt15iterator_traitsISE_E10value_typeEPNSK_ISF_E10value_typeEPSG_NS1_7vsmem_tEENKUlT_SE_SF_SG_E_clIS8_S8_S9_S9_EESD_ST_SE_SF_SG_EUlST_E_NS1_11comp_targetILNS1_3genE2ELNS1_11target_archE906ELNS1_3gpuE6ELNS1_3repE0EEENS1_48merge_mergepath_partition_config_static_selectorELNS0_4arch9wavefront6targetE1EEEvSF_,"axG",@progbits,_ZN7rocprim17ROCPRIM_400000_NS6detail17trampoline_kernelINS0_14default_configENS1_38merge_sort_block_merge_config_selectorIsNS0_10empty_typeEEEZZNS1_27merge_sort_block_merge_implIS3_PsPS5_jNS1_19radix_merge_compareILb0ELb1EsNS0_19identity_decomposerEEEEE10hipError_tT0_T1_T2_jT3_P12ihipStream_tbPNSt15iterator_traitsISE_E10value_typeEPNSK_ISF_E10value_typeEPSG_NS1_7vsmem_tEENKUlT_SE_SF_SG_E_clIS8_S8_S9_S9_EESD_ST_SE_SF_SG_EUlST_E_NS1_11comp_targetILNS1_3genE2ELNS1_11target_archE906ELNS1_3gpuE6ELNS1_3repE0EEENS1_48merge_mergepath_partition_config_static_selectorELNS0_4arch9wavefront6targetE1EEEvSF_,comdat
.Lfunc_end393:
	.size	_ZN7rocprim17ROCPRIM_400000_NS6detail17trampoline_kernelINS0_14default_configENS1_38merge_sort_block_merge_config_selectorIsNS0_10empty_typeEEEZZNS1_27merge_sort_block_merge_implIS3_PsPS5_jNS1_19radix_merge_compareILb0ELb1EsNS0_19identity_decomposerEEEEE10hipError_tT0_T1_T2_jT3_P12ihipStream_tbPNSt15iterator_traitsISE_E10value_typeEPNSK_ISF_E10value_typeEPSG_NS1_7vsmem_tEENKUlT_SE_SF_SG_E_clIS8_S8_S9_S9_EESD_ST_SE_SF_SG_EUlST_E_NS1_11comp_targetILNS1_3genE2ELNS1_11target_archE906ELNS1_3gpuE6ELNS1_3repE0EEENS1_48merge_mergepath_partition_config_static_selectorELNS0_4arch9wavefront6targetE1EEEvSF_, .Lfunc_end393-_ZN7rocprim17ROCPRIM_400000_NS6detail17trampoline_kernelINS0_14default_configENS1_38merge_sort_block_merge_config_selectorIsNS0_10empty_typeEEEZZNS1_27merge_sort_block_merge_implIS3_PsPS5_jNS1_19radix_merge_compareILb0ELb1EsNS0_19identity_decomposerEEEEE10hipError_tT0_T1_T2_jT3_P12ihipStream_tbPNSt15iterator_traitsISE_E10value_typeEPNSK_ISF_E10value_typeEPSG_NS1_7vsmem_tEENKUlT_SE_SF_SG_E_clIS8_S8_S9_S9_EESD_ST_SE_SF_SG_EUlST_E_NS1_11comp_targetILNS1_3genE2ELNS1_11target_archE906ELNS1_3gpuE6ELNS1_3repE0EEENS1_48merge_mergepath_partition_config_static_selectorELNS0_4arch9wavefront6targetE1EEEvSF_
                                        ; -- End function
	.section	.AMDGPU.csdata,"",@progbits
; Kernel info:
; codeLenInByte = 0
; NumSgprs: 4
; NumVgprs: 0
; NumAgprs: 0
; TotalNumVgprs: 0
; ScratchSize: 0
; MemoryBound: 0
; FloatMode: 240
; IeeeMode: 1
; LDSByteSize: 0 bytes/workgroup (compile time only)
; SGPRBlocks: 0
; VGPRBlocks: 0
; NumSGPRsForWavesPerEU: 4
; NumVGPRsForWavesPerEU: 1
; AccumOffset: 4
; Occupancy: 8
; WaveLimiterHint : 0
; COMPUTE_PGM_RSRC2:SCRATCH_EN: 0
; COMPUTE_PGM_RSRC2:USER_SGPR: 6
; COMPUTE_PGM_RSRC2:TRAP_HANDLER: 0
; COMPUTE_PGM_RSRC2:TGID_X_EN: 1
; COMPUTE_PGM_RSRC2:TGID_Y_EN: 0
; COMPUTE_PGM_RSRC2:TGID_Z_EN: 0
; COMPUTE_PGM_RSRC2:TIDIG_COMP_CNT: 0
; COMPUTE_PGM_RSRC3_GFX90A:ACCUM_OFFSET: 0
; COMPUTE_PGM_RSRC3_GFX90A:TG_SPLIT: 0
	.section	.text._ZN7rocprim17ROCPRIM_400000_NS6detail17trampoline_kernelINS0_14default_configENS1_38merge_sort_block_merge_config_selectorIsNS0_10empty_typeEEEZZNS1_27merge_sort_block_merge_implIS3_PsPS5_jNS1_19radix_merge_compareILb0ELb1EsNS0_19identity_decomposerEEEEE10hipError_tT0_T1_T2_jT3_P12ihipStream_tbPNSt15iterator_traitsISE_E10value_typeEPNSK_ISF_E10value_typeEPSG_NS1_7vsmem_tEENKUlT_SE_SF_SG_E_clIS8_S8_S9_S9_EESD_ST_SE_SF_SG_EUlST_E_NS1_11comp_targetILNS1_3genE9ELNS1_11target_archE1100ELNS1_3gpuE3ELNS1_3repE0EEENS1_48merge_mergepath_partition_config_static_selectorELNS0_4arch9wavefront6targetE1EEEvSF_,"axG",@progbits,_ZN7rocprim17ROCPRIM_400000_NS6detail17trampoline_kernelINS0_14default_configENS1_38merge_sort_block_merge_config_selectorIsNS0_10empty_typeEEEZZNS1_27merge_sort_block_merge_implIS3_PsPS5_jNS1_19radix_merge_compareILb0ELb1EsNS0_19identity_decomposerEEEEE10hipError_tT0_T1_T2_jT3_P12ihipStream_tbPNSt15iterator_traitsISE_E10value_typeEPNSK_ISF_E10value_typeEPSG_NS1_7vsmem_tEENKUlT_SE_SF_SG_E_clIS8_S8_S9_S9_EESD_ST_SE_SF_SG_EUlST_E_NS1_11comp_targetILNS1_3genE9ELNS1_11target_archE1100ELNS1_3gpuE3ELNS1_3repE0EEENS1_48merge_mergepath_partition_config_static_selectorELNS0_4arch9wavefront6targetE1EEEvSF_,comdat
	.protected	_ZN7rocprim17ROCPRIM_400000_NS6detail17trampoline_kernelINS0_14default_configENS1_38merge_sort_block_merge_config_selectorIsNS0_10empty_typeEEEZZNS1_27merge_sort_block_merge_implIS3_PsPS5_jNS1_19radix_merge_compareILb0ELb1EsNS0_19identity_decomposerEEEEE10hipError_tT0_T1_T2_jT3_P12ihipStream_tbPNSt15iterator_traitsISE_E10value_typeEPNSK_ISF_E10value_typeEPSG_NS1_7vsmem_tEENKUlT_SE_SF_SG_E_clIS8_S8_S9_S9_EESD_ST_SE_SF_SG_EUlST_E_NS1_11comp_targetILNS1_3genE9ELNS1_11target_archE1100ELNS1_3gpuE3ELNS1_3repE0EEENS1_48merge_mergepath_partition_config_static_selectorELNS0_4arch9wavefront6targetE1EEEvSF_ ; -- Begin function _ZN7rocprim17ROCPRIM_400000_NS6detail17trampoline_kernelINS0_14default_configENS1_38merge_sort_block_merge_config_selectorIsNS0_10empty_typeEEEZZNS1_27merge_sort_block_merge_implIS3_PsPS5_jNS1_19radix_merge_compareILb0ELb1EsNS0_19identity_decomposerEEEEE10hipError_tT0_T1_T2_jT3_P12ihipStream_tbPNSt15iterator_traitsISE_E10value_typeEPNSK_ISF_E10value_typeEPSG_NS1_7vsmem_tEENKUlT_SE_SF_SG_E_clIS8_S8_S9_S9_EESD_ST_SE_SF_SG_EUlST_E_NS1_11comp_targetILNS1_3genE9ELNS1_11target_archE1100ELNS1_3gpuE3ELNS1_3repE0EEENS1_48merge_mergepath_partition_config_static_selectorELNS0_4arch9wavefront6targetE1EEEvSF_
	.globl	_ZN7rocprim17ROCPRIM_400000_NS6detail17trampoline_kernelINS0_14default_configENS1_38merge_sort_block_merge_config_selectorIsNS0_10empty_typeEEEZZNS1_27merge_sort_block_merge_implIS3_PsPS5_jNS1_19radix_merge_compareILb0ELb1EsNS0_19identity_decomposerEEEEE10hipError_tT0_T1_T2_jT3_P12ihipStream_tbPNSt15iterator_traitsISE_E10value_typeEPNSK_ISF_E10value_typeEPSG_NS1_7vsmem_tEENKUlT_SE_SF_SG_E_clIS8_S8_S9_S9_EESD_ST_SE_SF_SG_EUlST_E_NS1_11comp_targetILNS1_3genE9ELNS1_11target_archE1100ELNS1_3gpuE3ELNS1_3repE0EEENS1_48merge_mergepath_partition_config_static_selectorELNS0_4arch9wavefront6targetE1EEEvSF_
	.p2align	8
	.type	_ZN7rocprim17ROCPRIM_400000_NS6detail17trampoline_kernelINS0_14default_configENS1_38merge_sort_block_merge_config_selectorIsNS0_10empty_typeEEEZZNS1_27merge_sort_block_merge_implIS3_PsPS5_jNS1_19radix_merge_compareILb0ELb1EsNS0_19identity_decomposerEEEEE10hipError_tT0_T1_T2_jT3_P12ihipStream_tbPNSt15iterator_traitsISE_E10value_typeEPNSK_ISF_E10value_typeEPSG_NS1_7vsmem_tEENKUlT_SE_SF_SG_E_clIS8_S8_S9_S9_EESD_ST_SE_SF_SG_EUlST_E_NS1_11comp_targetILNS1_3genE9ELNS1_11target_archE1100ELNS1_3gpuE3ELNS1_3repE0EEENS1_48merge_mergepath_partition_config_static_selectorELNS0_4arch9wavefront6targetE1EEEvSF_,@function
_ZN7rocprim17ROCPRIM_400000_NS6detail17trampoline_kernelINS0_14default_configENS1_38merge_sort_block_merge_config_selectorIsNS0_10empty_typeEEEZZNS1_27merge_sort_block_merge_implIS3_PsPS5_jNS1_19radix_merge_compareILb0ELb1EsNS0_19identity_decomposerEEEEE10hipError_tT0_T1_T2_jT3_P12ihipStream_tbPNSt15iterator_traitsISE_E10value_typeEPNSK_ISF_E10value_typeEPSG_NS1_7vsmem_tEENKUlT_SE_SF_SG_E_clIS8_S8_S9_S9_EESD_ST_SE_SF_SG_EUlST_E_NS1_11comp_targetILNS1_3genE9ELNS1_11target_archE1100ELNS1_3gpuE3ELNS1_3repE0EEENS1_48merge_mergepath_partition_config_static_selectorELNS0_4arch9wavefront6targetE1EEEvSF_: ; @_ZN7rocprim17ROCPRIM_400000_NS6detail17trampoline_kernelINS0_14default_configENS1_38merge_sort_block_merge_config_selectorIsNS0_10empty_typeEEEZZNS1_27merge_sort_block_merge_implIS3_PsPS5_jNS1_19radix_merge_compareILb0ELb1EsNS0_19identity_decomposerEEEEE10hipError_tT0_T1_T2_jT3_P12ihipStream_tbPNSt15iterator_traitsISE_E10value_typeEPNSK_ISF_E10value_typeEPSG_NS1_7vsmem_tEENKUlT_SE_SF_SG_E_clIS8_S8_S9_S9_EESD_ST_SE_SF_SG_EUlST_E_NS1_11comp_targetILNS1_3genE9ELNS1_11target_archE1100ELNS1_3gpuE3ELNS1_3repE0EEENS1_48merge_mergepath_partition_config_static_selectorELNS0_4arch9wavefront6targetE1EEEvSF_
; %bb.0:
	.section	.rodata,"a",@progbits
	.p2align	6, 0x0
	.amdhsa_kernel _ZN7rocprim17ROCPRIM_400000_NS6detail17trampoline_kernelINS0_14default_configENS1_38merge_sort_block_merge_config_selectorIsNS0_10empty_typeEEEZZNS1_27merge_sort_block_merge_implIS3_PsPS5_jNS1_19radix_merge_compareILb0ELb1EsNS0_19identity_decomposerEEEEE10hipError_tT0_T1_T2_jT3_P12ihipStream_tbPNSt15iterator_traitsISE_E10value_typeEPNSK_ISF_E10value_typeEPSG_NS1_7vsmem_tEENKUlT_SE_SF_SG_E_clIS8_S8_S9_S9_EESD_ST_SE_SF_SG_EUlST_E_NS1_11comp_targetILNS1_3genE9ELNS1_11target_archE1100ELNS1_3gpuE3ELNS1_3repE0EEENS1_48merge_mergepath_partition_config_static_selectorELNS0_4arch9wavefront6targetE1EEEvSF_
		.amdhsa_group_segment_fixed_size 0
		.amdhsa_private_segment_fixed_size 0
		.amdhsa_kernarg_size 40
		.amdhsa_user_sgpr_count 6
		.amdhsa_user_sgpr_private_segment_buffer 1
		.amdhsa_user_sgpr_dispatch_ptr 0
		.amdhsa_user_sgpr_queue_ptr 0
		.amdhsa_user_sgpr_kernarg_segment_ptr 1
		.amdhsa_user_sgpr_dispatch_id 0
		.amdhsa_user_sgpr_flat_scratch_init 0
		.amdhsa_user_sgpr_kernarg_preload_length 0
		.amdhsa_user_sgpr_kernarg_preload_offset 0
		.amdhsa_user_sgpr_private_segment_size 0
		.amdhsa_uses_dynamic_stack 0
		.amdhsa_system_sgpr_private_segment_wavefront_offset 0
		.amdhsa_system_sgpr_workgroup_id_x 1
		.amdhsa_system_sgpr_workgroup_id_y 0
		.amdhsa_system_sgpr_workgroup_id_z 0
		.amdhsa_system_sgpr_workgroup_info 0
		.amdhsa_system_vgpr_workitem_id 0
		.amdhsa_next_free_vgpr 1
		.amdhsa_next_free_sgpr 0
		.amdhsa_accum_offset 4
		.amdhsa_reserve_vcc 0
		.amdhsa_reserve_flat_scratch 0
		.amdhsa_float_round_mode_32 0
		.amdhsa_float_round_mode_16_64 0
		.amdhsa_float_denorm_mode_32 3
		.amdhsa_float_denorm_mode_16_64 3
		.amdhsa_dx10_clamp 1
		.amdhsa_ieee_mode 1
		.amdhsa_fp16_overflow 0
		.amdhsa_tg_split 0
		.amdhsa_exception_fp_ieee_invalid_op 0
		.amdhsa_exception_fp_denorm_src 0
		.amdhsa_exception_fp_ieee_div_zero 0
		.amdhsa_exception_fp_ieee_overflow 0
		.amdhsa_exception_fp_ieee_underflow 0
		.amdhsa_exception_fp_ieee_inexact 0
		.amdhsa_exception_int_div_zero 0
	.end_amdhsa_kernel
	.section	.text._ZN7rocprim17ROCPRIM_400000_NS6detail17trampoline_kernelINS0_14default_configENS1_38merge_sort_block_merge_config_selectorIsNS0_10empty_typeEEEZZNS1_27merge_sort_block_merge_implIS3_PsPS5_jNS1_19radix_merge_compareILb0ELb1EsNS0_19identity_decomposerEEEEE10hipError_tT0_T1_T2_jT3_P12ihipStream_tbPNSt15iterator_traitsISE_E10value_typeEPNSK_ISF_E10value_typeEPSG_NS1_7vsmem_tEENKUlT_SE_SF_SG_E_clIS8_S8_S9_S9_EESD_ST_SE_SF_SG_EUlST_E_NS1_11comp_targetILNS1_3genE9ELNS1_11target_archE1100ELNS1_3gpuE3ELNS1_3repE0EEENS1_48merge_mergepath_partition_config_static_selectorELNS0_4arch9wavefront6targetE1EEEvSF_,"axG",@progbits,_ZN7rocprim17ROCPRIM_400000_NS6detail17trampoline_kernelINS0_14default_configENS1_38merge_sort_block_merge_config_selectorIsNS0_10empty_typeEEEZZNS1_27merge_sort_block_merge_implIS3_PsPS5_jNS1_19radix_merge_compareILb0ELb1EsNS0_19identity_decomposerEEEEE10hipError_tT0_T1_T2_jT3_P12ihipStream_tbPNSt15iterator_traitsISE_E10value_typeEPNSK_ISF_E10value_typeEPSG_NS1_7vsmem_tEENKUlT_SE_SF_SG_E_clIS8_S8_S9_S9_EESD_ST_SE_SF_SG_EUlST_E_NS1_11comp_targetILNS1_3genE9ELNS1_11target_archE1100ELNS1_3gpuE3ELNS1_3repE0EEENS1_48merge_mergepath_partition_config_static_selectorELNS0_4arch9wavefront6targetE1EEEvSF_,comdat
.Lfunc_end394:
	.size	_ZN7rocprim17ROCPRIM_400000_NS6detail17trampoline_kernelINS0_14default_configENS1_38merge_sort_block_merge_config_selectorIsNS0_10empty_typeEEEZZNS1_27merge_sort_block_merge_implIS3_PsPS5_jNS1_19radix_merge_compareILb0ELb1EsNS0_19identity_decomposerEEEEE10hipError_tT0_T1_T2_jT3_P12ihipStream_tbPNSt15iterator_traitsISE_E10value_typeEPNSK_ISF_E10value_typeEPSG_NS1_7vsmem_tEENKUlT_SE_SF_SG_E_clIS8_S8_S9_S9_EESD_ST_SE_SF_SG_EUlST_E_NS1_11comp_targetILNS1_3genE9ELNS1_11target_archE1100ELNS1_3gpuE3ELNS1_3repE0EEENS1_48merge_mergepath_partition_config_static_selectorELNS0_4arch9wavefront6targetE1EEEvSF_, .Lfunc_end394-_ZN7rocprim17ROCPRIM_400000_NS6detail17trampoline_kernelINS0_14default_configENS1_38merge_sort_block_merge_config_selectorIsNS0_10empty_typeEEEZZNS1_27merge_sort_block_merge_implIS3_PsPS5_jNS1_19radix_merge_compareILb0ELb1EsNS0_19identity_decomposerEEEEE10hipError_tT0_T1_T2_jT3_P12ihipStream_tbPNSt15iterator_traitsISE_E10value_typeEPNSK_ISF_E10value_typeEPSG_NS1_7vsmem_tEENKUlT_SE_SF_SG_E_clIS8_S8_S9_S9_EESD_ST_SE_SF_SG_EUlST_E_NS1_11comp_targetILNS1_3genE9ELNS1_11target_archE1100ELNS1_3gpuE3ELNS1_3repE0EEENS1_48merge_mergepath_partition_config_static_selectorELNS0_4arch9wavefront6targetE1EEEvSF_
                                        ; -- End function
	.section	.AMDGPU.csdata,"",@progbits
; Kernel info:
; codeLenInByte = 0
; NumSgprs: 4
; NumVgprs: 0
; NumAgprs: 0
; TotalNumVgprs: 0
; ScratchSize: 0
; MemoryBound: 0
; FloatMode: 240
; IeeeMode: 1
; LDSByteSize: 0 bytes/workgroup (compile time only)
; SGPRBlocks: 0
; VGPRBlocks: 0
; NumSGPRsForWavesPerEU: 4
; NumVGPRsForWavesPerEU: 1
; AccumOffset: 4
; Occupancy: 8
; WaveLimiterHint : 0
; COMPUTE_PGM_RSRC2:SCRATCH_EN: 0
; COMPUTE_PGM_RSRC2:USER_SGPR: 6
; COMPUTE_PGM_RSRC2:TRAP_HANDLER: 0
; COMPUTE_PGM_RSRC2:TGID_X_EN: 1
; COMPUTE_PGM_RSRC2:TGID_Y_EN: 0
; COMPUTE_PGM_RSRC2:TGID_Z_EN: 0
; COMPUTE_PGM_RSRC2:TIDIG_COMP_CNT: 0
; COMPUTE_PGM_RSRC3_GFX90A:ACCUM_OFFSET: 0
; COMPUTE_PGM_RSRC3_GFX90A:TG_SPLIT: 0
	.section	.text._ZN7rocprim17ROCPRIM_400000_NS6detail17trampoline_kernelINS0_14default_configENS1_38merge_sort_block_merge_config_selectorIsNS0_10empty_typeEEEZZNS1_27merge_sort_block_merge_implIS3_PsPS5_jNS1_19radix_merge_compareILb0ELb1EsNS0_19identity_decomposerEEEEE10hipError_tT0_T1_T2_jT3_P12ihipStream_tbPNSt15iterator_traitsISE_E10value_typeEPNSK_ISF_E10value_typeEPSG_NS1_7vsmem_tEENKUlT_SE_SF_SG_E_clIS8_S8_S9_S9_EESD_ST_SE_SF_SG_EUlST_E_NS1_11comp_targetILNS1_3genE8ELNS1_11target_archE1030ELNS1_3gpuE2ELNS1_3repE0EEENS1_48merge_mergepath_partition_config_static_selectorELNS0_4arch9wavefront6targetE1EEEvSF_,"axG",@progbits,_ZN7rocprim17ROCPRIM_400000_NS6detail17trampoline_kernelINS0_14default_configENS1_38merge_sort_block_merge_config_selectorIsNS0_10empty_typeEEEZZNS1_27merge_sort_block_merge_implIS3_PsPS5_jNS1_19radix_merge_compareILb0ELb1EsNS0_19identity_decomposerEEEEE10hipError_tT0_T1_T2_jT3_P12ihipStream_tbPNSt15iterator_traitsISE_E10value_typeEPNSK_ISF_E10value_typeEPSG_NS1_7vsmem_tEENKUlT_SE_SF_SG_E_clIS8_S8_S9_S9_EESD_ST_SE_SF_SG_EUlST_E_NS1_11comp_targetILNS1_3genE8ELNS1_11target_archE1030ELNS1_3gpuE2ELNS1_3repE0EEENS1_48merge_mergepath_partition_config_static_selectorELNS0_4arch9wavefront6targetE1EEEvSF_,comdat
	.protected	_ZN7rocprim17ROCPRIM_400000_NS6detail17trampoline_kernelINS0_14default_configENS1_38merge_sort_block_merge_config_selectorIsNS0_10empty_typeEEEZZNS1_27merge_sort_block_merge_implIS3_PsPS5_jNS1_19radix_merge_compareILb0ELb1EsNS0_19identity_decomposerEEEEE10hipError_tT0_T1_T2_jT3_P12ihipStream_tbPNSt15iterator_traitsISE_E10value_typeEPNSK_ISF_E10value_typeEPSG_NS1_7vsmem_tEENKUlT_SE_SF_SG_E_clIS8_S8_S9_S9_EESD_ST_SE_SF_SG_EUlST_E_NS1_11comp_targetILNS1_3genE8ELNS1_11target_archE1030ELNS1_3gpuE2ELNS1_3repE0EEENS1_48merge_mergepath_partition_config_static_selectorELNS0_4arch9wavefront6targetE1EEEvSF_ ; -- Begin function _ZN7rocprim17ROCPRIM_400000_NS6detail17trampoline_kernelINS0_14default_configENS1_38merge_sort_block_merge_config_selectorIsNS0_10empty_typeEEEZZNS1_27merge_sort_block_merge_implIS3_PsPS5_jNS1_19radix_merge_compareILb0ELb1EsNS0_19identity_decomposerEEEEE10hipError_tT0_T1_T2_jT3_P12ihipStream_tbPNSt15iterator_traitsISE_E10value_typeEPNSK_ISF_E10value_typeEPSG_NS1_7vsmem_tEENKUlT_SE_SF_SG_E_clIS8_S8_S9_S9_EESD_ST_SE_SF_SG_EUlST_E_NS1_11comp_targetILNS1_3genE8ELNS1_11target_archE1030ELNS1_3gpuE2ELNS1_3repE0EEENS1_48merge_mergepath_partition_config_static_selectorELNS0_4arch9wavefront6targetE1EEEvSF_
	.globl	_ZN7rocprim17ROCPRIM_400000_NS6detail17trampoline_kernelINS0_14default_configENS1_38merge_sort_block_merge_config_selectorIsNS0_10empty_typeEEEZZNS1_27merge_sort_block_merge_implIS3_PsPS5_jNS1_19radix_merge_compareILb0ELb1EsNS0_19identity_decomposerEEEEE10hipError_tT0_T1_T2_jT3_P12ihipStream_tbPNSt15iterator_traitsISE_E10value_typeEPNSK_ISF_E10value_typeEPSG_NS1_7vsmem_tEENKUlT_SE_SF_SG_E_clIS8_S8_S9_S9_EESD_ST_SE_SF_SG_EUlST_E_NS1_11comp_targetILNS1_3genE8ELNS1_11target_archE1030ELNS1_3gpuE2ELNS1_3repE0EEENS1_48merge_mergepath_partition_config_static_selectorELNS0_4arch9wavefront6targetE1EEEvSF_
	.p2align	8
	.type	_ZN7rocprim17ROCPRIM_400000_NS6detail17trampoline_kernelINS0_14default_configENS1_38merge_sort_block_merge_config_selectorIsNS0_10empty_typeEEEZZNS1_27merge_sort_block_merge_implIS3_PsPS5_jNS1_19radix_merge_compareILb0ELb1EsNS0_19identity_decomposerEEEEE10hipError_tT0_T1_T2_jT3_P12ihipStream_tbPNSt15iterator_traitsISE_E10value_typeEPNSK_ISF_E10value_typeEPSG_NS1_7vsmem_tEENKUlT_SE_SF_SG_E_clIS8_S8_S9_S9_EESD_ST_SE_SF_SG_EUlST_E_NS1_11comp_targetILNS1_3genE8ELNS1_11target_archE1030ELNS1_3gpuE2ELNS1_3repE0EEENS1_48merge_mergepath_partition_config_static_selectorELNS0_4arch9wavefront6targetE1EEEvSF_,@function
_ZN7rocprim17ROCPRIM_400000_NS6detail17trampoline_kernelINS0_14default_configENS1_38merge_sort_block_merge_config_selectorIsNS0_10empty_typeEEEZZNS1_27merge_sort_block_merge_implIS3_PsPS5_jNS1_19radix_merge_compareILb0ELb1EsNS0_19identity_decomposerEEEEE10hipError_tT0_T1_T2_jT3_P12ihipStream_tbPNSt15iterator_traitsISE_E10value_typeEPNSK_ISF_E10value_typeEPSG_NS1_7vsmem_tEENKUlT_SE_SF_SG_E_clIS8_S8_S9_S9_EESD_ST_SE_SF_SG_EUlST_E_NS1_11comp_targetILNS1_3genE8ELNS1_11target_archE1030ELNS1_3gpuE2ELNS1_3repE0EEENS1_48merge_mergepath_partition_config_static_selectorELNS0_4arch9wavefront6targetE1EEEvSF_: ; @_ZN7rocprim17ROCPRIM_400000_NS6detail17trampoline_kernelINS0_14default_configENS1_38merge_sort_block_merge_config_selectorIsNS0_10empty_typeEEEZZNS1_27merge_sort_block_merge_implIS3_PsPS5_jNS1_19radix_merge_compareILb0ELb1EsNS0_19identity_decomposerEEEEE10hipError_tT0_T1_T2_jT3_P12ihipStream_tbPNSt15iterator_traitsISE_E10value_typeEPNSK_ISF_E10value_typeEPSG_NS1_7vsmem_tEENKUlT_SE_SF_SG_E_clIS8_S8_S9_S9_EESD_ST_SE_SF_SG_EUlST_E_NS1_11comp_targetILNS1_3genE8ELNS1_11target_archE1030ELNS1_3gpuE2ELNS1_3repE0EEENS1_48merge_mergepath_partition_config_static_selectorELNS0_4arch9wavefront6targetE1EEEvSF_
; %bb.0:
	.section	.rodata,"a",@progbits
	.p2align	6, 0x0
	.amdhsa_kernel _ZN7rocprim17ROCPRIM_400000_NS6detail17trampoline_kernelINS0_14default_configENS1_38merge_sort_block_merge_config_selectorIsNS0_10empty_typeEEEZZNS1_27merge_sort_block_merge_implIS3_PsPS5_jNS1_19radix_merge_compareILb0ELb1EsNS0_19identity_decomposerEEEEE10hipError_tT0_T1_T2_jT3_P12ihipStream_tbPNSt15iterator_traitsISE_E10value_typeEPNSK_ISF_E10value_typeEPSG_NS1_7vsmem_tEENKUlT_SE_SF_SG_E_clIS8_S8_S9_S9_EESD_ST_SE_SF_SG_EUlST_E_NS1_11comp_targetILNS1_3genE8ELNS1_11target_archE1030ELNS1_3gpuE2ELNS1_3repE0EEENS1_48merge_mergepath_partition_config_static_selectorELNS0_4arch9wavefront6targetE1EEEvSF_
		.amdhsa_group_segment_fixed_size 0
		.amdhsa_private_segment_fixed_size 0
		.amdhsa_kernarg_size 40
		.amdhsa_user_sgpr_count 6
		.amdhsa_user_sgpr_private_segment_buffer 1
		.amdhsa_user_sgpr_dispatch_ptr 0
		.amdhsa_user_sgpr_queue_ptr 0
		.amdhsa_user_sgpr_kernarg_segment_ptr 1
		.amdhsa_user_sgpr_dispatch_id 0
		.amdhsa_user_sgpr_flat_scratch_init 0
		.amdhsa_user_sgpr_kernarg_preload_length 0
		.amdhsa_user_sgpr_kernarg_preload_offset 0
		.amdhsa_user_sgpr_private_segment_size 0
		.amdhsa_uses_dynamic_stack 0
		.amdhsa_system_sgpr_private_segment_wavefront_offset 0
		.amdhsa_system_sgpr_workgroup_id_x 1
		.amdhsa_system_sgpr_workgroup_id_y 0
		.amdhsa_system_sgpr_workgroup_id_z 0
		.amdhsa_system_sgpr_workgroup_info 0
		.amdhsa_system_vgpr_workitem_id 0
		.amdhsa_next_free_vgpr 1
		.amdhsa_next_free_sgpr 0
		.amdhsa_accum_offset 4
		.amdhsa_reserve_vcc 0
		.amdhsa_reserve_flat_scratch 0
		.amdhsa_float_round_mode_32 0
		.amdhsa_float_round_mode_16_64 0
		.amdhsa_float_denorm_mode_32 3
		.amdhsa_float_denorm_mode_16_64 3
		.amdhsa_dx10_clamp 1
		.amdhsa_ieee_mode 1
		.amdhsa_fp16_overflow 0
		.amdhsa_tg_split 0
		.amdhsa_exception_fp_ieee_invalid_op 0
		.amdhsa_exception_fp_denorm_src 0
		.amdhsa_exception_fp_ieee_div_zero 0
		.amdhsa_exception_fp_ieee_overflow 0
		.amdhsa_exception_fp_ieee_underflow 0
		.amdhsa_exception_fp_ieee_inexact 0
		.amdhsa_exception_int_div_zero 0
	.end_amdhsa_kernel
	.section	.text._ZN7rocprim17ROCPRIM_400000_NS6detail17trampoline_kernelINS0_14default_configENS1_38merge_sort_block_merge_config_selectorIsNS0_10empty_typeEEEZZNS1_27merge_sort_block_merge_implIS3_PsPS5_jNS1_19radix_merge_compareILb0ELb1EsNS0_19identity_decomposerEEEEE10hipError_tT0_T1_T2_jT3_P12ihipStream_tbPNSt15iterator_traitsISE_E10value_typeEPNSK_ISF_E10value_typeEPSG_NS1_7vsmem_tEENKUlT_SE_SF_SG_E_clIS8_S8_S9_S9_EESD_ST_SE_SF_SG_EUlST_E_NS1_11comp_targetILNS1_3genE8ELNS1_11target_archE1030ELNS1_3gpuE2ELNS1_3repE0EEENS1_48merge_mergepath_partition_config_static_selectorELNS0_4arch9wavefront6targetE1EEEvSF_,"axG",@progbits,_ZN7rocprim17ROCPRIM_400000_NS6detail17trampoline_kernelINS0_14default_configENS1_38merge_sort_block_merge_config_selectorIsNS0_10empty_typeEEEZZNS1_27merge_sort_block_merge_implIS3_PsPS5_jNS1_19radix_merge_compareILb0ELb1EsNS0_19identity_decomposerEEEEE10hipError_tT0_T1_T2_jT3_P12ihipStream_tbPNSt15iterator_traitsISE_E10value_typeEPNSK_ISF_E10value_typeEPSG_NS1_7vsmem_tEENKUlT_SE_SF_SG_E_clIS8_S8_S9_S9_EESD_ST_SE_SF_SG_EUlST_E_NS1_11comp_targetILNS1_3genE8ELNS1_11target_archE1030ELNS1_3gpuE2ELNS1_3repE0EEENS1_48merge_mergepath_partition_config_static_selectorELNS0_4arch9wavefront6targetE1EEEvSF_,comdat
.Lfunc_end395:
	.size	_ZN7rocprim17ROCPRIM_400000_NS6detail17trampoline_kernelINS0_14default_configENS1_38merge_sort_block_merge_config_selectorIsNS0_10empty_typeEEEZZNS1_27merge_sort_block_merge_implIS3_PsPS5_jNS1_19radix_merge_compareILb0ELb1EsNS0_19identity_decomposerEEEEE10hipError_tT0_T1_T2_jT3_P12ihipStream_tbPNSt15iterator_traitsISE_E10value_typeEPNSK_ISF_E10value_typeEPSG_NS1_7vsmem_tEENKUlT_SE_SF_SG_E_clIS8_S8_S9_S9_EESD_ST_SE_SF_SG_EUlST_E_NS1_11comp_targetILNS1_3genE8ELNS1_11target_archE1030ELNS1_3gpuE2ELNS1_3repE0EEENS1_48merge_mergepath_partition_config_static_selectorELNS0_4arch9wavefront6targetE1EEEvSF_, .Lfunc_end395-_ZN7rocprim17ROCPRIM_400000_NS6detail17trampoline_kernelINS0_14default_configENS1_38merge_sort_block_merge_config_selectorIsNS0_10empty_typeEEEZZNS1_27merge_sort_block_merge_implIS3_PsPS5_jNS1_19radix_merge_compareILb0ELb1EsNS0_19identity_decomposerEEEEE10hipError_tT0_T1_T2_jT3_P12ihipStream_tbPNSt15iterator_traitsISE_E10value_typeEPNSK_ISF_E10value_typeEPSG_NS1_7vsmem_tEENKUlT_SE_SF_SG_E_clIS8_S8_S9_S9_EESD_ST_SE_SF_SG_EUlST_E_NS1_11comp_targetILNS1_3genE8ELNS1_11target_archE1030ELNS1_3gpuE2ELNS1_3repE0EEENS1_48merge_mergepath_partition_config_static_selectorELNS0_4arch9wavefront6targetE1EEEvSF_
                                        ; -- End function
	.section	.AMDGPU.csdata,"",@progbits
; Kernel info:
; codeLenInByte = 0
; NumSgprs: 4
; NumVgprs: 0
; NumAgprs: 0
; TotalNumVgprs: 0
; ScratchSize: 0
; MemoryBound: 0
; FloatMode: 240
; IeeeMode: 1
; LDSByteSize: 0 bytes/workgroup (compile time only)
; SGPRBlocks: 0
; VGPRBlocks: 0
; NumSGPRsForWavesPerEU: 4
; NumVGPRsForWavesPerEU: 1
; AccumOffset: 4
; Occupancy: 8
; WaveLimiterHint : 0
; COMPUTE_PGM_RSRC2:SCRATCH_EN: 0
; COMPUTE_PGM_RSRC2:USER_SGPR: 6
; COMPUTE_PGM_RSRC2:TRAP_HANDLER: 0
; COMPUTE_PGM_RSRC2:TGID_X_EN: 1
; COMPUTE_PGM_RSRC2:TGID_Y_EN: 0
; COMPUTE_PGM_RSRC2:TGID_Z_EN: 0
; COMPUTE_PGM_RSRC2:TIDIG_COMP_CNT: 0
; COMPUTE_PGM_RSRC3_GFX90A:ACCUM_OFFSET: 0
; COMPUTE_PGM_RSRC3_GFX90A:TG_SPLIT: 0
	.section	.text._ZN7rocprim17ROCPRIM_400000_NS6detail17trampoline_kernelINS0_14default_configENS1_38merge_sort_block_merge_config_selectorIsNS0_10empty_typeEEEZZNS1_27merge_sort_block_merge_implIS3_PsPS5_jNS1_19radix_merge_compareILb0ELb1EsNS0_19identity_decomposerEEEEE10hipError_tT0_T1_T2_jT3_P12ihipStream_tbPNSt15iterator_traitsISE_E10value_typeEPNSK_ISF_E10value_typeEPSG_NS1_7vsmem_tEENKUlT_SE_SF_SG_E_clIS8_S8_S9_S9_EESD_ST_SE_SF_SG_EUlST_E0_NS1_11comp_targetILNS1_3genE0ELNS1_11target_archE4294967295ELNS1_3gpuE0ELNS1_3repE0EEENS1_38merge_mergepath_config_static_selectorELNS0_4arch9wavefront6targetE1EEEvSF_,"axG",@progbits,_ZN7rocprim17ROCPRIM_400000_NS6detail17trampoline_kernelINS0_14default_configENS1_38merge_sort_block_merge_config_selectorIsNS0_10empty_typeEEEZZNS1_27merge_sort_block_merge_implIS3_PsPS5_jNS1_19radix_merge_compareILb0ELb1EsNS0_19identity_decomposerEEEEE10hipError_tT0_T1_T2_jT3_P12ihipStream_tbPNSt15iterator_traitsISE_E10value_typeEPNSK_ISF_E10value_typeEPSG_NS1_7vsmem_tEENKUlT_SE_SF_SG_E_clIS8_S8_S9_S9_EESD_ST_SE_SF_SG_EUlST_E0_NS1_11comp_targetILNS1_3genE0ELNS1_11target_archE4294967295ELNS1_3gpuE0ELNS1_3repE0EEENS1_38merge_mergepath_config_static_selectorELNS0_4arch9wavefront6targetE1EEEvSF_,comdat
	.protected	_ZN7rocprim17ROCPRIM_400000_NS6detail17trampoline_kernelINS0_14default_configENS1_38merge_sort_block_merge_config_selectorIsNS0_10empty_typeEEEZZNS1_27merge_sort_block_merge_implIS3_PsPS5_jNS1_19radix_merge_compareILb0ELb1EsNS0_19identity_decomposerEEEEE10hipError_tT0_T1_T2_jT3_P12ihipStream_tbPNSt15iterator_traitsISE_E10value_typeEPNSK_ISF_E10value_typeEPSG_NS1_7vsmem_tEENKUlT_SE_SF_SG_E_clIS8_S8_S9_S9_EESD_ST_SE_SF_SG_EUlST_E0_NS1_11comp_targetILNS1_3genE0ELNS1_11target_archE4294967295ELNS1_3gpuE0ELNS1_3repE0EEENS1_38merge_mergepath_config_static_selectorELNS0_4arch9wavefront6targetE1EEEvSF_ ; -- Begin function _ZN7rocprim17ROCPRIM_400000_NS6detail17trampoline_kernelINS0_14default_configENS1_38merge_sort_block_merge_config_selectorIsNS0_10empty_typeEEEZZNS1_27merge_sort_block_merge_implIS3_PsPS5_jNS1_19radix_merge_compareILb0ELb1EsNS0_19identity_decomposerEEEEE10hipError_tT0_T1_T2_jT3_P12ihipStream_tbPNSt15iterator_traitsISE_E10value_typeEPNSK_ISF_E10value_typeEPSG_NS1_7vsmem_tEENKUlT_SE_SF_SG_E_clIS8_S8_S9_S9_EESD_ST_SE_SF_SG_EUlST_E0_NS1_11comp_targetILNS1_3genE0ELNS1_11target_archE4294967295ELNS1_3gpuE0ELNS1_3repE0EEENS1_38merge_mergepath_config_static_selectorELNS0_4arch9wavefront6targetE1EEEvSF_
	.globl	_ZN7rocprim17ROCPRIM_400000_NS6detail17trampoline_kernelINS0_14default_configENS1_38merge_sort_block_merge_config_selectorIsNS0_10empty_typeEEEZZNS1_27merge_sort_block_merge_implIS3_PsPS5_jNS1_19radix_merge_compareILb0ELb1EsNS0_19identity_decomposerEEEEE10hipError_tT0_T1_T2_jT3_P12ihipStream_tbPNSt15iterator_traitsISE_E10value_typeEPNSK_ISF_E10value_typeEPSG_NS1_7vsmem_tEENKUlT_SE_SF_SG_E_clIS8_S8_S9_S9_EESD_ST_SE_SF_SG_EUlST_E0_NS1_11comp_targetILNS1_3genE0ELNS1_11target_archE4294967295ELNS1_3gpuE0ELNS1_3repE0EEENS1_38merge_mergepath_config_static_selectorELNS0_4arch9wavefront6targetE1EEEvSF_
	.p2align	8
	.type	_ZN7rocprim17ROCPRIM_400000_NS6detail17trampoline_kernelINS0_14default_configENS1_38merge_sort_block_merge_config_selectorIsNS0_10empty_typeEEEZZNS1_27merge_sort_block_merge_implIS3_PsPS5_jNS1_19radix_merge_compareILb0ELb1EsNS0_19identity_decomposerEEEEE10hipError_tT0_T1_T2_jT3_P12ihipStream_tbPNSt15iterator_traitsISE_E10value_typeEPNSK_ISF_E10value_typeEPSG_NS1_7vsmem_tEENKUlT_SE_SF_SG_E_clIS8_S8_S9_S9_EESD_ST_SE_SF_SG_EUlST_E0_NS1_11comp_targetILNS1_3genE0ELNS1_11target_archE4294967295ELNS1_3gpuE0ELNS1_3repE0EEENS1_38merge_mergepath_config_static_selectorELNS0_4arch9wavefront6targetE1EEEvSF_,@function
_ZN7rocprim17ROCPRIM_400000_NS6detail17trampoline_kernelINS0_14default_configENS1_38merge_sort_block_merge_config_selectorIsNS0_10empty_typeEEEZZNS1_27merge_sort_block_merge_implIS3_PsPS5_jNS1_19radix_merge_compareILb0ELb1EsNS0_19identity_decomposerEEEEE10hipError_tT0_T1_T2_jT3_P12ihipStream_tbPNSt15iterator_traitsISE_E10value_typeEPNSK_ISF_E10value_typeEPSG_NS1_7vsmem_tEENKUlT_SE_SF_SG_E_clIS8_S8_S9_S9_EESD_ST_SE_SF_SG_EUlST_E0_NS1_11comp_targetILNS1_3genE0ELNS1_11target_archE4294967295ELNS1_3gpuE0ELNS1_3repE0EEENS1_38merge_mergepath_config_static_selectorELNS0_4arch9wavefront6targetE1EEEvSF_: ; @_ZN7rocprim17ROCPRIM_400000_NS6detail17trampoline_kernelINS0_14default_configENS1_38merge_sort_block_merge_config_selectorIsNS0_10empty_typeEEEZZNS1_27merge_sort_block_merge_implIS3_PsPS5_jNS1_19radix_merge_compareILb0ELb1EsNS0_19identity_decomposerEEEEE10hipError_tT0_T1_T2_jT3_P12ihipStream_tbPNSt15iterator_traitsISE_E10value_typeEPNSK_ISF_E10value_typeEPSG_NS1_7vsmem_tEENKUlT_SE_SF_SG_E_clIS8_S8_S9_S9_EESD_ST_SE_SF_SG_EUlST_E0_NS1_11comp_targetILNS1_3genE0ELNS1_11target_archE4294967295ELNS1_3gpuE0ELNS1_3repE0EEENS1_38merge_mergepath_config_static_selectorELNS0_4arch9wavefront6targetE1EEEvSF_
; %bb.0:
	.section	.rodata,"a",@progbits
	.p2align	6, 0x0
	.amdhsa_kernel _ZN7rocprim17ROCPRIM_400000_NS6detail17trampoline_kernelINS0_14default_configENS1_38merge_sort_block_merge_config_selectorIsNS0_10empty_typeEEEZZNS1_27merge_sort_block_merge_implIS3_PsPS5_jNS1_19radix_merge_compareILb0ELb1EsNS0_19identity_decomposerEEEEE10hipError_tT0_T1_T2_jT3_P12ihipStream_tbPNSt15iterator_traitsISE_E10value_typeEPNSK_ISF_E10value_typeEPSG_NS1_7vsmem_tEENKUlT_SE_SF_SG_E_clIS8_S8_S9_S9_EESD_ST_SE_SF_SG_EUlST_E0_NS1_11comp_targetILNS1_3genE0ELNS1_11target_archE4294967295ELNS1_3gpuE0ELNS1_3repE0EEENS1_38merge_mergepath_config_static_selectorELNS0_4arch9wavefront6targetE1EEEvSF_
		.amdhsa_group_segment_fixed_size 0
		.amdhsa_private_segment_fixed_size 0
		.amdhsa_kernarg_size 64
		.amdhsa_user_sgpr_count 6
		.amdhsa_user_sgpr_private_segment_buffer 1
		.amdhsa_user_sgpr_dispatch_ptr 0
		.amdhsa_user_sgpr_queue_ptr 0
		.amdhsa_user_sgpr_kernarg_segment_ptr 1
		.amdhsa_user_sgpr_dispatch_id 0
		.amdhsa_user_sgpr_flat_scratch_init 0
		.amdhsa_user_sgpr_kernarg_preload_length 0
		.amdhsa_user_sgpr_kernarg_preload_offset 0
		.amdhsa_user_sgpr_private_segment_size 0
		.amdhsa_uses_dynamic_stack 0
		.amdhsa_system_sgpr_private_segment_wavefront_offset 0
		.amdhsa_system_sgpr_workgroup_id_x 1
		.amdhsa_system_sgpr_workgroup_id_y 0
		.amdhsa_system_sgpr_workgroup_id_z 0
		.amdhsa_system_sgpr_workgroup_info 0
		.amdhsa_system_vgpr_workitem_id 0
		.amdhsa_next_free_vgpr 1
		.amdhsa_next_free_sgpr 0
		.amdhsa_accum_offset 4
		.amdhsa_reserve_vcc 0
		.amdhsa_reserve_flat_scratch 0
		.amdhsa_float_round_mode_32 0
		.amdhsa_float_round_mode_16_64 0
		.amdhsa_float_denorm_mode_32 3
		.amdhsa_float_denorm_mode_16_64 3
		.amdhsa_dx10_clamp 1
		.amdhsa_ieee_mode 1
		.amdhsa_fp16_overflow 0
		.amdhsa_tg_split 0
		.amdhsa_exception_fp_ieee_invalid_op 0
		.amdhsa_exception_fp_denorm_src 0
		.amdhsa_exception_fp_ieee_div_zero 0
		.amdhsa_exception_fp_ieee_overflow 0
		.amdhsa_exception_fp_ieee_underflow 0
		.amdhsa_exception_fp_ieee_inexact 0
		.amdhsa_exception_int_div_zero 0
	.end_amdhsa_kernel
	.section	.text._ZN7rocprim17ROCPRIM_400000_NS6detail17trampoline_kernelINS0_14default_configENS1_38merge_sort_block_merge_config_selectorIsNS0_10empty_typeEEEZZNS1_27merge_sort_block_merge_implIS3_PsPS5_jNS1_19radix_merge_compareILb0ELb1EsNS0_19identity_decomposerEEEEE10hipError_tT0_T1_T2_jT3_P12ihipStream_tbPNSt15iterator_traitsISE_E10value_typeEPNSK_ISF_E10value_typeEPSG_NS1_7vsmem_tEENKUlT_SE_SF_SG_E_clIS8_S8_S9_S9_EESD_ST_SE_SF_SG_EUlST_E0_NS1_11comp_targetILNS1_3genE0ELNS1_11target_archE4294967295ELNS1_3gpuE0ELNS1_3repE0EEENS1_38merge_mergepath_config_static_selectorELNS0_4arch9wavefront6targetE1EEEvSF_,"axG",@progbits,_ZN7rocprim17ROCPRIM_400000_NS6detail17trampoline_kernelINS0_14default_configENS1_38merge_sort_block_merge_config_selectorIsNS0_10empty_typeEEEZZNS1_27merge_sort_block_merge_implIS3_PsPS5_jNS1_19radix_merge_compareILb0ELb1EsNS0_19identity_decomposerEEEEE10hipError_tT0_T1_T2_jT3_P12ihipStream_tbPNSt15iterator_traitsISE_E10value_typeEPNSK_ISF_E10value_typeEPSG_NS1_7vsmem_tEENKUlT_SE_SF_SG_E_clIS8_S8_S9_S9_EESD_ST_SE_SF_SG_EUlST_E0_NS1_11comp_targetILNS1_3genE0ELNS1_11target_archE4294967295ELNS1_3gpuE0ELNS1_3repE0EEENS1_38merge_mergepath_config_static_selectorELNS0_4arch9wavefront6targetE1EEEvSF_,comdat
.Lfunc_end396:
	.size	_ZN7rocprim17ROCPRIM_400000_NS6detail17trampoline_kernelINS0_14default_configENS1_38merge_sort_block_merge_config_selectorIsNS0_10empty_typeEEEZZNS1_27merge_sort_block_merge_implIS3_PsPS5_jNS1_19radix_merge_compareILb0ELb1EsNS0_19identity_decomposerEEEEE10hipError_tT0_T1_T2_jT3_P12ihipStream_tbPNSt15iterator_traitsISE_E10value_typeEPNSK_ISF_E10value_typeEPSG_NS1_7vsmem_tEENKUlT_SE_SF_SG_E_clIS8_S8_S9_S9_EESD_ST_SE_SF_SG_EUlST_E0_NS1_11comp_targetILNS1_3genE0ELNS1_11target_archE4294967295ELNS1_3gpuE0ELNS1_3repE0EEENS1_38merge_mergepath_config_static_selectorELNS0_4arch9wavefront6targetE1EEEvSF_, .Lfunc_end396-_ZN7rocprim17ROCPRIM_400000_NS6detail17trampoline_kernelINS0_14default_configENS1_38merge_sort_block_merge_config_selectorIsNS0_10empty_typeEEEZZNS1_27merge_sort_block_merge_implIS3_PsPS5_jNS1_19radix_merge_compareILb0ELb1EsNS0_19identity_decomposerEEEEE10hipError_tT0_T1_T2_jT3_P12ihipStream_tbPNSt15iterator_traitsISE_E10value_typeEPNSK_ISF_E10value_typeEPSG_NS1_7vsmem_tEENKUlT_SE_SF_SG_E_clIS8_S8_S9_S9_EESD_ST_SE_SF_SG_EUlST_E0_NS1_11comp_targetILNS1_3genE0ELNS1_11target_archE4294967295ELNS1_3gpuE0ELNS1_3repE0EEENS1_38merge_mergepath_config_static_selectorELNS0_4arch9wavefront6targetE1EEEvSF_
                                        ; -- End function
	.section	.AMDGPU.csdata,"",@progbits
; Kernel info:
; codeLenInByte = 0
; NumSgprs: 4
; NumVgprs: 0
; NumAgprs: 0
; TotalNumVgprs: 0
; ScratchSize: 0
; MemoryBound: 0
; FloatMode: 240
; IeeeMode: 1
; LDSByteSize: 0 bytes/workgroup (compile time only)
; SGPRBlocks: 0
; VGPRBlocks: 0
; NumSGPRsForWavesPerEU: 4
; NumVGPRsForWavesPerEU: 1
; AccumOffset: 4
; Occupancy: 8
; WaveLimiterHint : 0
; COMPUTE_PGM_RSRC2:SCRATCH_EN: 0
; COMPUTE_PGM_RSRC2:USER_SGPR: 6
; COMPUTE_PGM_RSRC2:TRAP_HANDLER: 0
; COMPUTE_PGM_RSRC2:TGID_X_EN: 1
; COMPUTE_PGM_RSRC2:TGID_Y_EN: 0
; COMPUTE_PGM_RSRC2:TGID_Z_EN: 0
; COMPUTE_PGM_RSRC2:TIDIG_COMP_CNT: 0
; COMPUTE_PGM_RSRC3_GFX90A:ACCUM_OFFSET: 0
; COMPUTE_PGM_RSRC3_GFX90A:TG_SPLIT: 0
	.section	.text._ZN7rocprim17ROCPRIM_400000_NS6detail17trampoline_kernelINS0_14default_configENS1_38merge_sort_block_merge_config_selectorIsNS0_10empty_typeEEEZZNS1_27merge_sort_block_merge_implIS3_PsPS5_jNS1_19radix_merge_compareILb0ELb1EsNS0_19identity_decomposerEEEEE10hipError_tT0_T1_T2_jT3_P12ihipStream_tbPNSt15iterator_traitsISE_E10value_typeEPNSK_ISF_E10value_typeEPSG_NS1_7vsmem_tEENKUlT_SE_SF_SG_E_clIS8_S8_S9_S9_EESD_ST_SE_SF_SG_EUlST_E0_NS1_11comp_targetILNS1_3genE10ELNS1_11target_archE1201ELNS1_3gpuE5ELNS1_3repE0EEENS1_38merge_mergepath_config_static_selectorELNS0_4arch9wavefront6targetE1EEEvSF_,"axG",@progbits,_ZN7rocprim17ROCPRIM_400000_NS6detail17trampoline_kernelINS0_14default_configENS1_38merge_sort_block_merge_config_selectorIsNS0_10empty_typeEEEZZNS1_27merge_sort_block_merge_implIS3_PsPS5_jNS1_19radix_merge_compareILb0ELb1EsNS0_19identity_decomposerEEEEE10hipError_tT0_T1_T2_jT3_P12ihipStream_tbPNSt15iterator_traitsISE_E10value_typeEPNSK_ISF_E10value_typeEPSG_NS1_7vsmem_tEENKUlT_SE_SF_SG_E_clIS8_S8_S9_S9_EESD_ST_SE_SF_SG_EUlST_E0_NS1_11comp_targetILNS1_3genE10ELNS1_11target_archE1201ELNS1_3gpuE5ELNS1_3repE0EEENS1_38merge_mergepath_config_static_selectorELNS0_4arch9wavefront6targetE1EEEvSF_,comdat
	.protected	_ZN7rocprim17ROCPRIM_400000_NS6detail17trampoline_kernelINS0_14default_configENS1_38merge_sort_block_merge_config_selectorIsNS0_10empty_typeEEEZZNS1_27merge_sort_block_merge_implIS3_PsPS5_jNS1_19radix_merge_compareILb0ELb1EsNS0_19identity_decomposerEEEEE10hipError_tT0_T1_T2_jT3_P12ihipStream_tbPNSt15iterator_traitsISE_E10value_typeEPNSK_ISF_E10value_typeEPSG_NS1_7vsmem_tEENKUlT_SE_SF_SG_E_clIS8_S8_S9_S9_EESD_ST_SE_SF_SG_EUlST_E0_NS1_11comp_targetILNS1_3genE10ELNS1_11target_archE1201ELNS1_3gpuE5ELNS1_3repE0EEENS1_38merge_mergepath_config_static_selectorELNS0_4arch9wavefront6targetE1EEEvSF_ ; -- Begin function _ZN7rocprim17ROCPRIM_400000_NS6detail17trampoline_kernelINS0_14default_configENS1_38merge_sort_block_merge_config_selectorIsNS0_10empty_typeEEEZZNS1_27merge_sort_block_merge_implIS3_PsPS5_jNS1_19radix_merge_compareILb0ELb1EsNS0_19identity_decomposerEEEEE10hipError_tT0_T1_T2_jT3_P12ihipStream_tbPNSt15iterator_traitsISE_E10value_typeEPNSK_ISF_E10value_typeEPSG_NS1_7vsmem_tEENKUlT_SE_SF_SG_E_clIS8_S8_S9_S9_EESD_ST_SE_SF_SG_EUlST_E0_NS1_11comp_targetILNS1_3genE10ELNS1_11target_archE1201ELNS1_3gpuE5ELNS1_3repE0EEENS1_38merge_mergepath_config_static_selectorELNS0_4arch9wavefront6targetE1EEEvSF_
	.globl	_ZN7rocprim17ROCPRIM_400000_NS6detail17trampoline_kernelINS0_14default_configENS1_38merge_sort_block_merge_config_selectorIsNS0_10empty_typeEEEZZNS1_27merge_sort_block_merge_implIS3_PsPS5_jNS1_19radix_merge_compareILb0ELb1EsNS0_19identity_decomposerEEEEE10hipError_tT0_T1_T2_jT3_P12ihipStream_tbPNSt15iterator_traitsISE_E10value_typeEPNSK_ISF_E10value_typeEPSG_NS1_7vsmem_tEENKUlT_SE_SF_SG_E_clIS8_S8_S9_S9_EESD_ST_SE_SF_SG_EUlST_E0_NS1_11comp_targetILNS1_3genE10ELNS1_11target_archE1201ELNS1_3gpuE5ELNS1_3repE0EEENS1_38merge_mergepath_config_static_selectorELNS0_4arch9wavefront6targetE1EEEvSF_
	.p2align	8
	.type	_ZN7rocprim17ROCPRIM_400000_NS6detail17trampoline_kernelINS0_14default_configENS1_38merge_sort_block_merge_config_selectorIsNS0_10empty_typeEEEZZNS1_27merge_sort_block_merge_implIS3_PsPS5_jNS1_19radix_merge_compareILb0ELb1EsNS0_19identity_decomposerEEEEE10hipError_tT0_T1_T2_jT3_P12ihipStream_tbPNSt15iterator_traitsISE_E10value_typeEPNSK_ISF_E10value_typeEPSG_NS1_7vsmem_tEENKUlT_SE_SF_SG_E_clIS8_S8_S9_S9_EESD_ST_SE_SF_SG_EUlST_E0_NS1_11comp_targetILNS1_3genE10ELNS1_11target_archE1201ELNS1_3gpuE5ELNS1_3repE0EEENS1_38merge_mergepath_config_static_selectorELNS0_4arch9wavefront6targetE1EEEvSF_,@function
_ZN7rocprim17ROCPRIM_400000_NS6detail17trampoline_kernelINS0_14default_configENS1_38merge_sort_block_merge_config_selectorIsNS0_10empty_typeEEEZZNS1_27merge_sort_block_merge_implIS3_PsPS5_jNS1_19radix_merge_compareILb0ELb1EsNS0_19identity_decomposerEEEEE10hipError_tT0_T1_T2_jT3_P12ihipStream_tbPNSt15iterator_traitsISE_E10value_typeEPNSK_ISF_E10value_typeEPSG_NS1_7vsmem_tEENKUlT_SE_SF_SG_E_clIS8_S8_S9_S9_EESD_ST_SE_SF_SG_EUlST_E0_NS1_11comp_targetILNS1_3genE10ELNS1_11target_archE1201ELNS1_3gpuE5ELNS1_3repE0EEENS1_38merge_mergepath_config_static_selectorELNS0_4arch9wavefront6targetE1EEEvSF_: ; @_ZN7rocprim17ROCPRIM_400000_NS6detail17trampoline_kernelINS0_14default_configENS1_38merge_sort_block_merge_config_selectorIsNS0_10empty_typeEEEZZNS1_27merge_sort_block_merge_implIS3_PsPS5_jNS1_19radix_merge_compareILb0ELb1EsNS0_19identity_decomposerEEEEE10hipError_tT0_T1_T2_jT3_P12ihipStream_tbPNSt15iterator_traitsISE_E10value_typeEPNSK_ISF_E10value_typeEPSG_NS1_7vsmem_tEENKUlT_SE_SF_SG_E_clIS8_S8_S9_S9_EESD_ST_SE_SF_SG_EUlST_E0_NS1_11comp_targetILNS1_3genE10ELNS1_11target_archE1201ELNS1_3gpuE5ELNS1_3repE0EEENS1_38merge_mergepath_config_static_selectorELNS0_4arch9wavefront6targetE1EEEvSF_
; %bb.0:
	.section	.rodata,"a",@progbits
	.p2align	6, 0x0
	.amdhsa_kernel _ZN7rocprim17ROCPRIM_400000_NS6detail17trampoline_kernelINS0_14default_configENS1_38merge_sort_block_merge_config_selectorIsNS0_10empty_typeEEEZZNS1_27merge_sort_block_merge_implIS3_PsPS5_jNS1_19radix_merge_compareILb0ELb1EsNS0_19identity_decomposerEEEEE10hipError_tT0_T1_T2_jT3_P12ihipStream_tbPNSt15iterator_traitsISE_E10value_typeEPNSK_ISF_E10value_typeEPSG_NS1_7vsmem_tEENKUlT_SE_SF_SG_E_clIS8_S8_S9_S9_EESD_ST_SE_SF_SG_EUlST_E0_NS1_11comp_targetILNS1_3genE10ELNS1_11target_archE1201ELNS1_3gpuE5ELNS1_3repE0EEENS1_38merge_mergepath_config_static_selectorELNS0_4arch9wavefront6targetE1EEEvSF_
		.amdhsa_group_segment_fixed_size 0
		.amdhsa_private_segment_fixed_size 0
		.amdhsa_kernarg_size 64
		.amdhsa_user_sgpr_count 6
		.amdhsa_user_sgpr_private_segment_buffer 1
		.amdhsa_user_sgpr_dispatch_ptr 0
		.amdhsa_user_sgpr_queue_ptr 0
		.amdhsa_user_sgpr_kernarg_segment_ptr 1
		.amdhsa_user_sgpr_dispatch_id 0
		.amdhsa_user_sgpr_flat_scratch_init 0
		.amdhsa_user_sgpr_kernarg_preload_length 0
		.amdhsa_user_sgpr_kernarg_preload_offset 0
		.amdhsa_user_sgpr_private_segment_size 0
		.amdhsa_uses_dynamic_stack 0
		.amdhsa_system_sgpr_private_segment_wavefront_offset 0
		.amdhsa_system_sgpr_workgroup_id_x 1
		.amdhsa_system_sgpr_workgroup_id_y 0
		.amdhsa_system_sgpr_workgroup_id_z 0
		.amdhsa_system_sgpr_workgroup_info 0
		.amdhsa_system_vgpr_workitem_id 0
		.amdhsa_next_free_vgpr 1
		.amdhsa_next_free_sgpr 0
		.amdhsa_accum_offset 4
		.amdhsa_reserve_vcc 0
		.amdhsa_reserve_flat_scratch 0
		.amdhsa_float_round_mode_32 0
		.amdhsa_float_round_mode_16_64 0
		.amdhsa_float_denorm_mode_32 3
		.amdhsa_float_denorm_mode_16_64 3
		.amdhsa_dx10_clamp 1
		.amdhsa_ieee_mode 1
		.amdhsa_fp16_overflow 0
		.amdhsa_tg_split 0
		.amdhsa_exception_fp_ieee_invalid_op 0
		.amdhsa_exception_fp_denorm_src 0
		.amdhsa_exception_fp_ieee_div_zero 0
		.amdhsa_exception_fp_ieee_overflow 0
		.amdhsa_exception_fp_ieee_underflow 0
		.amdhsa_exception_fp_ieee_inexact 0
		.amdhsa_exception_int_div_zero 0
	.end_amdhsa_kernel
	.section	.text._ZN7rocprim17ROCPRIM_400000_NS6detail17trampoline_kernelINS0_14default_configENS1_38merge_sort_block_merge_config_selectorIsNS0_10empty_typeEEEZZNS1_27merge_sort_block_merge_implIS3_PsPS5_jNS1_19radix_merge_compareILb0ELb1EsNS0_19identity_decomposerEEEEE10hipError_tT0_T1_T2_jT3_P12ihipStream_tbPNSt15iterator_traitsISE_E10value_typeEPNSK_ISF_E10value_typeEPSG_NS1_7vsmem_tEENKUlT_SE_SF_SG_E_clIS8_S8_S9_S9_EESD_ST_SE_SF_SG_EUlST_E0_NS1_11comp_targetILNS1_3genE10ELNS1_11target_archE1201ELNS1_3gpuE5ELNS1_3repE0EEENS1_38merge_mergepath_config_static_selectorELNS0_4arch9wavefront6targetE1EEEvSF_,"axG",@progbits,_ZN7rocprim17ROCPRIM_400000_NS6detail17trampoline_kernelINS0_14default_configENS1_38merge_sort_block_merge_config_selectorIsNS0_10empty_typeEEEZZNS1_27merge_sort_block_merge_implIS3_PsPS5_jNS1_19radix_merge_compareILb0ELb1EsNS0_19identity_decomposerEEEEE10hipError_tT0_T1_T2_jT3_P12ihipStream_tbPNSt15iterator_traitsISE_E10value_typeEPNSK_ISF_E10value_typeEPSG_NS1_7vsmem_tEENKUlT_SE_SF_SG_E_clIS8_S8_S9_S9_EESD_ST_SE_SF_SG_EUlST_E0_NS1_11comp_targetILNS1_3genE10ELNS1_11target_archE1201ELNS1_3gpuE5ELNS1_3repE0EEENS1_38merge_mergepath_config_static_selectorELNS0_4arch9wavefront6targetE1EEEvSF_,comdat
.Lfunc_end397:
	.size	_ZN7rocprim17ROCPRIM_400000_NS6detail17trampoline_kernelINS0_14default_configENS1_38merge_sort_block_merge_config_selectorIsNS0_10empty_typeEEEZZNS1_27merge_sort_block_merge_implIS3_PsPS5_jNS1_19radix_merge_compareILb0ELb1EsNS0_19identity_decomposerEEEEE10hipError_tT0_T1_T2_jT3_P12ihipStream_tbPNSt15iterator_traitsISE_E10value_typeEPNSK_ISF_E10value_typeEPSG_NS1_7vsmem_tEENKUlT_SE_SF_SG_E_clIS8_S8_S9_S9_EESD_ST_SE_SF_SG_EUlST_E0_NS1_11comp_targetILNS1_3genE10ELNS1_11target_archE1201ELNS1_3gpuE5ELNS1_3repE0EEENS1_38merge_mergepath_config_static_selectorELNS0_4arch9wavefront6targetE1EEEvSF_, .Lfunc_end397-_ZN7rocprim17ROCPRIM_400000_NS6detail17trampoline_kernelINS0_14default_configENS1_38merge_sort_block_merge_config_selectorIsNS0_10empty_typeEEEZZNS1_27merge_sort_block_merge_implIS3_PsPS5_jNS1_19radix_merge_compareILb0ELb1EsNS0_19identity_decomposerEEEEE10hipError_tT0_T1_T2_jT3_P12ihipStream_tbPNSt15iterator_traitsISE_E10value_typeEPNSK_ISF_E10value_typeEPSG_NS1_7vsmem_tEENKUlT_SE_SF_SG_E_clIS8_S8_S9_S9_EESD_ST_SE_SF_SG_EUlST_E0_NS1_11comp_targetILNS1_3genE10ELNS1_11target_archE1201ELNS1_3gpuE5ELNS1_3repE0EEENS1_38merge_mergepath_config_static_selectorELNS0_4arch9wavefront6targetE1EEEvSF_
                                        ; -- End function
	.section	.AMDGPU.csdata,"",@progbits
; Kernel info:
; codeLenInByte = 0
; NumSgprs: 4
; NumVgprs: 0
; NumAgprs: 0
; TotalNumVgprs: 0
; ScratchSize: 0
; MemoryBound: 0
; FloatMode: 240
; IeeeMode: 1
; LDSByteSize: 0 bytes/workgroup (compile time only)
; SGPRBlocks: 0
; VGPRBlocks: 0
; NumSGPRsForWavesPerEU: 4
; NumVGPRsForWavesPerEU: 1
; AccumOffset: 4
; Occupancy: 8
; WaveLimiterHint : 0
; COMPUTE_PGM_RSRC2:SCRATCH_EN: 0
; COMPUTE_PGM_RSRC2:USER_SGPR: 6
; COMPUTE_PGM_RSRC2:TRAP_HANDLER: 0
; COMPUTE_PGM_RSRC2:TGID_X_EN: 1
; COMPUTE_PGM_RSRC2:TGID_Y_EN: 0
; COMPUTE_PGM_RSRC2:TGID_Z_EN: 0
; COMPUTE_PGM_RSRC2:TIDIG_COMP_CNT: 0
; COMPUTE_PGM_RSRC3_GFX90A:ACCUM_OFFSET: 0
; COMPUTE_PGM_RSRC3_GFX90A:TG_SPLIT: 0
	.section	.text._ZN7rocprim17ROCPRIM_400000_NS6detail17trampoline_kernelINS0_14default_configENS1_38merge_sort_block_merge_config_selectorIsNS0_10empty_typeEEEZZNS1_27merge_sort_block_merge_implIS3_PsPS5_jNS1_19radix_merge_compareILb0ELb1EsNS0_19identity_decomposerEEEEE10hipError_tT0_T1_T2_jT3_P12ihipStream_tbPNSt15iterator_traitsISE_E10value_typeEPNSK_ISF_E10value_typeEPSG_NS1_7vsmem_tEENKUlT_SE_SF_SG_E_clIS8_S8_S9_S9_EESD_ST_SE_SF_SG_EUlST_E0_NS1_11comp_targetILNS1_3genE5ELNS1_11target_archE942ELNS1_3gpuE9ELNS1_3repE0EEENS1_38merge_mergepath_config_static_selectorELNS0_4arch9wavefront6targetE1EEEvSF_,"axG",@progbits,_ZN7rocprim17ROCPRIM_400000_NS6detail17trampoline_kernelINS0_14default_configENS1_38merge_sort_block_merge_config_selectorIsNS0_10empty_typeEEEZZNS1_27merge_sort_block_merge_implIS3_PsPS5_jNS1_19radix_merge_compareILb0ELb1EsNS0_19identity_decomposerEEEEE10hipError_tT0_T1_T2_jT3_P12ihipStream_tbPNSt15iterator_traitsISE_E10value_typeEPNSK_ISF_E10value_typeEPSG_NS1_7vsmem_tEENKUlT_SE_SF_SG_E_clIS8_S8_S9_S9_EESD_ST_SE_SF_SG_EUlST_E0_NS1_11comp_targetILNS1_3genE5ELNS1_11target_archE942ELNS1_3gpuE9ELNS1_3repE0EEENS1_38merge_mergepath_config_static_selectorELNS0_4arch9wavefront6targetE1EEEvSF_,comdat
	.protected	_ZN7rocprim17ROCPRIM_400000_NS6detail17trampoline_kernelINS0_14default_configENS1_38merge_sort_block_merge_config_selectorIsNS0_10empty_typeEEEZZNS1_27merge_sort_block_merge_implIS3_PsPS5_jNS1_19radix_merge_compareILb0ELb1EsNS0_19identity_decomposerEEEEE10hipError_tT0_T1_T2_jT3_P12ihipStream_tbPNSt15iterator_traitsISE_E10value_typeEPNSK_ISF_E10value_typeEPSG_NS1_7vsmem_tEENKUlT_SE_SF_SG_E_clIS8_S8_S9_S9_EESD_ST_SE_SF_SG_EUlST_E0_NS1_11comp_targetILNS1_3genE5ELNS1_11target_archE942ELNS1_3gpuE9ELNS1_3repE0EEENS1_38merge_mergepath_config_static_selectorELNS0_4arch9wavefront6targetE1EEEvSF_ ; -- Begin function _ZN7rocprim17ROCPRIM_400000_NS6detail17trampoline_kernelINS0_14default_configENS1_38merge_sort_block_merge_config_selectorIsNS0_10empty_typeEEEZZNS1_27merge_sort_block_merge_implIS3_PsPS5_jNS1_19radix_merge_compareILb0ELb1EsNS0_19identity_decomposerEEEEE10hipError_tT0_T1_T2_jT3_P12ihipStream_tbPNSt15iterator_traitsISE_E10value_typeEPNSK_ISF_E10value_typeEPSG_NS1_7vsmem_tEENKUlT_SE_SF_SG_E_clIS8_S8_S9_S9_EESD_ST_SE_SF_SG_EUlST_E0_NS1_11comp_targetILNS1_3genE5ELNS1_11target_archE942ELNS1_3gpuE9ELNS1_3repE0EEENS1_38merge_mergepath_config_static_selectorELNS0_4arch9wavefront6targetE1EEEvSF_
	.globl	_ZN7rocprim17ROCPRIM_400000_NS6detail17trampoline_kernelINS0_14default_configENS1_38merge_sort_block_merge_config_selectorIsNS0_10empty_typeEEEZZNS1_27merge_sort_block_merge_implIS3_PsPS5_jNS1_19radix_merge_compareILb0ELb1EsNS0_19identity_decomposerEEEEE10hipError_tT0_T1_T2_jT3_P12ihipStream_tbPNSt15iterator_traitsISE_E10value_typeEPNSK_ISF_E10value_typeEPSG_NS1_7vsmem_tEENKUlT_SE_SF_SG_E_clIS8_S8_S9_S9_EESD_ST_SE_SF_SG_EUlST_E0_NS1_11comp_targetILNS1_3genE5ELNS1_11target_archE942ELNS1_3gpuE9ELNS1_3repE0EEENS1_38merge_mergepath_config_static_selectorELNS0_4arch9wavefront6targetE1EEEvSF_
	.p2align	8
	.type	_ZN7rocprim17ROCPRIM_400000_NS6detail17trampoline_kernelINS0_14default_configENS1_38merge_sort_block_merge_config_selectorIsNS0_10empty_typeEEEZZNS1_27merge_sort_block_merge_implIS3_PsPS5_jNS1_19radix_merge_compareILb0ELb1EsNS0_19identity_decomposerEEEEE10hipError_tT0_T1_T2_jT3_P12ihipStream_tbPNSt15iterator_traitsISE_E10value_typeEPNSK_ISF_E10value_typeEPSG_NS1_7vsmem_tEENKUlT_SE_SF_SG_E_clIS8_S8_S9_S9_EESD_ST_SE_SF_SG_EUlST_E0_NS1_11comp_targetILNS1_3genE5ELNS1_11target_archE942ELNS1_3gpuE9ELNS1_3repE0EEENS1_38merge_mergepath_config_static_selectorELNS0_4arch9wavefront6targetE1EEEvSF_,@function
_ZN7rocprim17ROCPRIM_400000_NS6detail17trampoline_kernelINS0_14default_configENS1_38merge_sort_block_merge_config_selectorIsNS0_10empty_typeEEEZZNS1_27merge_sort_block_merge_implIS3_PsPS5_jNS1_19radix_merge_compareILb0ELb1EsNS0_19identity_decomposerEEEEE10hipError_tT0_T1_T2_jT3_P12ihipStream_tbPNSt15iterator_traitsISE_E10value_typeEPNSK_ISF_E10value_typeEPSG_NS1_7vsmem_tEENKUlT_SE_SF_SG_E_clIS8_S8_S9_S9_EESD_ST_SE_SF_SG_EUlST_E0_NS1_11comp_targetILNS1_3genE5ELNS1_11target_archE942ELNS1_3gpuE9ELNS1_3repE0EEENS1_38merge_mergepath_config_static_selectorELNS0_4arch9wavefront6targetE1EEEvSF_: ; @_ZN7rocprim17ROCPRIM_400000_NS6detail17trampoline_kernelINS0_14default_configENS1_38merge_sort_block_merge_config_selectorIsNS0_10empty_typeEEEZZNS1_27merge_sort_block_merge_implIS3_PsPS5_jNS1_19radix_merge_compareILb0ELb1EsNS0_19identity_decomposerEEEEE10hipError_tT0_T1_T2_jT3_P12ihipStream_tbPNSt15iterator_traitsISE_E10value_typeEPNSK_ISF_E10value_typeEPSG_NS1_7vsmem_tEENKUlT_SE_SF_SG_E_clIS8_S8_S9_S9_EESD_ST_SE_SF_SG_EUlST_E0_NS1_11comp_targetILNS1_3genE5ELNS1_11target_archE942ELNS1_3gpuE9ELNS1_3repE0EEENS1_38merge_mergepath_config_static_selectorELNS0_4arch9wavefront6targetE1EEEvSF_
; %bb.0:
	.section	.rodata,"a",@progbits
	.p2align	6, 0x0
	.amdhsa_kernel _ZN7rocprim17ROCPRIM_400000_NS6detail17trampoline_kernelINS0_14default_configENS1_38merge_sort_block_merge_config_selectorIsNS0_10empty_typeEEEZZNS1_27merge_sort_block_merge_implIS3_PsPS5_jNS1_19radix_merge_compareILb0ELb1EsNS0_19identity_decomposerEEEEE10hipError_tT0_T1_T2_jT3_P12ihipStream_tbPNSt15iterator_traitsISE_E10value_typeEPNSK_ISF_E10value_typeEPSG_NS1_7vsmem_tEENKUlT_SE_SF_SG_E_clIS8_S8_S9_S9_EESD_ST_SE_SF_SG_EUlST_E0_NS1_11comp_targetILNS1_3genE5ELNS1_11target_archE942ELNS1_3gpuE9ELNS1_3repE0EEENS1_38merge_mergepath_config_static_selectorELNS0_4arch9wavefront6targetE1EEEvSF_
		.amdhsa_group_segment_fixed_size 0
		.amdhsa_private_segment_fixed_size 0
		.amdhsa_kernarg_size 64
		.amdhsa_user_sgpr_count 6
		.amdhsa_user_sgpr_private_segment_buffer 1
		.amdhsa_user_sgpr_dispatch_ptr 0
		.amdhsa_user_sgpr_queue_ptr 0
		.amdhsa_user_sgpr_kernarg_segment_ptr 1
		.amdhsa_user_sgpr_dispatch_id 0
		.amdhsa_user_sgpr_flat_scratch_init 0
		.amdhsa_user_sgpr_kernarg_preload_length 0
		.amdhsa_user_sgpr_kernarg_preload_offset 0
		.amdhsa_user_sgpr_private_segment_size 0
		.amdhsa_uses_dynamic_stack 0
		.amdhsa_system_sgpr_private_segment_wavefront_offset 0
		.amdhsa_system_sgpr_workgroup_id_x 1
		.amdhsa_system_sgpr_workgroup_id_y 0
		.amdhsa_system_sgpr_workgroup_id_z 0
		.amdhsa_system_sgpr_workgroup_info 0
		.amdhsa_system_vgpr_workitem_id 0
		.amdhsa_next_free_vgpr 1
		.amdhsa_next_free_sgpr 0
		.amdhsa_accum_offset 4
		.amdhsa_reserve_vcc 0
		.amdhsa_reserve_flat_scratch 0
		.amdhsa_float_round_mode_32 0
		.amdhsa_float_round_mode_16_64 0
		.amdhsa_float_denorm_mode_32 3
		.amdhsa_float_denorm_mode_16_64 3
		.amdhsa_dx10_clamp 1
		.amdhsa_ieee_mode 1
		.amdhsa_fp16_overflow 0
		.amdhsa_tg_split 0
		.amdhsa_exception_fp_ieee_invalid_op 0
		.amdhsa_exception_fp_denorm_src 0
		.amdhsa_exception_fp_ieee_div_zero 0
		.amdhsa_exception_fp_ieee_overflow 0
		.amdhsa_exception_fp_ieee_underflow 0
		.amdhsa_exception_fp_ieee_inexact 0
		.amdhsa_exception_int_div_zero 0
	.end_amdhsa_kernel
	.section	.text._ZN7rocprim17ROCPRIM_400000_NS6detail17trampoline_kernelINS0_14default_configENS1_38merge_sort_block_merge_config_selectorIsNS0_10empty_typeEEEZZNS1_27merge_sort_block_merge_implIS3_PsPS5_jNS1_19radix_merge_compareILb0ELb1EsNS0_19identity_decomposerEEEEE10hipError_tT0_T1_T2_jT3_P12ihipStream_tbPNSt15iterator_traitsISE_E10value_typeEPNSK_ISF_E10value_typeEPSG_NS1_7vsmem_tEENKUlT_SE_SF_SG_E_clIS8_S8_S9_S9_EESD_ST_SE_SF_SG_EUlST_E0_NS1_11comp_targetILNS1_3genE5ELNS1_11target_archE942ELNS1_3gpuE9ELNS1_3repE0EEENS1_38merge_mergepath_config_static_selectorELNS0_4arch9wavefront6targetE1EEEvSF_,"axG",@progbits,_ZN7rocprim17ROCPRIM_400000_NS6detail17trampoline_kernelINS0_14default_configENS1_38merge_sort_block_merge_config_selectorIsNS0_10empty_typeEEEZZNS1_27merge_sort_block_merge_implIS3_PsPS5_jNS1_19radix_merge_compareILb0ELb1EsNS0_19identity_decomposerEEEEE10hipError_tT0_T1_T2_jT3_P12ihipStream_tbPNSt15iterator_traitsISE_E10value_typeEPNSK_ISF_E10value_typeEPSG_NS1_7vsmem_tEENKUlT_SE_SF_SG_E_clIS8_S8_S9_S9_EESD_ST_SE_SF_SG_EUlST_E0_NS1_11comp_targetILNS1_3genE5ELNS1_11target_archE942ELNS1_3gpuE9ELNS1_3repE0EEENS1_38merge_mergepath_config_static_selectorELNS0_4arch9wavefront6targetE1EEEvSF_,comdat
.Lfunc_end398:
	.size	_ZN7rocprim17ROCPRIM_400000_NS6detail17trampoline_kernelINS0_14default_configENS1_38merge_sort_block_merge_config_selectorIsNS0_10empty_typeEEEZZNS1_27merge_sort_block_merge_implIS3_PsPS5_jNS1_19radix_merge_compareILb0ELb1EsNS0_19identity_decomposerEEEEE10hipError_tT0_T1_T2_jT3_P12ihipStream_tbPNSt15iterator_traitsISE_E10value_typeEPNSK_ISF_E10value_typeEPSG_NS1_7vsmem_tEENKUlT_SE_SF_SG_E_clIS8_S8_S9_S9_EESD_ST_SE_SF_SG_EUlST_E0_NS1_11comp_targetILNS1_3genE5ELNS1_11target_archE942ELNS1_3gpuE9ELNS1_3repE0EEENS1_38merge_mergepath_config_static_selectorELNS0_4arch9wavefront6targetE1EEEvSF_, .Lfunc_end398-_ZN7rocprim17ROCPRIM_400000_NS6detail17trampoline_kernelINS0_14default_configENS1_38merge_sort_block_merge_config_selectorIsNS0_10empty_typeEEEZZNS1_27merge_sort_block_merge_implIS3_PsPS5_jNS1_19radix_merge_compareILb0ELb1EsNS0_19identity_decomposerEEEEE10hipError_tT0_T1_T2_jT3_P12ihipStream_tbPNSt15iterator_traitsISE_E10value_typeEPNSK_ISF_E10value_typeEPSG_NS1_7vsmem_tEENKUlT_SE_SF_SG_E_clIS8_S8_S9_S9_EESD_ST_SE_SF_SG_EUlST_E0_NS1_11comp_targetILNS1_3genE5ELNS1_11target_archE942ELNS1_3gpuE9ELNS1_3repE0EEENS1_38merge_mergepath_config_static_selectorELNS0_4arch9wavefront6targetE1EEEvSF_
                                        ; -- End function
	.section	.AMDGPU.csdata,"",@progbits
; Kernel info:
; codeLenInByte = 0
; NumSgprs: 4
; NumVgprs: 0
; NumAgprs: 0
; TotalNumVgprs: 0
; ScratchSize: 0
; MemoryBound: 0
; FloatMode: 240
; IeeeMode: 1
; LDSByteSize: 0 bytes/workgroup (compile time only)
; SGPRBlocks: 0
; VGPRBlocks: 0
; NumSGPRsForWavesPerEU: 4
; NumVGPRsForWavesPerEU: 1
; AccumOffset: 4
; Occupancy: 8
; WaveLimiterHint : 0
; COMPUTE_PGM_RSRC2:SCRATCH_EN: 0
; COMPUTE_PGM_RSRC2:USER_SGPR: 6
; COMPUTE_PGM_RSRC2:TRAP_HANDLER: 0
; COMPUTE_PGM_RSRC2:TGID_X_EN: 1
; COMPUTE_PGM_RSRC2:TGID_Y_EN: 0
; COMPUTE_PGM_RSRC2:TGID_Z_EN: 0
; COMPUTE_PGM_RSRC2:TIDIG_COMP_CNT: 0
; COMPUTE_PGM_RSRC3_GFX90A:ACCUM_OFFSET: 0
; COMPUTE_PGM_RSRC3_GFX90A:TG_SPLIT: 0
	.section	.text._ZN7rocprim17ROCPRIM_400000_NS6detail17trampoline_kernelINS0_14default_configENS1_38merge_sort_block_merge_config_selectorIsNS0_10empty_typeEEEZZNS1_27merge_sort_block_merge_implIS3_PsPS5_jNS1_19radix_merge_compareILb0ELb1EsNS0_19identity_decomposerEEEEE10hipError_tT0_T1_T2_jT3_P12ihipStream_tbPNSt15iterator_traitsISE_E10value_typeEPNSK_ISF_E10value_typeEPSG_NS1_7vsmem_tEENKUlT_SE_SF_SG_E_clIS8_S8_S9_S9_EESD_ST_SE_SF_SG_EUlST_E0_NS1_11comp_targetILNS1_3genE4ELNS1_11target_archE910ELNS1_3gpuE8ELNS1_3repE0EEENS1_38merge_mergepath_config_static_selectorELNS0_4arch9wavefront6targetE1EEEvSF_,"axG",@progbits,_ZN7rocprim17ROCPRIM_400000_NS6detail17trampoline_kernelINS0_14default_configENS1_38merge_sort_block_merge_config_selectorIsNS0_10empty_typeEEEZZNS1_27merge_sort_block_merge_implIS3_PsPS5_jNS1_19radix_merge_compareILb0ELb1EsNS0_19identity_decomposerEEEEE10hipError_tT0_T1_T2_jT3_P12ihipStream_tbPNSt15iterator_traitsISE_E10value_typeEPNSK_ISF_E10value_typeEPSG_NS1_7vsmem_tEENKUlT_SE_SF_SG_E_clIS8_S8_S9_S9_EESD_ST_SE_SF_SG_EUlST_E0_NS1_11comp_targetILNS1_3genE4ELNS1_11target_archE910ELNS1_3gpuE8ELNS1_3repE0EEENS1_38merge_mergepath_config_static_selectorELNS0_4arch9wavefront6targetE1EEEvSF_,comdat
	.protected	_ZN7rocprim17ROCPRIM_400000_NS6detail17trampoline_kernelINS0_14default_configENS1_38merge_sort_block_merge_config_selectorIsNS0_10empty_typeEEEZZNS1_27merge_sort_block_merge_implIS3_PsPS5_jNS1_19radix_merge_compareILb0ELb1EsNS0_19identity_decomposerEEEEE10hipError_tT0_T1_T2_jT3_P12ihipStream_tbPNSt15iterator_traitsISE_E10value_typeEPNSK_ISF_E10value_typeEPSG_NS1_7vsmem_tEENKUlT_SE_SF_SG_E_clIS8_S8_S9_S9_EESD_ST_SE_SF_SG_EUlST_E0_NS1_11comp_targetILNS1_3genE4ELNS1_11target_archE910ELNS1_3gpuE8ELNS1_3repE0EEENS1_38merge_mergepath_config_static_selectorELNS0_4arch9wavefront6targetE1EEEvSF_ ; -- Begin function _ZN7rocprim17ROCPRIM_400000_NS6detail17trampoline_kernelINS0_14default_configENS1_38merge_sort_block_merge_config_selectorIsNS0_10empty_typeEEEZZNS1_27merge_sort_block_merge_implIS3_PsPS5_jNS1_19radix_merge_compareILb0ELb1EsNS0_19identity_decomposerEEEEE10hipError_tT0_T1_T2_jT3_P12ihipStream_tbPNSt15iterator_traitsISE_E10value_typeEPNSK_ISF_E10value_typeEPSG_NS1_7vsmem_tEENKUlT_SE_SF_SG_E_clIS8_S8_S9_S9_EESD_ST_SE_SF_SG_EUlST_E0_NS1_11comp_targetILNS1_3genE4ELNS1_11target_archE910ELNS1_3gpuE8ELNS1_3repE0EEENS1_38merge_mergepath_config_static_selectorELNS0_4arch9wavefront6targetE1EEEvSF_
	.globl	_ZN7rocprim17ROCPRIM_400000_NS6detail17trampoline_kernelINS0_14default_configENS1_38merge_sort_block_merge_config_selectorIsNS0_10empty_typeEEEZZNS1_27merge_sort_block_merge_implIS3_PsPS5_jNS1_19radix_merge_compareILb0ELb1EsNS0_19identity_decomposerEEEEE10hipError_tT0_T1_T2_jT3_P12ihipStream_tbPNSt15iterator_traitsISE_E10value_typeEPNSK_ISF_E10value_typeEPSG_NS1_7vsmem_tEENKUlT_SE_SF_SG_E_clIS8_S8_S9_S9_EESD_ST_SE_SF_SG_EUlST_E0_NS1_11comp_targetILNS1_3genE4ELNS1_11target_archE910ELNS1_3gpuE8ELNS1_3repE0EEENS1_38merge_mergepath_config_static_selectorELNS0_4arch9wavefront6targetE1EEEvSF_
	.p2align	8
	.type	_ZN7rocprim17ROCPRIM_400000_NS6detail17trampoline_kernelINS0_14default_configENS1_38merge_sort_block_merge_config_selectorIsNS0_10empty_typeEEEZZNS1_27merge_sort_block_merge_implIS3_PsPS5_jNS1_19radix_merge_compareILb0ELb1EsNS0_19identity_decomposerEEEEE10hipError_tT0_T1_T2_jT3_P12ihipStream_tbPNSt15iterator_traitsISE_E10value_typeEPNSK_ISF_E10value_typeEPSG_NS1_7vsmem_tEENKUlT_SE_SF_SG_E_clIS8_S8_S9_S9_EESD_ST_SE_SF_SG_EUlST_E0_NS1_11comp_targetILNS1_3genE4ELNS1_11target_archE910ELNS1_3gpuE8ELNS1_3repE0EEENS1_38merge_mergepath_config_static_selectorELNS0_4arch9wavefront6targetE1EEEvSF_,@function
_ZN7rocprim17ROCPRIM_400000_NS6detail17trampoline_kernelINS0_14default_configENS1_38merge_sort_block_merge_config_selectorIsNS0_10empty_typeEEEZZNS1_27merge_sort_block_merge_implIS3_PsPS5_jNS1_19radix_merge_compareILb0ELb1EsNS0_19identity_decomposerEEEEE10hipError_tT0_T1_T2_jT3_P12ihipStream_tbPNSt15iterator_traitsISE_E10value_typeEPNSK_ISF_E10value_typeEPSG_NS1_7vsmem_tEENKUlT_SE_SF_SG_E_clIS8_S8_S9_S9_EESD_ST_SE_SF_SG_EUlST_E0_NS1_11comp_targetILNS1_3genE4ELNS1_11target_archE910ELNS1_3gpuE8ELNS1_3repE0EEENS1_38merge_mergepath_config_static_selectorELNS0_4arch9wavefront6targetE1EEEvSF_: ; @_ZN7rocprim17ROCPRIM_400000_NS6detail17trampoline_kernelINS0_14default_configENS1_38merge_sort_block_merge_config_selectorIsNS0_10empty_typeEEEZZNS1_27merge_sort_block_merge_implIS3_PsPS5_jNS1_19radix_merge_compareILb0ELb1EsNS0_19identity_decomposerEEEEE10hipError_tT0_T1_T2_jT3_P12ihipStream_tbPNSt15iterator_traitsISE_E10value_typeEPNSK_ISF_E10value_typeEPSG_NS1_7vsmem_tEENKUlT_SE_SF_SG_E_clIS8_S8_S9_S9_EESD_ST_SE_SF_SG_EUlST_E0_NS1_11comp_targetILNS1_3genE4ELNS1_11target_archE910ELNS1_3gpuE8ELNS1_3repE0EEENS1_38merge_mergepath_config_static_selectorELNS0_4arch9wavefront6targetE1EEEvSF_
; %bb.0:
	s_load_dwordx2 s[10:11], s[4:5], 0x40
	s_load_dword s3, s[4:5], 0x30
	s_add_u32 s0, s4, 64
	s_addc_u32 s1, s5, 0
	s_waitcnt lgkmcnt(0)
	s_mul_i32 s2, s11, s8
	s_add_i32 s2, s2, s7
	s_mul_i32 s2, s2, s10
	s_add_i32 s2, s2, s6
	s_cmp_ge_u32 s2, s3
	s_cbranch_scc1 .LBB399_43
; %bb.1:
	s_load_dwordx2 s[14:15], s[4:5], 0x28
	s_load_dwordx2 s[8:9], s[4:5], 0x38
	;; [unrolled: 1-line block ×3, first 2 shown]
	s_mov_b32 s3, 0
	s_mov_b32 s23, s3
	s_waitcnt lgkmcnt(0)
	s_lshr_b32 s17, s14, 10
	s_cmp_lg_u32 s2, s17
	s_cselect_b64 s[18:19], -1, 0
	s_lshl_b64 s[12:13], s[2:3], 2
	s_add_u32 s8, s8, s12
	s_addc_u32 s9, s9, s13
	s_lshr_b32 s7, s15, 9
	s_and_b32 s7, s7, 0x7ffffe
	s_load_dwordx2 s[8:9], s[8:9], 0x0
	s_sub_i32 s7, 0, s7
	s_and_b32 s11, s2, s7
	s_lshl_b32 s12, s11, 10
	s_lshl_b32 s16, s2, 10
	;; [unrolled: 1-line block ×3, first 2 shown]
	s_sub_i32 s13, s16, s12
	s_add_i32 s11, s11, s15
	s_add_i32 s13, s11, s13
	s_waitcnt lgkmcnt(0)
	s_sub_i32 s22, s13, s8
	s_sub_i32 s13, s13, s9
	;; [unrolled: 1-line block ×3, first 2 shown]
	s_min_u32 s22, s14, s22
	s_addk_i32 s13, 0x400
	s_or_b32 s7, s2, s7
	s_min_u32 s12, s14, s11
	s_add_i32 s11, s11, s15
	s_cmp_eq_u32 s7, -1
	s_cselect_b32 s7, s11, s13
	s_cselect_b32 s9, s12, s9
	s_min_u32 s7, s7, s14
	s_sub_i32 s15, s9, s8
	s_mov_b32 s9, s3
	s_sub_i32 s7, s7, s22
	s_lshl_b64 s[8:9], s[8:9], 1
	s_add_u32 s11, s20, s8
	s_addc_u32 s12, s21, s9
	s_lshl_b64 s[8:9], s[22:23], 1
	s_add_u32 s8, s20, s8
	s_addc_u32 s9, s21, s9
	s_cmp_lt_u32 s6, s10
	v_mov_b32_e32 v3, 0
	s_cselect_b32 s3, 12, 18
	global_load_dword v1, v3, s[0:1] offset:14
	s_add_u32 s0, s0, s3
	s_addc_u32 s1, s1, 0
	global_load_ushort v2, v3, s[0:1]
	s_cmp_eq_u32 s2, s17
	s_waitcnt vmcnt(1)
	v_lshrrev_b32_e32 v4, 16, v1
	v_and_b32_e32 v1, 0xffff, v1
	v_mul_lo_u32 v1, v1, v4
	s_waitcnt vmcnt(0)
	v_mul_lo_u32 v10, v1, v2
	v_add_u32_e32 v8, v10, v0
	v_lshlrev_b32_e32 v1, 1, v0
	v_add_u32_e32 v6, v8, v10
	s_cbranch_scc1 .LBB399_3
; %bb.2:
	v_mov_b32_e32 v2, s12
	v_add_co_u32_e32 v7, vcc, s11, v1
	v_addc_co_u32_e32 v9, vcc, 0, v2, vcc
	v_subrev_u32_e32 v2, s15, v0
	v_lshlrev_b64 v[4:5], 1, v[2:3]
	v_mov_b32_e32 v2, s9
	v_add_co_u32_e32 v4, vcc, s8, v4
	v_addc_co_u32_e32 v2, vcc, v2, v5, vcc
	v_cmp_gt_u32_e32 vcc, s15, v0
	v_cndmask_b32_e32 v5, v2, v9, vcc
	v_cndmask_b32_e32 v4, v4, v7, vcc
	v_mov_b32_e32 v9, v3
	global_load_ushort v11, v[4:5], off
	v_lshlrev_b64 v[4:5], 1, v[8:9]
	v_mov_b32_e32 v2, s12
	v_add_co_u32_e32 v7, vcc, s11, v4
	v_addc_co_u32_e32 v9, vcc, v2, v5, vcc
	v_subrev_u32_e32 v2, s15, v8
	v_lshlrev_b64 v[4:5], 1, v[2:3]
	v_mov_b32_e32 v2, s9
	v_add_co_u32_e32 v4, vcc, s8, v4
	v_addc_co_u32_e32 v2, vcc, v2, v5, vcc
	v_cmp_gt_u32_e32 vcc, s15, v8
	v_cndmask_b32_e32 v5, v2, v9, vcc
	v_cndmask_b32_e32 v4, v4, v7, vcc
	v_mov_b32_e32 v7, v3
	global_load_ushort v9, v[4:5], off
	v_lshlrev_b64 v[4:5], 1, v[6:7]
	v_mov_b32_e32 v2, s12
	v_add_co_u32_e32 v7, vcc, s11, v4
	v_addc_co_u32_e32 v12, vcc, v2, v5, vcc
	v_subrev_u32_e32 v2, s15, v6
	v_lshlrev_b64 v[4:5], 1, v[2:3]
	v_mov_b32_e32 v2, s9
	v_add_co_u32_e32 v4, vcc, s8, v4
	v_addc_co_u32_e32 v2, vcc, v2, v5, vcc
	v_cmp_gt_u32_e32 vcc, s15, v6
	v_cndmask_b32_e32 v5, v2, v12, vcc
	v_cndmask_b32_e32 v4, v4, v7, vcc
	v_add_u32_e32 v2, v6, v10
	global_load_ushort v7, v[4:5], off
	v_lshlrev_b64 v[4:5], 1, v[2:3]
	v_mov_b32_e32 v12, s12
	v_add_co_u32_e32 v13, vcc, s11, v4
	v_addc_co_u32_e32 v12, vcc, v12, v5, vcc
	v_subrev_u32_e32 v4, s15, v2
	v_mov_b32_e32 v5, v3
	v_lshlrev_b64 v[4:5], 1, v[4:5]
	v_mov_b32_e32 v14, s9
	v_add_co_u32_e32 v4, vcc, s8, v4
	v_addc_co_u32_e32 v5, vcc, v14, v5, vcc
	v_cmp_gt_u32_e32 vcc, s15, v2
	v_cndmask_b32_e32 v5, v5, v12, vcc
	v_cndmask_b32_e32 v4, v4, v13, vcc
	v_add_u32_e32 v2, v2, v10
	global_load_ushort v12, v[4:5], off
	v_lshlrev_b64 v[4:5], 1, v[2:3]
	v_mov_b32_e32 v13, s12
	v_add_co_u32_e32 v14, vcc, s11, v4
	v_addc_co_u32_e32 v13, vcc, v13, v5, vcc
	v_subrev_u32_e32 v4, s15, v2
	v_mov_b32_e32 v5, v3
	;; [unrolled: 15-line block ×4, first 2 shown]
	v_lshlrev_b64 v[4:5], 1, v[4:5]
	v_mov_b32_e32 v17, s9
	v_add_co_u32_e32 v4, vcc, s8, v4
	v_addc_co_u32_e32 v5, vcc, v17, v5, vcc
	v_cmp_gt_u32_e32 vcc, s15, v2
	v_cndmask_b32_e32 v5, v5, v15, vcc
	v_cndmask_b32_e32 v4, v4, v16, vcc
	v_add_u32_e32 v2, v2, v10
	global_load_ushort v15, v[4:5], off
	v_lshlrev_b64 v[4:5], 1, v[2:3]
	v_mov_b32_e32 v16, s12
	v_add_co_u32_e32 v4, vcc, s11, v4
	v_addc_co_u32_e32 v5, vcc, v16, v5, vcc
	v_cmp_gt_u32_e32 vcc, s15, v2
	v_subrev_u32_e32 v2, s15, v2
	v_lshlrev_b64 v[2:3], 1, v[2:3]
	v_mov_b32_e32 v16, s9
	v_add_co_u32_e64 v2, s[0:1], s8, v2
	v_addc_co_u32_e64 v3, s[0:1], v16, v3, s[0:1]
	v_cndmask_b32_e32 v3, v3, v5, vcc
	v_cndmask_b32_e32 v2, v2, v4, vcc
	global_load_ushort v5, v[2:3], off
	s_mov_b32 s0, 0x5040100
	s_waitcnt vmcnt(6)
	v_perm_b32 v2, v9, v11, s0
	s_add_i32 s17, s7, s15
	s_waitcnt vmcnt(4)
	v_perm_b32 v3, v12, v7, s0
	s_waitcnt vmcnt(2)
	v_perm_b32 v4, v14, v13, s0
	;; [unrolled: 2-line block ×3, first 2 shown]
	s_load_dwordx2 s[20:21], s[4:5], 0x10
	s_cbranch_execz .LBB399_4
	s_branch .LBB399_19
.LBB399_3:
                                        ; implicit-def: $vgpr2_vgpr3_vgpr4_vgpr5
                                        ; implicit-def: $sgpr17
	s_load_dwordx2 s[20:21], s[4:5], 0x10
.LBB399_4:
	s_add_i32 s17, s7, s15
	v_cmp_gt_u32_e32 vcc, s17, v0
                                        ; implicit-def: $vgpr2_vgpr3_vgpr4_vgpr5
	s_and_saveexec_b64 s[0:1], vcc
	s_cbranch_execnz .LBB399_44
; %bb.5:
	s_or_b64 exec, exec, s[0:1]
	v_cmp_gt_u32_e32 vcc, s17, v8
	s_and_saveexec_b64 s[2:3], vcc
	s_cbranch_execnz .LBB399_45
.LBB399_6:
	s_or_b64 exec, exec, s[2:3]
	v_cmp_gt_u32_e32 vcc, s17, v6
	s_and_saveexec_b64 s[0:1], vcc
	s_cbranch_execz .LBB399_8
.LBB399_7:
	v_mov_b32_e32 v7, 0
	v_lshlrev_b64 v[8:9], 1, v[6:7]
	v_mov_b32_e32 v11, s12
	v_add_co_u32_e32 v12, vcc, s11, v8
	v_addc_co_u32_e32 v11, vcc, v11, v9, vcc
	v_subrev_u32_e32 v8, s15, v6
	v_mov_b32_e32 v9, v7
	v_lshlrev_b64 v[8:9], 1, v[8:9]
	v_mov_b32_e32 v7, s9
	v_add_co_u32_e32 v8, vcc, s8, v8
	v_addc_co_u32_e32 v7, vcc, v7, v9, vcc
	v_cmp_gt_u32_e32 vcc, s15, v6
	v_cndmask_b32_e32 v9, v7, v11, vcc
	v_cndmask_b32_e32 v8, v8, v12, vcc
	global_load_ushort v7, v[8:9], off
	s_mov_b32 s2, 0xffff
	s_waitcnt vmcnt(0)
	v_bfi_b32 v3, s2, v7, v3
.LBB399_8:
	s_or_b64 exec, exec, s[0:1]
	v_add_u32_e32 v6, v6, v10
	v_cmp_gt_u32_e32 vcc, s17, v6
	s_and_saveexec_b64 s[0:1], vcc
	s_cbranch_execz .LBB399_10
; %bb.9:
	v_mov_b32_e32 v7, 0
	v_lshlrev_b64 v[8:9], 1, v[6:7]
	v_mov_b32_e32 v11, s12
	v_add_co_u32_e32 v12, vcc, s11, v8
	v_addc_co_u32_e32 v11, vcc, v11, v9, vcc
	v_subrev_u32_e32 v8, s15, v6
	v_mov_b32_e32 v9, v7
	v_lshlrev_b64 v[8:9], 1, v[8:9]
	v_mov_b32_e32 v7, s9
	v_add_co_u32_e32 v8, vcc, s8, v8
	v_addc_co_u32_e32 v7, vcc, v7, v9, vcc
	v_cmp_gt_u32_e32 vcc, s15, v6
	v_cndmask_b32_e32 v9, v7, v11, vcc
	v_cndmask_b32_e32 v8, v8, v12, vcc
	global_load_ushort v7, v[8:9], off
	s_mov_b32 s2, 0x5040100
	s_waitcnt vmcnt(0)
	v_perm_b32 v3, v7, v3, s2
.LBB399_10:
	s_or_b64 exec, exec, s[0:1]
	v_add_u32_e32 v6, v6, v10
	v_cmp_gt_u32_e32 vcc, s17, v6
	s_and_saveexec_b64 s[0:1], vcc
	s_cbranch_execz .LBB399_12
; %bb.11:
	v_mov_b32_e32 v7, 0
	v_lshlrev_b64 v[8:9], 1, v[6:7]
	v_mov_b32_e32 v11, s12
	v_add_co_u32_e32 v12, vcc, s11, v8
	v_addc_co_u32_e32 v11, vcc, v11, v9, vcc
	v_subrev_u32_e32 v8, s15, v6
	v_mov_b32_e32 v9, v7
	v_lshlrev_b64 v[8:9], 1, v[8:9]
	v_mov_b32_e32 v7, s9
	v_add_co_u32_e32 v8, vcc, s8, v8
	v_addc_co_u32_e32 v7, vcc, v7, v9, vcc
	v_cmp_gt_u32_e32 vcc, s15, v6
	v_cndmask_b32_e32 v9, v7, v11, vcc
	v_cndmask_b32_e32 v8, v8, v12, vcc
	global_load_ushort v7, v[8:9], off
	s_mov_b32 s2, 0xffff
	s_waitcnt vmcnt(0)
	v_bfi_b32 v4, s2, v7, v4
.LBB399_12:
	s_or_b64 exec, exec, s[0:1]
	v_add_u32_e32 v6, v6, v10
	v_cmp_gt_u32_e32 vcc, s17, v6
	s_and_saveexec_b64 s[0:1], vcc
	s_cbranch_execz .LBB399_14
; %bb.13:
	v_mov_b32_e32 v7, 0
	v_lshlrev_b64 v[8:9], 1, v[6:7]
	v_mov_b32_e32 v11, s12
	v_add_co_u32_e32 v12, vcc, s11, v8
	v_addc_co_u32_e32 v11, vcc, v11, v9, vcc
	v_subrev_u32_e32 v8, s15, v6
	v_mov_b32_e32 v9, v7
	v_lshlrev_b64 v[8:9], 1, v[8:9]
	v_mov_b32_e32 v7, s9
	v_add_co_u32_e32 v8, vcc, s8, v8
	v_addc_co_u32_e32 v7, vcc, v7, v9, vcc
	v_cmp_gt_u32_e32 vcc, s15, v6
	v_cndmask_b32_e32 v9, v7, v11, vcc
	v_cndmask_b32_e32 v8, v8, v12, vcc
	global_load_ushort v7, v[8:9], off
	s_mov_b32 s2, 0x5040100
	s_waitcnt vmcnt(0)
	v_perm_b32 v4, v7, v4, s2
.LBB399_14:
	s_or_b64 exec, exec, s[0:1]
	v_add_u32_e32 v6, v6, v10
	v_cmp_gt_u32_e32 vcc, s17, v6
	s_and_saveexec_b64 s[0:1], vcc
	s_cbranch_execz .LBB399_16
; %bb.15:
	v_mov_b32_e32 v7, 0
	v_lshlrev_b64 v[8:9], 1, v[6:7]
	v_mov_b32_e32 v11, s12
	v_add_co_u32_e32 v12, vcc, s11, v8
	v_addc_co_u32_e32 v11, vcc, v11, v9, vcc
	v_subrev_u32_e32 v8, s15, v6
	v_mov_b32_e32 v9, v7
	v_lshlrev_b64 v[8:9], 1, v[8:9]
	v_mov_b32_e32 v7, s9
	v_add_co_u32_e32 v8, vcc, s8, v8
	v_addc_co_u32_e32 v7, vcc, v7, v9, vcc
	v_cmp_gt_u32_e32 vcc, s15, v6
	v_cndmask_b32_e32 v9, v7, v11, vcc
	v_cndmask_b32_e32 v8, v8, v12, vcc
	global_load_ushort v7, v[8:9], off
	s_mov_b32 s2, 0xffff
	s_waitcnt vmcnt(0)
	v_bfi_b32 v5, s2, v7, v5
.LBB399_16:
	s_or_b64 exec, exec, s[0:1]
	v_add_u32_e32 v6, v6, v10
	v_cmp_gt_u32_e32 vcc, s17, v6
	s_and_saveexec_b64 s[2:3], vcc
	s_cbranch_execz .LBB399_18
; %bb.17:
	v_mov_b32_e32 v7, 0
	v_lshlrev_b64 v[8:9], 1, v[6:7]
	v_mov_b32_e32 v10, s12
	v_add_co_u32_e32 v8, vcc, s11, v8
	v_addc_co_u32_e32 v9, vcc, v10, v9, vcc
	v_cmp_gt_u32_e32 vcc, s15, v6
	v_subrev_u32_e32 v6, s15, v6
	v_lshlrev_b64 v[6:7], 1, v[6:7]
	v_mov_b32_e32 v10, s9
	v_add_co_u32_e64 v6, s[0:1], s8, v6
	v_addc_co_u32_e64 v7, s[0:1], v10, v7, s[0:1]
	v_cndmask_b32_e32 v7, v7, v9, vcc
	v_cndmask_b32_e32 v6, v6, v8, vcc
	global_load_ushort v6, v[6:7], off
	s_mov_b32 s0, 0x5040100
	s_waitcnt vmcnt(0)
	v_perm_b32 v5, v6, v5, s0
.LBB399_18:
	s_or_b64 exec, exec, s[2:3]
.LBB399_19:
	s_load_dword s24, s[4:5], 0x34
	v_lshlrev_b32_e32 v6, 3, v0
	v_min_u32_e32 v12, s17, v6
	v_sub_u32_e64 v10, v12, s7 clamp
	v_min_u32_e32 v13, s15, v12
	s_waitcnt vmcnt(0)
	v_lshrrev_b32_e32 v7, 16, v2
	v_lshrrev_b32_e32 v8, 16, v3
	;; [unrolled: 1-line block ×4, first 2 shown]
	v_cmp_lt_u32_e32 vcc, v10, v13
	ds_write_b16 v1, v2
	ds_write_b16 v1, v7 offset:256
	ds_write_b16 v1, v3 offset:512
	;; [unrolled: 1-line block ×7, first 2 shown]
	s_waitcnt lgkmcnt(0)
	s_barrier
	s_and_saveexec_b64 s[0:1], vcc
	s_cbranch_execz .LBB399_23
; %bb.20:
	v_lshlrev_b32_e32 v14, 1, v12
	v_lshl_add_u32 v14, s15, 1, v14
	s_mov_b64 s[2:3], 0
.LBB399_21:                             ; =>This Inner Loop Header: Depth=1
	v_add_u32_e32 v15, v13, v10
	v_lshrrev_b32_e32 v16, 1, v15
	v_not_b32_e32 v17, v16
	v_and_b32_e32 v15, -2, v15
	v_lshl_add_u32 v17, v17, 1, v14
	ds_read_u16 v15, v15
	ds_read_u16 v17, v17
	v_add_u32_e32 v18, 1, v16
	s_waitcnt lgkmcnt(1)
	v_and_b32_e32 v15, s24, v15
	s_waitcnt lgkmcnt(0)
	v_and_b32_e32 v17, s24, v17
	v_cmp_gt_i16_e32 vcc, v15, v17
	v_cndmask_b32_e32 v13, v13, v16, vcc
	v_cndmask_b32_e32 v10, v18, v10, vcc
	v_cmp_ge_u32_e32 vcc, v10, v13
	s_or_b64 s[2:3], vcc, s[2:3]
	s_andn2_b64 exec, exec, s[2:3]
	s_cbranch_execnz .LBB399_21
; %bb.22:
	s_or_b64 exec, exec, s[2:3]
.LBB399_23:
	s_or_b64 exec, exec, s[0:1]
	v_sub_u32_e32 v12, v12, v10
	v_add_u32_e32 v12, s15, v12
	v_cmp_ge_u32_e32 vcc, s15, v10
	v_cmp_ge_u32_e64 s[0:1], s17, v12
	s_or_b64 s[0:1], vcc, s[0:1]
	s_and_saveexec_b64 s[22:23], s[0:1]
	s_cbranch_execz .LBB399_29
; %bb.24:
	v_cmp_gt_u32_e32 vcc, s15, v10
                                        ; implicit-def: $vgpr2
	s_and_saveexec_b64 s[0:1], vcc
	s_cbranch_execz .LBB399_26
; %bb.25:
	v_lshlrev_b32_e32 v2, 1, v10
	ds_read_u16 v2, v2
.LBB399_26:
	s_or_b64 exec, exec, s[0:1]
	v_cmp_le_u32_e64 s[0:1], s17, v12
	v_cmp_gt_u32_e64 s[2:3], s17, v12
                                        ; implicit-def: $vgpr3
	s_and_saveexec_b64 s[4:5], s[2:3]
	s_cbranch_execz .LBB399_28
; %bb.27:
	v_lshlrev_b32_e32 v3, 1, v12
	ds_read_u16 v3, v3
.LBB399_28:
	s_or_b64 exec, exec, s[4:5]
	s_waitcnt lgkmcnt(0)
	v_and_b32_e32 v4, s24, v3
	v_and_b32_e32 v5, s24, v2
	v_cmp_le_i16_e64 s[2:3], v5, v4
	s_and_b64 s[2:3], vcc, s[2:3]
	s_or_b64 vcc, s[0:1], s[2:3]
	v_mov_b32_e32 v5, s17
	v_mov_b32_e32 v8, s15
	v_cndmask_b32_e32 v4, v12, v10, vcc
	v_cndmask_b32_e32 v7, v5, v8, vcc
	v_add_u32_e32 v4, 1, v4
	v_add_u32_e32 v7, -1, v7
	v_min_u32_e32 v7, v4, v7
	v_lshlrev_b32_e32 v7, 1, v7
	ds_read_u16 v7, v7
	v_cndmask_b32_e32 v11, v4, v12, vcc
	v_cndmask_b32_e32 v4, v10, v4, vcc
	v_cmp_gt_u32_e64 s[2:3], s15, v4
	v_cmp_le_u32_e64 s[0:1], s17, v11
	s_waitcnt lgkmcnt(0)
	v_cndmask_b32_e32 v9, v7, v3, vcc
	v_cndmask_b32_e32 v7, v2, v7, vcc
	v_and_b32_e32 v10, s24, v9
	v_and_b32_e32 v12, s24, v7
	v_cmp_le_i16_e64 s[4:5], v12, v10
	s_and_b64 s[2:3], s[2:3], s[4:5]
	s_or_b64 s[0:1], s[0:1], s[2:3]
	v_cndmask_b32_e64 v10, v11, v4, s[0:1]
	v_cndmask_b32_e64 v12, v5, v8, s[0:1]
	v_add_u32_e32 v10, 1, v10
	v_add_u32_e32 v12, -1, v12
	v_min_u32_e32 v12, v10, v12
	v_lshlrev_b32_e32 v12, 1, v12
	ds_read_u16 v12, v12
	v_cndmask_b32_e64 v11, v10, v11, s[0:1]
	v_cndmask_b32_e64 v4, v4, v10, s[0:1]
	v_cmp_gt_u32_e64 s[4:5], s15, v4
	v_cmp_le_u32_e64 s[2:3], s17, v11
	s_waitcnt lgkmcnt(0)
	v_cndmask_b32_e64 v13, v12, v9, s[0:1]
	v_cndmask_b32_e64 v12, v7, v12, s[0:1]
	v_and_b32_e32 v10, s24, v13
	v_and_b32_e32 v14, s24, v12
	v_cmp_le_i16_e64 s[6:7], v14, v10
	s_and_b64 s[4:5], s[4:5], s[6:7]
	s_or_b64 s[2:3], s[2:3], s[4:5]
	v_cndmask_b32_e64 v10, v11, v4, s[2:3]
	v_cndmask_b32_e64 v14, v5, v8, s[2:3]
	v_add_u32_e32 v10, 1, v10
	v_add_u32_e32 v14, -1, v14
	v_min_u32_e32 v14, v10, v14
	v_lshlrev_b32_e32 v14, 1, v14
	ds_read_u16 v14, v14
	v_cndmask_b32_e64 v11, v10, v11, s[2:3]
	v_cndmask_b32_e64 v4, v4, v10, s[2:3]
	v_cmp_gt_u32_e64 s[6:7], s15, v4
	v_cmp_le_u32_e64 s[4:5], s17, v11
	s_waitcnt lgkmcnt(0)
	v_cndmask_b32_e64 v15, v14, v13, s[2:3]
	v_cndmask_b32_e64 v14, v12, v14, s[2:3]
	;; [unrolled: 19-line block ×4, first 2 shown]
	v_and_b32_e32 v10, s24, v19
	v_and_b32_e32 v20, s24, v18
	v_cmp_le_i16_e64 s[12:13], v20, v10
	s_and_b64 s[10:11], s[10:11], s[12:13]
	s_or_b64 s[8:9], s[8:9], s[10:11]
	v_cndmask_b32_e64 v10, v11, v4, s[8:9]
	v_cndmask_b32_e64 v20, v5, v8, s[8:9]
	v_add_u32_e32 v10, 1, v10
	v_add_u32_e32 v20, -1, v20
	v_min_u32_e32 v20, v10, v20
	v_lshlrev_b32_e32 v20, 1, v20
	ds_read_u16 v20, v20
	v_cndmask_b32_e32 v2, v3, v2, vcc
	v_cndmask_b32_e64 v3, v13, v12, s[2:3]
	v_cndmask_b32_e64 v7, v9, v7, s[0:1]
	;; [unrolled: 1-line block ×3, first 2 shown]
	s_waitcnt lgkmcnt(0)
	v_cndmask_b32_e64 v12, v20, v19, s[8:9]
	v_cndmask_b32_e64 v13, v18, v20, s[8:9]
	;; [unrolled: 1-line block ×3, first 2 shown]
	v_and_b32_e32 v4, s24, v12
	v_and_b32_e32 v9, s24, v13
	v_cmp_gt_u32_e64 s[0:1], s15, v10
	v_cmp_le_i16_e64 s[2:3], v9, v4
	v_cmp_le_u32_e32 vcc, s17, v11
	s_and_b64 s[0:1], s[0:1], s[2:3]
	s_or_b64 vcc, vcc, s[0:1]
	v_cndmask_b32_e32 v4, v11, v10, vcc
	v_cndmask_b32_e32 v5, v5, v8, vcc
	v_add_u32_e32 v20, 1, v4
	v_add_u32_e32 v4, -1, v5
	v_min_u32_e32 v4, v20, v4
	v_lshlrev_b32_e32 v4, 1, v4
	ds_read_u16 v21, v4
	v_cndmask_b32_e32 v5, v12, v13, vcc
	v_cndmask_b32_e32 v11, v20, v11, vcc
	;; [unrolled: 1-line block ×3, first 2 shown]
	v_cmp_gt_u32_e64 s[0:1], s15, v10
	s_waitcnt lgkmcnt(0)
	v_cndmask_b32_e32 v12, v21, v12, vcc
	v_cndmask_b32_e32 v13, v13, v21, vcc
	v_cmp_le_u32_e32 vcc, s17, v11
	v_and_b32_e32 v10, s24, v12
	v_and_b32_e32 v11, s24, v13
	v_cmp_le_i16_e64 s[2:3], v11, v10
	s_and_b64 s[0:1], s[0:1], s[2:3]
	s_or_b64 vcc, vcc, s[0:1]
	v_cndmask_b32_e64 v8, v15, v14, s[4:5]
	v_cndmask_b32_e64 v4, v17, v16, s[6:7]
	;; [unrolled: 1-line block ×3, first 2 shown]
	v_cndmask_b32_e32 v11, v12, v13, vcc
.LBB399_29:
	s_or_b64 exec, exec, s[22:23]
	v_lshrrev_b32_e32 v10, 2, v0
	v_and_b32_e32 v10, 30, v10
	s_mov_b32 s2, 0x5040100
	v_add_lshl_u32 v6, v10, v6, 1
	v_perm_b32 v3, v8, v3, s2
	v_perm_b32 v2, v7, v2, s2
	s_barrier
	s_barrier
	ds_write2_b32 v6, v2, v3 offset1:1
	v_perm_b32 v2, v11, v5, s2
	v_perm_b32 v3, v9, v4, s2
	ds_write2_b32 v6, v3, v2 offset0:2 offset1:3
	v_lshrrev_b32_e32 v2, 4, v0
	v_and_b32_e32 v2, 4, v2
	v_or_b32_e32 v10, 0x80, v0
	v_add_u32_e32 v11, v1, v2
	v_lshrrev_b32_e32 v2, 4, v10
	v_and_b32_e32 v2, 12, v2
	v_or_b32_e32 v9, 0x100, v0
	v_add_u32_e32 v12, v1, v2
	;; [unrolled: 4-line block ×5, first 2 shown]
	v_lshrrev_b32_e32 v2, 4, v6
	v_and_b32_e32 v2, 44, v2
	v_or_b32_e32 v5, 0x300, v0
	s_mov_b32 s17, 0
	v_add_u32_e32 v16, v1, v2
	v_lshrrev_b32_e32 v2, 4, v5
	s_lshl_b64 s[0:1], s[16:17], 1
	v_and_b32_e32 v2, 52, v2
	v_or_b32_e32 v4, 0x380, v0
	s_add_u32 s0, s20, s0
	v_add_u32_e32 v17, v1, v2
	v_lshrrev_b32_e32 v2, 4, v4
	s_addc_u32 s1, s21, s1
	v_and_b32_e32 v2, 60, v2
	v_add_u32_e32 v18, v1, v2
	v_mov_b32_e32 v3, s1
	v_add_co_u32_e32 v2, vcc, s0, v1
	v_addc_co_u32_e32 v3, vcc, 0, v3, vcc
	s_and_b64 vcc, exec, s[18:19]
	s_waitcnt lgkmcnt(0)
	s_cbranch_vccz .LBB399_31
; %bb.30:
	s_barrier
	ds_read_u16 v19, v11
	ds_read_u16 v20, v12 offset:256
	ds_read_u16 v21, v13 offset:512
	;; [unrolled: 1-line block ×7, first 2 shown]
	s_waitcnt lgkmcnt(7)
	global_store_short v[2:3], v19, off
	s_waitcnt lgkmcnt(6)
	global_store_short v[2:3], v20, off offset:256
	s_waitcnt lgkmcnt(5)
	global_store_short v[2:3], v21, off offset:512
	;; [unrolled: 2-line block ×6, first 2 shown]
	s_mov_b64 s[0:1], -1
	s_cbranch_execz .LBB399_32
	s_branch .LBB399_41
.LBB399_31:
	s_mov_b64 s[0:1], 0
                                        ; implicit-def: $vgpr1
.LBB399_32:
	s_barrier
	s_waitcnt lgkmcnt(0)
	ds_read_u16 v21, v12 offset:256
	ds_read_u16 v20, v13 offset:512
	;; [unrolled: 1-line block ×7, first 2 shown]
	s_sub_i32 s2, s14, s16
	v_cmp_gt_u32_e32 vcc, s2, v0
	s_and_saveexec_b64 s[0:1], vcc
	s_cbranch_execnz .LBB399_46
; %bb.33:
	s_or_b64 exec, exec, s[0:1]
	v_cmp_gt_u32_e32 vcc, s2, v10
	s_and_saveexec_b64 s[0:1], vcc
	s_cbranch_execnz .LBB399_47
.LBB399_34:
	s_or_b64 exec, exec, s[0:1]
	v_cmp_gt_u32_e32 vcc, s2, v9
	s_and_saveexec_b64 s[0:1], vcc
	s_cbranch_execnz .LBB399_48
.LBB399_35:
	s_or_b64 exec, exec, s[0:1]
	v_cmp_gt_u32_e32 vcc, s2, v8
	s_and_saveexec_b64 s[0:1], vcc
	s_cbranch_execnz .LBB399_49
.LBB399_36:
	s_or_b64 exec, exec, s[0:1]
	v_cmp_gt_u32_e32 vcc, s2, v7
	s_and_saveexec_b64 s[0:1], vcc
	s_cbranch_execnz .LBB399_50
.LBB399_37:
	s_or_b64 exec, exec, s[0:1]
	v_cmp_gt_u32_e32 vcc, s2, v6
	s_and_saveexec_b64 s[0:1], vcc
	s_cbranch_execnz .LBB399_51
.LBB399_38:
	s_or_b64 exec, exec, s[0:1]
	v_cmp_gt_u32_e32 vcc, s2, v5
	s_and_saveexec_b64 s[0:1], vcc
	s_cbranch_execz .LBB399_40
.LBB399_39:
	s_waitcnt lgkmcnt(1)
	global_store_short v[2:3], v12, off offset:1536
.LBB399_40:
	s_or_b64 exec, exec, s[0:1]
	v_cmp_gt_u32_e64 s[0:1], s2, v4
.LBB399_41:
	s_and_saveexec_b64 s[2:3], s[0:1]
	s_cbranch_execz .LBB399_43
; %bb.42:
	s_waitcnt lgkmcnt(0)
	global_store_short v[2:3], v1, off offset:1792
.LBB399_43:
	s_endpgm
.LBB399_44:
	v_mov_b32_e32 v2, s12
	v_add_co_u32_e32 v4, vcc, s11, v1
	v_mov_b32_e32 v3, 0
	v_addc_co_u32_e32 v5, vcc, 0, v2, vcc
	v_subrev_u32_e32 v2, s15, v0
	v_lshlrev_b64 v[2:3], 1, v[2:3]
	v_mov_b32_e32 v7, s9
	v_add_co_u32_e32 v2, vcc, s8, v2
	v_addc_co_u32_e32 v3, vcc, v7, v3, vcc
	v_cmp_gt_u32_e32 vcc, s15, v0
	v_cndmask_b32_e32 v3, v3, v5, vcc
	v_cndmask_b32_e32 v2, v2, v4, vcc
	global_load_ushort v2, v[2:3], off
	s_or_b64 exec, exec, s[0:1]
	v_cmp_gt_u32_e32 vcc, s17, v8
	s_and_saveexec_b64 s[2:3], vcc
	s_cbranch_execz .LBB399_6
.LBB399_45:
	v_mov_b32_e32 v9, 0
	v_lshlrev_b64 v[12:13], 1, v[8:9]
	v_mov_b32_e32 v7, s12
	v_add_co_u32_e32 v11, vcc, s11, v12
	v_addc_co_u32_e32 v7, vcc, v7, v13, vcc
	v_cmp_gt_u32_e32 vcc, s15, v8
	v_subrev_u32_e32 v8, s15, v8
	v_lshlrev_b64 v[8:9], 1, v[8:9]
	v_mov_b32_e32 v12, s9
	v_add_co_u32_e64 v8, s[0:1], s8, v8
	v_addc_co_u32_e64 v9, s[0:1], v12, v9, s[0:1]
	v_cndmask_b32_e32 v9, v9, v7, vcc
	v_cndmask_b32_e32 v8, v8, v11, vcc
	global_load_ushort v7, v[8:9], off
	s_mov_b32 s0, 0x5040100
	s_waitcnt vmcnt(0)
	v_perm_b32 v2, v7, v2, s0
	s_or_b64 exec, exec, s[2:3]
	v_cmp_gt_u32_e32 vcc, s17, v6
	s_and_saveexec_b64 s[0:1], vcc
	s_cbranch_execnz .LBB399_7
	s_branch .LBB399_8
.LBB399_46:
	ds_read_u16 v0, v11
	s_waitcnt lgkmcnt(0)
	global_store_short v[2:3], v0, off
	s_or_b64 exec, exec, s[0:1]
	v_cmp_gt_u32_e32 vcc, s2, v10
	s_and_saveexec_b64 s[0:1], vcc
	s_cbranch_execz .LBB399_34
.LBB399_47:
	s_waitcnt lgkmcnt(6)
	global_store_short v[2:3], v21, off offset:256
	s_or_b64 exec, exec, s[0:1]
	v_cmp_gt_u32_e32 vcc, s2, v9
	s_and_saveexec_b64 s[0:1], vcc
	s_cbranch_execz .LBB399_35
.LBB399_48:
	s_waitcnt lgkmcnt(5)
	global_store_short v[2:3], v20, off offset:512
	s_or_b64 exec, exec, s[0:1]
	v_cmp_gt_u32_e32 vcc, s2, v8
	s_and_saveexec_b64 s[0:1], vcc
	s_cbranch_execz .LBB399_36
.LBB399_49:
	s_waitcnt lgkmcnt(4)
	global_store_short v[2:3], v19, off offset:768
	s_or_b64 exec, exec, s[0:1]
	v_cmp_gt_u32_e32 vcc, s2, v7
	s_and_saveexec_b64 s[0:1], vcc
	s_cbranch_execz .LBB399_37
.LBB399_50:
	s_waitcnt lgkmcnt(3)
	global_store_short v[2:3], v14, off offset:1024
	s_or_b64 exec, exec, s[0:1]
	v_cmp_gt_u32_e32 vcc, s2, v6
	s_and_saveexec_b64 s[0:1], vcc
	s_cbranch_execz .LBB399_38
.LBB399_51:
	s_waitcnt lgkmcnt(2)
	global_store_short v[2:3], v13, off offset:1280
	s_or_b64 exec, exec, s[0:1]
	v_cmp_gt_u32_e32 vcc, s2, v5
	s_and_saveexec_b64 s[0:1], vcc
	s_cbranch_execnz .LBB399_39
	s_branch .LBB399_40
	.section	.rodata,"a",@progbits
	.p2align	6, 0x0
	.amdhsa_kernel _ZN7rocprim17ROCPRIM_400000_NS6detail17trampoline_kernelINS0_14default_configENS1_38merge_sort_block_merge_config_selectorIsNS0_10empty_typeEEEZZNS1_27merge_sort_block_merge_implIS3_PsPS5_jNS1_19radix_merge_compareILb0ELb1EsNS0_19identity_decomposerEEEEE10hipError_tT0_T1_T2_jT3_P12ihipStream_tbPNSt15iterator_traitsISE_E10value_typeEPNSK_ISF_E10value_typeEPSG_NS1_7vsmem_tEENKUlT_SE_SF_SG_E_clIS8_S8_S9_S9_EESD_ST_SE_SF_SG_EUlST_E0_NS1_11comp_targetILNS1_3genE4ELNS1_11target_archE910ELNS1_3gpuE8ELNS1_3repE0EEENS1_38merge_mergepath_config_static_selectorELNS0_4arch9wavefront6targetE1EEEvSF_
		.amdhsa_group_segment_fixed_size 2112
		.amdhsa_private_segment_fixed_size 0
		.amdhsa_kernarg_size 320
		.amdhsa_user_sgpr_count 6
		.amdhsa_user_sgpr_private_segment_buffer 1
		.amdhsa_user_sgpr_dispatch_ptr 0
		.amdhsa_user_sgpr_queue_ptr 0
		.amdhsa_user_sgpr_kernarg_segment_ptr 1
		.amdhsa_user_sgpr_dispatch_id 0
		.amdhsa_user_sgpr_flat_scratch_init 0
		.amdhsa_user_sgpr_kernarg_preload_length 0
		.amdhsa_user_sgpr_kernarg_preload_offset 0
		.amdhsa_user_sgpr_private_segment_size 0
		.amdhsa_uses_dynamic_stack 0
		.amdhsa_system_sgpr_private_segment_wavefront_offset 0
		.amdhsa_system_sgpr_workgroup_id_x 1
		.amdhsa_system_sgpr_workgroup_id_y 1
		.amdhsa_system_sgpr_workgroup_id_z 1
		.amdhsa_system_sgpr_workgroup_info 0
		.amdhsa_system_vgpr_workitem_id 0
		.amdhsa_next_free_vgpr 26
		.amdhsa_next_free_sgpr 25
		.amdhsa_accum_offset 28
		.amdhsa_reserve_vcc 1
		.amdhsa_reserve_flat_scratch 0
		.amdhsa_float_round_mode_32 0
		.amdhsa_float_round_mode_16_64 0
		.amdhsa_float_denorm_mode_32 3
		.amdhsa_float_denorm_mode_16_64 3
		.amdhsa_dx10_clamp 1
		.amdhsa_ieee_mode 1
		.amdhsa_fp16_overflow 0
		.amdhsa_tg_split 0
		.amdhsa_exception_fp_ieee_invalid_op 0
		.amdhsa_exception_fp_denorm_src 0
		.amdhsa_exception_fp_ieee_div_zero 0
		.amdhsa_exception_fp_ieee_overflow 0
		.amdhsa_exception_fp_ieee_underflow 0
		.amdhsa_exception_fp_ieee_inexact 0
		.amdhsa_exception_int_div_zero 0
	.end_amdhsa_kernel
	.section	.text._ZN7rocprim17ROCPRIM_400000_NS6detail17trampoline_kernelINS0_14default_configENS1_38merge_sort_block_merge_config_selectorIsNS0_10empty_typeEEEZZNS1_27merge_sort_block_merge_implIS3_PsPS5_jNS1_19radix_merge_compareILb0ELb1EsNS0_19identity_decomposerEEEEE10hipError_tT0_T1_T2_jT3_P12ihipStream_tbPNSt15iterator_traitsISE_E10value_typeEPNSK_ISF_E10value_typeEPSG_NS1_7vsmem_tEENKUlT_SE_SF_SG_E_clIS8_S8_S9_S9_EESD_ST_SE_SF_SG_EUlST_E0_NS1_11comp_targetILNS1_3genE4ELNS1_11target_archE910ELNS1_3gpuE8ELNS1_3repE0EEENS1_38merge_mergepath_config_static_selectorELNS0_4arch9wavefront6targetE1EEEvSF_,"axG",@progbits,_ZN7rocprim17ROCPRIM_400000_NS6detail17trampoline_kernelINS0_14default_configENS1_38merge_sort_block_merge_config_selectorIsNS0_10empty_typeEEEZZNS1_27merge_sort_block_merge_implIS3_PsPS5_jNS1_19radix_merge_compareILb0ELb1EsNS0_19identity_decomposerEEEEE10hipError_tT0_T1_T2_jT3_P12ihipStream_tbPNSt15iterator_traitsISE_E10value_typeEPNSK_ISF_E10value_typeEPSG_NS1_7vsmem_tEENKUlT_SE_SF_SG_E_clIS8_S8_S9_S9_EESD_ST_SE_SF_SG_EUlST_E0_NS1_11comp_targetILNS1_3genE4ELNS1_11target_archE910ELNS1_3gpuE8ELNS1_3repE0EEENS1_38merge_mergepath_config_static_selectorELNS0_4arch9wavefront6targetE1EEEvSF_,comdat
.Lfunc_end399:
	.size	_ZN7rocprim17ROCPRIM_400000_NS6detail17trampoline_kernelINS0_14default_configENS1_38merge_sort_block_merge_config_selectorIsNS0_10empty_typeEEEZZNS1_27merge_sort_block_merge_implIS3_PsPS5_jNS1_19radix_merge_compareILb0ELb1EsNS0_19identity_decomposerEEEEE10hipError_tT0_T1_T2_jT3_P12ihipStream_tbPNSt15iterator_traitsISE_E10value_typeEPNSK_ISF_E10value_typeEPSG_NS1_7vsmem_tEENKUlT_SE_SF_SG_E_clIS8_S8_S9_S9_EESD_ST_SE_SF_SG_EUlST_E0_NS1_11comp_targetILNS1_3genE4ELNS1_11target_archE910ELNS1_3gpuE8ELNS1_3repE0EEENS1_38merge_mergepath_config_static_selectorELNS0_4arch9wavefront6targetE1EEEvSF_, .Lfunc_end399-_ZN7rocprim17ROCPRIM_400000_NS6detail17trampoline_kernelINS0_14default_configENS1_38merge_sort_block_merge_config_selectorIsNS0_10empty_typeEEEZZNS1_27merge_sort_block_merge_implIS3_PsPS5_jNS1_19radix_merge_compareILb0ELb1EsNS0_19identity_decomposerEEEEE10hipError_tT0_T1_T2_jT3_P12ihipStream_tbPNSt15iterator_traitsISE_E10value_typeEPNSK_ISF_E10value_typeEPSG_NS1_7vsmem_tEENKUlT_SE_SF_SG_E_clIS8_S8_S9_S9_EESD_ST_SE_SF_SG_EUlST_E0_NS1_11comp_targetILNS1_3genE4ELNS1_11target_archE910ELNS1_3gpuE8ELNS1_3repE0EEENS1_38merge_mergepath_config_static_selectorELNS0_4arch9wavefront6targetE1EEEvSF_
                                        ; -- End function
	.section	.AMDGPU.csdata,"",@progbits
; Kernel info:
; codeLenInByte = 3920
; NumSgprs: 29
; NumVgprs: 26
; NumAgprs: 0
; TotalNumVgprs: 26
; ScratchSize: 0
; MemoryBound: 0
; FloatMode: 240
; IeeeMode: 1
; LDSByteSize: 2112 bytes/workgroup (compile time only)
; SGPRBlocks: 3
; VGPRBlocks: 3
; NumSGPRsForWavesPerEU: 29
; NumVGPRsForWavesPerEU: 26
; AccumOffset: 28
; Occupancy: 8
; WaveLimiterHint : 1
; COMPUTE_PGM_RSRC2:SCRATCH_EN: 0
; COMPUTE_PGM_RSRC2:USER_SGPR: 6
; COMPUTE_PGM_RSRC2:TRAP_HANDLER: 0
; COMPUTE_PGM_RSRC2:TGID_X_EN: 1
; COMPUTE_PGM_RSRC2:TGID_Y_EN: 1
; COMPUTE_PGM_RSRC2:TGID_Z_EN: 1
; COMPUTE_PGM_RSRC2:TIDIG_COMP_CNT: 0
; COMPUTE_PGM_RSRC3_GFX90A:ACCUM_OFFSET: 6
; COMPUTE_PGM_RSRC3_GFX90A:TG_SPLIT: 0
	.section	.text._ZN7rocprim17ROCPRIM_400000_NS6detail17trampoline_kernelINS0_14default_configENS1_38merge_sort_block_merge_config_selectorIsNS0_10empty_typeEEEZZNS1_27merge_sort_block_merge_implIS3_PsPS5_jNS1_19radix_merge_compareILb0ELb1EsNS0_19identity_decomposerEEEEE10hipError_tT0_T1_T2_jT3_P12ihipStream_tbPNSt15iterator_traitsISE_E10value_typeEPNSK_ISF_E10value_typeEPSG_NS1_7vsmem_tEENKUlT_SE_SF_SG_E_clIS8_S8_S9_S9_EESD_ST_SE_SF_SG_EUlST_E0_NS1_11comp_targetILNS1_3genE3ELNS1_11target_archE908ELNS1_3gpuE7ELNS1_3repE0EEENS1_38merge_mergepath_config_static_selectorELNS0_4arch9wavefront6targetE1EEEvSF_,"axG",@progbits,_ZN7rocprim17ROCPRIM_400000_NS6detail17trampoline_kernelINS0_14default_configENS1_38merge_sort_block_merge_config_selectorIsNS0_10empty_typeEEEZZNS1_27merge_sort_block_merge_implIS3_PsPS5_jNS1_19radix_merge_compareILb0ELb1EsNS0_19identity_decomposerEEEEE10hipError_tT0_T1_T2_jT3_P12ihipStream_tbPNSt15iterator_traitsISE_E10value_typeEPNSK_ISF_E10value_typeEPSG_NS1_7vsmem_tEENKUlT_SE_SF_SG_E_clIS8_S8_S9_S9_EESD_ST_SE_SF_SG_EUlST_E0_NS1_11comp_targetILNS1_3genE3ELNS1_11target_archE908ELNS1_3gpuE7ELNS1_3repE0EEENS1_38merge_mergepath_config_static_selectorELNS0_4arch9wavefront6targetE1EEEvSF_,comdat
	.protected	_ZN7rocprim17ROCPRIM_400000_NS6detail17trampoline_kernelINS0_14default_configENS1_38merge_sort_block_merge_config_selectorIsNS0_10empty_typeEEEZZNS1_27merge_sort_block_merge_implIS3_PsPS5_jNS1_19radix_merge_compareILb0ELb1EsNS0_19identity_decomposerEEEEE10hipError_tT0_T1_T2_jT3_P12ihipStream_tbPNSt15iterator_traitsISE_E10value_typeEPNSK_ISF_E10value_typeEPSG_NS1_7vsmem_tEENKUlT_SE_SF_SG_E_clIS8_S8_S9_S9_EESD_ST_SE_SF_SG_EUlST_E0_NS1_11comp_targetILNS1_3genE3ELNS1_11target_archE908ELNS1_3gpuE7ELNS1_3repE0EEENS1_38merge_mergepath_config_static_selectorELNS0_4arch9wavefront6targetE1EEEvSF_ ; -- Begin function _ZN7rocprim17ROCPRIM_400000_NS6detail17trampoline_kernelINS0_14default_configENS1_38merge_sort_block_merge_config_selectorIsNS0_10empty_typeEEEZZNS1_27merge_sort_block_merge_implIS3_PsPS5_jNS1_19radix_merge_compareILb0ELb1EsNS0_19identity_decomposerEEEEE10hipError_tT0_T1_T2_jT3_P12ihipStream_tbPNSt15iterator_traitsISE_E10value_typeEPNSK_ISF_E10value_typeEPSG_NS1_7vsmem_tEENKUlT_SE_SF_SG_E_clIS8_S8_S9_S9_EESD_ST_SE_SF_SG_EUlST_E0_NS1_11comp_targetILNS1_3genE3ELNS1_11target_archE908ELNS1_3gpuE7ELNS1_3repE0EEENS1_38merge_mergepath_config_static_selectorELNS0_4arch9wavefront6targetE1EEEvSF_
	.globl	_ZN7rocprim17ROCPRIM_400000_NS6detail17trampoline_kernelINS0_14default_configENS1_38merge_sort_block_merge_config_selectorIsNS0_10empty_typeEEEZZNS1_27merge_sort_block_merge_implIS3_PsPS5_jNS1_19radix_merge_compareILb0ELb1EsNS0_19identity_decomposerEEEEE10hipError_tT0_T1_T2_jT3_P12ihipStream_tbPNSt15iterator_traitsISE_E10value_typeEPNSK_ISF_E10value_typeEPSG_NS1_7vsmem_tEENKUlT_SE_SF_SG_E_clIS8_S8_S9_S9_EESD_ST_SE_SF_SG_EUlST_E0_NS1_11comp_targetILNS1_3genE3ELNS1_11target_archE908ELNS1_3gpuE7ELNS1_3repE0EEENS1_38merge_mergepath_config_static_selectorELNS0_4arch9wavefront6targetE1EEEvSF_
	.p2align	8
	.type	_ZN7rocprim17ROCPRIM_400000_NS6detail17trampoline_kernelINS0_14default_configENS1_38merge_sort_block_merge_config_selectorIsNS0_10empty_typeEEEZZNS1_27merge_sort_block_merge_implIS3_PsPS5_jNS1_19radix_merge_compareILb0ELb1EsNS0_19identity_decomposerEEEEE10hipError_tT0_T1_T2_jT3_P12ihipStream_tbPNSt15iterator_traitsISE_E10value_typeEPNSK_ISF_E10value_typeEPSG_NS1_7vsmem_tEENKUlT_SE_SF_SG_E_clIS8_S8_S9_S9_EESD_ST_SE_SF_SG_EUlST_E0_NS1_11comp_targetILNS1_3genE3ELNS1_11target_archE908ELNS1_3gpuE7ELNS1_3repE0EEENS1_38merge_mergepath_config_static_selectorELNS0_4arch9wavefront6targetE1EEEvSF_,@function
_ZN7rocprim17ROCPRIM_400000_NS6detail17trampoline_kernelINS0_14default_configENS1_38merge_sort_block_merge_config_selectorIsNS0_10empty_typeEEEZZNS1_27merge_sort_block_merge_implIS3_PsPS5_jNS1_19radix_merge_compareILb0ELb1EsNS0_19identity_decomposerEEEEE10hipError_tT0_T1_T2_jT3_P12ihipStream_tbPNSt15iterator_traitsISE_E10value_typeEPNSK_ISF_E10value_typeEPSG_NS1_7vsmem_tEENKUlT_SE_SF_SG_E_clIS8_S8_S9_S9_EESD_ST_SE_SF_SG_EUlST_E0_NS1_11comp_targetILNS1_3genE3ELNS1_11target_archE908ELNS1_3gpuE7ELNS1_3repE0EEENS1_38merge_mergepath_config_static_selectorELNS0_4arch9wavefront6targetE1EEEvSF_: ; @_ZN7rocprim17ROCPRIM_400000_NS6detail17trampoline_kernelINS0_14default_configENS1_38merge_sort_block_merge_config_selectorIsNS0_10empty_typeEEEZZNS1_27merge_sort_block_merge_implIS3_PsPS5_jNS1_19radix_merge_compareILb0ELb1EsNS0_19identity_decomposerEEEEE10hipError_tT0_T1_T2_jT3_P12ihipStream_tbPNSt15iterator_traitsISE_E10value_typeEPNSK_ISF_E10value_typeEPSG_NS1_7vsmem_tEENKUlT_SE_SF_SG_E_clIS8_S8_S9_S9_EESD_ST_SE_SF_SG_EUlST_E0_NS1_11comp_targetILNS1_3genE3ELNS1_11target_archE908ELNS1_3gpuE7ELNS1_3repE0EEENS1_38merge_mergepath_config_static_selectorELNS0_4arch9wavefront6targetE1EEEvSF_
; %bb.0:
	.section	.rodata,"a",@progbits
	.p2align	6, 0x0
	.amdhsa_kernel _ZN7rocprim17ROCPRIM_400000_NS6detail17trampoline_kernelINS0_14default_configENS1_38merge_sort_block_merge_config_selectorIsNS0_10empty_typeEEEZZNS1_27merge_sort_block_merge_implIS3_PsPS5_jNS1_19radix_merge_compareILb0ELb1EsNS0_19identity_decomposerEEEEE10hipError_tT0_T1_T2_jT3_P12ihipStream_tbPNSt15iterator_traitsISE_E10value_typeEPNSK_ISF_E10value_typeEPSG_NS1_7vsmem_tEENKUlT_SE_SF_SG_E_clIS8_S8_S9_S9_EESD_ST_SE_SF_SG_EUlST_E0_NS1_11comp_targetILNS1_3genE3ELNS1_11target_archE908ELNS1_3gpuE7ELNS1_3repE0EEENS1_38merge_mergepath_config_static_selectorELNS0_4arch9wavefront6targetE1EEEvSF_
		.amdhsa_group_segment_fixed_size 0
		.amdhsa_private_segment_fixed_size 0
		.amdhsa_kernarg_size 64
		.amdhsa_user_sgpr_count 6
		.amdhsa_user_sgpr_private_segment_buffer 1
		.amdhsa_user_sgpr_dispatch_ptr 0
		.amdhsa_user_sgpr_queue_ptr 0
		.amdhsa_user_sgpr_kernarg_segment_ptr 1
		.amdhsa_user_sgpr_dispatch_id 0
		.amdhsa_user_sgpr_flat_scratch_init 0
		.amdhsa_user_sgpr_kernarg_preload_length 0
		.amdhsa_user_sgpr_kernarg_preload_offset 0
		.amdhsa_user_sgpr_private_segment_size 0
		.amdhsa_uses_dynamic_stack 0
		.amdhsa_system_sgpr_private_segment_wavefront_offset 0
		.amdhsa_system_sgpr_workgroup_id_x 1
		.amdhsa_system_sgpr_workgroup_id_y 0
		.amdhsa_system_sgpr_workgroup_id_z 0
		.amdhsa_system_sgpr_workgroup_info 0
		.amdhsa_system_vgpr_workitem_id 0
		.amdhsa_next_free_vgpr 1
		.amdhsa_next_free_sgpr 0
		.amdhsa_accum_offset 4
		.amdhsa_reserve_vcc 0
		.amdhsa_reserve_flat_scratch 0
		.amdhsa_float_round_mode_32 0
		.amdhsa_float_round_mode_16_64 0
		.amdhsa_float_denorm_mode_32 3
		.amdhsa_float_denorm_mode_16_64 3
		.amdhsa_dx10_clamp 1
		.amdhsa_ieee_mode 1
		.amdhsa_fp16_overflow 0
		.amdhsa_tg_split 0
		.amdhsa_exception_fp_ieee_invalid_op 0
		.amdhsa_exception_fp_denorm_src 0
		.amdhsa_exception_fp_ieee_div_zero 0
		.amdhsa_exception_fp_ieee_overflow 0
		.amdhsa_exception_fp_ieee_underflow 0
		.amdhsa_exception_fp_ieee_inexact 0
		.amdhsa_exception_int_div_zero 0
	.end_amdhsa_kernel
	.section	.text._ZN7rocprim17ROCPRIM_400000_NS6detail17trampoline_kernelINS0_14default_configENS1_38merge_sort_block_merge_config_selectorIsNS0_10empty_typeEEEZZNS1_27merge_sort_block_merge_implIS3_PsPS5_jNS1_19radix_merge_compareILb0ELb1EsNS0_19identity_decomposerEEEEE10hipError_tT0_T1_T2_jT3_P12ihipStream_tbPNSt15iterator_traitsISE_E10value_typeEPNSK_ISF_E10value_typeEPSG_NS1_7vsmem_tEENKUlT_SE_SF_SG_E_clIS8_S8_S9_S9_EESD_ST_SE_SF_SG_EUlST_E0_NS1_11comp_targetILNS1_3genE3ELNS1_11target_archE908ELNS1_3gpuE7ELNS1_3repE0EEENS1_38merge_mergepath_config_static_selectorELNS0_4arch9wavefront6targetE1EEEvSF_,"axG",@progbits,_ZN7rocprim17ROCPRIM_400000_NS6detail17trampoline_kernelINS0_14default_configENS1_38merge_sort_block_merge_config_selectorIsNS0_10empty_typeEEEZZNS1_27merge_sort_block_merge_implIS3_PsPS5_jNS1_19radix_merge_compareILb0ELb1EsNS0_19identity_decomposerEEEEE10hipError_tT0_T1_T2_jT3_P12ihipStream_tbPNSt15iterator_traitsISE_E10value_typeEPNSK_ISF_E10value_typeEPSG_NS1_7vsmem_tEENKUlT_SE_SF_SG_E_clIS8_S8_S9_S9_EESD_ST_SE_SF_SG_EUlST_E0_NS1_11comp_targetILNS1_3genE3ELNS1_11target_archE908ELNS1_3gpuE7ELNS1_3repE0EEENS1_38merge_mergepath_config_static_selectorELNS0_4arch9wavefront6targetE1EEEvSF_,comdat
.Lfunc_end400:
	.size	_ZN7rocprim17ROCPRIM_400000_NS6detail17trampoline_kernelINS0_14default_configENS1_38merge_sort_block_merge_config_selectorIsNS0_10empty_typeEEEZZNS1_27merge_sort_block_merge_implIS3_PsPS5_jNS1_19radix_merge_compareILb0ELb1EsNS0_19identity_decomposerEEEEE10hipError_tT0_T1_T2_jT3_P12ihipStream_tbPNSt15iterator_traitsISE_E10value_typeEPNSK_ISF_E10value_typeEPSG_NS1_7vsmem_tEENKUlT_SE_SF_SG_E_clIS8_S8_S9_S9_EESD_ST_SE_SF_SG_EUlST_E0_NS1_11comp_targetILNS1_3genE3ELNS1_11target_archE908ELNS1_3gpuE7ELNS1_3repE0EEENS1_38merge_mergepath_config_static_selectorELNS0_4arch9wavefront6targetE1EEEvSF_, .Lfunc_end400-_ZN7rocprim17ROCPRIM_400000_NS6detail17trampoline_kernelINS0_14default_configENS1_38merge_sort_block_merge_config_selectorIsNS0_10empty_typeEEEZZNS1_27merge_sort_block_merge_implIS3_PsPS5_jNS1_19radix_merge_compareILb0ELb1EsNS0_19identity_decomposerEEEEE10hipError_tT0_T1_T2_jT3_P12ihipStream_tbPNSt15iterator_traitsISE_E10value_typeEPNSK_ISF_E10value_typeEPSG_NS1_7vsmem_tEENKUlT_SE_SF_SG_E_clIS8_S8_S9_S9_EESD_ST_SE_SF_SG_EUlST_E0_NS1_11comp_targetILNS1_3genE3ELNS1_11target_archE908ELNS1_3gpuE7ELNS1_3repE0EEENS1_38merge_mergepath_config_static_selectorELNS0_4arch9wavefront6targetE1EEEvSF_
                                        ; -- End function
	.section	.AMDGPU.csdata,"",@progbits
; Kernel info:
; codeLenInByte = 0
; NumSgprs: 4
; NumVgprs: 0
; NumAgprs: 0
; TotalNumVgprs: 0
; ScratchSize: 0
; MemoryBound: 0
; FloatMode: 240
; IeeeMode: 1
; LDSByteSize: 0 bytes/workgroup (compile time only)
; SGPRBlocks: 0
; VGPRBlocks: 0
; NumSGPRsForWavesPerEU: 4
; NumVGPRsForWavesPerEU: 1
; AccumOffset: 4
; Occupancy: 8
; WaveLimiterHint : 0
; COMPUTE_PGM_RSRC2:SCRATCH_EN: 0
; COMPUTE_PGM_RSRC2:USER_SGPR: 6
; COMPUTE_PGM_RSRC2:TRAP_HANDLER: 0
; COMPUTE_PGM_RSRC2:TGID_X_EN: 1
; COMPUTE_PGM_RSRC2:TGID_Y_EN: 0
; COMPUTE_PGM_RSRC2:TGID_Z_EN: 0
; COMPUTE_PGM_RSRC2:TIDIG_COMP_CNT: 0
; COMPUTE_PGM_RSRC3_GFX90A:ACCUM_OFFSET: 0
; COMPUTE_PGM_RSRC3_GFX90A:TG_SPLIT: 0
	.section	.text._ZN7rocprim17ROCPRIM_400000_NS6detail17trampoline_kernelINS0_14default_configENS1_38merge_sort_block_merge_config_selectorIsNS0_10empty_typeEEEZZNS1_27merge_sort_block_merge_implIS3_PsPS5_jNS1_19radix_merge_compareILb0ELb1EsNS0_19identity_decomposerEEEEE10hipError_tT0_T1_T2_jT3_P12ihipStream_tbPNSt15iterator_traitsISE_E10value_typeEPNSK_ISF_E10value_typeEPSG_NS1_7vsmem_tEENKUlT_SE_SF_SG_E_clIS8_S8_S9_S9_EESD_ST_SE_SF_SG_EUlST_E0_NS1_11comp_targetILNS1_3genE2ELNS1_11target_archE906ELNS1_3gpuE6ELNS1_3repE0EEENS1_38merge_mergepath_config_static_selectorELNS0_4arch9wavefront6targetE1EEEvSF_,"axG",@progbits,_ZN7rocprim17ROCPRIM_400000_NS6detail17trampoline_kernelINS0_14default_configENS1_38merge_sort_block_merge_config_selectorIsNS0_10empty_typeEEEZZNS1_27merge_sort_block_merge_implIS3_PsPS5_jNS1_19radix_merge_compareILb0ELb1EsNS0_19identity_decomposerEEEEE10hipError_tT0_T1_T2_jT3_P12ihipStream_tbPNSt15iterator_traitsISE_E10value_typeEPNSK_ISF_E10value_typeEPSG_NS1_7vsmem_tEENKUlT_SE_SF_SG_E_clIS8_S8_S9_S9_EESD_ST_SE_SF_SG_EUlST_E0_NS1_11comp_targetILNS1_3genE2ELNS1_11target_archE906ELNS1_3gpuE6ELNS1_3repE0EEENS1_38merge_mergepath_config_static_selectorELNS0_4arch9wavefront6targetE1EEEvSF_,comdat
	.protected	_ZN7rocprim17ROCPRIM_400000_NS6detail17trampoline_kernelINS0_14default_configENS1_38merge_sort_block_merge_config_selectorIsNS0_10empty_typeEEEZZNS1_27merge_sort_block_merge_implIS3_PsPS5_jNS1_19radix_merge_compareILb0ELb1EsNS0_19identity_decomposerEEEEE10hipError_tT0_T1_T2_jT3_P12ihipStream_tbPNSt15iterator_traitsISE_E10value_typeEPNSK_ISF_E10value_typeEPSG_NS1_7vsmem_tEENKUlT_SE_SF_SG_E_clIS8_S8_S9_S9_EESD_ST_SE_SF_SG_EUlST_E0_NS1_11comp_targetILNS1_3genE2ELNS1_11target_archE906ELNS1_3gpuE6ELNS1_3repE0EEENS1_38merge_mergepath_config_static_selectorELNS0_4arch9wavefront6targetE1EEEvSF_ ; -- Begin function _ZN7rocprim17ROCPRIM_400000_NS6detail17trampoline_kernelINS0_14default_configENS1_38merge_sort_block_merge_config_selectorIsNS0_10empty_typeEEEZZNS1_27merge_sort_block_merge_implIS3_PsPS5_jNS1_19radix_merge_compareILb0ELb1EsNS0_19identity_decomposerEEEEE10hipError_tT0_T1_T2_jT3_P12ihipStream_tbPNSt15iterator_traitsISE_E10value_typeEPNSK_ISF_E10value_typeEPSG_NS1_7vsmem_tEENKUlT_SE_SF_SG_E_clIS8_S8_S9_S9_EESD_ST_SE_SF_SG_EUlST_E0_NS1_11comp_targetILNS1_3genE2ELNS1_11target_archE906ELNS1_3gpuE6ELNS1_3repE0EEENS1_38merge_mergepath_config_static_selectorELNS0_4arch9wavefront6targetE1EEEvSF_
	.globl	_ZN7rocprim17ROCPRIM_400000_NS6detail17trampoline_kernelINS0_14default_configENS1_38merge_sort_block_merge_config_selectorIsNS0_10empty_typeEEEZZNS1_27merge_sort_block_merge_implIS3_PsPS5_jNS1_19radix_merge_compareILb0ELb1EsNS0_19identity_decomposerEEEEE10hipError_tT0_T1_T2_jT3_P12ihipStream_tbPNSt15iterator_traitsISE_E10value_typeEPNSK_ISF_E10value_typeEPSG_NS1_7vsmem_tEENKUlT_SE_SF_SG_E_clIS8_S8_S9_S9_EESD_ST_SE_SF_SG_EUlST_E0_NS1_11comp_targetILNS1_3genE2ELNS1_11target_archE906ELNS1_3gpuE6ELNS1_3repE0EEENS1_38merge_mergepath_config_static_selectorELNS0_4arch9wavefront6targetE1EEEvSF_
	.p2align	8
	.type	_ZN7rocprim17ROCPRIM_400000_NS6detail17trampoline_kernelINS0_14default_configENS1_38merge_sort_block_merge_config_selectorIsNS0_10empty_typeEEEZZNS1_27merge_sort_block_merge_implIS3_PsPS5_jNS1_19radix_merge_compareILb0ELb1EsNS0_19identity_decomposerEEEEE10hipError_tT0_T1_T2_jT3_P12ihipStream_tbPNSt15iterator_traitsISE_E10value_typeEPNSK_ISF_E10value_typeEPSG_NS1_7vsmem_tEENKUlT_SE_SF_SG_E_clIS8_S8_S9_S9_EESD_ST_SE_SF_SG_EUlST_E0_NS1_11comp_targetILNS1_3genE2ELNS1_11target_archE906ELNS1_3gpuE6ELNS1_3repE0EEENS1_38merge_mergepath_config_static_selectorELNS0_4arch9wavefront6targetE1EEEvSF_,@function
_ZN7rocprim17ROCPRIM_400000_NS6detail17trampoline_kernelINS0_14default_configENS1_38merge_sort_block_merge_config_selectorIsNS0_10empty_typeEEEZZNS1_27merge_sort_block_merge_implIS3_PsPS5_jNS1_19radix_merge_compareILb0ELb1EsNS0_19identity_decomposerEEEEE10hipError_tT0_T1_T2_jT3_P12ihipStream_tbPNSt15iterator_traitsISE_E10value_typeEPNSK_ISF_E10value_typeEPSG_NS1_7vsmem_tEENKUlT_SE_SF_SG_E_clIS8_S8_S9_S9_EESD_ST_SE_SF_SG_EUlST_E0_NS1_11comp_targetILNS1_3genE2ELNS1_11target_archE906ELNS1_3gpuE6ELNS1_3repE0EEENS1_38merge_mergepath_config_static_selectorELNS0_4arch9wavefront6targetE1EEEvSF_: ; @_ZN7rocprim17ROCPRIM_400000_NS6detail17trampoline_kernelINS0_14default_configENS1_38merge_sort_block_merge_config_selectorIsNS0_10empty_typeEEEZZNS1_27merge_sort_block_merge_implIS3_PsPS5_jNS1_19radix_merge_compareILb0ELb1EsNS0_19identity_decomposerEEEEE10hipError_tT0_T1_T2_jT3_P12ihipStream_tbPNSt15iterator_traitsISE_E10value_typeEPNSK_ISF_E10value_typeEPSG_NS1_7vsmem_tEENKUlT_SE_SF_SG_E_clIS8_S8_S9_S9_EESD_ST_SE_SF_SG_EUlST_E0_NS1_11comp_targetILNS1_3genE2ELNS1_11target_archE906ELNS1_3gpuE6ELNS1_3repE0EEENS1_38merge_mergepath_config_static_selectorELNS0_4arch9wavefront6targetE1EEEvSF_
; %bb.0:
	.section	.rodata,"a",@progbits
	.p2align	6, 0x0
	.amdhsa_kernel _ZN7rocprim17ROCPRIM_400000_NS6detail17trampoline_kernelINS0_14default_configENS1_38merge_sort_block_merge_config_selectorIsNS0_10empty_typeEEEZZNS1_27merge_sort_block_merge_implIS3_PsPS5_jNS1_19radix_merge_compareILb0ELb1EsNS0_19identity_decomposerEEEEE10hipError_tT0_T1_T2_jT3_P12ihipStream_tbPNSt15iterator_traitsISE_E10value_typeEPNSK_ISF_E10value_typeEPSG_NS1_7vsmem_tEENKUlT_SE_SF_SG_E_clIS8_S8_S9_S9_EESD_ST_SE_SF_SG_EUlST_E0_NS1_11comp_targetILNS1_3genE2ELNS1_11target_archE906ELNS1_3gpuE6ELNS1_3repE0EEENS1_38merge_mergepath_config_static_selectorELNS0_4arch9wavefront6targetE1EEEvSF_
		.amdhsa_group_segment_fixed_size 0
		.amdhsa_private_segment_fixed_size 0
		.amdhsa_kernarg_size 64
		.amdhsa_user_sgpr_count 6
		.amdhsa_user_sgpr_private_segment_buffer 1
		.amdhsa_user_sgpr_dispatch_ptr 0
		.amdhsa_user_sgpr_queue_ptr 0
		.amdhsa_user_sgpr_kernarg_segment_ptr 1
		.amdhsa_user_sgpr_dispatch_id 0
		.amdhsa_user_sgpr_flat_scratch_init 0
		.amdhsa_user_sgpr_kernarg_preload_length 0
		.amdhsa_user_sgpr_kernarg_preload_offset 0
		.amdhsa_user_sgpr_private_segment_size 0
		.amdhsa_uses_dynamic_stack 0
		.amdhsa_system_sgpr_private_segment_wavefront_offset 0
		.amdhsa_system_sgpr_workgroup_id_x 1
		.amdhsa_system_sgpr_workgroup_id_y 0
		.amdhsa_system_sgpr_workgroup_id_z 0
		.amdhsa_system_sgpr_workgroup_info 0
		.amdhsa_system_vgpr_workitem_id 0
		.amdhsa_next_free_vgpr 1
		.amdhsa_next_free_sgpr 0
		.amdhsa_accum_offset 4
		.amdhsa_reserve_vcc 0
		.amdhsa_reserve_flat_scratch 0
		.amdhsa_float_round_mode_32 0
		.amdhsa_float_round_mode_16_64 0
		.amdhsa_float_denorm_mode_32 3
		.amdhsa_float_denorm_mode_16_64 3
		.amdhsa_dx10_clamp 1
		.amdhsa_ieee_mode 1
		.amdhsa_fp16_overflow 0
		.amdhsa_tg_split 0
		.amdhsa_exception_fp_ieee_invalid_op 0
		.amdhsa_exception_fp_denorm_src 0
		.amdhsa_exception_fp_ieee_div_zero 0
		.amdhsa_exception_fp_ieee_overflow 0
		.amdhsa_exception_fp_ieee_underflow 0
		.amdhsa_exception_fp_ieee_inexact 0
		.amdhsa_exception_int_div_zero 0
	.end_amdhsa_kernel
	.section	.text._ZN7rocprim17ROCPRIM_400000_NS6detail17trampoline_kernelINS0_14default_configENS1_38merge_sort_block_merge_config_selectorIsNS0_10empty_typeEEEZZNS1_27merge_sort_block_merge_implIS3_PsPS5_jNS1_19radix_merge_compareILb0ELb1EsNS0_19identity_decomposerEEEEE10hipError_tT0_T1_T2_jT3_P12ihipStream_tbPNSt15iterator_traitsISE_E10value_typeEPNSK_ISF_E10value_typeEPSG_NS1_7vsmem_tEENKUlT_SE_SF_SG_E_clIS8_S8_S9_S9_EESD_ST_SE_SF_SG_EUlST_E0_NS1_11comp_targetILNS1_3genE2ELNS1_11target_archE906ELNS1_3gpuE6ELNS1_3repE0EEENS1_38merge_mergepath_config_static_selectorELNS0_4arch9wavefront6targetE1EEEvSF_,"axG",@progbits,_ZN7rocprim17ROCPRIM_400000_NS6detail17trampoline_kernelINS0_14default_configENS1_38merge_sort_block_merge_config_selectorIsNS0_10empty_typeEEEZZNS1_27merge_sort_block_merge_implIS3_PsPS5_jNS1_19radix_merge_compareILb0ELb1EsNS0_19identity_decomposerEEEEE10hipError_tT0_T1_T2_jT3_P12ihipStream_tbPNSt15iterator_traitsISE_E10value_typeEPNSK_ISF_E10value_typeEPSG_NS1_7vsmem_tEENKUlT_SE_SF_SG_E_clIS8_S8_S9_S9_EESD_ST_SE_SF_SG_EUlST_E0_NS1_11comp_targetILNS1_3genE2ELNS1_11target_archE906ELNS1_3gpuE6ELNS1_3repE0EEENS1_38merge_mergepath_config_static_selectorELNS0_4arch9wavefront6targetE1EEEvSF_,comdat
.Lfunc_end401:
	.size	_ZN7rocprim17ROCPRIM_400000_NS6detail17trampoline_kernelINS0_14default_configENS1_38merge_sort_block_merge_config_selectorIsNS0_10empty_typeEEEZZNS1_27merge_sort_block_merge_implIS3_PsPS5_jNS1_19radix_merge_compareILb0ELb1EsNS0_19identity_decomposerEEEEE10hipError_tT0_T1_T2_jT3_P12ihipStream_tbPNSt15iterator_traitsISE_E10value_typeEPNSK_ISF_E10value_typeEPSG_NS1_7vsmem_tEENKUlT_SE_SF_SG_E_clIS8_S8_S9_S9_EESD_ST_SE_SF_SG_EUlST_E0_NS1_11comp_targetILNS1_3genE2ELNS1_11target_archE906ELNS1_3gpuE6ELNS1_3repE0EEENS1_38merge_mergepath_config_static_selectorELNS0_4arch9wavefront6targetE1EEEvSF_, .Lfunc_end401-_ZN7rocprim17ROCPRIM_400000_NS6detail17trampoline_kernelINS0_14default_configENS1_38merge_sort_block_merge_config_selectorIsNS0_10empty_typeEEEZZNS1_27merge_sort_block_merge_implIS3_PsPS5_jNS1_19radix_merge_compareILb0ELb1EsNS0_19identity_decomposerEEEEE10hipError_tT0_T1_T2_jT3_P12ihipStream_tbPNSt15iterator_traitsISE_E10value_typeEPNSK_ISF_E10value_typeEPSG_NS1_7vsmem_tEENKUlT_SE_SF_SG_E_clIS8_S8_S9_S9_EESD_ST_SE_SF_SG_EUlST_E0_NS1_11comp_targetILNS1_3genE2ELNS1_11target_archE906ELNS1_3gpuE6ELNS1_3repE0EEENS1_38merge_mergepath_config_static_selectorELNS0_4arch9wavefront6targetE1EEEvSF_
                                        ; -- End function
	.section	.AMDGPU.csdata,"",@progbits
; Kernel info:
; codeLenInByte = 0
; NumSgprs: 4
; NumVgprs: 0
; NumAgprs: 0
; TotalNumVgprs: 0
; ScratchSize: 0
; MemoryBound: 0
; FloatMode: 240
; IeeeMode: 1
; LDSByteSize: 0 bytes/workgroup (compile time only)
; SGPRBlocks: 0
; VGPRBlocks: 0
; NumSGPRsForWavesPerEU: 4
; NumVGPRsForWavesPerEU: 1
; AccumOffset: 4
; Occupancy: 8
; WaveLimiterHint : 0
; COMPUTE_PGM_RSRC2:SCRATCH_EN: 0
; COMPUTE_PGM_RSRC2:USER_SGPR: 6
; COMPUTE_PGM_RSRC2:TRAP_HANDLER: 0
; COMPUTE_PGM_RSRC2:TGID_X_EN: 1
; COMPUTE_PGM_RSRC2:TGID_Y_EN: 0
; COMPUTE_PGM_RSRC2:TGID_Z_EN: 0
; COMPUTE_PGM_RSRC2:TIDIG_COMP_CNT: 0
; COMPUTE_PGM_RSRC3_GFX90A:ACCUM_OFFSET: 0
; COMPUTE_PGM_RSRC3_GFX90A:TG_SPLIT: 0
	.section	.text._ZN7rocprim17ROCPRIM_400000_NS6detail17trampoline_kernelINS0_14default_configENS1_38merge_sort_block_merge_config_selectorIsNS0_10empty_typeEEEZZNS1_27merge_sort_block_merge_implIS3_PsPS5_jNS1_19radix_merge_compareILb0ELb1EsNS0_19identity_decomposerEEEEE10hipError_tT0_T1_T2_jT3_P12ihipStream_tbPNSt15iterator_traitsISE_E10value_typeEPNSK_ISF_E10value_typeEPSG_NS1_7vsmem_tEENKUlT_SE_SF_SG_E_clIS8_S8_S9_S9_EESD_ST_SE_SF_SG_EUlST_E0_NS1_11comp_targetILNS1_3genE9ELNS1_11target_archE1100ELNS1_3gpuE3ELNS1_3repE0EEENS1_38merge_mergepath_config_static_selectorELNS0_4arch9wavefront6targetE1EEEvSF_,"axG",@progbits,_ZN7rocprim17ROCPRIM_400000_NS6detail17trampoline_kernelINS0_14default_configENS1_38merge_sort_block_merge_config_selectorIsNS0_10empty_typeEEEZZNS1_27merge_sort_block_merge_implIS3_PsPS5_jNS1_19radix_merge_compareILb0ELb1EsNS0_19identity_decomposerEEEEE10hipError_tT0_T1_T2_jT3_P12ihipStream_tbPNSt15iterator_traitsISE_E10value_typeEPNSK_ISF_E10value_typeEPSG_NS1_7vsmem_tEENKUlT_SE_SF_SG_E_clIS8_S8_S9_S9_EESD_ST_SE_SF_SG_EUlST_E0_NS1_11comp_targetILNS1_3genE9ELNS1_11target_archE1100ELNS1_3gpuE3ELNS1_3repE0EEENS1_38merge_mergepath_config_static_selectorELNS0_4arch9wavefront6targetE1EEEvSF_,comdat
	.protected	_ZN7rocprim17ROCPRIM_400000_NS6detail17trampoline_kernelINS0_14default_configENS1_38merge_sort_block_merge_config_selectorIsNS0_10empty_typeEEEZZNS1_27merge_sort_block_merge_implIS3_PsPS5_jNS1_19radix_merge_compareILb0ELb1EsNS0_19identity_decomposerEEEEE10hipError_tT0_T1_T2_jT3_P12ihipStream_tbPNSt15iterator_traitsISE_E10value_typeEPNSK_ISF_E10value_typeEPSG_NS1_7vsmem_tEENKUlT_SE_SF_SG_E_clIS8_S8_S9_S9_EESD_ST_SE_SF_SG_EUlST_E0_NS1_11comp_targetILNS1_3genE9ELNS1_11target_archE1100ELNS1_3gpuE3ELNS1_3repE0EEENS1_38merge_mergepath_config_static_selectorELNS0_4arch9wavefront6targetE1EEEvSF_ ; -- Begin function _ZN7rocprim17ROCPRIM_400000_NS6detail17trampoline_kernelINS0_14default_configENS1_38merge_sort_block_merge_config_selectorIsNS0_10empty_typeEEEZZNS1_27merge_sort_block_merge_implIS3_PsPS5_jNS1_19radix_merge_compareILb0ELb1EsNS0_19identity_decomposerEEEEE10hipError_tT0_T1_T2_jT3_P12ihipStream_tbPNSt15iterator_traitsISE_E10value_typeEPNSK_ISF_E10value_typeEPSG_NS1_7vsmem_tEENKUlT_SE_SF_SG_E_clIS8_S8_S9_S9_EESD_ST_SE_SF_SG_EUlST_E0_NS1_11comp_targetILNS1_3genE9ELNS1_11target_archE1100ELNS1_3gpuE3ELNS1_3repE0EEENS1_38merge_mergepath_config_static_selectorELNS0_4arch9wavefront6targetE1EEEvSF_
	.globl	_ZN7rocprim17ROCPRIM_400000_NS6detail17trampoline_kernelINS0_14default_configENS1_38merge_sort_block_merge_config_selectorIsNS0_10empty_typeEEEZZNS1_27merge_sort_block_merge_implIS3_PsPS5_jNS1_19radix_merge_compareILb0ELb1EsNS0_19identity_decomposerEEEEE10hipError_tT0_T1_T2_jT3_P12ihipStream_tbPNSt15iterator_traitsISE_E10value_typeEPNSK_ISF_E10value_typeEPSG_NS1_7vsmem_tEENKUlT_SE_SF_SG_E_clIS8_S8_S9_S9_EESD_ST_SE_SF_SG_EUlST_E0_NS1_11comp_targetILNS1_3genE9ELNS1_11target_archE1100ELNS1_3gpuE3ELNS1_3repE0EEENS1_38merge_mergepath_config_static_selectorELNS0_4arch9wavefront6targetE1EEEvSF_
	.p2align	8
	.type	_ZN7rocprim17ROCPRIM_400000_NS6detail17trampoline_kernelINS0_14default_configENS1_38merge_sort_block_merge_config_selectorIsNS0_10empty_typeEEEZZNS1_27merge_sort_block_merge_implIS3_PsPS5_jNS1_19radix_merge_compareILb0ELb1EsNS0_19identity_decomposerEEEEE10hipError_tT0_T1_T2_jT3_P12ihipStream_tbPNSt15iterator_traitsISE_E10value_typeEPNSK_ISF_E10value_typeEPSG_NS1_7vsmem_tEENKUlT_SE_SF_SG_E_clIS8_S8_S9_S9_EESD_ST_SE_SF_SG_EUlST_E0_NS1_11comp_targetILNS1_3genE9ELNS1_11target_archE1100ELNS1_3gpuE3ELNS1_3repE0EEENS1_38merge_mergepath_config_static_selectorELNS0_4arch9wavefront6targetE1EEEvSF_,@function
_ZN7rocprim17ROCPRIM_400000_NS6detail17trampoline_kernelINS0_14default_configENS1_38merge_sort_block_merge_config_selectorIsNS0_10empty_typeEEEZZNS1_27merge_sort_block_merge_implIS3_PsPS5_jNS1_19radix_merge_compareILb0ELb1EsNS0_19identity_decomposerEEEEE10hipError_tT0_T1_T2_jT3_P12ihipStream_tbPNSt15iterator_traitsISE_E10value_typeEPNSK_ISF_E10value_typeEPSG_NS1_7vsmem_tEENKUlT_SE_SF_SG_E_clIS8_S8_S9_S9_EESD_ST_SE_SF_SG_EUlST_E0_NS1_11comp_targetILNS1_3genE9ELNS1_11target_archE1100ELNS1_3gpuE3ELNS1_3repE0EEENS1_38merge_mergepath_config_static_selectorELNS0_4arch9wavefront6targetE1EEEvSF_: ; @_ZN7rocprim17ROCPRIM_400000_NS6detail17trampoline_kernelINS0_14default_configENS1_38merge_sort_block_merge_config_selectorIsNS0_10empty_typeEEEZZNS1_27merge_sort_block_merge_implIS3_PsPS5_jNS1_19radix_merge_compareILb0ELb1EsNS0_19identity_decomposerEEEEE10hipError_tT0_T1_T2_jT3_P12ihipStream_tbPNSt15iterator_traitsISE_E10value_typeEPNSK_ISF_E10value_typeEPSG_NS1_7vsmem_tEENKUlT_SE_SF_SG_E_clIS8_S8_S9_S9_EESD_ST_SE_SF_SG_EUlST_E0_NS1_11comp_targetILNS1_3genE9ELNS1_11target_archE1100ELNS1_3gpuE3ELNS1_3repE0EEENS1_38merge_mergepath_config_static_selectorELNS0_4arch9wavefront6targetE1EEEvSF_
; %bb.0:
	.section	.rodata,"a",@progbits
	.p2align	6, 0x0
	.amdhsa_kernel _ZN7rocprim17ROCPRIM_400000_NS6detail17trampoline_kernelINS0_14default_configENS1_38merge_sort_block_merge_config_selectorIsNS0_10empty_typeEEEZZNS1_27merge_sort_block_merge_implIS3_PsPS5_jNS1_19radix_merge_compareILb0ELb1EsNS0_19identity_decomposerEEEEE10hipError_tT0_T1_T2_jT3_P12ihipStream_tbPNSt15iterator_traitsISE_E10value_typeEPNSK_ISF_E10value_typeEPSG_NS1_7vsmem_tEENKUlT_SE_SF_SG_E_clIS8_S8_S9_S9_EESD_ST_SE_SF_SG_EUlST_E0_NS1_11comp_targetILNS1_3genE9ELNS1_11target_archE1100ELNS1_3gpuE3ELNS1_3repE0EEENS1_38merge_mergepath_config_static_selectorELNS0_4arch9wavefront6targetE1EEEvSF_
		.amdhsa_group_segment_fixed_size 0
		.amdhsa_private_segment_fixed_size 0
		.amdhsa_kernarg_size 64
		.amdhsa_user_sgpr_count 6
		.amdhsa_user_sgpr_private_segment_buffer 1
		.amdhsa_user_sgpr_dispatch_ptr 0
		.amdhsa_user_sgpr_queue_ptr 0
		.amdhsa_user_sgpr_kernarg_segment_ptr 1
		.amdhsa_user_sgpr_dispatch_id 0
		.amdhsa_user_sgpr_flat_scratch_init 0
		.amdhsa_user_sgpr_kernarg_preload_length 0
		.amdhsa_user_sgpr_kernarg_preload_offset 0
		.amdhsa_user_sgpr_private_segment_size 0
		.amdhsa_uses_dynamic_stack 0
		.amdhsa_system_sgpr_private_segment_wavefront_offset 0
		.amdhsa_system_sgpr_workgroup_id_x 1
		.amdhsa_system_sgpr_workgroup_id_y 0
		.amdhsa_system_sgpr_workgroup_id_z 0
		.amdhsa_system_sgpr_workgroup_info 0
		.amdhsa_system_vgpr_workitem_id 0
		.amdhsa_next_free_vgpr 1
		.amdhsa_next_free_sgpr 0
		.amdhsa_accum_offset 4
		.amdhsa_reserve_vcc 0
		.amdhsa_reserve_flat_scratch 0
		.amdhsa_float_round_mode_32 0
		.amdhsa_float_round_mode_16_64 0
		.amdhsa_float_denorm_mode_32 3
		.amdhsa_float_denorm_mode_16_64 3
		.amdhsa_dx10_clamp 1
		.amdhsa_ieee_mode 1
		.amdhsa_fp16_overflow 0
		.amdhsa_tg_split 0
		.amdhsa_exception_fp_ieee_invalid_op 0
		.amdhsa_exception_fp_denorm_src 0
		.amdhsa_exception_fp_ieee_div_zero 0
		.amdhsa_exception_fp_ieee_overflow 0
		.amdhsa_exception_fp_ieee_underflow 0
		.amdhsa_exception_fp_ieee_inexact 0
		.amdhsa_exception_int_div_zero 0
	.end_amdhsa_kernel
	.section	.text._ZN7rocprim17ROCPRIM_400000_NS6detail17trampoline_kernelINS0_14default_configENS1_38merge_sort_block_merge_config_selectorIsNS0_10empty_typeEEEZZNS1_27merge_sort_block_merge_implIS3_PsPS5_jNS1_19radix_merge_compareILb0ELb1EsNS0_19identity_decomposerEEEEE10hipError_tT0_T1_T2_jT3_P12ihipStream_tbPNSt15iterator_traitsISE_E10value_typeEPNSK_ISF_E10value_typeEPSG_NS1_7vsmem_tEENKUlT_SE_SF_SG_E_clIS8_S8_S9_S9_EESD_ST_SE_SF_SG_EUlST_E0_NS1_11comp_targetILNS1_3genE9ELNS1_11target_archE1100ELNS1_3gpuE3ELNS1_3repE0EEENS1_38merge_mergepath_config_static_selectorELNS0_4arch9wavefront6targetE1EEEvSF_,"axG",@progbits,_ZN7rocprim17ROCPRIM_400000_NS6detail17trampoline_kernelINS0_14default_configENS1_38merge_sort_block_merge_config_selectorIsNS0_10empty_typeEEEZZNS1_27merge_sort_block_merge_implIS3_PsPS5_jNS1_19radix_merge_compareILb0ELb1EsNS0_19identity_decomposerEEEEE10hipError_tT0_T1_T2_jT3_P12ihipStream_tbPNSt15iterator_traitsISE_E10value_typeEPNSK_ISF_E10value_typeEPSG_NS1_7vsmem_tEENKUlT_SE_SF_SG_E_clIS8_S8_S9_S9_EESD_ST_SE_SF_SG_EUlST_E0_NS1_11comp_targetILNS1_3genE9ELNS1_11target_archE1100ELNS1_3gpuE3ELNS1_3repE0EEENS1_38merge_mergepath_config_static_selectorELNS0_4arch9wavefront6targetE1EEEvSF_,comdat
.Lfunc_end402:
	.size	_ZN7rocprim17ROCPRIM_400000_NS6detail17trampoline_kernelINS0_14default_configENS1_38merge_sort_block_merge_config_selectorIsNS0_10empty_typeEEEZZNS1_27merge_sort_block_merge_implIS3_PsPS5_jNS1_19radix_merge_compareILb0ELb1EsNS0_19identity_decomposerEEEEE10hipError_tT0_T1_T2_jT3_P12ihipStream_tbPNSt15iterator_traitsISE_E10value_typeEPNSK_ISF_E10value_typeEPSG_NS1_7vsmem_tEENKUlT_SE_SF_SG_E_clIS8_S8_S9_S9_EESD_ST_SE_SF_SG_EUlST_E0_NS1_11comp_targetILNS1_3genE9ELNS1_11target_archE1100ELNS1_3gpuE3ELNS1_3repE0EEENS1_38merge_mergepath_config_static_selectorELNS0_4arch9wavefront6targetE1EEEvSF_, .Lfunc_end402-_ZN7rocprim17ROCPRIM_400000_NS6detail17trampoline_kernelINS0_14default_configENS1_38merge_sort_block_merge_config_selectorIsNS0_10empty_typeEEEZZNS1_27merge_sort_block_merge_implIS3_PsPS5_jNS1_19radix_merge_compareILb0ELb1EsNS0_19identity_decomposerEEEEE10hipError_tT0_T1_T2_jT3_P12ihipStream_tbPNSt15iterator_traitsISE_E10value_typeEPNSK_ISF_E10value_typeEPSG_NS1_7vsmem_tEENKUlT_SE_SF_SG_E_clIS8_S8_S9_S9_EESD_ST_SE_SF_SG_EUlST_E0_NS1_11comp_targetILNS1_3genE9ELNS1_11target_archE1100ELNS1_3gpuE3ELNS1_3repE0EEENS1_38merge_mergepath_config_static_selectorELNS0_4arch9wavefront6targetE1EEEvSF_
                                        ; -- End function
	.section	.AMDGPU.csdata,"",@progbits
; Kernel info:
; codeLenInByte = 0
; NumSgprs: 4
; NumVgprs: 0
; NumAgprs: 0
; TotalNumVgprs: 0
; ScratchSize: 0
; MemoryBound: 0
; FloatMode: 240
; IeeeMode: 1
; LDSByteSize: 0 bytes/workgroup (compile time only)
; SGPRBlocks: 0
; VGPRBlocks: 0
; NumSGPRsForWavesPerEU: 4
; NumVGPRsForWavesPerEU: 1
; AccumOffset: 4
; Occupancy: 8
; WaveLimiterHint : 0
; COMPUTE_PGM_RSRC2:SCRATCH_EN: 0
; COMPUTE_PGM_RSRC2:USER_SGPR: 6
; COMPUTE_PGM_RSRC2:TRAP_HANDLER: 0
; COMPUTE_PGM_RSRC2:TGID_X_EN: 1
; COMPUTE_PGM_RSRC2:TGID_Y_EN: 0
; COMPUTE_PGM_RSRC2:TGID_Z_EN: 0
; COMPUTE_PGM_RSRC2:TIDIG_COMP_CNT: 0
; COMPUTE_PGM_RSRC3_GFX90A:ACCUM_OFFSET: 0
; COMPUTE_PGM_RSRC3_GFX90A:TG_SPLIT: 0
	.section	.text._ZN7rocprim17ROCPRIM_400000_NS6detail17trampoline_kernelINS0_14default_configENS1_38merge_sort_block_merge_config_selectorIsNS0_10empty_typeEEEZZNS1_27merge_sort_block_merge_implIS3_PsPS5_jNS1_19radix_merge_compareILb0ELb1EsNS0_19identity_decomposerEEEEE10hipError_tT0_T1_T2_jT3_P12ihipStream_tbPNSt15iterator_traitsISE_E10value_typeEPNSK_ISF_E10value_typeEPSG_NS1_7vsmem_tEENKUlT_SE_SF_SG_E_clIS8_S8_S9_S9_EESD_ST_SE_SF_SG_EUlST_E0_NS1_11comp_targetILNS1_3genE8ELNS1_11target_archE1030ELNS1_3gpuE2ELNS1_3repE0EEENS1_38merge_mergepath_config_static_selectorELNS0_4arch9wavefront6targetE1EEEvSF_,"axG",@progbits,_ZN7rocprim17ROCPRIM_400000_NS6detail17trampoline_kernelINS0_14default_configENS1_38merge_sort_block_merge_config_selectorIsNS0_10empty_typeEEEZZNS1_27merge_sort_block_merge_implIS3_PsPS5_jNS1_19radix_merge_compareILb0ELb1EsNS0_19identity_decomposerEEEEE10hipError_tT0_T1_T2_jT3_P12ihipStream_tbPNSt15iterator_traitsISE_E10value_typeEPNSK_ISF_E10value_typeEPSG_NS1_7vsmem_tEENKUlT_SE_SF_SG_E_clIS8_S8_S9_S9_EESD_ST_SE_SF_SG_EUlST_E0_NS1_11comp_targetILNS1_3genE8ELNS1_11target_archE1030ELNS1_3gpuE2ELNS1_3repE0EEENS1_38merge_mergepath_config_static_selectorELNS0_4arch9wavefront6targetE1EEEvSF_,comdat
	.protected	_ZN7rocprim17ROCPRIM_400000_NS6detail17trampoline_kernelINS0_14default_configENS1_38merge_sort_block_merge_config_selectorIsNS0_10empty_typeEEEZZNS1_27merge_sort_block_merge_implIS3_PsPS5_jNS1_19radix_merge_compareILb0ELb1EsNS0_19identity_decomposerEEEEE10hipError_tT0_T1_T2_jT3_P12ihipStream_tbPNSt15iterator_traitsISE_E10value_typeEPNSK_ISF_E10value_typeEPSG_NS1_7vsmem_tEENKUlT_SE_SF_SG_E_clIS8_S8_S9_S9_EESD_ST_SE_SF_SG_EUlST_E0_NS1_11comp_targetILNS1_3genE8ELNS1_11target_archE1030ELNS1_3gpuE2ELNS1_3repE0EEENS1_38merge_mergepath_config_static_selectorELNS0_4arch9wavefront6targetE1EEEvSF_ ; -- Begin function _ZN7rocprim17ROCPRIM_400000_NS6detail17trampoline_kernelINS0_14default_configENS1_38merge_sort_block_merge_config_selectorIsNS0_10empty_typeEEEZZNS1_27merge_sort_block_merge_implIS3_PsPS5_jNS1_19radix_merge_compareILb0ELb1EsNS0_19identity_decomposerEEEEE10hipError_tT0_T1_T2_jT3_P12ihipStream_tbPNSt15iterator_traitsISE_E10value_typeEPNSK_ISF_E10value_typeEPSG_NS1_7vsmem_tEENKUlT_SE_SF_SG_E_clIS8_S8_S9_S9_EESD_ST_SE_SF_SG_EUlST_E0_NS1_11comp_targetILNS1_3genE8ELNS1_11target_archE1030ELNS1_3gpuE2ELNS1_3repE0EEENS1_38merge_mergepath_config_static_selectorELNS0_4arch9wavefront6targetE1EEEvSF_
	.globl	_ZN7rocprim17ROCPRIM_400000_NS6detail17trampoline_kernelINS0_14default_configENS1_38merge_sort_block_merge_config_selectorIsNS0_10empty_typeEEEZZNS1_27merge_sort_block_merge_implIS3_PsPS5_jNS1_19radix_merge_compareILb0ELb1EsNS0_19identity_decomposerEEEEE10hipError_tT0_T1_T2_jT3_P12ihipStream_tbPNSt15iterator_traitsISE_E10value_typeEPNSK_ISF_E10value_typeEPSG_NS1_7vsmem_tEENKUlT_SE_SF_SG_E_clIS8_S8_S9_S9_EESD_ST_SE_SF_SG_EUlST_E0_NS1_11comp_targetILNS1_3genE8ELNS1_11target_archE1030ELNS1_3gpuE2ELNS1_3repE0EEENS1_38merge_mergepath_config_static_selectorELNS0_4arch9wavefront6targetE1EEEvSF_
	.p2align	8
	.type	_ZN7rocprim17ROCPRIM_400000_NS6detail17trampoline_kernelINS0_14default_configENS1_38merge_sort_block_merge_config_selectorIsNS0_10empty_typeEEEZZNS1_27merge_sort_block_merge_implIS3_PsPS5_jNS1_19radix_merge_compareILb0ELb1EsNS0_19identity_decomposerEEEEE10hipError_tT0_T1_T2_jT3_P12ihipStream_tbPNSt15iterator_traitsISE_E10value_typeEPNSK_ISF_E10value_typeEPSG_NS1_7vsmem_tEENKUlT_SE_SF_SG_E_clIS8_S8_S9_S9_EESD_ST_SE_SF_SG_EUlST_E0_NS1_11comp_targetILNS1_3genE8ELNS1_11target_archE1030ELNS1_3gpuE2ELNS1_3repE0EEENS1_38merge_mergepath_config_static_selectorELNS0_4arch9wavefront6targetE1EEEvSF_,@function
_ZN7rocprim17ROCPRIM_400000_NS6detail17trampoline_kernelINS0_14default_configENS1_38merge_sort_block_merge_config_selectorIsNS0_10empty_typeEEEZZNS1_27merge_sort_block_merge_implIS3_PsPS5_jNS1_19radix_merge_compareILb0ELb1EsNS0_19identity_decomposerEEEEE10hipError_tT0_T1_T2_jT3_P12ihipStream_tbPNSt15iterator_traitsISE_E10value_typeEPNSK_ISF_E10value_typeEPSG_NS1_7vsmem_tEENKUlT_SE_SF_SG_E_clIS8_S8_S9_S9_EESD_ST_SE_SF_SG_EUlST_E0_NS1_11comp_targetILNS1_3genE8ELNS1_11target_archE1030ELNS1_3gpuE2ELNS1_3repE0EEENS1_38merge_mergepath_config_static_selectorELNS0_4arch9wavefront6targetE1EEEvSF_: ; @_ZN7rocprim17ROCPRIM_400000_NS6detail17trampoline_kernelINS0_14default_configENS1_38merge_sort_block_merge_config_selectorIsNS0_10empty_typeEEEZZNS1_27merge_sort_block_merge_implIS3_PsPS5_jNS1_19radix_merge_compareILb0ELb1EsNS0_19identity_decomposerEEEEE10hipError_tT0_T1_T2_jT3_P12ihipStream_tbPNSt15iterator_traitsISE_E10value_typeEPNSK_ISF_E10value_typeEPSG_NS1_7vsmem_tEENKUlT_SE_SF_SG_E_clIS8_S8_S9_S9_EESD_ST_SE_SF_SG_EUlST_E0_NS1_11comp_targetILNS1_3genE8ELNS1_11target_archE1030ELNS1_3gpuE2ELNS1_3repE0EEENS1_38merge_mergepath_config_static_selectorELNS0_4arch9wavefront6targetE1EEEvSF_
; %bb.0:
	.section	.rodata,"a",@progbits
	.p2align	6, 0x0
	.amdhsa_kernel _ZN7rocprim17ROCPRIM_400000_NS6detail17trampoline_kernelINS0_14default_configENS1_38merge_sort_block_merge_config_selectorIsNS0_10empty_typeEEEZZNS1_27merge_sort_block_merge_implIS3_PsPS5_jNS1_19radix_merge_compareILb0ELb1EsNS0_19identity_decomposerEEEEE10hipError_tT0_T1_T2_jT3_P12ihipStream_tbPNSt15iterator_traitsISE_E10value_typeEPNSK_ISF_E10value_typeEPSG_NS1_7vsmem_tEENKUlT_SE_SF_SG_E_clIS8_S8_S9_S9_EESD_ST_SE_SF_SG_EUlST_E0_NS1_11comp_targetILNS1_3genE8ELNS1_11target_archE1030ELNS1_3gpuE2ELNS1_3repE0EEENS1_38merge_mergepath_config_static_selectorELNS0_4arch9wavefront6targetE1EEEvSF_
		.amdhsa_group_segment_fixed_size 0
		.amdhsa_private_segment_fixed_size 0
		.amdhsa_kernarg_size 64
		.amdhsa_user_sgpr_count 6
		.amdhsa_user_sgpr_private_segment_buffer 1
		.amdhsa_user_sgpr_dispatch_ptr 0
		.amdhsa_user_sgpr_queue_ptr 0
		.amdhsa_user_sgpr_kernarg_segment_ptr 1
		.amdhsa_user_sgpr_dispatch_id 0
		.amdhsa_user_sgpr_flat_scratch_init 0
		.amdhsa_user_sgpr_kernarg_preload_length 0
		.amdhsa_user_sgpr_kernarg_preload_offset 0
		.amdhsa_user_sgpr_private_segment_size 0
		.amdhsa_uses_dynamic_stack 0
		.amdhsa_system_sgpr_private_segment_wavefront_offset 0
		.amdhsa_system_sgpr_workgroup_id_x 1
		.amdhsa_system_sgpr_workgroup_id_y 0
		.amdhsa_system_sgpr_workgroup_id_z 0
		.amdhsa_system_sgpr_workgroup_info 0
		.amdhsa_system_vgpr_workitem_id 0
		.amdhsa_next_free_vgpr 1
		.amdhsa_next_free_sgpr 0
		.amdhsa_accum_offset 4
		.amdhsa_reserve_vcc 0
		.amdhsa_reserve_flat_scratch 0
		.amdhsa_float_round_mode_32 0
		.amdhsa_float_round_mode_16_64 0
		.amdhsa_float_denorm_mode_32 3
		.amdhsa_float_denorm_mode_16_64 3
		.amdhsa_dx10_clamp 1
		.amdhsa_ieee_mode 1
		.amdhsa_fp16_overflow 0
		.amdhsa_tg_split 0
		.amdhsa_exception_fp_ieee_invalid_op 0
		.amdhsa_exception_fp_denorm_src 0
		.amdhsa_exception_fp_ieee_div_zero 0
		.amdhsa_exception_fp_ieee_overflow 0
		.amdhsa_exception_fp_ieee_underflow 0
		.amdhsa_exception_fp_ieee_inexact 0
		.amdhsa_exception_int_div_zero 0
	.end_amdhsa_kernel
	.section	.text._ZN7rocprim17ROCPRIM_400000_NS6detail17trampoline_kernelINS0_14default_configENS1_38merge_sort_block_merge_config_selectorIsNS0_10empty_typeEEEZZNS1_27merge_sort_block_merge_implIS3_PsPS5_jNS1_19radix_merge_compareILb0ELb1EsNS0_19identity_decomposerEEEEE10hipError_tT0_T1_T2_jT3_P12ihipStream_tbPNSt15iterator_traitsISE_E10value_typeEPNSK_ISF_E10value_typeEPSG_NS1_7vsmem_tEENKUlT_SE_SF_SG_E_clIS8_S8_S9_S9_EESD_ST_SE_SF_SG_EUlST_E0_NS1_11comp_targetILNS1_3genE8ELNS1_11target_archE1030ELNS1_3gpuE2ELNS1_3repE0EEENS1_38merge_mergepath_config_static_selectorELNS0_4arch9wavefront6targetE1EEEvSF_,"axG",@progbits,_ZN7rocprim17ROCPRIM_400000_NS6detail17trampoline_kernelINS0_14default_configENS1_38merge_sort_block_merge_config_selectorIsNS0_10empty_typeEEEZZNS1_27merge_sort_block_merge_implIS3_PsPS5_jNS1_19radix_merge_compareILb0ELb1EsNS0_19identity_decomposerEEEEE10hipError_tT0_T1_T2_jT3_P12ihipStream_tbPNSt15iterator_traitsISE_E10value_typeEPNSK_ISF_E10value_typeEPSG_NS1_7vsmem_tEENKUlT_SE_SF_SG_E_clIS8_S8_S9_S9_EESD_ST_SE_SF_SG_EUlST_E0_NS1_11comp_targetILNS1_3genE8ELNS1_11target_archE1030ELNS1_3gpuE2ELNS1_3repE0EEENS1_38merge_mergepath_config_static_selectorELNS0_4arch9wavefront6targetE1EEEvSF_,comdat
.Lfunc_end403:
	.size	_ZN7rocprim17ROCPRIM_400000_NS6detail17trampoline_kernelINS0_14default_configENS1_38merge_sort_block_merge_config_selectorIsNS0_10empty_typeEEEZZNS1_27merge_sort_block_merge_implIS3_PsPS5_jNS1_19radix_merge_compareILb0ELb1EsNS0_19identity_decomposerEEEEE10hipError_tT0_T1_T2_jT3_P12ihipStream_tbPNSt15iterator_traitsISE_E10value_typeEPNSK_ISF_E10value_typeEPSG_NS1_7vsmem_tEENKUlT_SE_SF_SG_E_clIS8_S8_S9_S9_EESD_ST_SE_SF_SG_EUlST_E0_NS1_11comp_targetILNS1_3genE8ELNS1_11target_archE1030ELNS1_3gpuE2ELNS1_3repE0EEENS1_38merge_mergepath_config_static_selectorELNS0_4arch9wavefront6targetE1EEEvSF_, .Lfunc_end403-_ZN7rocprim17ROCPRIM_400000_NS6detail17trampoline_kernelINS0_14default_configENS1_38merge_sort_block_merge_config_selectorIsNS0_10empty_typeEEEZZNS1_27merge_sort_block_merge_implIS3_PsPS5_jNS1_19radix_merge_compareILb0ELb1EsNS0_19identity_decomposerEEEEE10hipError_tT0_T1_T2_jT3_P12ihipStream_tbPNSt15iterator_traitsISE_E10value_typeEPNSK_ISF_E10value_typeEPSG_NS1_7vsmem_tEENKUlT_SE_SF_SG_E_clIS8_S8_S9_S9_EESD_ST_SE_SF_SG_EUlST_E0_NS1_11comp_targetILNS1_3genE8ELNS1_11target_archE1030ELNS1_3gpuE2ELNS1_3repE0EEENS1_38merge_mergepath_config_static_selectorELNS0_4arch9wavefront6targetE1EEEvSF_
                                        ; -- End function
	.section	.AMDGPU.csdata,"",@progbits
; Kernel info:
; codeLenInByte = 0
; NumSgprs: 4
; NumVgprs: 0
; NumAgprs: 0
; TotalNumVgprs: 0
; ScratchSize: 0
; MemoryBound: 0
; FloatMode: 240
; IeeeMode: 1
; LDSByteSize: 0 bytes/workgroup (compile time only)
; SGPRBlocks: 0
; VGPRBlocks: 0
; NumSGPRsForWavesPerEU: 4
; NumVGPRsForWavesPerEU: 1
; AccumOffset: 4
; Occupancy: 8
; WaveLimiterHint : 0
; COMPUTE_PGM_RSRC2:SCRATCH_EN: 0
; COMPUTE_PGM_RSRC2:USER_SGPR: 6
; COMPUTE_PGM_RSRC2:TRAP_HANDLER: 0
; COMPUTE_PGM_RSRC2:TGID_X_EN: 1
; COMPUTE_PGM_RSRC2:TGID_Y_EN: 0
; COMPUTE_PGM_RSRC2:TGID_Z_EN: 0
; COMPUTE_PGM_RSRC2:TIDIG_COMP_CNT: 0
; COMPUTE_PGM_RSRC3_GFX90A:ACCUM_OFFSET: 0
; COMPUTE_PGM_RSRC3_GFX90A:TG_SPLIT: 0
	.section	.text._ZN7rocprim17ROCPRIM_400000_NS6detail17trampoline_kernelINS0_14default_configENS1_38merge_sort_block_merge_config_selectorIsNS0_10empty_typeEEEZZNS1_27merge_sort_block_merge_implIS3_PsPS5_jNS1_19radix_merge_compareILb0ELb1EsNS0_19identity_decomposerEEEEE10hipError_tT0_T1_T2_jT3_P12ihipStream_tbPNSt15iterator_traitsISE_E10value_typeEPNSK_ISF_E10value_typeEPSG_NS1_7vsmem_tEENKUlT_SE_SF_SG_E_clIS8_S8_S9_S9_EESD_ST_SE_SF_SG_EUlST_E1_NS1_11comp_targetILNS1_3genE0ELNS1_11target_archE4294967295ELNS1_3gpuE0ELNS1_3repE0EEENS1_36merge_oddeven_config_static_selectorELNS0_4arch9wavefront6targetE1EEEvSF_,"axG",@progbits,_ZN7rocprim17ROCPRIM_400000_NS6detail17trampoline_kernelINS0_14default_configENS1_38merge_sort_block_merge_config_selectorIsNS0_10empty_typeEEEZZNS1_27merge_sort_block_merge_implIS3_PsPS5_jNS1_19radix_merge_compareILb0ELb1EsNS0_19identity_decomposerEEEEE10hipError_tT0_T1_T2_jT3_P12ihipStream_tbPNSt15iterator_traitsISE_E10value_typeEPNSK_ISF_E10value_typeEPSG_NS1_7vsmem_tEENKUlT_SE_SF_SG_E_clIS8_S8_S9_S9_EESD_ST_SE_SF_SG_EUlST_E1_NS1_11comp_targetILNS1_3genE0ELNS1_11target_archE4294967295ELNS1_3gpuE0ELNS1_3repE0EEENS1_36merge_oddeven_config_static_selectorELNS0_4arch9wavefront6targetE1EEEvSF_,comdat
	.protected	_ZN7rocprim17ROCPRIM_400000_NS6detail17trampoline_kernelINS0_14default_configENS1_38merge_sort_block_merge_config_selectorIsNS0_10empty_typeEEEZZNS1_27merge_sort_block_merge_implIS3_PsPS5_jNS1_19radix_merge_compareILb0ELb1EsNS0_19identity_decomposerEEEEE10hipError_tT0_T1_T2_jT3_P12ihipStream_tbPNSt15iterator_traitsISE_E10value_typeEPNSK_ISF_E10value_typeEPSG_NS1_7vsmem_tEENKUlT_SE_SF_SG_E_clIS8_S8_S9_S9_EESD_ST_SE_SF_SG_EUlST_E1_NS1_11comp_targetILNS1_3genE0ELNS1_11target_archE4294967295ELNS1_3gpuE0ELNS1_3repE0EEENS1_36merge_oddeven_config_static_selectorELNS0_4arch9wavefront6targetE1EEEvSF_ ; -- Begin function _ZN7rocprim17ROCPRIM_400000_NS6detail17trampoline_kernelINS0_14default_configENS1_38merge_sort_block_merge_config_selectorIsNS0_10empty_typeEEEZZNS1_27merge_sort_block_merge_implIS3_PsPS5_jNS1_19radix_merge_compareILb0ELb1EsNS0_19identity_decomposerEEEEE10hipError_tT0_T1_T2_jT3_P12ihipStream_tbPNSt15iterator_traitsISE_E10value_typeEPNSK_ISF_E10value_typeEPSG_NS1_7vsmem_tEENKUlT_SE_SF_SG_E_clIS8_S8_S9_S9_EESD_ST_SE_SF_SG_EUlST_E1_NS1_11comp_targetILNS1_3genE0ELNS1_11target_archE4294967295ELNS1_3gpuE0ELNS1_3repE0EEENS1_36merge_oddeven_config_static_selectorELNS0_4arch9wavefront6targetE1EEEvSF_
	.globl	_ZN7rocprim17ROCPRIM_400000_NS6detail17trampoline_kernelINS0_14default_configENS1_38merge_sort_block_merge_config_selectorIsNS0_10empty_typeEEEZZNS1_27merge_sort_block_merge_implIS3_PsPS5_jNS1_19radix_merge_compareILb0ELb1EsNS0_19identity_decomposerEEEEE10hipError_tT0_T1_T2_jT3_P12ihipStream_tbPNSt15iterator_traitsISE_E10value_typeEPNSK_ISF_E10value_typeEPSG_NS1_7vsmem_tEENKUlT_SE_SF_SG_E_clIS8_S8_S9_S9_EESD_ST_SE_SF_SG_EUlST_E1_NS1_11comp_targetILNS1_3genE0ELNS1_11target_archE4294967295ELNS1_3gpuE0ELNS1_3repE0EEENS1_36merge_oddeven_config_static_selectorELNS0_4arch9wavefront6targetE1EEEvSF_
	.p2align	8
	.type	_ZN7rocprim17ROCPRIM_400000_NS6detail17trampoline_kernelINS0_14default_configENS1_38merge_sort_block_merge_config_selectorIsNS0_10empty_typeEEEZZNS1_27merge_sort_block_merge_implIS3_PsPS5_jNS1_19radix_merge_compareILb0ELb1EsNS0_19identity_decomposerEEEEE10hipError_tT0_T1_T2_jT3_P12ihipStream_tbPNSt15iterator_traitsISE_E10value_typeEPNSK_ISF_E10value_typeEPSG_NS1_7vsmem_tEENKUlT_SE_SF_SG_E_clIS8_S8_S9_S9_EESD_ST_SE_SF_SG_EUlST_E1_NS1_11comp_targetILNS1_3genE0ELNS1_11target_archE4294967295ELNS1_3gpuE0ELNS1_3repE0EEENS1_36merge_oddeven_config_static_selectorELNS0_4arch9wavefront6targetE1EEEvSF_,@function
_ZN7rocprim17ROCPRIM_400000_NS6detail17trampoline_kernelINS0_14default_configENS1_38merge_sort_block_merge_config_selectorIsNS0_10empty_typeEEEZZNS1_27merge_sort_block_merge_implIS3_PsPS5_jNS1_19radix_merge_compareILb0ELb1EsNS0_19identity_decomposerEEEEE10hipError_tT0_T1_T2_jT3_P12ihipStream_tbPNSt15iterator_traitsISE_E10value_typeEPNSK_ISF_E10value_typeEPSG_NS1_7vsmem_tEENKUlT_SE_SF_SG_E_clIS8_S8_S9_S9_EESD_ST_SE_SF_SG_EUlST_E1_NS1_11comp_targetILNS1_3genE0ELNS1_11target_archE4294967295ELNS1_3gpuE0ELNS1_3repE0EEENS1_36merge_oddeven_config_static_selectorELNS0_4arch9wavefront6targetE1EEEvSF_: ; @_ZN7rocprim17ROCPRIM_400000_NS6detail17trampoline_kernelINS0_14default_configENS1_38merge_sort_block_merge_config_selectorIsNS0_10empty_typeEEEZZNS1_27merge_sort_block_merge_implIS3_PsPS5_jNS1_19radix_merge_compareILb0ELb1EsNS0_19identity_decomposerEEEEE10hipError_tT0_T1_T2_jT3_P12ihipStream_tbPNSt15iterator_traitsISE_E10value_typeEPNSK_ISF_E10value_typeEPSG_NS1_7vsmem_tEENKUlT_SE_SF_SG_E_clIS8_S8_S9_S9_EESD_ST_SE_SF_SG_EUlST_E1_NS1_11comp_targetILNS1_3genE0ELNS1_11target_archE4294967295ELNS1_3gpuE0ELNS1_3repE0EEENS1_36merge_oddeven_config_static_selectorELNS0_4arch9wavefront6targetE1EEEvSF_
; %bb.0:
	.section	.rodata,"a",@progbits
	.p2align	6, 0x0
	.amdhsa_kernel _ZN7rocprim17ROCPRIM_400000_NS6detail17trampoline_kernelINS0_14default_configENS1_38merge_sort_block_merge_config_selectorIsNS0_10empty_typeEEEZZNS1_27merge_sort_block_merge_implIS3_PsPS5_jNS1_19radix_merge_compareILb0ELb1EsNS0_19identity_decomposerEEEEE10hipError_tT0_T1_T2_jT3_P12ihipStream_tbPNSt15iterator_traitsISE_E10value_typeEPNSK_ISF_E10value_typeEPSG_NS1_7vsmem_tEENKUlT_SE_SF_SG_E_clIS8_S8_S9_S9_EESD_ST_SE_SF_SG_EUlST_E1_NS1_11comp_targetILNS1_3genE0ELNS1_11target_archE4294967295ELNS1_3gpuE0ELNS1_3repE0EEENS1_36merge_oddeven_config_static_selectorELNS0_4arch9wavefront6targetE1EEEvSF_
		.amdhsa_group_segment_fixed_size 0
		.amdhsa_private_segment_fixed_size 0
		.amdhsa_kernarg_size 48
		.amdhsa_user_sgpr_count 6
		.amdhsa_user_sgpr_private_segment_buffer 1
		.amdhsa_user_sgpr_dispatch_ptr 0
		.amdhsa_user_sgpr_queue_ptr 0
		.amdhsa_user_sgpr_kernarg_segment_ptr 1
		.amdhsa_user_sgpr_dispatch_id 0
		.amdhsa_user_sgpr_flat_scratch_init 0
		.amdhsa_user_sgpr_kernarg_preload_length 0
		.amdhsa_user_sgpr_kernarg_preload_offset 0
		.amdhsa_user_sgpr_private_segment_size 0
		.amdhsa_uses_dynamic_stack 0
		.amdhsa_system_sgpr_private_segment_wavefront_offset 0
		.amdhsa_system_sgpr_workgroup_id_x 1
		.amdhsa_system_sgpr_workgroup_id_y 0
		.amdhsa_system_sgpr_workgroup_id_z 0
		.amdhsa_system_sgpr_workgroup_info 0
		.amdhsa_system_vgpr_workitem_id 0
		.amdhsa_next_free_vgpr 1
		.amdhsa_next_free_sgpr 0
		.amdhsa_accum_offset 4
		.amdhsa_reserve_vcc 0
		.amdhsa_reserve_flat_scratch 0
		.amdhsa_float_round_mode_32 0
		.amdhsa_float_round_mode_16_64 0
		.amdhsa_float_denorm_mode_32 3
		.amdhsa_float_denorm_mode_16_64 3
		.amdhsa_dx10_clamp 1
		.amdhsa_ieee_mode 1
		.amdhsa_fp16_overflow 0
		.amdhsa_tg_split 0
		.amdhsa_exception_fp_ieee_invalid_op 0
		.amdhsa_exception_fp_denorm_src 0
		.amdhsa_exception_fp_ieee_div_zero 0
		.amdhsa_exception_fp_ieee_overflow 0
		.amdhsa_exception_fp_ieee_underflow 0
		.amdhsa_exception_fp_ieee_inexact 0
		.amdhsa_exception_int_div_zero 0
	.end_amdhsa_kernel
	.section	.text._ZN7rocprim17ROCPRIM_400000_NS6detail17trampoline_kernelINS0_14default_configENS1_38merge_sort_block_merge_config_selectorIsNS0_10empty_typeEEEZZNS1_27merge_sort_block_merge_implIS3_PsPS5_jNS1_19radix_merge_compareILb0ELb1EsNS0_19identity_decomposerEEEEE10hipError_tT0_T1_T2_jT3_P12ihipStream_tbPNSt15iterator_traitsISE_E10value_typeEPNSK_ISF_E10value_typeEPSG_NS1_7vsmem_tEENKUlT_SE_SF_SG_E_clIS8_S8_S9_S9_EESD_ST_SE_SF_SG_EUlST_E1_NS1_11comp_targetILNS1_3genE0ELNS1_11target_archE4294967295ELNS1_3gpuE0ELNS1_3repE0EEENS1_36merge_oddeven_config_static_selectorELNS0_4arch9wavefront6targetE1EEEvSF_,"axG",@progbits,_ZN7rocprim17ROCPRIM_400000_NS6detail17trampoline_kernelINS0_14default_configENS1_38merge_sort_block_merge_config_selectorIsNS0_10empty_typeEEEZZNS1_27merge_sort_block_merge_implIS3_PsPS5_jNS1_19radix_merge_compareILb0ELb1EsNS0_19identity_decomposerEEEEE10hipError_tT0_T1_T2_jT3_P12ihipStream_tbPNSt15iterator_traitsISE_E10value_typeEPNSK_ISF_E10value_typeEPSG_NS1_7vsmem_tEENKUlT_SE_SF_SG_E_clIS8_S8_S9_S9_EESD_ST_SE_SF_SG_EUlST_E1_NS1_11comp_targetILNS1_3genE0ELNS1_11target_archE4294967295ELNS1_3gpuE0ELNS1_3repE0EEENS1_36merge_oddeven_config_static_selectorELNS0_4arch9wavefront6targetE1EEEvSF_,comdat
.Lfunc_end404:
	.size	_ZN7rocprim17ROCPRIM_400000_NS6detail17trampoline_kernelINS0_14default_configENS1_38merge_sort_block_merge_config_selectorIsNS0_10empty_typeEEEZZNS1_27merge_sort_block_merge_implIS3_PsPS5_jNS1_19radix_merge_compareILb0ELb1EsNS0_19identity_decomposerEEEEE10hipError_tT0_T1_T2_jT3_P12ihipStream_tbPNSt15iterator_traitsISE_E10value_typeEPNSK_ISF_E10value_typeEPSG_NS1_7vsmem_tEENKUlT_SE_SF_SG_E_clIS8_S8_S9_S9_EESD_ST_SE_SF_SG_EUlST_E1_NS1_11comp_targetILNS1_3genE0ELNS1_11target_archE4294967295ELNS1_3gpuE0ELNS1_3repE0EEENS1_36merge_oddeven_config_static_selectorELNS0_4arch9wavefront6targetE1EEEvSF_, .Lfunc_end404-_ZN7rocprim17ROCPRIM_400000_NS6detail17trampoline_kernelINS0_14default_configENS1_38merge_sort_block_merge_config_selectorIsNS0_10empty_typeEEEZZNS1_27merge_sort_block_merge_implIS3_PsPS5_jNS1_19radix_merge_compareILb0ELb1EsNS0_19identity_decomposerEEEEE10hipError_tT0_T1_T2_jT3_P12ihipStream_tbPNSt15iterator_traitsISE_E10value_typeEPNSK_ISF_E10value_typeEPSG_NS1_7vsmem_tEENKUlT_SE_SF_SG_E_clIS8_S8_S9_S9_EESD_ST_SE_SF_SG_EUlST_E1_NS1_11comp_targetILNS1_3genE0ELNS1_11target_archE4294967295ELNS1_3gpuE0ELNS1_3repE0EEENS1_36merge_oddeven_config_static_selectorELNS0_4arch9wavefront6targetE1EEEvSF_
                                        ; -- End function
	.section	.AMDGPU.csdata,"",@progbits
; Kernel info:
; codeLenInByte = 0
; NumSgprs: 4
; NumVgprs: 0
; NumAgprs: 0
; TotalNumVgprs: 0
; ScratchSize: 0
; MemoryBound: 0
; FloatMode: 240
; IeeeMode: 1
; LDSByteSize: 0 bytes/workgroup (compile time only)
; SGPRBlocks: 0
; VGPRBlocks: 0
; NumSGPRsForWavesPerEU: 4
; NumVGPRsForWavesPerEU: 1
; AccumOffset: 4
; Occupancy: 8
; WaveLimiterHint : 0
; COMPUTE_PGM_RSRC2:SCRATCH_EN: 0
; COMPUTE_PGM_RSRC2:USER_SGPR: 6
; COMPUTE_PGM_RSRC2:TRAP_HANDLER: 0
; COMPUTE_PGM_RSRC2:TGID_X_EN: 1
; COMPUTE_PGM_RSRC2:TGID_Y_EN: 0
; COMPUTE_PGM_RSRC2:TGID_Z_EN: 0
; COMPUTE_PGM_RSRC2:TIDIG_COMP_CNT: 0
; COMPUTE_PGM_RSRC3_GFX90A:ACCUM_OFFSET: 0
; COMPUTE_PGM_RSRC3_GFX90A:TG_SPLIT: 0
	.section	.text._ZN7rocprim17ROCPRIM_400000_NS6detail17trampoline_kernelINS0_14default_configENS1_38merge_sort_block_merge_config_selectorIsNS0_10empty_typeEEEZZNS1_27merge_sort_block_merge_implIS3_PsPS5_jNS1_19radix_merge_compareILb0ELb1EsNS0_19identity_decomposerEEEEE10hipError_tT0_T1_T2_jT3_P12ihipStream_tbPNSt15iterator_traitsISE_E10value_typeEPNSK_ISF_E10value_typeEPSG_NS1_7vsmem_tEENKUlT_SE_SF_SG_E_clIS8_S8_S9_S9_EESD_ST_SE_SF_SG_EUlST_E1_NS1_11comp_targetILNS1_3genE10ELNS1_11target_archE1201ELNS1_3gpuE5ELNS1_3repE0EEENS1_36merge_oddeven_config_static_selectorELNS0_4arch9wavefront6targetE1EEEvSF_,"axG",@progbits,_ZN7rocprim17ROCPRIM_400000_NS6detail17trampoline_kernelINS0_14default_configENS1_38merge_sort_block_merge_config_selectorIsNS0_10empty_typeEEEZZNS1_27merge_sort_block_merge_implIS3_PsPS5_jNS1_19radix_merge_compareILb0ELb1EsNS0_19identity_decomposerEEEEE10hipError_tT0_T1_T2_jT3_P12ihipStream_tbPNSt15iterator_traitsISE_E10value_typeEPNSK_ISF_E10value_typeEPSG_NS1_7vsmem_tEENKUlT_SE_SF_SG_E_clIS8_S8_S9_S9_EESD_ST_SE_SF_SG_EUlST_E1_NS1_11comp_targetILNS1_3genE10ELNS1_11target_archE1201ELNS1_3gpuE5ELNS1_3repE0EEENS1_36merge_oddeven_config_static_selectorELNS0_4arch9wavefront6targetE1EEEvSF_,comdat
	.protected	_ZN7rocprim17ROCPRIM_400000_NS6detail17trampoline_kernelINS0_14default_configENS1_38merge_sort_block_merge_config_selectorIsNS0_10empty_typeEEEZZNS1_27merge_sort_block_merge_implIS3_PsPS5_jNS1_19radix_merge_compareILb0ELb1EsNS0_19identity_decomposerEEEEE10hipError_tT0_T1_T2_jT3_P12ihipStream_tbPNSt15iterator_traitsISE_E10value_typeEPNSK_ISF_E10value_typeEPSG_NS1_7vsmem_tEENKUlT_SE_SF_SG_E_clIS8_S8_S9_S9_EESD_ST_SE_SF_SG_EUlST_E1_NS1_11comp_targetILNS1_3genE10ELNS1_11target_archE1201ELNS1_3gpuE5ELNS1_3repE0EEENS1_36merge_oddeven_config_static_selectorELNS0_4arch9wavefront6targetE1EEEvSF_ ; -- Begin function _ZN7rocprim17ROCPRIM_400000_NS6detail17trampoline_kernelINS0_14default_configENS1_38merge_sort_block_merge_config_selectorIsNS0_10empty_typeEEEZZNS1_27merge_sort_block_merge_implIS3_PsPS5_jNS1_19radix_merge_compareILb0ELb1EsNS0_19identity_decomposerEEEEE10hipError_tT0_T1_T2_jT3_P12ihipStream_tbPNSt15iterator_traitsISE_E10value_typeEPNSK_ISF_E10value_typeEPSG_NS1_7vsmem_tEENKUlT_SE_SF_SG_E_clIS8_S8_S9_S9_EESD_ST_SE_SF_SG_EUlST_E1_NS1_11comp_targetILNS1_3genE10ELNS1_11target_archE1201ELNS1_3gpuE5ELNS1_3repE0EEENS1_36merge_oddeven_config_static_selectorELNS0_4arch9wavefront6targetE1EEEvSF_
	.globl	_ZN7rocprim17ROCPRIM_400000_NS6detail17trampoline_kernelINS0_14default_configENS1_38merge_sort_block_merge_config_selectorIsNS0_10empty_typeEEEZZNS1_27merge_sort_block_merge_implIS3_PsPS5_jNS1_19radix_merge_compareILb0ELb1EsNS0_19identity_decomposerEEEEE10hipError_tT0_T1_T2_jT3_P12ihipStream_tbPNSt15iterator_traitsISE_E10value_typeEPNSK_ISF_E10value_typeEPSG_NS1_7vsmem_tEENKUlT_SE_SF_SG_E_clIS8_S8_S9_S9_EESD_ST_SE_SF_SG_EUlST_E1_NS1_11comp_targetILNS1_3genE10ELNS1_11target_archE1201ELNS1_3gpuE5ELNS1_3repE0EEENS1_36merge_oddeven_config_static_selectorELNS0_4arch9wavefront6targetE1EEEvSF_
	.p2align	8
	.type	_ZN7rocprim17ROCPRIM_400000_NS6detail17trampoline_kernelINS0_14default_configENS1_38merge_sort_block_merge_config_selectorIsNS0_10empty_typeEEEZZNS1_27merge_sort_block_merge_implIS3_PsPS5_jNS1_19radix_merge_compareILb0ELb1EsNS0_19identity_decomposerEEEEE10hipError_tT0_T1_T2_jT3_P12ihipStream_tbPNSt15iterator_traitsISE_E10value_typeEPNSK_ISF_E10value_typeEPSG_NS1_7vsmem_tEENKUlT_SE_SF_SG_E_clIS8_S8_S9_S9_EESD_ST_SE_SF_SG_EUlST_E1_NS1_11comp_targetILNS1_3genE10ELNS1_11target_archE1201ELNS1_3gpuE5ELNS1_3repE0EEENS1_36merge_oddeven_config_static_selectorELNS0_4arch9wavefront6targetE1EEEvSF_,@function
_ZN7rocprim17ROCPRIM_400000_NS6detail17trampoline_kernelINS0_14default_configENS1_38merge_sort_block_merge_config_selectorIsNS0_10empty_typeEEEZZNS1_27merge_sort_block_merge_implIS3_PsPS5_jNS1_19radix_merge_compareILb0ELb1EsNS0_19identity_decomposerEEEEE10hipError_tT0_T1_T2_jT3_P12ihipStream_tbPNSt15iterator_traitsISE_E10value_typeEPNSK_ISF_E10value_typeEPSG_NS1_7vsmem_tEENKUlT_SE_SF_SG_E_clIS8_S8_S9_S9_EESD_ST_SE_SF_SG_EUlST_E1_NS1_11comp_targetILNS1_3genE10ELNS1_11target_archE1201ELNS1_3gpuE5ELNS1_3repE0EEENS1_36merge_oddeven_config_static_selectorELNS0_4arch9wavefront6targetE1EEEvSF_: ; @_ZN7rocprim17ROCPRIM_400000_NS6detail17trampoline_kernelINS0_14default_configENS1_38merge_sort_block_merge_config_selectorIsNS0_10empty_typeEEEZZNS1_27merge_sort_block_merge_implIS3_PsPS5_jNS1_19radix_merge_compareILb0ELb1EsNS0_19identity_decomposerEEEEE10hipError_tT0_T1_T2_jT3_P12ihipStream_tbPNSt15iterator_traitsISE_E10value_typeEPNSK_ISF_E10value_typeEPSG_NS1_7vsmem_tEENKUlT_SE_SF_SG_E_clIS8_S8_S9_S9_EESD_ST_SE_SF_SG_EUlST_E1_NS1_11comp_targetILNS1_3genE10ELNS1_11target_archE1201ELNS1_3gpuE5ELNS1_3repE0EEENS1_36merge_oddeven_config_static_selectorELNS0_4arch9wavefront6targetE1EEEvSF_
; %bb.0:
	.section	.rodata,"a",@progbits
	.p2align	6, 0x0
	.amdhsa_kernel _ZN7rocprim17ROCPRIM_400000_NS6detail17trampoline_kernelINS0_14default_configENS1_38merge_sort_block_merge_config_selectorIsNS0_10empty_typeEEEZZNS1_27merge_sort_block_merge_implIS3_PsPS5_jNS1_19radix_merge_compareILb0ELb1EsNS0_19identity_decomposerEEEEE10hipError_tT0_T1_T2_jT3_P12ihipStream_tbPNSt15iterator_traitsISE_E10value_typeEPNSK_ISF_E10value_typeEPSG_NS1_7vsmem_tEENKUlT_SE_SF_SG_E_clIS8_S8_S9_S9_EESD_ST_SE_SF_SG_EUlST_E1_NS1_11comp_targetILNS1_3genE10ELNS1_11target_archE1201ELNS1_3gpuE5ELNS1_3repE0EEENS1_36merge_oddeven_config_static_selectorELNS0_4arch9wavefront6targetE1EEEvSF_
		.amdhsa_group_segment_fixed_size 0
		.amdhsa_private_segment_fixed_size 0
		.amdhsa_kernarg_size 48
		.amdhsa_user_sgpr_count 6
		.amdhsa_user_sgpr_private_segment_buffer 1
		.amdhsa_user_sgpr_dispatch_ptr 0
		.amdhsa_user_sgpr_queue_ptr 0
		.amdhsa_user_sgpr_kernarg_segment_ptr 1
		.amdhsa_user_sgpr_dispatch_id 0
		.amdhsa_user_sgpr_flat_scratch_init 0
		.amdhsa_user_sgpr_kernarg_preload_length 0
		.amdhsa_user_sgpr_kernarg_preload_offset 0
		.amdhsa_user_sgpr_private_segment_size 0
		.amdhsa_uses_dynamic_stack 0
		.amdhsa_system_sgpr_private_segment_wavefront_offset 0
		.amdhsa_system_sgpr_workgroup_id_x 1
		.amdhsa_system_sgpr_workgroup_id_y 0
		.amdhsa_system_sgpr_workgroup_id_z 0
		.amdhsa_system_sgpr_workgroup_info 0
		.amdhsa_system_vgpr_workitem_id 0
		.amdhsa_next_free_vgpr 1
		.amdhsa_next_free_sgpr 0
		.amdhsa_accum_offset 4
		.amdhsa_reserve_vcc 0
		.amdhsa_reserve_flat_scratch 0
		.amdhsa_float_round_mode_32 0
		.amdhsa_float_round_mode_16_64 0
		.amdhsa_float_denorm_mode_32 3
		.amdhsa_float_denorm_mode_16_64 3
		.amdhsa_dx10_clamp 1
		.amdhsa_ieee_mode 1
		.amdhsa_fp16_overflow 0
		.amdhsa_tg_split 0
		.amdhsa_exception_fp_ieee_invalid_op 0
		.amdhsa_exception_fp_denorm_src 0
		.amdhsa_exception_fp_ieee_div_zero 0
		.amdhsa_exception_fp_ieee_overflow 0
		.amdhsa_exception_fp_ieee_underflow 0
		.amdhsa_exception_fp_ieee_inexact 0
		.amdhsa_exception_int_div_zero 0
	.end_amdhsa_kernel
	.section	.text._ZN7rocprim17ROCPRIM_400000_NS6detail17trampoline_kernelINS0_14default_configENS1_38merge_sort_block_merge_config_selectorIsNS0_10empty_typeEEEZZNS1_27merge_sort_block_merge_implIS3_PsPS5_jNS1_19radix_merge_compareILb0ELb1EsNS0_19identity_decomposerEEEEE10hipError_tT0_T1_T2_jT3_P12ihipStream_tbPNSt15iterator_traitsISE_E10value_typeEPNSK_ISF_E10value_typeEPSG_NS1_7vsmem_tEENKUlT_SE_SF_SG_E_clIS8_S8_S9_S9_EESD_ST_SE_SF_SG_EUlST_E1_NS1_11comp_targetILNS1_3genE10ELNS1_11target_archE1201ELNS1_3gpuE5ELNS1_3repE0EEENS1_36merge_oddeven_config_static_selectorELNS0_4arch9wavefront6targetE1EEEvSF_,"axG",@progbits,_ZN7rocprim17ROCPRIM_400000_NS6detail17trampoline_kernelINS0_14default_configENS1_38merge_sort_block_merge_config_selectorIsNS0_10empty_typeEEEZZNS1_27merge_sort_block_merge_implIS3_PsPS5_jNS1_19radix_merge_compareILb0ELb1EsNS0_19identity_decomposerEEEEE10hipError_tT0_T1_T2_jT3_P12ihipStream_tbPNSt15iterator_traitsISE_E10value_typeEPNSK_ISF_E10value_typeEPSG_NS1_7vsmem_tEENKUlT_SE_SF_SG_E_clIS8_S8_S9_S9_EESD_ST_SE_SF_SG_EUlST_E1_NS1_11comp_targetILNS1_3genE10ELNS1_11target_archE1201ELNS1_3gpuE5ELNS1_3repE0EEENS1_36merge_oddeven_config_static_selectorELNS0_4arch9wavefront6targetE1EEEvSF_,comdat
.Lfunc_end405:
	.size	_ZN7rocprim17ROCPRIM_400000_NS6detail17trampoline_kernelINS0_14default_configENS1_38merge_sort_block_merge_config_selectorIsNS0_10empty_typeEEEZZNS1_27merge_sort_block_merge_implIS3_PsPS5_jNS1_19radix_merge_compareILb0ELb1EsNS0_19identity_decomposerEEEEE10hipError_tT0_T1_T2_jT3_P12ihipStream_tbPNSt15iterator_traitsISE_E10value_typeEPNSK_ISF_E10value_typeEPSG_NS1_7vsmem_tEENKUlT_SE_SF_SG_E_clIS8_S8_S9_S9_EESD_ST_SE_SF_SG_EUlST_E1_NS1_11comp_targetILNS1_3genE10ELNS1_11target_archE1201ELNS1_3gpuE5ELNS1_3repE0EEENS1_36merge_oddeven_config_static_selectorELNS0_4arch9wavefront6targetE1EEEvSF_, .Lfunc_end405-_ZN7rocprim17ROCPRIM_400000_NS6detail17trampoline_kernelINS0_14default_configENS1_38merge_sort_block_merge_config_selectorIsNS0_10empty_typeEEEZZNS1_27merge_sort_block_merge_implIS3_PsPS5_jNS1_19radix_merge_compareILb0ELb1EsNS0_19identity_decomposerEEEEE10hipError_tT0_T1_T2_jT3_P12ihipStream_tbPNSt15iterator_traitsISE_E10value_typeEPNSK_ISF_E10value_typeEPSG_NS1_7vsmem_tEENKUlT_SE_SF_SG_E_clIS8_S8_S9_S9_EESD_ST_SE_SF_SG_EUlST_E1_NS1_11comp_targetILNS1_3genE10ELNS1_11target_archE1201ELNS1_3gpuE5ELNS1_3repE0EEENS1_36merge_oddeven_config_static_selectorELNS0_4arch9wavefront6targetE1EEEvSF_
                                        ; -- End function
	.section	.AMDGPU.csdata,"",@progbits
; Kernel info:
; codeLenInByte = 0
; NumSgprs: 4
; NumVgprs: 0
; NumAgprs: 0
; TotalNumVgprs: 0
; ScratchSize: 0
; MemoryBound: 0
; FloatMode: 240
; IeeeMode: 1
; LDSByteSize: 0 bytes/workgroup (compile time only)
; SGPRBlocks: 0
; VGPRBlocks: 0
; NumSGPRsForWavesPerEU: 4
; NumVGPRsForWavesPerEU: 1
; AccumOffset: 4
; Occupancy: 8
; WaveLimiterHint : 0
; COMPUTE_PGM_RSRC2:SCRATCH_EN: 0
; COMPUTE_PGM_RSRC2:USER_SGPR: 6
; COMPUTE_PGM_RSRC2:TRAP_HANDLER: 0
; COMPUTE_PGM_RSRC2:TGID_X_EN: 1
; COMPUTE_PGM_RSRC2:TGID_Y_EN: 0
; COMPUTE_PGM_RSRC2:TGID_Z_EN: 0
; COMPUTE_PGM_RSRC2:TIDIG_COMP_CNT: 0
; COMPUTE_PGM_RSRC3_GFX90A:ACCUM_OFFSET: 0
; COMPUTE_PGM_RSRC3_GFX90A:TG_SPLIT: 0
	.section	.text._ZN7rocprim17ROCPRIM_400000_NS6detail17trampoline_kernelINS0_14default_configENS1_38merge_sort_block_merge_config_selectorIsNS0_10empty_typeEEEZZNS1_27merge_sort_block_merge_implIS3_PsPS5_jNS1_19radix_merge_compareILb0ELb1EsNS0_19identity_decomposerEEEEE10hipError_tT0_T1_T2_jT3_P12ihipStream_tbPNSt15iterator_traitsISE_E10value_typeEPNSK_ISF_E10value_typeEPSG_NS1_7vsmem_tEENKUlT_SE_SF_SG_E_clIS8_S8_S9_S9_EESD_ST_SE_SF_SG_EUlST_E1_NS1_11comp_targetILNS1_3genE5ELNS1_11target_archE942ELNS1_3gpuE9ELNS1_3repE0EEENS1_36merge_oddeven_config_static_selectorELNS0_4arch9wavefront6targetE1EEEvSF_,"axG",@progbits,_ZN7rocprim17ROCPRIM_400000_NS6detail17trampoline_kernelINS0_14default_configENS1_38merge_sort_block_merge_config_selectorIsNS0_10empty_typeEEEZZNS1_27merge_sort_block_merge_implIS3_PsPS5_jNS1_19radix_merge_compareILb0ELb1EsNS0_19identity_decomposerEEEEE10hipError_tT0_T1_T2_jT3_P12ihipStream_tbPNSt15iterator_traitsISE_E10value_typeEPNSK_ISF_E10value_typeEPSG_NS1_7vsmem_tEENKUlT_SE_SF_SG_E_clIS8_S8_S9_S9_EESD_ST_SE_SF_SG_EUlST_E1_NS1_11comp_targetILNS1_3genE5ELNS1_11target_archE942ELNS1_3gpuE9ELNS1_3repE0EEENS1_36merge_oddeven_config_static_selectorELNS0_4arch9wavefront6targetE1EEEvSF_,comdat
	.protected	_ZN7rocprim17ROCPRIM_400000_NS6detail17trampoline_kernelINS0_14default_configENS1_38merge_sort_block_merge_config_selectorIsNS0_10empty_typeEEEZZNS1_27merge_sort_block_merge_implIS3_PsPS5_jNS1_19radix_merge_compareILb0ELb1EsNS0_19identity_decomposerEEEEE10hipError_tT0_T1_T2_jT3_P12ihipStream_tbPNSt15iterator_traitsISE_E10value_typeEPNSK_ISF_E10value_typeEPSG_NS1_7vsmem_tEENKUlT_SE_SF_SG_E_clIS8_S8_S9_S9_EESD_ST_SE_SF_SG_EUlST_E1_NS1_11comp_targetILNS1_3genE5ELNS1_11target_archE942ELNS1_3gpuE9ELNS1_3repE0EEENS1_36merge_oddeven_config_static_selectorELNS0_4arch9wavefront6targetE1EEEvSF_ ; -- Begin function _ZN7rocprim17ROCPRIM_400000_NS6detail17trampoline_kernelINS0_14default_configENS1_38merge_sort_block_merge_config_selectorIsNS0_10empty_typeEEEZZNS1_27merge_sort_block_merge_implIS3_PsPS5_jNS1_19radix_merge_compareILb0ELb1EsNS0_19identity_decomposerEEEEE10hipError_tT0_T1_T2_jT3_P12ihipStream_tbPNSt15iterator_traitsISE_E10value_typeEPNSK_ISF_E10value_typeEPSG_NS1_7vsmem_tEENKUlT_SE_SF_SG_E_clIS8_S8_S9_S9_EESD_ST_SE_SF_SG_EUlST_E1_NS1_11comp_targetILNS1_3genE5ELNS1_11target_archE942ELNS1_3gpuE9ELNS1_3repE0EEENS1_36merge_oddeven_config_static_selectorELNS0_4arch9wavefront6targetE1EEEvSF_
	.globl	_ZN7rocprim17ROCPRIM_400000_NS6detail17trampoline_kernelINS0_14default_configENS1_38merge_sort_block_merge_config_selectorIsNS0_10empty_typeEEEZZNS1_27merge_sort_block_merge_implIS3_PsPS5_jNS1_19radix_merge_compareILb0ELb1EsNS0_19identity_decomposerEEEEE10hipError_tT0_T1_T2_jT3_P12ihipStream_tbPNSt15iterator_traitsISE_E10value_typeEPNSK_ISF_E10value_typeEPSG_NS1_7vsmem_tEENKUlT_SE_SF_SG_E_clIS8_S8_S9_S9_EESD_ST_SE_SF_SG_EUlST_E1_NS1_11comp_targetILNS1_3genE5ELNS1_11target_archE942ELNS1_3gpuE9ELNS1_3repE0EEENS1_36merge_oddeven_config_static_selectorELNS0_4arch9wavefront6targetE1EEEvSF_
	.p2align	8
	.type	_ZN7rocprim17ROCPRIM_400000_NS6detail17trampoline_kernelINS0_14default_configENS1_38merge_sort_block_merge_config_selectorIsNS0_10empty_typeEEEZZNS1_27merge_sort_block_merge_implIS3_PsPS5_jNS1_19radix_merge_compareILb0ELb1EsNS0_19identity_decomposerEEEEE10hipError_tT0_T1_T2_jT3_P12ihipStream_tbPNSt15iterator_traitsISE_E10value_typeEPNSK_ISF_E10value_typeEPSG_NS1_7vsmem_tEENKUlT_SE_SF_SG_E_clIS8_S8_S9_S9_EESD_ST_SE_SF_SG_EUlST_E1_NS1_11comp_targetILNS1_3genE5ELNS1_11target_archE942ELNS1_3gpuE9ELNS1_3repE0EEENS1_36merge_oddeven_config_static_selectorELNS0_4arch9wavefront6targetE1EEEvSF_,@function
_ZN7rocprim17ROCPRIM_400000_NS6detail17trampoline_kernelINS0_14default_configENS1_38merge_sort_block_merge_config_selectorIsNS0_10empty_typeEEEZZNS1_27merge_sort_block_merge_implIS3_PsPS5_jNS1_19radix_merge_compareILb0ELb1EsNS0_19identity_decomposerEEEEE10hipError_tT0_T1_T2_jT3_P12ihipStream_tbPNSt15iterator_traitsISE_E10value_typeEPNSK_ISF_E10value_typeEPSG_NS1_7vsmem_tEENKUlT_SE_SF_SG_E_clIS8_S8_S9_S9_EESD_ST_SE_SF_SG_EUlST_E1_NS1_11comp_targetILNS1_3genE5ELNS1_11target_archE942ELNS1_3gpuE9ELNS1_3repE0EEENS1_36merge_oddeven_config_static_selectorELNS0_4arch9wavefront6targetE1EEEvSF_: ; @_ZN7rocprim17ROCPRIM_400000_NS6detail17trampoline_kernelINS0_14default_configENS1_38merge_sort_block_merge_config_selectorIsNS0_10empty_typeEEEZZNS1_27merge_sort_block_merge_implIS3_PsPS5_jNS1_19radix_merge_compareILb0ELb1EsNS0_19identity_decomposerEEEEE10hipError_tT0_T1_T2_jT3_P12ihipStream_tbPNSt15iterator_traitsISE_E10value_typeEPNSK_ISF_E10value_typeEPSG_NS1_7vsmem_tEENKUlT_SE_SF_SG_E_clIS8_S8_S9_S9_EESD_ST_SE_SF_SG_EUlST_E1_NS1_11comp_targetILNS1_3genE5ELNS1_11target_archE942ELNS1_3gpuE9ELNS1_3repE0EEENS1_36merge_oddeven_config_static_selectorELNS0_4arch9wavefront6targetE1EEEvSF_
; %bb.0:
	.section	.rodata,"a",@progbits
	.p2align	6, 0x0
	.amdhsa_kernel _ZN7rocprim17ROCPRIM_400000_NS6detail17trampoline_kernelINS0_14default_configENS1_38merge_sort_block_merge_config_selectorIsNS0_10empty_typeEEEZZNS1_27merge_sort_block_merge_implIS3_PsPS5_jNS1_19radix_merge_compareILb0ELb1EsNS0_19identity_decomposerEEEEE10hipError_tT0_T1_T2_jT3_P12ihipStream_tbPNSt15iterator_traitsISE_E10value_typeEPNSK_ISF_E10value_typeEPSG_NS1_7vsmem_tEENKUlT_SE_SF_SG_E_clIS8_S8_S9_S9_EESD_ST_SE_SF_SG_EUlST_E1_NS1_11comp_targetILNS1_3genE5ELNS1_11target_archE942ELNS1_3gpuE9ELNS1_3repE0EEENS1_36merge_oddeven_config_static_selectorELNS0_4arch9wavefront6targetE1EEEvSF_
		.amdhsa_group_segment_fixed_size 0
		.amdhsa_private_segment_fixed_size 0
		.amdhsa_kernarg_size 48
		.amdhsa_user_sgpr_count 6
		.amdhsa_user_sgpr_private_segment_buffer 1
		.amdhsa_user_sgpr_dispatch_ptr 0
		.amdhsa_user_sgpr_queue_ptr 0
		.amdhsa_user_sgpr_kernarg_segment_ptr 1
		.amdhsa_user_sgpr_dispatch_id 0
		.amdhsa_user_sgpr_flat_scratch_init 0
		.amdhsa_user_sgpr_kernarg_preload_length 0
		.amdhsa_user_sgpr_kernarg_preload_offset 0
		.amdhsa_user_sgpr_private_segment_size 0
		.amdhsa_uses_dynamic_stack 0
		.amdhsa_system_sgpr_private_segment_wavefront_offset 0
		.amdhsa_system_sgpr_workgroup_id_x 1
		.amdhsa_system_sgpr_workgroup_id_y 0
		.amdhsa_system_sgpr_workgroup_id_z 0
		.amdhsa_system_sgpr_workgroup_info 0
		.amdhsa_system_vgpr_workitem_id 0
		.amdhsa_next_free_vgpr 1
		.amdhsa_next_free_sgpr 0
		.amdhsa_accum_offset 4
		.amdhsa_reserve_vcc 0
		.amdhsa_reserve_flat_scratch 0
		.amdhsa_float_round_mode_32 0
		.amdhsa_float_round_mode_16_64 0
		.amdhsa_float_denorm_mode_32 3
		.amdhsa_float_denorm_mode_16_64 3
		.amdhsa_dx10_clamp 1
		.amdhsa_ieee_mode 1
		.amdhsa_fp16_overflow 0
		.amdhsa_tg_split 0
		.amdhsa_exception_fp_ieee_invalid_op 0
		.amdhsa_exception_fp_denorm_src 0
		.amdhsa_exception_fp_ieee_div_zero 0
		.amdhsa_exception_fp_ieee_overflow 0
		.amdhsa_exception_fp_ieee_underflow 0
		.amdhsa_exception_fp_ieee_inexact 0
		.amdhsa_exception_int_div_zero 0
	.end_amdhsa_kernel
	.section	.text._ZN7rocprim17ROCPRIM_400000_NS6detail17trampoline_kernelINS0_14default_configENS1_38merge_sort_block_merge_config_selectorIsNS0_10empty_typeEEEZZNS1_27merge_sort_block_merge_implIS3_PsPS5_jNS1_19radix_merge_compareILb0ELb1EsNS0_19identity_decomposerEEEEE10hipError_tT0_T1_T2_jT3_P12ihipStream_tbPNSt15iterator_traitsISE_E10value_typeEPNSK_ISF_E10value_typeEPSG_NS1_7vsmem_tEENKUlT_SE_SF_SG_E_clIS8_S8_S9_S9_EESD_ST_SE_SF_SG_EUlST_E1_NS1_11comp_targetILNS1_3genE5ELNS1_11target_archE942ELNS1_3gpuE9ELNS1_3repE0EEENS1_36merge_oddeven_config_static_selectorELNS0_4arch9wavefront6targetE1EEEvSF_,"axG",@progbits,_ZN7rocprim17ROCPRIM_400000_NS6detail17trampoline_kernelINS0_14default_configENS1_38merge_sort_block_merge_config_selectorIsNS0_10empty_typeEEEZZNS1_27merge_sort_block_merge_implIS3_PsPS5_jNS1_19radix_merge_compareILb0ELb1EsNS0_19identity_decomposerEEEEE10hipError_tT0_T1_T2_jT3_P12ihipStream_tbPNSt15iterator_traitsISE_E10value_typeEPNSK_ISF_E10value_typeEPSG_NS1_7vsmem_tEENKUlT_SE_SF_SG_E_clIS8_S8_S9_S9_EESD_ST_SE_SF_SG_EUlST_E1_NS1_11comp_targetILNS1_3genE5ELNS1_11target_archE942ELNS1_3gpuE9ELNS1_3repE0EEENS1_36merge_oddeven_config_static_selectorELNS0_4arch9wavefront6targetE1EEEvSF_,comdat
.Lfunc_end406:
	.size	_ZN7rocprim17ROCPRIM_400000_NS6detail17trampoline_kernelINS0_14default_configENS1_38merge_sort_block_merge_config_selectorIsNS0_10empty_typeEEEZZNS1_27merge_sort_block_merge_implIS3_PsPS5_jNS1_19radix_merge_compareILb0ELb1EsNS0_19identity_decomposerEEEEE10hipError_tT0_T1_T2_jT3_P12ihipStream_tbPNSt15iterator_traitsISE_E10value_typeEPNSK_ISF_E10value_typeEPSG_NS1_7vsmem_tEENKUlT_SE_SF_SG_E_clIS8_S8_S9_S9_EESD_ST_SE_SF_SG_EUlST_E1_NS1_11comp_targetILNS1_3genE5ELNS1_11target_archE942ELNS1_3gpuE9ELNS1_3repE0EEENS1_36merge_oddeven_config_static_selectorELNS0_4arch9wavefront6targetE1EEEvSF_, .Lfunc_end406-_ZN7rocprim17ROCPRIM_400000_NS6detail17trampoline_kernelINS0_14default_configENS1_38merge_sort_block_merge_config_selectorIsNS0_10empty_typeEEEZZNS1_27merge_sort_block_merge_implIS3_PsPS5_jNS1_19radix_merge_compareILb0ELb1EsNS0_19identity_decomposerEEEEE10hipError_tT0_T1_T2_jT3_P12ihipStream_tbPNSt15iterator_traitsISE_E10value_typeEPNSK_ISF_E10value_typeEPSG_NS1_7vsmem_tEENKUlT_SE_SF_SG_E_clIS8_S8_S9_S9_EESD_ST_SE_SF_SG_EUlST_E1_NS1_11comp_targetILNS1_3genE5ELNS1_11target_archE942ELNS1_3gpuE9ELNS1_3repE0EEENS1_36merge_oddeven_config_static_selectorELNS0_4arch9wavefront6targetE1EEEvSF_
                                        ; -- End function
	.section	.AMDGPU.csdata,"",@progbits
; Kernel info:
; codeLenInByte = 0
; NumSgprs: 4
; NumVgprs: 0
; NumAgprs: 0
; TotalNumVgprs: 0
; ScratchSize: 0
; MemoryBound: 0
; FloatMode: 240
; IeeeMode: 1
; LDSByteSize: 0 bytes/workgroup (compile time only)
; SGPRBlocks: 0
; VGPRBlocks: 0
; NumSGPRsForWavesPerEU: 4
; NumVGPRsForWavesPerEU: 1
; AccumOffset: 4
; Occupancy: 8
; WaveLimiterHint : 0
; COMPUTE_PGM_RSRC2:SCRATCH_EN: 0
; COMPUTE_PGM_RSRC2:USER_SGPR: 6
; COMPUTE_PGM_RSRC2:TRAP_HANDLER: 0
; COMPUTE_PGM_RSRC2:TGID_X_EN: 1
; COMPUTE_PGM_RSRC2:TGID_Y_EN: 0
; COMPUTE_PGM_RSRC2:TGID_Z_EN: 0
; COMPUTE_PGM_RSRC2:TIDIG_COMP_CNT: 0
; COMPUTE_PGM_RSRC3_GFX90A:ACCUM_OFFSET: 0
; COMPUTE_PGM_RSRC3_GFX90A:TG_SPLIT: 0
	.section	.text._ZN7rocprim17ROCPRIM_400000_NS6detail17trampoline_kernelINS0_14default_configENS1_38merge_sort_block_merge_config_selectorIsNS0_10empty_typeEEEZZNS1_27merge_sort_block_merge_implIS3_PsPS5_jNS1_19radix_merge_compareILb0ELb1EsNS0_19identity_decomposerEEEEE10hipError_tT0_T1_T2_jT3_P12ihipStream_tbPNSt15iterator_traitsISE_E10value_typeEPNSK_ISF_E10value_typeEPSG_NS1_7vsmem_tEENKUlT_SE_SF_SG_E_clIS8_S8_S9_S9_EESD_ST_SE_SF_SG_EUlST_E1_NS1_11comp_targetILNS1_3genE4ELNS1_11target_archE910ELNS1_3gpuE8ELNS1_3repE0EEENS1_36merge_oddeven_config_static_selectorELNS0_4arch9wavefront6targetE1EEEvSF_,"axG",@progbits,_ZN7rocprim17ROCPRIM_400000_NS6detail17trampoline_kernelINS0_14default_configENS1_38merge_sort_block_merge_config_selectorIsNS0_10empty_typeEEEZZNS1_27merge_sort_block_merge_implIS3_PsPS5_jNS1_19radix_merge_compareILb0ELb1EsNS0_19identity_decomposerEEEEE10hipError_tT0_T1_T2_jT3_P12ihipStream_tbPNSt15iterator_traitsISE_E10value_typeEPNSK_ISF_E10value_typeEPSG_NS1_7vsmem_tEENKUlT_SE_SF_SG_E_clIS8_S8_S9_S9_EESD_ST_SE_SF_SG_EUlST_E1_NS1_11comp_targetILNS1_3genE4ELNS1_11target_archE910ELNS1_3gpuE8ELNS1_3repE0EEENS1_36merge_oddeven_config_static_selectorELNS0_4arch9wavefront6targetE1EEEvSF_,comdat
	.protected	_ZN7rocprim17ROCPRIM_400000_NS6detail17trampoline_kernelINS0_14default_configENS1_38merge_sort_block_merge_config_selectorIsNS0_10empty_typeEEEZZNS1_27merge_sort_block_merge_implIS3_PsPS5_jNS1_19radix_merge_compareILb0ELb1EsNS0_19identity_decomposerEEEEE10hipError_tT0_T1_T2_jT3_P12ihipStream_tbPNSt15iterator_traitsISE_E10value_typeEPNSK_ISF_E10value_typeEPSG_NS1_7vsmem_tEENKUlT_SE_SF_SG_E_clIS8_S8_S9_S9_EESD_ST_SE_SF_SG_EUlST_E1_NS1_11comp_targetILNS1_3genE4ELNS1_11target_archE910ELNS1_3gpuE8ELNS1_3repE0EEENS1_36merge_oddeven_config_static_selectorELNS0_4arch9wavefront6targetE1EEEvSF_ ; -- Begin function _ZN7rocprim17ROCPRIM_400000_NS6detail17trampoline_kernelINS0_14default_configENS1_38merge_sort_block_merge_config_selectorIsNS0_10empty_typeEEEZZNS1_27merge_sort_block_merge_implIS3_PsPS5_jNS1_19radix_merge_compareILb0ELb1EsNS0_19identity_decomposerEEEEE10hipError_tT0_T1_T2_jT3_P12ihipStream_tbPNSt15iterator_traitsISE_E10value_typeEPNSK_ISF_E10value_typeEPSG_NS1_7vsmem_tEENKUlT_SE_SF_SG_E_clIS8_S8_S9_S9_EESD_ST_SE_SF_SG_EUlST_E1_NS1_11comp_targetILNS1_3genE4ELNS1_11target_archE910ELNS1_3gpuE8ELNS1_3repE0EEENS1_36merge_oddeven_config_static_selectorELNS0_4arch9wavefront6targetE1EEEvSF_
	.globl	_ZN7rocprim17ROCPRIM_400000_NS6detail17trampoline_kernelINS0_14default_configENS1_38merge_sort_block_merge_config_selectorIsNS0_10empty_typeEEEZZNS1_27merge_sort_block_merge_implIS3_PsPS5_jNS1_19radix_merge_compareILb0ELb1EsNS0_19identity_decomposerEEEEE10hipError_tT0_T1_T2_jT3_P12ihipStream_tbPNSt15iterator_traitsISE_E10value_typeEPNSK_ISF_E10value_typeEPSG_NS1_7vsmem_tEENKUlT_SE_SF_SG_E_clIS8_S8_S9_S9_EESD_ST_SE_SF_SG_EUlST_E1_NS1_11comp_targetILNS1_3genE4ELNS1_11target_archE910ELNS1_3gpuE8ELNS1_3repE0EEENS1_36merge_oddeven_config_static_selectorELNS0_4arch9wavefront6targetE1EEEvSF_
	.p2align	8
	.type	_ZN7rocprim17ROCPRIM_400000_NS6detail17trampoline_kernelINS0_14default_configENS1_38merge_sort_block_merge_config_selectorIsNS0_10empty_typeEEEZZNS1_27merge_sort_block_merge_implIS3_PsPS5_jNS1_19radix_merge_compareILb0ELb1EsNS0_19identity_decomposerEEEEE10hipError_tT0_T1_T2_jT3_P12ihipStream_tbPNSt15iterator_traitsISE_E10value_typeEPNSK_ISF_E10value_typeEPSG_NS1_7vsmem_tEENKUlT_SE_SF_SG_E_clIS8_S8_S9_S9_EESD_ST_SE_SF_SG_EUlST_E1_NS1_11comp_targetILNS1_3genE4ELNS1_11target_archE910ELNS1_3gpuE8ELNS1_3repE0EEENS1_36merge_oddeven_config_static_selectorELNS0_4arch9wavefront6targetE1EEEvSF_,@function
_ZN7rocprim17ROCPRIM_400000_NS6detail17trampoline_kernelINS0_14default_configENS1_38merge_sort_block_merge_config_selectorIsNS0_10empty_typeEEEZZNS1_27merge_sort_block_merge_implIS3_PsPS5_jNS1_19radix_merge_compareILb0ELb1EsNS0_19identity_decomposerEEEEE10hipError_tT0_T1_T2_jT3_P12ihipStream_tbPNSt15iterator_traitsISE_E10value_typeEPNSK_ISF_E10value_typeEPSG_NS1_7vsmem_tEENKUlT_SE_SF_SG_E_clIS8_S8_S9_S9_EESD_ST_SE_SF_SG_EUlST_E1_NS1_11comp_targetILNS1_3genE4ELNS1_11target_archE910ELNS1_3gpuE8ELNS1_3repE0EEENS1_36merge_oddeven_config_static_selectorELNS0_4arch9wavefront6targetE1EEEvSF_: ; @_ZN7rocprim17ROCPRIM_400000_NS6detail17trampoline_kernelINS0_14default_configENS1_38merge_sort_block_merge_config_selectorIsNS0_10empty_typeEEEZZNS1_27merge_sort_block_merge_implIS3_PsPS5_jNS1_19radix_merge_compareILb0ELb1EsNS0_19identity_decomposerEEEEE10hipError_tT0_T1_T2_jT3_P12ihipStream_tbPNSt15iterator_traitsISE_E10value_typeEPNSK_ISF_E10value_typeEPSG_NS1_7vsmem_tEENKUlT_SE_SF_SG_E_clIS8_S8_S9_S9_EESD_ST_SE_SF_SG_EUlST_E1_NS1_11comp_targetILNS1_3genE4ELNS1_11target_archE910ELNS1_3gpuE8ELNS1_3repE0EEENS1_36merge_oddeven_config_static_selectorELNS0_4arch9wavefront6targetE1EEEvSF_
; %bb.0:
	s_load_dword s18, s[4:5], 0x20
	s_waitcnt lgkmcnt(0)
	s_lshr_b32 s0, s18, 8
	s_cmp_lg_u32 s6, s0
	s_cselect_b64 s[14:15], -1, 0
	s_cmp_eq_u32 s6, s0
	s_cselect_b64 s[12:13], -1, 0
	s_lshl_b32 s16, s6, 8
	s_sub_i32 s0, s18, s16
	v_cmp_gt_u32_e64 s[2:3], s0, v0
	s_or_b64 s[0:1], s[14:15], s[2:3]
	s_and_saveexec_b64 s[8:9], s[0:1]
	s_cbranch_execz .LBB407_20
; %bb.1:
	s_load_dwordx4 s[8:11], s[4:5], 0x0
	s_load_dword s19, s[4:5], 0x24
	s_mov_b32 s17, 0
	s_lshl_b64 s[0:1], s[16:17], 1
	v_lshlrev_b32_e32 v1, 1, v0
	s_waitcnt lgkmcnt(0)
	s_add_u32 s0, s8, s0
	s_addc_u32 s1, s9, s1
	global_load_ushort v2, v1, s[0:1]
	s_lshr_b32 s0, s19, 8
	s_sub_i32 s1, 0, s0
	s_and_b32 s1, s6, s1
	s_and_b32 s0, s1, s0
	s_lshl_b32 s20, s1, 8
	s_sub_i32 s17, 0, s19
	s_cmp_eq_u32 s0, 0
	s_cselect_b64 s[0:1], -1, 0
	s_and_b64 s[6:7], s[0:1], exec
	s_cselect_b32 s17, s19, s17
	s_add_i32 s17, s17, s20
	s_cmp_lt_u32 s17, s18
	v_add_u32_e32 v0, s16, v0
	s_cbranch_scc1 .LBB407_3
; %bb.2:
	v_cmp_gt_u32_e32 vcc, s18, v0
	s_or_b64 s[6:7], vcc, s[14:15]
	s_and_b64 s[6:7], s[6:7], exec
	s_cbranch_execz .LBB407_4
	s_branch .LBB407_18
.LBB407_3:
	s_mov_b64 s[6:7], 0
.LBB407_4:
	s_load_dword s14, s[4:5], 0x28
	s_min_u32 s15, s17, s18
	s_add_i32 s4, s15, s19
	s_min_u32 s16, s4, s18
	s_min_u32 s4, s20, s15
	s_add_i32 s20, s20, s15
	v_subrev_u32_e32 v0, s20, v0
	v_add_u32_e32 v1, s4, v0
	s_and_b64 vcc, exec, s[12:13]
	s_cbranch_vccz .LBB407_12
; %bb.5:
                                        ; implicit-def: $vgpr0
	s_and_saveexec_b64 s[4:5], s[2:3]
	s_cbranch_execz .LBB407_11
; %bb.6:
	s_cmp_ge_u32 s17, s16
	v_mov_b32_e32 v0, s15
	s_cbranch_scc1 .LBB407_10
; %bb.7:
	s_waitcnt vmcnt(0) lgkmcnt(0)
	v_and_b32_e32 v3, s14, v2
	s_mov_b64 s[2:3], 0
	v_mov_b32_e32 v4, s16
	v_mov_b32_e32 v0, s15
.LBB407_8:                              ; =>This Inner Loop Header: Depth=1
	v_add_u32_e32 v5, v0, v4
	v_and_b32_e32 v6, -2, v5
	global_load_ushort v6, v6, s[8:9]
	v_lshrrev_b32_e32 v5, 1, v5
	v_add_u32_e32 v7, 1, v5
	s_waitcnt vmcnt(0)
	v_and_b32_e32 v6, s14, v6
	v_cmp_gt_i16_e32 vcc, v3, v6
	v_cndmask_b32_e64 v8, 0, 1, vcc
	v_cmp_le_i16_e32 vcc, v6, v3
	v_cndmask_b32_e64 v6, 0, 1, vcc
	v_cndmask_b32_e64 v6, v6, v8, s[0:1]
	v_and_b32_e32 v6, 1, v6
	v_cmp_eq_u32_e32 vcc, 1, v6
	v_cndmask_b32_e32 v4, v5, v4, vcc
	v_cndmask_b32_e32 v0, v0, v7, vcc
	v_cmp_ge_u32_e32 vcc, v0, v4
	s_or_b64 s[2:3], vcc, s[2:3]
	s_andn2_b64 exec, exec, s[2:3]
	s_cbranch_execnz .LBB407_8
; %bb.9:
	s_or_b64 exec, exec, s[2:3]
.LBB407_10:
	v_add_u32_e32 v0, v0, v1
	s_or_b64 s[6:7], s[6:7], exec
.LBB407_11:
	s_or_b64 exec, exec, s[4:5]
	s_branch .LBB407_18
.LBB407_12:
                                        ; implicit-def: $vgpr0
	s_cbranch_execz .LBB407_18
; %bb.13:
	s_cmp_ge_u32 s17, s16
	v_mov_b32_e32 v0, s15
	s_cbranch_scc1 .LBB407_17
; %bb.14:
	s_waitcnt vmcnt(0) lgkmcnt(0)
	v_and_b32_e32 v3, s14, v2
	s_mov_b64 s[2:3], 0
	v_mov_b32_e32 v4, s16
	v_mov_b32_e32 v0, s15
.LBB407_15:                             ; =>This Inner Loop Header: Depth=1
	v_add_u32_e32 v5, v0, v4
	v_and_b32_e32 v6, -2, v5
	global_load_ushort v6, v6, s[8:9]
	v_lshrrev_b32_e32 v5, 1, v5
	v_add_u32_e32 v7, 1, v5
	s_waitcnt vmcnt(0)
	v_and_b32_e32 v6, s14, v6
	v_cmp_gt_i16_e32 vcc, v3, v6
	v_cndmask_b32_e64 v8, 0, 1, vcc
	v_cmp_le_i16_e32 vcc, v6, v3
	v_cndmask_b32_e64 v6, 0, 1, vcc
	v_cndmask_b32_e64 v6, v6, v8, s[0:1]
	v_and_b32_e32 v6, 1, v6
	v_cmp_eq_u32_e32 vcc, 1, v6
	v_cndmask_b32_e32 v4, v5, v4, vcc
	v_cndmask_b32_e32 v0, v0, v7, vcc
	v_cmp_ge_u32_e32 vcc, v0, v4
	s_or_b64 s[2:3], vcc, s[2:3]
	s_andn2_b64 exec, exec, s[2:3]
	s_cbranch_execnz .LBB407_15
; %bb.16:
	s_or_b64 exec, exec, s[2:3]
.LBB407_17:
	v_add_u32_e32 v0, v0, v1
	s_mov_b64 s[6:7], -1
.LBB407_18:
	s_and_b64 exec, exec, s[6:7]
	s_cbranch_execz .LBB407_20
; %bb.19:
	v_mov_b32_e32 v1, 0
	v_lshlrev_b64 v[0:1], 1, v[0:1]
	v_mov_b32_e32 v3, s11
	v_add_co_u32_e32 v0, vcc, s10, v0
	v_addc_co_u32_e32 v1, vcc, v3, v1, vcc
	s_waitcnt vmcnt(0)
	global_store_short v[0:1], v2, off
.LBB407_20:
	s_endpgm
	.section	.rodata,"a",@progbits
	.p2align	6, 0x0
	.amdhsa_kernel _ZN7rocprim17ROCPRIM_400000_NS6detail17trampoline_kernelINS0_14default_configENS1_38merge_sort_block_merge_config_selectorIsNS0_10empty_typeEEEZZNS1_27merge_sort_block_merge_implIS3_PsPS5_jNS1_19radix_merge_compareILb0ELb1EsNS0_19identity_decomposerEEEEE10hipError_tT0_T1_T2_jT3_P12ihipStream_tbPNSt15iterator_traitsISE_E10value_typeEPNSK_ISF_E10value_typeEPSG_NS1_7vsmem_tEENKUlT_SE_SF_SG_E_clIS8_S8_S9_S9_EESD_ST_SE_SF_SG_EUlST_E1_NS1_11comp_targetILNS1_3genE4ELNS1_11target_archE910ELNS1_3gpuE8ELNS1_3repE0EEENS1_36merge_oddeven_config_static_selectorELNS0_4arch9wavefront6targetE1EEEvSF_
		.amdhsa_group_segment_fixed_size 0
		.amdhsa_private_segment_fixed_size 0
		.amdhsa_kernarg_size 48
		.amdhsa_user_sgpr_count 6
		.amdhsa_user_sgpr_private_segment_buffer 1
		.amdhsa_user_sgpr_dispatch_ptr 0
		.amdhsa_user_sgpr_queue_ptr 0
		.amdhsa_user_sgpr_kernarg_segment_ptr 1
		.amdhsa_user_sgpr_dispatch_id 0
		.amdhsa_user_sgpr_flat_scratch_init 0
		.amdhsa_user_sgpr_kernarg_preload_length 0
		.amdhsa_user_sgpr_kernarg_preload_offset 0
		.amdhsa_user_sgpr_private_segment_size 0
		.amdhsa_uses_dynamic_stack 0
		.amdhsa_system_sgpr_private_segment_wavefront_offset 0
		.amdhsa_system_sgpr_workgroup_id_x 1
		.amdhsa_system_sgpr_workgroup_id_y 0
		.amdhsa_system_sgpr_workgroup_id_z 0
		.amdhsa_system_sgpr_workgroup_info 0
		.amdhsa_system_vgpr_workitem_id 0
		.amdhsa_next_free_vgpr 9
		.amdhsa_next_free_sgpr 21
		.amdhsa_accum_offset 12
		.amdhsa_reserve_vcc 1
		.amdhsa_reserve_flat_scratch 0
		.amdhsa_float_round_mode_32 0
		.amdhsa_float_round_mode_16_64 0
		.amdhsa_float_denorm_mode_32 3
		.amdhsa_float_denorm_mode_16_64 3
		.amdhsa_dx10_clamp 1
		.amdhsa_ieee_mode 1
		.amdhsa_fp16_overflow 0
		.amdhsa_tg_split 0
		.amdhsa_exception_fp_ieee_invalid_op 0
		.amdhsa_exception_fp_denorm_src 0
		.amdhsa_exception_fp_ieee_div_zero 0
		.amdhsa_exception_fp_ieee_overflow 0
		.amdhsa_exception_fp_ieee_underflow 0
		.amdhsa_exception_fp_ieee_inexact 0
		.amdhsa_exception_int_div_zero 0
	.end_amdhsa_kernel
	.section	.text._ZN7rocprim17ROCPRIM_400000_NS6detail17trampoline_kernelINS0_14default_configENS1_38merge_sort_block_merge_config_selectorIsNS0_10empty_typeEEEZZNS1_27merge_sort_block_merge_implIS3_PsPS5_jNS1_19radix_merge_compareILb0ELb1EsNS0_19identity_decomposerEEEEE10hipError_tT0_T1_T2_jT3_P12ihipStream_tbPNSt15iterator_traitsISE_E10value_typeEPNSK_ISF_E10value_typeEPSG_NS1_7vsmem_tEENKUlT_SE_SF_SG_E_clIS8_S8_S9_S9_EESD_ST_SE_SF_SG_EUlST_E1_NS1_11comp_targetILNS1_3genE4ELNS1_11target_archE910ELNS1_3gpuE8ELNS1_3repE0EEENS1_36merge_oddeven_config_static_selectorELNS0_4arch9wavefront6targetE1EEEvSF_,"axG",@progbits,_ZN7rocprim17ROCPRIM_400000_NS6detail17trampoline_kernelINS0_14default_configENS1_38merge_sort_block_merge_config_selectorIsNS0_10empty_typeEEEZZNS1_27merge_sort_block_merge_implIS3_PsPS5_jNS1_19radix_merge_compareILb0ELb1EsNS0_19identity_decomposerEEEEE10hipError_tT0_T1_T2_jT3_P12ihipStream_tbPNSt15iterator_traitsISE_E10value_typeEPNSK_ISF_E10value_typeEPSG_NS1_7vsmem_tEENKUlT_SE_SF_SG_E_clIS8_S8_S9_S9_EESD_ST_SE_SF_SG_EUlST_E1_NS1_11comp_targetILNS1_3genE4ELNS1_11target_archE910ELNS1_3gpuE8ELNS1_3repE0EEENS1_36merge_oddeven_config_static_selectorELNS0_4arch9wavefront6targetE1EEEvSF_,comdat
.Lfunc_end407:
	.size	_ZN7rocprim17ROCPRIM_400000_NS6detail17trampoline_kernelINS0_14default_configENS1_38merge_sort_block_merge_config_selectorIsNS0_10empty_typeEEEZZNS1_27merge_sort_block_merge_implIS3_PsPS5_jNS1_19radix_merge_compareILb0ELb1EsNS0_19identity_decomposerEEEEE10hipError_tT0_T1_T2_jT3_P12ihipStream_tbPNSt15iterator_traitsISE_E10value_typeEPNSK_ISF_E10value_typeEPSG_NS1_7vsmem_tEENKUlT_SE_SF_SG_E_clIS8_S8_S9_S9_EESD_ST_SE_SF_SG_EUlST_E1_NS1_11comp_targetILNS1_3genE4ELNS1_11target_archE910ELNS1_3gpuE8ELNS1_3repE0EEENS1_36merge_oddeven_config_static_selectorELNS0_4arch9wavefront6targetE1EEEvSF_, .Lfunc_end407-_ZN7rocprim17ROCPRIM_400000_NS6detail17trampoline_kernelINS0_14default_configENS1_38merge_sort_block_merge_config_selectorIsNS0_10empty_typeEEEZZNS1_27merge_sort_block_merge_implIS3_PsPS5_jNS1_19radix_merge_compareILb0ELb1EsNS0_19identity_decomposerEEEEE10hipError_tT0_T1_T2_jT3_P12ihipStream_tbPNSt15iterator_traitsISE_E10value_typeEPNSK_ISF_E10value_typeEPSG_NS1_7vsmem_tEENKUlT_SE_SF_SG_E_clIS8_S8_S9_S9_EESD_ST_SE_SF_SG_EUlST_E1_NS1_11comp_targetILNS1_3genE4ELNS1_11target_archE910ELNS1_3gpuE8ELNS1_3repE0EEENS1_36merge_oddeven_config_static_selectorELNS0_4arch9wavefront6targetE1EEEvSF_
                                        ; -- End function
	.section	.AMDGPU.csdata,"",@progbits
; Kernel info:
; codeLenInByte = 580
; NumSgprs: 25
; NumVgprs: 9
; NumAgprs: 0
; TotalNumVgprs: 9
; ScratchSize: 0
; MemoryBound: 0
; FloatMode: 240
; IeeeMode: 1
; LDSByteSize: 0 bytes/workgroup (compile time only)
; SGPRBlocks: 3
; VGPRBlocks: 1
; NumSGPRsForWavesPerEU: 25
; NumVGPRsForWavesPerEU: 9
; AccumOffset: 12
; Occupancy: 8
; WaveLimiterHint : 0
; COMPUTE_PGM_RSRC2:SCRATCH_EN: 0
; COMPUTE_PGM_RSRC2:USER_SGPR: 6
; COMPUTE_PGM_RSRC2:TRAP_HANDLER: 0
; COMPUTE_PGM_RSRC2:TGID_X_EN: 1
; COMPUTE_PGM_RSRC2:TGID_Y_EN: 0
; COMPUTE_PGM_RSRC2:TGID_Z_EN: 0
; COMPUTE_PGM_RSRC2:TIDIG_COMP_CNT: 0
; COMPUTE_PGM_RSRC3_GFX90A:ACCUM_OFFSET: 2
; COMPUTE_PGM_RSRC3_GFX90A:TG_SPLIT: 0
	.section	.text._ZN7rocprim17ROCPRIM_400000_NS6detail17trampoline_kernelINS0_14default_configENS1_38merge_sort_block_merge_config_selectorIsNS0_10empty_typeEEEZZNS1_27merge_sort_block_merge_implIS3_PsPS5_jNS1_19radix_merge_compareILb0ELb1EsNS0_19identity_decomposerEEEEE10hipError_tT0_T1_T2_jT3_P12ihipStream_tbPNSt15iterator_traitsISE_E10value_typeEPNSK_ISF_E10value_typeEPSG_NS1_7vsmem_tEENKUlT_SE_SF_SG_E_clIS8_S8_S9_S9_EESD_ST_SE_SF_SG_EUlST_E1_NS1_11comp_targetILNS1_3genE3ELNS1_11target_archE908ELNS1_3gpuE7ELNS1_3repE0EEENS1_36merge_oddeven_config_static_selectorELNS0_4arch9wavefront6targetE1EEEvSF_,"axG",@progbits,_ZN7rocprim17ROCPRIM_400000_NS6detail17trampoline_kernelINS0_14default_configENS1_38merge_sort_block_merge_config_selectorIsNS0_10empty_typeEEEZZNS1_27merge_sort_block_merge_implIS3_PsPS5_jNS1_19radix_merge_compareILb0ELb1EsNS0_19identity_decomposerEEEEE10hipError_tT0_T1_T2_jT3_P12ihipStream_tbPNSt15iterator_traitsISE_E10value_typeEPNSK_ISF_E10value_typeEPSG_NS1_7vsmem_tEENKUlT_SE_SF_SG_E_clIS8_S8_S9_S9_EESD_ST_SE_SF_SG_EUlST_E1_NS1_11comp_targetILNS1_3genE3ELNS1_11target_archE908ELNS1_3gpuE7ELNS1_3repE0EEENS1_36merge_oddeven_config_static_selectorELNS0_4arch9wavefront6targetE1EEEvSF_,comdat
	.protected	_ZN7rocprim17ROCPRIM_400000_NS6detail17trampoline_kernelINS0_14default_configENS1_38merge_sort_block_merge_config_selectorIsNS0_10empty_typeEEEZZNS1_27merge_sort_block_merge_implIS3_PsPS5_jNS1_19radix_merge_compareILb0ELb1EsNS0_19identity_decomposerEEEEE10hipError_tT0_T1_T2_jT3_P12ihipStream_tbPNSt15iterator_traitsISE_E10value_typeEPNSK_ISF_E10value_typeEPSG_NS1_7vsmem_tEENKUlT_SE_SF_SG_E_clIS8_S8_S9_S9_EESD_ST_SE_SF_SG_EUlST_E1_NS1_11comp_targetILNS1_3genE3ELNS1_11target_archE908ELNS1_3gpuE7ELNS1_3repE0EEENS1_36merge_oddeven_config_static_selectorELNS0_4arch9wavefront6targetE1EEEvSF_ ; -- Begin function _ZN7rocprim17ROCPRIM_400000_NS6detail17trampoline_kernelINS0_14default_configENS1_38merge_sort_block_merge_config_selectorIsNS0_10empty_typeEEEZZNS1_27merge_sort_block_merge_implIS3_PsPS5_jNS1_19radix_merge_compareILb0ELb1EsNS0_19identity_decomposerEEEEE10hipError_tT0_T1_T2_jT3_P12ihipStream_tbPNSt15iterator_traitsISE_E10value_typeEPNSK_ISF_E10value_typeEPSG_NS1_7vsmem_tEENKUlT_SE_SF_SG_E_clIS8_S8_S9_S9_EESD_ST_SE_SF_SG_EUlST_E1_NS1_11comp_targetILNS1_3genE3ELNS1_11target_archE908ELNS1_3gpuE7ELNS1_3repE0EEENS1_36merge_oddeven_config_static_selectorELNS0_4arch9wavefront6targetE1EEEvSF_
	.globl	_ZN7rocprim17ROCPRIM_400000_NS6detail17trampoline_kernelINS0_14default_configENS1_38merge_sort_block_merge_config_selectorIsNS0_10empty_typeEEEZZNS1_27merge_sort_block_merge_implIS3_PsPS5_jNS1_19radix_merge_compareILb0ELb1EsNS0_19identity_decomposerEEEEE10hipError_tT0_T1_T2_jT3_P12ihipStream_tbPNSt15iterator_traitsISE_E10value_typeEPNSK_ISF_E10value_typeEPSG_NS1_7vsmem_tEENKUlT_SE_SF_SG_E_clIS8_S8_S9_S9_EESD_ST_SE_SF_SG_EUlST_E1_NS1_11comp_targetILNS1_3genE3ELNS1_11target_archE908ELNS1_3gpuE7ELNS1_3repE0EEENS1_36merge_oddeven_config_static_selectorELNS0_4arch9wavefront6targetE1EEEvSF_
	.p2align	8
	.type	_ZN7rocprim17ROCPRIM_400000_NS6detail17trampoline_kernelINS0_14default_configENS1_38merge_sort_block_merge_config_selectorIsNS0_10empty_typeEEEZZNS1_27merge_sort_block_merge_implIS3_PsPS5_jNS1_19radix_merge_compareILb0ELb1EsNS0_19identity_decomposerEEEEE10hipError_tT0_T1_T2_jT3_P12ihipStream_tbPNSt15iterator_traitsISE_E10value_typeEPNSK_ISF_E10value_typeEPSG_NS1_7vsmem_tEENKUlT_SE_SF_SG_E_clIS8_S8_S9_S9_EESD_ST_SE_SF_SG_EUlST_E1_NS1_11comp_targetILNS1_3genE3ELNS1_11target_archE908ELNS1_3gpuE7ELNS1_3repE0EEENS1_36merge_oddeven_config_static_selectorELNS0_4arch9wavefront6targetE1EEEvSF_,@function
_ZN7rocprim17ROCPRIM_400000_NS6detail17trampoline_kernelINS0_14default_configENS1_38merge_sort_block_merge_config_selectorIsNS0_10empty_typeEEEZZNS1_27merge_sort_block_merge_implIS3_PsPS5_jNS1_19radix_merge_compareILb0ELb1EsNS0_19identity_decomposerEEEEE10hipError_tT0_T1_T2_jT3_P12ihipStream_tbPNSt15iterator_traitsISE_E10value_typeEPNSK_ISF_E10value_typeEPSG_NS1_7vsmem_tEENKUlT_SE_SF_SG_E_clIS8_S8_S9_S9_EESD_ST_SE_SF_SG_EUlST_E1_NS1_11comp_targetILNS1_3genE3ELNS1_11target_archE908ELNS1_3gpuE7ELNS1_3repE0EEENS1_36merge_oddeven_config_static_selectorELNS0_4arch9wavefront6targetE1EEEvSF_: ; @_ZN7rocprim17ROCPRIM_400000_NS6detail17trampoline_kernelINS0_14default_configENS1_38merge_sort_block_merge_config_selectorIsNS0_10empty_typeEEEZZNS1_27merge_sort_block_merge_implIS3_PsPS5_jNS1_19radix_merge_compareILb0ELb1EsNS0_19identity_decomposerEEEEE10hipError_tT0_T1_T2_jT3_P12ihipStream_tbPNSt15iterator_traitsISE_E10value_typeEPNSK_ISF_E10value_typeEPSG_NS1_7vsmem_tEENKUlT_SE_SF_SG_E_clIS8_S8_S9_S9_EESD_ST_SE_SF_SG_EUlST_E1_NS1_11comp_targetILNS1_3genE3ELNS1_11target_archE908ELNS1_3gpuE7ELNS1_3repE0EEENS1_36merge_oddeven_config_static_selectorELNS0_4arch9wavefront6targetE1EEEvSF_
; %bb.0:
	.section	.rodata,"a",@progbits
	.p2align	6, 0x0
	.amdhsa_kernel _ZN7rocprim17ROCPRIM_400000_NS6detail17trampoline_kernelINS0_14default_configENS1_38merge_sort_block_merge_config_selectorIsNS0_10empty_typeEEEZZNS1_27merge_sort_block_merge_implIS3_PsPS5_jNS1_19radix_merge_compareILb0ELb1EsNS0_19identity_decomposerEEEEE10hipError_tT0_T1_T2_jT3_P12ihipStream_tbPNSt15iterator_traitsISE_E10value_typeEPNSK_ISF_E10value_typeEPSG_NS1_7vsmem_tEENKUlT_SE_SF_SG_E_clIS8_S8_S9_S9_EESD_ST_SE_SF_SG_EUlST_E1_NS1_11comp_targetILNS1_3genE3ELNS1_11target_archE908ELNS1_3gpuE7ELNS1_3repE0EEENS1_36merge_oddeven_config_static_selectorELNS0_4arch9wavefront6targetE1EEEvSF_
		.amdhsa_group_segment_fixed_size 0
		.amdhsa_private_segment_fixed_size 0
		.amdhsa_kernarg_size 48
		.amdhsa_user_sgpr_count 6
		.amdhsa_user_sgpr_private_segment_buffer 1
		.amdhsa_user_sgpr_dispatch_ptr 0
		.amdhsa_user_sgpr_queue_ptr 0
		.amdhsa_user_sgpr_kernarg_segment_ptr 1
		.amdhsa_user_sgpr_dispatch_id 0
		.amdhsa_user_sgpr_flat_scratch_init 0
		.amdhsa_user_sgpr_kernarg_preload_length 0
		.amdhsa_user_sgpr_kernarg_preload_offset 0
		.amdhsa_user_sgpr_private_segment_size 0
		.amdhsa_uses_dynamic_stack 0
		.amdhsa_system_sgpr_private_segment_wavefront_offset 0
		.amdhsa_system_sgpr_workgroup_id_x 1
		.amdhsa_system_sgpr_workgroup_id_y 0
		.amdhsa_system_sgpr_workgroup_id_z 0
		.amdhsa_system_sgpr_workgroup_info 0
		.amdhsa_system_vgpr_workitem_id 0
		.amdhsa_next_free_vgpr 1
		.amdhsa_next_free_sgpr 0
		.amdhsa_accum_offset 4
		.amdhsa_reserve_vcc 0
		.amdhsa_reserve_flat_scratch 0
		.amdhsa_float_round_mode_32 0
		.amdhsa_float_round_mode_16_64 0
		.amdhsa_float_denorm_mode_32 3
		.amdhsa_float_denorm_mode_16_64 3
		.amdhsa_dx10_clamp 1
		.amdhsa_ieee_mode 1
		.amdhsa_fp16_overflow 0
		.amdhsa_tg_split 0
		.amdhsa_exception_fp_ieee_invalid_op 0
		.amdhsa_exception_fp_denorm_src 0
		.amdhsa_exception_fp_ieee_div_zero 0
		.amdhsa_exception_fp_ieee_overflow 0
		.amdhsa_exception_fp_ieee_underflow 0
		.amdhsa_exception_fp_ieee_inexact 0
		.amdhsa_exception_int_div_zero 0
	.end_amdhsa_kernel
	.section	.text._ZN7rocprim17ROCPRIM_400000_NS6detail17trampoline_kernelINS0_14default_configENS1_38merge_sort_block_merge_config_selectorIsNS0_10empty_typeEEEZZNS1_27merge_sort_block_merge_implIS3_PsPS5_jNS1_19radix_merge_compareILb0ELb1EsNS0_19identity_decomposerEEEEE10hipError_tT0_T1_T2_jT3_P12ihipStream_tbPNSt15iterator_traitsISE_E10value_typeEPNSK_ISF_E10value_typeEPSG_NS1_7vsmem_tEENKUlT_SE_SF_SG_E_clIS8_S8_S9_S9_EESD_ST_SE_SF_SG_EUlST_E1_NS1_11comp_targetILNS1_3genE3ELNS1_11target_archE908ELNS1_3gpuE7ELNS1_3repE0EEENS1_36merge_oddeven_config_static_selectorELNS0_4arch9wavefront6targetE1EEEvSF_,"axG",@progbits,_ZN7rocprim17ROCPRIM_400000_NS6detail17trampoline_kernelINS0_14default_configENS1_38merge_sort_block_merge_config_selectorIsNS0_10empty_typeEEEZZNS1_27merge_sort_block_merge_implIS3_PsPS5_jNS1_19radix_merge_compareILb0ELb1EsNS0_19identity_decomposerEEEEE10hipError_tT0_T1_T2_jT3_P12ihipStream_tbPNSt15iterator_traitsISE_E10value_typeEPNSK_ISF_E10value_typeEPSG_NS1_7vsmem_tEENKUlT_SE_SF_SG_E_clIS8_S8_S9_S9_EESD_ST_SE_SF_SG_EUlST_E1_NS1_11comp_targetILNS1_3genE3ELNS1_11target_archE908ELNS1_3gpuE7ELNS1_3repE0EEENS1_36merge_oddeven_config_static_selectorELNS0_4arch9wavefront6targetE1EEEvSF_,comdat
.Lfunc_end408:
	.size	_ZN7rocprim17ROCPRIM_400000_NS6detail17trampoline_kernelINS0_14default_configENS1_38merge_sort_block_merge_config_selectorIsNS0_10empty_typeEEEZZNS1_27merge_sort_block_merge_implIS3_PsPS5_jNS1_19radix_merge_compareILb0ELb1EsNS0_19identity_decomposerEEEEE10hipError_tT0_T1_T2_jT3_P12ihipStream_tbPNSt15iterator_traitsISE_E10value_typeEPNSK_ISF_E10value_typeEPSG_NS1_7vsmem_tEENKUlT_SE_SF_SG_E_clIS8_S8_S9_S9_EESD_ST_SE_SF_SG_EUlST_E1_NS1_11comp_targetILNS1_3genE3ELNS1_11target_archE908ELNS1_3gpuE7ELNS1_3repE0EEENS1_36merge_oddeven_config_static_selectorELNS0_4arch9wavefront6targetE1EEEvSF_, .Lfunc_end408-_ZN7rocprim17ROCPRIM_400000_NS6detail17trampoline_kernelINS0_14default_configENS1_38merge_sort_block_merge_config_selectorIsNS0_10empty_typeEEEZZNS1_27merge_sort_block_merge_implIS3_PsPS5_jNS1_19radix_merge_compareILb0ELb1EsNS0_19identity_decomposerEEEEE10hipError_tT0_T1_T2_jT3_P12ihipStream_tbPNSt15iterator_traitsISE_E10value_typeEPNSK_ISF_E10value_typeEPSG_NS1_7vsmem_tEENKUlT_SE_SF_SG_E_clIS8_S8_S9_S9_EESD_ST_SE_SF_SG_EUlST_E1_NS1_11comp_targetILNS1_3genE3ELNS1_11target_archE908ELNS1_3gpuE7ELNS1_3repE0EEENS1_36merge_oddeven_config_static_selectorELNS0_4arch9wavefront6targetE1EEEvSF_
                                        ; -- End function
	.section	.AMDGPU.csdata,"",@progbits
; Kernel info:
; codeLenInByte = 0
; NumSgprs: 4
; NumVgprs: 0
; NumAgprs: 0
; TotalNumVgprs: 0
; ScratchSize: 0
; MemoryBound: 0
; FloatMode: 240
; IeeeMode: 1
; LDSByteSize: 0 bytes/workgroup (compile time only)
; SGPRBlocks: 0
; VGPRBlocks: 0
; NumSGPRsForWavesPerEU: 4
; NumVGPRsForWavesPerEU: 1
; AccumOffset: 4
; Occupancy: 8
; WaveLimiterHint : 0
; COMPUTE_PGM_RSRC2:SCRATCH_EN: 0
; COMPUTE_PGM_RSRC2:USER_SGPR: 6
; COMPUTE_PGM_RSRC2:TRAP_HANDLER: 0
; COMPUTE_PGM_RSRC2:TGID_X_EN: 1
; COMPUTE_PGM_RSRC2:TGID_Y_EN: 0
; COMPUTE_PGM_RSRC2:TGID_Z_EN: 0
; COMPUTE_PGM_RSRC2:TIDIG_COMP_CNT: 0
; COMPUTE_PGM_RSRC3_GFX90A:ACCUM_OFFSET: 0
; COMPUTE_PGM_RSRC3_GFX90A:TG_SPLIT: 0
	.section	.text._ZN7rocprim17ROCPRIM_400000_NS6detail17trampoline_kernelINS0_14default_configENS1_38merge_sort_block_merge_config_selectorIsNS0_10empty_typeEEEZZNS1_27merge_sort_block_merge_implIS3_PsPS5_jNS1_19radix_merge_compareILb0ELb1EsNS0_19identity_decomposerEEEEE10hipError_tT0_T1_T2_jT3_P12ihipStream_tbPNSt15iterator_traitsISE_E10value_typeEPNSK_ISF_E10value_typeEPSG_NS1_7vsmem_tEENKUlT_SE_SF_SG_E_clIS8_S8_S9_S9_EESD_ST_SE_SF_SG_EUlST_E1_NS1_11comp_targetILNS1_3genE2ELNS1_11target_archE906ELNS1_3gpuE6ELNS1_3repE0EEENS1_36merge_oddeven_config_static_selectorELNS0_4arch9wavefront6targetE1EEEvSF_,"axG",@progbits,_ZN7rocprim17ROCPRIM_400000_NS6detail17trampoline_kernelINS0_14default_configENS1_38merge_sort_block_merge_config_selectorIsNS0_10empty_typeEEEZZNS1_27merge_sort_block_merge_implIS3_PsPS5_jNS1_19radix_merge_compareILb0ELb1EsNS0_19identity_decomposerEEEEE10hipError_tT0_T1_T2_jT3_P12ihipStream_tbPNSt15iterator_traitsISE_E10value_typeEPNSK_ISF_E10value_typeEPSG_NS1_7vsmem_tEENKUlT_SE_SF_SG_E_clIS8_S8_S9_S9_EESD_ST_SE_SF_SG_EUlST_E1_NS1_11comp_targetILNS1_3genE2ELNS1_11target_archE906ELNS1_3gpuE6ELNS1_3repE0EEENS1_36merge_oddeven_config_static_selectorELNS0_4arch9wavefront6targetE1EEEvSF_,comdat
	.protected	_ZN7rocprim17ROCPRIM_400000_NS6detail17trampoline_kernelINS0_14default_configENS1_38merge_sort_block_merge_config_selectorIsNS0_10empty_typeEEEZZNS1_27merge_sort_block_merge_implIS3_PsPS5_jNS1_19radix_merge_compareILb0ELb1EsNS0_19identity_decomposerEEEEE10hipError_tT0_T1_T2_jT3_P12ihipStream_tbPNSt15iterator_traitsISE_E10value_typeEPNSK_ISF_E10value_typeEPSG_NS1_7vsmem_tEENKUlT_SE_SF_SG_E_clIS8_S8_S9_S9_EESD_ST_SE_SF_SG_EUlST_E1_NS1_11comp_targetILNS1_3genE2ELNS1_11target_archE906ELNS1_3gpuE6ELNS1_3repE0EEENS1_36merge_oddeven_config_static_selectorELNS0_4arch9wavefront6targetE1EEEvSF_ ; -- Begin function _ZN7rocprim17ROCPRIM_400000_NS6detail17trampoline_kernelINS0_14default_configENS1_38merge_sort_block_merge_config_selectorIsNS0_10empty_typeEEEZZNS1_27merge_sort_block_merge_implIS3_PsPS5_jNS1_19radix_merge_compareILb0ELb1EsNS0_19identity_decomposerEEEEE10hipError_tT0_T1_T2_jT3_P12ihipStream_tbPNSt15iterator_traitsISE_E10value_typeEPNSK_ISF_E10value_typeEPSG_NS1_7vsmem_tEENKUlT_SE_SF_SG_E_clIS8_S8_S9_S9_EESD_ST_SE_SF_SG_EUlST_E1_NS1_11comp_targetILNS1_3genE2ELNS1_11target_archE906ELNS1_3gpuE6ELNS1_3repE0EEENS1_36merge_oddeven_config_static_selectorELNS0_4arch9wavefront6targetE1EEEvSF_
	.globl	_ZN7rocprim17ROCPRIM_400000_NS6detail17trampoline_kernelINS0_14default_configENS1_38merge_sort_block_merge_config_selectorIsNS0_10empty_typeEEEZZNS1_27merge_sort_block_merge_implIS3_PsPS5_jNS1_19radix_merge_compareILb0ELb1EsNS0_19identity_decomposerEEEEE10hipError_tT0_T1_T2_jT3_P12ihipStream_tbPNSt15iterator_traitsISE_E10value_typeEPNSK_ISF_E10value_typeEPSG_NS1_7vsmem_tEENKUlT_SE_SF_SG_E_clIS8_S8_S9_S9_EESD_ST_SE_SF_SG_EUlST_E1_NS1_11comp_targetILNS1_3genE2ELNS1_11target_archE906ELNS1_3gpuE6ELNS1_3repE0EEENS1_36merge_oddeven_config_static_selectorELNS0_4arch9wavefront6targetE1EEEvSF_
	.p2align	8
	.type	_ZN7rocprim17ROCPRIM_400000_NS6detail17trampoline_kernelINS0_14default_configENS1_38merge_sort_block_merge_config_selectorIsNS0_10empty_typeEEEZZNS1_27merge_sort_block_merge_implIS3_PsPS5_jNS1_19radix_merge_compareILb0ELb1EsNS0_19identity_decomposerEEEEE10hipError_tT0_T1_T2_jT3_P12ihipStream_tbPNSt15iterator_traitsISE_E10value_typeEPNSK_ISF_E10value_typeEPSG_NS1_7vsmem_tEENKUlT_SE_SF_SG_E_clIS8_S8_S9_S9_EESD_ST_SE_SF_SG_EUlST_E1_NS1_11comp_targetILNS1_3genE2ELNS1_11target_archE906ELNS1_3gpuE6ELNS1_3repE0EEENS1_36merge_oddeven_config_static_selectorELNS0_4arch9wavefront6targetE1EEEvSF_,@function
_ZN7rocprim17ROCPRIM_400000_NS6detail17trampoline_kernelINS0_14default_configENS1_38merge_sort_block_merge_config_selectorIsNS0_10empty_typeEEEZZNS1_27merge_sort_block_merge_implIS3_PsPS5_jNS1_19radix_merge_compareILb0ELb1EsNS0_19identity_decomposerEEEEE10hipError_tT0_T1_T2_jT3_P12ihipStream_tbPNSt15iterator_traitsISE_E10value_typeEPNSK_ISF_E10value_typeEPSG_NS1_7vsmem_tEENKUlT_SE_SF_SG_E_clIS8_S8_S9_S9_EESD_ST_SE_SF_SG_EUlST_E1_NS1_11comp_targetILNS1_3genE2ELNS1_11target_archE906ELNS1_3gpuE6ELNS1_3repE0EEENS1_36merge_oddeven_config_static_selectorELNS0_4arch9wavefront6targetE1EEEvSF_: ; @_ZN7rocprim17ROCPRIM_400000_NS6detail17trampoline_kernelINS0_14default_configENS1_38merge_sort_block_merge_config_selectorIsNS0_10empty_typeEEEZZNS1_27merge_sort_block_merge_implIS3_PsPS5_jNS1_19radix_merge_compareILb0ELb1EsNS0_19identity_decomposerEEEEE10hipError_tT0_T1_T2_jT3_P12ihipStream_tbPNSt15iterator_traitsISE_E10value_typeEPNSK_ISF_E10value_typeEPSG_NS1_7vsmem_tEENKUlT_SE_SF_SG_E_clIS8_S8_S9_S9_EESD_ST_SE_SF_SG_EUlST_E1_NS1_11comp_targetILNS1_3genE2ELNS1_11target_archE906ELNS1_3gpuE6ELNS1_3repE0EEENS1_36merge_oddeven_config_static_selectorELNS0_4arch9wavefront6targetE1EEEvSF_
; %bb.0:
	.section	.rodata,"a",@progbits
	.p2align	6, 0x0
	.amdhsa_kernel _ZN7rocprim17ROCPRIM_400000_NS6detail17trampoline_kernelINS0_14default_configENS1_38merge_sort_block_merge_config_selectorIsNS0_10empty_typeEEEZZNS1_27merge_sort_block_merge_implIS3_PsPS5_jNS1_19radix_merge_compareILb0ELb1EsNS0_19identity_decomposerEEEEE10hipError_tT0_T1_T2_jT3_P12ihipStream_tbPNSt15iterator_traitsISE_E10value_typeEPNSK_ISF_E10value_typeEPSG_NS1_7vsmem_tEENKUlT_SE_SF_SG_E_clIS8_S8_S9_S9_EESD_ST_SE_SF_SG_EUlST_E1_NS1_11comp_targetILNS1_3genE2ELNS1_11target_archE906ELNS1_3gpuE6ELNS1_3repE0EEENS1_36merge_oddeven_config_static_selectorELNS0_4arch9wavefront6targetE1EEEvSF_
		.amdhsa_group_segment_fixed_size 0
		.amdhsa_private_segment_fixed_size 0
		.amdhsa_kernarg_size 48
		.amdhsa_user_sgpr_count 6
		.amdhsa_user_sgpr_private_segment_buffer 1
		.amdhsa_user_sgpr_dispatch_ptr 0
		.amdhsa_user_sgpr_queue_ptr 0
		.amdhsa_user_sgpr_kernarg_segment_ptr 1
		.amdhsa_user_sgpr_dispatch_id 0
		.amdhsa_user_sgpr_flat_scratch_init 0
		.amdhsa_user_sgpr_kernarg_preload_length 0
		.amdhsa_user_sgpr_kernarg_preload_offset 0
		.amdhsa_user_sgpr_private_segment_size 0
		.amdhsa_uses_dynamic_stack 0
		.amdhsa_system_sgpr_private_segment_wavefront_offset 0
		.amdhsa_system_sgpr_workgroup_id_x 1
		.amdhsa_system_sgpr_workgroup_id_y 0
		.amdhsa_system_sgpr_workgroup_id_z 0
		.amdhsa_system_sgpr_workgroup_info 0
		.amdhsa_system_vgpr_workitem_id 0
		.amdhsa_next_free_vgpr 1
		.amdhsa_next_free_sgpr 0
		.amdhsa_accum_offset 4
		.amdhsa_reserve_vcc 0
		.amdhsa_reserve_flat_scratch 0
		.amdhsa_float_round_mode_32 0
		.amdhsa_float_round_mode_16_64 0
		.amdhsa_float_denorm_mode_32 3
		.amdhsa_float_denorm_mode_16_64 3
		.amdhsa_dx10_clamp 1
		.amdhsa_ieee_mode 1
		.amdhsa_fp16_overflow 0
		.amdhsa_tg_split 0
		.amdhsa_exception_fp_ieee_invalid_op 0
		.amdhsa_exception_fp_denorm_src 0
		.amdhsa_exception_fp_ieee_div_zero 0
		.amdhsa_exception_fp_ieee_overflow 0
		.amdhsa_exception_fp_ieee_underflow 0
		.amdhsa_exception_fp_ieee_inexact 0
		.amdhsa_exception_int_div_zero 0
	.end_amdhsa_kernel
	.section	.text._ZN7rocprim17ROCPRIM_400000_NS6detail17trampoline_kernelINS0_14default_configENS1_38merge_sort_block_merge_config_selectorIsNS0_10empty_typeEEEZZNS1_27merge_sort_block_merge_implIS3_PsPS5_jNS1_19radix_merge_compareILb0ELb1EsNS0_19identity_decomposerEEEEE10hipError_tT0_T1_T2_jT3_P12ihipStream_tbPNSt15iterator_traitsISE_E10value_typeEPNSK_ISF_E10value_typeEPSG_NS1_7vsmem_tEENKUlT_SE_SF_SG_E_clIS8_S8_S9_S9_EESD_ST_SE_SF_SG_EUlST_E1_NS1_11comp_targetILNS1_3genE2ELNS1_11target_archE906ELNS1_3gpuE6ELNS1_3repE0EEENS1_36merge_oddeven_config_static_selectorELNS0_4arch9wavefront6targetE1EEEvSF_,"axG",@progbits,_ZN7rocprim17ROCPRIM_400000_NS6detail17trampoline_kernelINS0_14default_configENS1_38merge_sort_block_merge_config_selectorIsNS0_10empty_typeEEEZZNS1_27merge_sort_block_merge_implIS3_PsPS5_jNS1_19radix_merge_compareILb0ELb1EsNS0_19identity_decomposerEEEEE10hipError_tT0_T1_T2_jT3_P12ihipStream_tbPNSt15iterator_traitsISE_E10value_typeEPNSK_ISF_E10value_typeEPSG_NS1_7vsmem_tEENKUlT_SE_SF_SG_E_clIS8_S8_S9_S9_EESD_ST_SE_SF_SG_EUlST_E1_NS1_11comp_targetILNS1_3genE2ELNS1_11target_archE906ELNS1_3gpuE6ELNS1_3repE0EEENS1_36merge_oddeven_config_static_selectorELNS0_4arch9wavefront6targetE1EEEvSF_,comdat
.Lfunc_end409:
	.size	_ZN7rocprim17ROCPRIM_400000_NS6detail17trampoline_kernelINS0_14default_configENS1_38merge_sort_block_merge_config_selectorIsNS0_10empty_typeEEEZZNS1_27merge_sort_block_merge_implIS3_PsPS5_jNS1_19radix_merge_compareILb0ELb1EsNS0_19identity_decomposerEEEEE10hipError_tT0_T1_T2_jT3_P12ihipStream_tbPNSt15iterator_traitsISE_E10value_typeEPNSK_ISF_E10value_typeEPSG_NS1_7vsmem_tEENKUlT_SE_SF_SG_E_clIS8_S8_S9_S9_EESD_ST_SE_SF_SG_EUlST_E1_NS1_11comp_targetILNS1_3genE2ELNS1_11target_archE906ELNS1_3gpuE6ELNS1_3repE0EEENS1_36merge_oddeven_config_static_selectorELNS0_4arch9wavefront6targetE1EEEvSF_, .Lfunc_end409-_ZN7rocprim17ROCPRIM_400000_NS6detail17trampoline_kernelINS0_14default_configENS1_38merge_sort_block_merge_config_selectorIsNS0_10empty_typeEEEZZNS1_27merge_sort_block_merge_implIS3_PsPS5_jNS1_19radix_merge_compareILb0ELb1EsNS0_19identity_decomposerEEEEE10hipError_tT0_T1_T2_jT3_P12ihipStream_tbPNSt15iterator_traitsISE_E10value_typeEPNSK_ISF_E10value_typeEPSG_NS1_7vsmem_tEENKUlT_SE_SF_SG_E_clIS8_S8_S9_S9_EESD_ST_SE_SF_SG_EUlST_E1_NS1_11comp_targetILNS1_3genE2ELNS1_11target_archE906ELNS1_3gpuE6ELNS1_3repE0EEENS1_36merge_oddeven_config_static_selectorELNS0_4arch9wavefront6targetE1EEEvSF_
                                        ; -- End function
	.section	.AMDGPU.csdata,"",@progbits
; Kernel info:
; codeLenInByte = 0
; NumSgprs: 4
; NumVgprs: 0
; NumAgprs: 0
; TotalNumVgprs: 0
; ScratchSize: 0
; MemoryBound: 0
; FloatMode: 240
; IeeeMode: 1
; LDSByteSize: 0 bytes/workgroup (compile time only)
; SGPRBlocks: 0
; VGPRBlocks: 0
; NumSGPRsForWavesPerEU: 4
; NumVGPRsForWavesPerEU: 1
; AccumOffset: 4
; Occupancy: 8
; WaveLimiterHint : 0
; COMPUTE_PGM_RSRC2:SCRATCH_EN: 0
; COMPUTE_PGM_RSRC2:USER_SGPR: 6
; COMPUTE_PGM_RSRC2:TRAP_HANDLER: 0
; COMPUTE_PGM_RSRC2:TGID_X_EN: 1
; COMPUTE_PGM_RSRC2:TGID_Y_EN: 0
; COMPUTE_PGM_RSRC2:TGID_Z_EN: 0
; COMPUTE_PGM_RSRC2:TIDIG_COMP_CNT: 0
; COMPUTE_PGM_RSRC3_GFX90A:ACCUM_OFFSET: 0
; COMPUTE_PGM_RSRC3_GFX90A:TG_SPLIT: 0
	.section	.text._ZN7rocprim17ROCPRIM_400000_NS6detail17trampoline_kernelINS0_14default_configENS1_38merge_sort_block_merge_config_selectorIsNS0_10empty_typeEEEZZNS1_27merge_sort_block_merge_implIS3_PsPS5_jNS1_19radix_merge_compareILb0ELb1EsNS0_19identity_decomposerEEEEE10hipError_tT0_T1_T2_jT3_P12ihipStream_tbPNSt15iterator_traitsISE_E10value_typeEPNSK_ISF_E10value_typeEPSG_NS1_7vsmem_tEENKUlT_SE_SF_SG_E_clIS8_S8_S9_S9_EESD_ST_SE_SF_SG_EUlST_E1_NS1_11comp_targetILNS1_3genE9ELNS1_11target_archE1100ELNS1_3gpuE3ELNS1_3repE0EEENS1_36merge_oddeven_config_static_selectorELNS0_4arch9wavefront6targetE1EEEvSF_,"axG",@progbits,_ZN7rocprim17ROCPRIM_400000_NS6detail17trampoline_kernelINS0_14default_configENS1_38merge_sort_block_merge_config_selectorIsNS0_10empty_typeEEEZZNS1_27merge_sort_block_merge_implIS3_PsPS5_jNS1_19radix_merge_compareILb0ELb1EsNS0_19identity_decomposerEEEEE10hipError_tT0_T1_T2_jT3_P12ihipStream_tbPNSt15iterator_traitsISE_E10value_typeEPNSK_ISF_E10value_typeEPSG_NS1_7vsmem_tEENKUlT_SE_SF_SG_E_clIS8_S8_S9_S9_EESD_ST_SE_SF_SG_EUlST_E1_NS1_11comp_targetILNS1_3genE9ELNS1_11target_archE1100ELNS1_3gpuE3ELNS1_3repE0EEENS1_36merge_oddeven_config_static_selectorELNS0_4arch9wavefront6targetE1EEEvSF_,comdat
	.protected	_ZN7rocprim17ROCPRIM_400000_NS6detail17trampoline_kernelINS0_14default_configENS1_38merge_sort_block_merge_config_selectorIsNS0_10empty_typeEEEZZNS1_27merge_sort_block_merge_implIS3_PsPS5_jNS1_19radix_merge_compareILb0ELb1EsNS0_19identity_decomposerEEEEE10hipError_tT0_T1_T2_jT3_P12ihipStream_tbPNSt15iterator_traitsISE_E10value_typeEPNSK_ISF_E10value_typeEPSG_NS1_7vsmem_tEENKUlT_SE_SF_SG_E_clIS8_S8_S9_S9_EESD_ST_SE_SF_SG_EUlST_E1_NS1_11comp_targetILNS1_3genE9ELNS1_11target_archE1100ELNS1_3gpuE3ELNS1_3repE0EEENS1_36merge_oddeven_config_static_selectorELNS0_4arch9wavefront6targetE1EEEvSF_ ; -- Begin function _ZN7rocprim17ROCPRIM_400000_NS6detail17trampoline_kernelINS0_14default_configENS1_38merge_sort_block_merge_config_selectorIsNS0_10empty_typeEEEZZNS1_27merge_sort_block_merge_implIS3_PsPS5_jNS1_19radix_merge_compareILb0ELb1EsNS0_19identity_decomposerEEEEE10hipError_tT0_T1_T2_jT3_P12ihipStream_tbPNSt15iterator_traitsISE_E10value_typeEPNSK_ISF_E10value_typeEPSG_NS1_7vsmem_tEENKUlT_SE_SF_SG_E_clIS8_S8_S9_S9_EESD_ST_SE_SF_SG_EUlST_E1_NS1_11comp_targetILNS1_3genE9ELNS1_11target_archE1100ELNS1_3gpuE3ELNS1_3repE0EEENS1_36merge_oddeven_config_static_selectorELNS0_4arch9wavefront6targetE1EEEvSF_
	.globl	_ZN7rocprim17ROCPRIM_400000_NS6detail17trampoline_kernelINS0_14default_configENS1_38merge_sort_block_merge_config_selectorIsNS0_10empty_typeEEEZZNS1_27merge_sort_block_merge_implIS3_PsPS5_jNS1_19radix_merge_compareILb0ELb1EsNS0_19identity_decomposerEEEEE10hipError_tT0_T1_T2_jT3_P12ihipStream_tbPNSt15iterator_traitsISE_E10value_typeEPNSK_ISF_E10value_typeEPSG_NS1_7vsmem_tEENKUlT_SE_SF_SG_E_clIS8_S8_S9_S9_EESD_ST_SE_SF_SG_EUlST_E1_NS1_11comp_targetILNS1_3genE9ELNS1_11target_archE1100ELNS1_3gpuE3ELNS1_3repE0EEENS1_36merge_oddeven_config_static_selectorELNS0_4arch9wavefront6targetE1EEEvSF_
	.p2align	8
	.type	_ZN7rocprim17ROCPRIM_400000_NS6detail17trampoline_kernelINS0_14default_configENS1_38merge_sort_block_merge_config_selectorIsNS0_10empty_typeEEEZZNS1_27merge_sort_block_merge_implIS3_PsPS5_jNS1_19radix_merge_compareILb0ELb1EsNS0_19identity_decomposerEEEEE10hipError_tT0_T1_T2_jT3_P12ihipStream_tbPNSt15iterator_traitsISE_E10value_typeEPNSK_ISF_E10value_typeEPSG_NS1_7vsmem_tEENKUlT_SE_SF_SG_E_clIS8_S8_S9_S9_EESD_ST_SE_SF_SG_EUlST_E1_NS1_11comp_targetILNS1_3genE9ELNS1_11target_archE1100ELNS1_3gpuE3ELNS1_3repE0EEENS1_36merge_oddeven_config_static_selectorELNS0_4arch9wavefront6targetE1EEEvSF_,@function
_ZN7rocprim17ROCPRIM_400000_NS6detail17trampoline_kernelINS0_14default_configENS1_38merge_sort_block_merge_config_selectorIsNS0_10empty_typeEEEZZNS1_27merge_sort_block_merge_implIS3_PsPS5_jNS1_19radix_merge_compareILb0ELb1EsNS0_19identity_decomposerEEEEE10hipError_tT0_T1_T2_jT3_P12ihipStream_tbPNSt15iterator_traitsISE_E10value_typeEPNSK_ISF_E10value_typeEPSG_NS1_7vsmem_tEENKUlT_SE_SF_SG_E_clIS8_S8_S9_S9_EESD_ST_SE_SF_SG_EUlST_E1_NS1_11comp_targetILNS1_3genE9ELNS1_11target_archE1100ELNS1_3gpuE3ELNS1_3repE0EEENS1_36merge_oddeven_config_static_selectorELNS0_4arch9wavefront6targetE1EEEvSF_: ; @_ZN7rocprim17ROCPRIM_400000_NS6detail17trampoline_kernelINS0_14default_configENS1_38merge_sort_block_merge_config_selectorIsNS0_10empty_typeEEEZZNS1_27merge_sort_block_merge_implIS3_PsPS5_jNS1_19radix_merge_compareILb0ELb1EsNS0_19identity_decomposerEEEEE10hipError_tT0_T1_T2_jT3_P12ihipStream_tbPNSt15iterator_traitsISE_E10value_typeEPNSK_ISF_E10value_typeEPSG_NS1_7vsmem_tEENKUlT_SE_SF_SG_E_clIS8_S8_S9_S9_EESD_ST_SE_SF_SG_EUlST_E1_NS1_11comp_targetILNS1_3genE9ELNS1_11target_archE1100ELNS1_3gpuE3ELNS1_3repE0EEENS1_36merge_oddeven_config_static_selectorELNS0_4arch9wavefront6targetE1EEEvSF_
; %bb.0:
	.section	.rodata,"a",@progbits
	.p2align	6, 0x0
	.amdhsa_kernel _ZN7rocprim17ROCPRIM_400000_NS6detail17trampoline_kernelINS0_14default_configENS1_38merge_sort_block_merge_config_selectorIsNS0_10empty_typeEEEZZNS1_27merge_sort_block_merge_implIS3_PsPS5_jNS1_19radix_merge_compareILb0ELb1EsNS0_19identity_decomposerEEEEE10hipError_tT0_T1_T2_jT3_P12ihipStream_tbPNSt15iterator_traitsISE_E10value_typeEPNSK_ISF_E10value_typeEPSG_NS1_7vsmem_tEENKUlT_SE_SF_SG_E_clIS8_S8_S9_S9_EESD_ST_SE_SF_SG_EUlST_E1_NS1_11comp_targetILNS1_3genE9ELNS1_11target_archE1100ELNS1_3gpuE3ELNS1_3repE0EEENS1_36merge_oddeven_config_static_selectorELNS0_4arch9wavefront6targetE1EEEvSF_
		.amdhsa_group_segment_fixed_size 0
		.amdhsa_private_segment_fixed_size 0
		.amdhsa_kernarg_size 48
		.amdhsa_user_sgpr_count 6
		.amdhsa_user_sgpr_private_segment_buffer 1
		.amdhsa_user_sgpr_dispatch_ptr 0
		.amdhsa_user_sgpr_queue_ptr 0
		.amdhsa_user_sgpr_kernarg_segment_ptr 1
		.amdhsa_user_sgpr_dispatch_id 0
		.amdhsa_user_sgpr_flat_scratch_init 0
		.amdhsa_user_sgpr_kernarg_preload_length 0
		.amdhsa_user_sgpr_kernarg_preload_offset 0
		.amdhsa_user_sgpr_private_segment_size 0
		.amdhsa_uses_dynamic_stack 0
		.amdhsa_system_sgpr_private_segment_wavefront_offset 0
		.amdhsa_system_sgpr_workgroup_id_x 1
		.amdhsa_system_sgpr_workgroup_id_y 0
		.amdhsa_system_sgpr_workgroup_id_z 0
		.amdhsa_system_sgpr_workgroup_info 0
		.amdhsa_system_vgpr_workitem_id 0
		.amdhsa_next_free_vgpr 1
		.amdhsa_next_free_sgpr 0
		.amdhsa_accum_offset 4
		.amdhsa_reserve_vcc 0
		.amdhsa_reserve_flat_scratch 0
		.amdhsa_float_round_mode_32 0
		.amdhsa_float_round_mode_16_64 0
		.amdhsa_float_denorm_mode_32 3
		.amdhsa_float_denorm_mode_16_64 3
		.amdhsa_dx10_clamp 1
		.amdhsa_ieee_mode 1
		.amdhsa_fp16_overflow 0
		.amdhsa_tg_split 0
		.amdhsa_exception_fp_ieee_invalid_op 0
		.amdhsa_exception_fp_denorm_src 0
		.amdhsa_exception_fp_ieee_div_zero 0
		.amdhsa_exception_fp_ieee_overflow 0
		.amdhsa_exception_fp_ieee_underflow 0
		.amdhsa_exception_fp_ieee_inexact 0
		.amdhsa_exception_int_div_zero 0
	.end_amdhsa_kernel
	.section	.text._ZN7rocprim17ROCPRIM_400000_NS6detail17trampoline_kernelINS0_14default_configENS1_38merge_sort_block_merge_config_selectorIsNS0_10empty_typeEEEZZNS1_27merge_sort_block_merge_implIS3_PsPS5_jNS1_19radix_merge_compareILb0ELb1EsNS0_19identity_decomposerEEEEE10hipError_tT0_T1_T2_jT3_P12ihipStream_tbPNSt15iterator_traitsISE_E10value_typeEPNSK_ISF_E10value_typeEPSG_NS1_7vsmem_tEENKUlT_SE_SF_SG_E_clIS8_S8_S9_S9_EESD_ST_SE_SF_SG_EUlST_E1_NS1_11comp_targetILNS1_3genE9ELNS1_11target_archE1100ELNS1_3gpuE3ELNS1_3repE0EEENS1_36merge_oddeven_config_static_selectorELNS0_4arch9wavefront6targetE1EEEvSF_,"axG",@progbits,_ZN7rocprim17ROCPRIM_400000_NS6detail17trampoline_kernelINS0_14default_configENS1_38merge_sort_block_merge_config_selectorIsNS0_10empty_typeEEEZZNS1_27merge_sort_block_merge_implIS3_PsPS5_jNS1_19radix_merge_compareILb0ELb1EsNS0_19identity_decomposerEEEEE10hipError_tT0_T1_T2_jT3_P12ihipStream_tbPNSt15iterator_traitsISE_E10value_typeEPNSK_ISF_E10value_typeEPSG_NS1_7vsmem_tEENKUlT_SE_SF_SG_E_clIS8_S8_S9_S9_EESD_ST_SE_SF_SG_EUlST_E1_NS1_11comp_targetILNS1_3genE9ELNS1_11target_archE1100ELNS1_3gpuE3ELNS1_3repE0EEENS1_36merge_oddeven_config_static_selectorELNS0_4arch9wavefront6targetE1EEEvSF_,comdat
.Lfunc_end410:
	.size	_ZN7rocprim17ROCPRIM_400000_NS6detail17trampoline_kernelINS0_14default_configENS1_38merge_sort_block_merge_config_selectorIsNS0_10empty_typeEEEZZNS1_27merge_sort_block_merge_implIS3_PsPS5_jNS1_19radix_merge_compareILb0ELb1EsNS0_19identity_decomposerEEEEE10hipError_tT0_T1_T2_jT3_P12ihipStream_tbPNSt15iterator_traitsISE_E10value_typeEPNSK_ISF_E10value_typeEPSG_NS1_7vsmem_tEENKUlT_SE_SF_SG_E_clIS8_S8_S9_S9_EESD_ST_SE_SF_SG_EUlST_E1_NS1_11comp_targetILNS1_3genE9ELNS1_11target_archE1100ELNS1_3gpuE3ELNS1_3repE0EEENS1_36merge_oddeven_config_static_selectorELNS0_4arch9wavefront6targetE1EEEvSF_, .Lfunc_end410-_ZN7rocprim17ROCPRIM_400000_NS6detail17trampoline_kernelINS0_14default_configENS1_38merge_sort_block_merge_config_selectorIsNS0_10empty_typeEEEZZNS1_27merge_sort_block_merge_implIS3_PsPS5_jNS1_19radix_merge_compareILb0ELb1EsNS0_19identity_decomposerEEEEE10hipError_tT0_T1_T2_jT3_P12ihipStream_tbPNSt15iterator_traitsISE_E10value_typeEPNSK_ISF_E10value_typeEPSG_NS1_7vsmem_tEENKUlT_SE_SF_SG_E_clIS8_S8_S9_S9_EESD_ST_SE_SF_SG_EUlST_E1_NS1_11comp_targetILNS1_3genE9ELNS1_11target_archE1100ELNS1_3gpuE3ELNS1_3repE0EEENS1_36merge_oddeven_config_static_selectorELNS0_4arch9wavefront6targetE1EEEvSF_
                                        ; -- End function
	.section	.AMDGPU.csdata,"",@progbits
; Kernel info:
; codeLenInByte = 0
; NumSgprs: 4
; NumVgprs: 0
; NumAgprs: 0
; TotalNumVgprs: 0
; ScratchSize: 0
; MemoryBound: 0
; FloatMode: 240
; IeeeMode: 1
; LDSByteSize: 0 bytes/workgroup (compile time only)
; SGPRBlocks: 0
; VGPRBlocks: 0
; NumSGPRsForWavesPerEU: 4
; NumVGPRsForWavesPerEU: 1
; AccumOffset: 4
; Occupancy: 8
; WaveLimiterHint : 0
; COMPUTE_PGM_RSRC2:SCRATCH_EN: 0
; COMPUTE_PGM_RSRC2:USER_SGPR: 6
; COMPUTE_PGM_RSRC2:TRAP_HANDLER: 0
; COMPUTE_PGM_RSRC2:TGID_X_EN: 1
; COMPUTE_PGM_RSRC2:TGID_Y_EN: 0
; COMPUTE_PGM_RSRC2:TGID_Z_EN: 0
; COMPUTE_PGM_RSRC2:TIDIG_COMP_CNT: 0
; COMPUTE_PGM_RSRC3_GFX90A:ACCUM_OFFSET: 0
; COMPUTE_PGM_RSRC3_GFX90A:TG_SPLIT: 0
	.section	.text._ZN7rocprim17ROCPRIM_400000_NS6detail17trampoline_kernelINS0_14default_configENS1_38merge_sort_block_merge_config_selectorIsNS0_10empty_typeEEEZZNS1_27merge_sort_block_merge_implIS3_PsPS5_jNS1_19radix_merge_compareILb0ELb1EsNS0_19identity_decomposerEEEEE10hipError_tT0_T1_T2_jT3_P12ihipStream_tbPNSt15iterator_traitsISE_E10value_typeEPNSK_ISF_E10value_typeEPSG_NS1_7vsmem_tEENKUlT_SE_SF_SG_E_clIS8_S8_S9_S9_EESD_ST_SE_SF_SG_EUlST_E1_NS1_11comp_targetILNS1_3genE8ELNS1_11target_archE1030ELNS1_3gpuE2ELNS1_3repE0EEENS1_36merge_oddeven_config_static_selectorELNS0_4arch9wavefront6targetE1EEEvSF_,"axG",@progbits,_ZN7rocprim17ROCPRIM_400000_NS6detail17trampoline_kernelINS0_14default_configENS1_38merge_sort_block_merge_config_selectorIsNS0_10empty_typeEEEZZNS1_27merge_sort_block_merge_implIS3_PsPS5_jNS1_19radix_merge_compareILb0ELb1EsNS0_19identity_decomposerEEEEE10hipError_tT0_T1_T2_jT3_P12ihipStream_tbPNSt15iterator_traitsISE_E10value_typeEPNSK_ISF_E10value_typeEPSG_NS1_7vsmem_tEENKUlT_SE_SF_SG_E_clIS8_S8_S9_S9_EESD_ST_SE_SF_SG_EUlST_E1_NS1_11comp_targetILNS1_3genE8ELNS1_11target_archE1030ELNS1_3gpuE2ELNS1_3repE0EEENS1_36merge_oddeven_config_static_selectorELNS0_4arch9wavefront6targetE1EEEvSF_,comdat
	.protected	_ZN7rocprim17ROCPRIM_400000_NS6detail17trampoline_kernelINS0_14default_configENS1_38merge_sort_block_merge_config_selectorIsNS0_10empty_typeEEEZZNS1_27merge_sort_block_merge_implIS3_PsPS5_jNS1_19radix_merge_compareILb0ELb1EsNS0_19identity_decomposerEEEEE10hipError_tT0_T1_T2_jT3_P12ihipStream_tbPNSt15iterator_traitsISE_E10value_typeEPNSK_ISF_E10value_typeEPSG_NS1_7vsmem_tEENKUlT_SE_SF_SG_E_clIS8_S8_S9_S9_EESD_ST_SE_SF_SG_EUlST_E1_NS1_11comp_targetILNS1_3genE8ELNS1_11target_archE1030ELNS1_3gpuE2ELNS1_3repE0EEENS1_36merge_oddeven_config_static_selectorELNS0_4arch9wavefront6targetE1EEEvSF_ ; -- Begin function _ZN7rocprim17ROCPRIM_400000_NS6detail17trampoline_kernelINS0_14default_configENS1_38merge_sort_block_merge_config_selectorIsNS0_10empty_typeEEEZZNS1_27merge_sort_block_merge_implIS3_PsPS5_jNS1_19radix_merge_compareILb0ELb1EsNS0_19identity_decomposerEEEEE10hipError_tT0_T1_T2_jT3_P12ihipStream_tbPNSt15iterator_traitsISE_E10value_typeEPNSK_ISF_E10value_typeEPSG_NS1_7vsmem_tEENKUlT_SE_SF_SG_E_clIS8_S8_S9_S9_EESD_ST_SE_SF_SG_EUlST_E1_NS1_11comp_targetILNS1_3genE8ELNS1_11target_archE1030ELNS1_3gpuE2ELNS1_3repE0EEENS1_36merge_oddeven_config_static_selectorELNS0_4arch9wavefront6targetE1EEEvSF_
	.globl	_ZN7rocprim17ROCPRIM_400000_NS6detail17trampoline_kernelINS0_14default_configENS1_38merge_sort_block_merge_config_selectorIsNS0_10empty_typeEEEZZNS1_27merge_sort_block_merge_implIS3_PsPS5_jNS1_19radix_merge_compareILb0ELb1EsNS0_19identity_decomposerEEEEE10hipError_tT0_T1_T2_jT3_P12ihipStream_tbPNSt15iterator_traitsISE_E10value_typeEPNSK_ISF_E10value_typeEPSG_NS1_7vsmem_tEENKUlT_SE_SF_SG_E_clIS8_S8_S9_S9_EESD_ST_SE_SF_SG_EUlST_E1_NS1_11comp_targetILNS1_3genE8ELNS1_11target_archE1030ELNS1_3gpuE2ELNS1_3repE0EEENS1_36merge_oddeven_config_static_selectorELNS0_4arch9wavefront6targetE1EEEvSF_
	.p2align	8
	.type	_ZN7rocprim17ROCPRIM_400000_NS6detail17trampoline_kernelINS0_14default_configENS1_38merge_sort_block_merge_config_selectorIsNS0_10empty_typeEEEZZNS1_27merge_sort_block_merge_implIS3_PsPS5_jNS1_19radix_merge_compareILb0ELb1EsNS0_19identity_decomposerEEEEE10hipError_tT0_T1_T2_jT3_P12ihipStream_tbPNSt15iterator_traitsISE_E10value_typeEPNSK_ISF_E10value_typeEPSG_NS1_7vsmem_tEENKUlT_SE_SF_SG_E_clIS8_S8_S9_S9_EESD_ST_SE_SF_SG_EUlST_E1_NS1_11comp_targetILNS1_3genE8ELNS1_11target_archE1030ELNS1_3gpuE2ELNS1_3repE0EEENS1_36merge_oddeven_config_static_selectorELNS0_4arch9wavefront6targetE1EEEvSF_,@function
_ZN7rocprim17ROCPRIM_400000_NS6detail17trampoline_kernelINS0_14default_configENS1_38merge_sort_block_merge_config_selectorIsNS0_10empty_typeEEEZZNS1_27merge_sort_block_merge_implIS3_PsPS5_jNS1_19radix_merge_compareILb0ELb1EsNS0_19identity_decomposerEEEEE10hipError_tT0_T1_T2_jT3_P12ihipStream_tbPNSt15iterator_traitsISE_E10value_typeEPNSK_ISF_E10value_typeEPSG_NS1_7vsmem_tEENKUlT_SE_SF_SG_E_clIS8_S8_S9_S9_EESD_ST_SE_SF_SG_EUlST_E1_NS1_11comp_targetILNS1_3genE8ELNS1_11target_archE1030ELNS1_3gpuE2ELNS1_3repE0EEENS1_36merge_oddeven_config_static_selectorELNS0_4arch9wavefront6targetE1EEEvSF_: ; @_ZN7rocprim17ROCPRIM_400000_NS6detail17trampoline_kernelINS0_14default_configENS1_38merge_sort_block_merge_config_selectorIsNS0_10empty_typeEEEZZNS1_27merge_sort_block_merge_implIS3_PsPS5_jNS1_19radix_merge_compareILb0ELb1EsNS0_19identity_decomposerEEEEE10hipError_tT0_T1_T2_jT3_P12ihipStream_tbPNSt15iterator_traitsISE_E10value_typeEPNSK_ISF_E10value_typeEPSG_NS1_7vsmem_tEENKUlT_SE_SF_SG_E_clIS8_S8_S9_S9_EESD_ST_SE_SF_SG_EUlST_E1_NS1_11comp_targetILNS1_3genE8ELNS1_11target_archE1030ELNS1_3gpuE2ELNS1_3repE0EEENS1_36merge_oddeven_config_static_selectorELNS0_4arch9wavefront6targetE1EEEvSF_
; %bb.0:
	.section	.rodata,"a",@progbits
	.p2align	6, 0x0
	.amdhsa_kernel _ZN7rocprim17ROCPRIM_400000_NS6detail17trampoline_kernelINS0_14default_configENS1_38merge_sort_block_merge_config_selectorIsNS0_10empty_typeEEEZZNS1_27merge_sort_block_merge_implIS3_PsPS5_jNS1_19radix_merge_compareILb0ELb1EsNS0_19identity_decomposerEEEEE10hipError_tT0_T1_T2_jT3_P12ihipStream_tbPNSt15iterator_traitsISE_E10value_typeEPNSK_ISF_E10value_typeEPSG_NS1_7vsmem_tEENKUlT_SE_SF_SG_E_clIS8_S8_S9_S9_EESD_ST_SE_SF_SG_EUlST_E1_NS1_11comp_targetILNS1_3genE8ELNS1_11target_archE1030ELNS1_3gpuE2ELNS1_3repE0EEENS1_36merge_oddeven_config_static_selectorELNS0_4arch9wavefront6targetE1EEEvSF_
		.amdhsa_group_segment_fixed_size 0
		.amdhsa_private_segment_fixed_size 0
		.amdhsa_kernarg_size 48
		.amdhsa_user_sgpr_count 6
		.amdhsa_user_sgpr_private_segment_buffer 1
		.amdhsa_user_sgpr_dispatch_ptr 0
		.amdhsa_user_sgpr_queue_ptr 0
		.amdhsa_user_sgpr_kernarg_segment_ptr 1
		.amdhsa_user_sgpr_dispatch_id 0
		.amdhsa_user_sgpr_flat_scratch_init 0
		.amdhsa_user_sgpr_kernarg_preload_length 0
		.amdhsa_user_sgpr_kernarg_preload_offset 0
		.amdhsa_user_sgpr_private_segment_size 0
		.amdhsa_uses_dynamic_stack 0
		.amdhsa_system_sgpr_private_segment_wavefront_offset 0
		.amdhsa_system_sgpr_workgroup_id_x 1
		.amdhsa_system_sgpr_workgroup_id_y 0
		.amdhsa_system_sgpr_workgroup_id_z 0
		.amdhsa_system_sgpr_workgroup_info 0
		.amdhsa_system_vgpr_workitem_id 0
		.amdhsa_next_free_vgpr 1
		.amdhsa_next_free_sgpr 0
		.amdhsa_accum_offset 4
		.amdhsa_reserve_vcc 0
		.amdhsa_reserve_flat_scratch 0
		.amdhsa_float_round_mode_32 0
		.amdhsa_float_round_mode_16_64 0
		.amdhsa_float_denorm_mode_32 3
		.amdhsa_float_denorm_mode_16_64 3
		.amdhsa_dx10_clamp 1
		.amdhsa_ieee_mode 1
		.amdhsa_fp16_overflow 0
		.amdhsa_tg_split 0
		.amdhsa_exception_fp_ieee_invalid_op 0
		.amdhsa_exception_fp_denorm_src 0
		.amdhsa_exception_fp_ieee_div_zero 0
		.amdhsa_exception_fp_ieee_overflow 0
		.amdhsa_exception_fp_ieee_underflow 0
		.amdhsa_exception_fp_ieee_inexact 0
		.amdhsa_exception_int_div_zero 0
	.end_amdhsa_kernel
	.section	.text._ZN7rocprim17ROCPRIM_400000_NS6detail17trampoline_kernelINS0_14default_configENS1_38merge_sort_block_merge_config_selectorIsNS0_10empty_typeEEEZZNS1_27merge_sort_block_merge_implIS3_PsPS5_jNS1_19radix_merge_compareILb0ELb1EsNS0_19identity_decomposerEEEEE10hipError_tT0_T1_T2_jT3_P12ihipStream_tbPNSt15iterator_traitsISE_E10value_typeEPNSK_ISF_E10value_typeEPSG_NS1_7vsmem_tEENKUlT_SE_SF_SG_E_clIS8_S8_S9_S9_EESD_ST_SE_SF_SG_EUlST_E1_NS1_11comp_targetILNS1_3genE8ELNS1_11target_archE1030ELNS1_3gpuE2ELNS1_3repE0EEENS1_36merge_oddeven_config_static_selectorELNS0_4arch9wavefront6targetE1EEEvSF_,"axG",@progbits,_ZN7rocprim17ROCPRIM_400000_NS6detail17trampoline_kernelINS0_14default_configENS1_38merge_sort_block_merge_config_selectorIsNS0_10empty_typeEEEZZNS1_27merge_sort_block_merge_implIS3_PsPS5_jNS1_19radix_merge_compareILb0ELb1EsNS0_19identity_decomposerEEEEE10hipError_tT0_T1_T2_jT3_P12ihipStream_tbPNSt15iterator_traitsISE_E10value_typeEPNSK_ISF_E10value_typeEPSG_NS1_7vsmem_tEENKUlT_SE_SF_SG_E_clIS8_S8_S9_S9_EESD_ST_SE_SF_SG_EUlST_E1_NS1_11comp_targetILNS1_3genE8ELNS1_11target_archE1030ELNS1_3gpuE2ELNS1_3repE0EEENS1_36merge_oddeven_config_static_selectorELNS0_4arch9wavefront6targetE1EEEvSF_,comdat
.Lfunc_end411:
	.size	_ZN7rocprim17ROCPRIM_400000_NS6detail17trampoline_kernelINS0_14default_configENS1_38merge_sort_block_merge_config_selectorIsNS0_10empty_typeEEEZZNS1_27merge_sort_block_merge_implIS3_PsPS5_jNS1_19radix_merge_compareILb0ELb1EsNS0_19identity_decomposerEEEEE10hipError_tT0_T1_T2_jT3_P12ihipStream_tbPNSt15iterator_traitsISE_E10value_typeEPNSK_ISF_E10value_typeEPSG_NS1_7vsmem_tEENKUlT_SE_SF_SG_E_clIS8_S8_S9_S9_EESD_ST_SE_SF_SG_EUlST_E1_NS1_11comp_targetILNS1_3genE8ELNS1_11target_archE1030ELNS1_3gpuE2ELNS1_3repE0EEENS1_36merge_oddeven_config_static_selectorELNS0_4arch9wavefront6targetE1EEEvSF_, .Lfunc_end411-_ZN7rocprim17ROCPRIM_400000_NS6detail17trampoline_kernelINS0_14default_configENS1_38merge_sort_block_merge_config_selectorIsNS0_10empty_typeEEEZZNS1_27merge_sort_block_merge_implIS3_PsPS5_jNS1_19radix_merge_compareILb0ELb1EsNS0_19identity_decomposerEEEEE10hipError_tT0_T1_T2_jT3_P12ihipStream_tbPNSt15iterator_traitsISE_E10value_typeEPNSK_ISF_E10value_typeEPSG_NS1_7vsmem_tEENKUlT_SE_SF_SG_E_clIS8_S8_S9_S9_EESD_ST_SE_SF_SG_EUlST_E1_NS1_11comp_targetILNS1_3genE8ELNS1_11target_archE1030ELNS1_3gpuE2ELNS1_3repE0EEENS1_36merge_oddeven_config_static_selectorELNS0_4arch9wavefront6targetE1EEEvSF_
                                        ; -- End function
	.section	.AMDGPU.csdata,"",@progbits
; Kernel info:
; codeLenInByte = 0
; NumSgprs: 4
; NumVgprs: 0
; NumAgprs: 0
; TotalNumVgprs: 0
; ScratchSize: 0
; MemoryBound: 0
; FloatMode: 240
; IeeeMode: 1
; LDSByteSize: 0 bytes/workgroup (compile time only)
; SGPRBlocks: 0
; VGPRBlocks: 0
; NumSGPRsForWavesPerEU: 4
; NumVGPRsForWavesPerEU: 1
; AccumOffset: 4
; Occupancy: 8
; WaveLimiterHint : 0
; COMPUTE_PGM_RSRC2:SCRATCH_EN: 0
; COMPUTE_PGM_RSRC2:USER_SGPR: 6
; COMPUTE_PGM_RSRC2:TRAP_HANDLER: 0
; COMPUTE_PGM_RSRC2:TGID_X_EN: 1
; COMPUTE_PGM_RSRC2:TGID_Y_EN: 0
; COMPUTE_PGM_RSRC2:TGID_Z_EN: 0
; COMPUTE_PGM_RSRC2:TIDIG_COMP_CNT: 0
; COMPUTE_PGM_RSRC3_GFX90A:ACCUM_OFFSET: 0
; COMPUTE_PGM_RSRC3_GFX90A:TG_SPLIT: 0
	.section	.text._ZN7rocprim17ROCPRIM_400000_NS6detail17trampoline_kernelINS0_14default_configENS1_35radix_sort_onesweep_config_selectorIsNS0_10empty_typeEEEZNS1_34radix_sort_onesweep_global_offsetsIS3_Lb0EPsPS5_mNS0_19identity_decomposerEEE10hipError_tT1_T2_PT3_SE_jT4_jjP12ihipStream_tbEUlT_E_NS1_11comp_targetILNS1_3genE0ELNS1_11target_archE4294967295ELNS1_3gpuE0ELNS1_3repE0EEENS1_52radix_sort_onesweep_histogram_config_static_selectorELNS0_4arch9wavefront6targetE1EEEvSC_,"axG",@progbits,_ZN7rocprim17ROCPRIM_400000_NS6detail17trampoline_kernelINS0_14default_configENS1_35radix_sort_onesweep_config_selectorIsNS0_10empty_typeEEEZNS1_34radix_sort_onesweep_global_offsetsIS3_Lb0EPsPS5_mNS0_19identity_decomposerEEE10hipError_tT1_T2_PT3_SE_jT4_jjP12ihipStream_tbEUlT_E_NS1_11comp_targetILNS1_3genE0ELNS1_11target_archE4294967295ELNS1_3gpuE0ELNS1_3repE0EEENS1_52radix_sort_onesweep_histogram_config_static_selectorELNS0_4arch9wavefront6targetE1EEEvSC_,comdat
	.protected	_ZN7rocprim17ROCPRIM_400000_NS6detail17trampoline_kernelINS0_14default_configENS1_35radix_sort_onesweep_config_selectorIsNS0_10empty_typeEEEZNS1_34radix_sort_onesweep_global_offsetsIS3_Lb0EPsPS5_mNS0_19identity_decomposerEEE10hipError_tT1_T2_PT3_SE_jT4_jjP12ihipStream_tbEUlT_E_NS1_11comp_targetILNS1_3genE0ELNS1_11target_archE4294967295ELNS1_3gpuE0ELNS1_3repE0EEENS1_52radix_sort_onesweep_histogram_config_static_selectorELNS0_4arch9wavefront6targetE1EEEvSC_ ; -- Begin function _ZN7rocprim17ROCPRIM_400000_NS6detail17trampoline_kernelINS0_14default_configENS1_35radix_sort_onesweep_config_selectorIsNS0_10empty_typeEEEZNS1_34radix_sort_onesweep_global_offsetsIS3_Lb0EPsPS5_mNS0_19identity_decomposerEEE10hipError_tT1_T2_PT3_SE_jT4_jjP12ihipStream_tbEUlT_E_NS1_11comp_targetILNS1_3genE0ELNS1_11target_archE4294967295ELNS1_3gpuE0ELNS1_3repE0EEENS1_52radix_sort_onesweep_histogram_config_static_selectorELNS0_4arch9wavefront6targetE1EEEvSC_
	.globl	_ZN7rocprim17ROCPRIM_400000_NS6detail17trampoline_kernelINS0_14default_configENS1_35radix_sort_onesweep_config_selectorIsNS0_10empty_typeEEEZNS1_34radix_sort_onesweep_global_offsetsIS3_Lb0EPsPS5_mNS0_19identity_decomposerEEE10hipError_tT1_T2_PT3_SE_jT4_jjP12ihipStream_tbEUlT_E_NS1_11comp_targetILNS1_3genE0ELNS1_11target_archE4294967295ELNS1_3gpuE0ELNS1_3repE0EEENS1_52radix_sort_onesweep_histogram_config_static_selectorELNS0_4arch9wavefront6targetE1EEEvSC_
	.p2align	8
	.type	_ZN7rocprim17ROCPRIM_400000_NS6detail17trampoline_kernelINS0_14default_configENS1_35radix_sort_onesweep_config_selectorIsNS0_10empty_typeEEEZNS1_34radix_sort_onesweep_global_offsetsIS3_Lb0EPsPS5_mNS0_19identity_decomposerEEE10hipError_tT1_T2_PT3_SE_jT4_jjP12ihipStream_tbEUlT_E_NS1_11comp_targetILNS1_3genE0ELNS1_11target_archE4294967295ELNS1_3gpuE0ELNS1_3repE0EEENS1_52radix_sort_onesweep_histogram_config_static_selectorELNS0_4arch9wavefront6targetE1EEEvSC_,@function
_ZN7rocprim17ROCPRIM_400000_NS6detail17trampoline_kernelINS0_14default_configENS1_35radix_sort_onesweep_config_selectorIsNS0_10empty_typeEEEZNS1_34radix_sort_onesweep_global_offsetsIS3_Lb0EPsPS5_mNS0_19identity_decomposerEEE10hipError_tT1_T2_PT3_SE_jT4_jjP12ihipStream_tbEUlT_E_NS1_11comp_targetILNS1_3genE0ELNS1_11target_archE4294967295ELNS1_3gpuE0ELNS1_3repE0EEENS1_52radix_sort_onesweep_histogram_config_static_selectorELNS0_4arch9wavefront6targetE1EEEvSC_: ; @_ZN7rocprim17ROCPRIM_400000_NS6detail17trampoline_kernelINS0_14default_configENS1_35radix_sort_onesweep_config_selectorIsNS0_10empty_typeEEEZNS1_34radix_sort_onesweep_global_offsetsIS3_Lb0EPsPS5_mNS0_19identity_decomposerEEE10hipError_tT1_T2_PT3_SE_jT4_jjP12ihipStream_tbEUlT_E_NS1_11comp_targetILNS1_3genE0ELNS1_11target_archE4294967295ELNS1_3gpuE0ELNS1_3repE0EEENS1_52radix_sort_onesweep_histogram_config_static_selectorELNS0_4arch9wavefront6targetE1EEEvSC_
; %bb.0:
	.section	.rodata,"a",@progbits
	.p2align	6, 0x0
	.amdhsa_kernel _ZN7rocprim17ROCPRIM_400000_NS6detail17trampoline_kernelINS0_14default_configENS1_35radix_sort_onesweep_config_selectorIsNS0_10empty_typeEEEZNS1_34radix_sort_onesweep_global_offsetsIS3_Lb0EPsPS5_mNS0_19identity_decomposerEEE10hipError_tT1_T2_PT3_SE_jT4_jjP12ihipStream_tbEUlT_E_NS1_11comp_targetILNS1_3genE0ELNS1_11target_archE4294967295ELNS1_3gpuE0ELNS1_3repE0EEENS1_52radix_sort_onesweep_histogram_config_static_selectorELNS0_4arch9wavefront6targetE1EEEvSC_
		.amdhsa_group_segment_fixed_size 0
		.amdhsa_private_segment_fixed_size 0
		.amdhsa_kernarg_size 48
		.amdhsa_user_sgpr_count 6
		.amdhsa_user_sgpr_private_segment_buffer 1
		.amdhsa_user_sgpr_dispatch_ptr 0
		.amdhsa_user_sgpr_queue_ptr 0
		.amdhsa_user_sgpr_kernarg_segment_ptr 1
		.amdhsa_user_sgpr_dispatch_id 0
		.amdhsa_user_sgpr_flat_scratch_init 0
		.amdhsa_user_sgpr_kernarg_preload_length 0
		.amdhsa_user_sgpr_kernarg_preload_offset 0
		.amdhsa_user_sgpr_private_segment_size 0
		.amdhsa_uses_dynamic_stack 0
		.amdhsa_system_sgpr_private_segment_wavefront_offset 0
		.amdhsa_system_sgpr_workgroup_id_x 1
		.amdhsa_system_sgpr_workgroup_id_y 0
		.amdhsa_system_sgpr_workgroup_id_z 0
		.amdhsa_system_sgpr_workgroup_info 0
		.amdhsa_system_vgpr_workitem_id 0
		.amdhsa_next_free_vgpr 1
		.amdhsa_next_free_sgpr 0
		.amdhsa_accum_offset 4
		.amdhsa_reserve_vcc 0
		.amdhsa_reserve_flat_scratch 0
		.amdhsa_float_round_mode_32 0
		.amdhsa_float_round_mode_16_64 0
		.amdhsa_float_denorm_mode_32 3
		.amdhsa_float_denorm_mode_16_64 3
		.amdhsa_dx10_clamp 1
		.amdhsa_ieee_mode 1
		.amdhsa_fp16_overflow 0
		.amdhsa_tg_split 0
		.amdhsa_exception_fp_ieee_invalid_op 0
		.amdhsa_exception_fp_denorm_src 0
		.amdhsa_exception_fp_ieee_div_zero 0
		.amdhsa_exception_fp_ieee_overflow 0
		.amdhsa_exception_fp_ieee_underflow 0
		.amdhsa_exception_fp_ieee_inexact 0
		.amdhsa_exception_int_div_zero 0
	.end_amdhsa_kernel
	.section	.text._ZN7rocprim17ROCPRIM_400000_NS6detail17trampoline_kernelINS0_14default_configENS1_35radix_sort_onesweep_config_selectorIsNS0_10empty_typeEEEZNS1_34radix_sort_onesweep_global_offsetsIS3_Lb0EPsPS5_mNS0_19identity_decomposerEEE10hipError_tT1_T2_PT3_SE_jT4_jjP12ihipStream_tbEUlT_E_NS1_11comp_targetILNS1_3genE0ELNS1_11target_archE4294967295ELNS1_3gpuE0ELNS1_3repE0EEENS1_52radix_sort_onesweep_histogram_config_static_selectorELNS0_4arch9wavefront6targetE1EEEvSC_,"axG",@progbits,_ZN7rocprim17ROCPRIM_400000_NS6detail17trampoline_kernelINS0_14default_configENS1_35radix_sort_onesweep_config_selectorIsNS0_10empty_typeEEEZNS1_34radix_sort_onesweep_global_offsetsIS3_Lb0EPsPS5_mNS0_19identity_decomposerEEE10hipError_tT1_T2_PT3_SE_jT4_jjP12ihipStream_tbEUlT_E_NS1_11comp_targetILNS1_3genE0ELNS1_11target_archE4294967295ELNS1_3gpuE0ELNS1_3repE0EEENS1_52radix_sort_onesweep_histogram_config_static_selectorELNS0_4arch9wavefront6targetE1EEEvSC_,comdat
.Lfunc_end412:
	.size	_ZN7rocprim17ROCPRIM_400000_NS6detail17trampoline_kernelINS0_14default_configENS1_35radix_sort_onesweep_config_selectorIsNS0_10empty_typeEEEZNS1_34radix_sort_onesweep_global_offsetsIS3_Lb0EPsPS5_mNS0_19identity_decomposerEEE10hipError_tT1_T2_PT3_SE_jT4_jjP12ihipStream_tbEUlT_E_NS1_11comp_targetILNS1_3genE0ELNS1_11target_archE4294967295ELNS1_3gpuE0ELNS1_3repE0EEENS1_52radix_sort_onesweep_histogram_config_static_selectorELNS0_4arch9wavefront6targetE1EEEvSC_, .Lfunc_end412-_ZN7rocprim17ROCPRIM_400000_NS6detail17trampoline_kernelINS0_14default_configENS1_35radix_sort_onesweep_config_selectorIsNS0_10empty_typeEEEZNS1_34radix_sort_onesweep_global_offsetsIS3_Lb0EPsPS5_mNS0_19identity_decomposerEEE10hipError_tT1_T2_PT3_SE_jT4_jjP12ihipStream_tbEUlT_E_NS1_11comp_targetILNS1_3genE0ELNS1_11target_archE4294967295ELNS1_3gpuE0ELNS1_3repE0EEENS1_52radix_sort_onesweep_histogram_config_static_selectorELNS0_4arch9wavefront6targetE1EEEvSC_
                                        ; -- End function
	.section	.AMDGPU.csdata,"",@progbits
; Kernel info:
; codeLenInByte = 0
; NumSgprs: 4
; NumVgprs: 0
; NumAgprs: 0
; TotalNumVgprs: 0
; ScratchSize: 0
; MemoryBound: 0
; FloatMode: 240
; IeeeMode: 1
; LDSByteSize: 0 bytes/workgroup (compile time only)
; SGPRBlocks: 0
; VGPRBlocks: 0
; NumSGPRsForWavesPerEU: 4
; NumVGPRsForWavesPerEU: 1
; AccumOffset: 4
; Occupancy: 8
; WaveLimiterHint : 0
; COMPUTE_PGM_RSRC2:SCRATCH_EN: 0
; COMPUTE_PGM_RSRC2:USER_SGPR: 6
; COMPUTE_PGM_RSRC2:TRAP_HANDLER: 0
; COMPUTE_PGM_RSRC2:TGID_X_EN: 1
; COMPUTE_PGM_RSRC2:TGID_Y_EN: 0
; COMPUTE_PGM_RSRC2:TGID_Z_EN: 0
; COMPUTE_PGM_RSRC2:TIDIG_COMP_CNT: 0
; COMPUTE_PGM_RSRC3_GFX90A:ACCUM_OFFSET: 0
; COMPUTE_PGM_RSRC3_GFX90A:TG_SPLIT: 0
	.section	.text._ZN7rocprim17ROCPRIM_400000_NS6detail17trampoline_kernelINS0_14default_configENS1_35radix_sort_onesweep_config_selectorIsNS0_10empty_typeEEEZNS1_34radix_sort_onesweep_global_offsetsIS3_Lb0EPsPS5_mNS0_19identity_decomposerEEE10hipError_tT1_T2_PT3_SE_jT4_jjP12ihipStream_tbEUlT_E_NS1_11comp_targetILNS1_3genE6ELNS1_11target_archE950ELNS1_3gpuE13ELNS1_3repE0EEENS1_52radix_sort_onesweep_histogram_config_static_selectorELNS0_4arch9wavefront6targetE1EEEvSC_,"axG",@progbits,_ZN7rocprim17ROCPRIM_400000_NS6detail17trampoline_kernelINS0_14default_configENS1_35radix_sort_onesweep_config_selectorIsNS0_10empty_typeEEEZNS1_34radix_sort_onesweep_global_offsetsIS3_Lb0EPsPS5_mNS0_19identity_decomposerEEE10hipError_tT1_T2_PT3_SE_jT4_jjP12ihipStream_tbEUlT_E_NS1_11comp_targetILNS1_3genE6ELNS1_11target_archE950ELNS1_3gpuE13ELNS1_3repE0EEENS1_52radix_sort_onesweep_histogram_config_static_selectorELNS0_4arch9wavefront6targetE1EEEvSC_,comdat
	.protected	_ZN7rocprim17ROCPRIM_400000_NS6detail17trampoline_kernelINS0_14default_configENS1_35radix_sort_onesweep_config_selectorIsNS0_10empty_typeEEEZNS1_34radix_sort_onesweep_global_offsetsIS3_Lb0EPsPS5_mNS0_19identity_decomposerEEE10hipError_tT1_T2_PT3_SE_jT4_jjP12ihipStream_tbEUlT_E_NS1_11comp_targetILNS1_3genE6ELNS1_11target_archE950ELNS1_3gpuE13ELNS1_3repE0EEENS1_52radix_sort_onesweep_histogram_config_static_selectorELNS0_4arch9wavefront6targetE1EEEvSC_ ; -- Begin function _ZN7rocprim17ROCPRIM_400000_NS6detail17trampoline_kernelINS0_14default_configENS1_35radix_sort_onesweep_config_selectorIsNS0_10empty_typeEEEZNS1_34radix_sort_onesweep_global_offsetsIS3_Lb0EPsPS5_mNS0_19identity_decomposerEEE10hipError_tT1_T2_PT3_SE_jT4_jjP12ihipStream_tbEUlT_E_NS1_11comp_targetILNS1_3genE6ELNS1_11target_archE950ELNS1_3gpuE13ELNS1_3repE0EEENS1_52radix_sort_onesweep_histogram_config_static_selectorELNS0_4arch9wavefront6targetE1EEEvSC_
	.globl	_ZN7rocprim17ROCPRIM_400000_NS6detail17trampoline_kernelINS0_14default_configENS1_35radix_sort_onesweep_config_selectorIsNS0_10empty_typeEEEZNS1_34radix_sort_onesweep_global_offsetsIS3_Lb0EPsPS5_mNS0_19identity_decomposerEEE10hipError_tT1_T2_PT3_SE_jT4_jjP12ihipStream_tbEUlT_E_NS1_11comp_targetILNS1_3genE6ELNS1_11target_archE950ELNS1_3gpuE13ELNS1_3repE0EEENS1_52radix_sort_onesweep_histogram_config_static_selectorELNS0_4arch9wavefront6targetE1EEEvSC_
	.p2align	8
	.type	_ZN7rocprim17ROCPRIM_400000_NS6detail17trampoline_kernelINS0_14default_configENS1_35radix_sort_onesweep_config_selectorIsNS0_10empty_typeEEEZNS1_34radix_sort_onesweep_global_offsetsIS3_Lb0EPsPS5_mNS0_19identity_decomposerEEE10hipError_tT1_T2_PT3_SE_jT4_jjP12ihipStream_tbEUlT_E_NS1_11comp_targetILNS1_3genE6ELNS1_11target_archE950ELNS1_3gpuE13ELNS1_3repE0EEENS1_52radix_sort_onesweep_histogram_config_static_selectorELNS0_4arch9wavefront6targetE1EEEvSC_,@function
_ZN7rocprim17ROCPRIM_400000_NS6detail17trampoline_kernelINS0_14default_configENS1_35radix_sort_onesweep_config_selectorIsNS0_10empty_typeEEEZNS1_34radix_sort_onesweep_global_offsetsIS3_Lb0EPsPS5_mNS0_19identity_decomposerEEE10hipError_tT1_T2_PT3_SE_jT4_jjP12ihipStream_tbEUlT_E_NS1_11comp_targetILNS1_3genE6ELNS1_11target_archE950ELNS1_3gpuE13ELNS1_3repE0EEENS1_52radix_sort_onesweep_histogram_config_static_selectorELNS0_4arch9wavefront6targetE1EEEvSC_: ; @_ZN7rocprim17ROCPRIM_400000_NS6detail17trampoline_kernelINS0_14default_configENS1_35radix_sort_onesweep_config_selectorIsNS0_10empty_typeEEEZNS1_34radix_sort_onesweep_global_offsetsIS3_Lb0EPsPS5_mNS0_19identity_decomposerEEE10hipError_tT1_T2_PT3_SE_jT4_jjP12ihipStream_tbEUlT_E_NS1_11comp_targetILNS1_3genE6ELNS1_11target_archE950ELNS1_3gpuE13ELNS1_3repE0EEENS1_52radix_sort_onesweep_histogram_config_static_selectorELNS0_4arch9wavefront6targetE1EEEvSC_
; %bb.0:
	.section	.rodata,"a",@progbits
	.p2align	6, 0x0
	.amdhsa_kernel _ZN7rocprim17ROCPRIM_400000_NS6detail17trampoline_kernelINS0_14default_configENS1_35radix_sort_onesweep_config_selectorIsNS0_10empty_typeEEEZNS1_34radix_sort_onesweep_global_offsetsIS3_Lb0EPsPS5_mNS0_19identity_decomposerEEE10hipError_tT1_T2_PT3_SE_jT4_jjP12ihipStream_tbEUlT_E_NS1_11comp_targetILNS1_3genE6ELNS1_11target_archE950ELNS1_3gpuE13ELNS1_3repE0EEENS1_52radix_sort_onesweep_histogram_config_static_selectorELNS0_4arch9wavefront6targetE1EEEvSC_
		.amdhsa_group_segment_fixed_size 0
		.amdhsa_private_segment_fixed_size 0
		.amdhsa_kernarg_size 48
		.amdhsa_user_sgpr_count 6
		.amdhsa_user_sgpr_private_segment_buffer 1
		.amdhsa_user_sgpr_dispatch_ptr 0
		.amdhsa_user_sgpr_queue_ptr 0
		.amdhsa_user_sgpr_kernarg_segment_ptr 1
		.amdhsa_user_sgpr_dispatch_id 0
		.amdhsa_user_sgpr_flat_scratch_init 0
		.amdhsa_user_sgpr_kernarg_preload_length 0
		.amdhsa_user_sgpr_kernarg_preload_offset 0
		.amdhsa_user_sgpr_private_segment_size 0
		.amdhsa_uses_dynamic_stack 0
		.amdhsa_system_sgpr_private_segment_wavefront_offset 0
		.amdhsa_system_sgpr_workgroup_id_x 1
		.amdhsa_system_sgpr_workgroup_id_y 0
		.amdhsa_system_sgpr_workgroup_id_z 0
		.amdhsa_system_sgpr_workgroup_info 0
		.amdhsa_system_vgpr_workitem_id 0
		.amdhsa_next_free_vgpr 1
		.amdhsa_next_free_sgpr 0
		.amdhsa_accum_offset 4
		.amdhsa_reserve_vcc 0
		.amdhsa_reserve_flat_scratch 0
		.amdhsa_float_round_mode_32 0
		.amdhsa_float_round_mode_16_64 0
		.amdhsa_float_denorm_mode_32 3
		.amdhsa_float_denorm_mode_16_64 3
		.amdhsa_dx10_clamp 1
		.amdhsa_ieee_mode 1
		.amdhsa_fp16_overflow 0
		.amdhsa_tg_split 0
		.amdhsa_exception_fp_ieee_invalid_op 0
		.amdhsa_exception_fp_denorm_src 0
		.amdhsa_exception_fp_ieee_div_zero 0
		.amdhsa_exception_fp_ieee_overflow 0
		.amdhsa_exception_fp_ieee_underflow 0
		.amdhsa_exception_fp_ieee_inexact 0
		.amdhsa_exception_int_div_zero 0
	.end_amdhsa_kernel
	.section	.text._ZN7rocprim17ROCPRIM_400000_NS6detail17trampoline_kernelINS0_14default_configENS1_35radix_sort_onesweep_config_selectorIsNS0_10empty_typeEEEZNS1_34radix_sort_onesweep_global_offsetsIS3_Lb0EPsPS5_mNS0_19identity_decomposerEEE10hipError_tT1_T2_PT3_SE_jT4_jjP12ihipStream_tbEUlT_E_NS1_11comp_targetILNS1_3genE6ELNS1_11target_archE950ELNS1_3gpuE13ELNS1_3repE0EEENS1_52radix_sort_onesweep_histogram_config_static_selectorELNS0_4arch9wavefront6targetE1EEEvSC_,"axG",@progbits,_ZN7rocprim17ROCPRIM_400000_NS6detail17trampoline_kernelINS0_14default_configENS1_35radix_sort_onesweep_config_selectorIsNS0_10empty_typeEEEZNS1_34radix_sort_onesweep_global_offsetsIS3_Lb0EPsPS5_mNS0_19identity_decomposerEEE10hipError_tT1_T2_PT3_SE_jT4_jjP12ihipStream_tbEUlT_E_NS1_11comp_targetILNS1_3genE6ELNS1_11target_archE950ELNS1_3gpuE13ELNS1_3repE0EEENS1_52radix_sort_onesweep_histogram_config_static_selectorELNS0_4arch9wavefront6targetE1EEEvSC_,comdat
.Lfunc_end413:
	.size	_ZN7rocprim17ROCPRIM_400000_NS6detail17trampoline_kernelINS0_14default_configENS1_35radix_sort_onesweep_config_selectorIsNS0_10empty_typeEEEZNS1_34radix_sort_onesweep_global_offsetsIS3_Lb0EPsPS5_mNS0_19identity_decomposerEEE10hipError_tT1_T2_PT3_SE_jT4_jjP12ihipStream_tbEUlT_E_NS1_11comp_targetILNS1_3genE6ELNS1_11target_archE950ELNS1_3gpuE13ELNS1_3repE0EEENS1_52radix_sort_onesweep_histogram_config_static_selectorELNS0_4arch9wavefront6targetE1EEEvSC_, .Lfunc_end413-_ZN7rocprim17ROCPRIM_400000_NS6detail17trampoline_kernelINS0_14default_configENS1_35radix_sort_onesweep_config_selectorIsNS0_10empty_typeEEEZNS1_34radix_sort_onesweep_global_offsetsIS3_Lb0EPsPS5_mNS0_19identity_decomposerEEE10hipError_tT1_T2_PT3_SE_jT4_jjP12ihipStream_tbEUlT_E_NS1_11comp_targetILNS1_3genE6ELNS1_11target_archE950ELNS1_3gpuE13ELNS1_3repE0EEENS1_52radix_sort_onesweep_histogram_config_static_selectorELNS0_4arch9wavefront6targetE1EEEvSC_
                                        ; -- End function
	.section	.AMDGPU.csdata,"",@progbits
; Kernel info:
; codeLenInByte = 0
; NumSgprs: 4
; NumVgprs: 0
; NumAgprs: 0
; TotalNumVgprs: 0
; ScratchSize: 0
; MemoryBound: 0
; FloatMode: 240
; IeeeMode: 1
; LDSByteSize: 0 bytes/workgroup (compile time only)
; SGPRBlocks: 0
; VGPRBlocks: 0
; NumSGPRsForWavesPerEU: 4
; NumVGPRsForWavesPerEU: 1
; AccumOffset: 4
; Occupancy: 8
; WaveLimiterHint : 0
; COMPUTE_PGM_RSRC2:SCRATCH_EN: 0
; COMPUTE_PGM_RSRC2:USER_SGPR: 6
; COMPUTE_PGM_RSRC2:TRAP_HANDLER: 0
; COMPUTE_PGM_RSRC2:TGID_X_EN: 1
; COMPUTE_PGM_RSRC2:TGID_Y_EN: 0
; COMPUTE_PGM_RSRC2:TGID_Z_EN: 0
; COMPUTE_PGM_RSRC2:TIDIG_COMP_CNT: 0
; COMPUTE_PGM_RSRC3_GFX90A:ACCUM_OFFSET: 0
; COMPUTE_PGM_RSRC3_GFX90A:TG_SPLIT: 0
	.section	.text._ZN7rocprim17ROCPRIM_400000_NS6detail17trampoline_kernelINS0_14default_configENS1_35radix_sort_onesweep_config_selectorIsNS0_10empty_typeEEEZNS1_34radix_sort_onesweep_global_offsetsIS3_Lb0EPsPS5_mNS0_19identity_decomposerEEE10hipError_tT1_T2_PT3_SE_jT4_jjP12ihipStream_tbEUlT_E_NS1_11comp_targetILNS1_3genE5ELNS1_11target_archE942ELNS1_3gpuE9ELNS1_3repE0EEENS1_52radix_sort_onesweep_histogram_config_static_selectorELNS0_4arch9wavefront6targetE1EEEvSC_,"axG",@progbits,_ZN7rocprim17ROCPRIM_400000_NS6detail17trampoline_kernelINS0_14default_configENS1_35radix_sort_onesweep_config_selectorIsNS0_10empty_typeEEEZNS1_34radix_sort_onesweep_global_offsetsIS3_Lb0EPsPS5_mNS0_19identity_decomposerEEE10hipError_tT1_T2_PT3_SE_jT4_jjP12ihipStream_tbEUlT_E_NS1_11comp_targetILNS1_3genE5ELNS1_11target_archE942ELNS1_3gpuE9ELNS1_3repE0EEENS1_52radix_sort_onesweep_histogram_config_static_selectorELNS0_4arch9wavefront6targetE1EEEvSC_,comdat
	.protected	_ZN7rocprim17ROCPRIM_400000_NS6detail17trampoline_kernelINS0_14default_configENS1_35radix_sort_onesweep_config_selectorIsNS0_10empty_typeEEEZNS1_34radix_sort_onesweep_global_offsetsIS3_Lb0EPsPS5_mNS0_19identity_decomposerEEE10hipError_tT1_T2_PT3_SE_jT4_jjP12ihipStream_tbEUlT_E_NS1_11comp_targetILNS1_3genE5ELNS1_11target_archE942ELNS1_3gpuE9ELNS1_3repE0EEENS1_52radix_sort_onesweep_histogram_config_static_selectorELNS0_4arch9wavefront6targetE1EEEvSC_ ; -- Begin function _ZN7rocprim17ROCPRIM_400000_NS6detail17trampoline_kernelINS0_14default_configENS1_35radix_sort_onesweep_config_selectorIsNS0_10empty_typeEEEZNS1_34radix_sort_onesweep_global_offsetsIS3_Lb0EPsPS5_mNS0_19identity_decomposerEEE10hipError_tT1_T2_PT3_SE_jT4_jjP12ihipStream_tbEUlT_E_NS1_11comp_targetILNS1_3genE5ELNS1_11target_archE942ELNS1_3gpuE9ELNS1_3repE0EEENS1_52radix_sort_onesweep_histogram_config_static_selectorELNS0_4arch9wavefront6targetE1EEEvSC_
	.globl	_ZN7rocprim17ROCPRIM_400000_NS6detail17trampoline_kernelINS0_14default_configENS1_35radix_sort_onesweep_config_selectorIsNS0_10empty_typeEEEZNS1_34radix_sort_onesweep_global_offsetsIS3_Lb0EPsPS5_mNS0_19identity_decomposerEEE10hipError_tT1_T2_PT3_SE_jT4_jjP12ihipStream_tbEUlT_E_NS1_11comp_targetILNS1_3genE5ELNS1_11target_archE942ELNS1_3gpuE9ELNS1_3repE0EEENS1_52radix_sort_onesweep_histogram_config_static_selectorELNS0_4arch9wavefront6targetE1EEEvSC_
	.p2align	8
	.type	_ZN7rocprim17ROCPRIM_400000_NS6detail17trampoline_kernelINS0_14default_configENS1_35radix_sort_onesweep_config_selectorIsNS0_10empty_typeEEEZNS1_34radix_sort_onesweep_global_offsetsIS3_Lb0EPsPS5_mNS0_19identity_decomposerEEE10hipError_tT1_T2_PT3_SE_jT4_jjP12ihipStream_tbEUlT_E_NS1_11comp_targetILNS1_3genE5ELNS1_11target_archE942ELNS1_3gpuE9ELNS1_3repE0EEENS1_52radix_sort_onesweep_histogram_config_static_selectorELNS0_4arch9wavefront6targetE1EEEvSC_,@function
_ZN7rocprim17ROCPRIM_400000_NS6detail17trampoline_kernelINS0_14default_configENS1_35radix_sort_onesweep_config_selectorIsNS0_10empty_typeEEEZNS1_34radix_sort_onesweep_global_offsetsIS3_Lb0EPsPS5_mNS0_19identity_decomposerEEE10hipError_tT1_T2_PT3_SE_jT4_jjP12ihipStream_tbEUlT_E_NS1_11comp_targetILNS1_3genE5ELNS1_11target_archE942ELNS1_3gpuE9ELNS1_3repE0EEENS1_52radix_sort_onesweep_histogram_config_static_selectorELNS0_4arch9wavefront6targetE1EEEvSC_: ; @_ZN7rocprim17ROCPRIM_400000_NS6detail17trampoline_kernelINS0_14default_configENS1_35radix_sort_onesweep_config_selectorIsNS0_10empty_typeEEEZNS1_34radix_sort_onesweep_global_offsetsIS3_Lb0EPsPS5_mNS0_19identity_decomposerEEE10hipError_tT1_T2_PT3_SE_jT4_jjP12ihipStream_tbEUlT_E_NS1_11comp_targetILNS1_3genE5ELNS1_11target_archE942ELNS1_3gpuE9ELNS1_3repE0EEENS1_52radix_sort_onesweep_histogram_config_static_selectorELNS0_4arch9wavefront6targetE1EEEvSC_
; %bb.0:
	.section	.rodata,"a",@progbits
	.p2align	6, 0x0
	.amdhsa_kernel _ZN7rocprim17ROCPRIM_400000_NS6detail17trampoline_kernelINS0_14default_configENS1_35radix_sort_onesweep_config_selectorIsNS0_10empty_typeEEEZNS1_34radix_sort_onesweep_global_offsetsIS3_Lb0EPsPS5_mNS0_19identity_decomposerEEE10hipError_tT1_T2_PT3_SE_jT4_jjP12ihipStream_tbEUlT_E_NS1_11comp_targetILNS1_3genE5ELNS1_11target_archE942ELNS1_3gpuE9ELNS1_3repE0EEENS1_52radix_sort_onesweep_histogram_config_static_selectorELNS0_4arch9wavefront6targetE1EEEvSC_
		.amdhsa_group_segment_fixed_size 0
		.amdhsa_private_segment_fixed_size 0
		.amdhsa_kernarg_size 48
		.amdhsa_user_sgpr_count 6
		.amdhsa_user_sgpr_private_segment_buffer 1
		.amdhsa_user_sgpr_dispatch_ptr 0
		.amdhsa_user_sgpr_queue_ptr 0
		.amdhsa_user_sgpr_kernarg_segment_ptr 1
		.amdhsa_user_sgpr_dispatch_id 0
		.amdhsa_user_sgpr_flat_scratch_init 0
		.amdhsa_user_sgpr_kernarg_preload_length 0
		.amdhsa_user_sgpr_kernarg_preload_offset 0
		.amdhsa_user_sgpr_private_segment_size 0
		.amdhsa_uses_dynamic_stack 0
		.amdhsa_system_sgpr_private_segment_wavefront_offset 0
		.amdhsa_system_sgpr_workgroup_id_x 1
		.amdhsa_system_sgpr_workgroup_id_y 0
		.amdhsa_system_sgpr_workgroup_id_z 0
		.amdhsa_system_sgpr_workgroup_info 0
		.amdhsa_system_vgpr_workitem_id 0
		.amdhsa_next_free_vgpr 1
		.amdhsa_next_free_sgpr 0
		.amdhsa_accum_offset 4
		.amdhsa_reserve_vcc 0
		.amdhsa_reserve_flat_scratch 0
		.amdhsa_float_round_mode_32 0
		.amdhsa_float_round_mode_16_64 0
		.amdhsa_float_denorm_mode_32 3
		.amdhsa_float_denorm_mode_16_64 3
		.amdhsa_dx10_clamp 1
		.amdhsa_ieee_mode 1
		.amdhsa_fp16_overflow 0
		.amdhsa_tg_split 0
		.amdhsa_exception_fp_ieee_invalid_op 0
		.amdhsa_exception_fp_denorm_src 0
		.amdhsa_exception_fp_ieee_div_zero 0
		.amdhsa_exception_fp_ieee_overflow 0
		.amdhsa_exception_fp_ieee_underflow 0
		.amdhsa_exception_fp_ieee_inexact 0
		.amdhsa_exception_int_div_zero 0
	.end_amdhsa_kernel
	.section	.text._ZN7rocprim17ROCPRIM_400000_NS6detail17trampoline_kernelINS0_14default_configENS1_35radix_sort_onesweep_config_selectorIsNS0_10empty_typeEEEZNS1_34radix_sort_onesweep_global_offsetsIS3_Lb0EPsPS5_mNS0_19identity_decomposerEEE10hipError_tT1_T2_PT3_SE_jT4_jjP12ihipStream_tbEUlT_E_NS1_11comp_targetILNS1_3genE5ELNS1_11target_archE942ELNS1_3gpuE9ELNS1_3repE0EEENS1_52radix_sort_onesweep_histogram_config_static_selectorELNS0_4arch9wavefront6targetE1EEEvSC_,"axG",@progbits,_ZN7rocprim17ROCPRIM_400000_NS6detail17trampoline_kernelINS0_14default_configENS1_35radix_sort_onesweep_config_selectorIsNS0_10empty_typeEEEZNS1_34radix_sort_onesweep_global_offsetsIS3_Lb0EPsPS5_mNS0_19identity_decomposerEEE10hipError_tT1_T2_PT3_SE_jT4_jjP12ihipStream_tbEUlT_E_NS1_11comp_targetILNS1_3genE5ELNS1_11target_archE942ELNS1_3gpuE9ELNS1_3repE0EEENS1_52radix_sort_onesweep_histogram_config_static_selectorELNS0_4arch9wavefront6targetE1EEEvSC_,comdat
.Lfunc_end414:
	.size	_ZN7rocprim17ROCPRIM_400000_NS6detail17trampoline_kernelINS0_14default_configENS1_35radix_sort_onesweep_config_selectorIsNS0_10empty_typeEEEZNS1_34radix_sort_onesweep_global_offsetsIS3_Lb0EPsPS5_mNS0_19identity_decomposerEEE10hipError_tT1_T2_PT3_SE_jT4_jjP12ihipStream_tbEUlT_E_NS1_11comp_targetILNS1_3genE5ELNS1_11target_archE942ELNS1_3gpuE9ELNS1_3repE0EEENS1_52radix_sort_onesweep_histogram_config_static_selectorELNS0_4arch9wavefront6targetE1EEEvSC_, .Lfunc_end414-_ZN7rocprim17ROCPRIM_400000_NS6detail17trampoline_kernelINS0_14default_configENS1_35radix_sort_onesweep_config_selectorIsNS0_10empty_typeEEEZNS1_34radix_sort_onesweep_global_offsetsIS3_Lb0EPsPS5_mNS0_19identity_decomposerEEE10hipError_tT1_T2_PT3_SE_jT4_jjP12ihipStream_tbEUlT_E_NS1_11comp_targetILNS1_3genE5ELNS1_11target_archE942ELNS1_3gpuE9ELNS1_3repE0EEENS1_52radix_sort_onesweep_histogram_config_static_selectorELNS0_4arch9wavefront6targetE1EEEvSC_
                                        ; -- End function
	.section	.AMDGPU.csdata,"",@progbits
; Kernel info:
; codeLenInByte = 0
; NumSgprs: 4
; NumVgprs: 0
; NumAgprs: 0
; TotalNumVgprs: 0
; ScratchSize: 0
; MemoryBound: 0
; FloatMode: 240
; IeeeMode: 1
; LDSByteSize: 0 bytes/workgroup (compile time only)
; SGPRBlocks: 0
; VGPRBlocks: 0
; NumSGPRsForWavesPerEU: 4
; NumVGPRsForWavesPerEU: 1
; AccumOffset: 4
; Occupancy: 8
; WaveLimiterHint : 0
; COMPUTE_PGM_RSRC2:SCRATCH_EN: 0
; COMPUTE_PGM_RSRC2:USER_SGPR: 6
; COMPUTE_PGM_RSRC2:TRAP_HANDLER: 0
; COMPUTE_PGM_RSRC2:TGID_X_EN: 1
; COMPUTE_PGM_RSRC2:TGID_Y_EN: 0
; COMPUTE_PGM_RSRC2:TGID_Z_EN: 0
; COMPUTE_PGM_RSRC2:TIDIG_COMP_CNT: 0
; COMPUTE_PGM_RSRC3_GFX90A:ACCUM_OFFSET: 0
; COMPUTE_PGM_RSRC3_GFX90A:TG_SPLIT: 0
	.section	.text._ZN7rocprim17ROCPRIM_400000_NS6detail17trampoline_kernelINS0_14default_configENS1_35radix_sort_onesweep_config_selectorIsNS0_10empty_typeEEEZNS1_34radix_sort_onesweep_global_offsetsIS3_Lb0EPsPS5_mNS0_19identity_decomposerEEE10hipError_tT1_T2_PT3_SE_jT4_jjP12ihipStream_tbEUlT_E_NS1_11comp_targetILNS1_3genE2ELNS1_11target_archE906ELNS1_3gpuE6ELNS1_3repE0EEENS1_52radix_sort_onesweep_histogram_config_static_selectorELNS0_4arch9wavefront6targetE1EEEvSC_,"axG",@progbits,_ZN7rocprim17ROCPRIM_400000_NS6detail17trampoline_kernelINS0_14default_configENS1_35radix_sort_onesweep_config_selectorIsNS0_10empty_typeEEEZNS1_34radix_sort_onesweep_global_offsetsIS3_Lb0EPsPS5_mNS0_19identity_decomposerEEE10hipError_tT1_T2_PT3_SE_jT4_jjP12ihipStream_tbEUlT_E_NS1_11comp_targetILNS1_3genE2ELNS1_11target_archE906ELNS1_3gpuE6ELNS1_3repE0EEENS1_52radix_sort_onesweep_histogram_config_static_selectorELNS0_4arch9wavefront6targetE1EEEvSC_,comdat
	.protected	_ZN7rocprim17ROCPRIM_400000_NS6detail17trampoline_kernelINS0_14default_configENS1_35radix_sort_onesweep_config_selectorIsNS0_10empty_typeEEEZNS1_34radix_sort_onesweep_global_offsetsIS3_Lb0EPsPS5_mNS0_19identity_decomposerEEE10hipError_tT1_T2_PT3_SE_jT4_jjP12ihipStream_tbEUlT_E_NS1_11comp_targetILNS1_3genE2ELNS1_11target_archE906ELNS1_3gpuE6ELNS1_3repE0EEENS1_52radix_sort_onesweep_histogram_config_static_selectorELNS0_4arch9wavefront6targetE1EEEvSC_ ; -- Begin function _ZN7rocprim17ROCPRIM_400000_NS6detail17trampoline_kernelINS0_14default_configENS1_35radix_sort_onesweep_config_selectorIsNS0_10empty_typeEEEZNS1_34radix_sort_onesweep_global_offsetsIS3_Lb0EPsPS5_mNS0_19identity_decomposerEEE10hipError_tT1_T2_PT3_SE_jT4_jjP12ihipStream_tbEUlT_E_NS1_11comp_targetILNS1_3genE2ELNS1_11target_archE906ELNS1_3gpuE6ELNS1_3repE0EEENS1_52radix_sort_onesweep_histogram_config_static_selectorELNS0_4arch9wavefront6targetE1EEEvSC_
	.globl	_ZN7rocprim17ROCPRIM_400000_NS6detail17trampoline_kernelINS0_14default_configENS1_35radix_sort_onesweep_config_selectorIsNS0_10empty_typeEEEZNS1_34radix_sort_onesweep_global_offsetsIS3_Lb0EPsPS5_mNS0_19identity_decomposerEEE10hipError_tT1_T2_PT3_SE_jT4_jjP12ihipStream_tbEUlT_E_NS1_11comp_targetILNS1_3genE2ELNS1_11target_archE906ELNS1_3gpuE6ELNS1_3repE0EEENS1_52radix_sort_onesweep_histogram_config_static_selectorELNS0_4arch9wavefront6targetE1EEEvSC_
	.p2align	8
	.type	_ZN7rocprim17ROCPRIM_400000_NS6detail17trampoline_kernelINS0_14default_configENS1_35radix_sort_onesweep_config_selectorIsNS0_10empty_typeEEEZNS1_34radix_sort_onesweep_global_offsetsIS3_Lb0EPsPS5_mNS0_19identity_decomposerEEE10hipError_tT1_T2_PT3_SE_jT4_jjP12ihipStream_tbEUlT_E_NS1_11comp_targetILNS1_3genE2ELNS1_11target_archE906ELNS1_3gpuE6ELNS1_3repE0EEENS1_52radix_sort_onesweep_histogram_config_static_selectorELNS0_4arch9wavefront6targetE1EEEvSC_,@function
_ZN7rocprim17ROCPRIM_400000_NS6detail17trampoline_kernelINS0_14default_configENS1_35radix_sort_onesweep_config_selectorIsNS0_10empty_typeEEEZNS1_34radix_sort_onesweep_global_offsetsIS3_Lb0EPsPS5_mNS0_19identity_decomposerEEE10hipError_tT1_T2_PT3_SE_jT4_jjP12ihipStream_tbEUlT_E_NS1_11comp_targetILNS1_3genE2ELNS1_11target_archE906ELNS1_3gpuE6ELNS1_3repE0EEENS1_52radix_sort_onesweep_histogram_config_static_selectorELNS0_4arch9wavefront6targetE1EEEvSC_: ; @_ZN7rocprim17ROCPRIM_400000_NS6detail17trampoline_kernelINS0_14default_configENS1_35radix_sort_onesweep_config_selectorIsNS0_10empty_typeEEEZNS1_34radix_sort_onesweep_global_offsetsIS3_Lb0EPsPS5_mNS0_19identity_decomposerEEE10hipError_tT1_T2_PT3_SE_jT4_jjP12ihipStream_tbEUlT_E_NS1_11comp_targetILNS1_3genE2ELNS1_11target_archE906ELNS1_3gpuE6ELNS1_3repE0EEENS1_52radix_sort_onesweep_histogram_config_static_selectorELNS0_4arch9wavefront6targetE1EEEvSC_
; %bb.0:
	.section	.rodata,"a",@progbits
	.p2align	6, 0x0
	.amdhsa_kernel _ZN7rocprim17ROCPRIM_400000_NS6detail17trampoline_kernelINS0_14default_configENS1_35radix_sort_onesweep_config_selectorIsNS0_10empty_typeEEEZNS1_34radix_sort_onesweep_global_offsetsIS3_Lb0EPsPS5_mNS0_19identity_decomposerEEE10hipError_tT1_T2_PT3_SE_jT4_jjP12ihipStream_tbEUlT_E_NS1_11comp_targetILNS1_3genE2ELNS1_11target_archE906ELNS1_3gpuE6ELNS1_3repE0EEENS1_52radix_sort_onesweep_histogram_config_static_selectorELNS0_4arch9wavefront6targetE1EEEvSC_
		.amdhsa_group_segment_fixed_size 0
		.amdhsa_private_segment_fixed_size 0
		.amdhsa_kernarg_size 48
		.amdhsa_user_sgpr_count 6
		.amdhsa_user_sgpr_private_segment_buffer 1
		.amdhsa_user_sgpr_dispatch_ptr 0
		.amdhsa_user_sgpr_queue_ptr 0
		.amdhsa_user_sgpr_kernarg_segment_ptr 1
		.amdhsa_user_sgpr_dispatch_id 0
		.amdhsa_user_sgpr_flat_scratch_init 0
		.amdhsa_user_sgpr_kernarg_preload_length 0
		.amdhsa_user_sgpr_kernarg_preload_offset 0
		.amdhsa_user_sgpr_private_segment_size 0
		.amdhsa_uses_dynamic_stack 0
		.amdhsa_system_sgpr_private_segment_wavefront_offset 0
		.amdhsa_system_sgpr_workgroup_id_x 1
		.amdhsa_system_sgpr_workgroup_id_y 0
		.amdhsa_system_sgpr_workgroup_id_z 0
		.amdhsa_system_sgpr_workgroup_info 0
		.amdhsa_system_vgpr_workitem_id 0
		.amdhsa_next_free_vgpr 1
		.amdhsa_next_free_sgpr 0
		.amdhsa_accum_offset 4
		.amdhsa_reserve_vcc 0
		.amdhsa_reserve_flat_scratch 0
		.amdhsa_float_round_mode_32 0
		.amdhsa_float_round_mode_16_64 0
		.amdhsa_float_denorm_mode_32 3
		.amdhsa_float_denorm_mode_16_64 3
		.amdhsa_dx10_clamp 1
		.amdhsa_ieee_mode 1
		.amdhsa_fp16_overflow 0
		.amdhsa_tg_split 0
		.amdhsa_exception_fp_ieee_invalid_op 0
		.amdhsa_exception_fp_denorm_src 0
		.amdhsa_exception_fp_ieee_div_zero 0
		.amdhsa_exception_fp_ieee_overflow 0
		.amdhsa_exception_fp_ieee_underflow 0
		.amdhsa_exception_fp_ieee_inexact 0
		.amdhsa_exception_int_div_zero 0
	.end_amdhsa_kernel
	.section	.text._ZN7rocprim17ROCPRIM_400000_NS6detail17trampoline_kernelINS0_14default_configENS1_35radix_sort_onesweep_config_selectorIsNS0_10empty_typeEEEZNS1_34radix_sort_onesweep_global_offsetsIS3_Lb0EPsPS5_mNS0_19identity_decomposerEEE10hipError_tT1_T2_PT3_SE_jT4_jjP12ihipStream_tbEUlT_E_NS1_11comp_targetILNS1_3genE2ELNS1_11target_archE906ELNS1_3gpuE6ELNS1_3repE0EEENS1_52radix_sort_onesweep_histogram_config_static_selectorELNS0_4arch9wavefront6targetE1EEEvSC_,"axG",@progbits,_ZN7rocprim17ROCPRIM_400000_NS6detail17trampoline_kernelINS0_14default_configENS1_35radix_sort_onesweep_config_selectorIsNS0_10empty_typeEEEZNS1_34radix_sort_onesweep_global_offsetsIS3_Lb0EPsPS5_mNS0_19identity_decomposerEEE10hipError_tT1_T2_PT3_SE_jT4_jjP12ihipStream_tbEUlT_E_NS1_11comp_targetILNS1_3genE2ELNS1_11target_archE906ELNS1_3gpuE6ELNS1_3repE0EEENS1_52radix_sort_onesweep_histogram_config_static_selectorELNS0_4arch9wavefront6targetE1EEEvSC_,comdat
.Lfunc_end415:
	.size	_ZN7rocprim17ROCPRIM_400000_NS6detail17trampoline_kernelINS0_14default_configENS1_35radix_sort_onesweep_config_selectorIsNS0_10empty_typeEEEZNS1_34radix_sort_onesweep_global_offsetsIS3_Lb0EPsPS5_mNS0_19identity_decomposerEEE10hipError_tT1_T2_PT3_SE_jT4_jjP12ihipStream_tbEUlT_E_NS1_11comp_targetILNS1_3genE2ELNS1_11target_archE906ELNS1_3gpuE6ELNS1_3repE0EEENS1_52radix_sort_onesweep_histogram_config_static_selectorELNS0_4arch9wavefront6targetE1EEEvSC_, .Lfunc_end415-_ZN7rocprim17ROCPRIM_400000_NS6detail17trampoline_kernelINS0_14default_configENS1_35radix_sort_onesweep_config_selectorIsNS0_10empty_typeEEEZNS1_34radix_sort_onesweep_global_offsetsIS3_Lb0EPsPS5_mNS0_19identity_decomposerEEE10hipError_tT1_T2_PT3_SE_jT4_jjP12ihipStream_tbEUlT_E_NS1_11comp_targetILNS1_3genE2ELNS1_11target_archE906ELNS1_3gpuE6ELNS1_3repE0EEENS1_52radix_sort_onesweep_histogram_config_static_selectorELNS0_4arch9wavefront6targetE1EEEvSC_
                                        ; -- End function
	.section	.AMDGPU.csdata,"",@progbits
; Kernel info:
; codeLenInByte = 0
; NumSgprs: 4
; NumVgprs: 0
; NumAgprs: 0
; TotalNumVgprs: 0
; ScratchSize: 0
; MemoryBound: 0
; FloatMode: 240
; IeeeMode: 1
; LDSByteSize: 0 bytes/workgroup (compile time only)
; SGPRBlocks: 0
; VGPRBlocks: 0
; NumSGPRsForWavesPerEU: 4
; NumVGPRsForWavesPerEU: 1
; AccumOffset: 4
; Occupancy: 8
; WaveLimiterHint : 0
; COMPUTE_PGM_RSRC2:SCRATCH_EN: 0
; COMPUTE_PGM_RSRC2:USER_SGPR: 6
; COMPUTE_PGM_RSRC2:TRAP_HANDLER: 0
; COMPUTE_PGM_RSRC2:TGID_X_EN: 1
; COMPUTE_PGM_RSRC2:TGID_Y_EN: 0
; COMPUTE_PGM_RSRC2:TGID_Z_EN: 0
; COMPUTE_PGM_RSRC2:TIDIG_COMP_CNT: 0
; COMPUTE_PGM_RSRC3_GFX90A:ACCUM_OFFSET: 0
; COMPUTE_PGM_RSRC3_GFX90A:TG_SPLIT: 0
	.section	.text._ZN7rocprim17ROCPRIM_400000_NS6detail17trampoline_kernelINS0_14default_configENS1_35radix_sort_onesweep_config_selectorIsNS0_10empty_typeEEEZNS1_34radix_sort_onesweep_global_offsetsIS3_Lb0EPsPS5_mNS0_19identity_decomposerEEE10hipError_tT1_T2_PT3_SE_jT4_jjP12ihipStream_tbEUlT_E_NS1_11comp_targetILNS1_3genE4ELNS1_11target_archE910ELNS1_3gpuE8ELNS1_3repE0EEENS1_52radix_sort_onesweep_histogram_config_static_selectorELNS0_4arch9wavefront6targetE1EEEvSC_,"axG",@progbits,_ZN7rocprim17ROCPRIM_400000_NS6detail17trampoline_kernelINS0_14default_configENS1_35radix_sort_onesweep_config_selectorIsNS0_10empty_typeEEEZNS1_34radix_sort_onesweep_global_offsetsIS3_Lb0EPsPS5_mNS0_19identity_decomposerEEE10hipError_tT1_T2_PT3_SE_jT4_jjP12ihipStream_tbEUlT_E_NS1_11comp_targetILNS1_3genE4ELNS1_11target_archE910ELNS1_3gpuE8ELNS1_3repE0EEENS1_52radix_sort_onesweep_histogram_config_static_selectorELNS0_4arch9wavefront6targetE1EEEvSC_,comdat
	.protected	_ZN7rocprim17ROCPRIM_400000_NS6detail17trampoline_kernelINS0_14default_configENS1_35radix_sort_onesweep_config_selectorIsNS0_10empty_typeEEEZNS1_34radix_sort_onesweep_global_offsetsIS3_Lb0EPsPS5_mNS0_19identity_decomposerEEE10hipError_tT1_T2_PT3_SE_jT4_jjP12ihipStream_tbEUlT_E_NS1_11comp_targetILNS1_3genE4ELNS1_11target_archE910ELNS1_3gpuE8ELNS1_3repE0EEENS1_52radix_sort_onesweep_histogram_config_static_selectorELNS0_4arch9wavefront6targetE1EEEvSC_ ; -- Begin function _ZN7rocprim17ROCPRIM_400000_NS6detail17trampoline_kernelINS0_14default_configENS1_35radix_sort_onesweep_config_selectorIsNS0_10empty_typeEEEZNS1_34radix_sort_onesweep_global_offsetsIS3_Lb0EPsPS5_mNS0_19identity_decomposerEEE10hipError_tT1_T2_PT3_SE_jT4_jjP12ihipStream_tbEUlT_E_NS1_11comp_targetILNS1_3genE4ELNS1_11target_archE910ELNS1_3gpuE8ELNS1_3repE0EEENS1_52radix_sort_onesweep_histogram_config_static_selectorELNS0_4arch9wavefront6targetE1EEEvSC_
	.globl	_ZN7rocprim17ROCPRIM_400000_NS6detail17trampoline_kernelINS0_14default_configENS1_35radix_sort_onesweep_config_selectorIsNS0_10empty_typeEEEZNS1_34radix_sort_onesweep_global_offsetsIS3_Lb0EPsPS5_mNS0_19identity_decomposerEEE10hipError_tT1_T2_PT3_SE_jT4_jjP12ihipStream_tbEUlT_E_NS1_11comp_targetILNS1_3genE4ELNS1_11target_archE910ELNS1_3gpuE8ELNS1_3repE0EEENS1_52radix_sort_onesweep_histogram_config_static_selectorELNS0_4arch9wavefront6targetE1EEEvSC_
	.p2align	8
	.type	_ZN7rocprim17ROCPRIM_400000_NS6detail17trampoline_kernelINS0_14default_configENS1_35radix_sort_onesweep_config_selectorIsNS0_10empty_typeEEEZNS1_34radix_sort_onesweep_global_offsetsIS3_Lb0EPsPS5_mNS0_19identity_decomposerEEE10hipError_tT1_T2_PT3_SE_jT4_jjP12ihipStream_tbEUlT_E_NS1_11comp_targetILNS1_3genE4ELNS1_11target_archE910ELNS1_3gpuE8ELNS1_3repE0EEENS1_52radix_sort_onesweep_histogram_config_static_selectorELNS0_4arch9wavefront6targetE1EEEvSC_,@function
_ZN7rocprim17ROCPRIM_400000_NS6detail17trampoline_kernelINS0_14default_configENS1_35radix_sort_onesweep_config_selectorIsNS0_10empty_typeEEEZNS1_34radix_sort_onesweep_global_offsetsIS3_Lb0EPsPS5_mNS0_19identity_decomposerEEE10hipError_tT1_T2_PT3_SE_jT4_jjP12ihipStream_tbEUlT_E_NS1_11comp_targetILNS1_3genE4ELNS1_11target_archE910ELNS1_3gpuE8ELNS1_3repE0EEENS1_52radix_sort_onesweep_histogram_config_static_selectorELNS0_4arch9wavefront6targetE1EEEvSC_: ; @_ZN7rocprim17ROCPRIM_400000_NS6detail17trampoline_kernelINS0_14default_configENS1_35radix_sort_onesweep_config_selectorIsNS0_10empty_typeEEEZNS1_34radix_sort_onesweep_global_offsetsIS3_Lb0EPsPS5_mNS0_19identity_decomposerEEE10hipError_tT1_T2_PT3_SE_jT4_jjP12ihipStream_tbEUlT_E_NS1_11comp_targetILNS1_3genE4ELNS1_11target_archE910ELNS1_3gpuE8ELNS1_3repE0EEENS1_52radix_sort_onesweep_histogram_config_static_selectorELNS0_4arch9wavefront6targetE1EEEvSC_
; %bb.0:
	s_load_dwordx2 s[10:11], s[4:5], 0x18
	s_load_dwordx4 s[0:3], s[4:5], 0x0
	s_load_dwordx2 s[8:9], s[4:5], 0x24
	v_mov_b32_e32 v2, s6
	v_mov_b32_e32 v3, 0
	s_mul_hi_u32 s7, s6, 0x6000
	s_mulk_i32 s6, 0x6000
	s_waitcnt lgkmcnt(0)
	v_cmp_le_u64_e32 vcc, s[10:11], v[2:3]
	s_add_u32 s6, s0, s6
	s_addc_u32 s7, s1, s7
	s_mov_b64 s[0:1], -1
	s_cbranch_vccz .LBB416_115
; %bb.1:
	s_load_dword s14, s[4:5], 0x10
	s_mul_i32 s0, s10, 0xffffd000
                                        ; implicit-def: $vgpr2_vgpr3_vgpr4_vgpr5_vgpr6_vgpr7_vgpr8_vgpr9
	s_waitcnt lgkmcnt(0)
	s_add_i32 s14, s14, s0
	v_cmp_gt_u32_e32 vcc, s14, v0
	s_and_saveexec_b64 s[0:1], vcc
	s_cbranch_execz .LBB416_3
; %bb.2:
	v_lshlrev_b32_e32 v1, 1, v0
	global_load_ushort v2, v1, s[6:7]
.LBB416_3:
	s_or_b64 exec, exec, s[0:1]
	v_or_b32_e32 v18, 0x400, v0
	v_cmp_gt_u32_e32 vcc, s14, v18
	s_and_saveexec_b64 s[0:1], vcc
	s_cbranch_execz .LBB416_5
; %bb.4:
	v_lshlrev_b32_e32 v1, 1, v0
	global_load_ushort v1, v1, s[6:7] offset:2048
	s_mov_b32 s4, 0x5040100
	s_waitcnt vmcnt(0)
	v_perm_b32 v2, v1, v2, s4
.LBB416_5:
	s_or_b64 exec, exec, s[0:1]
	v_or_b32_e32 v17, 0x800, v0
	v_cmp_gt_u32_e32 vcc, s14, v17
	s_and_saveexec_b64 s[0:1], vcc
	s_cbranch_execz .LBB416_7
; %bb.6:
	v_lshlrev_b32_e32 v1, 1, v17
	global_load_ushort v1, v1, s[6:7]
	s_mov_b32 s4, 0xffff
	s_waitcnt vmcnt(0)
	v_bfi_b32 v3, s4, v1, v3
.LBB416_7:
	s_or_b64 exec, exec, s[0:1]
	v_or_b32_e32 v16, 0xc00, v0
	v_cmp_gt_u32_e32 vcc, s14, v16
	s_and_saveexec_b64 s[0:1], vcc
	s_cbranch_execz .LBB416_9
; %bb.8:
	v_lshlrev_b32_e32 v1, 1, v16
	global_load_ushort v1, v1, s[6:7]
	s_mov_b32 s4, 0x5040100
	s_waitcnt vmcnt(0)
	v_perm_b32 v3, v1, v3, s4
.LBB416_9:
	s_or_b64 exec, exec, s[0:1]
	v_or_b32_e32 v15, 0x1000, v0
	v_cmp_gt_u32_e32 vcc, s14, v15
	s_and_saveexec_b64 s[0:1], vcc
	s_cbranch_execz .LBB416_11
; %bb.10:
	v_lshlrev_b32_e32 v1, 1, v15
	global_load_ushort v1, v1, s[6:7]
	s_mov_b32 s4, 0xffff
	s_waitcnt vmcnt(0)
	v_bfi_b32 v4, s4, v1, v4
.LBB416_11:
	s_or_b64 exec, exec, s[0:1]
	v_or_b32_e32 v14, 0x1400, v0
	v_cmp_gt_u32_e32 vcc, s14, v14
	s_and_saveexec_b64 s[0:1], vcc
	s_cbranch_execz .LBB416_13
; %bb.12:
	v_lshlrev_b32_e32 v1, 1, v14
	global_load_ushort v1, v1, s[6:7]
	s_mov_b32 s4, 0x5040100
	s_waitcnt vmcnt(0)
	v_perm_b32 v4, v1, v4, s4
.LBB416_13:
	;; [unrolled: 24-line block ×5, first 2 shown]
	s_or_b64 exec, exec, s[0:1]
	s_cmp_le_u32 s9, s8
	s_cselect_b64 s[4:5], -1, 0
	v_cmp_le_u32_e32 vcc, s14, v0
	s_and_b64 s[0:1], s[4:5], exec
	v_lshlrev_b32_e32 v19, 2, v0
	v_mov_b32_e32 v20, 0
	s_cselect_b32 s15, 8, 10
	s_or_b64 s[0:1], s[4:5], vcc
	v_and_b32_e32 v1, 3, v0
	ds_write2st64_b32 v19, v20, v20 offset1:16
	s_waitcnt vmcnt(0)
	v_xor_b32_e32 v19, 0xffff8000, v2
	s_xor_b64 s[10:11], s[0:1], -1
	v_mov_b32_e32 v20, s15
	s_waitcnt lgkmcnt(0)
	s_barrier
	s_and_saveexec_b64 s[0:1], s[10:11]
	s_cbranch_execz .LBB416_27
; %bb.26:
	s_sub_i32 s10, s9, s8
	s_min_u32 s10, s10, 8
	v_lshrrev_b32_sdwa v20, s8, v19 dst_sel:DWORD dst_unused:UNUSED_PAD src0_sel:DWORD src1_sel:WORD_0
	v_bfe_u32 v20, v20, 0, s10
	v_lshlrev_b32_e32 v21, 2, v1
	v_lshl_or_b32 v20, v20, 4, v21
	v_mov_b32_e32 v21, 1
	ds_add_u32 v20, v21
	v_mov_b32_e32 v20, 0
.LBB416_27:
	s_or_b64 exec, exec, s[0:1]
	v_cmp_gt_i32_e64 s[0:1], 10, v20
	s_mov_b64 s[10:11], -1
	s_and_saveexec_b64 s[12:13], s[0:1]
; %bb.28:
	v_cmp_eq_u32_e64 s[0:1], 0, v20
	s_orn2_b64 s[10:11], s[0:1], exec
; %bb.29:
	s_or_b64 exec, exec, s[12:13]
	s_and_saveexec_b64 s[0:1], s[10:11]
	s_cbranch_execz .LBB416_32
; %bb.30:
	s_add_i32 s10, s8, 8
	s_cmp_gt_u32 s9, s10
	s_cselect_b64 s[12:13], -1, 0
	s_xor_b64 s[16:17], vcc, -1
	s_and_b64 s[12:13], s[12:13], s[16:17]
	s_and_b64 exec, exec, s[12:13]
	s_cbranch_execz .LBB416_32
; %bb.31:
	s_sub_i32 s11, s9, s10
	s_min_u32 s11, s11, 8
	v_lshrrev_b32_sdwa v19, s10, v19 dst_sel:DWORD dst_unused:UNUSED_PAD src0_sel:DWORD src1_sel:WORD_0
	v_bfe_u32 v19, v19, 0, s11
	v_lshlrev_b32_e32 v20, 2, v1
	v_lshl_or_b32 v19, v19, 4, v20
	v_mov_b32_e32 v20, 1
	ds_add_u32 v19, v20 offset:4096
.LBB416_32:
	s_or_b64 exec, exec, s[0:1]
	s_movk_i32 s0, 0x8000
	v_cmp_le_u32_e32 vcc, s14, v18
	v_xor_b32_sdwa v2, v2, s0 dst_sel:DWORD dst_unused:UNUSED_PAD src0_sel:WORD_1 src1_sel:DWORD
	s_or_b64 s[0:1], s[4:5], vcc
	s_xor_b64 s[10:11], s[0:1], -1
	v_mov_b32_e32 v18, s15
	s_and_saveexec_b64 s[0:1], s[10:11]
	s_cbranch_execz .LBB416_34
; %bb.33:
	s_sub_i32 s10, s9, s8
	s_min_u32 s10, s10, 8
	v_lshrrev_b32_sdwa v18, s8, v2 dst_sel:DWORD dst_unused:UNUSED_PAD src0_sel:DWORD src1_sel:WORD_0
	v_bfe_u32 v18, v18, 0, s10
	v_lshlrev_b32_e32 v19, 2, v1
	v_lshl_or_b32 v18, v18, 4, v19
	v_mov_b32_e32 v19, 1
	ds_add_u32 v18, v19
	v_mov_b32_e32 v18, 0
.LBB416_34:
	s_or_b64 exec, exec, s[0:1]
	v_cmp_gt_i32_e64 s[0:1], 10, v18
	s_mov_b64 s[10:11], -1
	s_and_saveexec_b64 s[12:13], s[0:1]
; %bb.35:
	v_cmp_eq_u32_e64 s[0:1], 0, v18
	s_orn2_b64 s[10:11], s[0:1], exec
; %bb.36:
	s_or_b64 exec, exec, s[12:13]
	s_and_saveexec_b64 s[0:1], s[10:11]
	s_cbranch_execz .LBB416_39
; %bb.37:
	s_add_i32 s10, s8, 8
	s_cmp_gt_u32 s9, s10
	s_cselect_b64 s[12:13], -1, 0
	s_xor_b64 s[16:17], vcc, -1
	s_and_b64 s[12:13], s[12:13], s[16:17]
	s_and_b64 exec, exec, s[12:13]
	s_cbranch_execz .LBB416_39
; %bb.38:
	s_sub_i32 s11, s9, s10
	s_min_u32 s11, s11, 8
	v_lshrrev_b32_sdwa v2, s10, v2 dst_sel:DWORD dst_unused:UNUSED_PAD src0_sel:DWORD src1_sel:WORD_0
	v_bfe_u32 v2, v2, 0, s11
	v_lshlrev_b32_e32 v18, 2, v1
	v_lshl_or_b32 v2, v2, 4, v18
	v_mov_b32_e32 v18, 1
	ds_add_u32 v2, v18 offset:4096
.LBB416_39:
	s_or_b64 exec, exec, s[0:1]
	v_cmp_le_u32_e32 vcc, s14, v17
	s_or_b64 s[0:1], s[4:5], vcc
	v_xor_b32_e32 v2, 0xffff8000, v3
	s_xor_b64 s[10:11], s[0:1], -1
	v_mov_b32_e32 v17, s15
	s_and_saveexec_b64 s[0:1], s[10:11]
	s_cbranch_execz .LBB416_41
; %bb.40:
	s_sub_i32 s10, s9, s8
	s_min_u32 s10, s10, 8
	v_lshrrev_b32_sdwa v17, s8, v2 dst_sel:DWORD dst_unused:UNUSED_PAD src0_sel:DWORD src1_sel:WORD_0
	v_bfe_u32 v17, v17, 0, s10
	v_lshlrev_b32_e32 v18, 2, v1
	v_lshl_or_b32 v17, v17, 4, v18
	v_mov_b32_e32 v18, 1
	ds_add_u32 v17, v18
	v_mov_b32_e32 v17, 0
.LBB416_41:
	s_or_b64 exec, exec, s[0:1]
	v_cmp_gt_i32_e64 s[0:1], 10, v17
	s_mov_b64 s[10:11], -1
	s_and_saveexec_b64 s[12:13], s[0:1]
; %bb.42:
	v_cmp_eq_u32_e64 s[0:1], 0, v17
	s_orn2_b64 s[10:11], s[0:1], exec
; %bb.43:
	s_or_b64 exec, exec, s[12:13]
	s_and_saveexec_b64 s[0:1], s[10:11]
	s_cbranch_execz .LBB416_46
; %bb.44:
	s_add_i32 s10, s8, 8
	s_cmp_gt_u32 s9, s10
	s_cselect_b64 s[12:13], -1, 0
	s_xor_b64 s[16:17], vcc, -1
	s_and_b64 s[12:13], s[12:13], s[16:17]
	s_and_b64 exec, exec, s[12:13]
	s_cbranch_execz .LBB416_46
; %bb.45:
	s_sub_i32 s11, s9, s10
	s_min_u32 s11, s11, 8
	v_lshrrev_b32_sdwa v2, s10, v2 dst_sel:DWORD dst_unused:UNUSED_PAD src0_sel:DWORD src1_sel:WORD_0
	v_bfe_u32 v2, v2, 0, s11
	v_lshlrev_b32_e32 v17, 2, v1
	v_lshl_or_b32 v2, v2, 4, v17
	v_mov_b32_e32 v17, 1
	ds_add_u32 v2, v17 offset:4096
.LBB416_46:
	s_or_b64 exec, exec, s[0:1]
	s_movk_i32 s0, 0x8000
	v_cmp_le_u32_e32 vcc, s14, v16
	v_xor_b32_sdwa v2, v3, s0 dst_sel:DWORD dst_unused:UNUSED_PAD src0_sel:WORD_1 src1_sel:DWORD
	s_or_b64 s[0:1], s[4:5], vcc
	s_xor_b64 s[10:11], s[0:1], -1
	v_mov_b32_e32 v3, s15
	s_and_saveexec_b64 s[0:1], s[10:11]
	s_cbranch_execz .LBB416_48
; %bb.47:
	s_sub_i32 s10, s9, s8
	s_min_u32 s10, s10, 8
	v_lshrrev_b32_sdwa v3, s8, v2 dst_sel:DWORD dst_unused:UNUSED_PAD src0_sel:DWORD src1_sel:WORD_0
	v_bfe_u32 v3, v3, 0, s10
	v_lshlrev_b32_e32 v16, 2, v1
	v_lshl_or_b32 v3, v3, 4, v16
	v_mov_b32_e32 v16, 1
	ds_add_u32 v3, v16
	v_mov_b32_e32 v3, 0
.LBB416_48:
	s_or_b64 exec, exec, s[0:1]
	v_cmp_gt_i32_e64 s[0:1], 10, v3
	s_mov_b64 s[10:11], -1
	s_and_saveexec_b64 s[12:13], s[0:1]
; %bb.49:
	v_cmp_eq_u32_e64 s[0:1], 0, v3
	s_orn2_b64 s[10:11], s[0:1], exec
; %bb.50:
	s_or_b64 exec, exec, s[12:13]
	s_and_saveexec_b64 s[0:1], s[10:11]
	s_cbranch_execz .LBB416_53
; %bb.51:
	s_add_i32 s10, s8, 8
	s_cmp_gt_u32 s9, s10
	s_cselect_b64 s[12:13], -1, 0
	s_xor_b64 s[16:17], vcc, -1
	s_and_b64 s[12:13], s[12:13], s[16:17]
	s_and_b64 exec, exec, s[12:13]
	s_cbranch_execz .LBB416_53
; %bb.52:
	s_sub_i32 s11, s9, s10
	s_min_u32 s11, s11, 8
	v_lshrrev_b32_sdwa v2, s10, v2 dst_sel:DWORD dst_unused:UNUSED_PAD src0_sel:DWORD src1_sel:WORD_0
	v_bfe_u32 v2, v2, 0, s11
	v_lshlrev_b32_e32 v3, 2, v1
	v_lshl_or_b32 v2, v2, 4, v3
	v_mov_b32_e32 v3, 1
	ds_add_u32 v2, v3 offset:4096
.LBB416_53:
	s_or_b64 exec, exec, s[0:1]
	v_cmp_le_u32_e32 vcc, s14, v15
	s_or_b64 s[0:1], s[4:5], vcc
	v_xor_b32_e32 v2, 0xffff8000, v4
	s_xor_b64 s[10:11], s[0:1], -1
	v_mov_b32_e32 v3, s15
	s_and_saveexec_b64 s[0:1], s[10:11]
	s_cbranch_execz .LBB416_55
; %bb.54:
	s_sub_i32 s10, s9, s8
	s_min_u32 s10, s10, 8
	v_lshrrev_b32_sdwa v3, s8, v2 dst_sel:DWORD dst_unused:UNUSED_PAD src0_sel:DWORD src1_sel:WORD_0
	v_bfe_u32 v3, v3, 0, s10
	v_lshlrev_b32_e32 v15, 2, v1
	v_lshl_or_b32 v3, v3, 4, v15
	v_mov_b32_e32 v15, 1
	ds_add_u32 v3, v15
	v_mov_b32_e32 v3, 0
.LBB416_55:
	s_or_b64 exec, exec, s[0:1]
	v_cmp_gt_i32_e64 s[0:1], 10, v3
	s_mov_b64 s[10:11], -1
	s_and_saveexec_b64 s[12:13], s[0:1]
; %bb.56:
	v_cmp_eq_u32_e64 s[0:1], 0, v3
	s_orn2_b64 s[10:11], s[0:1], exec
; %bb.57:
	s_or_b64 exec, exec, s[12:13]
	s_and_saveexec_b64 s[0:1], s[10:11]
	s_cbranch_execz .LBB416_60
; %bb.58:
	s_add_i32 s10, s8, 8
	s_cmp_gt_u32 s9, s10
	s_cselect_b64 s[12:13], -1, 0
	s_xor_b64 s[16:17], vcc, -1
	s_and_b64 s[12:13], s[12:13], s[16:17]
	s_and_b64 exec, exec, s[12:13]
	s_cbranch_execz .LBB416_60
; %bb.59:
	s_sub_i32 s11, s9, s10
	s_min_u32 s11, s11, 8
	v_lshrrev_b32_sdwa v2, s10, v2 dst_sel:DWORD dst_unused:UNUSED_PAD src0_sel:DWORD src1_sel:WORD_0
	v_bfe_u32 v2, v2, 0, s11
	v_lshlrev_b32_e32 v3, 2, v1
	v_lshl_or_b32 v2, v2, 4, v3
	v_mov_b32_e32 v3, 1
	ds_add_u32 v2, v3 offset:4096
.LBB416_60:
	s_or_b64 exec, exec, s[0:1]
	s_movk_i32 s0, 0x8000
	v_cmp_le_u32_e32 vcc, s14, v14
	v_xor_b32_sdwa v2, v4, s0 dst_sel:DWORD dst_unused:UNUSED_PAD src0_sel:WORD_1 src1_sel:DWORD
	s_or_b64 s[0:1], s[4:5], vcc
	s_xor_b64 s[10:11], s[0:1], -1
	v_mov_b32_e32 v3, s15
	s_and_saveexec_b64 s[0:1], s[10:11]
	s_cbranch_execz .LBB416_62
; %bb.61:
	s_sub_i32 s10, s9, s8
	s_min_u32 s10, s10, 8
	v_lshrrev_b32_sdwa v3, s8, v2 dst_sel:DWORD dst_unused:UNUSED_PAD src0_sel:DWORD src1_sel:WORD_0
	v_bfe_u32 v3, v3, 0, s10
	v_lshlrev_b32_e32 v4, 2, v1
	v_lshl_or_b32 v3, v3, 4, v4
	v_mov_b32_e32 v4, 1
	ds_add_u32 v3, v4
	v_mov_b32_e32 v3, 0
.LBB416_62:
	s_or_b64 exec, exec, s[0:1]
	v_cmp_gt_i32_e64 s[0:1], 10, v3
	s_mov_b64 s[10:11], -1
	s_and_saveexec_b64 s[12:13], s[0:1]
; %bb.63:
	v_cmp_eq_u32_e64 s[0:1], 0, v3
	s_orn2_b64 s[10:11], s[0:1], exec
; %bb.64:
	s_or_b64 exec, exec, s[12:13]
	s_and_saveexec_b64 s[0:1], s[10:11]
	s_cbranch_execz .LBB416_67
; %bb.65:
	s_add_i32 s10, s8, 8
	s_cmp_gt_u32 s9, s10
	s_cselect_b64 s[12:13], -1, 0
	s_xor_b64 s[16:17], vcc, -1
	s_and_b64 s[12:13], s[12:13], s[16:17]
	s_and_b64 exec, exec, s[12:13]
	s_cbranch_execz .LBB416_67
; %bb.66:
	s_sub_i32 s11, s9, s10
	s_min_u32 s11, s11, 8
	v_lshrrev_b32_sdwa v2, s10, v2 dst_sel:DWORD dst_unused:UNUSED_PAD src0_sel:DWORD src1_sel:WORD_0
	v_bfe_u32 v2, v2, 0, s11
	v_lshlrev_b32_e32 v3, 2, v1
	v_lshl_or_b32 v2, v2, 4, v3
	v_mov_b32_e32 v3, 1
	ds_add_u32 v2, v3 offset:4096
.LBB416_67:
	s_or_b64 exec, exec, s[0:1]
	v_cmp_le_u32_e32 vcc, s14, v13
	s_or_b64 s[0:1], s[4:5], vcc
	v_xor_b32_e32 v2, 0xffff8000, v5
	s_xor_b64 s[10:11], s[0:1], -1
	v_mov_b32_e32 v3, s15
	s_and_saveexec_b64 s[0:1], s[10:11]
	s_cbranch_execz .LBB416_69
; %bb.68:
	s_sub_i32 s10, s9, s8
	s_min_u32 s10, s10, 8
	v_lshrrev_b32_sdwa v3, s8, v2 dst_sel:DWORD dst_unused:UNUSED_PAD src0_sel:DWORD src1_sel:WORD_0
	v_bfe_u32 v3, v3, 0, s10
	v_lshlrev_b32_e32 v4, 2, v1
	v_lshl_or_b32 v3, v3, 4, v4
	v_mov_b32_e32 v4, 1
	ds_add_u32 v3, v4
	v_mov_b32_e32 v3, 0
.LBB416_69:
	s_or_b64 exec, exec, s[0:1]
	v_cmp_gt_i32_e64 s[0:1], 10, v3
	s_mov_b64 s[10:11], -1
	s_and_saveexec_b64 s[12:13], s[0:1]
; %bb.70:
	v_cmp_eq_u32_e64 s[0:1], 0, v3
	s_orn2_b64 s[10:11], s[0:1], exec
; %bb.71:
	s_or_b64 exec, exec, s[12:13]
	s_and_saveexec_b64 s[0:1], s[10:11]
	s_cbranch_execz .LBB416_74
; %bb.72:
	s_add_i32 s10, s8, 8
	s_cmp_gt_u32 s9, s10
	s_cselect_b64 s[12:13], -1, 0
	s_xor_b64 s[16:17], vcc, -1
	s_and_b64 s[12:13], s[12:13], s[16:17]
	s_and_b64 exec, exec, s[12:13]
	s_cbranch_execz .LBB416_74
; %bb.73:
	s_sub_i32 s11, s9, s10
	s_min_u32 s11, s11, 8
	v_lshrrev_b32_sdwa v2, s10, v2 dst_sel:DWORD dst_unused:UNUSED_PAD src0_sel:DWORD src1_sel:WORD_0
	v_bfe_u32 v2, v2, 0, s11
	v_lshlrev_b32_e32 v3, 2, v1
	v_lshl_or_b32 v2, v2, 4, v3
	v_mov_b32_e32 v3, 1
	ds_add_u32 v2, v3 offset:4096
.LBB416_74:
	s_or_b64 exec, exec, s[0:1]
	s_movk_i32 s0, 0x8000
	v_cmp_le_u32_e32 vcc, s14, v12
	v_xor_b32_sdwa v2, v5, s0 dst_sel:DWORD dst_unused:UNUSED_PAD src0_sel:WORD_1 src1_sel:DWORD
	s_or_b64 s[0:1], s[4:5], vcc
	s_xor_b64 s[10:11], s[0:1], -1
	v_mov_b32_e32 v3, s15
	s_and_saveexec_b64 s[0:1], s[10:11]
	s_cbranch_execz .LBB416_76
; %bb.75:
	s_sub_i32 s10, s9, s8
	s_min_u32 s10, s10, 8
	v_lshrrev_b32_sdwa v3, s8, v2 dst_sel:DWORD dst_unused:UNUSED_PAD src0_sel:DWORD src1_sel:WORD_0
	v_bfe_u32 v3, v3, 0, s10
	v_lshlrev_b32_e32 v4, 2, v1
	v_lshl_or_b32 v3, v3, 4, v4
	v_mov_b32_e32 v4, 1
	ds_add_u32 v3, v4
	v_mov_b32_e32 v3, 0
.LBB416_76:
	s_or_b64 exec, exec, s[0:1]
	v_cmp_gt_i32_e64 s[0:1], 10, v3
	s_mov_b64 s[10:11], -1
	s_and_saveexec_b64 s[12:13], s[0:1]
; %bb.77:
	v_cmp_eq_u32_e64 s[0:1], 0, v3
	s_orn2_b64 s[10:11], s[0:1], exec
; %bb.78:
	s_or_b64 exec, exec, s[12:13]
	s_and_saveexec_b64 s[0:1], s[10:11]
	s_cbranch_execz .LBB416_81
; %bb.79:
	s_add_i32 s10, s8, 8
	s_cmp_gt_u32 s9, s10
	s_cselect_b64 s[12:13], -1, 0
	s_xor_b64 s[16:17], vcc, -1
	s_and_b64 s[12:13], s[12:13], s[16:17]
	s_and_b64 exec, exec, s[12:13]
	s_cbranch_execz .LBB416_81
; %bb.80:
	s_sub_i32 s11, s9, s10
	s_min_u32 s11, s11, 8
	v_lshrrev_b32_sdwa v2, s10, v2 dst_sel:DWORD dst_unused:UNUSED_PAD src0_sel:DWORD src1_sel:WORD_0
	v_bfe_u32 v2, v2, 0, s11
	v_lshlrev_b32_e32 v3, 2, v1
	v_lshl_or_b32 v2, v2, 4, v3
	v_mov_b32_e32 v3, 1
	ds_add_u32 v2, v3 offset:4096
.LBB416_81:
	s_or_b64 exec, exec, s[0:1]
	v_cmp_le_u32_e32 vcc, s14, v11
	s_or_b64 s[0:1], s[4:5], vcc
	v_xor_b32_e32 v2, 0xffff8000, v6
	s_xor_b64 s[10:11], s[0:1], -1
	v_mov_b32_e32 v3, s15
	s_and_saveexec_b64 s[0:1], s[10:11]
	s_cbranch_execz .LBB416_83
; %bb.82:
	s_sub_i32 s10, s9, s8
	s_min_u32 s10, s10, 8
	v_lshrrev_b32_sdwa v3, s8, v2 dst_sel:DWORD dst_unused:UNUSED_PAD src0_sel:DWORD src1_sel:WORD_0
	v_bfe_u32 v3, v3, 0, s10
	v_lshlrev_b32_e32 v4, 2, v1
	v_lshl_or_b32 v3, v3, 4, v4
	v_mov_b32_e32 v4, 1
	ds_add_u32 v3, v4
	v_mov_b32_e32 v3, 0
.LBB416_83:
	s_or_b64 exec, exec, s[0:1]
	v_cmp_gt_i32_e64 s[0:1], 10, v3
	s_mov_b64 s[10:11], -1
	s_and_saveexec_b64 s[12:13], s[0:1]
; %bb.84:
	v_cmp_eq_u32_e64 s[0:1], 0, v3
	s_orn2_b64 s[10:11], s[0:1], exec
; %bb.85:
	s_or_b64 exec, exec, s[12:13]
	s_and_saveexec_b64 s[0:1], s[10:11]
	s_cbranch_execz .LBB416_88
; %bb.86:
	s_add_i32 s10, s8, 8
	s_cmp_gt_u32 s9, s10
	s_cselect_b64 s[12:13], -1, 0
	s_xor_b64 s[16:17], vcc, -1
	s_and_b64 s[12:13], s[12:13], s[16:17]
	s_and_b64 exec, exec, s[12:13]
	s_cbranch_execz .LBB416_88
; %bb.87:
	s_sub_i32 s11, s9, s10
	s_min_u32 s11, s11, 8
	v_lshrrev_b32_sdwa v2, s10, v2 dst_sel:DWORD dst_unused:UNUSED_PAD src0_sel:DWORD src1_sel:WORD_0
	v_bfe_u32 v2, v2, 0, s11
	v_lshlrev_b32_e32 v3, 2, v1
	v_lshl_or_b32 v2, v2, 4, v3
	v_mov_b32_e32 v3, 1
	ds_add_u32 v2, v3 offset:4096
.LBB416_88:
	s_or_b64 exec, exec, s[0:1]
	s_movk_i32 s0, 0x8000
	v_cmp_le_u32_e32 vcc, s14, v10
	v_xor_b32_sdwa v2, v6, s0 dst_sel:DWORD dst_unused:UNUSED_PAD src0_sel:WORD_1 src1_sel:DWORD
	s_or_b64 s[0:1], s[4:5], vcc
	s_xor_b64 s[10:11], s[0:1], -1
	v_mov_b32_e32 v3, s15
	s_and_saveexec_b64 s[0:1], s[10:11]
	s_cbranch_execz .LBB416_90
; %bb.89:
	s_sub_i32 s10, s9, s8
	s_min_u32 s10, s10, 8
	v_lshrrev_b32_sdwa v3, s8, v2 dst_sel:DWORD dst_unused:UNUSED_PAD src0_sel:DWORD src1_sel:WORD_0
	v_bfe_u32 v3, v3, 0, s10
	v_lshlrev_b32_e32 v4, 2, v1
	v_lshl_or_b32 v3, v3, 4, v4
	v_mov_b32_e32 v4, 1
	ds_add_u32 v3, v4
	v_mov_b32_e32 v3, 0
.LBB416_90:
	s_or_b64 exec, exec, s[0:1]
	v_cmp_gt_i32_e64 s[0:1], 10, v3
	s_mov_b64 s[10:11], -1
	s_and_saveexec_b64 s[12:13], s[0:1]
; %bb.91:
	v_cmp_eq_u32_e64 s[0:1], 0, v3
	s_orn2_b64 s[10:11], s[0:1], exec
; %bb.92:
	s_or_b64 exec, exec, s[12:13]
	s_and_saveexec_b64 s[0:1], s[10:11]
	s_cbranch_execz .LBB416_95
; %bb.93:
	s_add_i32 s10, s8, 8
	s_cmp_gt_u32 s9, s10
	s_cselect_b64 s[12:13], -1, 0
	s_xor_b64 s[16:17], vcc, -1
	s_and_b64 s[12:13], s[12:13], s[16:17]
	s_and_b64 exec, exec, s[12:13]
	s_cbranch_execz .LBB416_95
; %bb.94:
	s_sub_i32 s11, s9, s10
	s_min_u32 s11, s11, 8
	v_lshrrev_b32_sdwa v2, s10, v2 dst_sel:DWORD dst_unused:UNUSED_PAD src0_sel:DWORD src1_sel:WORD_0
	v_bfe_u32 v2, v2, 0, s11
	v_lshlrev_b32_e32 v3, 2, v1
	v_lshl_or_b32 v2, v2, 4, v3
	v_mov_b32_e32 v3, 1
	ds_add_u32 v2, v3 offset:4096
.LBB416_95:
	s_or_b64 exec, exec, s[0:1]
	v_cmp_le_u32_e32 vcc, s14, v9
	s_or_b64 s[0:1], s[4:5], vcc
	v_xor_b32_e32 v2, 0xffff8000, v7
	s_xor_b64 s[10:11], s[0:1], -1
	v_mov_b32_e32 v3, s15
	s_and_saveexec_b64 s[0:1], s[10:11]
	s_cbranch_execz .LBB416_97
; %bb.96:
	s_sub_i32 s10, s9, s8
	s_min_u32 s10, s10, 8
	v_lshrrev_b32_sdwa v3, s8, v2 dst_sel:DWORD dst_unused:UNUSED_PAD src0_sel:DWORD src1_sel:WORD_0
	v_bfe_u32 v3, v3, 0, s10
	v_lshlrev_b32_e32 v4, 2, v1
	v_lshl_or_b32 v3, v3, 4, v4
	v_mov_b32_e32 v4, 1
	ds_add_u32 v3, v4
	v_mov_b32_e32 v3, 0
.LBB416_97:
	s_or_b64 exec, exec, s[0:1]
	v_cmp_gt_i32_e64 s[0:1], 10, v3
	s_mov_b64 s[10:11], -1
	s_and_saveexec_b64 s[12:13], s[0:1]
; %bb.98:
	v_cmp_eq_u32_e64 s[0:1], 0, v3
	s_orn2_b64 s[10:11], s[0:1], exec
; %bb.99:
	s_or_b64 exec, exec, s[12:13]
	s_and_saveexec_b64 s[0:1], s[10:11]
	s_cbranch_execz .LBB416_102
; %bb.100:
	s_add_i32 s10, s8, 8
	s_cmp_gt_u32 s9, s10
	s_cselect_b64 s[12:13], -1, 0
	s_xor_b64 s[16:17], vcc, -1
	s_and_b64 s[12:13], s[12:13], s[16:17]
	s_and_b64 exec, exec, s[12:13]
	s_cbranch_execz .LBB416_102
; %bb.101:
	s_sub_i32 s11, s9, s10
	s_min_u32 s11, s11, 8
	v_lshrrev_b32_sdwa v2, s10, v2 dst_sel:DWORD dst_unused:UNUSED_PAD src0_sel:DWORD src1_sel:WORD_0
	v_bfe_u32 v2, v2, 0, s11
	v_lshlrev_b32_e32 v3, 2, v1
	v_lshl_or_b32 v2, v2, 4, v3
	v_mov_b32_e32 v3, 1
	ds_add_u32 v2, v3 offset:4096
.LBB416_102:
	s_or_b64 exec, exec, s[0:1]
	s_movk_i32 s0, 0x8000
	v_cmp_le_u32_e32 vcc, s14, v8
	v_xor_b32_sdwa v2, v7, s0 dst_sel:DWORD dst_unused:UNUSED_PAD src0_sel:WORD_1 src1_sel:DWORD
	s_or_b64 s[0:1], s[4:5], vcc
	s_xor_b64 s[4:5], s[0:1], -1
	v_mov_b32_e32 v3, s15
	s_and_saveexec_b64 s[0:1], s[4:5]
	s_cbranch_execz .LBB416_104
; %bb.103:
	s_sub_i32 s4, s9, s8
	s_min_u32 s4, s4, 8
	v_lshrrev_b32_sdwa v3, s8, v2 dst_sel:DWORD dst_unused:UNUSED_PAD src0_sel:DWORD src1_sel:WORD_0
	v_bfe_u32 v3, v3, 0, s4
	v_lshlrev_b32_e32 v4, 2, v1
	v_lshl_or_b32 v3, v3, 4, v4
	v_mov_b32_e32 v4, 1
	ds_add_u32 v3, v4
	v_mov_b32_e32 v3, 0
.LBB416_104:
	s_or_b64 exec, exec, s[0:1]
	v_cmp_gt_i32_e64 s[0:1], 10, v3
	s_mov_b64 s[4:5], -1
	s_and_saveexec_b64 s[10:11], s[0:1]
; %bb.105:
	v_cmp_eq_u32_e64 s[0:1], 0, v3
	s_orn2_b64 s[4:5], s[0:1], exec
; %bb.106:
	s_or_b64 exec, exec, s[10:11]
	s_and_saveexec_b64 s[0:1], s[4:5]
	s_cbranch_execz .LBB416_109
; %bb.107:
	s_add_i32 s4, s8, 8
	s_cmp_gt_u32 s9, s4
	s_cselect_b64 s[10:11], -1, 0
	s_xor_b64 s[12:13], vcc, -1
	s_and_b64 s[10:11], s[10:11], s[12:13]
	s_and_b64 exec, exec, s[10:11]
	s_cbranch_execz .LBB416_109
; %bb.108:
	s_sub_i32 s5, s9, s4
	s_min_u32 s5, s5, 8
	v_lshrrev_b32_sdwa v2, s4, v2 dst_sel:DWORD dst_unused:UNUSED_PAD src0_sel:DWORD src1_sel:WORD_0
	v_bfe_u32 v2, v2, 0, s5
	v_lshlrev_b32_e32 v1, 2, v1
	v_lshl_or_b32 v1, v2, 4, v1
	v_mov_b32_e32 v2, 1
	ds_add_u32 v1, v2 offset:4096
.LBB416_109:
	s_or_b64 exec, exec, s[0:1]
	s_cmp_gt_u32 s9, s8
	s_waitcnt lgkmcnt(0)
	s_barrier
	s_cbranch_scc0 .LBB416_114
; %bb.110:
	s_movk_i32 s0, 0x100
	v_cmp_gt_u32_e32 vcc, s0, v0
	v_lshlrev_b32_e32 v1, 4, v0
	v_mov_b32_e32 v3, 0
	v_mov_b32_e32 v2, v0
	s_mov_b32 s10, s8
	s_branch .LBB416_112
.LBB416_111:                            ;   in Loop: Header=BB416_112 Depth=1
	s_or_b64 exec, exec, s[4:5]
	s_add_i32 s10, s10, 8
	v_add_u32_e32 v2, 0x100, v2
	s_cmp_lt_u32 s10, s9
	v_add_u32_e32 v1, 0x1000, v1
	s_cbranch_scc0 .LBB416_114
.LBB416_112:                            ; =>This Inner Loop Header: Depth=1
	s_and_saveexec_b64 s[4:5], vcc
	s_cbranch_execz .LBB416_111
; %bb.113:                              ;   in Loop: Header=BB416_112 Depth=1
	ds_read2_b32 v[4:5], v1 offset1:1
	ds_read2_b32 v[6:7], v1 offset0:2 offset1:3
	v_lshlrev_b64 v[8:9], 3, v[2:3]
	v_mov_b32_e32 v10, s3
	s_waitcnt lgkmcnt(1)
	v_add_u32_e32 v4, v5, v4
	s_waitcnt lgkmcnt(0)
	v_add3_u32 v4, v4, v6, v7
	v_add_co_u32_e64 v6, s[0:1], s2, v8
	v_addc_co_u32_e64 v7, s[0:1], v10, v9, s[0:1]
	v_mov_b32_e32 v5, v3
	global_atomic_add_x2 v[6:7], v[4:5], off
	s_branch .LBB416_111
.LBB416_114:
	s_mov_b64 s[0:1], 0
.LBB416_115:
	s_and_b64 vcc, exec, s[0:1]
	s_cbranch_vccz .LBB416_162
; %bb.116:
	v_lshlrev_b32_e32 v1, 1, v0
	v_mov_b32_e32 v2, s7
	v_add_co_u32_e32 v8, vcc, s6, v1
	v_addc_co_u32_e32 v9, vcc, 0, v2, vcc
	v_add_co_u32_e32 v2, vcc, 0x1000, v8
	v_addc_co_u32_e32 v3, vcc, 0, v9, vcc
	;; [unrolled: 2-line block ×4, first 2 shown]
	global_load_ushort v10, v1, s[6:7]
	global_load_ushort v11, v1, s[6:7] offset:2048
	global_load_ushort v12, v[2:3], off
	global_load_ushort v16, v[2:3], off offset:2048
	global_load_ushort v17, v[4:5], off
	global_load_ushort v18, v[4:5], off offset:2048
	global_load_ushort v19, v[6:7], off
	global_load_ushort v20, v[6:7], off offset:2048
	v_add_co_u32_e32 v2, vcc, 0x4000, v8
	v_addc_co_u32_e32 v3, vcc, 0, v9, vcc
	v_add_co_u32_e32 v4, vcc, 0x5000, v8
	v_addc_co_u32_e32 v5, vcc, 0, v9, vcc
	global_load_ushort v6, v[2:3], off
	global_load_ushort v21, v[2:3], off offset:2048
	global_load_ushort v22, v[4:5], off
	global_load_ushort v23, v[4:5], off offset:2048
	s_cmp_eq_u32 s8, 0
	s_cselect_b64 s[4:5], -1, 0
	s_cmp_eq_u32 s9, 16
	v_mov_b32_e32 v2, 0
	v_lshlrev_b32_e32 v3, 2, v0
	s_cselect_b64 s[6:7], -1, 0
	ds_write2st64_b32 v3, v2, v2 offset1:16
	s_and_b64 s[4:5], s[4:5], s[6:7]
	v_and_b32_e32 v1, 3, v0
	s_mov_b64 s[0:1], -1
	s_and_b64 vcc, exec, s[4:5]
	s_waitcnt vmcnt(11) lgkmcnt(0)
	v_xor_b32_e32 v2, 0xffff8000, v10
	s_waitcnt vmcnt(10)
	v_xor_b32_e32 v14, 0xffff8000, v11
	v_and_b32_e32 v15, 0xffff, v2
	s_waitcnt vmcnt(9)
	v_xor_b32_e32 v13, 0xffff8000, v12
	s_waitcnt vmcnt(8)
	v_xor_b32_e32 v12, 0xffff8000, v16
	s_waitcnt vmcnt(7)
	v_xor_b32_e32 v11, 0xffff8000, v17
	s_waitcnt vmcnt(6)
	v_xor_b32_e32 v10, 0xffff8000, v18
	s_waitcnt vmcnt(5)
	v_xor_b32_e32 v9, 0xffff8000, v19
	s_waitcnt vmcnt(4)
	v_xor_b32_e32 v8, 0xffff8000, v20
	s_waitcnt vmcnt(3)
	v_xor_b32_e32 v7, 0xffff8000, v6
	s_waitcnt vmcnt(2)
	v_xor_b32_e32 v6, 0xffff8000, v21
	s_waitcnt vmcnt(1)
	v_xor_b32_e32 v5, 0xffff8000, v22
	s_waitcnt vmcnt(0)
	v_xor_b32_e32 v4, 0xffff8000, v23
	s_cbranch_vccnz .LBB416_159
; %bb.117:
	s_cmp_gt_u32 s9, s8
	s_cselect_b64 s[4:5], -1, 0
	s_and_b64 vcc, exec, s[4:5]
	v_lshlrev_b32_e32 v2, 2, v1
	s_barrier
	s_cbranch_vccz .LBB416_120
; %bb.118:
	s_sub_i32 s0, s9, s8
	s_min_u32 s0, s0, 8
	v_lshrrev_b32_e32 v3, s8, v15
	v_bfe_u32 v3, v3, 0, s0
	v_lshl_or_b32 v16, v3, 4, v2
	v_mov_b32_e32 v3, 1
	ds_add_u32 v16, v3
	s_add_i32 s0, s8, 8
	s_cmp_le_u32 s9, s0
	s_cbranch_scc1 .LBB416_120
; %bb.119:
	s_sub_i32 s1, s9, s0
	s_min_u32 s1, s1, 8
	v_lshrrev_b32_e32 v16, s0, v15
	v_bfe_u32 v16, v16, 0, s1
	v_lshl_or_b32 v16, v16, 4, v2
	ds_add_u32 v16, v3 offset:4096
.LBB416_120:
	v_cndmask_b32_e64 v3, 0, 1, s[4:5]
	v_cmp_ne_u32_e64 s[0:1], 1, v3
	s_andn2_b64 vcc, exec, s[4:5]
	s_cbranch_vccnz .LBB416_123
; %bb.121:
	s_sub_i32 s6, s9, s8
	s_min_u32 s6, s6, 8
	v_lshrrev_b32_sdwa v3, s8, v14 dst_sel:DWORD dst_unused:UNUSED_PAD src0_sel:DWORD src1_sel:WORD_0
	v_bfe_u32 v3, v3, 0, s6
	v_lshl_or_b32 v16, v3, 4, v2
	v_mov_b32_e32 v3, 1
	ds_add_u32 v16, v3
	s_add_i32 s6, s8, 8
	s_cmp_le_u32 s9, s6
	s_cbranch_scc1 .LBB416_123
; %bb.122:
	s_sub_i32 s7, s9, s6
	s_min_u32 s7, s7, 8
	v_lshrrev_b32_sdwa v16, s6, v14 dst_sel:DWORD dst_unused:UNUSED_PAD src0_sel:DWORD src1_sel:WORD_0
	v_bfe_u32 v16, v16, 0, s7
	v_lshl_or_b32 v16, v16, 4, v2
	ds_add_u32 v16, v3 offset:4096
.LBB416_123:
	s_and_b64 vcc, exec, s[0:1]
	s_cbranch_vccnz .LBB416_126
; %bb.124:
	s_sub_i32 s6, s9, s8
	s_min_u32 s6, s6, 8
	v_lshrrev_b32_sdwa v3, s8, v13 dst_sel:DWORD dst_unused:UNUSED_PAD src0_sel:DWORD src1_sel:WORD_0
	v_bfe_u32 v3, v3, 0, s6
	v_lshl_or_b32 v16, v3, 4, v2
	v_mov_b32_e32 v3, 1
	ds_add_u32 v16, v3
	s_add_i32 s6, s8, 8
	s_cmp_le_u32 s9, s6
	s_cbranch_scc1 .LBB416_126
; %bb.125:
	s_sub_i32 s7, s9, s6
	s_min_u32 s7, s7, 8
	v_lshrrev_b32_sdwa v16, s6, v13 dst_sel:DWORD dst_unused:UNUSED_PAD src0_sel:DWORD src1_sel:WORD_0
	v_bfe_u32 v16, v16, 0, s7
	v_lshl_or_b32 v16, v16, 4, v2
	ds_add_u32 v16, v3 offset:4096
.LBB416_126:
	s_and_b64 vcc, exec, s[0:1]
	;; [unrolled: 21-line block ×11, first 2 shown]
	s_waitcnt lgkmcnt(0)
	s_barrier
	s_cbranch_vccz .LBB416_158
; %bb.154:
	s_movk_i32 s0, 0x100
	v_cmp_gt_u32_e32 vcc, s0, v0
	v_lshlrev_b32_e32 v16, 4, v0
	v_mov_b32_e32 v3, 0
	v_mov_b32_e32 v2, v0
	s_branch .LBB416_156
.LBB416_155:                            ;   in Loop: Header=BB416_156 Depth=1
	s_or_b64 exec, exec, s[4:5]
	s_add_i32 s8, s8, 8
	v_add_u32_e32 v2, 0x100, v2
	s_cmp_ge_u32 s8, s9
	v_add_u32_e32 v16, 0x1000, v16
	s_cbranch_scc1 .LBB416_158
.LBB416_156:                            ; =>This Inner Loop Header: Depth=1
	s_and_saveexec_b64 s[4:5], vcc
	s_cbranch_execz .LBB416_155
; %bb.157:                              ;   in Loop: Header=BB416_156 Depth=1
	ds_read2_b32 v[18:19], v16 offset1:1
	ds_read2_b32 v[20:21], v16 offset0:2 offset1:3
	v_lshlrev_b64 v[22:23], 3, v[2:3]
	v_mov_b32_e32 v17, s3
	s_waitcnt lgkmcnt(1)
	v_add_u32_e32 v18, v19, v18
	s_waitcnt lgkmcnt(0)
	v_add3_u32 v18, v18, v20, v21
	v_add_co_u32_e64 v20, s[0:1], s2, v22
	v_addc_co_u32_e64 v21, s[0:1], v17, v23, s[0:1]
	v_mov_b32_e32 v19, v3
	global_atomic_add_x2 v[20:21], v[18:19], off
	s_branch .LBB416_155
.LBB416_158:
	s_mov_b64 s[0:1], 0
.LBB416_159:
	s_and_b64 vcc, exec, s[0:1]
	s_cbranch_vccz .LBB416_162
; %bb.160:
	v_lshlrev_b32_e32 v2, 2, v15
	s_movk_i32 s0, 0x3fc
	v_and_or_b32 v2, v2, s0, v1
	v_lshlrev_b32_e32 v2, 2, v2
	v_mov_b32_e32 v3, 1
	s_barrier
	ds_add_u32 v2, v3
	v_bfe_u32 v2, v15, 8, 8
	v_lshl_or_b32 v2, v2, 2, v1
	v_lshlrev_b32_e32 v2, 2, v2
	ds_add_u32 v2, v3 offset:4096
	v_and_b32_e32 v2, 0xffff, v14
	v_lshlrev_b32_e32 v14, 2, v2
	v_and_or_b32 v14, v14, s0, v1
	v_bfe_u32 v2, v2, 8, 8
	v_lshlrev_b32_e32 v14, 2, v14
	v_lshl_or_b32 v2, v2, 2, v1
	ds_add_u32 v14, v3
	v_lshlrev_b32_e32 v2, 2, v2
	ds_add_u32 v2, v3 offset:4096
	v_and_b32_e32 v2, 0xffff, v13
	v_lshlrev_b32_e32 v13, 2, v2
	v_and_or_b32 v13, v13, s0, v1
	v_bfe_u32 v2, v2, 8, 8
	v_lshlrev_b32_e32 v13, 2, v13
	v_lshl_or_b32 v2, v2, 2, v1
	ds_add_u32 v13, v3
	;; [unrolled: 9-line block ×11, first 2 shown]
	v_lshlrev_b32_e32 v1, 2, v1
	ds_add_u32 v1, v3 offset:4096
	s_movk_i32 s0, 0x100
	v_cmp_gt_u32_e32 vcc, s0, v0
	s_waitcnt lgkmcnt(0)
	s_barrier
	s_and_saveexec_b64 s[0:1], vcc
	s_cbranch_execz .LBB416_162
; %bb.161:
	v_lshlrev_b32_e32 v6, 4, v0
	ds_read2_b32 v[2:3], v6 offset1:1
	ds_read2_b32 v[4:5], v6 offset0:2 offset1:3
	v_lshlrev_b32_e32 v7, 3, v0
	v_mov_b32_e32 v1, 0
	v_add_u32_e32 v8, 0x1000, v6
	s_waitcnt lgkmcnt(1)
	v_add_u32_e32 v0, v3, v2
	s_waitcnt lgkmcnt(0)
	v_add3_u32 v0, v0, v4, v5
	global_atomic_add_x2 v7, v[0:1], s[2:3]
	v_add_u32_e32 v0, 0x1008, v6
	ds_read2_b32 v[2:3], v8 offset1:1
	ds_read2_b32 v[4:5], v0 offset1:1
	s_waitcnt lgkmcnt(1)
	v_add_u32_e32 v0, v3, v2
	s_waitcnt lgkmcnt(0)
	v_add3_u32 v0, v0, v4, v5
	global_atomic_add_x2 v7, v[0:1], s[2:3] offset:2048
.LBB416_162:
	s_endpgm
	.section	.rodata,"a",@progbits
	.p2align	6, 0x0
	.amdhsa_kernel _ZN7rocprim17ROCPRIM_400000_NS6detail17trampoline_kernelINS0_14default_configENS1_35radix_sort_onesweep_config_selectorIsNS0_10empty_typeEEEZNS1_34radix_sort_onesweep_global_offsetsIS3_Lb0EPsPS5_mNS0_19identity_decomposerEEE10hipError_tT1_T2_PT3_SE_jT4_jjP12ihipStream_tbEUlT_E_NS1_11comp_targetILNS1_3genE4ELNS1_11target_archE910ELNS1_3gpuE8ELNS1_3repE0EEENS1_52radix_sort_onesweep_histogram_config_static_selectorELNS0_4arch9wavefront6targetE1EEEvSC_
		.amdhsa_group_segment_fixed_size 8192
		.amdhsa_private_segment_fixed_size 0
		.amdhsa_kernarg_size 48
		.amdhsa_user_sgpr_count 6
		.amdhsa_user_sgpr_private_segment_buffer 1
		.amdhsa_user_sgpr_dispatch_ptr 0
		.amdhsa_user_sgpr_queue_ptr 0
		.amdhsa_user_sgpr_kernarg_segment_ptr 1
		.amdhsa_user_sgpr_dispatch_id 0
		.amdhsa_user_sgpr_flat_scratch_init 0
		.amdhsa_user_sgpr_kernarg_preload_length 0
		.amdhsa_user_sgpr_kernarg_preload_offset 0
		.amdhsa_user_sgpr_private_segment_size 0
		.amdhsa_uses_dynamic_stack 0
		.amdhsa_system_sgpr_private_segment_wavefront_offset 0
		.amdhsa_system_sgpr_workgroup_id_x 1
		.amdhsa_system_sgpr_workgroup_id_y 0
		.amdhsa_system_sgpr_workgroup_id_z 0
		.amdhsa_system_sgpr_workgroup_info 0
		.amdhsa_system_vgpr_workitem_id 0
		.amdhsa_next_free_vgpr 24
		.amdhsa_next_free_sgpr 18
		.amdhsa_accum_offset 24
		.amdhsa_reserve_vcc 1
		.amdhsa_reserve_flat_scratch 0
		.amdhsa_float_round_mode_32 0
		.amdhsa_float_round_mode_16_64 0
		.amdhsa_float_denorm_mode_32 3
		.amdhsa_float_denorm_mode_16_64 3
		.amdhsa_dx10_clamp 1
		.amdhsa_ieee_mode 1
		.amdhsa_fp16_overflow 0
		.amdhsa_tg_split 0
		.amdhsa_exception_fp_ieee_invalid_op 0
		.amdhsa_exception_fp_denorm_src 0
		.amdhsa_exception_fp_ieee_div_zero 0
		.amdhsa_exception_fp_ieee_overflow 0
		.amdhsa_exception_fp_ieee_underflow 0
		.amdhsa_exception_fp_ieee_inexact 0
		.amdhsa_exception_int_div_zero 0
	.end_amdhsa_kernel
	.section	.text._ZN7rocprim17ROCPRIM_400000_NS6detail17trampoline_kernelINS0_14default_configENS1_35radix_sort_onesweep_config_selectorIsNS0_10empty_typeEEEZNS1_34radix_sort_onesweep_global_offsetsIS3_Lb0EPsPS5_mNS0_19identity_decomposerEEE10hipError_tT1_T2_PT3_SE_jT4_jjP12ihipStream_tbEUlT_E_NS1_11comp_targetILNS1_3genE4ELNS1_11target_archE910ELNS1_3gpuE8ELNS1_3repE0EEENS1_52radix_sort_onesweep_histogram_config_static_selectorELNS0_4arch9wavefront6targetE1EEEvSC_,"axG",@progbits,_ZN7rocprim17ROCPRIM_400000_NS6detail17trampoline_kernelINS0_14default_configENS1_35radix_sort_onesweep_config_selectorIsNS0_10empty_typeEEEZNS1_34radix_sort_onesweep_global_offsetsIS3_Lb0EPsPS5_mNS0_19identity_decomposerEEE10hipError_tT1_T2_PT3_SE_jT4_jjP12ihipStream_tbEUlT_E_NS1_11comp_targetILNS1_3genE4ELNS1_11target_archE910ELNS1_3gpuE8ELNS1_3repE0EEENS1_52radix_sort_onesweep_histogram_config_static_selectorELNS0_4arch9wavefront6targetE1EEEvSC_,comdat
.Lfunc_end416:
	.size	_ZN7rocprim17ROCPRIM_400000_NS6detail17trampoline_kernelINS0_14default_configENS1_35radix_sort_onesweep_config_selectorIsNS0_10empty_typeEEEZNS1_34radix_sort_onesweep_global_offsetsIS3_Lb0EPsPS5_mNS0_19identity_decomposerEEE10hipError_tT1_T2_PT3_SE_jT4_jjP12ihipStream_tbEUlT_E_NS1_11comp_targetILNS1_3genE4ELNS1_11target_archE910ELNS1_3gpuE8ELNS1_3repE0EEENS1_52radix_sort_onesweep_histogram_config_static_selectorELNS0_4arch9wavefront6targetE1EEEvSC_, .Lfunc_end416-_ZN7rocprim17ROCPRIM_400000_NS6detail17trampoline_kernelINS0_14default_configENS1_35radix_sort_onesweep_config_selectorIsNS0_10empty_typeEEEZNS1_34radix_sort_onesweep_global_offsetsIS3_Lb0EPsPS5_mNS0_19identity_decomposerEEE10hipError_tT1_T2_PT3_SE_jT4_jjP12ihipStream_tbEUlT_E_NS1_11comp_targetILNS1_3genE4ELNS1_11target_archE910ELNS1_3gpuE8ELNS1_3repE0EEENS1_52radix_sort_onesweep_histogram_config_static_selectorELNS0_4arch9wavefront6targetE1EEEvSC_
                                        ; -- End function
	.section	.AMDGPU.csdata,"",@progbits
; Kernel info:
; codeLenInByte = 6168
; NumSgprs: 22
; NumVgprs: 24
; NumAgprs: 0
; TotalNumVgprs: 24
; ScratchSize: 0
; MemoryBound: 0
; FloatMode: 240
; IeeeMode: 1
; LDSByteSize: 8192 bytes/workgroup (compile time only)
; SGPRBlocks: 2
; VGPRBlocks: 2
; NumSGPRsForWavesPerEU: 22
; NumVGPRsForWavesPerEU: 24
; AccumOffset: 24
; Occupancy: 8
; WaveLimiterHint : 1
; COMPUTE_PGM_RSRC2:SCRATCH_EN: 0
; COMPUTE_PGM_RSRC2:USER_SGPR: 6
; COMPUTE_PGM_RSRC2:TRAP_HANDLER: 0
; COMPUTE_PGM_RSRC2:TGID_X_EN: 1
; COMPUTE_PGM_RSRC2:TGID_Y_EN: 0
; COMPUTE_PGM_RSRC2:TGID_Z_EN: 0
; COMPUTE_PGM_RSRC2:TIDIG_COMP_CNT: 0
; COMPUTE_PGM_RSRC3_GFX90A:ACCUM_OFFSET: 5
; COMPUTE_PGM_RSRC3_GFX90A:TG_SPLIT: 0
	.section	.text._ZN7rocprim17ROCPRIM_400000_NS6detail17trampoline_kernelINS0_14default_configENS1_35radix_sort_onesweep_config_selectorIsNS0_10empty_typeEEEZNS1_34radix_sort_onesweep_global_offsetsIS3_Lb0EPsPS5_mNS0_19identity_decomposerEEE10hipError_tT1_T2_PT3_SE_jT4_jjP12ihipStream_tbEUlT_E_NS1_11comp_targetILNS1_3genE3ELNS1_11target_archE908ELNS1_3gpuE7ELNS1_3repE0EEENS1_52radix_sort_onesweep_histogram_config_static_selectorELNS0_4arch9wavefront6targetE1EEEvSC_,"axG",@progbits,_ZN7rocprim17ROCPRIM_400000_NS6detail17trampoline_kernelINS0_14default_configENS1_35radix_sort_onesweep_config_selectorIsNS0_10empty_typeEEEZNS1_34radix_sort_onesweep_global_offsetsIS3_Lb0EPsPS5_mNS0_19identity_decomposerEEE10hipError_tT1_T2_PT3_SE_jT4_jjP12ihipStream_tbEUlT_E_NS1_11comp_targetILNS1_3genE3ELNS1_11target_archE908ELNS1_3gpuE7ELNS1_3repE0EEENS1_52radix_sort_onesweep_histogram_config_static_selectorELNS0_4arch9wavefront6targetE1EEEvSC_,comdat
	.protected	_ZN7rocprim17ROCPRIM_400000_NS6detail17trampoline_kernelINS0_14default_configENS1_35radix_sort_onesweep_config_selectorIsNS0_10empty_typeEEEZNS1_34radix_sort_onesweep_global_offsetsIS3_Lb0EPsPS5_mNS0_19identity_decomposerEEE10hipError_tT1_T2_PT3_SE_jT4_jjP12ihipStream_tbEUlT_E_NS1_11comp_targetILNS1_3genE3ELNS1_11target_archE908ELNS1_3gpuE7ELNS1_3repE0EEENS1_52radix_sort_onesweep_histogram_config_static_selectorELNS0_4arch9wavefront6targetE1EEEvSC_ ; -- Begin function _ZN7rocprim17ROCPRIM_400000_NS6detail17trampoline_kernelINS0_14default_configENS1_35radix_sort_onesweep_config_selectorIsNS0_10empty_typeEEEZNS1_34radix_sort_onesweep_global_offsetsIS3_Lb0EPsPS5_mNS0_19identity_decomposerEEE10hipError_tT1_T2_PT3_SE_jT4_jjP12ihipStream_tbEUlT_E_NS1_11comp_targetILNS1_3genE3ELNS1_11target_archE908ELNS1_3gpuE7ELNS1_3repE0EEENS1_52radix_sort_onesweep_histogram_config_static_selectorELNS0_4arch9wavefront6targetE1EEEvSC_
	.globl	_ZN7rocprim17ROCPRIM_400000_NS6detail17trampoline_kernelINS0_14default_configENS1_35radix_sort_onesweep_config_selectorIsNS0_10empty_typeEEEZNS1_34radix_sort_onesweep_global_offsetsIS3_Lb0EPsPS5_mNS0_19identity_decomposerEEE10hipError_tT1_T2_PT3_SE_jT4_jjP12ihipStream_tbEUlT_E_NS1_11comp_targetILNS1_3genE3ELNS1_11target_archE908ELNS1_3gpuE7ELNS1_3repE0EEENS1_52radix_sort_onesweep_histogram_config_static_selectorELNS0_4arch9wavefront6targetE1EEEvSC_
	.p2align	8
	.type	_ZN7rocprim17ROCPRIM_400000_NS6detail17trampoline_kernelINS0_14default_configENS1_35radix_sort_onesweep_config_selectorIsNS0_10empty_typeEEEZNS1_34radix_sort_onesweep_global_offsetsIS3_Lb0EPsPS5_mNS0_19identity_decomposerEEE10hipError_tT1_T2_PT3_SE_jT4_jjP12ihipStream_tbEUlT_E_NS1_11comp_targetILNS1_3genE3ELNS1_11target_archE908ELNS1_3gpuE7ELNS1_3repE0EEENS1_52radix_sort_onesweep_histogram_config_static_selectorELNS0_4arch9wavefront6targetE1EEEvSC_,@function
_ZN7rocprim17ROCPRIM_400000_NS6detail17trampoline_kernelINS0_14default_configENS1_35radix_sort_onesweep_config_selectorIsNS0_10empty_typeEEEZNS1_34radix_sort_onesweep_global_offsetsIS3_Lb0EPsPS5_mNS0_19identity_decomposerEEE10hipError_tT1_T2_PT3_SE_jT4_jjP12ihipStream_tbEUlT_E_NS1_11comp_targetILNS1_3genE3ELNS1_11target_archE908ELNS1_3gpuE7ELNS1_3repE0EEENS1_52radix_sort_onesweep_histogram_config_static_selectorELNS0_4arch9wavefront6targetE1EEEvSC_: ; @_ZN7rocprim17ROCPRIM_400000_NS6detail17trampoline_kernelINS0_14default_configENS1_35radix_sort_onesweep_config_selectorIsNS0_10empty_typeEEEZNS1_34radix_sort_onesweep_global_offsetsIS3_Lb0EPsPS5_mNS0_19identity_decomposerEEE10hipError_tT1_T2_PT3_SE_jT4_jjP12ihipStream_tbEUlT_E_NS1_11comp_targetILNS1_3genE3ELNS1_11target_archE908ELNS1_3gpuE7ELNS1_3repE0EEENS1_52radix_sort_onesweep_histogram_config_static_selectorELNS0_4arch9wavefront6targetE1EEEvSC_
; %bb.0:
	.section	.rodata,"a",@progbits
	.p2align	6, 0x0
	.amdhsa_kernel _ZN7rocprim17ROCPRIM_400000_NS6detail17trampoline_kernelINS0_14default_configENS1_35radix_sort_onesweep_config_selectorIsNS0_10empty_typeEEEZNS1_34radix_sort_onesweep_global_offsetsIS3_Lb0EPsPS5_mNS0_19identity_decomposerEEE10hipError_tT1_T2_PT3_SE_jT4_jjP12ihipStream_tbEUlT_E_NS1_11comp_targetILNS1_3genE3ELNS1_11target_archE908ELNS1_3gpuE7ELNS1_3repE0EEENS1_52radix_sort_onesweep_histogram_config_static_selectorELNS0_4arch9wavefront6targetE1EEEvSC_
		.amdhsa_group_segment_fixed_size 0
		.amdhsa_private_segment_fixed_size 0
		.amdhsa_kernarg_size 48
		.amdhsa_user_sgpr_count 6
		.amdhsa_user_sgpr_private_segment_buffer 1
		.amdhsa_user_sgpr_dispatch_ptr 0
		.amdhsa_user_sgpr_queue_ptr 0
		.amdhsa_user_sgpr_kernarg_segment_ptr 1
		.amdhsa_user_sgpr_dispatch_id 0
		.amdhsa_user_sgpr_flat_scratch_init 0
		.amdhsa_user_sgpr_kernarg_preload_length 0
		.amdhsa_user_sgpr_kernarg_preload_offset 0
		.amdhsa_user_sgpr_private_segment_size 0
		.amdhsa_uses_dynamic_stack 0
		.amdhsa_system_sgpr_private_segment_wavefront_offset 0
		.amdhsa_system_sgpr_workgroup_id_x 1
		.amdhsa_system_sgpr_workgroup_id_y 0
		.amdhsa_system_sgpr_workgroup_id_z 0
		.amdhsa_system_sgpr_workgroup_info 0
		.amdhsa_system_vgpr_workitem_id 0
		.amdhsa_next_free_vgpr 1
		.amdhsa_next_free_sgpr 0
		.amdhsa_accum_offset 4
		.amdhsa_reserve_vcc 0
		.amdhsa_reserve_flat_scratch 0
		.amdhsa_float_round_mode_32 0
		.amdhsa_float_round_mode_16_64 0
		.amdhsa_float_denorm_mode_32 3
		.amdhsa_float_denorm_mode_16_64 3
		.amdhsa_dx10_clamp 1
		.amdhsa_ieee_mode 1
		.amdhsa_fp16_overflow 0
		.amdhsa_tg_split 0
		.amdhsa_exception_fp_ieee_invalid_op 0
		.amdhsa_exception_fp_denorm_src 0
		.amdhsa_exception_fp_ieee_div_zero 0
		.amdhsa_exception_fp_ieee_overflow 0
		.amdhsa_exception_fp_ieee_underflow 0
		.amdhsa_exception_fp_ieee_inexact 0
		.amdhsa_exception_int_div_zero 0
	.end_amdhsa_kernel
	.section	.text._ZN7rocprim17ROCPRIM_400000_NS6detail17trampoline_kernelINS0_14default_configENS1_35radix_sort_onesweep_config_selectorIsNS0_10empty_typeEEEZNS1_34radix_sort_onesweep_global_offsetsIS3_Lb0EPsPS5_mNS0_19identity_decomposerEEE10hipError_tT1_T2_PT3_SE_jT4_jjP12ihipStream_tbEUlT_E_NS1_11comp_targetILNS1_3genE3ELNS1_11target_archE908ELNS1_3gpuE7ELNS1_3repE0EEENS1_52radix_sort_onesweep_histogram_config_static_selectorELNS0_4arch9wavefront6targetE1EEEvSC_,"axG",@progbits,_ZN7rocprim17ROCPRIM_400000_NS6detail17trampoline_kernelINS0_14default_configENS1_35radix_sort_onesweep_config_selectorIsNS0_10empty_typeEEEZNS1_34radix_sort_onesweep_global_offsetsIS3_Lb0EPsPS5_mNS0_19identity_decomposerEEE10hipError_tT1_T2_PT3_SE_jT4_jjP12ihipStream_tbEUlT_E_NS1_11comp_targetILNS1_3genE3ELNS1_11target_archE908ELNS1_3gpuE7ELNS1_3repE0EEENS1_52radix_sort_onesweep_histogram_config_static_selectorELNS0_4arch9wavefront6targetE1EEEvSC_,comdat
.Lfunc_end417:
	.size	_ZN7rocprim17ROCPRIM_400000_NS6detail17trampoline_kernelINS0_14default_configENS1_35radix_sort_onesweep_config_selectorIsNS0_10empty_typeEEEZNS1_34radix_sort_onesweep_global_offsetsIS3_Lb0EPsPS5_mNS0_19identity_decomposerEEE10hipError_tT1_T2_PT3_SE_jT4_jjP12ihipStream_tbEUlT_E_NS1_11comp_targetILNS1_3genE3ELNS1_11target_archE908ELNS1_3gpuE7ELNS1_3repE0EEENS1_52radix_sort_onesweep_histogram_config_static_selectorELNS0_4arch9wavefront6targetE1EEEvSC_, .Lfunc_end417-_ZN7rocprim17ROCPRIM_400000_NS6detail17trampoline_kernelINS0_14default_configENS1_35radix_sort_onesweep_config_selectorIsNS0_10empty_typeEEEZNS1_34radix_sort_onesweep_global_offsetsIS3_Lb0EPsPS5_mNS0_19identity_decomposerEEE10hipError_tT1_T2_PT3_SE_jT4_jjP12ihipStream_tbEUlT_E_NS1_11comp_targetILNS1_3genE3ELNS1_11target_archE908ELNS1_3gpuE7ELNS1_3repE0EEENS1_52radix_sort_onesweep_histogram_config_static_selectorELNS0_4arch9wavefront6targetE1EEEvSC_
                                        ; -- End function
	.section	.AMDGPU.csdata,"",@progbits
; Kernel info:
; codeLenInByte = 0
; NumSgprs: 4
; NumVgprs: 0
; NumAgprs: 0
; TotalNumVgprs: 0
; ScratchSize: 0
; MemoryBound: 0
; FloatMode: 240
; IeeeMode: 1
; LDSByteSize: 0 bytes/workgroup (compile time only)
; SGPRBlocks: 0
; VGPRBlocks: 0
; NumSGPRsForWavesPerEU: 4
; NumVGPRsForWavesPerEU: 1
; AccumOffset: 4
; Occupancy: 8
; WaveLimiterHint : 0
; COMPUTE_PGM_RSRC2:SCRATCH_EN: 0
; COMPUTE_PGM_RSRC2:USER_SGPR: 6
; COMPUTE_PGM_RSRC2:TRAP_HANDLER: 0
; COMPUTE_PGM_RSRC2:TGID_X_EN: 1
; COMPUTE_PGM_RSRC2:TGID_Y_EN: 0
; COMPUTE_PGM_RSRC2:TGID_Z_EN: 0
; COMPUTE_PGM_RSRC2:TIDIG_COMP_CNT: 0
; COMPUTE_PGM_RSRC3_GFX90A:ACCUM_OFFSET: 0
; COMPUTE_PGM_RSRC3_GFX90A:TG_SPLIT: 0
	.section	.text._ZN7rocprim17ROCPRIM_400000_NS6detail17trampoline_kernelINS0_14default_configENS1_35radix_sort_onesweep_config_selectorIsNS0_10empty_typeEEEZNS1_34radix_sort_onesweep_global_offsetsIS3_Lb0EPsPS5_mNS0_19identity_decomposerEEE10hipError_tT1_T2_PT3_SE_jT4_jjP12ihipStream_tbEUlT_E_NS1_11comp_targetILNS1_3genE10ELNS1_11target_archE1201ELNS1_3gpuE5ELNS1_3repE0EEENS1_52radix_sort_onesweep_histogram_config_static_selectorELNS0_4arch9wavefront6targetE1EEEvSC_,"axG",@progbits,_ZN7rocprim17ROCPRIM_400000_NS6detail17trampoline_kernelINS0_14default_configENS1_35radix_sort_onesweep_config_selectorIsNS0_10empty_typeEEEZNS1_34radix_sort_onesweep_global_offsetsIS3_Lb0EPsPS5_mNS0_19identity_decomposerEEE10hipError_tT1_T2_PT3_SE_jT4_jjP12ihipStream_tbEUlT_E_NS1_11comp_targetILNS1_3genE10ELNS1_11target_archE1201ELNS1_3gpuE5ELNS1_3repE0EEENS1_52radix_sort_onesweep_histogram_config_static_selectorELNS0_4arch9wavefront6targetE1EEEvSC_,comdat
	.protected	_ZN7rocprim17ROCPRIM_400000_NS6detail17trampoline_kernelINS0_14default_configENS1_35radix_sort_onesweep_config_selectorIsNS0_10empty_typeEEEZNS1_34radix_sort_onesweep_global_offsetsIS3_Lb0EPsPS5_mNS0_19identity_decomposerEEE10hipError_tT1_T2_PT3_SE_jT4_jjP12ihipStream_tbEUlT_E_NS1_11comp_targetILNS1_3genE10ELNS1_11target_archE1201ELNS1_3gpuE5ELNS1_3repE0EEENS1_52radix_sort_onesweep_histogram_config_static_selectorELNS0_4arch9wavefront6targetE1EEEvSC_ ; -- Begin function _ZN7rocprim17ROCPRIM_400000_NS6detail17trampoline_kernelINS0_14default_configENS1_35radix_sort_onesweep_config_selectorIsNS0_10empty_typeEEEZNS1_34radix_sort_onesweep_global_offsetsIS3_Lb0EPsPS5_mNS0_19identity_decomposerEEE10hipError_tT1_T2_PT3_SE_jT4_jjP12ihipStream_tbEUlT_E_NS1_11comp_targetILNS1_3genE10ELNS1_11target_archE1201ELNS1_3gpuE5ELNS1_3repE0EEENS1_52radix_sort_onesweep_histogram_config_static_selectorELNS0_4arch9wavefront6targetE1EEEvSC_
	.globl	_ZN7rocprim17ROCPRIM_400000_NS6detail17trampoline_kernelINS0_14default_configENS1_35radix_sort_onesweep_config_selectorIsNS0_10empty_typeEEEZNS1_34radix_sort_onesweep_global_offsetsIS3_Lb0EPsPS5_mNS0_19identity_decomposerEEE10hipError_tT1_T2_PT3_SE_jT4_jjP12ihipStream_tbEUlT_E_NS1_11comp_targetILNS1_3genE10ELNS1_11target_archE1201ELNS1_3gpuE5ELNS1_3repE0EEENS1_52radix_sort_onesweep_histogram_config_static_selectorELNS0_4arch9wavefront6targetE1EEEvSC_
	.p2align	8
	.type	_ZN7rocprim17ROCPRIM_400000_NS6detail17trampoline_kernelINS0_14default_configENS1_35radix_sort_onesweep_config_selectorIsNS0_10empty_typeEEEZNS1_34radix_sort_onesweep_global_offsetsIS3_Lb0EPsPS5_mNS0_19identity_decomposerEEE10hipError_tT1_T2_PT3_SE_jT4_jjP12ihipStream_tbEUlT_E_NS1_11comp_targetILNS1_3genE10ELNS1_11target_archE1201ELNS1_3gpuE5ELNS1_3repE0EEENS1_52radix_sort_onesweep_histogram_config_static_selectorELNS0_4arch9wavefront6targetE1EEEvSC_,@function
_ZN7rocprim17ROCPRIM_400000_NS6detail17trampoline_kernelINS0_14default_configENS1_35radix_sort_onesweep_config_selectorIsNS0_10empty_typeEEEZNS1_34radix_sort_onesweep_global_offsetsIS3_Lb0EPsPS5_mNS0_19identity_decomposerEEE10hipError_tT1_T2_PT3_SE_jT4_jjP12ihipStream_tbEUlT_E_NS1_11comp_targetILNS1_3genE10ELNS1_11target_archE1201ELNS1_3gpuE5ELNS1_3repE0EEENS1_52radix_sort_onesweep_histogram_config_static_selectorELNS0_4arch9wavefront6targetE1EEEvSC_: ; @_ZN7rocprim17ROCPRIM_400000_NS6detail17trampoline_kernelINS0_14default_configENS1_35radix_sort_onesweep_config_selectorIsNS0_10empty_typeEEEZNS1_34radix_sort_onesweep_global_offsetsIS3_Lb0EPsPS5_mNS0_19identity_decomposerEEE10hipError_tT1_T2_PT3_SE_jT4_jjP12ihipStream_tbEUlT_E_NS1_11comp_targetILNS1_3genE10ELNS1_11target_archE1201ELNS1_3gpuE5ELNS1_3repE0EEENS1_52radix_sort_onesweep_histogram_config_static_selectorELNS0_4arch9wavefront6targetE1EEEvSC_
; %bb.0:
	.section	.rodata,"a",@progbits
	.p2align	6, 0x0
	.amdhsa_kernel _ZN7rocprim17ROCPRIM_400000_NS6detail17trampoline_kernelINS0_14default_configENS1_35radix_sort_onesweep_config_selectorIsNS0_10empty_typeEEEZNS1_34radix_sort_onesweep_global_offsetsIS3_Lb0EPsPS5_mNS0_19identity_decomposerEEE10hipError_tT1_T2_PT3_SE_jT4_jjP12ihipStream_tbEUlT_E_NS1_11comp_targetILNS1_3genE10ELNS1_11target_archE1201ELNS1_3gpuE5ELNS1_3repE0EEENS1_52radix_sort_onesweep_histogram_config_static_selectorELNS0_4arch9wavefront6targetE1EEEvSC_
		.amdhsa_group_segment_fixed_size 0
		.amdhsa_private_segment_fixed_size 0
		.amdhsa_kernarg_size 48
		.amdhsa_user_sgpr_count 6
		.amdhsa_user_sgpr_private_segment_buffer 1
		.amdhsa_user_sgpr_dispatch_ptr 0
		.amdhsa_user_sgpr_queue_ptr 0
		.amdhsa_user_sgpr_kernarg_segment_ptr 1
		.amdhsa_user_sgpr_dispatch_id 0
		.amdhsa_user_sgpr_flat_scratch_init 0
		.amdhsa_user_sgpr_kernarg_preload_length 0
		.amdhsa_user_sgpr_kernarg_preload_offset 0
		.amdhsa_user_sgpr_private_segment_size 0
		.amdhsa_uses_dynamic_stack 0
		.amdhsa_system_sgpr_private_segment_wavefront_offset 0
		.amdhsa_system_sgpr_workgroup_id_x 1
		.amdhsa_system_sgpr_workgroup_id_y 0
		.amdhsa_system_sgpr_workgroup_id_z 0
		.amdhsa_system_sgpr_workgroup_info 0
		.amdhsa_system_vgpr_workitem_id 0
		.amdhsa_next_free_vgpr 1
		.amdhsa_next_free_sgpr 0
		.amdhsa_accum_offset 4
		.amdhsa_reserve_vcc 0
		.amdhsa_reserve_flat_scratch 0
		.amdhsa_float_round_mode_32 0
		.amdhsa_float_round_mode_16_64 0
		.amdhsa_float_denorm_mode_32 3
		.amdhsa_float_denorm_mode_16_64 3
		.amdhsa_dx10_clamp 1
		.amdhsa_ieee_mode 1
		.amdhsa_fp16_overflow 0
		.amdhsa_tg_split 0
		.amdhsa_exception_fp_ieee_invalid_op 0
		.amdhsa_exception_fp_denorm_src 0
		.amdhsa_exception_fp_ieee_div_zero 0
		.amdhsa_exception_fp_ieee_overflow 0
		.amdhsa_exception_fp_ieee_underflow 0
		.amdhsa_exception_fp_ieee_inexact 0
		.amdhsa_exception_int_div_zero 0
	.end_amdhsa_kernel
	.section	.text._ZN7rocprim17ROCPRIM_400000_NS6detail17trampoline_kernelINS0_14default_configENS1_35radix_sort_onesweep_config_selectorIsNS0_10empty_typeEEEZNS1_34radix_sort_onesweep_global_offsetsIS3_Lb0EPsPS5_mNS0_19identity_decomposerEEE10hipError_tT1_T2_PT3_SE_jT4_jjP12ihipStream_tbEUlT_E_NS1_11comp_targetILNS1_3genE10ELNS1_11target_archE1201ELNS1_3gpuE5ELNS1_3repE0EEENS1_52radix_sort_onesweep_histogram_config_static_selectorELNS0_4arch9wavefront6targetE1EEEvSC_,"axG",@progbits,_ZN7rocprim17ROCPRIM_400000_NS6detail17trampoline_kernelINS0_14default_configENS1_35radix_sort_onesweep_config_selectorIsNS0_10empty_typeEEEZNS1_34radix_sort_onesweep_global_offsetsIS3_Lb0EPsPS5_mNS0_19identity_decomposerEEE10hipError_tT1_T2_PT3_SE_jT4_jjP12ihipStream_tbEUlT_E_NS1_11comp_targetILNS1_3genE10ELNS1_11target_archE1201ELNS1_3gpuE5ELNS1_3repE0EEENS1_52radix_sort_onesweep_histogram_config_static_selectorELNS0_4arch9wavefront6targetE1EEEvSC_,comdat
.Lfunc_end418:
	.size	_ZN7rocprim17ROCPRIM_400000_NS6detail17trampoline_kernelINS0_14default_configENS1_35radix_sort_onesweep_config_selectorIsNS0_10empty_typeEEEZNS1_34radix_sort_onesweep_global_offsetsIS3_Lb0EPsPS5_mNS0_19identity_decomposerEEE10hipError_tT1_T2_PT3_SE_jT4_jjP12ihipStream_tbEUlT_E_NS1_11comp_targetILNS1_3genE10ELNS1_11target_archE1201ELNS1_3gpuE5ELNS1_3repE0EEENS1_52radix_sort_onesweep_histogram_config_static_selectorELNS0_4arch9wavefront6targetE1EEEvSC_, .Lfunc_end418-_ZN7rocprim17ROCPRIM_400000_NS6detail17trampoline_kernelINS0_14default_configENS1_35radix_sort_onesweep_config_selectorIsNS0_10empty_typeEEEZNS1_34radix_sort_onesweep_global_offsetsIS3_Lb0EPsPS5_mNS0_19identity_decomposerEEE10hipError_tT1_T2_PT3_SE_jT4_jjP12ihipStream_tbEUlT_E_NS1_11comp_targetILNS1_3genE10ELNS1_11target_archE1201ELNS1_3gpuE5ELNS1_3repE0EEENS1_52radix_sort_onesweep_histogram_config_static_selectorELNS0_4arch9wavefront6targetE1EEEvSC_
                                        ; -- End function
	.section	.AMDGPU.csdata,"",@progbits
; Kernel info:
; codeLenInByte = 0
; NumSgprs: 4
; NumVgprs: 0
; NumAgprs: 0
; TotalNumVgprs: 0
; ScratchSize: 0
; MemoryBound: 0
; FloatMode: 240
; IeeeMode: 1
; LDSByteSize: 0 bytes/workgroup (compile time only)
; SGPRBlocks: 0
; VGPRBlocks: 0
; NumSGPRsForWavesPerEU: 4
; NumVGPRsForWavesPerEU: 1
; AccumOffset: 4
; Occupancy: 8
; WaveLimiterHint : 0
; COMPUTE_PGM_RSRC2:SCRATCH_EN: 0
; COMPUTE_PGM_RSRC2:USER_SGPR: 6
; COMPUTE_PGM_RSRC2:TRAP_HANDLER: 0
; COMPUTE_PGM_RSRC2:TGID_X_EN: 1
; COMPUTE_PGM_RSRC2:TGID_Y_EN: 0
; COMPUTE_PGM_RSRC2:TGID_Z_EN: 0
; COMPUTE_PGM_RSRC2:TIDIG_COMP_CNT: 0
; COMPUTE_PGM_RSRC3_GFX90A:ACCUM_OFFSET: 0
; COMPUTE_PGM_RSRC3_GFX90A:TG_SPLIT: 0
	.section	.text._ZN7rocprim17ROCPRIM_400000_NS6detail17trampoline_kernelINS0_14default_configENS1_35radix_sort_onesweep_config_selectorIsNS0_10empty_typeEEEZNS1_34radix_sort_onesweep_global_offsetsIS3_Lb0EPsPS5_mNS0_19identity_decomposerEEE10hipError_tT1_T2_PT3_SE_jT4_jjP12ihipStream_tbEUlT_E_NS1_11comp_targetILNS1_3genE9ELNS1_11target_archE1100ELNS1_3gpuE3ELNS1_3repE0EEENS1_52radix_sort_onesweep_histogram_config_static_selectorELNS0_4arch9wavefront6targetE1EEEvSC_,"axG",@progbits,_ZN7rocprim17ROCPRIM_400000_NS6detail17trampoline_kernelINS0_14default_configENS1_35radix_sort_onesweep_config_selectorIsNS0_10empty_typeEEEZNS1_34radix_sort_onesweep_global_offsetsIS3_Lb0EPsPS5_mNS0_19identity_decomposerEEE10hipError_tT1_T2_PT3_SE_jT4_jjP12ihipStream_tbEUlT_E_NS1_11comp_targetILNS1_3genE9ELNS1_11target_archE1100ELNS1_3gpuE3ELNS1_3repE0EEENS1_52radix_sort_onesweep_histogram_config_static_selectorELNS0_4arch9wavefront6targetE1EEEvSC_,comdat
	.protected	_ZN7rocprim17ROCPRIM_400000_NS6detail17trampoline_kernelINS0_14default_configENS1_35radix_sort_onesweep_config_selectorIsNS0_10empty_typeEEEZNS1_34radix_sort_onesweep_global_offsetsIS3_Lb0EPsPS5_mNS0_19identity_decomposerEEE10hipError_tT1_T2_PT3_SE_jT4_jjP12ihipStream_tbEUlT_E_NS1_11comp_targetILNS1_3genE9ELNS1_11target_archE1100ELNS1_3gpuE3ELNS1_3repE0EEENS1_52radix_sort_onesweep_histogram_config_static_selectorELNS0_4arch9wavefront6targetE1EEEvSC_ ; -- Begin function _ZN7rocprim17ROCPRIM_400000_NS6detail17trampoline_kernelINS0_14default_configENS1_35radix_sort_onesweep_config_selectorIsNS0_10empty_typeEEEZNS1_34radix_sort_onesweep_global_offsetsIS3_Lb0EPsPS5_mNS0_19identity_decomposerEEE10hipError_tT1_T2_PT3_SE_jT4_jjP12ihipStream_tbEUlT_E_NS1_11comp_targetILNS1_3genE9ELNS1_11target_archE1100ELNS1_3gpuE3ELNS1_3repE0EEENS1_52radix_sort_onesweep_histogram_config_static_selectorELNS0_4arch9wavefront6targetE1EEEvSC_
	.globl	_ZN7rocprim17ROCPRIM_400000_NS6detail17trampoline_kernelINS0_14default_configENS1_35radix_sort_onesweep_config_selectorIsNS0_10empty_typeEEEZNS1_34radix_sort_onesweep_global_offsetsIS3_Lb0EPsPS5_mNS0_19identity_decomposerEEE10hipError_tT1_T2_PT3_SE_jT4_jjP12ihipStream_tbEUlT_E_NS1_11comp_targetILNS1_3genE9ELNS1_11target_archE1100ELNS1_3gpuE3ELNS1_3repE0EEENS1_52radix_sort_onesweep_histogram_config_static_selectorELNS0_4arch9wavefront6targetE1EEEvSC_
	.p2align	8
	.type	_ZN7rocprim17ROCPRIM_400000_NS6detail17trampoline_kernelINS0_14default_configENS1_35radix_sort_onesweep_config_selectorIsNS0_10empty_typeEEEZNS1_34radix_sort_onesweep_global_offsetsIS3_Lb0EPsPS5_mNS0_19identity_decomposerEEE10hipError_tT1_T2_PT3_SE_jT4_jjP12ihipStream_tbEUlT_E_NS1_11comp_targetILNS1_3genE9ELNS1_11target_archE1100ELNS1_3gpuE3ELNS1_3repE0EEENS1_52radix_sort_onesweep_histogram_config_static_selectorELNS0_4arch9wavefront6targetE1EEEvSC_,@function
_ZN7rocprim17ROCPRIM_400000_NS6detail17trampoline_kernelINS0_14default_configENS1_35radix_sort_onesweep_config_selectorIsNS0_10empty_typeEEEZNS1_34radix_sort_onesweep_global_offsetsIS3_Lb0EPsPS5_mNS0_19identity_decomposerEEE10hipError_tT1_T2_PT3_SE_jT4_jjP12ihipStream_tbEUlT_E_NS1_11comp_targetILNS1_3genE9ELNS1_11target_archE1100ELNS1_3gpuE3ELNS1_3repE0EEENS1_52radix_sort_onesweep_histogram_config_static_selectorELNS0_4arch9wavefront6targetE1EEEvSC_: ; @_ZN7rocprim17ROCPRIM_400000_NS6detail17trampoline_kernelINS0_14default_configENS1_35radix_sort_onesweep_config_selectorIsNS0_10empty_typeEEEZNS1_34radix_sort_onesweep_global_offsetsIS3_Lb0EPsPS5_mNS0_19identity_decomposerEEE10hipError_tT1_T2_PT3_SE_jT4_jjP12ihipStream_tbEUlT_E_NS1_11comp_targetILNS1_3genE9ELNS1_11target_archE1100ELNS1_3gpuE3ELNS1_3repE0EEENS1_52radix_sort_onesweep_histogram_config_static_selectorELNS0_4arch9wavefront6targetE1EEEvSC_
; %bb.0:
	.section	.rodata,"a",@progbits
	.p2align	6, 0x0
	.amdhsa_kernel _ZN7rocprim17ROCPRIM_400000_NS6detail17trampoline_kernelINS0_14default_configENS1_35radix_sort_onesweep_config_selectorIsNS0_10empty_typeEEEZNS1_34radix_sort_onesweep_global_offsetsIS3_Lb0EPsPS5_mNS0_19identity_decomposerEEE10hipError_tT1_T2_PT3_SE_jT4_jjP12ihipStream_tbEUlT_E_NS1_11comp_targetILNS1_3genE9ELNS1_11target_archE1100ELNS1_3gpuE3ELNS1_3repE0EEENS1_52radix_sort_onesweep_histogram_config_static_selectorELNS0_4arch9wavefront6targetE1EEEvSC_
		.amdhsa_group_segment_fixed_size 0
		.amdhsa_private_segment_fixed_size 0
		.amdhsa_kernarg_size 48
		.amdhsa_user_sgpr_count 6
		.amdhsa_user_sgpr_private_segment_buffer 1
		.amdhsa_user_sgpr_dispatch_ptr 0
		.amdhsa_user_sgpr_queue_ptr 0
		.amdhsa_user_sgpr_kernarg_segment_ptr 1
		.amdhsa_user_sgpr_dispatch_id 0
		.amdhsa_user_sgpr_flat_scratch_init 0
		.amdhsa_user_sgpr_kernarg_preload_length 0
		.amdhsa_user_sgpr_kernarg_preload_offset 0
		.amdhsa_user_sgpr_private_segment_size 0
		.amdhsa_uses_dynamic_stack 0
		.amdhsa_system_sgpr_private_segment_wavefront_offset 0
		.amdhsa_system_sgpr_workgroup_id_x 1
		.amdhsa_system_sgpr_workgroup_id_y 0
		.amdhsa_system_sgpr_workgroup_id_z 0
		.amdhsa_system_sgpr_workgroup_info 0
		.amdhsa_system_vgpr_workitem_id 0
		.amdhsa_next_free_vgpr 1
		.amdhsa_next_free_sgpr 0
		.amdhsa_accum_offset 4
		.amdhsa_reserve_vcc 0
		.amdhsa_reserve_flat_scratch 0
		.amdhsa_float_round_mode_32 0
		.amdhsa_float_round_mode_16_64 0
		.amdhsa_float_denorm_mode_32 3
		.amdhsa_float_denorm_mode_16_64 3
		.amdhsa_dx10_clamp 1
		.amdhsa_ieee_mode 1
		.amdhsa_fp16_overflow 0
		.amdhsa_tg_split 0
		.amdhsa_exception_fp_ieee_invalid_op 0
		.amdhsa_exception_fp_denorm_src 0
		.amdhsa_exception_fp_ieee_div_zero 0
		.amdhsa_exception_fp_ieee_overflow 0
		.amdhsa_exception_fp_ieee_underflow 0
		.amdhsa_exception_fp_ieee_inexact 0
		.amdhsa_exception_int_div_zero 0
	.end_amdhsa_kernel
	.section	.text._ZN7rocprim17ROCPRIM_400000_NS6detail17trampoline_kernelINS0_14default_configENS1_35radix_sort_onesweep_config_selectorIsNS0_10empty_typeEEEZNS1_34radix_sort_onesweep_global_offsetsIS3_Lb0EPsPS5_mNS0_19identity_decomposerEEE10hipError_tT1_T2_PT3_SE_jT4_jjP12ihipStream_tbEUlT_E_NS1_11comp_targetILNS1_3genE9ELNS1_11target_archE1100ELNS1_3gpuE3ELNS1_3repE0EEENS1_52radix_sort_onesweep_histogram_config_static_selectorELNS0_4arch9wavefront6targetE1EEEvSC_,"axG",@progbits,_ZN7rocprim17ROCPRIM_400000_NS6detail17trampoline_kernelINS0_14default_configENS1_35radix_sort_onesweep_config_selectorIsNS0_10empty_typeEEEZNS1_34radix_sort_onesweep_global_offsetsIS3_Lb0EPsPS5_mNS0_19identity_decomposerEEE10hipError_tT1_T2_PT3_SE_jT4_jjP12ihipStream_tbEUlT_E_NS1_11comp_targetILNS1_3genE9ELNS1_11target_archE1100ELNS1_3gpuE3ELNS1_3repE0EEENS1_52radix_sort_onesweep_histogram_config_static_selectorELNS0_4arch9wavefront6targetE1EEEvSC_,comdat
.Lfunc_end419:
	.size	_ZN7rocprim17ROCPRIM_400000_NS6detail17trampoline_kernelINS0_14default_configENS1_35radix_sort_onesweep_config_selectorIsNS0_10empty_typeEEEZNS1_34radix_sort_onesweep_global_offsetsIS3_Lb0EPsPS5_mNS0_19identity_decomposerEEE10hipError_tT1_T2_PT3_SE_jT4_jjP12ihipStream_tbEUlT_E_NS1_11comp_targetILNS1_3genE9ELNS1_11target_archE1100ELNS1_3gpuE3ELNS1_3repE0EEENS1_52radix_sort_onesweep_histogram_config_static_selectorELNS0_4arch9wavefront6targetE1EEEvSC_, .Lfunc_end419-_ZN7rocprim17ROCPRIM_400000_NS6detail17trampoline_kernelINS0_14default_configENS1_35radix_sort_onesweep_config_selectorIsNS0_10empty_typeEEEZNS1_34radix_sort_onesweep_global_offsetsIS3_Lb0EPsPS5_mNS0_19identity_decomposerEEE10hipError_tT1_T2_PT3_SE_jT4_jjP12ihipStream_tbEUlT_E_NS1_11comp_targetILNS1_3genE9ELNS1_11target_archE1100ELNS1_3gpuE3ELNS1_3repE0EEENS1_52radix_sort_onesweep_histogram_config_static_selectorELNS0_4arch9wavefront6targetE1EEEvSC_
                                        ; -- End function
	.section	.AMDGPU.csdata,"",@progbits
; Kernel info:
; codeLenInByte = 0
; NumSgprs: 4
; NumVgprs: 0
; NumAgprs: 0
; TotalNumVgprs: 0
; ScratchSize: 0
; MemoryBound: 0
; FloatMode: 240
; IeeeMode: 1
; LDSByteSize: 0 bytes/workgroup (compile time only)
; SGPRBlocks: 0
; VGPRBlocks: 0
; NumSGPRsForWavesPerEU: 4
; NumVGPRsForWavesPerEU: 1
; AccumOffset: 4
; Occupancy: 8
; WaveLimiterHint : 0
; COMPUTE_PGM_RSRC2:SCRATCH_EN: 0
; COMPUTE_PGM_RSRC2:USER_SGPR: 6
; COMPUTE_PGM_RSRC2:TRAP_HANDLER: 0
; COMPUTE_PGM_RSRC2:TGID_X_EN: 1
; COMPUTE_PGM_RSRC2:TGID_Y_EN: 0
; COMPUTE_PGM_RSRC2:TGID_Z_EN: 0
; COMPUTE_PGM_RSRC2:TIDIG_COMP_CNT: 0
; COMPUTE_PGM_RSRC3_GFX90A:ACCUM_OFFSET: 0
; COMPUTE_PGM_RSRC3_GFX90A:TG_SPLIT: 0
	.section	.text._ZN7rocprim17ROCPRIM_400000_NS6detail17trampoline_kernelINS0_14default_configENS1_35radix_sort_onesweep_config_selectorIsNS0_10empty_typeEEEZNS1_34radix_sort_onesweep_global_offsetsIS3_Lb0EPsPS5_mNS0_19identity_decomposerEEE10hipError_tT1_T2_PT3_SE_jT4_jjP12ihipStream_tbEUlT_E_NS1_11comp_targetILNS1_3genE8ELNS1_11target_archE1030ELNS1_3gpuE2ELNS1_3repE0EEENS1_52radix_sort_onesweep_histogram_config_static_selectorELNS0_4arch9wavefront6targetE1EEEvSC_,"axG",@progbits,_ZN7rocprim17ROCPRIM_400000_NS6detail17trampoline_kernelINS0_14default_configENS1_35radix_sort_onesweep_config_selectorIsNS0_10empty_typeEEEZNS1_34radix_sort_onesweep_global_offsetsIS3_Lb0EPsPS5_mNS0_19identity_decomposerEEE10hipError_tT1_T2_PT3_SE_jT4_jjP12ihipStream_tbEUlT_E_NS1_11comp_targetILNS1_3genE8ELNS1_11target_archE1030ELNS1_3gpuE2ELNS1_3repE0EEENS1_52radix_sort_onesweep_histogram_config_static_selectorELNS0_4arch9wavefront6targetE1EEEvSC_,comdat
	.protected	_ZN7rocprim17ROCPRIM_400000_NS6detail17trampoline_kernelINS0_14default_configENS1_35radix_sort_onesweep_config_selectorIsNS0_10empty_typeEEEZNS1_34radix_sort_onesweep_global_offsetsIS3_Lb0EPsPS5_mNS0_19identity_decomposerEEE10hipError_tT1_T2_PT3_SE_jT4_jjP12ihipStream_tbEUlT_E_NS1_11comp_targetILNS1_3genE8ELNS1_11target_archE1030ELNS1_3gpuE2ELNS1_3repE0EEENS1_52radix_sort_onesweep_histogram_config_static_selectorELNS0_4arch9wavefront6targetE1EEEvSC_ ; -- Begin function _ZN7rocprim17ROCPRIM_400000_NS6detail17trampoline_kernelINS0_14default_configENS1_35radix_sort_onesweep_config_selectorIsNS0_10empty_typeEEEZNS1_34radix_sort_onesweep_global_offsetsIS3_Lb0EPsPS5_mNS0_19identity_decomposerEEE10hipError_tT1_T2_PT3_SE_jT4_jjP12ihipStream_tbEUlT_E_NS1_11comp_targetILNS1_3genE8ELNS1_11target_archE1030ELNS1_3gpuE2ELNS1_3repE0EEENS1_52radix_sort_onesweep_histogram_config_static_selectorELNS0_4arch9wavefront6targetE1EEEvSC_
	.globl	_ZN7rocprim17ROCPRIM_400000_NS6detail17trampoline_kernelINS0_14default_configENS1_35radix_sort_onesweep_config_selectorIsNS0_10empty_typeEEEZNS1_34radix_sort_onesweep_global_offsetsIS3_Lb0EPsPS5_mNS0_19identity_decomposerEEE10hipError_tT1_T2_PT3_SE_jT4_jjP12ihipStream_tbEUlT_E_NS1_11comp_targetILNS1_3genE8ELNS1_11target_archE1030ELNS1_3gpuE2ELNS1_3repE0EEENS1_52radix_sort_onesweep_histogram_config_static_selectorELNS0_4arch9wavefront6targetE1EEEvSC_
	.p2align	8
	.type	_ZN7rocprim17ROCPRIM_400000_NS6detail17trampoline_kernelINS0_14default_configENS1_35radix_sort_onesweep_config_selectorIsNS0_10empty_typeEEEZNS1_34radix_sort_onesweep_global_offsetsIS3_Lb0EPsPS5_mNS0_19identity_decomposerEEE10hipError_tT1_T2_PT3_SE_jT4_jjP12ihipStream_tbEUlT_E_NS1_11comp_targetILNS1_3genE8ELNS1_11target_archE1030ELNS1_3gpuE2ELNS1_3repE0EEENS1_52radix_sort_onesweep_histogram_config_static_selectorELNS0_4arch9wavefront6targetE1EEEvSC_,@function
_ZN7rocprim17ROCPRIM_400000_NS6detail17trampoline_kernelINS0_14default_configENS1_35radix_sort_onesweep_config_selectorIsNS0_10empty_typeEEEZNS1_34radix_sort_onesweep_global_offsetsIS3_Lb0EPsPS5_mNS0_19identity_decomposerEEE10hipError_tT1_T2_PT3_SE_jT4_jjP12ihipStream_tbEUlT_E_NS1_11comp_targetILNS1_3genE8ELNS1_11target_archE1030ELNS1_3gpuE2ELNS1_3repE0EEENS1_52radix_sort_onesweep_histogram_config_static_selectorELNS0_4arch9wavefront6targetE1EEEvSC_: ; @_ZN7rocprim17ROCPRIM_400000_NS6detail17trampoline_kernelINS0_14default_configENS1_35radix_sort_onesweep_config_selectorIsNS0_10empty_typeEEEZNS1_34radix_sort_onesweep_global_offsetsIS3_Lb0EPsPS5_mNS0_19identity_decomposerEEE10hipError_tT1_T2_PT3_SE_jT4_jjP12ihipStream_tbEUlT_E_NS1_11comp_targetILNS1_3genE8ELNS1_11target_archE1030ELNS1_3gpuE2ELNS1_3repE0EEENS1_52radix_sort_onesweep_histogram_config_static_selectorELNS0_4arch9wavefront6targetE1EEEvSC_
; %bb.0:
	.section	.rodata,"a",@progbits
	.p2align	6, 0x0
	.amdhsa_kernel _ZN7rocprim17ROCPRIM_400000_NS6detail17trampoline_kernelINS0_14default_configENS1_35radix_sort_onesweep_config_selectorIsNS0_10empty_typeEEEZNS1_34radix_sort_onesweep_global_offsetsIS3_Lb0EPsPS5_mNS0_19identity_decomposerEEE10hipError_tT1_T2_PT3_SE_jT4_jjP12ihipStream_tbEUlT_E_NS1_11comp_targetILNS1_3genE8ELNS1_11target_archE1030ELNS1_3gpuE2ELNS1_3repE0EEENS1_52radix_sort_onesweep_histogram_config_static_selectorELNS0_4arch9wavefront6targetE1EEEvSC_
		.amdhsa_group_segment_fixed_size 0
		.amdhsa_private_segment_fixed_size 0
		.amdhsa_kernarg_size 48
		.amdhsa_user_sgpr_count 6
		.amdhsa_user_sgpr_private_segment_buffer 1
		.amdhsa_user_sgpr_dispatch_ptr 0
		.amdhsa_user_sgpr_queue_ptr 0
		.amdhsa_user_sgpr_kernarg_segment_ptr 1
		.amdhsa_user_sgpr_dispatch_id 0
		.amdhsa_user_sgpr_flat_scratch_init 0
		.amdhsa_user_sgpr_kernarg_preload_length 0
		.amdhsa_user_sgpr_kernarg_preload_offset 0
		.amdhsa_user_sgpr_private_segment_size 0
		.amdhsa_uses_dynamic_stack 0
		.amdhsa_system_sgpr_private_segment_wavefront_offset 0
		.amdhsa_system_sgpr_workgroup_id_x 1
		.amdhsa_system_sgpr_workgroup_id_y 0
		.amdhsa_system_sgpr_workgroup_id_z 0
		.amdhsa_system_sgpr_workgroup_info 0
		.amdhsa_system_vgpr_workitem_id 0
		.amdhsa_next_free_vgpr 1
		.amdhsa_next_free_sgpr 0
		.amdhsa_accum_offset 4
		.amdhsa_reserve_vcc 0
		.amdhsa_reserve_flat_scratch 0
		.amdhsa_float_round_mode_32 0
		.amdhsa_float_round_mode_16_64 0
		.amdhsa_float_denorm_mode_32 3
		.amdhsa_float_denorm_mode_16_64 3
		.amdhsa_dx10_clamp 1
		.amdhsa_ieee_mode 1
		.amdhsa_fp16_overflow 0
		.amdhsa_tg_split 0
		.amdhsa_exception_fp_ieee_invalid_op 0
		.amdhsa_exception_fp_denorm_src 0
		.amdhsa_exception_fp_ieee_div_zero 0
		.amdhsa_exception_fp_ieee_overflow 0
		.amdhsa_exception_fp_ieee_underflow 0
		.amdhsa_exception_fp_ieee_inexact 0
		.amdhsa_exception_int_div_zero 0
	.end_amdhsa_kernel
	.section	.text._ZN7rocprim17ROCPRIM_400000_NS6detail17trampoline_kernelINS0_14default_configENS1_35radix_sort_onesweep_config_selectorIsNS0_10empty_typeEEEZNS1_34radix_sort_onesweep_global_offsetsIS3_Lb0EPsPS5_mNS0_19identity_decomposerEEE10hipError_tT1_T2_PT3_SE_jT4_jjP12ihipStream_tbEUlT_E_NS1_11comp_targetILNS1_3genE8ELNS1_11target_archE1030ELNS1_3gpuE2ELNS1_3repE0EEENS1_52radix_sort_onesweep_histogram_config_static_selectorELNS0_4arch9wavefront6targetE1EEEvSC_,"axG",@progbits,_ZN7rocprim17ROCPRIM_400000_NS6detail17trampoline_kernelINS0_14default_configENS1_35radix_sort_onesweep_config_selectorIsNS0_10empty_typeEEEZNS1_34radix_sort_onesweep_global_offsetsIS3_Lb0EPsPS5_mNS0_19identity_decomposerEEE10hipError_tT1_T2_PT3_SE_jT4_jjP12ihipStream_tbEUlT_E_NS1_11comp_targetILNS1_3genE8ELNS1_11target_archE1030ELNS1_3gpuE2ELNS1_3repE0EEENS1_52radix_sort_onesweep_histogram_config_static_selectorELNS0_4arch9wavefront6targetE1EEEvSC_,comdat
.Lfunc_end420:
	.size	_ZN7rocprim17ROCPRIM_400000_NS6detail17trampoline_kernelINS0_14default_configENS1_35radix_sort_onesweep_config_selectorIsNS0_10empty_typeEEEZNS1_34radix_sort_onesweep_global_offsetsIS3_Lb0EPsPS5_mNS0_19identity_decomposerEEE10hipError_tT1_T2_PT3_SE_jT4_jjP12ihipStream_tbEUlT_E_NS1_11comp_targetILNS1_3genE8ELNS1_11target_archE1030ELNS1_3gpuE2ELNS1_3repE0EEENS1_52radix_sort_onesweep_histogram_config_static_selectorELNS0_4arch9wavefront6targetE1EEEvSC_, .Lfunc_end420-_ZN7rocprim17ROCPRIM_400000_NS6detail17trampoline_kernelINS0_14default_configENS1_35radix_sort_onesweep_config_selectorIsNS0_10empty_typeEEEZNS1_34radix_sort_onesweep_global_offsetsIS3_Lb0EPsPS5_mNS0_19identity_decomposerEEE10hipError_tT1_T2_PT3_SE_jT4_jjP12ihipStream_tbEUlT_E_NS1_11comp_targetILNS1_3genE8ELNS1_11target_archE1030ELNS1_3gpuE2ELNS1_3repE0EEENS1_52radix_sort_onesweep_histogram_config_static_selectorELNS0_4arch9wavefront6targetE1EEEvSC_
                                        ; -- End function
	.section	.AMDGPU.csdata,"",@progbits
; Kernel info:
; codeLenInByte = 0
; NumSgprs: 4
; NumVgprs: 0
; NumAgprs: 0
; TotalNumVgprs: 0
; ScratchSize: 0
; MemoryBound: 0
; FloatMode: 240
; IeeeMode: 1
; LDSByteSize: 0 bytes/workgroup (compile time only)
; SGPRBlocks: 0
; VGPRBlocks: 0
; NumSGPRsForWavesPerEU: 4
; NumVGPRsForWavesPerEU: 1
; AccumOffset: 4
; Occupancy: 8
; WaveLimiterHint : 0
; COMPUTE_PGM_RSRC2:SCRATCH_EN: 0
; COMPUTE_PGM_RSRC2:USER_SGPR: 6
; COMPUTE_PGM_RSRC2:TRAP_HANDLER: 0
; COMPUTE_PGM_RSRC2:TGID_X_EN: 1
; COMPUTE_PGM_RSRC2:TGID_Y_EN: 0
; COMPUTE_PGM_RSRC2:TGID_Z_EN: 0
; COMPUTE_PGM_RSRC2:TIDIG_COMP_CNT: 0
; COMPUTE_PGM_RSRC3_GFX90A:ACCUM_OFFSET: 0
; COMPUTE_PGM_RSRC3_GFX90A:TG_SPLIT: 0
	.section	.text._ZN7rocprim17ROCPRIM_400000_NS6detail17trampoline_kernelINS0_14default_configENS1_35radix_sort_onesweep_config_selectorIsNS0_10empty_typeEEEZNS1_34radix_sort_onesweep_global_offsetsIS3_Lb0EPsPS5_mNS0_19identity_decomposerEEE10hipError_tT1_T2_PT3_SE_jT4_jjP12ihipStream_tbEUlT_E0_NS1_11comp_targetILNS1_3genE0ELNS1_11target_archE4294967295ELNS1_3gpuE0ELNS1_3repE0EEENS1_52radix_sort_onesweep_histogram_config_static_selectorELNS0_4arch9wavefront6targetE1EEEvSC_,"axG",@progbits,_ZN7rocprim17ROCPRIM_400000_NS6detail17trampoline_kernelINS0_14default_configENS1_35radix_sort_onesweep_config_selectorIsNS0_10empty_typeEEEZNS1_34radix_sort_onesweep_global_offsetsIS3_Lb0EPsPS5_mNS0_19identity_decomposerEEE10hipError_tT1_T2_PT3_SE_jT4_jjP12ihipStream_tbEUlT_E0_NS1_11comp_targetILNS1_3genE0ELNS1_11target_archE4294967295ELNS1_3gpuE0ELNS1_3repE0EEENS1_52radix_sort_onesweep_histogram_config_static_selectorELNS0_4arch9wavefront6targetE1EEEvSC_,comdat
	.protected	_ZN7rocprim17ROCPRIM_400000_NS6detail17trampoline_kernelINS0_14default_configENS1_35radix_sort_onesweep_config_selectorIsNS0_10empty_typeEEEZNS1_34radix_sort_onesweep_global_offsetsIS3_Lb0EPsPS5_mNS0_19identity_decomposerEEE10hipError_tT1_T2_PT3_SE_jT4_jjP12ihipStream_tbEUlT_E0_NS1_11comp_targetILNS1_3genE0ELNS1_11target_archE4294967295ELNS1_3gpuE0ELNS1_3repE0EEENS1_52radix_sort_onesweep_histogram_config_static_selectorELNS0_4arch9wavefront6targetE1EEEvSC_ ; -- Begin function _ZN7rocprim17ROCPRIM_400000_NS6detail17trampoline_kernelINS0_14default_configENS1_35radix_sort_onesweep_config_selectorIsNS0_10empty_typeEEEZNS1_34radix_sort_onesweep_global_offsetsIS3_Lb0EPsPS5_mNS0_19identity_decomposerEEE10hipError_tT1_T2_PT3_SE_jT4_jjP12ihipStream_tbEUlT_E0_NS1_11comp_targetILNS1_3genE0ELNS1_11target_archE4294967295ELNS1_3gpuE0ELNS1_3repE0EEENS1_52radix_sort_onesweep_histogram_config_static_selectorELNS0_4arch9wavefront6targetE1EEEvSC_
	.globl	_ZN7rocprim17ROCPRIM_400000_NS6detail17trampoline_kernelINS0_14default_configENS1_35radix_sort_onesweep_config_selectorIsNS0_10empty_typeEEEZNS1_34radix_sort_onesweep_global_offsetsIS3_Lb0EPsPS5_mNS0_19identity_decomposerEEE10hipError_tT1_T2_PT3_SE_jT4_jjP12ihipStream_tbEUlT_E0_NS1_11comp_targetILNS1_3genE0ELNS1_11target_archE4294967295ELNS1_3gpuE0ELNS1_3repE0EEENS1_52radix_sort_onesweep_histogram_config_static_selectorELNS0_4arch9wavefront6targetE1EEEvSC_
	.p2align	8
	.type	_ZN7rocprim17ROCPRIM_400000_NS6detail17trampoline_kernelINS0_14default_configENS1_35radix_sort_onesweep_config_selectorIsNS0_10empty_typeEEEZNS1_34radix_sort_onesweep_global_offsetsIS3_Lb0EPsPS5_mNS0_19identity_decomposerEEE10hipError_tT1_T2_PT3_SE_jT4_jjP12ihipStream_tbEUlT_E0_NS1_11comp_targetILNS1_3genE0ELNS1_11target_archE4294967295ELNS1_3gpuE0ELNS1_3repE0EEENS1_52radix_sort_onesweep_histogram_config_static_selectorELNS0_4arch9wavefront6targetE1EEEvSC_,@function
_ZN7rocprim17ROCPRIM_400000_NS6detail17trampoline_kernelINS0_14default_configENS1_35radix_sort_onesweep_config_selectorIsNS0_10empty_typeEEEZNS1_34radix_sort_onesweep_global_offsetsIS3_Lb0EPsPS5_mNS0_19identity_decomposerEEE10hipError_tT1_T2_PT3_SE_jT4_jjP12ihipStream_tbEUlT_E0_NS1_11comp_targetILNS1_3genE0ELNS1_11target_archE4294967295ELNS1_3gpuE0ELNS1_3repE0EEENS1_52radix_sort_onesweep_histogram_config_static_selectorELNS0_4arch9wavefront6targetE1EEEvSC_: ; @_ZN7rocprim17ROCPRIM_400000_NS6detail17trampoline_kernelINS0_14default_configENS1_35radix_sort_onesweep_config_selectorIsNS0_10empty_typeEEEZNS1_34radix_sort_onesweep_global_offsetsIS3_Lb0EPsPS5_mNS0_19identity_decomposerEEE10hipError_tT1_T2_PT3_SE_jT4_jjP12ihipStream_tbEUlT_E0_NS1_11comp_targetILNS1_3genE0ELNS1_11target_archE4294967295ELNS1_3gpuE0ELNS1_3repE0EEENS1_52radix_sort_onesweep_histogram_config_static_selectorELNS0_4arch9wavefront6targetE1EEEvSC_
; %bb.0:
	.section	.rodata,"a",@progbits
	.p2align	6, 0x0
	.amdhsa_kernel _ZN7rocprim17ROCPRIM_400000_NS6detail17trampoline_kernelINS0_14default_configENS1_35radix_sort_onesweep_config_selectorIsNS0_10empty_typeEEEZNS1_34radix_sort_onesweep_global_offsetsIS3_Lb0EPsPS5_mNS0_19identity_decomposerEEE10hipError_tT1_T2_PT3_SE_jT4_jjP12ihipStream_tbEUlT_E0_NS1_11comp_targetILNS1_3genE0ELNS1_11target_archE4294967295ELNS1_3gpuE0ELNS1_3repE0EEENS1_52radix_sort_onesweep_histogram_config_static_selectorELNS0_4arch9wavefront6targetE1EEEvSC_
		.amdhsa_group_segment_fixed_size 0
		.amdhsa_private_segment_fixed_size 0
		.amdhsa_kernarg_size 8
		.amdhsa_user_sgpr_count 6
		.amdhsa_user_sgpr_private_segment_buffer 1
		.amdhsa_user_sgpr_dispatch_ptr 0
		.amdhsa_user_sgpr_queue_ptr 0
		.amdhsa_user_sgpr_kernarg_segment_ptr 1
		.amdhsa_user_sgpr_dispatch_id 0
		.amdhsa_user_sgpr_flat_scratch_init 0
		.amdhsa_user_sgpr_kernarg_preload_length 0
		.amdhsa_user_sgpr_kernarg_preload_offset 0
		.amdhsa_user_sgpr_private_segment_size 0
		.amdhsa_uses_dynamic_stack 0
		.amdhsa_system_sgpr_private_segment_wavefront_offset 0
		.amdhsa_system_sgpr_workgroup_id_x 1
		.amdhsa_system_sgpr_workgroup_id_y 0
		.amdhsa_system_sgpr_workgroup_id_z 0
		.amdhsa_system_sgpr_workgroup_info 0
		.amdhsa_system_vgpr_workitem_id 0
		.amdhsa_next_free_vgpr 1
		.amdhsa_next_free_sgpr 0
		.amdhsa_accum_offset 4
		.amdhsa_reserve_vcc 0
		.amdhsa_reserve_flat_scratch 0
		.amdhsa_float_round_mode_32 0
		.amdhsa_float_round_mode_16_64 0
		.amdhsa_float_denorm_mode_32 3
		.amdhsa_float_denorm_mode_16_64 3
		.amdhsa_dx10_clamp 1
		.amdhsa_ieee_mode 1
		.amdhsa_fp16_overflow 0
		.amdhsa_tg_split 0
		.amdhsa_exception_fp_ieee_invalid_op 0
		.amdhsa_exception_fp_denorm_src 0
		.amdhsa_exception_fp_ieee_div_zero 0
		.amdhsa_exception_fp_ieee_overflow 0
		.amdhsa_exception_fp_ieee_underflow 0
		.amdhsa_exception_fp_ieee_inexact 0
		.amdhsa_exception_int_div_zero 0
	.end_amdhsa_kernel
	.section	.text._ZN7rocprim17ROCPRIM_400000_NS6detail17trampoline_kernelINS0_14default_configENS1_35radix_sort_onesweep_config_selectorIsNS0_10empty_typeEEEZNS1_34radix_sort_onesweep_global_offsetsIS3_Lb0EPsPS5_mNS0_19identity_decomposerEEE10hipError_tT1_T2_PT3_SE_jT4_jjP12ihipStream_tbEUlT_E0_NS1_11comp_targetILNS1_3genE0ELNS1_11target_archE4294967295ELNS1_3gpuE0ELNS1_3repE0EEENS1_52radix_sort_onesweep_histogram_config_static_selectorELNS0_4arch9wavefront6targetE1EEEvSC_,"axG",@progbits,_ZN7rocprim17ROCPRIM_400000_NS6detail17trampoline_kernelINS0_14default_configENS1_35radix_sort_onesweep_config_selectorIsNS0_10empty_typeEEEZNS1_34radix_sort_onesweep_global_offsetsIS3_Lb0EPsPS5_mNS0_19identity_decomposerEEE10hipError_tT1_T2_PT3_SE_jT4_jjP12ihipStream_tbEUlT_E0_NS1_11comp_targetILNS1_3genE0ELNS1_11target_archE4294967295ELNS1_3gpuE0ELNS1_3repE0EEENS1_52radix_sort_onesweep_histogram_config_static_selectorELNS0_4arch9wavefront6targetE1EEEvSC_,comdat
.Lfunc_end421:
	.size	_ZN7rocprim17ROCPRIM_400000_NS6detail17trampoline_kernelINS0_14default_configENS1_35radix_sort_onesweep_config_selectorIsNS0_10empty_typeEEEZNS1_34radix_sort_onesweep_global_offsetsIS3_Lb0EPsPS5_mNS0_19identity_decomposerEEE10hipError_tT1_T2_PT3_SE_jT4_jjP12ihipStream_tbEUlT_E0_NS1_11comp_targetILNS1_3genE0ELNS1_11target_archE4294967295ELNS1_3gpuE0ELNS1_3repE0EEENS1_52radix_sort_onesweep_histogram_config_static_selectorELNS0_4arch9wavefront6targetE1EEEvSC_, .Lfunc_end421-_ZN7rocprim17ROCPRIM_400000_NS6detail17trampoline_kernelINS0_14default_configENS1_35radix_sort_onesweep_config_selectorIsNS0_10empty_typeEEEZNS1_34radix_sort_onesweep_global_offsetsIS3_Lb0EPsPS5_mNS0_19identity_decomposerEEE10hipError_tT1_T2_PT3_SE_jT4_jjP12ihipStream_tbEUlT_E0_NS1_11comp_targetILNS1_3genE0ELNS1_11target_archE4294967295ELNS1_3gpuE0ELNS1_3repE0EEENS1_52radix_sort_onesweep_histogram_config_static_selectorELNS0_4arch9wavefront6targetE1EEEvSC_
                                        ; -- End function
	.section	.AMDGPU.csdata,"",@progbits
; Kernel info:
; codeLenInByte = 0
; NumSgprs: 4
; NumVgprs: 0
; NumAgprs: 0
; TotalNumVgprs: 0
; ScratchSize: 0
; MemoryBound: 0
; FloatMode: 240
; IeeeMode: 1
; LDSByteSize: 0 bytes/workgroup (compile time only)
; SGPRBlocks: 0
; VGPRBlocks: 0
; NumSGPRsForWavesPerEU: 4
; NumVGPRsForWavesPerEU: 1
; AccumOffset: 4
; Occupancy: 8
; WaveLimiterHint : 0
; COMPUTE_PGM_RSRC2:SCRATCH_EN: 0
; COMPUTE_PGM_RSRC2:USER_SGPR: 6
; COMPUTE_PGM_RSRC2:TRAP_HANDLER: 0
; COMPUTE_PGM_RSRC2:TGID_X_EN: 1
; COMPUTE_PGM_RSRC2:TGID_Y_EN: 0
; COMPUTE_PGM_RSRC2:TGID_Z_EN: 0
; COMPUTE_PGM_RSRC2:TIDIG_COMP_CNT: 0
; COMPUTE_PGM_RSRC3_GFX90A:ACCUM_OFFSET: 0
; COMPUTE_PGM_RSRC3_GFX90A:TG_SPLIT: 0
	.section	.text._ZN7rocprim17ROCPRIM_400000_NS6detail17trampoline_kernelINS0_14default_configENS1_35radix_sort_onesweep_config_selectorIsNS0_10empty_typeEEEZNS1_34radix_sort_onesweep_global_offsetsIS3_Lb0EPsPS5_mNS0_19identity_decomposerEEE10hipError_tT1_T2_PT3_SE_jT4_jjP12ihipStream_tbEUlT_E0_NS1_11comp_targetILNS1_3genE6ELNS1_11target_archE950ELNS1_3gpuE13ELNS1_3repE0EEENS1_52radix_sort_onesweep_histogram_config_static_selectorELNS0_4arch9wavefront6targetE1EEEvSC_,"axG",@progbits,_ZN7rocprim17ROCPRIM_400000_NS6detail17trampoline_kernelINS0_14default_configENS1_35radix_sort_onesweep_config_selectorIsNS0_10empty_typeEEEZNS1_34radix_sort_onesweep_global_offsetsIS3_Lb0EPsPS5_mNS0_19identity_decomposerEEE10hipError_tT1_T2_PT3_SE_jT4_jjP12ihipStream_tbEUlT_E0_NS1_11comp_targetILNS1_3genE6ELNS1_11target_archE950ELNS1_3gpuE13ELNS1_3repE0EEENS1_52radix_sort_onesweep_histogram_config_static_selectorELNS0_4arch9wavefront6targetE1EEEvSC_,comdat
	.protected	_ZN7rocprim17ROCPRIM_400000_NS6detail17trampoline_kernelINS0_14default_configENS1_35radix_sort_onesweep_config_selectorIsNS0_10empty_typeEEEZNS1_34radix_sort_onesweep_global_offsetsIS3_Lb0EPsPS5_mNS0_19identity_decomposerEEE10hipError_tT1_T2_PT3_SE_jT4_jjP12ihipStream_tbEUlT_E0_NS1_11comp_targetILNS1_3genE6ELNS1_11target_archE950ELNS1_3gpuE13ELNS1_3repE0EEENS1_52radix_sort_onesweep_histogram_config_static_selectorELNS0_4arch9wavefront6targetE1EEEvSC_ ; -- Begin function _ZN7rocprim17ROCPRIM_400000_NS6detail17trampoline_kernelINS0_14default_configENS1_35radix_sort_onesweep_config_selectorIsNS0_10empty_typeEEEZNS1_34radix_sort_onesweep_global_offsetsIS3_Lb0EPsPS5_mNS0_19identity_decomposerEEE10hipError_tT1_T2_PT3_SE_jT4_jjP12ihipStream_tbEUlT_E0_NS1_11comp_targetILNS1_3genE6ELNS1_11target_archE950ELNS1_3gpuE13ELNS1_3repE0EEENS1_52radix_sort_onesweep_histogram_config_static_selectorELNS0_4arch9wavefront6targetE1EEEvSC_
	.globl	_ZN7rocprim17ROCPRIM_400000_NS6detail17trampoline_kernelINS0_14default_configENS1_35radix_sort_onesweep_config_selectorIsNS0_10empty_typeEEEZNS1_34radix_sort_onesweep_global_offsetsIS3_Lb0EPsPS5_mNS0_19identity_decomposerEEE10hipError_tT1_T2_PT3_SE_jT4_jjP12ihipStream_tbEUlT_E0_NS1_11comp_targetILNS1_3genE6ELNS1_11target_archE950ELNS1_3gpuE13ELNS1_3repE0EEENS1_52radix_sort_onesweep_histogram_config_static_selectorELNS0_4arch9wavefront6targetE1EEEvSC_
	.p2align	8
	.type	_ZN7rocprim17ROCPRIM_400000_NS6detail17trampoline_kernelINS0_14default_configENS1_35radix_sort_onesweep_config_selectorIsNS0_10empty_typeEEEZNS1_34radix_sort_onesweep_global_offsetsIS3_Lb0EPsPS5_mNS0_19identity_decomposerEEE10hipError_tT1_T2_PT3_SE_jT4_jjP12ihipStream_tbEUlT_E0_NS1_11comp_targetILNS1_3genE6ELNS1_11target_archE950ELNS1_3gpuE13ELNS1_3repE0EEENS1_52radix_sort_onesweep_histogram_config_static_selectorELNS0_4arch9wavefront6targetE1EEEvSC_,@function
_ZN7rocprim17ROCPRIM_400000_NS6detail17trampoline_kernelINS0_14default_configENS1_35radix_sort_onesweep_config_selectorIsNS0_10empty_typeEEEZNS1_34radix_sort_onesweep_global_offsetsIS3_Lb0EPsPS5_mNS0_19identity_decomposerEEE10hipError_tT1_T2_PT3_SE_jT4_jjP12ihipStream_tbEUlT_E0_NS1_11comp_targetILNS1_3genE6ELNS1_11target_archE950ELNS1_3gpuE13ELNS1_3repE0EEENS1_52radix_sort_onesweep_histogram_config_static_selectorELNS0_4arch9wavefront6targetE1EEEvSC_: ; @_ZN7rocprim17ROCPRIM_400000_NS6detail17trampoline_kernelINS0_14default_configENS1_35radix_sort_onesweep_config_selectorIsNS0_10empty_typeEEEZNS1_34radix_sort_onesweep_global_offsetsIS3_Lb0EPsPS5_mNS0_19identity_decomposerEEE10hipError_tT1_T2_PT3_SE_jT4_jjP12ihipStream_tbEUlT_E0_NS1_11comp_targetILNS1_3genE6ELNS1_11target_archE950ELNS1_3gpuE13ELNS1_3repE0EEENS1_52radix_sort_onesweep_histogram_config_static_selectorELNS0_4arch9wavefront6targetE1EEEvSC_
; %bb.0:
	.section	.rodata,"a",@progbits
	.p2align	6, 0x0
	.amdhsa_kernel _ZN7rocprim17ROCPRIM_400000_NS6detail17trampoline_kernelINS0_14default_configENS1_35radix_sort_onesweep_config_selectorIsNS0_10empty_typeEEEZNS1_34radix_sort_onesweep_global_offsetsIS3_Lb0EPsPS5_mNS0_19identity_decomposerEEE10hipError_tT1_T2_PT3_SE_jT4_jjP12ihipStream_tbEUlT_E0_NS1_11comp_targetILNS1_3genE6ELNS1_11target_archE950ELNS1_3gpuE13ELNS1_3repE0EEENS1_52radix_sort_onesweep_histogram_config_static_selectorELNS0_4arch9wavefront6targetE1EEEvSC_
		.amdhsa_group_segment_fixed_size 0
		.amdhsa_private_segment_fixed_size 0
		.amdhsa_kernarg_size 8
		.amdhsa_user_sgpr_count 6
		.amdhsa_user_sgpr_private_segment_buffer 1
		.amdhsa_user_sgpr_dispatch_ptr 0
		.amdhsa_user_sgpr_queue_ptr 0
		.amdhsa_user_sgpr_kernarg_segment_ptr 1
		.amdhsa_user_sgpr_dispatch_id 0
		.amdhsa_user_sgpr_flat_scratch_init 0
		.amdhsa_user_sgpr_kernarg_preload_length 0
		.amdhsa_user_sgpr_kernarg_preload_offset 0
		.amdhsa_user_sgpr_private_segment_size 0
		.amdhsa_uses_dynamic_stack 0
		.amdhsa_system_sgpr_private_segment_wavefront_offset 0
		.amdhsa_system_sgpr_workgroup_id_x 1
		.amdhsa_system_sgpr_workgroup_id_y 0
		.amdhsa_system_sgpr_workgroup_id_z 0
		.amdhsa_system_sgpr_workgroup_info 0
		.amdhsa_system_vgpr_workitem_id 0
		.amdhsa_next_free_vgpr 1
		.amdhsa_next_free_sgpr 0
		.amdhsa_accum_offset 4
		.amdhsa_reserve_vcc 0
		.amdhsa_reserve_flat_scratch 0
		.amdhsa_float_round_mode_32 0
		.amdhsa_float_round_mode_16_64 0
		.amdhsa_float_denorm_mode_32 3
		.amdhsa_float_denorm_mode_16_64 3
		.amdhsa_dx10_clamp 1
		.amdhsa_ieee_mode 1
		.amdhsa_fp16_overflow 0
		.amdhsa_tg_split 0
		.amdhsa_exception_fp_ieee_invalid_op 0
		.amdhsa_exception_fp_denorm_src 0
		.amdhsa_exception_fp_ieee_div_zero 0
		.amdhsa_exception_fp_ieee_overflow 0
		.amdhsa_exception_fp_ieee_underflow 0
		.amdhsa_exception_fp_ieee_inexact 0
		.amdhsa_exception_int_div_zero 0
	.end_amdhsa_kernel
	.section	.text._ZN7rocprim17ROCPRIM_400000_NS6detail17trampoline_kernelINS0_14default_configENS1_35radix_sort_onesweep_config_selectorIsNS0_10empty_typeEEEZNS1_34radix_sort_onesweep_global_offsetsIS3_Lb0EPsPS5_mNS0_19identity_decomposerEEE10hipError_tT1_T2_PT3_SE_jT4_jjP12ihipStream_tbEUlT_E0_NS1_11comp_targetILNS1_3genE6ELNS1_11target_archE950ELNS1_3gpuE13ELNS1_3repE0EEENS1_52radix_sort_onesweep_histogram_config_static_selectorELNS0_4arch9wavefront6targetE1EEEvSC_,"axG",@progbits,_ZN7rocprim17ROCPRIM_400000_NS6detail17trampoline_kernelINS0_14default_configENS1_35radix_sort_onesweep_config_selectorIsNS0_10empty_typeEEEZNS1_34radix_sort_onesweep_global_offsetsIS3_Lb0EPsPS5_mNS0_19identity_decomposerEEE10hipError_tT1_T2_PT3_SE_jT4_jjP12ihipStream_tbEUlT_E0_NS1_11comp_targetILNS1_3genE6ELNS1_11target_archE950ELNS1_3gpuE13ELNS1_3repE0EEENS1_52radix_sort_onesweep_histogram_config_static_selectorELNS0_4arch9wavefront6targetE1EEEvSC_,comdat
.Lfunc_end422:
	.size	_ZN7rocprim17ROCPRIM_400000_NS6detail17trampoline_kernelINS0_14default_configENS1_35radix_sort_onesweep_config_selectorIsNS0_10empty_typeEEEZNS1_34radix_sort_onesweep_global_offsetsIS3_Lb0EPsPS5_mNS0_19identity_decomposerEEE10hipError_tT1_T2_PT3_SE_jT4_jjP12ihipStream_tbEUlT_E0_NS1_11comp_targetILNS1_3genE6ELNS1_11target_archE950ELNS1_3gpuE13ELNS1_3repE0EEENS1_52radix_sort_onesweep_histogram_config_static_selectorELNS0_4arch9wavefront6targetE1EEEvSC_, .Lfunc_end422-_ZN7rocprim17ROCPRIM_400000_NS6detail17trampoline_kernelINS0_14default_configENS1_35radix_sort_onesweep_config_selectorIsNS0_10empty_typeEEEZNS1_34radix_sort_onesweep_global_offsetsIS3_Lb0EPsPS5_mNS0_19identity_decomposerEEE10hipError_tT1_T2_PT3_SE_jT4_jjP12ihipStream_tbEUlT_E0_NS1_11comp_targetILNS1_3genE6ELNS1_11target_archE950ELNS1_3gpuE13ELNS1_3repE0EEENS1_52radix_sort_onesweep_histogram_config_static_selectorELNS0_4arch9wavefront6targetE1EEEvSC_
                                        ; -- End function
	.section	.AMDGPU.csdata,"",@progbits
; Kernel info:
; codeLenInByte = 0
; NumSgprs: 4
; NumVgprs: 0
; NumAgprs: 0
; TotalNumVgprs: 0
; ScratchSize: 0
; MemoryBound: 0
; FloatMode: 240
; IeeeMode: 1
; LDSByteSize: 0 bytes/workgroup (compile time only)
; SGPRBlocks: 0
; VGPRBlocks: 0
; NumSGPRsForWavesPerEU: 4
; NumVGPRsForWavesPerEU: 1
; AccumOffset: 4
; Occupancy: 8
; WaveLimiterHint : 0
; COMPUTE_PGM_RSRC2:SCRATCH_EN: 0
; COMPUTE_PGM_RSRC2:USER_SGPR: 6
; COMPUTE_PGM_RSRC2:TRAP_HANDLER: 0
; COMPUTE_PGM_RSRC2:TGID_X_EN: 1
; COMPUTE_PGM_RSRC2:TGID_Y_EN: 0
; COMPUTE_PGM_RSRC2:TGID_Z_EN: 0
; COMPUTE_PGM_RSRC2:TIDIG_COMP_CNT: 0
; COMPUTE_PGM_RSRC3_GFX90A:ACCUM_OFFSET: 0
; COMPUTE_PGM_RSRC3_GFX90A:TG_SPLIT: 0
	.section	.text._ZN7rocprim17ROCPRIM_400000_NS6detail17trampoline_kernelINS0_14default_configENS1_35radix_sort_onesweep_config_selectorIsNS0_10empty_typeEEEZNS1_34radix_sort_onesweep_global_offsetsIS3_Lb0EPsPS5_mNS0_19identity_decomposerEEE10hipError_tT1_T2_PT3_SE_jT4_jjP12ihipStream_tbEUlT_E0_NS1_11comp_targetILNS1_3genE5ELNS1_11target_archE942ELNS1_3gpuE9ELNS1_3repE0EEENS1_52radix_sort_onesweep_histogram_config_static_selectorELNS0_4arch9wavefront6targetE1EEEvSC_,"axG",@progbits,_ZN7rocprim17ROCPRIM_400000_NS6detail17trampoline_kernelINS0_14default_configENS1_35radix_sort_onesweep_config_selectorIsNS0_10empty_typeEEEZNS1_34radix_sort_onesweep_global_offsetsIS3_Lb0EPsPS5_mNS0_19identity_decomposerEEE10hipError_tT1_T2_PT3_SE_jT4_jjP12ihipStream_tbEUlT_E0_NS1_11comp_targetILNS1_3genE5ELNS1_11target_archE942ELNS1_3gpuE9ELNS1_3repE0EEENS1_52radix_sort_onesweep_histogram_config_static_selectorELNS0_4arch9wavefront6targetE1EEEvSC_,comdat
	.protected	_ZN7rocprim17ROCPRIM_400000_NS6detail17trampoline_kernelINS0_14default_configENS1_35radix_sort_onesweep_config_selectorIsNS0_10empty_typeEEEZNS1_34radix_sort_onesweep_global_offsetsIS3_Lb0EPsPS5_mNS0_19identity_decomposerEEE10hipError_tT1_T2_PT3_SE_jT4_jjP12ihipStream_tbEUlT_E0_NS1_11comp_targetILNS1_3genE5ELNS1_11target_archE942ELNS1_3gpuE9ELNS1_3repE0EEENS1_52radix_sort_onesweep_histogram_config_static_selectorELNS0_4arch9wavefront6targetE1EEEvSC_ ; -- Begin function _ZN7rocprim17ROCPRIM_400000_NS6detail17trampoline_kernelINS0_14default_configENS1_35radix_sort_onesweep_config_selectorIsNS0_10empty_typeEEEZNS1_34radix_sort_onesweep_global_offsetsIS3_Lb0EPsPS5_mNS0_19identity_decomposerEEE10hipError_tT1_T2_PT3_SE_jT4_jjP12ihipStream_tbEUlT_E0_NS1_11comp_targetILNS1_3genE5ELNS1_11target_archE942ELNS1_3gpuE9ELNS1_3repE0EEENS1_52radix_sort_onesweep_histogram_config_static_selectorELNS0_4arch9wavefront6targetE1EEEvSC_
	.globl	_ZN7rocprim17ROCPRIM_400000_NS6detail17trampoline_kernelINS0_14default_configENS1_35radix_sort_onesweep_config_selectorIsNS0_10empty_typeEEEZNS1_34radix_sort_onesweep_global_offsetsIS3_Lb0EPsPS5_mNS0_19identity_decomposerEEE10hipError_tT1_T2_PT3_SE_jT4_jjP12ihipStream_tbEUlT_E0_NS1_11comp_targetILNS1_3genE5ELNS1_11target_archE942ELNS1_3gpuE9ELNS1_3repE0EEENS1_52radix_sort_onesweep_histogram_config_static_selectorELNS0_4arch9wavefront6targetE1EEEvSC_
	.p2align	8
	.type	_ZN7rocprim17ROCPRIM_400000_NS6detail17trampoline_kernelINS0_14default_configENS1_35radix_sort_onesweep_config_selectorIsNS0_10empty_typeEEEZNS1_34radix_sort_onesweep_global_offsetsIS3_Lb0EPsPS5_mNS0_19identity_decomposerEEE10hipError_tT1_T2_PT3_SE_jT4_jjP12ihipStream_tbEUlT_E0_NS1_11comp_targetILNS1_3genE5ELNS1_11target_archE942ELNS1_3gpuE9ELNS1_3repE0EEENS1_52radix_sort_onesweep_histogram_config_static_selectorELNS0_4arch9wavefront6targetE1EEEvSC_,@function
_ZN7rocprim17ROCPRIM_400000_NS6detail17trampoline_kernelINS0_14default_configENS1_35radix_sort_onesweep_config_selectorIsNS0_10empty_typeEEEZNS1_34radix_sort_onesweep_global_offsetsIS3_Lb0EPsPS5_mNS0_19identity_decomposerEEE10hipError_tT1_T2_PT3_SE_jT4_jjP12ihipStream_tbEUlT_E0_NS1_11comp_targetILNS1_3genE5ELNS1_11target_archE942ELNS1_3gpuE9ELNS1_3repE0EEENS1_52radix_sort_onesweep_histogram_config_static_selectorELNS0_4arch9wavefront6targetE1EEEvSC_: ; @_ZN7rocprim17ROCPRIM_400000_NS6detail17trampoline_kernelINS0_14default_configENS1_35radix_sort_onesweep_config_selectorIsNS0_10empty_typeEEEZNS1_34radix_sort_onesweep_global_offsetsIS3_Lb0EPsPS5_mNS0_19identity_decomposerEEE10hipError_tT1_T2_PT3_SE_jT4_jjP12ihipStream_tbEUlT_E0_NS1_11comp_targetILNS1_3genE5ELNS1_11target_archE942ELNS1_3gpuE9ELNS1_3repE0EEENS1_52radix_sort_onesweep_histogram_config_static_selectorELNS0_4arch9wavefront6targetE1EEEvSC_
; %bb.0:
	.section	.rodata,"a",@progbits
	.p2align	6, 0x0
	.amdhsa_kernel _ZN7rocprim17ROCPRIM_400000_NS6detail17trampoline_kernelINS0_14default_configENS1_35radix_sort_onesweep_config_selectorIsNS0_10empty_typeEEEZNS1_34radix_sort_onesweep_global_offsetsIS3_Lb0EPsPS5_mNS0_19identity_decomposerEEE10hipError_tT1_T2_PT3_SE_jT4_jjP12ihipStream_tbEUlT_E0_NS1_11comp_targetILNS1_3genE5ELNS1_11target_archE942ELNS1_3gpuE9ELNS1_3repE0EEENS1_52radix_sort_onesweep_histogram_config_static_selectorELNS0_4arch9wavefront6targetE1EEEvSC_
		.amdhsa_group_segment_fixed_size 0
		.amdhsa_private_segment_fixed_size 0
		.amdhsa_kernarg_size 8
		.amdhsa_user_sgpr_count 6
		.amdhsa_user_sgpr_private_segment_buffer 1
		.amdhsa_user_sgpr_dispatch_ptr 0
		.amdhsa_user_sgpr_queue_ptr 0
		.amdhsa_user_sgpr_kernarg_segment_ptr 1
		.amdhsa_user_sgpr_dispatch_id 0
		.amdhsa_user_sgpr_flat_scratch_init 0
		.amdhsa_user_sgpr_kernarg_preload_length 0
		.amdhsa_user_sgpr_kernarg_preload_offset 0
		.amdhsa_user_sgpr_private_segment_size 0
		.amdhsa_uses_dynamic_stack 0
		.amdhsa_system_sgpr_private_segment_wavefront_offset 0
		.amdhsa_system_sgpr_workgroup_id_x 1
		.amdhsa_system_sgpr_workgroup_id_y 0
		.amdhsa_system_sgpr_workgroup_id_z 0
		.amdhsa_system_sgpr_workgroup_info 0
		.amdhsa_system_vgpr_workitem_id 0
		.amdhsa_next_free_vgpr 1
		.amdhsa_next_free_sgpr 0
		.amdhsa_accum_offset 4
		.amdhsa_reserve_vcc 0
		.amdhsa_reserve_flat_scratch 0
		.amdhsa_float_round_mode_32 0
		.amdhsa_float_round_mode_16_64 0
		.amdhsa_float_denorm_mode_32 3
		.amdhsa_float_denorm_mode_16_64 3
		.amdhsa_dx10_clamp 1
		.amdhsa_ieee_mode 1
		.amdhsa_fp16_overflow 0
		.amdhsa_tg_split 0
		.amdhsa_exception_fp_ieee_invalid_op 0
		.amdhsa_exception_fp_denorm_src 0
		.amdhsa_exception_fp_ieee_div_zero 0
		.amdhsa_exception_fp_ieee_overflow 0
		.amdhsa_exception_fp_ieee_underflow 0
		.amdhsa_exception_fp_ieee_inexact 0
		.amdhsa_exception_int_div_zero 0
	.end_amdhsa_kernel
	.section	.text._ZN7rocprim17ROCPRIM_400000_NS6detail17trampoline_kernelINS0_14default_configENS1_35radix_sort_onesweep_config_selectorIsNS0_10empty_typeEEEZNS1_34radix_sort_onesweep_global_offsetsIS3_Lb0EPsPS5_mNS0_19identity_decomposerEEE10hipError_tT1_T2_PT3_SE_jT4_jjP12ihipStream_tbEUlT_E0_NS1_11comp_targetILNS1_3genE5ELNS1_11target_archE942ELNS1_3gpuE9ELNS1_3repE0EEENS1_52radix_sort_onesweep_histogram_config_static_selectorELNS0_4arch9wavefront6targetE1EEEvSC_,"axG",@progbits,_ZN7rocprim17ROCPRIM_400000_NS6detail17trampoline_kernelINS0_14default_configENS1_35radix_sort_onesweep_config_selectorIsNS0_10empty_typeEEEZNS1_34radix_sort_onesweep_global_offsetsIS3_Lb0EPsPS5_mNS0_19identity_decomposerEEE10hipError_tT1_T2_PT3_SE_jT4_jjP12ihipStream_tbEUlT_E0_NS1_11comp_targetILNS1_3genE5ELNS1_11target_archE942ELNS1_3gpuE9ELNS1_3repE0EEENS1_52radix_sort_onesweep_histogram_config_static_selectorELNS0_4arch9wavefront6targetE1EEEvSC_,comdat
.Lfunc_end423:
	.size	_ZN7rocprim17ROCPRIM_400000_NS6detail17trampoline_kernelINS0_14default_configENS1_35radix_sort_onesweep_config_selectorIsNS0_10empty_typeEEEZNS1_34radix_sort_onesweep_global_offsetsIS3_Lb0EPsPS5_mNS0_19identity_decomposerEEE10hipError_tT1_T2_PT3_SE_jT4_jjP12ihipStream_tbEUlT_E0_NS1_11comp_targetILNS1_3genE5ELNS1_11target_archE942ELNS1_3gpuE9ELNS1_3repE0EEENS1_52radix_sort_onesweep_histogram_config_static_selectorELNS0_4arch9wavefront6targetE1EEEvSC_, .Lfunc_end423-_ZN7rocprim17ROCPRIM_400000_NS6detail17trampoline_kernelINS0_14default_configENS1_35radix_sort_onesweep_config_selectorIsNS0_10empty_typeEEEZNS1_34radix_sort_onesweep_global_offsetsIS3_Lb0EPsPS5_mNS0_19identity_decomposerEEE10hipError_tT1_T2_PT3_SE_jT4_jjP12ihipStream_tbEUlT_E0_NS1_11comp_targetILNS1_3genE5ELNS1_11target_archE942ELNS1_3gpuE9ELNS1_3repE0EEENS1_52radix_sort_onesweep_histogram_config_static_selectorELNS0_4arch9wavefront6targetE1EEEvSC_
                                        ; -- End function
	.section	.AMDGPU.csdata,"",@progbits
; Kernel info:
; codeLenInByte = 0
; NumSgprs: 4
; NumVgprs: 0
; NumAgprs: 0
; TotalNumVgprs: 0
; ScratchSize: 0
; MemoryBound: 0
; FloatMode: 240
; IeeeMode: 1
; LDSByteSize: 0 bytes/workgroup (compile time only)
; SGPRBlocks: 0
; VGPRBlocks: 0
; NumSGPRsForWavesPerEU: 4
; NumVGPRsForWavesPerEU: 1
; AccumOffset: 4
; Occupancy: 8
; WaveLimiterHint : 0
; COMPUTE_PGM_RSRC2:SCRATCH_EN: 0
; COMPUTE_PGM_RSRC2:USER_SGPR: 6
; COMPUTE_PGM_RSRC2:TRAP_HANDLER: 0
; COMPUTE_PGM_RSRC2:TGID_X_EN: 1
; COMPUTE_PGM_RSRC2:TGID_Y_EN: 0
; COMPUTE_PGM_RSRC2:TGID_Z_EN: 0
; COMPUTE_PGM_RSRC2:TIDIG_COMP_CNT: 0
; COMPUTE_PGM_RSRC3_GFX90A:ACCUM_OFFSET: 0
; COMPUTE_PGM_RSRC3_GFX90A:TG_SPLIT: 0
	.section	.text._ZN7rocprim17ROCPRIM_400000_NS6detail17trampoline_kernelINS0_14default_configENS1_35radix_sort_onesweep_config_selectorIsNS0_10empty_typeEEEZNS1_34radix_sort_onesweep_global_offsetsIS3_Lb0EPsPS5_mNS0_19identity_decomposerEEE10hipError_tT1_T2_PT3_SE_jT4_jjP12ihipStream_tbEUlT_E0_NS1_11comp_targetILNS1_3genE2ELNS1_11target_archE906ELNS1_3gpuE6ELNS1_3repE0EEENS1_52radix_sort_onesweep_histogram_config_static_selectorELNS0_4arch9wavefront6targetE1EEEvSC_,"axG",@progbits,_ZN7rocprim17ROCPRIM_400000_NS6detail17trampoline_kernelINS0_14default_configENS1_35radix_sort_onesweep_config_selectorIsNS0_10empty_typeEEEZNS1_34radix_sort_onesweep_global_offsetsIS3_Lb0EPsPS5_mNS0_19identity_decomposerEEE10hipError_tT1_T2_PT3_SE_jT4_jjP12ihipStream_tbEUlT_E0_NS1_11comp_targetILNS1_3genE2ELNS1_11target_archE906ELNS1_3gpuE6ELNS1_3repE0EEENS1_52radix_sort_onesweep_histogram_config_static_selectorELNS0_4arch9wavefront6targetE1EEEvSC_,comdat
	.protected	_ZN7rocprim17ROCPRIM_400000_NS6detail17trampoline_kernelINS0_14default_configENS1_35radix_sort_onesweep_config_selectorIsNS0_10empty_typeEEEZNS1_34radix_sort_onesweep_global_offsetsIS3_Lb0EPsPS5_mNS0_19identity_decomposerEEE10hipError_tT1_T2_PT3_SE_jT4_jjP12ihipStream_tbEUlT_E0_NS1_11comp_targetILNS1_3genE2ELNS1_11target_archE906ELNS1_3gpuE6ELNS1_3repE0EEENS1_52radix_sort_onesweep_histogram_config_static_selectorELNS0_4arch9wavefront6targetE1EEEvSC_ ; -- Begin function _ZN7rocprim17ROCPRIM_400000_NS6detail17trampoline_kernelINS0_14default_configENS1_35radix_sort_onesweep_config_selectorIsNS0_10empty_typeEEEZNS1_34radix_sort_onesweep_global_offsetsIS3_Lb0EPsPS5_mNS0_19identity_decomposerEEE10hipError_tT1_T2_PT3_SE_jT4_jjP12ihipStream_tbEUlT_E0_NS1_11comp_targetILNS1_3genE2ELNS1_11target_archE906ELNS1_3gpuE6ELNS1_3repE0EEENS1_52radix_sort_onesweep_histogram_config_static_selectorELNS0_4arch9wavefront6targetE1EEEvSC_
	.globl	_ZN7rocprim17ROCPRIM_400000_NS6detail17trampoline_kernelINS0_14default_configENS1_35radix_sort_onesweep_config_selectorIsNS0_10empty_typeEEEZNS1_34radix_sort_onesweep_global_offsetsIS3_Lb0EPsPS5_mNS0_19identity_decomposerEEE10hipError_tT1_T2_PT3_SE_jT4_jjP12ihipStream_tbEUlT_E0_NS1_11comp_targetILNS1_3genE2ELNS1_11target_archE906ELNS1_3gpuE6ELNS1_3repE0EEENS1_52radix_sort_onesweep_histogram_config_static_selectorELNS0_4arch9wavefront6targetE1EEEvSC_
	.p2align	8
	.type	_ZN7rocprim17ROCPRIM_400000_NS6detail17trampoline_kernelINS0_14default_configENS1_35radix_sort_onesweep_config_selectorIsNS0_10empty_typeEEEZNS1_34radix_sort_onesweep_global_offsetsIS3_Lb0EPsPS5_mNS0_19identity_decomposerEEE10hipError_tT1_T2_PT3_SE_jT4_jjP12ihipStream_tbEUlT_E0_NS1_11comp_targetILNS1_3genE2ELNS1_11target_archE906ELNS1_3gpuE6ELNS1_3repE0EEENS1_52radix_sort_onesweep_histogram_config_static_selectorELNS0_4arch9wavefront6targetE1EEEvSC_,@function
_ZN7rocprim17ROCPRIM_400000_NS6detail17trampoline_kernelINS0_14default_configENS1_35radix_sort_onesweep_config_selectorIsNS0_10empty_typeEEEZNS1_34radix_sort_onesweep_global_offsetsIS3_Lb0EPsPS5_mNS0_19identity_decomposerEEE10hipError_tT1_T2_PT3_SE_jT4_jjP12ihipStream_tbEUlT_E0_NS1_11comp_targetILNS1_3genE2ELNS1_11target_archE906ELNS1_3gpuE6ELNS1_3repE0EEENS1_52radix_sort_onesweep_histogram_config_static_selectorELNS0_4arch9wavefront6targetE1EEEvSC_: ; @_ZN7rocprim17ROCPRIM_400000_NS6detail17trampoline_kernelINS0_14default_configENS1_35radix_sort_onesweep_config_selectorIsNS0_10empty_typeEEEZNS1_34radix_sort_onesweep_global_offsetsIS3_Lb0EPsPS5_mNS0_19identity_decomposerEEE10hipError_tT1_T2_PT3_SE_jT4_jjP12ihipStream_tbEUlT_E0_NS1_11comp_targetILNS1_3genE2ELNS1_11target_archE906ELNS1_3gpuE6ELNS1_3repE0EEENS1_52radix_sort_onesweep_histogram_config_static_selectorELNS0_4arch9wavefront6targetE1EEEvSC_
; %bb.0:
	.section	.rodata,"a",@progbits
	.p2align	6, 0x0
	.amdhsa_kernel _ZN7rocprim17ROCPRIM_400000_NS6detail17trampoline_kernelINS0_14default_configENS1_35radix_sort_onesweep_config_selectorIsNS0_10empty_typeEEEZNS1_34radix_sort_onesweep_global_offsetsIS3_Lb0EPsPS5_mNS0_19identity_decomposerEEE10hipError_tT1_T2_PT3_SE_jT4_jjP12ihipStream_tbEUlT_E0_NS1_11comp_targetILNS1_3genE2ELNS1_11target_archE906ELNS1_3gpuE6ELNS1_3repE0EEENS1_52radix_sort_onesweep_histogram_config_static_selectorELNS0_4arch9wavefront6targetE1EEEvSC_
		.amdhsa_group_segment_fixed_size 0
		.amdhsa_private_segment_fixed_size 0
		.amdhsa_kernarg_size 8
		.amdhsa_user_sgpr_count 6
		.amdhsa_user_sgpr_private_segment_buffer 1
		.amdhsa_user_sgpr_dispatch_ptr 0
		.amdhsa_user_sgpr_queue_ptr 0
		.amdhsa_user_sgpr_kernarg_segment_ptr 1
		.amdhsa_user_sgpr_dispatch_id 0
		.amdhsa_user_sgpr_flat_scratch_init 0
		.amdhsa_user_sgpr_kernarg_preload_length 0
		.amdhsa_user_sgpr_kernarg_preload_offset 0
		.amdhsa_user_sgpr_private_segment_size 0
		.amdhsa_uses_dynamic_stack 0
		.amdhsa_system_sgpr_private_segment_wavefront_offset 0
		.amdhsa_system_sgpr_workgroup_id_x 1
		.amdhsa_system_sgpr_workgroup_id_y 0
		.amdhsa_system_sgpr_workgroup_id_z 0
		.amdhsa_system_sgpr_workgroup_info 0
		.amdhsa_system_vgpr_workitem_id 0
		.amdhsa_next_free_vgpr 1
		.amdhsa_next_free_sgpr 0
		.amdhsa_accum_offset 4
		.amdhsa_reserve_vcc 0
		.amdhsa_reserve_flat_scratch 0
		.amdhsa_float_round_mode_32 0
		.amdhsa_float_round_mode_16_64 0
		.amdhsa_float_denorm_mode_32 3
		.amdhsa_float_denorm_mode_16_64 3
		.amdhsa_dx10_clamp 1
		.amdhsa_ieee_mode 1
		.amdhsa_fp16_overflow 0
		.amdhsa_tg_split 0
		.amdhsa_exception_fp_ieee_invalid_op 0
		.amdhsa_exception_fp_denorm_src 0
		.amdhsa_exception_fp_ieee_div_zero 0
		.amdhsa_exception_fp_ieee_overflow 0
		.amdhsa_exception_fp_ieee_underflow 0
		.amdhsa_exception_fp_ieee_inexact 0
		.amdhsa_exception_int_div_zero 0
	.end_amdhsa_kernel
	.section	.text._ZN7rocprim17ROCPRIM_400000_NS6detail17trampoline_kernelINS0_14default_configENS1_35radix_sort_onesweep_config_selectorIsNS0_10empty_typeEEEZNS1_34radix_sort_onesweep_global_offsetsIS3_Lb0EPsPS5_mNS0_19identity_decomposerEEE10hipError_tT1_T2_PT3_SE_jT4_jjP12ihipStream_tbEUlT_E0_NS1_11comp_targetILNS1_3genE2ELNS1_11target_archE906ELNS1_3gpuE6ELNS1_3repE0EEENS1_52radix_sort_onesweep_histogram_config_static_selectorELNS0_4arch9wavefront6targetE1EEEvSC_,"axG",@progbits,_ZN7rocprim17ROCPRIM_400000_NS6detail17trampoline_kernelINS0_14default_configENS1_35radix_sort_onesweep_config_selectorIsNS0_10empty_typeEEEZNS1_34radix_sort_onesweep_global_offsetsIS3_Lb0EPsPS5_mNS0_19identity_decomposerEEE10hipError_tT1_T2_PT3_SE_jT4_jjP12ihipStream_tbEUlT_E0_NS1_11comp_targetILNS1_3genE2ELNS1_11target_archE906ELNS1_3gpuE6ELNS1_3repE0EEENS1_52radix_sort_onesweep_histogram_config_static_selectorELNS0_4arch9wavefront6targetE1EEEvSC_,comdat
.Lfunc_end424:
	.size	_ZN7rocprim17ROCPRIM_400000_NS6detail17trampoline_kernelINS0_14default_configENS1_35radix_sort_onesweep_config_selectorIsNS0_10empty_typeEEEZNS1_34radix_sort_onesweep_global_offsetsIS3_Lb0EPsPS5_mNS0_19identity_decomposerEEE10hipError_tT1_T2_PT3_SE_jT4_jjP12ihipStream_tbEUlT_E0_NS1_11comp_targetILNS1_3genE2ELNS1_11target_archE906ELNS1_3gpuE6ELNS1_3repE0EEENS1_52radix_sort_onesweep_histogram_config_static_selectorELNS0_4arch9wavefront6targetE1EEEvSC_, .Lfunc_end424-_ZN7rocprim17ROCPRIM_400000_NS6detail17trampoline_kernelINS0_14default_configENS1_35radix_sort_onesweep_config_selectorIsNS0_10empty_typeEEEZNS1_34radix_sort_onesweep_global_offsetsIS3_Lb0EPsPS5_mNS0_19identity_decomposerEEE10hipError_tT1_T2_PT3_SE_jT4_jjP12ihipStream_tbEUlT_E0_NS1_11comp_targetILNS1_3genE2ELNS1_11target_archE906ELNS1_3gpuE6ELNS1_3repE0EEENS1_52radix_sort_onesweep_histogram_config_static_selectorELNS0_4arch9wavefront6targetE1EEEvSC_
                                        ; -- End function
	.section	.AMDGPU.csdata,"",@progbits
; Kernel info:
; codeLenInByte = 0
; NumSgprs: 4
; NumVgprs: 0
; NumAgprs: 0
; TotalNumVgprs: 0
; ScratchSize: 0
; MemoryBound: 0
; FloatMode: 240
; IeeeMode: 1
; LDSByteSize: 0 bytes/workgroup (compile time only)
; SGPRBlocks: 0
; VGPRBlocks: 0
; NumSGPRsForWavesPerEU: 4
; NumVGPRsForWavesPerEU: 1
; AccumOffset: 4
; Occupancy: 8
; WaveLimiterHint : 0
; COMPUTE_PGM_RSRC2:SCRATCH_EN: 0
; COMPUTE_PGM_RSRC2:USER_SGPR: 6
; COMPUTE_PGM_RSRC2:TRAP_HANDLER: 0
; COMPUTE_PGM_RSRC2:TGID_X_EN: 1
; COMPUTE_PGM_RSRC2:TGID_Y_EN: 0
; COMPUTE_PGM_RSRC2:TGID_Z_EN: 0
; COMPUTE_PGM_RSRC2:TIDIG_COMP_CNT: 0
; COMPUTE_PGM_RSRC3_GFX90A:ACCUM_OFFSET: 0
; COMPUTE_PGM_RSRC3_GFX90A:TG_SPLIT: 0
	.section	.text._ZN7rocprim17ROCPRIM_400000_NS6detail17trampoline_kernelINS0_14default_configENS1_35radix_sort_onesweep_config_selectorIsNS0_10empty_typeEEEZNS1_34radix_sort_onesweep_global_offsetsIS3_Lb0EPsPS5_mNS0_19identity_decomposerEEE10hipError_tT1_T2_PT3_SE_jT4_jjP12ihipStream_tbEUlT_E0_NS1_11comp_targetILNS1_3genE4ELNS1_11target_archE910ELNS1_3gpuE8ELNS1_3repE0EEENS1_52radix_sort_onesweep_histogram_config_static_selectorELNS0_4arch9wavefront6targetE1EEEvSC_,"axG",@progbits,_ZN7rocprim17ROCPRIM_400000_NS6detail17trampoline_kernelINS0_14default_configENS1_35radix_sort_onesweep_config_selectorIsNS0_10empty_typeEEEZNS1_34radix_sort_onesweep_global_offsetsIS3_Lb0EPsPS5_mNS0_19identity_decomposerEEE10hipError_tT1_T2_PT3_SE_jT4_jjP12ihipStream_tbEUlT_E0_NS1_11comp_targetILNS1_3genE4ELNS1_11target_archE910ELNS1_3gpuE8ELNS1_3repE0EEENS1_52radix_sort_onesweep_histogram_config_static_selectorELNS0_4arch9wavefront6targetE1EEEvSC_,comdat
	.protected	_ZN7rocprim17ROCPRIM_400000_NS6detail17trampoline_kernelINS0_14default_configENS1_35radix_sort_onesweep_config_selectorIsNS0_10empty_typeEEEZNS1_34radix_sort_onesweep_global_offsetsIS3_Lb0EPsPS5_mNS0_19identity_decomposerEEE10hipError_tT1_T2_PT3_SE_jT4_jjP12ihipStream_tbEUlT_E0_NS1_11comp_targetILNS1_3genE4ELNS1_11target_archE910ELNS1_3gpuE8ELNS1_3repE0EEENS1_52radix_sort_onesweep_histogram_config_static_selectorELNS0_4arch9wavefront6targetE1EEEvSC_ ; -- Begin function _ZN7rocprim17ROCPRIM_400000_NS6detail17trampoline_kernelINS0_14default_configENS1_35radix_sort_onesweep_config_selectorIsNS0_10empty_typeEEEZNS1_34radix_sort_onesweep_global_offsetsIS3_Lb0EPsPS5_mNS0_19identity_decomposerEEE10hipError_tT1_T2_PT3_SE_jT4_jjP12ihipStream_tbEUlT_E0_NS1_11comp_targetILNS1_3genE4ELNS1_11target_archE910ELNS1_3gpuE8ELNS1_3repE0EEENS1_52radix_sort_onesweep_histogram_config_static_selectorELNS0_4arch9wavefront6targetE1EEEvSC_
	.globl	_ZN7rocprim17ROCPRIM_400000_NS6detail17trampoline_kernelINS0_14default_configENS1_35radix_sort_onesweep_config_selectorIsNS0_10empty_typeEEEZNS1_34radix_sort_onesweep_global_offsetsIS3_Lb0EPsPS5_mNS0_19identity_decomposerEEE10hipError_tT1_T2_PT3_SE_jT4_jjP12ihipStream_tbEUlT_E0_NS1_11comp_targetILNS1_3genE4ELNS1_11target_archE910ELNS1_3gpuE8ELNS1_3repE0EEENS1_52radix_sort_onesweep_histogram_config_static_selectorELNS0_4arch9wavefront6targetE1EEEvSC_
	.p2align	8
	.type	_ZN7rocprim17ROCPRIM_400000_NS6detail17trampoline_kernelINS0_14default_configENS1_35radix_sort_onesweep_config_selectorIsNS0_10empty_typeEEEZNS1_34radix_sort_onesweep_global_offsetsIS3_Lb0EPsPS5_mNS0_19identity_decomposerEEE10hipError_tT1_T2_PT3_SE_jT4_jjP12ihipStream_tbEUlT_E0_NS1_11comp_targetILNS1_3genE4ELNS1_11target_archE910ELNS1_3gpuE8ELNS1_3repE0EEENS1_52radix_sort_onesweep_histogram_config_static_selectorELNS0_4arch9wavefront6targetE1EEEvSC_,@function
_ZN7rocprim17ROCPRIM_400000_NS6detail17trampoline_kernelINS0_14default_configENS1_35radix_sort_onesweep_config_selectorIsNS0_10empty_typeEEEZNS1_34radix_sort_onesweep_global_offsetsIS3_Lb0EPsPS5_mNS0_19identity_decomposerEEE10hipError_tT1_T2_PT3_SE_jT4_jjP12ihipStream_tbEUlT_E0_NS1_11comp_targetILNS1_3genE4ELNS1_11target_archE910ELNS1_3gpuE8ELNS1_3repE0EEENS1_52radix_sort_onesweep_histogram_config_static_selectorELNS0_4arch9wavefront6targetE1EEEvSC_: ; @_ZN7rocprim17ROCPRIM_400000_NS6detail17trampoline_kernelINS0_14default_configENS1_35radix_sort_onesweep_config_selectorIsNS0_10empty_typeEEEZNS1_34radix_sort_onesweep_global_offsetsIS3_Lb0EPsPS5_mNS0_19identity_decomposerEEE10hipError_tT1_T2_PT3_SE_jT4_jjP12ihipStream_tbEUlT_E0_NS1_11comp_targetILNS1_3genE4ELNS1_11target_archE910ELNS1_3gpuE8ELNS1_3repE0EEENS1_52radix_sort_onesweep_histogram_config_static_selectorELNS0_4arch9wavefront6targetE1EEEvSC_
; %bb.0:
	s_load_dwordx2 s[0:1], s[4:5], 0x0
	s_lshl_b32 s2, s6, 8
	s_mov_b32 s3, 0
	s_lshl_b64 s[2:3], s[2:3], 3
	v_lshlrev_b32_e32 v5, 3, v0
	s_waitcnt lgkmcnt(0)
	s_add_u32 s14, s0, s2
	s_movk_i32 s0, 0x100
	s_addc_u32 s15, s1, s3
	v_cmp_gt_u32_e32 vcc, s0, v0
                                        ; implicit-def: $vgpr2_vgpr3
	s_and_saveexec_b64 s[0:1], vcc
	s_cbranch_execz .LBB425_2
; %bb.1:
	global_load_dwordx2 v[2:3], v5, s[14:15]
.LBB425_2:
	s_or_b64 exec, exec, s[0:1]
	s_waitcnt vmcnt(0)
	v_mov_b32_dpp v4, v2 row_shr:1 row_mask:0xf bank_mask:0xf
	v_add_co_u32_e64 v4, s[0:1], v2, v4
	v_mbcnt_lo_u32_b32 v1, -1, 0
	v_addc_co_u32_e64 v8, s[0:1], 0, v3, s[0:1]
	v_mbcnt_hi_u32_b32 v6, -1, v1
	v_mov_b32_dpp v7, v3 row_shr:1 row_mask:0xf bank_mask:0xf
	v_add_co_u32_e64 v9, s[0:1], 0, v4
	v_and_b32_e32 v1, 15, v6
	v_addc_co_u32_e64 v7, s[0:1], v7, v8, s[0:1]
	v_cmp_eq_u32_e64 s[0:1], 0, v1
	v_cndmask_b32_e64 v4, v4, v2, s[0:1]
	v_cndmask_b32_e64 v7, v7, v3, s[0:1]
	v_cndmask_b32_e64 v8, v9, v2, s[0:1]
	v_mov_b32_dpp v9, v4 row_shr:2 row_mask:0xf bank_mask:0xf
	v_mov_b32_dpp v10, v7 row_shr:2 row_mask:0xf bank_mask:0xf
	v_add_co_u32_e64 v9, s[2:3], v9, v8
	v_cmp_lt_u32_e64 s[4:5], 1, v1
	v_addc_co_u32_e64 v10, s[2:3], v10, v7, s[2:3]
	v_cndmask_b32_e64 v4, v4, v9, s[4:5]
	v_cndmask_b32_e64 v7, v7, v10, s[4:5]
	v_cndmask_b32_e64 v8, v8, v9, s[4:5]
	v_mov_b32_dpp v9, v4 row_shr:4 row_mask:0xf bank_mask:0xf
	v_mov_b32_dpp v10, v7 row_shr:4 row_mask:0xf bank_mask:0xf
	v_add_co_u32_e64 v9, s[2:3], v9, v8
	v_cmp_lt_u32_e64 s[6:7], 3, v1
	v_addc_co_u32_e64 v10, s[2:3], v10, v7, s[2:3]
	;; [unrolled: 8-line block ×3, first 2 shown]
	v_cndmask_b32_e64 v11, v4, v9, s[8:9]
	v_cndmask_b32_e64 v1, v7, v10, s[8:9]
	;; [unrolled: 1-line block ×3, first 2 shown]
	v_mov_b32_dpp v7, v11 row_bcast:15 row_mask:0xf bank_mask:0xf
	v_mov_b32_dpp v8, v1 row_bcast:15 row_mask:0xf bank_mask:0xf
	v_and_b32_e32 v10, 16, v6
	v_add_co_u32_e64 v7, s[2:3], v7, v4
	v_addc_co_u32_e64 v9, s[2:3], v8, v1, s[2:3]
	v_cmp_eq_u32_e64 s[10:11], 0, v10
	v_cndmask_b32_e64 v10, v9, v1, s[10:11]
	v_cndmask_b32_e64 v8, v7, v11, s[10:11]
	v_cmp_eq_u32_e64 s[2:3], 0, v6
	v_mov_b32_dpp v10, v10 row_bcast:31 row_mask:0xf bank_mask:0xf
	v_mov_b32_dpp v8, v8 row_bcast:31 row_mask:0xf bank_mask:0xf
	v_cmp_ne_u32_e64 s[12:13], 0, v6
	s_and_saveexec_b64 s[16:17], s[12:13]
; %bb.3:
	v_cndmask_b32_e64 v1, v9, v1, s[10:11]
	v_cndmask_b32_e64 v2, v7, v4, s[10:11]
	v_cmp_lt_u32_e64 s[10:11], 31, v6
	v_cndmask_b32_e64 v4, 0, v8, s[10:11]
	v_cndmask_b32_e64 v3, 0, v10, s[10:11]
	v_add_co_u32_e64 v2, s[10:11], v4, v2
	v_addc_co_u32_e64 v3, s[10:11], v3, v1, s[10:11]
; %bb.4:
	s_or_b64 exec, exec, s[16:17]
	v_and_b32_e32 v1, 63, v0
	v_lshrrev_b32_e32 v4, 6, v0
	v_cmp_eq_u32_e64 s[10:11], 63, v1
	s_and_saveexec_b64 s[12:13], s[10:11]
	s_cbranch_execz .LBB425_6
; %bb.5:
	v_lshlrev_b32_e32 v1, 3, v4
	ds_write_b64 v1, v[2:3]
.LBB425_6:
	s_or_b64 exec, exec, s[12:13]
	v_cmp_gt_u32_e64 s[10:11], 16, v0
	s_waitcnt lgkmcnt(0)
	s_barrier
	s_and_saveexec_b64 s[12:13], s[10:11]
	s_cbranch_execz .LBB425_8
; %bb.7:
	ds_read_b64 v[8:9], v5
	s_waitcnt lgkmcnt(0)
	s_nop 0
	v_mov_b32_dpp v1, v8 row_shr:1 row_mask:0xf bank_mask:0xf
	v_add_co_u32_e64 v1, s[10:11], v8, v1
	v_addc_co_u32_e64 v10, s[10:11], 0, v9, s[10:11]
	v_mov_b32_dpp v7, v9 row_shr:1 row_mask:0xf bank_mask:0xf
	v_add_co_u32_e64 v11, s[10:11], 0, v1
	v_addc_co_u32_e64 v7, s[10:11], v7, v10, s[10:11]
	v_cndmask_b32_e64 v1, v1, v8, s[0:1]
	v_cndmask_b32_e64 v7, v7, v9, s[0:1]
	v_cndmask_b32_e64 v10, v11, v8, s[0:1]
	v_mov_b32_dpp v11, v1 row_shr:2 row_mask:0xf bank_mask:0xf
	v_mov_b32_dpp v12, v7 row_shr:2 row_mask:0xf bank_mask:0xf
	v_add_co_u32_e64 v11, s[10:11], v11, v10
	v_addc_co_u32_e64 v12, s[10:11], v12, v7, s[10:11]
	v_cndmask_b32_e64 v1, v1, v11, s[4:5]
	v_cndmask_b32_e64 v7, v7, v12, s[4:5]
	v_cndmask_b32_e64 v10, v10, v11, s[4:5]
	v_mov_b32_dpp v11, v1 row_shr:4 row_mask:0xf bank_mask:0xf
	v_mov_b32_dpp v12, v7 row_shr:4 row_mask:0xf bank_mask:0xf
	v_add_co_u32_e64 v11, s[4:5], v11, v10
	v_addc_co_u32_e64 v12, s[4:5], v12, v7, s[4:5]
	v_cndmask_b32_e64 v1, v1, v11, s[6:7]
	v_cndmask_b32_e64 v7, v7, v12, s[6:7]
	v_cndmask_b32_e64 v10, v10, v11, s[6:7]
	v_mov_b32_dpp v1, v1 row_shr:8 row_mask:0xf bank_mask:0xf
	v_mov_b32_dpp v12, v7 row_shr:8 row_mask:0xf bank_mask:0xf
	v_cndmask_b32_e64 v1, 0, v1, s[8:9]
	v_cndmask_b32_e64 v11, 0, v12, s[8:9]
	v_add_co_u32_e64 v1, s[4:5], v1, v10
	v_addc_co_u32_e64 v7, s[4:5], v11, v7, s[4:5]
	v_cndmask_b32_e64 v9, v7, v9, s[0:1]
	v_cndmask_b32_e64 v8, v1, v8, s[0:1]
	ds_write_b64 v5, v[8:9]
.LBB425_8:
	s_or_b64 exec, exec, s[12:13]
	v_cmp_lt_u32_e64 s[0:1], 63, v0
	v_pk_mov_b32 v[0:1], 0, 0
	s_waitcnt lgkmcnt(0)
	s_barrier
	s_and_saveexec_b64 s[4:5], s[0:1]
	s_cbranch_execz .LBB425_10
; %bb.9:
	v_lshl_add_u32 v0, v4, 3, -8
	ds_read_b64 v[0:1], v0
.LBB425_10:
	s_or_b64 exec, exec, s[4:5]
	s_waitcnt lgkmcnt(0)
	v_add_co_u32_e64 v2, s[0:1], v0, v2
	v_addc_co_u32_e64 v3, s[0:1], v1, v3, s[0:1]
	v_add_u32_e32 v4, -1, v6
	v_and_b32_e32 v7, 64, v6
	v_cmp_lt_i32_e64 s[0:1], v4, v7
	v_cndmask_b32_e64 v4, v4, v6, s[0:1]
	v_lshlrev_b32_e32 v4, 2, v4
	ds_bpermute_b32 v2, v4, v2
	ds_bpermute_b32 v3, v4, v3
	s_and_saveexec_b64 s[0:1], vcc
	s_cbranch_execz .LBB425_12
; %bb.11:
	s_waitcnt lgkmcnt(0)
	v_cndmask_b32_e64 v1, v3, v1, s[2:3]
	v_cndmask_b32_e64 v0, v2, v0, s[2:3]
	global_store_dwordx2 v5, v[0:1], s[14:15]
.LBB425_12:
	s_endpgm
	.section	.rodata,"a",@progbits
	.p2align	6, 0x0
	.amdhsa_kernel _ZN7rocprim17ROCPRIM_400000_NS6detail17trampoline_kernelINS0_14default_configENS1_35radix_sort_onesweep_config_selectorIsNS0_10empty_typeEEEZNS1_34radix_sort_onesweep_global_offsetsIS3_Lb0EPsPS5_mNS0_19identity_decomposerEEE10hipError_tT1_T2_PT3_SE_jT4_jjP12ihipStream_tbEUlT_E0_NS1_11comp_targetILNS1_3genE4ELNS1_11target_archE910ELNS1_3gpuE8ELNS1_3repE0EEENS1_52radix_sort_onesweep_histogram_config_static_selectorELNS0_4arch9wavefront6targetE1EEEvSC_
		.amdhsa_group_segment_fixed_size 128
		.amdhsa_private_segment_fixed_size 0
		.amdhsa_kernarg_size 8
		.amdhsa_user_sgpr_count 6
		.amdhsa_user_sgpr_private_segment_buffer 1
		.amdhsa_user_sgpr_dispatch_ptr 0
		.amdhsa_user_sgpr_queue_ptr 0
		.amdhsa_user_sgpr_kernarg_segment_ptr 1
		.amdhsa_user_sgpr_dispatch_id 0
		.amdhsa_user_sgpr_flat_scratch_init 0
		.amdhsa_user_sgpr_kernarg_preload_length 0
		.amdhsa_user_sgpr_kernarg_preload_offset 0
		.amdhsa_user_sgpr_private_segment_size 0
		.amdhsa_uses_dynamic_stack 0
		.amdhsa_system_sgpr_private_segment_wavefront_offset 0
		.amdhsa_system_sgpr_workgroup_id_x 1
		.amdhsa_system_sgpr_workgroup_id_y 0
		.amdhsa_system_sgpr_workgroup_id_z 0
		.amdhsa_system_sgpr_workgroup_info 0
		.amdhsa_system_vgpr_workitem_id 0
		.amdhsa_next_free_vgpr 13
		.amdhsa_next_free_sgpr 18
		.amdhsa_accum_offset 16
		.amdhsa_reserve_vcc 1
		.amdhsa_reserve_flat_scratch 0
		.amdhsa_float_round_mode_32 0
		.amdhsa_float_round_mode_16_64 0
		.amdhsa_float_denorm_mode_32 3
		.amdhsa_float_denorm_mode_16_64 3
		.amdhsa_dx10_clamp 1
		.amdhsa_ieee_mode 1
		.amdhsa_fp16_overflow 0
		.amdhsa_tg_split 0
		.amdhsa_exception_fp_ieee_invalid_op 0
		.amdhsa_exception_fp_denorm_src 0
		.amdhsa_exception_fp_ieee_div_zero 0
		.amdhsa_exception_fp_ieee_overflow 0
		.amdhsa_exception_fp_ieee_underflow 0
		.amdhsa_exception_fp_ieee_inexact 0
		.amdhsa_exception_int_div_zero 0
	.end_amdhsa_kernel
	.section	.text._ZN7rocprim17ROCPRIM_400000_NS6detail17trampoline_kernelINS0_14default_configENS1_35radix_sort_onesweep_config_selectorIsNS0_10empty_typeEEEZNS1_34radix_sort_onesweep_global_offsetsIS3_Lb0EPsPS5_mNS0_19identity_decomposerEEE10hipError_tT1_T2_PT3_SE_jT4_jjP12ihipStream_tbEUlT_E0_NS1_11comp_targetILNS1_3genE4ELNS1_11target_archE910ELNS1_3gpuE8ELNS1_3repE0EEENS1_52radix_sort_onesweep_histogram_config_static_selectorELNS0_4arch9wavefront6targetE1EEEvSC_,"axG",@progbits,_ZN7rocprim17ROCPRIM_400000_NS6detail17trampoline_kernelINS0_14default_configENS1_35radix_sort_onesweep_config_selectorIsNS0_10empty_typeEEEZNS1_34radix_sort_onesweep_global_offsetsIS3_Lb0EPsPS5_mNS0_19identity_decomposerEEE10hipError_tT1_T2_PT3_SE_jT4_jjP12ihipStream_tbEUlT_E0_NS1_11comp_targetILNS1_3genE4ELNS1_11target_archE910ELNS1_3gpuE8ELNS1_3repE0EEENS1_52radix_sort_onesweep_histogram_config_static_selectorELNS0_4arch9wavefront6targetE1EEEvSC_,comdat
.Lfunc_end425:
	.size	_ZN7rocprim17ROCPRIM_400000_NS6detail17trampoline_kernelINS0_14default_configENS1_35radix_sort_onesweep_config_selectorIsNS0_10empty_typeEEEZNS1_34radix_sort_onesweep_global_offsetsIS3_Lb0EPsPS5_mNS0_19identity_decomposerEEE10hipError_tT1_T2_PT3_SE_jT4_jjP12ihipStream_tbEUlT_E0_NS1_11comp_targetILNS1_3genE4ELNS1_11target_archE910ELNS1_3gpuE8ELNS1_3repE0EEENS1_52radix_sort_onesweep_histogram_config_static_selectorELNS0_4arch9wavefront6targetE1EEEvSC_, .Lfunc_end425-_ZN7rocprim17ROCPRIM_400000_NS6detail17trampoline_kernelINS0_14default_configENS1_35radix_sort_onesweep_config_selectorIsNS0_10empty_typeEEEZNS1_34radix_sort_onesweep_global_offsetsIS3_Lb0EPsPS5_mNS0_19identity_decomposerEEE10hipError_tT1_T2_PT3_SE_jT4_jjP12ihipStream_tbEUlT_E0_NS1_11comp_targetILNS1_3genE4ELNS1_11target_archE910ELNS1_3gpuE8ELNS1_3repE0EEENS1_52radix_sort_onesweep_histogram_config_static_selectorELNS0_4arch9wavefront6targetE1EEEvSC_
                                        ; -- End function
	.section	.AMDGPU.csdata,"",@progbits
; Kernel info:
; codeLenInByte = 1012
; NumSgprs: 22
; NumVgprs: 13
; NumAgprs: 0
; TotalNumVgprs: 13
; ScratchSize: 0
; MemoryBound: 0
; FloatMode: 240
; IeeeMode: 1
; LDSByteSize: 128 bytes/workgroup (compile time only)
; SGPRBlocks: 2
; VGPRBlocks: 1
; NumSGPRsForWavesPerEU: 22
; NumVGPRsForWavesPerEU: 13
; AccumOffset: 16
; Occupancy: 8
; WaveLimiterHint : 0
; COMPUTE_PGM_RSRC2:SCRATCH_EN: 0
; COMPUTE_PGM_RSRC2:USER_SGPR: 6
; COMPUTE_PGM_RSRC2:TRAP_HANDLER: 0
; COMPUTE_PGM_RSRC2:TGID_X_EN: 1
; COMPUTE_PGM_RSRC2:TGID_Y_EN: 0
; COMPUTE_PGM_RSRC2:TGID_Z_EN: 0
; COMPUTE_PGM_RSRC2:TIDIG_COMP_CNT: 0
; COMPUTE_PGM_RSRC3_GFX90A:ACCUM_OFFSET: 3
; COMPUTE_PGM_RSRC3_GFX90A:TG_SPLIT: 0
	.section	.text._ZN7rocprim17ROCPRIM_400000_NS6detail17trampoline_kernelINS0_14default_configENS1_35radix_sort_onesweep_config_selectorIsNS0_10empty_typeEEEZNS1_34radix_sort_onesweep_global_offsetsIS3_Lb0EPsPS5_mNS0_19identity_decomposerEEE10hipError_tT1_T2_PT3_SE_jT4_jjP12ihipStream_tbEUlT_E0_NS1_11comp_targetILNS1_3genE3ELNS1_11target_archE908ELNS1_3gpuE7ELNS1_3repE0EEENS1_52radix_sort_onesweep_histogram_config_static_selectorELNS0_4arch9wavefront6targetE1EEEvSC_,"axG",@progbits,_ZN7rocprim17ROCPRIM_400000_NS6detail17trampoline_kernelINS0_14default_configENS1_35radix_sort_onesweep_config_selectorIsNS0_10empty_typeEEEZNS1_34radix_sort_onesweep_global_offsetsIS3_Lb0EPsPS5_mNS0_19identity_decomposerEEE10hipError_tT1_T2_PT3_SE_jT4_jjP12ihipStream_tbEUlT_E0_NS1_11comp_targetILNS1_3genE3ELNS1_11target_archE908ELNS1_3gpuE7ELNS1_3repE0EEENS1_52radix_sort_onesweep_histogram_config_static_selectorELNS0_4arch9wavefront6targetE1EEEvSC_,comdat
	.protected	_ZN7rocprim17ROCPRIM_400000_NS6detail17trampoline_kernelINS0_14default_configENS1_35radix_sort_onesweep_config_selectorIsNS0_10empty_typeEEEZNS1_34radix_sort_onesweep_global_offsetsIS3_Lb0EPsPS5_mNS0_19identity_decomposerEEE10hipError_tT1_T2_PT3_SE_jT4_jjP12ihipStream_tbEUlT_E0_NS1_11comp_targetILNS1_3genE3ELNS1_11target_archE908ELNS1_3gpuE7ELNS1_3repE0EEENS1_52radix_sort_onesweep_histogram_config_static_selectorELNS0_4arch9wavefront6targetE1EEEvSC_ ; -- Begin function _ZN7rocprim17ROCPRIM_400000_NS6detail17trampoline_kernelINS0_14default_configENS1_35radix_sort_onesweep_config_selectorIsNS0_10empty_typeEEEZNS1_34radix_sort_onesweep_global_offsetsIS3_Lb0EPsPS5_mNS0_19identity_decomposerEEE10hipError_tT1_T2_PT3_SE_jT4_jjP12ihipStream_tbEUlT_E0_NS1_11comp_targetILNS1_3genE3ELNS1_11target_archE908ELNS1_3gpuE7ELNS1_3repE0EEENS1_52radix_sort_onesweep_histogram_config_static_selectorELNS0_4arch9wavefront6targetE1EEEvSC_
	.globl	_ZN7rocprim17ROCPRIM_400000_NS6detail17trampoline_kernelINS0_14default_configENS1_35radix_sort_onesweep_config_selectorIsNS0_10empty_typeEEEZNS1_34radix_sort_onesweep_global_offsetsIS3_Lb0EPsPS5_mNS0_19identity_decomposerEEE10hipError_tT1_T2_PT3_SE_jT4_jjP12ihipStream_tbEUlT_E0_NS1_11comp_targetILNS1_3genE3ELNS1_11target_archE908ELNS1_3gpuE7ELNS1_3repE0EEENS1_52radix_sort_onesweep_histogram_config_static_selectorELNS0_4arch9wavefront6targetE1EEEvSC_
	.p2align	8
	.type	_ZN7rocprim17ROCPRIM_400000_NS6detail17trampoline_kernelINS0_14default_configENS1_35radix_sort_onesweep_config_selectorIsNS0_10empty_typeEEEZNS1_34radix_sort_onesweep_global_offsetsIS3_Lb0EPsPS5_mNS0_19identity_decomposerEEE10hipError_tT1_T2_PT3_SE_jT4_jjP12ihipStream_tbEUlT_E0_NS1_11comp_targetILNS1_3genE3ELNS1_11target_archE908ELNS1_3gpuE7ELNS1_3repE0EEENS1_52radix_sort_onesweep_histogram_config_static_selectorELNS0_4arch9wavefront6targetE1EEEvSC_,@function
_ZN7rocprim17ROCPRIM_400000_NS6detail17trampoline_kernelINS0_14default_configENS1_35radix_sort_onesweep_config_selectorIsNS0_10empty_typeEEEZNS1_34radix_sort_onesweep_global_offsetsIS3_Lb0EPsPS5_mNS0_19identity_decomposerEEE10hipError_tT1_T2_PT3_SE_jT4_jjP12ihipStream_tbEUlT_E0_NS1_11comp_targetILNS1_3genE3ELNS1_11target_archE908ELNS1_3gpuE7ELNS1_3repE0EEENS1_52radix_sort_onesweep_histogram_config_static_selectorELNS0_4arch9wavefront6targetE1EEEvSC_: ; @_ZN7rocprim17ROCPRIM_400000_NS6detail17trampoline_kernelINS0_14default_configENS1_35radix_sort_onesweep_config_selectorIsNS0_10empty_typeEEEZNS1_34radix_sort_onesweep_global_offsetsIS3_Lb0EPsPS5_mNS0_19identity_decomposerEEE10hipError_tT1_T2_PT3_SE_jT4_jjP12ihipStream_tbEUlT_E0_NS1_11comp_targetILNS1_3genE3ELNS1_11target_archE908ELNS1_3gpuE7ELNS1_3repE0EEENS1_52radix_sort_onesweep_histogram_config_static_selectorELNS0_4arch9wavefront6targetE1EEEvSC_
; %bb.0:
	.section	.rodata,"a",@progbits
	.p2align	6, 0x0
	.amdhsa_kernel _ZN7rocprim17ROCPRIM_400000_NS6detail17trampoline_kernelINS0_14default_configENS1_35radix_sort_onesweep_config_selectorIsNS0_10empty_typeEEEZNS1_34radix_sort_onesweep_global_offsetsIS3_Lb0EPsPS5_mNS0_19identity_decomposerEEE10hipError_tT1_T2_PT3_SE_jT4_jjP12ihipStream_tbEUlT_E0_NS1_11comp_targetILNS1_3genE3ELNS1_11target_archE908ELNS1_3gpuE7ELNS1_3repE0EEENS1_52radix_sort_onesweep_histogram_config_static_selectorELNS0_4arch9wavefront6targetE1EEEvSC_
		.amdhsa_group_segment_fixed_size 0
		.amdhsa_private_segment_fixed_size 0
		.amdhsa_kernarg_size 8
		.amdhsa_user_sgpr_count 6
		.amdhsa_user_sgpr_private_segment_buffer 1
		.amdhsa_user_sgpr_dispatch_ptr 0
		.amdhsa_user_sgpr_queue_ptr 0
		.amdhsa_user_sgpr_kernarg_segment_ptr 1
		.amdhsa_user_sgpr_dispatch_id 0
		.amdhsa_user_sgpr_flat_scratch_init 0
		.amdhsa_user_sgpr_kernarg_preload_length 0
		.amdhsa_user_sgpr_kernarg_preload_offset 0
		.amdhsa_user_sgpr_private_segment_size 0
		.amdhsa_uses_dynamic_stack 0
		.amdhsa_system_sgpr_private_segment_wavefront_offset 0
		.amdhsa_system_sgpr_workgroup_id_x 1
		.amdhsa_system_sgpr_workgroup_id_y 0
		.amdhsa_system_sgpr_workgroup_id_z 0
		.amdhsa_system_sgpr_workgroup_info 0
		.amdhsa_system_vgpr_workitem_id 0
		.amdhsa_next_free_vgpr 1
		.amdhsa_next_free_sgpr 0
		.amdhsa_accum_offset 4
		.amdhsa_reserve_vcc 0
		.amdhsa_reserve_flat_scratch 0
		.amdhsa_float_round_mode_32 0
		.amdhsa_float_round_mode_16_64 0
		.amdhsa_float_denorm_mode_32 3
		.amdhsa_float_denorm_mode_16_64 3
		.amdhsa_dx10_clamp 1
		.amdhsa_ieee_mode 1
		.amdhsa_fp16_overflow 0
		.amdhsa_tg_split 0
		.amdhsa_exception_fp_ieee_invalid_op 0
		.amdhsa_exception_fp_denorm_src 0
		.amdhsa_exception_fp_ieee_div_zero 0
		.amdhsa_exception_fp_ieee_overflow 0
		.amdhsa_exception_fp_ieee_underflow 0
		.amdhsa_exception_fp_ieee_inexact 0
		.amdhsa_exception_int_div_zero 0
	.end_amdhsa_kernel
	.section	.text._ZN7rocprim17ROCPRIM_400000_NS6detail17trampoline_kernelINS0_14default_configENS1_35radix_sort_onesweep_config_selectorIsNS0_10empty_typeEEEZNS1_34radix_sort_onesweep_global_offsetsIS3_Lb0EPsPS5_mNS0_19identity_decomposerEEE10hipError_tT1_T2_PT3_SE_jT4_jjP12ihipStream_tbEUlT_E0_NS1_11comp_targetILNS1_3genE3ELNS1_11target_archE908ELNS1_3gpuE7ELNS1_3repE0EEENS1_52radix_sort_onesweep_histogram_config_static_selectorELNS0_4arch9wavefront6targetE1EEEvSC_,"axG",@progbits,_ZN7rocprim17ROCPRIM_400000_NS6detail17trampoline_kernelINS0_14default_configENS1_35radix_sort_onesweep_config_selectorIsNS0_10empty_typeEEEZNS1_34radix_sort_onesweep_global_offsetsIS3_Lb0EPsPS5_mNS0_19identity_decomposerEEE10hipError_tT1_T2_PT3_SE_jT4_jjP12ihipStream_tbEUlT_E0_NS1_11comp_targetILNS1_3genE3ELNS1_11target_archE908ELNS1_3gpuE7ELNS1_3repE0EEENS1_52radix_sort_onesweep_histogram_config_static_selectorELNS0_4arch9wavefront6targetE1EEEvSC_,comdat
.Lfunc_end426:
	.size	_ZN7rocprim17ROCPRIM_400000_NS6detail17trampoline_kernelINS0_14default_configENS1_35radix_sort_onesweep_config_selectorIsNS0_10empty_typeEEEZNS1_34radix_sort_onesweep_global_offsetsIS3_Lb0EPsPS5_mNS0_19identity_decomposerEEE10hipError_tT1_T2_PT3_SE_jT4_jjP12ihipStream_tbEUlT_E0_NS1_11comp_targetILNS1_3genE3ELNS1_11target_archE908ELNS1_3gpuE7ELNS1_3repE0EEENS1_52radix_sort_onesweep_histogram_config_static_selectorELNS0_4arch9wavefront6targetE1EEEvSC_, .Lfunc_end426-_ZN7rocprim17ROCPRIM_400000_NS6detail17trampoline_kernelINS0_14default_configENS1_35radix_sort_onesweep_config_selectorIsNS0_10empty_typeEEEZNS1_34radix_sort_onesweep_global_offsetsIS3_Lb0EPsPS5_mNS0_19identity_decomposerEEE10hipError_tT1_T2_PT3_SE_jT4_jjP12ihipStream_tbEUlT_E0_NS1_11comp_targetILNS1_3genE3ELNS1_11target_archE908ELNS1_3gpuE7ELNS1_3repE0EEENS1_52radix_sort_onesweep_histogram_config_static_selectorELNS0_4arch9wavefront6targetE1EEEvSC_
                                        ; -- End function
	.section	.AMDGPU.csdata,"",@progbits
; Kernel info:
; codeLenInByte = 0
; NumSgprs: 4
; NumVgprs: 0
; NumAgprs: 0
; TotalNumVgprs: 0
; ScratchSize: 0
; MemoryBound: 0
; FloatMode: 240
; IeeeMode: 1
; LDSByteSize: 0 bytes/workgroup (compile time only)
; SGPRBlocks: 0
; VGPRBlocks: 0
; NumSGPRsForWavesPerEU: 4
; NumVGPRsForWavesPerEU: 1
; AccumOffset: 4
; Occupancy: 8
; WaveLimiterHint : 0
; COMPUTE_PGM_RSRC2:SCRATCH_EN: 0
; COMPUTE_PGM_RSRC2:USER_SGPR: 6
; COMPUTE_PGM_RSRC2:TRAP_HANDLER: 0
; COMPUTE_PGM_RSRC2:TGID_X_EN: 1
; COMPUTE_PGM_RSRC2:TGID_Y_EN: 0
; COMPUTE_PGM_RSRC2:TGID_Z_EN: 0
; COMPUTE_PGM_RSRC2:TIDIG_COMP_CNT: 0
; COMPUTE_PGM_RSRC3_GFX90A:ACCUM_OFFSET: 0
; COMPUTE_PGM_RSRC3_GFX90A:TG_SPLIT: 0
	.section	.text._ZN7rocprim17ROCPRIM_400000_NS6detail17trampoline_kernelINS0_14default_configENS1_35radix_sort_onesweep_config_selectorIsNS0_10empty_typeEEEZNS1_34radix_sort_onesweep_global_offsetsIS3_Lb0EPsPS5_mNS0_19identity_decomposerEEE10hipError_tT1_T2_PT3_SE_jT4_jjP12ihipStream_tbEUlT_E0_NS1_11comp_targetILNS1_3genE10ELNS1_11target_archE1201ELNS1_3gpuE5ELNS1_3repE0EEENS1_52radix_sort_onesweep_histogram_config_static_selectorELNS0_4arch9wavefront6targetE1EEEvSC_,"axG",@progbits,_ZN7rocprim17ROCPRIM_400000_NS6detail17trampoline_kernelINS0_14default_configENS1_35radix_sort_onesweep_config_selectorIsNS0_10empty_typeEEEZNS1_34radix_sort_onesweep_global_offsetsIS3_Lb0EPsPS5_mNS0_19identity_decomposerEEE10hipError_tT1_T2_PT3_SE_jT4_jjP12ihipStream_tbEUlT_E0_NS1_11comp_targetILNS1_3genE10ELNS1_11target_archE1201ELNS1_3gpuE5ELNS1_3repE0EEENS1_52radix_sort_onesweep_histogram_config_static_selectorELNS0_4arch9wavefront6targetE1EEEvSC_,comdat
	.protected	_ZN7rocprim17ROCPRIM_400000_NS6detail17trampoline_kernelINS0_14default_configENS1_35radix_sort_onesweep_config_selectorIsNS0_10empty_typeEEEZNS1_34radix_sort_onesweep_global_offsetsIS3_Lb0EPsPS5_mNS0_19identity_decomposerEEE10hipError_tT1_T2_PT3_SE_jT4_jjP12ihipStream_tbEUlT_E0_NS1_11comp_targetILNS1_3genE10ELNS1_11target_archE1201ELNS1_3gpuE5ELNS1_3repE0EEENS1_52radix_sort_onesweep_histogram_config_static_selectorELNS0_4arch9wavefront6targetE1EEEvSC_ ; -- Begin function _ZN7rocprim17ROCPRIM_400000_NS6detail17trampoline_kernelINS0_14default_configENS1_35radix_sort_onesweep_config_selectorIsNS0_10empty_typeEEEZNS1_34radix_sort_onesweep_global_offsetsIS3_Lb0EPsPS5_mNS0_19identity_decomposerEEE10hipError_tT1_T2_PT3_SE_jT4_jjP12ihipStream_tbEUlT_E0_NS1_11comp_targetILNS1_3genE10ELNS1_11target_archE1201ELNS1_3gpuE5ELNS1_3repE0EEENS1_52radix_sort_onesweep_histogram_config_static_selectorELNS0_4arch9wavefront6targetE1EEEvSC_
	.globl	_ZN7rocprim17ROCPRIM_400000_NS6detail17trampoline_kernelINS0_14default_configENS1_35radix_sort_onesweep_config_selectorIsNS0_10empty_typeEEEZNS1_34radix_sort_onesweep_global_offsetsIS3_Lb0EPsPS5_mNS0_19identity_decomposerEEE10hipError_tT1_T2_PT3_SE_jT4_jjP12ihipStream_tbEUlT_E0_NS1_11comp_targetILNS1_3genE10ELNS1_11target_archE1201ELNS1_3gpuE5ELNS1_3repE0EEENS1_52radix_sort_onesweep_histogram_config_static_selectorELNS0_4arch9wavefront6targetE1EEEvSC_
	.p2align	8
	.type	_ZN7rocprim17ROCPRIM_400000_NS6detail17trampoline_kernelINS0_14default_configENS1_35radix_sort_onesweep_config_selectorIsNS0_10empty_typeEEEZNS1_34radix_sort_onesweep_global_offsetsIS3_Lb0EPsPS5_mNS0_19identity_decomposerEEE10hipError_tT1_T2_PT3_SE_jT4_jjP12ihipStream_tbEUlT_E0_NS1_11comp_targetILNS1_3genE10ELNS1_11target_archE1201ELNS1_3gpuE5ELNS1_3repE0EEENS1_52radix_sort_onesweep_histogram_config_static_selectorELNS0_4arch9wavefront6targetE1EEEvSC_,@function
_ZN7rocprim17ROCPRIM_400000_NS6detail17trampoline_kernelINS0_14default_configENS1_35radix_sort_onesweep_config_selectorIsNS0_10empty_typeEEEZNS1_34radix_sort_onesweep_global_offsetsIS3_Lb0EPsPS5_mNS0_19identity_decomposerEEE10hipError_tT1_T2_PT3_SE_jT4_jjP12ihipStream_tbEUlT_E0_NS1_11comp_targetILNS1_3genE10ELNS1_11target_archE1201ELNS1_3gpuE5ELNS1_3repE0EEENS1_52radix_sort_onesweep_histogram_config_static_selectorELNS0_4arch9wavefront6targetE1EEEvSC_: ; @_ZN7rocprim17ROCPRIM_400000_NS6detail17trampoline_kernelINS0_14default_configENS1_35radix_sort_onesweep_config_selectorIsNS0_10empty_typeEEEZNS1_34radix_sort_onesweep_global_offsetsIS3_Lb0EPsPS5_mNS0_19identity_decomposerEEE10hipError_tT1_T2_PT3_SE_jT4_jjP12ihipStream_tbEUlT_E0_NS1_11comp_targetILNS1_3genE10ELNS1_11target_archE1201ELNS1_3gpuE5ELNS1_3repE0EEENS1_52radix_sort_onesweep_histogram_config_static_selectorELNS0_4arch9wavefront6targetE1EEEvSC_
; %bb.0:
	.section	.rodata,"a",@progbits
	.p2align	6, 0x0
	.amdhsa_kernel _ZN7rocprim17ROCPRIM_400000_NS6detail17trampoline_kernelINS0_14default_configENS1_35radix_sort_onesweep_config_selectorIsNS0_10empty_typeEEEZNS1_34radix_sort_onesweep_global_offsetsIS3_Lb0EPsPS5_mNS0_19identity_decomposerEEE10hipError_tT1_T2_PT3_SE_jT4_jjP12ihipStream_tbEUlT_E0_NS1_11comp_targetILNS1_3genE10ELNS1_11target_archE1201ELNS1_3gpuE5ELNS1_3repE0EEENS1_52radix_sort_onesweep_histogram_config_static_selectorELNS0_4arch9wavefront6targetE1EEEvSC_
		.amdhsa_group_segment_fixed_size 0
		.amdhsa_private_segment_fixed_size 0
		.amdhsa_kernarg_size 8
		.amdhsa_user_sgpr_count 6
		.amdhsa_user_sgpr_private_segment_buffer 1
		.amdhsa_user_sgpr_dispatch_ptr 0
		.amdhsa_user_sgpr_queue_ptr 0
		.amdhsa_user_sgpr_kernarg_segment_ptr 1
		.amdhsa_user_sgpr_dispatch_id 0
		.amdhsa_user_sgpr_flat_scratch_init 0
		.amdhsa_user_sgpr_kernarg_preload_length 0
		.amdhsa_user_sgpr_kernarg_preload_offset 0
		.amdhsa_user_sgpr_private_segment_size 0
		.amdhsa_uses_dynamic_stack 0
		.amdhsa_system_sgpr_private_segment_wavefront_offset 0
		.amdhsa_system_sgpr_workgroup_id_x 1
		.amdhsa_system_sgpr_workgroup_id_y 0
		.amdhsa_system_sgpr_workgroup_id_z 0
		.amdhsa_system_sgpr_workgroup_info 0
		.amdhsa_system_vgpr_workitem_id 0
		.amdhsa_next_free_vgpr 1
		.amdhsa_next_free_sgpr 0
		.amdhsa_accum_offset 4
		.amdhsa_reserve_vcc 0
		.amdhsa_reserve_flat_scratch 0
		.amdhsa_float_round_mode_32 0
		.amdhsa_float_round_mode_16_64 0
		.amdhsa_float_denorm_mode_32 3
		.amdhsa_float_denorm_mode_16_64 3
		.amdhsa_dx10_clamp 1
		.amdhsa_ieee_mode 1
		.amdhsa_fp16_overflow 0
		.amdhsa_tg_split 0
		.amdhsa_exception_fp_ieee_invalid_op 0
		.amdhsa_exception_fp_denorm_src 0
		.amdhsa_exception_fp_ieee_div_zero 0
		.amdhsa_exception_fp_ieee_overflow 0
		.amdhsa_exception_fp_ieee_underflow 0
		.amdhsa_exception_fp_ieee_inexact 0
		.amdhsa_exception_int_div_zero 0
	.end_amdhsa_kernel
	.section	.text._ZN7rocprim17ROCPRIM_400000_NS6detail17trampoline_kernelINS0_14default_configENS1_35radix_sort_onesweep_config_selectorIsNS0_10empty_typeEEEZNS1_34radix_sort_onesweep_global_offsetsIS3_Lb0EPsPS5_mNS0_19identity_decomposerEEE10hipError_tT1_T2_PT3_SE_jT4_jjP12ihipStream_tbEUlT_E0_NS1_11comp_targetILNS1_3genE10ELNS1_11target_archE1201ELNS1_3gpuE5ELNS1_3repE0EEENS1_52radix_sort_onesweep_histogram_config_static_selectorELNS0_4arch9wavefront6targetE1EEEvSC_,"axG",@progbits,_ZN7rocprim17ROCPRIM_400000_NS6detail17trampoline_kernelINS0_14default_configENS1_35radix_sort_onesweep_config_selectorIsNS0_10empty_typeEEEZNS1_34radix_sort_onesweep_global_offsetsIS3_Lb0EPsPS5_mNS0_19identity_decomposerEEE10hipError_tT1_T2_PT3_SE_jT4_jjP12ihipStream_tbEUlT_E0_NS1_11comp_targetILNS1_3genE10ELNS1_11target_archE1201ELNS1_3gpuE5ELNS1_3repE0EEENS1_52radix_sort_onesweep_histogram_config_static_selectorELNS0_4arch9wavefront6targetE1EEEvSC_,comdat
.Lfunc_end427:
	.size	_ZN7rocprim17ROCPRIM_400000_NS6detail17trampoline_kernelINS0_14default_configENS1_35radix_sort_onesweep_config_selectorIsNS0_10empty_typeEEEZNS1_34radix_sort_onesweep_global_offsetsIS3_Lb0EPsPS5_mNS0_19identity_decomposerEEE10hipError_tT1_T2_PT3_SE_jT4_jjP12ihipStream_tbEUlT_E0_NS1_11comp_targetILNS1_3genE10ELNS1_11target_archE1201ELNS1_3gpuE5ELNS1_3repE0EEENS1_52radix_sort_onesweep_histogram_config_static_selectorELNS0_4arch9wavefront6targetE1EEEvSC_, .Lfunc_end427-_ZN7rocprim17ROCPRIM_400000_NS6detail17trampoline_kernelINS0_14default_configENS1_35radix_sort_onesweep_config_selectorIsNS0_10empty_typeEEEZNS1_34radix_sort_onesweep_global_offsetsIS3_Lb0EPsPS5_mNS0_19identity_decomposerEEE10hipError_tT1_T2_PT3_SE_jT4_jjP12ihipStream_tbEUlT_E0_NS1_11comp_targetILNS1_3genE10ELNS1_11target_archE1201ELNS1_3gpuE5ELNS1_3repE0EEENS1_52radix_sort_onesweep_histogram_config_static_selectorELNS0_4arch9wavefront6targetE1EEEvSC_
                                        ; -- End function
	.section	.AMDGPU.csdata,"",@progbits
; Kernel info:
; codeLenInByte = 0
; NumSgprs: 4
; NumVgprs: 0
; NumAgprs: 0
; TotalNumVgprs: 0
; ScratchSize: 0
; MemoryBound: 0
; FloatMode: 240
; IeeeMode: 1
; LDSByteSize: 0 bytes/workgroup (compile time only)
; SGPRBlocks: 0
; VGPRBlocks: 0
; NumSGPRsForWavesPerEU: 4
; NumVGPRsForWavesPerEU: 1
; AccumOffset: 4
; Occupancy: 8
; WaveLimiterHint : 0
; COMPUTE_PGM_RSRC2:SCRATCH_EN: 0
; COMPUTE_PGM_RSRC2:USER_SGPR: 6
; COMPUTE_PGM_RSRC2:TRAP_HANDLER: 0
; COMPUTE_PGM_RSRC2:TGID_X_EN: 1
; COMPUTE_PGM_RSRC2:TGID_Y_EN: 0
; COMPUTE_PGM_RSRC2:TGID_Z_EN: 0
; COMPUTE_PGM_RSRC2:TIDIG_COMP_CNT: 0
; COMPUTE_PGM_RSRC3_GFX90A:ACCUM_OFFSET: 0
; COMPUTE_PGM_RSRC3_GFX90A:TG_SPLIT: 0
	.section	.text._ZN7rocprim17ROCPRIM_400000_NS6detail17trampoline_kernelINS0_14default_configENS1_35radix_sort_onesweep_config_selectorIsNS0_10empty_typeEEEZNS1_34radix_sort_onesweep_global_offsetsIS3_Lb0EPsPS5_mNS0_19identity_decomposerEEE10hipError_tT1_T2_PT3_SE_jT4_jjP12ihipStream_tbEUlT_E0_NS1_11comp_targetILNS1_3genE9ELNS1_11target_archE1100ELNS1_3gpuE3ELNS1_3repE0EEENS1_52radix_sort_onesweep_histogram_config_static_selectorELNS0_4arch9wavefront6targetE1EEEvSC_,"axG",@progbits,_ZN7rocprim17ROCPRIM_400000_NS6detail17trampoline_kernelINS0_14default_configENS1_35radix_sort_onesweep_config_selectorIsNS0_10empty_typeEEEZNS1_34radix_sort_onesweep_global_offsetsIS3_Lb0EPsPS5_mNS0_19identity_decomposerEEE10hipError_tT1_T2_PT3_SE_jT4_jjP12ihipStream_tbEUlT_E0_NS1_11comp_targetILNS1_3genE9ELNS1_11target_archE1100ELNS1_3gpuE3ELNS1_3repE0EEENS1_52radix_sort_onesweep_histogram_config_static_selectorELNS0_4arch9wavefront6targetE1EEEvSC_,comdat
	.protected	_ZN7rocprim17ROCPRIM_400000_NS6detail17trampoline_kernelINS0_14default_configENS1_35radix_sort_onesweep_config_selectorIsNS0_10empty_typeEEEZNS1_34radix_sort_onesweep_global_offsetsIS3_Lb0EPsPS5_mNS0_19identity_decomposerEEE10hipError_tT1_T2_PT3_SE_jT4_jjP12ihipStream_tbEUlT_E0_NS1_11comp_targetILNS1_3genE9ELNS1_11target_archE1100ELNS1_3gpuE3ELNS1_3repE0EEENS1_52radix_sort_onesweep_histogram_config_static_selectorELNS0_4arch9wavefront6targetE1EEEvSC_ ; -- Begin function _ZN7rocprim17ROCPRIM_400000_NS6detail17trampoline_kernelINS0_14default_configENS1_35radix_sort_onesweep_config_selectorIsNS0_10empty_typeEEEZNS1_34radix_sort_onesweep_global_offsetsIS3_Lb0EPsPS5_mNS0_19identity_decomposerEEE10hipError_tT1_T2_PT3_SE_jT4_jjP12ihipStream_tbEUlT_E0_NS1_11comp_targetILNS1_3genE9ELNS1_11target_archE1100ELNS1_3gpuE3ELNS1_3repE0EEENS1_52radix_sort_onesweep_histogram_config_static_selectorELNS0_4arch9wavefront6targetE1EEEvSC_
	.globl	_ZN7rocprim17ROCPRIM_400000_NS6detail17trampoline_kernelINS0_14default_configENS1_35radix_sort_onesweep_config_selectorIsNS0_10empty_typeEEEZNS1_34radix_sort_onesweep_global_offsetsIS3_Lb0EPsPS5_mNS0_19identity_decomposerEEE10hipError_tT1_T2_PT3_SE_jT4_jjP12ihipStream_tbEUlT_E0_NS1_11comp_targetILNS1_3genE9ELNS1_11target_archE1100ELNS1_3gpuE3ELNS1_3repE0EEENS1_52radix_sort_onesweep_histogram_config_static_selectorELNS0_4arch9wavefront6targetE1EEEvSC_
	.p2align	8
	.type	_ZN7rocprim17ROCPRIM_400000_NS6detail17trampoline_kernelINS0_14default_configENS1_35radix_sort_onesweep_config_selectorIsNS0_10empty_typeEEEZNS1_34radix_sort_onesweep_global_offsetsIS3_Lb0EPsPS5_mNS0_19identity_decomposerEEE10hipError_tT1_T2_PT3_SE_jT4_jjP12ihipStream_tbEUlT_E0_NS1_11comp_targetILNS1_3genE9ELNS1_11target_archE1100ELNS1_3gpuE3ELNS1_3repE0EEENS1_52radix_sort_onesweep_histogram_config_static_selectorELNS0_4arch9wavefront6targetE1EEEvSC_,@function
_ZN7rocprim17ROCPRIM_400000_NS6detail17trampoline_kernelINS0_14default_configENS1_35radix_sort_onesweep_config_selectorIsNS0_10empty_typeEEEZNS1_34radix_sort_onesweep_global_offsetsIS3_Lb0EPsPS5_mNS0_19identity_decomposerEEE10hipError_tT1_T2_PT3_SE_jT4_jjP12ihipStream_tbEUlT_E0_NS1_11comp_targetILNS1_3genE9ELNS1_11target_archE1100ELNS1_3gpuE3ELNS1_3repE0EEENS1_52radix_sort_onesweep_histogram_config_static_selectorELNS0_4arch9wavefront6targetE1EEEvSC_: ; @_ZN7rocprim17ROCPRIM_400000_NS6detail17trampoline_kernelINS0_14default_configENS1_35radix_sort_onesweep_config_selectorIsNS0_10empty_typeEEEZNS1_34radix_sort_onesweep_global_offsetsIS3_Lb0EPsPS5_mNS0_19identity_decomposerEEE10hipError_tT1_T2_PT3_SE_jT4_jjP12ihipStream_tbEUlT_E0_NS1_11comp_targetILNS1_3genE9ELNS1_11target_archE1100ELNS1_3gpuE3ELNS1_3repE0EEENS1_52radix_sort_onesweep_histogram_config_static_selectorELNS0_4arch9wavefront6targetE1EEEvSC_
; %bb.0:
	.section	.rodata,"a",@progbits
	.p2align	6, 0x0
	.amdhsa_kernel _ZN7rocprim17ROCPRIM_400000_NS6detail17trampoline_kernelINS0_14default_configENS1_35radix_sort_onesweep_config_selectorIsNS0_10empty_typeEEEZNS1_34radix_sort_onesweep_global_offsetsIS3_Lb0EPsPS5_mNS0_19identity_decomposerEEE10hipError_tT1_T2_PT3_SE_jT4_jjP12ihipStream_tbEUlT_E0_NS1_11comp_targetILNS1_3genE9ELNS1_11target_archE1100ELNS1_3gpuE3ELNS1_3repE0EEENS1_52radix_sort_onesweep_histogram_config_static_selectorELNS0_4arch9wavefront6targetE1EEEvSC_
		.amdhsa_group_segment_fixed_size 0
		.amdhsa_private_segment_fixed_size 0
		.amdhsa_kernarg_size 8
		.amdhsa_user_sgpr_count 6
		.amdhsa_user_sgpr_private_segment_buffer 1
		.amdhsa_user_sgpr_dispatch_ptr 0
		.amdhsa_user_sgpr_queue_ptr 0
		.amdhsa_user_sgpr_kernarg_segment_ptr 1
		.amdhsa_user_sgpr_dispatch_id 0
		.amdhsa_user_sgpr_flat_scratch_init 0
		.amdhsa_user_sgpr_kernarg_preload_length 0
		.amdhsa_user_sgpr_kernarg_preload_offset 0
		.amdhsa_user_sgpr_private_segment_size 0
		.amdhsa_uses_dynamic_stack 0
		.amdhsa_system_sgpr_private_segment_wavefront_offset 0
		.amdhsa_system_sgpr_workgroup_id_x 1
		.amdhsa_system_sgpr_workgroup_id_y 0
		.amdhsa_system_sgpr_workgroup_id_z 0
		.amdhsa_system_sgpr_workgroup_info 0
		.amdhsa_system_vgpr_workitem_id 0
		.amdhsa_next_free_vgpr 1
		.amdhsa_next_free_sgpr 0
		.amdhsa_accum_offset 4
		.amdhsa_reserve_vcc 0
		.amdhsa_reserve_flat_scratch 0
		.amdhsa_float_round_mode_32 0
		.amdhsa_float_round_mode_16_64 0
		.amdhsa_float_denorm_mode_32 3
		.amdhsa_float_denorm_mode_16_64 3
		.amdhsa_dx10_clamp 1
		.amdhsa_ieee_mode 1
		.amdhsa_fp16_overflow 0
		.amdhsa_tg_split 0
		.amdhsa_exception_fp_ieee_invalid_op 0
		.amdhsa_exception_fp_denorm_src 0
		.amdhsa_exception_fp_ieee_div_zero 0
		.amdhsa_exception_fp_ieee_overflow 0
		.amdhsa_exception_fp_ieee_underflow 0
		.amdhsa_exception_fp_ieee_inexact 0
		.amdhsa_exception_int_div_zero 0
	.end_amdhsa_kernel
	.section	.text._ZN7rocprim17ROCPRIM_400000_NS6detail17trampoline_kernelINS0_14default_configENS1_35radix_sort_onesweep_config_selectorIsNS0_10empty_typeEEEZNS1_34radix_sort_onesweep_global_offsetsIS3_Lb0EPsPS5_mNS0_19identity_decomposerEEE10hipError_tT1_T2_PT3_SE_jT4_jjP12ihipStream_tbEUlT_E0_NS1_11comp_targetILNS1_3genE9ELNS1_11target_archE1100ELNS1_3gpuE3ELNS1_3repE0EEENS1_52radix_sort_onesweep_histogram_config_static_selectorELNS0_4arch9wavefront6targetE1EEEvSC_,"axG",@progbits,_ZN7rocprim17ROCPRIM_400000_NS6detail17trampoline_kernelINS0_14default_configENS1_35radix_sort_onesweep_config_selectorIsNS0_10empty_typeEEEZNS1_34radix_sort_onesweep_global_offsetsIS3_Lb0EPsPS5_mNS0_19identity_decomposerEEE10hipError_tT1_T2_PT3_SE_jT4_jjP12ihipStream_tbEUlT_E0_NS1_11comp_targetILNS1_3genE9ELNS1_11target_archE1100ELNS1_3gpuE3ELNS1_3repE0EEENS1_52radix_sort_onesweep_histogram_config_static_selectorELNS0_4arch9wavefront6targetE1EEEvSC_,comdat
.Lfunc_end428:
	.size	_ZN7rocprim17ROCPRIM_400000_NS6detail17trampoline_kernelINS0_14default_configENS1_35radix_sort_onesweep_config_selectorIsNS0_10empty_typeEEEZNS1_34radix_sort_onesweep_global_offsetsIS3_Lb0EPsPS5_mNS0_19identity_decomposerEEE10hipError_tT1_T2_PT3_SE_jT4_jjP12ihipStream_tbEUlT_E0_NS1_11comp_targetILNS1_3genE9ELNS1_11target_archE1100ELNS1_3gpuE3ELNS1_3repE0EEENS1_52radix_sort_onesweep_histogram_config_static_selectorELNS0_4arch9wavefront6targetE1EEEvSC_, .Lfunc_end428-_ZN7rocprim17ROCPRIM_400000_NS6detail17trampoline_kernelINS0_14default_configENS1_35radix_sort_onesweep_config_selectorIsNS0_10empty_typeEEEZNS1_34radix_sort_onesweep_global_offsetsIS3_Lb0EPsPS5_mNS0_19identity_decomposerEEE10hipError_tT1_T2_PT3_SE_jT4_jjP12ihipStream_tbEUlT_E0_NS1_11comp_targetILNS1_3genE9ELNS1_11target_archE1100ELNS1_3gpuE3ELNS1_3repE0EEENS1_52radix_sort_onesweep_histogram_config_static_selectorELNS0_4arch9wavefront6targetE1EEEvSC_
                                        ; -- End function
	.section	.AMDGPU.csdata,"",@progbits
; Kernel info:
; codeLenInByte = 0
; NumSgprs: 4
; NumVgprs: 0
; NumAgprs: 0
; TotalNumVgprs: 0
; ScratchSize: 0
; MemoryBound: 0
; FloatMode: 240
; IeeeMode: 1
; LDSByteSize: 0 bytes/workgroup (compile time only)
; SGPRBlocks: 0
; VGPRBlocks: 0
; NumSGPRsForWavesPerEU: 4
; NumVGPRsForWavesPerEU: 1
; AccumOffset: 4
; Occupancy: 8
; WaveLimiterHint : 0
; COMPUTE_PGM_RSRC2:SCRATCH_EN: 0
; COMPUTE_PGM_RSRC2:USER_SGPR: 6
; COMPUTE_PGM_RSRC2:TRAP_HANDLER: 0
; COMPUTE_PGM_RSRC2:TGID_X_EN: 1
; COMPUTE_PGM_RSRC2:TGID_Y_EN: 0
; COMPUTE_PGM_RSRC2:TGID_Z_EN: 0
; COMPUTE_PGM_RSRC2:TIDIG_COMP_CNT: 0
; COMPUTE_PGM_RSRC3_GFX90A:ACCUM_OFFSET: 0
; COMPUTE_PGM_RSRC3_GFX90A:TG_SPLIT: 0
	.section	.text._ZN7rocprim17ROCPRIM_400000_NS6detail17trampoline_kernelINS0_14default_configENS1_35radix_sort_onesweep_config_selectorIsNS0_10empty_typeEEEZNS1_34radix_sort_onesweep_global_offsetsIS3_Lb0EPsPS5_mNS0_19identity_decomposerEEE10hipError_tT1_T2_PT3_SE_jT4_jjP12ihipStream_tbEUlT_E0_NS1_11comp_targetILNS1_3genE8ELNS1_11target_archE1030ELNS1_3gpuE2ELNS1_3repE0EEENS1_52radix_sort_onesweep_histogram_config_static_selectorELNS0_4arch9wavefront6targetE1EEEvSC_,"axG",@progbits,_ZN7rocprim17ROCPRIM_400000_NS6detail17trampoline_kernelINS0_14default_configENS1_35radix_sort_onesweep_config_selectorIsNS0_10empty_typeEEEZNS1_34radix_sort_onesweep_global_offsetsIS3_Lb0EPsPS5_mNS0_19identity_decomposerEEE10hipError_tT1_T2_PT3_SE_jT4_jjP12ihipStream_tbEUlT_E0_NS1_11comp_targetILNS1_3genE8ELNS1_11target_archE1030ELNS1_3gpuE2ELNS1_3repE0EEENS1_52radix_sort_onesweep_histogram_config_static_selectorELNS0_4arch9wavefront6targetE1EEEvSC_,comdat
	.protected	_ZN7rocprim17ROCPRIM_400000_NS6detail17trampoline_kernelINS0_14default_configENS1_35radix_sort_onesweep_config_selectorIsNS0_10empty_typeEEEZNS1_34radix_sort_onesweep_global_offsetsIS3_Lb0EPsPS5_mNS0_19identity_decomposerEEE10hipError_tT1_T2_PT3_SE_jT4_jjP12ihipStream_tbEUlT_E0_NS1_11comp_targetILNS1_3genE8ELNS1_11target_archE1030ELNS1_3gpuE2ELNS1_3repE0EEENS1_52radix_sort_onesweep_histogram_config_static_selectorELNS0_4arch9wavefront6targetE1EEEvSC_ ; -- Begin function _ZN7rocprim17ROCPRIM_400000_NS6detail17trampoline_kernelINS0_14default_configENS1_35radix_sort_onesweep_config_selectorIsNS0_10empty_typeEEEZNS1_34radix_sort_onesweep_global_offsetsIS3_Lb0EPsPS5_mNS0_19identity_decomposerEEE10hipError_tT1_T2_PT3_SE_jT4_jjP12ihipStream_tbEUlT_E0_NS1_11comp_targetILNS1_3genE8ELNS1_11target_archE1030ELNS1_3gpuE2ELNS1_3repE0EEENS1_52radix_sort_onesweep_histogram_config_static_selectorELNS0_4arch9wavefront6targetE1EEEvSC_
	.globl	_ZN7rocprim17ROCPRIM_400000_NS6detail17trampoline_kernelINS0_14default_configENS1_35radix_sort_onesweep_config_selectorIsNS0_10empty_typeEEEZNS1_34radix_sort_onesweep_global_offsetsIS3_Lb0EPsPS5_mNS0_19identity_decomposerEEE10hipError_tT1_T2_PT3_SE_jT4_jjP12ihipStream_tbEUlT_E0_NS1_11comp_targetILNS1_3genE8ELNS1_11target_archE1030ELNS1_3gpuE2ELNS1_3repE0EEENS1_52radix_sort_onesweep_histogram_config_static_selectorELNS0_4arch9wavefront6targetE1EEEvSC_
	.p2align	8
	.type	_ZN7rocprim17ROCPRIM_400000_NS6detail17trampoline_kernelINS0_14default_configENS1_35radix_sort_onesweep_config_selectorIsNS0_10empty_typeEEEZNS1_34radix_sort_onesweep_global_offsetsIS3_Lb0EPsPS5_mNS0_19identity_decomposerEEE10hipError_tT1_T2_PT3_SE_jT4_jjP12ihipStream_tbEUlT_E0_NS1_11comp_targetILNS1_3genE8ELNS1_11target_archE1030ELNS1_3gpuE2ELNS1_3repE0EEENS1_52radix_sort_onesweep_histogram_config_static_selectorELNS0_4arch9wavefront6targetE1EEEvSC_,@function
_ZN7rocprim17ROCPRIM_400000_NS6detail17trampoline_kernelINS0_14default_configENS1_35radix_sort_onesweep_config_selectorIsNS0_10empty_typeEEEZNS1_34radix_sort_onesweep_global_offsetsIS3_Lb0EPsPS5_mNS0_19identity_decomposerEEE10hipError_tT1_T2_PT3_SE_jT4_jjP12ihipStream_tbEUlT_E0_NS1_11comp_targetILNS1_3genE8ELNS1_11target_archE1030ELNS1_3gpuE2ELNS1_3repE0EEENS1_52radix_sort_onesweep_histogram_config_static_selectorELNS0_4arch9wavefront6targetE1EEEvSC_: ; @_ZN7rocprim17ROCPRIM_400000_NS6detail17trampoline_kernelINS0_14default_configENS1_35radix_sort_onesweep_config_selectorIsNS0_10empty_typeEEEZNS1_34radix_sort_onesweep_global_offsetsIS3_Lb0EPsPS5_mNS0_19identity_decomposerEEE10hipError_tT1_T2_PT3_SE_jT4_jjP12ihipStream_tbEUlT_E0_NS1_11comp_targetILNS1_3genE8ELNS1_11target_archE1030ELNS1_3gpuE2ELNS1_3repE0EEENS1_52radix_sort_onesweep_histogram_config_static_selectorELNS0_4arch9wavefront6targetE1EEEvSC_
; %bb.0:
	.section	.rodata,"a",@progbits
	.p2align	6, 0x0
	.amdhsa_kernel _ZN7rocprim17ROCPRIM_400000_NS6detail17trampoline_kernelINS0_14default_configENS1_35radix_sort_onesweep_config_selectorIsNS0_10empty_typeEEEZNS1_34radix_sort_onesweep_global_offsetsIS3_Lb0EPsPS5_mNS0_19identity_decomposerEEE10hipError_tT1_T2_PT3_SE_jT4_jjP12ihipStream_tbEUlT_E0_NS1_11comp_targetILNS1_3genE8ELNS1_11target_archE1030ELNS1_3gpuE2ELNS1_3repE0EEENS1_52radix_sort_onesweep_histogram_config_static_selectorELNS0_4arch9wavefront6targetE1EEEvSC_
		.amdhsa_group_segment_fixed_size 0
		.amdhsa_private_segment_fixed_size 0
		.amdhsa_kernarg_size 8
		.amdhsa_user_sgpr_count 6
		.amdhsa_user_sgpr_private_segment_buffer 1
		.amdhsa_user_sgpr_dispatch_ptr 0
		.amdhsa_user_sgpr_queue_ptr 0
		.amdhsa_user_sgpr_kernarg_segment_ptr 1
		.amdhsa_user_sgpr_dispatch_id 0
		.amdhsa_user_sgpr_flat_scratch_init 0
		.amdhsa_user_sgpr_kernarg_preload_length 0
		.amdhsa_user_sgpr_kernarg_preload_offset 0
		.amdhsa_user_sgpr_private_segment_size 0
		.amdhsa_uses_dynamic_stack 0
		.amdhsa_system_sgpr_private_segment_wavefront_offset 0
		.amdhsa_system_sgpr_workgroup_id_x 1
		.amdhsa_system_sgpr_workgroup_id_y 0
		.amdhsa_system_sgpr_workgroup_id_z 0
		.amdhsa_system_sgpr_workgroup_info 0
		.amdhsa_system_vgpr_workitem_id 0
		.amdhsa_next_free_vgpr 1
		.amdhsa_next_free_sgpr 0
		.amdhsa_accum_offset 4
		.amdhsa_reserve_vcc 0
		.amdhsa_reserve_flat_scratch 0
		.amdhsa_float_round_mode_32 0
		.amdhsa_float_round_mode_16_64 0
		.amdhsa_float_denorm_mode_32 3
		.amdhsa_float_denorm_mode_16_64 3
		.amdhsa_dx10_clamp 1
		.amdhsa_ieee_mode 1
		.amdhsa_fp16_overflow 0
		.amdhsa_tg_split 0
		.amdhsa_exception_fp_ieee_invalid_op 0
		.amdhsa_exception_fp_denorm_src 0
		.amdhsa_exception_fp_ieee_div_zero 0
		.amdhsa_exception_fp_ieee_overflow 0
		.amdhsa_exception_fp_ieee_underflow 0
		.amdhsa_exception_fp_ieee_inexact 0
		.amdhsa_exception_int_div_zero 0
	.end_amdhsa_kernel
	.section	.text._ZN7rocprim17ROCPRIM_400000_NS6detail17trampoline_kernelINS0_14default_configENS1_35radix_sort_onesweep_config_selectorIsNS0_10empty_typeEEEZNS1_34radix_sort_onesweep_global_offsetsIS3_Lb0EPsPS5_mNS0_19identity_decomposerEEE10hipError_tT1_T2_PT3_SE_jT4_jjP12ihipStream_tbEUlT_E0_NS1_11comp_targetILNS1_3genE8ELNS1_11target_archE1030ELNS1_3gpuE2ELNS1_3repE0EEENS1_52radix_sort_onesweep_histogram_config_static_selectorELNS0_4arch9wavefront6targetE1EEEvSC_,"axG",@progbits,_ZN7rocprim17ROCPRIM_400000_NS6detail17trampoline_kernelINS0_14default_configENS1_35radix_sort_onesweep_config_selectorIsNS0_10empty_typeEEEZNS1_34radix_sort_onesweep_global_offsetsIS3_Lb0EPsPS5_mNS0_19identity_decomposerEEE10hipError_tT1_T2_PT3_SE_jT4_jjP12ihipStream_tbEUlT_E0_NS1_11comp_targetILNS1_3genE8ELNS1_11target_archE1030ELNS1_3gpuE2ELNS1_3repE0EEENS1_52radix_sort_onesweep_histogram_config_static_selectorELNS0_4arch9wavefront6targetE1EEEvSC_,comdat
.Lfunc_end429:
	.size	_ZN7rocprim17ROCPRIM_400000_NS6detail17trampoline_kernelINS0_14default_configENS1_35radix_sort_onesweep_config_selectorIsNS0_10empty_typeEEEZNS1_34radix_sort_onesweep_global_offsetsIS3_Lb0EPsPS5_mNS0_19identity_decomposerEEE10hipError_tT1_T2_PT3_SE_jT4_jjP12ihipStream_tbEUlT_E0_NS1_11comp_targetILNS1_3genE8ELNS1_11target_archE1030ELNS1_3gpuE2ELNS1_3repE0EEENS1_52radix_sort_onesweep_histogram_config_static_selectorELNS0_4arch9wavefront6targetE1EEEvSC_, .Lfunc_end429-_ZN7rocprim17ROCPRIM_400000_NS6detail17trampoline_kernelINS0_14default_configENS1_35radix_sort_onesweep_config_selectorIsNS0_10empty_typeEEEZNS1_34radix_sort_onesweep_global_offsetsIS3_Lb0EPsPS5_mNS0_19identity_decomposerEEE10hipError_tT1_T2_PT3_SE_jT4_jjP12ihipStream_tbEUlT_E0_NS1_11comp_targetILNS1_3genE8ELNS1_11target_archE1030ELNS1_3gpuE2ELNS1_3repE0EEENS1_52radix_sort_onesweep_histogram_config_static_selectorELNS0_4arch9wavefront6targetE1EEEvSC_
                                        ; -- End function
	.section	.AMDGPU.csdata,"",@progbits
; Kernel info:
; codeLenInByte = 0
; NumSgprs: 4
; NumVgprs: 0
; NumAgprs: 0
; TotalNumVgprs: 0
; ScratchSize: 0
; MemoryBound: 0
; FloatMode: 240
; IeeeMode: 1
; LDSByteSize: 0 bytes/workgroup (compile time only)
; SGPRBlocks: 0
; VGPRBlocks: 0
; NumSGPRsForWavesPerEU: 4
; NumVGPRsForWavesPerEU: 1
; AccumOffset: 4
; Occupancy: 8
; WaveLimiterHint : 0
; COMPUTE_PGM_RSRC2:SCRATCH_EN: 0
; COMPUTE_PGM_RSRC2:USER_SGPR: 6
; COMPUTE_PGM_RSRC2:TRAP_HANDLER: 0
; COMPUTE_PGM_RSRC2:TGID_X_EN: 1
; COMPUTE_PGM_RSRC2:TGID_Y_EN: 0
; COMPUTE_PGM_RSRC2:TGID_Z_EN: 0
; COMPUTE_PGM_RSRC2:TIDIG_COMP_CNT: 0
; COMPUTE_PGM_RSRC3_GFX90A:ACCUM_OFFSET: 0
; COMPUTE_PGM_RSRC3_GFX90A:TG_SPLIT: 0
	.section	.text._ZN7rocprim17ROCPRIM_400000_NS6detail17trampoline_kernelINS0_14default_configENS1_35radix_sort_onesweep_config_selectorIsNS0_10empty_typeEEEZZNS1_29radix_sort_onesweep_iterationIS3_Lb0EPsS8_PS5_S9_mNS0_19identity_decomposerENS1_16block_id_wrapperIjLb1EEEEE10hipError_tT1_PNSt15iterator_traitsISE_E10value_typeET2_T3_PNSF_ISK_E10value_typeET4_T5_PSP_SQ_PNS1_23onesweep_lookback_stateEbbT6_jjT7_P12ihipStream_tbENKUlT_T0_SE_SJ_E_clIS8_S8_S9_S9_EEDaSX_SY_SE_SJ_EUlSX_E_NS1_11comp_targetILNS1_3genE0ELNS1_11target_archE4294967295ELNS1_3gpuE0ELNS1_3repE0EEENS1_47radix_sort_onesweep_sort_config_static_selectorELNS0_4arch9wavefront6targetE1EEEvSE_,"axG",@progbits,_ZN7rocprim17ROCPRIM_400000_NS6detail17trampoline_kernelINS0_14default_configENS1_35radix_sort_onesweep_config_selectorIsNS0_10empty_typeEEEZZNS1_29radix_sort_onesweep_iterationIS3_Lb0EPsS8_PS5_S9_mNS0_19identity_decomposerENS1_16block_id_wrapperIjLb1EEEEE10hipError_tT1_PNSt15iterator_traitsISE_E10value_typeET2_T3_PNSF_ISK_E10value_typeET4_T5_PSP_SQ_PNS1_23onesweep_lookback_stateEbbT6_jjT7_P12ihipStream_tbENKUlT_T0_SE_SJ_E_clIS8_S8_S9_S9_EEDaSX_SY_SE_SJ_EUlSX_E_NS1_11comp_targetILNS1_3genE0ELNS1_11target_archE4294967295ELNS1_3gpuE0ELNS1_3repE0EEENS1_47radix_sort_onesweep_sort_config_static_selectorELNS0_4arch9wavefront6targetE1EEEvSE_,comdat
	.protected	_ZN7rocprim17ROCPRIM_400000_NS6detail17trampoline_kernelINS0_14default_configENS1_35radix_sort_onesweep_config_selectorIsNS0_10empty_typeEEEZZNS1_29radix_sort_onesweep_iterationIS3_Lb0EPsS8_PS5_S9_mNS0_19identity_decomposerENS1_16block_id_wrapperIjLb1EEEEE10hipError_tT1_PNSt15iterator_traitsISE_E10value_typeET2_T3_PNSF_ISK_E10value_typeET4_T5_PSP_SQ_PNS1_23onesweep_lookback_stateEbbT6_jjT7_P12ihipStream_tbENKUlT_T0_SE_SJ_E_clIS8_S8_S9_S9_EEDaSX_SY_SE_SJ_EUlSX_E_NS1_11comp_targetILNS1_3genE0ELNS1_11target_archE4294967295ELNS1_3gpuE0ELNS1_3repE0EEENS1_47radix_sort_onesweep_sort_config_static_selectorELNS0_4arch9wavefront6targetE1EEEvSE_ ; -- Begin function _ZN7rocprim17ROCPRIM_400000_NS6detail17trampoline_kernelINS0_14default_configENS1_35radix_sort_onesweep_config_selectorIsNS0_10empty_typeEEEZZNS1_29radix_sort_onesweep_iterationIS3_Lb0EPsS8_PS5_S9_mNS0_19identity_decomposerENS1_16block_id_wrapperIjLb1EEEEE10hipError_tT1_PNSt15iterator_traitsISE_E10value_typeET2_T3_PNSF_ISK_E10value_typeET4_T5_PSP_SQ_PNS1_23onesweep_lookback_stateEbbT6_jjT7_P12ihipStream_tbENKUlT_T0_SE_SJ_E_clIS8_S8_S9_S9_EEDaSX_SY_SE_SJ_EUlSX_E_NS1_11comp_targetILNS1_3genE0ELNS1_11target_archE4294967295ELNS1_3gpuE0ELNS1_3repE0EEENS1_47radix_sort_onesweep_sort_config_static_selectorELNS0_4arch9wavefront6targetE1EEEvSE_
	.globl	_ZN7rocprim17ROCPRIM_400000_NS6detail17trampoline_kernelINS0_14default_configENS1_35radix_sort_onesweep_config_selectorIsNS0_10empty_typeEEEZZNS1_29radix_sort_onesweep_iterationIS3_Lb0EPsS8_PS5_S9_mNS0_19identity_decomposerENS1_16block_id_wrapperIjLb1EEEEE10hipError_tT1_PNSt15iterator_traitsISE_E10value_typeET2_T3_PNSF_ISK_E10value_typeET4_T5_PSP_SQ_PNS1_23onesweep_lookback_stateEbbT6_jjT7_P12ihipStream_tbENKUlT_T0_SE_SJ_E_clIS8_S8_S9_S9_EEDaSX_SY_SE_SJ_EUlSX_E_NS1_11comp_targetILNS1_3genE0ELNS1_11target_archE4294967295ELNS1_3gpuE0ELNS1_3repE0EEENS1_47radix_sort_onesweep_sort_config_static_selectorELNS0_4arch9wavefront6targetE1EEEvSE_
	.p2align	8
	.type	_ZN7rocprim17ROCPRIM_400000_NS6detail17trampoline_kernelINS0_14default_configENS1_35radix_sort_onesweep_config_selectorIsNS0_10empty_typeEEEZZNS1_29radix_sort_onesweep_iterationIS3_Lb0EPsS8_PS5_S9_mNS0_19identity_decomposerENS1_16block_id_wrapperIjLb1EEEEE10hipError_tT1_PNSt15iterator_traitsISE_E10value_typeET2_T3_PNSF_ISK_E10value_typeET4_T5_PSP_SQ_PNS1_23onesweep_lookback_stateEbbT6_jjT7_P12ihipStream_tbENKUlT_T0_SE_SJ_E_clIS8_S8_S9_S9_EEDaSX_SY_SE_SJ_EUlSX_E_NS1_11comp_targetILNS1_3genE0ELNS1_11target_archE4294967295ELNS1_3gpuE0ELNS1_3repE0EEENS1_47radix_sort_onesweep_sort_config_static_selectorELNS0_4arch9wavefront6targetE1EEEvSE_,@function
_ZN7rocprim17ROCPRIM_400000_NS6detail17trampoline_kernelINS0_14default_configENS1_35radix_sort_onesweep_config_selectorIsNS0_10empty_typeEEEZZNS1_29radix_sort_onesweep_iterationIS3_Lb0EPsS8_PS5_S9_mNS0_19identity_decomposerENS1_16block_id_wrapperIjLb1EEEEE10hipError_tT1_PNSt15iterator_traitsISE_E10value_typeET2_T3_PNSF_ISK_E10value_typeET4_T5_PSP_SQ_PNS1_23onesweep_lookback_stateEbbT6_jjT7_P12ihipStream_tbENKUlT_T0_SE_SJ_E_clIS8_S8_S9_S9_EEDaSX_SY_SE_SJ_EUlSX_E_NS1_11comp_targetILNS1_3genE0ELNS1_11target_archE4294967295ELNS1_3gpuE0ELNS1_3repE0EEENS1_47radix_sort_onesweep_sort_config_static_selectorELNS0_4arch9wavefront6targetE1EEEvSE_: ; @_ZN7rocprim17ROCPRIM_400000_NS6detail17trampoline_kernelINS0_14default_configENS1_35radix_sort_onesweep_config_selectorIsNS0_10empty_typeEEEZZNS1_29radix_sort_onesweep_iterationIS3_Lb0EPsS8_PS5_S9_mNS0_19identity_decomposerENS1_16block_id_wrapperIjLb1EEEEE10hipError_tT1_PNSt15iterator_traitsISE_E10value_typeET2_T3_PNSF_ISK_E10value_typeET4_T5_PSP_SQ_PNS1_23onesweep_lookback_stateEbbT6_jjT7_P12ihipStream_tbENKUlT_T0_SE_SJ_E_clIS8_S8_S9_S9_EEDaSX_SY_SE_SJ_EUlSX_E_NS1_11comp_targetILNS1_3genE0ELNS1_11target_archE4294967295ELNS1_3gpuE0ELNS1_3repE0EEENS1_47radix_sort_onesweep_sort_config_static_selectorELNS0_4arch9wavefront6targetE1EEEvSE_
; %bb.0:
	.section	.rodata,"a",@progbits
	.p2align	6, 0x0
	.amdhsa_kernel _ZN7rocprim17ROCPRIM_400000_NS6detail17trampoline_kernelINS0_14default_configENS1_35radix_sort_onesweep_config_selectorIsNS0_10empty_typeEEEZZNS1_29radix_sort_onesweep_iterationIS3_Lb0EPsS8_PS5_S9_mNS0_19identity_decomposerENS1_16block_id_wrapperIjLb1EEEEE10hipError_tT1_PNSt15iterator_traitsISE_E10value_typeET2_T3_PNSF_ISK_E10value_typeET4_T5_PSP_SQ_PNS1_23onesweep_lookback_stateEbbT6_jjT7_P12ihipStream_tbENKUlT_T0_SE_SJ_E_clIS8_S8_S9_S9_EEDaSX_SY_SE_SJ_EUlSX_E_NS1_11comp_targetILNS1_3genE0ELNS1_11target_archE4294967295ELNS1_3gpuE0ELNS1_3repE0EEENS1_47radix_sort_onesweep_sort_config_static_selectorELNS0_4arch9wavefront6targetE1EEEvSE_
		.amdhsa_group_segment_fixed_size 0
		.amdhsa_private_segment_fixed_size 0
		.amdhsa_kernarg_size 88
		.amdhsa_user_sgpr_count 6
		.amdhsa_user_sgpr_private_segment_buffer 1
		.amdhsa_user_sgpr_dispatch_ptr 0
		.amdhsa_user_sgpr_queue_ptr 0
		.amdhsa_user_sgpr_kernarg_segment_ptr 1
		.amdhsa_user_sgpr_dispatch_id 0
		.amdhsa_user_sgpr_flat_scratch_init 0
		.amdhsa_user_sgpr_kernarg_preload_length 0
		.amdhsa_user_sgpr_kernarg_preload_offset 0
		.amdhsa_user_sgpr_private_segment_size 0
		.amdhsa_uses_dynamic_stack 0
		.amdhsa_system_sgpr_private_segment_wavefront_offset 0
		.amdhsa_system_sgpr_workgroup_id_x 1
		.amdhsa_system_sgpr_workgroup_id_y 0
		.amdhsa_system_sgpr_workgroup_id_z 0
		.amdhsa_system_sgpr_workgroup_info 0
		.amdhsa_system_vgpr_workitem_id 0
		.amdhsa_next_free_vgpr 1
		.amdhsa_next_free_sgpr 0
		.amdhsa_accum_offset 4
		.amdhsa_reserve_vcc 0
		.amdhsa_reserve_flat_scratch 0
		.amdhsa_float_round_mode_32 0
		.amdhsa_float_round_mode_16_64 0
		.amdhsa_float_denorm_mode_32 3
		.amdhsa_float_denorm_mode_16_64 3
		.amdhsa_dx10_clamp 1
		.amdhsa_ieee_mode 1
		.amdhsa_fp16_overflow 0
		.amdhsa_tg_split 0
		.amdhsa_exception_fp_ieee_invalid_op 0
		.amdhsa_exception_fp_denorm_src 0
		.amdhsa_exception_fp_ieee_div_zero 0
		.amdhsa_exception_fp_ieee_overflow 0
		.amdhsa_exception_fp_ieee_underflow 0
		.amdhsa_exception_fp_ieee_inexact 0
		.amdhsa_exception_int_div_zero 0
	.end_amdhsa_kernel
	.section	.text._ZN7rocprim17ROCPRIM_400000_NS6detail17trampoline_kernelINS0_14default_configENS1_35radix_sort_onesweep_config_selectorIsNS0_10empty_typeEEEZZNS1_29radix_sort_onesweep_iterationIS3_Lb0EPsS8_PS5_S9_mNS0_19identity_decomposerENS1_16block_id_wrapperIjLb1EEEEE10hipError_tT1_PNSt15iterator_traitsISE_E10value_typeET2_T3_PNSF_ISK_E10value_typeET4_T5_PSP_SQ_PNS1_23onesweep_lookback_stateEbbT6_jjT7_P12ihipStream_tbENKUlT_T0_SE_SJ_E_clIS8_S8_S9_S9_EEDaSX_SY_SE_SJ_EUlSX_E_NS1_11comp_targetILNS1_3genE0ELNS1_11target_archE4294967295ELNS1_3gpuE0ELNS1_3repE0EEENS1_47radix_sort_onesweep_sort_config_static_selectorELNS0_4arch9wavefront6targetE1EEEvSE_,"axG",@progbits,_ZN7rocprim17ROCPRIM_400000_NS6detail17trampoline_kernelINS0_14default_configENS1_35radix_sort_onesweep_config_selectorIsNS0_10empty_typeEEEZZNS1_29radix_sort_onesweep_iterationIS3_Lb0EPsS8_PS5_S9_mNS0_19identity_decomposerENS1_16block_id_wrapperIjLb1EEEEE10hipError_tT1_PNSt15iterator_traitsISE_E10value_typeET2_T3_PNSF_ISK_E10value_typeET4_T5_PSP_SQ_PNS1_23onesweep_lookback_stateEbbT6_jjT7_P12ihipStream_tbENKUlT_T0_SE_SJ_E_clIS8_S8_S9_S9_EEDaSX_SY_SE_SJ_EUlSX_E_NS1_11comp_targetILNS1_3genE0ELNS1_11target_archE4294967295ELNS1_3gpuE0ELNS1_3repE0EEENS1_47radix_sort_onesweep_sort_config_static_selectorELNS0_4arch9wavefront6targetE1EEEvSE_,comdat
.Lfunc_end430:
	.size	_ZN7rocprim17ROCPRIM_400000_NS6detail17trampoline_kernelINS0_14default_configENS1_35radix_sort_onesweep_config_selectorIsNS0_10empty_typeEEEZZNS1_29radix_sort_onesweep_iterationIS3_Lb0EPsS8_PS5_S9_mNS0_19identity_decomposerENS1_16block_id_wrapperIjLb1EEEEE10hipError_tT1_PNSt15iterator_traitsISE_E10value_typeET2_T3_PNSF_ISK_E10value_typeET4_T5_PSP_SQ_PNS1_23onesweep_lookback_stateEbbT6_jjT7_P12ihipStream_tbENKUlT_T0_SE_SJ_E_clIS8_S8_S9_S9_EEDaSX_SY_SE_SJ_EUlSX_E_NS1_11comp_targetILNS1_3genE0ELNS1_11target_archE4294967295ELNS1_3gpuE0ELNS1_3repE0EEENS1_47radix_sort_onesweep_sort_config_static_selectorELNS0_4arch9wavefront6targetE1EEEvSE_, .Lfunc_end430-_ZN7rocprim17ROCPRIM_400000_NS6detail17trampoline_kernelINS0_14default_configENS1_35radix_sort_onesweep_config_selectorIsNS0_10empty_typeEEEZZNS1_29radix_sort_onesweep_iterationIS3_Lb0EPsS8_PS5_S9_mNS0_19identity_decomposerENS1_16block_id_wrapperIjLb1EEEEE10hipError_tT1_PNSt15iterator_traitsISE_E10value_typeET2_T3_PNSF_ISK_E10value_typeET4_T5_PSP_SQ_PNS1_23onesweep_lookback_stateEbbT6_jjT7_P12ihipStream_tbENKUlT_T0_SE_SJ_E_clIS8_S8_S9_S9_EEDaSX_SY_SE_SJ_EUlSX_E_NS1_11comp_targetILNS1_3genE0ELNS1_11target_archE4294967295ELNS1_3gpuE0ELNS1_3repE0EEENS1_47radix_sort_onesweep_sort_config_static_selectorELNS0_4arch9wavefront6targetE1EEEvSE_
                                        ; -- End function
	.section	.AMDGPU.csdata,"",@progbits
; Kernel info:
; codeLenInByte = 0
; NumSgprs: 4
; NumVgprs: 0
; NumAgprs: 0
; TotalNumVgprs: 0
; ScratchSize: 0
; MemoryBound: 0
; FloatMode: 240
; IeeeMode: 1
; LDSByteSize: 0 bytes/workgroup (compile time only)
; SGPRBlocks: 0
; VGPRBlocks: 0
; NumSGPRsForWavesPerEU: 4
; NumVGPRsForWavesPerEU: 1
; AccumOffset: 4
; Occupancy: 8
; WaveLimiterHint : 0
; COMPUTE_PGM_RSRC2:SCRATCH_EN: 0
; COMPUTE_PGM_RSRC2:USER_SGPR: 6
; COMPUTE_PGM_RSRC2:TRAP_HANDLER: 0
; COMPUTE_PGM_RSRC2:TGID_X_EN: 1
; COMPUTE_PGM_RSRC2:TGID_Y_EN: 0
; COMPUTE_PGM_RSRC2:TGID_Z_EN: 0
; COMPUTE_PGM_RSRC2:TIDIG_COMP_CNT: 0
; COMPUTE_PGM_RSRC3_GFX90A:ACCUM_OFFSET: 0
; COMPUTE_PGM_RSRC3_GFX90A:TG_SPLIT: 0
	.section	.text._ZN7rocprim17ROCPRIM_400000_NS6detail17trampoline_kernelINS0_14default_configENS1_35radix_sort_onesweep_config_selectorIsNS0_10empty_typeEEEZZNS1_29radix_sort_onesweep_iterationIS3_Lb0EPsS8_PS5_S9_mNS0_19identity_decomposerENS1_16block_id_wrapperIjLb1EEEEE10hipError_tT1_PNSt15iterator_traitsISE_E10value_typeET2_T3_PNSF_ISK_E10value_typeET4_T5_PSP_SQ_PNS1_23onesweep_lookback_stateEbbT6_jjT7_P12ihipStream_tbENKUlT_T0_SE_SJ_E_clIS8_S8_S9_S9_EEDaSX_SY_SE_SJ_EUlSX_E_NS1_11comp_targetILNS1_3genE6ELNS1_11target_archE950ELNS1_3gpuE13ELNS1_3repE0EEENS1_47radix_sort_onesweep_sort_config_static_selectorELNS0_4arch9wavefront6targetE1EEEvSE_,"axG",@progbits,_ZN7rocprim17ROCPRIM_400000_NS6detail17trampoline_kernelINS0_14default_configENS1_35radix_sort_onesweep_config_selectorIsNS0_10empty_typeEEEZZNS1_29radix_sort_onesweep_iterationIS3_Lb0EPsS8_PS5_S9_mNS0_19identity_decomposerENS1_16block_id_wrapperIjLb1EEEEE10hipError_tT1_PNSt15iterator_traitsISE_E10value_typeET2_T3_PNSF_ISK_E10value_typeET4_T5_PSP_SQ_PNS1_23onesweep_lookback_stateEbbT6_jjT7_P12ihipStream_tbENKUlT_T0_SE_SJ_E_clIS8_S8_S9_S9_EEDaSX_SY_SE_SJ_EUlSX_E_NS1_11comp_targetILNS1_3genE6ELNS1_11target_archE950ELNS1_3gpuE13ELNS1_3repE0EEENS1_47radix_sort_onesweep_sort_config_static_selectorELNS0_4arch9wavefront6targetE1EEEvSE_,comdat
	.protected	_ZN7rocprim17ROCPRIM_400000_NS6detail17trampoline_kernelINS0_14default_configENS1_35radix_sort_onesweep_config_selectorIsNS0_10empty_typeEEEZZNS1_29radix_sort_onesweep_iterationIS3_Lb0EPsS8_PS5_S9_mNS0_19identity_decomposerENS1_16block_id_wrapperIjLb1EEEEE10hipError_tT1_PNSt15iterator_traitsISE_E10value_typeET2_T3_PNSF_ISK_E10value_typeET4_T5_PSP_SQ_PNS1_23onesweep_lookback_stateEbbT6_jjT7_P12ihipStream_tbENKUlT_T0_SE_SJ_E_clIS8_S8_S9_S9_EEDaSX_SY_SE_SJ_EUlSX_E_NS1_11comp_targetILNS1_3genE6ELNS1_11target_archE950ELNS1_3gpuE13ELNS1_3repE0EEENS1_47radix_sort_onesweep_sort_config_static_selectorELNS0_4arch9wavefront6targetE1EEEvSE_ ; -- Begin function _ZN7rocprim17ROCPRIM_400000_NS6detail17trampoline_kernelINS0_14default_configENS1_35radix_sort_onesweep_config_selectorIsNS0_10empty_typeEEEZZNS1_29radix_sort_onesweep_iterationIS3_Lb0EPsS8_PS5_S9_mNS0_19identity_decomposerENS1_16block_id_wrapperIjLb1EEEEE10hipError_tT1_PNSt15iterator_traitsISE_E10value_typeET2_T3_PNSF_ISK_E10value_typeET4_T5_PSP_SQ_PNS1_23onesweep_lookback_stateEbbT6_jjT7_P12ihipStream_tbENKUlT_T0_SE_SJ_E_clIS8_S8_S9_S9_EEDaSX_SY_SE_SJ_EUlSX_E_NS1_11comp_targetILNS1_3genE6ELNS1_11target_archE950ELNS1_3gpuE13ELNS1_3repE0EEENS1_47radix_sort_onesweep_sort_config_static_selectorELNS0_4arch9wavefront6targetE1EEEvSE_
	.globl	_ZN7rocprim17ROCPRIM_400000_NS6detail17trampoline_kernelINS0_14default_configENS1_35radix_sort_onesweep_config_selectorIsNS0_10empty_typeEEEZZNS1_29radix_sort_onesweep_iterationIS3_Lb0EPsS8_PS5_S9_mNS0_19identity_decomposerENS1_16block_id_wrapperIjLb1EEEEE10hipError_tT1_PNSt15iterator_traitsISE_E10value_typeET2_T3_PNSF_ISK_E10value_typeET4_T5_PSP_SQ_PNS1_23onesweep_lookback_stateEbbT6_jjT7_P12ihipStream_tbENKUlT_T0_SE_SJ_E_clIS8_S8_S9_S9_EEDaSX_SY_SE_SJ_EUlSX_E_NS1_11comp_targetILNS1_3genE6ELNS1_11target_archE950ELNS1_3gpuE13ELNS1_3repE0EEENS1_47radix_sort_onesweep_sort_config_static_selectorELNS0_4arch9wavefront6targetE1EEEvSE_
	.p2align	8
	.type	_ZN7rocprim17ROCPRIM_400000_NS6detail17trampoline_kernelINS0_14default_configENS1_35radix_sort_onesweep_config_selectorIsNS0_10empty_typeEEEZZNS1_29radix_sort_onesweep_iterationIS3_Lb0EPsS8_PS5_S9_mNS0_19identity_decomposerENS1_16block_id_wrapperIjLb1EEEEE10hipError_tT1_PNSt15iterator_traitsISE_E10value_typeET2_T3_PNSF_ISK_E10value_typeET4_T5_PSP_SQ_PNS1_23onesweep_lookback_stateEbbT6_jjT7_P12ihipStream_tbENKUlT_T0_SE_SJ_E_clIS8_S8_S9_S9_EEDaSX_SY_SE_SJ_EUlSX_E_NS1_11comp_targetILNS1_3genE6ELNS1_11target_archE950ELNS1_3gpuE13ELNS1_3repE0EEENS1_47radix_sort_onesweep_sort_config_static_selectorELNS0_4arch9wavefront6targetE1EEEvSE_,@function
_ZN7rocprim17ROCPRIM_400000_NS6detail17trampoline_kernelINS0_14default_configENS1_35radix_sort_onesweep_config_selectorIsNS0_10empty_typeEEEZZNS1_29radix_sort_onesweep_iterationIS3_Lb0EPsS8_PS5_S9_mNS0_19identity_decomposerENS1_16block_id_wrapperIjLb1EEEEE10hipError_tT1_PNSt15iterator_traitsISE_E10value_typeET2_T3_PNSF_ISK_E10value_typeET4_T5_PSP_SQ_PNS1_23onesweep_lookback_stateEbbT6_jjT7_P12ihipStream_tbENKUlT_T0_SE_SJ_E_clIS8_S8_S9_S9_EEDaSX_SY_SE_SJ_EUlSX_E_NS1_11comp_targetILNS1_3genE6ELNS1_11target_archE950ELNS1_3gpuE13ELNS1_3repE0EEENS1_47radix_sort_onesweep_sort_config_static_selectorELNS0_4arch9wavefront6targetE1EEEvSE_: ; @_ZN7rocprim17ROCPRIM_400000_NS6detail17trampoline_kernelINS0_14default_configENS1_35radix_sort_onesweep_config_selectorIsNS0_10empty_typeEEEZZNS1_29radix_sort_onesweep_iterationIS3_Lb0EPsS8_PS5_S9_mNS0_19identity_decomposerENS1_16block_id_wrapperIjLb1EEEEE10hipError_tT1_PNSt15iterator_traitsISE_E10value_typeET2_T3_PNSF_ISK_E10value_typeET4_T5_PSP_SQ_PNS1_23onesweep_lookback_stateEbbT6_jjT7_P12ihipStream_tbENKUlT_T0_SE_SJ_E_clIS8_S8_S9_S9_EEDaSX_SY_SE_SJ_EUlSX_E_NS1_11comp_targetILNS1_3genE6ELNS1_11target_archE950ELNS1_3gpuE13ELNS1_3repE0EEENS1_47radix_sort_onesweep_sort_config_static_selectorELNS0_4arch9wavefront6targetE1EEEvSE_
; %bb.0:
	.section	.rodata,"a",@progbits
	.p2align	6, 0x0
	.amdhsa_kernel _ZN7rocprim17ROCPRIM_400000_NS6detail17trampoline_kernelINS0_14default_configENS1_35radix_sort_onesweep_config_selectorIsNS0_10empty_typeEEEZZNS1_29radix_sort_onesweep_iterationIS3_Lb0EPsS8_PS5_S9_mNS0_19identity_decomposerENS1_16block_id_wrapperIjLb1EEEEE10hipError_tT1_PNSt15iterator_traitsISE_E10value_typeET2_T3_PNSF_ISK_E10value_typeET4_T5_PSP_SQ_PNS1_23onesweep_lookback_stateEbbT6_jjT7_P12ihipStream_tbENKUlT_T0_SE_SJ_E_clIS8_S8_S9_S9_EEDaSX_SY_SE_SJ_EUlSX_E_NS1_11comp_targetILNS1_3genE6ELNS1_11target_archE950ELNS1_3gpuE13ELNS1_3repE0EEENS1_47radix_sort_onesweep_sort_config_static_selectorELNS0_4arch9wavefront6targetE1EEEvSE_
		.amdhsa_group_segment_fixed_size 0
		.amdhsa_private_segment_fixed_size 0
		.amdhsa_kernarg_size 88
		.amdhsa_user_sgpr_count 6
		.amdhsa_user_sgpr_private_segment_buffer 1
		.amdhsa_user_sgpr_dispatch_ptr 0
		.amdhsa_user_sgpr_queue_ptr 0
		.amdhsa_user_sgpr_kernarg_segment_ptr 1
		.amdhsa_user_sgpr_dispatch_id 0
		.amdhsa_user_sgpr_flat_scratch_init 0
		.amdhsa_user_sgpr_kernarg_preload_length 0
		.amdhsa_user_sgpr_kernarg_preload_offset 0
		.amdhsa_user_sgpr_private_segment_size 0
		.amdhsa_uses_dynamic_stack 0
		.amdhsa_system_sgpr_private_segment_wavefront_offset 0
		.amdhsa_system_sgpr_workgroup_id_x 1
		.amdhsa_system_sgpr_workgroup_id_y 0
		.amdhsa_system_sgpr_workgroup_id_z 0
		.amdhsa_system_sgpr_workgroup_info 0
		.amdhsa_system_vgpr_workitem_id 0
		.amdhsa_next_free_vgpr 1
		.amdhsa_next_free_sgpr 0
		.amdhsa_accum_offset 4
		.amdhsa_reserve_vcc 0
		.amdhsa_reserve_flat_scratch 0
		.amdhsa_float_round_mode_32 0
		.amdhsa_float_round_mode_16_64 0
		.amdhsa_float_denorm_mode_32 3
		.amdhsa_float_denorm_mode_16_64 3
		.amdhsa_dx10_clamp 1
		.amdhsa_ieee_mode 1
		.amdhsa_fp16_overflow 0
		.amdhsa_tg_split 0
		.amdhsa_exception_fp_ieee_invalid_op 0
		.amdhsa_exception_fp_denorm_src 0
		.amdhsa_exception_fp_ieee_div_zero 0
		.amdhsa_exception_fp_ieee_overflow 0
		.amdhsa_exception_fp_ieee_underflow 0
		.amdhsa_exception_fp_ieee_inexact 0
		.amdhsa_exception_int_div_zero 0
	.end_amdhsa_kernel
	.section	.text._ZN7rocprim17ROCPRIM_400000_NS6detail17trampoline_kernelINS0_14default_configENS1_35radix_sort_onesweep_config_selectorIsNS0_10empty_typeEEEZZNS1_29radix_sort_onesweep_iterationIS3_Lb0EPsS8_PS5_S9_mNS0_19identity_decomposerENS1_16block_id_wrapperIjLb1EEEEE10hipError_tT1_PNSt15iterator_traitsISE_E10value_typeET2_T3_PNSF_ISK_E10value_typeET4_T5_PSP_SQ_PNS1_23onesweep_lookback_stateEbbT6_jjT7_P12ihipStream_tbENKUlT_T0_SE_SJ_E_clIS8_S8_S9_S9_EEDaSX_SY_SE_SJ_EUlSX_E_NS1_11comp_targetILNS1_3genE6ELNS1_11target_archE950ELNS1_3gpuE13ELNS1_3repE0EEENS1_47radix_sort_onesweep_sort_config_static_selectorELNS0_4arch9wavefront6targetE1EEEvSE_,"axG",@progbits,_ZN7rocprim17ROCPRIM_400000_NS6detail17trampoline_kernelINS0_14default_configENS1_35radix_sort_onesweep_config_selectorIsNS0_10empty_typeEEEZZNS1_29radix_sort_onesweep_iterationIS3_Lb0EPsS8_PS5_S9_mNS0_19identity_decomposerENS1_16block_id_wrapperIjLb1EEEEE10hipError_tT1_PNSt15iterator_traitsISE_E10value_typeET2_T3_PNSF_ISK_E10value_typeET4_T5_PSP_SQ_PNS1_23onesweep_lookback_stateEbbT6_jjT7_P12ihipStream_tbENKUlT_T0_SE_SJ_E_clIS8_S8_S9_S9_EEDaSX_SY_SE_SJ_EUlSX_E_NS1_11comp_targetILNS1_3genE6ELNS1_11target_archE950ELNS1_3gpuE13ELNS1_3repE0EEENS1_47radix_sort_onesweep_sort_config_static_selectorELNS0_4arch9wavefront6targetE1EEEvSE_,comdat
.Lfunc_end431:
	.size	_ZN7rocprim17ROCPRIM_400000_NS6detail17trampoline_kernelINS0_14default_configENS1_35radix_sort_onesweep_config_selectorIsNS0_10empty_typeEEEZZNS1_29radix_sort_onesweep_iterationIS3_Lb0EPsS8_PS5_S9_mNS0_19identity_decomposerENS1_16block_id_wrapperIjLb1EEEEE10hipError_tT1_PNSt15iterator_traitsISE_E10value_typeET2_T3_PNSF_ISK_E10value_typeET4_T5_PSP_SQ_PNS1_23onesweep_lookback_stateEbbT6_jjT7_P12ihipStream_tbENKUlT_T0_SE_SJ_E_clIS8_S8_S9_S9_EEDaSX_SY_SE_SJ_EUlSX_E_NS1_11comp_targetILNS1_3genE6ELNS1_11target_archE950ELNS1_3gpuE13ELNS1_3repE0EEENS1_47radix_sort_onesweep_sort_config_static_selectorELNS0_4arch9wavefront6targetE1EEEvSE_, .Lfunc_end431-_ZN7rocprim17ROCPRIM_400000_NS6detail17trampoline_kernelINS0_14default_configENS1_35radix_sort_onesweep_config_selectorIsNS0_10empty_typeEEEZZNS1_29radix_sort_onesweep_iterationIS3_Lb0EPsS8_PS5_S9_mNS0_19identity_decomposerENS1_16block_id_wrapperIjLb1EEEEE10hipError_tT1_PNSt15iterator_traitsISE_E10value_typeET2_T3_PNSF_ISK_E10value_typeET4_T5_PSP_SQ_PNS1_23onesweep_lookback_stateEbbT6_jjT7_P12ihipStream_tbENKUlT_T0_SE_SJ_E_clIS8_S8_S9_S9_EEDaSX_SY_SE_SJ_EUlSX_E_NS1_11comp_targetILNS1_3genE6ELNS1_11target_archE950ELNS1_3gpuE13ELNS1_3repE0EEENS1_47radix_sort_onesweep_sort_config_static_selectorELNS0_4arch9wavefront6targetE1EEEvSE_
                                        ; -- End function
	.section	.AMDGPU.csdata,"",@progbits
; Kernel info:
; codeLenInByte = 0
; NumSgprs: 4
; NumVgprs: 0
; NumAgprs: 0
; TotalNumVgprs: 0
; ScratchSize: 0
; MemoryBound: 0
; FloatMode: 240
; IeeeMode: 1
; LDSByteSize: 0 bytes/workgroup (compile time only)
; SGPRBlocks: 0
; VGPRBlocks: 0
; NumSGPRsForWavesPerEU: 4
; NumVGPRsForWavesPerEU: 1
; AccumOffset: 4
; Occupancy: 8
; WaveLimiterHint : 0
; COMPUTE_PGM_RSRC2:SCRATCH_EN: 0
; COMPUTE_PGM_RSRC2:USER_SGPR: 6
; COMPUTE_PGM_RSRC2:TRAP_HANDLER: 0
; COMPUTE_PGM_RSRC2:TGID_X_EN: 1
; COMPUTE_PGM_RSRC2:TGID_Y_EN: 0
; COMPUTE_PGM_RSRC2:TGID_Z_EN: 0
; COMPUTE_PGM_RSRC2:TIDIG_COMP_CNT: 0
; COMPUTE_PGM_RSRC3_GFX90A:ACCUM_OFFSET: 0
; COMPUTE_PGM_RSRC3_GFX90A:TG_SPLIT: 0
	.section	.text._ZN7rocprim17ROCPRIM_400000_NS6detail17trampoline_kernelINS0_14default_configENS1_35radix_sort_onesweep_config_selectorIsNS0_10empty_typeEEEZZNS1_29radix_sort_onesweep_iterationIS3_Lb0EPsS8_PS5_S9_mNS0_19identity_decomposerENS1_16block_id_wrapperIjLb1EEEEE10hipError_tT1_PNSt15iterator_traitsISE_E10value_typeET2_T3_PNSF_ISK_E10value_typeET4_T5_PSP_SQ_PNS1_23onesweep_lookback_stateEbbT6_jjT7_P12ihipStream_tbENKUlT_T0_SE_SJ_E_clIS8_S8_S9_S9_EEDaSX_SY_SE_SJ_EUlSX_E_NS1_11comp_targetILNS1_3genE5ELNS1_11target_archE942ELNS1_3gpuE9ELNS1_3repE0EEENS1_47radix_sort_onesweep_sort_config_static_selectorELNS0_4arch9wavefront6targetE1EEEvSE_,"axG",@progbits,_ZN7rocprim17ROCPRIM_400000_NS6detail17trampoline_kernelINS0_14default_configENS1_35radix_sort_onesweep_config_selectorIsNS0_10empty_typeEEEZZNS1_29radix_sort_onesweep_iterationIS3_Lb0EPsS8_PS5_S9_mNS0_19identity_decomposerENS1_16block_id_wrapperIjLb1EEEEE10hipError_tT1_PNSt15iterator_traitsISE_E10value_typeET2_T3_PNSF_ISK_E10value_typeET4_T5_PSP_SQ_PNS1_23onesweep_lookback_stateEbbT6_jjT7_P12ihipStream_tbENKUlT_T0_SE_SJ_E_clIS8_S8_S9_S9_EEDaSX_SY_SE_SJ_EUlSX_E_NS1_11comp_targetILNS1_3genE5ELNS1_11target_archE942ELNS1_3gpuE9ELNS1_3repE0EEENS1_47radix_sort_onesweep_sort_config_static_selectorELNS0_4arch9wavefront6targetE1EEEvSE_,comdat
	.protected	_ZN7rocprim17ROCPRIM_400000_NS6detail17trampoline_kernelINS0_14default_configENS1_35radix_sort_onesweep_config_selectorIsNS0_10empty_typeEEEZZNS1_29radix_sort_onesweep_iterationIS3_Lb0EPsS8_PS5_S9_mNS0_19identity_decomposerENS1_16block_id_wrapperIjLb1EEEEE10hipError_tT1_PNSt15iterator_traitsISE_E10value_typeET2_T3_PNSF_ISK_E10value_typeET4_T5_PSP_SQ_PNS1_23onesweep_lookback_stateEbbT6_jjT7_P12ihipStream_tbENKUlT_T0_SE_SJ_E_clIS8_S8_S9_S9_EEDaSX_SY_SE_SJ_EUlSX_E_NS1_11comp_targetILNS1_3genE5ELNS1_11target_archE942ELNS1_3gpuE9ELNS1_3repE0EEENS1_47radix_sort_onesweep_sort_config_static_selectorELNS0_4arch9wavefront6targetE1EEEvSE_ ; -- Begin function _ZN7rocprim17ROCPRIM_400000_NS6detail17trampoline_kernelINS0_14default_configENS1_35radix_sort_onesweep_config_selectorIsNS0_10empty_typeEEEZZNS1_29radix_sort_onesweep_iterationIS3_Lb0EPsS8_PS5_S9_mNS0_19identity_decomposerENS1_16block_id_wrapperIjLb1EEEEE10hipError_tT1_PNSt15iterator_traitsISE_E10value_typeET2_T3_PNSF_ISK_E10value_typeET4_T5_PSP_SQ_PNS1_23onesweep_lookback_stateEbbT6_jjT7_P12ihipStream_tbENKUlT_T0_SE_SJ_E_clIS8_S8_S9_S9_EEDaSX_SY_SE_SJ_EUlSX_E_NS1_11comp_targetILNS1_3genE5ELNS1_11target_archE942ELNS1_3gpuE9ELNS1_3repE0EEENS1_47radix_sort_onesweep_sort_config_static_selectorELNS0_4arch9wavefront6targetE1EEEvSE_
	.globl	_ZN7rocprim17ROCPRIM_400000_NS6detail17trampoline_kernelINS0_14default_configENS1_35radix_sort_onesweep_config_selectorIsNS0_10empty_typeEEEZZNS1_29radix_sort_onesweep_iterationIS3_Lb0EPsS8_PS5_S9_mNS0_19identity_decomposerENS1_16block_id_wrapperIjLb1EEEEE10hipError_tT1_PNSt15iterator_traitsISE_E10value_typeET2_T3_PNSF_ISK_E10value_typeET4_T5_PSP_SQ_PNS1_23onesweep_lookback_stateEbbT6_jjT7_P12ihipStream_tbENKUlT_T0_SE_SJ_E_clIS8_S8_S9_S9_EEDaSX_SY_SE_SJ_EUlSX_E_NS1_11comp_targetILNS1_3genE5ELNS1_11target_archE942ELNS1_3gpuE9ELNS1_3repE0EEENS1_47radix_sort_onesweep_sort_config_static_selectorELNS0_4arch9wavefront6targetE1EEEvSE_
	.p2align	8
	.type	_ZN7rocprim17ROCPRIM_400000_NS6detail17trampoline_kernelINS0_14default_configENS1_35radix_sort_onesweep_config_selectorIsNS0_10empty_typeEEEZZNS1_29radix_sort_onesweep_iterationIS3_Lb0EPsS8_PS5_S9_mNS0_19identity_decomposerENS1_16block_id_wrapperIjLb1EEEEE10hipError_tT1_PNSt15iterator_traitsISE_E10value_typeET2_T3_PNSF_ISK_E10value_typeET4_T5_PSP_SQ_PNS1_23onesweep_lookback_stateEbbT6_jjT7_P12ihipStream_tbENKUlT_T0_SE_SJ_E_clIS8_S8_S9_S9_EEDaSX_SY_SE_SJ_EUlSX_E_NS1_11comp_targetILNS1_3genE5ELNS1_11target_archE942ELNS1_3gpuE9ELNS1_3repE0EEENS1_47radix_sort_onesweep_sort_config_static_selectorELNS0_4arch9wavefront6targetE1EEEvSE_,@function
_ZN7rocprim17ROCPRIM_400000_NS6detail17trampoline_kernelINS0_14default_configENS1_35radix_sort_onesweep_config_selectorIsNS0_10empty_typeEEEZZNS1_29radix_sort_onesweep_iterationIS3_Lb0EPsS8_PS5_S9_mNS0_19identity_decomposerENS1_16block_id_wrapperIjLb1EEEEE10hipError_tT1_PNSt15iterator_traitsISE_E10value_typeET2_T3_PNSF_ISK_E10value_typeET4_T5_PSP_SQ_PNS1_23onesweep_lookback_stateEbbT6_jjT7_P12ihipStream_tbENKUlT_T0_SE_SJ_E_clIS8_S8_S9_S9_EEDaSX_SY_SE_SJ_EUlSX_E_NS1_11comp_targetILNS1_3genE5ELNS1_11target_archE942ELNS1_3gpuE9ELNS1_3repE0EEENS1_47radix_sort_onesweep_sort_config_static_selectorELNS0_4arch9wavefront6targetE1EEEvSE_: ; @_ZN7rocprim17ROCPRIM_400000_NS6detail17trampoline_kernelINS0_14default_configENS1_35radix_sort_onesweep_config_selectorIsNS0_10empty_typeEEEZZNS1_29radix_sort_onesweep_iterationIS3_Lb0EPsS8_PS5_S9_mNS0_19identity_decomposerENS1_16block_id_wrapperIjLb1EEEEE10hipError_tT1_PNSt15iterator_traitsISE_E10value_typeET2_T3_PNSF_ISK_E10value_typeET4_T5_PSP_SQ_PNS1_23onesweep_lookback_stateEbbT6_jjT7_P12ihipStream_tbENKUlT_T0_SE_SJ_E_clIS8_S8_S9_S9_EEDaSX_SY_SE_SJ_EUlSX_E_NS1_11comp_targetILNS1_3genE5ELNS1_11target_archE942ELNS1_3gpuE9ELNS1_3repE0EEENS1_47radix_sort_onesweep_sort_config_static_selectorELNS0_4arch9wavefront6targetE1EEEvSE_
; %bb.0:
	.section	.rodata,"a",@progbits
	.p2align	6, 0x0
	.amdhsa_kernel _ZN7rocprim17ROCPRIM_400000_NS6detail17trampoline_kernelINS0_14default_configENS1_35radix_sort_onesweep_config_selectorIsNS0_10empty_typeEEEZZNS1_29radix_sort_onesweep_iterationIS3_Lb0EPsS8_PS5_S9_mNS0_19identity_decomposerENS1_16block_id_wrapperIjLb1EEEEE10hipError_tT1_PNSt15iterator_traitsISE_E10value_typeET2_T3_PNSF_ISK_E10value_typeET4_T5_PSP_SQ_PNS1_23onesweep_lookback_stateEbbT6_jjT7_P12ihipStream_tbENKUlT_T0_SE_SJ_E_clIS8_S8_S9_S9_EEDaSX_SY_SE_SJ_EUlSX_E_NS1_11comp_targetILNS1_3genE5ELNS1_11target_archE942ELNS1_3gpuE9ELNS1_3repE0EEENS1_47radix_sort_onesweep_sort_config_static_selectorELNS0_4arch9wavefront6targetE1EEEvSE_
		.amdhsa_group_segment_fixed_size 0
		.amdhsa_private_segment_fixed_size 0
		.amdhsa_kernarg_size 88
		.amdhsa_user_sgpr_count 6
		.amdhsa_user_sgpr_private_segment_buffer 1
		.amdhsa_user_sgpr_dispatch_ptr 0
		.amdhsa_user_sgpr_queue_ptr 0
		.amdhsa_user_sgpr_kernarg_segment_ptr 1
		.amdhsa_user_sgpr_dispatch_id 0
		.amdhsa_user_sgpr_flat_scratch_init 0
		.amdhsa_user_sgpr_kernarg_preload_length 0
		.amdhsa_user_sgpr_kernarg_preload_offset 0
		.amdhsa_user_sgpr_private_segment_size 0
		.amdhsa_uses_dynamic_stack 0
		.amdhsa_system_sgpr_private_segment_wavefront_offset 0
		.amdhsa_system_sgpr_workgroup_id_x 1
		.amdhsa_system_sgpr_workgroup_id_y 0
		.amdhsa_system_sgpr_workgroup_id_z 0
		.amdhsa_system_sgpr_workgroup_info 0
		.amdhsa_system_vgpr_workitem_id 0
		.amdhsa_next_free_vgpr 1
		.amdhsa_next_free_sgpr 0
		.amdhsa_accum_offset 4
		.amdhsa_reserve_vcc 0
		.amdhsa_reserve_flat_scratch 0
		.amdhsa_float_round_mode_32 0
		.amdhsa_float_round_mode_16_64 0
		.amdhsa_float_denorm_mode_32 3
		.amdhsa_float_denorm_mode_16_64 3
		.amdhsa_dx10_clamp 1
		.amdhsa_ieee_mode 1
		.amdhsa_fp16_overflow 0
		.amdhsa_tg_split 0
		.amdhsa_exception_fp_ieee_invalid_op 0
		.amdhsa_exception_fp_denorm_src 0
		.amdhsa_exception_fp_ieee_div_zero 0
		.amdhsa_exception_fp_ieee_overflow 0
		.amdhsa_exception_fp_ieee_underflow 0
		.amdhsa_exception_fp_ieee_inexact 0
		.amdhsa_exception_int_div_zero 0
	.end_amdhsa_kernel
	.section	.text._ZN7rocprim17ROCPRIM_400000_NS6detail17trampoline_kernelINS0_14default_configENS1_35radix_sort_onesweep_config_selectorIsNS0_10empty_typeEEEZZNS1_29radix_sort_onesweep_iterationIS3_Lb0EPsS8_PS5_S9_mNS0_19identity_decomposerENS1_16block_id_wrapperIjLb1EEEEE10hipError_tT1_PNSt15iterator_traitsISE_E10value_typeET2_T3_PNSF_ISK_E10value_typeET4_T5_PSP_SQ_PNS1_23onesweep_lookback_stateEbbT6_jjT7_P12ihipStream_tbENKUlT_T0_SE_SJ_E_clIS8_S8_S9_S9_EEDaSX_SY_SE_SJ_EUlSX_E_NS1_11comp_targetILNS1_3genE5ELNS1_11target_archE942ELNS1_3gpuE9ELNS1_3repE0EEENS1_47radix_sort_onesweep_sort_config_static_selectorELNS0_4arch9wavefront6targetE1EEEvSE_,"axG",@progbits,_ZN7rocprim17ROCPRIM_400000_NS6detail17trampoline_kernelINS0_14default_configENS1_35radix_sort_onesweep_config_selectorIsNS0_10empty_typeEEEZZNS1_29radix_sort_onesweep_iterationIS3_Lb0EPsS8_PS5_S9_mNS0_19identity_decomposerENS1_16block_id_wrapperIjLb1EEEEE10hipError_tT1_PNSt15iterator_traitsISE_E10value_typeET2_T3_PNSF_ISK_E10value_typeET4_T5_PSP_SQ_PNS1_23onesweep_lookback_stateEbbT6_jjT7_P12ihipStream_tbENKUlT_T0_SE_SJ_E_clIS8_S8_S9_S9_EEDaSX_SY_SE_SJ_EUlSX_E_NS1_11comp_targetILNS1_3genE5ELNS1_11target_archE942ELNS1_3gpuE9ELNS1_3repE0EEENS1_47radix_sort_onesweep_sort_config_static_selectorELNS0_4arch9wavefront6targetE1EEEvSE_,comdat
.Lfunc_end432:
	.size	_ZN7rocprim17ROCPRIM_400000_NS6detail17trampoline_kernelINS0_14default_configENS1_35radix_sort_onesweep_config_selectorIsNS0_10empty_typeEEEZZNS1_29radix_sort_onesweep_iterationIS3_Lb0EPsS8_PS5_S9_mNS0_19identity_decomposerENS1_16block_id_wrapperIjLb1EEEEE10hipError_tT1_PNSt15iterator_traitsISE_E10value_typeET2_T3_PNSF_ISK_E10value_typeET4_T5_PSP_SQ_PNS1_23onesweep_lookback_stateEbbT6_jjT7_P12ihipStream_tbENKUlT_T0_SE_SJ_E_clIS8_S8_S9_S9_EEDaSX_SY_SE_SJ_EUlSX_E_NS1_11comp_targetILNS1_3genE5ELNS1_11target_archE942ELNS1_3gpuE9ELNS1_3repE0EEENS1_47radix_sort_onesweep_sort_config_static_selectorELNS0_4arch9wavefront6targetE1EEEvSE_, .Lfunc_end432-_ZN7rocprim17ROCPRIM_400000_NS6detail17trampoline_kernelINS0_14default_configENS1_35radix_sort_onesweep_config_selectorIsNS0_10empty_typeEEEZZNS1_29radix_sort_onesweep_iterationIS3_Lb0EPsS8_PS5_S9_mNS0_19identity_decomposerENS1_16block_id_wrapperIjLb1EEEEE10hipError_tT1_PNSt15iterator_traitsISE_E10value_typeET2_T3_PNSF_ISK_E10value_typeET4_T5_PSP_SQ_PNS1_23onesweep_lookback_stateEbbT6_jjT7_P12ihipStream_tbENKUlT_T0_SE_SJ_E_clIS8_S8_S9_S9_EEDaSX_SY_SE_SJ_EUlSX_E_NS1_11comp_targetILNS1_3genE5ELNS1_11target_archE942ELNS1_3gpuE9ELNS1_3repE0EEENS1_47radix_sort_onesweep_sort_config_static_selectorELNS0_4arch9wavefront6targetE1EEEvSE_
                                        ; -- End function
	.section	.AMDGPU.csdata,"",@progbits
; Kernel info:
; codeLenInByte = 0
; NumSgprs: 4
; NumVgprs: 0
; NumAgprs: 0
; TotalNumVgprs: 0
; ScratchSize: 0
; MemoryBound: 0
; FloatMode: 240
; IeeeMode: 1
; LDSByteSize: 0 bytes/workgroup (compile time only)
; SGPRBlocks: 0
; VGPRBlocks: 0
; NumSGPRsForWavesPerEU: 4
; NumVGPRsForWavesPerEU: 1
; AccumOffset: 4
; Occupancy: 8
; WaveLimiterHint : 0
; COMPUTE_PGM_RSRC2:SCRATCH_EN: 0
; COMPUTE_PGM_RSRC2:USER_SGPR: 6
; COMPUTE_PGM_RSRC2:TRAP_HANDLER: 0
; COMPUTE_PGM_RSRC2:TGID_X_EN: 1
; COMPUTE_PGM_RSRC2:TGID_Y_EN: 0
; COMPUTE_PGM_RSRC2:TGID_Z_EN: 0
; COMPUTE_PGM_RSRC2:TIDIG_COMP_CNT: 0
; COMPUTE_PGM_RSRC3_GFX90A:ACCUM_OFFSET: 0
; COMPUTE_PGM_RSRC3_GFX90A:TG_SPLIT: 0
	.section	.text._ZN7rocprim17ROCPRIM_400000_NS6detail17trampoline_kernelINS0_14default_configENS1_35radix_sort_onesweep_config_selectorIsNS0_10empty_typeEEEZZNS1_29radix_sort_onesweep_iterationIS3_Lb0EPsS8_PS5_S9_mNS0_19identity_decomposerENS1_16block_id_wrapperIjLb1EEEEE10hipError_tT1_PNSt15iterator_traitsISE_E10value_typeET2_T3_PNSF_ISK_E10value_typeET4_T5_PSP_SQ_PNS1_23onesweep_lookback_stateEbbT6_jjT7_P12ihipStream_tbENKUlT_T0_SE_SJ_E_clIS8_S8_S9_S9_EEDaSX_SY_SE_SJ_EUlSX_E_NS1_11comp_targetILNS1_3genE2ELNS1_11target_archE906ELNS1_3gpuE6ELNS1_3repE0EEENS1_47radix_sort_onesweep_sort_config_static_selectorELNS0_4arch9wavefront6targetE1EEEvSE_,"axG",@progbits,_ZN7rocprim17ROCPRIM_400000_NS6detail17trampoline_kernelINS0_14default_configENS1_35radix_sort_onesweep_config_selectorIsNS0_10empty_typeEEEZZNS1_29radix_sort_onesweep_iterationIS3_Lb0EPsS8_PS5_S9_mNS0_19identity_decomposerENS1_16block_id_wrapperIjLb1EEEEE10hipError_tT1_PNSt15iterator_traitsISE_E10value_typeET2_T3_PNSF_ISK_E10value_typeET4_T5_PSP_SQ_PNS1_23onesweep_lookback_stateEbbT6_jjT7_P12ihipStream_tbENKUlT_T0_SE_SJ_E_clIS8_S8_S9_S9_EEDaSX_SY_SE_SJ_EUlSX_E_NS1_11comp_targetILNS1_3genE2ELNS1_11target_archE906ELNS1_3gpuE6ELNS1_3repE0EEENS1_47radix_sort_onesweep_sort_config_static_selectorELNS0_4arch9wavefront6targetE1EEEvSE_,comdat
	.protected	_ZN7rocprim17ROCPRIM_400000_NS6detail17trampoline_kernelINS0_14default_configENS1_35radix_sort_onesweep_config_selectorIsNS0_10empty_typeEEEZZNS1_29radix_sort_onesweep_iterationIS3_Lb0EPsS8_PS5_S9_mNS0_19identity_decomposerENS1_16block_id_wrapperIjLb1EEEEE10hipError_tT1_PNSt15iterator_traitsISE_E10value_typeET2_T3_PNSF_ISK_E10value_typeET4_T5_PSP_SQ_PNS1_23onesweep_lookback_stateEbbT6_jjT7_P12ihipStream_tbENKUlT_T0_SE_SJ_E_clIS8_S8_S9_S9_EEDaSX_SY_SE_SJ_EUlSX_E_NS1_11comp_targetILNS1_3genE2ELNS1_11target_archE906ELNS1_3gpuE6ELNS1_3repE0EEENS1_47radix_sort_onesweep_sort_config_static_selectorELNS0_4arch9wavefront6targetE1EEEvSE_ ; -- Begin function _ZN7rocprim17ROCPRIM_400000_NS6detail17trampoline_kernelINS0_14default_configENS1_35radix_sort_onesweep_config_selectorIsNS0_10empty_typeEEEZZNS1_29radix_sort_onesweep_iterationIS3_Lb0EPsS8_PS5_S9_mNS0_19identity_decomposerENS1_16block_id_wrapperIjLb1EEEEE10hipError_tT1_PNSt15iterator_traitsISE_E10value_typeET2_T3_PNSF_ISK_E10value_typeET4_T5_PSP_SQ_PNS1_23onesweep_lookback_stateEbbT6_jjT7_P12ihipStream_tbENKUlT_T0_SE_SJ_E_clIS8_S8_S9_S9_EEDaSX_SY_SE_SJ_EUlSX_E_NS1_11comp_targetILNS1_3genE2ELNS1_11target_archE906ELNS1_3gpuE6ELNS1_3repE0EEENS1_47radix_sort_onesweep_sort_config_static_selectorELNS0_4arch9wavefront6targetE1EEEvSE_
	.globl	_ZN7rocprim17ROCPRIM_400000_NS6detail17trampoline_kernelINS0_14default_configENS1_35radix_sort_onesweep_config_selectorIsNS0_10empty_typeEEEZZNS1_29radix_sort_onesweep_iterationIS3_Lb0EPsS8_PS5_S9_mNS0_19identity_decomposerENS1_16block_id_wrapperIjLb1EEEEE10hipError_tT1_PNSt15iterator_traitsISE_E10value_typeET2_T3_PNSF_ISK_E10value_typeET4_T5_PSP_SQ_PNS1_23onesweep_lookback_stateEbbT6_jjT7_P12ihipStream_tbENKUlT_T0_SE_SJ_E_clIS8_S8_S9_S9_EEDaSX_SY_SE_SJ_EUlSX_E_NS1_11comp_targetILNS1_3genE2ELNS1_11target_archE906ELNS1_3gpuE6ELNS1_3repE0EEENS1_47radix_sort_onesweep_sort_config_static_selectorELNS0_4arch9wavefront6targetE1EEEvSE_
	.p2align	8
	.type	_ZN7rocprim17ROCPRIM_400000_NS6detail17trampoline_kernelINS0_14default_configENS1_35radix_sort_onesweep_config_selectorIsNS0_10empty_typeEEEZZNS1_29radix_sort_onesweep_iterationIS3_Lb0EPsS8_PS5_S9_mNS0_19identity_decomposerENS1_16block_id_wrapperIjLb1EEEEE10hipError_tT1_PNSt15iterator_traitsISE_E10value_typeET2_T3_PNSF_ISK_E10value_typeET4_T5_PSP_SQ_PNS1_23onesweep_lookback_stateEbbT6_jjT7_P12ihipStream_tbENKUlT_T0_SE_SJ_E_clIS8_S8_S9_S9_EEDaSX_SY_SE_SJ_EUlSX_E_NS1_11comp_targetILNS1_3genE2ELNS1_11target_archE906ELNS1_3gpuE6ELNS1_3repE0EEENS1_47radix_sort_onesweep_sort_config_static_selectorELNS0_4arch9wavefront6targetE1EEEvSE_,@function
_ZN7rocprim17ROCPRIM_400000_NS6detail17trampoline_kernelINS0_14default_configENS1_35radix_sort_onesweep_config_selectorIsNS0_10empty_typeEEEZZNS1_29radix_sort_onesweep_iterationIS3_Lb0EPsS8_PS5_S9_mNS0_19identity_decomposerENS1_16block_id_wrapperIjLb1EEEEE10hipError_tT1_PNSt15iterator_traitsISE_E10value_typeET2_T3_PNSF_ISK_E10value_typeET4_T5_PSP_SQ_PNS1_23onesweep_lookback_stateEbbT6_jjT7_P12ihipStream_tbENKUlT_T0_SE_SJ_E_clIS8_S8_S9_S9_EEDaSX_SY_SE_SJ_EUlSX_E_NS1_11comp_targetILNS1_3genE2ELNS1_11target_archE906ELNS1_3gpuE6ELNS1_3repE0EEENS1_47radix_sort_onesweep_sort_config_static_selectorELNS0_4arch9wavefront6targetE1EEEvSE_: ; @_ZN7rocprim17ROCPRIM_400000_NS6detail17trampoline_kernelINS0_14default_configENS1_35radix_sort_onesweep_config_selectorIsNS0_10empty_typeEEEZZNS1_29radix_sort_onesweep_iterationIS3_Lb0EPsS8_PS5_S9_mNS0_19identity_decomposerENS1_16block_id_wrapperIjLb1EEEEE10hipError_tT1_PNSt15iterator_traitsISE_E10value_typeET2_T3_PNSF_ISK_E10value_typeET4_T5_PSP_SQ_PNS1_23onesweep_lookback_stateEbbT6_jjT7_P12ihipStream_tbENKUlT_T0_SE_SJ_E_clIS8_S8_S9_S9_EEDaSX_SY_SE_SJ_EUlSX_E_NS1_11comp_targetILNS1_3genE2ELNS1_11target_archE906ELNS1_3gpuE6ELNS1_3repE0EEENS1_47radix_sort_onesweep_sort_config_static_selectorELNS0_4arch9wavefront6targetE1EEEvSE_
; %bb.0:
	.section	.rodata,"a",@progbits
	.p2align	6, 0x0
	.amdhsa_kernel _ZN7rocprim17ROCPRIM_400000_NS6detail17trampoline_kernelINS0_14default_configENS1_35radix_sort_onesweep_config_selectorIsNS0_10empty_typeEEEZZNS1_29radix_sort_onesweep_iterationIS3_Lb0EPsS8_PS5_S9_mNS0_19identity_decomposerENS1_16block_id_wrapperIjLb1EEEEE10hipError_tT1_PNSt15iterator_traitsISE_E10value_typeET2_T3_PNSF_ISK_E10value_typeET4_T5_PSP_SQ_PNS1_23onesweep_lookback_stateEbbT6_jjT7_P12ihipStream_tbENKUlT_T0_SE_SJ_E_clIS8_S8_S9_S9_EEDaSX_SY_SE_SJ_EUlSX_E_NS1_11comp_targetILNS1_3genE2ELNS1_11target_archE906ELNS1_3gpuE6ELNS1_3repE0EEENS1_47radix_sort_onesweep_sort_config_static_selectorELNS0_4arch9wavefront6targetE1EEEvSE_
		.amdhsa_group_segment_fixed_size 0
		.amdhsa_private_segment_fixed_size 0
		.amdhsa_kernarg_size 88
		.amdhsa_user_sgpr_count 6
		.amdhsa_user_sgpr_private_segment_buffer 1
		.amdhsa_user_sgpr_dispatch_ptr 0
		.amdhsa_user_sgpr_queue_ptr 0
		.amdhsa_user_sgpr_kernarg_segment_ptr 1
		.amdhsa_user_sgpr_dispatch_id 0
		.amdhsa_user_sgpr_flat_scratch_init 0
		.amdhsa_user_sgpr_kernarg_preload_length 0
		.amdhsa_user_sgpr_kernarg_preload_offset 0
		.amdhsa_user_sgpr_private_segment_size 0
		.amdhsa_uses_dynamic_stack 0
		.amdhsa_system_sgpr_private_segment_wavefront_offset 0
		.amdhsa_system_sgpr_workgroup_id_x 1
		.amdhsa_system_sgpr_workgroup_id_y 0
		.amdhsa_system_sgpr_workgroup_id_z 0
		.amdhsa_system_sgpr_workgroup_info 0
		.amdhsa_system_vgpr_workitem_id 0
		.amdhsa_next_free_vgpr 1
		.amdhsa_next_free_sgpr 0
		.amdhsa_accum_offset 4
		.amdhsa_reserve_vcc 0
		.amdhsa_reserve_flat_scratch 0
		.amdhsa_float_round_mode_32 0
		.amdhsa_float_round_mode_16_64 0
		.amdhsa_float_denorm_mode_32 3
		.amdhsa_float_denorm_mode_16_64 3
		.amdhsa_dx10_clamp 1
		.amdhsa_ieee_mode 1
		.amdhsa_fp16_overflow 0
		.amdhsa_tg_split 0
		.amdhsa_exception_fp_ieee_invalid_op 0
		.amdhsa_exception_fp_denorm_src 0
		.amdhsa_exception_fp_ieee_div_zero 0
		.amdhsa_exception_fp_ieee_overflow 0
		.amdhsa_exception_fp_ieee_underflow 0
		.amdhsa_exception_fp_ieee_inexact 0
		.amdhsa_exception_int_div_zero 0
	.end_amdhsa_kernel
	.section	.text._ZN7rocprim17ROCPRIM_400000_NS6detail17trampoline_kernelINS0_14default_configENS1_35radix_sort_onesweep_config_selectorIsNS0_10empty_typeEEEZZNS1_29radix_sort_onesweep_iterationIS3_Lb0EPsS8_PS5_S9_mNS0_19identity_decomposerENS1_16block_id_wrapperIjLb1EEEEE10hipError_tT1_PNSt15iterator_traitsISE_E10value_typeET2_T3_PNSF_ISK_E10value_typeET4_T5_PSP_SQ_PNS1_23onesweep_lookback_stateEbbT6_jjT7_P12ihipStream_tbENKUlT_T0_SE_SJ_E_clIS8_S8_S9_S9_EEDaSX_SY_SE_SJ_EUlSX_E_NS1_11comp_targetILNS1_3genE2ELNS1_11target_archE906ELNS1_3gpuE6ELNS1_3repE0EEENS1_47radix_sort_onesweep_sort_config_static_selectorELNS0_4arch9wavefront6targetE1EEEvSE_,"axG",@progbits,_ZN7rocprim17ROCPRIM_400000_NS6detail17trampoline_kernelINS0_14default_configENS1_35radix_sort_onesweep_config_selectorIsNS0_10empty_typeEEEZZNS1_29radix_sort_onesweep_iterationIS3_Lb0EPsS8_PS5_S9_mNS0_19identity_decomposerENS1_16block_id_wrapperIjLb1EEEEE10hipError_tT1_PNSt15iterator_traitsISE_E10value_typeET2_T3_PNSF_ISK_E10value_typeET4_T5_PSP_SQ_PNS1_23onesweep_lookback_stateEbbT6_jjT7_P12ihipStream_tbENKUlT_T0_SE_SJ_E_clIS8_S8_S9_S9_EEDaSX_SY_SE_SJ_EUlSX_E_NS1_11comp_targetILNS1_3genE2ELNS1_11target_archE906ELNS1_3gpuE6ELNS1_3repE0EEENS1_47radix_sort_onesweep_sort_config_static_selectorELNS0_4arch9wavefront6targetE1EEEvSE_,comdat
.Lfunc_end433:
	.size	_ZN7rocprim17ROCPRIM_400000_NS6detail17trampoline_kernelINS0_14default_configENS1_35radix_sort_onesweep_config_selectorIsNS0_10empty_typeEEEZZNS1_29radix_sort_onesweep_iterationIS3_Lb0EPsS8_PS5_S9_mNS0_19identity_decomposerENS1_16block_id_wrapperIjLb1EEEEE10hipError_tT1_PNSt15iterator_traitsISE_E10value_typeET2_T3_PNSF_ISK_E10value_typeET4_T5_PSP_SQ_PNS1_23onesweep_lookback_stateEbbT6_jjT7_P12ihipStream_tbENKUlT_T0_SE_SJ_E_clIS8_S8_S9_S9_EEDaSX_SY_SE_SJ_EUlSX_E_NS1_11comp_targetILNS1_3genE2ELNS1_11target_archE906ELNS1_3gpuE6ELNS1_3repE0EEENS1_47radix_sort_onesweep_sort_config_static_selectorELNS0_4arch9wavefront6targetE1EEEvSE_, .Lfunc_end433-_ZN7rocprim17ROCPRIM_400000_NS6detail17trampoline_kernelINS0_14default_configENS1_35radix_sort_onesweep_config_selectorIsNS0_10empty_typeEEEZZNS1_29radix_sort_onesweep_iterationIS3_Lb0EPsS8_PS5_S9_mNS0_19identity_decomposerENS1_16block_id_wrapperIjLb1EEEEE10hipError_tT1_PNSt15iterator_traitsISE_E10value_typeET2_T3_PNSF_ISK_E10value_typeET4_T5_PSP_SQ_PNS1_23onesweep_lookback_stateEbbT6_jjT7_P12ihipStream_tbENKUlT_T0_SE_SJ_E_clIS8_S8_S9_S9_EEDaSX_SY_SE_SJ_EUlSX_E_NS1_11comp_targetILNS1_3genE2ELNS1_11target_archE906ELNS1_3gpuE6ELNS1_3repE0EEENS1_47radix_sort_onesweep_sort_config_static_selectorELNS0_4arch9wavefront6targetE1EEEvSE_
                                        ; -- End function
	.section	.AMDGPU.csdata,"",@progbits
; Kernel info:
; codeLenInByte = 0
; NumSgprs: 4
; NumVgprs: 0
; NumAgprs: 0
; TotalNumVgprs: 0
; ScratchSize: 0
; MemoryBound: 0
; FloatMode: 240
; IeeeMode: 1
; LDSByteSize: 0 bytes/workgroup (compile time only)
; SGPRBlocks: 0
; VGPRBlocks: 0
; NumSGPRsForWavesPerEU: 4
; NumVGPRsForWavesPerEU: 1
; AccumOffset: 4
; Occupancy: 8
; WaveLimiterHint : 0
; COMPUTE_PGM_RSRC2:SCRATCH_EN: 0
; COMPUTE_PGM_RSRC2:USER_SGPR: 6
; COMPUTE_PGM_RSRC2:TRAP_HANDLER: 0
; COMPUTE_PGM_RSRC2:TGID_X_EN: 1
; COMPUTE_PGM_RSRC2:TGID_Y_EN: 0
; COMPUTE_PGM_RSRC2:TGID_Z_EN: 0
; COMPUTE_PGM_RSRC2:TIDIG_COMP_CNT: 0
; COMPUTE_PGM_RSRC3_GFX90A:ACCUM_OFFSET: 0
; COMPUTE_PGM_RSRC3_GFX90A:TG_SPLIT: 0
	.section	.text._ZN7rocprim17ROCPRIM_400000_NS6detail17trampoline_kernelINS0_14default_configENS1_35radix_sort_onesweep_config_selectorIsNS0_10empty_typeEEEZZNS1_29radix_sort_onesweep_iterationIS3_Lb0EPsS8_PS5_S9_mNS0_19identity_decomposerENS1_16block_id_wrapperIjLb1EEEEE10hipError_tT1_PNSt15iterator_traitsISE_E10value_typeET2_T3_PNSF_ISK_E10value_typeET4_T5_PSP_SQ_PNS1_23onesweep_lookback_stateEbbT6_jjT7_P12ihipStream_tbENKUlT_T0_SE_SJ_E_clIS8_S8_S9_S9_EEDaSX_SY_SE_SJ_EUlSX_E_NS1_11comp_targetILNS1_3genE4ELNS1_11target_archE910ELNS1_3gpuE8ELNS1_3repE0EEENS1_47radix_sort_onesweep_sort_config_static_selectorELNS0_4arch9wavefront6targetE1EEEvSE_,"axG",@progbits,_ZN7rocprim17ROCPRIM_400000_NS6detail17trampoline_kernelINS0_14default_configENS1_35radix_sort_onesweep_config_selectorIsNS0_10empty_typeEEEZZNS1_29radix_sort_onesweep_iterationIS3_Lb0EPsS8_PS5_S9_mNS0_19identity_decomposerENS1_16block_id_wrapperIjLb1EEEEE10hipError_tT1_PNSt15iterator_traitsISE_E10value_typeET2_T3_PNSF_ISK_E10value_typeET4_T5_PSP_SQ_PNS1_23onesweep_lookback_stateEbbT6_jjT7_P12ihipStream_tbENKUlT_T0_SE_SJ_E_clIS8_S8_S9_S9_EEDaSX_SY_SE_SJ_EUlSX_E_NS1_11comp_targetILNS1_3genE4ELNS1_11target_archE910ELNS1_3gpuE8ELNS1_3repE0EEENS1_47radix_sort_onesweep_sort_config_static_selectorELNS0_4arch9wavefront6targetE1EEEvSE_,comdat
	.protected	_ZN7rocprim17ROCPRIM_400000_NS6detail17trampoline_kernelINS0_14default_configENS1_35radix_sort_onesweep_config_selectorIsNS0_10empty_typeEEEZZNS1_29radix_sort_onesweep_iterationIS3_Lb0EPsS8_PS5_S9_mNS0_19identity_decomposerENS1_16block_id_wrapperIjLb1EEEEE10hipError_tT1_PNSt15iterator_traitsISE_E10value_typeET2_T3_PNSF_ISK_E10value_typeET4_T5_PSP_SQ_PNS1_23onesweep_lookback_stateEbbT6_jjT7_P12ihipStream_tbENKUlT_T0_SE_SJ_E_clIS8_S8_S9_S9_EEDaSX_SY_SE_SJ_EUlSX_E_NS1_11comp_targetILNS1_3genE4ELNS1_11target_archE910ELNS1_3gpuE8ELNS1_3repE0EEENS1_47radix_sort_onesweep_sort_config_static_selectorELNS0_4arch9wavefront6targetE1EEEvSE_ ; -- Begin function _ZN7rocprim17ROCPRIM_400000_NS6detail17trampoline_kernelINS0_14default_configENS1_35radix_sort_onesweep_config_selectorIsNS0_10empty_typeEEEZZNS1_29radix_sort_onesweep_iterationIS3_Lb0EPsS8_PS5_S9_mNS0_19identity_decomposerENS1_16block_id_wrapperIjLb1EEEEE10hipError_tT1_PNSt15iterator_traitsISE_E10value_typeET2_T3_PNSF_ISK_E10value_typeET4_T5_PSP_SQ_PNS1_23onesweep_lookback_stateEbbT6_jjT7_P12ihipStream_tbENKUlT_T0_SE_SJ_E_clIS8_S8_S9_S9_EEDaSX_SY_SE_SJ_EUlSX_E_NS1_11comp_targetILNS1_3genE4ELNS1_11target_archE910ELNS1_3gpuE8ELNS1_3repE0EEENS1_47radix_sort_onesweep_sort_config_static_selectorELNS0_4arch9wavefront6targetE1EEEvSE_
	.globl	_ZN7rocprim17ROCPRIM_400000_NS6detail17trampoline_kernelINS0_14default_configENS1_35radix_sort_onesweep_config_selectorIsNS0_10empty_typeEEEZZNS1_29radix_sort_onesweep_iterationIS3_Lb0EPsS8_PS5_S9_mNS0_19identity_decomposerENS1_16block_id_wrapperIjLb1EEEEE10hipError_tT1_PNSt15iterator_traitsISE_E10value_typeET2_T3_PNSF_ISK_E10value_typeET4_T5_PSP_SQ_PNS1_23onesweep_lookback_stateEbbT6_jjT7_P12ihipStream_tbENKUlT_T0_SE_SJ_E_clIS8_S8_S9_S9_EEDaSX_SY_SE_SJ_EUlSX_E_NS1_11comp_targetILNS1_3genE4ELNS1_11target_archE910ELNS1_3gpuE8ELNS1_3repE0EEENS1_47radix_sort_onesweep_sort_config_static_selectorELNS0_4arch9wavefront6targetE1EEEvSE_
	.p2align	8
	.type	_ZN7rocprim17ROCPRIM_400000_NS6detail17trampoline_kernelINS0_14default_configENS1_35radix_sort_onesweep_config_selectorIsNS0_10empty_typeEEEZZNS1_29radix_sort_onesweep_iterationIS3_Lb0EPsS8_PS5_S9_mNS0_19identity_decomposerENS1_16block_id_wrapperIjLb1EEEEE10hipError_tT1_PNSt15iterator_traitsISE_E10value_typeET2_T3_PNSF_ISK_E10value_typeET4_T5_PSP_SQ_PNS1_23onesweep_lookback_stateEbbT6_jjT7_P12ihipStream_tbENKUlT_T0_SE_SJ_E_clIS8_S8_S9_S9_EEDaSX_SY_SE_SJ_EUlSX_E_NS1_11comp_targetILNS1_3genE4ELNS1_11target_archE910ELNS1_3gpuE8ELNS1_3repE0EEENS1_47radix_sort_onesweep_sort_config_static_selectorELNS0_4arch9wavefront6targetE1EEEvSE_,@function
_ZN7rocprim17ROCPRIM_400000_NS6detail17trampoline_kernelINS0_14default_configENS1_35radix_sort_onesweep_config_selectorIsNS0_10empty_typeEEEZZNS1_29radix_sort_onesweep_iterationIS3_Lb0EPsS8_PS5_S9_mNS0_19identity_decomposerENS1_16block_id_wrapperIjLb1EEEEE10hipError_tT1_PNSt15iterator_traitsISE_E10value_typeET2_T3_PNSF_ISK_E10value_typeET4_T5_PSP_SQ_PNS1_23onesweep_lookback_stateEbbT6_jjT7_P12ihipStream_tbENKUlT_T0_SE_SJ_E_clIS8_S8_S9_S9_EEDaSX_SY_SE_SJ_EUlSX_E_NS1_11comp_targetILNS1_3genE4ELNS1_11target_archE910ELNS1_3gpuE8ELNS1_3repE0EEENS1_47radix_sort_onesweep_sort_config_static_selectorELNS0_4arch9wavefront6targetE1EEEvSE_: ; @_ZN7rocprim17ROCPRIM_400000_NS6detail17trampoline_kernelINS0_14default_configENS1_35radix_sort_onesweep_config_selectorIsNS0_10empty_typeEEEZZNS1_29radix_sort_onesweep_iterationIS3_Lb0EPsS8_PS5_S9_mNS0_19identity_decomposerENS1_16block_id_wrapperIjLb1EEEEE10hipError_tT1_PNSt15iterator_traitsISE_E10value_typeET2_T3_PNSF_ISK_E10value_typeET4_T5_PSP_SQ_PNS1_23onesweep_lookback_stateEbbT6_jjT7_P12ihipStream_tbENKUlT_T0_SE_SJ_E_clIS8_S8_S9_S9_EEDaSX_SY_SE_SJ_EUlSX_E_NS1_11comp_targetILNS1_3genE4ELNS1_11target_archE910ELNS1_3gpuE8ELNS1_3repE0EEENS1_47radix_sort_onesweep_sort_config_static_selectorELNS0_4arch9wavefront6targetE1EEEvSE_
; %bb.0:
	s_load_dwordx4 s[16:19], s[4:5], 0x28
	s_load_dwordx2 s[14:15], s[4:5], 0x38
	s_load_dwordx4 s[20:23], s[4:5], 0x44
	v_and_b32_e32 v10, 0x3ff, v0
	v_cmp_eq_u32_e64 s[0:1], 0, v10
	s_and_saveexec_b64 s[2:3], s[0:1]
	s_cbranch_execz .LBB434_4
; %bb.1:
	s_mov_b64 s[10:11], exec
	v_mbcnt_lo_u32_b32 v1, s10, 0
	v_mbcnt_hi_u32_b32 v1, s11, v1
	v_cmp_eq_u32_e32 vcc, 0, v1
                                        ; implicit-def: $vgpr2
	s_and_saveexec_b64 s[8:9], vcc
	s_cbranch_execz .LBB434_3
; %bb.2:
	s_load_dwordx2 s[12:13], s[4:5], 0x50
	s_bcnt1_i32_b64 s7, s[10:11]
	v_mov_b32_e32 v2, 0
	v_mov_b32_e32 v3, s7
	s_waitcnt lgkmcnt(0)
	global_atomic_add v2, v2, v3, s[12:13] glc
.LBB434_3:
	s_or_b64 exec, exec, s[8:9]
	s_waitcnt vmcnt(0)
	v_readfirstlane_b32 s7, v2
	v_add_u32_e32 v1, s7, v1
	v_mov_b32_e32 v2, 0
	ds_write_b32 v2, v1 offset:26624
.LBB434_4:
	s_or_b64 exec, exec, s[2:3]
	v_mov_b32_e32 v1, 0
	s_load_dwordx4 s[24:27], s[4:5], 0x0
	s_load_dword s2, s[4:5], 0x20
	s_waitcnt lgkmcnt(0)
	s_barrier
	ds_read_b32 v1, v1 offset:26624
	s_waitcnt lgkmcnt(0)
	s_barrier
	v_readfirstlane_b32 s30, v1
	v_cmp_le_u32_e32 vcc, s22, v1
	s_mul_i32 s28, s30, 0x3000
	v_mbcnt_lo_u32_b32 v1, -1, 0
	s_cbranch_vccz .LBB434_100
; %bb.5:
	s_mul_i32 s7, s22, 0xffffd000
	s_mov_b32 s29, 0
	s_add_i32 s7, s7, s2
	s_lshl_b64 s[2:3], s[28:29], 1
	v_mbcnt_hi_u32_b32 v11, -1, v1
	s_add_u32 s2, s24, s2
	v_and_b32_e32 v2, 63, v11
	s_addc_u32 s3, s25, s3
	v_and_b32_e32 v3, 0x3c0, v10
	v_lshlrev_b32_e32 v4, 1, v2
	v_mul_u32_u24_e32 v3, 12, v3
	v_mov_b32_e32 v5, s3
	v_add_co_u32_e32 v4, vcc, s2, v4
	v_addc_co_u32_e32 v5, vcc, 0, v5, vcc
	v_lshlrev_b32_e32 v6, 1, v3
	s_mov_b32 s8, 0x7fff7fff
	v_add_co_u32_e32 v12, vcc, v4, v6
	s_mov_b32 s9, s8
	v_addc_co_u32_e32 v13, vcc, 0, v5, vcc
	v_or_b32_e32 v14, v2, v3
	s_mov_b32 s10, s8
	s_mov_b32 s11, s8
	;; [unrolled: 1-line block ×4, first 2 shown]
	v_pk_mov_b32 v[2:3], s[8:9], s[8:9] op_sel:[0,1]
	v_cmp_gt_u32_e32 vcc, s7, v14
	v_pk_mov_b32 v[4:5], s[10:11], s[10:11] op_sel:[0,1]
	v_pk_mov_b32 v[6:7], s[12:13], s[12:13] op_sel:[0,1]
	;; [unrolled: 1-line block ×3, first 2 shown]
	s_and_saveexec_b64 s[2:3], vcc
	s_cbranch_execz .LBB434_7
; %bb.6:
	global_load_ushort v2, v[12:13], off
	s_movk_i32 s8, 0x7fff
	v_mov_b32_e32 v7, 0x5040100
	v_mov_b32_e32 v3, 0x7fff7fff
	;; [unrolled: 1-line block ×5, first 2 shown]
	s_waitcnt vmcnt(0)
	v_perm_b32 v2, s8, v2, v7
	v_mov_b32_e32 v7, v3
.LBB434_7:
	s_or_b64 exec, exec, s[2:3]
	v_or_b32_e32 v8, 64, v14
	v_cmp_gt_u32_e32 vcc, s7, v8
	s_and_saveexec_b64 s[2:3], vcc
	s_cbranch_execz .LBB434_9
; %bb.8:
	global_load_ushort v8, v[12:13], off offset:128
	s_mov_b32 s8, 0x5040100
	s_waitcnt vmcnt(0)
	v_perm_b32 v2, v8, v2, s8
.LBB434_9:
	s_or_b64 exec, exec, s[2:3]
	v_or_b32_e32 v8, 0x80, v14
	v_cmp_gt_u32_e32 vcc, s7, v8
	s_and_saveexec_b64 s[2:3], vcc
	s_cbranch_execz .LBB434_11
; %bb.10:
	global_load_ushort v8, v[12:13], off offset:256
	s_mov_b32 s8, 0xffff
	s_waitcnt vmcnt(0)
	v_bfi_b32 v3, s8, v8, v3
.LBB434_11:
	s_or_b64 exec, exec, s[2:3]
	v_or_b32_e32 v8, 0xc0, v14
	v_cmp_gt_u32_e32 vcc, s7, v8
	s_and_saveexec_b64 s[2:3], vcc
	s_cbranch_execz .LBB434_13
; %bb.12:
	global_load_ushort v8, v[12:13], off offset:384
	s_mov_b32 s8, 0x5040100
	s_waitcnt vmcnt(0)
	v_perm_b32 v3, v8, v3, s8
.LBB434_13:
	s_or_b64 exec, exec, s[2:3]
	v_add_u32_e32 v8, 0x100, v14
	v_cmp_gt_u32_e32 vcc, s7, v8
	s_and_saveexec_b64 s[2:3], vcc
	s_cbranch_execz .LBB434_15
; %bb.14:
	global_load_ushort v8, v[12:13], off offset:512
	s_mov_b32 s8, 0xffff
	s_waitcnt vmcnt(0)
	v_bfi_b32 v4, s8, v8, v4
.LBB434_15:
	s_or_b64 exec, exec, s[2:3]
	v_add_u32_e32 v8, 0x140, v14
	v_cmp_gt_u32_e32 vcc, s7, v8
	s_and_saveexec_b64 s[2:3], vcc
	s_cbranch_execz .LBB434_17
; %bb.16:
	global_load_ushort v8, v[12:13], off offset:640
	s_mov_b32 s8, 0x5040100
	s_waitcnt vmcnt(0)
	v_perm_b32 v4, v8, v4, s8
.LBB434_17:
	s_or_b64 exec, exec, s[2:3]
	v_add_u32_e32 v8, 0x180, v14
	v_cmp_gt_u32_e32 vcc, s7, v8
	s_and_saveexec_b64 s[2:3], vcc
	s_cbranch_execz .LBB434_19
; %bb.18:
	global_load_ushort v8, v[12:13], off offset:768
	s_mov_b32 s8, 0xffff
	s_waitcnt vmcnt(0)
	v_bfi_b32 v5, s8, v8, v5
.LBB434_19:
	s_or_b64 exec, exec, s[2:3]
	v_add_u32_e32 v8, 0x1c0, v14
	;; [unrolled: 22-line block ×4, first 2 shown]
	v_cmp_gt_u32_e32 vcc, s7, v8
	s_and_saveexec_b64 s[2:3], vcc
	s_cbranch_execz .LBB434_29
; %bb.28:
	global_load_ushort v8, v[12:13], off offset:1408
	s_mov_b32 s8, 0x5040100
	s_waitcnt vmcnt(0)
	v_perm_b32 v7, v8, v7, s8
.LBB434_29:
	s_or_b64 exec, exec, s[2:3]
	s_load_dword s2, s[4:5], 0x64
	s_load_dword s29, s[4:5], 0x58
	s_add_u32 s3, s4, 0x58
	s_addc_u32 s8, s5, 0
	v_mov_b32_e32 v8, 0
	s_waitcnt lgkmcnt(0)
	s_lshr_b32 s9, s2, 16
	s_cmp_lt_u32 s6, s29
	s_cselect_b32 s2, 12, 18
	s_add_u32 s2, s3, s2
	s_addc_u32 s3, s8, 0
	global_load_ushort v12, v8, s[2:3]
	v_xor_b32_e32 v14, 0xffff8000, v2
	s_lshl_b32 s2, -1, s21
	v_lshrrev_b32_sdwa v16, s20, v14 dst_sel:DWORD dst_unused:UNUSED_PAD src0_sel:DWORD src1_sel:WORD_0
	s_not_b32 s31, s2
	v_and_b32_e32 v16, s31, v16
	v_and_b32_e32 v18, 1, v16
	v_bfe_u32 v9, v0, 10, 10
	v_bfe_u32 v13, v0, 20, 10
	v_add_co_u32_e32 v19, vcc, -1, v18
	v_mad_u32_u24 v13, v13, s9, v9
	v_lshlrev_b32_e32 v9, 30, v16
	v_addc_co_u32_e64 v20, s[2:3], 0, -1, vcc
	v_cmp_ne_u32_e32 vcc, 0, v18
	v_cmp_gt_i64_e64 s[2:3], 0, v[8:9]
	v_not_b32_e32 v18, v9
	v_lshlrev_b32_e32 v9, 29, v16
	v_xor_b32_e32 v20, vcc_hi, v20
	v_xor_b32_e32 v19, vcc_lo, v19
	v_ashrrev_i32_e32 v18, 31, v18
	v_cmp_gt_i64_e32 vcc, 0, v[8:9]
	v_not_b32_e32 v21, v9
	v_lshlrev_b32_e32 v9, 28, v16
	v_and_b32_e32 v20, exec_hi, v20
	v_and_b32_e32 v19, exec_lo, v19
	v_xor_b32_e32 v22, s3, v18
	v_xor_b32_e32 v18, s2, v18
	v_ashrrev_i32_e32 v21, 31, v21
	v_cmp_gt_i64_e64 s[2:3], 0, v[8:9]
	v_not_b32_e32 v23, v9
	v_lshlrev_b32_e32 v9, 27, v16
	v_and_b32_e32 v20, v20, v22
	v_and_b32_e32 v18, v19, v18
	v_xor_b32_e32 v19, vcc_hi, v21
	v_xor_b32_e32 v21, vcc_lo, v21
	v_ashrrev_i32_e32 v22, 31, v23
	v_cmp_gt_i64_e32 vcc, 0, v[8:9]
	v_not_b32_e32 v23, v9
	v_lshlrev_b32_e32 v9, 26, v16
	v_and_b32_e32 v19, v20, v19
	v_and_b32_e32 v18, v18, v21
	v_xor_b32_e32 v20, s3, v22
	v_xor_b32_e32 v21, s2, v22
	v_ashrrev_i32_e32 v22, 31, v23
	v_cmp_gt_i64_e64 s[2:3], 0, v[8:9]
	v_not_b32_e32 v23, v9
	v_lshlrev_b32_e32 v9, 25, v16
	v_and_b32_e32 v19, v19, v20
	v_and_b32_e32 v18, v18, v21
	v_xor_b32_e32 v20, vcc_hi, v22
	v_xor_b32_e32 v21, vcc_lo, v22
	v_ashrrev_i32_e32 v22, 31, v23
	v_cmp_gt_i64_e32 vcc, 0, v[8:9]
	v_not_b32_e32 v23, v9
	v_lshlrev_b32_e32 v9, 24, v16
	v_mul_u32_u24_e32 v17, 17, v16
	v_and_b32_e32 v16, v19, v20
	v_and_b32_e32 v18, v18, v21
	v_xor_b32_e32 v19, s3, v22
	v_xor_b32_e32 v20, s2, v22
	v_ashrrev_i32_e32 v21, 31, v23
	v_cmp_gt_i64_e64 s[2:3], 0, v[8:9]
	v_not_b32_e32 v9, v9
	v_and_b32_e32 v16, v16, v19
	v_and_b32_e32 v18, v18, v20
	v_xor_b32_e32 v19, vcc_hi, v21
	v_xor_b32_e32 v20, vcc_lo, v21
	v_ashrrev_i32_e32 v9, 31, v9
	v_and_b32_e32 v16, v16, v19
	v_and_b32_e32 v18, v18, v20
	v_mul_u32_u24_e32 v15, 5, v10
	s_movk_i32 s8, 0x8000
	v_lshlrev_b32_e32 v15, 2, v15
	ds_write2_b32 v15, v8, v8 offset0:16 offset1:17
	ds_write2_b32 v15, v8, v8 offset0:18 offset1:19
	ds_write_b32 v15, v8 offset:80
	s_waitcnt lgkmcnt(0)
	s_barrier
	s_waitcnt vmcnt(0)
	v_mad_u64_u32 v[12:13], s[10:11], v13, v12, v[10:11]
	v_lshrrev_b32_e32 v26, 6, v12
	v_xor_b32_e32 v12, s3, v9
	v_xor_b32_e32 v9, s2, v9
	v_and_b32_e32 v13, v16, v12
	v_and_b32_e32 v12, v18, v9
	v_mbcnt_lo_u32_b32 v9, v12, 0
	v_mbcnt_hi_u32_b32 v16, v13, v9
	v_cmp_eq_u32_e32 vcc, 0, v16
	v_cmp_ne_u64_e64 s[2:3], 0, v[12:13]
	v_add_lshl_u32 v19, v26, v17, 2
	s_and_b64 s[10:11], s[2:3], vcc
	; wave barrier
	s_and_saveexec_b64 s[2:3], s[10:11]
	s_cbranch_execz .LBB434_31
; %bb.30:
	v_bcnt_u32_b32 v9, v12, 0
	v_bcnt_u32_b32 v9, v13, v9
	ds_write_b32 v19, v9 offset:64
.LBB434_31:
	s_or_b64 exec, exec, s[2:3]
	v_xor_b32_sdwa v17, v2, s8 dst_sel:DWORD dst_unused:UNUSED_PAD src0_sel:WORD_1 src1_sel:DWORD
	v_lshrrev_b32_sdwa v2, s20, v17 dst_sel:DWORD dst_unused:UNUSED_PAD src0_sel:DWORD src1_sel:WORD_0
	v_and_b32_e32 v2, s31, v2
	v_mul_u32_u24_e32 v9, 17, v2
	v_add_lshl_u32 v20, v26, v9, 2
	v_and_b32_e32 v9, 1, v2
	v_add_co_u32_e32 v12, vcc, -1, v9
	v_addc_co_u32_e64 v13, s[2:3], 0, -1, vcc
	v_cmp_ne_u32_e32 vcc, 0, v9
	v_xor_b32_e32 v9, vcc_hi, v13
	v_and_b32_e32 v13, exec_hi, v9
	v_lshlrev_b32_e32 v9, 30, v2
	v_xor_b32_e32 v12, vcc_lo, v12
	v_cmp_gt_i64_e32 vcc, 0, v[8:9]
	v_not_b32_e32 v9, v9
	v_ashrrev_i32_e32 v9, 31, v9
	v_and_b32_e32 v12, exec_lo, v12
	v_xor_b32_e32 v21, vcc_hi, v9
	v_xor_b32_e32 v9, vcc_lo, v9
	v_and_b32_e32 v12, v12, v9
	v_lshlrev_b32_e32 v9, 29, v2
	v_cmp_gt_i64_e32 vcc, 0, v[8:9]
	v_not_b32_e32 v9, v9
	v_ashrrev_i32_e32 v9, 31, v9
	v_and_b32_e32 v13, v13, v21
	v_xor_b32_e32 v21, vcc_hi, v9
	v_xor_b32_e32 v9, vcc_lo, v9
	v_and_b32_e32 v12, v12, v9
	v_lshlrev_b32_e32 v9, 28, v2
	v_cmp_gt_i64_e32 vcc, 0, v[8:9]
	v_not_b32_e32 v9, v9
	v_ashrrev_i32_e32 v9, 31, v9
	v_and_b32_e32 v13, v13, v21
	;; [unrolled: 8-line block ×5, first 2 shown]
	v_xor_b32_e32 v21, vcc_hi, v9
	v_xor_b32_e32 v9, vcc_lo, v9
	v_and_b32_e32 v12, v12, v9
	v_lshlrev_b32_e32 v9, 24, v2
	v_not_b32_e32 v2, v9
	v_cmp_gt_i64_e32 vcc, 0, v[8:9]
	v_ashrrev_i32_e32 v2, 31, v2
	v_and_b32_e32 v13, v13, v21
	v_xor_b32_e32 v8, vcc_hi, v2
	v_xor_b32_e32 v2, vcc_lo, v2
	; wave barrier
	ds_read_b32 v18, v20 offset:64
	v_and_b32_e32 v9, v13, v8
	v_and_b32_e32 v8, v12, v2
	v_mbcnt_lo_u32_b32 v2, v8, 0
	v_mbcnt_hi_u32_b32 v21, v9, v2
	v_cmp_eq_u32_e32 vcc, 0, v21
	v_cmp_ne_u64_e64 s[2:3], 0, v[8:9]
	s_and_b64 s[8:9], s[2:3], vcc
	; wave barrier
	s_and_saveexec_b64 s[2:3], s[8:9]
	s_cbranch_execz .LBB434_33
; %bb.32:
	v_bcnt_u32_b32 v2, v8, 0
	v_bcnt_u32_b32 v2, v9, v2
	s_waitcnt lgkmcnt(0)
	v_add_u32_e32 v2, v18, v2
	ds_write_b32 v20, v2 offset:64
.LBB434_33:
	s_or_b64 exec, exec, s[2:3]
	v_xor_b32_e32 v22, 0xffff8000, v3
	v_lshrrev_b32_sdwa v2, s20, v22 dst_sel:DWORD dst_unused:UNUSED_PAD src0_sel:DWORD src1_sel:WORD_0
	v_and_b32_e32 v2, s31, v2
	v_and_b32_e32 v9, 1, v2
	v_add_co_u32_e32 v12, vcc, -1, v9
	v_addc_co_u32_e64 v13, s[2:3], 0, -1, vcc
	v_cmp_ne_u32_e32 vcc, 0, v9
	v_mul_u32_u24_e32 v8, 17, v2
	v_xor_b32_e32 v9, vcc_hi, v13
	v_add_lshl_u32 v24, v26, v8, 2
	v_mov_b32_e32 v8, 0
	v_and_b32_e32 v13, exec_hi, v9
	v_lshlrev_b32_e32 v9, 30, v2
	v_xor_b32_e32 v12, vcc_lo, v12
	v_cmp_gt_i64_e32 vcc, 0, v[8:9]
	v_not_b32_e32 v9, v9
	v_ashrrev_i32_e32 v9, 31, v9
	v_and_b32_e32 v12, exec_lo, v12
	v_xor_b32_e32 v25, vcc_hi, v9
	v_xor_b32_e32 v9, vcc_lo, v9
	v_and_b32_e32 v12, v12, v9
	v_lshlrev_b32_e32 v9, 29, v2
	v_cmp_gt_i64_e32 vcc, 0, v[8:9]
	v_not_b32_e32 v9, v9
	v_ashrrev_i32_e32 v9, 31, v9
	v_and_b32_e32 v13, v13, v25
	v_xor_b32_e32 v25, vcc_hi, v9
	v_xor_b32_e32 v9, vcc_lo, v9
	v_and_b32_e32 v12, v12, v9
	v_lshlrev_b32_e32 v9, 28, v2
	v_cmp_gt_i64_e32 vcc, 0, v[8:9]
	v_not_b32_e32 v9, v9
	v_ashrrev_i32_e32 v9, 31, v9
	v_and_b32_e32 v13, v13, v25
	;; [unrolled: 8-line block ×5, first 2 shown]
	v_xor_b32_e32 v25, vcc_hi, v9
	v_xor_b32_e32 v9, vcc_lo, v9
	v_and_b32_e32 v12, v12, v9
	v_lshlrev_b32_e32 v9, 24, v2
	v_not_b32_e32 v2, v9
	v_cmp_gt_i64_e32 vcc, 0, v[8:9]
	v_ashrrev_i32_e32 v2, 31, v2
	v_xor_b32_e32 v9, vcc_hi, v2
	v_xor_b32_e32 v2, vcc_lo, v2
	; wave barrier
	ds_read_b32 v23, v24 offset:64
	v_and_b32_e32 v13, v13, v25
	v_and_b32_e32 v12, v12, v2
	;; [unrolled: 1-line block ×3, first 2 shown]
	v_mbcnt_lo_u32_b32 v2, v12, 0
	v_mbcnt_hi_u32_b32 v25, v13, v2
	v_cmp_eq_u32_e32 vcc, 0, v25
	v_cmp_ne_u64_e64 s[2:3], 0, v[12:13]
	s_movk_i32 s8, 0x8000
	s_and_b64 s[10:11], s[2:3], vcc
	; wave barrier
	s_and_saveexec_b64 s[2:3], s[10:11]
	s_cbranch_execz .LBB434_35
; %bb.34:
	v_bcnt_u32_b32 v2, v12, 0
	v_bcnt_u32_b32 v2, v13, v2
	s_waitcnt lgkmcnt(0)
	v_add_u32_e32 v2, v23, v2
	ds_write_b32 v24, v2 offset:64
.LBB434_35:
	s_or_b64 exec, exec, s[2:3]
	v_xor_b32_sdwa v12, v3, s8 dst_sel:DWORD dst_unused:UNUSED_PAD src0_sel:WORD_1 src1_sel:DWORD
	v_lshrrev_b32_sdwa v2, s20, v12 dst_sel:DWORD dst_unused:UNUSED_PAD src0_sel:DWORD src1_sel:WORD_0
	v_and_b32_e32 v2, s31, v2
	v_mul_u32_u24_e32 v3, 17, v2
	v_add_lshl_u32 v27, v26, v3, 2
	v_and_b32_e32 v3, 1, v2
	v_add_co_u32_e32 v9, vcc, -1, v3
	v_addc_co_u32_e64 v28, s[2:3], 0, -1, vcc
	v_cmp_ne_u32_e32 vcc, 0, v3
	v_xor_b32_e32 v9, vcc_lo, v9
	v_xor_b32_e32 v3, vcc_hi, v28
	v_and_b32_e32 v28, exec_lo, v9
	v_lshlrev_b32_e32 v9, 30, v2
	v_cmp_gt_i64_e32 vcc, 0, v[8:9]
	v_not_b32_e32 v9, v9
	v_ashrrev_i32_e32 v9, 31, v9
	v_xor_b32_e32 v29, vcc_hi, v9
	v_xor_b32_e32 v9, vcc_lo, v9
	v_and_b32_e32 v28, v28, v9
	v_lshlrev_b32_e32 v9, 29, v2
	v_cmp_gt_i64_e32 vcc, 0, v[8:9]
	v_not_b32_e32 v9, v9
	v_and_b32_e32 v3, exec_hi, v3
	v_ashrrev_i32_e32 v9, 31, v9
	v_and_b32_e32 v3, v3, v29
	v_xor_b32_e32 v29, vcc_hi, v9
	v_xor_b32_e32 v9, vcc_lo, v9
	v_and_b32_e32 v28, v28, v9
	v_lshlrev_b32_e32 v9, 28, v2
	v_cmp_gt_i64_e32 vcc, 0, v[8:9]
	v_not_b32_e32 v9, v9
	v_ashrrev_i32_e32 v9, 31, v9
	v_and_b32_e32 v3, v3, v29
	v_xor_b32_e32 v29, vcc_hi, v9
	v_xor_b32_e32 v9, vcc_lo, v9
	v_and_b32_e32 v28, v28, v9
	v_lshlrev_b32_e32 v9, 27, v2
	v_cmp_gt_i64_e32 vcc, 0, v[8:9]
	v_not_b32_e32 v9, v9
	;; [unrolled: 8-line block ×4, first 2 shown]
	v_ashrrev_i32_e32 v9, 31, v9
	v_and_b32_e32 v3, v3, v29
	v_xor_b32_e32 v29, vcc_hi, v9
	v_xor_b32_e32 v9, vcc_lo, v9
	v_and_b32_e32 v28, v28, v9
	v_lshlrev_b32_e32 v9, 24, v2
	v_not_b32_e32 v2, v9
	v_cmp_gt_i64_e32 vcc, 0, v[8:9]
	v_ashrrev_i32_e32 v2, 31, v2
	v_xor_b32_e32 v8, vcc_hi, v2
	v_xor_b32_e32 v2, vcc_lo, v2
	; wave barrier
	ds_read_b32 v13, v27 offset:64
	v_and_b32_e32 v3, v3, v29
	v_and_b32_e32 v2, v28, v2
	;; [unrolled: 1-line block ×3, first 2 shown]
	v_mbcnt_lo_u32_b32 v8, v2, 0
	v_mbcnt_hi_u32_b32 v28, v3, v8
	v_cmp_eq_u32_e32 vcc, 0, v28
	v_cmp_ne_u64_e64 s[2:3], 0, v[2:3]
	s_and_b64 s[8:9], s[2:3], vcc
	; wave barrier
	s_and_saveexec_b64 s[2:3], s[8:9]
	s_cbranch_execz .LBB434_37
; %bb.36:
	v_bcnt_u32_b32 v2, v2, 0
	v_bcnt_u32_b32 v2, v3, v2
	s_waitcnt lgkmcnt(0)
	v_add_u32_e32 v2, v13, v2
	ds_write_b32 v27, v2 offset:64
.LBB434_37:
	s_or_b64 exec, exec, s[2:3]
	v_xor_b32_e32 v29, 0xffff8000, v4
	v_lshrrev_b32_sdwa v2, s20, v29 dst_sel:DWORD dst_unused:UNUSED_PAD src0_sel:DWORD src1_sel:WORD_0
	v_and_b32_e32 v8, s31, v2
	v_and_b32_e32 v3, 1, v8
	v_add_co_u32_e32 v9, vcc, -1, v3
	v_addc_co_u32_e64 v32, s[2:3], 0, -1, vcc
	v_cmp_ne_u32_e32 vcc, 0, v3
	v_mul_u32_u24_e32 v2, 17, v8
	v_xor_b32_e32 v3, vcc_hi, v32
	v_add_lshl_u32 v31, v26, v2, 2
	v_mov_b32_e32 v2, 0
	v_and_b32_e32 v32, exec_hi, v3
	v_lshlrev_b32_e32 v3, 30, v8
	v_xor_b32_e32 v9, vcc_lo, v9
	v_cmp_gt_i64_e32 vcc, 0, v[2:3]
	v_not_b32_e32 v3, v3
	v_ashrrev_i32_e32 v3, 31, v3
	v_and_b32_e32 v9, exec_lo, v9
	v_xor_b32_e32 v33, vcc_hi, v3
	v_xor_b32_e32 v3, vcc_lo, v3
	v_and_b32_e32 v9, v9, v3
	v_lshlrev_b32_e32 v3, 29, v8
	v_cmp_gt_i64_e32 vcc, 0, v[2:3]
	v_not_b32_e32 v3, v3
	v_ashrrev_i32_e32 v3, 31, v3
	v_and_b32_e32 v32, v32, v33
	v_xor_b32_e32 v33, vcc_hi, v3
	v_xor_b32_e32 v3, vcc_lo, v3
	v_and_b32_e32 v9, v9, v3
	v_lshlrev_b32_e32 v3, 28, v8
	v_cmp_gt_i64_e32 vcc, 0, v[2:3]
	v_not_b32_e32 v3, v3
	v_ashrrev_i32_e32 v3, 31, v3
	v_and_b32_e32 v32, v32, v33
	;; [unrolled: 8-line block ×5, first 2 shown]
	v_xor_b32_e32 v33, vcc_hi, v3
	v_xor_b32_e32 v3, vcc_lo, v3
	v_and_b32_e32 v32, v32, v33
	v_and_b32_e32 v33, v9, v3
	v_lshlrev_b32_e32 v3, 24, v8
	v_cmp_gt_i64_e32 vcc, 0, v[2:3]
	v_not_b32_e32 v3, v3
	v_ashrrev_i32_e32 v3, 31, v3
	v_xor_b32_e32 v8, vcc_hi, v3
	v_xor_b32_e32 v3, vcc_lo, v3
	; wave barrier
	ds_read_b32 v30, v31 offset:64
	v_and_b32_e32 v9, v32, v8
	v_and_b32_e32 v8, v33, v3
	v_mbcnt_lo_u32_b32 v3, v8, 0
	v_mbcnt_hi_u32_b32 v33, v9, v3
	v_cmp_eq_u32_e32 vcc, 0, v33
	v_cmp_ne_u64_e64 s[2:3], 0, v[8:9]
	s_movk_i32 s8, 0x8000
	s_and_b64 s[10:11], s[2:3], vcc
	; wave barrier
	s_and_saveexec_b64 s[2:3], s[10:11]
	s_cbranch_execz .LBB434_39
; %bb.38:
	v_bcnt_u32_b32 v3, v8, 0
	v_bcnt_u32_b32 v3, v9, v3
	s_waitcnt lgkmcnt(0)
	v_add_u32_e32 v3, v30, v3
	ds_write_b32 v31, v3 offset:64
.LBB434_39:
	s_or_b64 exec, exec, s[2:3]
	v_xor_b32_sdwa v32, v4, s8 dst_sel:DWORD dst_unused:UNUSED_PAD src0_sel:WORD_1 src1_sel:DWORD
	v_lshrrev_b32_sdwa v3, s20, v32 dst_sel:DWORD dst_unused:UNUSED_PAD src0_sel:DWORD src1_sel:WORD_0
	v_and_b32_e32 v4, s31, v3
	v_mul_u32_u24_e32 v3, 17, v4
	v_add_lshl_u32 v35, v26, v3, 2
	v_and_b32_e32 v3, 1, v4
	v_add_co_u32_e32 v8, vcc, -1, v3
	v_addc_co_u32_e64 v9, s[2:3], 0, -1, vcc
	v_cmp_ne_u32_e32 vcc, 0, v3
	v_xor_b32_e32 v3, vcc_hi, v9
	v_and_b32_e32 v9, exec_hi, v3
	v_lshlrev_b32_e32 v3, 30, v4
	v_xor_b32_e32 v8, vcc_lo, v8
	v_cmp_gt_i64_e32 vcc, 0, v[2:3]
	v_not_b32_e32 v3, v3
	v_ashrrev_i32_e32 v3, 31, v3
	v_and_b32_e32 v8, exec_lo, v8
	v_xor_b32_e32 v36, vcc_hi, v3
	v_xor_b32_e32 v3, vcc_lo, v3
	v_and_b32_e32 v8, v8, v3
	v_lshlrev_b32_e32 v3, 29, v4
	v_cmp_gt_i64_e32 vcc, 0, v[2:3]
	v_not_b32_e32 v3, v3
	v_ashrrev_i32_e32 v3, 31, v3
	v_and_b32_e32 v9, v9, v36
	v_xor_b32_e32 v36, vcc_hi, v3
	v_xor_b32_e32 v3, vcc_lo, v3
	v_and_b32_e32 v8, v8, v3
	v_lshlrev_b32_e32 v3, 28, v4
	v_cmp_gt_i64_e32 vcc, 0, v[2:3]
	v_not_b32_e32 v3, v3
	v_ashrrev_i32_e32 v3, 31, v3
	v_and_b32_e32 v9, v9, v36
	;; [unrolled: 8-line block ×5, first 2 shown]
	v_xor_b32_e32 v36, vcc_hi, v3
	v_xor_b32_e32 v3, vcc_lo, v3
	v_and_b32_e32 v8, v8, v3
	v_lshlrev_b32_e32 v3, 24, v4
	v_cmp_gt_i64_e32 vcc, 0, v[2:3]
	v_not_b32_e32 v2, v3
	v_ashrrev_i32_e32 v2, 31, v2
	v_xor_b32_e32 v3, vcc_hi, v2
	v_xor_b32_e32 v2, vcc_lo, v2
	; wave barrier
	ds_read_b32 v34, v35 offset:64
	v_and_b32_e32 v9, v9, v36
	v_and_b32_e32 v2, v8, v2
	;; [unrolled: 1-line block ×3, first 2 shown]
	v_mbcnt_lo_u32_b32 v4, v2, 0
	v_mbcnt_hi_u32_b32 v37, v3, v4
	v_cmp_eq_u32_e32 vcc, 0, v37
	v_cmp_ne_u64_e64 s[2:3], 0, v[2:3]
	s_and_b64 s[8:9], s[2:3], vcc
	; wave barrier
	s_and_saveexec_b64 s[2:3], s[8:9]
	s_cbranch_execz .LBB434_41
; %bb.40:
	v_bcnt_u32_b32 v2, v2, 0
	v_bcnt_u32_b32 v2, v3, v2
	s_waitcnt lgkmcnt(0)
	v_add_u32_e32 v2, v34, v2
	ds_write_b32 v35, v2 offset:64
.LBB434_41:
	s_or_b64 exec, exec, s[2:3]
	v_xor_b32_e32 v36, 0xffff8000, v5
	v_lshrrev_b32_sdwa v2, s20, v36 dst_sel:DWORD dst_unused:UNUSED_PAD src0_sel:DWORD src1_sel:WORD_0
	v_and_b32_e32 v4, s31, v2
	v_and_b32_e32 v3, 1, v4
	v_add_co_u32_e32 v8, vcc, -1, v3
	v_addc_co_u32_e64 v9, s[2:3], 0, -1, vcc
	v_cmp_ne_u32_e32 vcc, 0, v3
	v_mul_u32_u24_e32 v2, 17, v4
	v_xor_b32_e32 v3, vcc_hi, v9
	v_add_lshl_u32 v39, v26, v2, 2
	v_mov_b32_e32 v2, 0
	v_and_b32_e32 v9, exec_hi, v3
	v_lshlrev_b32_e32 v3, 30, v4
	v_xor_b32_e32 v8, vcc_lo, v8
	v_cmp_gt_i64_e32 vcc, 0, v[2:3]
	v_not_b32_e32 v3, v3
	v_ashrrev_i32_e32 v3, 31, v3
	v_and_b32_e32 v8, exec_lo, v8
	v_xor_b32_e32 v40, vcc_hi, v3
	v_xor_b32_e32 v3, vcc_lo, v3
	v_and_b32_e32 v8, v8, v3
	v_lshlrev_b32_e32 v3, 29, v4
	v_cmp_gt_i64_e32 vcc, 0, v[2:3]
	v_not_b32_e32 v3, v3
	v_ashrrev_i32_e32 v3, 31, v3
	v_and_b32_e32 v9, v9, v40
	v_xor_b32_e32 v40, vcc_hi, v3
	v_xor_b32_e32 v3, vcc_lo, v3
	v_and_b32_e32 v8, v8, v3
	v_lshlrev_b32_e32 v3, 28, v4
	v_cmp_gt_i64_e32 vcc, 0, v[2:3]
	v_not_b32_e32 v3, v3
	v_ashrrev_i32_e32 v3, 31, v3
	v_and_b32_e32 v9, v9, v40
	v_xor_b32_e32 v40, vcc_hi, v3
	v_xor_b32_e32 v3, vcc_lo, v3
	v_and_b32_e32 v8, v8, v3
	v_lshlrev_b32_e32 v3, 27, v4
	v_cmp_gt_i64_e32 vcc, 0, v[2:3]
	v_not_b32_e32 v3, v3
	v_ashrrev_i32_e32 v3, 31, v3
	v_and_b32_e32 v9, v9, v40
	v_xor_b32_e32 v40, vcc_hi, v3
	v_xor_b32_e32 v3, vcc_lo, v3
	v_and_b32_e32 v8, v8, v3
	v_lshlrev_b32_e32 v3, 26, v4
	v_cmp_gt_i64_e32 vcc, 0, v[2:3]
	v_not_b32_e32 v3, v3
	v_ashrrev_i32_e32 v3, 31, v3
	v_and_b32_e32 v9, v9, v40
	v_xor_b32_e32 v40, vcc_hi, v3
	v_xor_b32_e32 v3, vcc_lo, v3
	v_and_b32_e32 v8, v8, v3
	v_lshlrev_b32_e32 v3, 25, v4
	v_cmp_gt_i64_e32 vcc, 0, v[2:3]
	v_not_b32_e32 v3, v3
	v_ashrrev_i32_e32 v3, 31, v3
	v_and_b32_e32 v9, v9, v40
	v_xor_b32_e32 v40, vcc_hi, v3
	v_xor_b32_e32 v3, vcc_lo, v3
	v_and_b32_e32 v8, v8, v3
	v_lshlrev_b32_e32 v3, 24, v4
	v_cmp_gt_i64_e32 vcc, 0, v[2:3]
	v_not_b32_e32 v3, v3
	v_ashrrev_i32_e32 v3, 31, v3
	v_xor_b32_e32 v4, vcc_hi, v3
	v_xor_b32_e32 v3, vcc_lo, v3
	; wave barrier
	ds_read_b32 v38, v39 offset:64
	v_and_b32_e32 v9, v9, v40
	v_and_b32_e32 v8, v8, v3
	;; [unrolled: 1-line block ×3, first 2 shown]
	v_mbcnt_lo_u32_b32 v3, v8, 0
	v_mbcnt_hi_u32_b32 v40, v9, v3
	v_cmp_eq_u32_e32 vcc, 0, v40
	v_cmp_ne_u64_e64 s[2:3], 0, v[8:9]
	s_movk_i32 s8, 0x8000
	s_and_b64 s[10:11], s[2:3], vcc
	; wave barrier
	s_and_saveexec_b64 s[2:3], s[10:11]
	s_cbranch_execz .LBB434_43
; %bb.42:
	v_bcnt_u32_b32 v3, v8, 0
	v_bcnt_u32_b32 v3, v9, v3
	s_waitcnt lgkmcnt(0)
	v_add_u32_e32 v3, v38, v3
	ds_write_b32 v39, v3 offset:64
.LBB434_43:
	s_or_b64 exec, exec, s[2:3]
	v_xor_b32_sdwa v8, v5, s8 dst_sel:DWORD dst_unused:UNUSED_PAD src0_sel:WORD_1 src1_sel:DWORD
	v_lshrrev_b32_sdwa v3, s20, v8 dst_sel:DWORD dst_unused:UNUSED_PAD src0_sel:DWORD src1_sel:WORD_0
	v_and_b32_e32 v4, s31, v3
	v_mul_u32_u24_e32 v3, 17, v4
	v_add_lshl_u32 v41, v26, v3, 2
	v_and_b32_e32 v3, 1, v4
	v_add_co_u32_e32 v5, vcc, -1, v3
	v_addc_co_u32_e64 v42, s[2:3], 0, -1, vcc
	v_cmp_ne_u32_e32 vcc, 0, v3
	v_xor_b32_e32 v3, vcc_hi, v42
	v_and_b32_e32 v42, exec_hi, v3
	v_lshlrev_b32_e32 v3, 30, v4
	v_xor_b32_e32 v5, vcc_lo, v5
	v_cmp_gt_i64_e32 vcc, 0, v[2:3]
	v_not_b32_e32 v3, v3
	v_ashrrev_i32_e32 v3, 31, v3
	v_and_b32_e32 v5, exec_lo, v5
	v_xor_b32_e32 v43, vcc_hi, v3
	v_xor_b32_e32 v3, vcc_lo, v3
	v_and_b32_e32 v5, v5, v3
	v_lshlrev_b32_e32 v3, 29, v4
	v_cmp_gt_i64_e32 vcc, 0, v[2:3]
	v_not_b32_e32 v3, v3
	v_ashrrev_i32_e32 v3, 31, v3
	v_and_b32_e32 v42, v42, v43
	v_xor_b32_e32 v43, vcc_hi, v3
	v_xor_b32_e32 v3, vcc_lo, v3
	v_and_b32_e32 v5, v5, v3
	v_lshlrev_b32_e32 v3, 28, v4
	v_cmp_gt_i64_e32 vcc, 0, v[2:3]
	v_not_b32_e32 v3, v3
	v_ashrrev_i32_e32 v3, 31, v3
	v_and_b32_e32 v42, v42, v43
	v_xor_b32_e32 v43, vcc_hi, v3
	v_xor_b32_e32 v3, vcc_lo, v3
	v_and_b32_e32 v5, v5, v3
	v_lshlrev_b32_e32 v3, 27, v4
	v_cmp_gt_i64_e32 vcc, 0, v[2:3]
	v_not_b32_e32 v3, v3
	v_ashrrev_i32_e32 v3, 31, v3
	v_and_b32_e32 v42, v42, v43
	v_xor_b32_e32 v43, vcc_hi, v3
	v_xor_b32_e32 v3, vcc_lo, v3
	v_and_b32_e32 v5, v5, v3
	v_lshlrev_b32_e32 v3, 26, v4
	v_cmp_gt_i64_e32 vcc, 0, v[2:3]
	v_not_b32_e32 v3, v3
	v_ashrrev_i32_e32 v3, 31, v3
	v_and_b32_e32 v42, v42, v43
	v_xor_b32_e32 v43, vcc_hi, v3
	v_xor_b32_e32 v3, vcc_lo, v3
	v_and_b32_e32 v5, v5, v3
	v_lshlrev_b32_e32 v3, 25, v4
	v_cmp_gt_i64_e32 vcc, 0, v[2:3]
	v_not_b32_e32 v3, v3
	v_ashrrev_i32_e32 v3, 31, v3
	v_and_b32_e32 v42, v42, v43
	v_xor_b32_e32 v43, vcc_hi, v3
	v_xor_b32_e32 v3, vcc_lo, v3
	v_and_b32_e32 v5, v5, v3
	v_lshlrev_b32_e32 v3, 24, v4
	v_cmp_gt_i64_e32 vcc, 0, v[2:3]
	v_not_b32_e32 v2, v3
	v_ashrrev_i32_e32 v2, 31, v2
	v_xor_b32_e32 v3, vcc_hi, v2
	v_xor_b32_e32 v2, vcc_lo, v2
	; wave barrier
	ds_read_b32 v9, v41 offset:64
	v_and_b32_e32 v42, v42, v43
	v_and_b32_e32 v2, v5, v2
	;; [unrolled: 1-line block ×3, first 2 shown]
	v_mbcnt_lo_u32_b32 v4, v2, 0
	v_mbcnt_hi_u32_b32 v43, v3, v4
	v_cmp_eq_u32_e32 vcc, 0, v43
	v_cmp_ne_u64_e64 s[2:3], 0, v[2:3]
	s_and_b64 s[8:9], s[2:3], vcc
	; wave barrier
	s_and_saveexec_b64 s[2:3], s[8:9]
	s_cbranch_execz .LBB434_45
; %bb.44:
	v_bcnt_u32_b32 v2, v2, 0
	v_bcnt_u32_b32 v2, v3, v2
	s_waitcnt lgkmcnt(0)
	v_add_u32_e32 v2, v9, v2
	ds_write_b32 v41, v2 offset:64
.LBB434_45:
	s_or_b64 exec, exec, s[2:3]
	v_xor_b32_e32 v42, 0xffff8000, v6
	v_lshrrev_b32_sdwa v2, s20, v42 dst_sel:DWORD dst_unused:UNUSED_PAD src0_sel:DWORD src1_sel:WORD_0
	v_and_b32_e32 v4, s31, v2
	v_and_b32_e32 v3, 1, v4
	v_add_co_u32_e32 v5, vcc, -1, v3
	v_addc_co_u32_e64 v46, s[2:3], 0, -1, vcc
	v_cmp_ne_u32_e32 vcc, 0, v3
	v_mul_u32_u24_e32 v2, 17, v4
	v_xor_b32_e32 v3, vcc_hi, v46
	v_add_lshl_u32 v45, v26, v2, 2
	v_mov_b32_e32 v2, 0
	v_and_b32_e32 v46, exec_hi, v3
	v_lshlrev_b32_e32 v3, 30, v4
	v_xor_b32_e32 v5, vcc_lo, v5
	v_cmp_gt_i64_e32 vcc, 0, v[2:3]
	v_not_b32_e32 v3, v3
	v_ashrrev_i32_e32 v3, 31, v3
	v_and_b32_e32 v5, exec_lo, v5
	v_xor_b32_e32 v47, vcc_hi, v3
	v_xor_b32_e32 v3, vcc_lo, v3
	v_and_b32_e32 v5, v5, v3
	v_lshlrev_b32_e32 v3, 29, v4
	v_cmp_gt_i64_e32 vcc, 0, v[2:3]
	v_not_b32_e32 v3, v3
	v_ashrrev_i32_e32 v3, 31, v3
	v_and_b32_e32 v46, v46, v47
	v_xor_b32_e32 v47, vcc_hi, v3
	v_xor_b32_e32 v3, vcc_lo, v3
	v_and_b32_e32 v5, v5, v3
	v_lshlrev_b32_e32 v3, 28, v4
	v_cmp_gt_i64_e32 vcc, 0, v[2:3]
	v_not_b32_e32 v3, v3
	v_ashrrev_i32_e32 v3, 31, v3
	v_and_b32_e32 v46, v46, v47
	;; [unrolled: 8-line block ×5, first 2 shown]
	v_xor_b32_e32 v47, vcc_hi, v3
	v_xor_b32_e32 v3, vcc_lo, v3
	v_and_b32_e32 v46, v46, v47
	v_and_b32_e32 v47, v5, v3
	v_lshlrev_b32_e32 v3, 24, v4
	v_cmp_gt_i64_e32 vcc, 0, v[2:3]
	v_not_b32_e32 v3, v3
	v_ashrrev_i32_e32 v3, 31, v3
	v_xor_b32_e32 v4, vcc_hi, v3
	v_xor_b32_e32 v3, vcc_lo, v3
	; wave barrier
	ds_read_b32 v44, v45 offset:64
	v_and_b32_e32 v5, v46, v4
	v_and_b32_e32 v4, v47, v3
	v_mbcnt_lo_u32_b32 v3, v4, 0
	v_mbcnt_hi_u32_b32 v46, v5, v3
	v_cmp_eq_u32_e32 vcc, 0, v46
	v_cmp_ne_u64_e64 s[2:3], 0, v[4:5]
	s_movk_i32 s8, 0x8000
	s_and_b64 s[10:11], s[2:3], vcc
	; wave barrier
	s_and_saveexec_b64 s[2:3], s[10:11]
	s_cbranch_execz .LBB434_47
; %bb.46:
	v_bcnt_u32_b32 v3, v4, 0
	v_bcnt_u32_b32 v3, v5, v3
	s_waitcnt lgkmcnt(0)
	v_add_u32_e32 v3, v44, v3
	ds_write_b32 v45, v3 offset:64
.LBB434_47:
	s_or_b64 exec, exec, s[2:3]
	v_xor_b32_sdwa v6, v6, s8 dst_sel:DWORD dst_unused:UNUSED_PAD src0_sel:WORD_1 src1_sel:DWORD
	v_lshrrev_b32_sdwa v3, s20, v6 dst_sel:DWORD dst_unused:UNUSED_PAD src0_sel:DWORD src1_sel:WORD_0
	v_and_b32_e32 v4, s31, v3
	v_mul_u32_u24_e32 v3, 17, v4
	v_add_lshl_u32 v48, v26, v3, 2
	v_and_b32_e32 v3, 1, v4
	v_add_co_u32_e32 v5, vcc, -1, v3
	v_addc_co_u32_e64 v49, s[2:3], 0, -1, vcc
	v_cmp_ne_u32_e32 vcc, 0, v3
	v_xor_b32_e32 v3, vcc_hi, v49
	v_and_b32_e32 v49, exec_hi, v3
	v_lshlrev_b32_e32 v3, 30, v4
	v_xor_b32_e32 v5, vcc_lo, v5
	v_cmp_gt_i64_e32 vcc, 0, v[2:3]
	v_not_b32_e32 v3, v3
	v_ashrrev_i32_e32 v3, 31, v3
	v_and_b32_e32 v5, exec_lo, v5
	v_xor_b32_e32 v50, vcc_hi, v3
	v_xor_b32_e32 v3, vcc_lo, v3
	v_and_b32_e32 v5, v5, v3
	v_lshlrev_b32_e32 v3, 29, v4
	v_cmp_gt_i64_e32 vcc, 0, v[2:3]
	v_not_b32_e32 v3, v3
	v_ashrrev_i32_e32 v3, 31, v3
	v_and_b32_e32 v49, v49, v50
	v_xor_b32_e32 v50, vcc_hi, v3
	v_xor_b32_e32 v3, vcc_lo, v3
	v_and_b32_e32 v5, v5, v3
	v_lshlrev_b32_e32 v3, 28, v4
	v_cmp_gt_i64_e32 vcc, 0, v[2:3]
	v_not_b32_e32 v3, v3
	v_ashrrev_i32_e32 v3, 31, v3
	v_and_b32_e32 v49, v49, v50
	;; [unrolled: 8-line block ×5, first 2 shown]
	v_xor_b32_e32 v50, vcc_hi, v3
	v_xor_b32_e32 v3, vcc_lo, v3
	v_and_b32_e32 v5, v5, v3
	v_lshlrev_b32_e32 v3, 24, v4
	v_cmp_gt_i64_e32 vcc, 0, v[2:3]
	v_not_b32_e32 v2, v3
	v_ashrrev_i32_e32 v2, 31, v2
	v_xor_b32_e32 v3, vcc_hi, v2
	v_xor_b32_e32 v2, vcc_lo, v2
	; wave barrier
	ds_read_b32 v47, v48 offset:64
	v_and_b32_e32 v49, v49, v50
	v_and_b32_e32 v2, v5, v2
	;; [unrolled: 1-line block ×3, first 2 shown]
	v_mbcnt_lo_u32_b32 v4, v2, 0
	v_mbcnt_hi_u32_b32 v50, v3, v4
	v_cmp_eq_u32_e32 vcc, 0, v50
	v_cmp_ne_u64_e64 s[2:3], 0, v[2:3]
	s_and_b64 s[8:9], s[2:3], vcc
	; wave barrier
	s_and_saveexec_b64 s[2:3], s[8:9]
	s_cbranch_execz .LBB434_49
; %bb.48:
	v_bcnt_u32_b32 v2, v2, 0
	v_bcnt_u32_b32 v2, v3, v2
	s_waitcnt lgkmcnt(0)
	v_add_u32_e32 v2, v47, v2
	ds_write_b32 v48, v2 offset:64
.LBB434_49:
	s_or_b64 exec, exec, s[2:3]
	v_xor_b32_e32 v49, 0xffff8000, v7
	v_lshrrev_b32_sdwa v2, s20, v49 dst_sel:DWORD dst_unused:UNUSED_PAD src0_sel:DWORD src1_sel:WORD_0
	v_and_b32_e32 v4, s31, v2
	v_and_b32_e32 v3, 1, v4
	v_add_co_u32_e32 v5, vcc, -1, v3
	v_addc_co_u32_e64 v53, s[2:3], 0, -1, vcc
	v_cmp_ne_u32_e32 vcc, 0, v3
	v_mul_u32_u24_e32 v2, 17, v4
	v_xor_b32_e32 v3, vcc_hi, v53
	v_add_lshl_u32 v52, v26, v2, 2
	v_mov_b32_e32 v2, 0
	v_and_b32_e32 v53, exec_hi, v3
	v_lshlrev_b32_e32 v3, 30, v4
	v_xor_b32_e32 v5, vcc_lo, v5
	v_cmp_gt_i64_e32 vcc, 0, v[2:3]
	v_not_b32_e32 v3, v3
	v_ashrrev_i32_e32 v3, 31, v3
	v_and_b32_e32 v5, exec_lo, v5
	v_xor_b32_e32 v54, vcc_hi, v3
	v_xor_b32_e32 v3, vcc_lo, v3
	v_and_b32_e32 v5, v5, v3
	v_lshlrev_b32_e32 v3, 29, v4
	v_cmp_gt_i64_e32 vcc, 0, v[2:3]
	v_not_b32_e32 v3, v3
	v_ashrrev_i32_e32 v3, 31, v3
	v_and_b32_e32 v53, v53, v54
	v_xor_b32_e32 v54, vcc_hi, v3
	v_xor_b32_e32 v3, vcc_lo, v3
	v_and_b32_e32 v5, v5, v3
	v_lshlrev_b32_e32 v3, 28, v4
	v_cmp_gt_i64_e32 vcc, 0, v[2:3]
	v_not_b32_e32 v3, v3
	v_ashrrev_i32_e32 v3, 31, v3
	v_and_b32_e32 v53, v53, v54
	;; [unrolled: 8-line block ×5, first 2 shown]
	v_xor_b32_e32 v54, vcc_hi, v3
	v_xor_b32_e32 v3, vcc_lo, v3
	v_and_b32_e32 v53, v53, v54
	v_and_b32_e32 v54, v5, v3
	v_lshlrev_b32_e32 v3, 24, v4
	v_cmp_gt_i64_e32 vcc, 0, v[2:3]
	v_not_b32_e32 v3, v3
	v_ashrrev_i32_e32 v3, 31, v3
	v_xor_b32_e32 v4, vcc_hi, v3
	v_xor_b32_e32 v3, vcc_lo, v3
	; wave barrier
	ds_read_b32 v51, v52 offset:64
	v_and_b32_e32 v5, v53, v4
	v_and_b32_e32 v4, v54, v3
	v_mbcnt_lo_u32_b32 v3, v4, 0
	v_mbcnt_hi_u32_b32 v53, v5, v3
	v_cmp_eq_u32_e32 vcc, 0, v53
	v_cmp_ne_u64_e64 s[2:3], 0, v[4:5]
	s_movk_i32 s8, 0x8000
	s_and_b64 s[10:11], s[2:3], vcc
	; wave barrier
	s_and_saveexec_b64 s[2:3], s[10:11]
	s_cbranch_execz .LBB434_51
; %bb.50:
	v_bcnt_u32_b32 v3, v4, 0
	v_bcnt_u32_b32 v3, v5, v3
	s_waitcnt lgkmcnt(0)
	v_add_u32_e32 v3, v51, v3
	ds_write_b32 v52, v3 offset:64
.LBB434_51:
	s_or_b64 exec, exec, s[2:3]
	v_xor_b32_sdwa v7, v7, s8 dst_sel:DWORD dst_unused:UNUSED_PAD src0_sel:WORD_1 src1_sel:DWORD
	v_lshrrev_b32_sdwa v3, s20, v7 dst_sel:DWORD dst_unused:UNUSED_PAD src0_sel:DWORD src1_sel:WORD_0
	v_and_b32_e32 v4, s31, v3
	v_mul_u32_u24_e32 v3, 17, v4
	v_add_lshl_u32 v54, v26, v3, 2
	v_and_b32_e32 v3, 1, v4
	v_add_co_u32_e32 v5, vcc, -1, v3
	v_addc_co_u32_e64 v56, s[2:3], 0, -1, vcc
	v_cmp_ne_u32_e32 vcc, 0, v3
	v_xor_b32_e32 v3, vcc_hi, v56
	v_and_b32_e32 v56, exec_hi, v3
	v_lshlrev_b32_e32 v3, 30, v4
	v_xor_b32_e32 v5, vcc_lo, v5
	v_cmp_gt_i64_e32 vcc, 0, v[2:3]
	v_not_b32_e32 v3, v3
	v_ashrrev_i32_e32 v3, 31, v3
	v_and_b32_e32 v5, exec_lo, v5
	v_xor_b32_e32 v57, vcc_hi, v3
	v_xor_b32_e32 v3, vcc_lo, v3
	v_and_b32_e32 v5, v5, v3
	v_lshlrev_b32_e32 v3, 29, v4
	v_cmp_gt_i64_e32 vcc, 0, v[2:3]
	v_not_b32_e32 v3, v3
	v_ashrrev_i32_e32 v3, 31, v3
	v_and_b32_e32 v56, v56, v57
	v_xor_b32_e32 v57, vcc_hi, v3
	v_xor_b32_e32 v3, vcc_lo, v3
	v_and_b32_e32 v5, v5, v3
	v_lshlrev_b32_e32 v3, 28, v4
	v_cmp_gt_i64_e32 vcc, 0, v[2:3]
	v_not_b32_e32 v3, v3
	v_ashrrev_i32_e32 v3, 31, v3
	v_and_b32_e32 v56, v56, v57
	;; [unrolled: 8-line block ×5, first 2 shown]
	v_xor_b32_e32 v57, vcc_hi, v3
	v_xor_b32_e32 v3, vcc_lo, v3
	v_and_b32_e32 v5, v5, v3
	v_lshlrev_b32_e32 v3, 24, v4
	v_cmp_gt_i64_e32 vcc, 0, v[2:3]
	v_not_b32_e32 v2, v3
	v_ashrrev_i32_e32 v2, 31, v2
	v_xor_b32_e32 v3, vcc_hi, v2
	v_xor_b32_e32 v2, vcc_lo, v2
	; wave barrier
	ds_read_b32 v26, v54 offset:64
	v_and_b32_e32 v56, v56, v57
	v_and_b32_e32 v2, v5, v2
	;; [unrolled: 1-line block ×3, first 2 shown]
	v_mbcnt_lo_u32_b32 v4, v2, 0
	v_mbcnt_hi_u32_b32 v56, v3, v4
	v_cmp_eq_u32_e32 vcc, 0, v56
	v_cmp_ne_u64_e64 s[2:3], 0, v[2:3]
	v_add_u32_e32 v55, 64, v15
	s_and_b64 s[8:9], s[2:3], vcc
	; wave barrier
	s_and_saveexec_b64 s[2:3], s[8:9]
	s_cbranch_execz .LBB434_53
; %bb.52:
	v_bcnt_u32_b32 v2, v2, 0
	v_bcnt_u32_b32 v2, v3, v2
	s_waitcnt lgkmcnt(0)
	v_add_u32_e32 v2, v26, v2
	ds_write_b32 v54, v2 offset:64
.LBB434_53:
	s_or_b64 exec, exec, s[2:3]
	; wave barrier
	s_waitcnt lgkmcnt(0)
	s_barrier
	ds_read2_b32 v[4:5], v15 offset0:16 offset1:17
	ds_read2_b32 v[2:3], v55 offset0:2 offset1:3
	ds_read_b32 v57, v55 offset:16
	v_cmp_lt_u32_e64 s[12:13], 31, v11
	s_waitcnt lgkmcnt(1)
	v_add3_u32 v58, v5, v4, v2
	s_waitcnt lgkmcnt(0)
	v_add3_u32 v57, v58, v3, v57
	v_and_b32_e32 v58, 15, v11
	v_cmp_eq_u32_e32 vcc, 0, v58
	v_mov_b32_dpp v59, v57 row_shr:1 row_mask:0xf bank_mask:0xf
	v_cndmask_b32_e64 v59, v59, 0, vcc
	v_add_u32_e32 v57, v59, v57
	v_cmp_lt_u32_e64 s[2:3], 1, v58
	v_cmp_lt_u32_e64 s[10:11], 3, v58
	v_mov_b32_dpp v59, v57 row_shr:2 row_mask:0xf bank_mask:0xf
	v_cndmask_b32_e64 v59, 0, v59, s[2:3]
	v_add_u32_e32 v57, v57, v59
	v_cmp_lt_u32_e64 s[8:9], 7, v58
	s_nop 0
	v_mov_b32_dpp v59, v57 row_shr:4 row_mask:0xf bank_mask:0xf
	v_cndmask_b32_e64 v59, 0, v59, s[10:11]
	v_add_u32_e32 v57, v57, v59
	s_nop 1
	v_mov_b32_dpp v59, v57 row_shr:8 row_mask:0xf bank_mask:0xf
	v_cndmask_b32_e64 v58, 0, v59, s[8:9]
	v_add_u32_e32 v57, v57, v58
	v_bfe_i32 v59, v11, 4, 1
	s_nop 0
	v_mov_b32_dpp v58, v57 row_bcast:15 row_mask:0xf bank_mask:0xf
	v_and_b32_e32 v58, v59, v58
	v_add_u32_e32 v57, v57, v58
	v_and_b32_e32 v59, 63, v10
	s_nop 0
	v_mov_b32_dpp v58, v57 row_bcast:31 row_mask:0xf bank_mask:0xf
	v_cndmask_b32_e64 v58, 0, v58, s[12:13]
	v_add_u32_e32 v57, v57, v58
	v_lshrrev_b32_e32 v58, 6, v10
	v_cmp_eq_u32_e64 s[12:13], 63, v59
	s_and_saveexec_b64 s[22:23], s[12:13]
	s_cbranch_execz .LBB434_55
; %bb.54:
	v_lshlrev_b32_e32 v59, 2, v58
	ds_write_b32 v59, v57
.LBB434_55:
	s_or_b64 exec, exec, s[22:23]
	v_cmp_gt_u32_e64 s[12:13], 16, v10
	s_waitcnt lgkmcnt(0)
	s_barrier
	s_and_saveexec_b64 s[22:23], s[12:13]
	s_cbranch_execz .LBB434_57
; %bb.56:
	v_lshlrev_b32_e32 v59, 2, v10
	ds_read_b32 v60, v59
	s_waitcnt lgkmcnt(0)
	s_nop 0
	v_mov_b32_dpp v61, v60 row_shr:1 row_mask:0xf bank_mask:0xf
	v_cndmask_b32_e64 v61, v61, 0, vcc
	v_add_u32_e32 v60, v61, v60
	s_nop 1
	v_mov_b32_dpp v61, v60 row_shr:2 row_mask:0xf bank_mask:0xf
	v_cndmask_b32_e64 v61, 0, v61, s[2:3]
	v_add_u32_e32 v60, v60, v61
	s_nop 1
	v_mov_b32_dpp v61, v60 row_shr:4 row_mask:0xf bank_mask:0xf
	v_cndmask_b32_e64 v61, 0, v61, s[10:11]
	;; [unrolled: 4-line block ×3, first 2 shown]
	v_add_u32_e32 v60, v60, v61
	ds_write_b32 v59, v60
.LBB434_57:
	s_or_b64 exec, exec, s[22:23]
	v_cmp_lt_u32_e32 vcc, 63, v10
	v_mov_b32_e32 v59, 0
	s_waitcnt lgkmcnt(0)
	s_barrier
	s_and_saveexec_b64 s[2:3], vcc
	s_cbranch_execz .LBB434_59
; %bb.58:
	v_lshl_add_u32 v58, v58, 2, -4
	ds_read_b32 v59, v58
.LBB434_59:
	s_or_b64 exec, exec, s[2:3]
	v_add_u32_e32 v58, -1, v11
	v_and_b32_e32 v60, 64, v11
	v_cmp_lt_i32_e32 vcc, v58, v60
	v_cndmask_b32_e32 v58, v58, v11, vcc
	s_waitcnt lgkmcnt(0)
	v_add_u32_e32 v57, v59, v57
	v_lshlrev_b32_e32 v58, 2, v58
	ds_bpermute_b32 v57, v58, v57
	v_cmp_eq_u32_e32 vcc, 0, v11
	s_movk_i32 s2, 0x100
	s_waitcnt lgkmcnt(0)
	v_cndmask_b32_e32 v11, v57, v59, vcc
	v_cndmask_b32_e64 v11, v11, 0, s[0:1]
	v_add_u32_e32 v4, v11, v4
	v_add_u32_e32 v5, v4, v5
	;; [unrolled: 1-line block ×4, first 2 shown]
	ds_write2_b32 v15, v11, v4 offset0:16 offset1:17
	ds_write2_b32 v55, v5, v2 offset0:2 offset1:3
	ds_write_b32 v55, v3 offset:16
	s_waitcnt lgkmcnt(0)
	s_barrier
	ds_read_b32 v59, v19 offset:64
	ds_read_b32 v58, v20 offset:64
	;; [unrolled: 1-line block ×12, first 2 shown]
	v_cmp_gt_u32_e32 vcc, s2, v10
	v_pk_mov_b32 v[2:3], 0, 0
                                        ; implicit-def: $vgpr15
	s_and_saveexec_b64 s[8:9], vcc
	s_cbranch_execz .LBB434_63
; %bb.60:
	v_mul_u32_u24_e32 v2, 17, v10
	v_lshlrev_b32_e32 v15, 2, v2
	ds_read_b32 v2, v15 offset:64
	s_movk_i32 s2, 0xff
	v_cmp_ne_u32_e64 s[2:3], s2, v10
	v_mov_b32_e32 v3, 0x3000
	s_and_saveexec_b64 s[10:11], s[2:3]
	s_cbranch_execz .LBB434_62
; %bb.61:
	ds_read_b32 v3, v15 offset:132
.LBB434_62:
	s_or_b64 exec, exec, s[10:11]
	s_waitcnt lgkmcnt(0)
	v_sub_u32_e32 v15, v3, v2
	v_mov_b32_e32 v3, 0
.LBB434_63:
	s_or_b64 exec, exec, s[8:9]
	v_add_u32_e32 v18, v21, v18
	s_waitcnt lgkmcnt(11)
	v_add_lshl_u32 v16, v59, v16, 1
	v_add_u32_e32 v13, v28, v13
	v_add_u32_e32 v23, v25, v23
	s_waitcnt lgkmcnt(0)
	s_barrier
	ds_write_b16 v16, v14 offset:2048
	v_add_lshl_u32 v14, v18, v58, 1
	v_add_u32_e32 v30, v33, v30
	ds_write_b16 v14, v17 offset:2048
	v_add_lshl_u32 v14, v23, v57, 1
	v_add_lshl_u32 v13, v13, v55, 1
	v_add_u32_e32 v34, v37, v34
	ds_write_b16 v14, v22 offset:2048
	ds_write_b16 v13, v12 offset:2048
	v_add_lshl_u32 v12, v30, v31, 1
	v_add_u32_e32 v9, v43, v9
	v_add_u32_e32 v38, v40, v38
	ds_write_b16 v12, v29 offset:2048
	v_add_lshl_u32 v12, v34, v27, 1
	v_add_u32_e32 v41, v46, v44
	ds_write_b16 v12, v32 offset:2048
	v_add_lshl_u32 v12, v38, v24, 1
	v_add_lshl_u32 v9, v9, v20, 1
	v_add_u32_e32 v26, v56, v26
	v_add_u32_e32 v35, v53, v51
	;; [unrolled: 1-line block ×3, first 2 shown]
	ds_write_b16 v12, v36 offset:2048
	ds_write_b16 v9, v8 offset:2048
	v_add_lshl_u32 v8, v41, v19, 1
	ds_write_b16 v8, v42 offset:2048
	v_add_lshl_u32 v8, v39, v11, 1
	v_add_lshl_u32 v5, v35, v5, 1
	;; [unrolled: 1-line block ×3, first 2 shown]
	ds_write_b16 v8, v6 offset:2048
	ds_write_b16 v5, v49 offset:2048
	;; [unrolled: 1-line block ×3, first 2 shown]
	s_and_saveexec_b64 s[8:9], vcc
	s_cbranch_execz .LBB434_73
; %bb.64:
	v_lshl_or_b32 v4, s30, 8, v10
	v_mov_b32_e32 v5, 0
	v_lshlrev_b64 v[6:7], 2, v[4:5]
	v_mov_b32_e32 v11, s15
	v_add_co_u32_e64 v6, s[2:3], s14, v6
	v_addc_co_u32_e64 v7, s[2:3], v11, v7, s[2:3]
	v_or_b32_e32 v4, 2.0, v15
	s_mov_b64 s[10:11], 0
	s_brev_b32 s33, 1
	s_mov_b32 s34, s30
	v_mov_b32_e32 v12, 0
	global_store_dword v[6:7], v4, off
                                        ; implicit-def: $sgpr2_sgpr3
	s_branch .LBB434_66
.LBB434_65:                             ;   in Loop: Header=BB434_66 Depth=1
	s_or_b64 exec, exec, s[12:13]
	v_and_b32_e32 v8, 0x3fffffff, v13
	v_add_u32_e32 v12, v8, v12
	v_cmp_eq_u32_e64 s[2:3], s33, v4
	s_and_b64 s[12:13], exec, s[2:3]
	s_or_b64 s[10:11], s[12:13], s[10:11]
	s_andn2_b64 exec, exec, s[10:11]
	s_cbranch_execz .LBB434_72
.LBB434_66:                             ; =>This Loop Header: Depth=1
                                        ;     Child Loop BB434_69 Depth 2
	s_or_b64 s[2:3], s[2:3], exec
	s_cmp_eq_u32 s34, 0
	s_cbranch_scc1 .LBB434_71
; %bb.67:                               ;   in Loop: Header=BB434_66 Depth=1
	s_add_i32 s34, s34, -1
	v_lshl_or_b32 v4, s34, 8, v10
	v_lshlrev_b64 v[8:9], 2, v[4:5]
	v_add_co_u32_e64 v8, s[2:3], s14, v8
	v_addc_co_u32_e64 v9, s[2:3], v11, v9, s[2:3]
	global_load_dword v13, v[8:9], off glc
	s_waitcnt vmcnt(0)
	v_and_b32_e32 v4, -2.0, v13
	v_cmp_eq_u32_e64 s[2:3], 0, v4
	s_and_saveexec_b64 s[12:13], s[2:3]
	s_cbranch_execz .LBB434_65
; %bb.68:                               ;   in Loop: Header=BB434_66 Depth=1
	s_mov_b64 s[22:23], 0
.LBB434_69:                             ;   Parent Loop BB434_66 Depth=1
                                        ; =>  This Inner Loop Header: Depth=2
	global_load_dword v13, v[8:9], off glc
	s_waitcnt vmcnt(0)
	v_and_b32_e32 v4, -2.0, v13
	v_cmp_ne_u32_e64 s[2:3], 0, v4
	s_or_b64 s[22:23], s[2:3], s[22:23]
	s_andn2_b64 exec, exec, s[22:23]
	s_cbranch_execnz .LBB434_69
; %bb.70:                               ;   in Loop: Header=BB434_66 Depth=1
	s_or_b64 exec, exec, s[22:23]
	s_branch .LBB434_65
.LBB434_71:                             ;   in Loop: Header=BB434_66 Depth=1
                                        ; implicit-def: $sgpr34
	s_and_b64 s[12:13], exec, s[2:3]
	s_or_b64 s[10:11], s[12:13], s[10:11]
	s_andn2_b64 exec, exec, s[10:11]
	s_cbranch_execnz .LBB434_66
.LBB434_72:
	s_or_b64 exec, exec, s[10:11]
	v_add_u32_e32 v4, v12, v15
	v_or_b32_e32 v4, 0x80000000, v4
	global_store_dword v[6:7], v4, off
	v_lshlrev_b32_e32 v6, 3, v10
	global_load_dwordx2 v[4:5], v6, s[16:17]
	v_sub_co_u32_e64 v7, s[2:3], v12, v2
	v_subb_co_u32_e64 v8, s[2:3], 0, v3, s[2:3]
	s_waitcnt vmcnt(0)
	v_add_co_u32_e64 v4, s[2:3], v7, v4
	v_addc_co_u32_e64 v5, s[2:3], v8, v5, s[2:3]
	ds_write_b64 v6, v[4:5]
.LBB434_73:
	s_or_b64 exec, exec, s[8:9]
	v_cmp_gt_u32_e64 s[2:3], s7, v10
	s_waitcnt lgkmcnt(0)
	s_barrier
	s_and_saveexec_b64 s[8:9], s[2:3]
	s_cbranch_execz .LBB434_75
; %bb.74:
	v_lshlrev_b32_e32 v6, 1, v10
	ds_read_u16 v7, v6 offset:2048
	v_mov_b32_e32 v8, s27
	s_waitcnt lgkmcnt(0)
	v_lshrrev_b32_sdwa v4, s20, v7 dst_sel:DWORD dst_unused:UNUSED_PAD src0_sel:DWORD src1_sel:WORD_0
	v_and_b32_e32 v4, s31, v4
	v_lshlrev_b32_e32 v4, 3, v4
	ds_read_b64 v[4:5], v4
	v_xor_b32_e32 v7, 0xffff8000, v7
	s_waitcnt lgkmcnt(0)
	v_lshlrev_b64 v[4:5], 1, v[4:5]
	v_add_co_u32_e64 v4, s[2:3], s26, v4
	v_addc_co_u32_e64 v5, s[2:3], v8, v5, s[2:3]
	v_add_co_u32_e64 v4, s[2:3], v4, v6
	v_addc_co_u32_e64 v5, s[2:3], 0, v5, s[2:3]
	global_store_short v[4:5], v7, off
.LBB434_75:
	s_or_b64 exec, exec, s[8:9]
	v_or_b32_e32 v4, 0x400, v10
	v_cmp_gt_u32_e64 s[2:3], s7, v4
	s_and_saveexec_b64 s[8:9], s[2:3]
	s_cbranch_execz .LBB434_77
; %bb.76:
	v_lshlrev_b32_e32 v6, 1, v10
	ds_read_u16 v7, v6 offset:4096
	v_mov_b32_e32 v8, s27
	s_waitcnt lgkmcnt(0)
	v_lshrrev_b32_sdwa v4, s20, v7 dst_sel:DWORD dst_unused:UNUSED_PAD src0_sel:DWORD src1_sel:WORD_0
	v_and_b32_e32 v4, s31, v4
	v_lshlrev_b32_e32 v4, 3, v4
	ds_read_b64 v[4:5], v4
	v_xor_b32_e32 v7, 0xffff8000, v7
	s_waitcnt lgkmcnt(0)
	v_lshlrev_b64 v[4:5], 1, v[4:5]
	v_add_co_u32_e64 v4, s[2:3], s26, v4
	v_addc_co_u32_e64 v5, s[2:3], v8, v5, s[2:3]
	v_add_co_u32_e64 v4, s[2:3], v4, v6
	v_addc_co_u32_e64 v5, s[2:3], 0, v5, s[2:3]
	global_store_short v[4:5], v7, off offset:2048
.LBB434_77:
	s_or_b64 exec, exec, s[8:9]
	v_or_b32_e32 v4, 0x800, v10
	v_cmp_gt_u32_e64 s[2:3], s7, v4
	s_and_saveexec_b64 s[8:9], s[2:3]
	s_cbranch_execz .LBB434_79
; %bb.78:
	v_lshlrev_b32_e32 v5, 1, v10
	ds_read_u16 v5, v5 offset:6144
	v_lshlrev_b32_e32 v9, 1, v4
	v_mov_b32_e32 v8, s27
	s_waitcnt lgkmcnt(0)
	v_lshrrev_b32_sdwa v6, s20, v5 dst_sel:DWORD dst_unused:UNUSED_PAD src0_sel:DWORD src1_sel:WORD_0
	v_and_b32_e32 v6, s31, v6
	v_lshlrev_b32_e32 v6, 3, v6
	ds_read_b64 v[6:7], v6
	v_xor_b32_e32 v11, 0xffff8000, v5
	s_waitcnt lgkmcnt(0)
	v_lshlrev_b64 v[4:5], 1, v[6:7]
	v_add_co_u32_e64 v4, s[2:3], s26, v4
	v_addc_co_u32_e64 v5, s[2:3], v8, v5, s[2:3]
	v_add_co_u32_e64 v4, s[2:3], v4, v9
	v_addc_co_u32_e64 v5, s[2:3], 0, v5, s[2:3]
	global_store_short v[4:5], v11, off
.LBB434_79:
	s_or_b64 exec, exec, s[8:9]
	v_or_b32_e32 v4, 0xc00, v10
	v_cmp_gt_u32_e64 s[2:3], s7, v4
	s_and_saveexec_b64 s[8:9], s[2:3]
	s_cbranch_execz .LBB434_81
; %bb.80:
	v_lshlrev_b32_e32 v5, 1, v10
	ds_read_u16 v5, v5 offset:8192
	v_lshlrev_b32_e32 v9, 1, v4
	v_mov_b32_e32 v8, s27
	s_waitcnt lgkmcnt(0)
	v_lshrrev_b32_sdwa v6, s20, v5 dst_sel:DWORD dst_unused:UNUSED_PAD src0_sel:DWORD src1_sel:WORD_0
	v_and_b32_e32 v6, s31, v6
	v_lshlrev_b32_e32 v6, 3, v6
	ds_read_b64 v[6:7], v6
	v_xor_b32_e32 v11, 0xffff8000, v5
	s_waitcnt lgkmcnt(0)
	v_lshlrev_b64 v[4:5], 1, v[6:7]
	v_add_co_u32_e64 v4, s[2:3], s26, v4
	v_addc_co_u32_e64 v5, s[2:3], v8, v5, s[2:3]
	v_add_co_u32_e64 v4, s[2:3], v4, v9
	v_addc_co_u32_e64 v5, s[2:3], 0, v5, s[2:3]
	global_store_short v[4:5], v11, off
.LBB434_81:
	;; [unrolled: 24-line block ×10, first 2 shown]
	s_or_b64 exec, exec, s[8:9]
	s_add_i32 s29, s29, -1
	s_cmp_eq_u32 s29, s30
	s_cselect_b64 s[2:3], -1, 0
	s_and_b64 s[8:9], vcc, s[2:3]
	s_mov_b64 s[2:3], 0
	s_mov_b64 s[10:11], 0
                                        ; implicit-def: $vgpr4_vgpr5
	s_and_saveexec_b64 s[12:13], s[8:9]
	s_xor_b64 s[8:9], exec, s[12:13]
; %bb.98:
	v_add_co_u32_e32 v4, vcc, v2, v15
	s_mov_b64 s[10:11], exec
	v_mov_b32_e32 v11, 0
	v_addc_co_u32_e32 v5, vcc, 0, v3, vcc
; %bb.99:
	s_or_b64 exec, exec, s[8:9]
	s_and_b64 vcc, exec, s[2:3]
	s_cbranch_vccnz .LBB434_101
	s_branch .LBB434_150
.LBB434_100:
	s_mov_b64 s[10:11], 0
                                        ; implicit-def: $vgpr4_vgpr5
	s_cbranch_execz .LBB434_150
.LBB434_101:
	s_mov_b32 s29, 0
	v_mbcnt_hi_u32_b32 v5, -1, v1
	s_lshl_b64 s[2:3], s[28:29], 1
	v_and_b32_e32 v1, 63, v5
	s_add_u32 s2, s24, s2
	v_lshlrev_b32_e32 v1, 1, v1
	v_add_co_u32_e32 v1, vcc, s2, v1
	s_load_dword s22, s[4:5], 0x58
	s_load_dword s2, s[4:5], 0x64
	s_addc_u32 s3, s25, s3
	v_and_b32_e32 v3, 0x3c0, v10
	v_mul_u32_u24_e32 v3, 12, v3
	v_mov_b32_e32 v4, s3
	v_addc_co_u32_e32 v4, vcc, 0, v4, vcc
	v_lshlrev_b32_e32 v3, 1, v3
	s_add_u32 s3, s4, 0x58
	v_add_co_u32_e32 v12, vcc, v1, v3
	s_addc_u32 s4, s5, 0
	s_waitcnt lgkmcnt(0)
	s_lshr_b32 s5, s2, 16
	v_addc_co_u32_e32 v13, vcc, 0, v4, vcc
	s_cmp_lt_u32 s6, s22
	global_load_ushort v1, v[12:13], off
	s_cselect_b32 s2, 12, 18
	s_add_u32 s2, s3, s2
	v_mov_b32_e32 v2, 0
	s_addc_u32 s3, s4, 0
	global_load_ushort v3, v2, s[2:3]
	v_mul_u32_u24_e32 v6, 5, v10
	v_lshlrev_b32_e32 v6, 2, v6
	ds_write2_b32 v6, v2, v2 offset0:16 offset1:17
	ds_write2_b32 v6, v2, v2 offset0:18 offset1:19
	ds_write_b32 v6, v2 offset:80
	global_load_ushort v9, v[12:13], off offset:128
	global_load_ushort v14, v[12:13], off offset:256
	;; [unrolled: 1-line block ×11, first 2 shown]
	v_bfe_u32 v4, v0, 10, 10
	v_bfe_u32 v0, v0, 20, 10
	v_mad_u32_u24 v0, v0, s5, v4
	s_lshl_b32 s2, -1, s21
	s_not_b32 s21, s2
	s_waitcnt lgkmcnt(0)
	s_barrier
	s_waitcnt lgkmcnt(0)
	; wave barrier
	s_waitcnt vmcnt(12)
	v_xor_b32_e32 v4, 0xffff8000, v1
	v_lshrrev_b32_sdwa v1, s20, v4 dst_sel:DWORD dst_unused:UNUSED_PAD src0_sel:DWORD src1_sel:WORD_0
	v_and_b32_e32 v8, s21, v1
	v_and_b32_e32 v7, 1, v8
	s_waitcnt vmcnt(11)
	v_mad_u64_u32 v[0:1], s[2:3], v0, v3, v[10:11]
	v_lshrrev_b32_e32 v17, 6, v0
	v_add_co_u32_e32 v0, vcc, -1, v7
	v_lshlrev_b32_e32 v3, 30, v8
	v_addc_co_u32_e64 v11, s[2:3], 0, -1, vcc
	v_mul_u32_u24_e32 v1, 17, v8
	v_cmp_ne_u32_e32 vcc, 0, v7
	v_cmp_gt_i64_e64 s[2:3], 0, v[2:3]
	v_not_b32_e32 v12, v3
	v_lshlrev_b32_e32 v3, 29, v8
	v_add_lshl_u32 v7, v17, v1, 2
	v_xor_b32_e32 v1, vcc_hi, v11
	v_xor_b32_e32 v0, vcc_lo, v0
	v_ashrrev_i32_e32 v11, 31, v12
	v_cmp_gt_i64_e32 vcc, 0, v[2:3]
	v_not_b32_e32 v12, v3
	v_lshlrev_b32_e32 v3, 28, v8
	v_and_b32_e32 v1, exec_hi, v1
	v_and_b32_e32 v0, exec_lo, v0
	v_xor_b32_e32 v13, s3, v11
	v_xor_b32_e32 v11, s2, v11
	v_ashrrev_i32_e32 v12, 31, v12
	v_cmp_gt_i64_e64 s[2:3], 0, v[2:3]
	v_not_b32_e32 v3, v3
	v_and_b32_e32 v1, v1, v13
	v_and_b32_e32 v0, v0, v11
	v_xor_b32_e32 v11, vcc_hi, v12
	v_xor_b32_e32 v12, vcc_lo, v12
	v_ashrrev_i32_e32 v3, 31, v3
	v_and_b32_e32 v1, v1, v11
	v_and_b32_e32 v0, v0, v12
	v_xor_b32_e32 v11, s3, v3
	v_xor_b32_e32 v3, s2, v3
	v_and_b32_e32 v0, v0, v3
	v_lshlrev_b32_e32 v3, 27, v8
	v_cmp_gt_i64_e32 vcc, 0, v[2:3]
	v_not_b32_e32 v3, v3
	v_ashrrev_i32_e32 v3, 31, v3
	v_and_b32_e32 v1, v1, v11
	v_xor_b32_e32 v11, vcc_hi, v3
	v_xor_b32_e32 v3, vcc_lo, v3
	v_and_b32_e32 v0, v0, v3
	v_lshlrev_b32_e32 v3, 26, v8
	v_cmp_gt_i64_e32 vcc, 0, v[2:3]
	v_not_b32_e32 v3, v3
	v_ashrrev_i32_e32 v3, 31, v3
	v_and_b32_e32 v1, v1, v11
	v_xor_b32_e32 v11, vcc_hi, v3
	v_xor_b32_e32 v3, vcc_lo, v3
	;; [unrolled: 8-line block ×3, first 2 shown]
	v_and_b32_e32 v0, v0, v3
	v_lshlrev_b32_e32 v3, 24, v8
	v_cmp_gt_i64_e32 vcc, 0, v[2:3]
	v_not_b32_e32 v3, v3
	v_ashrrev_i32_e32 v3, 31, v3
	v_xor_b32_e32 v8, vcc_hi, v3
	v_xor_b32_e32 v3, vcc_lo, v3
	v_and_b32_e32 v1, v1, v11
	v_and_b32_e32 v0, v0, v3
	;; [unrolled: 1-line block ×3, first 2 shown]
	v_mbcnt_lo_u32_b32 v3, v0, 0
	v_mbcnt_hi_u32_b32 v8, v1, v3
	v_cmp_eq_u32_e32 vcc, 0, v8
	v_cmp_ne_u64_e64 s[2:3], 0, v[0:1]
	s_and_b64 s[4:5], s[2:3], vcc
	s_and_saveexec_b64 s[2:3], s[4:5]
	s_cbranch_execz .LBB434_103
; %bb.102:
	v_bcnt_u32_b32 v0, v0, 0
	v_bcnt_u32_b32 v0, v1, v0
	ds_write_b32 v7, v0 offset:64
.LBB434_103:
	s_or_b64 exec, exec, s[2:3]
	s_waitcnt vmcnt(10)
	v_xor_b32_e32 v9, 0xffff8000, v9
	v_lshrrev_b32_sdwa v0, s20, v9 dst_sel:DWORD dst_unused:UNUSED_PAD src0_sel:DWORD src1_sel:WORD_0
	v_and_b32_e32 v0, s21, v0
	v_mul_u32_u24_e32 v1, 17, v0
	v_add_lshl_u32 v12, v17, v1, 2
	v_and_b32_e32 v1, 1, v0
	v_add_co_u32_e32 v3, vcc, -1, v1
	v_addc_co_u32_e64 v13, s[2:3], 0, -1, vcc
	v_cmp_ne_u32_e32 vcc, 0, v1
	v_xor_b32_e32 v3, vcc_lo, v3
	v_xor_b32_e32 v1, vcc_hi, v13
	v_and_b32_e32 v13, exec_lo, v3
	v_lshlrev_b32_e32 v3, 30, v0
	v_cmp_gt_i64_e32 vcc, 0, v[2:3]
	v_not_b32_e32 v3, v3
	v_ashrrev_i32_e32 v3, 31, v3
	v_xor_b32_e32 v15, vcc_hi, v3
	v_xor_b32_e32 v3, vcc_lo, v3
	v_and_b32_e32 v13, v13, v3
	v_lshlrev_b32_e32 v3, 29, v0
	v_cmp_gt_i64_e32 vcc, 0, v[2:3]
	v_not_b32_e32 v3, v3
	v_and_b32_e32 v1, exec_hi, v1
	v_ashrrev_i32_e32 v3, 31, v3
	v_and_b32_e32 v1, v1, v15
	v_xor_b32_e32 v15, vcc_hi, v3
	v_xor_b32_e32 v3, vcc_lo, v3
	v_and_b32_e32 v13, v13, v3
	v_lshlrev_b32_e32 v3, 28, v0
	v_cmp_gt_i64_e32 vcc, 0, v[2:3]
	v_not_b32_e32 v3, v3
	v_ashrrev_i32_e32 v3, 31, v3
	v_and_b32_e32 v1, v1, v15
	v_xor_b32_e32 v15, vcc_hi, v3
	v_xor_b32_e32 v3, vcc_lo, v3
	v_and_b32_e32 v13, v13, v3
	v_lshlrev_b32_e32 v3, 27, v0
	v_cmp_gt_i64_e32 vcc, 0, v[2:3]
	v_not_b32_e32 v3, v3
	;; [unrolled: 8-line block ×4, first 2 shown]
	v_ashrrev_i32_e32 v3, 31, v3
	v_and_b32_e32 v1, v1, v15
	v_xor_b32_e32 v15, vcc_hi, v3
	v_xor_b32_e32 v3, vcc_lo, v3
	v_and_b32_e32 v13, v13, v3
	v_lshlrev_b32_e32 v3, 24, v0
	v_not_b32_e32 v0, v3
	v_cmp_gt_i64_e32 vcc, 0, v[2:3]
	v_ashrrev_i32_e32 v0, 31, v0
	v_xor_b32_e32 v2, vcc_hi, v0
	v_xor_b32_e32 v0, vcc_lo, v0
	; wave barrier
	ds_read_b32 v11, v12 offset:64
	v_and_b32_e32 v1, v1, v15
	v_and_b32_e32 v0, v13, v0
	;; [unrolled: 1-line block ×3, first 2 shown]
	v_mbcnt_lo_u32_b32 v2, v0, 0
	v_mbcnt_hi_u32_b32 v13, v1, v2
	v_cmp_eq_u32_e32 vcc, 0, v13
	v_cmp_ne_u64_e64 s[2:3], 0, v[0:1]
	s_and_b64 s[4:5], s[2:3], vcc
	; wave barrier
	s_and_saveexec_b64 s[2:3], s[4:5]
	s_cbranch_execz .LBB434_105
; %bb.104:
	v_bcnt_u32_b32 v0, v0, 0
	v_bcnt_u32_b32 v0, v1, v0
	s_waitcnt lgkmcnt(0)
	v_add_u32_e32 v0, v11, v0
	ds_write_b32 v12, v0 offset:64
.LBB434_105:
	s_or_b64 exec, exec, s[2:3]
	s_waitcnt vmcnt(9)
	v_xor_b32_e32 v14, 0xffff8000, v14
	v_lshrrev_b32_sdwa v0, s20, v14 dst_sel:DWORD dst_unused:UNUSED_PAD src0_sel:DWORD src1_sel:WORD_0
	v_and_b32_e32 v2, s21, v0
	v_and_b32_e32 v1, 1, v2
	v_add_co_u32_e32 v3, vcc, -1, v1
	v_addc_co_u32_e64 v19, s[2:3], 0, -1, vcc
	v_cmp_ne_u32_e32 vcc, 0, v1
	v_mul_u32_u24_e32 v0, 17, v2
	v_xor_b32_e32 v1, vcc_hi, v19
	v_add_lshl_u32 v18, v17, v0, 2
	v_mov_b32_e32 v0, 0
	v_and_b32_e32 v19, exec_hi, v1
	v_lshlrev_b32_e32 v1, 30, v2
	v_xor_b32_e32 v3, vcc_lo, v3
	v_cmp_gt_i64_e32 vcc, 0, v[0:1]
	v_not_b32_e32 v1, v1
	v_ashrrev_i32_e32 v1, 31, v1
	v_and_b32_e32 v3, exec_lo, v3
	v_xor_b32_e32 v21, vcc_hi, v1
	v_xor_b32_e32 v1, vcc_lo, v1
	v_and_b32_e32 v3, v3, v1
	v_lshlrev_b32_e32 v1, 29, v2
	v_cmp_gt_i64_e32 vcc, 0, v[0:1]
	v_not_b32_e32 v1, v1
	v_ashrrev_i32_e32 v1, 31, v1
	v_and_b32_e32 v19, v19, v21
	v_xor_b32_e32 v21, vcc_hi, v1
	v_xor_b32_e32 v1, vcc_lo, v1
	v_and_b32_e32 v3, v3, v1
	v_lshlrev_b32_e32 v1, 28, v2
	v_cmp_gt_i64_e32 vcc, 0, v[0:1]
	v_not_b32_e32 v1, v1
	v_ashrrev_i32_e32 v1, 31, v1
	v_and_b32_e32 v19, v19, v21
	;; [unrolled: 8-line block ×5, first 2 shown]
	v_xor_b32_e32 v21, vcc_hi, v1
	v_xor_b32_e32 v1, vcc_lo, v1
	v_and_b32_e32 v19, v19, v21
	v_and_b32_e32 v21, v3, v1
	v_lshlrev_b32_e32 v1, 24, v2
	v_cmp_gt_i64_e32 vcc, 0, v[0:1]
	v_not_b32_e32 v1, v1
	v_ashrrev_i32_e32 v1, 31, v1
	v_xor_b32_e32 v2, vcc_hi, v1
	v_xor_b32_e32 v1, vcc_lo, v1
	; wave barrier
	ds_read_b32 v15, v18 offset:64
	v_and_b32_e32 v3, v19, v2
	v_and_b32_e32 v2, v21, v1
	v_mbcnt_lo_u32_b32 v1, v2, 0
	v_mbcnt_hi_u32_b32 v19, v3, v1
	v_cmp_eq_u32_e32 vcc, 0, v19
	v_cmp_ne_u64_e64 s[2:3], 0, v[2:3]
	s_and_b64 s[4:5], s[2:3], vcc
	; wave barrier
	s_and_saveexec_b64 s[2:3], s[4:5]
	s_cbranch_execz .LBB434_107
; %bb.106:
	v_bcnt_u32_b32 v1, v2, 0
	v_bcnt_u32_b32 v1, v3, v1
	s_waitcnt lgkmcnt(0)
	v_add_u32_e32 v1, v15, v1
	ds_write_b32 v18, v1 offset:64
.LBB434_107:
	s_or_b64 exec, exec, s[2:3]
	s_waitcnt vmcnt(8)
	v_xor_b32_e32 v20, 0xffff8000, v20
	v_lshrrev_b32_sdwa v1, s20, v20 dst_sel:DWORD dst_unused:UNUSED_PAD src0_sel:DWORD src1_sel:WORD_0
	v_and_b32_e32 v2, s21, v1
	v_mul_u32_u24_e32 v1, 17, v2
	v_add_lshl_u32 v23, v17, v1, 2
	v_and_b32_e32 v1, 1, v2
	v_add_co_u32_e32 v3, vcc, -1, v1
	v_addc_co_u32_e64 v24, s[2:3], 0, -1, vcc
	v_cmp_ne_u32_e32 vcc, 0, v1
	v_xor_b32_e32 v1, vcc_hi, v24
	v_and_b32_e32 v24, exec_hi, v1
	v_lshlrev_b32_e32 v1, 30, v2
	v_xor_b32_e32 v3, vcc_lo, v3
	v_cmp_gt_i64_e32 vcc, 0, v[0:1]
	v_not_b32_e32 v1, v1
	v_ashrrev_i32_e32 v1, 31, v1
	v_and_b32_e32 v3, exec_lo, v3
	v_xor_b32_e32 v26, vcc_hi, v1
	v_xor_b32_e32 v1, vcc_lo, v1
	v_and_b32_e32 v3, v3, v1
	v_lshlrev_b32_e32 v1, 29, v2
	v_cmp_gt_i64_e32 vcc, 0, v[0:1]
	v_not_b32_e32 v1, v1
	v_ashrrev_i32_e32 v1, 31, v1
	v_and_b32_e32 v24, v24, v26
	v_xor_b32_e32 v26, vcc_hi, v1
	v_xor_b32_e32 v1, vcc_lo, v1
	v_and_b32_e32 v3, v3, v1
	v_lshlrev_b32_e32 v1, 28, v2
	v_cmp_gt_i64_e32 vcc, 0, v[0:1]
	v_not_b32_e32 v1, v1
	v_ashrrev_i32_e32 v1, 31, v1
	v_and_b32_e32 v24, v24, v26
	;; [unrolled: 8-line block ×5, first 2 shown]
	v_xor_b32_e32 v26, vcc_hi, v1
	v_xor_b32_e32 v1, vcc_lo, v1
	v_and_b32_e32 v3, v3, v1
	v_lshlrev_b32_e32 v1, 24, v2
	v_cmp_gt_i64_e32 vcc, 0, v[0:1]
	v_not_b32_e32 v0, v1
	v_ashrrev_i32_e32 v0, 31, v0
	v_xor_b32_e32 v1, vcc_hi, v0
	v_xor_b32_e32 v0, vcc_lo, v0
	; wave barrier
	ds_read_b32 v21, v23 offset:64
	v_and_b32_e32 v24, v24, v26
	v_and_b32_e32 v0, v3, v0
	;; [unrolled: 1-line block ×3, first 2 shown]
	v_mbcnt_lo_u32_b32 v2, v0, 0
	v_mbcnt_hi_u32_b32 v24, v1, v2
	v_cmp_eq_u32_e32 vcc, 0, v24
	v_cmp_ne_u64_e64 s[2:3], 0, v[0:1]
	s_and_b64 s[4:5], s[2:3], vcc
	; wave barrier
	s_and_saveexec_b64 s[2:3], s[4:5]
	s_cbranch_execz .LBB434_109
; %bb.108:
	v_bcnt_u32_b32 v0, v0, 0
	v_bcnt_u32_b32 v0, v1, v0
	s_waitcnt lgkmcnt(0)
	v_add_u32_e32 v0, v21, v0
	ds_write_b32 v23, v0 offset:64
.LBB434_109:
	s_or_b64 exec, exec, s[2:3]
	s_waitcnt vmcnt(7)
	v_xor_b32_e32 v25, 0xffff8000, v25
	v_lshrrev_b32_sdwa v0, s20, v25 dst_sel:DWORD dst_unused:UNUSED_PAD src0_sel:DWORD src1_sel:WORD_0
	v_and_b32_e32 v2, s21, v0
	v_and_b32_e32 v1, 1, v2
	v_add_co_u32_e32 v3, vcc, -1, v1
	v_addc_co_u32_e64 v30, s[2:3], 0, -1, vcc
	v_cmp_ne_u32_e32 vcc, 0, v1
	v_mul_u32_u24_e32 v0, 17, v2
	v_xor_b32_e32 v1, vcc_hi, v30
	v_add_lshl_u32 v28, v17, v0, 2
	v_mov_b32_e32 v0, 0
	v_and_b32_e32 v30, exec_hi, v1
	v_lshlrev_b32_e32 v1, 30, v2
	v_xor_b32_e32 v3, vcc_lo, v3
	v_cmp_gt_i64_e32 vcc, 0, v[0:1]
	v_not_b32_e32 v1, v1
	v_ashrrev_i32_e32 v1, 31, v1
	v_and_b32_e32 v3, exec_lo, v3
	v_xor_b32_e32 v31, vcc_hi, v1
	v_xor_b32_e32 v1, vcc_lo, v1
	v_and_b32_e32 v3, v3, v1
	v_lshlrev_b32_e32 v1, 29, v2
	v_cmp_gt_i64_e32 vcc, 0, v[0:1]
	v_not_b32_e32 v1, v1
	v_ashrrev_i32_e32 v1, 31, v1
	v_and_b32_e32 v30, v30, v31
	v_xor_b32_e32 v31, vcc_hi, v1
	v_xor_b32_e32 v1, vcc_lo, v1
	v_and_b32_e32 v3, v3, v1
	v_lshlrev_b32_e32 v1, 28, v2
	v_cmp_gt_i64_e32 vcc, 0, v[0:1]
	v_not_b32_e32 v1, v1
	v_ashrrev_i32_e32 v1, 31, v1
	v_and_b32_e32 v30, v30, v31
	;; [unrolled: 8-line block ×5, first 2 shown]
	v_xor_b32_e32 v31, vcc_hi, v1
	v_xor_b32_e32 v1, vcc_lo, v1
	v_and_b32_e32 v30, v30, v31
	v_and_b32_e32 v31, v3, v1
	v_lshlrev_b32_e32 v1, 24, v2
	v_cmp_gt_i64_e32 vcc, 0, v[0:1]
	v_not_b32_e32 v1, v1
	v_ashrrev_i32_e32 v1, 31, v1
	v_xor_b32_e32 v2, vcc_hi, v1
	v_xor_b32_e32 v1, vcc_lo, v1
	; wave barrier
	ds_read_b32 v26, v28 offset:64
	v_and_b32_e32 v3, v30, v2
	v_and_b32_e32 v2, v31, v1
	v_mbcnt_lo_u32_b32 v1, v2, 0
	v_mbcnt_hi_u32_b32 v30, v3, v1
	v_cmp_eq_u32_e32 vcc, 0, v30
	v_cmp_ne_u64_e64 s[2:3], 0, v[2:3]
	s_and_b64 s[4:5], s[2:3], vcc
	; wave barrier
	s_and_saveexec_b64 s[2:3], s[4:5]
	s_cbranch_execz .LBB434_111
; %bb.110:
	v_bcnt_u32_b32 v1, v2, 0
	v_bcnt_u32_b32 v1, v3, v1
	s_waitcnt lgkmcnt(0)
	v_add_u32_e32 v1, v26, v1
	ds_write_b32 v28, v1 offset:64
.LBB434_111:
	s_or_b64 exec, exec, s[2:3]
	s_waitcnt vmcnt(6)
	v_xor_b32_e32 v29, 0xffff8000, v29
	v_lshrrev_b32_sdwa v1, s20, v29 dst_sel:DWORD dst_unused:UNUSED_PAD src0_sel:DWORD src1_sel:WORD_0
	v_and_b32_e32 v2, s21, v1
	v_mul_u32_u24_e32 v1, 17, v2
	v_add_lshl_u32 v33, v17, v1, 2
	v_and_b32_e32 v1, 1, v2
	v_add_co_u32_e32 v3, vcc, -1, v1
	v_addc_co_u32_e64 v35, s[2:3], 0, -1, vcc
	v_cmp_ne_u32_e32 vcc, 0, v1
	v_xor_b32_e32 v1, vcc_hi, v35
	v_and_b32_e32 v35, exec_hi, v1
	v_lshlrev_b32_e32 v1, 30, v2
	v_xor_b32_e32 v3, vcc_lo, v3
	v_cmp_gt_i64_e32 vcc, 0, v[0:1]
	v_not_b32_e32 v1, v1
	v_ashrrev_i32_e32 v1, 31, v1
	v_and_b32_e32 v3, exec_lo, v3
	v_xor_b32_e32 v36, vcc_hi, v1
	v_xor_b32_e32 v1, vcc_lo, v1
	v_and_b32_e32 v3, v3, v1
	v_lshlrev_b32_e32 v1, 29, v2
	v_cmp_gt_i64_e32 vcc, 0, v[0:1]
	v_not_b32_e32 v1, v1
	v_ashrrev_i32_e32 v1, 31, v1
	v_and_b32_e32 v35, v35, v36
	v_xor_b32_e32 v36, vcc_hi, v1
	v_xor_b32_e32 v1, vcc_lo, v1
	v_and_b32_e32 v3, v3, v1
	v_lshlrev_b32_e32 v1, 28, v2
	v_cmp_gt_i64_e32 vcc, 0, v[0:1]
	v_not_b32_e32 v1, v1
	v_ashrrev_i32_e32 v1, 31, v1
	v_and_b32_e32 v35, v35, v36
	;; [unrolled: 8-line block ×5, first 2 shown]
	v_xor_b32_e32 v36, vcc_hi, v1
	v_xor_b32_e32 v1, vcc_lo, v1
	v_and_b32_e32 v3, v3, v1
	v_lshlrev_b32_e32 v1, 24, v2
	v_cmp_gt_i64_e32 vcc, 0, v[0:1]
	v_not_b32_e32 v0, v1
	v_ashrrev_i32_e32 v0, 31, v0
	v_xor_b32_e32 v1, vcc_hi, v0
	v_xor_b32_e32 v0, vcc_lo, v0
	; wave barrier
	ds_read_b32 v31, v33 offset:64
	v_and_b32_e32 v35, v35, v36
	v_and_b32_e32 v0, v3, v0
	;; [unrolled: 1-line block ×3, first 2 shown]
	v_mbcnt_lo_u32_b32 v2, v0, 0
	v_mbcnt_hi_u32_b32 v35, v1, v2
	v_cmp_eq_u32_e32 vcc, 0, v35
	v_cmp_ne_u64_e64 s[2:3], 0, v[0:1]
	s_and_b64 s[4:5], s[2:3], vcc
	; wave barrier
	s_and_saveexec_b64 s[2:3], s[4:5]
	s_cbranch_execz .LBB434_113
; %bb.112:
	v_bcnt_u32_b32 v0, v0, 0
	v_bcnt_u32_b32 v0, v1, v0
	s_waitcnt lgkmcnt(0)
	v_add_u32_e32 v0, v31, v0
	ds_write_b32 v33, v0 offset:64
.LBB434_113:
	s_or_b64 exec, exec, s[2:3]
	s_waitcnt vmcnt(5)
	v_xor_b32_e32 v34, 0xffff8000, v34
	v_lshrrev_b32_sdwa v0, s20, v34 dst_sel:DWORD dst_unused:UNUSED_PAD src0_sel:DWORD src1_sel:WORD_0
	v_and_b32_e32 v2, s21, v0
	v_and_b32_e32 v1, 1, v2
	v_add_co_u32_e32 v3, vcc, -1, v1
	v_addc_co_u32_e64 v39, s[2:3], 0, -1, vcc
	v_cmp_ne_u32_e32 vcc, 0, v1
	v_mul_u32_u24_e32 v0, 17, v2
	v_xor_b32_e32 v1, vcc_hi, v39
	v_add_lshl_u32 v38, v17, v0, 2
	v_mov_b32_e32 v0, 0
	v_and_b32_e32 v39, exec_hi, v1
	v_lshlrev_b32_e32 v1, 30, v2
	v_xor_b32_e32 v3, vcc_lo, v3
	v_cmp_gt_i64_e32 vcc, 0, v[0:1]
	v_not_b32_e32 v1, v1
	v_ashrrev_i32_e32 v1, 31, v1
	v_and_b32_e32 v3, exec_lo, v3
	v_xor_b32_e32 v40, vcc_hi, v1
	v_xor_b32_e32 v1, vcc_lo, v1
	v_and_b32_e32 v3, v3, v1
	v_lshlrev_b32_e32 v1, 29, v2
	v_cmp_gt_i64_e32 vcc, 0, v[0:1]
	v_not_b32_e32 v1, v1
	v_ashrrev_i32_e32 v1, 31, v1
	v_and_b32_e32 v39, v39, v40
	v_xor_b32_e32 v40, vcc_hi, v1
	v_xor_b32_e32 v1, vcc_lo, v1
	v_and_b32_e32 v3, v3, v1
	v_lshlrev_b32_e32 v1, 28, v2
	v_cmp_gt_i64_e32 vcc, 0, v[0:1]
	v_not_b32_e32 v1, v1
	v_ashrrev_i32_e32 v1, 31, v1
	v_and_b32_e32 v39, v39, v40
	;; [unrolled: 8-line block ×5, first 2 shown]
	v_xor_b32_e32 v40, vcc_hi, v1
	v_xor_b32_e32 v1, vcc_lo, v1
	v_and_b32_e32 v39, v39, v40
	v_and_b32_e32 v40, v3, v1
	v_lshlrev_b32_e32 v1, 24, v2
	v_cmp_gt_i64_e32 vcc, 0, v[0:1]
	v_not_b32_e32 v1, v1
	v_ashrrev_i32_e32 v1, 31, v1
	v_xor_b32_e32 v2, vcc_hi, v1
	v_xor_b32_e32 v1, vcc_lo, v1
	; wave barrier
	ds_read_b32 v36, v38 offset:64
	v_and_b32_e32 v3, v39, v2
	v_and_b32_e32 v2, v40, v1
	v_mbcnt_lo_u32_b32 v1, v2, 0
	v_mbcnt_hi_u32_b32 v39, v3, v1
	v_cmp_eq_u32_e32 vcc, 0, v39
	v_cmp_ne_u64_e64 s[2:3], 0, v[2:3]
	s_and_b64 s[4:5], s[2:3], vcc
	; wave barrier
	s_and_saveexec_b64 s[2:3], s[4:5]
	s_cbranch_execz .LBB434_115
; %bb.114:
	v_bcnt_u32_b32 v1, v2, 0
	v_bcnt_u32_b32 v1, v3, v1
	s_waitcnt lgkmcnt(0)
	v_add_u32_e32 v1, v36, v1
	ds_write_b32 v38, v1 offset:64
.LBB434_115:
	s_or_b64 exec, exec, s[2:3]
	s_waitcnt vmcnt(4)
	v_xor_b32_e32 v37, 0xffff8000, v37
	v_lshrrev_b32_sdwa v1, s20, v37 dst_sel:DWORD dst_unused:UNUSED_PAD src0_sel:DWORD src1_sel:WORD_0
	v_and_b32_e32 v2, s21, v1
	v_mul_u32_u24_e32 v1, 17, v2
	v_add_lshl_u32 v41, v17, v1, 2
	v_and_b32_e32 v1, 1, v2
	v_add_co_u32_e32 v3, vcc, -1, v1
	v_addc_co_u32_e64 v42, s[2:3], 0, -1, vcc
	v_cmp_ne_u32_e32 vcc, 0, v1
	v_xor_b32_e32 v1, vcc_hi, v42
	v_and_b32_e32 v42, exec_hi, v1
	v_lshlrev_b32_e32 v1, 30, v2
	v_xor_b32_e32 v3, vcc_lo, v3
	v_cmp_gt_i64_e32 vcc, 0, v[0:1]
	v_not_b32_e32 v1, v1
	v_ashrrev_i32_e32 v1, 31, v1
	v_and_b32_e32 v3, exec_lo, v3
	v_xor_b32_e32 v43, vcc_hi, v1
	v_xor_b32_e32 v1, vcc_lo, v1
	v_and_b32_e32 v3, v3, v1
	v_lshlrev_b32_e32 v1, 29, v2
	v_cmp_gt_i64_e32 vcc, 0, v[0:1]
	v_not_b32_e32 v1, v1
	v_ashrrev_i32_e32 v1, 31, v1
	v_and_b32_e32 v42, v42, v43
	v_xor_b32_e32 v43, vcc_hi, v1
	v_xor_b32_e32 v1, vcc_lo, v1
	v_and_b32_e32 v3, v3, v1
	v_lshlrev_b32_e32 v1, 28, v2
	v_cmp_gt_i64_e32 vcc, 0, v[0:1]
	v_not_b32_e32 v1, v1
	v_ashrrev_i32_e32 v1, 31, v1
	v_and_b32_e32 v42, v42, v43
	;; [unrolled: 8-line block ×5, first 2 shown]
	v_xor_b32_e32 v43, vcc_hi, v1
	v_xor_b32_e32 v1, vcc_lo, v1
	v_and_b32_e32 v3, v3, v1
	v_lshlrev_b32_e32 v1, 24, v2
	v_cmp_gt_i64_e32 vcc, 0, v[0:1]
	v_not_b32_e32 v0, v1
	v_ashrrev_i32_e32 v0, 31, v0
	v_xor_b32_e32 v1, vcc_hi, v0
	v_xor_b32_e32 v0, vcc_lo, v0
	; wave barrier
	ds_read_b32 v40, v41 offset:64
	v_and_b32_e32 v42, v42, v43
	v_and_b32_e32 v0, v3, v0
	;; [unrolled: 1-line block ×3, first 2 shown]
	v_mbcnt_lo_u32_b32 v2, v0, 0
	v_mbcnt_hi_u32_b32 v42, v1, v2
	v_cmp_eq_u32_e32 vcc, 0, v42
	v_cmp_ne_u64_e64 s[2:3], 0, v[0:1]
	s_and_b64 s[4:5], s[2:3], vcc
	; wave barrier
	s_and_saveexec_b64 s[2:3], s[4:5]
	s_cbranch_execz .LBB434_117
; %bb.116:
	v_bcnt_u32_b32 v0, v0, 0
	v_bcnt_u32_b32 v0, v1, v0
	s_waitcnt lgkmcnt(0)
	v_add_u32_e32 v0, v40, v0
	ds_write_b32 v41, v0 offset:64
.LBB434_117:
	s_or_b64 exec, exec, s[2:3]
	s_waitcnt vmcnt(3)
	v_xor_b32_e32 v32, 0xffff8000, v32
	v_lshrrev_b32_sdwa v0, s20, v32 dst_sel:DWORD dst_unused:UNUSED_PAD src0_sel:DWORD src1_sel:WORD_0
	v_and_b32_e32 v2, s21, v0
	v_and_b32_e32 v1, 1, v2
	v_add_co_u32_e32 v3, vcc, -1, v1
	v_addc_co_u32_e64 v45, s[2:3], 0, -1, vcc
	v_cmp_ne_u32_e32 vcc, 0, v1
	v_mul_u32_u24_e32 v0, 17, v2
	v_xor_b32_e32 v1, vcc_hi, v45
	v_add_lshl_u32 v44, v17, v0, 2
	v_mov_b32_e32 v0, 0
	v_and_b32_e32 v45, exec_hi, v1
	v_lshlrev_b32_e32 v1, 30, v2
	v_xor_b32_e32 v3, vcc_lo, v3
	v_cmp_gt_i64_e32 vcc, 0, v[0:1]
	v_not_b32_e32 v1, v1
	v_ashrrev_i32_e32 v1, 31, v1
	v_and_b32_e32 v3, exec_lo, v3
	v_xor_b32_e32 v46, vcc_hi, v1
	v_xor_b32_e32 v1, vcc_lo, v1
	v_and_b32_e32 v3, v3, v1
	v_lshlrev_b32_e32 v1, 29, v2
	v_cmp_gt_i64_e32 vcc, 0, v[0:1]
	v_not_b32_e32 v1, v1
	v_ashrrev_i32_e32 v1, 31, v1
	v_and_b32_e32 v45, v45, v46
	v_xor_b32_e32 v46, vcc_hi, v1
	v_xor_b32_e32 v1, vcc_lo, v1
	v_and_b32_e32 v3, v3, v1
	v_lshlrev_b32_e32 v1, 28, v2
	v_cmp_gt_i64_e32 vcc, 0, v[0:1]
	v_not_b32_e32 v1, v1
	v_ashrrev_i32_e32 v1, 31, v1
	v_and_b32_e32 v45, v45, v46
	;; [unrolled: 8-line block ×5, first 2 shown]
	v_xor_b32_e32 v46, vcc_hi, v1
	v_xor_b32_e32 v1, vcc_lo, v1
	v_and_b32_e32 v45, v45, v46
	v_and_b32_e32 v46, v3, v1
	v_lshlrev_b32_e32 v1, 24, v2
	v_cmp_gt_i64_e32 vcc, 0, v[0:1]
	v_not_b32_e32 v1, v1
	v_ashrrev_i32_e32 v1, 31, v1
	v_xor_b32_e32 v2, vcc_hi, v1
	v_xor_b32_e32 v1, vcc_lo, v1
	; wave barrier
	ds_read_b32 v43, v44 offset:64
	v_and_b32_e32 v3, v45, v2
	v_and_b32_e32 v2, v46, v1
	v_mbcnt_lo_u32_b32 v1, v2, 0
	v_mbcnt_hi_u32_b32 v45, v3, v1
	v_cmp_eq_u32_e32 vcc, 0, v45
	v_cmp_ne_u64_e64 s[2:3], 0, v[2:3]
	s_and_b64 s[4:5], s[2:3], vcc
	; wave barrier
	s_and_saveexec_b64 s[2:3], s[4:5]
	s_cbranch_execz .LBB434_119
; %bb.118:
	v_bcnt_u32_b32 v1, v2, 0
	v_bcnt_u32_b32 v1, v3, v1
	s_waitcnt lgkmcnt(0)
	v_add_u32_e32 v1, v43, v1
	ds_write_b32 v44, v1 offset:64
.LBB434_119:
	s_or_b64 exec, exec, s[2:3]
	s_waitcnt vmcnt(2)
	v_xor_b32_e32 v27, 0xffff8000, v27
	v_lshrrev_b32_sdwa v1, s20, v27 dst_sel:DWORD dst_unused:UNUSED_PAD src0_sel:DWORD src1_sel:WORD_0
	v_and_b32_e32 v2, s21, v1
	v_mul_u32_u24_e32 v1, 17, v2
	v_add_lshl_u32 v47, v17, v1, 2
	v_and_b32_e32 v1, 1, v2
	v_add_co_u32_e32 v3, vcc, -1, v1
	v_addc_co_u32_e64 v48, s[2:3], 0, -1, vcc
	v_cmp_ne_u32_e32 vcc, 0, v1
	v_xor_b32_e32 v1, vcc_hi, v48
	v_and_b32_e32 v48, exec_hi, v1
	v_lshlrev_b32_e32 v1, 30, v2
	v_xor_b32_e32 v3, vcc_lo, v3
	v_cmp_gt_i64_e32 vcc, 0, v[0:1]
	v_not_b32_e32 v1, v1
	v_ashrrev_i32_e32 v1, 31, v1
	v_and_b32_e32 v3, exec_lo, v3
	v_xor_b32_e32 v49, vcc_hi, v1
	v_xor_b32_e32 v1, vcc_lo, v1
	v_and_b32_e32 v3, v3, v1
	v_lshlrev_b32_e32 v1, 29, v2
	v_cmp_gt_i64_e32 vcc, 0, v[0:1]
	v_not_b32_e32 v1, v1
	v_ashrrev_i32_e32 v1, 31, v1
	v_and_b32_e32 v48, v48, v49
	v_xor_b32_e32 v49, vcc_hi, v1
	v_xor_b32_e32 v1, vcc_lo, v1
	v_and_b32_e32 v3, v3, v1
	v_lshlrev_b32_e32 v1, 28, v2
	v_cmp_gt_i64_e32 vcc, 0, v[0:1]
	v_not_b32_e32 v1, v1
	v_ashrrev_i32_e32 v1, 31, v1
	v_and_b32_e32 v48, v48, v49
	;; [unrolled: 8-line block ×5, first 2 shown]
	v_xor_b32_e32 v49, vcc_hi, v1
	v_xor_b32_e32 v1, vcc_lo, v1
	v_and_b32_e32 v3, v3, v1
	v_lshlrev_b32_e32 v1, 24, v2
	v_cmp_gt_i64_e32 vcc, 0, v[0:1]
	v_not_b32_e32 v0, v1
	v_ashrrev_i32_e32 v0, 31, v0
	v_xor_b32_e32 v1, vcc_hi, v0
	v_xor_b32_e32 v0, vcc_lo, v0
	; wave barrier
	ds_read_b32 v46, v47 offset:64
	v_and_b32_e32 v48, v48, v49
	v_and_b32_e32 v0, v3, v0
	;; [unrolled: 1-line block ×3, first 2 shown]
	v_mbcnt_lo_u32_b32 v2, v0, 0
	v_mbcnt_hi_u32_b32 v48, v1, v2
	v_cmp_eq_u32_e32 vcc, 0, v48
	v_cmp_ne_u64_e64 s[2:3], 0, v[0:1]
	s_and_b64 s[4:5], s[2:3], vcc
	; wave barrier
	s_and_saveexec_b64 s[2:3], s[4:5]
	s_cbranch_execz .LBB434_121
; %bb.120:
	v_bcnt_u32_b32 v0, v0, 0
	v_bcnt_u32_b32 v0, v1, v0
	s_waitcnt lgkmcnt(0)
	v_add_u32_e32 v0, v46, v0
	ds_write_b32 v47, v0 offset:64
.LBB434_121:
	s_or_b64 exec, exec, s[2:3]
	s_waitcnt vmcnt(1)
	v_xor_b32_e32 v22, 0xffff8000, v22
	v_lshrrev_b32_sdwa v0, s20, v22 dst_sel:DWORD dst_unused:UNUSED_PAD src0_sel:DWORD src1_sel:WORD_0
	v_and_b32_e32 v2, s21, v0
	v_and_b32_e32 v1, 1, v2
	v_add_co_u32_e32 v3, vcc, -1, v1
	v_addc_co_u32_e64 v51, s[2:3], 0, -1, vcc
	v_cmp_ne_u32_e32 vcc, 0, v1
	v_mul_u32_u24_e32 v0, 17, v2
	v_xor_b32_e32 v1, vcc_hi, v51
	v_add_lshl_u32 v50, v17, v0, 2
	v_mov_b32_e32 v0, 0
	v_and_b32_e32 v51, exec_hi, v1
	v_lshlrev_b32_e32 v1, 30, v2
	v_xor_b32_e32 v3, vcc_lo, v3
	v_cmp_gt_i64_e32 vcc, 0, v[0:1]
	v_not_b32_e32 v1, v1
	v_ashrrev_i32_e32 v1, 31, v1
	v_and_b32_e32 v3, exec_lo, v3
	v_xor_b32_e32 v52, vcc_hi, v1
	v_xor_b32_e32 v1, vcc_lo, v1
	v_and_b32_e32 v3, v3, v1
	v_lshlrev_b32_e32 v1, 29, v2
	v_cmp_gt_i64_e32 vcc, 0, v[0:1]
	v_not_b32_e32 v1, v1
	v_ashrrev_i32_e32 v1, 31, v1
	v_and_b32_e32 v51, v51, v52
	v_xor_b32_e32 v52, vcc_hi, v1
	v_xor_b32_e32 v1, vcc_lo, v1
	v_and_b32_e32 v3, v3, v1
	v_lshlrev_b32_e32 v1, 28, v2
	v_cmp_gt_i64_e32 vcc, 0, v[0:1]
	v_not_b32_e32 v1, v1
	v_ashrrev_i32_e32 v1, 31, v1
	v_and_b32_e32 v51, v51, v52
	;; [unrolled: 8-line block ×5, first 2 shown]
	v_xor_b32_e32 v52, vcc_hi, v1
	v_xor_b32_e32 v1, vcc_lo, v1
	v_and_b32_e32 v51, v51, v52
	v_and_b32_e32 v52, v3, v1
	v_lshlrev_b32_e32 v1, 24, v2
	v_cmp_gt_i64_e32 vcc, 0, v[0:1]
	v_not_b32_e32 v1, v1
	v_ashrrev_i32_e32 v1, 31, v1
	v_xor_b32_e32 v2, vcc_hi, v1
	v_xor_b32_e32 v1, vcc_lo, v1
	; wave barrier
	ds_read_b32 v49, v50 offset:64
	v_and_b32_e32 v3, v51, v2
	v_and_b32_e32 v2, v52, v1
	v_mbcnt_lo_u32_b32 v1, v2, 0
	v_mbcnt_hi_u32_b32 v51, v3, v1
	v_cmp_eq_u32_e32 vcc, 0, v51
	v_cmp_ne_u64_e64 s[2:3], 0, v[2:3]
	s_and_b64 s[4:5], s[2:3], vcc
	; wave barrier
	s_and_saveexec_b64 s[2:3], s[4:5]
	s_cbranch_execz .LBB434_123
; %bb.122:
	v_bcnt_u32_b32 v1, v2, 0
	v_bcnt_u32_b32 v1, v3, v1
	s_waitcnt lgkmcnt(0)
	v_add_u32_e32 v1, v49, v1
	ds_write_b32 v50, v1 offset:64
.LBB434_123:
	s_or_b64 exec, exec, s[2:3]
	s_waitcnt vmcnt(0)
	v_xor_b32_e32 v16, 0xffff8000, v16
	v_lshrrev_b32_sdwa v1, s20, v16 dst_sel:DWORD dst_unused:UNUSED_PAD src0_sel:DWORD src1_sel:WORD_0
	v_and_b32_e32 v2, s21, v1
	v_mul_u32_u24_e32 v1, 17, v2
	v_add_lshl_u32 v52, v17, v1, 2
	v_and_b32_e32 v1, 1, v2
	v_add_co_u32_e32 v3, vcc, -1, v1
	v_addc_co_u32_e64 v54, s[2:3], 0, -1, vcc
	v_cmp_ne_u32_e32 vcc, 0, v1
	v_xor_b32_e32 v1, vcc_hi, v54
	v_and_b32_e32 v54, exec_hi, v1
	v_lshlrev_b32_e32 v1, 30, v2
	v_xor_b32_e32 v3, vcc_lo, v3
	v_cmp_gt_i64_e32 vcc, 0, v[0:1]
	v_not_b32_e32 v1, v1
	v_ashrrev_i32_e32 v1, 31, v1
	v_and_b32_e32 v3, exec_lo, v3
	v_xor_b32_e32 v55, vcc_hi, v1
	v_xor_b32_e32 v1, vcc_lo, v1
	v_and_b32_e32 v3, v3, v1
	v_lshlrev_b32_e32 v1, 29, v2
	v_cmp_gt_i64_e32 vcc, 0, v[0:1]
	v_not_b32_e32 v1, v1
	v_ashrrev_i32_e32 v1, 31, v1
	v_and_b32_e32 v54, v54, v55
	v_xor_b32_e32 v55, vcc_hi, v1
	v_xor_b32_e32 v1, vcc_lo, v1
	v_and_b32_e32 v3, v3, v1
	v_lshlrev_b32_e32 v1, 28, v2
	v_cmp_gt_i64_e32 vcc, 0, v[0:1]
	v_not_b32_e32 v1, v1
	v_ashrrev_i32_e32 v1, 31, v1
	v_and_b32_e32 v54, v54, v55
	;; [unrolled: 8-line block ×5, first 2 shown]
	v_xor_b32_e32 v55, vcc_hi, v1
	v_xor_b32_e32 v1, vcc_lo, v1
	v_and_b32_e32 v3, v3, v1
	v_lshlrev_b32_e32 v1, 24, v2
	v_cmp_gt_i64_e32 vcc, 0, v[0:1]
	v_not_b32_e32 v0, v1
	v_ashrrev_i32_e32 v0, 31, v0
	v_xor_b32_e32 v1, vcc_hi, v0
	v_xor_b32_e32 v0, vcc_lo, v0
	; wave barrier
	ds_read_b32 v17, v52 offset:64
	v_and_b32_e32 v54, v54, v55
	v_and_b32_e32 v0, v3, v0
	;; [unrolled: 1-line block ×3, first 2 shown]
	v_mbcnt_lo_u32_b32 v2, v0, 0
	v_mbcnt_hi_u32_b32 v54, v1, v2
	v_cmp_eq_u32_e32 vcc, 0, v54
	v_cmp_ne_u64_e64 s[2:3], 0, v[0:1]
	v_add_u32_e32 v53, 64, v6
	s_and_b64 s[4:5], s[2:3], vcc
	; wave barrier
	s_and_saveexec_b64 s[2:3], s[4:5]
	s_cbranch_execz .LBB434_125
; %bb.124:
	v_bcnt_u32_b32 v0, v0, 0
	v_bcnt_u32_b32 v0, v1, v0
	s_waitcnt lgkmcnt(0)
	v_add_u32_e32 v0, v17, v0
	ds_write_b32 v52, v0 offset:64
.LBB434_125:
	s_or_b64 exec, exec, s[2:3]
	; wave barrier
	s_waitcnt lgkmcnt(0)
	s_barrier
	ds_read2_b32 v[2:3], v6 offset0:16 offset1:17
	ds_read2_b32 v[0:1], v53 offset0:2 offset1:3
	ds_read_b32 v55, v53 offset:16
	v_cmp_lt_u32_e64 s[8:9], 31, v5
	s_waitcnt lgkmcnt(1)
	v_add3_u32 v56, v3, v2, v0
	s_waitcnt lgkmcnt(0)
	v_add3_u32 v55, v56, v1, v55
	v_and_b32_e32 v56, 15, v5
	v_cmp_eq_u32_e32 vcc, 0, v56
	v_mov_b32_dpp v57, v55 row_shr:1 row_mask:0xf bank_mask:0xf
	v_cndmask_b32_e64 v57, v57, 0, vcc
	v_add_u32_e32 v55, v57, v55
	v_cmp_lt_u32_e64 s[2:3], 1, v56
	v_cmp_lt_u32_e64 s[4:5], 3, v56
	v_mov_b32_dpp v57, v55 row_shr:2 row_mask:0xf bank_mask:0xf
	v_cndmask_b32_e64 v57, 0, v57, s[2:3]
	v_add_u32_e32 v55, v55, v57
	v_cmp_lt_u32_e64 s[6:7], 7, v56
	s_nop 0
	v_mov_b32_dpp v57, v55 row_shr:4 row_mask:0xf bank_mask:0xf
	v_cndmask_b32_e64 v57, 0, v57, s[4:5]
	v_add_u32_e32 v55, v55, v57
	s_nop 1
	v_mov_b32_dpp v57, v55 row_shr:8 row_mask:0xf bank_mask:0xf
	v_cndmask_b32_e64 v56, 0, v57, s[6:7]
	v_add_u32_e32 v55, v55, v56
	v_bfe_i32 v57, v5, 4, 1
	s_nop 0
	v_mov_b32_dpp v56, v55 row_bcast:15 row_mask:0xf bank_mask:0xf
	v_and_b32_e32 v56, v57, v56
	v_add_u32_e32 v55, v55, v56
	v_and_b32_e32 v57, 63, v10
	s_nop 0
	v_mov_b32_dpp v56, v55 row_bcast:31 row_mask:0xf bank_mask:0xf
	v_cndmask_b32_e64 v56, 0, v56, s[8:9]
	v_add_u32_e32 v55, v55, v56
	v_lshrrev_b32_e32 v56, 6, v10
	v_cmp_eq_u32_e64 s[8:9], 63, v57
	s_and_saveexec_b64 s[12:13], s[8:9]
	s_cbranch_execz .LBB434_127
; %bb.126:
	v_lshlrev_b32_e32 v57, 2, v56
	ds_write_b32 v57, v55
.LBB434_127:
	s_or_b64 exec, exec, s[12:13]
	v_cmp_gt_u32_e64 s[8:9], 16, v10
	s_waitcnt lgkmcnt(0)
	s_barrier
	s_and_saveexec_b64 s[12:13], s[8:9]
	s_cbranch_execz .LBB434_129
; %bb.128:
	v_lshlrev_b32_e32 v57, 2, v10
	ds_read_b32 v58, v57
	s_waitcnt lgkmcnt(0)
	s_nop 0
	v_mov_b32_dpp v59, v58 row_shr:1 row_mask:0xf bank_mask:0xf
	v_cndmask_b32_e64 v59, v59, 0, vcc
	v_add_u32_e32 v58, v59, v58
	s_nop 1
	v_mov_b32_dpp v59, v58 row_shr:2 row_mask:0xf bank_mask:0xf
	v_cndmask_b32_e64 v59, 0, v59, s[2:3]
	v_add_u32_e32 v58, v58, v59
	s_nop 1
	v_mov_b32_dpp v59, v58 row_shr:4 row_mask:0xf bank_mask:0xf
	v_cndmask_b32_e64 v59, 0, v59, s[4:5]
	;; [unrolled: 4-line block ×3, first 2 shown]
	v_add_u32_e32 v58, v58, v59
	ds_write_b32 v57, v58
.LBB434_129:
	s_or_b64 exec, exec, s[12:13]
	v_cmp_lt_u32_e32 vcc, 63, v10
	v_mov_b32_e32 v57, 0
	s_waitcnt lgkmcnt(0)
	s_barrier
	s_and_saveexec_b64 s[2:3], vcc
	s_cbranch_execz .LBB434_131
; %bb.130:
	v_lshl_add_u32 v56, v56, 2, -4
	ds_read_b32 v57, v56
.LBB434_131:
	s_or_b64 exec, exec, s[2:3]
	v_add_u32_e32 v56, -1, v5
	v_and_b32_e32 v58, 64, v5
	v_cmp_lt_i32_e32 vcc, v56, v58
	v_cndmask_b32_e32 v56, v56, v5, vcc
	s_waitcnt lgkmcnt(0)
	v_add_u32_e32 v55, v57, v55
	v_lshlrev_b32_e32 v56, 2, v56
	ds_bpermute_b32 v55, v56, v55
	v_cmp_eq_u32_e32 vcc, 0, v5
	s_movk_i32 s2, 0xff
	s_movk_i32 s3, 0x100
	s_waitcnt lgkmcnt(0)
	v_cndmask_b32_e32 v5, v55, v57, vcc
	v_cndmask_b32_e64 v5, v5, 0, s[0:1]
	v_add_u32_e32 v2, v5, v2
	v_add_u32_e32 v3, v2, v3
	;; [unrolled: 1-line block ×4, first 2 shown]
	ds_write2_b32 v6, v5, v2 offset0:16 offset1:17
	ds_write2_b32 v53, v3, v0 offset0:2 offset1:3
	ds_write_b32 v53, v1 offset:16
	s_waitcnt lgkmcnt(0)
	s_barrier
	ds_read_b32 v57, v7 offset:64
	ds_read_b32 v56, v12 offset:64
	;; [unrolled: 1-line block ×12, first 2 shown]
	v_cmp_lt_u32_e64 s[0:1], s2, v10
	v_cmp_gt_u32_e32 vcc, s3, v10
	v_pk_mov_b32 v[0:1], 0, 0
                                        ; implicit-def: $vgpr12
	s_and_saveexec_b64 s[4:5], vcc
	s_cbranch_execz .LBB434_135
; %bb.132:
	v_mul_u32_u24_e32 v0, 17, v10
	v_lshlrev_b32_e32 v12, 2, v0
	ds_read_b32 v0, v12 offset:64
	v_cmp_ne_u32_e64 s[2:3], s2, v10
	v_mov_b32_e32 v1, 0x3000
	s_and_saveexec_b64 s[6:7], s[2:3]
	s_cbranch_execz .LBB434_134
; %bb.133:
	ds_read_b32 v1, v12 offset:132
.LBB434_134:
	s_or_b64 exec, exec, s[6:7]
	s_waitcnt lgkmcnt(0)
	v_sub_u32_e32 v12, v1, v0
	v_mov_b32_e32 v1, 0
.LBB434_135:
	s_or_b64 exec, exec, s[4:5]
	v_add_u32_e32 v11, v13, v11
	s_waitcnt lgkmcnt(11)
	v_add_lshl_u32 v8, v57, v8, 1
	v_add_u32_e32 v15, v19, v15
	s_waitcnt lgkmcnt(0)
	s_barrier
	ds_write_b16 v8, v4 offset:2048
	v_add_lshl_u32 v4, v11, v56, 1
	v_add_u32_e32 v21, v24, v21
	ds_write_b16 v4, v9 offset:2048
	v_add_lshl_u32 v4, v15, v55, 1
	v_add_u32_e32 v26, v30, v26
	;; [unrolled: 3-line block ×7, first 2 shown]
	v_add_u32_e32 v33, v51, v49
	v_add_u32_e32 v38, v48, v46
	ds_write_b16 v4, v37 offset:2048
	v_add_lshl_u32 v4, v41, v6, 1
	ds_write_b16 v4, v32 offset:2048
	v_add_lshl_u32 v4, v38, v5, 1
	v_add_lshl_u32 v3, v33, v3, 1
	v_add_lshl_u32 v2, v17, v2, 1
	ds_write_b16 v4, v27 offset:2048
	ds_write_b16 v3, v22 offset:2048
	;; [unrolled: 1-line block ×3, first 2 shown]
	s_and_saveexec_b64 s[2:3], s[0:1]
	s_xor_b64 s[0:1], exec, s[2:3]
; %bb.136:
	v_mov_b32_e32 v11, 0
; %bb.137:
	s_andn2_saveexec_b64 s[2:3], s[0:1]
	s_cbranch_execz .LBB434_147
; %bb.138:
	v_lshl_or_b32 v2, s30, 8, v10
	v_mov_b32_e32 v3, 0
	v_lshlrev_b64 v[4:5], 2, v[2:3]
	v_mov_b32_e32 v9, s15
	v_add_co_u32_e64 v4, s[0:1], s14, v4
	v_addc_co_u32_e64 v5, s[0:1], v9, v5, s[0:1]
	v_or_b32_e32 v2, 2.0, v12
	s_mov_b64 s[4:5], 0
	s_brev_b32 s12, 1
	s_mov_b32 s13, s30
	v_mov_b32_e32 v8, 0
	global_store_dword v[4:5], v2, off
                                        ; implicit-def: $sgpr0_sgpr1
	s_branch .LBB434_141
.LBB434_139:                            ;   in Loop: Header=BB434_141 Depth=1
	s_or_b64 exec, exec, s[8:9]
.LBB434_140:                            ;   in Loop: Header=BB434_141 Depth=1
	s_or_b64 exec, exec, s[6:7]
	v_and_b32_e32 v6, 0x3fffffff, v11
	v_add_u32_e32 v8, v6, v8
	v_cmp_eq_u32_e64 s[0:1], s12, v2
	s_and_b64 s[6:7], exec, s[0:1]
	s_or_b64 s[4:5], s[6:7], s[4:5]
	s_andn2_b64 exec, exec, s[4:5]
	s_cbranch_execz .LBB434_146
.LBB434_141:                            ; =>This Loop Header: Depth=1
                                        ;     Child Loop BB434_144 Depth 2
	s_or_b64 s[0:1], s[0:1], exec
	s_cmp_eq_u32 s13, 0
	s_cbranch_scc1 .LBB434_145
; %bb.142:                              ;   in Loop: Header=BB434_141 Depth=1
	s_add_i32 s13, s13, -1
	v_lshl_or_b32 v2, s13, 8, v10
	v_lshlrev_b64 v[6:7], 2, v[2:3]
	v_add_co_u32_e64 v6, s[0:1], s14, v6
	v_addc_co_u32_e64 v7, s[0:1], v9, v7, s[0:1]
	global_load_dword v11, v[6:7], off glc
	s_waitcnt vmcnt(0)
	v_and_b32_e32 v2, -2.0, v11
	v_cmp_eq_u32_e64 s[0:1], 0, v2
	s_and_saveexec_b64 s[6:7], s[0:1]
	s_cbranch_execz .LBB434_140
; %bb.143:                              ;   in Loop: Header=BB434_141 Depth=1
	s_mov_b64 s[8:9], 0
.LBB434_144:                            ;   Parent Loop BB434_141 Depth=1
                                        ; =>  This Inner Loop Header: Depth=2
	global_load_dword v11, v[6:7], off glc
	s_waitcnt vmcnt(0)
	v_and_b32_e32 v2, -2.0, v11
	v_cmp_ne_u32_e64 s[0:1], 0, v2
	s_or_b64 s[8:9], s[0:1], s[8:9]
	s_andn2_b64 exec, exec, s[8:9]
	s_cbranch_execnz .LBB434_144
	s_branch .LBB434_139
.LBB434_145:                            ;   in Loop: Header=BB434_141 Depth=1
                                        ; implicit-def: $sgpr13
	s_and_b64 s[6:7], exec, s[0:1]
	s_or_b64 s[4:5], s[6:7], s[4:5]
	s_andn2_b64 exec, exec, s[4:5]
	s_cbranch_execnz .LBB434_141
.LBB434_146:
	s_or_b64 exec, exec, s[4:5]
	v_add_u32_e32 v2, v8, v12
	v_or_b32_e32 v2, 0x80000000, v2
	global_store_dword v[4:5], v2, off
	v_lshlrev_b32_e32 v4, 3, v10
	global_load_dwordx2 v[2:3], v4, s[16:17]
	v_sub_co_u32_e64 v5, s[0:1], v8, v0
	v_subb_co_u32_e64 v6, s[0:1], 0, v1, s[0:1]
	v_mov_b32_e32 v11, 0
	s_waitcnt vmcnt(0)
	v_add_co_u32_e64 v2, s[0:1], v5, v2
	v_addc_co_u32_e64 v3, s[0:1], v6, v3, s[0:1]
	ds_write_b64 v4, v[2:3]
.LBB434_147:
	s_or_b64 exec, exec, s[2:3]
	v_lshlrev_b32_e32 v2, 1, v10
	s_waitcnt lgkmcnt(0)
	s_barrier
	ds_read_u16 v3, v2 offset:2048
	ds_read_u16 v8, v2 offset:4096
	;; [unrolled: 1-line block ×8, first 2 shown]
	s_waitcnt lgkmcnt(7)
	v_lshrrev_b32_sdwa v4, s20, v3 dst_sel:DWORD dst_unused:UNUSED_PAD src0_sel:DWORD src1_sel:WORD_0
	v_and_b32_e32 v4, s21, v4
	v_lshlrev_b32_e32 v4, 3, v4
	ds_read_b64 v[4:5], v4
	ds_read_u16 v23, v2 offset:18432
	ds_read_u16 v24, v2 offset:20480
	;; [unrolled: 1-line block ×4, first 2 shown]
	s_waitcnt lgkmcnt(4)
	v_lshlrev_b64 v[4:5], 1, v[4:5]
	v_mov_b32_e32 v6, s27
	v_add_co_u32_e64 v7, s[0:1], s26, v4
	v_addc_co_u32_e64 v9, s[0:1], v6, v5, s[0:1]
	v_lshlrev_b64 v[4:5], 1, v[10:11]
	v_add_co_u32_e64 v6, s[0:1], v7, v4
	v_xor_b32_e32 v3, 0xffff8000, v3
	v_addc_co_u32_e64 v7, s[0:1], v9, v5, s[0:1]
	global_store_short v[6:7], v3, off
	v_lshrrev_b32_sdwa v6, s20, v13 dst_sel:DWORD dst_unused:UNUSED_PAD src0_sel:DWORD src1_sel:WORD_0
	v_and_b32_e32 v6, s21, v6
	v_lshrrev_b32_sdwa v3, s20, v8 dst_sel:DWORD dst_unused:UNUSED_PAD src0_sel:DWORD src1_sel:WORD_0
	v_xor_b32_e32 v27, 0xffff8000, v8
	v_lshlrev_b32_e32 v8, 3, v6
	v_lshrrev_b32_sdwa v6, s20, v18 dst_sel:DWORD dst_unused:UNUSED_PAD src0_sel:DWORD src1_sel:WORD_0
	v_and_b32_e32 v3, s21, v3
	v_and_b32_e32 v6, s21, v6
	v_lshlrev_b32_e32 v3, 3, v3
	v_lshlrev_b32_e32 v14, 3, v6
	v_lshrrev_b32_sdwa v6, s20, v19 dst_sel:DWORD dst_unused:UNUSED_PAD src0_sel:DWORD src1_sel:WORD_0
	v_and_b32_e32 v9, s21, v6
	ds_read_b64 v[6:7], v3
	v_lshlrev_b32_e32 v3, 3, v9
	ds_read_b64 v[8:9], v8
	ds_read_b64 v[14:15], v14
	;; [unrolled: 1-line block ×3, first 2 shown]
	v_mov_b32_e32 v3, s27
	s_add_i32 s22, s22, -1
	s_waitcnt lgkmcnt(3)
	v_lshlrev_b64 v[6:7], 1, v[6:7]
	v_add_co_u32_e64 v6, s[0:1], s26, v6
	v_addc_co_u32_e64 v3, s[0:1], v3, v7, s[0:1]
	v_add_co_u32_e64 v4, s[0:1], v6, v4
	v_addc_co_u32_e64 v5, s[0:1], v3, v5, s[0:1]
	global_store_short v[4:5], v27, off offset:2048
	s_waitcnt lgkmcnt(2)
	v_lshlrev_b64 v[4:5], 1, v[8:9]
	v_mov_b32_e32 v6, s27
	v_add_co_u32_e64 v4, s[0:1], s26, v4
	v_addc_co_u32_e64 v5, s[0:1], v6, v5, s[0:1]
	v_or_b32_e32 v6, 0x1000, v2
	v_add_co_u32_e64 v4, s[0:1], v4, v6
	v_xor_b32_e32 v3, 0xffff8000, v13
	v_addc_co_u32_e64 v5, s[0:1], 0, v5, s[0:1]
	global_store_short v[4:5], v3, off
	s_waitcnt lgkmcnt(1)
	v_lshlrev_b64 v[4:5], 1, v[14:15]
	v_mov_b32_e32 v6, s27
	v_add_co_u32_e64 v4, s[0:1], s26, v4
	v_addc_co_u32_e64 v5, s[0:1], v6, v5, s[0:1]
	v_or_b32_e32 v6, 0x1800, v2
	v_add_co_u32_e64 v4, s[0:1], v4, v6
	v_xor_b32_e32 v3, 0xffff8000, v18
	v_addc_co_u32_e64 v5, s[0:1], 0, v5, s[0:1]
	global_store_short v[4:5], v3, off
	;; [unrolled: 10-line block ×3, first 2 shown]
	v_lshrrev_b32_sdwa v4, s20, v21 dst_sel:DWORD dst_unused:UNUSED_PAD src0_sel:DWORD src1_sel:WORD_0
	v_and_b32_e32 v4, s21, v4
	v_lshrrev_b32_sdwa v3, s20, v20 dst_sel:DWORD dst_unused:UNUSED_PAD src0_sel:DWORD src1_sel:WORD_0
	v_lshlrev_b32_e32 v6, 3, v4
	v_lshrrev_b32_sdwa v4, s20, v22 dst_sel:DWORD dst_unused:UNUSED_PAD src0_sel:DWORD src1_sel:WORD_0
	v_and_b32_e32 v3, s21, v3
	v_and_b32_e32 v4, s21, v4
	v_lshlrev_b32_e32 v3, 3, v3
	v_lshlrev_b32_e32 v8, 3, v4
	v_lshrrev_b32_sdwa v4, s20, v23 dst_sel:DWORD dst_unused:UNUSED_PAD src0_sel:DWORD src1_sel:WORD_0
	v_and_b32_e32 v7, s21, v4
	ds_read_b64 v[4:5], v3
	v_lshlrev_b32_e32 v3, 3, v7
	ds_read_b64 v[6:7], v6
	ds_read_b64 v[8:9], v8
	;; [unrolled: 1-line block ×3, first 2 shown]
	v_mov_b32_e32 v3, s27
	v_xor_b32_e32 v13, 0xffff8000, v20
	s_waitcnt lgkmcnt(3)
	v_lshlrev_b64 v[4:5], 1, v[4:5]
	v_add_co_u32_e64 v4, s[0:1], s26, v4
	v_addc_co_u32_e64 v3, s[0:1], v3, v5, s[0:1]
	v_or_b32_e32 v5, 0x2800, v2
	v_add_co_u32_e64 v4, s[0:1], v4, v5
	v_addc_co_u32_e64 v5, s[0:1], 0, v3, s[0:1]
	global_store_short v[4:5], v13, off
	s_waitcnt lgkmcnt(2)
	v_lshlrev_b64 v[4:5], 1, v[6:7]
	v_mov_b32_e32 v6, s27
	v_add_co_u32_e64 v4, s[0:1], s26, v4
	v_addc_co_u32_e64 v5, s[0:1], v6, v5, s[0:1]
	v_or_b32_e32 v6, 0x3000, v2
	v_add_co_u32_e64 v4, s[0:1], v4, v6
	v_xor_b32_e32 v3, 0xffff8000, v21
	v_addc_co_u32_e64 v5, s[0:1], 0, v5, s[0:1]
	global_store_short v[4:5], v3, off
	s_waitcnt lgkmcnt(1)
	v_lshlrev_b64 v[4:5], 1, v[8:9]
	v_mov_b32_e32 v6, s27
	v_add_co_u32_e64 v4, s[0:1], s26, v4
	v_addc_co_u32_e64 v5, s[0:1], v6, v5, s[0:1]
	v_or_b32_e32 v6, 0x3800, v2
	v_add_co_u32_e64 v4, s[0:1], v4, v6
	v_xor_b32_e32 v3, 0xffff8000, v22
	;; [unrolled: 10-line block ×3, first 2 shown]
	v_addc_co_u32_e64 v5, s[0:1], 0, v5, s[0:1]
	global_store_short v[4:5], v3, off
	v_lshrrev_b32_sdwa v3, s20, v24 dst_sel:DWORD dst_unused:UNUSED_PAD src0_sel:DWORD src1_sel:WORD_0
	v_and_b32_e32 v3, s21, v3
	v_lshrrev_b32_sdwa v4, s20, v25 dst_sel:DWORD dst_unused:UNUSED_PAD src0_sel:DWORD src1_sel:WORD_0
	v_lshlrev_b32_e32 v3, 3, v3
	v_and_b32_e32 v4, s21, v4
	v_lshlrev_b32_e32 v6, 3, v4
	ds_read_b64 v[4:5], v3
	v_lshrrev_b32_sdwa v7, s20, v26 dst_sel:DWORD dst_unused:UNUSED_PAD src0_sel:DWORD src1_sel:WORD_0
	v_and_b32_e32 v3, s21, v7
	v_lshlrev_b32_e32 v3, 3, v3
	ds_read_b64 v[6:7], v6
	ds_read_b64 v[8:9], v3
	s_waitcnt lgkmcnt(2)
	v_lshlrev_b64 v[4:5], 1, v[4:5]
	v_mov_b32_e32 v3, s27
	v_add_co_u32_e64 v4, s[0:1], s26, v4
	v_addc_co_u32_e64 v3, s[0:1], v3, v5, s[0:1]
	v_or_b32_e32 v5, 0x4800, v2
	v_add_co_u32_e64 v4, s[0:1], v4, v5
	v_xor_b32_e32 v13, 0xffff8000, v24
	v_addc_co_u32_e64 v5, s[0:1], 0, v3, s[0:1]
	global_store_short v[4:5], v13, off
	s_waitcnt lgkmcnt(1)
	v_lshlrev_b64 v[4:5], 1, v[6:7]
	v_mov_b32_e32 v6, s27
	v_add_co_u32_e64 v4, s[0:1], s26, v4
	v_addc_co_u32_e64 v5, s[0:1], v6, v5, s[0:1]
	v_or_b32_e32 v6, 0x5000, v2
	v_add_co_u32_e64 v4, s[0:1], v4, v6
	v_xor_b32_e32 v3, 0xffff8000, v25
	v_addc_co_u32_e64 v5, s[0:1], 0, v5, s[0:1]
	global_store_short v[4:5], v3, off
	s_waitcnt lgkmcnt(0)
	v_lshlrev_b64 v[4:5], 1, v[8:9]
	v_mov_b32_e32 v3, s27
	v_add_co_u32_e64 v4, s[0:1], s26, v4
	v_addc_co_u32_e64 v3, s[0:1], v3, v5, s[0:1]
	v_or_b32_e32 v2, 0x5800, v2
	v_add_co_u32_e64 v2, s[0:1], v4, v2
	v_addc_co_u32_e64 v3, s[0:1], 0, v3, s[0:1]
	s_cmp_eq_u32 s22, s30
	s_cselect_b64 s[0:1], -1, 0
	v_xor_b32_e32 v6, 0xffff8000, v26
	s_and_b64 s[2:3], vcc, s[0:1]
	global_store_short v[2:3], v6, off
                                        ; implicit-def: $vgpr4_vgpr5
	s_and_saveexec_b64 s[0:1], s[2:3]
; %bb.148:
	v_add_co_u32_e32 v4, vcc, v0, v12
	v_addc_co_u32_e32 v5, vcc, 0, v1, vcc
	s_or_b64 s[10:11], s[10:11], exec
; %bb.149:
	s_or_b64 exec, exec, s[0:1]
.LBB434_150:
	s_and_saveexec_b64 s[0:1], s[10:11]
	s_cbranch_execnz .LBB434_152
; %bb.151:
	s_endpgm
.LBB434_152:
	v_lshlrev_b32_e32 v2, 3, v10
	ds_read_b64 v[2:3], v2
	v_lshlrev_b64 v[0:1], 3, v[10:11]
	v_mov_b32_e32 v6, s19
	v_add_co_u32_e32 v0, vcc, s18, v0
	v_addc_co_u32_e32 v1, vcc, v6, v1, vcc
	s_waitcnt lgkmcnt(0)
	v_add_co_u32_e32 v2, vcc, v2, v4
	v_addc_co_u32_e32 v3, vcc, v3, v5, vcc
	global_store_dwordx2 v[0:1], v[2:3], off
	s_endpgm
	.section	.rodata,"a",@progbits
	.p2align	6, 0x0
	.amdhsa_kernel _ZN7rocprim17ROCPRIM_400000_NS6detail17trampoline_kernelINS0_14default_configENS1_35radix_sort_onesweep_config_selectorIsNS0_10empty_typeEEEZZNS1_29radix_sort_onesweep_iterationIS3_Lb0EPsS8_PS5_S9_mNS0_19identity_decomposerENS1_16block_id_wrapperIjLb1EEEEE10hipError_tT1_PNSt15iterator_traitsISE_E10value_typeET2_T3_PNSF_ISK_E10value_typeET4_T5_PSP_SQ_PNS1_23onesweep_lookback_stateEbbT6_jjT7_P12ihipStream_tbENKUlT_T0_SE_SJ_E_clIS8_S8_S9_S9_EEDaSX_SY_SE_SJ_EUlSX_E_NS1_11comp_targetILNS1_3genE4ELNS1_11target_archE910ELNS1_3gpuE8ELNS1_3repE0EEENS1_47radix_sort_onesweep_sort_config_static_selectorELNS0_4arch9wavefront6targetE1EEEvSE_
		.amdhsa_group_segment_fixed_size 26632
		.amdhsa_private_segment_fixed_size 0
		.amdhsa_kernarg_size 344
		.amdhsa_user_sgpr_count 6
		.amdhsa_user_sgpr_private_segment_buffer 1
		.amdhsa_user_sgpr_dispatch_ptr 0
		.amdhsa_user_sgpr_queue_ptr 0
		.amdhsa_user_sgpr_kernarg_segment_ptr 1
		.amdhsa_user_sgpr_dispatch_id 0
		.amdhsa_user_sgpr_flat_scratch_init 0
		.amdhsa_user_sgpr_kernarg_preload_length 0
		.amdhsa_user_sgpr_kernarg_preload_offset 0
		.amdhsa_user_sgpr_private_segment_size 0
		.amdhsa_uses_dynamic_stack 0
		.amdhsa_system_sgpr_private_segment_wavefront_offset 0
		.amdhsa_system_sgpr_workgroup_id_x 1
		.amdhsa_system_sgpr_workgroup_id_y 0
		.amdhsa_system_sgpr_workgroup_id_z 0
		.amdhsa_system_sgpr_workgroup_info 0
		.amdhsa_system_vgpr_workitem_id 2
		.amdhsa_next_free_vgpr 62
		.amdhsa_next_free_sgpr 35
		.amdhsa_accum_offset 64
		.amdhsa_reserve_vcc 1
		.amdhsa_reserve_flat_scratch 0
		.amdhsa_float_round_mode_32 0
		.amdhsa_float_round_mode_16_64 0
		.amdhsa_float_denorm_mode_32 3
		.amdhsa_float_denorm_mode_16_64 3
		.amdhsa_dx10_clamp 1
		.amdhsa_ieee_mode 1
		.amdhsa_fp16_overflow 0
		.amdhsa_tg_split 0
		.amdhsa_exception_fp_ieee_invalid_op 0
		.amdhsa_exception_fp_denorm_src 0
		.amdhsa_exception_fp_ieee_div_zero 0
		.amdhsa_exception_fp_ieee_overflow 0
		.amdhsa_exception_fp_ieee_underflow 0
		.amdhsa_exception_fp_ieee_inexact 0
		.amdhsa_exception_int_div_zero 0
	.end_amdhsa_kernel
	.section	.text._ZN7rocprim17ROCPRIM_400000_NS6detail17trampoline_kernelINS0_14default_configENS1_35radix_sort_onesweep_config_selectorIsNS0_10empty_typeEEEZZNS1_29radix_sort_onesweep_iterationIS3_Lb0EPsS8_PS5_S9_mNS0_19identity_decomposerENS1_16block_id_wrapperIjLb1EEEEE10hipError_tT1_PNSt15iterator_traitsISE_E10value_typeET2_T3_PNSF_ISK_E10value_typeET4_T5_PSP_SQ_PNS1_23onesweep_lookback_stateEbbT6_jjT7_P12ihipStream_tbENKUlT_T0_SE_SJ_E_clIS8_S8_S9_S9_EEDaSX_SY_SE_SJ_EUlSX_E_NS1_11comp_targetILNS1_3genE4ELNS1_11target_archE910ELNS1_3gpuE8ELNS1_3repE0EEENS1_47radix_sort_onesweep_sort_config_static_selectorELNS0_4arch9wavefront6targetE1EEEvSE_,"axG",@progbits,_ZN7rocprim17ROCPRIM_400000_NS6detail17trampoline_kernelINS0_14default_configENS1_35radix_sort_onesweep_config_selectorIsNS0_10empty_typeEEEZZNS1_29radix_sort_onesweep_iterationIS3_Lb0EPsS8_PS5_S9_mNS0_19identity_decomposerENS1_16block_id_wrapperIjLb1EEEEE10hipError_tT1_PNSt15iterator_traitsISE_E10value_typeET2_T3_PNSF_ISK_E10value_typeET4_T5_PSP_SQ_PNS1_23onesweep_lookback_stateEbbT6_jjT7_P12ihipStream_tbENKUlT_T0_SE_SJ_E_clIS8_S8_S9_S9_EEDaSX_SY_SE_SJ_EUlSX_E_NS1_11comp_targetILNS1_3genE4ELNS1_11target_archE910ELNS1_3gpuE8ELNS1_3repE0EEENS1_47radix_sort_onesweep_sort_config_static_selectorELNS0_4arch9wavefront6targetE1EEEvSE_,comdat
.Lfunc_end434:
	.size	_ZN7rocprim17ROCPRIM_400000_NS6detail17trampoline_kernelINS0_14default_configENS1_35radix_sort_onesweep_config_selectorIsNS0_10empty_typeEEEZZNS1_29radix_sort_onesweep_iterationIS3_Lb0EPsS8_PS5_S9_mNS0_19identity_decomposerENS1_16block_id_wrapperIjLb1EEEEE10hipError_tT1_PNSt15iterator_traitsISE_E10value_typeET2_T3_PNSF_ISK_E10value_typeET4_T5_PSP_SQ_PNS1_23onesweep_lookback_stateEbbT6_jjT7_P12ihipStream_tbENKUlT_T0_SE_SJ_E_clIS8_S8_S9_S9_EEDaSX_SY_SE_SJ_EUlSX_E_NS1_11comp_targetILNS1_3genE4ELNS1_11target_archE910ELNS1_3gpuE8ELNS1_3repE0EEENS1_47radix_sort_onesweep_sort_config_static_selectorELNS0_4arch9wavefront6targetE1EEEvSE_, .Lfunc_end434-_ZN7rocprim17ROCPRIM_400000_NS6detail17trampoline_kernelINS0_14default_configENS1_35radix_sort_onesweep_config_selectorIsNS0_10empty_typeEEEZZNS1_29radix_sort_onesweep_iterationIS3_Lb0EPsS8_PS5_S9_mNS0_19identity_decomposerENS1_16block_id_wrapperIjLb1EEEEE10hipError_tT1_PNSt15iterator_traitsISE_E10value_typeET2_T3_PNSF_ISK_E10value_typeET4_T5_PSP_SQ_PNS1_23onesweep_lookback_stateEbbT6_jjT7_P12ihipStream_tbENKUlT_T0_SE_SJ_E_clIS8_S8_S9_S9_EEDaSX_SY_SE_SJ_EUlSX_E_NS1_11comp_targetILNS1_3genE4ELNS1_11target_archE910ELNS1_3gpuE8ELNS1_3repE0EEENS1_47radix_sort_onesweep_sort_config_static_selectorELNS0_4arch9wavefront6targetE1EEEvSE_
                                        ; -- End function
	.section	.AMDGPU.csdata,"",@progbits
; Kernel info:
; codeLenInByte = 16408
; NumSgprs: 39
; NumVgprs: 62
; NumAgprs: 0
; TotalNumVgprs: 62
; ScratchSize: 0
; MemoryBound: 0
; FloatMode: 240
; IeeeMode: 1
; LDSByteSize: 26632 bytes/workgroup (compile time only)
; SGPRBlocks: 4
; VGPRBlocks: 7
; NumSGPRsForWavesPerEU: 39
; NumVGPRsForWavesPerEU: 62
; AccumOffset: 64
; Occupancy: 8
; WaveLimiterHint : 1
; COMPUTE_PGM_RSRC2:SCRATCH_EN: 0
; COMPUTE_PGM_RSRC2:USER_SGPR: 6
; COMPUTE_PGM_RSRC2:TRAP_HANDLER: 0
; COMPUTE_PGM_RSRC2:TGID_X_EN: 1
; COMPUTE_PGM_RSRC2:TGID_Y_EN: 0
; COMPUTE_PGM_RSRC2:TGID_Z_EN: 0
; COMPUTE_PGM_RSRC2:TIDIG_COMP_CNT: 2
; COMPUTE_PGM_RSRC3_GFX90A:ACCUM_OFFSET: 15
; COMPUTE_PGM_RSRC3_GFX90A:TG_SPLIT: 0
	.section	.text._ZN7rocprim17ROCPRIM_400000_NS6detail17trampoline_kernelINS0_14default_configENS1_35radix_sort_onesweep_config_selectorIsNS0_10empty_typeEEEZZNS1_29radix_sort_onesweep_iterationIS3_Lb0EPsS8_PS5_S9_mNS0_19identity_decomposerENS1_16block_id_wrapperIjLb1EEEEE10hipError_tT1_PNSt15iterator_traitsISE_E10value_typeET2_T3_PNSF_ISK_E10value_typeET4_T5_PSP_SQ_PNS1_23onesweep_lookback_stateEbbT6_jjT7_P12ihipStream_tbENKUlT_T0_SE_SJ_E_clIS8_S8_S9_S9_EEDaSX_SY_SE_SJ_EUlSX_E_NS1_11comp_targetILNS1_3genE3ELNS1_11target_archE908ELNS1_3gpuE7ELNS1_3repE0EEENS1_47radix_sort_onesweep_sort_config_static_selectorELNS0_4arch9wavefront6targetE1EEEvSE_,"axG",@progbits,_ZN7rocprim17ROCPRIM_400000_NS6detail17trampoline_kernelINS0_14default_configENS1_35radix_sort_onesweep_config_selectorIsNS0_10empty_typeEEEZZNS1_29radix_sort_onesweep_iterationIS3_Lb0EPsS8_PS5_S9_mNS0_19identity_decomposerENS1_16block_id_wrapperIjLb1EEEEE10hipError_tT1_PNSt15iterator_traitsISE_E10value_typeET2_T3_PNSF_ISK_E10value_typeET4_T5_PSP_SQ_PNS1_23onesweep_lookback_stateEbbT6_jjT7_P12ihipStream_tbENKUlT_T0_SE_SJ_E_clIS8_S8_S9_S9_EEDaSX_SY_SE_SJ_EUlSX_E_NS1_11comp_targetILNS1_3genE3ELNS1_11target_archE908ELNS1_3gpuE7ELNS1_3repE0EEENS1_47radix_sort_onesweep_sort_config_static_selectorELNS0_4arch9wavefront6targetE1EEEvSE_,comdat
	.protected	_ZN7rocprim17ROCPRIM_400000_NS6detail17trampoline_kernelINS0_14default_configENS1_35radix_sort_onesweep_config_selectorIsNS0_10empty_typeEEEZZNS1_29radix_sort_onesweep_iterationIS3_Lb0EPsS8_PS5_S9_mNS0_19identity_decomposerENS1_16block_id_wrapperIjLb1EEEEE10hipError_tT1_PNSt15iterator_traitsISE_E10value_typeET2_T3_PNSF_ISK_E10value_typeET4_T5_PSP_SQ_PNS1_23onesweep_lookback_stateEbbT6_jjT7_P12ihipStream_tbENKUlT_T0_SE_SJ_E_clIS8_S8_S9_S9_EEDaSX_SY_SE_SJ_EUlSX_E_NS1_11comp_targetILNS1_3genE3ELNS1_11target_archE908ELNS1_3gpuE7ELNS1_3repE0EEENS1_47radix_sort_onesweep_sort_config_static_selectorELNS0_4arch9wavefront6targetE1EEEvSE_ ; -- Begin function _ZN7rocprim17ROCPRIM_400000_NS6detail17trampoline_kernelINS0_14default_configENS1_35radix_sort_onesweep_config_selectorIsNS0_10empty_typeEEEZZNS1_29radix_sort_onesweep_iterationIS3_Lb0EPsS8_PS5_S9_mNS0_19identity_decomposerENS1_16block_id_wrapperIjLb1EEEEE10hipError_tT1_PNSt15iterator_traitsISE_E10value_typeET2_T3_PNSF_ISK_E10value_typeET4_T5_PSP_SQ_PNS1_23onesweep_lookback_stateEbbT6_jjT7_P12ihipStream_tbENKUlT_T0_SE_SJ_E_clIS8_S8_S9_S9_EEDaSX_SY_SE_SJ_EUlSX_E_NS1_11comp_targetILNS1_3genE3ELNS1_11target_archE908ELNS1_3gpuE7ELNS1_3repE0EEENS1_47radix_sort_onesweep_sort_config_static_selectorELNS0_4arch9wavefront6targetE1EEEvSE_
	.globl	_ZN7rocprim17ROCPRIM_400000_NS6detail17trampoline_kernelINS0_14default_configENS1_35radix_sort_onesweep_config_selectorIsNS0_10empty_typeEEEZZNS1_29radix_sort_onesweep_iterationIS3_Lb0EPsS8_PS5_S9_mNS0_19identity_decomposerENS1_16block_id_wrapperIjLb1EEEEE10hipError_tT1_PNSt15iterator_traitsISE_E10value_typeET2_T3_PNSF_ISK_E10value_typeET4_T5_PSP_SQ_PNS1_23onesweep_lookback_stateEbbT6_jjT7_P12ihipStream_tbENKUlT_T0_SE_SJ_E_clIS8_S8_S9_S9_EEDaSX_SY_SE_SJ_EUlSX_E_NS1_11comp_targetILNS1_3genE3ELNS1_11target_archE908ELNS1_3gpuE7ELNS1_3repE0EEENS1_47radix_sort_onesweep_sort_config_static_selectorELNS0_4arch9wavefront6targetE1EEEvSE_
	.p2align	8
	.type	_ZN7rocprim17ROCPRIM_400000_NS6detail17trampoline_kernelINS0_14default_configENS1_35radix_sort_onesweep_config_selectorIsNS0_10empty_typeEEEZZNS1_29radix_sort_onesweep_iterationIS3_Lb0EPsS8_PS5_S9_mNS0_19identity_decomposerENS1_16block_id_wrapperIjLb1EEEEE10hipError_tT1_PNSt15iterator_traitsISE_E10value_typeET2_T3_PNSF_ISK_E10value_typeET4_T5_PSP_SQ_PNS1_23onesweep_lookback_stateEbbT6_jjT7_P12ihipStream_tbENKUlT_T0_SE_SJ_E_clIS8_S8_S9_S9_EEDaSX_SY_SE_SJ_EUlSX_E_NS1_11comp_targetILNS1_3genE3ELNS1_11target_archE908ELNS1_3gpuE7ELNS1_3repE0EEENS1_47radix_sort_onesweep_sort_config_static_selectorELNS0_4arch9wavefront6targetE1EEEvSE_,@function
_ZN7rocprim17ROCPRIM_400000_NS6detail17trampoline_kernelINS0_14default_configENS1_35radix_sort_onesweep_config_selectorIsNS0_10empty_typeEEEZZNS1_29radix_sort_onesweep_iterationIS3_Lb0EPsS8_PS5_S9_mNS0_19identity_decomposerENS1_16block_id_wrapperIjLb1EEEEE10hipError_tT1_PNSt15iterator_traitsISE_E10value_typeET2_T3_PNSF_ISK_E10value_typeET4_T5_PSP_SQ_PNS1_23onesweep_lookback_stateEbbT6_jjT7_P12ihipStream_tbENKUlT_T0_SE_SJ_E_clIS8_S8_S9_S9_EEDaSX_SY_SE_SJ_EUlSX_E_NS1_11comp_targetILNS1_3genE3ELNS1_11target_archE908ELNS1_3gpuE7ELNS1_3repE0EEENS1_47radix_sort_onesweep_sort_config_static_selectorELNS0_4arch9wavefront6targetE1EEEvSE_: ; @_ZN7rocprim17ROCPRIM_400000_NS6detail17trampoline_kernelINS0_14default_configENS1_35radix_sort_onesweep_config_selectorIsNS0_10empty_typeEEEZZNS1_29radix_sort_onesweep_iterationIS3_Lb0EPsS8_PS5_S9_mNS0_19identity_decomposerENS1_16block_id_wrapperIjLb1EEEEE10hipError_tT1_PNSt15iterator_traitsISE_E10value_typeET2_T3_PNSF_ISK_E10value_typeET4_T5_PSP_SQ_PNS1_23onesweep_lookback_stateEbbT6_jjT7_P12ihipStream_tbENKUlT_T0_SE_SJ_E_clIS8_S8_S9_S9_EEDaSX_SY_SE_SJ_EUlSX_E_NS1_11comp_targetILNS1_3genE3ELNS1_11target_archE908ELNS1_3gpuE7ELNS1_3repE0EEENS1_47radix_sort_onesweep_sort_config_static_selectorELNS0_4arch9wavefront6targetE1EEEvSE_
; %bb.0:
	.section	.rodata,"a",@progbits
	.p2align	6, 0x0
	.amdhsa_kernel _ZN7rocprim17ROCPRIM_400000_NS6detail17trampoline_kernelINS0_14default_configENS1_35radix_sort_onesweep_config_selectorIsNS0_10empty_typeEEEZZNS1_29radix_sort_onesweep_iterationIS3_Lb0EPsS8_PS5_S9_mNS0_19identity_decomposerENS1_16block_id_wrapperIjLb1EEEEE10hipError_tT1_PNSt15iterator_traitsISE_E10value_typeET2_T3_PNSF_ISK_E10value_typeET4_T5_PSP_SQ_PNS1_23onesweep_lookback_stateEbbT6_jjT7_P12ihipStream_tbENKUlT_T0_SE_SJ_E_clIS8_S8_S9_S9_EEDaSX_SY_SE_SJ_EUlSX_E_NS1_11comp_targetILNS1_3genE3ELNS1_11target_archE908ELNS1_3gpuE7ELNS1_3repE0EEENS1_47radix_sort_onesweep_sort_config_static_selectorELNS0_4arch9wavefront6targetE1EEEvSE_
		.amdhsa_group_segment_fixed_size 0
		.amdhsa_private_segment_fixed_size 0
		.amdhsa_kernarg_size 88
		.amdhsa_user_sgpr_count 6
		.amdhsa_user_sgpr_private_segment_buffer 1
		.amdhsa_user_sgpr_dispatch_ptr 0
		.amdhsa_user_sgpr_queue_ptr 0
		.amdhsa_user_sgpr_kernarg_segment_ptr 1
		.amdhsa_user_sgpr_dispatch_id 0
		.amdhsa_user_sgpr_flat_scratch_init 0
		.amdhsa_user_sgpr_kernarg_preload_length 0
		.amdhsa_user_sgpr_kernarg_preload_offset 0
		.amdhsa_user_sgpr_private_segment_size 0
		.amdhsa_uses_dynamic_stack 0
		.amdhsa_system_sgpr_private_segment_wavefront_offset 0
		.amdhsa_system_sgpr_workgroup_id_x 1
		.amdhsa_system_sgpr_workgroup_id_y 0
		.amdhsa_system_sgpr_workgroup_id_z 0
		.amdhsa_system_sgpr_workgroup_info 0
		.amdhsa_system_vgpr_workitem_id 0
		.amdhsa_next_free_vgpr 1
		.amdhsa_next_free_sgpr 0
		.amdhsa_accum_offset 4
		.amdhsa_reserve_vcc 0
		.amdhsa_reserve_flat_scratch 0
		.amdhsa_float_round_mode_32 0
		.amdhsa_float_round_mode_16_64 0
		.amdhsa_float_denorm_mode_32 3
		.amdhsa_float_denorm_mode_16_64 3
		.amdhsa_dx10_clamp 1
		.amdhsa_ieee_mode 1
		.amdhsa_fp16_overflow 0
		.amdhsa_tg_split 0
		.amdhsa_exception_fp_ieee_invalid_op 0
		.amdhsa_exception_fp_denorm_src 0
		.amdhsa_exception_fp_ieee_div_zero 0
		.amdhsa_exception_fp_ieee_overflow 0
		.amdhsa_exception_fp_ieee_underflow 0
		.amdhsa_exception_fp_ieee_inexact 0
		.amdhsa_exception_int_div_zero 0
	.end_amdhsa_kernel
	.section	.text._ZN7rocprim17ROCPRIM_400000_NS6detail17trampoline_kernelINS0_14default_configENS1_35radix_sort_onesweep_config_selectorIsNS0_10empty_typeEEEZZNS1_29radix_sort_onesweep_iterationIS3_Lb0EPsS8_PS5_S9_mNS0_19identity_decomposerENS1_16block_id_wrapperIjLb1EEEEE10hipError_tT1_PNSt15iterator_traitsISE_E10value_typeET2_T3_PNSF_ISK_E10value_typeET4_T5_PSP_SQ_PNS1_23onesweep_lookback_stateEbbT6_jjT7_P12ihipStream_tbENKUlT_T0_SE_SJ_E_clIS8_S8_S9_S9_EEDaSX_SY_SE_SJ_EUlSX_E_NS1_11comp_targetILNS1_3genE3ELNS1_11target_archE908ELNS1_3gpuE7ELNS1_3repE0EEENS1_47radix_sort_onesweep_sort_config_static_selectorELNS0_4arch9wavefront6targetE1EEEvSE_,"axG",@progbits,_ZN7rocprim17ROCPRIM_400000_NS6detail17trampoline_kernelINS0_14default_configENS1_35radix_sort_onesweep_config_selectorIsNS0_10empty_typeEEEZZNS1_29radix_sort_onesweep_iterationIS3_Lb0EPsS8_PS5_S9_mNS0_19identity_decomposerENS1_16block_id_wrapperIjLb1EEEEE10hipError_tT1_PNSt15iterator_traitsISE_E10value_typeET2_T3_PNSF_ISK_E10value_typeET4_T5_PSP_SQ_PNS1_23onesweep_lookback_stateEbbT6_jjT7_P12ihipStream_tbENKUlT_T0_SE_SJ_E_clIS8_S8_S9_S9_EEDaSX_SY_SE_SJ_EUlSX_E_NS1_11comp_targetILNS1_3genE3ELNS1_11target_archE908ELNS1_3gpuE7ELNS1_3repE0EEENS1_47radix_sort_onesweep_sort_config_static_selectorELNS0_4arch9wavefront6targetE1EEEvSE_,comdat
.Lfunc_end435:
	.size	_ZN7rocprim17ROCPRIM_400000_NS6detail17trampoline_kernelINS0_14default_configENS1_35radix_sort_onesweep_config_selectorIsNS0_10empty_typeEEEZZNS1_29radix_sort_onesweep_iterationIS3_Lb0EPsS8_PS5_S9_mNS0_19identity_decomposerENS1_16block_id_wrapperIjLb1EEEEE10hipError_tT1_PNSt15iterator_traitsISE_E10value_typeET2_T3_PNSF_ISK_E10value_typeET4_T5_PSP_SQ_PNS1_23onesweep_lookback_stateEbbT6_jjT7_P12ihipStream_tbENKUlT_T0_SE_SJ_E_clIS8_S8_S9_S9_EEDaSX_SY_SE_SJ_EUlSX_E_NS1_11comp_targetILNS1_3genE3ELNS1_11target_archE908ELNS1_3gpuE7ELNS1_3repE0EEENS1_47radix_sort_onesweep_sort_config_static_selectorELNS0_4arch9wavefront6targetE1EEEvSE_, .Lfunc_end435-_ZN7rocprim17ROCPRIM_400000_NS6detail17trampoline_kernelINS0_14default_configENS1_35radix_sort_onesweep_config_selectorIsNS0_10empty_typeEEEZZNS1_29radix_sort_onesweep_iterationIS3_Lb0EPsS8_PS5_S9_mNS0_19identity_decomposerENS1_16block_id_wrapperIjLb1EEEEE10hipError_tT1_PNSt15iterator_traitsISE_E10value_typeET2_T3_PNSF_ISK_E10value_typeET4_T5_PSP_SQ_PNS1_23onesweep_lookback_stateEbbT6_jjT7_P12ihipStream_tbENKUlT_T0_SE_SJ_E_clIS8_S8_S9_S9_EEDaSX_SY_SE_SJ_EUlSX_E_NS1_11comp_targetILNS1_3genE3ELNS1_11target_archE908ELNS1_3gpuE7ELNS1_3repE0EEENS1_47radix_sort_onesweep_sort_config_static_selectorELNS0_4arch9wavefront6targetE1EEEvSE_
                                        ; -- End function
	.section	.AMDGPU.csdata,"",@progbits
; Kernel info:
; codeLenInByte = 0
; NumSgprs: 4
; NumVgprs: 0
; NumAgprs: 0
; TotalNumVgprs: 0
; ScratchSize: 0
; MemoryBound: 0
; FloatMode: 240
; IeeeMode: 1
; LDSByteSize: 0 bytes/workgroup (compile time only)
; SGPRBlocks: 0
; VGPRBlocks: 0
; NumSGPRsForWavesPerEU: 4
; NumVGPRsForWavesPerEU: 1
; AccumOffset: 4
; Occupancy: 8
; WaveLimiterHint : 0
; COMPUTE_PGM_RSRC2:SCRATCH_EN: 0
; COMPUTE_PGM_RSRC2:USER_SGPR: 6
; COMPUTE_PGM_RSRC2:TRAP_HANDLER: 0
; COMPUTE_PGM_RSRC2:TGID_X_EN: 1
; COMPUTE_PGM_RSRC2:TGID_Y_EN: 0
; COMPUTE_PGM_RSRC2:TGID_Z_EN: 0
; COMPUTE_PGM_RSRC2:TIDIG_COMP_CNT: 0
; COMPUTE_PGM_RSRC3_GFX90A:ACCUM_OFFSET: 0
; COMPUTE_PGM_RSRC3_GFX90A:TG_SPLIT: 0
	.section	.text._ZN7rocprim17ROCPRIM_400000_NS6detail17trampoline_kernelINS0_14default_configENS1_35radix_sort_onesweep_config_selectorIsNS0_10empty_typeEEEZZNS1_29radix_sort_onesweep_iterationIS3_Lb0EPsS8_PS5_S9_mNS0_19identity_decomposerENS1_16block_id_wrapperIjLb1EEEEE10hipError_tT1_PNSt15iterator_traitsISE_E10value_typeET2_T3_PNSF_ISK_E10value_typeET4_T5_PSP_SQ_PNS1_23onesweep_lookback_stateEbbT6_jjT7_P12ihipStream_tbENKUlT_T0_SE_SJ_E_clIS8_S8_S9_S9_EEDaSX_SY_SE_SJ_EUlSX_E_NS1_11comp_targetILNS1_3genE10ELNS1_11target_archE1201ELNS1_3gpuE5ELNS1_3repE0EEENS1_47radix_sort_onesweep_sort_config_static_selectorELNS0_4arch9wavefront6targetE1EEEvSE_,"axG",@progbits,_ZN7rocprim17ROCPRIM_400000_NS6detail17trampoline_kernelINS0_14default_configENS1_35radix_sort_onesweep_config_selectorIsNS0_10empty_typeEEEZZNS1_29radix_sort_onesweep_iterationIS3_Lb0EPsS8_PS5_S9_mNS0_19identity_decomposerENS1_16block_id_wrapperIjLb1EEEEE10hipError_tT1_PNSt15iterator_traitsISE_E10value_typeET2_T3_PNSF_ISK_E10value_typeET4_T5_PSP_SQ_PNS1_23onesweep_lookback_stateEbbT6_jjT7_P12ihipStream_tbENKUlT_T0_SE_SJ_E_clIS8_S8_S9_S9_EEDaSX_SY_SE_SJ_EUlSX_E_NS1_11comp_targetILNS1_3genE10ELNS1_11target_archE1201ELNS1_3gpuE5ELNS1_3repE0EEENS1_47radix_sort_onesweep_sort_config_static_selectorELNS0_4arch9wavefront6targetE1EEEvSE_,comdat
	.protected	_ZN7rocprim17ROCPRIM_400000_NS6detail17trampoline_kernelINS0_14default_configENS1_35radix_sort_onesweep_config_selectorIsNS0_10empty_typeEEEZZNS1_29radix_sort_onesweep_iterationIS3_Lb0EPsS8_PS5_S9_mNS0_19identity_decomposerENS1_16block_id_wrapperIjLb1EEEEE10hipError_tT1_PNSt15iterator_traitsISE_E10value_typeET2_T3_PNSF_ISK_E10value_typeET4_T5_PSP_SQ_PNS1_23onesweep_lookback_stateEbbT6_jjT7_P12ihipStream_tbENKUlT_T0_SE_SJ_E_clIS8_S8_S9_S9_EEDaSX_SY_SE_SJ_EUlSX_E_NS1_11comp_targetILNS1_3genE10ELNS1_11target_archE1201ELNS1_3gpuE5ELNS1_3repE0EEENS1_47radix_sort_onesweep_sort_config_static_selectorELNS0_4arch9wavefront6targetE1EEEvSE_ ; -- Begin function _ZN7rocprim17ROCPRIM_400000_NS6detail17trampoline_kernelINS0_14default_configENS1_35radix_sort_onesweep_config_selectorIsNS0_10empty_typeEEEZZNS1_29radix_sort_onesweep_iterationIS3_Lb0EPsS8_PS5_S9_mNS0_19identity_decomposerENS1_16block_id_wrapperIjLb1EEEEE10hipError_tT1_PNSt15iterator_traitsISE_E10value_typeET2_T3_PNSF_ISK_E10value_typeET4_T5_PSP_SQ_PNS1_23onesweep_lookback_stateEbbT6_jjT7_P12ihipStream_tbENKUlT_T0_SE_SJ_E_clIS8_S8_S9_S9_EEDaSX_SY_SE_SJ_EUlSX_E_NS1_11comp_targetILNS1_3genE10ELNS1_11target_archE1201ELNS1_3gpuE5ELNS1_3repE0EEENS1_47radix_sort_onesweep_sort_config_static_selectorELNS0_4arch9wavefront6targetE1EEEvSE_
	.globl	_ZN7rocprim17ROCPRIM_400000_NS6detail17trampoline_kernelINS0_14default_configENS1_35radix_sort_onesweep_config_selectorIsNS0_10empty_typeEEEZZNS1_29radix_sort_onesweep_iterationIS3_Lb0EPsS8_PS5_S9_mNS0_19identity_decomposerENS1_16block_id_wrapperIjLb1EEEEE10hipError_tT1_PNSt15iterator_traitsISE_E10value_typeET2_T3_PNSF_ISK_E10value_typeET4_T5_PSP_SQ_PNS1_23onesweep_lookback_stateEbbT6_jjT7_P12ihipStream_tbENKUlT_T0_SE_SJ_E_clIS8_S8_S9_S9_EEDaSX_SY_SE_SJ_EUlSX_E_NS1_11comp_targetILNS1_3genE10ELNS1_11target_archE1201ELNS1_3gpuE5ELNS1_3repE0EEENS1_47radix_sort_onesweep_sort_config_static_selectorELNS0_4arch9wavefront6targetE1EEEvSE_
	.p2align	8
	.type	_ZN7rocprim17ROCPRIM_400000_NS6detail17trampoline_kernelINS0_14default_configENS1_35radix_sort_onesweep_config_selectorIsNS0_10empty_typeEEEZZNS1_29radix_sort_onesweep_iterationIS3_Lb0EPsS8_PS5_S9_mNS0_19identity_decomposerENS1_16block_id_wrapperIjLb1EEEEE10hipError_tT1_PNSt15iterator_traitsISE_E10value_typeET2_T3_PNSF_ISK_E10value_typeET4_T5_PSP_SQ_PNS1_23onesweep_lookback_stateEbbT6_jjT7_P12ihipStream_tbENKUlT_T0_SE_SJ_E_clIS8_S8_S9_S9_EEDaSX_SY_SE_SJ_EUlSX_E_NS1_11comp_targetILNS1_3genE10ELNS1_11target_archE1201ELNS1_3gpuE5ELNS1_3repE0EEENS1_47radix_sort_onesweep_sort_config_static_selectorELNS0_4arch9wavefront6targetE1EEEvSE_,@function
_ZN7rocprim17ROCPRIM_400000_NS6detail17trampoline_kernelINS0_14default_configENS1_35radix_sort_onesweep_config_selectorIsNS0_10empty_typeEEEZZNS1_29radix_sort_onesweep_iterationIS3_Lb0EPsS8_PS5_S9_mNS0_19identity_decomposerENS1_16block_id_wrapperIjLb1EEEEE10hipError_tT1_PNSt15iterator_traitsISE_E10value_typeET2_T3_PNSF_ISK_E10value_typeET4_T5_PSP_SQ_PNS1_23onesweep_lookback_stateEbbT6_jjT7_P12ihipStream_tbENKUlT_T0_SE_SJ_E_clIS8_S8_S9_S9_EEDaSX_SY_SE_SJ_EUlSX_E_NS1_11comp_targetILNS1_3genE10ELNS1_11target_archE1201ELNS1_3gpuE5ELNS1_3repE0EEENS1_47radix_sort_onesweep_sort_config_static_selectorELNS0_4arch9wavefront6targetE1EEEvSE_: ; @_ZN7rocprim17ROCPRIM_400000_NS6detail17trampoline_kernelINS0_14default_configENS1_35radix_sort_onesweep_config_selectorIsNS0_10empty_typeEEEZZNS1_29radix_sort_onesweep_iterationIS3_Lb0EPsS8_PS5_S9_mNS0_19identity_decomposerENS1_16block_id_wrapperIjLb1EEEEE10hipError_tT1_PNSt15iterator_traitsISE_E10value_typeET2_T3_PNSF_ISK_E10value_typeET4_T5_PSP_SQ_PNS1_23onesweep_lookback_stateEbbT6_jjT7_P12ihipStream_tbENKUlT_T0_SE_SJ_E_clIS8_S8_S9_S9_EEDaSX_SY_SE_SJ_EUlSX_E_NS1_11comp_targetILNS1_3genE10ELNS1_11target_archE1201ELNS1_3gpuE5ELNS1_3repE0EEENS1_47radix_sort_onesweep_sort_config_static_selectorELNS0_4arch9wavefront6targetE1EEEvSE_
; %bb.0:
	.section	.rodata,"a",@progbits
	.p2align	6, 0x0
	.amdhsa_kernel _ZN7rocprim17ROCPRIM_400000_NS6detail17trampoline_kernelINS0_14default_configENS1_35radix_sort_onesweep_config_selectorIsNS0_10empty_typeEEEZZNS1_29radix_sort_onesweep_iterationIS3_Lb0EPsS8_PS5_S9_mNS0_19identity_decomposerENS1_16block_id_wrapperIjLb1EEEEE10hipError_tT1_PNSt15iterator_traitsISE_E10value_typeET2_T3_PNSF_ISK_E10value_typeET4_T5_PSP_SQ_PNS1_23onesweep_lookback_stateEbbT6_jjT7_P12ihipStream_tbENKUlT_T0_SE_SJ_E_clIS8_S8_S9_S9_EEDaSX_SY_SE_SJ_EUlSX_E_NS1_11comp_targetILNS1_3genE10ELNS1_11target_archE1201ELNS1_3gpuE5ELNS1_3repE0EEENS1_47radix_sort_onesweep_sort_config_static_selectorELNS0_4arch9wavefront6targetE1EEEvSE_
		.amdhsa_group_segment_fixed_size 0
		.amdhsa_private_segment_fixed_size 0
		.amdhsa_kernarg_size 88
		.amdhsa_user_sgpr_count 6
		.amdhsa_user_sgpr_private_segment_buffer 1
		.amdhsa_user_sgpr_dispatch_ptr 0
		.amdhsa_user_sgpr_queue_ptr 0
		.amdhsa_user_sgpr_kernarg_segment_ptr 1
		.amdhsa_user_sgpr_dispatch_id 0
		.amdhsa_user_sgpr_flat_scratch_init 0
		.amdhsa_user_sgpr_kernarg_preload_length 0
		.amdhsa_user_sgpr_kernarg_preload_offset 0
		.amdhsa_user_sgpr_private_segment_size 0
		.amdhsa_uses_dynamic_stack 0
		.amdhsa_system_sgpr_private_segment_wavefront_offset 0
		.amdhsa_system_sgpr_workgroup_id_x 1
		.amdhsa_system_sgpr_workgroup_id_y 0
		.amdhsa_system_sgpr_workgroup_id_z 0
		.amdhsa_system_sgpr_workgroup_info 0
		.amdhsa_system_vgpr_workitem_id 0
		.amdhsa_next_free_vgpr 1
		.amdhsa_next_free_sgpr 0
		.amdhsa_accum_offset 4
		.amdhsa_reserve_vcc 0
		.amdhsa_reserve_flat_scratch 0
		.amdhsa_float_round_mode_32 0
		.amdhsa_float_round_mode_16_64 0
		.amdhsa_float_denorm_mode_32 3
		.amdhsa_float_denorm_mode_16_64 3
		.amdhsa_dx10_clamp 1
		.amdhsa_ieee_mode 1
		.amdhsa_fp16_overflow 0
		.amdhsa_tg_split 0
		.amdhsa_exception_fp_ieee_invalid_op 0
		.amdhsa_exception_fp_denorm_src 0
		.amdhsa_exception_fp_ieee_div_zero 0
		.amdhsa_exception_fp_ieee_overflow 0
		.amdhsa_exception_fp_ieee_underflow 0
		.amdhsa_exception_fp_ieee_inexact 0
		.amdhsa_exception_int_div_zero 0
	.end_amdhsa_kernel
	.section	.text._ZN7rocprim17ROCPRIM_400000_NS6detail17trampoline_kernelINS0_14default_configENS1_35radix_sort_onesweep_config_selectorIsNS0_10empty_typeEEEZZNS1_29radix_sort_onesweep_iterationIS3_Lb0EPsS8_PS5_S9_mNS0_19identity_decomposerENS1_16block_id_wrapperIjLb1EEEEE10hipError_tT1_PNSt15iterator_traitsISE_E10value_typeET2_T3_PNSF_ISK_E10value_typeET4_T5_PSP_SQ_PNS1_23onesweep_lookback_stateEbbT6_jjT7_P12ihipStream_tbENKUlT_T0_SE_SJ_E_clIS8_S8_S9_S9_EEDaSX_SY_SE_SJ_EUlSX_E_NS1_11comp_targetILNS1_3genE10ELNS1_11target_archE1201ELNS1_3gpuE5ELNS1_3repE0EEENS1_47radix_sort_onesweep_sort_config_static_selectorELNS0_4arch9wavefront6targetE1EEEvSE_,"axG",@progbits,_ZN7rocprim17ROCPRIM_400000_NS6detail17trampoline_kernelINS0_14default_configENS1_35radix_sort_onesweep_config_selectorIsNS0_10empty_typeEEEZZNS1_29radix_sort_onesweep_iterationIS3_Lb0EPsS8_PS5_S9_mNS0_19identity_decomposerENS1_16block_id_wrapperIjLb1EEEEE10hipError_tT1_PNSt15iterator_traitsISE_E10value_typeET2_T3_PNSF_ISK_E10value_typeET4_T5_PSP_SQ_PNS1_23onesweep_lookback_stateEbbT6_jjT7_P12ihipStream_tbENKUlT_T0_SE_SJ_E_clIS8_S8_S9_S9_EEDaSX_SY_SE_SJ_EUlSX_E_NS1_11comp_targetILNS1_3genE10ELNS1_11target_archE1201ELNS1_3gpuE5ELNS1_3repE0EEENS1_47radix_sort_onesweep_sort_config_static_selectorELNS0_4arch9wavefront6targetE1EEEvSE_,comdat
.Lfunc_end436:
	.size	_ZN7rocprim17ROCPRIM_400000_NS6detail17trampoline_kernelINS0_14default_configENS1_35radix_sort_onesweep_config_selectorIsNS0_10empty_typeEEEZZNS1_29radix_sort_onesweep_iterationIS3_Lb0EPsS8_PS5_S9_mNS0_19identity_decomposerENS1_16block_id_wrapperIjLb1EEEEE10hipError_tT1_PNSt15iterator_traitsISE_E10value_typeET2_T3_PNSF_ISK_E10value_typeET4_T5_PSP_SQ_PNS1_23onesweep_lookback_stateEbbT6_jjT7_P12ihipStream_tbENKUlT_T0_SE_SJ_E_clIS8_S8_S9_S9_EEDaSX_SY_SE_SJ_EUlSX_E_NS1_11comp_targetILNS1_3genE10ELNS1_11target_archE1201ELNS1_3gpuE5ELNS1_3repE0EEENS1_47radix_sort_onesweep_sort_config_static_selectorELNS0_4arch9wavefront6targetE1EEEvSE_, .Lfunc_end436-_ZN7rocprim17ROCPRIM_400000_NS6detail17trampoline_kernelINS0_14default_configENS1_35radix_sort_onesweep_config_selectorIsNS0_10empty_typeEEEZZNS1_29radix_sort_onesweep_iterationIS3_Lb0EPsS8_PS5_S9_mNS0_19identity_decomposerENS1_16block_id_wrapperIjLb1EEEEE10hipError_tT1_PNSt15iterator_traitsISE_E10value_typeET2_T3_PNSF_ISK_E10value_typeET4_T5_PSP_SQ_PNS1_23onesweep_lookback_stateEbbT6_jjT7_P12ihipStream_tbENKUlT_T0_SE_SJ_E_clIS8_S8_S9_S9_EEDaSX_SY_SE_SJ_EUlSX_E_NS1_11comp_targetILNS1_3genE10ELNS1_11target_archE1201ELNS1_3gpuE5ELNS1_3repE0EEENS1_47radix_sort_onesweep_sort_config_static_selectorELNS0_4arch9wavefront6targetE1EEEvSE_
                                        ; -- End function
	.section	.AMDGPU.csdata,"",@progbits
; Kernel info:
; codeLenInByte = 0
; NumSgprs: 4
; NumVgprs: 0
; NumAgprs: 0
; TotalNumVgprs: 0
; ScratchSize: 0
; MemoryBound: 0
; FloatMode: 240
; IeeeMode: 1
; LDSByteSize: 0 bytes/workgroup (compile time only)
; SGPRBlocks: 0
; VGPRBlocks: 0
; NumSGPRsForWavesPerEU: 4
; NumVGPRsForWavesPerEU: 1
; AccumOffset: 4
; Occupancy: 8
; WaveLimiterHint : 0
; COMPUTE_PGM_RSRC2:SCRATCH_EN: 0
; COMPUTE_PGM_RSRC2:USER_SGPR: 6
; COMPUTE_PGM_RSRC2:TRAP_HANDLER: 0
; COMPUTE_PGM_RSRC2:TGID_X_EN: 1
; COMPUTE_PGM_RSRC2:TGID_Y_EN: 0
; COMPUTE_PGM_RSRC2:TGID_Z_EN: 0
; COMPUTE_PGM_RSRC2:TIDIG_COMP_CNT: 0
; COMPUTE_PGM_RSRC3_GFX90A:ACCUM_OFFSET: 0
; COMPUTE_PGM_RSRC3_GFX90A:TG_SPLIT: 0
	.section	.text._ZN7rocprim17ROCPRIM_400000_NS6detail17trampoline_kernelINS0_14default_configENS1_35radix_sort_onesweep_config_selectorIsNS0_10empty_typeEEEZZNS1_29radix_sort_onesweep_iterationIS3_Lb0EPsS8_PS5_S9_mNS0_19identity_decomposerENS1_16block_id_wrapperIjLb1EEEEE10hipError_tT1_PNSt15iterator_traitsISE_E10value_typeET2_T3_PNSF_ISK_E10value_typeET4_T5_PSP_SQ_PNS1_23onesweep_lookback_stateEbbT6_jjT7_P12ihipStream_tbENKUlT_T0_SE_SJ_E_clIS8_S8_S9_S9_EEDaSX_SY_SE_SJ_EUlSX_E_NS1_11comp_targetILNS1_3genE9ELNS1_11target_archE1100ELNS1_3gpuE3ELNS1_3repE0EEENS1_47radix_sort_onesweep_sort_config_static_selectorELNS0_4arch9wavefront6targetE1EEEvSE_,"axG",@progbits,_ZN7rocprim17ROCPRIM_400000_NS6detail17trampoline_kernelINS0_14default_configENS1_35radix_sort_onesweep_config_selectorIsNS0_10empty_typeEEEZZNS1_29radix_sort_onesweep_iterationIS3_Lb0EPsS8_PS5_S9_mNS0_19identity_decomposerENS1_16block_id_wrapperIjLb1EEEEE10hipError_tT1_PNSt15iterator_traitsISE_E10value_typeET2_T3_PNSF_ISK_E10value_typeET4_T5_PSP_SQ_PNS1_23onesweep_lookback_stateEbbT6_jjT7_P12ihipStream_tbENKUlT_T0_SE_SJ_E_clIS8_S8_S9_S9_EEDaSX_SY_SE_SJ_EUlSX_E_NS1_11comp_targetILNS1_3genE9ELNS1_11target_archE1100ELNS1_3gpuE3ELNS1_3repE0EEENS1_47radix_sort_onesweep_sort_config_static_selectorELNS0_4arch9wavefront6targetE1EEEvSE_,comdat
	.protected	_ZN7rocprim17ROCPRIM_400000_NS6detail17trampoline_kernelINS0_14default_configENS1_35radix_sort_onesweep_config_selectorIsNS0_10empty_typeEEEZZNS1_29radix_sort_onesweep_iterationIS3_Lb0EPsS8_PS5_S9_mNS0_19identity_decomposerENS1_16block_id_wrapperIjLb1EEEEE10hipError_tT1_PNSt15iterator_traitsISE_E10value_typeET2_T3_PNSF_ISK_E10value_typeET4_T5_PSP_SQ_PNS1_23onesweep_lookback_stateEbbT6_jjT7_P12ihipStream_tbENKUlT_T0_SE_SJ_E_clIS8_S8_S9_S9_EEDaSX_SY_SE_SJ_EUlSX_E_NS1_11comp_targetILNS1_3genE9ELNS1_11target_archE1100ELNS1_3gpuE3ELNS1_3repE0EEENS1_47radix_sort_onesweep_sort_config_static_selectorELNS0_4arch9wavefront6targetE1EEEvSE_ ; -- Begin function _ZN7rocprim17ROCPRIM_400000_NS6detail17trampoline_kernelINS0_14default_configENS1_35radix_sort_onesweep_config_selectorIsNS0_10empty_typeEEEZZNS1_29radix_sort_onesweep_iterationIS3_Lb0EPsS8_PS5_S9_mNS0_19identity_decomposerENS1_16block_id_wrapperIjLb1EEEEE10hipError_tT1_PNSt15iterator_traitsISE_E10value_typeET2_T3_PNSF_ISK_E10value_typeET4_T5_PSP_SQ_PNS1_23onesweep_lookback_stateEbbT6_jjT7_P12ihipStream_tbENKUlT_T0_SE_SJ_E_clIS8_S8_S9_S9_EEDaSX_SY_SE_SJ_EUlSX_E_NS1_11comp_targetILNS1_3genE9ELNS1_11target_archE1100ELNS1_3gpuE3ELNS1_3repE0EEENS1_47radix_sort_onesweep_sort_config_static_selectorELNS0_4arch9wavefront6targetE1EEEvSE_
	.globl	_ZN7rocprim17ROCPRIM_400000_NS6detail17trampoline_kernelINS0_14default_configENS1_35radix_sort_onesweep_config_selectorIsNS0_10empty_typeEEEZZNS1_29radix_sort_onesweep_iterationIS3_Lb0EPsS8_PS5_S9_mNS0_19identity_decomposerENS1_16block_id_wrapperIjLb1EEEEE10hipError_tT1_PNSt15iterator_traitsISE_E10value_typeET2_T3_PNSF_ISK_E10value_typeET4_T5_PSP_SQ_PNS1_23onesweep_lookback_stateEbbT6_jjT7_P12ihipStream_tbENKUlT_T0_SE_SJ_E_clIS8_S8_S9_S9_EEDaSX_SY_SE_SJ_EUlSX_E_NS1_11comp_targetILNS1_3genE9ELNS1_11target_archE1100ELNS1_3gpuE3ELNS1_3repE0EEENS1_47radix_sort_onesweep_sort_config_static_selectorELNS0_4arch9wavefront6targetE1EEEvSE_
	.p2align	8
	.type	_ZN7rocprim17ROCPRIM_400000_NS6detail17trampoline_kernelINS0_14default_configENS1_35radix_sort_onesweep_config_selectorIsNS0_10empty_typeEEEZZNS1_29radix_sort_onesweep_iterationIS3_Lb0EPsS8_PS5_S9_mNS0_19identity_decomposerENS1_16block_id_wrapperIjLb1EEEEE10hipError_tT1_PNSt15iterator_traitsISE_E10value_typeET2_T3_PNSF_ISK_E10value_typeET4_T5_PSP_SQ_PNS1_23onesweep_lookback_stateEbbT6_jjT7_P12ihipStream_tbENKUlT_T0_SE_SJ_E_clIS8_S8_S9_S9_EEDaSX_SY_SE_SJ_EUlSX_E_NS1_11comp_targetILNS1_3genE9ELNS1_11target_archE1100ELNS1_3gpuE3ELNS1_3repE0EEENS1_47radix_sort_onesweep_sort_config_static_selectorELNS0_4arch9wavefront6targetE1EEEvSE_,@function
_ZN7rocprim17ROCPRIM_400000_NS6detail17trampoline_kernelINS0_14default_configENS1_35radix_sort_onesweep_config_selectorIsNS0_10empty_typeEEEZZNS1_29radix_sort_onesweep_iterationIS3_Lb0EPsS8_PS5_S9_mNS0_19identity_decomposerENS1_16block_id_wrapperIjLb1EEEEE10hipError_tT1_PNSt15iterator_traitsISE_E10value_typeET2_T3_PNSF_ISK_E10value_typeET4_T5_PSP_SQ_PNS1_23onesweep_lookback_stateEbbT6_jjT7_P12ihipStream_tbENKUlT_T0_SE_SJ_E_clIS8_S8_S9_S9_EEDaSX_SY_SE_SJ_EUlSX_E_NS1_11comp_targetILNS1_3genE9ELNS1_11target_archE1100ELNS1_3gpuE3ELNS1_3repE0EEENS1_47radix_sort_onesweep_sort_config_static_selectorELNS0_4arch9wavefront6targetE1EEEvSE_: ; @_ZN7rocprim17ROCPRIM_400000_NS6detail17trampoline_kernelINS0_14default_configENS1_35radix_sort_onesweep_config_selectorIsNS0_10empty_typeEEEZZNS1_29radix_sort_onesweep_iterationIS3_Lb0EPsS8_PS5_S9_mNS0_19identity_decomposerENS1_16block_id_wrapperIjLb1EEEEE10hipError_tT1_PNSt15iterator_traitsISE_E10value_typeET2_T3_PNSF_ISK_E10value_typeET4_T5_PSP_SQ_PNS1_23onesweep_lookback_stateEbbT6_jjT7_P12ihipStream_tbENKUlT_T0_SE_SJ_E_clIS8_S8_S9_S9_EEDaSX_SY_SE_SJ_EUlSX_E_NS1_11comp_targetILNS1_3genE9ELNS1_11target_archE1100ELNS1_3gpuE3ELNS1_3repE0EEENS1_47radix_sort_onesweep_sort_config_static_selectorELNS0_4arch9wavefront6targetE1EEEvSE_
; %bb.0:
	.section	.rodata,"a",@progbits
	.p2align	6, 0x0
	.amdhsa_kernel _ZN7rocprim17ROCPRIM_400000_NS6detail17trampoline_kernelINS0_14default_configENS1_35radix_sort_onesweep_config_selectorIsNS0_10empty_typeEEEZZNS1_29radix_sort_onesweep_iterationIS3_Lb0EPsS8_PS5_S9_mNS0_19identity_decomposerENS1_16block_id_wrapperIjLb1EEEEE10hipError_tT1_PNSt15iterator_traitsISE_E10value_typeET2_T3_PNSF_ISK_E10value_typeET4_T5_PSP_SQ_PNS1_23onesweep_lookback_stateEbbT6_jjT7_P12ihipStream_tbENKUlT_T0_SE_SJ_E_clIS8_S8_S9_S9_EEDaSX_SY_SE_SJ_EUlSX_E_NS1_11comp_targetILNS1_3genE9ELNS1_11target_archE1100ELNS1_3gpuE3ELNS1_3repE0EEENS1_47radix_sort_onesweep_sort_config_static_selectorELNS0_4arch9wavefront6targetE1EEEvSE_
		.amdhsa_group_segment_fixed_size 0
		.amdhsa_private_segment_fixed_size 0
		.amdhsa_kernarg_size 88
		.amdhsa_user_sgpr_count 6
		.amdhsa_user_sgpr_private_segment_buffer 1
		.amdhsa_user_sgpr_dispatch_ptr 0
		.amdhsa_user_sgpr_queue_ptr 0
		.amdhsa_user_sgpr_kernarg_segment_ptr 1
		.amdhsa_user_sgpr_dispatch_id 0
		.amdhsa_user_sgpr_flat_scratch_init 0
		.amdhsa_user_sgpr_kernarg_preload_length 0
		.amdhsa_user_sgpr_kernarg_preload_offset 0
		.amdhsa_user_sgpr_private_segment_size 0
		.amdhsa_uses_dynamic_stack 0
		.amdhsa_system_sgpr_private_segment_wavefront_offset 0
		.amdhsa_system_sgpr_workgroup_id_x 1
		.amdhsa_system_sgpr_workgroup_id_y 0
		.amdhsa_system_sgpr_workgroup_id_z 0
		.amdhsa_system_sgpr_workgroup_info 0
		.amdhsa_system_vgpr_workitem_id 0
		.amdhsa_next_free_vgpr 1
		.amdhsa_next_free_sgpr 0
		.amdhsa_accum_offset 4
		.amdhsa_reserve_vcc 0
		.amdhsa_reserve_flat_scratch 0
		.amdhsa_float_round_mode_32 0
		.amdhsa_float_round_mode_16_64 0
		.amdhsa_float_denorm_mode_32 3
		.amdhsa_float_denorm_mode_16_64 3
		.amdhsa_dx10_clamp 1
		.amdhsa_ieee_mode 1
		.amdhsa_fp16_overflow 0
		.amdhsa_tg_split 0
		.amdhsa_exception_fp_ieee_invalid_op 0
		.amdhsa_exception_fp_denorm_src 0
		.amdhsa_exception_fp_ieee_div_zero 0
		.amdhsa_exception_fp_ieee_overflow 0
		.amdhsa_exception_fp_ieee_underflow 0
		.amdhsa_exception_fp_ieee_inexact 0
		.amdhsa_exception_int_div_zero 0
	.end_amdhsa_kernel
	.section	.text._ZN7rocprim17ROCPRIM_400000_NS6detail17trampoline_kernelINS0_14default_configENS1_35radix_sort_onesweep_config_selectorIsNS0_10empty_typeEEEZZNS1_29radix_sort_onesweep_iterationIS3_Lb0EPsS8_PS5_S9_mNS0_19identity_decomposerENS1_16block_id_wrapperIjLb1EEEEE10hipError_tT1_PNSt15iterator_traitsISE_E10value_typeET2_T3_PNSF_ISK_E10value_typeET4_T5_PSP_SQ_PNS1_23onesweep_lookback_stateEbbT6_jjT7_P12ihipStream_tbENKUlT_T0_SE_SJ_E_clIS8_S8_S9_S9_EEDaSX_SY_SE_SJ_EUlSX_E_NS1_11comp_targetILNS1_3genE9ELNS1_11target_archE1100ELNS1_3gpuE3ELNS1_3repE0EEENS1_47radix_sort_onesweep_sort_config_static_selectorELNS0_4arch9wavefront6targetE1EEEvSE_,"axG",@progbits,_ZN7rocprim17ROCPRIM_400000_NS6detail17trampoline_kernelINS0_14default_configENS1_35radix_sort_onesweep_config_selectorIsNS0_10empty_typeEEEZZNS1_29radix_sort_onesweep_iterationIS3_Lb0EPsS8_PS5_S9_mNS0_19identity_decomposerENS1_16block_id_wrapperIjLb1EEEEE10hipError_tT1_PNSt15iterator_traitsISE_E10value_typeET2_T3_PNSF_ISK_E10value_typeET4_T5_PSP_SQ_PNS1_23onesweep_lookback_stateEbbT6_jjT7_P12ihipStream_tbENKUlT_T0_SE_SJ_E_clIS8_S8_S9_S9_EEDaSX_SY_SE_SJ_EUlSX_E_NS1_11comp_targetILNS1_3genE9ELNS1_11target_archE1100ELNS1_3gpuE3ELNS1_3repE0EEENS1_47radix_sort_onesweep_sort_config_static_selectorELNS0_4arch9wavefront6targetE1EEEvSE_,comdat
.Lfunc_end437:
	.size	_ZN7rocprim17ROCPRIM_400000_NS6detail17trampoline_kernelINS0_14default_configENS1_35radix_sort_onesweep_config_selectorIsNS0_10empty_typeEEEZZNS1_29radix_sort_onesweep_iterationIS3_Lb0EPsS8_PS5_S9_mNS0_19identity_decomposerENS1_16block_id_wrapperIjLb1EEEEE10hipError_tT1_PNSt15iterator_traitsISE_E10value_typeET2_T3_PNSF_ISK_E10value_typeET4_T5_PSP_SQ_PNS1_23onesweep_lookback_stateEbbT6_jjT7_P12ihipStream_tbENKUlT_T0_SE_SJ_E_clIS8_S8_S9_S9_EEDaSX_SY_SE_SJ_EUlSX_E_NS1_11comp_targetILNS1_3genE9ELNS1_11target_archE1100ELNS1_3gpuE3ELNS1_3repE0EEENS1_47radix_sort_onesweep_sort_config_static_selectorELNS0_4arch9wavefront6targetE1EEEvSE_, .Lfunc_end437-_ZN7rocprim17ROCPRIM_400000_NS6detail17trampoline_kernelINS0_14default_configENS1_35radix_sort_onesweep_config_selectorIsNS0_10empty_typeEEEZZNS1_29radix_sort_onesweep_iterationIS3_Lb0EPsS8_PS5_S9_mNS0_19identity_decomposerENS1_16block_id_wrapperIjLb1EEEEE10hipError_tT1_PNSt15iterator_traitsISE_E10value_typeET2_T3_PNSF_ISK_E10value_typeET4_T5_PSP_SQ_PNS1_23onesweep_lookback_stateEbbT6_jjT7_P12ihipStream_tbENKUlT_T0_SE_SJ_E_clIS8_S8_S9_S9_EEDaSX_SY_SE_SJ_EUlSX_E_NS1_11comp_targetILNS1_3genE9ELNS1_11target_archE1100ELNS1_3gpuE3ELNS1_3repE0EEENS1_47radix_sort_onesweep_sort_config_static_selectorELNS0_4arch9wavefront6targetE1EEEvSE_
                                        ; -- End function
	.section	.AMDGPU.csdata,"",@progbits
; Kernel info:
; codeLenInByte = 0
; NumSgprs: 4
; NumVgprs: 0
; NumAgprs: 0
; TotalNumVgprs: 0
; ScratchSize: 0
; MemoryBound: 0
; FloatMode: 240
; IeeeMode: 1
; LDSByteSize: 0 bytes/workgroup (compile time only)
; SGPRBlocks: 0
; VGPRBlocks: 0
; NumSGPRsForWavesPerEU: 4
; NumVGPRsForWavesPerEU: 1
; AccumOffset: 4
; Occupancy: 8
; WaveLimiterHint : 0
; COMPUTE_PGM_RSRC2:SCRATCH_EN: 0
; COMPUTE_PGM_RSRC2:USER_SGPR: 6
; COMPUTE_PGM_RSRC2:TRAP_HANDLER: 0
; COMPUTE_PGM_RSRC2:TGID_X_EN: 1
; COMPUTE_PGM_RSRC2:TGID_Y_EN: 0
; COMPUTE_PGM_RSRC2:TGID_Z_EN: 0
; COMPUTE_PGM_RSRC2:TIDIG_COMP_CNT: 0
; COMPUTE_PGM_RSRC3_GFX90A:ACCUM_OFFSET: 0
; COMPUTE_PGM_RSRC3_GFX90A:TG_SPLIT: 0
	.section	.text._ZN7rocprim17ROCPRIM_400000_NS6detail17trampoline_kernelINS0_14default_configENS1_35radix_sort_onesweep_config_selectorIsNS0_10empty_typeEEEZZNS1_29radix_sort_onesweep_iterationIS3_Lb0EPsS8_PS5_S9_mNS0_19identity_decomposerENS1_16block_id_wrapperIjLb1EEEEE10hipError_tT1_PNSt15iterator_traitsISE_E10value_typeET2_T3_PNSF_ISK_E10value_typeET4_T5_PSP_SQ_PNS1_23onesweep_lookback_stateEbbT6_jjT7_P12ihipStream_tbENKUlT_T0_SE_SJ_E_clIS8_S8_S9_S9_EEDaSX_SY_SE_SJ_EUlSX_E_NS1_11comp_targetILNS1_3genE8ELNS1_11target_archE1030ELNS1_3gpuE2ELNS1_3repE0EEENS1_47radix_sort_onesweep_sort_config_static_selectorELNS0_4arch9wavefront6targetE1EEEvSE_,"axG",@progbits,_ZN7rocprim17ROCPRIM_400000_NS6detail17trampoline_kernelINS0_14default_configENS1_35radix_sort_onesweep_config_selectorIsNS0_10empty_typeEEEZZNS1_29radix_sort_onesweep_iterationIS3_Lb0EPsS8_PS5_S9_mNS0_19identity_decomposerENS1_16block_id_wrapperIjLb1EEEEE10hipError_tT1_PNSt15iterator_traitsISE_E10value_typeET2_T3_PNSF_ISK_E10value_typeET4_T5_PSP_SQ_PNS1_23onesweep_lookback_stateEbbT6_jjT7_P12ihipStream_tbENKUlT_T0_SE_SJ_E_clIS8_S8_S9_S9_EEDaSX_SY_SE_SJ_EUlSX_E_NS1_11comp_targetILNS1_3genE8ELNS1_11target_archE1030ELNS1_3gpuE2ELNS1_3repE0EEENS1_47radix_sort_onesweep_sort_config_static_selectorELNS0_4arch9wavefront6targetE1EEEvSE_,comdat
	.protected	_ZN7rocprim17ROCPRIM_400000_NS6detail17trampoline_kernelINS0_14default_configENS1_35radix_sort_onesweep_config_selectorIsNS0_10empty_typeEEEZZNS1_29radix_sort_onesweep_iterationIS3_Lb0EPsS8_PS5_S9_mNS0_19identity_decomposerENS1_16block_id_wrapperIjLb1EEEEE10hipError_tT1_PNSt15iterator_traitsISE_E10value_typeET2_T3_PNSF_ISK_E10value_typeET4_T5_PSP_SQ_PNS1_23onesweep_lookback_stateEbbT6_jjT7_P12ihipStream_tbENKUlT_T0_SE_SJ_E_clIS8_S8_S9_S9_EEDaSX_SY_SE_SJ_EUlSX_E_NS1_11comp_targetILNS1_3genE8ELNS1_11target_archE1030ELNS1_3gpuE2ELNS1_3repE0EEENS1_47radix_sort_onesweep_sort_config_static_selectorELNS0_4arch9wavefront6targetE1EEEvSE_ ; -- Begin function _ZN7rocprim17ROCPRIM_400000_NS6detail17trampoline_kernelINS0_14default_configENS1_35radix_sort_onesweep_config_selectorIsNS0_10empty_typeEEEZZNS1_29radix_sort_onesweep_iterationIS3_Lb0EPsS8_PS5_S9_mNS0_19identity_decomposerENS1_16block_id_wrapperIjLb1EEEEE10hipError_tT1_PNSt15iterator_traitsISE_E10value_typeET2_T3_PNSF_ISK_E10value_typeET4_T5_PSP_SQ_PNS1_23onesweep_lookback_stateEbbT6_jjT7_P12ihipStream_tbENKUlT_T0_SE_SJ_E_clIS8_S8_S9_S9_EEDaSX_SY_SE_SJ_EUlSX_E_NS1_11comp_targetILNS1_3genE8ELNS1_11target_archE1030ELNS1_3gpuE2ELNS1_3repE0EEENS1_47radix_sort_onesweep_sort_config_static_selectorELNS0_4arch9wavefront6targetE1EEEvSE_
	.globl	_ZN7rocprim17ROCPRIM_400000_NS6detail17trampoline_kernelINS0_14default_configENS1_35radix_sort_onesweep_config_selectorIsNS0_10empty_typeEEEZZNS1_29radix_sort_onesweep_iterationIS3_Lb0EPsS8_PS5_S9_mNS0_19identity_decomposerENS1_16block_id_wrapperIjLb1EEEEE10hipError_tT1_PNSt15iterator_traitsISE_E10value_typeET2_T3_PNSF_ISK_E10value_typeET4_T5_PSP_SQ_PNS1_23onesweep_lookback_stateEbbT6_jjT7_P12ihipStream_tbENKUlT_T0_SE_SJ_E_clIS8_S8_S9_S9_EEDaSX_SY_SE_SJ_EUlSX_E_NS1_11comp_targetILNS1_3genE8ELNS1_11target_archE1030ELNS1_3gpuE2ELNS1_3repE0EEENS1_47radix_sort_onesweep_sort_config_static_selectorELNS0_4arch9wavefront6targetE1EEEvSE_
	.p2align	8
	.type	_ZN7rocprim17ROCPRIM_400000_NS6detail17trampoline_kernelINS0_14default_configENS1_35radix_sort_onesweep_config_selectorIsNS0_10empty_typeEEEZZNS1_29radix_sort_onesweep_iterationIS3_Lb0EPsS8_PS5_S9_mNS0_19identity_decomposerENS1_16block_id_wrapperIjLb1EEEEE10hipError_tT1_PNSt15iterator_traitsISE_E10value_typeET2_T3_PNSF_ISK_E10value_typeET4_T5_PSP_SQ_PNS1_23onesweep_lookback_stateEbbT6_jjT7_P12ihipStream_tbENKUlT_T0_SE_SJ_E_clIS8_S8_S9_S9_EEDaSX_SY_SE_SJ_EUlSX_E_NS1_11comp_targetILNS1_3genE8ELNS1_11target_archE1030ELNS1_3gpuE2ELNS1_3repE0EEENS1_47radix_sort_onesweep_sort_config_static_selectorELNS0_4arch9wavefront6targetE1EEEvSE_,@function
_ZN7rocprim17ROCPRIM_400000_NS6detail17trampoline_kernelINS0_14default_configENS1_35radix_sort_onesweep_config_selectorIsNS0_10empty_typeEEEZZNS1_29radix_sort_onesweep_iterationIS3_Lb0EPsS8_PS5_S9_mNS0_19identity_decomposerENS1_16block_id_wrapperIjLb1EEEEE10hipError_tT1_PNSt15iterator_traitsISE_E10value_typeET2_T3_PNSF_ISK_E10value_typeET4_T5_PSP_SQ_PNS1_23onesweep_lookback_stateEbbT6_jjT7_P12ihipStream_tbENKUlT_T0_SE_SJ_E_clIS8_S8_S9_S9_EEDaSX_SY_SE_SJ_EUlSX_E_NS1_11comp_targetILNS1_3genE8ELNS1_11target_archE1030ELNS1_3gpuE2ELNS1_3repE0EEENS1_47radix_sort_onesweep_sort_config_static_selectorELNS0_4arch9wavefront6targetE1EEEvSE_: ; @_ZN7rocprim17ROCPRIM_400000_NS6detail17trampoline_kernelINS0_14default_configENS1_35radix_sort_onesweep_config_selectorIsNS0_10empty_typeEEEZZNS1_29radix_sort_onesweep_iterationIS3_Lb0EPsS8_PS5_S9_mNS0_19identity_decomposerENS1_16block_id_wrapperIjLb1EEEEE10hipError_tT1_PNSt15iterator_traitsISE_E10value_typeET2_T3_PNSF_ISK_E10value_typeET4_T5_PSP_SQ_PNS1_23onesweep_lookback_stateEbbT6_jjT7_P12ihipStream_tbENKUlT_T0_SE_SJ_E_clIS8_S8_S9_S9_EEDaSX_SY_SE_SJ_EUlSX_E_NS1_11comp_targetILNS1_3genE8ELNS1_11target_archE1030ELNS1_3gpuE2ELNS1_3repE0EEENS1_47radix_sort_onesweep_sort_config_static_selectorELNS0_4arch9wavefront6targetE1EEEvSE_
; %bb.0:
	.section	.rodata,"a",@progbits
	.p2align	6, 0x0
	.amdhsa_kernel _ZN7rocprim17ROCPRIM_400000_NS6detail17trampoline_kernelINS0_14default_configENS1_35radix_sort_onesweep_config_selectorIsNS0_10empty_typeEEEZZNS1_29radix_sort_onesweep_iterationIS3_Lb0EPsS8_PS5_S9_mNS0_19identity_decomposerENS1_16block_id_wrapperIjLb1EEEEE10hipError_tT1_PNSt15iterator_traitsISE_E10value_typeET2_T3_PNSF_ISK_E10value_typeET4_T5_PSP_SQ_PNS1_23onesweep_lookback_stateEbbT6_jjT7_P12ihipStream_tbENKUlT_T0_SE_SJ_E_clIS8_S8_S9_S9_EEDaSX_SY_SE_SJ_EUlSX_E_NS1_11comp_targetILNS1_3genE8ELNS1_11target_archE1030ELNS1_3gpuE2ELNS1_3repE0EEENS1_47radix_sort_onesweep_sort_config_static_selectorELNS0_4arch9wavefront6targetE1EEEvSE_
		.amdhsa_group_segment_fixed_size 0
		.amdhsa_private_segment_fixed_size 0
		.amdhsa_kernarg_size 88
		.amdhsa_user_sgpr_count 6
		.amdhsa_user_sgpr_private_segment_buffer 1
		.amdhsa_user_sgpr_dispatch_ptr 0
		.amdhsa_user_sgpr_queue_ptr 0
		.amdhsa_user_sgpr_kernarg_segment_ptr 1
		.amdhsa_user_sgpr_dispatch_id 0
		.amdhsa_user_sgpr_flat_scratch_init 0
		.amdhsa_user_sgpr_kernarg_preload_length 0
		.amdhsa_user_sgpr_kernarg_preload_offset 0
		.amdhsa_user_sgpr_private_segment_size 0
		.amdhsa_uses_dynamic_stack 0
		.amdhsa_system_sgpr_private_segment_wavefront_offset 0
		.amdhsa_system_sgpr_workgroup_id_x 1
		.amdhsa_system_sgpr_workgroup_id_y 0
		.amdhsa_system_sgpr_workgroup_id_z 0
		.amdhsa_system_sgpr_workgroup_info 0
		.amdhsa_system_vgpr_workitem_id 0
		.amdhsa_next_free_vgpr 1
		.amdhsa_next_free_sgpr 0
		.amdhsa_accum_offset 4
		.amdhsa_reserve_vcc 0
		.amdhsa_reserve_flat_scratch 0
		.amdhsa_float_round_mode_32 0
		.amdhsa_float_round_mode_16_64 0
		.amdhsa_float_denorm_mode_32 3
		.amdhsa_float_denorm_mode_16_64 3
		.amdhsa_dx10_clamp 1
		.amdhsa_ieee_mode 1
		.amdhsa_fp16_overflow 0
		.amdhsa_tg_split 0
		.amdhsa_exception_fp_ieee_invalid_op 0
		.amdhsa_exception_fp_denorm_src 0
		.amdhsa_exception_fp_ieee_div_zero 0
		.amdhsa_exception_fp_ieee_overflow 0
		.amdhsa_exception_fp_ieee_underflow 0
		.amdhsa_exception_fp_ieee_inexact 0
		.amdhsa_exception_int_div_zero 0
	.end_amdhsa_kernel
	.section	.text._ZN7rocprim17ROCPRIM_400000_NS6detail17trampoline_kernelINS0_14default_configENS1_35radix_sort_onesweep_config_selectorIsNS0_10empty_typeEEEZZNS1_29radix_sort_onesweep_iterationIS3_Lb0EPsS8_PS5_S9_mNS0_19identity_decomposerENS1_16block_id_wrapperIjLb1EEEEE10hipError_tT1_PNSt15iterator_traitsISE_E10value_typeET2_T3_PNSF_ISK_E10value_typeET4_T5_PSP_SQ_PNS1_23onesweep_lookback_stateEbbT6_jjT7_P12ihipStream_tbENKUlT_T0_SE_SJ_E_clIS8_S8_S9_S9_EEDaSX_SY_SE_SJ_EUlSX_E_NS1_11comp_targetILNS1_3genE8ELNS1_11target_archE1030ELNS1_3gpuE2ELNS1_3repE0EEENS1_47radix_sort_onesweep_sort_config_static_selectorELNS0_4arch9wavefront6targetE1EEEvSE_,"axG",@progbits,_ZN7rocprim17ROCPRIM_400000_NS6detail17trampoline_kernelINS0_14default_configENS1_35radix_sort_onesweep_config_selectorIsNS0_10empty_typeEEEZZNS1_29radix_sort_onesweep_iterationIS3_Lb0EPsS8_PS5_S9_mNS0_19identity_decomposerENS1_16block_id_wrapperIjLb1EEEEE10hipError_tT1_PNSt15iterator_traitsISE_E10value_typeET2_T3_PNSF_ISK_E10value_typeET4_T5_PSP_SQ_PNS1_23onesweep_lookback_stateEbbT6_jjT7_P12ihipStream_tbENKUlT_T0_SE_SJ_E_clIS8_S8_S9_S9_EEDaSX_SY_SE_SJ_EUlSX_E_NS1_11comp_targetILNS1_3genE8ELNS1_11target_archE1030ELNS1_3gpuE2ELNS1_3repE0EEENS1_47radix_sort_onesweep_sort_config_static_selectorELNS0_4arch9wavefront6targetE1EEEvSE_,comdat
.Lfunc_end438:
	.size	_ZN7rocprim17ROCPRIM_400000_NS6detail17trampoline_kernelINS0_14default_configENS1_35radix_sort_onesweep_config_selectorIsNS0_10empty_typeEEEZZNS1_29radix_sort_onesweep_iterationIS3_Lb0EPsS8_PS5_S9_mNS0_19identity_decomposerENS1_16block_id_wrapperIjLb1EEEEE10hipError_tT1_PNSt15iterator_traitsISE_E10value_typeET2_T3_PNSF_ISK_E10value_typeET4_T5_PSP_SQ_PNS1_23onesweep_lookback_stateEbbT6_jjT7_P12ihipStream_tbENKUlT_T0_SE_SJ_E_clIS8_S8_S9_S9_EEDaSX_SY_SE_SJ_EUlSX_E_NS1_11comp_targetILNS1_3genE8ELNS1_11target_archE1030ELNS1_3gpuE2ELNS1_3repE0EEENS1_47radix_sort_onesweep_sort_config_static_selectorELNS0_4arch9wavefront6targetE1EEEvSE_, .Lfunc_end438-_ZN7rocprim17ROCPRIM_400000_NS6detail17trampoline_kernelINS0_14default_configENS1_35radix_sort_onesweep_config_selectorIsNS0_10empty_typeEEEZZNS1_29radix_sort_onesweep_iterationIS3_Lb0EPsS8_PS5_S9_mNS0_19identity_decomposerENS1_16block_id_wrapperIjLb1EEEEE10hipError_tT1_PNSt15iterator_traitsISE_E10value_typeET2_T3_PNSF_ISK_E10value_typeET4_T5_PSP_SQ_PNS1_23onesweep_lookback_stateEbbT6_jjT7_P12ihipStream_tbENKUlT_T0_SE_SJ_E_clIS8_S8_S9_S9_EEDaSX_SY_SE_SJ_EUlSX_E_NS1_11comp_targetILNS1_3genE8ELNS1_11target_archE1030ELNS1_3gpuE2ELNS1_3repE0EEENS1_47radix_sort_onesweep_sort_config_static_selectorELNS0_4arch9wavefront6targetE1EEEvSE_
                                        ; -- End function
	.section	.AMDGPU.csdata,"",@progbits
; Kernel info:
; codeLenInByte = 0
; NumSgprs: 4
; NumVgprs: 0
; NumAgprs: 0
; TotalNumVgprs: 0
; ScratchSize: 0
; MemoryBound: 0
; FloatMode: 240
; IeeeMode: 1
; LDSByteSize: 0 bytes/workgroup (compile time only)
; SGPRBlocks: 0
; VGPRBlocks: 0
; NumSGPRsForWavesPerEU: 4
; NumVGPRsForWavesPerEU: 1
; AccumOffset: 4
; Occupancy: 8
; WaveLimiterHint : 0
; COMPUTE_PGM_RSRC2:SCRATCH_EN: 0
; COMPUTE_PGM_RSRC2:USER_SGPR: 6
; COMPUTE_PGM_RSRC2:TRAP_HANDLER: 0
; COMPUTE_PGM_RSRC2:TGID_X_EN: 1
; COMPUTE_PGM_RSRC2:TGID_Y_EN: 0
; COMPUTE_PGM_RSRC2:TGID_Z_EN: 0
; COMPUTE_PGM_RSRC2:TIDIG_COMP_CNT: 0
; COMPUTE_PGM_RSRC3_GFX90A:ACCUM_OFFSET: 0
; COMPUTE_PGM_RSRC3_GFX90A:TG_SPLIT: 0
	.section	.text._ZN7rocprim17ROCPRIM_400000_NS6detail17trampoline_kernelINS0_14default_configENS1_35radix_sort_onesweep_config_selectorIsNS0_10empty_typeEEEZZNS1_29radix_sort_onesweep_iterationIS3_Lb0EPsS8_PS5_S9_mNS0_19identity_decomposerENS1_16block_id_wrapperIjLb0EEEEE10hipError_tT1_PNSt15iterator_traitsISE_E10value_typeET2_T3_PNSF_ISK_E10value_typeET4_T5_PSP_SQ_PNS1_23onesweep_lookback_stateEbbT6_jjT7_P12ihipStream_tbENKUlT_T0_SE_SJ_E_clIS8_S8_S9_S9_EEDaSX_SY_SE_SJ_EUlSX_E_NS1_11comp_targetILNS1_3genE0ELNS1_11target_archE4294967295ELNS1_3gpuE0ELNS1_3repE0EEENS1_47radix_sort_onesweep_sort_config_static_selectorELNS0_4arch9wavefront6targetE1EEEvSE_,"axG",@progbits,_ZN7rocprim17ROCPRIM_400000_NS6detail17trampoline_kernelINS0_14default_configENS1_35radix_sort_onesweep_config_selectorIsNS0_10empty_typeEEEZZNS1_29radix_sort_onesweep_iterationIS3_Lb0EPsS8_PS5_S9_mNS0_19identity_decomposerENS1_16block_id_wrapperIjLb0EEEEE10hipError_tT1_PNSt15iterator_traitsISE_E10value_typeET2_T3_PNSF_ISK_E10value_typeET4_T5_PSP_SQ_PNS1_23onesweep_lookback_stateEbbT6_jjT7_P12ihipStream_tbENKUlT_T0_SE_SJ_E_clIS8_S8_S9_S9_EEDaSX_SY_SE_SJ_EUlSX_E_NS1_11comp_targetILNS1_3genE0ELNS1_11target_archE4294967295ELNS1_3gpuE0ELNS1_3repE0EEENS1_47radix_sort_onesweep_sort_config_static_selectorELNS0_4arch9wavefront6targetE1EEEvSE_,comdat
	.protected	_ZN7rocprim17ROCPRIM_400000_NS6detail17trampoline_kernelINS0_14default_configENS1_35radix_sort_onesweep_config_selectorIsNS0_10empty_typeEEEZZNS1_29radix_sort_onesweep_iterationIS3_Lb0EPsS8_PS5_S9_mNS0_19identity_decomposerENS1_16block_id_wrapperIjLb0EEEEE10hipError_tT1_PNSt15iterator_traitsISE_E10value_typeET2_T3_PNSF_ISK_E10value_typeET4_T5_PSP_SQ_PNS1_23onesweep_lookback_stateEbbT6_jjT7_P12ihipStream_tbENKUlT_T0_SE_SJ_E_clIS8_S8_S9_S9_EEDaSX_SY_SE_SJ_EUlSX_E_NS1_11comp_targetILNS1_3genE0ELNS1_11target_archE4294967295ELNS1_3gpuE0ELNS1_3repE0EEENS1_47radix_sort_onesweep_sort_config_static_selectorELNS0_4arch9wavefront6targetE1EEEvSE_ ; -- Begin function _ZN7rocprim17ROCPRIM_400000_NS6detail17trampoline_kernelINS0_14default_configENS1_35radix_sort_onesweep_config_selectorIsNS0_10empty_typeEEEZZNS1_29radix_sort_onesweep_iterationIS3_Lb0EPsS8_PS5_S9_mNS0_19identity_decomposerENS1_16block_id_wrapperIjLb0EEEEE10hipError_tT1_PNSt15iterator_traitsISE_E10value_typeET2_T3_PNSF_ISK_E10value_typeET4_T5_PSP_SQ_PNS1_23onesweep_lookback_stateEbbT6_jjT7_P12ihipStream_tbENKUlT_T0_SE_SJ_E_clIS8_S8_S9_S9_EEDaSX_SY_SE_SJ_EUlSX_E_NS1_11comp_targetILNS1_3genE0ELNS1_11target_archE4294967295ELNS1_3gpuE0ELNS1_3repE0EEENS1_47radix_sort_onesweep_sort_config_static_selectorELNS0_4arch9wavefront6targetE1EEEvSE_
	.globl	_ZN7rocprim17ROCPRIM_400000_NS6detail17trampoline_kernelINS0_14default_configENS1_35radix_sort_onesweep_config_selectorIsNS0_10empty_typeEEEZZNS1_29radix_sort_onesweep_iterationIS3_Lb0EPsS8_PS5_S9_mNS0_19identity_decomposerENS1_16block_id_wrapperIjLb0EEEEE10hipError_tT1_PNSt15iterator_traitsISE_E10value_typeET2_T3_PNSF_ISK_E10value_typeET4_T5_PSP_SQ_PNS1_23onesweep_lookback_stateEbbT6_jjT7_P12ihipStream_tbENKUlT_T0_SE_SJ_E_clIS8_S8_S9_S9_EEDaSX_SY_SE_SJ_EUlSX_E_NS1_11comp_targetILNS1_3genE0ELNS1_11target_archE4294967295ELNS1_3gpuE0ELNS1_3repE0EEENS1_47radix_sort_onesweep_sort_config_static_selectorELNS0_4arch9wavefront6targetE1EEEvSE_
	.p2align	8
	.type	_ZN7rocprim17ROCPRIM_400000_NS6detail17trampoline_kernelINS0_14default_configENS1_35radix_sort_onesweep_config_selectorIsNS0_10empty_typeEEEZZNS1_29radix_sort_onesweep_iterationIS3_Lb0EPsS8_PS5_S9_mNS0_19identity_decomposerENS1_16block_id_wrapperIjLb0EEEEE10hipError_tT1_PNSt15iterator_traitsISE_E10value_typeET2_T3_PNSF_ISK_E10value_typeET4_T5_PSP_SQ_PNS1_23onesweep_lookback_stateEbbT6_jjT7_P12ihipStream_tbENKUlT_T0_SE_SJ_E_clIS8_S8_S9_S9_EEDaSX_SY_SE_SJ_EUlSX_E_NS1_11comp_targetILNS1_3genE0ELNS1_11target_archE4294967295ELNS1_3gpuE0ELNS1_3repE0EEENS1_47radix_sort_onesweep_sort_config_static_selectorELNS0_4arch9wavefront6targetE1EEEvSE_,@function
_ZN7rocprim17ROCPRIM_400000_NS6detail17trampoline_kernelINS0_14default_configENS1_35radix_sort_onesweep_config_selectorIsNS0_10empty_typeEEEZZNS1_29radix_sort_onesweep_iterationIS3_Lb0EPsS8_PS5_S9_mNS0_19identity_decomposerENS1_16block_id_wrapperIjLb0EEEEE10hipError_tT1_PNSt15iterator_traitsISE_E10value_typeET2_T3_PNSF_ISK_E10value_typeET4_T5_PSP_SQ_PNS1_23onesweep_lookback_stateEbbT6_jjT7_P12ihipStream_tbENKUlT_T0_SE_SJ_E_clIS8_S8_S9_S9_EEDaSX_SY_SE_SJ_EUlSX_E_NS1_11comp_targetILNS1_3genE0ELNS1_11target_archE4294967295ELNS1_3gpuE0ELNS1_3repE0EEENS1_47radix_sort_onesweep_sort_config_static_selectorELNS0_4arch9wavefront6targetE1EEEvSE_: ; @_ZN7rocprim17ROCPRIM_400000_NS6detail17trampoline_kernelINS0_14default_configENS1_35radix_sort_onesweep_config_selectorIsNS0_10empty_typeEEEZZNS1_29radix_sort_onesweep_iterationIS3_Lb0EPsS8_PS5_S9_mNS0_19identity_decomposerENS1_16block_id_wrapperIjLb0EEEEE10hipError_tT1_PNSt15iterator_traitsISE_E10value_typeET2_T3_PNSF_ISK_E10value_typeET4_T5_PSP_SQ_PNS1_23onesweep_lookback_stateEbbT6_jjT7_P12ihipStream_tbENKUlT_T0_SE_SJ_E_clIS8_S8_S9_S9_EEDaSX_SY_SE_SJ_EUlSX_E_NS1_11comp_targetILNS1_3genE0ELNS1_11target_archE4294967295ELNS1_3gpuE0ELNS1_3repE0EEENS1_47radix_sort_onesweep_sort_config_static_selectorELNS0_4arch9wavefront6targetE1EEEvSE_
; %bb.0:
	.section	.rodata,"a",@progbits
	.p2align	6, 0x0
	.amdhsa_kernel _ZN7rocprim17ROCPRIM_400000_NS6detail17trampoline_kernelINS0_14default_configENS1_35radix_sort_onesweep_config_selectorIsNS0_10empty_typeEEEZZNS1_29radix_sort_onesweep_iterationIS3_Lb0EPsS8_PS5_S9_mNS0_19identity_decomposerENS1_16block_id_wrapperIjLb0EEEEE10hipError_tT1_PNSt15iterator_traitsISE_E10value_typeET2_T3_PNSF_ISK_E10value_typeET4_T5_PSP_SQ_PNS1_23onesweep_lookback_stateEbbT6_jjT7_P12ihipStream_tbENKUlT_T0_SE_SJ_E_clIS8_S8_S9_S9_EEDaSX_SY_SE_SJ_EUlSX_E_NS1_11comp_targetILNS1_3genE0ELNS1_11target_archE4294967295ELNS1_3gpuE0ELNS1_3repE0EEENS1_47radix_sort_onesweep_sort_config_static_selectorELNS0_4arch9wavefront6targetE1EEEvSE_
		.amdhsa_group_segment_fixed_size 0
		.amdhsa_private_segment_fixed_size 0
		.amdhsa_kernarg_size 88
		.amdhsa_user_sgpr_count 6
		.amdhsa_user_sgpr_private_segment_buffer 1
		.amdhsa_user_sgpr_dispatch_ptr 0
		.amdhsa_user_sgpr_queue_ptr 0
		.amdhsa_user_sgpr_kernarg_segment_ptr 1
		.amdhsa_user_sgpr_dispatch_id 0
		.amdhsa_user_sgpr_flat_scratch_init 0
		.amdhsa_user_sgpr_kernarg_preload_length 0
		.amdhsa_user_sgpr_kernarg_preload_offset 0
		.amdhsa_user_sgpr_private_segment_size 0
		.amdhsa_uses_dynamic_stack 0
		.amdhsa_system_sgpr_private_segment_wavefront_offset 0
		.amdhsa_system_sgpr_workgroup_id_x 1
		.amdhsa_system_sgpr_workgroup_id_y 0
		.amdhsa_system_sgpr_workgroup_id_z 0
		.amdhsa_system_sgpr_workgroup_info 0
		.amdhsa_system_vgpr_workitem_id 0
		.amdhsa_next_free_vgpr 1
		.amdhsa_next_free_sgpr 0
		.amdhsa_accum_offset 4
		.amdhsa_reserve_vcc 0
		.amdhsa_reserve_flat_scratch 0
		.amdhsa_float_round_mode_32 0
		.amdhsa_float_round_mode_16_64 0
		.amdhsa_float_denorm_mode_32 3
		.amdhsa_float_denorm_mode_16_64 3
		.amdhsa_dx10_clamp 1
		.amdhsa_ieee_mode 1
		.amdhsa_fp16_overflow 0
		.amdhsa_tg_split 0
		.amdhsa_exception_fp_ieee_invalid_op 0
		.amdhsa_exception_fp_denorm_src 0
		.amdhsa_exception_fp_ieee_div_zero 0
		.amdhsa_exception_fp_ieee_overflow 0
		.amdhsa_exception_fp_ieee_underflow 0
		.amdhsa_exception_fp_ieee_inexact 0
		.amdhsa_exception_int_div_zero 0
	.end_amdhsa_kernel
	.section	.text._ZN7rocprim17ROCPRIM_400000_NS6detail17trampoline_kernelINS0_14default_configENS1_35radix_sort_onesweep_config_selectorIsNS0_10empty_typeEEEZZNS1_29radix_sort_onesweep_iterationIS3_Lb0EPsS8_PS5_S9_mNS0_19identity_decomposerENS1_16block_id_wrapperIjLb0EEEEE10hipError_tT1_PNSt15iterator_traitsISE_E10value_typeET2_T3_PNSF_ISK_E10value_typeET4_T5_PSP_SQ_PNS1_23onesweep_lookback_stateEbbT6_jjT7_P12ihipStream_tbENKUlT_T0_SE_SJ_E_clIS8_S8_S9_S9_EEDaSX_SY_SE_SJ_EUlSX_E_NS1_11comp_targetILNS1_3genE0ELNS1_11target_archE4294967295ELNS1_3gpuE0ELNS1_3repE0EEENS1_47radix_sort_onesweep_sort_config_static_selectorELNS0_4arch9wavefront6targetE1EEEvSE_,"axG",@progbits,_ZN7rocprim17ROCPRIM_400000_NS6detail17trampoline_kernelINS0_14default_configENS1_35radix_sort_onesweep_config_selectorIsNS0_10empty_typeEEEZZNS1_29radix_sort_onesweep_iterationIS3_Lb0EPsS8_PS5_S9_mNS0_19identity_decomposerENS1_16block_id_wrapperIjLb0EEEEE10hipError_tT1_PNSt15iterator_traitsISE_E10value_typeET2_T3_PNSF_ISK_E10value_typeET4_T5_PSP_SQ_PNS1_23onesweep_lookback_stateEbbT6_jjT7_P12ihipStream_tbENKUlT_T0_SE_SJ_E_clIS8_S8_S9_S9_EEDaSX_SY_SE_SJ_EUlSX_E_NS1_11comp_targetILNS1_3genE0ELNS1_11target_archE4294967295ELNS1_3gpuE0ELNS1_3repE0EEENS1_47radix_sort_onesweep_sort_config_static_selectorELNS0_4arch9wavefront6targetE1EEEvSE_,comdat
.Lfunc_end439:
	.size	_ZN7rocprim17ROCPRIM_400000_NS6detail17trampoline_kernelINS0_14default_configENS1_35radix_sort_onesweep_config_selectorIsNS0_10empty_typeEEEZZNS1_29radix_sort_onesweep_iterationIS3_Lb0EPsS8_PS5_S9_mNS0_19identity_decomposerENS1_16block_id_wrapperIjLb0EEEEE10hipError_tT1_PNSt15iterator_traitsISE_E10value_typeET2_T3_PNSF_ISK_E10value_typeET4_T5_PSP_SQ_PNS1_23onesweep_lookback_stateEbbT6_jjT7_P12ihipStream_tbENKUlT_T0_SE_SJ_E_clIS8_S8_S9_S9_EEDaSX_SY_SE_SJ_EUlSX_E_NS1_11comp_targetILNS1_3genE0ELNS1_11target_archE4294967295ELNS1_3gpuE0ELNS1_3repE0EEENS1_47radix_sort_onesweep_sort_config_static_selectorELNS0_4arch9wavefront6targetE1EEEvSE_, .Lfunc_end439-_ZN7rocprim17ROCPRIM_400000_NS6detail17trampoline_kernelINS0_14default_configENS1_35radix_sort_onesweep_config_selectorIsNS0_10empty_typeEEEZZNS1_29radix_sort_onesweep_iterationIS3_Lb0EPsS8_PS5_S9_mNS0_19identity_decomposerENS1_16block_id_wrapperIjLb0EEEEE10hipError_tT1_PNSt15iterator_traitsISE_E10value_typeET2_T3_PNSF_ISK_E10value_typeET4_T5_PSP_SQ_PNS1_23onesweep_lookback_stateEbbT6_jjT7_P12ihipStream_tbENKUlT_T0_SE_SJ_E_clIS8_S8_S9_S9_EEDaSX_SY_SE_SJ_EUlSX_E_NS1_11comp_targetILNS1_3genE0ELNS1_11target_archE4294967295ELNS1_3gpuE0ELNS1_3repE0EEENS1_47radix_sort_onesweep_sort_config_static_selectorELNS0_4arch9wavefront6targetE1EEEvSE_
                                        ; -- End function
	.section	.AMDGPU.csdata,"",@progbits
; Kernel info:
; codeLenInByte = 0
; NumSgprs: 4
; NumVgprs: 0
; NumAgprs: 0
; TotalNumVgprs: 0
; ScratchSize: 0
; MemoryBound: 0
; FloatMode: 240
; IeeeMode: 1
; LDSByteSize: 0 bytes/workgroup (compile time only)
; SGPRBlocks: 0
; VGPRBlocks: 0
; NumSGPRsForWavesPerEU: 4
; NumVGPRsForWavesPerEU: 1
; AccumOffset: 4
; Occupancy: 8
; WaveLimiterHint : 0
; COMPUTE_PGM_RSRC2:SCRATCH_EN: 0
; COMPUTE_PGM_RSRC2:USER_SGPR: 6
; COMPUTE_PGM_RSRC2:TRAP_HANDLER: 0
; COMPUTE_PGM_RSRC2:TGID_X_EN: 1
; COMPUTE_PGM_RSRC2:TGID_Y_EN: 0
; COMPUTE_PGM_RSRC2:TGID_Z_EN: 0
; COMPUTE_PGM_RSRC2:TIDIG_COMP_CNT: 0
; COMPUTE_PGM_RSRC3_GFX90A:ACCUM_OFFSET: 0
; COMPUTE_PGM_RSRC3_GFX90A:TG_SPLIT: 0
	.section	.text._ZN7rocprim17ROCPRIM_400000_NS6detail17trampoline_kernelINS0_14default_configENS1_35radix_sort_onesweep_config_selectorIsNS0_10empty_typeEEEZZNS1_29radix_sort_onesweep_iterationIS3_Lb0EPsS8_PS5_S9_mNS0_19identity_decomposerENS1_16block_id_wrapperIjLb0EEEEE10hipError_tT1_PNSt15iterator_traitsISE_E10value_typeET2_T3_PNSF_ISK_E10value_typeET4_T5_PSP_SQ_PNS1_23onesweep_lookback_stateEbbT6_jjT7_P12ihipStream_tbENKUlT_T0_SE_SJ_E_clIS8_S8_S9_S9_EEDaSX_SY_SE_SJ_EUlSX_E_NS1_11comp_targetILNS1_3genE6ELNS1_11target_archE950ELNS1_3gpuE13ELNS1_3repE0EEENS1_47radix_sort_onesweep_sort_config_static_selectorELNS0_4arch9wavefront6targetE1EEEvSE_,"axG",@progbits,_ZN7rocprim17ROCPRIM_400000_NS6detail17trampoline_kernelINS0_14default_configENS1_35radix_sort_onesweep_config_selectorIsNS0_10empty_typeEEEZZNS1_29radix_sort_onesweep_iterationIS3_Lb0EPsS8_PS5_S9_mNS0_19identity_decomposerENS1_16block_id_wrapperIjLb0EEEEE10hipError_tT1_PNSt15iterator_traitsISE_E10value_typeET2_T3_PNSF_ISK_E10value_typeET4_T5_PSP_SQ_PNS1_23onesweep_lookback_stateEbbT6_jjT7_P12ihipStream_tbENKUlT_T0_SE_SJ_E_clIS8_S8_S9_S9_EEDaSX_SY_SE_SJ_EUlSX_E_NS1_11comp_targetILNS1_3genE6ELNS1_11target_archE950ELNS1_3gpuE13ELNS1_3repE0EEENS1_47radix_sort_onesweep_sort_config_static_selectorELNS0_4arch9wavefront6targetE1EEEvSE_,comdat
	.protected	_ZN7rocprim17ROCPRIM_400000_NS6detail17trampoline_kernelINS0_14default_configENS1_35radix_sort_onesweep_config_selectorIsNS0_10empty_typeEEEZZNS1_29radix_sort_onesweep_iterationIS3_Lb0EPsS8_PS5_S9_mNS0_19identity_decomposerENS1_16block_id_wrapperIjLb0EEEEE10hipError_tT1_PNSt15iterator_traitsISE_E10value_typeET2_T3_PNSF_ISK_E10value_typeET4_T5_PSP_SQ_PNS1_23onesweep_lookback_stateEbbT6_jjT7_P12ihipStream_tbENKUlT_T0_SE_SJ_E_clIS8_S8_S9_S9_EEDaSX_SY_SE_SJ_EUlSX_E_NS1_11comp_targetILNS1_3genE6ELNS1_11target_archE950ELNS1_3gpuE13ELNS1_3repE0EEENS1_47radix_sort_onesweep_sort_config_static_selectorELNS0_4arch9wavefront6targetE1EEEvSE_ ; -- Begin function _ZN7rocprim17ROCPRIM_400000_NS6detail17trampoline_kernelINS0_14default_configENS1_35radix_sort_onesweep_config_selectorIsNS0_10empty_typeEEEZZNS1_29radix_sort_onesweep_iterationIS3_Lb0EPsS8_PS5_S9_mNS0_19identity_decomposerENS1_16block_id_wrapperIjLb0EEEEE10hipError_tT1_PNSt15iterator_traitsISE_E10value_typeET2_T3_PNSF_ISK_E10value_typeET4_T5_PSP_SQ_PNS1_23onesweep_lookback_stateEbbT6_jjT7_P12ihipStream_tbENKUlT_T0_SE_SJ_E_clIS8_S8_S9_S9_EEDaSX_SY_SE_SJ_EUlSX_E_NS1_11comp_targetILNS1_3genE6ELNS1_11target_archE950ELNS1_3gpuE13ELNS1_3repE0EEENS1_47radix_sort_onesweep_sort_config_static_selectorELNS0_4arch9wavefront6targetE1EEEvSE_
	.globl	_ZN7rocprim17ROCPRIM_400000_NS6detail17trampoline_kernelINS0_14default_configENS1_35radix_sort_onesweep_config_selectorIsNS0_10empty_typeEEEZZNS1_29radix_sort_onesweep_iterationIS3_Lb0EPsS8_PS5_S9_mNS0_19identity_decomposerENS1_16block_id_wrapperIjLb0EEEEE10hipError_tT1_PNSt15iterator_traitsISE_E10value_typeET2_T3_PNSF_ISK_E10value_typeET4_T5_PSP_SQ_PNS1_23onesweep_lookback_stateEbbT6_jjT7_P12ihipStream_tbENKUlT_T0_SE_SJ_E_clIS8_S8_S9_S9_EEDaSX_SY_SE_SJ_EUlSX_E_NS1_11comp_targetILNS1_3genE6ELNS1_11target_archE950ELNS1_3gpuE13ELNS1_3repE0EEENS1_47radix_sort_onesweep_sort_config_static_selectorELNS0_4arch9wavefront6targetE1EEEvSE_
	.p2align	8
	.type	_ZN7rocprim17ROCPRIM_400000_NS6detail17trampoline_kernelINS0_14default_configENS1_35radix_sort_onesweep_config_selectorIsNS0_10empty_typeEEEZZNS1_29radix_sort_onesweep_iterationIS3_Lb0EPsS8_PS5_S9_mNS0_19identity_decomposerENS1_16block_id_wrapperIjLb0EEEEE10hipError_tT1_PNSt15iterator_traitsISE_E10value_typeET2_T3_PNSF_ISK_E10value_typeET4_T5_PSP_SQ_PNS1_23onesweep_lookback_stateEbbT6_jjT7_P12ihipStream_tbENKUlT_T0_SE_SJ_E_clIS8_S8_S9_S9_EEDaSX_SY_SE_SJ_EUlSX_E_NS1_11comp_targetILNS1_3genE6ELNS1_11target_archE950ELNS1_3gpuE13ELNS1_3repE0EEENS1_47radix_sort_onesweep_sort_config_static_selectorELNS0_4arch9wavefront6targetE1EEEvSE_,@function
_ZN7rocprim17ROCPRIM_400000_NS6detail17trampoline_kernelINS0_14default_configENS1_35radix_sort_onesweep_config_selectorIsNS0_10empty_typeEEEZZNS1_29radix_sort_onesweep_iterationIS3_Lb0EPsS8_PS5_S9_mNS0_19identity_decomposerENS1_16block_id_wrapperIjLb0EEEEE10hipError_tT1_PNSt15iterator_traitsISE_E10value_typeET2_T3_PNSF_ISK_E10value_typeET4_T5_PSP_SQ_PNS1_23onesweep_lookback_stateEbbT6_jjT7_P12ihipStream_tbENKUlT_T0_SE_SJ_E_clIS8_S8_S9_S9_EEDaSX_SY_SE_SJ_EUlSX_E_NS1_11comp_targetILNS1_3genE6ELNS1_11target_archE950ELNS1_3gpuE13ELNS1_3repE0EEENS1_47radix_sort_onesweep_sort_config_static_selectorELNS0_4arch9wavefront6targetE1EEEvSE_: ; @_ZN7rocprim17ROCPRIM_400000_NS6detail17trampoline_kernelINS0_14default_configENS1_35radix_sort_onesweep_config_selectorIsNS0_10empty_typeEEEZZNS1_29radix_sort_onesweep_iterationIS3_Lb0EPsS8_PS5_S9_mNS0_19identity_decomposerENS1_16block_id_wrapperIjLb0EEEEE10hipError_tT1_PNSt15iterator_traitsISE_E10value_typeET2_T3_PNSF_ISK_E10value_typeET4_T5_PSP_SQ_PNS1_23onesweep_lookback_stateEbbT6_jjT7_P12ihipStream_tbENKUlT_T0_SE_SJ_E_clIS8_S8_S9_S9_EEDaSX_SY_SE_SJ_EUlSX_E_NS1_11comp_targetILNS1_3genE6ELNS1_11target_archE950ELNS1_3gpuE13ELNS1_3repE0EEENS1_47radix_sort_onesweep_sort_config_static_selectorELNS0_4arch9wavefront6targetE1EEEvSE_
; %bb.0:
	.section	.rodata,"a",@progbits
	.p2align	6, 0x0
	.amdhsa_kernel _ZN7rocprim17ROCPRIM_400000_NS6detail17trampoline_kernelINS0_14default_configENS1_35radix_sort_onesweep_config_selectorIsNS0_10empty_typeEEEZZNS1_29radix_sort_onesweep_iterationIS3_Lb0EPsS8_PS5_S9_mNS0_19identity_decomposerENS1_16block_id_wrapperIjLb0EEEEE10hipError_tT1_PNSt15iterator_traitsISE_E10value_typeET2_T3_PNSF_ISK_E10value_typeET4_T5_PSP_SQ_PNS1_23onesweep_lookback_stateEbbT6_jjT7_P12ihipStream_tbENKUlT_T0_SE_SJ_E_clIS8_S8_S9_S9_EEDaSX_SY_SE_SJ_EUlSX_E_NS1_11comp_targetILNS1_3genE6ELNS1_11target_archE950ELNS1_3gpuE13ELNS1_3repE0EEENS1_47radix_sort_onesweep_sort_config_static_selectorELNS0_4arch9wavefront6targetE1EEEvSE_
		.amdhsa_group_segment_fixed_size 0
		.amdhsa_private_segment_fixed_size 0
		.amdhsa_kernarg_size 88
		.amdhsa_user_sgpr_count 6
		.amdhsa_user_sgpr_private_segment_buffer 1
		.amdhsa_user_sgpr_dispatch_ptr 0
		.amdhsa_user_sgpr_queue_ptr 0
		.amdhsa_user_sgpr_kernarg_segment_ptr 1
		.amdhsa_user_sgpr_dispatch_id 0
		.amdhsa_user_sgpr_flat_scratch_init 0
		.amdhsa_user_sgpr_kernarg_preload_length 0
		.amdhsa_user_sgpr_kernarg_preload_offset 0
		.amdhsa_user_sgpr_private_segment_size 0
		.amdhsa_uses_dynamic_stack 0
		.amdhsa_system_sgpr_private_segment_wavefront_offset 0
		.amdhsa_system_sgpr_workgroup_id_x 1
		.amdhsa_system_sgpr_workgroup_id_y 0
		.amdhsa_system_sgpr_workgroup_id_z 0
		.amdhsa_system_sgpr_workgroup_info 0
		.amdhsa_system_vgpr_workitem_id 0
		.amdhsa_next_free_vgpr 1
		.amdhsa_next_free_sgpr 0
		.amdhsa_accum_offset 4
		.amdhsa_reserve_vcc 0
		.amdhsa_reserve_flat_scratch 0
		.amdhsa_float_round_mode_32 0
		.amdhsa_float_round_mode_16_64 0
		.amdhsa_float_denorm_mode_32 3
		.amdhsa_float_denorm_mode_16_64 3
		.amdhsa_dx10_clamp 1
		.amdhsa_ieee_mode 1
		.amdhsa_fp16_overflow 0
		.amdhsa_tg_split 0
		.amdhsa_exception_fp_ieee_invalid_op 0
		.amdhsa_exception_fp_denorm_src 0
		.amdhsa_exception_fp_ieee_div_zero 0
		.amdhsa_exception_fp_ieee_overflow 0
		.amdhsa_exception_fp_ieee_underflow 0
		.amdhsa_exception_fp_ieee_inexact 0
		.amdhsa_exception_int_div_zero 0
	.end_amdhsa_kernel
	.section	.text._ZN7rocprim17ROCPRIM_400000_NS6detail17trampoline_kernelINS0_14default_configENS1_35radix_sort_onesweep_config_selectorIsNS0_10empty_typeEEEZZNS1_29radix_sort_onesweep_iterationIS3_Lb0EPsS8_PS5_S9_mNS0_19identity_decomposerENS1_16block_id_wrapperIjLb0EEEEE10hipError_tT1_PNSt15iterator_traitsISE_E10value_typeET2_T3_PNSF_ISK_E10value_typeET4_T5_PSP_SQ_PNS1_23onesweep_lookback_stateEbbT6_jjT7_P12ihipStream_tbENKUlT_T0_SE_SJ_E_clIS8_S8_S9_S9_EEDaSX_SY_SE_SJ_EUlSX_E_NS1_11comp_targetILNS1_3genE6ELNS1_11target_archE950ELNS1_3gpuE13ELNS1_3repE0EEENS1_47radix_sort_onesweep_sort_config_static_selectorELNS0_4arch9wavefront6targetE1EEEvSE_,"axG",@progbits,_ZN7rocprim17ROCPRIM_400000_NS6detail17trampoline_kernelINS0_14default_configENS1_35radix_sort_onesweep_config_selectorIsNS0_10empty_typeEEEZZNS1_29radix_sort_onesweep_iterationIS3_Lb0EPsS8_PS5_S9_mNS0_19identity_decomposerENS1_16block_id_wrapperIjLb0EEEEE10hipError_tT1_PNSt15iterator_traitsISE_E10value_typeET2_T3_PNSF_ISK_E10value_typeET4_T5_PSP_SQ_PNS1_23onesweep_lookback_stateEbbT6_jjT7_P12ihipStream_tbENKUlT_T0_SE_SJ_E_clIS8_S8_S9_S9_EEDaSX_SY_SE_SJ_EUlSX_E_NS1_11comp_targetILNS1_3genE6ELNS1_11target_archE950ELNS1_3gpuE13ELNS1_3repE0EEENS1_47radix_sort_onesweep_sort_config_static_selectorELNS0_4arch9wavefront6targetE1EEEvSE_,comdat
.Lfunc_end440:
	.size	_ZN7rocprim17ROCPRIM_400000_NS6detail17trampoline_kernelINS0_14default_configENS1_35radix_sort_onesweep_config_selectorIsNS0_10empty_typeEEEZZNS1_29radix_sort_onesweep_iterationIS3_Lb0EPsS8_PS5_S9_mNS0_19identity_decomposerENS1_16block_id_wrapperIjLb0EEEEE10hipError_tT1_PNSt15iterator_traitsISE_E10value_typeET2_T3_PNSF_ISK_E10value_typeET4_T5_PSP_SQ_PNS1_23onesweep_lookback_stateEbbT6_jjT7_P12ihipStream_tbENKUlT_T0_SE_SJ_E_clIS8_S8_S9_S9_EEDaSX_SY_SE_SJ_EUlSX_E_NS1_11comp_targetILNS1_3genE6ELNS1_11target_archE950ELNS1_3gpuE13ELNS1_3repE0EEENS1_47radix_sort_onesweep_sort_config_static_selectorELNS0_4arch9wavefront6targetE1EEEvSE_, .Lfunc_end440-_ZN7rocprim17ROCPRIM_400000_NS6detail17trampoline_kernelINS0_14default_configENS1_35radix_sort_onesweep_config_selectorIsNS0_10empty_typeEEEZZNS1_29radix_sort_onesweep_iterationIS3_Lb0EPsS8_PS5_S9_mNS0_19identity_decomposerENS1_16block_id_wrapperIjLb0EEEEE10hipError_tT1_PNSt15iterator_traitsISE_E10value_typeET2_T3_PNSF_ISK_E10value_typeET4_T5_PSP_SQ_PNS1_23onesweep_lookback_stateEbbT6_jjT7_P12ihipStream_tbENKUlT_T0_SE_SJ_E_clIS8_S8_S9_S9_EEDaSX_SY_SE_SJ_EUlSX_E_NS1_11comp_targetILNS1_3genE6ELNS1_11target_archE950ELNS1_3gpuE13ELNS1_3repE0EEENS1_47radix_sort_onesweep_sort_config_static_selectorELNS0_4arch9wavefront6targetE1EEEvSE_
                                        ; -- End function
	.section	.AMDGPU.csdata,"",@progbits
; Kernel info:
; codeLenInByte = 0
; NumSgprs: 4
; NumVgprs: 0
; NumAgprs: 0
; TotalNumVgprs: 0
; ScratchSize: 0
; MemoryBound: 0
; FloatMode: 240
; IeeeMode: 1
; LDSByteSize: 0 bytes/workgroup (compile time only)
; SGPRBlocks: 0
; VGPRBlocks: 0
; NumSGPRsForWavesPerEU: 4
; NumVGPRsForWavesPerEU: 1
; AccumOffset: 4
; Occupancy: 8
; WaveLimiterHint : 0
; COMPUTE_PGM_RSRC2:SCRATCH_EN: 0
; COMPUTE_PGM_RSRC2:USER_SGPR: 6
; COMPUTE_PGM_RSRC2:TRAP_HANDLER: 0
; COMPUTE_PGM_RSRC2:TGID_X_EN: 1
; COMPUTE_PGM_RSRC2:TGID_Y_EN: 0
; COMPUTE_PGM_RSRC2:TGID_Z_EN: 0
; COMPUTE_PGM_RSRC2:TIDIG_COMP_CNT: 0
; COMPUTE_PGM_RSRC3_GFX90A:ACCUM_OFFSET: 0
; COMPUTE_PGM_RSRC3_GFX90A:TG_SPLIT: 0
	.section	.text._ZN7rocprim17ROCPRIM_400000_NS6detail17trampoline_kernelINS0_14default_configENS1_35radix_sort_onesweep_config_selectorIsNS0_10empty_typeEEEZZNS1_29radix_sort_onesweep_iterationIS3_Lb0EPsS8_PS5_S9_mNS0_19identity_decomposerENS1_16block_id_wrapperIjLb0EEEEE10hipError_tT1_PNSt15iterator_traitsISE_E10value_typeET2_T3_PNSF_ISK_E10value_typeET4_T5_PSP_SQ_PNS1_23onesweep_lookback_stateEbbT6_jjT7_P12ihipStream_tbENKUlT_T0_SE_SJ_E_clIS8_S8_S9_S9_EEDaSX_SY_SE_SJ_EUlSX_E_NS1_11comp_targetILNS1_3genE5ELNS1_11target_archE942ELNS1_3gpuE9ELNS1_3repE0EEENS1_47radix_sort_onesweep_sort_config_static_selectorELNS0_4arch9wavefront6targetE1EEEvSE_,"axG",@progbits,_ZN7rocprim17ROCPRIM_400000_NS6detail17trampoline_kernelINS0_14default_configENS1_35radix_sort_onesweep_config_selectorIsNS0_10empty_typeEEEZZNS1_29radix_sort_onesweep_iterationIS3_Lb0EPsS8_PS5_S9_mNS0_19identity_decomposerENS1_16block_id_wrapperIjLb0EEEEE10hipError_tT1_PNSt15iterator_traitsISE_E10value_typeET2_T3_PNSF_ISK_E10value_typeET4_T5_PSP_SQ_PNS1_23onesweep_lookback_stateEbbT6_jjT7_P12ihipStream_tbENKUlT_T0_SE_SJ_E_clIS8_S8_S9_S9_EEDaSX_SY_SE_SJ_EUlSX_E_NS1_11comp_targetILNS1_3genE5ELNS1_11target_archE942ELNS1_3gpuE9ELNS1_3repE0EEENS1_47radix_sort_onesweep_sort_config_static_selectorELNS0_4arch9wavefront6targetE1EEEvSE_,comdat
	.protected	_ZN7rocprim17ROCPRIM_400000_NS6detail17trampoline_kernelINS0_14default_configENS1_35radix_sort_onesweep_config_selectorIsNS0_10empty_typeEEEZZNS1_29radix_sort_onesweep_iterationIS3_Lb0EPsS8_PS5_S9_mNS0_19identity_decomposerENS1_16block_id_wrapperIjLb0EEEEE10hipError_tT1_PNSt15iterator_traitsISE_E10value_typeET2_T3_PNSF_ISK_E10value_typeET4_T5_PSP_SQ_PNS1_23onesweep_lookback_stateEbbT6_jjT7_P12ihipStream_tbENKUlT_T0_SE_SJ_E_clIS8_S8_S9_S9_EEDaSX_SY_SE_SJ_EUlSX_E_NS1_11comp_targetILNS1_3genE5ELNS1_11target_archE942ELNS1_3gpuE9ELNS1_3repE0EEENS1_47radix_sort_onesweep_sort_config_static_selectorELNS0_4arch9wavefront6targetE1EEEvSE_ ; -- Begin function _ZN7rocprim17ROCPRIM_400000_NS6detail17trampoline_kernelINS0_14default_configENS1_35radix_sort_onesweep_config_selectorIsNS0_10empty_typeEEEZZNS1_29radix_sort_onesweep_iterationIS3_Lb0EPsS8_PS5_S9_mNS0_19identity_decomposerENS1_16block_id_wrapperIjLb0EEEEE10hipError_tT1_PNSt15iterator_traitsISE_E10value_typeET2_T3_PNSF_ISK_E10value_typeET4_T5_PSP_SQ_PNS1_23onesweep_lookback_stateEbbT6_jjT7_P12ihipStream_tbENKUlT_T0_SE_SJ_E_clIS8_S8_S9_S9_EEDaSX_SY_SE_SJ_EUlSX_E_NS1_11comp_targetILNS1_3genE5ELNS1_11target_archE942ELNS1_3gpuE9ELNS1_3repE0EEENS1_47radix_sort_onesweep_sort_config_static_selectorELNS0_4arch9wavefront6targetE1EEEvSE_
	.globl	_ZN7rocprim17ROCPRIM_400000_NS6detail17trampoline_kernelINS0_14default_configENS1_35radix_sort_onesweep_config_selectorIsNS0_10empty_typeEEEZZNS1_29radix_sort_onesweep_iterationIS3_Lb0EPsS8_PS5_S9_mNS0_19identity_decomposerENS1_16block_id_wrapperIjLb0EEEEE10hipError_tT1_PNSt15iterator_traitsISE_E10value_typeET2_T3_PNSF_ISK_E10value_typeET4_T5_PSP_SQ_PNS1_23onesweep_lookback_stateEbbT6_jjT7_P12ihipStream_tbENKUlT_T0_SE_SJ_E_clIS8_S8_S9_S9_EEDaSX_SY_SE_SJ_EUlSX_E_NS1_11comp_targetILNS1_3genE5ELNS1_11target_archE942ELNS1_3gpuE9ELNS1_3repE0EEENS1_47radix_sort_onesweep_sort_config_static_selectorELNS0_4arch9wavefront6targetE1EEEvSE_
	.p2align	8
	.type	_ZN7rocprim17ROCPRIM_400000_NS6detail17trampoline_kernelINS0_14default_configENS1_35radix_sort_onesweep_config_selectorIsNS0_10empty_typeEEEZZNS1_29radix_sort_onesweep_iterationIS3_Lb0EPsS8_PS5_S9_mNS0_19identity_decomposerENS1_16block_id_wrapperIjLb0EEEEE10hipError_tT1_PNSt15iterator_traitsISE_E10value_typeET2_T3_PNSF_ISK_E10value_typeET4_T5_PSP_SQ_PNS1_23onesweep_lookback_stateEbbT6_jjT7_P12ihipStream_tbENKUlT_T0_SE_SJ_E_clIS8_S8_S9_S9_EEDaSX_SY_SE_SJ_EUlSX_E_NS1_11comp_targetILNS1_3genE5ELNS1_11target_archE942ELNS1_3gpuE9ELNS1_3repE0EEENS1_47radix_sort_onesweep_sort_config_static_selectorELNS0_4arch9wavefront6targetE1EEEvSE_,@function
_ZN7rocprim17ROCPRIM_400000_NS6detail17trampoline_kernelINS0_14default_configENS1_35radix_sort_onesweep_config_selectorIsNS0_10empty_typeEEEZZNS1_29radix_sort_onesweep_iterationIS3_Lb0EPsS8_PS5_S9_mNS0_19identity_decomposerENS1_16block_id_wrapperIjLb0EEEEE10hipError_tT1_PNSt15iterator_traitsISE_E10value_typeET2_T3_PNSF_ISK_E10value_typeET4_T5_PSP_SQ_PNS1_23onesweep_lookback_stateEbbT6_jjT7_P12ihipStream_tbENKUlT_T0_SE_SJ_E_clIS8_S8_S9_S9_EEDaSX_SY_SE_SJ_EUlSX_E_NS1_11comp_targetILNS1_3genE5ELNS1_11target_archE942ELNS1_3gpuE9ELNS1_3repE0EEENS1_47radix_sort_onesweep_sort_config_static_selectorELNS0_4arch9wavefront6targetE1EEEvSE_: ; @_ZN7rocprim17ROCPRIM_400000_NS6detail17trampoline_kernelINS0_14default_configENS1_35radix_sort_onesweep_config_selectorIsNS0_10empty_typeEEEZZNS1_29radix_sort_onesweep_iterationIS3_Lb0EPsS8_PS5_S9_mNS0_19identity_decomposerENS1_16block_id_wrapperIjLb0EEEEE10hipError_tT1_PNSt15iterator_traitsISE_E10value_typeET2_T3_PNSF_ISK_E10value_typeET4_T5_PSP_SQ_PNS1_23onesweep_lookback_stateEbbT6_jjT7_P12ihipStream_tbENKUlT_T0_SE_SJ_E_clIS8_S8_S9_S9_EEDaSX_SY_SE_SJ_EUlSX_E_NS1_11comp_targetILNS1_3genE5ELNS1_11target_archE942ELNS1_3gpuE9ELNS1_3repE0EEENS1_47radix_sort_onesweep_sort_config_static_selectorELNS0_4arch9wavefront6targetE1EEEvSE_
; %bb.0:
	.section	.rodata,"a",@progbits
	.p2align	6, 0x0
	.amdhsa_kernel _ZN7rocprim17ROCPRIM_400000_NS6detail17trampoline_kernelINS0_14default_configENS1_35radix_sort_onesweep_config_selectorIsNS0_10empty_typeEEEZZNS1_29radix_sort_onesweep_iterationIS3_Lb0EPsS8_PS5_S9_mNS0_19identity_decomposerENS1_16block_id_wrapperIjLb0EEEEE10hipError_tT1_PNSt15iterator_traitsISE_E10value_typeET2_T3_PNSF_ISK_E10value_typeET4_T5_PSP_SQ_PNS1_23onesweep_lookback_stateEbbT6_jjT7_P12ihipStream_tbENKUlT_T0_SE_SJ_E_clIS8_S8_S9_S9_EEDaSX_SY_SE_SJ_EUlSX_E_NS1_11comp_targetILNS1_3genE5ELNS1_11target_archE942ELNS1_3gpuE9ELNS1_3repE0EEENS1_47radix_sort_onesweep_sort_config_static_selectorELNS0_4arch9wavefront6targetE1EEEvSE_
		.amdhsa_group_segment_fixed_size 0
		.amdhsa_private_segment_fixed_size 0
		.amdhsa_kernarg_size 88
		.amdhsa_user_sgpr_count 6
		.amdhsa_user_sgpr_private_segment_buffer 1
		.amdhsa_user_sgpr_dispatch_ptr 0
		.amdhsa_user_sgpr_queue_ptr 0
		.amdhsa_user_sgpr_kernarg_segment_ptr 1
		.amdhsa_user_sgpr_dispatch_id 0
		.amdhsa_user_sgpr_flat_scratch_init 0
		.amdhsa_user_sgpr_kernarg_preload_length 0
		.amdhsa_user_sgpr_kernarg_preload_offset 0
		.amdhsa_user_sgpr_private_segment_size 0
		.amdhsa_uses_dynamic_stack 0
		.amdhsa_system_sgpr_private_segment_wavefront_offset 0
		.amdhsa_system_sgpr_workgroup_id_x 1
		.amdhsa_system_sgpr_workgroup_id_y 0
		.amdhsa_system_sgpr_workgroup_id_z 0
		.amdhsa_system_sgpr_workgroup_info 0
		.amdhsa_system_vgpr_workitem_id 0
		.amdhsa_next_free_vgpr 1
		.amdhsa_next_free_sgpr 0
		.amdhsa_accum_offset 4
		.amdhsa_reserve_vcc 0
		.amdhsa_reserve_flat_scratch 0
		.amdhsa_float_round_mode_32 0
		.amdhsa_float_round_mode_16_64 0
		.amdhsa_float_denorm_mode_32 3
		.amdhsa_float_denorm_mode_16_64 3
		.amdhsa_dx10_clamp 1
		.amdhsa_ieee_mode 1
		.amdhsa_fp16_overflow 0
		.amdhsa_tg_split 0
		.amdhsa_exception_fp_ieee_invalid_op 0
		.amdhsa_exception_fp_denorm_src 0
		.amdhsa_exception_fp_ieee_div_zero 0
		.amdhsa_exception_fp_ieee_overflow 0
		.amdhsa_exception_fp_ieee_underflow 0
		.amdhsa_exception_fp_ieee_inexact 0
		.amdhsa_exception_int_div_zero 0
	.end_amdhsa_kernel
	.section	.text._ZN7rocprim17ROCPRIM_400000_NS6detail17trampoline_kernelINS0_14default_configENS1_35radix_sort_onesweep_config_selectorIsNS0_10empty_typeEEEZZNS1_29radix_sort_onesweep_iterationIS3_Lb0EPsS8_PS5_S9_mNS0_19identity_decomposerENS1_16block_id_wrapperIjLb0EEEEE10hipError_tT1_PNSt15iterator_traitsISE_E10value_typeET2_T3_PNSF_ISK_E10value_typeET4_T5_PSP_SQ_PNS1_23onesweep_lookback_stateEbbT6_jjT7_P12ihipStream_tbENKUlT_T0_SE_SJ_E_clIS8_S8_S9_S9_EEDaSX_SY_SE_SJ_EUlSX_E_NS1_11comp_targetILNS1_3genE5ELNS1_11target_archE942ELNS1_3gpuE9ELNS1_3repE0EEENS1_47radix_sort_onesweep_sort_config_static_selectorELNS0_4arch9wavefront6targetE1EEEvSE_,"axG",@progbits,_ZN7rocprim17ROCPRIM_400000_NS6detail17trampoline_kernelINS0_14default_configENS1_35radix_sort_onesweep_config_selectorIsNS0_10empty_typeEEEZZNS1_29radix_sort_onesweep_iterationIS3_Lb0EPsS8_PS5_S9_mNS0_19identity_decomposerENS1_16block_id_wrapperIjLb0EEEEE10hipError_tT1_PNSt15iterator_traitsISE_E10value_typeET2_T3_PNSF_ISK_E10value_typeET4_T5_PSP_SQ_PNS1_23onesweep_lookback_stateEbbT6_jjT7_P12ihipStream_tbENKUlT_T0_SE_SJ_E_clIS8_S8_S9_S9_EEDaSX_SY_SE_SJ_EUlSX_E_NS1_11comp_targetILNS1_3genE5ELNS1_11target_archE942ELNS1_3gpuE9ELNS1_3repE0EEENS1_47radix_sort_onesweep_sort_config_static_selectorELNS0_4arch9wavefront6targetE1EEEvSE_,comdat
.Lfunc_end441:
	.size	_ZN7rocprim17ROCPRIM_400000_NS6detail17trampoline_kernelINS0_14default_configENS1_35radix_sort_onesweep_config_selectorIsNS0_10empty_typeEEEZZNS1_29radix_sort_onesweep_iterationIS3_Lb0EPsS8_PS5_S9_mNS0_19identity_decomposerENS1_16block_id_wrapperIjLb0EEEEE10hipError_tT1_PNSt15iterator_traitsISE_E10value_typeET2_T3_PNSF_ISK_E10value_typeET4_T5_PSP_SQ_PNS1_23onesweep_lookback_stateEbbT6_jjT7_P12ihipStream_tbENKUlT_T0_SE_SJ_E_clIS8_S8_S9_S9_EEDaSX_SY_SE_SJ_EUlSX_E_NS1_11comp_targetILNS1_3genE5ELNS1_11target_archE942ELNS1_3gpuE9ELNS1_3repE0EEENS1_47radix_sort_onesweep_sort_config_static_selectorELNS0_4arch9wavefront6targetE1EEEvSE_, .Lfunc_end441-_ZN7rocprim17ROCPRIM_400000_NS6detail17trampoline_kernelINS0_14default_configENS1_35radix_sort_onesweep_config_selectorIsNS0_10empty_typeEEEZZNS1_29radix_sort_onesweep_iterationIS3_Lb0EPsS8_PS5_S9_mNS0_19identity_decomposerENS1_16block_id_wrapperIjLb0EEEEE10hipError_tT1_PNSt15iterator_traitsISE_E10value_typeET2_T3_PNSF_ISK_E10value_typeET4_T5_PSP_SQ_PNS1_23onesweep_lookback_stateEbbT6_jjT7_P12ihipStream_tbENKUlT_T0_SE_SJ_E_clIS8_S8_S9_S9_EEDaSX_SY_SE_SJ_EUlSX_E_NS1_11comp_targetILNS1_3genE5ELNS1_11target_archE942ELNS1_3gpuE9ELNS1_3repE0EEENS1_47radix_sort_onesweep_sort_config_static_selectorELNS0_4arch9wavefront6targetE1EEEvSE_
                                        ; -- End function
	.section	.AMDGPU.csdata,"",@progbits
; Kernel info:
; codeLenInByte = 0
; NumSgprs: 4
; NumVgprs: 0
; NumAgprs: 0
; TotalNumVgprs: 0
; ScratchSize: 0
; MemoryBound: 0
; FloatMode: 240
; IeeeMode: 1
; LDSByteSize: 0 bytes/workgroup (compile time only)
; SGPRBlocks: 0
; VGPRBlocks: 0
; NumSGPRsForWavesPerEU: 4
; NumVGPRsForWavesPerEU: 1
; AccumOffset: 4
; Occupancy: 8
; WaveLimiterHint : 0
; COMPUTE_PGM_RSRC2:SCRATCH_EN: 0
; COMPUTE_PGM_RSRC2:USER_SGPR: 6
; COMPUTE_PGM_RSRC2:TRAP_HANDLER: 0
; COMPUTE_PGM_RSRC2:TGID_X_EN: 1
; COMPUTE_PGM_RSRC2:TGID_Y_EN: 0
; COMPUTE_PGM_RSRC2:TGID_Z_EN: 0
; COMPUTE_PGM_RSRC2:TIDIG_COMP_CNT: 0
; COMPUTE_PGM_RSRC3_GFX90A:ACCUM_OFFSET: 0
; COMPUTE_PGM_RSRC3_GFX90A:TG_SPLIT: 0
	.section	.text._ZN7rocprim17ROCPRIM_400000_NS6detail17trampoline_kernelINS0_14default_configENS1_35radix_sort_onesweep_config_selectorIsNS0_10empty_typeEEEZZNS1_29radix_sort_onesweep_iterationIS3_Lb0EPsS8_PS5_S9_mNS0_19identity_decomposerENS1_16block_id_wrapperIjLb0EEEEE10hipError_tT1_PNSt15iterator_traitsISE_E10value_typeET2_T3_PNSF_ISK_E10value_typeET4_T5_PSP_SQ_PNS1_23onesweep_lookback_stateEbbT6_jjT7_P12ihipStream_tbENKUlT_T0_SE_SJ_E_clIS8_S8_S9_S9_EEDaSX_SY_SE_SJ_EUlSX_E_NS1_11comp_targetILNS1_3genE2ELNS1_11target_archE906ELNS1_3gpuE6ELNS1_3repE0EEENS1_47radix_sort_onesweep_sort_config_static_selectorELNS0_4arch9wavefront6targetE1EEEvSE_,"axG",@progbits,_ZN7rocprim17ROCPRIM_400000_NS6detail17trampoline_kernelINS0_14default_configENS1_35radix_sort_onesweep_config_selectorIsNS0_10empty_typeEEEZZNS1_29radix_sort_onesweep_iterationIS3_Lb0EPsS8_PS5_S9_mNS0_19identity_decomposerENS1_16block_id_wrapperIjLb0EEEEE10hipError_tT1_PNSt15iterator_traitsISE_E10value_typeET2_T3_PNSF_ISK_E10value_typeET4_T5_PSP_SQ_PNS1_23onesweep_lookback_stateEbbT6_jjT7_P12ihipStream_tbENKUlT_T0_SE_SJ_E_clIS8_S8_S9_S9_EEDaSX_SY_SE_SJ_EUlSX_E_NS1_11comp_targetILNS1_3genE2ELNS1_11target_archE906ELNS1_3gpuE6ELNS1_3repE0EEENS1_47radix_sort_onesweep_sort_config_static_selectorELNS0_4arch9wavefront6targetE1EEEvSE_,comdat
	.protected	_ZN7rocprim17ROCPRIM_400000_NS6detail17trampoline_kernelINS0_14default_configENS1_35radix_sort_onesweep_config_selectorIsNS0_10empty_typeEEEZZNS1_29radix_sort_onesweep_iterationIS3_Lb0EPsS8_PS5_S9_mNS0_19identity_decomposerENS1_16block_id_wrapperIjLb0EEEEE10hipError_tT1_PNSt15iterator_traitsISE_E10value_typeET2_T3_PNSF_ISK_E10value_typeET4_T5_PSP_SQ_PNS1_23onesweep_lookback_stateEbbT6_jjT7_P12ihipStream_tbENKUlT_T0_SE_SJ_E_clIS8_S8_S9_S9_EEDaSX_SY_SE_SJ_EUlSX_E_NS1_11comp_targetILNS1_3genE2ELNS1_11target_archE906ELNS1_3gpuE6ELNS1_3repE0EEENS1_47radix_sort_onesweep_sort_config_static_selectorELNS0_4arch9wavefront6targetE1EEEvSE_ ; -- Begin function _ZN7rocprim17ROCPRIM_400000_NS6detail17trampoline_kernelINS0_14default_configENS1_35radix_sort_onesweep_config_selectorIsNS0_10empty_typeEEEZZNS1_29radix_sort_onesweep_iterationIS3_Lb0EPsS8_PS5_S9_mNS0_19identity_decomposerENS1_16block_id_wrapperIjLb0EEEEE10hipError_tT1_PNSt15iterator_traitsISE_E10value_typeET2_T3_PNSF_ISK_E10value_typeET4_T5_PSP_SQ_PNS1_23onesweep_lookback_stateEbbT6_jjT7_P12ihipStream_tbENKUlT_T0_SE_SJ_E_clIS8_S8_S9_S9_EEDaSX_SY_SE_SJ_EUlSX_E_NS1_11comp_targetILNS1_3genE2ELNS1_11target_archE906ELNS1_3gpuE6ELNS1_3repE0EEENS1_47radix_sort_onesweep_sort_config_static_selectorELNS0_4arch9wavefront6targetE1EEEvSE_
	.globl	_ZN7rocprim17ROCPRIM_400000_NS6detail17trampoline_kernelINS0_14default_configENS1_35radix_sort_onesweep_config_selectorIsNS0_10empty_typeEEEZZNS1_29radix_sort_onesweep_iterationIS3_Lb0EPsS8_PS5_S9_mNS0_19identity_decomposerENS1_16block_id_wrapperIjLb0EEEEE10hipError_tT1_PNSt15iterator_traitsISE_E10value_typeET2_T3_PNSF_ISK_E10value_typeET4_T5_PSP_SQ_PNS1_23onesweep_lookback_stateEbbT6_jjT7_P12ihipStream_tbENKUlT_T0_SE_SJ_E_clIS8_S8_S9_S9_EEDaSX_SY_SE_SJ_EUlSX_E_NS1_11comp_targetILNS1_3genE2ELNS1_11target_archE906ELNS1_3gpuE6ELNS1_3repE0EEENS1_47radix_sort_onesweep_sort_config_static_selectorELNS0_4arch9wavefront6targetE1EEEvSE_
	.p2align	8
	.type	_ZN7rocprim17ROCPRIM_400000_NS6detail17trampoline_kernelINS0_14default_configENS1_35radix_sort_onesweep_config_selectorIsNS0_10empty_typeEEEZZNS1_29radix_sort_onesweep_iterationIS3_Lb0EPsS8_PS5_S9_mNS0_19identity_decomposerENS1_16block_id_wrapperIjLb0EEEEE10hipError_tT1_PNSt15iterator_traitsISE_E10value_typeET2_T3_PNSF_ISK_E10value_typeET4_T5_PSP_SQ_PNS1_23onesweep_lookback_stateEbbT6_jjT7_P12ihipStream_tbENKUlT_T0_SE_SJ_E_clIS8_S8_S9_S9_EEDaSX_SY_SE_SJ_EUlSX_E_NS1_11comp_targetILNS1_3genE2ELNS1_11target_archE906ELNS1_3gpuE6ELNS1_3repE0EEENS1_47radix_sort_onesweep_sort_config_static_selectorELNS0_4arch9wavefront6targetE1EEEvSE_,@function
_ZN7rocprim17ROCPRIM_400000_NS6detail17trampoline_kernelINS0_14default_configENS1_35radix_sort_onesweep_config_selectorIsNS0_10empty_typeEEEZZNS1_29radix_sort_onesweep_iterationIS3_Lb0EPsS8_PS5_S9_mNS0_19identity_decomposerENS1_16block_id_wrapperIjLb0EEEEE10hipError_tT1_PNSt15iterator_traitsISE_E10value_typeET2_T3_PNSF_ISK_E10value_typeET4_T5_PSP_SQ_PNS1_23onesweep_lookback_stateEbbT6_jjT7_P12ihipStream_tbENKUlT_T0_SE_SJ_E_clIS8_S8_S9_S9_EEDaSX_SY_SE_SJ_EUlSX_E_NS1_11comp_targetILNS1_3genE2ELNS1_11target_archE906ELNS1_3gpuE6ELNS1_3repE0EEENS1_47radix_sort_onesweep_sort_config_static_selectorELNS0_4arch9wavefront6targetE1EEEvSE_: ; @_ZN7rocprim17ROCPRIM_400000_NS6detail17trampoline_kernelINS0_14default_configENS1_35radix_sort_onesweep_config_selectorIsNS0_10empty_typeEEEZZNS1_29radix_sort_onesweep_iterationIS3_Lb0EPsS8_PS5_S9_mNS0_19identity_decomposerENS1_16block_id_wrapperIjLb0EEEEE10hipError_tT1_PNSt15iterator_traitsISE_E10value_typeET2_T3_PNSF_ISK_E10value_typeET4_T5_PSP_SQ_PNS1_23onesweep_lookback_stateEbbT6_jjT7_P12ihipStream_tbENKUlT_T0_SE_SJ_E_clIS8_S8_S9_S9_EEDaSX_SY_SE_SJ_EUlSX_E_NS1_11comp_targetILNS1_3genE2ELNS1_11target_archE906ELNS1_3gpuE6ELNS1_3repE0EEENS1_47radix_sort_onesweep_sort_config_static_selectorELNS0_4arch9wavefront6targetE1EEEvSE_
; %bb.0:
	.section	.rodata,"a",@progbits
	.p2align	6, 0x0
	.amdhsa_kernel _ZN7rocprim17ROCPRIM_400000_NS6detail17trampoline_kernelINS0_14default_configENS1_35radix_sort_onesweep_config_selectorIsNS0_10empty_typeEEEZZNS1_29radix_sort_onesweep_iterationIS3_Lb0EPsS8_PS5_S9_mNS0_19identity_decomposerENS1_16block_id_wrapperIjLb0EEEEE10hipError_tT1_PNSt15iterator_traitsISE_E10value_typeET2_T3_PNSF_ISK_E10value_typeET4_T5_PSP_SQ_PNS1_23onesweep_lookback_stateEbbT6_jjT7_P12ihipStream_tbENKUlT_T0_SE_SJ_E_clIS8_S8_S9_S9_EEDaSX_SY_SE_SJ_EUlSX_E_NS1_11comp_targetILNS1_3genE2ELNS1_11target_archE906ELNS1_3gpuE6ELNS1_3repE0EEENS1_47radix_sort_onesweep_sort_config_static_selectorELNS0_4arch9wavefront6targetE1EEEvSE_
		.amdhsa_group_segment_fixed_size 0
		.amdhsa_private_segment_fixed_size 0
		.amdhsa_kernarg_size 88
		.amdhsa_user_sgpr_count 6
		.amdhsa_user_sgpr_private_segment_buffer 1
		.amdhsa_user_sgpr_dispatch_ptr 0
		.amdhsa_user_sgpr_queue_ptr 0
		.amdhsa_user_sgpr_kernarg_segment_ptr 1
		.amdhsa_user_sgpr_dispatch_id 0
		.amdhsa_user_sgpr_flat_scratch_init 0
		.amdhsa_user_sgpr_kernarg_preload_length 0
		.amdhsa_user_sgpr_kernarg_preload_offset 0
		.amdhsa_user_sgpr_private_segment_size 0
		.amdhsa_uses_dynamic_stack 0
		.amdhsa_system_sgpr_private_segment_wavefront_offset 0
		.amdhsa_system_sgpr_workgroup_id_x 1
		.amdhsa_system_sgpr_workgroup_id_y 0
		.amdhsa_system_sgpr_workgroup_id_z 0
		.amdhsa_system_sgpr_workgroup_info 0
		.amdhsa_system_vgpr_workitem_id 0
		.amdhsa_next_free_vgpr 1
		.amdhsa_next_free_sgpr 0
		.amdhsa_accum_offset 4
		.amdhsa_reserve_vcc 0
		.amdhsa_reserve_flat_scratch 0
		.amdhsa_float_round_mode_32 0
		.amdhsa_float_round_mode_16_64 0
		.amdhsa_float_denorm_mode_32 3
		.amdhsa_float_denorm_mode_16_64 3
		.amdhsa_dx10_clamp 1
		.amdhsa_ieee_mode 1
		.amdhsa_fp16_overflow 0
		.amdhsa_tg_split 0
		.amdhsa_exception_fp_ieee_invalid_op 0
		.amdhsa_exception_fp_denorm_src 0
		.amdhsa_exception_fp_ieee_div_zero 0
		.amdhsa_exception_fp_ieee_overflow 0
		.amdhsa_exception_fp_ieee_underflow 0
		.amdhsa_exception_fp_ieee_inexact 0
		.amdhsa_exception_int_div_zero 0
	.end_amdhsa_kernel
	.section	.text._ZN7rocprim17ROCPRIM_400000_NS6detail17trampoline_kernelINS0_14default_configENS1_35radix_sort_onesweep_config_selectorIsNS0_10empty_typeEEEZZNS1_29radix_sort_onesweep_iterationIS3_Lb0EPsS8_PS5_S9_mNS0_19identity_decomposerENS1_16block_id_wrapperIjLb0EEEEE10hipError_tT1_PNSt15iterator_traitsISE_E10value_typeET2_T3_PNSF_ISK_E10value_typeET4_T5_PSP_SQ_PNS1_23onesweep_lookback_stateEbbT6_jjT7_P12ihipStream_tbENKUlT_T0_SE_SJ_E_clIS8_S8_S9_S9_EEDaSX_SY_SE_SJ_EUlSX_E_NS1_11comp_targetILNS1_3genE2ELNS1_11target_archE906ELNS1_3gpuE6ELNS1_3repE0EEENS1_47radix_sort_onesweep_sort_config_static_selectorELNS0_4arch9wavefront6targetE1EEEvSE_,"axG",@progbits,_ZN7rocprim17ROCPRIM_400000_NS6detail17trampoline_kernelINS0_14default_configENS1_35radix_sort_onesweep_config_selectorIsNS0_10empty_typeEEEZZNS1_29radix_sort_onesweep_iterationIS3_Lb0EPsS8_PS5_S9_mNS0_19identity_decomposerENS1_16block_id_wrapperIjLb0EEEEE10hipError_tT1_PNSt15iterator_traitsISE_E10value_typeET2_T3_PNSF_ISK_E10value_typeET4_T5_PSP_SQ_PNS1_23onesweep_lookback_stateEbbT6_jjT7_P12ihipStream_tbENKUlT_T0_SE_SJ_E_clIS8_S8_S9_S9_EEDaSX_SY_SE_SJ_EUlSX_E_NS1_11comp_targetILNS1_3genE2ELNS1_11target_archE906ELNS1_3gpuE6ELNS1_3repE0EEENS1_47radix_sort_onesweep_sort_config_static_selectorELNS0_4arch9wavefront6targetE1EEEvSE_,comdat
.Lfunc_end442:
	.size	_ZN7rocprim17ROCPRIM_400000_NS6detail17trampoline_kernelINS0_14default_configENS1_35radix_sort_onesweep_config_selectorIsNS0_10empty_typeEEEZZNS1_29radix_sort_onesweep_iterationIS3_Lb0EPsS8_PS5_S9_mNS0_19identity_decomposerENS1_16block_id_wrapperIjLb0EEEEE10hipError_tT1_PNSt15iterator_traitsISE_E10value_typeET2_T3_PNSF_ISK_E10value_typeET4_T5_PSP_SQ_PNS1_23onesweep_lookback_stateEbbT6_jjT7_P12ihipStream_tbENKUlT_T0_SE_SJ_E_clIS8_S8_S9_S9_EEDaSX_SY_SE_SJ_EUlSX_E_NS1_11comp_targetILNS1_3genE2ELNS1_11target_archE906ELNS1_3gpuE6ELNS1_3repE0EEENS1_47radix_sort_onesweep_sort_config_static_selectorELNS0_4arch9wavefront6targetE1EEEvSE_, .Lfunc_end442-_ZN7rocprim17ROCPRIM_400000_NS6detail17trampoline_kernelINS0_14default_configENS1_35radix_sort_onesweep_config_selectorIsNS0_10empty_typeEEEZZNS1_29radix_sort_onesweep_iterationIS3_Lb0EPsS8_PS5_S9_mNS0_19identity_decomposerENS1_16block_id_wrapperIjLb0EEEEE10hipError_tT1_PNSt15iterator_traitsISE_E10value_typeET2_T3_PNSF_ISK_E10value_typeET4_T5_PSP_SQ_PNS1_23onesweep_lookback_stateEbbT6_jjT7_P12ihipStream_tbENKUlT_T0_SE_SJ_E_clIS8_S8_S9_S9_EEDaSX_SY_SE_SJ_EUlSX_E_NS1_11comp_targetILNS1_3genE2ELNS1_11target_archE906ELNS1_3gpuE6ELNS1_3repE0EEENS1_47radix_sort_onesweep_sort_config_static_selectorELNS0_4arch9wavefront6targetE1EEEvSE_
                                        ; -- End function
	.section	.AMDGPU.csdata,"",@progbits
; Kernel info:
; codeLenInByte = 0
; NumSgprs: 4
; NumVgprs: 0
; NumAgprs: 0
; TotalNumVgprs: 0
; ScratchSize: 0
; MemoryBound: 0
; FloatMode: 240
; IeeeMode: 1
; LDSByteSize: 0 bytes/workgroup (compile time only)
; SGPRBlocks: 0
; VGPRBlocks: 0
; NumSGPRsForWavesPerEU: 4
; NumVGPRsForWavesPerEU: 1
; AccumOffset: 4
; Occupancy: 8
; WaveLimiterHint : 0
; COMPUTE_PGM_RSRC2:SCRATCH_EN: 0
; COMPUTE_PGM_RSRC2:USER_SGPR: 6
; COMPUTE_PGM_RSRC2:TRAP_HANDLER: 0
; COMPUTE_PGM_RSRC2:TGID_X_EN: 1
; COMPUTE_PGM_RSRC2:TGID_Y_EN: 0
; COMPUTE_PGM_RSRC2:TGID_Z_EN: 0
; COMPUTE_PGM_RSRC2:TIDIG_COMP_CNT: 0
; COMPUTE_PGM_RSRC3_GFX90A:ACCUM_OFFSET: 0
; COMPUTE_PGM_RSRC3_GFX90A:TG_SPLIT: 0
	.section	.text._ZN7rocprim17ROCPRIM_400000_NS6detail17trampoline_kernelINS0_14default_configENS1_35radix_sort_onesweep_config_selectorIsNS0_10empty_typeEEEZZNS1_29radix_sort_onesweep_iterationIS3_Lb0EPsS8_PS5_S9_mNS0_19identity_decomposerENS1_16block_id_wrapperIjLb0EEEEE10hipError_tT1_PNSt15iterator_traitsISE_E10value_typeET2_T3_PNSF_ISK_E10value_typeET4_T5_PSP_SQ_PNS1_23onesweep_lookback_stateEbbT6_jjT7_P12ihipStream_tbENKUlT_T0_SE_SJ_E_clIS8_S8_S9_S9_EEDaSX_SY_SE_SJ_EUlSX_E_NS1_11comp_targetILNS1_3genE4ELNS1_11target_archE910ELNS1_3gpuE8ELNS1_3repE0EEENS1_47radix_sort_onesweep_sort_config_static_selectorELNS0_4arch9wavefront6targetE1EEEvSE_,"axG",@progbits,_ZN7rocprim17ROCPRIM_400000_NS6detail17trampoline_kernelINS0_14default_configENS1_35radix_sort_onesweep_config_selectorIsNS0_10empty_typeEEEZZNS1_29radix_sort_onesweep_iterationIS3_Lb0EPsS8_PS5_S9_mNS0_19identity_decomposerENS1_16block_id_wrapperIjLb0EEEEE10hipError_tT1_PNSt15iterator_traitsISE_E10value_typeET2_T3_PNSF_ISK_E10value_typeET4_T5_PSP_SQ_PNS1_23onesweep_lookback_stateEbbT6_jjT7_P12ihipStream_tbENKUlT_T0_SE_SJ_E_clIS8_S8_S9_S9_EEDaSX_SY_SE_SJ_EUlSX_E_NS1_11comp_targetILNS1_3genE4ELNS1_11target_archE910ELNS1_3gpuE8ELNS1_3repE0EEENS1_47radix_sort_onesweep_sort_config_static_selectorELNS0_4arch9wavefront6targetE1EEEvSE_,comdat
	.protected	_ZN7rocprim17ROCPRIM_400000_NS6detail17trampoline_kernelINS0_14default_configENS1_35radix_sort_onesweep_config_selectorIsNS0_10empty_typeEEEZZNS1_29radix_sort_onesweep_iterationIS3_Lb0EPsS8_PS5_S9_mNS0_19identity_decomposerENS1_16block_id_wrapperIjLb0EEEEE10hipError_tT1_PNSt15iterator_traitsISE_E10value_typeET2_T3_PNSF_ISK_E10value_typeET4_T5_PSP_SQ_PNS1_23onesweep_lookback_stateEbbT6_jjT7_P12ihipStream_tbENKUlT_T0_SE_SJ_E_clIS8_S8_S9_S9_EEDaSX_SY_SE_SJ_EUlSX_E_NS1_11comp_targetILNS1_3genE4ELNS1_11target_archE910ELNS1_3gpuE8ELNS1_3repE0EEENS1_47radix_sort_onesweep_sort_config_static_selectorELNS0_4arch9wavefront6targetE1EEEvSE_ ; -- Begin function _ZN7rocprim17ROCPRIM_400000_NS6detail17trampoline_kernelINS0_14default_configENS1_35radix_sort_onesweep_config_selectorIsNS0_10empty_typeEEEZZNS1_29radix_sort_onesweep_iterationIS3_Lb0EPsS8_PS5_S9_mNS0_19identity_decomposerENS1_16block_id_wrapperIjLb0EEEEE10hipError_tT1_PNSt15iterator_traitsISE_E10value_typeET2_T3_PNSF_ISK_E10value_typeET4_T5_PSP_SQ_PNS1_23onesweep_lookback_stateEbbT6_jjT7_P12ihipStream_tbENKUlT_T0_SE_SJ_E_clIS8_S8_S9_S9_EEDaSX_SY_SE_SJ_EUlSX_E_NS1_11comp_targetILNS1_3genE4ELNS1_11target_archE910ELNS1_3gpuE8ELNS1_3repE0EEENS1_47radix_sort_onesweep_sort_config_static_selectorELNS0_4arch9wavefront6targetE1EEEvSE_
	.globl	_ZN7rocprim17ROCPRIM_400000_NS6detail17trampoline_kernelINS0_14default_configENS1_35radix_sort_onesweep_config_selectorIsNS0_10empty_typeEEEZZNS1_29radix_sort_onesweep_iterationIS3_Lb0EPsS8_PS5_S9_mNS0_19identity_decomposerENS1_16block_id_wrapperIjLb0EEEEE10hipError_tT1_PNSt15iterator_traitsISE_E10value_typeET2_T3_PNSF_ISK_E10value_typeET4_T5_PSP_SQ_PNS1_23onesweep_lookback_stateEbbT6_jjT7_P12ihipStream_tbENKUlT_T0_SE_SJ_E_clIS8_S8_S9_S9_EEDaSX_SY_SE_SJ_EUlSX_E_NS1_11comp_targetILNS1_3genE4ELNS1_11target_archE910ELNS1_3gpuE8ELNS1_3repE0EEENS1_47radix_sort_onesweep_sort_config_static_selectorELNS0_4arch9wavefront6targetE1EEEvSE_
	.p2align	8
	.type	_ZN7rocprim17ROCPRIM_400000_NS6detail17trampoline_kernelINS0_14default_configENS1_35radix_sort_onesweep_config_selectorIsNS0_10empty_typeEEEZZNS1_29radix_sort_onesweep_iterationIS3_Lb0EPsS8_PS5_S9_mNS0_19identity_decomposerENS1_16block_id_wrapperIjLb0EEEEE10hipError_tT1_PNSt15iterator_traitsISE_E10value_typeET2_T3_PNSF_ISK_E10value_typeET4_T5_PSP_SQ_PNS1_23onesweep_lookback_stateEbbT6_jjT7_P12ihipStream_tbENKUlT_T0_SE_SJ_E_clIS8_S8_S9_S9_EEDaSX_SY_SE_SJ_EUlSX_E_NS1_11comp_targetILNS1_3genE4ELNS1_11target_archE910ELNS1_3gpuE8ELNS1_3repE0EEENS1_47radix_sort_onesweep_sort_config_static_selectorELNS0_4arch9wavefront6targetE1EEEvSE_,@function
_ZN7rocprim17ROCPRIM_400000_NS6detail17trampoline_kernelINS0_14default_configENS1_35radix_sort_onesweep_config_selectorIsNS0_10empty_typeEEEZZNS1_29radix_sort_onesweep_iterationIS3_Lb0EPsS8_PS5_S9_mNS0_19identity_decomposerENS1_16block_id_wrapperIjLb0EEEEE10hipError_tT1_PNSt15iterator_traitsISE_E10value_typeET2_T3_PNSF_ISK_E10value_typeET4_T5_PSP_SQ_PNS1_23onesweep_lookback_stateEbbT6_jjT7_P12ihipStream_tbENKUlT_T0_SE_SJ_E_clIS8_S8_S9_S9_EEDaSX_SY_SE_SJ_EUlSX_E_NS1_11comp_targetILNS1_3genE4ELNS1_11target_archE910ELNS1_3gpuE8ELNS1_3repE0EEENS1_47radix_sort_onesweep_sort_config_static_selectorELNS0_4arch9wavefront6targetE1EEEvSE_: ; @_ZN7rocprim17ROCPRIM_400000_NS6detail17trampoline_kernelINS0_14default_configENS1_35radix_sort_onesweep_config_selectorIsNS0_10empty_typeEEEZZNS1_29radix_sort_onesweep_iterationIS3_Lb0EPsS8_PS5_S9_mNS0_19identity_decomposerENS1_16block_id_wrapperIjLb0EEEEE10hipError_tT1_PNSt15iterator_traitsISE_E10value_typeET2_T3_PNSF_ISK_E10value_typeET4_T5_PSP_SQ_PNS1_23onesweep_lookback_stateEbbT6_jjT7_P12ihipStream_tbENKUlT_T0_SE_SJ_E_clIS8_S8_S9_S9_EEDaSX_SY_SE_SJ_EUlSX_E_NS1_11comp_targetILNS1_3genE4ELNS1_11target_archE910ELNS1_3gpuE8ELNS1_3repE0EEENS1_47radix_sort_onesweep_sort_config_static_selectorELNS0_4arch9wavefront6targetE1EEEvSE_
; %bb.0:
	s_load_dwordx4 s[20:23], s[4:5], 0x44
	s_load_dwordx2 s[24:25], s[4:5], 0x38
	s_load_dwordx4 s[16:19], s[4:5], 0x0
	s_load_dwordx4 s[12:15], s[4:5], 0x28
	s_mul_i32 s26, s6, 0x3000
	s_waitcnt lgkmcnt(0)
	s_cmp_ge_u32 s6, s22
	v_mbcnt_lo_u32_b32 v1, -1, 0
	s_cbranch_scc0 .LBB443_96
; %bb.1:
	s_load_dword s7, s[4:5], 0x20
	s_mul_i32 s2, s22, 0xffffd000
	s_mov_b32 s27, 0
	s_lshl_b64 s[0:1], s[26:27], 1
	v_mbcnt_hi_u32_b32 v11, -1, v1
	s_waitcnt lgkmcnt(0)
	s_add_i32 s7, s7, s2
	v_and_b32_e32 v10, 0x3ff, v0
	s_add_u32 s0, s16, s0
	v_and_b32_e32 v2, 63, v11
	s_addc_u32 s1, s17, s1
	v_and_b32_e32 v3, 0x3c0, v10
	v_lshlrev_b32_e32 v4, 1, v2
	v_mul_u32_u24_e32 v3, 12, v3
	v_mov_b32_e32 v5, s1
	v_add_co_u32_e32 v4, vcc, s0, v4
	v_addc_co_u32_e32 v5, vcc, 0, v5, vcc
	v_lshlrev_b32_e32 v6, 1, v3
	s_mov_b32 s36, 0x7fff7fff
	v_add_co_u32_e32 v12, vcc, v4, v6
	s_mov_b32 s37, s36
	v_addc_co_u32_e32 v13, vcc, 0, v5, vcc
	v_or_b32_e32 v14, v2, v3
	s_mov_b32 s38, s36
	s_mov_b32 s39, s36
	;; [unrolled: 1-line block ×4, first 2 shown]
	v_pk_mov_b32 v[2:3], s[36:37], s[36:37] op_sel:[0,1]
	v_cmp_gt_u32_e32 vcc, s7, v14
	v_pk_mov_b32 v[4:5], s[38:39], s[38:39] op_sel:[0,1]
	v_pk_mov_b32 v[6:7], s[40:41], s[40:41] op_sel:[0,1]
	;; [unrolled: 1-line block ×3, first 2 shown]
	s_and_saveexec_b64 s[0:1], vcc
	s_cbranch_execz .LBB443_3
; %bb.2:
	global_load_ushort v2, v[12:13], off
	s_movk_i32 s2, 0x7fff
	v_mov_b32_e32 v7, 0x5040100
	v_mov_b32_e32 v3, 0x7fff7fff
	;; [unrolled: 1-line block ×5, first 2 shown]
	s_waitcnt vmcnt(0)
	v_perm_b32 v2, s2, v2, v7
	v_mov_b32_e32 v7, v3
.LBB443_3:
	s_or_b64 exec, exec, s[0:1]
	v_or_b32_e32 v8, 64, v14
	v_cmp_gt_u32_e32 vcc, s7, v8
	s_and_saveexec_b64 s[0:1], vcc
	s_cbranch_execz .LBB443_5
; %bb.4:
	global_load_ushort v8, v[12:13], off offset:128
	s_mov_b32 s2, 0x5040100
	s_waitcnt vmcnt(0)
	v_perm_b32 v2, v8, v2, s2
.LBB443_5:
	s_or_b64 exec, exec, s[0:1]
	v_or_b32_e32 v8, 0x80, v14
	v_cmp_gt_u32_e32 vcc, s7, v8
	s_and_saveexec_b64 s[0:1], vcc
	s_cbranch_execz .LBB443_7
; %bb.6:
	global_load_ushort v8, v[12:13], off offset:256
	s_mov_b32 s2, 0xffff
	s_waitcnt vmcnt(0)
	v_bfi_b32 v3, s2, v8, v3
.LBB443_7:
	s_or_b64 exec, exec, s[0:1]
	v_or_b32_e32 v8, 0xc0, v14
	v_cmp_gt_u32_e32 vcc, s7, v8
	s_and_saveexec_b64 s[0:1], vcc
	s_cbranch_execz .LBB443_9
; %bb.8:
	global_load_ushort v8, v[12:13], off offset:384
	s_mov_b32 s2, 0x5040100
	s_waitcnt vmcnt(0)
	v_perm_b32 v3, v8, v3, s2
.LBB443_9:
	s_or_b64 exec, exec, s[0:1]
	v_add_u32_e32 v8, 0x100, v14
	v_cmp_gt_u32_e32 vcc, s7, v8
	s_and_saveexec_b64 s[0:1], vcc
	s_cbranch_execz .LBB443_11
; %bb.10:
	global_load_ushort v8, v[12:13], off offset:512
	s_mov_b32 s2, 0xffff
	s_waitcnt vmcnt(0)
	v_bfi_b32 v4, s2, v8, v4
.LBB443_11:
	s_or_b64 exec, exec, s[0:1]
	v_add_u32_e32 v8, 0x140, v14
	v_cmp_gt_u32_e32 vcc, s7, v8
	s_and_saveexec_b64 s[0:1], vcc
	s_cbranch_execz .LBB443_13
; %bb.12:
	global_load_ushort v8, v[12:13], off offset:640
	s_mov_b32 s2, 0x5040100
	s_waitcnt vmcnt(0)
	v_perm_b32 v4, v8, v4, s2
.LBB443_13:
	s_or_b64 exec, exec, s[0:1]
	v_add_u32_e32 v8, 0x180, v14
	v_cmp_gt_u32_e32 vcc, s7, v8
	s_and_saveexec_b64 s[0:1], vcc
	s_cbranch_execz .LBB443_15
; %bb.14:
	global_load_ushort v8, v[12:13], off offset:768
	s_mov_b32 s2, 0xffff
	s_waitcnt vmcnt(0)
	v_bfi_b32 v5, s2, v8, v5
.LBB443_15:
	s_or_b64 exec, exec, s[0:1]
	v_add_u32_e32 v8, 0x1c0, v14
	;; [unrolled: 22-line block ×4, first 2 shown]
	v_cmp_gt_u32_e32 vcc, s7, v8
	s_and_saveexec_b64 s[0:1], vcc
	s_cbranch_execz .LBB443_25
; %bb.24:
	global_load_ushort v8, v[12:13], off offset:1408
	s_mov_b32 s2, 0x5040100
	s_waitcnt vmcnt(0)
	v_perm_b32 v7, v8, v7, s2
.LBB443_25:
	s_or_b64 exec, exec, s[0:1]
	s_load_dword s0, s[4:5], 0x64
	s_load_dword s27, s[4:5], 0x58
	s_add_u32 s1, s4, 0x58
	s_addc_u32 s2, s5, 0
	v_mov_b32_e32 v8, 0
	s_waitcnt lgkmcnt(0)
	s_lshr_b32 s3, s0, 16
	s_cmp_lt_u32 s6, s27
	s_cselect_b32 s0, 12, 18
	s_add_u32 s0, s1, s0
	s_addc_u32 s1, s2, 0
	global_load_ushort v12, v8, s[0:1]
	v_xor_b32_e32 v14, 0xffff8000, v2
	s_lshl_b32 s0, -1, s21
	v_lshrrev_b32_sdwa v16, s20, v14 dst_sel:DWORD dst_unused:UNUSED_PAD src0_sel:DWORD src1_sel:WORD_0
	s_not_b32 s28, s0
	v_and_b32_e32 v16, s28, v16
	v_and_b32_e32 v18, 1, v16
	v_bfe_u32 v9, v0, 10, 10
	v_bfe_u32 v13, v0, 20, 10
	v_add_co_u32_e32 v19, vcc, -1, v18
	v_mad_u32_u24 v13, v13, s3, v9
	v_lshlrev_b32_e32 v9, 30, v16
	v_addc_co_u32_e64 v20, s[0:1], 0, -1, vcc
	v_cmp_ne_u32_e32 vcc, 0, v18
	v_cmp_gt_i64_e64 s[0:1], 0, v[8:9]
	v_not_b32_e32 v18, v9
	v_lshlrev_b32_e32 v9, 29, v16
	v_xor_b32_e32 v20, vcc_hi, v20
	v_xor_b32_e32 v19, vcc_lo, v19
	v_ashrrev_i32_e32 v18, 31, v18
	v_cmp_gt_i64_e32 vcc, 0, v[8:9]
	v_not_b32_e32 v21, v9
	v_lshlrev_b32_e32 v9, 28, v16
	v_and_b32_e32 v20, exec_hi, v20
	v_and_b32_e32 v19, exec_lo, v19
	v_xor_b32_e32 v22, s1, v18
	v_xor_b32_e32 v18, s0, v18
	v_ashrrev_i32_e32 v21, 31, v21
	v_cmp_gt_i64_e64 s[0:1], 0, v[8:9]
	v_not_b32_e32 v23, v9
	v_lshlrev_b32_e32 v9, 27, v16
	v_and_b32_e32 v20, v20, v22
	v_and_b32_e32 v18, v19, v18
	v_xor_b32_e32 v19, vcc_hi, v21
	v_xor_b32_e32 v21, vcc_lo, v21
	v_ashrrev_i32_e32 v22, 31, v23
	v_cmp_gt_i64_e32 vcc, 0, v[8:9]
	v_not_b32_e32 v23, v9
	v_lshlrev_b32_e32 v9, 26, v16
	v_and_b32_e32 v19, v20, v19
	v_and_b32_e32 v18, v18, v21
	v_xor_b32_e32 v20, s1, v22
	v_xor_b32_e32 v21, s0, v22
	v_ashrrev_i32_e32 v22, 31, v23
	v_cmp_gt_i64_e64 s[0:1], 0, v[8:9]
	v_not_b32_e32 v23, v9
	v_lshlrev_b32_e32 v9, 25, v16
	v_and_b32_e32 v19, v19, v20
	v_and_b32_e32 v18, v18, v21
	v_xor_b32_e32 v20, vcc_hi, v22
	v_xor_b32_e32 v21, vcc_lo, v22
	v_ashrrev_i32_e32 v22, 31, v23
	v_cmp_gt_i64_e32 vcc, 0, v[8:9]
	v_not_b32_e32 v23, v9
	v_lshlrev_b32_e32 v9, 24, v16
	v_mul_u32_u24_e32 v17, 17, v16
	v_and_b32_e32 v16, v19, v20
	v_and_b32_e32 v18, v18, v21
	v_xor_b32_e32 v19, s1, v22
	v_xor_b32_e32 v20, s0, v22
	v_ashrrev_i32_e32 v21, 31, v23
	v_cmp_gt_i64_e64 s[0:1], 0, v[8:9]
	v_not_b32_e32 v9, v9
	v_and_b32_e32 v16, v16, v19
	v_and_b32_e32 v18, v18, v20
	v_xor_b32_e32 v19, vcc_hi, v21
	v_xor_b32_e32 v20, vcc_lo, v21
	v_ashrrev_i32_e32 v9, 31, v9
	v_and_b32_e32 v16, v16, v19
	v_and_b32_e32 v18, v18, v20
	v_mul_u32_u24_e32 v15, 5, v10
	s_movk_i32 s2, 0x8000
	v_lshlrev_b32_e32 v15, 2, v15
	ds_write2_b32 v15, v8, v8 offset0:16 offset1:17
	ds_write2_b32 v15, v8, v8 offset0:18 offset1:19
	ds_write_b32 v15, v8 offset:80
	s_waitcnt lgkmcnt(0)
	s_barrier
	s_waitcnt vmcnt(0)
	v_mad_u64_u32 v[12:13], s[8:9], v13, v12, v[10:11]
	v_lshrrev_b32_e32 v26, 6, v12
	v_xor_b32_e32 v12, s1, v9
	v_xor_b32_e32 v9, s0, v9
	v_and_b32_e32 v13, v16, v12
	v_and_b32_e32 v12, v18, v9
	v_mbcnt_lo_u32_b32 v9, v12, 0
	v_mbcnt_hi_u32_b32 v16, v13, v9
	v_cmp_eq_u32_e32 vcc, 0, v16
	v_cmp_ne_u64_e64 s[0:1], 0, v[12:13]
	v_add_lshl_u32 v19, v26, v17, 2
	s_and_b64 s[8:9], s[0:1], vcc
	; wave barrier
	s_and_saveexec_b64 s[0:1], s[8:9]
	s_cbranch_execz .LBB443_27
; %bb.26:
	v_bcnt_u32_b32 v9, v12, 0
	v_bcnt_u32_b32 v9, v13, v9
	ds_write_b32 v19, v9 offset:64
.LBB443_27:
	s_or_b64 exec, exec, s[0:1]
	v_xor_b32_sdwa v17, v2, s2 dst_sel:DWORD dst_unused:UNUSED_PAD src0_sel:WORD_1 src1_sel:DWORD
	v_lshrrev_b32_sdwa v2, s20, v17 dst_sel:DWORD dst_unused:UNUSED_PAD src0_sel:DWORD src1_sel:WORD_0
	v_and_b32_e32 v2, s28, v2
	v_mul_u32_u24_e32 v9, 17, v2
	v_add_lshl_u32 v20, v26, v9, 2
	v_and_b32_e32 v9, 1, v2
	v_add_co_u32_e32 v12, vcc, -1, v9
	v_addc_co_u32_e64 v13, s[0:1], 0, -1, vcc
	v_cmp_ne_u32_e32 vcc, 0, v9
	v_xor_b32_e32 v9, vcc_hi, v13
	v_and_b32_e32 v13, exec_hi, v9
	v_lshlrev_b32_e32 v9, 30, v2
	v_xor_b32_e32 v12, vcc_lo, v12
	v_cmp_gt_i64_e32 vcc, 0, v[8:9]
	v_not_b32_e32 v9, v9
	v_ashrrev_i32_e32 v9, 31, v9
	v_and_b32_e32 v12, exec_lo, v12
	v_xor_b32_e32 v21, vcc_hi, v9
	v_xor_b32_e32 v9, vcc_lo, v9
	v_and_b32_e32 v12, v12, v9
	v_lshlrev_b32_e32 v9, 29, v2
	v_cmp_gt_i64_e32 vcc, 0, v[8:9]
	v_not_b32_e32 v9, v9
	v_ashrrev_i32_e32 v9, 31, v9
	v_and_b32_e32 v13, v13, v21
	v_xor_b32_e32 v21, vcc_hi, v9
	v_xor_b32_e32 v9, vcc_lo, v9
	v_and_b32_e32 v12, v12, v9
	v_lshlrev_b32_e32 v9, 28, v2
	v_cmp_gt_i64_e32 vcc, 0, v[8:9]
	v_not_b32_e32 v9, v9
	v_ashrrev_i32_e32 v9, 31, v9
	v_and_b32_e32 v13, v13, v21
	;; [unrolled: 8-line block ×5, first 2 shown]
	v_xor_b32_e32 v21, vcc_hi, v9
	v_xor_b32_e32 v9, vcc_lo, v9
	v_and_b32_e32 v12, v12, v9
	v_lshlrev_b32_e32 v9, 24, v2
	v_not_b32_e32 v2, v9
	v_cmp_gt_i64_e32 vcc, 0, v[8:9]
	v_ashrrev_i32_e32 v2, 31, v2
	v_and_b32_e32 v13, v13, v21
	v_xor_b32_e32 v8, vcc_hi, v2
	v_xor_b32_e32 v2, vcc_lo, v2
	; wave barrier
	ds_read_b32 v18, v20 offset:64
	v_and_b32_e32 v9, v13, v8
	v_and_b32_e32 v8, v12, v2
	v_mbcnt_lo_u32_b32 v2, v8, 0
	v_mbcnt_hi_u32_b32 v21, v9, v2
	v_cmp_eq_u32_e32 vcc, 0, v21
	v_cmp_ne_u64_e64 s[0:1], 0, v[8:9]
	s_and_b64 s[2:3], s[0:1], vcc
	; wave barrier
	s_and_saveexec_b64 s[0:1], s[2:3]
	s_cbranch_execz .LBB443_29
; %bb.28:
	v_bcnt_u32_b32 v2, v8, 0
	v_bcnt_u32_b32 v2, v9, v2
	s_waitcnt lgkmcnt(0)
	v_add_u32_e32 v2, v18, v2
	ds_write_b32 v20, v2 offset:64
.LBB443_29:
	s_or_b64 exec, exec, s[0:1]
	v_xor_b32_e32 v22, 0xffff8000, v3
	v_lshrrev_b32_sdwa v2, s20, v22 dst_sel:DWORD dst_unused:UNUSED_PAD src0_sel:DWORD src1_sel:WORD_0
	v_and_b32_e32 v2, s28, v2
	v_and_b32_e32 v9, 1, v2
	v_add_co_u32_e32 v12, vcc, -1, v9
	v_addc_co_u32_e64 v13, s[0:1], 0, -1, vcc
	v_cmp_ne_u32_e32 vcc, 0, v9
	v_mul_u32_u24_e32 v8, 17, v2
	v_xor_b32_e32 v9, vcc_hi, v13
	v_add_lshl_u32 v24, v26, v8, 2
	v_mov_b32_e32 v8, 0
	v_and_b32_e32 v13, exec_hi, v9
	v_lshlrev_b32_e32 v9, 30, v2
	v_xor_b32_e32 v12, vcc_lo, v12
	v_cmp_gt_i64_e32 vcc, 0, v[8:9]
	v_not_b32_e32 v9, v9
	v_ashrrev_i32_e32 v9, 31, v9
	v_and_b32_e32 v12, exec_lo, v12
	v_xor_b32_e32 v25, vcc_hi, v9
	v_xor_b32_e32 v9, vcc_lo, v9
	v_and_b32_e32 v12, v12, v9
	v_lshlrev_b32_e32 v9, 29, v2
	v_cmp_gt_i64_e32 vcc, 0, v[8:9]
	v_not_b32_e32 v9, v9
	v_ashrrev_i32_e32 v9, 31, v9
	v_and_b32_e32 v13, v13, v25
	v_xor_b32_e32 v25, vcc_hi, v9
	v_xor_b32_e32 v9, vcc_lo, v9
	v_and_b32_e32 v12, v12, v9
	v_lshlrev_b32_e32 v9, 28, v2
	v_cmp_gt_i64_e32 vcc, 0, v[8:9]
	v_not_b32_e32 v9, v9
	v_ashrrev_i32_e32 v9, 31, v9
	v_and_b32_e32 v13, v13, v25
	;; [unrolled: 8-line block ×5, first 2 shown]
	v_xor_b32_e32 v25, vcc_hi, v9
	v_xor_b32_e32 v9, vcc_lo, v9
	v_and_b32_e32 v12, v12, v9
	v_lshlrev_b32_e32 v9, 24, v2
	v_not_b32_e32 v2, v9
	v_cmp_gt_i64_e32 vcc, 0, v[8:9]
	v_ashrrev_i32_e32 v2, 31, v2
	v_xor_b32_e32 v9, vcc_hi, v2
	v_xor_b32_e32 v2, vcc_lo, v2
	; wave barrier
	ds_read_b32 v23, v24 offset:64
	v_and_b32_e32 v13, v13, v25
	v_and_b32_e32 v12, v12, v2
	;; [unrolled: 1-line block ×3, first 2 shown]
	v_mbcnt_lo_u32_b32 v2, v12, 0
	v_mbcnt_hi_u32_b32 v25, v13, v2
	v_cmp_eq_u32_e32 vcc, 0, v25
	v_cmp_ne_u64_e64 s[0:1], 0, v[12:13]
	s_movk_i32 s2, 0x8000
	s_and_b64 s[8:9], s[0:1], vcc
	; wave barrier
	s_and_saveexec_b64 s[0:1], s[8:9]
	s_cbranch_execz .LBB443_31
; %bb.30:
	v_bcnt_u32_b32 v2, v12, 0
	v_bcnt_u32_b32 v2, v13, v2
	s_waitcnt lgkmcnt(0)
	v_add_u32_e32 v2, v23, v2
	ds_write_b32 v24, v2 offset:64
.LBB443_31:
	s_or_b64 exec, exec, s[0:1]
	v_xor_b32_sdwa v12, v3, s2 dst_sel:DWORD dst_unused:UNUSED_PAD src0_sel:WORD_1 src1_sel:DWORD
	v_lshrrev_b32_sdwa v2, s20, v12 dst_sel:DWORD dst_unused:UNUSED_PAD src0_sel:DWORD src1_sel:WORD_0
	v_and_b32_e32 v2, s28, v2
	v_mul_u32_u24_e32 v3, 17, v2
	v_add_lshl_u32 v27, v26, v3, 2
	v_and_b32_e32 v3, 1, v2
	v_add_co_u32_e32 v9, vcc, -1, v3
	v_addc_co_u32_e64 v28, s[0:1], 0, -1, vcc
	v_cmp_ne_u32_e32 vcc, 0, v3
	v_xor_b32_e32 v9, vcc_lo, v9
	v_xor_b32_e32 v3, vcc_hi, v28
	v_and_b32_e32 v28, exec_lo, v9
	v_lshlrev_b32_e32 v9, 30, v2
	v_cmp_gt_i64_e32 vcc, 0, v[8:9]
	v_not_b32_e32 v9, v9
	v_ashrrev_i32_e32 v9, 31, v9
	v_xor_b32_e32 v29, vcc_hi, v9
	v_xor_b32_e32 v9, vcc_lo, v9
	v_and_b32_e32 v28, v28, v9
	v_lshlrev_b32_e32 v9, 29, v2
	v_cmp_gt_i64_e32 vcc, 0, v[8:9]
	v_not_b32_e32 v9, v9
	v_and_b32_e32 v3, exec_hi, v3
	v_ashrrev_i32_e32 v9, 31, v9
	v_and_b32_e32 v3, v3, v29
	v_xor_b32_e32 v29, vcc_hi, v9
	v_xor_b32_e32 v9, vcc_lo, v9
	v_and_b32_e32 v28, v28, v9
	v_lshlrev_b32_e32 v9, 28, v2
	v_cmp_gt_i64_e32 vcc, 0, v[8:9]
	v_not_b32_e32 v9, v9
	v_ashrrev_i32_e32 v9, 31, v9
	v_and_b32_e32 v3, v3, v29
	v_xor_b32_e32 v29, vcc_hi, v9
	v_xor_b32_e32 v9, vcc_lo, v9
	v_and_b32_e32 v28, v28, v9
	v_lshlrev_b32_e32 v9, 27, v2
	v_cmp_gt_i64_e32 vcc, 0, v[8:9]
	v_not_b32_e32 v9, v9
	;; [unrolled: 8-line block ×4, first 2 shown]
	v_ashrrev_i32_e32 v9, 31, v9
	v_and_b32_e32 v3, v3, v29
	v_xor_b32_e32 v29, vcc_hi, v9
	v_xor_b32_e32 v9, vcc_lo, v9
	v_and_b32_e32 v28, v28, v9
	v_lshlrev_b32_e32 v9, 24, v2
	v_not_b32_e32 v2, v9
	v_cmp_gt_i64_e32 vcc, 0, v[8:9]
	v_ashrrev_i32_e32 v2, 31, v2
	v_xor_b32_e32 v8, vcc_hi, v2
	v_xor_b32_e32 v2, vcc_lo, v2
	; wave barrier
	ds_read_b32 v13, v27 offset:64
	v_and_b32_e32 v3, v3, v29
	v_and_b32_e32 v2, v28, v2
	;; [unrolled: 1-line block ×3, first 2 shown]
	v_mbcnt_lo_u32_b32 v8, v2, 0
	v_mbcnt_hi_u32_b32 v28, v3, v8
	v_cmp_eq_u32_e32 vcc, 0, v28
	v_cmp_ne_u64_e64 s[0:1], 0, v[2:3]
	s_and_b64 s[2:3], s[0:1], vcc
	; wave barrier
	s_and_saveexec_b64 s[0:1], s[2:3]
	s_cbranch_execz .LBB443_33
; %bb.32:
	v_bcnt_u32_b32 v2, v2, 0
	v_bcnt_u32_b32 v2, v3, v2
	s_waitcnt lgkmcnt(0)
	v_add_u32_e32 v2, v13, v2
	ds_write_b32 v27, v2 offset:64
.LBB443_33:
	s_or_b64 exec, exec, s[0:1]
	v_xor_b32_e32 v29, 0xffff8000, v4
	v_lshrrev_b32_sdwa v2, s20, v29 dst_sel:DWORD dst_unused:UNUSED_PAD src0_sel:DWORD src1_sel:WORD_0
	v_and_b32_e32 v8, s28, v2
	v_and_b32_e32 v3, 1, v8
	v_add_co_u32_e32 v9, vcc, -1, v3
	v_addc_co_u32_e64 v32, s[0:1], 0, -1, vcc
	v_cmp_ne_u32_e32 vcc, 0, v3
	v_mul_u32_u24_e32 v2, 17, v8
	v_xor_b32_e32 v3, vcc_hi, v32
	v_add_lshl_u32 v31, v26, v2, 2
	v_mov_b32_e32 v2, 0
	v_and_b32_e32 v32, exec_hi, v3
	v_lshlrev_b32_e32 v3, 30, v8
	v_xor_b32_e32 v9, vcc_lo, v9
	v_cmp_gt_i64_e32 vcc, 0, v[2:3]
	v_not_b32_e32 v3, v3
	v_ashrrev_i32_e32 v3, 31, v3
	v_and_b32_e32 v9, exec_lo, v9
	v_xor_b32_e32 v33, vcc_hi, v3
	v_xor_b32_e32 v3, vcc_lo, v3
	v_and_b32_e32 v9, v9, v3
	v_lshlrev_b32_e32 v3, 29, v8
	v_cmp_gt_i64_e32 vcc, 0, v[2:3]
	v_not_b32_e32 v3, v3
	v_ashrrev_i32_e32 v3, 31, v3
	v_and_b32_e32 v32, v32, v33
	v_xor_b32_e32 v33, vcc_hi, v3
	v_xor_b32_e32 v3, vcc_lo, v3
	v_and_b32_e32 v9, v9, v3
	v_lshlrev_b32_e32 v3, 28, v8
	v_cmp_gt_i64_e32 vcc, 0, v[2:3]
	v_not_b32_e32 v3, v3
	v_ashrrev_i32_e32 v3, 31, v3
	v_and_b32_e32 v32, v32, v33
	;; [unrolled: 8-line block ×5, first 2 shown]
	v_xor_b32_e32 v33, vcc_hi, v3
	v_xor_b32_e32 v3, vcc_lo, v3
	v_and_b32_e32 v32, v32, v33
	v_and_b32_e32 v33, v9, v3
	v_lshlrev_b32_e32 v3, 24, v8
	v_cmp_gt_i64_e32 vcc, 0, v[2:3]
	v_not_b32_e32 v3, v3
	v_ashrrev_i32_e32 v3, 31, v3
	v_xor_b32_e32 v8, vcc_hi, v3
	v_xor_b32_e32 v3, vcc_lo, v3
	; wave barrier
	ds_read_b32 v30, v31 offset:64
	v_and_b32_e32 v9, v32, v8
	v_and_b32_e32 v8, v33, v3
	v_mbcnt_lo_u32_b32 v3, v8, 0
	v_mbcnt_hi_u32_b32 v33, v9, v3
	v_cmp_eq_u32_e32 vcc, 0, v33
	v_cmp_ne_u64_e64 s[0:1], 0, v[8:9]
	s_movk_i32 s2, 0x8000
	s_and_b64 s[8:9], s[0:1], vcc
	; wave barrier
	s_and_saveexec_b64 s[0:1], s[8:9]
	s_cbranch_execz .LBB443_35
; %bb.34:
	v_bcnt_u32_b32 v3, v8, 0
	v_bcnt_u32_b32 v3, v9, v3
	s_waitcnt lgkmcnt(0)
	v_add_u32_e32 v3, v30, v3
	ds_write_b32 v31, v3 offset:64
.LBB443_35:
	s_or_b64 exec, exec, s[0:1]
	v_xor_b32_sdwa v32, v4, s2 dst_sel:DWORD dst_unused:UNUSED_PAD src0_sel:WORD_1 src1_sel:DWORD
	v_lshrrev_b32_sdwa v3, s20, v32 dst_sel:DWORD dst_unused:UNUSED_PAD src0_sel:DWORD src1_sel:WORD_0
	v_and_b32_e32 v4, s28, v3
	v_mul_u32_u24_e32 v3, 17, v4
	v_add_lshl_u32 v35, v26, v3, 2
	v_and_b32_e32 v3, 1, v4
	v_add_co_u32_e32 v8, vcc, -1, v3
	v_addc_co_u32_e64 v9, s[0:1], 0, -1, vcc
	v_cmp_ne_u32_e32 vcc, 0, v3
	v_xor_b32_e32 v3, vcc_hi, v9
	v_and_b32_e32 v9, exec_hi, v3
	v_lshlrev_b32_e32 v3, 30, v4
	v_xor_b32_e32 v8, vcc_lo, v8
	v_cmp_gt_i64_e32 vcc, 0, v[2:3]
	v_not_b32_e32 v3, v3
	v_ashrrev_i32_e32 v3, 31, v3
	v_and_b32_e32 v8, exec_lo, v8
	v_xor_b32_e32 v36, vcc_hi, v3
	v_xor_b32_e32 v3, vcc_lo, v3
	v_and_b32_e32 v8, v8, v3
	v_lshlrev_b32_e32 v3, 29, v4
	v_cmp_gt_i64_e32 vcc, 0, v[2:3]
	v_not_b32_e32 v3, v3
	v_ashrrev_i32_e32 v3, 31, v3
	v_and_b32_e32 v9, v9, v36
	v_xor_b32_e32 v36, vcc_hi, v3
	v_xor_b32_e32 v3, vcc_lo, v3
	v_and_b32_e32 v8, v8, v3
	v_lshlrev_b32_e32 v3, 28, v4
	v_cmp_gt_i64_e32 vcc, 0, v[2:3]
	v_not_b32_e32 v3, v3
	v_ashrrev_i32_e32 v3, 31, v3
	v_and_b32_e32 v9, v9, v36
	;; [unrolled: 8-line block ×5, first 2 shown]
	v_xor_b32_e32 v36, vcc_hi, v3
	v_xor_b32_e32 v3, vcc_lo, v3
	v_and_b32_e32 v8, v8, v3
	v_lshlrev_b32_e32 v3, 24, v4
	v_cmp_gt_i64_e32 vcc, 0, v[2:3]
	v_not_b32_e32 v2, v3
	v_ashrrev_i32_e32 v2, 31, v2
	v_xor_b32_e32 v3, vcc_hi, v2
	v_xor_b32_e32 v2, vcc_lo, v2
	; wave barrier
	ds_read_b32 v34, v35 offset:64
	v_and_b32_e32 v9, v9, v36
	v_and_b32_e32 v2, v8, v2
	;; [unrolled: 1-line block ×3, first 2 shown]
	v_mbcnt_lo_u32_b32 v4, v2, 0
	v_mbcnt_hi_u32_b32 v37, v3, v4
	v_cmp_eq_u32_e32 vcc, 0, v37
	v_cmp_ne_u64_e64 s[0:1], 0, v[2:3]
	s_and_b64 s[2:3], s[0:1], vcc
	; wave barrier
	s_and_saveexec_b64 s[0:1], s[2:3]
	s_cbranch_execz .LBB443_37
; %bb.36:
	v_bcnt_u32_b32 v2, v2, 0
	v_bcnt_u32_b32 v2, v3, v2
	s_waitcnt lgkmcnt(0)
	v_add_u32_e32 v2, v34, v2
	ds_write_b32 v35, v2 offset:64
.LBB443_37:
	s_or_b64 exec, exec, s[0:1]
	v_xor_b32_e32 v36, 0xffff8000, v5
	v_lshrrev_b32_sdwa v2, s20, v36 dst_sel:DWORD dst_unused:UNUSED_PAD src0_sel:DWORD src1_sel:WORD_0
	v_and_b32_e32 v4, s28, v2
	v_and_b32_e32 v3, 1, v4
	v_add_co_u32_e32 v8, vcc, -1, v3
	v_addc_co_u32_e64 v9, s[0:1], 0, -1, vcc
	v_cmp_ne_u32_e32 vcc, 0, v3
	v_mul_u32_u24_e32 v2, 17, v4
	v_xor_b32_e32 v3, vcc_hi, v9
	v_add_lshl_u32 v39, v26, v2, 2
	v_mov_b32_e32 v2, 0
	v_and_b32_e32 v9, exec_hi, v3
	v_lshlrev_b32_e32 v3, 30, v4
	v_xor_b32_e32 v8, vcc_lo, v8
	v_cmp_gt_i64_e32 vcc, 0, v[2:3]
	v_not_b32_e32 v3, v3
	v_ashrrev_i32_e32 v3, 31, v3
	v_and_b32_e32 v8, exec_lo, v8
	v_xor_b32_e32 v40, vcc_hi, v3
	v_xor_b32_e32 v3, vcc_lo, v3
	v_and_b32_e32 v8, v8, v3
	v_lshlrev_b32_e32 v3, 29, v4
	v_cmp_gt_i64_e32 vcc, 0, v[2:3]
	v_not_b32_e32 v3, v3
	v_ashrrev_i32_e32 v3, 31, v3
	v_and_b32_e32 v9, v9, v40
	v_xor_b32_e32 v40, vcc_hi, v3
	v_xor_b32_e32 v3, vcc_lo, v3
	v_and_b32_e32 v8, v8, v3
	v_lshlrev_b32_e32 v3, 28, v4
	v_cmp_gt_i64_e32 vcc, 0, v[2:3]
	v_not_b32_e32 v3, v3
	v_ashrrev_i32_e32 v3, 31, v3
	v_and_b32_e32 v9, v9, v40
	;; [unrolled: 8-line block ×5, first 2 shown]
	v_xor_b32_e32 v40, vcc_hi, v3
	v_xor_b32_e32 v3, vcc_lo, v3
	v_and_b32_e32 v8, v8, v3
	v_lshlrev_b32_e32 v3, 24, v4
	v_cmp_gt_i64_e32 vcc, 0, v[2:3]
	v_not_b32_e32 v3, v3
	v_ashrrev_i32_e32 v3, 31, v3
	v_xor_b32_e32 v4, vcc_hi, v3
	v_xor_b32_e32 v3, vcc_lo, v3
	; wave barrier
	ds_read_b32 v38, v39 offset:64
	v_and_b32_e32 v9, v9, v40
	v_and_b32_e32 v8, v8, v3
	v_and_b32_e32 v9, v9, v4
	v_mbcnt_lo_u32_b32 v3, v8, 0
	v_mbcnt_hi_u32_b32 v40, v9, v3
	v_cmp_eq_u32_e32 vcc, 0, v40
	v_cmp_ne_u64_e64 s[0:1], 0, v[8:9]
	s_movk_i32 s2, 0x8000
	s_and_b64 s[8:9], s[0:1], vcc
	; wave barrier
	s_and_saveexec_b64 s[0:1], s[8:9]
	s_cbranch_execz .LBB443_39
; %bb.38:
	v_bcnt_u32_b32 v3, v8, 0
	v_bcnt_u32_b32 v3, v9, v3
	s_waitcnt lgkmcnt(0)
	v_add_u32_e32 v3, v38, v3
	ds_write_b32 v39, v3 offset:64
.LBB443_39:
	s_or_b64 exec, exec, s[0:1]
	v_xor_b32_sdwa v8, v5, s2 dst_sel:DWORD dst_unused:UNUSED_PAD src0_sel:WORD_1 src1_sel:DWORD
	v_lshrrev_b32_sdwa v3, s20, v8 dst_sel:DWORD dst_unused:UNUSED_PAD src0_sel:DWORD src1_sel:WORD_0
	v_and_b32_e32 v4, s28, v3
	v_mul_u32_u24_e32 v3, 17, v4
	v_add_lshl_u32 v41, v26, v3, 2
	v_and_b32_e32 v3, 1, v4
	v_add_co_u32_e32 v5, vcc, -1, v3
	v_addc_co_u32_e64 v42, s[0:1], 0, -1, vcc
	v_cmp_ne_u32_e32 vcc, 0, v3
	v_xor_b32_e32 v3, vcc_hi, v42
	v_and_b32_e32 v42, exec_hi, v3
	v_lshlrev_b32_e32 v3, 30, v4
	v_xor_b32_e32 v5, vcc_lo, v5
	v_cmp_gt_i64_e32 vcc, 0, v[2:3]
	v_not_b32_e32 v3, v3
	v_ashrrev_i32_e32 v3, 31, v3
	v_and_b32_e32 v5, exec_lo, v5
	v_xor_b32_e32 v43, vcc_hi, v3
	v_xor_b32_e32 v3, vcc_lo, v3
	v_and_b32_e32 v5, v5, v3
	v_lshlrev_b32_e32 v3, 29, v4
	v_cmp_gt_i64_e32 vcc, 0, v[2:3]
	v_not_b32_e32 v3, v3
	v_ashrrev_i32_e32 v3, 31, v3
	v_and_b32_e32 v42, v42, v43
	v_xor_b32_e32 v43, vcc_hi, v3
	v_xor_b32_e32 v3, vcc_lo, v3
	v_and_b32_e32 v5, v5, v3
	v_lshlrev_b32_e32 v3, 28, v4
	v_cmp_gt_i64_e32 vcc, 0, v[2:3]
	v_not_b32_e32 v3, v3
	v_ashrrev_i32_e32 v3, 31, v3
	v_and_b32_e32 v42, v42, v43
	;; [unrolled: 8-line block ×5, first 2 shown]
	v_xor_b32_e32 v43, vcc_hi, v3
	v_xor_b32_e32 v3, vcc_lo, v3
	v_and_b32_e32 v5, v5, v3
	v_lshlrev_b32_e32 v3, 24, v4
	v_cmp_gt_i64_e32 vcc, 0, v[2:3]
	v_not_b32_e32 v2, v3
	v_ashrrev_i32_e32 v2, 31, v2
	v_xor_b32_e32 v3, vcc_hi, v2
	v_xor_b32_e32 v2, vcc_lo, v2
	; wave barrier
	ds_read_b32 v9, v41 offset:64
	v_and_b32_e32 v42, v42, v43
	v_and_b32_e32 v2, v5, v2
	;; [unrolled: 1-line block ×3, first 2 shown]
	v_mbcnt_lo_u32_b32 v4, v2, 0
	v_mbcnt_hi_u32_b32 v43, v3, v4
	v_cmp_eq_u32_e32 vcc, 0, v43
	v_cmp_ne_u64_e64 s[0:1], 0, v[2:3]
	s_and_b64 s[2:3], s[0:1], vcc
	; wave barrier
	s_and_saveexec_b64 s[0:1], s[2:3]
	s_cbranch_execz .LBB443_41
; %bb.40:
	v_bcnt_u32_b32 v2, v2, 0
	v_bcnt_u32_b32 v2, v3, v2
	s_waitcnt lgkmcnt(0)
	v_add_u32_e32 v2, v9, v2
	ds_write_b32 v41, v2 offset:64
.LBB443_41:
	s_or_b64 exec, exec, s[0:1]
	v_xor_b32_e32 v42, 0xffff8000, v6
	v_lshrrev_b32_sdwa v2, s20, v42 dst_sel:DWORD dst_unused:UNUSED_PAD src0_sel:DWORD src1_sel:WORD_0
	v_and_b32_e32 v4, s28, v2
	v_and_b32_e32 v3, 1, v4
	v_add_co_u32_e32 v5, vcc, -1, v3
	v_addc_co_u32_e64 v46, s[0:1], 0, -1, vcc
	v_cmp_ne_u32_e32 vcc, 0, v3
	v_mul_u32_u24_e32 v2, 17, v4
	v_xor_b32_e32 v3, vcc_hi, v46
	v_add_lshl_u32 v45, v26, v2, 2
	v_mov_b32_e32 v2, 0
	v_and_b32_e32 v46, exec_hi, v3
	v_lshlrev_b32_e32 v3, 30, v4
	v_xor_b32_e32 v5, vcc_lo, v5
	v_cmp_gt_i64_e32 vcc, 0, v[2:3]
	v_not_b32_e32 v3, v3
	v_ashrrev_i32_e32 v3, 31, v3
	v_and_b32_e32 v5, exec_lo, v5
	v_xor_b32_e32 v47, vcc_hi, v3
	v_xor_b32_e32 v3, vcc_lo, v3
	v_and_b32_e32 v5, v5, v3
	v_lshlrev_b32_e32 v3, 29, v4
	v_cmp_gt_i64_e32 vcc, 0, v[2:3]
	v_not_b32_e32 v3, v3
	v_ashrrev_i32_e32 v3, 31, v3
	v_and_b32_e32 v46, v46, v47
	v_xor_b32_e32 v47, vcc_hi, v3
	v_xor_b32_e32 v3, vcc_lo, v3
	v_and_b32_e32 v5, v5, v3
	v_lshlrev_b32_e32 v3, 28, v4
	v_cmp_gt_i64_e32 vcc, 0, v[2:3]
	v_not_b32_e32 v3, v3
	v_ashrrev_i32_e32 v3, 31, v3
	v_and_b32_e32 v46, v46, v47
	;; [unrolled: 8-line block ×5, first 2 shown]
	v_xor_b32_e32 v47, vcc_hi, v3
	v_xor_b32_e32 v3, vcc_lo, v3
	v_and_b32_e32 v46, v46, v47
	v_and_b32_e32 v47, v5, v3
	v_lshlrev_b32_e32 v3, 24, v4
	v_cmp_gt_i64_e32 vcc, 0, v[2:3]
	v_not_b32_e32 v3, v3
	v_ashrrev_i32_e32 v3, 31, v3
	v_xor_b32_e32 v4, vcc_hi, v3
	v_xor_b32_e32 v3, vcc_lo, v3
	; wave barrier
	ds_read_b32 v44, v45 offset:64
	v_and_b32_e32 v5, v46, v4
	v_and_b32_e32 v4, v47, v3
	v_mbcnt_lo_u32_b32 v3, v4, 0
	v_mbcnt_hi_u32_b32 v46, v5, v3
	v_cmp_eq_u32_e32 vcc, 0, v46
	v_cmp_ne_u64_e64 s[0:1], 0, v[4:5]
	s_movk_i32 s2, 0x8000
	s_and_b64 s[8:9], s[0:1], vcc
	; wave barrier
	s_and_saveexec_b64 s[0:1], s[8:9]
	s_cbranch_execz .LBB443_43
; %bb.42:
	v_bcnt_u32_b32 v3, v4, 0
	v_bcnt_u32_b32 v3, v5, v3
	s_waitcnt lgkmcnt(0)
	v_add_u32_e32 v3, v44, v3
	ds_write_b32 v45, v3 offset:64
.LBB443_43:
	s_or_b64 exec, exec, s[0:1]
	v_xor_b32_sdwa v6, v6, s2 dst_sel:DWORD dst_unused:UNUSED_PAD src0_sel:WORD_1 src1_sel:DWORD
	v_lshrrev_b32_sdwa v3, s20, v6 dst_sel:DWORD dst_unused:UNUSED_PAD src0_sel:DWORD src1_sel:WORD_0
	v_and_b32_e32 v4, s28, v3
	v_mul_u32_u24_e32 v3, 17, v4
	v_add_lshl_u32 v48, v26, v3, 2
	v_and_b32_e32 v3, 1, v4
	v_add_co_u32_e32 v5, vcc, -1, v3
	v_addc_co_u32_e64 v49, s[0:1], 0, -1, vcc
	v_cmp_ne_u32_e32 vcc, 0, v3
	v_xor_b32_e32 v3, vcc_hi, v49
	v_and_b32_e32 v49, exec_hi, v3
	v_lshlrev_b32_e32 v3, 30, v4
	v_xor_b32_e32 v5, vcc_lo, v5
	v_cmp_gt_i64_e32 vcc, 0, v[2:3]
	v_not_b32_e32 v3, v3
	v_ashrrev_i32_e32 v3, 31, v3
	v_and_b32_e32 v5, exec_lo, v5
	v_xor_b32_e32 v50, vcc_hi, v3
	v_xor_b32_e32 v3, vcc_lo, v3
	v_and_b32_e32 v5, v5, v3
	v_lshlrev_b32_e32 v3, 29, v4
	v_cmp_gt_i64_e32 vcc, 0, v[2:3]
	v_not_b32_e32 v3, v3
	v_ashrrev_i32_e32 v3, 31, v3
	v_and_b32_e32 v49, v49, v50
	v_xor_b32_e32 v50, vcc_hi, v3
	v_xor_b32_e32 v3, vcc_lo, v3
	v_and_b32_e32 v5, v5, v3
	v_lshlrev_b32_e32 v3, 28, v4
	v_cmp_gt_i64_e32 vcc, 0, v[2:3]
	v_not_b32_e32 v3, v3
	v_ashrrev_i32_e32 v3, 31, v3
	v_and_b32_e32 v49, v49, v50
	v_xor_b32_e32 v50, vcc_hi, v3
	v_xor_b32_e32 v3, vcc_lo, v3
	v_and_b32_e32 v5, v5, v3
	v_lshlrev_b32_e32 v3, 27, v4
	v_cmp_gt_i64_e32 vcc, 0, v[2:3]
	v_not_b32_e32 v3, v3
	v_ashrrev_i32_e32 v3, 31, v3
	v_and_b32_e32 v49, v49, v50
	v_xor_b32_e32 v50, vcc_hi, v3
	v_xor_b32_e32 v3, vcc_lo, v3
	v_and_b32_e32 v5, v5, v3
	v_lshlrev_b32_e32 v3, 26, v4
	v_cmp_gt_i64_e32 vcc, 0, v[2:3]
	v_not_b32_e32 v3, v3
	v_ashrrev_i32_e32 v3, 31, v3
	v_and_b32_e32 v49, v49, v50
	v_xor_b32_e32 v50, vcc_hi, v3
	v_xor_b32_e32 v3, vcc_lo, v3
	v_and_b32_e32 v5, v5, v3
	v_lshlrev_b32_e32 v3, 25, v4
	v_cmp_gt_i64_e32 vcc, 0, v[2:3]
	v_not_b32_e32 v3, v3
	v_ashrrev_i32_e32 v3, 31, v3
	v_and_b32_e32 v49, v49, v50
	v_xor_b32_e32 v50, vcc_hi, v3
	v_xor_b32_e32 v3, vcc_lo, v3
	v_and_b32_e32 v5, v5, v3
	v_lshlrev_b32_e32 v3, 24, v4
	v_cmp_gt_i64_e32 vcc, 0, v[2:3]
	v_not_b32_e32 v2, v3
	v_ashrrev_i32_e32 v2, 31, v2
	v_xor_b32_e32 v3, vcc_hi, v2
	v_xor_b32_e32 v2, vcc_lo, v2
	; wave barrier
	ds_read_b32 v47, v48 offset:64
	v_and_b32_e32 v49, v49, v50
	v_and_b32_e32 v2, v5, v2
	;; [unrolled: 1-line block ×3, first 2 shown]
	v_mbcnt_lo_u32_b32 v4, v2, 0
	v_mbcnt_hi_u32_b32 v50, v3, v4
	v_cmp_eq_u32_e32 vcc, 0, v50
	v_cmp_ne_u64_e64 s[0:1], 0, v[2:3]
	s_and_b64 s[2:3], s[0:1], vcc
	; wave barrier
	s_and_saveexec_b64 s[0:1], s[2:3]
	s_cbranch_execz .LBB443_45
; %bb.44:
	v_bcnt_u32_b32 v2, v2, 0
	v_bcnt_u32_b32 v2, v3, v2
	s_waitcnt lgkmcnt(0)
	v_add_u32_e32 v2, v47, v2
	ds_write_b32 v48, v2 offset:64
.LBB443_45:
	s_or_b64 exec, exec, s[0:1]
	v_xor_b32_e32 v49, 0xffff8000, v7
	v_lshrrev_b32_sdwa v2, s20, v49 dst_sel:DWORD dst_unused:UNUSED_PAD src0_sel:DWORD src1_sel:WORD_0
	v_and_b32_e32 v4, s28, v2
	v_and_b32_e32 v3, 1, v4
	v_add_co_u32_e32 v5, vcc, -1, v3
	v_addc_co_u32_e64 v53, s[0:1], 0, -1, vcc
	v_cmp_ne_u32_e32 vcc, 0, v3
	v_mul_u32_u24_e32 v2, 17, v4
	v_xor_b32_e32 v3, vcc_hi, v53
	v_add_lshl_u32 v52, v26, v2, 2
	v_mov_b32_e32 v2, 0
	v_and_b32_e32 v53, exec_hi, v3
	v_lshlrev_b32_e32 v3, 30, v4
	v_xor_b32_e32 v5, vcc_lo, v5
	v_cmp_gt_i64_e32 vcc, 0, v[2:3]
	v_not_b32_e32 v3, v3
	v_ashrrev_i32_e32 v3, 31, v3
	v_and_b32_e32 v5, exec_lo, v5
	v_xor_b32_e32 v54, vcc_hi, v3
	v_xor_b32_e32 v3, vcc_lo, v3
	v_and_b32_e32 v5, v5, v3
	v_lshlrev_b32_e32 v3, 29, v4
	v_cmp_gt_i64_e32 vcc, 0, v[2:3]
	v_not_b32_e32 v3, v3
	v_ashrrev_i32_e32 v3, 31, v3
	v_and_b32_e32 v53, v53, v54
	v_xor_b32_e32 v54, vcc_hi, v3
	v_xor_b32_e32 v3, vcc_lo, v3
	v_and_b32_e32 v5, v5, v3
	v_lshlrev_b32_e32 v3, 28, v4
	v_cmp_gt_i64_e32 vcc, 0, v[2:3]
	v_not_b32_e32 v3, v3
	v_ashrrev_i32_e32 v3, 31, v3
	v_and_b32_e32 v53, v53, v54
	;; [unrolled: 8-line block ×5, first 2 shown]
	v_xor_b32_e32 v54, vcc_hi, v3
	v_xor_b32_e32 v3, vcc_lo, v3
	v_and_b32_e32 v53, v53, v54
	v_and_b32_e32 v54, v5, v3
	v_lshlrev_b32_e32 v3, 24, v4
	v_cmp_gt_i64_e32 vcc, 0, v[2:3]
	v_not_b32_e32 v3, v3
	v_ashrrev_i32_e32 v3, 31, v3
	v_xor_b32_e32 v4, vcc_hi, v3
	v_xor_b32_e32 v3, vcc_lo, v3
	; wave barrier
	ds_read_b32 v51, v52 offset:64
	v_and_b32_e32 v5, v53, v4
	v_and_b32_e32 v4, v54, v3
	v_mbcnt_lo_u32_b32 v3, v4, 0
	v_mbcnt_hi_u32_b32 v53, v5, v3
	v_cmp_eq_u32_e32 vcc, 0, v53
	v_cmp_ne_u64_e64 s[0:1], 0, v[4:5]
	s_movk_i32 s2, 0x8000
	s_and_b64 s[8:9], s[0:1], vcc
	; wave barrier
	s_and_saveexec_b64 s[0:1], s[8:9]
	s_cbranch_execz .LBB443_47
; %bb.46:
	v_bcnt_u32_b32 v3, v4, 0
	v_bcnt_u32_b32 v3, v5, v3
	s_waitcnt lgkmcnt(0)
	v_add_u32_e32 v3, v51, v3
	ds_write_b32 v52, v3 offset:64
.LBB443_47:
	s_or_b64 exec, exec, s[0:1]
	v_xor_b32_sdwa v7, v7, s2 dst_sel:DWORD dst_unused:UNUSED_PAD src0_sel:WORD_1 src1_sel:DWORD
	v_lshrrev_b32_sdwa v3, s20, v7 dst_sel:DWORD dst_unused:UNUSED_PAD src0_sel:DWORD src1_sel:WORD_0
	v_and_b32_e32 v4, s28, v3
	v_mul_u32_u24_e32 v3, 17, v4
	v_add_lshl_u32 v54, v26, v3, 2
	v_and_b32_e32 v3, 1, v4
	v_add_co_u32_e32 v5, vcc, -1, v3
	v_addc_co_u32_e64 v56, s[0:1], 0, -1, vcc
	v_cmp_ne_u32_e32 vcc, 0, v3
	v_xor_b32_e32 v3, vcc_hi, v56
	v_and_b32_e32 v56, exec_hi, v3
	v_lshlrev_b32_e32 v3, 30, v4
	v_xor_b32_e32 v5, vcc_lo, v5
	v_cmp_gt_i64_e32 vcc, 0, v[2:3]
	v_not_b32_e32 v3, v3
	v_ashrrev_i32_e32 v3, 31, v3
	v_and_b32_e32 v5, exec_lo, v5
	v_xor_b32_e32 v57, vcc_hi, v3
	v_xor_b32_e32 v3, vcc_lo, v3
	v_and_b32_e32 v5, v5, v3
	v_lshlrev_b32_e32 v3, 29, v4
	v_cmp_gt_i64_e32 vcc, 0, v[2:3]
	v_not_b32_e32 v3, v3
	v_ashrrev_i32_e32 v3, 31, v3
	v_and_b32_e32 v56, v56, v57
	v_xor_b32_e32 v57, vcc_hi, v3
	v_xor_b32_e32 v3, vcc_lo, v3
	v_and_b32_e32 v5, v5, v3
	v_lshlrev_b32_e32 v3, 28, v4
	v_cmp_gt_i64_e32 vcc, 0, v[2:3]
	v_not_b32_e32 v3, v3
	v_ashrrev_i32_e32 v3, 31, v3
	v_and_b32_e32 v56, v56, v57
	;; [unrolled: 8-line block ×5, first 2 shown]
	v_xor_b32_e32 v57, vcc_hi, v3
	v_xor_b32_e32 v3, vcc_lo, v3
	v_and_b32_e32 v5, v5, v3
	v_lshlrev_b32_e32 v3, 24, v4
	v_cmp_gt_i64_e32 vcc, 0, v[2:3]
	v_not_b32_e32 v2, v3
	v_ashrrev_i32_e32 v2, 31, v2
	v_xor_b32_e32 v3, vcc_hi, v2
	v_xor_b32_e32 v2, vcc_lo, v2
	; wave barrier
	ds_read_b32 v26, v54 offset:64
	v_and_b32_e32 v56, v56, v57
	v_and_b32_e32 v2, v5, v2
	;; [unrolled: 1-line block ×3, first 2 shown]
	v_mbcnt_lo_u32_b32 v4, v2, 0
	v_mbcnt_hi_u32_b32 v56, v3, v4
	v_cmp_eq_u32_e32 vcc, 0, v56
	v_cmp_ne_u64_e64 s[0:1], 0, v[2:3]
	v_add_u32_e32 v55, 64, v15
	s_and_b64 s[2:3], s[0:1], vcc
	; wave barrier
	s_and_saveexec_b64 s[0:1], s[2:3]
	s_cbranch_execz .LBB443_49
; %bb.48:
	v_bcnt_u32_b32 v2, v2, 0
	v_bcnt_u32_b32 v2, v3, v2
	s_waitcnt lgkmcnt(0)
	v_add_u32_e32 v2, v26, v2
	ds_write_b32 v54, v2 offset:64
.LBB443_49:
	s_or_b64 exec, exec, s[0:1]
	; wave barrier
	s_waitcnt lgkmcnt(0)
	s_barrier
	ds_read2_b32 v[4:5], v15 offset0:16 offset1:17
	ds_read2_b32 v[2:3], v55 offset0:2 offset1:3
	ds_read_b32 v57, v55 offset:16
	v_cmp_lt_u32_e64 s[10:11], 31, v11
	s_waitcnt lgkmcnt(1)
	v_add3_u32 v58, v5, v4, v2
	s_waitcnt lgkmcnt(0)
	v_add3_u32 v57, v58, v3, v57
	v_and_b32_e32 v58, 15, v11
	v_cmp_eq_u32_e32 vcc, 0, v58
	v_mov_b32_dpp v59, v57 row_shr:1 row_mask:0xf bank_mask:0xf
	v_cndmask_b32_e64 v59, v59, 0, vcc
	v_add_u32_e32 v57, v59, v57
	v_cmp_lt_u32_e64 s[0:1], 1, v58
	v_cmp_lt_u32_e64 s[2:3], 3, v58
	v_mov_b32_dpp v59, v57 row_shr:2 row_mask:0xf bank_mask:0xf
	v_cndmask_b32_e64 v59, 0, v59, s[0:1]
	v_add_u32_e32 v57, v57, v59
	v_cmp_lt_u32_e64 s[8:9], 7, v58
	s_nop 0
	v_mov_b32_dpp v59, v57 row_shr:4 row_mask:0xf bank_mask:0xf
	v_cndmask_b32_e64 v59, 0, v59, s[2:3]
	v_add_u32_e32 v57, v57, v59
	s_nop 1
	v_mov_b32_dpp v59, v57 row_shr:8 row_mask:0xf bank_mask:0xf
	v_cndmask_b32_e64 v58, 0, v59, s[8:9]
	v_add_u32_e32 v57, v57, v58
	v_bfe_i32 v59, v11, 4, 1
	s_nop 0
	v_mov_b32_dpp v58, v57 row_bcast:15 row_mask:0xf bank_mask:0xf
	v_and_b32_e32 v58, v59, v58
	v_add_u32_e32 v57, v57, v58
	v_and_b32_e32 v59, 63, v10
	s_nop 0
	v_mov_b32_dpp v58, v57 row_bcast:31 row_mask:0xf bank_mask:0xf
	v_cndmask_b32_e64 v58, 0, v58, s[10:11]
	v_add_u32_e32 v57, v57, v58
	v_lshrrev_b32_e32 v58, 6, v10
	v_cmp_eq_u32_e64 s[10:11], 63, v59
	s_and_saveexec_b64 s[22:23], s[10:11]
	s_cbranch_execz .LBB443_51
; %bb.50:
	v_lshlrev_b32_e32 v59, 2, v58
	ds_write_b32 v59, v57
.LBB443_51:
	s_or_b64 exec, exec, s[22:23]
	v_cmp_gt_u32_e64 s[10:11], 16, v10
	s_waitcnt lgkmcnt(0)
	s_barrier
	s_and_saveexec_b64 s[22:23], s[10:11]
	s_cbranch_execz .LBB443_53
; %bb.52:
	v_lshlrev_b32_e32 v59, 2, v10
	ds_read_b32 v60, v59
	s_waitcnt lgkmcnt(0)
	s_nop 0
	v_mov_b32_dpp v61, v60 row_shr:1 row_mask:0xf bank_mask:0xf
	v_cndmask_b32_e64 v61, v61, 0, vcc
	v_add_u32_e32 v60, v61, v60
	s_nop 1
	v_mov_b32_dpp v61, v60 row_shr:2 row_mask:0xf bank_mask:0xf
	v_cndmask_b32_e64 v61, 0, v61, s[0:1]
	v_add_u32_e32 v60, v60, v61
	s_nop 1
	v_mov_b32_dpp v61, v60 row_shr:4 row_mask:0xf bank_mask:0xf
	v_cndmask_b32_e64 v61, 0, v61, s[2:3]
	;; [unrolled: 4-line block ×3, first 2 shown]
	v_add_u32_e32 v60, v60, v61
	ds_write_b32 v59, v60
.LBB443_53:
	s_or_b64 exec, exec, s[22:23]
	v_cmp_lt_u32_e32 vcc, 63, v10
	v_mov_b32_e32 v59, 0
	s_waitcnt lgkmcnt(0)
	s_barrier
	s_and_saveexec_b64 s[0:1], vcc
	s_cbranch_execz .LBB443_55
; %bb.54:
	v_lshl_add_u32 v58, v58, 2, -4
	ds_read_b32 v59, v58
.LBB443_55:
	s_or_b64 exec, exec, s[0:1]
	v_add_u32_e32 v58, -1, v11
	v_and_b32_e32 v60, 64, v11
	v_cmp_lt_i32_e32 vcc, v58, v60
	v_cndmask_b32_e32 v58, v58, v11, vcc
	s_waitcnt lgkmcnt(0)
	v_add_u32_e32 v57, v59, v57
	v_lshlrev_b32_e32 v58, 2, v58
	ds_bpermute_b32 v57, v58, v57
	v_cmp_eq_u32_e32 vcc, 0, v11
	s_movk_i32 s0, 0x100
	s_waitcnt lgkmcnt(0)
	v_cndmask_b32_e32 v11, v57, v59, vcc
	v_cmp_ne_u32_e32 vcc, 0, v10
	v_cndmask_b32_e32 v11, 0, v11, vcc
	v_add_u32_e32 v4, v11, v4
	v_add_u32_e32 v5, v4, v5
	;; [unrolled: 1-line block ×4, first 2 shown]
	ds_write2_b32 v15, v11, v4 offset0:16 offset1:17
	ds_write2_b32 v55, v5, v2 offset0:2 offset1:3
	ds_write_b32 v55, v3 offset:16
	s_waitcnt lgkmcnt(0)
	s_barrier
	ds_read_b32 v59, v19 offset:64
	ds_read_b32 v58, v20 offset:64
	;; [unrolled: 1-line block ×12, first 2 shown]
	v_cmp_gt_u32_e32 vcc, s0, v10
	v_pk_mov_b32 v[2:3], 0, 0
                                        ; implicit-def: $vgpr15
	s_and_saveexec_b64 s[2:3], vcc
	s_cbranch_execz .LBB443_59
; %bb.56:
	v_mul_u32_u24_e32 v2, 17, v10
	v_lshlrev_b32_e32 v15, 2, v2
	ds_read_b32 v2, v15 offset:64
	s_movk_i32 s0, 0xff
	v_cmp_ne_u32_e64 s[0:1], s0, v10
	v_mov_b32_e32 v3, 0x3000
	s_and_saveexec_b64 s[8:9], s[0:1]
	s_cbranch_execz .LBB443_58
; %bb.57:
	ds_read_b32 v3, v15 offset:132
.LBB443_58:
	s_or_b64 exec, exec, s[8:9]
	s_waitcnt lgkmcnt(0)
	v_sub_u32_e32 v15, v3, v2
	v_mov_b32_e32 v3, 0
.LBB443_59:
	s_or_b64 exec, exec, s[2:3]
	v_add_u32_e32 v18, v21, v18
	s_waitcnt lgkmcnt(11)
	v_add_lshl_u32 v16, v59, v16, 1
	v_add_u32_e32 v13, v28, v13
	v_add_u32_e32 v23, v25, v23
	s_waitcnt lgkmcnt(0)
	s_barrier
	ds_write_b16 v16, v14 offset:2048
	v_add_lshl_u32 v14, v18, v58, 1
	v_add_u32_e32 v30, v33, v30
	ds_write_b16 v14, v17 offset:2048
	v_add_lshl_u32 v14, v23, v57, 1
	v_add_lshl_u32 v13, v13, v55, 1
	v_add_u32_e32 v34, v37, v34
	ds_write_b16 v14, v22 offset:2048
	ds_write_b16 v13, v12 offset:2048
	v_add_lshl_u32 v12, v30, v31, 1
	v_add_u32_e32 v9, v43, v9
	v_add_u32_e32 v38, v40, v38
	ds_write_b16 v12, v29 offset:2048
	v_add_lshl_u32 v12, v34, v27, 1
	v_add_u32_e32 v41, v46, v44
	ds_write_b16 v12, v32 offset:2048
	v_add_lshl_u32 v12, v38, v24, 1
	v_add_lshl_u32 v9, v9, v20, 1
	v_add_u32_e32 v26, v56, v26
	v_add_u32_e32 v35, v53, v51
	;; [unrolled: 1-line block ×3, first 2 shown]
	ds_write_b16 v12, v36 offset:2048
	ds_write_b16 v9, v8 offset:2048
	v_add_lshl_u32 v8, v41, v19, 1
	ds_write_b16 v8, v42 offset:2048
	v_add_lshl_u32 v8, v39, v11, 1
	v_add_lshl_u32 v5, v35, v5, 1
	;; [unrolled: 1-line block ×3, first 2 shown]
	ds_write_b16 v8, v6 offset:2048
	ds_write_b16 v5, v49 offset:2048
	;; [unrolled: 1-line block ×3, first 2 shown]
	s_and_saveexec_b64 s[2:3], vcc
	s_cbranch_execz .LBB443_69
; %bb.60:
	v_lshl_or_b32 v4, s6, 8, v10
	v_mov_b32_e32 v5, 0
	v_lshlrev_b64 v[6:7], 2, v[4:5]
	v_mov_b32_e32 v11, s25
	v_add_co_u32_e64 v6, s[0:1], s24, v6
	v_addc_co_u32_e64 v7, s[0:1], v11, v7, s[0:1]
	v_or_b32_e32 v4, 2.0, v15
	s_mov_b64 s[8:9], 0
	s_brev_b32 s29, 1
	s_mov_b32 s30, s6
	v_mov_b32_e32 v12, 0
	global_store_dword v[6:7], v4, off
                                        ; implicit-def: $sgpr0_sgpr1
	s_branch .LBB443_62
.LBB443_61:                             ;   in Loop: Header=BB443_62 Depth=1
	s_or_b64 exec, exec, s[10:11]
	v_and_b32_e32 v8, 0x3fffffff, v13
	v_add_u32_e32 v12, v8, v12
	v_cmp_eq_u32_e64 s[0:1], s29, v4
	s_and_b64 s[10:11], exec, s[0:1]
	s_or_b64 s[8:9], s[10:11], s[8:9]
	s_andn2_b64 exec, exec, s[8:9]
	s_cbranch_execz .LBB443_68
.LBB443_62:                             ; =>This Loop Header: Depth=1
                                        ;     Child Loop BB443_65 Depth 2
	s_or_b64 s[0:1], s[0:1], exec
	s_cmp_eq_u32 s30, 0
	s_cbranch_scc1 .LBB443_67
; %bb.63:                               ;   in Loop: Header=BB443_62 Depth=1
	s_add_i32 s30, s30, -1
	v_lshl_or_b32 v4, s30, 8, v10
	v_lshlrev_b64 v[8:9], 2, v[4:5]
	v_add_co_u32_e64 v8, s[0:1], s24, v8
	v_addc_co_u32_e64 v9, s[0:1], v11, v9, s[0:1]
	global_load_dword v13, v[8:9], off glc
	s_waitcnt vmcnt(0)
	v_and_b32_e32 v4, -2.0, v13
	v_cmp_eq_u32_e64 s[0:1], 0, v4
	s_and_saveexec_b64 s[10:11], s[0:1]
	s_cbranch_execz .LBB443_61
; %bb.64:                               ;   in Loop: Header=BB443_62 Depth=1
	s_mov_b64 s[22:23], 0
.LBB443_65:                             ;   Parent Loop BB443_62 Depth=1
                                        ; =>  This Inner Loop Header: Depth=2
	global_load_dword v13, v[8:9], off glc
	s_waitcnt vmcnt(0)
	v_and_b32_e32 v4, -2.0, v13
	v_cmp_ne_u32_e64 s[0:1], 0, v4
	s_or_b64 s[22:23], s[0:1], s[22:23]
	s_andn2_b64 exec, exec, s[22:23]
	s_cbranch_execnz .LBB443_65
; %bb.66:                               ;   in Loop: Header=BB443_62 Depth=1
	s_or_b64 exec, exec, s[22:23]
	s_branch .LBB443_61
.LBB443_67:                             ;   in Loop: Header=BB443_62 Depth=1
                                        ; implicit-def: $sgpr30
	s_and_b64 s[10:11], exec, s[0:1]
	s_or_b64 s[8:9], s[10:11], s[8:9]
	s_andn2_b64 exec, exec, s[8:9]
	s_cbranch_execnz .LBB443_62
.LBB443_68:
	s_or_b64 exec, exec, s[8:9]
	v_add_u32_e32 v4, v12, v15
	v_or_b32_e32 v4, 0x80000000, v4
	global_store_dword v[6:7], v4, off
	v_lshlrev_b32_e32 v6, 3, v10
	global_load_dwordx2 v[4:5], v6, s[12:13]
	v_sub_co_u32_e64 v7, s[0:1], v12, v2
	v_subb_co_u32_e64 v8, s[0:1], 0, v3, s[0:1]
	s_waitcnt vmcnt(0)
	v_add_co_u32_e64 v4, s[0:1], v7, v4
	v_addc_co_u32_e64 v5, s[0:1], v8, v5, s[0:1]
	ds_write_b64 v6, v[4:5]
.LBB443_69:
	s_or_b64 exec, exec, s[2:3]
	v_cmp_gt_u32_e64 s[0:1], s7, v10
	v_lshlrev_b32_e32 v4, 1, v10
	s_waitcnt lgkmcnt(0)
	s_barrier
	s_and_saveexec_b64 s[2:3], s[0:1]
	s_cbranch_execz .LBB443_71
; %bb.70:
	ds_read_u16 v5, v4 offset:2048
	v_mov_b32_e32 v8, s19
	s_waitcnt lgkmcnt(0)
	v_lshrrev_b32_sdwa v6, s20, v5 dst_sel:DWORD dst_unused:UNUSED_PAD src0_sel:DWORD src1_sel:WORD_0
	v_and_b32_e32 v6, s28, v6
	v_lshlrev_b32_e32 v6, 3, v6
	ds_read_b64 v[6:7], v6
	v_xor_b32_e32 v5, 0xffff8000, v5
	s_waitcnt lgkmcnt(0)
	v_lshlrev_b64 v[6:7], 1, v[6:7]
	v_add_co_u32_e64 v6, s[0:1], s18, v6
	v_addc_co_u32_e64 v7, s[0:1], v8, v7, s[0:1]
	v_add_co_u32_e64 v6, s[0:1], v6, v4
	v_addc_co_u32_e64 v7, s[0:1], 0, v7, s[0:1]
	global_store_short v[6:7], v5, off
.LBB443_71:
	s_or_b64 exec, exec, s[2:3]
	v_or_b32_e32 v5, 0x400, v10
	v_cmp_gt_u32_e64 s[0:1], s7, v5
	s_and_saveexec_b64 s[2:3], s[0:1]
	s_cbranch_execz .LBB443_73
; %bb.72:
	ds_read_u16 v5, v4 offset:4096
	v_mov_b32_e32 v8, s19
	s_waitcnt lgkmcnt(0)
	v_lshrrev_b32_sdwa v6, s20, v5 dst_sel:DWORD dst_unused:UNUSED_PAD src0_sel:DWORD src1_sel:WORD_0
	v_and_b32_e32 v6, s28, v6
	v_lshlrev_b32_e32 v6, 3, v6
	ds_read_b64 v[6:7], v6
	v_xor_b32_e32 v5, 0xffff8000, v5
	s_waitcnt lgkmcnt(0)
	v_lshlrev_b64 v[6:7], 1, v[6:7]
	v_add_co_u32_e64 v6, s[0:1], s18, v6
	v_addc_co_u32_e64 v7, s[0:1], v8, v7, s[0:1]
	v_add_co_u32_e64 v6, s[0:1], v6, v4
	v_addc_co_u32_e64 v7, s[0:1], 0, v7, s[0:1]
	global_store_short v[6:7], v5, off offset:2048
.LBB443_73:
	s_or_b64 exec, exec, s[2:3]
	v_or_b32_e32 v5, 0x800, v10
	v_cmp_gt_u32_e64 s[0:1], s7, v5
	s_and_saveexec_b64 s[2:3], s[0:1]
	s_cbranch_execz .LBB443_75
; %bb.74:
	ds_read_u16 v8, v4 offset:6144
	v_mov_b32_e32 v9, s19
	v_lshlrev_b32_e32 v5, 1, v5
	s_waitcnt lgkmcnt(0)
	v_lshrrev_b32_sdwa v6, s20, v8 dst_sel:DWORD dst_unused:UNUSED_PAD src0_sel:DWORD src1_sel:WORD_0
	v_and_b32_e32 v6, s28, v6
	v_lshlrev_b32_e32 v6, 3, v6
	ds_read_b64 v[6:7], v6
	v_xor_b32_e32 v8, 0xffff8000, v8
	s_waitcnt lgkmcnt(0)
	v_lshlrev_b64 v[6:7], 1, v[6:7]
	v_add_co_u32_e64 v6, s[0:1], s18, v6
	v_addc_co_u32_e64 v7, s[0:1], v9, v7, s[0:1]
	v_add_co_u32_e64 v6, s[0:1], v6, v5
	v_addc_co_u32_e64 v7, s[0:1], 0, v7, s[0:1]
	global_store_short v[6:7], v8, off
.LBB443_75:
	s_or_b64 exec, exec, s[2:3]
	v_or_b32_e32 v5, 0xc00, v10
	v_cmp_gt_u32_e64 s[0:1], s7, v5
	s_and_saveexec_b64 s[2:3], s[0:1]
	s_cbranch_execz .LBB443_77
; %bb.76:
	ds_read_u16 v8, v4 offset:8192
	v_mov_b32_e32 v9, s19
	v_lshlrev_b32_e32 v5, 1, v5
	s_waitcnt lgkmcnt(0)
	v_lshrrev_b32_sdwa v6, s20, v8 dst_sel:DWORD dst_unused:UNUSED_PAD src0_sel:DWORD src1_sel:WORD_0
	v_and_b32_e32 v6, s28, v6
	v_lshlrev_b32_e32 v6, 3, v6
	ds_read_b64 v[6:7], v6
	v_xor_b32_e32 v8, 0xffff8000, v8
	s_waitcnt lgkmcnt(0)
	v_lshlrev_b64 v[6:7], 1, v[6:7]
	v_add_co_u32_e64 v6, s[0:1], s18, v6
	v_addc_co_u32_e64 v7, s[0:1], v9, v7, s[0:1]
	v_add_co_u32_e64 v6, s[0:1], v6, v5
	v_addc_co_u32_e64 v7, s[0:1], 0, v7, s[0:1]
	global_store_short v[6:7], v8, off
.LBB443_77:
	;; [unrolled: 23-line block ×9, first 2 shown]
	s_or_b64 exec, exec, s[2:3]
	v_or_b32_e32 v5, 0x2c00, v10
	v_cmp_gt_u32_e64 s[0:1], s7, v5
	s_and_saveexec_b64 s[2:3], s[0:1]
	s_cbranch_execz .LBB443_93
; %bb.92:
	ds_read_u16 v4, v4 offset:24576
	v_lshlrev_b32_e32 v9, 1, v5
	v_mov_b32_e32 v8, s19
	s_waitcnt lgkmcnt(0)
	v_lshrrev_b32_sdwa v6, s20, v4 dst_sel:DWORD dst_unused:UNUSED_PAD src0_sel:DWORD src1_sel:WORD_0
	v_and_b32_e32 v6, s28, v6
	v_lshlrev_b32_e32 v6, 3, v6
	ds_read_b64 v[6:7], v6
	v_xor_b32_e32 v11, 0xffff8000, v4
	s_waitcnt lgkmcnt(0)
	v_lshlrev_b64 v[4:5], 1, v[6:7]
	v_add_co_u32_e64 v4, s[0:1], s18, v4
	v_addc_co_u32_e64 v5, s[0:1], v8, v5, s[0:1]
	v_add_co_u32_e64 v4, s[0:1], v4, v9
	v_addc_co_u32_e64 v5, s[0:1], 0, v5, s[0:1]
	global_store_short v[4:5], v11, off
.LBB443_93:
	s_or_b64 exec, exec, s[2:3]
	s_add_i32 s27, s27, -1
	s_cmp_eq_u32 s27, s6
	s_cselect_b64 s[0:1], -1, 0
	s_and_b64 s[2:3], vcc, s[0:1]
	s_mov_b64 s[0:1], 0
	s_mov_b64 s[10:11], 0
                                        ; implicit-def: $vgpr4_vgpr5
	s_and_saveexec_b64 s[8:9], s[2:3]
	s_xor_b64 s[2:3], exec, s[8:9]
; %bb.94:
	v_add_co_u32_e32 v4, vcc, v2, v15
	s_mov_b64 s[10:11], exec
	v_mov_b32_e32 v11, 0
	v_addc_co_u32_e32 v5, vcc, 0, v3, vcc
; %bb.95:
	s_or_b64 exec, exec, s[2:3]
	s_and_b64 vcc, exec, s[0:1]
	s_cbranch_vccnz .LBB443_97
	s_branch .LBB443_146
.LBB443_96:
	s_mov_b64 s[10:11], 0
                                        ; implicit-def: $vgpr4_vgpr5
                                        ; implicit-def: $vgpr10
	s_cbranch_execz .LBB443_146
.LBB443_97:
	s_mov_b32 s27, 0
	v_mbcnt_hi_u32_b32 v5, -1, v1
	s_lshl_b64 s[0:1], s[26:27], 1
	v_and_b32_e32 v1, 63, v5
	s_add_u32 s0, s16, s0
	v_lshlrev_b32_e32 v1, 1, v1
	v_add_co_u32_e32 v1, vcc, s0, v1
	s_load_dword s7, s[4:5], 0x58
	s_load_dword s0, s[4:5], 0x64
	v_and_b32_e32 v10, 0x3ff, v0
	s_addc_u32 s1, s17, s1
	v_and_b32_e32 v3, 0x3c0, v10
	v_mul_u32_u24_e32 v3, 12, v3
	v_mov_b32_e32 v4, s1
	v_addc_co_u32_e32 v4, vcc, 0, v4, vcc
	v_lshlrev_b32_e32 v3, 1, v3
	s_add_u32 s1, s4, 0x58
	v_add_co_u32_e32 v12, vcc, v1, v3
	s_addc_u32 s2, s5, 0
	s_waitcnt lgkmcnt(0)
	s_lshr_b32 s3, s0, 16
	v_addc_co_u32_e32 v13, vcc, 0, v4, vcc
	s_cmp_lt_u32 s6, s7
	global_load_ushort v1, v[12:13], off
	s_cselect_b32 s0, 12, 18
	s_add_u32 s0, s1, s0
	v_mov_b32_e32 v2, 0
	s_addc_u32 s1, s2, 0
	global_load_ushort v3, v2, s[0:1]
	v_mul_u32_u24_e32 v6, 5, v10
	v_lshlrev_b32_e32 v6, 2, v6
	ds_write2_b32 v6, v2, v2 offset0:16 offset1:17
	ds_write2_b32 v6, v2, v2 offset0:18 offset1:19
	ds_write_b32 v6, v2 offset:80
	global_load_ushort v9, v[12:13], off offset:128
	global_load_ushort v14, v[12:13], off offset:256
	;; [unrolled: 1-line block ×11, first 2 shown]
	v_bfe_u32 v4, v0, 10, 10
	v_bfe_u32 v0, v0, 20, 10
	v_mad_u32_u24 v0, v0, s3, v4
	s_lshl_b32 s0, -1, s21
	s_not_b32 s21, s0
	s_waitcnt lgkmcnt(0)
	s_barrier
	s_waitcnt lgkmcnt(0)
	; wave barrier
	s_waitcnt vmcnt(12)
	v_xor_b32_e32 v4, 0xffff8000, v1
	v_lshrrev_b32_sdwa v1, s20, v4 dst_sel:DWORD dst_unused:UNUSED_PAD src0_sel:DWORD src1_sel:WORD_0
	v_and_b32_e32 v8, s21, v1
	v_and_b32_e32 v7, 1, v8
	s_waitcnt vmcnt(11)
	v_mad_u64_u32 v[0:1], s[0:1], v0, v3, v[10:11]
	v_lshrrev_b32_e32 v17, 6, v0
	v_add_co_u32_e32 v0, vcc, -1, v7
	v_lshlrev_b32_e32 v3, 30, v8
	v_addc_co_u32_e64 v11, s[0:1], 0, -1, vcc
	v_mul_u32_u24_e32 v1, 17, v8
	v_cmp_ne_u32_e32 vcc, 0, v7
	v_cmp_gt_i64_e64 s[0:1], 0, v[2:3]
	v_not_b32_e32 v12, v3
	v_lshlrev_b32_e32 v3, 29, v8
	v_add_lshl_u32 v7, v17, v1, 2
	v_xor_b32_e32 v1, vcc_hi, v11
	v_xor_b32_e32 v0, vcc_lo, v0
	v_ashrrev_i32_e32 v11, 31, v12
	v_cmp_gt_i64_e32 vcc, 0, v[2:3]
	v_not_b32_e32 v12, v3
	v_lshlrev_b32_e32 v3, 28, v8
	v_and_b32_e32 v1, exec_hi, v1
	v_and_b32_e32 v0, exec_lo, v0
	v_xor_b32_e32 v13, s1, v11
	v_xor_b32_e32 v11, s0, v11
	v_ashrrev_i32_e32 v12, 31, v12
	v_cmp_gt_i64_e64 s[0:1], 0, v[2:3]
	v_not_b32_e32 v3, v3
	v_and_b32_e32 v1, v1, v13
	v_and_b32_e32 v0, v0, v11
	v_xor_b32_e32 v11, vcc_hi, v12
	v_xor_b32_e32 v12, vcc_lo, v12
	v_ashrrev_i32_e32 v3, 31, v3
	v_and_b32_e32 v1, v1, v11
	v_and_b32_e32 v0, v0, v12
	v_xor_b32_e32 v11, s1, v3
	v_xor_b32_e32 v3, s0, v3
	v_and_b32_e32 v0, v0, v3
	v_lshlrev_b32_e32 v3, 27, v8
	v_cmp_gt_i64_e32 vcc, 0, v[2:3]
	v_not_b32_e32 v3, v3
	v_ashrrev_i32_e32 v3, 31, v3
	v_and_b32_e32 v1, v1, v11
	v_xor_b32_e32 v11, vcc_hi, v3
	v_xor_b32_e32 v3, vcc_lo, v3
	v_and_b32_e32 v0, v0, v3
	v_lshlrev_b32_e32 v3, 26, v8
	v_cmp_gt_i64_e32 vcc, 0, v[2:3]
	v_not_b32_e32 v3, v3
	v_ashrrev_i32_e32 v3, 31, v3
	v_and_b32_e32 v1, v1, v11
	v_xor_b32_e32 v11, vcc_hi, v3
	v_xor_b32_e32 v3, vcc_lo, v3
	;; [unrolled: 8-line block ×3, first 2 shown]
	v_and_b32_e32 v0, v0, v3
	v_lshlrev_b32_e32 v3, 24, v8
	v_cmp_gt_i64_e32 vcc, 0, v[2:3]
	v_not_b32_e32 v3, v3
	v_ashrrev_i32_e32 v3, 31, v3
	v_xor_b32_e32 v8, vcc_hi, v3
	v_xor_b32_e32 v3, vcc_lo, v3
	v_and_b32_e32 v1, v1, v11
	v_and_b32_e32 v0, v0, v3
	;; [unrolled: 1-line block ×3, first 2 shown]
	v_mbcnt_lo_u32_b32 v3, v0, 0
	v_mbcnt_hi_u32_b32 v8, v1, v3
	v_cmp_eq_u32_e32 vcc, 0, v8
	v_cmp_ne_u64_e64 s[0:1], 0, v[0:1]
	s_and_b64 s[2:3], s[0:1], vcc
	s_and_saveexec_b64 s[0:1], s[2:3]
	s_cbranch_execz .LBB443_99
; %bb.98:
	v_bcnt_u32_b32 v0, v0, 0
	v_bcnt_u32_b32 v0, v1, v0
	ds_write_b32 v7, v0 offset:64
.LBB443_99:
	s_or_b64 exec, exec, s[0:1]
	s_waitcnt vmcnt(10)
	v_xor_b32_e32 v9, 0xffff8000, v9
	v_lshrrev_b32_sdwa v0, s20, v9 dst_sel:DWORD dst_unused:UNUSED_PAD src0_sel:DWORD src1_sel:WORD_0
	v_and_b32_e32 v0, s21, v0
	v_mul_u32_u24_e32 v1, 17, v0
	v_add_lshl_u32 v12, v17, v1, 2
	v_and_b32_e32 v1, 1, v0
	v_add_co_u32_e32 v3, vcc, -1, v1
	v_addc_co_u32_e64 v13, s[0:1], 0, -1, vcc
	v_cmp_ne_u32_e32 vcc, 0, v1
	v_xor_b32_e32 v3, vcc_lo, v3
	v_xor_b32_e32 v1, vcc_hi, v13
	v_and_b32_e32 v13, exec_lo, v3
	v_lshlrev_b32_e32 v3, 30, v0
	v_cmp_gt_i64_e32 vcc, 0, v[2:3]
	v_not_b32_e32 v3, v3
	v_ashrrev_i32_e32 v3, 31, v3
	v_xor_b32_e32 v15, vcc_hi, v3
	v_xor_b32_e32 v3, vcc_lo, v3
	v_and_b32_e32 v13, v13, v3
	v_lshlrev_b32_e32 v3, 29, v0
	v_cmp_gt_i64_e32 vcc, 0, v[2:3]
	v_not_b32_e32 v3, v3
	v_and_b32_e32 v1, exec_hi, v1
	v_ashrrev_i32_e32 v3, 31, v3
	v_and_b32_e32 v1, v1, v15
	v_xor_b32_e32 v15, vcc_hi, v3
	v_xor_b32_e32 v3, vcc_lo, v3
	v_and_b32_e32 v13, v13, v3
	v_lshlrev_b32_e32 v3, 28, v0
	v_cmp_gt_i64_e32 vcc, 0, v[2:3]
	v_not_b32_e32 v3, v3
	v_ashrrev_i32_e32 v3, 31, v3
	v_and_b32_e32 v1, v1, v15
	v_xor_b32_e32 v15, vcc_hi, v3
	v_xor_b32_e32 v3, vcc_lo, v3
	v_and_b32_e32 v13, v13, v3
	v_lshlrev_b32_e32 v3, 27, v0
	v_cmp_gt_i64_e32 vcc, 0, v[2:3]
	v_not_b32_e32 v3, v3
	;; [unrolled: 8-line block ×4, first 2 shown]
	v_ashrrev_i32_e32 v3, 31, v3
	v_and_b32_e32 v1, v1, v15
	v_xor_b32_e32 v15, vcc_hi, v3
	v_xor_b32_e32 v3, vcc_lo, v3
	v_and_b32_e32 v13, v13, v3
	v_lshlrev_b32_e32 v3, 24, v0
	v_not_b32_e32 v0, v3
	v_cmp_gt_i64_e32 vcc, 0, v[2:3]
	v_ashrrev_i32_e32 v0, 31, v0
	v_xor_b32_e32 v2, vcc_hi, v0
	v_xor_b32_e32 v0, vcc_lo, v0
	; wave barrier
	ds_read_b32 v11, v12 offset:64
	v_and_b32_e32 v1, v1, v15
	v_and_b32_e32 v0, v13, v0
	;; [unrolled: 1-line block ×3, first 2 shown]
	v_mbcnt_lo_u32_b32 v2, v0, 0
	v_mbcnt_hi_u32_b32 v13, v1, v2
	v_cmp_eq_u32_e32 vcc, 0, v13
	v_cmp_ne_u64_e64 s[0:1], 0, v[0:1]
	s_and_b64 s[2:3], s[0:1], vcc
	; wave barrier
	s_and_saveexec_b64 s[0:1], s[2:3]
	s_cbranch_execz .LBB443_101
; %bb.100:
	v_bcnt_u32_b32 v0, v0, 0
	v_bcnt_u32_b32 v0, v1, v0
	s_waitcnt lgkmcnt(0)
	v_add_u32_e32 v0, v11, v0
	ds_write_b32 v12, v0 offset:64
.LBB443_101:
	s_or_b64 exec, exec, s[0:1]
	s_waitcnt vmcnt(9)
	v_xor_b32_e32 v14, 0xffff8000, v14
	v_lshrrev_b32_sdwa v0, s20, v14 dst_sel:DWORD dst_unused:UNUSED_PAD src0_sel:DWORD src1_sel:WORD_0
	v_and_b32_e32 v2, s21, v0
	v_and_b32_e32 v1, 1, v2
	v_add_co_u32_e32 v3, vcc, -1, v1
	v_addc_co_u32_e64 v19, s[0:1], 0, -1, vcc
	v_cmp_ne_u32_e32 vcc, 0, v1
	v_mul_u32_u24_e32 v0, 17, v2
	v_xor_b32_e32 v1, vcc_hi, v19
	v_add_lshl_u32 v18, v17, v0, 2
	v_mov_b32_e32 v0, 0
	v_and_b32_e32 v19, exec_hi, v1
	v_lshlrev_b32_e32 v1, 30, v2
	v_xor_b32_e32 v3, vcc_lo, v3
	v_cmp_gt_i64_e32 vcc, 0, v[0:1]
	v_not_b32_e32 v1, v1
	v_ashrrev_i32_e32 v1, 31, v1
	v_and_b32_e32 v3, exec_lo, v3
	v_xor_b32_e32 v21, vcc_hi, v1
	v_xor_b32_e32 v1, vcc_lo, v1
	v_and_b32_e32 v3, v3, v1
	v_lshlrev_b32_e32 v1, 29, v2
	v_cmp_gt_i64_e32 vcc, 0, v[0:1]
	v_not_b32_e32 v1, v1
	v_ashrrev_i32_e32 v1, 31, v1
	v_and_b32_e32 v19, v19, v21
	v_xor_b32_e32 v21, vcc_hi, v1
	v_xor_b32_e32 v1, vcc_lo, v1
	v_and_b32_e32 v3, v3, v1
	v_lshlrev_b32_e32 v1, 28, v2
	v_cmp_gt_i64_e32 vcc, 0, v[0:1]
	v_not_b32_e32 v1, v1
	v_ashrrev_i32_e32 v1, 31, v1
	v_and_b32_e32 v19, v19, v21
	;; [unrolled: 8-line block ×5, first 2 shown]
	v_xor_b32_e32 v21, vcc_hi, v1
	v_xor_b32_e32 v1, vcc_lo, v1
	v_and_b32_e32 v19, v19, v21
	v_and_b32_e32 v21, v3, v1
	v_lshlrev_b32_e32 v1, 24, v2
	v_cmp_gt_i64_e32 vcc, 0, v[0:1]
	v_not_b32_e32 v1, v1
	v_ashrrev_i32_e32 v1, 31, v1
	v_xor_b32_e32 v2, vcc_hi, v1
	v_xor_b32_e32 v1, vcc_lo, v1
	; wave barrier
	ds_read_b32 v15, v18 offset:64
	v_and_b32_e32 v3, v19, v2
	v_and_b32_e32 v2, v21, v1
	v_mbcnt_lo_u32_b32 v1, v2, 0
	v_mbcnt_hi_u32_b32 v19, v3, v1
	v_cmp_eq_u32_e32 vcc, 0, v19
	v_cmp_ne_u64_e64 s[0:1], 0, v[2:3]
	s_and_b64 s[2:3], s[0:1], vcc
	; wave barrier
	s_and_saveexec_b64 s[0:1], s[2:3]
	s_cbranch_execz .LBB443_103
; %bb.102:
	v_bcnt_u32_b32 v1, v2, 0
	v_bcnt_u32_b32 v1, v3, v1
	s_waitcnt lgkmcnt(0)
	v_add_u32_e32 v1, v15, v1
	ds_write_b32 v18, v1 offset:64
.LBB443_103:
	s_or_b64 exec, exec, s[0:1]
	s_waitcnt vmcnt(8)
	v_xor_b32_e32 v20, 0xffff8000, v20
	v_lshrrev_b32_sdwa v1, s20, v20 dst_sel:DWORD dst_unused:UNUSED_PAD src0_sel:DWORD src1_sel:WORD_0
	v_and_b32_e32 v2, s21, v1
	v_mul_u32_u24_e32 v1, 17, v2
	v_add_lshl_u32 v23, v17, v1, 2
	v_and_b32_e32 v1, 1, v2
	v_add_co_u32_e32 v3, vcc, -1, v1
	v_addc_co_u32_e64 v24, s[0:1], 0, -1, vcc
	v_cmp_ne_u32_e32 vcc, 0, v1
	v_xor_b32_e32 v1, vcc_hi, v24
	v_and_b32_e32 v24, exec_hi, v1
	v_lshlrev_b32_e32 v1, 30, v2
	v_xor_b32_e32 v3, vcc_lo, v3
	v_cmp_gt_i64_e32 vcc, 0, v[0:1]
	v_not_b32_e32 v1, v1
	v_ashrrev_i32_e32 v1, 31, v1
	v_and_b32_e32 v3, exec_lo, v3
	v_xor_b32_e32 v26, vcc_hi, v1
	v_xor_b32_e32 v1, vcc_lo, v1
	v_and_b32_e32 v3, v3, v1
	v_lshlrev_b32_e32 v1, 29, v2
	v_cmp_gt_i64_e32 vcc, 0, v[0:1]
	v_not_b32_e32 v1, v1
	v_ashrrev_i32_e32 v1, 31, v1
	v_and_b32_e32 v24, v24, v26
	v_xor_b32_e32 v26, vcc_hi, v1
	v_xor_b32_e32 v1, vcc_lo, v1
	v_and_b32_e32 v3, v3, v1
	v_lshlrev_b32_e32 v1, 28, v2
	v_cmp_gt_i64_e32 vcc, 0, v[0:1]
	v_not_b32_e32 v1, v1
	v_ashrrev_i32_e32 v1, 31, v1
	v_and_b32_e32 v24, v24, v26
	;; [unrolled: 8-line block ×5, first 2 shown]
	v_xor_b32_e32 v26, vcc_hi, v1
	v_xor_b32_e32 v1, vcc_lo, v1
	v_and_b32_e32 v3, v3, v1
	v_lshlrev_b32_e32 v1, 24, v2
	v_cmp_gt_i64_e32 vcc, 0, v[0:1]
	v_not_b32_e32 v0, v1
	v_ashrrev_i32_e32 v0, 31, v0
	v_xor_b32_e32 v1, vcc_hi, v0
	v_xor_b32_e32 v0, vcc_lo, v0
	; wave barrier
	ds_read_b32 v21, v23 offset:64
	v_and_b32_e32 v24, v24, v26
	v_and_b32_e32 v0, v3, v0
	;; [unrolled: 1-line block ×3, first 2 shown]
	v_mbcnt_lo_u32_b32 v2, v0, 0
	v_mbcnt_hi_u32_b32 v24, v1, v2
	v_cmp_eq_u32_e32 vcc, 0, v24
	v_cmp_ne_u64_e64 s[0:1], 0, v[0:1]
	s_and_b64 s[2:3], s[0:1], vcc
	; wave barrier
	s_and_saveexec_b64 s[0:1], s[2:3]
	s_cbranch_execz .LBB443_105
; %bb.104:
	v_bcnt_u32_b32 v0, v0, 0
	v_bcnt_u32_b32 v0, v1, v0
	s_waitcnt lgkmcnt(0)
	v_add_u32_e32 v0, v21, v0
	ds_write_b32 v23, v0 offset:64
.LBB443_105:
	s_or_b64 exec, exec, s[0:1]
	s_waitcnt vmcnt(7)
	v_xor_b32_e32 v25, 0xffff8000, v25
	v_lshrrev_b32_sdwa v0, s20, v25 dst_sel:DWORD dst_unused:UNUSED_PAD src0_sel:DWORD src1_sel:WORD_0
	v_and_b32_e32 v2, s21, v0
	v_and_b32_e32 v1, 1, v2
	v_add_co_u32_e32 v3, vcc, -1, v1
	v_addc_co_u32_e64 v30, s[0:1], 0, -1, vcc
	v_cmp_ne_u32_e32 vcc, 0, v1
	v_mul_u32_u24_e32 v0, 17, v2
	v_xor_b32_e32 v1, vcc_hi, v30
	v_add_lshl_u32 v28, v17, v0, 2
	v_mov_b32_e32 v0, 0
	v_and_b32_e32 v30, exec_hi, v1
	v_lshlrev_b32_e32 v1, 30, v2
	v_xor_b32_e32 v3, vcc_lo, v3
	v_cmp_gt_i64_e32 vcc, 0, v[0:1]
	v_not_b32_e32 v1, v1
	v_ashrrev_i32_e32 v1, 31, v1
	v_and_b32_e32 v3, exec_lo, v3
	v_xor_b32_e32 v31, vcc_hi, v1
	v_xor_b32_e32 v1, vcc_lo, v1
	v_and_b32_e32 v3, v3, v1
	v_lshlrev_b32_e32 v1, 29, v2
	v_cmp_gt_i64_e32 vcc, 0, v[0:1]
	v_not_b32_e32 v1, v1
	v_ashrrev_i32_e32 v1, 31, v1
	v_and_b32_e32 v30, v30, v31
	v_xor_b32_e32 v31, vcc_hi, v1
	v_xor_b32_e32 v1, vcc_lo, v1
	v_and_b32_e32 v3, v3, v1
	v_lshlrev_b32_e32 v1, 28, v2
	v_cmp_gt_i64_e32 vcc, 0, v[0:1]
	v_not_b32_e32 v1, v1
	v_ashrrev_i32_e32 v1, 31, v1
	v_and_b32_e32 v30, v30, v31
	;; [unrolled: 8-line block ×5, first 2 shown]
	v_xor_b32_e32 v31, vcc_hi, v1
	v_xor_b32_e32 v1, vcc_lo, v1
	v_and_b32_e32 v30, v30, v31
	v_and_b32_e32 v31, v3, v1
	v_lshlrev_b32_e32 v1, 24, v2
	v_cmp_gt_i64_e32 vcc, 0, v[0:1]
	v_not_b32_e32 v1, v1
	v_ashrrev_i32_e32 v1, 31, v1
	v_xor_b32_e32 v2, vcc_hi, v1
	v_xor_b32_e32 v1, vcc_lo, v1
	; wave barrier
	ds_read_b32 v26, v28 offset:64
	v_and_b32_e32 v3, v30, v2
	v_and_b32_e32 v2, v31, v1
	v_mbcnt_lo_u32_b32 v1, v2, 0
	v_mbcnt_hi_u32_b32 v30, v3, v1
	v_cmp_eq_u32_e32 vcc, 0, v30
	v_cmp_ne_u64_e64 s[0:1], 0, v[2:3]
	s_and_b64 s[2:3], s[0:1], vcc
	; wave barrier
	s_and_saveexec_b64 s[0:1], s[2:3]
	s_cbranch_execz .LBB443_107
; %bb.106:
	v_bcnt_u32_b32 v1, v2, 0
	v_bcnt_u32_b32 v1, v3, v1
	s_waitcnt lgkmcnt(0)
	v_add_u32_e32 v1, v26, v1
	ds_write_b32 v28, v1 offset:64
.LBB443_107:
	s_or_b64 exec, exec, s[0:1]
	s_waitcnt vmcnt(6)
	v_xor_b32_e32 v29, 0xffff8000, v29
	v_lshrrev_b32_sdwa v1, s20, v29 dst_sel:DWORD dst_unused:UNUSED_PAD src0_sel:DWORD src1_sel:WORD_0
	v_and_b32_e32 v2, s21, v1
	v_mul_u32_u24_e32 v1, 17, v2
	v_add_lshl_u32 v33, v17, v1, 2
	v_and_b32_e32 v1, 1, v2
	v_add_co_u32_e32 v3, vcc, -1, v1
	v_addc_co_u32_e64 v35, s[0:1], 0, -1, vcc
	v_cmp_ne_u32_e32 vcc, 0, v1
	v_xor_b32_e32 v1, vcc_hi, v35
	v_and_b32_e32 v35, exec_hi, v1
	v_lshlrev_b32_e32 v1, 30, v2
	v_xor_b32_e32 v3, vcc_lo, v3
	v_cmp_gt_i64_e32 vcc, 0, v[0:1]
	v_not_b32_e32 v1, v1
	v_ashrrev_i32_e32 v1, 31, v1
	v_and_b32_e32 v3, exec_lo, v3
	v_xor_b32_e32 v36, vcc_hi, v1
	v_xor_b32_e32 v1, vcc_lo, v1
	v_and_b32_e32 v3, v3, v1
	v_lshlrev_b32_e32 v1, 29, v2
	v_cmp_gt_i64_e32 vcc, 0, v[0:1]
	v_not_b32_e32 v1, v1
	v_ashrrev_i32_e32 v1, 31, v1
	v_and_b32_e32 v35, v35, v36
	v_xor_b32_e32 v36, vcc_hi, v1
	v_xor_b32_e32 v1, vcc_lo, v1
	v_and_b32_e32 v3, v3, v1
	v_lshlrev_b32_e32 v1, 28, v2
	v_cmp_gt_i64_e32 vcc, 0, v[0:1]
	v_not_b32_e32 v1, v1
	v_ashrrev_i32_e32 v1, 31, v1
	v_and_b32_e32 v35, v35, v36
	;; [unrolled: 8-line block ×5, first 2 shown]
	v_xor_b32_e32 v36, vcc_hi, v1
	v_xor_b32_e32 v1, vcc_lo, v1
	v_and_b32_e32 v3, v3, v1
	v_lshlrev_b32_e32 v1, 24, v2
	v_cmp_gt_i64_e32 vcc, 0, v[0:1]
	v_not_b32_e32 v0, v1
	v_ashrrev_i32_e32 v0, 31, v0
	v_xor_b32_e32 v1, vcc_hi, v0
	v_xor_b32_e32 v0, vcc_lo, v0
	; wave barrier
	ds_read_b32 v31, v33 offset:64
	v_and_b32_e32 v35, v35, v36
	v_and_b32_e32 v0, v3, v0
	;; [unrolled: 1-line block ×3, first 2 shown]
	v_mbcnt_lo_u32_b32 v2, v0, 0
	v_mbcnt_hi_u32_b32 v35, v1, v2
	v_cmp_eq_u32_e32 vcc, 0, v35
	v_cmp_ne_u64_e64 s[0:1], 0, v[0:1]
	s_and_b64 s[2:3], s[0:1], vcc
	; wave barrier
	s_and_saveexec_b64 s[0:1], s[2:3]
	s_cbranch_execz .LBB443_109
; %bb.108:
	v_bcnt_u32_b32 v0, v0, 0
	v_bcnt_u32_b32 v0, v1, v0
	s_waitcnt lgkmcnt(0)
	v_add_u32_e32 v0, v31, v0
	ds_write_b32 v33, v0 offset:64
.LBB443_109:
	s_or_b64 exec, exec, s[0:1]
	s_waitcnt vmcnt(5)
	v_xor_b32_e32 v34, 0xffff8000, v34
	v_lshrrev_b32_sdwa v0, s20, v34 dst_sel:DWORD dst_unused:UNUSED_PAD src0_sel:DWORD src1_sel:WORD_0
	v_and_b32_e32 v2, s21, v0
	v_and_b32_e32 v1, 1, v2
	v_add_co_u32_e32 v3, vcc, -1, v1
	v_addc_co_u32_e64 v39, s[0:1], 0, -1, vcc
	v_cmp_ne_u32_e32 vcc, 0, v1
	v_mul_u32_u24_e32 v0, 17, v2
	v_xor_b32_e32 v1, vcc_hi, v39
	v_add_lshl_u32 v38, v17, v0, 2
	v_mov_b32_e32 v0, 0
	v_and_b32_e32 v39, exec_hi, v1
	v_lshlrev_b32_e32 v1, 30, v2
	v_xor_b32_e32 v3, vcc_lo, v3
	v_cmp_gt_i64_e32 vcc, 0, v[0:1]
	v_not_b32_e32 v1, v1
	v_ashrrev_i32_e32 v1, 31, v1
	v_and_b32_e32 v3, exec_lo, v3
	v_xor_b32_e32 v40, vcc_hi, v1
	v_xor_b32_e32 v1, vcc_lo, v1
	v_and_b32_e32 v3, v3, v1
	v_lshlrev_b32_e32 v1, 29, v2
	v_cmp_gt_i64_e32 vcc, 0, v[0:1]
	v_not_b32_e32 v1, v1
	v_ashrrev_i32_e32 v1, 31, v1
	v_and_b32_e32 v39, v39, v40
	v_xor_b32_e32 v40, vcc_hi, v1
	v_xor_b32_e32 v1, vcc_lo, v1
	v_and_b32_e32 v3, v3, v1
	v_lshlrev_b32_e32 v1, 28, v2
	v_cmp_gt_i64_e32 vcc, 0, v[0:1]
	v_not_b32_e32 v1, v1
	v_ashrrev_i32_e32 v1, 31, v1
	v_and_b32_e32 v39, v39, v40
	;; [unrolled: 8-line block ×5, first 2 shown]
	v_xor_b32_e32 v40, vcc_hi, v1
	v_xor_b32_e32 v1, vcc_lo, v1
	v_and_b32_e32 v39, v39, v40
	v_and_b32_e32 v40, v3, v1
	v_lshlrev_b32_e32 v1, 24, v2
	v_cmp_gt_i64_e32 vcc, 0, v[0:1]
	v_not_b32_e32 v1, v1
	v_ashrrev_i32_e32 v1, 31, v1
	v_xor_b32_e32 v2, vcc_hi, v1
	v_xor_b32_e32 v1, vcc_lo, v1
	; wave barrier
	ds_read_b32 v36, v38 offset:64
	v_and_b32_e32 v3, v39, v2
	v_and_b32_e32 v2, v40, v1
	v_mbcnt_lo_u32_b32 v1, v2, 0
	v_mbcnt_hi_u32_b32 v39, v3, v1
	v_cmp_eq_u32_e32 vcc, 0, v39
	v_cmp_ne_u64_e64 s[0:1], 0, v[2:3]
	s_and_b64 s[2:3], s[0:1], vcc
	; wave barrier
	s_and_saveexec_b64 s[0:1], s[2:3]
	s_cbranch_execz .LBB443_111
; %bb.110:
	v_bcnt_u32_b32 v1, v2, 0
	v_bcnt_u32_b32 v1, v3, v1
	s_waitcnt lgkmcnt(0)
	v_add_u32_e32 v1, v36, v1
	ds_write_b32 v38, v1 offset:64
.LBB443_111:
	s_or_b64 exec, exec, s[0:1]
	s_waitcnt vmcnt(4)
	v_xor_b32_e32 v37, 0xffff8000, v37
	v_lshrrev_b32_sdwa v1, s20, v37 dst_sel:DWORD dst_unused:UNUSED_PAD src0_sel:DWORD src1_sel:WORD_0
	v_and_b32_e32 v2, s21, v1
	v_mul_u32_u24_e32 v1, 17, v2
	v_add_lshl_u32 v41, v17, v1, 2
	v_and_b32_e32 v1, 1, v2
	v_add_co_u32_e32 v3, vcc, -1, v1
	v_addc_co_u32_e64 v42, s[0:1], 0, -1, vcc
	v_cmp_ne_u32_e32 vcc, 0, v1
	v_xor_b32_e32 v1, vcc_hi, v42
	v_and_b32_e32 v42, exec_hi, v1
	v_lshlrev_b32_e32 v1, 30, v2
	v_xor_b32_e32 v3, vcc_lo, v3
	v_cmp_gt_i64_e32 vcc, 0, v[0:1]
	v_not_b32_e32 v1, v1
	v_ashrrev_i32_e32 v1, 31, v1
	v_and_b32_e32 v3, exec_lo, v3
	v_xor_b32_e32 v43, vcc_hi, v1
	v_xor_b32_e32 v1, vcc_lo, v1
	v_and_b32_e32 v3, v3, v1
	v_lshlrev_b32_e32 v1, 29, v2
	v_cmp_gt_i64_e32 vcc, 0, v[0:1]
	v_not_b32_e32 v1, v1
	v_ashrrev_i32_e32 v1, 31, v1
	v_and_b32_e32 v42, v42, v43
	v_xor_b32_e32 v43, vcc_hi, v1
	v_xor_b32_e32 v1, vcc_lo, v1
	v_and_b32_e32 v3, v3, v1
	v_lshlrev_b32_e32 v1, 28, v2
	v_cmp_gt_i64_e32 vcc, 0, v[0:1]
	v_not_b32_e32 v1, v1
	v_ashrrev_i32_e32 v1, 31, v1
	v_and_b32_e32 v42, v42, v43
	;; [unrolled: 8-line block ×5, first 2 shown]
	v_xor_b32_e32 v43, vcc_hi, v1
	v_xor_b32_e32 v1, vcc_lo, v1
	v_and_b32_e32 v3, v3, v1
	v_lshlrev_b32_e32 v1, 24, v2
	v_cmp_gt_i64_e32 vcc, 0, v[0:1]
	v_not_b32_e32 v0, v1
	v_ashrrev_i32_e32 v0, 31, v0
	v_xor_b32_e32 v1, vcc_hi, v0
	v_xor_b32_e32 v0, vcc_lo, v0
	; wave barrier
	ds_read_b32 v40, v41 offset:64
	v_and_b32_e32 v42, v42, v43
	v_and_b32_e32 v0, v3, v0
	v_and_b32_e32 v1, v42, v1
	v_mbcnt_lo_u32_b32 v2, v0, 0
	v_mbcnt_hi_u32_b32 v42, v1, v2
	v_cmp_eq_u32_e32 vcc, 0, v42
	v_cmp_ne_u64_e64 s[0:1], 0, v[0:1]
	s_and_b64 s[2:3], s[0:1], vcc
	; wave barrier
	s_and_saveexec_b64 s[0:1], s[2:3]
	s_cbranch_execz .LBB443_113
; %bb.112:
	v_bcnt_u32_b32 v0, v0, 0
	v_bcnt_u32_b32 v0, v1, v0
	s_waitcnt lgkmcnt(0)
	v_add_u32_e32 v0, v40, v0
	ds_write_b32 v41, v0 offset:64
.LBB443_113:
	s_or_b64 exec, exec, s[0:1]
	s_waitcnt vmcnt(3)
	v_xor_b32_e32 v32, 0xffff8000, v32
	v_lshrrev_b32_sdwa v0, s20, v32 dst_sel:DWORD dst_unused:UNUSED_PAD src0_sel:DWORD src1_sel:WORD_0
	v_and_b32_e32 v2, s21, v0
	v_and_b32_e32 v1, 1, v2
	v_add_co_u32_e32 v3, vcc, -1, v1
	v_addc_co_u32_e64 v45, s[0:1], 0, -1, vcc
	v_cmp_ne_u32_e32 vcc, 0, v1
	v_mul_u32_u24_e32 v0, 17, v2
	v_xor_b32_e32 v1, vcc_hi, v45
	v_add_lshl_u32 v44, v17, v0, 2
	v_mov_b32_e32 v0, 0
	v_and_b32_e32 v45, exec_hi, v1
	v_lshlrev_b32_e32 v1, 30, v2
	v_xor_b32_e32 v3, vcc_lo, v3
	v_cmp_gt_i64_e32 vcc, 0, v[0:1]
	v_not_b32_e32 v1, v1
	v_ashrrev_i32_e32 v1, 31, v1
	v_and_b32_e32 v3, exec_lo, v3
	v_xor_b32_e32 v46, vcc_hi, v1
	v_xor_b32_e32 v1, vcc_lo, v1
	v_and_b32_e32 v3, v3, v1
	v_lshlrev_b32_e32 v1, 29, v2
	v_cmp_gt_i64_e32 vcc, 0, v[0:1]
	v_not_b32_e32 v1, v1
	v_ashrrev_i32_e32 v1, 31, v1
	v_and_b32_e32 v45, v45, v46
	v_xor_b32_e32 v46, vcc_hi, v1
	v_xor_b32_e32 v1, vcc_lo, v1
	v_and_b32_e32 v3, v3, v1
	v_lshlrev_b32_e32 v1, 28, v2
	v_cmp_gt_i64_e32 vcc, 0, v[0:1]
	v_not_b32_e32 v1, v1
	v_ashrrev_i32_e32 v1, 31, v1
	v_and_b32_e32 v45, v45, v46
	;; [unrolled: 8-line block ×5, first 2 shown]
	v_xor_b32_e32 v46, vcc_hi, v1
	v_xor_b32_e32 v1, vcc_lo, v1
	v_and_b32_e32 v45, v45, v46
	v_and_b32_e32 v46, v3, v1
	v_lshlrev_b32_e32 v1, 24, v2
	v_cmp_gt_i64_e32 vcc, 0, v[0:1]
	v_not_b32_e32 v1, v1
	v_ashrrev_i32_e32 v1, 31, v1
	v_xor_b32_e32 v2, vcc_hi, v1
	v_xor_b32_e32 v1, vcc_lo, v1
	; wave barrier
	ds_read_b32 v43, v44 offset:64
	v_and_b32_e32 v3, v45, v2
	v_and_b32_e32 v2, v46, v1
	v_mbcnt_lo_u32_b32 v1, v2, 0
	v_mbcnt_hi_u32_b32 v45, v3, v1
	v_cmp_eq_u32_e32 vcc, 0, v45
	v_cmp_ne_u64_e64 s[0:1], 0, v[2:3]
	s_and_b64 s[2:3], s[0:1], vcc
	; wave barrier
	s_and_saveexec_b64 s[0:1], s[2:3]
	s_cbranch_execz .LBB443_115
; %bb.114:
	v_bcnt_u32_b32 v1, v2, 0
	v_bcnt_u32_b32 v1, v3, v1
	s_waitcnt lgkmcnt(0)
	v_add_u32_e32 v1, v43, v1
	ds_write_b32 v44, v1 offset:64
.LBB443_115:
	s_or_b64 exec, exec, s[0:1]
	s_waitcnt vmcnt(2)
	v_xor_b32_e32 v27, 0xffff8000, v27
	v_lshrrev_b32_sdwa v1, s20, v27 dst_sel:DWORD dst_unused:UNUSED_PAD src0_sel:DWORD src1_sel:WORD_0
	v_and_b32_e32 v2, s21, v1
	v_mul_u32_u24_e32 v1, 17, v2
	v_add_lshl_u32 v47, v17, v1, 2
	v_and_b32_e32 v1, 1, v2
	v_add_co_u32_e32 v3, vcc, -1, v1
	v_addc_co_u32_e64 v48, s[0:1], 0, -1, vcc
	v_cmp_ne_u32_e32 vcc, 0, v1
	v_xor_b32_e32 v1, vcc_hi, v48
	v_and_b32_e32 v48, exec_hi, v1
	v_lshlrev_b32_e32 v1, 30, v2
	v_xor_b32_e32 v3, vcc_lo, v3
	v_cmp_gt_i64_e32 vcc, 0, v[0:1]
	v_not_b32_e32 v1, v1
	v_ashrrev_i32_e32 v1, 31, v1
	v_and_b32_e32 v3, exec_lo, v3
	v_xor_b32_e32 v49, vcc_hi, v1
	v_xor_b32_e32 v1, vcc_lo, v1
	v_and_b32_e32 v3, v3, v1
	v_lshlrev_b32_e32 v1, 29, v2
	v_cmp_gt_i64_e32 vcc, 0, v[0:1]
	v_not_b32_e32 v1, v1
	v_ashrrev_i32_e32 v1, 31, v1
	v_and_b32_e32 v48, v48, v49
	v_xor_b32_e32 v49, vcc_hi, v1
	v_xor_b32_e32 v1, vcc_lo, v1
	v_and_b32_e32 v3, v3, v1
	v_lshlrev_b32_e32 v1, 28, v2
	v_cmp_gt_i64_e32 vcc, 0, v[0:1]
	v_not_b32_e32 v1, v1
	v_ashrrev_i32_e32 v1, 31, v1
	v_and_b32_e32 v48, v48, v49
	;; [unrolled: 8-line block ×5, first 2 shown]
	v_xor_b32_e32 v49, vcc_hi, v1
	v_xor_b32_e32 v1, vcc_lo, v1
	v_and_b32_e32 v3, v3, v1
	v_lshlrev_b32_e32 v1, 24, v2
	v_cmp_gt_i64_e32 vcc, 0, v[0:1]
	v_not_b32_e32 v0, v1
	v_ashrrev_i32_e32 v0, 31, v0
	v_xor_b32_e32 v1, vcc_hi, v0
	v_xor_b32_e32 v0, vcc_lo, v0
	; wave barrier
	ds_read_b32 v46, v47 offset:64
	v_and_b32_e32 v48, v48, v49
	v_and_b32_e32 v0, v3, v0
	;; [unrolled: 1-line block ×3, first 2 shown]
	v_mbcnt_lo_u32_b32 v2, v0, 0
	v_mbcnt_hi_u32_b32 v48, v1, v2
	v_cmp_eq_u32_e32 vcc, 0, v48
	v_cmp_ne_u64_e64 s[0:1], 0, v[0:1]
	s_and_b64 s[2:3], s[0:1], vcc
	; wave barrier
	s_and_saveexec_b64 s[0:1], s[2:3]
	s_cbranch_execz .LBB443_117
; %bb.116:
	v_bcnt_u32_b32 v0, v0, 0
	v_bcnt_u32_b32 v0, v1, v0
	s_waitcnt lgkmcnt(0)
	v_add_u32_e32 v0, v46, v0
	ds_write_b32 v47, v0 offset:64
.LBB443_117:
	s_or_b64 exec, exec, s[0:1]
	s_waitcnt vmcnt(1)
	v_xor_b32_e32 v22, 0xffff8000, v22
	v_lshrrev_b32_sdwa v0, s20, v22 dst_sel:DWORD dst_unused:UNUSED_PAD src0_sel:DWORD src1_sel:WORD_0
	v_and_b32_e32 v2, s21, v0
	v_and_b32_e32 v1, 1, v2
	v_add_co_u32_e32 v3, vcc, -1, v1
	v_addc_co_u32_e64 v51, s[0:1], 0, -1, vcc
	v_cmp_ne_u32_e32 vcc, 0, v1
	v_mul_u32_u24_e32 v0, 17, v2
	v_xor_b32_e32 v1, vcc_hi, v51
	v_add_lshl_u32 v50, v17, v0, 2
	v_mov_b32_e32 v0, 0
	v_and_b32_e32 v51, exec_hi, v1
	v_lshlrev_b32_e32 v1, 30, v2
	v_xor_b32_e32 v3, vcc_lo, v3
	v_cmp_gt_i64_e32 vcc, 0, v[0:1]
	v_not_b32_e32 v1, v1
	v_ashrrev_i32_e32 v1, 31, v1
	v_and_b32_e32 v3, exec_lo, v3
	v_xor_b32_e32 v52, vcc_hi, v1
	v_xor_b32_e32 v1, vcc_lo, v1
	v_and_b32_e32 v3, v3, v1
	v_lshlrev_b32_e32 v1, 29, v2
	v_cmp_gt_i64_e32 vcc, 0, v[0:1]
	v_not_b32_e32 v1, v1
	v_ashrrev_i32_e32 v1, 31, v1
	v_and_b32_e32 v51, v51, v52
	v_xor_b32_e32 v52, vcc_hi, v1
	v_xor_b32_e32 v1, vcc_lo, v1
	v_and_b32_e32 v3, v3, v1
	v_lshlrev_b32_e32 v1, 28, v2
	v_cmp_gt_i64_e32 vcc, 0, v[0:1]
	v_not_b32_e32 v1, v1
	v_ashrrev_i32_e32 v1, 31, v1
	v_and_b32_e32 v51, v51, v52
	;; [unrolled: 8-line block ×5, first 2 shown]
	v_xor_b32_e32 v52, vcc_hi, v1
	v_xor_b32_e32 v1, vcc_lo, v1
	v_and_b32_e32 v51, v51, v52
	v_and_b32_e32 v52, v3, v1
	v_lshlrev_b32_e32 v1, 24, v2
	v_cmp_gt_i64_e32 vcc, 0, v[0:1]
	v_not_b32_e32 v1, v1
	v_ashrrev_i32_e32 v1, 31, v1
	v_xor_b32_e32 v2, vcc_hi, v1
	v_xor_b32_e32 v1, vcc_lo, v1
	; wave barrier
	ds_read_b32 v49, v50 offset:64
	v_and_b32_e32 v3, v51, v2
	v_and_b32_e32 v2, v52, v1
	v_mbcnt_lo_u32_b32 v1, v2, 0
	v_mbcnt_hi_u32_b32 v51, v3, v1
	v_cmp_eq_u32_e32 vcc, 0, v51
	v_cmp_ne_u64_e64 s[0:1], 0, v[2:3]
	s_and_b64 s[2:3], s[0:1], vcc
	; wave barrier
	s_and_saveexec_b64 s[0:1], s[2:3]
	s_cbranch_execz .LBB443_119
; %bb.118:
	v_bcnt_u32_b32 v1, v2, 0
	v_bcnt_u32_b32 v1, v3, v1
	s_waitcnt lgkmcnt(0)
	v_add_u32_e32 v1, v49, v1
	ds_write_b32 v50, v1 offset:64
.LBB443_119:
	s_or_b64 exec, exec, s[0:1]
	s_waitcnt vmcnt(0)
	v_xor_b32_e32 v16, 0xffff8000, v16
	v_lshrrev_b32_sdwa v1, s20, v16 dst_sel:DWORD dst_unused:UNUSED_PAD src0_sel:DWORD src1_sel:WORD_0
	v_and_b32_e32 v2, s21, v1
	v_mul_u32_u24_e32 v1, 17, v2
	v_add_lshl_u32 v52, v17, v1, 2
	v_and_b32_e32 v1, 1, v2
	v_add_co_u32_e32 v3, vcc, -1, v1
	v_addc_co_u32_e64 v54, s[0:1], 0, -1, vcc
	v_cmp_ne_u32_e32 vcc, 0, v1
	v_xor_b32_e32 v1, vcc_hi, v54
	v_and_b32_e32 v54, exec_hi, v1
	v_lshlrev_b32_e32 v1, 30, v2
	v_xor_b32_e32 v3, vcc_lo, v3
	v_cmp_gt_i64_e32 vcc, 0, v[0:1]
	v_not_b32_e32 v1, v1
	v_ashrrev_i32_e32 v1, 31, v1
	v_and_b32_e32 v3, exec_lo, v3
	v_xor_b32_e32 v55, vcc_hi, v1
	v_xor_b32_e32 v1, vcc_lo, v1
	v_and_b32_e32 v3, v3, v1
	v_lshlrev_b32_e32 v1, 29, v2
	v_cmp_gt_i64_e32 vcc, 0, v[0:1]
	v_not_b32_e32 v1, v1
	v_ashrrev_i32_e32 v1, 31, v1
	v_and_b32_e32 v54, v54, v55
	v_xor_b32_e32 v55, vcc_hi, v1
	v_xor_b32_e32 v1, vcc_lo, v1
	v_and_b32_e32 v3, v3, v1
	v_lshlrev_b32_e32 v1, 28, v2
	v_cmp_gt_i64_e32 vcc, 0, v[0:1]
	v_not_b32_e32 v1, v1
	v_ashrrev_i32_e32 v1, 31, v1
	v_and_b32_e32 v54, v54, v55
	;; [unrolled: 8-line block ×5, first 2 shown]
	v_xor_b32_e32 v55, vcc_hi, v1
	v_xor_b32_e32 v1, vcc_lo, v1
	v_and_b32_e32 v3, v3, v1
	v_lshlrev_b32_e32 v1, 24, v2
	v_cmp_gt_i64_e32 vcc, 0, v[0:1]
	v_not_b32_e32 v0, v1
	v_ashrrev_i32_e32 v0, 31, v0
	v_xor_b32_e32 v1, vcc_hi, v0
	v_xor_b32_e32 v0, vcc_lo, v0
	; wave barrier
	ds_read_b32 v17, v52 offset:64
	v_and_b32_e32 v54, v54, v55
	v_and_b32_e32 v0, v3, v0
	;; [unrolled: 1-line block ×3, first 2 shown]
	v_mbcnt_lo_u32_b32 v2, v0, 0
	v_mbcnt_hi_u32_b32 v54, v1, v2
	v_cmp_eq_u32_e32 vcc, 0, v54
	v_cmp_ne_u64_e64 s[0:1], 0, v[0:1]
	v_add_u32_e32 v53, 64, v6
	s_and_b64 s[2:3], s[0:1], vcc
	; wave barrier
	s_and_saveexec_b64 s[0:1], s[2:3]
	s_cbranch_execz .LBB443_121
; %bb.120:
	v_bcnt_u32_b32 v0, v0, 0
	v_bcnt_u32_b32 v0, v1, v0
	s_waitcnt lgkmcnt(0)
	v_add_u32_e32 v0, v17, v0
	ds_write_b32 v52, v0 offset:64
.LBB443_121:
	s_or_b64 exec, exec, s[0:1]
	; wave barrier
	s_waitcnt lgkmcnt(0)
	s_barrier
	ds_read2_b32 v[2:3], v6 offset0:16 offset1:17
	ds_read2_b32 v[0:1], v53 offset0:2 offset1:3
	ds_read_b32 v55, v53 offset:16
	v_cmp_lt_u32_e64 s[8:9], 31, v5
	s_waitcnt lgkmcnt(1)
	v_add3_u32 v56, v3, v2, v0
	s_waitcnt lgkmcnt(0)
	v_add3_u32 v55, v56, v1, v55
	v_and_b32_e32 v56, 15, v5
	v_cmp_eq_u32_e32 vcc, 0, v56
	v_mov_b32_dpp v57, v55 row_shr:1 row_mask:0xf bank_mask:0xf
	v_cndmask_b32_e64 v57, v57, 0, vcc
	v_add_u32_e32 v55, v57, v55
	v_cmp_lt_u32_e64 s[0:1], 1, v56
	v_cmp_lt_u32_e64 s[2:3], 3, v56
	v_mov_b32_dpp v57, v55 row_shr:2 row_mask:0xf bank_mask:0xf
	v_cndmask_b32_e64 v57, 0, v57, s[0:1]
	v_add_u32_e32 v55, v55, v57
	v_cmp_lt_u32_e64 s[4:5], 7, v56
	s_nop 0
	v_mov_b32_dpp v57, v55 row_shr:4 row_mask:0xf bank_mask:0xf
	v_cndmask_b32_e64 v57, 0, v57, s[2:3]
	v_add_u32_e32 v55, v55, v57
	s_nop 1
	v_mov_b32_dpp v57, v55 row_shr:8 row_mask:0xf bank_mask:0xf
	v_cndmask_b32_e64 v56, 0, v57, s[4:5]
	v_add_u32_e32 v55, v55, v56
	v_bfe_i32 v57, v5, 4, 1
	s_nop 0
	v_mov_b32_dpp v56, v55 row_bcast:15 row_mask:0xf bank_mask:0xf
	v_and_b32_e32 v56, v57, v56
	v_add_u32_e32 v55, v55, v56
	v_and_b32_e32 v57, 63, v10
	s_nop 0
	v_mov_b32_dpp v56, v55 row_bcast:31 row_mask:0xf bank_mask:0xf
	v_cndmask_b32_e64 v56, 0, v56, s[8:9]
	v_add_u32_e32 v55, v55, v56
	v_lshrrev_b32_e32 v56, 6, v10
	v_cmp_eq_u32_e64 s[8:9], 63, v57
	s_and_saveexec_b64 s[16:17], s[8:9]
	s_cbranch_execz .LBB443_123
; %bb.122:
	v_lshlrev_b32_e32 v57, 2, v56
	ds_write_b32 v57, v55
.LBB443_123:
	s_or_b64 exec, exec, s[16:17]
	v_cmp_gt_u32_e64 s[8:9], 16, v10
	s_waitcnt lgkmcnt(0)
	s_barrier
	s_and_saveexec_b64 s[16:17], s[8:9]
	s_cbranch_execz .LBB443_125
; %bb.124:
	v_lshlrev_b32_e32 v57, 2, v10
	ds_read_b32 v58, v57
	s_waitcnt lgkmcnt(0)
	s_nop 0
	v_mov_b32_dpp v59, v58 row_shr:1 row_mask:0xf bank_mask:0xf
	v_cndmask_b32_e64 v59, v59, 0, vcc
	v_add_u32_e32 v58, v59, v58
	s_nop 1
	v_mov_b32_dpp v59, v58 row_shr:2 row_mask:0xf bank_mask:0xf
	v_cndmask_b32_e64 v59, 0, v59, s[0:1]
	v_add_u32_e32 v58, v58, v59
	s_nop 1
	v_mov_b32_dpp v59, v58 row_shr:4 row_mask:0xf bank_mask:0xf
	v_cndmask_b32_e64 v59, 0, v59, s[2:3]
	;; [unrolled: 4-line block ×3, first 2 shown]
	v_add_u32_e32 v58, v58, v59
	ds_write_b32 v57, v58
.LBB443_125:
	s_or_b64 exec, exec, s[16:17]
	v_cmp_lt_u32_e32 vcc, 63, v10
	v_mov_b32_e32 v57, 0
	s_waitcnt lgkmcnt(0)
	s_barrier
	s_and_saveexec_b64 s[0:1], vcc
	s_cbranch_execz .LBB443_127
; %bb.126:
	v_lshl_add_u32 v56, v56, 2, -4
	ds_read_b32 v57, v56
.LBB443_127:
	s_or_b64 exec, exec, s[0:1]
	v_add_u32_e32 v56, -1, v5
	v_and_b32_e32 v58, 64, v5
	v_cmp_lt_i32_e32 vcc, v56, v58
	v_cndmask_b32_e32 v56, v56, v5, vcc
	s_waitcnt lgkmcnt(0)
	v_add_u32_e32 v55, v57, v55
	v_lshlrev_b32_e32 v56, 2, v56
	ds_bpermute_b32 v55, v56, v55
	v_cmp_eq_u32_e32 vcc, 0, v5
	s_movk_i32 s2, 0xff
	s_movk_i32 s3, 0x100
	v_cmp_lt_u32_e64 s[0:1], s2, v10
	s_waitcnt lgkmcnt(0)
	v_cndmask_b32_e32 v5, v55, v57, vcc
	v_cmp_ne_u32_e32 vcc, 0, v10
	v_cndmask_b32_e32 v5, 0, v5, vcc
	v_add_u32_e32 v2, v5, v2
	v_add_u32_e32 v3, v2, v3
	;; [unrolled: 1-line block ×4, first 2 shown]
	ds_write2_b32 v6, v5, v2 offset0:16 offset1:17
	ds_write2_b32 v53, v3, v0 offset0:2 offset1:3
	ds_write_b32 v53, v1 offset:16
	s_waitcnt lgkmcnt(0)
	s_barrier
	ds_read_b32 v57, v7 offset:64
	ds_read_b32 v56, v12 offset:64
	;; [unrolled: 1-line block ×12, first 2 shown]
	v_cmp_gt_u32_e32 vcc, s3, v10
	v_pk_mov_b32 v[0:1], 0, 0
                                        ; implicit-def: $vgpr12
	s_and_saveexec_b64 s[4:5], vcc
	s_cbranch_execz .LBB443_131
; %bb.128:
	v_mul_u32_u24_e32 v0, 17, v10
	v_lshlrev_b32_e32 v12, 2, v0
	ds_read_b32 v0, v12 offset:64
	v_cmp_ne_u32_e64 s[2:3], s2, v10
	v_mov_b32_e32 v1, 0x3000
	s_and_saveexec_b64 s[8:9], s[2:3]
	s_cbranch_execz .LBB443_130
; %bb.129:
	ds_read_b32 v1, v12 offset:132
.LBB443_130:
	s_or_b64 exec, exec, s[8:9]
	s_waitcnt lgkmcnt(0)
	v_sub_u32_e32 v12, v1, v0
	v_mov_b32_e32 v1, 0
.LBB443_131:
	s_or_b64 exec, exec, s[4:5]
	v_add_u32_e32 v11, v13, v11
	s_waitcnt lgkmcnt(11)
	v_add_lshl_u32 v8, v57, v8, 1
	v_add_u32_e32 v15, v19, v15
	s_waitcnt lgkmcnt(0)
	s_barrier
	ds_write_b16 v8, v4 offset:2048
	v_add_lshl_u32 v4, v11, v56, 1
	v_add_u32_e32 v21, v24, v21
	ds_write_b16 v4, v9 offset:2048
	v_add_lshl_u32 v4, v15, v55, 1
	v_add_u32_e32 v26, v30, v26
	;; [unrolled: 3-line block ×7, first 2 shown]
	v_add_u32_e32 v33, v51, v49
	v_add_u32_e32 v38, v48, v46
	ds_write_b16 v4, v37 offset:2048
	v_add_lshl_u32 v4, v41, v6, 1
	ds_write_b16 v4, v32 offset:2048
	v_add_lshl_u32 v4, v38, v5, 1
	v_add_lshl_u32 v3, v33, v3, 1
	;; [unrolled: 1-line block ×3, first 2 shown]
	ds_write_b16 v4, v27 offset:2048
	ds_write_b16 v3, v22 offset:2048
	;; [unrolled: 1-line block ×3, first 2 shown]
	s_and_saveexec_b64 s[2:3], s[0:1]
	s_xor_b64 s[0:1], exec, s[2:3]
; %bb.132:
	v_mov_b32_e32 v11, 0
; %bb.133:
	s_andn2_saveexec_b64 s[2:3], s[0:1]
	s_cbranch_execz .LBB443_143
; %bb.134:
	v_lshl_or_b32 v2, s6, 8, v10
	v_mov_b32_e32 v3, 0
	v_lshlrev_b64 v[4:5], 2, v[2:3]
	v_mov_b32_e32 v9, s25
	v_add_co_u32_e64 v4, s[0:1], s24, v4
	v_addc_co_u32_e64 v5, s[0:1], v9, v5, s[0:1]
	v_or_b32_e32 v2, 2.0, v12
	s_mov_b64 s[4:5], 0
	s_brev_b32 s22, 1
	s_mov_b32 s23, s6
	v_mov_b32_e32 v8, 0
	global_store_dword v[4:5], v2, off
                                        ; implicit-def: $sgpr0_sgpr1
	s_branch .LBB443_137
.LBB443_135:                            ;   in Loop: Header=BB443_137 Depth=1
	s_or_b64 exec, exec, s[16:17]
.LBB443_136:                            ;   in Loop: Header=BB443_137 Depth=1
	s_or_b64 exec, exec, s[8:9]
	v_and_b32_e32 v6, 0x3fffffff, v11
	v_add_u32_e32 v8, v6, v8
	v_cmp_eq_u32_e64 s[0:1], s22, v2
	s_and_b64 s[8:9], exec, s[0:1]
	s_or_b64 s[4:5], s[8:9], s[4:5]
	s_andn2_b64 exec, exec, s[4:5]
	s_cbranch_execz .LBB443_142
.LBB443_137:                            ; =>This Loop Header: Depth=1
                                        ;     Child Loop BB443_140 Depth 2
	s_or_b64 s[0:1], s[0:1], exec
	s_cmp_eq_u32 s23, 0
	s_cbranch_scc1 .LBB443_141
; %bb.138:                              ;   in Loop: Header=BB443_137 Depth=1
	s_add_i32 s23, s23, -1
	v_lshl_or_b32 v2, s23, 8, v10
	v_lshlrev_b64 v[6:7], 2, v[2:3]
	v_add_co_u32_e64 v6, s[0:1], s24, v6
	v_addc_co_u32_e64 v7, s[0:1], v9, v7, s[0:1]
	global_load_dword v11, v[6:7], off glc
	s_waitcnt vmcnt(0)
	v_and_b32_e32 v2, -2.0, v11
	v_cmp_eq_u32_e64 s[0:1], 0, v2
	s_and_saveexec_b64 s[8:9], s[0:1]
	s_cbranch_execz .LBB443_136
; %bb.139:                              ;   in Loop: Header=BB443_137 Depth=1
	s_mov_b64 s[16:17], 0
.LBB443_140:                            ;   Parent Loop BB443_137 Depth=1
                                        ; =>  This Inner Loop Header: Depth=2
	global_load_dword v11, v[6:7], off glc
	s_waitcnt vmcnt(0)
	v_and_b32_e32 v2, -2.0, v11
	v_cmp_ne_u32_e64 s[0:1], 0, v2
	s_or_b64 s[16:17], s[0:1], s[16:17]
	s_andn2_b64 exec, exec, s[16:17]
	s_cbranch_execnz .LBB443_140
	s_branch .LBB443_135
.LBB443_141:                            ;   in Loop: Header=BB443_137 Depth=1
                                        ; implicit-def: $sgpr23
	s_and_b64 s[8:9], exec, s[0:1]
	s_or_b64 s[4:5], s[8:9], s[4:5]
	s_andn2_b64 exec, exec, s[4:5]
	s_cbranch_execnz .LBB443_137
.LBB443_142:
	s_or_b64 exec, exec, s[4:5]
	v_add_u32_e32 v2, v8, v12
	v_or_b32_e32 v2, 0x80000000, v2
	global_store_dword v[4:5], v2, off
	v_lshlrev_b32_e32 v4, 3, v10
	global_load_dwordx2 v[2:3], v4, s[12:13]
	v_sub_co_u32_e64 v5, s[0:1], v8, v0
	v_subb_co_u32_e64 v6, s[0:1], 0, v1, s[0:1]
	v_mov_b32_e32 v11, 0
	s_waitcnt vmcnt(0)
	v_add_co_u32_e64 v2, s[0:1], v5, v2
	v_addc_co_u32_e64 v3, s[0:1], v6, v3, s[0:1]
	ds_write_b64 v4, v[2:3]
.LBB443_143:
	s_or_b64 exec, exec, s[2:3]
	v_lshlrev_b32_e32 v2, 1, v10
	s_waitcnt lgkmcnt(0)
	s_barrier
	ds_read_u16 v3, v2 offset:2048
	ds_read_u16 v8, v2 offset:4096
	;; [unrolled: 1-line block ×8, first 2 shown]
	s_waitcnt lgkmcnt(7)
	v_lshrrev_b32_sdwa v4, s20, v3 dst_sel:DWORD dst_unused:UNUSED_PAD src0_sel:DWORD src1_sel:WORD_0
	v_and_b32_e32 v4, s21, v4
	v_lshlrev_b32_e32 v4, 3, v4
	ds_read_b64 v[4:5], v4
	ds_read_u16 v23, v2 offset:18432
	ds_read_u16 v24, v2 offset:20480
	;; [unrolled: 1-line block ×4, first 2 shown]
	s_waitcnt lgkmcnt(4)
	v_lshlrev_b64 v[4:5], 1, v[4:5]
	v_mov_b32_e32 v6, s19
	v_add_co_u32_e64 v7, s[0:1], s18, v4
	v_addc_co_u32_e64 v9, s[0:1], v6, v5, s[0:1]
	v_lshlrev_b64 v[4:5], 1, v[10:11]
	v_add_co_u32_e64 v6, s[0:1], v7, v4
	v_xor_b32_e32 v3, 0xffff8000, v3
	v_addc_co_u32_e64 v7, s[0:1], v9, v5, s[0:1]
	global_store_short v[6:7], v3, off
	v_lshrrev_b32_sdwa v6, s20, v13 dst_sel:DWORD dst_unused:UNUSED_PAD src0_sel:DWORD src1_sel:WORD_0
	v_and_b32_e32 v6, s21, v6
	v_lshrrev_b32_sdwa v3, s20, v8 dst_sel:DWORD dst_unused:UNUSED_PAD src0_sel:DWORD src1_sel:WORD_0
	v_xor_b32_e32 v27, 0xffff8000, v8
	v_lshlrev_b32_e32 v8, 3, v6
	v_lshrrev_b32_sdwa v6, s20, v18 dst_sel:DWORD dst_unused:UNUSED_PAD src0_sel:DWORD src1_sel:WORD_0
	v_and_b32_e32 v3, s21, v3
	v_and_b32_e32 v6, s21, v6
	v_lshlrev_b32_e32 v3, 3, v3
	v_lshlrev_b32_e32 v14, 3, v6
	v_lshrrev_b32_sdwa v6, s20, v19 dst_sel:DWORD dst_unused:UNUSED_PAD src0_sel:DWORD src1_sel:WORD_0
	v_and_b32_e32 v9, s21, v6
	ds_read_b64 v[6:7], v3
	v_lshlrev_b32_e32 v3, 3, v9
	ds_read_b64 v[8:9], v8
	ds_read_b64 v[14:15], v14
	;; [unrolled: 1-line block ×3, first 2 shown]
	v_mov_b32_e32 v3, s19
	s_add_i32 s7, s7, -1
	s_waitcnt lgkmcnt(3)
	v_lshlrev_b64 v[6:7], 1, v[6:7]
	v_add_co_u32_e64 v6, s[0:1], s18, v6
	v_addc_co_u32_e64 v3, s[0:1], v3, v7, s[0:1]
	v_add_co_u32_e64 v4, s[0:1], v6, v4
	v_addc_co_u32_e64 v5, s[0:1], v3, v5, s[0:1]
	global_store_short v[4:5], v27, off offset:2048
	s_waitcnt lgkmcnt(2)
	v_lshlrev_b64 v[4:5], 1, v[8:9]
	v_mov_b32_e32 v6, s19
	v_add_co_u32_e64 v4, s[0:1], s18, v4
	v_addc_co_u32_e64 v5, s[0:1], v6, v5, s[0:1]
	v_or_b32_e32 v6, 0x1000, v2
	v_add_co_u32_e64 v4, s[0:1], v4, v6
	v_xor_b32_e32 v3, 0xffff8000, v13
	v_addc_co_u32_e64 v5, s[0:1], 0, v5, s[0:1]
	global_store_short v[4:5], v3, off
	s_waitcnt lgkmcnt(1)
	v_lshlrev_b64 v[4:5], 1, v[14:15]
	v_mov_b32_e32 v6, s19
	v_add_co_u32_e64 v4, s[0:1], s18, v4
	v_addc_co_u32_e64 v5, s[0:1], v6, v5, s[0:1]
	v_or_b32_e32 v6, 0x1800, v2
	v_add_co_u32_e64 v4, s[0:1], v4, v6
	v_xor_b32_e32 v3, 0xffff8000, v18
	v_addc_co_u32_e64 v5, s[0:1], 0, v5, s[0:1]
	global_store_short v[4:5], v3, off
	;; [unrolled: 10-line block ×3, first 2 shown]
	v_lshrrev_b32_sdwa v4, s20, v21 dst_sel:DWORD dst_unused:UNUSED_PAD src0_sel:DWORD src1_sel:WORD_0
	v_and_b32_e32 v4, s21, v4
	v_lshrrev_b32_sdwa v3, s20, v20 dst_sel:DWORD dst_unused:UNUSED_PAD src0_sel:DWORD src1_sel:WORD_0
	v_lshlrev_b32_e32 v6, 3, v4
	v_lshrrev_b32_sdwa v4, s20, v22 dst_sel:DWORD dst_unused:UNUSED_PAD src0_sel:DWORD src1_sel:WORD_0
	v_and_b32_e32 v3, s21, v3
	v_and_b32_e32 v4, s21, v4
	v_lshlrev_b32_e32 v3, 3, v3
	v_lshlrev_b32_e32 v8, 3, v4
	v_lshrrev_b32_sdwa v4, s20, v23 dst_sel:DWORD dst_unused:UNUSED_PAD src0_sel:DWORD src1_sel:WORD_0
	v_and_b32_e32 v7, s21, v4
	ds_read_b64 v[4:5], v3
	v_lshlrev_b32_e32 v3, 3, v7
	ds_read_b64 v[6:7], v6
	ds_read_b64 v[8:9], v8
	;; [unrolled: 1-line block ×3, first 2 shown]
	v_mov_b32_e32 v3, s19
	v_xor_b32_e32 v13, 0xffff8000, v20
	s_waitcnt lgkmcnt(3)
	v_lshlrev_b64 v[4:5], 1, v[4:5]
	v_add_co_u32_e64 v4, s[0:1], s18, v4
	v_addc_co_u32_e64 v3, s[0:1], v3, v5, s[0:1]
	v_or_b32_e32 v5, 0x2800, v2
	v_add_co_u32_e64 v4, s[0:1], v4, v5
	v_addc_co_u32_e64 v5, s[0:1], 0, v3, s[0:1]
	global_store_short v[4:5], v13, off
	s_waitcnt lgkmcnt(2)
	v_lshlrev_b64 v[4:5], 1, v[6:7]
	v_mov_b32_e32 v6, s19
	v_add_co_u32_e64 v4, s[0:1], s18, v4
	v_addc_co_u32_e64 v5, s[0:1], v6, v5, s[0:1]
	v_or_b32_e32 v6, 0x3000, v2
	v_add_co_u32_e64 v4, s[0:1], v4, v6
	v_xor_b32_e32 v3, 0xffff8000, v21
	v_addc_co_u32_e64 v5, s[0:1], 0, v5, s[0:1]
	global_store_short v[4:5], v3, off
	s_waitcnt lgkmcnt(1)
	v_lshlrev_b64 v[4:5], 1, v[8:9]
	v_mov_b32_e32 v6, s19
	v_add_co_u32_e64 v4, s[0:1], s18, v4
	v_addc_co_u32_e64 v5, s[0:1], v6, v5, s[0:1]
	v_or_b32_e32 v6, 0x3800, v2
	v_add_co_u32_e64 v4, s[0:1], v4, v6
	v_xor_b32_e32 v3, 0xffff8000, v22
	;; [unrolled: 10-line block ×3, first 2 shown]
	v_addc_co_u32_e64 v5, s[0:1], 0, v5, s[0:1]
	global_store_short v[4:5], v3, off
	v_lshrrev_b32_sdwa v3, s20, v24 dst_sel:DWORD dst_unused:UNUSED_PAD src0_sel:DWORD src1_sel:WORD_0
	v_and_b32_e32 v3, s21, v3
	v_lshrrev_b32_sdwa v4, s20, v25 dst_sel:DWORD dst_unused:UNUSED_PAD src0_sel:DWORD src1_sel:WORD_0
	v_lshlrev_b32_e32 v3, 3, v3
	v_and_b32_e32 v4, s21, v4
	v_lshlrev_b32_e32 v6, 3, v4
	ds_read_b64 v[4:5], v3
	v_lshrrev_b32_sdwa v7, s20, v26 dst_sel:DWORD dst_unused:UNUSED_PAD src0_sel:DWORD src1_sel:WORD_0
	v_and_b32_e32 v3, s21, v7
	v_lshlrev_b32_e32 v3, 3, v3
	ds_read_b64 v[6:7], v6
	ds_read_b64 v[8:9], v3
	s_waitcnt lgkmcnt(2)
	v_lshlrev_b64 v[4:5], 1, v[4:5]
	v_mov_b32_e32 v3, s19
	v_add_co_u32_e64 v4, s[0:1], s18, v4
	v_addc_co_u32_e64 v3, s[0:1], v3, v5, s[0:1]
	v_or_b32_e32 v5, 0x4800, v2
	v_add_co_u32_e64 v4, s[0:1], v4, v5
	v_xor_b32_e32 v13, 0xffff8000, v24
	v_addc_co_u32_e64 v5, s[0:1], 0, v3, s[0:1]
	global_store_short v[4:5], v13, off
	s_waitcnt lgkmcnt(1)
	v_lshlrev_b64 v[4:5], 1, v[6:7]
	v_mov_b32_e32 v6, s19
	v_add_co_u32_e64 v4, s[0:1], s18, v4
	v_addc_co_u32_e64 v5, s[0:1], v6, v5, s[0:1]
	v_or_b32_e32 v6, 0x5000, v2
	v_add_co_u32_e64 v4, s[0:1], v4, v6
	v_xor_b32_e32 v3, 0xffff8000, v25
	v_addc_co_u32_e64 v5, s[0:1], 0, v5, s[0:1]
	global_store_short v[4:5], v3, off
	s_waitcnt lgkmcnt(0)
	v_lshlrev_b64 v[4:5], 1, v[8:9]
	v_mov_b32_e32 v3, s19
	v_add_co_u32_e64 v4, s[0:1], s18, v4
	v_addc_co_u32_e64 v3, s[0:1], v3, v5, s[0:1]
	v_or_b32_e32 v2, 0x5800, v2
	v_add_co_u32_e64 v2, s[0:1], v4, v2
	v_addc_co_u32_e64 v3, s[0:1], 0, v3, s[0:1]
	s_cmp_eq_u32 s7, s6
	s_cselect_b64 s[0:1], -1, 0
	v_xor_b32_e32 v6, 0xffff8000, v26
	s_and_b64 s[2:3], vcc, s[0:1]
	global_store_short v[2:3], v6, off
                                        ; implicit-def: $vgpr4_vgpr5
	s_and_saveexec_b64 s[0:1], s[2:3]
; %bb.144:
	v_add_co_u32_e32 v4, vcc, v0, v12
	v_addc_co_u32_e32 v5, vcc, 0, v1, vcc
	s_or_b64 s[10:11], s[10:11], exec
; %bb.145:
	s_or_b64 exec, exec, s[0:1]
.LBB443_146:
	s_and_saveexec_b64 s[0:1], s[10:11]
	s_cbranch_execnz .LBB443_148
; %bb.147:
	s_endpgm
.LBB443_148:
	v_lshlrev_b32_e32 v2, 3, v10
	ds_read_b64 v[2:3], v2
	v_lshlrev_b64 v[0:1], 3, v[10:11]
	v_mov_b32_e32 v6, s15
	v_add_co_u32_e32 v0, vcc, s14, v0
	v_addc_co_u32_e32 v1, vcc, v6, v1, vcc
	s_waitcnt lgkmcnt(0)
	v_add_co_u32_e32 v2, vcc, v2, v4
	v_addc_co_u32_e32 v3, vcc, v3, v5, vcc
	global_store_dwordx2 v[0:1], v[2:3], off
	s_endpgm
	.section	.rodata,"a",@progbits
	.p2align	6, 0x0
	.amdhsa_kernel _ZN7rocprim17ROCPRIM_400000_NS6detail17trampoline_kernelINS0_14default_configENS1_35radix_sort_onesweep_config_selectorIsNS0_10empty_typeEEEZZNS1_29radix_sort_onesweep_iterationIS3_Lb0EPsS8_PS5_S9_mNS0_19identity_decomposerENS1_16block_id_wrapperIjLb0EEEEE10hipError_tT1_PNSt15iterator_traitsISE_E10value_typeET2_T3_PNSF_ISK_E10value_typeET4_T5_PSP_SQ_PNS1_23onesweep_lookback_stateEbbT6_jjT7_P12ihipStream_tbENKUlT_T0_SE_SJ_E_clIS8_S8_S9_S9_EEDaSX_SY_SE_SJ_EUlSX_E_NS1_11comp_targetILNS1_3genE4ELNS1_11target_archE910ELNS1_3gpuE8ELNS1_3repE0EEENS1_47radix_sort_onesweep_sort_config_static_selectorELNS0_4arch9wavefront6targetE1EEEvSE_
		.amdhsa_group_segment_fixed_size 26632
		.amdhsa_private_segment_fixed_size 0
		.amdhsa_kernarg_size 344
		.amdhsa_user_sgpr_count 6
		.amdhsa_user_sgpr_private_segment_buffer 1
		.amdhsa_user_sgpr_dispatch_ptr 0
		.amdhsa_user_sgpr_queue_ptr 0
		.amdhsa_user_sgpr_kernarg_segment_ptr 1
		.amdhsa_user_sgpr_dispatch_id 0
		.amdhsa_user_sgpr_flat_scratch_init 0
		.amdhsa_user_sgpr_kernarg_preload_length 0
		.amdhsa_user_sgpr_kernarg_preload_offset 0
		.amdhsa_user_sgpr_private_segment_size 0
		.amdhsa_uses_dynamic_stack 0
		.amdhsa_system_sgpr_private_segment_wavefront_offset 0
		.amdhsa_system_sgpr_workgroup_id_x 1
		.amdhsa_system_sgpr_workgroup_id_y 0
		.amdhsa_system_sgpr_workgroup_id_z 0
		.amdhsa_system_sgpr_workgroup_info 0
		.amdhsa_system_vgpr_workitem_id 2
		.amdhsa_next_free_vgpr 62
		.amdhsa_next_free_sgpr 44
		.amdhsa_accum_offset 64
		.amdhsa_reserve_vcc 1
		.amdhsa_reserve_flat_scratch 0
		.amdhsa_float_round_mode_32 0
		.amdhsa_float_round_mode_16_64 0
		.amdhsa_float_denorm_mode_32 3
		.amdhsa_float_denorm_mode_16_64 3
		.amdhsa_dx10_clamp 1
		.amdhsa_ieee_mode 1
		.amdhsa_fp16_overflow 0
		.amdhsa_tg_split 0
		.amdhsa_exception_fp_ieee_invalid_op 0
		.amdhsa_exception_fp_denorm_src 0
		.amdhsa_exception_fp_ieee_div_zero 0
		.amdhsa_exception_fp_ieee_overflow 0
		.amdhsa_exception_fp_ieee_underflow 0
		.amdhsa_exception_fp_ieee_inexact 0
		.amdhsa_exception_int_div_zero 0
	.end_amdhsa_kernel
	.section	.text._ZN7rocprim17ROCPRIM_400000_NS6detail17trampoline_kernelINS0_14default_configENS1_35radix_sort_onesweep_config_selectorIsNS0_10empty_typeEEEZZNS1_29radix_sort_onesweep_iterationIS3_Lb0EPsS8_PS5_S9_mNS0_19identity_decomposerENS1_16block_id_wrapperIjLb0EEEEE10hipError_tT1_PNSt15iterator_traitsISE_E10value_typeET2_T3_PNSF_ISK_E10value_typeET4_T5_PSP_SQ_PNS1_23onesweep_lookback_stateEbbT6_jjT7_P12ihipStream_tbENKUlT_T0_SE_SJ_E_clIS8_S8_S9_S9_EEDaSX_SY_SE_SJ_EUlSX_E_NS1_11comp_targetILNS1_3genE4ELNS1_11target_archE910ELNS1_3gpuE8ELNS1_3repE0EEENS1_47radix_sort_onesweep_sort_config_static_selectorELNS0_4arch9wavefront6targetE1EEEvSE_,"axG",@progbits,_ZN7rocprim17ROCPRIM_400000_NS6detail17trampoline_kernelINS0_14default_configENS1_35radix_sort_onesweep_config_selectorIsNS0_10empty_typeEEEZZNS1_29radix_sort_onesweep_iterationIS3_Lb0EPsS8_PS5_S9_mNS0_19identity_decomposerENS1_16block_id_wrapperIjLb0EEEEE10hipError_tT1_PNSt15iterator_traitsISE_E10value_typeET2_T3_PNSF_ISK_E10value_typeET4_T5_PSP_SQ_PNS1_23onesweep_lookback_stateEbbT6_jjT7_P12ihipStream_tbENKUlT_T0_SE_SJ_E_clIS8_S8_S9_S9_EEDaSX_SY_SE_SJ_EUlSX_E_NS1_11comp_targetILNS1_3genE4ELNS1_11target_archE910ELNS1_3gpuE8ELNS1_3repE0EEENS1_47radix_sort_onesweep_sort_config_static_selectorELNS0_4arch9wavefront6targetE1EEEvSE_,comdat
.Lfunc_end443:
	.size	_ZN7rocprim17ROCPRIM_400000_NS6detail17trampoline_kernelINS0_14default_configENS1_35radix_sort_onesweep_config_selectorIsNS0_10empty_typeEEEZZNS1_29radix_sort_onesweep_iterationIS3_Lb0EPsS8_PS5_S9_mNS0_19identity_decomposerENS1_16block_id_wrapperIjLb0EEEEE10hipError_tT1_PNSt15iterator_traitsISE_E10value_typeET2_T3_PNSF_ISK_E10value_typeET4_T5_PSP_SQ_PNS1_23onesweep_lookback_stateEbbT6_jjT7_P12ihipStream_tbENKUlT_T0_SE_SJ_E_clIS8_S8_S9_S9_EEDaSX_SY_SE_SJ_EUlSX_E_NS1_11comp_targetILNS1_3genE4ELNS1_11target_archE910ELNS1_3gpuE8ELNS1_3repE0EEENS1_47radix_sort_onesweep_sort_config_static_selectorELNS0_4arch9wavefront6targetE1EEEvSE_, .Lfunc_end443-_ZN7rocprim17ROCPRIM_400000_NS6detail17trampoline_kernelINS0_14default_configENS1_35radix_sort_onesweep_config_selectorIsNS0_10empty_typeEEEZZNS1_29radix_sort_onesweep_iterationIS3_Lb0EPsS8_PS5_S9_mNS0_19identity_decomposerENS1_16block_id_wrapperIjLb0EEEEE10hipError_tT1_PNSt15iterator_traitsISE_E10value_typeET2_T3_PNSF_ISK_E10value_typeET4_T5_PSP_SQ_PNS1_23onesweep_lookback_stateEbbT6_jjT7_P12ihipStream_tbENKUlT_T0_SE_SJ_E_clIS8_S8_S9_S9_EEDaSX_SY_SE_SJ_EUlSX_E_NS1_11comp_targetILNS1_3genE4ELNS1_11target_archE910ELNS1_3gpuE8ELNS1_3repE0EEENS1_47radix_sort_onesweep_sort_config_static_selectorELNS0_4arch9wavefront6targetE1EEEvSE_
                                        ; -- End function
	.section	.AMDGPU.csdata,"",@progbits
; Kernel info:
; codeLenInByte = 16236
; NumSgprs: 48
; NumVgprs: 62
; NumAgprs: 0
; TotalNumVgprs: 62
; ScratchSize: 0
; MemoryBound: 0
; FloatMode: 240
; IeeeMode: 1
; LDSByteSize: 26632 bytes/workgroup (compile time only)
; SGPRBlocks: 5
; VGPRBlocks: 7
; NumSGPRsForWavesPerEU: 48
; NumVGPRsForWavesPerEU: 62
; AccumOffset: 64
; Occupancy: 8
; WaveLimiterHint : 1
; COMPUTE_PGM_RSRC2:SCRATCH_EN: 0
; COMPUTE_PGM_RSRC2:USER_SGPR: 6
; COMPUTE_PGM_RSRC2:TRAP_HANDLER: 0
; COMPUTE_PGM_RSRC2:TGID_X_EN: 1
; COMPUTE_PGM_RSRC2:TGID_Y_EN: 0
; COMPUTE_PGM_RSRC2:TGID_Z_EN: 0
; COMPUTE_PGM_RSRC2:TIDIG_COMP_CNT: 2
; COMPUTE_PGM_RSRC3_GFX90A:ACCUM_OFFSET: 15
; COMPUTE_PGM_RSRC3_GFX90A:TG_SPLIT: 0
	.section	.text._ZN7rocprim17ROCPRIM_400000_NS6detail17trampoline_kernelINS0_14default_configENS1_35radix_sort_onesweep_config_selectorIsNS0_10empty_typeEEEZZNS1_29radix_sort_onesweep_iterationIS3_Lb0EPsS8_PS5_S9_mNS0_19identity_decomposerENS1_16block_id_wrapperIjLb0EEEEE10hipError_tT1_PNSt15iterator_traitsISE_E10value_typeET2_T3_PNSF_ISK_E10value_typeET4_T5_PSP_SQ_PNS1_23onesweep_lookback_stateEbbT6_jjT7_P12ihipStream_tbENKUlT_T0_SE_SJ_E_clIS8_S8_S9_S9_EEDaSX_SY_SE_SJ_EUlSX_E_NS1_11comp_targetILNS1_3genE3ELNS1_11target_archE908ELNS1_3gpuE7ELNS1_3repE0EEENS1_47radix_sort_onesweep_sort_config_static_selectorELNS0_4arch9wavefront6targetE1EEEvSE_,"axG",@progbits,_ZN7rocprim17ROCPRIM_400000_NS6detail17trampoline_kernelINS0_14default_configENS1_35radix_sort_onesweep_config_selectorIsNS0_10empty_typeEEEZZNS1_29radix_sort_onesweep_iterationIS3_Lb0EPsS8_PS5_S9_mNS0_19identity_decomposerENS1_16block_id_wrapperIjLb0EEEEE10hipError_tT1_PNSt15iterator_traitsISE_E10value_typeET2_T3_PNSF_ISK_E10value_typeET4_T5_PSP_SQ_PNS1_23onesweep_lookback_stateEbbT6_jjT7_P12ihipStream_tbENKUlT_T0_SE_SJ_E_clIS8_S8_S9_S9_EEDaSX_SY_SE_SJ_EUlSX_E_NS1_11comp_targetILNS1_3genE3ELNS1_11target_archE908ELNS1_3gpuE7ELNS1_3repE0EEENS1_47radix_sort_onesweep_sort_config_static_selectorELNS0_4arch9wavefront6targetE1EEEvSE_,comdat
	.protected	_ZN7rocprim17ROCPRIM_400000_NS6detail17trampoline_kernelINS0_14default_configENS1_35radix_sort_onesweep_config_selectorIsNS0_10empty_typeEEEZZNS1_29radix_sort_onesweep_iterationIS3_Lb0EPsS8_PS5_S9_mNS0_19identity_decomposerENS1_16block_id_wrapperIjLb0EEEEE10hipError_tT1_PNSt15iterator_traitsISE_E10value_typeET2_T3_PNSF_ISK_E10value_typeET4_T5_PSP_SQ_PNS1_23onesweep_lookback_stateEbbT6_jjT7_P12ihipStream_tbENKUlT_T0_SE_SJ_E_clIS8_S8_S9_S9_EEDaSX_SY_SE_SJ_EUlSX_E_NS1_11comp_targetILNS1_3genE3ELNS1_11target_archE908ELNS1_3gpuE7ELNS1_3repE0EEENS1_47radix_sort_onesweep_sort_config_static_selectorELNS0_4arch9wavefront6targetE1EEEvSE_ ; -- Begin function _ZN7rocprim17ROCPRIM_400000_NS6detail17trampoline_kernelINS0_14default_configENS1_35radix_sort_onesweep_config_selectorIsNS0_10empty_typeEEEZZNS1_29radix_sort_onesweep_iterationIS3_Lb0EPsS8_PS5_S9_mNS0_19identity_decomposerENS1_16block_id_wrapperIjLb0EEEEE10hipError_tT1_PNSt15iterator_traitsISE_E10value_typeET2_T3_PNSF_ISK_E10value_typeET4_T5_PSP_SQ_PNS1_23onesweep_lookback_stateEbbT6_jjT7_P12ihipStream_tbENKUlT_T0_SE_SJ_E_clIS8_S8_S9_S9_EEDaSX_SY_SE_SJ_EUlSX_E_NS1_11comp_targetILNS1_3genE3ELNS1_11target_archE908ELNS1_3gpuE7ELNS1_3repE0EEENS1_47radix_sort_onesweep_sort_config_static_selectorELNS0_4arch9wavefront6targetE1EEEvSE_
	.globl	_ZN7rocprim17ROCPRIM_400000_NS6detail17trampoline_kernelINS0_14default_configENS1_35radix_sort_onesweep_config_selectorIsNS0_10empty_typeEEEZZNS1_29radix_sort_onesweep_iterationIS3_Lb0EPsS8_PS5_S9_mNS0_19identity_decomposerENS1_16block_id_wrapperIjLb0EEEEE10hipError_tT1_PNSt15iterator_traitsISE_E10value_typeET2_T3_PNSF_ISK_E10value_typeET4_T5_PSP_SQ_PNS1_23onesweep_lookback_stateEbbT6_jjT7_P12ihipStream_tbENKUlT_T0_SE_SJ_E_clIS8_S8_S9_S9_EEDaSX_SY_SE_SJ_EUlSX_E_NS1_11comp_targetILNS1_3genE3ELNS1_11target_archE908ELNS1_3gpuE7ELNS1_3repE0EEENS1_47radix_sort_onesweep_sort_config_static_selectorELNS0_4arch9wavefront6targetE1EEEvSE_
	.p2align	8
	.type	_ZN7rocprim17ROCPRIM_400000_NS6detail17trampoline_kernelINS0_14default_configENS1_35radix_sort_onesweep_config_selectorIsNS0_10empty_typeEEEZZNS1_29radix_sort_onesweep_iterationIS3_Lb0EPsS8_PS5_S9_mNS0_19identity_decomposerENS1_16block_id_wrapperIjLb0EEEEE10hipError_tT1_PNSt15iterator_traitsISE_E10value_typeET2_T3_PNSF_ISK_E10value_typeET4_T5_PSP_SQ_PNS1_23onesweep_lookback_stateEbbT6_jjT7_P12ihipStream_tbENKUlT_T0_SE_SJ_E_clIS8_S8_S9_S9_EEDaSX_SY_SE_SJ_EUlSX_E_NS1_11comp_targetILNS1_3genE3ELNS1_11target_archE908ELNS1_3gpuE7ELNS1_3repE0EEENS1_47radix_sort_onesweep_sort_config_static_selectorELNS0_4arch9wavefront6targetE1EEEvSE_,@function
_ZN7rocprim17ROCPRIM_400000_NS6detail17trampoline_kernelINS0_14default_configENS1_35radix_sort_onesweep_config_selectorIsNS0_10empty_typeEEEZZNS1_29radix_sort_onesweep_iterationIS3_Lb0EPsS8_PS5_S9_mNS0_19identity_decomposerENS1_16block_id_wrapperIjLb0EEEEE10hipError_tT1_PNSt15iterator_traitsISE_E10value_typeET2_T3_PNSF_ISK_E10value_typeET4_T5_PSP_SQ_PNS1_23onesweep_lookback_stateEbbT6_jjT7_P12ihipStream_tbENKUlT_T0_SE_SJ_E_clIS8_S8_S9_S9_EEDaSX_SY_SE_SJ_EUlSX_E_NS1_11comp_targetILNS1_3genE3ELNS1_11target_archE908ELNS1_3gpuE7ELNS1_3repE0EEENS1_47radix_sort_onesweep_sort_config_static_selectorELNS0_4arch9wavefront6targetE1EEEvSE_: ; @_ZN7rocprim17ROCPRIM_400000_NS6detail17trampoline_kernelINS0_14default_configENS1_35radix_sort_onesweep_config_selectorIsNS0_10empty_typeEEEZZNS1_29radix_sort_onesweep_iterationIS3_Lb0EPsS8_PS5_S9_mNS0_19identity_decomposerENS1_16block_id_wrapperIjLb0EEEEE10hipError_tT1_PNSt15iterator_traitsISE_E10value_typeET2_T3_PNSF_ISK_E10value_typeET4_T5_PSP_SQ_PNS1_23onesweep_lookback_stateEbbT6_jjT7_P12ihipStream_tbENKUlT_T0_SE_SJ_E_clIS8_S8_S9_S9_EEDaSX_SY_SE_SJ_EUlSX_E_NS1_11comp_targetILNS1_3genE3ELNS1_11target_archE908ELNS1_3gpuE7ELNS1_3repE0EEENS1_47radix_sort_onesweep_sort_config_static_selectorELNS0_4arch9wavefront6targetE1EEEvSE_
; %bb.0:
	.section	.rodata,"a",@progbits
	.p2align	6, 0x0
	.amdhsa_kernel _ZN7rocprim17ROCPRIM_400000_NS6detail17trampoline_kernelINS0_14default_configENS1_35radix_sort_onesweep_config_selectorIsNS0_10empty_typeEEEZZNS1_29radix_sort_onesweep_iterationIS3_Lb0EPsS8_PS5_S9_mNS0_19identity_decomposerENS1_16block_id_wrapperIjLb0EEEEE10hipError_tT1_PNSt15iterator_traitsISE_E10value_typeET2_T3_PNSF_ISK_E10value_typeET4_T5_PSP_SQ_PNS1_23onesweep_lookback_stateEbbT6_jjT7_P12ihipStream_tbENKUlT_T0_SE_SJ_E_clIS8_S8_S9_S9_EEDaSX_SY_SE_SJ_EUlSX_E_NS1_11comp_targetILNS1_3genE3ELNS1_11target_archE908ELNS1_3gpuE7ELNS1_3repE0EEENS1_47radix_sort_onesweep_sort_config_static_selectorELNS0_4arch9wavefront6targetE1EEEvSE_
		.amdhsa_group_segment_fixed_size 0
		.amdhsa_private_segment_fixed_size 0
		.amdhsa_kernarg_size 88
		.amdhsa_user_sgpr_count 6
		.amdhsa_user_sgpr_private_segment_buffer 1
		.amdhsa_user_sgpr_dispatch_ptr 0
		.amdhsa_user_sgpr_queue_ptr 0
		.amdhsa_user_sgpr_kernarg_segment_ptr 1
		.amdhsa_user_sgpr_dispatch_id 0
		.amdhsa_user_sgpr_flat_scratch_init 0
		.amdhsa_user_sgpr_kernarg_preload_length 0
		.amdhsa_user_sgpr_kernarg_preload_offset 0
		.amdhsa_user_sgpr_private_segment_size 0
		.amdhsa_uses_dynamic_stack 0
		.amdhsa_system_sgpr_private_segment_wavefront_offset 0
		.amdhsa_system_sgpr_workgroup_id_x 1
		.amdhsa_system_sgpr_workgroup_id_y 0
		.amdhsa_system_sgpr_workgroup_id_z 0
		.amdhsa_system_sgpr_workgroup_info 0
		.amdhsa_system_vgpr_workitem_id 0
		.amdhsa_next_free_vgpr 1
		.amdhsa_next_free_sgpr 0
		.amdhsa_accum_offset 4
		.amdhsa_reserve_vcc 0
		.amdhsa_reserve_flat_scratch 0
		.amdhsa_float_round_mode_32 0
		.amdhsa_float_round_mode_16_64 0
		.amdhsa_float_denorm_mode_32 3
		.amdhsa_float_denorm_mode_16_64 3
		.amdhsa_dx10_clamp 1
		.amdhsa_ieee_mode 1
		.amdhsa_fp16_overflow 0
		.amdhsa_tg_split 0
		.amdhsa_exception_fp_ieee_invalid_op 0
		.amdhsa_exception_fp_denorm_src 0
		.amdhsa_exception_fp_ieee_div_zero 0
		.amdhsa_exception_fp_ieee_overflow 0
		.amdhsa_exception_fp_ieee_underflow 0
		.amdhsa_exception_fp_ieee_inexact 0
		.amdhsa_exception_int_div_zero 0
	.end_amdhsa_kernel
	.section	.text._ZN7rocprim17ROCPRIM_400000_NS6detail17trampoline_kernelINS0_14default_configENS1_35radix_sort_onesweep_config_selectorIsNS0_10empty_typeEEEZZNS1_29radix_sort_onesweep_iterationIS3_Lb0EPsS8_PS5_S9_mNS0_19identity_decomposerENS1_16block_id_wrapperIjLb0EEEEE10hipError_tT1_PNSt15iterator_traitsISE_E10value_typeET2_T3_PNSF_ISK_E10value_typeET4_T5_PSP_SQ_PNS1_23onesweep_lookback_stateEbbT6_jjT7_P12ihipStream_tbENKUlT_T0_SE_SJ_E_clIS8_S8_S9_S9_EEDaSX_SY_SE_SJ_EUlSX_E_NS1_11comp_targetILNS1_3genE3ELNS1_11target_archE908ELNS1_3gpuE7ELNS1_3repE0EEENS1_47radix_sort_onesweep_sort_config_static_selectorELNS0_4arch9wavefront6targetE1EEEvSE_,"axG",@progbits,_ZN7rocprim17ROCPRIM_400000_NS6detail17trampoline_kernelINS0_14default_configENS1_35radix_sort_onesweep_config_selectorIsNS0_10empty_typeEEEZZNS1_29radix_sort_onesweep_iterationIS3_Lb0EPsS8_PS5_S9_mNS0_19identity_decomposerENS1_16block_id_wrapperIjLb0EEEEE10hipError_tT1_PNSt15iterator_traitsISE_E10value_typeET2_T3_PNSF_ISK_E10value_typeET4_T5_PSP_SQ_PNS1_23onesweep_lookback_stateEbbT6_jjT7_P12ihipStream_tbENKUlT_T0_SE_SJ_E_clIS8_S8_S9_S9_EEDaSX_SY_SE_SJ_EUlSX_E_NS1_11comp_targetILNS1_3genE3ELNS1_11target_archE908ELNS1_3gpuE7ELNS1_3repE0EEENS1_47radix_sort_onesweep_sort_config_static_selectorELNS0_4arch9wavefront6targetE1EEEvSE_,comdat
.Lfunc_end444:
	.size	_ZN7rocprim17ROCPRIM_400000_NS6detail17trampoline_kernelINS0_14default_configENS1_35radix_sort_onesweep_config_selectorIsNS0_10empty_typeEEEZZNS1_29radix_sort_onesweep_iterationIS3_Lb0EPsS8_PS5_S9_mNS0_19identity_decomposerENS1_16block_id_wrapperIjLb0EEEEE10hipError_tT1_PNSt15iterator_traitsISE_E10value_typeET2_T3_PNSF_ISK_E10value_typeET4_T5_PSP_SQ_PNS1_23onesweep_lookback_stateEbbT6_jjT7_P12ihipStream_tbENKUlT_T0_SE_SJ_E_clIS8_S8_S9_S9_EEDaSX_SY_SE_SJ_EUlSX_E_NS1_11comp_targetILNS1_3genE3ELNS1_11target_archE908ELNS1_3gpuE7ELNS1_3repE0EEENS1_47radix_sort_onesweep_sort_config_static_selectorELNS0_4arch9wavefront6targetE1EEEvSE_, .Lfunc_end444-_ZN7rocprim17ROCPRIM_400000_NS6detail17trampoline_kernelINS0_14default_configENS1_35radix_sort_onesweep_config_selectorIsNS0_10empty_typeEEEZZNS1_29radix_sort_onesweep_iterationIS3_Lb0EPsS8_PS5_S9_mNS0_19identity_decomposerENS1_16block_id_wrapperIjLb0EEEEE10hipError_tT1_PNSt15iterator_traitsISE_E10value_typeET2_T3_PNSF_ISK_E10value_typeET4_T5_PSP_SQ_PNS1_23onesweep_lookback_stateEbbT6_jjT7_P12ihipStream_tbENKUlT_T0_SE_SJ_E_clIS8_S8_S9_S9_EEDaSX_SY_SE_SJ_EUlSX_E_NS1_11comp_targetILNS1_3genE3ELNS1_11target_archE908ELNS1_3gpuE7ELNS1_3repE0EEENS1_47radix_sort_onesweep_sort_config_static_selectorELNS0_4arch9wavefront6targetE1EEEvSE_
                                        ; -- End function
	.section	.AMDGPU.csdata,"",@progbits
; Kernel info:
; codeLenInByte = 0
; NumSgprs: 4
; NumVgprs: 0
; NumAgprs: 0
; TotalNumVgprs: 0
; ScratchSize: 0
; MemoryBound: 0
; FloatMode: 240
; IeeeMode: 1
; LDSByteSize: 0 bytes/workgroup (compile time only)
; SGPRBlocks: 0
; VGPRBlocks: 0
; NumSGPRsForWavesPerEU: 4
; NumVGPRsForWavesPerEU: 1
; AccumOffset: 4
; Occupancy: 8
; WaveLimiterHint : 0
; COMPUTE_PGM_RSRC2:SCRATCH_EN: 0
; COMPUTE_PGM_RSRC2:USER_SGPR: 6
; COMPUTE_PGM_RSRC2:TRAP_HANDLER: 0
; COMPUTE_PGM_RSRC2:TGID_X_EN: 1
; COMPUTE_PGM_RSRC2:TGID_Y_EN: 0
; COMPUTE_PGM_RSRC2:TGID_Z_EN: 0
; COMPUTE_PGM_RSRC2:TIDIG_COMP_CNT: 0
; COMPUTE_PGM_RSRC3_GFX90A:ACCUM_OFFSET: 0
; COMPUTE_PGM_RSRC3_GFX90A:TG_SPLIT: 0
	.section	.text._ZN7rocprim17ROCPRIM_400000_NS6detail17trampoline_kernelINS0_14default_configENS1_35radix_sort_onesweep_config_selectorIsNS0_10empty_typeEEEZZNS1_29radix_sort_onesweep_iterationIS3_Lb0EPsS8_PS5_S9_mNS0_19identity_decomposerENS1_16block_id_wrapperIjLb0EEEEE10hipError_tT1_PNSt15iterator_traitsISE_E10value_typeET2_T3_PNSF_ISK_E10value_typeET4_T5_PSP_SQ_PNS1_23onesweep_lookback_stateEbbT6_jjT7_P12ihipStream_tbENKUlT_T0_SE_SJ_E_clIS8_S8_S9_S9_EEDaSX_SY_SE_SJ_EUlSX_E_NS1_11comp_targetILNS1_3genE10ELNS1_11target_archE1201ELNS1_3gpuE5ELNS1_3repE0EEENS1_47radix_sort_onesweep_sort_config_static_selectorELNS0_4arch9wavefront6targetE1EEEvSE_,"axG",@progbits,_ZN7rocprim17ROCPRIM_400000_NS6detail17trampoline_kernelINS0_14default_configENS1_35radix_sort_onesweep_config_selectorIsNS0_10empty_typeEEEZZNS1_29radix_sort_onesweep_iterationIS3_Lb0EPsS8_PS5_S9_mNS0_19identity_decomposerENS1_16block_id_wrapperIjLb0EEEEE10hipError_tT1_PNSt15iterator_traitsISE_E10value_typeET2_T3_PNSF_ISK_E10value_typeET4_T5_PSP_SQ_PNS1_23onesweep_lookback_stateEbbT6_jjT7_P12ihipStream_tbENKUlT_T0_SE_SJ_E_clIS8_S8_S9_S9_EEDaSX_SY_SE_SJ_EUlSX_E_NS1_11comp_targetILNS1_3genE10ELNS1_11target_archE1201ELNS1_3gpuE5ELNS1_3repE0EEENS1_47radix_sort_onesweep_sort_config_static_selectorELNS0_4arch9wavefront6targetE1EEEvSE_,comdat
	.protected	_ZN7rocprim17ROCPRIM_400000_NS6detail17trampoline_kernelINS0_14default_configENS1_35radix_sort_onesweep_config_selectorIsNS0_10empty_typeEEEZZNS1_29radix_sort_onesweep_iterationIS3_Lb0EPsS8_PS5_S9_mNS0_19identity_decomposerENS1_16block_id_wrapperIjLb0EEEEE10hipError_tT1_PNSt15iterator_traitsISE_E10value_typeET2_T3_PNSF_ISK_E10value_typeET4_T5_PSP_SQ_PNS1_23onesweep_lookback_stateEbbT6_jjT7_P12ihipStream_tbENKUlT_T0_SE_SJ_E_clIS8_S8_S9_S9_EEDaSX_SY_SE_SJ_EUlSX_E_NS1_11comp_targetILNS1_3genE10ELNS1_11target_archE1201ELNS1_3gpuE5ELNS1_3repE0EEENS1_47radix_sort_onesweep_sort_config_static_selectorELNS0_4arch9wavefront6targetE1EEEvSE_ ; -- Begin function _ZN7rocprim17ROCPRIM_400000_NS6detail17trampoline_kernelINS0_14default_configENS1_35radix_sort_onesweep_config_selectorIsNS0_10empty_typeEEEZZNS1_29radix_sort_onesweep_iterationIS3_Lb0EPsS8_PS5_S9_mNS0_19identity_decomposerENS1_16block_id_wrapperIjLb0EEEEE10hipError_tT1_PNSt15iterator_traitsISE_E10value_typeET2_T3_PNSF_ISK_E10value_typeET4_T5_PSP_SQ_PNS1_23onesweep_lookback_stateEbbT6_jjT7_P12ihipStream_tbENKUlT_T0_SE_SJ_E_clIS8_S8_S9_S9_EEDaSX_SY_SE_SJ_EUlSX_E_NS1_11comp_targetILNS1_3genE10ELNS1_11target_archE1201ELNS1_3gpuE5ELNS1_3repE0EEENS1_47radix_sort_onesweep_sort_config_static_selectorELNS0_4arch9wavefront6targetE1EEEvSE_
	.globl	_ZN7rocprim17ROCPRIM_400000_NS6detail17trampoline_kernelINS0_14default_configENS1_35radix_sort_onesweep_config_selectorIsNS0_10empty_typeEEEZZNS1_29radix_sort_onesweep_iterationIS3_Lb0EPsS8_PS5_S9_mNS0_19identity_decomposerENS1_16block_id_wrapperIjLb0EEEEE10hipError_tT1_PNSt15iterator_traitsISE_E10value_typeET2_T3_PNSF_ISK_E10value_typeET4_T5_PSP_SQ_PNS1_23onesweep_lookback_stateEbbT6_jjT7_P12ihipStream_tbENKUlT_T0_SE_SJ_E_clIS8_S8_S9_S9_EEDaSX_SY_SE_SJ_EUlSX_E_NS1_11comp_targetILNS1_3genE10ELNS1_11target_archE1201ELNS1_3gpuE5ELNS1_3repE0EEENS1_47radix_sort_onesweep_sort_config_static_selectorELNS0_4arch9wavefront6targetE1EEEvSE_
	.p2align	8
	.type	_ZN7rocprim17ROCPRIM_400000_NS6detail17trampoline_kernelINS0_14default_configENS1_35radix_sort_onesweep_config_selectorIsNS0_10empty_typeEEEZZNS1_29radix_sort_onesweep_iterationIS3_Lb0EPsS8_PS5_S9_mNS0_19identity_decomposerENS1_16block_id_wrapperIjLb0EEEEE10hipError_tT1_PNSt15iterator_traitsISE_E10value_typeET2_T3_PNSF_ISK_E10value_typeET4_T5_PSP_SQ_PNS1_23onesweep_lookback_stateEbbT6_jjT7_P12ihipStream_tbENKUlT_T0_SE_SJ_E_clIS8_S8_S9_S9_EEDaSX_SY_SE_SJ_EUlSX_E_NS1_11comp_targetILNS1_3genE10ELNS1_11target_archE1201ELNS1_3gpuE5ELNS1_3repE0EEENS1_47radix_sort_onesweep_sort_config_static_selectorELNS0_4arch9wavefront6targetE1EEEvSE_,@function
_ZN7rocprim17ROCPRIM_400000_NS6detail17trampoline_kernelINS0_14default_configENS1_35radix_sort_onesweep_config_selectorIsNS0_10empty_typeEEEZZNS1_29radix_sort_onesweep_iterationIS3_Lb0EPsS8_PS5_S9_mNS0_19identity_decomposerENS1_16block_id_wrapperIjLb0EEEEE10hipError_tT1_PNSt15iterator_traitsISE_E10value_typeET2_T3_PNSF_ISK_E10value_typeET4_T5_PSP_SQ_PNS1_23onesweep_lookback_stateEbbT6_jjT7_P12ihipStream_tbENKUlT_T0_SE_SJ_E_clIS8_S8_S9_S9_EEDaSX_SY_SE_SJ_EUlSX_E_NS1_11comp_targetILNS1_3genE10ELNS1_11target_archE1201ELNS1_3gpuE5ELNS1_3repE0EEENS1_47radix_sort_onesweep_sort_config_static_selectorELNS0_4arch9wavefront6targetE1EEEvSE_: ; @_ZN7rocprim17ROCPRIM_400000_NS6detail17trampoline_kernelINS0_14default_configENS1_35radix_sort_onesweep_config_selectorIsNS0_10empty_typeEEEZZNS1_29radix_sort_onesweep_iterationIS3_Lb0EPsS8_PS5_S9_mNS0_19identity_decomposerENS1_16block_id_wrapperIjLb0EEEEE10hipError_tT1_PNSt15iterator_traitsISE_E10value_typeET2_T3_PNSF_ISK_E10value_typeET4_T5_PSP_SQ_PNS1_23onesweep_lookback_stateEbbT6_jjT7_P12ihipStream_tbENKUlT_T0_SE_SJ_E_clIS8_S8_S9_S9_EEDaSX_SY_SE_SJ_EUlSX_E_NS1_11comp_targetILNS1_3genE10ELNS1_11target_archE1201ELNS1_3gpuE5ELNS1_3repE0EEENS1_47radix_sort_onesweep_sort_config_static_selectorELNS0_4arch9wavefront6targetE1EEEvSE_
; %bb.0:
	.section	.rodata,"a",@progbits
	.p2align	6, 0x0
	.amdhsa_kernel _ZN7rocprim17ROCPRIM_400000_NS6detail17trampoline_kernelINS0_14default_configENS1_35radix_sort_onesweep_config_selectorIsNS0_10empty_typeEEEZZNS1_29radix_sort_onesweep_iterationIS3_Lb0EPsS8_PS5_S9_mNS0_19identity_decomposerENS1_16block_id_wrapperIjLb0EEEEE10hipError_tT1_PNSt15iterator_traitsISE_E10value_typeET2_T3_PNSF_ISK_E10value_typeET4_T5_PSP_SQ_PNS1_23onesweep_lookback_stateEbbT6_jjT7_P12ihipStream_tbENKUlT_T0_SE_SJ_E_clIS8_S8_S9_S9_EEDaSX_SY_SE_SJ_EUlSX_E_NS1_11comp_targetILNS1_3genE10ELNS1_11target_archE1201ELNS1_3gpuE5ELNS1_3repE0EEENS1_47radix_sort_onesweep_sort_config_static_selectorELNS0_4arch9wavefront6targetE1EEEvSE_
		.amdhsa_group_segment_fixed_size 0
		.amdhsa_private_segment_fixed_size 0
		.amdhsa_kernarg_size 88
		.amdhsa_user_sgpr_count 6
		.amdhsa_user_sgpr_private_segment_buffer 1
		.amdhsa_user_sgpr_dispatch_ptr 0
		.amdhsa_user_sgpr_queue_ptr 0
		.amdhsa_user_sgpr_kernarg_segment_ptr 1
		.amdhsa_user_sgpr_dispatch_id 0
		.amdhsa_user_sgpr_flat_scratch_init 0
		.amdhsa_user_sgpr_kernarg_preload_length 0
		.amdhsa_user_sgpr_kernarg_preload_offset 0
		.amdhsa_user_sgpr_private_segment_size 0
		.amdhsa_uses_dynamic_stack 0
		.amdhsa_system_sgpr_private_segment_wavefront_offset 0
		.amdhsa_system_sgpr_workgroup_id_x 1
		.amdhsa_system_sgpr_workgroup_id_y 0
		.amdhsa_system_sgpr_workgroup_id_z 0
		.amdhsa_system_sgpr_workgroup_info 0
		.amdhsa_system_vgpr_workitem_id 0
		.amdhsa_next_free_vgpr 1
		.amdhsa_next_free_sgpr 0
		.amdhsa_accum_offset 4
		.amdhsa_reserve_vcc 0
		.amdhsa_reserve_flat_scratch 0
		.amdhsa_float_round_mode_32 0
		.amdhsa_float_round_mode_16_64 0
		.amdhsa_float_denorm_mode_32 3
		.amdhsa_float_denorm_mode_16_64 3
		.amdhsa_dx10_clamp 1
		.amdhsa_ieee_mode 1
		.amdhsa_fp16_overflow 0
		.amdhsa_tg_split 0
		.amdhsa_exception_fp_ieee_invalid_op 0
		.amdhsa_exception_fp_denorm_src 0
		.amdhsa_exception_fp_ieee_div_zero 0
		.amdhsa_exception_fp_ieee_overflow 0
		.amdhsa_exception_fp_ieee_underflow 0
		.amdhsa_exception_fp_ieee_inexact 0
		.amdhsa_exception_int_div_zero 0
	.end_amdhsa_kernel
	.section	.text._ZN7rocprim17ROCPRIM_400000_NS6detail17trampoline_kernelINS0_14default_configENS1_35radix_sort_onesweep_config_selectorIsNS0_10empty_typeEEEZZNS1_29radix_sort_onesweep_iterationIS3_Lb0EPsS8_PS5_S9_mNS0_19identity_decomposerENS1_16block_id_wrapperIjLb0EEEEE10hipError_tT1_PNSt15iterator_traitsISE_E10value_typeET2_T3_PNSF_ISK_E10value_typeET4_T5_PSP_SQ_PNS1_23onesweep_lookback_stateEbbT6_jjT7_P12ihipStream_tbENKUlT_T0_SE_SJ_E_clIS8_S8_S9_S9_EEDaSX_SY_SE_SJ_EUlSX_E_NS1_11comp_targetILNS1_3genE10ELNS1_11target_archE1201ELNS1_3gpuE5ELNS1_3repE0EEENS1_47radix_sort_onesweep_sort_config_static_selectorELNS0_4arch9wavefront6targetE1EEEvSE_,"axG",@progbits,_ZN7rocprim17ROCPRIM_400000_NS6detail17trampoline_kernelINS0_14default_configENS1_35radix_sort_onesweep_config_selectorIsNS0_10empty_typeEEEZZNS1_29radix_sort_onesweep_iterationIS3_Lb0EPsS8_PS5_S9_mNS0_19identity_decomposerENS1_16block_id_wrapperIjLb0EEEEE10hipError_tT1_PNSt15iterator_traitsISE_E10value_typeET2_T3_PNSF_ISK_E10value_typeET4_T5_PSP_SQ_PNS1_23onesweep_lookback_stateEbbT6_jjT7_P12ihipStream_tbENKUlT_T0_SE_SJ_E_clIS8_S8_S9_S9_EEDaSX_SY_SE_SJ_EUlSX_E_NS1_11comp_targetILNS1_3genE10ELNS1_11target_archE1201ELNS1_3gpuE5ELNS1_3repE0EEENS1_47radix_sort_onesweep_sort_config_static_selectorELNS0_4arch9wavefront6targetE1EEEvSE_,comdat
.Lfunc_end445:
	.size	_ZN7rocprim17ROCPRIM_400000_NS6detail17trampoline_kernelINS0_14default_configENS1_35radix_sort_onesweep_config_selectorIsNS0_10empty_typeEEEZZNS1_29radix_sort_onesweep_iterationIS3_Lb0EPsS8_PS5_S9_mNS0_19identity_decomposerENS1_16block_id_wrapperIjLb0EEEEE10hipError_tT1_PNSt15iterator_traitsISE_E10value_typeET2_T3_PNSF_ISK_E10value_typeET4_T5_PSP_SQ_PNS1_23onesweep_lookback_stateEbbT6_jjT7_P12ihipStream_tbENKUlT_T0_SE_SJ_E_clIS8_S8_S9_S9_EEDaSX_SY_SE_SJ_EUlSX_E_NS1_11comp_targetILNS1_3genE10ELNS1_11target_archE1201ELNS1_3gpuE5ELNS1_3repE0EEENS1_47radix_sort_onesweep_sort_config_static_selectorELNS0_4arch9wavefront6targetE1EEEvSE_, .Lfunc_end445-_ZN7rocprim17ROCPRIM_400000_NS6detail17trampoline_kernelINS0_14default_configENS1_35radix_sort_onesweep_config_selectorIsNS0_10empty_typeEEEZZNS1_29radix_sort_onesweep_iterationIS3_Lb0EPsS8_PS5_S9_mNS0_19identity_decomposerENS1_16block_id_wrapperIjLb0EEEEE10hipError_tT1_PNSt15iterator_traitsISE_E10value_typeET2_T3_PNSF_ISK_E10value_typeET4_T5_PSP_SQ_PNS1_23onesweep_lookback_stateEbbT6_jjT7_P12ihipStream_tbENKUlT_T0_SE_SJ_E_clIS8_S8_S9_S9_EEDaSX_SY_SE_SJ_EUlSX_E_NS1_11comp_targetILNS1_3genE10ELNS1_11target_archE1201ELNS1_3gpuE5ELNS1_3repE0EEENS1_47radix_sort_onesweep_sort_config_static_selectorELNS0_4arch9wavefront6targetE1EEEvSE_
                                        ; -- End function
	.section	.AMDGPU.csdata,"",@progbits
; Kernel info:
; codeLenInByte = 0
; NumSgprs: 4
; NumVgprs: 0
; NumAgprs: 0
; TotalNumVgprs: 0
; ScratchSize: 0
; MemoryBound: 0
; FloatMode: 240
; IeeeMode: 1
; LDSByteSize: 0 bytes/workgroup (compile time only)
; SGPRBlocks: 0
; VGPRBlocks: 0
; NumSGPRsForWavesPerEU: 4
; NumVGPRsForWavesPerEU: 1
; AccumOffset: 4
; Occupancy: 8
; WaveLimiterHint : 0
; COMPUTE_PGM_RSRC2:SCRATCH_EN: 0
; COMPUTE_PGM_RSRC2:USER_SGPR: 6
; COMPUTE_PGM_RSRC2:TRAP_HANDLER: 0
; COMPUTE_PGM_RSRC2:TGID_X_EN: 1
; COMPUTE_PGM_RSRC2:TGID_Y_EN: 0
; COMPUTE_PGM_RSRC2:TGID_Z_EN: 0
; COMPUTE_PGM_RSRC2:TIDIG_COMP_CNT: 0
; COMPUTE_PGM_RSRC3_GFX90A:ACCUM_OFFSET: 0
; COMPUTE_PGM_RSRC3_GFX90A:TG_SPLIT: 0
	.section	.text._ZN7rocprim17ROCPRIM_400000_NS6detail17trampoline_kernelINS0_14default_configENS1_35radix_sort_onesweep_config_selectorIsNS0_10empty_typeEEEZZNS1_29radix_sort_onesweep_iterationIS3_Lb0EPsS8_PS5_S9_mNS0_19identity_decomposerENS1_16block_id_wrapperIjLb0EEEEE10hipError_tT1_PNSt15iterator_traitsISE_E10value_typeET2_T3_PNSF_ISK_E10value_typeET4_T5_PSP_SQ_PNS1_23onesweep_lookback_stateEbbT6_jjT7_P12ihipStream_tbENKUlT_T0_SE_SJ_E_clIS8_S8_S9_S9_EEDaSX_SY_SE_SJ_EUlSX_E_NS1_11comp_targetILNS1_3genE9ELNS1_11target_archE1100ELNS1_3gpuE3ELNS1_3repE0EEENS1_47radix_sort_onesweep_sort_config_static_selectorELNS0_4arch9wavefront6targetE1EEEvSE_,"axG",@progbits,_ZN7rocprim17ROCPRIM_400000_NS6detail17trampoline_kernelINS0_14default_configENS1_35radix_sort_onesweep_config_selectorIsNS0_10empty_typeEEEZZNS1_29radix_sort_onesweep_iterationIS3_Lb0EPsS8_PS5_S9_mNS0_19identity_decomposerENS1_16block_id_wrapperIjLb0EEEEE10hipError_tT1_PNSt15iterator_traitsISE_E10value_typeET2_T3_PNSF_ISK_E10value_typeET4_T5_PSP_SQ_PNS1_23onesweep_lookback_stateEbbT6_jjT7_P12ihipStream_tbENKUlT_T0_SE_SJ_E_clIS8_S8_S9_S9_EEDaSX_SY_SE_SJ_EUlSX_E_NS1_11comp_targetILNS1_3genE9ELNS1_11target_archE1100ELNS1_3gpuE3ELNS1_3repE0EEENS1_47radix_sort_onesweep_sort_config_static_selectorELNS0_4arch9wavefront6targetE1EEEvSE_,comdat
	.protected	_ZN7rocprim17ROCPRIM_400000_NS6detail17trampoline_kernelINS0_14default_configENS1_35radix_sort_onesweep_config_selectorIsNS0_10empty_typeEEEZZNS1_29radix_sort_onesweep_iterationIS3_Lb0EPsS8_PS5_S9_mNS0_19identity_decomposerENS1_16block_id_wrapperIjLb0EEEEE10hipError_tT1_PNSt15iterator_traitsISE_E10value_typeET2_T3_PNSF_ISK_E10value_typeET4_T5_PSP_SQ_PNS1_23onesweep_lookback_stateEbbT6_jjT7_P12ihipStream_tbENKUlT_T0_SE_SJ_E_clIS8_S8_S9_S9_EEDaSX_SY_SE_SJ_EUlSX_E_NS1_11comp_targetILNS1_3genE9ELNS1_11target_archE1100ELNS1_3gpuE3ELNS1_3repE0EEENS1_47radix_sort_onesweep_sort_config_static_selectorELNS0_4arch9wavefront6targetE1EEEvSE_ ; -- Begin function _ZN7rocprim17ROCPRIM_400000_NS6detail17trampoline_kernelINS0_14default_configENS1_35radix_sort_onesweep_config_selectorIsNS0_10empty_typeEEEZZNS1_29radix_sort_onesweep_iterationIS3_Lb0EPsS8_PS5_S9_mNS0_19identity_decomposerENS1_16block_id_wrapperIjLb0EEEEE10hipError_tT1_PNSt15iterator_traitsISE_E10value_typeET2_T3_PNSF_ISK_E10value_typeET4_T5_PSP_SQ_PNS1_23onesweep_lookback_stateEbbT6_jjT7_P12ihipStream_tbENKUlT_T0_SE_SJ_E_clIS8_S8_S9_S9_EEDaSX_SY_SE_SJ_EUlSX_E_NS1_11comp_targetILNS1_3genE9ELNS1_11target_archE1100ELNS1_3gpuE3ELNS1_3repE0EEENS1_47radix_sort_onesweep_sort_config_static_selectorELNS0_4arch9wavefront6targetE1EEEvSE_
	.globl	_ZN7rocprim17ROCPRIM_400000_NS6detail17trampoline_kernelINS0_14default_configENS1_35radix_sort_onesweep_config_selectorIsNS0_10empty_typeEEEZZNS1_29radix_sort_onesweep_iterationIS3_Lb0EPsS8_PS5_S9_mNS0_19identity_decomposerENS1_16block_id_wrapperIjLb0EEEEE10hipError_tT1_PNSt15iterator_traitsISE_E10value_typeET2_T3_PNSF_ISK_E10value_typeET4_T5_PSP_SQ_PNS1_23onesweep_lookback_stateEbbT6_jjT7_P12ihipStream_tbENKUlT_T0_SE_SJ_E_clIS8_S8_S9_S9_EEDaSX_SY_SE_SJ_EUlSX_E_NS1_11comp_targetILNS1_3genE9ELNS1_11target_archE1100ELNS1_3gpuE3ELNS1_3repE0EEENS1_47radix_sort_onesweep_sort_config_static_selectorELNS0_4arch9wavefront6targetE1EEEvSE_
	.p2align	8
	.type	_ZN7rocprim17ROCPRIM_400000_NS6detail17trampoline_kernelINS0_14default_configENS1_35radix_sort_onesweep_config_selectorIsNS0_10empty_typeEEEZZNS1_29radix_sort_onesweep_iterationIS3_Lb0EPsS8_PS5_S9_mNS0_19identity_decomposerENS1_16block_id_wrapperIjLb0EEEEE10hipError_tT1_PNSt15iterator_traitsISE_E10value_typeET2_T3_PNSF_ISK_E10value_typeET4_T5_PSP_SQ_PNS1_23onesweep_lookback_stateEbbT6_jjT7_P12ihipStream_tbENKUlT_T0_SE_SJ_E_clIS8_S8_S9_S9_EEDaSX_SY_SE_SJ_EUlSX_E_NS1_11comp_targetILNS1_3genE9ELNS1_11target_archE1100ELNS1_3gpuE3ELNS1_3repE0EEENS1_47radix_sort_onesweep_sort_config_static_selectorELNS0_4arch9wavefront6targetE1EEEvSE_,@function
_ZN7rocprim17ROCPRIM_400000_NS6detail17trampoline_kernelINS0_14default_configENS1_35radix_sort_onesweep_config_selectorIsNS0_10empty_typeEEEZZNS1_29radix_sort_onesweep_iterationIS3_Lb0EPsS8_PS5_S9_mNS0_19identity_decomposerENS1_16block_id_wrapperIjLb0EEEEE10hipError_tT1_PNSt15iterator_traitsISE_E10value_typeET2_T3_PNSF_ISK_E10value_typeET4_T5_PSP_SQ_PNS1_23onesweep_lookback_stateEbbT6_jjT7_P12ihipStream_tbENKUlT_T0_SE_SJ_E_clIS8_S8_S9_S9_EEDaSX_SY_SE_SJ_EUlSX_E_NS1_11comp_targetILNS1_3genE9ELNS1_11target_archE1100ELNS1_3gpuE3ELNS1_3repE0EEENS1_47radix_sort_onesweep_sort_config_static_selectorELNS0_4arch9wavefront6targetE1EEEvSE_: ; @_ZN7rocprim17ROCPRIM_400000_NS6detail17trampoline_kernelINS0_14default_configENS1_35radix_sort_onesweep_config_selectorIsNS0_10empty_typeEEEZZNS1_29radix_sort_onesweep_iterationIS3_Lb0EPsS8_PS5_S9_mNS0_19identity_decomposerENS1_16block_id_wrapperIjLb0EEEEE10hipError_tT1_PNSt15iterator_traitsISE_E10value_typeET2_T3_PNSF_ISK_E10value_typeET4_T5_PSP_SQ_PNS1_23onesweep_lookback_stateEbbT6_jjT7_P12ihipStream_tbENKUlT_T0_SE_SJ_E_clIS8_S8_S9_S9_EEDaSX_SY_SE_SJ_EUlSX_E_NS1_11comp_targetILNS1_3genE9ELNS1_11target_archE1100ELNS1_3gpuE3ELNS1_3repE0EEENS1_47radix_sort_onesweep_sort_config_static_selectorELNS0_4arch9wavefront6targetE1EEEvSE_
; %bb.0:
	.section	.rodata,"a",@progbits
	.p2align	6, 0x0
	.amdhsa_kernel _ZN7rocprim17ROCPRIM_400000_NS6detail17trampoline_kernelINS0_14default_configENS1_35radix_sort_onesweep_config_selectorIsNS0_10empty_typeEEEZZNS1_29radix_sort_onesweep_iterationIS3_Lb0EPsS8_PS5_S9_mNS0_19identity_decomposerENS1_16block_id_wrapperIjLb0EEEEE10hipError_tT1_PNSt15iterator_traitsISE_E10value_typeET2_T3_PNSF_ISK_E10value_typeET4_T5_PSP_SQ_PNS1_23onesweep_lookback_stateEbbT6_jjT7_P12ihipStream_tbENKUlT_T0_SE_SJ_E_clIS8_S8_S9_S9_EEDaSX_SY_SE_SJ_EUlSX_E_NS1_11comp_targetILNS1_3genE9ELNS1_11target_archE1100ELNS1_3gpuE3ELNS1_3repE0EEENS1_47radix_sort_onesweep_sort_config_static_selectorELNS0_4arch9wavefront6targetE1EEEvSE_
		.amdhsa_group_segment_fixed_size 0
		.amdhsa_private_segment_fixed_size 0
		.amdhsa_kernarg_size 88
		.amdhsa_user_sgpr_count 6
		.amdhsa_user_sgpr_private_segment_buffer 1
		.amdhsa_user_sgpr_dispatch_ptr 0
		.amdhsa_user_sgpr_queue_ptr 0
		.amdhsa_user_sgpr_kernarg_segment_ptr 1
		.amdhsa_user_sgpr_dispatch_id 0
		.amdhsa_user_sgpr_flat_scratch_init 0
		.amdhsa_user_sgpr_kernarg_preload_length 0
		.amdhsa_user_sgpr_kernarg_preload_offset 0
		.amdhsa_user_sgpr_private_segment_size 0
		.amdhsa_uses_dynamic_stack 0
		.amdhsa_system_sgpr_private_segment_wavefront_offset 0
		.amdhsa_system_sgpr_workgroup_id_x 1
		.amdhsa_system_sgpr_workgroup_id_y 0
		.amdhsa_system_sgpr_workgroup_id_z 0
		.amdhsa_system_sgpr_workgroup_info 0
		.amdhsa_system_vgpr_workitem_id 0
		.amdhsa_next_free_vgpr 1
		.amdhsa_next_free_sgpr 0
		.amdhsa_accum_offset 4
		.amdhsa_reserve_vcc 0
		.amdhsa_reserve_flat_scratch 0
		.amdhsa_float_round_mode_32 0
		.amdhsa_float_round_mode_16_64 0
		.amdhsa_float_denorm_mode_32 3
		.amdhsa_float_denorm_mode_16_64 3
		.amdhsa_dx10_clamp 1
		.amdhsa_ieee_mode 1
		.amdhsa_fp16_overflow 0
		.amdhsa_tg_split 0
		.amdhsa_exception_fp_ieee_invalid_op 0
		.amdhsa_exception_fp_denorm_src 0
		.amdhsa_exception_fp_ieee_div_zero 0
		.amdhsa_exception_fp_ieee_overflow 0
		.amdhsa_exception_fp_ieee_underflow 0
		.amdhsa_exception_fp_ieee_inexact 0
		.amdhsa_exception_int_div_zero 0
	.end_amdhsa_kernel
	.section	.text._ZN7rocprim17ROCPRIM_400000_NS6detail17trampoline_kernelINS0_14default_configENS1_35radix_sort_onesweep_config_selectorIsNS0_10empty_typeEEEZZNS1_29radix_sort_onesweep_iterationIS3_Lb0EPsS8_PS5_S9_mNS0_19identity_decomposerENS1_16block_id_wrapperIjLb0EEEEE10hipError_tT1_PNSt15iterator_traitsISE_E10value_typeET2_T3_PNSF_ISK_E10value_typeET4_T5_PSP_SQ_PNS1_23onesweep_lookback_stateEbbT6_jjT7_P12ihipStream_tbENKUlT_T0_SE_SJ_E_clIS8_S8_S9_S9_EEDaSX_SY_SE_SJ_EUlSX_E_NS1_11comp_targetILNS1_3genE9ELNS1_11target_archE1100ELNS1_3gpuE3ELNS1_3repE0EEENS1_47radix_sort_onesweep_sort_config_static_selectorELNS0_4arch9wavefront6targetE1EEEvSE_,"axG",@progbits,_ZN7rocprim17ROCPRIM_400000_NS6detail17trampoline_kernelINS0_14default_configENS1_35radix_sort_onesweep_config_selectorIsNS0_10empty_typeEEEZZNS1_29radix_sort_onesweep_iterationIS3_Lb0EPsS8_PS5_S9_mNS0_19identity_decomposerENS1_16block_id_wrapperIjLb0EEEEE10hipError_tT1_PNSt15iterator_traitsISE_E10value_typeET2_T3_PNSF_ISK_E10value_typeET4_T5_PSP_SQ_PNS1_23onesweep_lookback_stateEbbT6_jjT7_P12ihipStream_tbENKUlT_T0_SE_SJ_E_clIS8_S8_S9_S9_EEDaSX_SY_SE_SJ_EUlSX_E_NS1_11comp_targetILNS1_3genE9ELNS1_11target_archE1100ELNS1_3gpuE3ELNS1_3repE0EEENS1_47radix_sort_onesweep_sort_config_static_selectorELNS0_4arch9wavefront6targetE1EEEvSE_,comdat
.Lfunc_end446:
	.size	_ZN7rocprim17ROCPRIM_400000_NS6detail17trampoline_kernelINS0_14default_configENS1_35radix_sort_onesweep_config_selectorIsNS0_10empty_typeEEEZZNS1_29radix_sort_onesweep_iterationIS3_Lb0EPsS8_PS5_S9_mNS0_19identity_decomposerENS1_16block_id_wrapperIjLb0EEEEE10hipError_tT1_PNSt15iterator_traitsISE_E10value_typeET2_T3_PNSF_ISK_E10value_typeET4_T5_PSP_SQ_PNS1_23onesweep_lookback_stateEbbT6_jjT7_P12ihipStream_tbENKUlT_T0_SE_SJ_E_clIS8_S8_S9_S9_EEDaSX_SY_SE_SJ_EUlSX_E_NS1_11comp_targetILNS1_3genE9ELNS1_11target_archE1100ELNS1_3gpuE3ELNS1_3repE0EEENS1_47radix_sort_onesweep_sort_config_static_selectorELNS0_4arch9wavefront6targetE1EEEvSE_, .Lfunc_end446-_ZN7rocprim17ROCPRIM_400000_NS6detail17trampoline_kernelINS0_14default_configENS1_35radix_sort_onesweep_config_selectorIsNS0_10empty_typeEEEZZNS1_29radix_sort_onesweep_iterationIS3_Lb0EPsS8_PS5_S9_mNS0_19identity_decomposerENS1_16block_id_wrapperIjLb0EEEEE10hipError_tT1_PNSt15iterator_traitsISE_E10value_typeET2_T3_PNSF_ISK_E10value_typeET4_T5_PSP_SQ_PNS1_23onesweep_lookback_stateEbbT6_jjT7_P12ihipStream_tbENKUlT_T0_SE_SJ_E_clIS8_S8_S9_S9_EEDaSX_SY_SE_SJ_EUlSX_E_NS1_11comp_targetILNS1_3genE9ELNS1_11target_archE1100ELNS1_3gpuE3ELNS1_3repE0EEENS1_47radix_sort_onesweep_sort_config_static_selectorELNS0_4arch9wavefront6targetE1EEEvSE_
                                        ; -- End function
	.section	.AMDGPU.csdata,"",@progbits
; Kernel info:
; codeLenInByte = 0
; NumSgprs: 4
; NumVgprs: 0
; NumAgprs: 0
; TotalNumVgprs: 0
; ScratchSize: 0
; MemoryBound: 0
; FloatMode: 240
; IeeeMode: 1
; LDSByteSize: 0 bytes/workgroup (compile time only)
; SGPRBlocks: 0
; VGPRBlocks: 0
; NumSGPRsForWavesPerEU: 4
; NumVGPRsForWavesPerEU: 1
; AccumOffset: 4
; Occupancy: 8
; WaveLimiterHint : 0
; COMPUTE_PGM_RSRC2:SCRATCH_EN: 0
; COMPUTE_PGM_RSRC2:USER_SGPR: 6
; COMPUTE_PGM_RSRC2:TRAP_HANDLER: 0
; COMPUTE_PGM_RSRC2:TGID_X_EN: 1
; COMPUTE_PGM_RSRC2:TGID_Y_EN: 0
; COMPUTE_PGM_RSRC2:TGID_Z_EN: 0
; COMPUTE_PGM_RSRC2:TIDIG_COMP_CNT: 0
; COMPUTE_PGM_RSRC3_GFX90A:ACCUM_OFFSET: 0
; COMPUTE_PGM_RSRC3_GFX90A:TG_SPLIT: 0
	.section	.text._ZN7rocprim17ROCPRIM_400000_NS6detail17trampoline_kernelINS0_14default_configENS1_35radix_sort_onesweep_config_selectorIsNS0_10empty_typeEEEZZNS1_29radix_sort_onesweep_iterationIS3_Lb0EPsS8_PS5_S9_mNS0_19identity_decomposerENS1_16block_id_wrapperIjLb0EEEEE10hipError_tT1_PNSt15iterator_traitsISE_E10value_typeET2_T3_PNSF_ISK_E10value_typeET4_T5_PSP_SQ_PNS1_23onesweep_lookback_stateEbbT6_jjT7_P12ihipStream_tbENKUlT_T0_SE_SJ_E_clIS8_S8_S9_S9_EEDaSX_SY_SE_SJ_EUlSX_E_NS1_11comp_targetILNS1_3genE8ELNS1_11target_archE1030ELNS1_3gpuE2ELNS1_3repE0EEENS1_47radix_sort_onesweep_sort_config_static_selectorELNS0_4arch9wavefront6targetE1EEEvSE_,"axG",@progbits,_ZN7rocprim17ROCPRIM_400000_NS6detail17trampoline_kernelINS0_14default_configENS1_35radix_sort_onesweep_config_selectorIsNS0_10empty_typeEEEZZNS1_29radix_sort_onesweep_iterationIS3_Lb0EPsS8_PS5_S9_mNS0_19identity_decomposerENS1_16block_id_wrapperIjLb0EEEEE10hipError_tT1_PNSt15iterator_traitsISE_E10value_typeET2_T3_PNSF_ISK_E10value_typeET4_T5_PSP_SQ_PNS1_23onesweep_lookback_stateEbbT6_jjT7_P12ihipStream_tbENKUlT_T0_SE_SJ_E_clIS8_S8_S9_S9_EEDaSX_SY_SE_SJ_EUlSX_E_NS1_11comp_targetILNS1_3genE8ELNS1_11target_archE1030ELNS1_3gpuE2ELNS1_3repE0EEENS1_47radix_sort_onesweep_sort_config_static_selectorELNS0_4arch9wavefront6targetE1EEEvSE_,comdat
	.protected	_ZN7rocprim17ROCPRIM_400000_NS6detail17trampoline_kernelINS0_14default_configENS1_35radix_sort_onesweep_config_selectorIsNS0_10empty_typeEEEZZNS1_29radix_sort_onesweep_iterationIS3_Lb0EPsS8_PS5_S9_mNS0_19identity_decomposerENS1_16block_id_wrapperIjLb0EEEEE10hipError_tT1_PNSt15iterator_traitsISE_E10value_typeET2_T3_PNSF_ISK_E10value_typeET4_T5_PSP_SQ_PNS1_23onesweep_lookback_stateEbbT6_jjT7_P12ihipStream_tbENKUlT_T0_SE_SJ_E_clIS8_S8_S9_S9_EEDaSX_SY_SE_SJ_EUlSX_E_NS1_11comp_targetILNS1_3genE8ELNS1_11target_archE1030ELNS1_3gpuE2ELNS1_3repE0EEENS1_47radix_sort_onesweep_sort_config_static_selectorELNS0_4arch9wavefront6targetE1EEEvSE_ ; -- Begin function _ZN7rocprim17ROCPRIM_400000_NS6detail17trampoline_kernelINS0_14default_configENS1_35radix_sort_onesweep_config_selectorIsNS0_10empty_typeEEEZZNS1_29radix_sort_onesweep_iterationIS3_Lb0EPsS8_PS5_S9_mNS0_19identity_decomposerENS1_16block_id_wrapperIjLb0EEEEE10hipError_tT1_PNSt15iterator_traitsISE_E10value_typeET2_T3_PNSF_ISK_E10value_typeET4_T5_PSP_SQ_PNS1_23onesweep_lookback_stateEbbT6_jjT7_P12ihipStream_tbENKUlT_T0_SE_SJ_E_clIS8_S8_S9_S9_EEDaSX_SY_SE_SJ_EUlSX_E_NS1_11comp_targetILNS1_3genE8ELNS1_11target_archE1030ELNS1_3gpuE2ELNS1_3repE0EEENS1_47radix_sort_onesweep_sort_config_static_selectorELNS0_4arch9wavefront6targetE1EEEvSE_
	.globl	_ZN7rocprim17ROCPRIM_400000_NS6detail17trampoline_kernelINS0_14default_configENS1_35radix_sort_onesweep_config_selectorIsNS0_10empty_typeEEEZZNS1_29radix_sort_onesweep_iterationIS3_Lb0EPsS8_PS5_S9_mNS0_19identity_decomposerENS1_16block_id_wrapperIjLb0EEEEE10hipError_tT1_PNSt15iterator_traitsISE_E10value_typeET2_T3_PNSF_ISK_E10value_typeET4_T5_PSP_SQ_PNS1_23onesweep_lookback_stateEbbT6_jjT7_P12ihipStream_tbENKUlT_T0_SE_SJ_E_clIS8_S8_S9_S9_EEDaSX_SY_SE_SJ_EUlSX_E_NS1_11comp_targetILNS1_3genE8ELNS1_11target_archE1030ELNS1_3gpuE2ELNS1_3repE0EEENS1_47radix_sort_onesweep_sort_config_static_selectorELNS0_4arch9wavefront6targetE1EEEvSE_
	.p2align	8
	.type	_ZN7rocprim17ROCPRIM_400000_NS6detail17trampoline_kernelINS0_14default_configENS1_35radix_sort_onesweep_config_selectorIsNS0_10empty_typeEEEZZNS1_29radix_sort_onesweep_iterationIS3_Lb0EPsS8_PS5_S9_mNS0_19identity_decomposerENS1_16block_id_wrapperIjLb0EEEEE10hipError_tT1_PNSt15iterator_traitsISE_E10value_typeET2_T3_PNSF_ISK_E10value_typeET4_T5_PSP_SQ_PNS1_23onesweep_lookback_stateEbbT6_jjT7_P12ihipStream_tbENKUlT_T0_SE_SJ_E_clIS8_S8_S9_S9_EEDaSX_SY_SE_SJ_EUlSX_E_NS1_11comp_targetILNS1_3genE8ELNS1_11target_archE1030ELNS1_3gpuE2ELNS1_3repE0EEENS1_47radix_sort_onesweep_sort_config_static_selectorELNS0_4arch9wavefront6targetE1EEEvSE_,@function
_ZN7rocprim17ROCPRIM_400000_NS6detail17trampoline_kernelINS0_14default_configENS1_35radix_sort_onesweep_config_selectorIsNS0_10empty_typeEEEZZNS1_29radix_sort_onesweep_iterationIS3_Lb0EPsS8_PS5_S9_mNS0_19identity_decomposerENS1_16block_id_wrapperIjLb0EEEEE10hipError_tT1_PNSt15iterator_traitsISE_E10value_typeET2_T3_PNSF_ISK_E10value_typeET4_T5_PSP_SQ_PNS1_23onesweep_lookback_stateEbbT6_jjT7_P12ihipStream_tbENKUlT_T0_SE_SJ_E_clIS8_S8_S9_S9_EEDaSX_SY_SE_SJ_EUlSX_E_NS1_11comp_targetILNS1_3genE8ELNS1_11target_archE1030ELNS1_3gpuE2ELNS1_3repE0EEENS1_47radix_sort_onesweep_sort_config_static_selectorELNS0_4arch9wavefront6targetE1EEEvSE_: ; @_ZN7rocprim17ROCPRIM_400000_NS6detail17trampoline_kernelINS0_14default_configENS1_35radix_sort_onesweep_config_selectorIsNS0_10empty_typeEEEZZNS1_29radix_sort_onesweep_iterationIS3_Lb0EPsS8_PS5_S9_mNS0_19identity_decomposerENS1_16block_id_wrapperIjLb0EEEEE10hipError_tT1_PNSt15iterator_traitsISE_E10value_typeET2_T3_PNSF_ISK_E10value_typeET4_T5_PSP_SQ_PNS1_23onesweep_lookback_stateEbbT6_jjT7_P12ihipStream_tbENKUlT_T0_SE_SJ_E_clIS8_S8_S9_S9_EEDaSX_SY_SE_SJ_EUlSX_E_NS1_11comp_targetILNS1_3genE8ELNS1_11target_archE1030ELNS1_3gpuE2ELNS1_3repE0EEENS1_47radix_sort_onesweep_sort_config_static_selectorELNS0_4arch9wavefront6targetE1EEEvSE_
; %bb.0:
	.section	.rodata,"a",@progbits
	.p2align	6, 0x0
	.amdhsa_kernel _ZN7rocprim17ROCPRIM_400000_NS6detail17trampoline_kernelINS0_14default_configENS1_35radix_sort_onesweep_config_selectorIsNS0_10empty_typeEEEZZNS1_29radix_sort_onesweep_iterationIS3_Lb0EPsS8_PS5_S9_mNS0_19identity_decomposerENS1_16block_id_wrapperIjLb0EEEEE10hipError_tT1_PNSt15iterator_traitsISE_E10value_typeET2_T3_PNSF_ISK_E10value_typeET4_T5_PSP_SQ_PNS1_23onesweep_lookback_stateEbbT6_jjT7_P12ihipStream_tbENKUlT_T0_SE_SJ_E_clIS8_S8_S9_S9_EEDaSX_SY_SE_SJ_EUlSX_E_NS1_11comp_targetILNS1_3genE8ELNS1_11target_archE1030ELNS1_3gpuE2ELNS1_3repE0EEENS1_47radix_sort_onesweep_sort_config_static_selectorELNS0_4arch9wavefront6targetE1EEEvSE_
		.amdhsa_group_segment_fixed_size 0
		.amdhsa_private_segment_fixed_size 0
		.amdhsa_kernarg_size 88
		.amdhsa_user_sgpr_count 6
		.amdhsa_user_sgpr_private_segment_buffer 1
		.amdhsa_user_sgpr_dispatch_ptr 0
		.amdhsa_user_sgpr_queue_ptr 0
		.amdhsa_user_sgpr_kernarg_segment_ptr 1
		.amdhsa_user_sgpr_dispatch_id 0
		.amdhsa_user_sgpr_flat_scratch_init 0
		.amdhsa_user_sgpr_kernarg_preload_length 0
		.amdhsa_user_sgpr_kernarg_preload_offset 0
		.amdhsa_user_sgpr_private_segment_size 0
		.amdhsa_uses_dynamic_stack 0
		.amdhsa_system_sgpr_private_segment_wavefront_offset 0
		.amdhsa_system_sgpr_workgroup_id_x 1
		.amdhsa_system_sgpr_workgroup_id_y 0
		.amdhsa_system_sgpr_workgroup_id_z 0
		.amdhsa_system_sgpr_workgroup_info 0
		.amdhsa_system_vgpr_workitem_id 0
		.amdhsa_next_free_vgpr 1
		.amdhsa_next_free_sgpr 0
		.amdhsa_accum_offset 4
		.amdhsa_reserve_vcc 0
		.amdhsa_reserve_flat_scratch 0
		.amdhsa_float_round_mode_32 0
		.amdhsa_float_round_mode_16_64 0
		.amdhsa_float_denorm_mode_32 3
		.amdhsa_float_denorm_mode_16_64 3
		.amdhsa_dx10_clamp 1
		.amdhsa_ieee_mode 1
		.amdhsa_fp16_overflow 0
		.amdhsa_tg_split 0
		.amdhsa_exception_fp_ieee_invalid_op 0
		.amdhsa_exception_fp_denorm_src 0
		.amdhsa_exception_fp_ieee_div_zero 0
		.amdhsa_exception_fp_ieee_overflow 0
		.amdhsa_exception_fp_ieee_underflow 0
		.amdhsa_exception_fp_ieee_inexact 0
		.amdhsa_exception_int_div_zero 0
	.end_amdhsa_kernel
	.section	.text._ZN7rocprim17ROCPRIM_400000_NS6detail17trampoline_kernelINS0_14default_configENS1_35radix_sort_onesweep_config_selectorIsNS0_10empty_typeEEEZZNS1_29radix_sort_onesweep_iterationIS3_Lb0EPsS8_PS5_S9_mNS0_19identity_decomposerENS1_16block_id_wrapperIjLb0EEEEE10hipError_tT1_PNSt15iterator_traitsISE_E10value_typeET2_T3_PNSF_ISK_E10value_typeET4_T5_PSP_SQ_PNS1_23onesweep_lookback_stateEbbT6_jjT7_P12ihipStream_tbENKUlT_T0_SE_SJ_E_clIS8_S8_S9_S9_EEDaSX_SY_SE_SJ_EUlSX_E_NS1_11comp_targetILNS1_3genE8ELNS1_11target_archE1030ELNS1_3gpuE2ELNS1_3repE0EEENS1_47radix_sort_onesweep_sort_config_static_selectorELNS0_4arch9wavefront6targetE1EEEvSE_,"axG",@progbits,_ZN7rocprim17ROCPRIM_400000_NS6detail17trampoline_kernelINS0_14default_configENS1_35radix_sort_onesweep_config_selectorIsNS0_10empty_typeEEEZZNS1_29radix_sort_onesweep_iterationIS3_Lb0EPsS8_PS5_S9_mNS0_19identity_decomposerENS1_16block_id_wrapperIjLb0EEEEE10hipError_tT1_PNSt15iterator_traitsISE_E10value_typeET2_T3_PNSF_ISK_E10value_typeET4_T5_PSP_SQ_PNS1_23onesweep_lookback_stateEbbT6_jjT7_P12ihipStream_tbENKUlT_T0_SE_SJ_E_clIS8_S8_S9_S9_EEDaSX_SY_SE_SJ_EUlSX_E_NS1_11comp_targetILNS1_3genE8ELNS1_11target_archE1030ELNS1_3gpuE2ELNS1_3repE0EEENS1_47radix_sort_onesweep_sort_config_static_selectorELNS0_4arch9wavefront6targetE1EEEvSE_,comdat
.Lfunc_end447:
	.size	_ZN7rocprim17ROCPRIM_400000_NS6detail17trampoline_kernelINS0_14default_configENS1_35radix_sort_onesweep_config_selectorIsNS0_10empty_typeEEEZZNS1_29radix_sort_onesweep_iterationIS3_Lb0EPsS8_PS5_S9_mNS0_19identity_decomposerENS1_16block_id_wrapperIjLb0EEEEE10hipError_tT1_PNSt15iterator_traitsISE_E10value_typeET2_T3_PNSF_ISK_E10value_typeET4_T5_PSP_SQ_PNS1_23onesweep_lookback_stateEbbT6_jjT7_P12ihipStream_tbENKUlT_T0_SE_SJ_E_clIS8_S8_S9_S9_EEDaSX_SY_SE_SJ_EUlSX_E_NS1_11comp_targetILNS1_3genE8ELNS1_11target_archE1030ELNS1_3gpuE2ELNS1_3repE0EEENS1_47radix_sort_onesweep_sort_config_static_selectorELNS0_4arch9wavefront6targetE1EEEvSE_, .Lfunc_end447-_ZN7rocprim17ROCPRIM_400000_NS6detail17trampoline_kernelINS0_14default_configENS1_35radix_sort_onesweep_config_selectorIsNS0_10empty_typeEEEZZNS1_29radix_sort_onesweep_iterationIS3_Lb0EPsS8_PS5_S9_mNS0_19identity_decomposerENS1_16block_id_wrapperIjLb0EEEEE10hipError_tT1_PNSt15iterator_traitsISE_E10value_typeET2_T3_PNSF_ISK_E10value_typeET4_T5_PSP_SQ_PNS1_23onesweep_lookback_stateEbbT6_jjT7_P12ihipStream_tbENKUlT_T0_SE_SJ_E_clIS8_S8_S9_S9_EEDaSX_SY_SE_SJ_EUlSX_E_NS1_11comp_targetILNS1_3genE8ELNS1_11target_archE1030ELNS1_3gpuE2ELNS1_3repE0EEENS1_47radix_sort_onesweep_sort_config_static_selectorELNS0_4arch9wavefront6targetE1EEEvSE_
                                        ; -- End function
	.section	.AMDGPU.csdata,"",@progbits
; Kernel info:
; codeLenInByte = 0
; NumSgprs: 4
; NumVgprs: 0
; NumAgprs: 0
; TotalNumVgprs: 0
; ScratchSize: 0
; MemoryBound: 0
; FloatMode: 240
; IeeeMode: 1
; LDSByteSize: 0 bytes/workgroup (compile time only)
; SGPRBlocks: 0
; VGPRBlocks: 0
; NumSGPRsForWavesPerEU: 4
; NumVGPRsForWavesPerEU: 1
; AccumOffset: 4
; Occupancy: 8
; WaveLimiterHint : 0
; COMPUTE_PGM_RSRC2:SCRATCH_EN: 0
; COMPUTE_PGM_RSRC2:USER_SGPR: 6
; COMPUTE_PGM_RSRC2:TRAP_HANDLER: 0
; COMPUTE_PGM_RSRC2:TGID_X_EN: 1
; COMPUTE_PGM_RSRC2:TGID_Y_EN: 0
; COMPUTE_PGM_RSRC2:TGID_Z_EN: 0
; COMPUTE_PGM_RSRC2:TIDIG_COMP_CNT: 0
; COMPUTE_PGM_RSRC3_GFX90A:ACCUM_OFFSET: 0
; COMPUTE_PGM_RSRC3_GFX90A:TG_SPLIT: 0
	.section	.text._ZN7rocprim17ROCPRIM_400000_NS6detail17trampoline_kernelINS0_13kernel_configILj256ELj4ELj4294967295EEENS1_37radix_sort_block_sort_config_selectorItNS0_10empty_typeEEEZNS1_21radix_sort_block_sortIS4_Lb0EPtS9_PS6_SA_NS0_19identity_decomposerEEE10hipError_tT1_T2_T3_T4_jRjT5_jjP12ihipStream_tbEUlT_E_NS1_11comp_targetILNS1_3genE0ELNS1_11target_archE4294967295ELNS1_3gpuE0ELNS1_3repE0EEENS1_44radix_sort_block_sort_config_static_selectorELNS0_4arch9wavefront6targetE1EEEvSD_,"axG",@progbits,_ZN7rocprim17ROCPRIM_400000_NS6detail17trampoline_kernelINS0_13kernel_configILj256ELj4ELj4294967295EEENS1_37radix_sort_block_sort_config_selectorItNS0_10empty_typeEEEZNS1_21radix_sort_block_sortIS4_Lb0EPtS9_PS6_SA_NS0_19identity_decomposerEEE10hipError_tT1_T2_T3_T4_jRjT5_jjP12ihipStream_tbEUlT_E_NS1_11comp_targetILNS1_3genE0ELNS1_11target_archE4294967295ELNS1_3gpuE0ELNS1_3repE0EEENS1_44radix_sort_block_sort_config_static_selectorELNS0_4arch9wavefront6targetE1EEEvSD_,comdat
	.protected	_ZN7rocprim17ROCPRIM_400000_NS6detail17trampoline_kernelINS0_13kernel_configILj256ELj4ELj4294967295EEENS1_37radix_sort_block_sort_config_selectorItNS0_10empty_typeEEEZNS1_21radix_sort_block_sortIS4_Lb0EPtS9_PS6_SA_NS0_19identity_decomposerEEE10hipError_tT1_T2_T3_T4_jRjT5_jjP12ihipStream_tbEUlT_E_NS1_11comp_targetILNS1_3genE0ELNS1_11target_archE4294967295ELNS1_3gpuE0ELNS1_3repE0EEENS1_44radix_sort_block_sort_config_static_selectorELNS0_4arch9wavefront6targetE1EEEvSD_ ; -- Begin function _ZN7rocprim17ROCPRIM_400000_NS6detail17trampoline_kernelINS0_13kernel_configILj256ELj4ELj4294967295EEENS1_37radix_sort_block_sort_config_selectorItNS0_10empty_typeEEEZNS1_21radix_sort_block_sortIS4_Lb0EPtS9_PS6_SA_NS0_19identity_decomposerEEE10hipError_tT1_T2_T3_T4_jRjT5_jjP12ihipStream_tbEUlT_E_NS1_11comp_targetILNS1_3genE0ELNS1_11target_archE4294967295ELNS1_3gpuE0ELNS1_3repE0EEENS1_44radix_sort_block_sort_config_static_selectorELNS0_4arch9wavefront6targetE1EEEvSD_
	.globl	_ZN7rocprim17ROCPRIM_400000_NS6detail17trampoline_kernelINS0_13kernel_configILj256ELj4ELj4294967295EEENS1_37radix_sort_block_sort_config_selectorItNS0_10empty_typeEEEZNS1_21radix_sort_block_sortIS4_Lb0EPtS9_PS6_SA_NS0_19identity_decomposerEEE10hipError_tT1_T2_T3_T4_jRjT5_jjP12ihipStream_tbEUlT_E_NS1_11comp_targetILNS1_3genE0ELNS1_11target_archE4294967295ELNS1_3gpuE0ELNS1_3repE0EEENS1_44radix_sort_block_sort_config_static_selectorELNS0_4arch9wavefront6targetE1EEEvSD_
	.p2align	8
	.type	_ZN7rocprim17ROCPRIM_400000_NS6detail17trampoline_kernelINS0_13kernel_configILj256ELj4ELj4294967295EEENS1_37radix_sort_block_sort_config_selectorItNS0_10empty_typeEEEZNS1_21radix_sort_block_sortIS4_Lb0EPtS9_PS6_SA_NS0_19identity_decomposerEEE10hipError_tT1_T2_T3_T4_jRjT5_jjP12ihipStream_tbEUlT_E_NS1_11comp_targetILNS1_3genE0ELNS1_11target_archE4294967295ELNS1_3gpuE0ELNS1_3repE0EEENS1_44radix_sort_block_sort_config_static_selectorELNS0_4arch9wavefront6targetE1EEEvSD_,@function
_ZN7rocprim17ROCPRIM_400000_NS6detail17trampoline_kernelINS0_13kernel_configILj256ELj4ELj4294967295EEENS1_37radix_sort_block_sort_config_selectorItNS0_10empty_typeEEEZNS1_21radix_sort_block_sortIS4_Lb0EPtS9_PS6_SA_NS0_19identity_decomposerEEE10hipError_tT1_T2_T3_T4_jRjT5_jjP12ihipStream_tbEUlT_E_NS1_11comp_targetILNS1_3genE0ELNS1_11target_archE4294967295ELNS1_3gpuE0ELNS1_3repE0EEENS1_44radix_sort_block_sort_config_static_selectorELNS0_4arch9wavefront6targetE1EEEvSD_: ; @_ZN7rocprim17ROCPRIM_400000_NS6detail17trampoline_kernelINS0_13kernel_configILj256ELj4ELj4294967295EEENS1_37radix_sort_block_sort_config_selectorItNS0_10empty_typeEEEZNS1_21radix_sort_block_sortIS4_Lb0EPtS9_PS6_SA_NS0_19identity_decomposerEEE10hipError_tT1_T2_T3_T4_jRjT5_jjP12ihipStream_tbEUlT_E_NS1_11comp_targetILNS1_3genE0ELNS1_11target_archE4294967295ELNS1_3gpuE0ELNS1_3repE0EEENS1_44radix_sort_block_sort_config_static_selectorELNS0_4arch9wavefront6targetE1EEEvSD_
; %bb.0:
	.section	.rodata,"a",@progbits
	.p2align	6, 0x0
	.amdhsa_kernel _ZN7rocprim17ROCPRIM_400000_NS6detail17trampoline_kernelINS0_13kernel_configILj256ELj4ELj4294967295EEENS1_37radix_sort_block_sort_config_selectorItNS0_10empty_typeEEEZNS1_21radix_sort_block_sortIS4_Lb0EPtS9_PS6_SA_NS0_19identity_decomposerEEE10hipError_tT1_T2_T3_T4_jRjT5_jjP12ihipStream_tbEUlT_E_NS1_11comp_targetILNS1_3genE0ELNS1_11target_archE4294967295ELNS1_3gpuE0ELNS1_3repE0EEENS1_44radix_sort_block_sort_config_static_selectorELNS0_4arch9wavefront6targetE1EEEvSD_
		.amdhsa_group_segment_fixed_size 0
		.amdhsa_private_segment_fixed_size 0
		.amdhsa_kernarg_size 48
		.amdhsa_user_sgpr_count 6
		.amdhsa_user_sgpr_private_segment_buffer 1
		.amdhsa_user_sgpr_dispatch_ptr 0
		.amdhsa_user_sgpr_queue_ptr 0
		.amdhsa_user_sgpr_kernarg_segment_ptr 1
		.amdhsa_user_sgpr_dispatch_id 0
		.amdhsa_user_sgpr_flat_scratch_init 0
		.amdhsa_user_sgpr_kernarg_preload_length 0
		.amdhsa_user_sgpr_kernarg_preload_offset 0
		.amdhsa_user_sgpr_private_segment_size 0
		.amdhsa_uses_dynamic_stack 0
		.amdhsa_system_sgpr_private_segment_wavefront_offset 0
		.amdhsa_system_sgpr_workgroup_id_x 1
		.amdhsa_system_sgpr_workgroup_id_y 0
		.amdhsa_system_sgpr_workgroup_id_z 0
		.amdhsa_system_sgpr_workgroup_info 0
		.amdhsa_system_vgpr_workitem_id 0
		.amdhsa_next_free_vgpr 1
		.amdhsa_next_free_sgpr 0
		.amdhsa_accum_offset 4
		.amdhsa_reserve_vcc 0
		.amdhsa_reserve_flat_scratch 0
		.amdhsa_float_round_mode_32 0
		.amdhsa_float_round_mode_16_64 0
		.amdhsa_float_denorm_mode_32 3
		.amdhsa_float_denorm_mode_16_64 3
		.amdhsa_dx10_clamp 1
		.amdhsa_ieee_mode 1
		.amdhsa_fp16_overflow 0
		.amdhsa_tg_split 0
		.amdhsa_exception_fp_ieee_invalid_op 0
		.amdhsa_exception_fp_denorm_src 0
		.amdhsa_exception_fp_ieee_div_zero 0
		.amdhsa_exception_fp_ieee_overflow 0
		.amdhsa_exception_fp_ieee_underflow 0
		.amdhsa_exception_fp_ieee_inexact 0
		.amdhsa_exception_int_div_zero 0
	.end_amdhsa_kernel
	.section	.text._ZN7rocprim17ROCPRIM_400000_NS6detail17trampoline_kernelINS0_13kernel_configILj256ELj4ELj4294967295EEENS1_37radix_sort_block_sort_config_selectorItNS0_10empty_typeEEEZNS1_21radix_sort_block_sortIS4_Lb0EPtS9_PS6_SA_NS0_19identity_decomposerEEE10hipError_tT1_T2_T3_T4_jRjT5_jjP12ihipStream_tbEUlT_E_NS1_11comp_targetILNS1_3genE0ELNS1_11target_archE4294967295ELNS1_3gpuE0ELNS1_3repE0EEENS1_44radix_sort_block_sort_config_static_selectorELNS0_4arch9wavefront6targetE1EEEvSD_,"axG",@progbits,_ZN7rocprim17ROCPRIM_400000_NS6detail17trampoline_kernelINS0_13kernel_configILj256ELj4ELj4294967295EEENS1_37radix_sort_block_sort_config_selectorItNS0_10empty_typeEEEZNS1_21radix_sort_block_sortIS4_Lb0EPtS9_PS6_SA_NS0_19identity_decomposerEEE10hipError_tT1_T2_T3_T4_jRjT5_jjP12ihipStream_tbEUlT_E_NS1_11comp_targetILNS1_3genE0ELNS1_11target_archE4294967295ELNS1_3gpuE0ELNS1_3repE0EEENS1_44radix_sort_block_sort_config_static_selectorELNS0_4arch9wavefront6targetE1EEEvSD_,comdat
.Lfunc_end448:
	.size	_ZN7rocprim17ROCPRIM_400000_NS6detail17trampoline_kernelINS0_13kernel_configILj256ELj4ELj4294967295EEENS1_37radix_sort_block_sort_config_selectorItNS0_10empty_typeEEEZNS1_21radix_sort_block_sortIS4_Lb0EPtS9_PS6_SA_NS0_19identity_decomposerEEE10hipError_tT1_T2_T3_T4_jRjT5_jjP12ihipStream_tbEUlT_E_NS1_11comp_targetILNS1_3genE0ELNS1_11target_archE4294967295ELNS1_3gpuE0ELNS1_3repE0EEENS1_44radix_sort_block_sort_config_static_selectorELNS0_4arch9wavefront6targetE1EEEvSD_, .Lfunc_end448-_ZN7rocprim17ROCPRIM_400000_NS6detail17trampoline_kernelINS0_13kernel_configILj256ELj4ELj4294967295EEENS1_37radix_sort_block_sort_config_selectorItNS0_10empty_typeEEEZNS1_21radix_sort_block_sortIS4_Lb0EPtS9_PS6_SA_NS0_19identity_decomposerEEE10hipError_tT1_T2_T3_T4_jRjT5_jjP12ihipStream_tbEUlT_E_NS1_11comp_targetILNS1_3genE0ELNS1_11target_archE4294967295ELNS1_3gpuE0ELNS1_3repE0EEENS1_44radix_sort_block_sort_config_static_selectorELNS0_4arch9wavefront6targetE1EEEvSD_
                                        ; -- End function
	.section	.AMDGPU.csdata,"",@progbits
; Kernel info:
; codeLenInByte = 0
; NumSgprs: 4
; NumVgprs: 0
; NumAgprs: 0
; TotalNumVgprs: 0
; ScratchSize: 0
; MemoryBound: 0
; FloatMode: 240
; IeeeMode: 1
; LDSByteSize: 0 bytes/workgroup (compile time only)
; SGPRBlocks: 0
; VGPRBlocks: 0
; NumSGPRsForWavesPerEU: 4
; NumVGPRsForWavesPerEU: 1
; AccumOffset: 4
; Occupancy: 8
; WaveLimiterHint : 0
; COMPUTE_PGM_RSRC2:SCRATCH_EN: 0
; COMPUTE_PGM_RSRC2:USER_SGPR: 6
; COMPUTE_PGM_RSRC2:TRAP_HANDLER: 0
; COMPUTE_PGM_RSRC2:TGID_X_EN: 1
; COMPUTE_PGM_RSRC2:TGID_Y_EN: 0
; COMPUTE_PGM_RSRC2:TGID_Z_EN: 0
; COMPUTE_PGM_RSRC2:TIDIG_COMP_CNT: 0
; COMPUTE_PGM_RSRC3_GFX90A:ACCUM_OFFSET: 0
; COMPUTE_PGM_RSRC3_GFX90A:TG_SPLIT: 0
	.section	.text._ZN7rocprim17ROCPRIM_400000_NS6detail17trampoline_kernelINS0_13kernel_configILj256ELj4ELj4294967295EEENS1_37radix_sort_block_sort_config_selectorItNS0_10empty_typeEEEZNS1_21radix_sort_block_sortIS4_Lb0EPtS9_PS6_SA_NS0_19identity_decomposerEEE10hipError_tT1_T2_T3_T4_jRjT5_jjP12ihipStream_tbEUlT_E_NS1_11comp_targetILNS1_3genE5ELNS1_11target_archE942ELNS1_3gpuE9ELNS1_3repE0EEENS1_44radix_sort_block_sort_config_static_selectorELNS0_4arch9wavefront6targetE1EEEvSD_,"axG",@progbits,_ZN7rocprim17ROCPRIM_400000_NS6detail17trampoline_kernelINS0_13kernel_configILj256ELj4ELj4294967295EEENS1_37radix_sort_block_sort_config_selectorItNS0_10empty_typeEEEZNS1_21radix_sort_block_sortIS4_Lb0EPtS9_PS6_SA_NS0_19identity_decomposerEEE10hipError_tT1_T2_T3_T4_jRjT5_jjP12ihipStream_tbEUlT_E_NS1_11comp_targetILNS1_3genE5ELNS1_11target_archE942ELNS1_3gpuE9ELNS1_3repE0EEENS1_44radix_sort_block_sort_config_static_selectorELNS0_4arch9wavefront6targetE1EEEvSD_,comdat
	.protected	_ZN7rocprim17ROCPRIM_400000_NS6detail17trampoline_kernelINS0_13kernel_configILj256ELj4ELj4294967295EEENS1_37radix_sort_block_sort_config_selectorItNS0_10empty_typeEEEZNS1_21radix_sort_block_sortIS4_Lb0EPtS9_PS6_SA_NS0_19identity_decomposerEEE10hipError_tT1_T2_T3_T4_jRjT5_jjP12ihipStream_tbEUlT_E_NS1_11comp_targetILNS1_3genE5ELNS1_11target_archE942ELNS1_3gpuE9ELNS1_3repE0EEENS1_44radix_sort_block_sort_config_static_selectorELNS0_4arch9wavefront6targetE1EEEvSD_ ; -- Begin function _ZN7rocprim17ROCPRIM_400000_NS6detail17trampoline_kernelINS0_13kernel_configILj256ELj4ELj4294967295EEENS1_37radix_sort_block_sort_config_selectorItNS0_10empty_typeEEEZNS1_21radix_sort_block_sortIS4_Lb0EPtS9_PS6_SA_NS0_19identity_decomposerEEE10hipError_tT1_T2_T3_T4_jRjT5_jjP12ihipStream_tbEUlT_E_NS1_11comp_targetILNS1_3genE5ELNS1_11target_archE942ELNS1_3gpuE9ELNS1_3repE0EEENS1_44radix_sort_block_sort_config_static_selectorELNS0_4arch9wavefront6targetE1EEEvSD_
	.globl	_ZN7rocprim17ROCPRIM_400000_NS6detail17trampoline_kernelINS0_13kernel_configILj256ELj4ELj4294967295EEENS1_37radix_sort_block_sort_config_selectorItNS0_10empty_typeEEEZNS1_21radix_sort_block_sortIS4_Lb0EPtS9_PS6_SA_NS0_19identity_decomposerEEE10hipError_tT1_T2_T3_T4_jRjT5_jjP12ihipStream_tbEUlT_E_NS1_11comp_targetILNS1_3genE5ELNS1_11target_archE942ELNS1_3gpuE9ELNS1_3repE0EEENS1_44radix_sort_block_sort_config_static_selectorELNS0_4arch9wavefront6targetE1EEEvSD_
	.p2align	8
	.type	_ZN7rocprim17ROCPRIM_400000_NS6detail17trampoline_kernelINS0_13kernel_configILj256ELj4ELj4294967295EEENS1_37radix_sort_block_sort_config_selectorItNS0_10empty_typeEEEZNS1_21radix_sort_block_sortIS4_Lb0EPtS9_PS6_SA_NS0_19identity_decomposerEEE10hipError_tT1_T2_T3_T4_jRjT5_jjP12ihipStream_tbEUlT_E_NS1_11comp_targetILNS1_3genE5ELNS1_11target_archE942ELNS1_3gpuE9ELNS1_3repE0EEENS1_44radix_sort_block_sort_config_static_selectorELNS0_4arch9wavefront6targetE1EEEvSD_,@function
_ZN7rocprim17ROCPRIM_400000_NS6detail17trampoline_kernelINS0_13kernel_configILj256ELj4ELj4294967295EEENS1_37radix_sort_block_sort_config_selectorItNS0_10empty_typeEEEZNS1_21radix_sort_block_sortIS4_Lb0EPtS9_PS6_SA_NS0_19identity_decomposerEEE10hipError_tT1_T2_T3_T4_jRjT5_jjP12ihipStream_tbEUlT_E_NS1_11comp_targetILNS1_3genE5ELNS1_11target_archE942ELNS1_3gpuE9ELNS1_3repE0EEENS1_44radix_sort_block_sort_config_static_selectorELNS0_4arch9wavefront6targetE1EEEvSD_: ; @_ZN7rocprim17ROCPRIM_400000_NS6detail17trampoline_kernelINS0_13kernel_configILj256ELj4ELj4294967295EEENS1_37radix_sort_block_sort_config_selectorItNS0_10empty_typeEEEZNS1_21radix_sort_block_sortIS4_Lb0EPtS9_PS6_SA_NS0_19identity_decomposerEEE10hipError_tT1_T2_T3_T4_jRjT5_jjP12ihipStream_tbEUlT_E_NS1_11comp_targetILNS1_3genE5ELNS1_11target_archE942ELNS1_3gpuE9ELNS1_3repE0EEENS1_44radix_sort_block_sort_config_static_selectorELNS0_4arch9wavefront6targetE1EEEvSD_
; %bb.0:
	.section	.rodata,"a",@progbits
	.p2align	6, 0x0
	.amdhsa_kernel _ZN7rocprim17ROCPRIM_400000_NS6detail17trampoline_kernelINS0_13kernel_configILj256ELj4ELj4294967295EEENS1_37radix_sort_block_sort_config_selectorItNS0_10empty_typeEEEZNS1_21radix_sort_block_sortIS4_Lb0EPtS9_PS6_SA_NS0_19identity_decomposerEEE10hipError_tT1_T2_T3_T4_jRjT5_jjP12ihipStream_tbEUlT_E_NS1_11comp_targetILNS1_3genE5ELNS1_11target_archE942ELNS1_3gpuE9ELNS1_3repE0EEENS1_44radix_sort_block_sort_config_static_selectorELNS0_4arch9wavefront6targetE1EEEvSD_
		.amdhsa_group_segment_fixed_size 0
		.amdhsa_private_segment_fixed_size 0
		.amdhsa_kernarg_size 48
		.amdhsa_user_sgpr_count 6
		.amdhsa_user_sgpr_private_segment_buffer 1
		.amdhsa_user_sgpr_dispatch_ptr 0
		.amdhsa_user_sgpr_queue_ptr 0
		.amdhsa_user_sgpr_kernarg_segment_ptr 1
		.amdhsa_user_sgpr_dispatch_id 0
		.amdhsa_user_sgpr_flat_scratch_init 0
		.amdhsa_user_sgpr_kernarg_preload_length 0
		.amdhsa_user_sgpr_kernarg_preload_offset 0
		.amdhsa_user_sgpr_private_segment_size 0
		.amdhsa_uses_dynamic_stack 0
		.amdhsa_system_sgpr_private_segment_wavefront_offset 0
		.amdhsa_system_sgpr_workgroup_id_x 1
		.amdhsa_system_sgpr_workgroup_id_y 0
		.amdhsa_system_sgpr_workgroup_id_z 0
		.amdhsa_system_sgpr_workgroup_info 0
		.amdhsa_system_vgpr_workitem_id 0
		.amdhsa_next_free_vgpr 1
		.amdhsa_next_free_sgpr 0
		.amdhsa_accum_offset 4
		.amdhsa_reserve_vcc 0
		.amdhsa_reserve_flat_scratch 0
		.amdhsa_float_round_mode_32 0
		.amdhsa_float_round_mode_16_64 0
		.amdhsa_float_denorm_mode_32 3
		.amdhsa_float_denorm_mode_16_64 3
		.amdhsa_dx10_clamp 1
		.amdhsa_ieee_mode 1
		.amdhsa_fp16_overflow 0
		.amdhsa_tg_split 0
		.amdhsa_exception_fp_ieee_invalid_op 0
		.amdhsa_exception_fp_denorm_src 0
		.amdhsa_exception_fp_ieee_div_zero 0
		.amdhsa_exception_fp_ieee_overflow 0
		.amdhsa_exception_fp_ieee_underflow 0
		.amdhsa_exception_fp_ieee_inexact 0
		.amdhsa_exception_int_div_zero 0
	.end_amdhsa_kernel
	.section	.text._ZN7rocprim17ROCPRIM_400000_NS6detail17trampoline_kernelINS0_13kernel_configILj256ELj4ELj4294967295EEENS1_37radix_sort_block_sort_config_selectorItNS0_10empty_typeEEEZNS1_21radix_sort_block_sortIS4_Lb0EPtS9_PS6_SA_NS0_19identity_decomposerEEE10hipError_tT1_T2_T3_T4_jRjT5_jjP12ihipStream_tbEUlT_E_NS1_11comp_targetILNS1_3genE5ELNS1_11target_archE942ELNS1_3gpuE9ELNS1_3repE0EEENS1_44radix_sort_block_sort_config_static_selectorELNS0_4arch9wavefront6targetE1EEEvSD_,"axG",@progbits,_ZN7rocprim17ROCPRIM_400000_NS6detail17trampoline_kernelINS0_13kernel_configILj256ELj4ELj4294967295EEENS1_37radix_sort_block_sort_config_selectorItNS0_10empty_typeEEEZNS1_21radix_sort_block_sortIS4_Lb0EPtS9_PS6_SA_NS0_19identity_decomposerEEE10hipError_tT1_T2_T3_T4_jRjT5_jjP12ihipStream_tbEUlT_E_NS1_11comp_targetILNS1_3genE5ELNS1_11target_archE942ELNS1_3gpuE9ELNS1_3repE0EEENS1_44radix_sort_block_sort_config_static_selectorELNS0_4arch9wavefront6targetE1EEEvSD_,comdat
.Lfunc_end449:
	.size	_ZN7rocprim17ROCPRIM_400000_NS6detail17trampoline_kernelINS0_13kernel_configILj256ELj4ELj4294967295EEENS1_37radix_sort_block_sort_config_selectorItNS0_10empty_typeEEEZNS1_21radix_sort_block_sortIS4_Lb0EPtS9_PS6_SA_NS0_19identity_decomposerEEE10hipError_tT1_T2_T3_T4_jRjT5_jjP12ihipStream_tbEUlT_E_NS1_11comp_targetILNS1_3genE5ELNS1_11target_archE942ELNS1_3gpuE9ELNS1_3repE0EEENS1_44radix_sort_block_sort_config_static_selectorELNS0_4arch9wavefront6targetE1EEEvSD_, .Lfunc_end449-_ZN7rocprim17ROCPRIM_400000_NS6detail17trampoline_kernelINS0_13kernel_configILj256ELj4ELj4294967295EEENS1_37radix_sort_block_sort_config_selectorItNS0_10empty_typeEEEZNS1_21radix_sort_block_sortIS4_Lb0EPtS9_PS6_SA_NS0_19identity_decomposerEEE10hipError_tT1_T2_T3_T4_jRjT5_jjP12ihipStream_tbEUlT_E_NS1_11comp_targetILNS1_3genE5ELNS1_11target_archE942ELNS1_3gpuE9ELNS1_3repE0EEENS1_44radix_sort_block_sort_config_static_selectorELNS0_4arch9wavefront6targetE1EEEvSD_
                                        ; -- End function
	.section	.AMDGPU.csdata,"",@progbits
; Kernel info:
; codeLenInByte = 0
; NumSgprs: 4
; NumVgprs: 0
; NumAgprs: 0
; TotalNumVgprs: 0
; ScratchSize: 0
; MemoryBound: 0
; FloatMode: 240
; IeeeMode: 1
; LDSByteSize: 0 bytes/workgroup (compile time only)
; SGPRBlocks: 0
; VGPRBlocks: 0
; NumSGPRsForWavesPerEU: 4
; NumVGPRsForWavesPerEU: 1
; AccumOffset: 4
; Occupancy: 8
; WaveLimiterHint : 0
; COMPUTE_PGM_RSRC2:SCRATCH_EN: 0
; COMPUTE_PGM_RSRC2:USER_SGPR: 6
; COMPUTE_PGM_RSRC2:TRAP_HANDLER: 0
; COMPUTE_PGM_RSRC2:TGID_X_EN: 1
; COMPUTE_PGM_RSRC2:TGID_Y_EN: 0
; COMPUTE_PGM_RSRC2:TGID_Z_EN: 0
; COMPUTE_PGM_RSRC2:TIDIG_COMP_CNT: 0
; COMPUTE_PGM_RSRC3_GFX90A:ACCUM_OFFSET: 0
; COMPUTE_PGM_RSRC3_GFX90A:TG_SPLIT: 0
	.section	.text._ZN7rocprim17ROCPRIM_400000_NS6detail17trampoline_kernelINS0_13kernel_configILj256ELj4ELj4294967295EEENS1_37radix_sort_block_sort_config_selectorItNS0_10empty_typeEEEZNS1_21radix_sort_block_sortIS4_Lb0EPtS9_PS6_SA_NS0_19identity_decomposerEEE10hipError_tT1_T2_T3_T4_jRjT5_jjP12ihipStream_tbEUlT_E_NS1_11comp_targetILNS1_3genE4ELNS1_11target_archE910ELNS1_3gpuE8ELNS1_3repE0EEENS1_44radix_sort_block_sort_config_static_selectorELNS0_4arch9wavefront6targetE1EEEvSD_,"axG",@progbits,_ZN7rocprim17ROCPRIM_400000_NS6detail17trampoline_kernelINS0_13kernel_configILj256ELj4ELj4294967295EEENS1_37radix_sort_block_sort_config_selectorItNS0_10empty_typeEEEZNS1_21radix_sort_block_sortIS4_Lb0EPtS9_PS6_SA_NS0_19identity_decomposerEEE10hipError_tT1_T2_T3_T4_jRjT5_jjP12ihipStream_tbEUlT_E_NS1_11comp_targetILNS1_3genE4ELNS1_11target_archE910ELNS1_3gpuE8ELNS1_3repE0EEENS1_44radix_sort_block_sort_config_static_selectorELNS0_4arch9wavefront6targetE1EEEvSD_,comdat
	.protected	_ZN7rocprim17ROCPRIM_400000_NS6detail17trampoline_kernelINS0_13kernel_configILj256ELj4ELj4294967295EEENS1_37radix_sort_block_sort_config_selectorItNS0_10empty_typeEEEZNS1_21radix_sort_block_sortIS4_Lb0EPtS9_PS6_SA_NS0_19identity_decomposerEEE10hipError_tT1_T2_T3_T4_jRjT5_jjP12ihipStream_tbEUlT_E_NS1_11comp_targetILNS1_3genE4ELNS1_11target_archE910ELNS1_3gpuE8ELNS1_3repE0EEENS1_44radix_sort_block_sort_config_static_selectorELNS0_4arch9wavefront6targetE1EEEvSD_ ; -- Begin function _ZN7rocprim17ROCPRIM_400000_NS6detail17trampoline_kernelINS0_13kernel_configILj256ELj4ELj4294967295EEENS1_37radix_sort_block_sort_config_selectorItNS0_10empty_typeEEEZNS1_21radix_sort_block_sortIS4_Lb0EPtS9_PS6_SA_NS0_19identity_decomposerEEE10hipError_tT1_T2_T3_T4_jRjT5_jjP12ihipStream_tbEUlT_E_NS1_11comp_targetILNS1_3genE4ELNS1_11target_archE910ELNS1_3gpuE8ELNS1_3repE0EEENS1_44radix_sort_block_sort_config_static_selectorELNS0_4arch9wavefront6targetE1EEEvSD_
	.globl	_ZN7rocprim17ROCPRIM_400000_NS6detail17trampoline_kernelINS0_13kernel_configILj256ELj4ELj4294967295EEENS1_37radix_sort_block_sort_config_selectorItNS0_10empty_typeEEEZNS1_21radix_sort_block_sortIS4_Lb0EPtS9_PS6_SA_NS0_19identity_decomposerEEE10hipError_tT1_T2_T3_T4_jRjT5_jjP12ihipStream_tbEUlT_E_NS1_11comp_targetILNS1_3genE4ELNS1_11target_archE910ELNS1_3gpuE8ELNS1_3repE0EEENS1_44radix_sort_block_sort_config_static_selectorELNS0_4arch9wavefront6targetE1EEEvSD_
	.p2align	8
	.type	_ZN7rocprim17ROCPRIM_400000_NS6detail17trampoline_kernelINS0_13kernel_configILj256ELj4ELj4294967295EEENS1_37radix_sort_block_sort_config_selectorItNS0_10empty_typeEEEZNS1_21radix_sort_block_sortIS4_Lb0EPtS9_PS6_SA_NS0_19identity_decomposerEEE10hipError_tT1_T2_T3_T4_jRjT5_jjP12ihipStream_tbEUlT_E_NS1_11comp_targetILNS1_3genE4ELNS1_11target_archE910ELNS1_3gpuE8ELNS1_3repE0EEENS1_44radix_sort_block_sort_config_static_selectorELNS0_4arch9wavefront6targetE1EEEvSD_,@function
_ZN7rocprim17ROCPRIM_400000_NS6detail17trampoline_kernelINS0_13kernel_configILj256ELj4ELj4294967295EEENS1_37radix_sort_block_sort_config_selectorItNS0_10empty_typeEEEZNS1_21radix_sort_block_sortIS4_Lb0EPtS9_PS6_SA_NS0_19identity_decomposerEEE10hipError_tT1_T2_T3_T4_jRjT5_jjP12ihipStream_tbEUlT_E_NS1_11comp_targetILNS1_3genE4ELNS1_11target_archE910ELNS1_3gpuE8ELNS1_3repE0EEENS1_44radix_sort_block_sort_config_static_selectorELNS0_4arch9wavefront6targetE1EEEvSD_: ; @_ZN7rocprim17ROCPRIM_400000_NS6detail17trampoline_kernelINS0_13kernel_configILj256ELj4ELj4294967295EEENS1_37radix_sort_block_sort_config_selectorItNS0_10empty_typeEEEZNS1_21radix_sort_block_sortIS4_Lb0EPtS9_PS6_SA_NS0_19identity_decomposerEEE10hipError_tT1_T2_T3_T4_jRjT5_jjP12ihipStream_tbEUlT_E_NS1_11comp_targetILNS1_3genE4ELNS1_11target_archE910ELNS1_3gpuE8ELNS1_3repE0EEENS1_44radix_sort_block_sort_config_static_selectorELNS0_4arch9wavefront6targetE1EEEvSD_
; %bb.0:
	s_load_dword s7, s[4:5], 0x20
	s_load_dwordx4 s[28:31], s[4:5], 0x0
	s_lshl_b32 s0, s6, 10
	s_mov_b32 s1, 0
	v_mbcnt_lo_u32_b32 v1, -1, 0
	s_waitcnt lgkmcnt(0)
	s_lshr_b32 s2, s7, 10
	s_cmp_lg_u32 s6, s2
	s_cselect_b64 s[34:35], -1, 0
	s_lshl_b64 s[36:37], s[0:1], 1
	v_mbcnt_hi_u32_b32 v1, -1, v1
	v_and_b32_e32 v4, 0x3ff, v0
	s_add_u32 s1, s28, s36
	v_and_b32_e32 v2, 63, v1
	s_addc_u32 s3, s29, s37
	v_lshlrev_b32_e32 v5, 2, v4
	v_lshlrev_b32_e32 v6, 1, v2
	v_and_b32_e32 v3, 0x300, v5
	v_mov_b32_e32 v7, s3
	v_add_co_u32_e32 v6, vcc, s1, v6
	v_addc_co_u32_e32 v7, vcc, 0, v7, vcc
	v_lshlrev_b32_e32 v8, 1, v3
	v_add_co_u32_e32 v6, vcc, v6, v8
	s_cmp_eq_u32 s6, s2
	v_addc_co_u32_e32 v7, vcc, 0, v7, vcc
	v_or_b32_e32 v9, v2, v3
	s_cbranch_scc1 .LBB450_2
; %bb.1:
	global_load_ushort v13, v[6:7], off offset:256
	global_load_ushort v14, v[6:7], off offset:384
	global_load_ushort v15, v[6:7], off
	global_load_ushort v16, v[6:7], off offset:128
	s_mov_b32 s1, 0x5040100
	v_or_b32_e32 v12, v2, v3
	v_or_b32_e32 v8, 64, v12
	;; [unrolled: 1-line block ×4, first 2 shown]
	s_waitcnt vmcnt(2)
	v_perm_b32 v3, v14, v13, s1
	s_waitcnt vmcnt(0)
	v_perm_b32 v2, v16, v15, s1
	s_load_dwordx2 s[28:29], s[4:5], 0x28
	s_sub_i32 s33, s7, s0
	s_cbranch_execz .LBB450_3
	s_branch .LBB450_12
.LBB450_2:
                                        ; implicit-def: $vgpr2_vgpr3
                                        ; implicit-def: $vgpr12
                                        ; implicit-def: $vgpr8
                                        ; implicit-def: $vgpr10
                                        ; implicit-def: $vgpr11
	s_load_dwordx2 s[28:29], s[4:5], 0x28
	s_sub_i32 s33, s7, s0
.LBB450_3:
	s_mov_b32 s0, -1
	s_mov_b32 s1, s0
	v_cmp_gt_u32_e32 vcc, s33, v9
	v_pk_mov_b32 v[2:3], s[0:1], s[0:1] op_sel:[0,1]
	s_and_saveexec_b64 s[0:1], vcc
	s_cbranch_execz .LBB450_5
; %bb.4:
	global_load_ushort v2, v[6:7], off
	v_mov_b32_e32 v3, 0x5040100
	s_waitcnt vmcnt(0)
	v_perm_b32 v2, -1, v2, v3
	v_mov_b32_e32 v3, -1
.LBB450_5:
	s_or_b64 exec, exec, s[0:1]
	v_or_b32_e32 v8, 64, v9
	v_cmp_gt_u32_e32 vcc, s33, v8
	s_and_saveexec_b64 s[0:1], vcc
	s_cbranch_execz .LBB450_7
; %bb.6:
	global_load_ushort v10, v[6:7], off offset:128
	s_mov_b32 s2, 0x5040100
	s_waitcnt vmcnt(0)
	v_perm_b32 v2, v10, v2, s2
.LBB450_7:
	s_or_b64 exec, exec, s[0:1]
	v_or_b32_e32 v10, 0x80, v9
	v_cmp_gt_u32_e32 vcc, s33, v10
	s_and_saveexec_b64 s[0:1], vcc
	s_cbranch_execz .LBB450_9
; %bb.8:
	global_load_ushort v11, v[6:7], off offset:256
	s_mov_b32 s2, 0xffff
	s_waitcnt vmcnt(0)
	v_bfi_b32 v3, s2, v11, v3
.LBB450_9:
	s_or_b64 exec, exec, s[0:1]
	v_or_b32_e32 v11, 0xc0, v9
	v_cmp_gt_u32_e32 vcc, s33, v11
	s_and_saveexec_b64 s[0:1], vcc
	s_cbranch_execz .LBB450_11
; %bb.10:
	global_load_ushort v6, v[6:7], off offset:384
	s_mov_b32 s2, 0x5040100
	s_waitcnt vmcnt(0)
	v_perm_b32 v3, v6, v3, s2
.LBB450_11:
	s_or_b64 exec, exec, s[0:1]
	v_mov_b32_e32 v12, v9
.LBB450_12:
	s_load_dword s2, s[4:5], 0x3c
	s_waitcnt lgkmcnt(0)
	s_add_i32 s38, s29, s28
	s_getpc_b64 s[0:1]
	s_add_u32 s0, s0, _ZN7rocprim17ROCPRIM_400000_NS16block_radix_sortItLj256ELj4ENS0_10empty_typeELj1ELj1ELj0ELNS0_26block_radix_rank_algorithmE1ELNS0_18block_padding_hintE2ELNS0_4arch9wavefront6targetE1EE19radix_bits_per_passE@rel32@lo+4
	s_addc_u32 s1, s1, _ZN7rocprim17ROCPRIM_400000_NS16block_radix_sortItLj256ELj4ENS0_10empty_typeELj1ELj1ELj0ELNS0_26block_radix_rank_algorithmE1ELNS0_18block_padding_hintE2ELNS0_4arch9wavefront6targetE1EE19radix_bits_per_passE@rel32@hi+12
	s_load_dword s39, s[0:1], 0x0
	v_bfe_u32 v6, v0, 10, 10
	s_lshr_b32 s0, s2, 16
	v_bfe_u32 v0, v0, 20, 10
	s_and_b32 s1, s2, 0xffff
	v_mad_u32_u24 v0, v0, s0, v6
	v_mad_u64_u32 v[6:7], s[0:1], v0, s1, v[4:5]
	v_and_b32_e32 v0, 15, v1
	v_cmp_eq_u32_e64 s[0:1], 0, v0
	v_cmp_lt_u32_e64 s[2:3], 1, v0
	v_cmp_lt_u32_e64 s[4:5], 3, v0
	;; [unrolled: 1-line block ×3, first 2 shown]
	v_and_b32_e32 v0, 16, v1
	v_cmp_eq_u32_e64 s[8:9], 0, v0
	v_and_b32_e32 v0, 0x3c0, v4
	v_min_u32_e32 v0, 0xc0, v0
	v_or_b32_e32 v0, 63, v0
	v_lshrrev_b32_e32 v14, 6, v6
	v_cmp_eq_u32_e64 s[12:13], v0, v4
	v_add_u32_e32 v0, -1, v1
	v_and_b32_e32 v6, 64, v1
	v_cmp_lt_i32_e32 vcc, v0, v6
	v_cndmask_b32_e32 v0, v0, v1, vcc
	s_mov_b32 s26, 0
	v_lshlrev_b32_e32 v15, 2, v0
	v_lshrrev_b32_e32 v0, 4, v4
	v_lshlrev_b32_e32 v5, 2, v5
	v_cmp_lt_u32_e64 s[10:11], 31, v1
	v_cmp_eq_u32_e64 s[18:19], 0, v1
	v_and_b32_e32 v16, 60, v0
	v_mul_i32_i24_e32 v0, -12, v4
	v_and_b32_e32 v1, 3, v1
	s_mov_b32 s27, s26
	s_mov_b32 s40, s26
	s_mov_b32 s41, s26
	v_cmp_gt_u32_e64 s[14:15], 4, v4
	v_cmp_lt_u32_e64 s[16:17], 63, v4
	v_cmp_eq_u32_e64 s[20:21], 0, v4
	v_cmp_eq_u32_e64 s[22:23], 0, v1
	v_cmp_lt_u32_e64 s[24:25], 1, v1
	v_add_u32_e32 v17, -4, v16
	v_lshlrev_b32_e32 v18, 1, v12
	v_lshlrev_b32_e32 v19, 1, v8
	;; [unrolled: 1-line block ×4, first 2 shown]
	v_pk_mov_b32 v[6:7], s[26:27], s[26:27] op_sel:[0,1]
	v_pk_mov_b32 v[8:9], s[40:41], s[40:41] op_sel:[0,1]
	v_add_u32_e32 v22, v5, v0
	s_mov_b32 s40, 0x5040100
	v_mov_b32_e32 v12, 0
	s_branch .LBB450_14
.LBB450_13:                             ;   in Loop: Header=BB450_14 Depth=1
	s_barrier
	ds_write_b16 v0, v10
	ds_write_b16 v1, v24
	;; [unrolled: 1-line block ×4, first 2 shown]
	s_waitcnt lgkmcnt(0)
	s_barrier
	ds_read_u16 v2, v20
	ds_read_u16 v3, v21
	;; [unrolled: 1-line block ×4, first 2 shown]
	s_add_i32 s29, s29, -8
	s_waitcnt lgkmcnt(2)
	v_perm_b32 v3, v3, v2, s40
	s_waitcnt lgkmcnt(0)
	v_perm_b32 v2, v26, v25, s40
	s_barrier
	s_cbranch_execz .LBB450_30
.LBB450_14:                             ; =>This Inner Loop Header: Depth=1
	s_waitcnt lgkmcnt(0)
	s_min_u32 s26, s39, s29
	v_pk_mov_b32 v[10:11], v[2:3], v[2:3] op_sel:[0,1]
	s_lshl_b32 s26, -1, s26
	s_not_b32 s41, s26
	v_lshrrev_b32_sdwa v0, s28, v10 dst_sel:DWORD dst_unused:UNUSED_PAD src0_sel:DWORD src1_sel:WORD_0
	v_and_b32_e32 v0, s41, v0
	v_lshl_add_u32 v1, v0, 2, v14
	v_lshl_add_u32 v23, v1, 2, 16
	v_and_b32_e32 v1, 1, v0
	v_add_co_u32_e32 v2, vcc, -1, v1
	v_addc_co_u32_e64 v3, s[26:27], 0, -1, vcc
	v_cmp_ne_u32_e32 vcc, 0, v1
	v_lshlrev_b32_e32 v13, 30, v0
	v_xor_b32_e32 v1, vcc_hi, v3
	v_not_b32_e32 v3, v13
	v_xor_b32_e32 v2, vcc_lo, v2
	v_cmp_gt_i64_e32 vcc, 0, v[12:13]
	v_ashrrev_i32_e32 v3, 31, v3
	v_and_b32_e32 v1, exec_hi, v1
	v_xor_b32_e32 v13, vcc_hi, v3
	v_and_b32_e32 v2, exec_lo, v2
	v_xor_b32_e32 v3, vcc_lo, v3
	v_and_b32_e32 v1, v1, v13
	v_lshlrev_b32_e32 v13, 29, v0
	v_and_b32_e32 v2, v2, v3
	v_not_b32_e32 v3, v13
	v_cmp_gt_i64_e32 vcc, 0, v[12:13]
	v_ashrrev_i32_e32 v3, 31, v3
	v_xor_b32_e32 v13, vcc_hi, v3
	v_xor_b32_e32 v3, vcc_lo, v3
	v_and_b32_e32 v1, v1, v13
	v_lshlrev_b32_e32 v13, 28, v0
	v_and_b32_e32 v2, v2, v3
	v_not_b32_e32 v3, v13
	v_cmp_gt_i64_e32 vcc, 0, v[12:13]
	v_ashrrev_i32_e32 v3, 31, v3
	v_xor_b32_e32 v13, vcc_hi, v3
	;; [unrolled: 8-line block ×5, first 2 shown]
	v_and_b32_e32 v1, v1, v13
	v_lshlrev_b32_e32 v13, 24, v0
	v_not_b32_e32 v0, v13
	v_xor_b32_e32 v3, vcc_lo, v3
	v_cmp_gt_i64_e32 vcc, 0, v[12:13]
	v_ashrrev_i32_e32 v0, 31, v0
	v_and_b32_e32 v2, v2, v3
	v_xor_b32_e32 v3, vcc_hi, v0
	v_xor_b32_e32 v0, vcc_lo, v0
	v_and_b32_e32 v0, v2, v0
	v_and_b32_e32 v1, v1, v3
	v_mbcnt_lo_u32_b32 v2, v0, 0
	v_mbcnt_hi_u32_b32 v25, v1, v2
	v_cmp_eq_u32_e32 vcc, 0, v25
	v_cmp_ne_u64_e64 s[26:27], 0, v[0:1]
	s_and_b64 s[42:43], s[26:27], vcc
	ds_write2_b64 v5, v[6:7], v[8:9] offset0:2 offset1:3
	s_waitcnt lgkmcnt(0)
	s_barrier
	s_waitcnt lgkmcnt(0)
	; wave barrier
	s_and_saveexec_b64 s[26:27], s[42:43]
	s_cbranch_execz .LBB450_16
; %bb.15:                               ;   in Loop: Header=BB450_14 Depth=1
	v_bcnt_u32_b32 v0, v0, 0
	v_bcnt_u32_b32 v0, v1, v0
	ds_write_b32 v23, v0
.LBB450_16:                             ;   in Loop: Header=BB450_14 Depth=1
	s_or_b64 exec, exec, s[26:27]
	v_lshrrev_b32_e32 v24, 16, v10
	v_lshrrev_b32_e32 v0, s28, v24
	v_and_b32_e32 v0, s41, v0
	v_lshlrev_b32_e32 v1, 2, v0
	v_add_lshl_u32 v1, v1, v14, 2
	; wave barrier
	v_add_u32_e32 v27, 16, v1
	ds_read_b32 v26, v1 offset:16
	v_and_b32_e32 v1, 1, v0
	v_add_co_u32_e32 v2, vcc, -1, v1
	v_addc_co_u32_e64 v3, s[26:27], 0, -1, vcc
	v_cmp_ne_u32_e32 vcc, 0, v1
	v_lshlrev_b32_e32 v13, 30, v0
	v_xor_b32_e32 v1, vcc_hi, v3
	v_not_b32_e32 v3, v13
	v_xor_b32_e32 v2, vcc_lo, v2
	v_cmp_gt_i64_e32 vcc, 0, v[12:13]
	v_ashrrev_i32_e32 v3, 31, v3
	v_and_b32_e32 v1, exec_hi, v1
	v_xor_b32_e32 v13, vcc_hi, v3
	v_and_b32_e32 v2, exec_lo, v2
	v_xor_b32_e32 v3, vcc_lo, v3
	v_and_b32_e32 v1, v1, v13
	v_lshlrev_b32_e32 v13, 29, v0
	v_and_b32_e32 v2, v2, v3
	v_not_b32_e32 v3, v13
	v_cmp_gt_i64_e32 vcc, 0, v[12:13]
	v_ashrrev_i32_e32 v3, 31, v3
	v_xor_b32_e32 v13, vcc_hi, v3
	v_xor_b32_e32 v3, vcc_lo, v3
	v_and_b32_e32 v1, v1, v13
	v_lshlrev_b32_e32 v13, 28, v0
	v_and_b32_e32 v2, v2, v3
	v_not_b32_e32 v3, v13
	v_cmp_gt_i64_e32 vcc, 0, v[12:13]
	v_ashrrev_i32_e32 v3, 31, v3
	v_xor_b32_e32 v13, vcc_hi, v3
	;; [unrolled: 8-line block ×5, first 2 shown]
	v_and_b32_e32 v1, v1, v13
	v_lshlrev_b32_e32 v13, 24, v0
	v_not_b32_e32 v0, v13
	v_xor_b32_e32 v3, vcc_lo, v3
	v_cmp_gt_i64_e32 vcc, 0, v[12:13]
	v_ashrrev_i32_e32 v0, 31, v0
	v_and_b32_e32 v2, v2, v3
	v_xor_b32_e32 v3, vcc_hi, v0
	v_xor_b32_e32 v0, vcc_lo, v0
	v_and_b32_e32 v0, v2, v0
	v_and_b32_e32 v1, v1, v3
	v_mbcnt_lo_u32_b32 v2, v0, 0
	v_mbcnt_hi_u32_b32 v28, v1, v2
	v_cmp_eq_u32_e32 vcc, 0, v28
	v_cmp_ne_u64_e64 s[26:27], 0, v[0:1]
	s_and_b64 s[42:43], s[26:27], vcc
	; wave barrier
	s_and_saveexec_b64 s[26:27], s[42:43]
	s_cbranch_execz .LBB450_18
; %bb.17:                               ;   in Loop: Header=BB450_14 Depth=1
	v_bcnt_u32_b32 v0, v0, 0
	v_bcnt_u32_b32 v0, v1, v0
	s_waitcnt lgkmcnt(0)
	v_add_u32_e32 v0, v26, v0
	ds_write_b32 v27, v0
.LBB450_18:                             ;   in Loop: Header=BB450_14 Depth=1
	s_or_b64 exec, exec, s[26:27]
	v_lshrrev_b32_sdwa v0, s28, v11 dst_sel:DWORD dst_unused:UNUSED_PAD src0_sel:DWORD src1_sel:WORD_0
	v_and_b32_e32 v0, s41, v0
	v_lshlrev_b32_e32 v1, 2, v0
	v_add_lshl_u32 v1, v1, v14, 2
	; wave barrier
	v_add_u32_e32 v30, 16, v1
	ds_read_b32 v29, v1 offset:16
	v_and_b32_e32 v1, 1, v0
	v_add_co_u32_e32 v2, vcc, -1, v1
	v_addc_co_u32_e64 v3, s[26:27], 0, -1, vcc
	v_cmp_ne_u32_e32 vcc, 0, v1
	v_lshlrev_b32_e32 v13, 30, v0
	v_xor_b32_e32 v1, vcc_hi, v3
	v_not_b32_e32 v3, v13
	v_xor_b32_e32 v2, vcc_lo, v2
	v_cmp_gt_i64_e32 vcc, 0, v[12:13]
	v_ashrrev_i32_e32 v3, 31, v3
	v_and_b32_e32 v1, exec_hi, v1
	v_xor_b32_e32 v13, vcc_hi, v3
	v_and_b32_e32 v2, exec_lo, v2
	v_xor_b32_e32 v3, vcc_lo, v3
	v_and_b32_e32 v1, v1, v13
	v_lshlrev_b32_e32 v13, 29, v0
	v_and_b32_e32 v2, v2, v3
	v_not_b32_e32 v3, v13
	v_cmp_gt_i64_e32 vcc, 0, v[12:13]
	v_ashrrev_i32_e32 v3, 31, v3
	v_xor_b32_e32 v13, vcc_hi, v3
	v_xor_b32_e32 v3, vcc_lo, v3
	v_and_b32_e32 v1, v1, v13
	v_lshlrev_b32_e32 v13, 28, v0
	v_and_b32_e32 v2, v2, v3
	v_not_b32_e32 v3, v13
	v_cmp_gt_i64_e32 vcc, 0, v[12:13]
	v_ashrrev_i32_e32 v3, 31, v3
	v_xor_b32_e32 v13, vcc_hi, v3
	;; [unrolled: 8-line block ×5, first 2 shown]
	v_and_b32_e32 v1, v1, v13
	v_lshlrev_b32_e32 v13, 24, v0
	v_not_b32_e32 v0, v13
	v_xor_b32_e32 v3, vcc_lo, v3
	v_cmp_gt_i64_e32 vcc, 0, v[12:13]
	v_ashrrev_i32_e32 v0, 31, v0
	v_and_b32_e32 v2, v2, v3
	v_xor_b32_e32 v3, vcc_hi, v0
	v_xor_b32_e32 v0, vcc_lo, v0
	v_and_b32_e32 v0, v2, v0
	v_and_b32_e32 v1, v1, v3
	v_mbcnt_lo_u32_b32 v2, v0, 0
	v_mbcnt_hi_u32_b32 v32, v1, v2
	v_cmp_eq_u32_e32 vcc, 0, v32
	v_cmp_ne_u64_e64 s[26:27], 0, v[0:1]
	s_and_b64 s[42:43], s[26:27], vcc
	; wave barrier
	s_and_saveexec_b64 s[26:27], s[42:43]
	s_cbranch_execz .LBB450_20
; %bb.19:                               ;   in Loop: Header=BB450_14 Depth=1
	v_bcnt_u32_b32 v0, v0, 0
	v_bcnt_u32_b32 v0, v1, v0
	s_waitcnt lgkmcnt(0)
	v_add_u32_e32 v0, v29, v0
	ds_write_b32 v30, v0
.LBB450_20:                             ;   in Loop: Header=BB450_14 Depth=1
	s_or_b64 exec, exec, s[26:27]
	v_lshrrev_b32_e32 v31, 16, v11
	v_lshrrev_b32_e32 v0, s28, v31
	v_and_b32_e32 v0, s41, v0
	v_lshlrev_b32_e32 v1, 2, v0
	v_add_lshl_u32 v1, v1, v14, 2
	; wave barrier
	v_add_u32_e32 v34, 16, v1
	ds_read_b32 v33, v1 offset:16
	v_and_b32_e32 v1, 1, v0
	v_add_co_u32_e32 v2, vcc, -1, v1
	v_addc_co_u32_e64 v3, s[26:27], 0, -1, vcc
	v_cmp_ne_u32_e32 vcc, 0, v1
	v_lshlrev_b32_e32 v13, 30, v0
	v_xor_b32_e32 v1, vcc_hi, v3
	v_not_b32_e32 v3, v13
	v_xor_b32_e32 v2, vcc_lo, v2
	v_cmp_gt_i64_e32 vcc, 0, v[12:13]
	v_ashrrev_i32_e32 v3, 31, v3
	v_and_b32_e32 v1, exec_hi, v1
	v_xor_b32_e32 v13, vcc_hi, v3
	v_and_b32_e32 v2, exec_lo, v2
	v_xor_b32_e32 v3, vcc_lo, v3
	v_and_b32_e32 v1, v1, v13
	v_lshlrev_b32_e32 v13, 29, v0
	v_and_b32_e32 v2, v2, v3
	v_not_b32_e32 v3, v13
	v_cmp_gt_i64_e32 vcc, 0, v[12:13]
	v_ashrrev_i32_e32 v3, 31, v3
	v_xor_b32_e32 v13, vcc_hi, v3
	v_xor_b32_e32 v3, vcc_lo, v3
	v_and_b32_e32 v1, v1, v13
	v_lshlrev_b32_e32 v13, 28, v0
	v_and_b32_e32 v2, v2, v3
	v_not_b32_e32 v3, v13
	v_cmp_gt_i64_e32 vcc, 0, v[12:13]
	v_ashrrev_i32_e32 v3, 31, v3
	v_xor_b32_e32 v13, vcc_hi, v3
	;; [unrolled: 8-line block ×5, first 2 shown]
	v_and_b32_e32 v1, v1, v13
	v_lshlrev_b32_e32 v13, 24, v0
	v_not_b32_e32 v0, v13
	v_xor_b32_e32 v3, vcc_lo, v3
	v_cmp_gt_i64_e32 vcc, 0, v[12:13]
	v_ashrrev_i32_e32 v0, 31, v0
	v_and_b32_e32 v2, v2, v3
	v_xor_b32_e32 v3, vcc_hi, v0
	v_xor_b32_e32 v0, vcc_lo, v0
	v_and_b32_e32 v0, v2, v0
	v_and_b32_e32 v1, v1, v3
	v_mbcnt_lo_u32_b32 v2, v0, 0
	v_mbcnt_hi_u32_b32 v13, v1, v2
	v_cmp_eq_u32_e32 vcc, 0, v13
	v_cmp_ne_u64_e64 s[26:27], 0, v[0:1]
	s_and_b64 s[42:43], s[26:27], vcc
	; wave barrier
	s_and_saveexec_b64 s[26:27], s[42:43]
	s_cbranch_execz .LBB450_22
; %bb.21:                               ;   in Loop: Header=BB450_14 Depth=1
	v_bcnt_u32_b32 v0, v0, 0
	v_bcnt_u32_b32 v0, v1, v0
	s_waitcnt lgkmcnt(0)
	v_add_u32_e32 v0, v33, v0
	ds_write_b32 v34, v0
.LBB450_22:                             ;   in Loop: Header=BB450_14 Depth=1
	s_or_b64 exec, exec, s[26:27]
	; wave barrier
	s_waitcnt lgkmcnt(0)
	s_barrier
	ds_read2_b64 v[0:3], v5 offset0:2 offset1:3
	s_waitcnt lgkmcnt(0)
	v_add_u32_e32 v35, v1, v0
	v_add3_u32 v3, v35, v2, v3
	s_nop 1
	v_mov_b32_dpp v35, v3 row_shr:1 row_mask:0xf bank_mask:0xf
	v_cndmask_b32_e64 v35, v35, 0, s[0:1]
	v_add_u32_e32 v3, v35, v3
	s_nop 1
	v_mov_b32_dpp v35, v3 row_shr:2 row_mask:0xf bank_mask:0xf
	v_cndmask_b32_e64 v35, 0, v35, s[2:3]
	v_add_u32_e32 v3, v3, v35
	;; [unrolled: 4-line block ×4, first 2 shown]
	s_nop 1
	v_mov_b32_dpp v35, v3 row_bcast:15 row_mask:0xf bank_mask:0xf
	v_cndmask_b32_e64 v35, v35, 0, s[8:9]
	v_add_u32_e32 v3, v3, v35
	s_nop 1
	v_mov_b32_dpp v35, v3 row_bcast:31 row_mask:0xf bank_mask:0xf
	v_cndmask_b32_e64 v35, 0, v35, s[10:11]
	v_add_u32_e32 v3, v3, v35
	s_and_saveexec_b64 s[26:27], s[12:13]
	s_cbranch_execz .LBB450_24
; %bb.23:                               ;   in Loop: Header=BB450_14 Depth=1
	ds_write_b32 v16, v3
.LBB450_24:                             ;   in Loop: Header=BB450_14 Depth=1
	s_or_b64 exec, exec, s[26:27]
	s_waitcnt lgkmcnt(0)
	s_barrier
	s_and_saveexec_b64 s[26:27], s[14:15]
	s_cbranch_execz .LBB450_26
; %bb.25:                               ;   in Loop: Header=BB450_14 Depth=1
	ds_read_b32 v35, v22
	s_waitcnt lgkmcnt(0)
	s_nop 0
	v_mov_b32_dpp v36, v35 row_shr:1 row_mask:0xf bank_mask:0xf
	v_cndmask_b32_e64 v36, v36, 0, s[22:23]
	v_add_u32_e32 v35, v36, v35
	s_nop 1
	v_mov_b32_dpp v36, v35 row_shr:2 row_mask:0xf bank_mask:0xf
	v_cndmask_b32_e64 v36, 0, v36, s[24:25]
	v_add_u32_e32 v35, v35, v36
	ds_write_b32 v22, v35
.LBB450_26:                             ;   in Loop: Header=BB450_14 Depth=1
	s_or_b64 exec, exec, s[26:27]
	v_mov_b32_e32 v35, 0
	s_waitcnt lgkmcnt(0)
	s_barrier
	s_and_saveexec_b64 s[26:27], s[16:17]
	s_cbranch_execz .LBB450_28
; %bb.27:                               ;   in Loop: Header=BB450_14 Depth=1
	ds_read_b32 v35, v17
.LBB450_28:                             ;   in Loop: Header=BB450_14 Depth=1
	s_or_b64 exec, exec, s[26:27]
	s_waitcnt lgkmcnt(0)
	v_add_u32_e32 v3, v35, v3
	ds_bpermute_b32 v3, v15, v3
	s_add_i32 s28, s28, 8
	s_cmp_ge_u32 s28, s38
	s_waitcnt lgkmcnt(0)
	v_cndmask_b32_e64 v3, v3, v35, s[18:19]
	v_cndmask_b32_e64 v36, v3, 0, s[20:21]
	v_add_u32_e32 v37, v36, v0
	v_add_u32_e32 v0, v37, v1
	;; [unrolled: 1-line block ×3, first 2 shown]
	ds_write2_b64 v5, v[36:37], v[0:1] offset0:2 offset1:3
	s_waitcnt lgkmcnt(0)
	s_barrier
	ds_read_b32 v0, v23
	ds_read_b32 v1, v27
	;; [unrolled: 1-line block ×4, first 2 shown]
	v_lshlrev_b32_e32 v23, 1, v25
	s_waitcnt lgkmcnt(3)
	v_lshl_add_u32 v0, v0, 1, v23
	v_lshlrev_b32_e32 v23, 1, v28
	v_lshlrev_b32_e32 v25, 1, v26
	s_waitcnt lgkmcnt(2)
	v_lshlrev_b32_e32 v1, 1, v1
	v_add3_u32 v1, v23, v25, v1
	v_lshlrev_b32_e32 v23, 1, v32
	v_lshlrev_b32_e32 v25, 1, v29
	s_waitcnt lgkmcnt(1)
	v_lshlrev_b32_e32 v2, 1, v2
	v_add3_u32 v23, v23, v25, v2
	;; [unrolled: 5-line block ×3, first 2 shown]
	s_cbranch_scc0 .LBB450_13
; %bb.29:
                                        ; implicit-def: $sgpr28
                                        ; implicit-def: $vgpr2_vgpr3
.LBB450_30:
	s_barrier
	ds_write_b16 v0, v10
	ds_write_b16 v1, v24
	;; [unrolled: 1-line block ×4, first 2 shown]
	v_lshlrev_b32_e32 v0, 1, v4
	s_waitcnt lgkmcnt(0)
	s_barrier
	ds_read_u16 v6, v0
	ds_read_u16 v5, v0 offset:512
	ds_read_u16 v3, v0 offset:1024
	;; [unrolled: 1-line block ×3, first 2 shown]
	s_add_u32 s0, s30, s36
	s_addc_u32 s1, s31, s37
	v_mov_b32_e32 v1, s1
	v_add_co_u32_e64 v0, s[0:1], s0, v0
	s_andn2_b64 vcc, exec, s[34:35]
	v_addc_co_u32_e64 v1, s[0:1], 0, v1, s[0:1]
	s_cbranch_vccnz .LBB450_32
; %bb.31:
	s_mov_b64 s[0:1], -1
	s_waitcnt lgkmcnt(3)
	global_store_short v[0:1], v6, off
	s_waitcnt lgkmcnt(2)
	global_store_short v[0:1], v5, off offset:512
	s_waitcnt lgkmcnt(1)
	global_store_short v[0:1], v3, off offset:1024
	s_cbranch_execz .LBB450_33
	s_branch .LBB450_40
.LBB450_32:
	s_mov_b64 s[0:1], 0
.LBB450_33:
	v_cmp_gt_u32_e32 vcc, s33, v4
	s_and_saveexec_b64 s[0:1], vcc
	s_cbranch_execz .LBB450_35
; %bb.34:
	s_waitcnt lgkmcnt(3)
	global_store_short v[0:1], v6, off
.LBB450_35:
	s_or_b64 exec, exec, s[0:1]
	s_waitcnt lgkmcnt(3)
	v_add_u32_e32 v6, 0x100, v4
	v_cmp_gt_u32_e32 vcc, s33, v6
	s_and_saveexec_b64 s[0:1], vcc
	s_cbranch_execz .LBB450_37
; %bb.36:
	s_waitcnt lgkmcnt(2)
	global_store_short v[0:1], v5, off offset:512
.LBB450_37:
	s_or_b64 exec, exec, s[0:1]
	s_waitcnt lgkmcnt(2)
	v_add_u32_e32 v5, 0x200, v4
	v_cmp_gt_u32_e32 vcc, s33, v5
	s_and_saveexec_b64 s[0:1], vcc
	s_cbranch_execz .LBB450_39
; %bb.38:
	s_waitcnt lgkmcnt(1)
	global_store_short v[0:1], v3, off offset:1024
.LBB450_39:
	s_or_b64 exec, exec, s[0:1]
	s_waitcnt lgkmcnt(1)
	v_add_u32_e32 v3, 0x300, v4
	v_cmp_gt_u32_e64 s[0:1], s33, v3
.LBB450_40:
	s_and_saveexec_b64 s[2:3], s[0:1]
	s_cbranch_execnz .LBB450_42
; %bb.41:
	s_endpgm
.LBB450_42:
	s_waitcnt lgkmcnt(0)
	global_store_short v[0:1], v2, off offset:1536
	s_endpgm
	.section	.rodata,"a",@progbits
	.p2align	6, 0x0
	.amdhsa_kernel _ZN7rocprim17ROCPRIM_400000_NS6detail17trampoline_kernelINS0_13kernel_configILj256ELj4ELj4294967295EEENS1_37radix_sort_block_sort_config_selectorItNS0_10empty_typeEEEZNS1_21radix_sort_block_sortIS4_Lb0EPtS9_PS6_SA_NS0_19identity_decomposerEEE10hipError_tT1_T2_T3_T4_jRjT5_jjP12ihipStream_tbEUlT_E_NS1_11comp_targetILNS1_3genE4ELNS1_11target_archE910ELNS1_3gpuE8ELNS1_3repE0EEENS1_44radix_sort_block_sort_config_static_selectorELNS0_4arch9wavefront6targetE1EEEvSD_
		.amdhsa_group_segment_fixed_size 4112
		.amdhsa_private_segment_fixed_size 0
		.amdhsa_kernarg_size 304
		.amdhsa_user_sgpr_count 6
		.amdhsa_user_sgpr_private_segment_buffer 1
		.amdhsa_user_sgpr_dispatch_ptr 0
		.amdhsa_user_sgpr_queue_ptr 0
		.amdhsa_user_sgpr_kernarg_segment_ptr 1
		.amdhsa_user_sgpr_dispatch_id 0
		.amdhsa_user_sgpr_flat_scratch_init 0
		.amdhsa_user_sgpr_kernarg_preload_length 0
		.amdhsa_user_sgpr_kernarg_preload_offset 0
		.amdhsa_user_sgpr_private_segment_size 0
		.amdhsa_uses_dynamic_stack 0
		.amdhsa_system_sgpr_private_segment_wavefront_offset 0
		.amdhsa_system_sgpr_workgroup_id_x 1
		.amdhsa_system_sgpr_workgroup_id_y 0
		.amdhsa_system_sgpr_workgroup_id_z 0
		.amdhsa_system_sgpr_workgroup_info 0
		.amdhsa_system_vgpr_workitem_id 2
		.amdhsa_next_free_vgpr 38
		.amdhsa_next_free_sgpr 44
		.amdhsa_accum_offset 40
		.amdhsa_reserve_vcc 1
		.amdhsa_reserve_flat_scratch 0
		.amdhsa_float_round_mode_32 0
		.amdhsa_float_round_mode_16_64 0
		.amdhsa_float_denorm_mode_32 3
		.amdhsa_float_denorm_mode_16_64 3
		.amdhsa_dx10_clamp 1
		.amdhsa_ieee_mode 1
		.amdhsa_fp16_overflow 0
		.amdhsa_tg_split 0
		.amdhsa_exception_fp_ieee_invalid_op 0
		.amdhsa_exception_fp_denorm_src 0
		.amdhsa_exception_fp_ieee_div_zero 0
		.amdhsa_exception_fp_ieee_overflow 0
		.amdhsa_exception_fp_ieee_underflow 0
		.amdhsa_exception_fp_ieee_inexact 0
		.amdhsa_exception_int_div_zero 0
	.end_amdhsa_kernel
	.section	.text._ZN7rocprim17ROCPRIM_400000_NS6detail17trampoline_kernelINS0_13kernel_configILj256ELj4ELj4294967295EEENS1_37radix_sort_block_sort_config_selectorItNS0_10empty_typeEEEZNS1_21radix_sort_block_sortIS4_Lb0EPtS9_PS6_SA_NS0_19identity_decomposerEEE10hipError_tT1_T2_T3_T4_jRjT5_jjP12ihipStream_tbEUlT_E_NS1_11comp_targetILNS1_3genE4ELNS1_11target_archE910ELNS1_3gpuE8ELNS1_3repE0EEENS1_44radix_sort_block_sort_config_static_selectorELNS0_4arch9wavefront6targetE1EEEvSD_,"axG",@progbits,_ZN7rocprim17ROCPRIM_400000_NS6detail17trampoline_kernelINS0_13kernel_configILj256ELj4ELj4294967295EEENS1_37radix_sort_block_sort_config_selectorItNS0_10empty_typeEEEZNS1_21radix_sort_block_sortIS4_Lb0EPtS9_PS6_SA_NS0_19identity_decomposerEEE10hipError_tT1_T2_T3_T4_jRjT5_jjP12ihipStream_tbEUlT_E_NS1_11comp_targetILNS1_3genE4ELNS1_11target_archE910ELNS1_3gpuE8ELNS1_3repE0EEENS1_44radix_sort_block_sort_config_static_selectorELNS0_4arch9wavefront6targetE1EEEvSD_,comdat
.Lfunc_end450:
	.size	_ZN7rocprim17ROCPRIM_400000_NS6detail17trampoline_kernelINS0_13kernel_configILj256ELj4ELj4294967295EEENS1_37radix_sort_block_sort_config_selectorItNS0_10empty_typeEEEZNS1_21radix_sort_block_sortIS4_Lb0EPtS9_PS6_SA_NS0_19identity_decomposerEEE10hipError_tT1_T2_T3_T4_jRjT5_jjP12ihipStream_tbEUlT_E_NS1_11comp_targetILNS1_3genE4ELNS1_11target_archE910ELNS1_3gpuE8ELNS1_3repE0EEENS1_44radix_sort_block_sort_config_static_selectorELNS0_4arch9wavefront6targetE1EEEvSD_, .Lfunc_end450-_ZN7rocprim17ROCPRIM_400000_NS6detail17trampoline_kernelINS0_13kernel_configILj256ELj4ELj4294967295EEENS1_37radix_sort_block_sort_config_selectorItNS0_10empty_typeEEEZNS1_21radix_sort_block_sortIS4_Lb0EPtS9_PS6_SA_NS0_19identity_decomposerEEE10hipError_tT1_T2_T3_T4_jRjT5_jjP12ihipStream_tbEUlT_E_NS1_11comp_targetILNS1_3genE4ELNS1_11target_archE910ELNS1_3gpuE8ELNS1_3repE0EEENS1_44radix_sort_block_sort_config_static_selectorELNS0_4arch9wavefront6targetE1EEEvSD_
                                        ; -- End function
	.section	.AMDGPU.csdata,"",@progbits
; Kernel info:
; codeLenInByte = 3272
; NumSgprs: 48
; NumVgprs: 38
; NumAgprs: 0
; TotalNumVgprs: 38
; ScratchSize: 0
; MemoryBound: 0
; FloatMode: 240
; IeeeMode: 1
; LDSByteSize: 4112 bytes/workgroup (compile time only)
; SGPRBlocks: 5
; VGPRBlocks: 4
; NumSGPRsForWavesPerEU: 48
; NumVGPRsForWavesPerEU: 38
; AccumOffset: 40
; Occupancy: 8
; WaveLimiterHint : 1
; COMPUTE_PGM_RSRC2:SCRATCH_EN: 0
; COMPUTE_PGM_RSRC2:USER_SGPR: 6
; COMPUTE_PGM_RSRC2:TRAP_HANDLER: 0
; COMPUTE_PGM_RSRC2:TGID_X_EN: 1
; COMPUTE_PGM_RSRC2:TGID_Y_EN: 0
; COMPUTE_PGM_RSRC2:TGID_Z_EN: 0
; COMPUTE_PGM_RSRC2:TIDIG_COMP_CNT: 2
; COMPUTE_PGM_RSRC3_GFX90A:ACCUM_OFFSET: 9
; COMPUTE_PGM_RSRC3_GFX90A:TG_SPLIT: 0
	.section	.text._ZN7rocprim17ROCPRIM_400000_NS6detail17trampoline_kernelINS0_13kernel_configILj256ELj4ELj4294967295EEENS1_37radix_sort_block_sort_config_selectorItNS0_10empty_typeEEEZNS1_21radix_sort_block_sortIS4_Lb0EPtS9_PS6_SA_NS0_19identity_decomposerEEE10hipError_tT1_T2_T3_T4_jRjT5_jjP12ihipStream_tbEUlT_E_NS1_11comp_targetILNS1_3genE3ELNS1_11target_archE908ELNS1_3gpuE7ELNS1_3repE0EEENS1_44radix_sort_block_sort_config_static_selectorELNS0_4arch9wavefront6targetE1EEEvSD_,"axG",@progbits,_ZN7rocprim17ROCPRIM_400000_NS6detail17trampoline_kernelINS0_13kernel_configILj256ELj4ELj4294967295EEENS1_37radix_sort_block_sort_config_selectorItNS0_10empty_typeEEEZNS1_21radix_sort_block_sortIS4_Lb0EPtS9_PS6_SA_NS0_19identity_decomposerEEE10hipError_tT1_T2_T3_T4_jRjT5_jjP12ihipStream_tbEUlT_E_NS1_11comp_targetILNS1_3genE3ELNS1_11target_archE908ELNS1_3gpuE7ELNS1_3repE0EEENS1_44radix_sort_block_sort_config_static_selectorELNS0_4arch9wavefront6targetE1EEEvSD_,comdat
	.protected	_ZN7rocprim17ROCPRIM_400000_NS6detail17trampoline_kernelINS0_13kernel_configILj256ELj4ELj4294967295EEENS1_37radix_sort_block_sort_config_selectorItNS0_10empty_typeEEEZNS1_21radix_sort_block_sortIS4_Lb0EPtS9_PS6_SA_NS0_19identity_decomposerEEE10hipError_tT1_T2_T3_T4_jRjT5_jjP12ihipStream_tbEUlT_E_NS1_11comp_targetILNS1_3genE3ELNS1_11target_archE908ELNS1_3gpuE7ELNS1_3repE0EEENS1_44radix_sort_block_sort_config_static_selectorELNS0_4arch9wavefront6targetE1EEEvSD_ ; -- Begin function _ZN7rocprim17ROCPRIM_400000_NS6detail17trampoline_kernelINS0_13kernel_configILj256ELj4ELj4294967295EEENS1_37radix_sort_block_sort_config_selectorItNS0_10empty_typeEEEZNS1_21radix_sort_block_sortIS4_Lb0EPtS9_PS6_SA_NS0_19identity_decomposerEEE10hipError_tT1_T2_T3_T4_jRjT5_jjP12ihipStream_tbEUlT_E_NS1_11comp_targetILNS1_3genE3ELNS1_11target_archE908ELNS1_3gpuE7ELNS1_3repE0EEENS1_44radix_sort_block_sort_config_static_selectorELNS0_4arch9wavefront6targetE1EEEvSD_
	.globl	_ZN7rocprim17ROCPRIM_400000_NS6detail17trampoline_kernelINS0_13kernel_configILj256ELj4ELj4294967295EEENS1_37radix_sort_block_sort_config_selectorItNS0_10empty_typeEEEZNS1_21radix_sort_block_sortIS4_Lb0EPtS9_PS6_SA_NS0_19identity_decomposerEEE10hipError_tT1_T2_T3_T4_jRjT5_jjP12ihipStream_tbEUlT_E_NS1_11comp_targetILNS1_3genE3ELNS1_11target_archE908ELNS1_3gpuE7ELNS1_3repE0EEENS1_44radix_sort_block_sort_config_static_selectorELNS0_4arch9wavefront6targetE1EEEvSD_
	.p2align	8
	.type	_ZN7rocprim17ROCPRIM_400000_NS6detail17trampoline_kernelINS0_13kernel_configILj256ELj4ELj4294967295EEENS1_37radix_sort_block_sort_config_selectorItNS0_10empty_typeEEEZNS1_21radix_sort_block_sortIS4_Lb0EPtS9_PS6_SA_NS0_19identity_decomposerEEE10hipError_tT1_T2_T3_T4_jRjT5_jjP12ihipStream_tbEUlT_E_NS1_11comp_targetILNS1_3genE3ELNS1_11target_archE908ELNS1_3gpuE7ELNS1_3repE0EEENS1_44radix_sort_block_sort_config_static_selectorELNS0_4arch9wavefront6targetE1EEEvSD_,@function
_ZN7rocprim17ROCPRIM_400000_NS6detail17trampoline_kernelINS0_13kernel_configILj256ELj4ELj4294967295EEENS1_37radix_sort_block_sort_config_selectorItNS0_10empty_typeEEEZNS1_21radix_sort_block_sortIS4_Lb0EPtS9_PS6_SA_NS0_19identity_decomposerEEE10hipError_tT1_T2_T3_T4_jRjT5_jjP12ihipStream_tbEUlT_E_NS1_11comp_targetILNS1_3genE3ELNS1_11target_archE908ELNS1_3gpuE7ELNS1_3repE0EEENS1_44radix_sort_block_sort_config_static_selectorELNS0_4arch9wavefront6targetE1EEEvSD_: ; @_ZN7rocprim17ROCPRIM_400000_NS6detail17trampoline_kernelINS0_13kernel_configILj256ELj4ELj4294967295EEENS1_37radix_sort_block_sort_config_selectorItNS0_10empty_typeEEEZNS1_21radix_sort_block_sortIS4_Lb0EPtS9_PS6_SA_NS0_19identity_decomposerEEE10hipError_tT1_T2_T3_T4_jRjT5_jjP12ihipStream_tbEUlT_E_NS1_11comp_targetILNS1_3genE3ELNS1_11target_archE908ELNS1_3gpuE7ELNS1_3repE0EEENS1_44radix_sort_block_sort_config_static_selectorELNS0_4arch9wavefront6targetE1EEEvSD_
; %bb.0:
	.section	.rodata,"a",@progbits
	.p2align	6, 0x0
	.amdhsa_kernel _ZN7rocprim17ROCPRIM_400000_NS6detail17trampoline_kernelINS0_13kernel_configILj256ELj4ELj4294967295EEENS1_37radix_sort_block_sort_config_selectorItNS0_10empty_typeEEEZNS1_21radix_sort_block_sortIS4_Lb0EPtS9_PS6_SA_NS0_19identity_decomposerEEE10hipError_tT1_T2_T3_T4_jRjT5_jjP12ihipStream_tbEUlT_E_NS1_11comp_targetILNS1_3genE3ELNS1_11target_archE908ELNS1_3gpuE7ELNS1_3repE0EEENS1_44radix_sort_block_sort_config_static_selectorELNS0_4arch9wavefront6targetE1EEEvSD_
		.amdhsa_group_segment_fixed_size 0
		.amdhsa_private_segment_fixed_size 0
		.amdhsa_kernarg_size 48
		.amdhsa_user_sgpr_count 6
		.amdhsa_user_sgpr_private_segment_buffer 1
		.amdhsa_user_sgpr_dispatch_ptr 0
		.amdhsa_user_sgpr_queue_ptr 0
		.amdhsa_user_sgpr_kernarg_segment_ptr 1
		.amdhsa_user_sgpr_dispatch_id 0
		.amdhsa_user_sgpr_flat_scratch_init 0
		.amdhsa_user_sgpr_kernarg_preload_length 0
		.amdhsa_user_sgpr_kernarg_preload_offset 0
		.amdhsa_user_sgpr_private_segment_size 0
		.amdhsa_uses_dynamic_stack 0
		.amdhsa_system_sgpr_private_segment_wavefront_offset 0
		.amdhsa_system_sgpr_workgroup_id_x 1
		.amdhsa_system_sgpr_workgroup_id_y 0
		.amdhsa_system_sgpr_workgroup_id_z 0
		.amdhsa_system_sgpr_workgroup_info 0
		.amdhsa_system_vgpr_workitem_id 0
		.amdhsa_next_free_vgpr 1
		.amdhsa_next_free_sgpr 0
		.amdhsa_accum_offset 4
		.amdhsa_reserve_vcc 0
		.amdhsa_reserve_flat_scratch 0
		.amdhsa_float_round_mode_32 0
		.amdhsa_float_round_mode_16_64 0
		.amdhsa_float_denorm_mode_32 3
		.amdhsa_float_denorm_mode_16_64 3
		.amdhsa_dx10_clamp 1
		.amdhsa_ieee_mode 1
		.amdhsa_fp16_overflow 0
		.amdhsa_tg_split 0
		.amdhsa_exception_fp_ieee_invalid_op 0
		.amdhsa_exception_fp_denorm_src 0
		.amdhsa_exception_fp_ieee_div_zero 0
		.amdhsa_exception_fp_ieee_overflow 0
		.amdhsa_exception_fp_ieee_underflow 0
		.amdhsa_exception_fp_ieee_inexact 0
		.amdhsa_exception_int_div_zero 0
	.end_amdhsa_kernel
	.section	.text._ZN7rocprim17ROCPRIM_400000_NS6detail17trampoline_kernelINS0_13kernel_configILj256ELj4ELj4294967295EEENS1_37radix_sort_block_sort_config_selectorItNS0_10empty_typeEEEZNS1_21radix_sort_block_sortIS4_Lb0EPtS9_PS6_SA_NS0_19identity_decomposerEEE10hipError_tT1_T2_T3_T4_jRjT5_jjP12ihipStream_tbEUlT_E_NS1_11comp_targetILNS1_3genE3ELNS1_11target_archE908ELNS1_3gpuE7ELNS1_3repE0EEENS1_44radix_sort_block_sort_config_static_selectorELNS0_4arch9wavefront6targetE1EEEvSD_,"axG",@progbits,_ZN7rocprim17ROCPRIM_400000_NS6detail17trampoline_kernelINS0_13kernel_configILj256ELj4ELj4294967295EEENS1_37radix_sort_block_sort_config_selectorItNS0_10empty_typeEEEZNS1_21radix_sort_block_sortIS4_Lb0EPtS9_PS6_SA_NS0_19identity_decomposerEEE10hipError_tT1_T2_T3_T4_jRjT5_jjP12ihipStream_tbEUlT_E_NS1_11comp_targetILNS1_3genE3ELNS1_11target_archE908ELNS1_3gpuE7ELNS1_3repE0EEENS1_44radix_sort_block_sort_config_static_selectorELNS0_4arch9wavefront6targetE1EEEvSD_,comdat
.Lfunc_end451:
	.size	_ZN7rocprim17ROCPRIM_400000_NS6detail17trampoline_kernelINS0_13kernel_configILj256ELj4ELj4294967295EEENS1_37radix_sort_block_sort_config_selectorItNS0_10empty_typeEEEZNS1_21radix_sort_block_sortIS4_Lb0EPtS9_PS6_SA_NS0_19identity_decomposerEEE10hipError_tT1_T2_T3_T4_jRjT5_jjP12ihipStream_tbEUlT_E_NS1_11comp_targetILNS1_3genE3ELNS1_11target_archE908ELNS1_3gpuE7ELNS1_3repE0EEENS1_44radix_sort_block_sort_config_static_selectorELNS0_4arch9wavefront6targetE1EEEvSD_, .Lfunc_end451-_ZN7rocprim17ROCPRIM_400000_NS6detail17trampoline_kernelINS0_13kernel_configILj256ELj4ELj4294967295EEENS1_37radix_sort_block_sort_config_selectorItNS0_10empty_typeEEEZNS1_21radix_sort_block_sortIS4_Lb0EPtS9_PS6_SA_NS0_19identity_decomposerEEE10hipError_tT1_T2_T3_T4_jRjT5_jjP12ihipStream_tbEUlT_E_NS1_11comp_targetILNS1_3genE3ELNS1_11target_archE908ELNS1_3gpuE7ELNS1_3repE0EEENS1_44radix_sort_block_sort_config_static_selectorELNS0_4arch9wavefront6targetE1EEEvSD_
                                        ; -- End function
	.section	.AMDGPU.csdata,"",@progbits
; Kernel info:
; codeLenInByte = 0
; NumSgprs: 4
; NumVgprs: 0
; NumAgprs: 0
; TotalNumVgprs: 0
; ScratchSize: 0
; MemoryBound: 0
; FloatMode: 240
; IeeeMode: 1
; LDSByteSize: 0 bytes/workgroup (compile time only)
; SGPRBlocks: 0
; VGPRBlocks: 0
; NumSGPRsForWavesPerEU: 4
; NumVGPRsForWavesPerEU: 1
; AccumOffset: 4
; Occupancy: 8
; WaveLimiterHint : 0
; COMPUTE_PGM_RSRC2:SCRATCH_EN: 0
; COMPUTE_PGM_RSRC2:USER_SGPR: 6
; COMPUTE_PGM_RSRC2:TRAP_HANDLER: 0
; COMPUTE_PGM_RSRC2:TGID_X_EN: 1
; COMPUTE_PGM_RSRC2:TGID_Y_EN: 0
; COMPUTE_PGM_RSRC2:TGID_Z_EN: 0
; COMPUTE_PGM_RSRC2:TIDIG_COMP_CNT: 0
; COMPUTE_PGM_RSRC3_GFX90A:ACCUM_OFFSET: 0
; COMPUTE_PGM_RSRC3_GFX90A:TG_SPLIT: 0
	.section	.text._ZN7rocprim17ROCPRIM_400000_NS6detail17trampoline_kernelINS0_13kernel_configILj256ELj4ELj4294967295EEENS1_37radix_sort_block_sort_config_selectorItNS0_10empty_typeEEEZNS1_21radix_sort_block_sortIS4_Lb0EPtS9_PS6_SA_NS0_19identity_decomposerEEE10hipError_tT1_T2_T3_T4_jRjT5_jjP12ihipStream_tbEUlT_E_NS1_11comp_targetILNS1_3genE2ELNS1_11target_archE906ELNS1_3gpuE6ELNS1_3repE0EEENS1_44radix_sort_block_sort_config_static_selectorELNS0_4arch9wavefront6targetE1EEEvSD_,"axG",@progbits,_ZN7rocprim17ROCPRIM_400000_NS6detail17trampoline_kernelINS0_13kernel_configILj256ELj4ELj4294967295EEENS1_37radix_sort_block_sort_config_selectorItNS0_10empty_typeEEEZNS1_21radix_sort_block_sortIS4_Lb0EPtS9_PS6_SA_NS0_19identity_decomposerEEE10hipError_tT1_T2_T3_T4_jRjT5_jjP12ihipStream_tbEUlT_E_NS1_11comp_targetILNS1_3genE2ELNS1_11target_archE906ELNS1_3gpuE6ELNS1_3repE0EEENS1_44radix_sort_block_sort_config_static_selectorELNS0_4arch9wavefront6targetE1EEEvSD_,comdat
	.protected	_ZN7rocprim17ROCPRIM_400000_NS6detail17trampoline_kernelINS0_13kernel_configILj256ELj4ELj4294967295EEENS1_37radix_sort_block_sort_config_selectorItNS0_10empty_typeEEEZNS1_21radix_sort_block_sortIS4_Lb0EPtS9_PS6_SA_NS0_19identity_decomposerEEE10hipError_tT1_T2_T3_T4_jRjT5_jjP12ihipStream_tbEUlT_E_NS1_11comp_targetILNS1_3genE2ELNS1_11target_archE906ELNS1_3gpuE6ELNS1_3repE0EEENS1_44radix_sort_block_sort_config_static_selectorELNS0_4arch9wavefront6targetE1EEEvSD_ ; -- Begin function _ZN7rocprim17ROCPRIM_400000_NS6detail17trampoline_kernelINS0_13kernel_configILj256ELj4ELj4294967295EEENS1_37radix_sort_block_sort_config_selectorItNS0_10empty_typeEEEZNS1_21radix_sort_block_sortIS4_Lb0EPtS9_PS6_SA_NS0_19identity_decomposerEEE10hipError_tT1_T2_T3_T4_jRjT5_jjP12ihipStream_tbEUlT_E_NS1_11comp_targetILNS1_3genE2ELNS1_11target_archE906ELNS1_3gpuE6ELNS1_3repE0EEENS1_44radix_sort_block_sort_config_static_selectorELNS0_4arch9wavefront6targetE1EEEvSD_
	.globl	_ZN7rocprim17ROCPRIM_400000_NS6detail17trampoline_kernelINS0_13kernel_configILj256ELj4ELj4294967295EEENS1_37radix_sort_block_sort_config_selectorItNS0_10empty_typeEEEZNS1_21radix_sort_block_sortIS4_Lb0EPtS9_PS6_SA_NS0_19identity_decomposerEEE10hipError_tT1_T2_T3_T4_jRjT5_jjP12ihipStream_tbEUlT_E_NS1_11comp_targetILNS1_3genE2ELNS1_11target_archE906ELNS1_3gpuE6ELNS1_3repE0EEENS1_44radix_sort_block_sort_config_static_selectorELNS0_4arch9wavefront6targetE1EEEvSD_
	.p2align	8
	.type	_ZN7rocprim17ROCPRIM_400000_NS6detail17trampoline_kernelINS0_13kernel_configILj256ELj4ELj4294967295EEENS1_37radix_sort_block_sort_config_selectorItNS0_10empty_typeEEEZNS1_21radix_sort_block_sortIS4_Lb0EPtS9_PS6_SA_NS0_19identity_decomposerEEE10hipError_tT1_T2_T3_T4_jRjT5_jjP12ihipStream_tbEUlT_E_NS1_11comp_targetILNS1_3genE2ELNS1_11target_archE906ELNS1_3gpuE6ELNS1_3repE0EEENS1_44radix_sort_block_sort_config_static_selectorELNS0_4arch9wavefront6targetE1EEEvSD_,@function
_ZN7rocprim17ROCPRIM_400000_NS6detail17trampoline_kernelINS0_13kernel_configILj256ELj4ELj4294967295EEENS1_37radix_sort_block_sort_config_selectorItNS0_10empty_typeEEEZNS1_21radix_sort_block_sortIS4_Lb0EPtS9_PS6_SA_NS0_19identity_decomposerEEE10hipError_tT1_T2_T3_T4_jRjT5_jjP12ihipStream_tbEUlT_E_NS1_11comp_targetILNS1_3genE2ELNS1_11target_archE906ELNS1_3gpuE6ELNS1_3repE0EEENS1_44radix_sort_block_sort_config_static_selectorELNS0_4arch9wavefront6targetE1EEEvSD_: ; @_ZN7rocprim17ROCPRIM_400000_NS6detail17trampoline_kernelINS0_13kernel_configILj256ELj4ELj4294967295EEENS1_37radix_sort_block_sort_config_selectorItNS0_10empty_typeEEEZNS1_21radix_sort_block_sortIS4_Lb0EPtS9_PS6_SA_NS0_19identity_decomposerEEE10hipError_tT1_T2_T3_T4_jRjT5_jjP12ihipStream_tbEUlT_E_NS1_11comp_targetILNS1_3genE2ELNS1_11target_archE906ELNS1_3gpuE6ELNS1_3repE0EEENS1_44radix_sort_block_sort_config_static_selectorELNS0_4arch9wavefront6targetE1EEEvSD_
; %bb.0:
	.section	.rodata,"a",@progbits
	.p2align	6, 0x0
	.amdhsa_kernel _ZN7rocprim17ROCPRIM_400000_NS6detail17trampoline_kernelINS0_13kernel_configILj256ELj4ELj4294967295EEENS1_37radix_sort_block_sort_config_selectorItNS0_10empty_typeEEEZNS1_21radix_sort_block_sortIS4_Lb0EPtS9_PS6_SA_NS0_19identity_decomposerEEE10hipError_tT1_T2_T3_T4_jRjT5_jjP12ihipStream_tbEUlT_E_NS1_11comp_targetILNS1_3genE2ELNS1_11target_archE906ELNS1_3gpuE6ELNS1_3repE0EEENS1_44radix_sort_block_sort_config_static_selectorELNS0_4arch9wavefront6targetE1EEEvSD_
		.amdhsa_group_segment_fixed_size 0
		.amdhsa_private_segment_fixed_size 0
		.amdhsa_kernarg_size 48
		.amdhsa_user_sgpr_count 6
		.amdhsa_user_sgpr_private_segment_buffer 1
		.amdhsa_user_sgpr_dispatch_ptr 0
		.amdhsa_user_sgpr_queue_ptr 0
		.amdhsa_user_sgpr_kernarg_segment_ptr 1
		.amdhsa_user_sgpr_dispatch_id 0
		.amdhsa_user_sgpr_flat_scratch_init 0
		.amdhsa_user_sgpr_kernarg_preload_length 0
		.amdhsa_user_sgpr_kernarg_preload_offset 0
		.amdhsa_user_sgpr_private_segment_size 0
		.amdhsa_uses_dynamic_stack 0
		.amdhsa_system_sgpr_private_segment_wavefront_offset 0
		.amdhsa_system_sgpr_workgroup_id_x 1
		.amdhsa_system_sgpr_workgroup_id_y 0
		.amdhsa_system_sgpr_workgroup_id_z 0
		.amdhsa_system_sgpr_workgroup_info 0
		.amdhsa_system_vgpr_workitem_id 0
		.amdhsa_next_free_vgpr 1
		.amdhsa_next_free_sgpr 0
		.amdhsa_accum_offset 4
		.amdhsa_reserve_vcc 0
		.amdhsa_reserve_flat_scratch 0
		.amdhsa_float_round_mode_32 0
		.amdhsa_float_round_mode_16_64 0
		.amdhsa_float_denorm_mode_32 3
		.amdhsa_float_denorm_mode_16_64 3
		.amdhsa_dx10_clamp 1
		.amdhsa_ieee_mode 1
		.amdhsa_fp16_overflow 0
		.amdhsa_tg_split 0
		.amdhsa_exception_fp_ieee_invalid_op 0
		.amdhsa_exception_fp_denorm_src 0
		.amdhsa_exception_fp_ieee_div_zero 0
		.amdhsa_exception_fp_ieee_overflow 0
		.amdhsa_exception_fp_ieee_underflow 0
		.amdhsa_exception_fp_ieee_inexact 0
		.amdhsa_exception_int_div_zero 0
	.end_amdhsa_kernel
	.section	.text._ZN7rocprim17ROCPRIM_400000_NS6detail17trampoline_kernelINS0_13kernel_configILj256ELj4ELj4294967295EEENS1_37radix_sort_block_sort_config_selectorItNS0_10empty_typeEEEZNS1_21radix_sort_block_sortIS4_Lb0EPtS9_PS6_SA_NS0_19identity_decomposerEEE10hipError_tT1_T2_T3_T4_jRjT5_jjP12ihipStream_tbEUlT_E_NS1_11comp_targetILNS1_3genE2ELNS1_11target_archE906ELNS1_3gpuE6ELNS1_3repE0EEENS1_44radix_sort_block_sort_config_static_selectorELNS0_4arch9wavefront6targetE1EEEvSD_,"axG",@progbits,_ZN7rocprim17ROCPRIM_400000_NS6detail17trampoline_kernelINS0_13kernel_configILj256ELj4ELj4294967295EEENS1_37radix_sort_block_sort_config_selectorItNS0_10empty_typeEEEZNS1_21radix_sort_block_sortIS4_Lb0EPtS9_PS6_SA_NS0_19identity_decomposerEEE10hipError_tT1_T2_T3_T4_jRjT5_jjP12ihipStream_tbEUlT_E_NS1_11comp_targetILNS1_3genE2ELNS1_11target_archE906ELNS1_3gpuE6ELNS1_3repE0EEENS1_44radix_sort_block_sort_config_static_selectorELNS0_4arch9wavefront6targetE1EEEvSD_,comdat
.Lfunc_end452:
	.size	_ZN7rocprim17ROCPRIM_400000_NS6detail17trampoline_kernelINS0_13kernel_configILj256ELj4ELj4294967295EEENS1_37radix_sort_block_sort_config_selectorItNS0_10empty_typeEEEZNS1_21radix_sort_block_sortIS4_Lb0EPtS9_PS6_SA_NS0_19identity_decomposerEEE10hipError_tT1_T2_T3_T4_jRjT5_jjP12ihipStream_tbEUlT_E_NS1_11comp_targetILNS1_3genE2ELNS1_11target_archE906ELNS1_3gpuE6ELNS1_3repE0EEENS1_44radix_sort_block_sort_config_static_selectorELNS0_4arch9wavefront6targetE1EEEvSD_, .Lfunc_end452-_ZN7rocprim17ROCPRIM_400000_NS6detail17trampoline_kernelINS0_13kernel_configILj256ELj4ELj4294967295EEENS1_37radix_sort_block_sort_config_selectorItNS0_10empty_typeEEEZNS1_21radix_sort_block_sortIS4_Lb0EPtS9_PS6_SA_NS0_19identity_decomposerEEE10hipError_tT1_T2_T3_T4_jRjT5_jjP12ihipStream_tbEUlT_E_NS1_11comp_targetILNS1_3genE2ELNS1_11target_archE906ELNS1_3gpuE6ELNS1_3repE0EEENS1_44radix_sort_block_sort_config_static_selectorELNS0_4arch9wavefront6targetE1EEEvSD_
                                        ; -- End function
	.section	.AMDGPU.csdata,"",@progbits
; Kernel info:
; codeLenInByte = 0
; NumSgprs: 4
; NumVgprs: 0
; NumAgprs: 0
; TotalNumVgprs: 0
; ScratchSize: 0
; MemoryBound: 0
; FloatMode: 240
; IeeeMode: 1
; LDSByteSize: 0 bytes/workgroup (compile time only)
; SGPRBlocks: 0
; VGPRBlocks: 0
; NumSGPRsForWavesPerEU: 4
; NumVGPRsForWavesPerEU: 1
; AccumOffset: 4
; Occupancy: 8
; WaveLimiterHint : 0
; COMPUTE_PGM_RSRC2:SCRATCH_EN: 0
; COMPUTE_PGM_RSRC2:USER_SGPR: 6
; COMPUTE_PGM_RSRC2:TRAP_HANDLER: 0
; COMPUTE_PGM_RSRC2:TGID_X_EN: 1
; COMPUTE_PGM_RSRC2:TGID_Y_EN: 0
; COMPUTE_PGM_RSRC2:TGID_Z_EN: 0
; COMPUTE_PGM_RSRC2:TIDIG_COMP_CNT: 0
; COMPUTE_PGM_RSRC3_GFX90A:ACCUM_OFFSET: 0
; COMPUTE_PGM_RSRC3_GFX90A:TG_SPLIT: 0
	.section	.text._ZN7rocprim17ROCPRIM_400000_NS6detail17trampoline_kernelINS0_13kernel_configILj256ELj4ELj4294967295EEENS1_37radix_sort_block_sort_config_selectorItNS0_10empty_typeEEEZNS1_21radix_sort_block_sortIS4_Lb0EPtS9_PS6_SA_NS0_19identity_decomposerEEE10hipError_tT1_T2_T3_T4_jRjT5_jjP12ihipStream_tbEUlT_E_NS1_11comp_targetILNS1_3genE10ELNS1_11target_archE1201ELNS1_3gpuE5ELNS1_3repE0EEENS1_44radix_sort_block_sort_config_static_selectorELNS0_4arch9wavefront6targetE1EEEvSD_,"axG",@progbits,_ZN7rocprim17ROCPRIM_400000_NS6detail17trampoline_kernelINS0_13kernel_configILj256ELj4ELj4294967295EEENS1_37radix_sort_block_sort_config_selectorItNS0_10empty_typeEEEZNS1_21radix_sort_block_sortIS4_Lb0EPtS9_PS6_SA_NS0_19identity_decomposerEEE10hipError_tT1_T2_T3_T4_jRjT5_jjP12ihipStream_tbEUlT_E_NS1_11comp_targetILNS1_3genE10ELNS1_11target_archE1201ELNS1_3gpuE5ELNS1_3repE0EEENS1_44radix_sort_block_sort_config_static_selectorELNS0_4arch9wavefront6targetE1EEEvSD_,comdat
	.protected	_ZN7rocprim17ROCPRIM_400000_NS6detail17trampoline_kernelINS0_13kernel_configILj256ELj4ELj4294967295EEENS1_37radix_sort_block_sort_config_selectorItNS0_10empty_typeEEEZNS1_21radix_sort_block_sortIS4_Lb0EPtS9_PS6_SA_NS0_19identity_decomposerEEE10hipError_tT1_T2_T3_T4_jRjT5_jjP12ihipStream_tbEUlT_E_NS1_11comp_targetILNS1_3genE10ELNS1_11target_archE1201ELNS1_3gpuE5ELNS1_3repE0EEENS1_44radix_sort_block_sort_config_static_selectorELNS0_4arch9wavefront6targetE1EEEvSD_ ; -- Begin function _ZN7rocprim17ROCPRIM_400000_NS6detail17trampoline_kernelINS0_13kernel_configILj256ELj4ELj4294967295EEENS1_37radix_sort_block_sort_config_selectorItNS0_10empty_typeEEEZNS1_21radix_sort_block_sortIS4_Lb0EPtS9_PS6_SA_NS0_19identity_decomposerEEE10hipError_tT1_T2_T3_T4_jRjT5_jjP12ihipStream_tbEUlT_E_NS1_11comp_targetILNS1_3genE10ELNS1_11target_archE1201ELNS1_3gpuE5ELNS1_3repE0EEENS1_44radix_sort_block_sort_config_static_selectorELNS0_4arch9wavefront6targetE1EEEvSD_
	.globl	_ZN7rocprim17ROCPRIM_400000_NS6detail17trampoline_kernelINS0_13kernel_configILj256ELj4ELj4294967295EEENS1_37radix_sort_block_sort_config_selectorItNS0_10empty_typeEEEZNS1_21radix_sort_block_sortIS4_Lb0EPtS9_PS6_SA_NS0_19identity_decomposerEEE10hipError_tT1_T2_T3_T4_jRjT5_jjP12ihipStream_tbEUlT_E_NS1_11comp_targetILNS1_3genE10ELNS1_11target_archE1201ELNS1_3gpuE5ELNS1_3repE0EEENS1_44radix_sort_block_sort_config_static_selectorELNS0_4arch9wavefront6targetE1EEEvSD_
	.p2align	8
	.type	_ZN7rocprim17ROCPRIM_400000_NS6detail17trampoline_kernelINS0_13kernel_configILj256ELj4ELj4294967295EEENS1_37radix_sort_block_sort_config_selectorItNS0_10empty_typeEEEZNS1_21radix_sort_block_sortIS4_Lb0EPtS9_PS6_SA_NS0_19identity_decomposerEEE10hipError_tT1_T2_T3_T4_jRjT5_jjP12ihipStream_tbEUlT_E_NS1_11comp_targetILNS1_3genE10ELNS1_11target_archE1201ELNS1_3gpuE5ELNS1_3repE0EEENS1_44radix_sort_block_sort_config_static_selectorELNS0_4arch9wavefront6targetE1EEEvSD_,@function
_ZN7rocprim17ROCPRIM_400000_NS6detail17trampoline_kernelINS0_13kernel_configILj256ELj4ELj4294967295EEENS1_37radix_sort_block_sort_config_selectorItNS0_10empty_typeEEEZNS1_21radix_sort_block_sortIS4_Lb0EPtS9_PS6_SA_NS0_19identity_decomposerEEE10hipError_tT1_T2_T3_T4_jRjT5_jjP12ihipStream_tbEUlT_E_NS1_11comp_targetILNS1_3genE10ELNS1_11target_archE1201ELNS1_3gpuE5ELNS1_3repE0EEENS1_44radix_sort_block_sort_config_static_selectorELNS0_4arch9wavefront6targetE1EEEvSD_: ; @_ZN7rocprim17ROCPRIM_400000_NS6detail17trampoline_kernelINS0_13kernel_configILj256ELj4ELj4294967295EEENS1_37radix_sort_block_sort_config_selectorItNS0_10empty_typeEEEZNS1_21radix_sort_block_sortIS4_Lb0EPtS9_PS6_SA_NS0_19identity_decomposerEEE10hipError_tT1_T2_T3_T4_jRjT5_jjP12ihipStream_tbEUlT_E_NS1_11comp_targetILNS1_3genE10ELNS1_11target_archE1201ELNS1_3gpuE5ELNS1_3repE0EEENS1_44radix_sort_block_sort_config_static_selectorELNS0_4arch9wavefront6targetE1EEEvSD_
; %bb.0:
	.section	.rodata,"a",@progbits
	.p2align	6, 0x0
	.amdhsa_kernel _ZN7rocprim17ROCPRIM_400000_NS6detail17trampoline_kernelINS0_13kernel_configILj256ELj4ELj4294967295EEENS1_37radix_sort_block_sort_config_selectorItNS0_10empty_typeEEEZNS1_21radix_sort_block_sortIS4_Lb0EPtS9_PS6_SA_NS0_19identity_decomposerEEE10hipError_tT1_T2_T3_T4_jRjT5_jjP12ihipStream_tbEUlT_E_NS1_11comp_targetILNS1_3genE10ELNS1_11target_archE1201ELNS1_3gpuE5ELNS1_3repE0EEENS1_44radix_sort_block_sort_config_static_selectorELNS0_4arch9wavefront6targetE1EEEvSD_
		.amdhsa_group_segment_fixed_size 0
		.amdhsa_private_segment_fixed_size 0
		.amdhsa_kernarg_size 48
		.amdhsa_user_sgpr_count 6
		.amdhsa_user_sgpr_private_segment_buffer 1
		.amdhsa_user_sgpr_dispatch_ptr 0
		.amdhsa_user_sgpr_queue_ptr 0
		.amdhsa_user_sgpr_kernarg_segment_ptr 1
		.amdhsa_user_sgpr_dispatch_id 0
		.amdhsa_user_sgpr_flat_scratch_init 0
		.amdhsa_user_sgpr_kernarg_preload_length 0
		.amdhsa_user_sgpr_kernarg_preload_offset 0
		.amdhsa_user_sgpr_private_segment_size 0
		.amdhsa_uses_dynamic_stack 0
		.amdhsa_system_sgpr_private_segment_wavefront_offset 0
		.amdhsa_system_sgpr_workgroup_id_x 1
		.amdhsa_system_sgpr_workgroup_id_y 0
		.amdhsa_system_sgpr_workgroup_id_z 0
		.amdhsa_system_sgpr_workgroup_info 0
		.amdhsa_system_vgpr_workitem_id 0
		.amdhsa_next_free_vgpr 1
		.amdhsa_next_free_sgpr 0
		.amdhsa_accum_offset 4
		.amdhsa_reserve_vcc 0
		.amdhsa_reserve_flat_scratch 0
		.amdhsa_float_round_mode_32 0
		.amdhsa_float_round_mode_16_64 0
		.amdhsa_float_denorm_mode_32 3
		.amdhsa_float_denorm_mode_16_64 3
		.amdhsa_dx10_clamp 1
		.amdhsa_ieee_mode 1
		.amdhsa_fp16_overflow 0
		.amdhsa_tg_split 0
		.amdhsa_exception_fp_ieee_invalid_op 0
		.amdhsa_exception_fp_denorm_src 0
		.amdhsa_exception_fp_ieee_div_zero 0
		.amdhsa_exception_fp_ieee_overflow 0
		.amdhsa_exception_fp_ieee_underflow 0
		.amdhsa_exception_fp_ieee_inexact 0
		.amdhsa_exception_int_div_zero 0
	.end_amdhsa_kernel
	.section	.text._ZN7rocprim17ROCPRIM_400000_NS6detail17trampoline_kernelINS0_13kernel_configILj256ELj4ELj4294967295EEENS1_37radix_sort_block_sort_config_selectorItNS0_10empty_typeEEEZNS1_21radix_sort_block_sortIS4_Lb0EPtS9_PS6_SA_NS0_19identity_decomposerEEE10hipError_tT1_T2_T3_T4_jRjT5_jjP12ihipStream_tbEUlT_E_NS1_11comp_targetILNS1_3genE10ELNS1_11target_archE1201ELNS1_3gpuE5ELNS1_3repE0EEENS1_44radix_sort_block_sort_config_static_selectorELNS0_4arch9wavefront6targetE1EEEvSD_,"axG",@progbits,_ZN7rocprim17ROCPRIM_400000_NS6detail17trampoline_kernelINS0_13kernel_configILj256ELj4ELj4294967295EEENS1_37radix_sort_block_sort_config_selectorItNS0_10empty_typeEEEZNS1_21radix_sort_block_sortIS4_Lb0EPtS9_PS6_SA_NS0_19identity_decomposerEEE10hipError_tT1_T2_T3_T4_jRjT5_jjP12ihipStream_tbEUlT_E_NS1_11comp_targetILNS1_3genE10ELNS1_11target_archE1201ELNS1_3gpuE5ELNS1_3repE0EEENS1_44radix_sort_block_sort_config_static_selectorELNS0_4arch9wavefront6targetE1EEEvSD_,comdat
.Lfunc_end453:
	.size	_ZN7rocprim17ROCPRIM_400000_NS6detail17trampoline_kernelINS0_13kernel_configILj256ELj4ELj4294967295EEENS1_37radix_sort_block_sort_config_selectorItNS0_10empty_typeEEEZNS1_21radix_sort_block_sortIS4_Lb0EPtS9_PS6_SA_NS0_19identity_decomposerEEE10hipError_tT1_T2_T3_T4_jRjT5_jjP12ihipStream_tbEUlT_E_NS1_11comp_targetILNS1_3genE10ELNS1_11target_archE1201ELNS1_3gpuE5ELNS1_3repE0EEENS1_44radix_sort_block_sort_config_static_selectorELNS0_4arch9wavefront6targetE1EEEvSD_, .Lfunc_end453-_ZN7rocprim17ROCPRIM_400000_NS6detail17trampoline_kernelINS0_13kernel_configILj256ELj4ELj4294967295EEENS1_37radix_sort_block_sort_config_selectorItNS0_10empty_typeEEEZNS1_21radix_sort_block_sortIS4_Lb0EPtS9_PS6_SA_NS0_19identity_decomposerEEE10hipError_tT1_T2_T3_T4_jRjT5_jjP12ihipStream_tbEUlT_E_NS1_11comp_targetILNS1_3genE10ELNS1_11target_archE1201ELNS1_3gpuE5ELNS1_3repE0EEENS1_44radix_sort_block_sort_config_static_selectorELNS0_4arch9wavefront6targetE1EEEvSD_
                                        ; -- End function
	.section	.AMDGPU.csdata,"",@progbits
; Kernel info:
; codeLenInByte = 0
; NumSgprs: 4
; NumVgprs: 0
; NumAgprs: 0
; TotalNumVgprs: 0
; ScratchSize: 0
; MemoryBound: 0
; FloatMode: 240
; IeeeMode: 1
; LDSByteSize: 0 bytes/workgroup (compile time only)
; SGPRBlocks: 0
; VGPRBlocks: 0
; NumSGPRsForWavesPerEU: 4
; NumVGPRsForWavesPerEU: 1
; AccumOffset: 4
; Occupancy: 8
; WaveLimiterHint : 0
; COMPUTE_PGM_RSRC2:SCRATCH_EN: 0
; COMPUTE_PGM_RSRC2:USER_SGPR: 6
; COMPUTE_PGM_RSRC2:TRAP_HANDLER: 0
; COMPUTE_PGM_RSRC2:TGID_X_EN: 1
; COMPUTE_PGM_RSRC2:TGID_Y_EN: 0
; COMPUTE_PGM_RSRC2:TGID_Z_EN: 0
; COMPUTE_PGM_RSRC2:TIDIG_COMP_CNT: 0
; COMPUTE_PGM_RSRC3_GFX90A:ACCUM_OFFSET: 0
; COMPUTE_PGM_RSRC3_GFX90A:TG_SPLIT: 0
	.section	.text._ZN7rocprim17ROCPRIM_400000_NS6detail17trampoline_kernelINS0_13kernel_configILj256ELj4ELj4294967295EEENS1_37radix_sort_block_sort_config_selectorItNS0_10empty_typeEEEZNS1_21radix_sort_block_sortIS4_Lb0EPtS9_PS6_SA_NS0_19identity_decomposerEEE10hipError_tT1_T2_T3_T4_jRjT5_jjP12ihipStream_tbEUlT_E_NS1_11comp_targetILNS1_3genE10ELNS1_11target_archE1200ELNS1_3gpuE4ELNS1_3repE0EEENS1_44radix_sort_block_sort_config_static_selectorELNS0_4arch9wavefront6targetE1EEEvSD_,"axG",@progbits,_ZN7rocprim17ROCPRIM_400000_NS6detail17trampoline_kernelINS0_13kernel_configILj256ELj4ELj4294967295EEENS1_37radix_sort_block_sort_config_selectorItNS0_10empty_typeEEEZNS1_21radix_sort_block_sortIS4_Lb0EPtS9_PS6_SA_NS0_19identity_decomposerEEE10hipError_tT1_T2_T3_T4_jRjT5_jjP12ihipStream_tbEUlT_E_NS1_11comp_targetILNS1_3genE10ELNS1_11target_archE1200ELNS1_3gpuE4ELNS1_3repE0EEENS1_44radix_sort_block_sort_config_static_selectorELNS0_4arch9wavefront6targetE1EEEvSD_,comdat
	.protected	_ZN7rocprim17ROCPRIM_400000_NS6detail17trampoline_kernelINS0_13kernel_configILj256ELj4ELj4294967295EEENS1_37radix_sort_block_sort_config_selectorItNS0_10empty_typeEEEZNS1_21radix_sort_block_sortIS4_Lb0EPtS9_PS6_SA_NS0_19identity_decomposerEEE10hipError_tT1_T2_T3_T4_jRjT5_jjP12ihipStream_tbEUlT_E_NS1_11comp_targetILNS1_3genE10ELNS1_11target_archE1200ELNS1_3gpuE4ELNS1_3repE0EEENS1_44radix_sort_block_sort_config_static_selectorELNS0_4arch9wavefront6targetE1EEEvSD_ ; -- Begin function _ZN7rocprim17ROCPRIM_400000_NS6detail17trampoline_kernelINS0_13kernel_configILj256ELj4ELj4294967295EEENS1_37radix_sort_block_sort_config_selectorItNS0_10empty_typeEEEZNS1_21radix_sort_block_sortIS4_Lb0EPtS9_PS6_SA_NS0_19identity_decomposerEEE10hipError_tT1_T2_T3_T4_jRjT5_jjP12ihipStream_tbEUlT_E_NS1_11comp_targetILNS1_3genE10ELNS1_11target_archE1200ELNS1_3gpuE4ELNS1_3repE0EEENS1_44radix_sort_block_sort_config_static_selectorELNS0_4arch9wavefront6targetE1EEEvSD_
	.globl	_ZN7rocprim17ROCPRIM_400000_NS6detail17trampoline_kernelINS0_13kernel_configILj256ELj4ELj4294967295EEENS1_37radix_sort_block_sort_config_selectorItNS0_10empty_typeEEEZNS1_21radix_sort_block_sortIS4_Lb0EPtS9_PS6_SA_NS0_19identity_decomposerEEE10hipError_tT1_T2_T3_T4_jRjT5_jjP12ihipStream_tbEUlT_E_NS1_11comp_targetILNS1_3genE10ELNS1_11target_archE1200ELNS1_3gpuE4ELNS1_3repE0EEENS1_44radix_sort_block_sort_config_static_selectorELNS0_4arch9wavefront6targetE1EEEvSD_
	.p2align	8
	.type	_ZN7rocprim17ROCPRIM_400000_NS6detail17trampoline_kernelINS0_13kernel_configILj256ELj4ELj4294967295EEENS1_37radix_sort_block_sort_config_selectorItNS0_10empty_typeEEEZNS1_21radix_sort_block_sortIS4_Lb0EPtS9_PS6_SA_NS0_19identity_decomposerEEE10hipError_tT1_T2_T3_T4_jRjT5_jjP12ihipStream_tbEUlT_E_NS1_11comp_targetILNS1_3genE10ELNS1_11target_archE1200ELNS1_3gpuE4ELNS1_3repE0EEENS1_44radix_sort_block_sort_config_static_selectorELNS0_4arch9wavefront6targetE1EEEvSD_,@function
_ZN7rocprim17ROCPRIM_400000_NS6detail17trampoline_kernelINS0_13kernel_configILj256ELj4ELj4294967295EEENS1_37radix_sort_block_sort_config_selectorItNS0_10empty_typeEEEZNS1_21radix_sort_block_sortIS4_Lb0EPtS9_PS6_SA_NS0_19identity_decomposerEEE10hipError_tT1_T2_T3_T4_jRjT5_jjP12ihipStream_tbEUlT_E_NS1_11comp_targetILNS1_3genE10ELNS1_11target_archE1200ELNS1_3gpuE4ELNS1_3repE0EEENS1_44radix_sort_block_sort_config_static_selectorELNS0_4arch9wavefront6targetE1EEEvSD_: ; @_ZN7rocprim17ROCPRIM_400000_NS6detail17trampoline_kernelINS0_13kernel_configILj256ELj4ELj4294967295EEENS1_37radix_sort_block_sort_config_selectorItNS0_10empty_typeEEEZNS1_21radix_sort_block_sortIS4_Lb0EPtS9_PS6_SA_NS0_19identity_decomposerEEE10hipError_tT1_T2_T3_T4_jRjT5_jjP12ihipStream_tbEUlT_E_NS1_11comp_targetILNS1_3genE10ELNS1_11target_archE1200ELNS1_3gpuE4ELNS1_3repE0EEENS1_44radix_sort_block_sort_config_static_selectorELNS0_4arch9wavefront6targetE1EEEvSD_
; %bb.0:
	.section	.rodata,"a",@progbits
	.p2align	6, 0x0
	.amdhsa_kernel _ZN7rocprim17ROCPRIM_400000_NS6detail17trampoline_kernelINS0_13kernel_configILj256ELj4ELj4294967295EEENS1_37radix_sort_block_sort_config_selectorItNS0_10empty_typeEEEZNS1_21radix_sort_block_sortIS4_Lb0EPtS9_PS6_SA_NS0_19identity_decomposerEEE10hipError_tT1_T2_T3_T4_jRjT5_jjP12ihipStream_tbEUlT_E_NS1_11comp_targetILNS1_3genE10ELNS1_11target_archE1200ELNS1_3gpuE4ELNS1_3repE0EEENS1_44radix_sort_block_sort_config_static_selectorELNS0_4arch9wavefront6targetE1EEEvSD_
		.amdhsa_group_segment_fixed_size 0
		.amdhsa_private_segment_fixed_size 0
		.amdhsa_kernarg_size 48
		.amdhsa_user_sgpr_count 6
		.amdhsa_user_sgpr_private_segment_buffer 1
		.amdhsa_user_sgpr_dispatch_ptr 0
		.amdhsa_user_sgpr_queue_ptr 0
		.amdhsa_user_sgpr_kernarg_segment_ptr 1
		.amdhsa_user_sgpr_dispatch_id 0
		.amdhsa_user_sgpr_flat_scratch_init 0
		.amdhsa_user_sgpr_kernarg_preload_length 0
		.amdhsa_user_sgpr_kernarg_preload_offset 0
		.amdhsa_user_sgpr_private_segment_size 0
		.amdhsa_uses_dynamic_stack 0
		.amdhsa_system_sgpr_private_segment_wavefront_offset 0
		.amdhsa_system_sgpr_workgroup_id_x 1
		.amdhsa_system_sgpr_workgroup_id_y 0
		.amdhsa_system_sgpr_workgroup_id_z 0
		.amdhsa_system_sgpr_workgroup_info 0
		.amdhsa_system_vgpr_workitem_id 0
		.amdhsa_next_free_vgpr 1
		.amdhsa_next_free_sgpr 0
		.amdhsa_accum_offset 4
		.amdhsa_reserve_vcc 0
		.amdhsa_reserve_flat_scratch 0
		.amdhsa_float_round_mode_32 0
		.amdhsa_float_round_mode_16_64 0
		.amdhsa_float_denorm_mode_32 3
		.amdhsa_float_denorm_mode_16_64 3
		.amdhsa_dx10_clamp 1
		.amdhsa_ieee_mode 1
		.amdhsa_fp16_overflow 0
		.amdhsa_tg_split 0
		.amdhsa_exception_fp_ieee_invalid_op 0
		.amdhsa_exception_fp_denorm_src 0
		.amdhsa_exception_fp_ieee_div_zero 0
		.amdhsa_exception_fp_ieee_overflow 0
		.amdhsa_exception_fp_ieee_underflow 0
		.amdhsa_exception_fp_ieee_inexact 0
		.amdhsa_exception_int_div_zero 0
	.end_amdhsa_kernel
	.section	.text._ZN7rocprim17ROCPRIM_400000_NS6detail17trampoline_kernelINS0_13kernel_configILj256ELj4ELj4294967295EEENS1_37radix_sort_block_sort_config_selectorItNS0_10empty_typeEEEZNS1_21radix_sort_block_sortIS4_Lb0EPtS9_PS6_SA_NS0_19identity_decomposerEEE10hipError_tT1_T2_T3_T4_jRjT5_jjP12ihipStream_tbEUlT_E_NS1_11comp_targetILNS1_3genE10ELNS1_11target_archE1200ELNS1_3gpuE4ELNS1_3repE0EEENS1_44radix_sort_block_sort_config_static_selectorELNS0_4arch9wavefront6targetE1EEEvSD_,"axG",@progbits,_ZN7rocprim17ROCPRIM_400000_NS6detail17trampoline_kernelINS0_13kernel_configILj256ELj4ELj4294967295EEENS1_37radix_sort_block_sort_config_selectorItNS0_10empty_typeEEEZNS1_21radix_sort_block_sortIS4_Lb0EPtS9_PS6_SA_NS0_19identity_decomposerEEE10hipError_tT1_T2_T3_T4_jRjT5_jjP12ihipStream_tbEUlT_E_NS1_11comp_targetILNS1_3genE10ELNS1_11target_archE1200ELNS1_3gpuE4ELNS1_3repE0EEENS1_44radix_sort_block_sort_config_static_selectorELNS0_4arch9wavefront6targetE1EEEvSD_,comdat
.Lfunc_end454:
	.size	_ZN7rocprim17ROCPRIM_400000_NS6detail17trampoline_kernelINS0_13kernel_configILj256ELj4ELj4294967295EEENS1_37radix_sort_block_sort_config_selectorItNS0_10empty_typeEEEZNS1_21radix_sort_block_sortIS4_Lb0EPtS9_PS6_SA_NS0_19identity_decomposerEEE10hipError_tT1_T2_T3_T4_jRjT5_jjP12ihipStream_tbEUlT_E_NS1_11comp_targetILNS1_3genE10ELNS1_11target_archE1200ELNS1_3gpuE4ELNS1_3repE0EEENS1_44radix_sort_block_sort_config_static_selectorELNS0_4arch9wavefront6targetE1EEEvSD_, .Lfunc_end454-_ZN7rocprim17ROCPRIM_400000_NS6detail17trampoline_kernelINS0_13kernel_configILj256ELj4ELj4294967295EEENS1_37radix_sort_block_sort_config_selectorItNS0_10empty_typeEEEZNS1_21radix_sort_block_sortIS4_Lb0EPtS9_PS6_SA_NS0_19identity_decomposerEEE10hipError_tT1_T2_T3_T4_jRjT5_jjP12ihipStream_tbEUlT_E_NS1_11comp_targetILNS1_3genE10ELNS1_11target_archE1200ELNS1_3gpuE4ELNS1_3repE0EEENS1_44radix_sort_block_sort_config_static_selectorELNS0_4arch9wavefront6targetE1EEEvSD_
                                        ; -- End function
	.section	.AMDGPU.csdata,"",@progbits
; Kernel info:
; codeLenInByte = 0
; NumSgprs: 4
; NumVgprs: 0
; NumAgprs: 0
; TotalNumVgprs: 0
; ScratchSize: 0
; MemoryBound: 0
; FloatMode: 240
; IeeeMode: 1
; LDSByteSize: 0 bytes/workgroup (compile time only)
; SGPRBlocks: 0
; VGPRBlocks: 0
; NumSGPRsForWavesPerEU: 4
; NumVGPRsForWavesPerEU: 1
; AccumOffset: 4
; Occupancy: 8
; WaveLimiterHint : 0
; COMPUTE_PGM_RSRC2:SCRATCH_EN: 0
; COMPUTE_PGM_RSRC2:USER_SGPR: 6
; COMPUTE_PGM_RSRC2:TRAP_HANDLER: 0
; COMPUTE_PGM_RSRC2:TGID_X_EN: 1
; COMPUTE_PGM_RSRC2:TGID_Y_EN: 0
; COMPUTE_PGM_RSRC2:TGID_Z_EN: 0
; COMPUTE_PGM_RSRC2:TIDIG_COMP_CNT: 0
; COMPUTE_PGM_RSRC3_GFX90A:ACCUM_OFFSET: 0
; COMPUTE_PGM_RSRC3_GFX90A:TG_SPLIT: 0
	.section	.text._ZN7rocprim17ROCPRIM_400000_NS6detail17trampoline_kernelINS0_13kernel_configILj256ELj4ELj4294967295EEENS1_37radix_sort_block_sort_config_selectorItNS0_10empty_typeEEEZNS1_21radix_sort_block_sortIS4_Lb0EPtS9_PS6_SA_NS0_19identity_decomposerEEE10hipError_tT1_T2_T3_T4_jRjT5_jjP12ihipStream_tbEUlT_E_NS1_11comp_targetILNS1_3genE9ELNS1_11target_archE1100ELNS1_3gpuE3ELNS1_3repE0EEENS1_44radix_sort_block_sort_config_static_selectorELNS0_4arch9wavefront6targetE1EEEvSD_,"axG",@progbits,_ZN7rocprim17ROCPRIM_400000_NS6detail17trampoline_kernelINS0_13kernel_configILj256ELj4ELj4294967295EEENS1_37radix_sort_block_sort_config_selectorItNS0_10empty_typeEEEZNS1_21radix_sort_block_sortIS4_Lb0EPtS9_PS6_SA_NS0_19identity_decomposerEEE10hipError_tT1_T2_T3_T4_jRjT5_jjP12ihipStream_tbEUlT_E_NS1_11comp_targetILNS1_3genE9ELNS1_11target_archE1100ELNS1_3gpuE3ELNS1_3repE0EEENS1_44radix_sort_block_sort_config_static_selectorELNS0_4arch9wavefront6targetE1EEEvSD_,comdat
	.protected	_ZN7rocprim17ROCPRIM_400000_NS6detail17trampoline_kernelINS0_13kernel_configILj256ELj4ELj4294967295EEENS1_37radix_sort_block_sort_config_selectorItNS0_10empty_typeEEEZNS1_21radix_sort_block_sortIS4_Lb0EPtS9_PS6_SA_NS0_19identity_decomposerEEE10hipError_tT1_T2_T3_T4_jRjT5_jjP12ihipStream_tbEUlT_E_NS1_11comp_targetILNS1_3genE9ELNS1_11target_archE1100ELNS1_3gpuE3ELNS1_3repE0EEENS1_44radix_sort_block_sort_config_static_selectorELNS0_4arch9wavefront6targetE1EEEvSD_ ; -- Begin function _ZN7rocprim17ROCPRIM_400000_NS6detail17trampoline_kernelINS0_13kernel_configILj256ELj4ELj4294967295EEENS1_37radix_sort_block_sort_config_selectorItNS0_10empty_typeEEEZNS1_21radix_sort_block_sortIS4_Lb0EPtS9_PS6_SA_NS0_19identity_decomposerEEE10hipError_tT1_T2_T3_T4_jRjT5_jjP12ihipStream_tbEUlT_E_NS1_11comp_targetILNS1_3genE9ELNS1_11target_archE1100ELNS1_3gpuE3ELNS1_3repE0EEENS1_44radix_sort_block_sort_config_static_selectorELNS0_4arch9wavefront6targetE1EEEvSD_
	.globl	_ZN7rocprim17ROCPRIM_400000_NS6detail17trampoline_kernelINS0_13kernel_configILj256ELj4ELj4294967295EEENS1_37radix_sort_block_sort_config_selectorItNS0_10empty_typeEEEZNS1_21radix_sort_block_sortIS4_Lb0EPtS9_PS6_SA_NS0_19identity_decomposerEEE10hipError_tT1_T2_T3_T4_jRjT5_jjP12ihipStream_tbEUlT_E_NS1_11comp_targetILNS1_3genE9ELNS1_11target_archE1100ELNS1_3gpuE3ELNS1_3repE0EEENS1_44radix_sort_block_sort_config_static_selectorELNS0_4arch9wavefront6targetE1EEEvSD_
	.p2align	8
	.type	_ZN7rocprim17ROCPRIM_400000_NS6detail17trampoline_kernelINS0_13kernel_configILj256ELj4ELj4294967295EEENS1_37radix_sort_block_sort_config_selectorItNS0_10empty_typeEEEZNS1_21radix_sort_block_sortIS4_Lb0EPtS9_PS6_SA_NS0_19identity_decomposerEEE10hipError_tT1_T2_T3_T4_jRjT5_jjP12ihipStream_tbEUlT_E_NS1_11comp_targetILNS1_3genE9ELNS1_11target_archE1100ELNS1_3gpuE3ELNS1_3repE0EEENS1_44radix_sort_block_sort_config_static_selectorELNS0_4arch9wavefront6targetE1EEEvSD_,@function
_ZN7rocprim17ROCPRIM_400000_NS6detail17trampoline_kernelINS0_13kernel_configILj256ELj4ELj4294967295EEENS1_37radix_sort_block_sort_config_selectorItNS0_10empty_typeEEEZNS1_21radix_sort_block_sortIS4_Lb0EPtS9_PS6_SA_NS0_19identity_decomposerEEE10hipError_tT1_T2_T3_T4_jRjT5_jjP12ihipStream_tbEUlT_E_NS1_11comp_targetILNS1_3genE9ELNS1_11target_archE1100ELNS1_3gpuE3ELNS1_3repE0EEENS1_44radix_sort_block_sort_config_static_selectorELNS0_4arch9wavefront6targetE1EEEvSD_: ; @_ZN7rocprim17ROCPRIM_400000_NS6detail17trampoline_kernelINS0_13kernel_configILj256ELj4ELj4294967295EEENS1_37radix_sort_block_sort_config_selectorItNS0_10empty_typeEEEZNS1_21radix_sort_block_sortIS4_Lb0EPtS9_PS6_SA_NS0_19identity_decomposerEEE10hipError_tT1_T2_T3_T4_jRjT5_jjP12ihipStream_tbEUlT_E_NS1_11comp_targetILNS1_3genE9ELNS1_11target_archE1100ELNS1_3gpuE3ELNS1_3repE0EEENS1_44radix_sort_block_sort_config_static_selectorELNS0_4arch9wavefront6targetE1EEEvSD_
; %bb.0:
	.section	.rodata,"a",@progbits
	.p2align	6, 0x0
	.amdhsa_kernel _ZN7rocprim17ROCPRIM_400000_NS6detail17trampoline_kernelINS0_13kernel_configILj256ELj4ELj4294967295EEENS1_37radix_sort_block_sort_config_selectorItNS0_10empty_typeEEEZNS1_21radix_sort_block_sortIS4_Lb0EPtS9_PS6_SA_NS0_19identity_decomposerEEE10hipError_tT1_T2_T3_T4_jRjT5_jjP12ihipStream_tbEUlT_E_NS1_11comp_targetILNS1_3genE9ELNS1_11target_archE1100ELNS1_3gpuE3ELNS1_3repE0EEENS1_44radix_sort_block_sort_config_static_selectorELNS0_4arch9wavefront6targetE1EEEvSD_
		.amdhsa_group_segment_fixed_size 0
		.amdhsa_private_segment_fixed_size 0
		.amdhsa_kernarg_size 48
		.amdhsa_user_sgpr_count 6
		.amdhsa_user_sgpr_private_segment_buffer 1
		.amdhsa_user_sgpr_dispatch_ptr 0
		.amdhsa_user_sgpr_queue_ptr 0
		.amdhsa_user_sgpr_kernarg_segment_ptr 1
		.amdhsa_user_sgpr_dispatch_id 0
		.amdhsa_user_sgpr_flat_scratch_init 0
		.amdhsa_user_sgpr_kernarg_preload_length 0
		.amdhsa_user_sgpr_kernarg_preload_offset 0
		.amdhsa_user_sgpr_private_segment_size 0
		.amdhsa_uses_dynamic_stack 0
		.amdhsa_system_sgpr_private_segment_wavefront_offset 0
		.amdhsa_system_sgpr_workgroup_id_x 1
		.amdhsa_system_sgpr_workgroup_id_y 0
		.amdhsa_system_sgpr_workgroup_id_z 0
		.amdhsa_system_sgpr_workgroup_info 0
		.amdhsa_system_vgpr_workitem_id 0
		.amdhsa_next_free_vgpr 1
		.amdhsa_next_free_sgpr 0
		.amdhsa_accum_offset 4
		.amdhsa_reserve_vcc 0
		.amdhsa_reserve_flat_scratch 0
		.amdhsa_float_round_mode_32 0
		.amdhsa_float_round_mode_16_64 0
		.amdhsa_float_denorm_mode_32 3
		.amdhsa_float_denorm_mode_16_64 3
		.amdhsa_dx10_clamp 1
		.amdhsa_ieee_mode 1
		.amdhsa_fp16_overflow 0
		.amdhsa_tg_split 0
		.amdhsa_exception_fp_ieee_invalid_op 0
		.amdhsa_exception_fp_denorm_src 0
		.amdhsa_exception_fp_ieee_div_zero 0
		.amdhsa_exception_fp_ieee_overflow 0
		.amdhsa_exception_fp_ieee_underflow 0
		.amdhsa_exception_fp_ieee_inexact 0
		.amdhsa_exception_int_div_zero 0
	.end_amdhsa_kernel
	.section	.text._ZN7rocprim17ROCPRIM_400000_NS6detail17trampoline_kernelINS0_13kernel_configILj256ELj4ELj4294967295EEENS1_37radix_sort_block_sort_config_selectorItNS0_10empty_typeEEEZNS1_21radix_sort_block_sortIS4_Lb0EPtS9_PS6_SA_NS0_19identity_decomposerEEE10hipError_tT1_T2_T3_T4_jRjT5_jjP12ihipStream_tbEUlT_E_NS1_11comp_targetILNS1_3genE9ELNS1_11target_archE1100ELNS1_3gpuE3ELNS1_3repE0EEENS1_44radix_sort_block_sort_config_static_selectorELNS0_4arch9wavefront6targetE1EEEvSD_,"axG",@progbits,_ZN7rocprim17ROCPRIM_400000_NS6detail17trampoline_kernelINS0_13kernel_configILj256ELj4ELj4294967295EEENS1_37radix_sort_block_sort_config_selectorItNS0_10empty_typeEEEZNS1_21radix_sort_block_sortIS4_Lb0EPtS9_PS6_SA_NS0_19identity_decomposerEEE10hipError_tT1_T2_T3_T4_jRjT5_jjP12ihipStream_tbEUlT_E_NS1_11comp_targetILNS1_3genE9ELNS1_11target_archE1100ELNS1_3gpuE3ELNS1_3repE0EEENS1_44radix_sort_block_sort_config_static_selectorELNS0_4arch9wavefront6targetE1EEEvSD_,comdat
.Lfunc_end455:
	.size	_ZN7rocprim17ROCPRIM_400000_NS6detail17trampoline_kernelINS0_13kernel_configILj256ELj4ELj4294967295EEENS1_37radix_sort_block_sort_config_selectorItNS0_10empty_typeEEEZNS1_21radix_sort_block_sortIS4_Lb0EPtS9_PS6_SA_NS0_19identity_decomposerEEE10hipError_tT1_T2_T3_T4_jRjT5_jjP12ihipStream_tbEUlT_E_NS1_11comp_targetILNS1_3genE9ELNS1_11target_archE1100ELNS1_3gpuE3ELNS1_3repE0EEENS1_44radix_sort_block_sort_config_static_selectorELNS0_4arch9wavefront6targetE1EEEvSD_, .Lfunc_end455-_ZN7rocprim17ROCPRIM_400000_NS6detail17trampoline_kernelINS0_13kernel_configILj256ELj4ELj4294967295EEENS1_37radix_sort_block_sort_config_selectorItNS0_10empty_typeEEEZNS1_21radix_sort_block_sortIS4_Lb0EPtS9_PS6_SA_NS0_19identity_decomposerEEE10hipError_tT1_T2_T3_T4_jRjT5_jjP12ihipStream_tbEUlT_E_NS1_11comp_targetILNS1_3genE9ELNS1_11target_archE1100ELNS1_3gpuE3ELNS1_3repE0EEENS1_44radix_sort_block_sort_config_static_selectorELNS0_4arch9wavefront6targetE1EEEvSD_
                                        ; -- End function
	.section	.AMDGPU.csdata,"",@progbits
; Kernel info:
; codeLenInByte = 0
; NumSgprs: 4
; NumVgprs: 0
; NumAgprs: 0
; TotalNumVgprs: 0
; ScratchSize: 0
; MemoryBound: 0
; FloatMode: 240
; IeeeMode: 1
; LDSByteSize: 0 bytes/workgroup (compile time only)
; SGPRBlocks: 0
; VGPRBlocks: 0
; NumSGPRsForWavesPerEU: 4
; NumVGPRsForWavesPerEU: 1
; AccumOffset: 4
; Occupancy: 8
; WaveLimiterHint : 0
; COMPUTE_PGM_RSRC2:SCRATCH_EN: 0
; COMPUTE_PGM_RSRC2:USER_SGPR: 6
; COMPUTE_PGM_RSRC2:TRAP_HANDLER: 0
; COMPUTE_PGM_RSRC2:TGID_X_EN: 1
; COMPUTE_PGM_RSRC2:TGID_Y_EN: 0
; COMPUTE_PGM_RSRC2:TGID_Z_EN: 0
; COMPUTE_PGM_RSRC2:TIDIG_COMP_CNT: 0
; COMPUTE_PGM_RSRC3_GFX90A:ACCUM_OFFSET: 0
; COMPUTE_PGM_RSRC3_GFX90A:TG_SPLIT: 0
	.section	.text._ZN7rocprim17ROCPRIM_400000_NS6detail17trampoline_kernelINS0_13kernel_configILj256ELj4ELj4294967295EEENS1_37radix_sort_block_sort_config_selectorItNS0_10empty_typeEEEZNS1_21radix_sort_block_sortIS4_Lb0EPtS9_PS6_SA_NS0_19identity_decomposerEEE10hipError_tT1_T2_T3_T4_jRjT5_jjP12ihipStream_tbEUlT_E_NS1_11comp_targetILNS1_3genE8ELNS1_11target_archE1030ELNS1_3gpuE2ELNS1_3repE0EEENS1_44radix_sort_block_sort_config_static_selectorELNS0_4arch9wavefront6targetE1EEEvSD_,"axG",@progbits,_ZN7rocprim17ROCPRIM_400000_NS6detail17trampoline_kernelINS0_13kernel_configILj256ELj4ELj4294967295EEENS1_37radix_sort_block_sort_config_selectorItNS0_10empty_typeEEEZNS1_21radix_sort_block_sortIS4_Lb0EPtS9_PS6_SA_NS0_19identity_decomposerEEE10hipError_tT1_T2_T3_T4_jRjT5_jjP12ihipStream_tbEUlT_E_NS1_11comp_targetILNS1_3genE8ELNS1_11target_archE1030ELNS1_3gpuE2ELNS1_3repE0EEENS1_44radix_sort_block_sort_config_static_selectorELNS0_4arch9wavefront6targetE1EEEvSD_,comdat
	.protected	_ZN7rocprim17ROCPRIM_400000_NS6detail17trampoline_kernelINS0_13kernel_configILj256ELj4ELj4294967295EEENS1_37radix_sort_block_sort_config_selectorItNS0_10empty_typeEEEZNS1_21radix_sort_block_sortIS4_Lb0EPtS9_PS6_SA_NS0_19identity_decomposerEEE10hipError_tT1_T2_T3_T4_jRjT5_jjP12ihipStream_tbEUlT_E_NS1_11comp_targetILNS1_3genE8ELNS1_11target_archE1030ELNS1_3gpuE2ELNS1_3repE0EEENS1_44radix_sort_block_sort_config_static_selectorELNS0_4arch9wavefront6targetE1EEEvSD_ ; -- Begin function _ZN7rocprim17ROCPRIM_400000_NS6detail17trampoline_kernelINS0_13kernel_configILj256ELj4ELj4294967295EEENS1_37radix_sort_block_sort_config_selectorItNS0_10empty_typeEEEZNS1_21radix_sort_block_sortIS4_Lb0EPtS9_PS6_SA_NS0_19identity_decomposerEEE10hipError_tT1_T2_T3_T4_jRjT5_jjP12ihipStream_tbEUlT_E_NS1_11comp_targetILNS1_3genE8ELNS1_11target_archE1030ELNS1_3gpuE2ELNS1_3repE0EEENS1_44radix_sort_block_sort_config_static_selectorELNS0_4arch9wavefront6targetE1EEEvSD_
	.globl	_ZN7rocprim17ROCPRIM_400000_NS6detail17trampoline_kernelINS0_13kernel_configILj256ELj4ELj4294967295EEENS1_37radix_sort_block_sort_config_selectorItNS0_10empty_typeEEEZNS1_21radix_sort_block_sortIS4_Lb0EPtS9_PS6_SA_NS0_19identity_decomposerEEE10hipError_tT1_T2_T3_T4_jRjT5_jjP12ihipStream_tbEUlT_E_NS1_11comp_targetILNS1_3genE8ELNS1_11target_archE1030ELNS1_3gpuE2ELNS1_3repE0EEENS1_44radix_sort_block_sort_config_static_selectorELNS0_4arch9wavefront6targetE1EEEvSD_
	.p2align	8
	.type	_ZN7rocprim17ROCPRIM_400000_NS6detail17trampoline_kernelINS0_13kernel_configILj256ELj4ELj4294967295EEENS1_37radix_sort_block_sort_config_selectorItNS0_10empty_typeEEEZNS1_21radix_sort_block_sortIS4_Lb0EPtS9_PS6_SA_NS0_19identity_decomposerEEE10hipError_tT1_T2_T3_T4_jRjT5_jjP12ihipStream_tbEUlT_E_NS1_11comp_targetILNS1_3genE8ELNS1_11target_archE1030ELNS1_3gpuE2ELNS1_3repE0EEENS1_44radix_sort_block_sort_config_static_selectorELNS0_4arch9wavefront6targetE1EEEvSD_,@function
_ZN7rocprim17ROCPRIM_400000_NS6detail17trampoline_kernelINS0_13kernel_configILj256ELj4ELj4294967295EEENS1_37radix_sort_block_sort_config_selectorItNS0_10empty_typeEEEZNS1_21radix_sort_block_sortIS4_Lb0EPtS9_PS6_SA_NS0_19identity_decomposerEEE10hipError_tT1_T2_T3_T4_jRjT5_jjP12ihipStream_tbEUlT_E_NS1_11comp_targetILNS1_3genE8ELNS1_11target_archE1030ELNS1_3gpuE2ELNS1_3repE0EEENS1_44radix_sort_block_sort_config_static_selectorELNS0_4arch9wavefront6targetE1EEEvSD_: ; @_ZN7rocprim17ROCPRIM_400000_NS6detail17trampoline_kernelINS0_13kernel_configILj256ELj4ELj4294967295EEENS1_37radix_sort_block_sort_config_selectorItNS0_10empty_typeEEEZNS1_21radix_sort_block_sortIS4_Lb0EPtS9_PS6_SA_NS0_19identity_decomposerEEE10hipError_tT1_T2_T3_T4_jRjT5_jjP12ihipStream_tbEUlT_E_NS1_11comp_targetILNS1_3genE8ELNS1_11target_archE1030ELNS1_3gpuE2ELNS1_3repE0EEENS1_44radix_sort_block_sort_config_static_selectorELNS0_4arch9wavefront6targetE1EEEvSD_
; %bb.0:
	.section	.rodata,"a",@progbits
	.p2align	6, 0x0
	.amdhsa_kernel _ZN7rocprim17ROCPRIM_400000_NS6detail17trampoline_kernelINS0_13kernel_configILj256ELj4ELj4294967295EEENS1_37radix_sort_block_sort_config_selectorItNS0_10empty_typeEEEZNS1_21radix_sort_block_sortIS4_Lb0EPtS9_PS6_SA_NS0_19identity_decomposerEEE10hipError_tT1_T2_T3_T4_jRjT5_jjP12ihipStream_tbEUlT_E_NS1_11comp_targetILNS1_3genE8ELNS1_11target_archE1030ELNS1_3gpuE2ELNS1_3repE0EEENS1_44radix_sort_block_sort_config_static_selectorELNS0_4arch9wavefront6targetE1EEEvSD_
		.amdhsa_group_segment_fixed_size 0
		.amdhsa_private_segment_fixed_size 0
		.amdhsa_kernarg_size 48
		.amdhsa_user_sgpr_count 6
		.amdhsa_user_sgpr_private_segment_buffer 1
		.amdhsa_user_sgpr_dispatch_ptr 0
		.amdhsa_user_sgpr_queue_ptr 0
		.amdhsa_user_sgpr_kernarg_segment_ptr 1
		.amdhsa_user_sgpr_dispatch_id 0
		.amdhsa_user_sgpr_flat_scratch_init 0
		.amdhsa_user_sgpr_kernarg_preload_length 0
		.amdhsa_user_sgpr_kernarg_preload_offset 0
		.amdhsa_user_sgpr_private_segment_size 0
		.amdhsa_uses_dynamic_stack 0
		.amdhsa_system_sgpr_private_segment_wavefront_offset 0
		.amdhsa_system_sgpr_workgroup_id_x 1
		.amdhsa_system_sgpr_workgroup_id_y 0
		.amdhsa_system_sgpr_workgroup_id_z 0
		.amdhsa_system_sgpr_workgroup_info 0
		.amdhsa_system_vgpr_workitem_id 0
		.amdhsa_next_free_vgpr 1
		.amdhsa_next_free_sgpr 0
		.amdhsa_accum_offset 4
		.amdhsa_reserve_vcc 0
		.amdhsa_reserve_flat_scratch 0
		.amdhsa_float_round_mode_32 0
		.amdhsa_float_round_mode_16_64 0
		.amdhsa_float_denorm_mode_32 3
		.amdhsa_float_denorm_mode_16_64 3
		.amdhsa_dx10_clamp 1
		.amdhsa_ieee_mode 1
		.amdhsa_fp16_overflow 0
		.amdhsa_tg_split 0
		.amdhsa_exception_fp_ieee_invalid_op 0
		.amdhsa_exception_fp_denorm_src 0
		.amdhsa_exception_fp_ieee_div_zero 0
		.amdhsa_exception_fp_ieee_overflow 0
		.amdhsa_exception_fp_ieee_underflow 0
		.amdhsa_exception_fp_ieee_inexact 0
		.amdhsa_exception_int_div_zero 0
	.end_amdhsa_kernel
	.section	.text._ZN7rocprim17ROCPRIM_400000_NS6detail17trampoline_kernelINS0_13kernel_configILj256ELj4ELj4294967295EEENS1_37radix_sort_block_sort_config_selectorItNS0_10empty_typeEEEZNS1_21radix_sort_block_sortIS4_Lb0EPtS9_PS6_SA_NS0_19identity_decomposerEEE10hipError_tT1_T2_T3_T4_jRjT5_jjP12ihipStream_tbEUlT_E_NS1_11comp_targetILNS1_3genE8ELNS1_11target_archE1030ELNS1_3gpuE2ELNS1_3repE0EEENS1_44radix_sort_block_sort_config_static_selectorELNS0_4arch9wavefront6targetE1EEEvSD_,"axG",@progbits,_ZN7rocprim17ROCPRIM_400000_NS6detail17trampoline_kernelINS0_13kernel_configILj256ELj4ELj4294967295EEENS1_37radix_sort_block_sort_config_selectorItNS0_10empty_typeEEEZNS1_21radix_sort_block_sortIS4_Lb0EPtS9_PS6_SA_NS0_19identity_decomposerEEE10hipError_tT1_T2_T3_T4_jRjT5_jjP12ihipStream_tbEUlT_E_NS1_11comp_targetILNS1_3genE8ELNS1_11target_archE1030ELNS1_3gpuE2ELNS1_3repE0EEENS1_44radix_sort_block_sort_config_static_selectorELNS0_4arch9wavefront6targetE1EEEvSD_,comdat
.Lfunc_end456:
	.size	_ZN7rocprim17ROCPRIM_400000_NS6detail17trampoline_kernelINS0_13kernel_configILj256ELj4ELj4294967295EEENS1_37radix_sort_block_sort_config_selectorItNS0_10empty_typeEEEZNS1_21radix_sort_block_sortIS4_Lb0EPtS9_PS6_SA_NS0_19identity_decomposerEEE10hipError_tT1_T2_T3_T4_jRjT5_jjP12ihipStream_tbEUlT_E_NS1_11comp_targetILNS1_3genE8ELNS1_11target_archE1030ELNS1_3gpuE2ELNS1_3repE0EEENS1_44radix_sort_block_sort_config_static_selectorELNS0_4arch9wavefront6targetE1EEEvSD_, .Lfunc_end456-_ZN7rocprim17ROCPRIM_400000_NS6detail17trampoline_kernelINS0_13kernel_configILj256ELj4ELj4294967295EEENS1_37radix_sort_block_sort_config_selectorItNS0_10empty_typeEEEZNS1_21radix_sort_block_sortIS4_Lb0EPtS9_PS6_SA_NS0_19identity_decomposerEEE10hipError_tT1_T2_T3_T4_jRjT5_jjP12ihipStream_tbEUlT_E_NS1_11comp_targetILNS1_3genE8ELNS1_11target_archE1030ELNS1_3gpuE2ELNS1_3repE0EEENS1_44radix_sort_block_sort_config_static_selectorELNS0_4arch9wavefront6targetE1EEEvSD_
                                        ; -- End function
	.section	.AMDGPU.csdata,"",@progbits
; Kernel info:
; codeLenInByte = 0
; NumSgprs: 4
; NumVgprs: 0
; NumAgprs: 0
; TotalNumVgprs: 0
; ScratchSize: 0
; MemoryBound: 0
; FloatMode: 240
; IeeeMode: 1
; LDSByteSize: 0 bytes/workgroup (compile time only)
; SGPRBlocks: 0
; VGPRBlocks: 0
; NumSGPRsForWavesPerEU: 4
; NumVGPRsForWavesPerEU: 1
; AccumOffset: 4
; Occupancy: 8
; WaveLimiterHint : 0
; COMPUTE_PGM_RSRC2:SCRATCH_EN: 0
; COMPUTE_PGM_RSRC2:USER_SGPR: 6
; COMPUTE_PGM_RSRC2:TRAP_HANDLER: 0
; COMPUTE_PGM_RSRC2:TGID_X_EN: 1
; COMPUTE_PGM_RSRC2:TGID_Y_EN: 0
; COMPUTE_PGM_RSRC2:TGID_Z_EN: 0
; COMPUTE_PGM_RSRC2:TIDIG_COMP_CNT: 0
; COMPUTE_PGM_RSRC3_GFX90A:ACCUM_OFFSET: 0
; COMPUTE_PGM_RSRC3_GFX90A:TG_SPLIT: 0
	.section	.text._ZN7rocprim17ROCPRIM_400000_NS6detail44device_merge_sort_compile_time_verifier_archINS1_11comp_targetILNS1_3genE0ELNS1_11target_archE4294967295ELNS1_3gpuE0ELNS1_3repE0EEES8_NS1_28merge_sort_block_sort_configILj256ELj4ELNS0_20block_sort_algorithmE0EEENS0_14default_configENS1_37merge_sort_block_sort_config_selectorItNS0_10empty_typeEEENS1_38merge_sort_block_merge_config_selectorItSE_EEEEvv,"axG",@progbits,_ZN7rocprim17ROCPRIM_400000_NS6detail44device_merge_sort_compile_time_verifier_archINS1_11comp_targetILNS1_3genE0ELNS1_11target_archE4294967295ELNS1_3gpuE0ELNS1_3repE0EEES8_NS1_28merge_sort_block_sort_configILj256ELj4ELNS0_20block_sort_algorithmE0EEENS0_14default_configENS1_37merge_sort_block_sort_config_selectorItNS0_10empty_typeEEENS1_38merge_sort_block_merge_config_selectorItSE_EEEEvv,comdat
	.protected	_ZN7rocprim17ROCPRIM_400000_NS6detail44device_merge_sort_compile_time_verifier_archINS1_11comp_targetILNS1_3genE0ELNS1_11target_archE4294967295ELNS1_3gpuE0ELNS1_3repE0EEES8_NS1_28merge_sort_block_sort_configILj256ELj4ELNS0_20block_sort_algorithmE0EEENS0_14default_configENS1_37merge_sort_block_sort_config_selectorItNS0_10empty_typeEEENS1_38merge_sort_block_merge_config_selectorItSE_EEEEvv ; -- Begin function _ZN7rocprim17ROCPRIM_400000_NS6detail44device_merge_sort_compile_time_verifier_archINS1_11comp_targetILNS1_3genE0ELNS1_11target_archE4294967295ELNS1_3gpuE0ELNS1_3repE0EEES8_NS1_28merge_sort_block_sort_configILj256ELj4ELNS0_20block_sort_algorithmE0EEENS0_14default_configENS1_37merge_sort_block_sort_config_selectorItNS0_10empty_typeEEENS1_38merge_sort_block_merge_config_selectorItSE_EEEEvv
	.globl	_ZN7rocprim17ROCPRIM_400000_NS6detail44device_merge_sort_compile_time_verifier_archINS1_11comp_targetILNS1_3genE0ELNS1_11target_archE4294967295ELNS1_3gpuE0ELNS1_3repE0EEES8_NS1_28merge_sort_block_sort_configILj256ELj4ELNS0_20block_sort_algorithmE0EEENS0_14default_configENS1_37merge_sort_block_sort_config_selectorItNS0_10empty_typeEEENS1_38merge_sort_block_merge_config_selectorItSE_EEEEvv
	.p2align	8
	.type	_ZN7rocprim17ROCPRIM_400000_NS6detail44device_merge_sort_compile_time_verifier_archINS1_11comp_targetILNS1_3genE0ELNS1_11target_archE4294967295ELNS1_3gpuE0ELNS1_3repE0EEES8_NS1_28merge_sort_block_sort_configILj256ELj4ELNS0_20block_sort_algorithmE0EEENS0_14default_configENS1_37merge_sort_block_sort_config_selectorItNS0_10empty_typeEEENS1_38merge_sort_block_merge_config_selectorItSE_EEEEvv,@function
_ZN7rocprim17ROCPRIM_400000_NS6detail44device_merge_sort_compile_time_verifier_archINS1_11comp_targetILNS1_3genE0ELNS1_11target_archE4294967295ELNS1_3gpuE0ELNS1_3repE0EEES8_NS1_28merge_sort_block_sort_configILj256ELj4ELNS0_20block_sort_algorithmE0EEENS0_14default_configENS1_37merge_sort_block_sort_config_selectorItNS0_10empty_typeEEENS1_38merge_sort_block_merge_config_selectorItSE_EEEEvv: ; @_ZN7rocprim17ROCPRIM_400000_NS6detail44device_merge_sort_compile_time_verifier_archINS1_11comp_targetILNS1_3genE0ELNS1_11target_archE4294967295ELNS1_3gpuE0ELNS1_3repE0EEES8_NS1_28merge_sort_block_sort_configILj256ELj4ELNS0_20block_sort_algorithmE0EEENS0_14default_configENS1_37merge_sort_block_sort_config_selectorItNS0_10empty_typeEEENS1_38merge_sort_block_merge_config_selectorItSE_EEEEvv
; %bb.0:
	s_endpgm
	.section	.rodata,"a",@progbits
	.p2align	6, 0x0
	.amdhsa_kernel _ZN7rocprim17ROCPRIM_400000_NS6detail44device_merge_sort_compile_time_verifier_archINS1_11comp_targetILNS1_3genE0ELNS1_11target_archE4294967295ELNS1_3gpuE0ELNS1_3repE0EEES8_NS1_28merge_sort_block_sort_configILj256ELj4ELNS0_20block_sort_algorithmE0EEENS0_14default_configENS1_37merge_sort_block_sort_config_selectorItNS0_10empty_typeEEENS1_38merge_sort_block_merge_config_selectorItSE_EEEEvv
		.amdhsa_group_segment_fixed_size 0
		.amdhsa_private_segment_fixed_size 0
		.amdhsa_kernarg_size 0
		.amdhsa_user_sgpr_count 4
		.amdhsa_user_sgpr_private_segment_buffer 1
		.amdhsa_user_sgpr_dispatch_ptr 0
		.amdhsa_user_sgpr_queue_ptr 0
		.amdhsa_user_sgpr_kernarg_segment_ptr 0
		.amdhsa_user_sgpr_dispatch_id 0
		.amdhsa_user_sgpr_flat_scratch_init 0
		.amdhsa_user_sgpr_kernarg_preload_length 0
		.amdhsa_user_sgpr_kernarg_preload_offset 0
		.amdhsa_user_sgpr_private_segment_size 0
		.amdhsa_uses_dynamic_stack 0
		.amdhsa_system_sgpr_private_segment_wavefront_offset 0
		.amdhsa_system_sgpr_workgroup_id_x 1
		.amdhsa_system_sgpr_workgroup_id_y 0
		.amdhsa_system_sgpr_workgroup_id_z 0
		.amdhsa_system_sgpr_workgroup_info 0
		.amdhsa_system_vgpr_workitem_id 0
		.amdhsa_next_free_vgpr 1
		.amdhsa_next_free_sgpr 0
		.amdhsa_accum_offset 4
		.amdhsa_reserve_vcc 0
		.amdhsa_reserve_flat_scratch 0
		.amdhsa_float_round_mode_32 0
		.amdhsa_float_round_mode_16_64 0
		.amdhsa_float_denorm_mode_32 3
		.amdhsa_float_denorm_mode_16_64 3
		.amdhsa_dx10_clamp 1
		.amdhsa_ieee_mode 1
		.amdhsa_fp16_overflow 0
		.amdhsa_tg_split 0
		.amdhsa_exception_fp_ieee_invalid_op 0
		.amdhsa_exception_fp_denorm_src 0
		.amdhsa_exception_fp_ieee_div_zero 0
		.amdhsa_exception_fp_ieee_overflow 0
		.amdhsa_exception_fp_ieee_underflow 0
		.amdhsa_exception_fp_ieee_inexact 0
		.amdhsa_exception_int_div_zero 0
	.end_amdhsa_kernel
	.section	.text._ZN7rocprim17ROCPRIM_400000_NS6detail44device_merge_sort_compile_time_verifier_archINS1_11comp_targetILNS1_3genE0ELNS1_11target_archE4294967295ELNS1_3gpuE0ELNS1_3repE0EEES8_NS1_28merge_sort_block_sort_configILj256ELj4ELNS0_20block_sort_algorithmE0EEENS0_14default_configENS1_37merge_sort_block_sort_config_selectorItNS0_10empty_typeEEENS1_38merge_sort_block_merge_config_selectorItSE_EEEEvv,"axG",@progbits,_ZN7rocprim17ROCPRIM_400000_NS6detail44device_merge_sort_compile_time_verifier_archINS1_11comp_targetILNS1_3genE0ELNS1_11target_archE4294967295ELNS1_3gpuE0ELNS1_3repE0EEES8_NS1_28merge_sort_block_sort_configILj256ELj4ELNS0_20block_sort_algorithmE0EEENS0_14default_configENS1_37merge_sort_block_sort_config_selectorItNS0_10empty_typeEEENS1_38merge_sort_block_merge_config_selectorItSE_EEEEvv,comdat
.Lfunc_end457:
	.size	_ZN7rocprim17ROCPRIM_400000_NS6detail44device_merge_sort_compile_time_verifier_archINS1_11comp_targetILNS1_3genE0ELNS1_11target_archE4294967295ELNS1_3gpuE0ELNS1_3repE0EEES8_NS1_28merge_sort_block_sort_configILj256ELj4ELNS0_20block_sort_algorithmE0EEENS0_14default_configENS1_37merge_sort_block_sort_config_selectorItNS0_10empty_typeEEENS1_38merge_sort_block_merge_config_selectorItSE_EEEEvv, .Lfunc_end457-_ZN7rocprim17ROCPRIM_400000_NS6detail44device_merge_sort_compile_time_verifier_archINS1_11comp_targetILNS1_3genE0ELNS1_11target_archE4294967295ELNS1_3gpuE0ELNS1_3repE0EEES8_NS1_28merge_sort_block_sort_configILj256ELj4ELNS0_20block_sort_algorithmE0EEENS0_14default_configENS1_37merge_sort_block_sort_config_selectorItNS0_10empty_typeEEENS1_38merge_sort_block_merge_config_selectorItSE_EEEEvv
                                        ; -- End function
	.section	.AMDGPU.csdata,"",@progbits
; Kernel info:
; codeLenInByte = 4
; NumSgprs: 4
; NumVgprs: 0
; NumAgprs: 0
; TotalNumVgprs: 0
; ScratchSize: 0
; MemoryBound: 0
; FloatMode: 240
; IeeeMode: 1
; LDSByteSize: 0 bytes/workgroup (compile time only)
; SGPRBlocks: 0
; VGPRBlocks: 0
; NumSGPRsForWavesPerEU: 4
; NumVGPRsForWavesPerEU: 1
; AccumOffset: 4
; Occupancy: 8
; WaveLimiterHint : 0
; COMPUTE_PGM_RSRC2:SCRATCH_EN: 0
; COMPUTE_PGM_RSRC2:USER_SGPR: 4
; COMPUTE_PGM_RSRC2:TRAP_HANDLER: 0
; COMPUTE_PGM_RSRC2:TGID_X_EN: 1
; COMPUTE_PGM_RSRC2:TGID_Y_EN: 0
; COMPUTE_PGM_RSRC2:TGID_Z_EN: 0
; COMPUTE_PGM_RSRC2:TIDIG_COMP_CNT: 0
; COMPUTE_PGM_RSRC3_GFX90A:ACCUM_OFFSET: 0
; COMPUTE_PGM_RSRC3_GFX90A:TG_SPLIT: 0
	.section	.text._ZN7rocprim17ROCPRIM_400000_NS6detail44device_merge_sort_compile_time_verifier_archINS1_11comp_targetILNS1_3genE5ELNS1_11target_archE942ELNS1_3gpuE9ELNS1_3repE0EEES8_NS1_28merge_sort_block_sort_configILj256ELj4ELNS0_20block_sort_algorithmE0EEENS0_14default_configENS1_37merge_sort_block_sort_config_selectorItNS0_10empty_typeEEENS1_38merge_sort_block_merge_config_selectorItSE_EEEEvv,"axG",@progbits,_ZN7rocprim17ROCPRIM_400000_NS6detail44device_merge_sort_compile_time_verifier_archINS1_11comp_targetILNS1_3genE5ELNS1_11target_archE942ELNS1_3gpuE9ELNS1_3repE0EEES8_NS1_28merge_sort_block_sort_configILj256ELj4ELNS0_20block_sort_algorithmE0EEENS0_14default_configENS1_37merge_sort_block_sort_config_selectorItNS0_10empty_typeEEENS1_38merge_sort_block_merge_config_selectorItSE_EEEEvv,comdat
	.protected	_ZN7rocprim17ROCPRIM_400000_NS6detail44device_merge_sort_compile_time_verifier_archINS1_11comp_targetILNS1_3genE5ELNS1_11target_archE942ELNS1_3gpuE9ELNS1_3repE0EEES8_NS1_28merge_sort_block_sort_configILj256ELj4ELNS0_20block_sort_algorithmE0EEENS0_14default_configENS1_37merge_sort_block_sort_config_selectorItNS0_10empty_typeEEENS1_38merge_sort_block_merge_config_selectorItSE_EEEEvv ; -- Begin function _ZN7rocprim17ROCPRIM_400000_NS6detail44device_merge_sort_compile_time_verifier_archINS1_11comp_targetILNS1_3genE5ELNS1_11target_archE942ELNS1_3gpuE9ELNS1_3repE0EEES8_NS1_28merge_sort_block_sort_configILj256ELj4ELNS0_20block_sort_algorithmE0EEENS0_14default_configENS1_37merge_sort_block_sort_config_selectorItNS0_10empty_typeEEENS1_38merge_sort_block_merge_config_selectorItSE_EEEEvv
	.globl	_ZN7rocprim17ROCPRIM_400000_NS6detail44device_merge_sort_compile_time_verifier_archINS1_11comp_targetILNS1_3genE5ELNS1_11target_archE942ELNS1_3gpuE9ELNS1_3repE0EEES8_NS1_28merge_sort_block_sort_configILj256ELj4ELNS0_20block_sort_algorithmE0EEENS0_14default_configENS1_37merge_sort_block_sort_config_selectorItNS0_10empty_typeEEENS1_38merge_sort_block_merge_config_selectorItSE_EEEEvv
	.p2align	8
	.type	_ZN7rocprim17ROCPRIM_400000_NS6detail44device_merge_sort_compile_time_verifier_archINS1_11comp_targetILNS1_3genE5ELNS1_11target_archE942ELNS1_3gpuE9ELNS1_3repE0EEES8_NS1_28merge_sort_block_sort_configILj256ELj4ELNS0_20block_sort_algorithmE0EEENS0_14default_configENS1_37merge_sort_block_sort_config_selectorItNS0_10empty_typeEEENS1_38merge_sort_block_merge_config_selectorItSE_EEEEvv,@function
_ZN7rocprim17ROCPRIM_400000_NS6detail44device_merge_sort_compile_time_verifier_archINS1_11comp_targetILNS1_3genE5ELNS1_11target_archE942ELNS1_3gpuE9ELNS1_3repE0EEES8_NS1_28merge_sort_block_sort_configILj256ELj4ELNS0_20block_sort_algorithmE0EEENS0_14default_configENS1_37merge_sort_block_sort_config_selectorItNS0_10empty_typeEEENS1_38merge_sort_block_merge_config_selectorItSE_EEEEvv: ; @_ZN7rocprim17ROCPRIM_400000_NS6detail44device_merge_sort_compile_time_verifier_archINS1_11comp_targetILNS1_3genE5ELNS1_11target_archE942ELNS1_3gpuE9ELNS1_3repE0EEES8_NS1_28merge_sort_block_sort_configILj256ELj4ELNS0_20block_sort_algorithmE0EEENS0_14default_configENS1_37merge_sort_block_sort_config_selectorItNS0_10empty_typeEEENS1_38merge_sort_block_merge_config_selectorItSE_EEEEvv
; %bb.0:
	s_endpgm
	.section	.rodata,"a",@progbits
	.p2align	6, 0x0
	.amdhsa_kernel _ZN7rocprim17ROCPRIM_400000_NS6detail44device_merge_sort_compile_time_verifier_archINS1_11comp_targetILNS1_3genE5ELNS1_11target_archE942ELNS1_3gpuE9ELNS1_3repE0EEES8_NS1_28merge_sort_block_sort_configILj256ELj4ELNS0_20block_sort_algorithmE0EEENS0_14default_configENS1_37merge_sort_block_sort_config_selectorItNS0_10empty_typeEEENS1_38merge_sort_block_merge_config_selectorItSE_EEEEvv
		.amdhsa_group_segment_fixed_size 0
		.amdhsa_private_segment_fixed_size 0
		.amdhsa_kernarg_size 0
		.amdhsa_user_sgpr_count 4
		.amdhsa_user_sgpr_private_segment_buffer 1
		.amdhsa_user_sgpr_dispatch_ptr 0
		.amdhsa_user_sgpr_queue_ptr 0
		.amdhsa_user_sgpr_kernarg_segment_ptr 0
		.amdhsa_user_sgpr_dispatch_id 0
		.amdhsa_user_sgpr_flat_scratch_init 0
		.amdhsa_user_sgpr_kernarg_preload_length 0
		.amdhsa_user_sgpr_kernarg_preload_offset 0
		.amdhsa_user_sgpr_private_segment_size 0
		.amdhsa_uses_dynamic_stack 0
		.amdhsa_system_sgpr_private_segment_wavefront_offset 0
		.amdhsa_system_sgpr_workgroup_id_x 1
		.amdhsa_system_sgpr_workgroup_id_y 0
		.amdhsa_system_sgpr_workgroup_id_z 0
		.amdhsa_system_sgpr_workgroup_info 0
		.amdhsa_system_vgpr_workitem_id 0
		.amdhsa_next_free_vgpr 1
		.amdhsa_next_free_sgpr 0
		.amdhsa_accum_offset 4
		.amdhsa_reserve_vcc 0
		.amdhsa_reserve_flat_scratch 0
		.amdhsa_float_round_mode_32 0
		.amdhsa_float_round_mode_16_64 0
		.amdhsa_float_denorm_mode_32 3
		.amdhsa_float_denorm_mode_16_64 3
		.amdhsa_dx10_clamp 1
		.amdhsa_ieee_mode 1
		.amdhsa_fp16_overflow 0
		.amdhsa_tg_split 0
		.amdhsa_exception_fp_ieee_invalid_op 0
		.amdhsa_exception_fp_denorm_src 0
		.amdhsa_exception_fp_ieee_div_zero 0
		.amdhsa_exception_fp_ieee_overflow 0
		.amdhsa_exception_fp_ieee_underflow 0
		.amdhsa_exception_fp_ieee_inexact 0
		.amdhsa_exception_int_div_zero 0
	.end_amdhsa_kernel
	.section	.text._ZN7rocprim17ROCPRIM_400000_NS6detail44device_merge_sort_compile_time_verifier_archINS1_11comp_targetILNS1_3genE5ELNS1_11target_archE942ELNS1_3gpuE9ELNS1_3repE0EEES8_NS1_28merge_sort_block_sort_configILj256ELj4ELNS0_20block_sort_algorithmE0EEENS0_14default_configENS1_37merge_sort_block_sort_config_selectorItNS0_10empty_typeEEENS1_38merge_sort_block_merge_config_selectorItSE_EEEEvv,"axG",@progbits,_ZN7rocprim17ROCPRIM_400000_NS6detail44device_merge_sort_compile_time_verifier_archINS1_11comp_targetILNS1_3genE5ELNS1_11target_archE942ELNS1_3gpuE9ELNS1_3repE0EEES8_NS1_28merge_sort_block_sort_configILj256ELj4ELNS0_20block_sort_algorithmE0EEENS0_14default_configENS1_37merge_sort_block_sort_config_selectorItNS0_10empty_typeEEENS1_38merge_sort_block_merge_config_selectorItSE_EEEEvv,comdat
.Lfunc_end458:
	.size	_ZN7rocprim17ROCPRIM_400000_NS6detail44device_merge_sort_compile_time_verifier_archINS1_11comp_targetILNS1_3genE5ELNS1_11target_archE942ELNS1_3gpuE9ELNS1_3repE0EEES8_NS1_28merge_sort_block_sort_configILj256ELj4ELNS0_20block_sort_algorithmE0EEENS0_14default_configENS1_37merge_sort_block_sort_config_selectorItNS0_10empty_typeEEENS1_38merge_sort_block_merge_config_selectorItSE_EEEEvv, .Lfunc_end458-_ZN7rocprim17ROCPRIM_400000_NS6detail44device_merge_sort_compile_time_verifier_archINS1_11comp_targetILNS1_3genE5ELNS1_11target_archE942ELNS1_3gpuE9ELNS1_3repE0EEES8_NS1_28merge_sort_block_sort_configILj256ELj4ELNS0_20block_sort_algorithmE0EEENS0_14default_configENS1_37merge_sort_block_sort_config_selectorItNS0_10empty_typeEEENS1_38merge_sort_block_merge_config_selectorItSE_EEEEvv
                                        ; -- End function
	.section	.AMDGPU.csdata,"",@progbits
; Kernel info:
; codeLenInByte = 4
; NumSgprs: 4
; NumVgprs: 0
; NumAgprs: 0
; TotalNumVgprs: 0
; ScratchSize: 0
; MemoryBound: 0
; FloatMode: 240
; IeeeMode: 1
; LDSByteSize: 0 bytes/workgroup (compile time only)
; SGPRBlocks: 0
; VGPRBlocks: 0
; NumSGPRsForWavesPerEU: 4
; NumVGPRsForWavesPerEU: 1
; AccumOffset: 4
; Occupancy: 8
; WaveLimiterHint : 0
; COMPUTE_PGM_RSRC2:SCRATCH_EN: 0
; COMPUTE_PGM_RSRC2:USER_SGPR: 4
; COMPUTE_PGM_RSRC2:TRAP_HANDLER: 0
; COMPUTE_PGM_RSRC2:TGID_X_EN: 1
; COMPUTE_PGM_RSRC2:TGID_Y_EN: 0
; COMPUTE_PGM_RSRC2:TGID_Z_EN: 0
; COMPUTE_PGM_RSRC2:TIDIG_COMP_CNT: 0
; COMPUTE_PGM_RSRC3_GFX90A:ACCUM_OFFSET: 0
; COMPUTE_PGM_RSRC3_GFX90A:TG_SPLIT: 0
	.section	.text._ZN7rocprim17ROCPRIM_400000_NS6detail44device_merge_sort_compile_time_verifier_archINS1_11comp_targetILNS1_3genE4ELNS1_11target_archE910ELNS1_3gpuE8ELNS1_3repE0EEES8_NS1_28merge_sort_block_sort_configILj256ELj4ELNS0_20block_sort_algorithmE0EEENS0_14default_configENS1_37merge_sort_block_sort_config_selectorItNS0_10empty_typeEEENS1_38merge_sort_block_merge_config_selectorItSE_EEEEvv,"axG",@progbits,_ZN7rocprim17ROCPRIM_400000_NS6detail44device_merge_sort_compile_time_verifier_archINS1_11comp_targetILNS1_3genE4ELNS1_11target_archE910ELNS1_3gpuE8ELNS1_3repE0EEES8_NS1_28merge_sort_block_sort_configILj256ELj4ELNS0_20block_sort_algorithmE0EEENS0_14default_configENS1_37merge_sort_block_sort_config_selectorItNS0_10empty_typeEEENS1_38merge_sort_block_merge_config_selectorItSE_EEEEvv,comdat
	.protected	_ZN7rocprim17ROCPRIM_400000_NS6detail44device_merge_sort_compile_time_verifier_archINS1_11comp_targetILNS1_3genE4ELNS1_11target_archE910ELNS1_3gpuE8ELNS1_3repE0EEES8_NS1_28merge_sort_block_sort_configILj256ELj4ELNS0_20block_sort_algorithmE0EEENS0_14default_configENS1_37merge_sort_block_sort_config_selectorItNS0_10empty_typeEEENS1_38merge_sort_block_merge_config_selectorItSE_EEEEvv ; -- Begin function _ZN7rocprim17ROCPRIM_400000_NS6detail44device_merge_sort_compile_time_verifier_archINS1_11comp_targetILNS1_3genE4ELNS1_11target_archE910ELNS1_3gpuE8ELNS1_3repE0EEES8_NS1_28merge_sort_block_sort_configILj256ELj4ELNS0_20block_sort_algorithmE0EEENS0_14default_configENS1_37merge_sort_block_sort_config_selectorItNS0_10empty_typeEEENS1_38merge_sort_block_merge_config_selectorItSE_EEEEvv
	.globl	_ZN7rocprim17ROCPRIM_400000_NS6detail44device_merge_sort_compile_time_verifier_archINS1_11comp_targetILNS1_3genE4ELNS1_11target_archE910ELNS1_3gpuE8ELNS1_3repE0EEES8_NS1_28merge_sort_block_sort_configILj256ELj4ELNS0_20block_sort_algorithmE0EEENS0_14default_configENS1_37merge_sort_block_sort_config_selectorItNS0_10empty_typeEEENS1_38merge_sort_block_merge_config_selectorItSE_EEEEvv
	.p2align	8
	.type	_ZN7rocprim17ROCPRIM_400000_NS6detail44device_merge_sort_compile_time_verifier_archINS1_11comp_targetILNS1_3genE4ELNS1_11target_archE910ELNS1_3gpuE8ELNS1_3repE0EEES8_NS1_28merge_sort_block_sort_configILj256ELj4ELNS0_20block_sort_algorithmE0EEENS0_14default_configENS1_37merge_sort_block_sort_config_selectorItNS0_10empty_typeEEENS1_38merge_sort_block_merge_config_selectorItSE_EEEEvv,@function
_ZN7rocprim17ROCPRIM_400000_NS6detail44device_merge_sort_compile_time_verifier_archINS1_11comp_targetILNS1_3genE4ELNS1_11target_archE910ELNS1_3gpuE8ELNS1_3repE0EEES8_NS1_28merge_sort_block_sort_configILj256ELj4ELNS0_20block_sort_algorithmE0EEENS0_14default_configENS1_37merge_sort_block_sort_config_selectorItNS0_10empty_typeEEENS1_38merge_sort_block_merge_config_selectorItSE_EEEEvv: ; @_ZN7rocprim17ROCPRIM_400000_NS6detail44device_merge_sort_compile_time_verifier_archINS1_11comp_targetILNS1_3genE4ELNS1_11target_archE910ELNS1_3gpuE8ELNS1_3repE0EEES8_NS1_28merge_sort_block_sort_configILj256ELj4ELNS0_20block_sort_algorithmE0EEENS0_14default_configENS1_37merge_sort_block_sort_config_selectorItNS0_10empty_typeEEENS1_38merge_sort_block_merge_config_selectorItSE_EEEEvv
; %bb.0:
	s_endpgm
	.section	.rodata,"a",@progbits
	.p2align	6, 0x0
	.amdhsa_kernel _ZN7rocprim17ROCPRIM_400000_NS6detail44device_merge_sort_compile_time_verifier_archINS1_11comp_targetILNS1_3genE4ELNS1_11target_archE910ELNS1_3gpuE8ELNS1_3repE0EEES8_NS1_28merge_sort_block_sort_configILj256ELj4ELNS0_20block_sort_algorithmE0EEENS0_14default_configENS1_37merge_sort_block_sort_config_selectorItNS0_10empty_typeEEENS1_38merge_sort_block_merge_config_selectorItSE_EEEEvv
		.amdhsa_group_segment_fixed_size 0
		.amdhsa_private_segment_fixed_size 0
		.amdhsa_kernarg_size 0
		.amdhsa_user_sgpr_count 4
		.amdhsa_user_sgpr_private_segment_buffer 1
		.amdhsa_user_sgpr_dispatch_ptr 0
		.amdhsa_user_sgpr_queue_ptr 0
		.amdhsa_user_sgpr_kernarg_segment_ptr 0
		.amdhsa_user_sgpr_dispatch_id 0
		.amdhsa_user_sgpr_flat_scratch_init 0
		.amdhsa_user_sgpr_kernarg_preload_length 0
		.amdhsa_user_sgpr_kernarg_preload_offset 0
		.amdhsa_user_sgpr_private_segment_size 0
		.amdhsa_uses_dynamic_stack 0
		.amdhsa_system_sgpr_private_segment_wavefront_offset 0
		.amdhsa_system_sgpr_workgroup_id_x 1
		.amdhsa_system_sgpr_workgroup_id_y 0
		.amdhsa_system_sgpr_workgroup_id_z 0
		.amdhsa_system_sgpr_workgroup_info 0
		.amdhsa_system_vgpr_workitem_id 0
		.amdhsa_next_free_vgpr 1
		.amdhsa_next_free_sgpr 0
		.amdhsa_accum_offset 4
		.amdhsa_reserve_vcc 0
		.amdhsa_reserve_flat_scratch 0
		.amdhsa_float_round_mode_32 0
		.amdhsa_float_round_mode_16_64 0
		.amdhsa_float_denorm_mode_32 3
		.amdhsa_float_denorm_mode_16_64 3
		.amdhsa_dx10_clamp 1
		.amdhsa_ieee_mode 1
		.amdhsa_fp16_overflow 0
		.amdhsa_tg_split 0
		.amdhsa_exception_fp_ieee_invalid_op 0
		.amdhsa_exception_fp_denorm_src 0
		.amdhsa_exception_fp_ieee_div_zero 0
		.amdhsa_exception_fp_ieee_overflow 0
		.amdhsa_exception_fp_ieee_underflow 0
		.amdhsa_exception_fp_ieee_inexact 0
		.amdhsa_exception_int_div_zero 0
	.end_amdhsa_kernel
	.section	.text._ZN7rocprim17ROCPRIM_400000_NS6detail44device_merge_sort_compile_time_verifier_archINS1_11comp_targetILNS1_3genE4ELNS1_11target_archE910ELNS1_3gpuE8ELNS1_3repE0EEES8_NS1_28merge_sort_block_sort_configILj256ELj4ELNS0_20block_sort_algorithmE0EEENS0_14default_configENS1_37merge_sort_block_sort_config_selectorItNS0_10empty_typeEEENS1_38merge_sort_block_merge_config_selectorItSE_EEEEvv,"axG",@progbits,_ZN7rocprim17ROCPRIM_400000_NS6detail44device_merge_sort_compile_time_verifier_archINS1_11comp_targetILNS1_3genE4ELNS1_11target_archE910ELNS1_3gpuE8ELNS1_3repE0EEES8_NS1_28merge_sort_block_sort_configILj256ELj4ELNS0_20block_sort_algorithmE0EEENS0_14default_configENS1_37merge_sort_block_sort_config_selectorItNS0_10empty_typeEEENS1_38merge_sort_block_merge_config_selectorItSE_EEEEvv,comdat
.Lfunc_end459:
	.size	_ZN7rocprim17ROCPRIM_400000_NS6detail44device_merge_sort_compile_time_verifier_archINS1_11comp_targetILNS1_3genE4ELNS1_11target_archE910ELNS1_3gpuE8ELNS1_3repE0EEES8_NS1_28merge_sort_block_sort_configILj256ELj4ELNS0_20block_sort_algorithmE0EEENS0_14default_configENS1_37merge_sort_block_sort_config_selectorItNS0_10empty_typeEEENS1_38merge_sort_block_merge_config_selectorItSE_EEEEvv, .Lfunc_end459-_ZN7rocprim17ROCPRIM_400000_NS6detail44device_merge_sort_compile_time_verifier_archINS1_11comp_targetILNS1_3genE4ELNS1_11target_archE910ELNS1_3gpuE8ELNS1_3repE0EEES8_NS1_28merge_sort_block_sort_configILj256ELj4ELNS0_20block_sort_algorithmE0EEENS0_14default_configENS1_37merge_sort_block_sort_config_selectorItNS0_10empty_typeEEENS1_38merge_sort_block_merge_config_selectorItSE_EEEEvv
                                        ; -- End function
	.section	.AMDGPU.csdata,"",@progbits
; Kernel info:
; codeLenInByte = 4
; NumSgprs: 4
; NumVgprs: 0
; NumAgprs: 0
; TotalNumVgprs: 0
; ScratchSize: 0
; MemoryBound: 0
; FloatMode: 240
; IeeeMode: 1
; LDSByteSize: 0 bytes/workgroup (compile time only)
; SGPRBlocks: 0
; VGPRBlocks: 0
; NumSGPRsForWavesPerEU: 4
; NumVGPRsForWavesPerEU: 1
; AccumOffset: 4
; Occupancy: 8
; WaveLimiterHint : 0
; COMPUTE_PGM_RSRC2:SCRATCH_EN: 0
; COMPUTE_PGM_RSRC2:USER_SGPR: 4
; COMPUTE_PGM_RSRC2:TRAP_HANDLER: 0
; COMPUTE_PGM_RSRC2:TGID_X_EN: 1
; COMPUTE_PGM_RSRC2:TGID_Y_EN: 0
; COMPUTE_PGM_RSRC2:TGID_Z_EN: 0
; COMPUTE_PGM_RSRC2:TIDIG_COMP_CNT: 0
; COMPUTE_PGM_RSRC3_GFX90A:ACCUM_OFFSET: 0
; COMPUTE_PGM_RSRC3_GFX90A:TG_SPLIT: 0
	.section	.text._ZN7rocprim17ROCPRIM_400000_NS6detail44device_merge_sort_compile_time_verifier_archINS1_11comp_targetILNS1_3genE3ELNS1_11target_archE908ELNS1_3gpuE7ELNS1_3repE0EEES8_NS1_28merge_sort_block_sort_configILj256ELj4ELNS0_20block_sort_algorithmE0EEENS0_14default_configENS1_37merge_sort_block_sort_config_selectorItNS0_10empty_typeEEENS1_38merge_sort_block_merge_config_selectorItSE_EEEEvv,"axG",@progbits,_ZN7rocprim17ROCPRIM_400000_NS6detail44device_merge_sort_compile_time_verifier_archINS1_11comp_targetILNS1_3genE3ELNS1_11target_archE908ELNS1_3gpuE7ELNS1_3repE0EEES8_NS1_28merge_sort_block_sort_configILj256ELj4ELNS0_20block_sort_algorithmE0EEENS0_14default_configENS1_37merge_sort_block_sort_config_selectorItNS0_10empty_typeEEENS1_38merge_sort_block_merge_config_selectorItSE_EEEEvv,comdat
	.protected	_ZN7rocprim17ROCPRIM_400000_NS6detail44device_merge_sort_compile_time_verifier_archINS1_11comp_targetILNS1_3genE3ELNS1_11target_archE908ELNS1_3gpuE7ELNS1_3repE0EEES8_NS1_28merge_sort_block_sort_configILj256ELj4ELNS0_20block_sort_algorithmE0EEENS0_14default_configENS1_37merge_sort_block_sort_config_selectorItNS0_10empty_typeEEENS1_38merge_sort_block_merge_config_selectorItSE_EEEEvv ; -- Begin function _ZN7rocprim17ROCPRIM_400000_NS6detail44device_merge_sort_compile_time_verifier_archINS1_11comp_targetILNS1_3genE3ELNS1_11target_archE908ELNS1_3gpuE7ELNS1_3repE0EEES8_NS1_28merge_sort_block_sort_configILj256ELj4ELNS0_20block_sort_algorithmE0EEENS0_14default_configENS1_37merge_sort_block_sort_config_selectorItNS0_10empty_typeEEENS1_38merge_sort_block_merge_config_selectorItSE_EEEEvv
	.globl	_ZN7rocprim17ROCPRIM_400000_NS6detail44device_merge_sort_compile_time_verifier_archINS1_11comp_targetILNS1_3genE3ELNS1_11target_archE908ELNS1_3gpuE7ELNS1_3repE0EEES8_NS1_28merge_sort_block_sort_configILj256ELj4ELNS0_20block_sort_algorithmE0EEENS0_14default_configENS1_37merge_sort_block_sort_config_selectorItNS0_10empty_typeEEENS1_38merge_sort_block_merge_config_selectorItSE_EEEEvv
	.p2align	8
	.type	_ZN7rocprim17ROCPRIM_400000_NS6detail44device_merge_sort_compile_time_verifier_archINS1_11comp_targetILNS1_3genE3ELNS1_11target_archE908ELNS1_3gpuE7ELNS1_3repE0EEES8_NS1_28merge_sort_block_sort_configILj256ELj4ELNS0_20block_sort_algorithmE0EEENS0_14default_configENS1_37merge_sort_block_sort_config_selectorItNS0_10empty_typeEEENS1_38merge_sort_block_merge_config_selectorItSE_EEEEvv,@function
_ZN7rocprim17ROCPRIM_400000_NS6detail44device_merge_sort_compile_time_verifier_archINS1_11comp_targetILNS1_3genE3ELNS1_11target_archE908ELNS1_3gpuE7ELNS1_3repE0EEES8_NS1_28merge_sort_block_sort_configILj256ELj4ELNS0_20block_sort_algorithmE0EEENS0_14default_configENS1_37merge_sort_block_sort_config_selectorItNS0_10empty_typeEEENS1_38merge_sort_block_merge_config_selectorItSE_EEEEvv: ; @_ZN7rocprim17ROCPRIM_400000_NS6detail44device_merge_sort_compile_time_verifier_archINS1_11comp_targetILNS1_3genE3ELNS1_11target_archE908ELNS1_3gpuE7ELNS1_3repE0EEES8_NS1_28merge_sort_block_sort_configILj256ELj4ELNS0_20block_sort_algorithmE0EEENS0_14default_configENS1_37merge_sort_block_sort_config_selectorItNS0_10empty_typeEEENS1_38merge_sort_block_merge_config_selectorItSE_EEEEvv
; %bb.0:
	s_endpgm
	.section	.rodata,"a",@progbits
	.p2align	6, 0x0
	.amdhsa_kernel _ZN7rocprim17ROCPRIM_400000_NS6detail44device_merge_sort_compile_time_verifier_archINS1_11comp_targetILNS1_3genE3ELNS1_11target_archE908ELNS1_3gpuE7ELNS1_3repE0EEES8_NS1_28merge_sort_block_sort_configILj256ELj4ELNS0_20block_sort_algorithmE0EEENS0_14default_configENS1_37merge_sort_block_sort_config_selectorItNS0_10empty_typeEEENS1_38merge_sort_block_merge_config_selectorItSE_EEEEvv
		.amdhsa_group_segment_fixed_size 0
		.amdhsa_private_segment_fixed_size 0
		.amdhsa_kernarg_size 0
		.amdhsa_user_sgpr_count 4
		.amdhsa_user_sgpr_private_segment_buffer 1
		.amdhsa_user_sgpr_dispatch_ptr 0
		.amdhsa_user_sgpr_queue_ptr 0
		.amdhsa_user_sgpr_kernarg_segment_ptr 0
		.amdhsa_user_sgpr_dispatch_id 0
		.amdhsa_user_sgpr_flat_scratch_init 0
		.amdhsa_user_sgpr_kernarg_preload_length 0
		.amdhsa_user_sgpr_kernarg_preload_offset 0
		.amdhsa_user_sgpr_private_segment_size 0
		.amdhsa_uses_dynamic_stack 0
		.amdhsa_system_sgpr_private_segment_wavefront_offset 0
		.amdhsa_system_sgpr_workgroup_id_x 1
		.amdhsa_system_sgpr_workgroup_id_y 0
		.amdhsa_system_sgpr_workgroup_id_z 0
		.amdhsa_system_sgpr_workgroup_info 0
		.amdhsa_system_vgpr_workitem_id 0
		.amdhsa_next_free_vgpr 1
		.amdhsa_next_free_sgpr 0
		.amdhsa_accum_offset 4
		.amdhsa_reserve_vcc 0
		.amdhsa_reserve_flat_scratch 0
		.amdhsa_float_round_mode_32 0
		.amdhsa_float_round_mode_16_64 0
		.amdhsa_float_denorm_mode_32 3
		.amdhsa_float_denorm_mode_16_64 3
		.amdhsa_dx10_clamp 1
		.amdhsa_ieee_mode 1
		.amdhsa_fp16_overflow 0
		.amdhsa_tg_split 0
		.amdhsa_exception_fp_ieee_invalid_op 0
		.amdhsa_exception_fp_denorm_src 0
		.amdhsa_exception_fp_ieee_div_zero 0
		.amdhsa_exception_fp_ieee_overflow 0
		.amdhsa_exception_fp_ieee_underflow 0
		.amdhsa_exception_fp_ieee_inexact 0
		.amdhsa_exception_int_div_zero 0
	.end_amdhsa_kernel
	.section	.text._ZN7rocprim17ROCPRIM_400000_NS6detail44device_merge_sort_compile_time_verifier_archINS1_11comp_targetILNS1_3genE3ELNS1_11target_archE908ELNS1_3gpuE7ELNS1_3repE0EEES8_NS1_28merge_sort_block_sort_configILj256ELj4ELNS0_20block_sort_algorithmE0EEENS0_14default_configENS1_37merge_sort_block_sort_config_selectorItNS0_10empty_typeEEENS1_38merge_sort_block_merge_config_selectorItSE_EEEEvv,"axG",@progbits,_ZN7rocprim17ROCPRIM_400000_NS6detail44device_merge_sort_compile_time_verifier_archINS1_11comp_targetILNS1_3genE3ELNS1_11target_archE908ELNS1_3gpuE7ELNS1_3repE0EEES8_NS1_28merge_sort_block_sort_configILj256ELj4ELNS0_20block_sort_algorithmE0EEENS0_14default_configENS1_37merge_sort_block_sort_config_selectorItNS0_10empty_typeEEENS1_38merge_sort_block_merge_config_selectorItSE_EEEEvv,comdat
.Lfunc_end460:
	.size	_ZN7rocprim17ROCPRIM_400000_NS6detail44device_merge_sort_compile_time_verifier_archINS1_11comp_targetILNS1_3genE3ELNS1_11target_archE908ELNS1_3gpuE7ELNS1_3repE0EEES8_NS1_28merge_sort_block_sort_configILj256ELj4ELNS0_20block_sort_algorithmE0EEENS0_14default_configENS1_37merge_sort_block_sort_config_selectorItNS0_10empty_typeEEENS1_38merge_sort_block_merge_config_selectorItSE_EEEEvv, .Lfunc_end460-_ZN7rocprim17ROCPRIM_400000_NS6detail44device_merge_sort_compile_time_verifier_archINS1_11comp_targetILNS1_3genE3ELNS1_11target_archE908ELNS1_3gpuE7ELNS1_3repE0EEES8_NS1_28merge_sort_block_sort_configILj256ELj4ELNS0_20block_sort_algorithmE0EEENS0_14default_configENS1_37merge_sort_block_sort_config_selectorItNS0_10empty_typeEEENS1_38merge_sort_block_merge_config_selectorItSE_EEEEvv
                                        ; -- End function
	.section	.AMDGPU.csdata,"",@progbits
; Kernel info:
; codeLenInByte = 4
; NumSgprs: 4
; NumVgprs: 0
; NumAgprs: 0
; TotalNumVgprs: 0
; ScratchSize: 0
; MemoryBound: 0
; FloatMode: 240
; IeeeMode: 1
; LDSByteSize: 0 bytes/workgroup (compile time only)
; SGPRBlocks: 0
; VGPRBlocks: 0
; NumSGPRsForWavesPerEU: 4
; NumVGPRsForWavesPerEU: 1
; AccumOffset: 4
; Occupancy: 8
; WaveLimiterHint : 0
; COMPUTE_PGM_RSRC2:SCRATCH_EN: 0
; COMPUTE_PGM_RSRC2:USER_SGPR: 4
; COMPUTE_PGM_RSRC2:TRAP_HANDLER: 0
; COMPUTE_PGM_RSRC2:TGID_X_EN: 1
; COMPUTE_PGM_RSRC2:TGID_Y_EN: 0
; COMPUTE_PGM_RSRC2:TGID_Z_EN: 0
; COMPUTE_PGM_RSRC2:TIDIG_COMP_CNT: 0
; COMPUTE_PGM_RSRC3_GFX90A:ACCUM_OFFSET: 0
; COMPUTE_PGM_RSRC3_GFX90A:TG_SPLIT: 0
	.section	.text._ZN7rocprim17ROCPRIM_400000_NS6detail44device_merge_sort_compile_time_verifier_archINS1_11comp_targetILNS1_3genE2ELNS1_11target_archE906ELNS1_3gpuE6ELNS1_3repE0EEES8_NS1_28merge_sort_block_sort_configILj256ELj4ELNS0_20block_sort_algorithmE0EEENS0_14default_configENS1_37merge_sort_block_sort_config_selectorItNS0_10empty_typeEEENS1_38merge_sort_block_merge_config_selectorItSE_EEEEvv,"axG",@progbits,_ZN7rocprim17ROCPRIM_400000_NS6detail44device_merge_sort_compile_time_verifier_archINS1_11comp_targetILNS1_3genE2ELNS1_11target_archE906ELNS1_3gpuE6ELNS1_3repE0EEES8_NS1_28merge_sort_block_sort_configILj256ELj4ELNS0_20block_sort_algorithmE0EEENS0_14default_configENS1_37merge_sort_block_sort_config_selectorItNS0_10empty_typeEEENS1_38merge_sort_block_merge_config_selectorItSE_EEEEvv,comdat
	.protected	_ZN7rocprim17ROCPRIM_400000_NS6detail44device_merge_sort_compile_time_verifier_archINS1_11comp_targetILNS1_3genE2ELNS1_11target_archE906ELNS1_3gpuE6ELNS1_3repE0EEES8_NS1_28merge_sort_block_sort_configILj256ELj4ELNS0_20block_sort_algorithmE0EEENS0_14default_configENS1_37merge_sort_block_sort_config_selectorItNS0_10empty_typeEEENS1_38merge_sort_block_merge_config_selectorItSE_EEEEvv ; -- Begin function _ZN7rocprim17ROCPRIM_400000_NS6detail44device_merge_sort_compile_time_verifier_archINS1_11comp_targetILNS1_3genE2ELNS1_11target_archE906ELNS1_3gpuE6ELNS1_3repE0EEES8_NS1_28merge_sort_block_sort_configILj256ELj4ELNS0_20block_sort_algorithmE0EEENS0_14default_configENS1_37merge_sort_block_sort_config_selectorItNS0_10empty_typeEEENS1_38merge_sort_block_merge_config_selectorItSE_EEEEvv
	.globl	_ZN7rocprim17ROCPRIM_400000_NS6detail44device_merge_sort_compile_time_verifier_archINS1_11comp_targetILNS1_3genE2ELNS1_11target_archE906ELNS1_3gpuE6ELNS1_3repE0EEES8_NS1_28merge_sort_block_sort_configILj256ELj4ELNS0_20block_sort_algorithmE0EEENS0_14default_configENS1_37merge_sort_block_sort_config_selectorItNS0_10empty_typeEEENS1_38merge_sort_block_merge_config_selectorItSE_EEEEvv
	.p2align	8
	.type	_ZN7rocprim17ROCPRIM_400000_NS6detail44device_merge_sort_compile_time_verifier_archINS1_11comp_targetILNS1_3genE2ELNS1_11target_archE906ELNS1_3gpuE6ELNS1_3repE0EEES8_NS1_28merge_sort_block_sort_configILj256ELj4ELNS0_20block_sort_algorithmE0EEENS0_14default_configENS1_37merge_sort_block_sort_config_selectorItNS0_10empty_typeEEENS1_38merge_sort_block_merge_config_selectorItSE_EEEEvv,@function
_ZN7rocprim17ROCPRIM_400000_NS6detail44device_merge_sort_compile_time_verifier_archINS1_11comp_targetILNS1_3genE2ELNS1_11target_archE906ELNS1_3gpuE6ELNS1_3repE0EEES8_NS1_28merge_sort_block_sort_configILj256ELj4ELNS0_20block_sort_algorithmE0EEENS0_14default_configENS1_37merge_sort_block_sort_config_selectorItNS0_10empty_typeEEENS1_38merge_sort_block_merge_config_selectorItSE_EEEEvv: ; @_ZN7rocprim17ROCPRIM_400000_NS6detail44device_merge_sort_compile_time_verifier_archINS1_11comp_targetILNS1_3genE2ELNS1_11target_archE906ELNS1_3gpuE6ELNS1_3repE0EEES8_NS1_28merge_sort_block_sort_configILj256ELj4ELNS0_20block_sort_algorithmE0EEENS0_14default_configENS1_37merge_sort_block_sort_config_selectorItNS0_10empty_typeEEENS1_38merge_sort_block_merge_config_selectorItSE_EEEEvv
; %bb.0:
	s_endpgm
	.section	.rodata,"a",@progbits
	.p2align	6, 0x0
	.amdhsa_kernel _ZN7rocprim17ROCPRIM_400000_NS6detail44device_merge_sort_compile_time_verifier_archINS1_11comp_targetILNS1_3genE2ELNS1_11target_archE906ELNS1_3gpuE6ELNS1_3repE0EEES8_NS1_28merge_sort_block_sort_configILj256ELj4ELNS0_20block_sort_algorithmE0EEENS0_14default_configENS1_37merge_sort_block_sort_config_selectorItNS0_10empty_typeEEENS1_38merge_sort_block_merge_config_selectorItSE_EEEEvv
		.amdhsa_group_segment_fixed_size 0
		.amdhsa_private_segment_fixed_size 0
		.amdhsa_kernarg_size 0
		.amdhsa_user_sgpr_count 4
		.amdhsa_user_sgpr_private_segment_buffer 1
		.amdhsa_user_sgpr_dispatch_ptr 0
		.amdhsa_user_sgpr_queue_ptr 0
		.amdhsa_user_sgpr_kernarg_segment_ptr 0
		.amdhsa_user_sgpr_dispatch_id 0
		.amdhsa_user_sgpr_flat_scratch_init 0
		.amdhsa_user_sgpr_kernarg_preload_length 0
		.amdhsa_user_sgpr_kernarg_preload_offset 0
		.amdhsa_user_sgpr_private_segment_size 0
		.amdhsa_uses_dynamic_stack 0
		.amdhsa_system_sgpr_private_segment_wavefront_offset 0
		.amdhsa_system_sgpr_workgroup_id_x 1
		.amdhsa_system_sgpr_workgroup_id_y 0
		.amdhsa_system_sgpr_workgroup_id_z 0
		.amdhsa_system_sgpr_workgroup_info 0
		.amdhsa_system_vgpr_workitem_id 0
		.amdhsa_next_free_vgpr 1
		.amdhsa_next_free_sgpr 0
		.amdhsa_accum_offset 4
		.amdhsa_reserve_vcc 0
		.amdhsa_reserve_flat_scratch 0
		.amdhsa_float_round_mode_32 0
		.amdhsa_float_round_mode_16_64 0
		.amdhsa_float_denorm_mode_32 3
		.amdhsa_float_denorm_mode_16_64 3
		.amdhsa_dx10_clamp 1
		.amdhsa_ieee_mode 1
		.amdhsa_fp16_overflow 0
		.amdhsa_tg_split 0
		.amdhsa_exception_fp_ieee_invalid_op 0
		.amdhsa_exception_fp_denorm_src 0
		.amdhsa_exception_fp_ieee_div_zero 0
		.amdhsa_exception_fp_ieee_overflow 0
		.amdhsa_exception_fp_ieee_underflow 0
		.amdhsa_exception_fp_ieee_inexact 0
		.amdhsa_exception_int_div_zero 0
	.end_amdhsa_kernel
	.section	.text._ZN7rocprim17ROCPRIM_400000_NS6detail44device_merge_sort_compile_time_verifier_archINS1_11comp_targetILNS1_3genE2ELNS1_11target_archE906ELNS1_3gpuE6ELNS1_3repE0EEES8_NS1_28merge_sort_block_sort_configILj256ELj4ELNS0_20block_sort_algorithmE0EEENS0_14default_configENS1_37merge_sort_block_sort_config_selectorItNS0_10empty_typeEEENS1_38merge_sort_block_merge_config_selectorItSE_EEEEvv,"axG",@progbits,_ZN7rocprim17ROCPRIM_400000_NS6detail44device_merge_sort_compile_time_verifier_archINS1_11comp_targetILNS1_3genE2ELNS1_11target_archE906ELNS1_3gpuE6ELNS1_3repE0EEES8_NS1_28merge_sort_block_sort_configILj256ELj4ELNS0_20block_sort_algorithmE0EEENS0_14default_configENS1_37merge_sort_block_sort_config_selectorItNS0_10empty_typeEEENS1_38merge_sort_block_merge_config_selectorItSE_EEEEvv,comdat
.Lfunc_end461:
	.size	_ZN7rocprim17ROCPRIM_400000_NS6detail44device_merge_sort_compile_time_verifier_archINS1_11comp_targetILNS1_3genE2ELNS1_11target_archE906ELNS1_3gpuE6ELNS1_3repE0EEES8_NS1_28merge_sort_block_sort_configILj256ELj4ELNS0_20block_sort_algorithmE0EEENS0_14default_configENS1_37merge_sort_block_sort_config_selectorItNS0_10empty_typeEEENS1_38merge_sort_block_merge_config_selectorItSE_EEEEvv, .Lfunc_end461-_ZN7rocprim17ROCPRIM_400000_NS6detail44device_merge_sort_compile_time_verifier_archINS1_11comp_targetILNS1_3genE2ELNS1_11target_archE906ELNS1_3gpuE6ELNS1_3repE0EEES8_NS1_28merge_sort_block_sort_configILj256ELj4ELNS0_20block_sort_algorithmE0EEENS0_14default_configENS1_37merge_sort_block_sort_config_selectorItNS0_10empty_typeEEENS1_38merge_sort_block_merge_config_selectorItSE_EEEEvv
                                        ; -- End function
	.section	.AMDGPU.csdata,"",@progbits
; Kernel info:
; codeLenInByte = 4
; NumSgprs: 4
; NumVgprs: 0
; NumAgprs: 0
; TotalNumVgprs: 0
; ScratchSize: 0
; MemoryBound: 0
; FloatMode: 240
; IeeeMode: 1
; LDSByteSize: 0 bytes/workgroup (compile time only)
; SGPRBlocks: 0
; VGPRBlocks: 0
; NumSGPRsForWavesPerEU: 4
; NumVGPRsForWavesPerEU: 1
; AccumOffset: 4
; Occupancy: 8
; WaveLimiterHint : 0
; COMPUTE_PGM_RSRC2:SCRATCH_EN: 0
; COMPUTE_PGM_RSRC2:USER_SGPR: 4
; COMPUTE_PGM_RSRC2:TRAP_HANDLER: 0
; COMPUTE_PGM_RSRC2:TGID_X_EN: 1
; COMPUTE_PGM_RSRC2:TGID_Y_EN: 0
; COMPUTE_PGM_RSRC2:TGID_Z_EN: 0
; COMPUTE_PGM_RSRC2:TIDIG_COMP_CNT: 0
; COMPUTE_PGM_RSRC3_GFX90A:ACCUM_OFFSET: 0
; COMPUTE_PGM_RSRC3_GFX90A:TG_SPLIT: 0
	.section	.text._ZN7rocprim17ROCPRIM_400000_NS6detail44device_merge_sort_compile_time_verifier_archINS1_11comp_targetILNS1_3genE10ELNS1_11target_archE1201ELNS1_3gpuE5ELNS1_3repE0EEES8_NS1_28merge_sort_block_sort_configILj256ELj4ELNS0_20block_sort_algorithmE0EEENS0_14default_configENS1_37merge_sort_block_sort_config_selectorItNS0_10empty_typeEEENS1_38merge_sort_block_merge_config_selectorItSE_EEEEvv,"axG",@progbits,_ZN7rocprim17ROCPRIM_400000_NS6detail44device_merge_sort_compile_time_verifier_archINS1_11comp_targetILNS1_3genE10ELNS1_11target_archE1201ELNS1_3gpuE5ELNS1_3repE0EEES8_NS1_28merge_sort_block_sort_configILj256ELj4ELNS0_20block_sort_algorithmE0EEENS0_14default_configENS1_37merge_sort_block_sort_config_selectorItNS0_10empty_typeEEENS1_38merge_sort_block_merge_config_selectorItSE_EEEEvv,comdat
	.protected	_ZN7rocprim17ROCPRIM_400000_NS6detail44device_merge_sort_compile_time_verifier_archINS1_11comp_targetILNS1_3genE10ELNS1_11target_archE1201ELNS1_3gpuE5ELNS1_3repE0EEES8_NS1_28merge_sort_block_sort_configILj256ELj4ELNS0_20block_sort_algorithmE0EEENS0_14default_configENS1_37merge_sort_block_sort_config_selectorItNS0_10empty_typeEEENS1_38merge_sort_block_merge_config_selectorItSE_EEEEvv ; -- Begin function _ZN7rocprim17ROCPRIM_400000_NS6detail44device_merge_sort_compile_time_verifier_archINS1_11comp_targetILNS1_3genE10ELNS1_11target_archE1201ELNS1_3gpuE5ELNS1_3repE0EEES8_NS1_28merge_sort_block_sort_configILj256ELj4ELNS0_20block_sort_algorithmE0EEENS0_14default_configENS1_37merge_sort_block_sort_config_selectorItNS0_10empty_typeEEENS1_38merge_sort_block_merge_config_selectorItSE_EEEEvv
	.globl	_ZN7rocprim17ROCPRIM_400000_NS6detail44device_merge_sort_compile_time_verifier_archINS1_11comp_targetILNS1_3genE10ELNS1_11target_archE1201ELNS1_3gpuE5ELNS1_3repE0EEES8_NS1_28merge_sort_block_sort_configILj256ELj4ELNS0_20block_sort_algorithmE0EEENS0_14default_configENS1_37merge_sort_block_sort_config_selectorItNS0_10empty_typeEEENS1_38merge_sort_block_merge_config_selectorItSE_EEEEvv
	.p2align	8
	.type	_ZN7rocprim17ROCPRIM_400000_NS6detail44device_merge_sort_compile_time_verifier_archINS1_11comp_targetILNS1_3genE10ELNS1_11target_archE1201ELNS1_3gpuE5ELNS1_3repE0EEES8_NS1_28merge_sort_block_sort_configILj256ELj4ELNS0_20block_sort_algorithmE0EEENS0_14default_configENS1_37merge_sort_block_sort_config_selectorItNS0_10empty_typeEEENS1_38merge_sort_block_merge_config_selectorItSE_EEEEvv,@function
_ZN7rocprim17ROCPRIM_400000_NS6detail44device_merge_sort_compile_time_verifier_archINS1_11comp_targetILNS1_3genE10ELNS1_11target_archE1201ELNS1_3gpuE5ELNS1_3repE0EEES8_NS1_28merge_sort_block_sort_configILj256ELj4ELNS0_20block_sort_algorithmE0EEENS0_14default_configENS1_37merge_sort_block_sort_config_selectorItNS0_10empty_typeEEENS1_38merge_sort_block_merge_config_selectorItSE_EEEEvv: ; @_ZN7rocprim17ROCPRIM_400000_NS6detail44device_merge_sort_compile_time_verifier_archINS1_11comp_targetILNS1_3genE10ELNS1_11target_archE1201ELNS1_3gpuE5ELNS1_3repE0EEES8_NS1_28merge_sort_block_sort_configILj256ELj4ELNS0_20block_sort_algorithmE0EEENS0_14default_configENS1_37merge_sort_block_sort_config_selectorItNS0_10empty_typeEEENS1_38merge_sort_block_merge_config_selectorItSE_EEEEvv
; %bb.0:
	s_endpgm
	.section	.rodata,"a",@progbits
	.p2align	6, 0x0
	.amdhsa_kernel _ZN7rocprim17ROCPRIM_400000_NS6detail44device_merge_sort_compile_time_verifier_archINS1_11comp_targetILNS1_3genE10ELNS1_11target_archE1201ELNS1_3gpuE5ELNS1_3repE0EEES8_NS1_28merge_sort_block_sort_configILj256ELj4ELNS0_20block_sort_algorithmE0EEENS0_14default_configENS1_37merge_sort_block_sort_config_selectorItNS0_10empty_typeEEENS1_38merge_sort_block_merge_config_selectorItSE_EEEEvv
		.amdhsa_group_segment_fixed_size 0
		.amdhsa_private_segment_fixed_size 0
		.amdhsa_kernarg_size 0
		.amdhsa_user_sgpr_count 4
		.amdhsa_user_sgpr_private_segment_buffer 1
		.amdhsa_user_sgpr_dispatch_ptr 0
		.amdhsa_user_sgpr_queue_ptr 0
		.amdhsa_user_sgpr_kernarg_segment_ptr 0
		.amdhsa_user_sgpr_dispatch_id 0
		.amdhsa_user_sgpr_flat_scratch_init 0
		.amdhsa_user_sgpr_kernarg_preload_length 0
		.amdhsa_user_sgpr_kernarg_preload_offset 0
		.amdhsa_user_sgpr_private_segment_size 0
		.amdhsa_uses_dynamic_stack 0
		.amdhsa_system_sgpr_private_segment_wavefront_offset 0
		.amdhsa_system_sgpr_workgroup_id_x 1
		.amdhsa_system_sgpr_workgroup_id_y 0
		.amdhsa_system_sgpr_workgroup_id_z 0
		.amdhsa_system_sgpr_workgroup_info 0
		.amdhsa_system_vgpr_workitem_id 0
		.amdhsa_next_free_vgpr 1
		.amdhsa_next_free_sgpr 0
		.amdhsa_accum_offset 4
		.amdhsa_reserve_vcc 0
		.amdhsa_reserve_flat_scratch 0
		.amdhsa_float_round_mode_32 0
		.amdhsa_float_round_mode_16_64 0
		.amdhsa_float_denorm_mode_32 3
		.amdhsa_float_denorm_mode_16_64 3
		.amdhsa_dx10_clamp 1
		.amdhsa_ieee_mode 1
		.amdhsa_fp16_overflow 0
		.amdhsa_tg_split 0
		.amdhsa_exception_fp_ieee_invalid_op 0
		.amdhsa_exception_fp_denorm_src 0
		.amdhsa_exception_fp_ieee_div_zero 0
		.amdhsa_exception_fp_ieee_overflow 0
		.amdhsa_exception_fp_ieee_underflow 0
		.amdhsa_exception_fp_ieee_inexact 0
		.amdhsa_exception_int_div_zero 0
	.end_amdhsa_kernel
	.section	.text._ZN7rocprim17ROCPRIM_400000_NS6detail44device_merge_sort_compile_time_verifier_archINS1_11comp_targetILNS1_3genE10ELNS1_11target_archE1201ELNS1_3gpuE5ELNS1_3repE0EEES8_NS1_28merge_sort_block_sort_configILj256ELj4ELNS0_20block_sort_algorithmE0EEENS0_14default_configENS1_37merge_sort_block_sort_config_selectorItNS0_10empty_typeEEENS1_38merge_sort_block_merge_config_selectorItSE_EEEEvv,"axG",@progbits,_ZN7rocprim17ROCPRIM_400000_NS6detail44device_merge_sort_compile_time_verifier_archINS1_11comp_targetILNS1_3genE10ELNS1_11target_archE1201ELNS1_3gpuE5ELNS1_3repE0EEES8_NS1_28merge_sort_block_sort_configILj256ELj4ELNS0_20block_sort_algorithmE0EEENS0_14default_configENS1_37merge_sort_block_sort_config_selectorItNS0_10empty_typeEEENS1_38merge_sort_block_merge_config_selectorItSE_EEEEvv,comdat
.Lfunc_end462:
	.size	_ZN7rocprim17ROCPRIM_400000_NS6detail44device_merge_sort_compile_time_verifier_archINS1_11comp_targetILNS1_3genE10ELNS1_11target_archE1201ELNS1_3gpuE5ELNS1_3repE0EEES8_NS1_28merge_sort_block_sort_configILj256ELj4ELNS0_20block_sort_algorithmE0EEENS0_14default_configENS1_37merge_sort_block_sort_config_selectorItNS0_10empty_typeEEENS1_38merge_sort_block_merge_config_selectorItSE_EEEEvv, .Lfunc_end462-_ZN7rocprim17ROCPRIM_400000_NS6detail44device_merge_sort_compile_time_verifier_archINS1_11comp_targetILNS1_3genE10ELNS1_11target_archE1201ELNS1_3gpuE5ELNS1_3repE0EEES8_NS1_28merge_sort_block_sort_configILj256ELj4ELNS0_20block_sort_algorithmE0EEENS0_14default_configENS1_37merge_sort_block_sort_config_selectorItNS0_10empty_typeEEENS1_38merge_sort_block_merge_config_selectorItSE_EEEEvv
                                        ; -- End function
	.section	.AMDGPU.csdata,"",@progbits
; Kernel info:
; codeLenInByte = 4
; NumSgprs: 4
; NumVgprs: 0
; NumAgprs: 0
; TotalNumVgprs: 0
; ScratchSize: 0
; MemoryBound: 0
; FloatMode: 240
; IeeeMode: 1
; LDSByteSize: 0 bytes/workgroup (compile time only)
; SGPRBlocks: 0
; VGPRBlocks: 0
; NumSGPRsForWavesPerEU: 4
; NumVGPRsForWavesPerEU: 1
; AccumOffset: 4
; Occupancy: 8
; WaveLimiterHint : 0
; COMPUTE_PGM_RSRC2:SCRATCH_EN: 0
; COMPUTE_PGM_RSRC2:USER_SGPR: 4
; COMPUTE_PGM_RSRC2:TRAP_HANDLER: 0
; COMPUTE_PGM_RSRC2:TGID_X_EN: 1
; COMPUTE_PGM_RSRC2:TGID_Y_EN: 0
; COMPUTE_PGM_RSRC2:TGID_Z_EN: 0
; COMPUTE_PGM_RSRC2:TIDIG_COMP_CNT: 0
; COMPUTE_PGM_RSRC3_GFX90A:ACCUM_OFFSET: 0
; COMPUTE_PGM_RSRC3_GFX90A:TG_SPLIT: 0
	.section	.text._ZN7rocprim17ROCPRIM_400000_NS6detail44device_merge_sort_compile_time_verifier_archINS1_11comp_targetILNS1_3genE10ELNS1_11target_archE1200ELNS1_3gpuE4ELNS1_3repE0EEENS3_ILS4_10ELS5_1201ELS6_5ELS7_0EEENS1_28merge_sort_block_sort_configILj256ELj4ELNS0_20block_sort_algorithmE0EEENS0_14default_configENS1_37merge_sort_block_sort_config_selectorItNS0_10empty_typeEEENS1_38merge_sort_block_merge_config_selectorItSF_EEEEvv,"axG",@progbits,_ZN7rocprim17ROCPRIM_400000_NS6detail44device_merge_sort_compile_time_verifier_archINS1_11comp_targetILNS1_3genE10ELNS1_11target_archE1200ELNS1_3gpuE4ELNS1_3repE0EEENS3_ILS4_10ELS5_1201ELS6_5ELS7_0EEENS1_28merge_sort_block_sort_configILj256ELj4ELNS0_20block_sort_algorithmE0EEENS0_14default_configENS1_37merge_sort_block_sort_config_selectorItNS0_10empty_typeEEENS1_38merge_sort_block_merge_config_selectorItSF_EEEEvv,comdat
	.protected	_ZN7rocprim17ROCPRIM_400000_NS6detail44device_merge_sort_compile_time_verifier_archINS1_11comp_targetILNS1_3genE10ELNS1_11target_archE1200ELNS1_3gpuE4ELNS1_3repE0EEENS3_ILS4_10ELS5_1201ELS6_5ELS7_0EEENS1_28merge_sort_block_sort_configILj256ELj4ELNS0_20block_sort_algorithmE0EEENS0_14default_configENS1_37merge_sort_block_sort_config_selectorItNS0_10empty_typeEEENS1_38merge_sort_block_merge_config_selectorItSF_EEEEvv ; -- Begin function _ZN7rocprim17ROCPRIM_400000_NS6detail44device_merge_sort_compile_time_verifier_archINS1_11comp_targetILNS1_3genE10ELNS1_11target_archE1200ELNS1_3gpuE4ELNS1_3repE0EEENS3_ILS4_10ELS5_1201ELS6_5ELS7_0EEENS1_28merge_sort_block_sort_configILj256ELj4ELNS0_20block_sort_algorithmE0EEENS0_14default_configENS1_37merge_sort_block_sort_config_selectorItNS0_10empty_typeEEENS1_38merge_sort_block_merge_config_selectorItSF_EEEEvv
	.globl	_ZN7rocprim17ROCPRIM_400000_NS6detail44device_merge_sort_compile_time_verifier_archINS1_11comp_targetILNS1_3genE10ELNS1_11target_archE1200ELNS1_3gpuE4ELNS1_3repE0EEENS3_ILS4_10ELS5_1201ELS6_5ELS7_0EEENS1_28merge_sort_block_sort_configILj256ELj4ELNS0_20block_sort_algorithmE0EEENS0_14default_configENS1_37merge_sort_block_sort_config_selectorItNS0_10empty_typeEEENS1_38merge_sort_block_merge_config_selectorItSF_EEEEvv
	.p2align	8
	.type	_ZN7rocprim17ROCPRIM_400000_NS6detail44device_merge_sort_compile_time_verifier_archINS1_11comp_targetILNS1_3genE10ELNS1_11target_archE1200ELNS1_3gpuE4ELNS1_3repE0EEENS3_ILS4_10ELS5_1201ELS6_5ELS7_0EEENS1_28merge_sort_block_sort_configILj256ELj4ELNS0_20block_sort_algorithmE0EEENS0_14default_configENS1_37merge_sort_block_sort_config_selectorItNS0_10empty_typeEEENS1_38merge_sort_block_merge_config_selectorItSF_EEEEvv,@function
_ZN7rocprim17ROCPRIM_400000_NS6detail44device_merge_sort_compile_time_verifier_archINS1_11comp_targetILNS1_3genE10ELNS1_11target_archE1200ELNS1_3gpuE4ELNS1_3repE0EEENS3_ILS4_10ELS5_1201ELS6_5ELS7_0EEENS1_28merge_sort_block_sort_configILj256ELj4ELNS0_20block_sort_algorithmE0EEENS0_14default_configENS1_37merge_sort_block_sort_config_selectorItNS0_10empty_typeEEENS1_38merge_sort_block_merge_config_selectorItSF_EEEEvv: ; @_ZN7rocprim17ROCPRIM_400000_NS6detail44device_merge_sort_compile_time_verifier_archINS1_11comp_targetILNS1_3genE10ELNS1_11target_archE1200ELNS1_3gpuE4ELNS1_3repE0EEENS3_ILS4_10ELS5_1201ELS6_5ELS7_0EEENS1_28merge_sort_block_sort_configILj256ELj4ELNS0_20block_sort_algorithmE0EEENS0_14default_configENS1_37merge_sort_block_sort_config_selectorItNS0_10empty_typeEEENS1_38merge_sort_block_merge_config_selectorItSF_EEEEvv
; %bb.0:
	s_endpgm
	.section	.rodata,"a",@progbits
	.p2align	6, 0x0
	.amdhsa_kernel _ZN7rocprim17ROCPRIM_400000_NS6detail44device_merge_sort_compile_time_verifier_archINS1_11comp_targetILNS1_3genE10ELNS1_11target_archE1200ELNS1_3gpuE4ELNS1_3repE0EEENS3_ILS4_10ELS5_1201ELS6_5ELS7_0EEENS1_28merge_sort_block_sort_configILj256ELj4ELNS0_20block_sort_algorithmE0EEENS0_14default_configENS1_37merge_sort_block_sort_config_selectorItNS0_10empty_typeEEENS1_38merge_sort_block_merge_config_selectorItSF_EEEEvv
		.amdhsa_group_segment_fixed_size 0
		.amdhsa_private_segment_fixed_size 0
		.amdhsa_kernarg_size 0
		.amdhsa_user_sgpr_count 4
		.amdhsa_user_sgpr_private_segment_buffer 1
		.amdhsa_user_sgpr_dispatch_ptr 0
		.amdhsa_user_sgpr_queue_ptr 0
		.amdhsa_user_sgpr_kernarg_segment_ptr 0
		.amdhsa_user_sgpr_dispatch_id 0
		.amdhsa_user_sgpr_flat_scratch_init 0
		.amdhsa_user_sgpr_kernarg_preload_length 0
		.amdhsa_user_sgpr_kernarg_preload_offset 0
		.amdhsa_user_sgpr_private_segment_size 0
		.amdhsa_uses_dynamic_stack 0
		.amdhsa_system_sgpr_private_segment_wavefront_offset 0
		.amdhsa_system_sgpr_workgroup_id_x 1
		.amdhsa_system_sgpr_workgroup_id_y 0
		.amdhsa_system_sgpr_workgroup_id_z 0
		.amdhsa_system_sgpr_workgroup_info 0
		.amdhsa_system_vgpr_workitem_id 0
		.amdhsa_next_free_vgpr 1
		.amdhsa_next_free_sgpr 0
		.amdhsa_accum_offset 4
		.amdhsa_reserve_vcc 0
		.amdhsa_reserve_flat_scratch 0
		.amdhsa_float_round_mode_32 0
		.amdhsa_float_round_mode_16_64 0
		.amdhsa_float_denorm_mode_32 3
		.amdhsa_float_denorm_mode_16_64 3
		.amdhsa_dx10_clamp 1
		.amdhsa_ieee_mode 1
		.amdhsa_fp16_overflow 0
		.amdhsa_tg_split 0
		.amdhsa_exception_fp_ieee_invalid_op 0
		.amdhsa_exception_fp_denorm_src 0
		.amdhsa_exception_fp_ieee_div_zero 0
		.amdhsa_exception_fp_ieee_overflow 0
		.amdhsa_exception_fp_ieee_underflow 0
		.amdhsa_exception_fp_ieee_inexact 0
		.amdhsa_exception_int_div_zero 0
	.end_amdhsa_kernel
	.section	.text._ZN7rocprim17ROCPRIM_400000_NS6detail44device_merge_sort_compile_time_verifier_archINS1_11comp_targetILNS1_3genE10ELNS1_11target_archE1200ELNS1_3gpuE4ELNS1_3repE0EEENS3_ILS4_10ELS5_1201ELS6_5ELS7_0EEENS1_28merge_sort_block_sort_configILj256ELj4ELNS0_20block_sort_algorithmE0EEENS0_14default_configENS1_37merge_sort_block_sort_config_selectorItNS0_10empty_typeEEENS1_38merge_sort_block_merge_config_selectorItSF_EEEEvv,"axG",@progbits,_ZN7rocprim17ROCPRIM_400000_NS6detail44device_merge_sort_compile_time_verifier_archINS1_11comp_targetILNS1_3genE10ELNS1_11target_archE1200ELNS1_3gpuE4ELNS1_3repE0EEENS3_ILS4_10ELS5_1201ELS6_5ELS7_0EEENS1_28merge_sort_block_sort_configILj256ELj4ELNS0_20block_sort_algorithmE0EEENS0_14default_configENS1_37merge_sort_block_sort_config_selectorItNS0_10empty_typeEEENS1_38merge_sort_block_merge_config_selectorItSF_EEEEvv,comdat
.Lfunc_end463:
	.size	_ZN7rocprim17ROCPRIM_400000_NS6detail44device_merge_sort_compile_time_verifier_archINS1_11comp_targetILNS1_3genE10ELNS1_11target_archE1200ELNS1_3gpuE4ELNS1_3repE0EEENS3_ILS4_10ELS5_1201ELS6_5ELS7_0EEENS1_28merge_sort_block_sort_configILj256ELj4ELNS0_20block_sort_algorithmE0EEENS0_14default_configENS1_37merge_sort_block_sort_config_selectorItNS0_10empty_typeEEENS1_38merge_sort_block_merge_config_selectorItSF_EEEEvv, .Lfunc_end463-_ZN7rocprim17ROCPRIM_400000_NS6detail44device_merge_sort_compile_time_verifier_archINS1_11comp_targetILNS1_3genE10ELNS1_11target_archE1200ELNS1_3gpuE4ELNS1_3repE0EEENS3_ILS4_10ELS5_1201ELS6_5ELS7_0EEENS1_28merge_sort_block_sort_configILj256ELj4ELNS0_20block_sort_algorithmE0EEENS0_14default_configENS1_37merge_sort_block_sort_config_selectorItNS0_10empty_typeEEENS1_38merge_sort_block_merge_config_selectorItSF_EEEEvv
                                        ; -- End function
	.section	.AMDGPU.csdata,"",@progbits
; Kernel info:
; codeLenInByte = 4
; NumSgprs: 4
; NumVgprs: 0
; NumAgprs: 0
; TotalNumVgprs: 0
; ScratchSize: 0
; MemoryBound: 0
; FloatMode: 240
; IeeeMode: 1
; LDSByteSize: 0 bytes/workgroup (compile time only)
; SGPRBlocks: 0
; VGPRBlocks: 0
; NumSGPRsForWavesPerEU: 4
; NumVGPRsForWavesPerEU: 1
; AccumOffset: 4
; Occupancy: 8
; WaveLimiterHint : 0
; COMPUTE_PGM_RSRC2:SCRATCH_EN: 0
; COMPUTE_PGM_RSRC2:USER_SGPR: 4
; COMPUTE_PGM_RSRC2:TRAP_HANDLER: 0
; COMPUTE_PGM_RSRC2:TGID_X_EN: 1
; COMPUTE_PGM_RSRC2:TGID_Y_EN: 0
; COMPUTE_PGM_RSRC2:TGID_Z_EN: 0
; COMPUTE_PGM_RSRC2:TIDIG_COMP_CNT: 0
; COMPUTE_PGM_RSRC3_GFX90A:ACCUM_OFFSET: 0
; COMPUTE_PGM_RSRC3_GFX90A:TG_SPLIT: 0
	.section	.text._ZN7rocprim17ROCPRIM_400000_NS6detail44device_merge_sort_compile_time_verifier_archINS1_11comp_targetILNS1_3genE9ELNS1_11target_archE1100ELNS1_3gpuE3ELNS1_3repE0EEES8_NS1_28merge_sort_block_sort_configILj256ELj4ELNS0_20block_sort_algorithmE0EEENS0_14default_configENS1_37merge_sort_block_sort_config_selectorItNS0_10empty_typeEEENS1_38merge_sort_block_merge_config_selectorItSE_EEEEvv,"axG",@progbits,_ZN7rocprim17ROCPRIM_400000_NS6detail44device_merge_sort_compile_time_verifier_archINS1_11comp_targetILNS1_3genE9ELNS1_11target_archE1100ELNS1_3gpuE3ELNS1_3repE0EEES8_NS1_28merge_sort_block_sort_configILj256ELj4ELNS0_20block_sort_algorithmE0EEENS0_14default_configENS1_37merge_sort_block_sort_config_selectorItNS0_10empty_typeEEENS1_38merge_sort_block_merge_config_selectorItSE_EEEEvv,comdat
	.protected	_ZN7rocprim17ROCPRIM_400000_NS6detail44device_merge_sort_compile_time_verifier_archINS1_11comp_targetILNS1_3genE9ELNS1_11target_archE1100ELNS1_3gpuE3ELNS1_3repE0EEES8_NS1_28merge_sort_block_sort_configILj256ELj4ELNS0_20block_sort_algorithmE0EEENS0_14default_configENS1_37merge_sort_block_sort_config_selectorItNS0_10empty_typeEEENS1_38merge_sort_block_merge_config_selectorItSE_EEEEvv ; -- Begin function _ZN7rocprim17ROCPRIM_400000_NS6detail44device_merge_sort_compile_time_verifier_archINS1_11comp_targetILNS1_3genE9ELNS1_11target_archE1100ELNS1_3gpuE3ELNS1_3repE0EEES8_NS1_28merge_sort_block_sort_configILj256ELj4ELNS0_20block_sort_algorithmE0EEENS0_14default_configENS1_37merge_sort_block_sort_config_selectorItNS0_10empty_typeEEENS1_38merge_sort_block_merge_config_selectorItSE_EEEEvv
	.globl	_ZN7rocprim17ROCPRIM_400000_NS6detail44device_merge_sort_compile_time_verifier_archINS1_11comp_targetILNS1_3genE9ELNS1_11target_archE1100ELNS1_3gpuE3ELNS1_3repE0EEES8_NS1_28merge_sort_block_sort_configILj256ELj4ELNS0_20block_sort_algorithmE0EEENS0_14default_configENS1_37merge_sort_block_sort_config_selectorItNS0_10empty_typeEEENS1_38merge_sort_block_merge_config_selectorItSE_EEEEvv
	.p2align	8
	.type	_ZN7rocprim17ROCPRIM_400000_NS6detail44device_merge_sort_compile_time_verifier_archINS1_11comp_targetILNS1_3genE9ELNS1_11target_archE1100ELNS1_3gpuE3ELNS1_3repE0EEES8_NS1_28merge_sort_block_sort_configILj256ELj4ELNS0_20block_sort_algorithmE0EEENS0_14default_configENS1_37merge_sort_block_sort_config_selectorItNS0_10empty_typeEEENS1_38merge_sort_block_merge_config_selectorItSE_EEEEvv,@function
_ZN7rocprim17ROCPRIM_400000_NS6detail44device_merge_sort_compile_time_verifier_archINS1_11comp_targetILNS1_3genE9ELNS1_11target_archE1100ELNS1_3gpuE3ELNS1_3repE0EEES8_NS1_28merge_sort_block_sort_configILj256ELj4ELNS0_20block_sort_algorithmE0EEENS0_14default_configENS1_37merge_sort_block_sort_config_selectorItNS0_10empty_typeEEENS1_38merge_sort_block_merge_config_selectorItSE_EEEEvv: ; @_ZN7rocprim17ROCPRIM_400000_NS6detail44device_merge_sort_compile_time_verifier_archINS1_11comp_targetILNS1_3genE9ELNS1_11target_archE1100ELNS1_3gpuE3ELNS1_3repE0EEES8_NS1_28merge_sort_block_sort_configILj256ELj4ELNS0_20block_sort_algorithmE0EEENS0_14default_configENS1_37merge_sort_block_sort_config_selectorItNS0_10empty_typeEEENS1_38merge_sort_block_merge_config_selectorItSE_EEEEvv
; %bb.0:
	s_endpgm
	.section	.rodata,"a",@progbits
	.p2align	6, 0x0
	.amdhsa_kernel _ZN7rocprim17ROCPRIM_400000_NS6detail44device_merge_sort_compile_time_verifier_archINS1_11comp_targetILNS1_3genE9ELNS1_11target_archE1100ELNS1_3gpuE3ELNS1_3repE0EEES8_NS1_28merge_sort_block_sort_configILj256ELj4ELNS0_20block_sort_algorithmE0EEENS0_14default_configENS1_37merge_sort_block_sort_config_selectorItNS0_10empty_typeEEENS1_38merge_sort_block_merge_config_selectorItSE_EEEEvv
		.amdhsa_group_segment_fixed_size 0
		.amdhsa_private_segment_fixed_size 0
		.amdhsa_kernarg_size 0
		.amdhsa_user_sgpr_count 4
		.amdhsa_user_sgpr_private_segment_buffer 1
		.amdhsa_user_sgpr_dispatch_ptr 0
		.amdhsa_user_sgpr_queue_ptr 0
		.amdhsa_user_sgpr_kernarg_segment_ptr 0
		.amdhsa_user_sgpr_dispatch_id 0
		.amdhsa_user_sgpr_flat_scratch_init 0
		.amdhsa_user_sgpr_kernarg_preload_length 0
		.amdhsa_user_sgpr_kernarg_preload_offset 0
		.amdhsa_user_sgpr_private_segment_size 0
		.amdhsa_uses_dynamic_stack 0
		.amdhsa_system_sgpr_private_segment_wavefront_offset 0
		.amdhsa_system_sgpr_workgroup_id_x 1
		.amdhsa_system_sgpr_workgroup_id_y 0
		.amdhsa_system_sgpr_workgroup_id_z 0
		.amdhsa_system_sgpr_workgroup_info 0
		.amdhsa_system_vgpr_workitem_id 0
		.amdhsa_next_free_vgpr 1
		.amdhsa_next_free_sgpr 0
		.amdhsa_accum_offset 4
		.amdhsa_reserve_vcc 0
		.amdhsa_reserve_flat_scratch 0
		.amdhsa_float_round_mode_32 0
		.amdhsa_float_round_mode_16_64 0
		.amdhsa_float_denorm_mode_32 3
		.amdhsa_float_denorm_mode_16_64 3
		.amdhsa_dx10_clamp 1
		.amdhsa_ieee_mode 1
		.amdhsa_fp16_overflow 0
		.amdhsa_tg_split 0
		.amdhsa_exception_fp_ieee_invalid_op 0
		.amdhsa_exception_fp_denorm_src 0
		.amdhsa_exception_fp_ieee_div_zero 0
		.amdhsa_exception_fp_ieee_overflow 0
		.amdhsa_exception_fp_ieee_underflow 0
		.amdhsa_exception_fp_ieee_inexact 0
		.amdhsa_exception_int_div_zero 0
	.end_amdhsa_kernel
	.section	.text._ZN7rocprim17ROCPRIM_400000_NS6detail44device_merge_sort_compile_time_verifier_archINS1_11comp_targetILNS1_3genE9ELNS1_11target_archE1100ELNS1_3gpuE3ELNS1_3repE0EEES8_NS1_28merge_sort_block_sort_configILj256ELj4ELNS0_20block_sort_algorithmE0EEENS0_14default_configENS1_37merge_sort_block_sort_config_selectorItNS0_10empty_typeEEENS1_38merge_sort_block_merge_config_selectorItSE_EEEEvv,"axG",@progbits,_ZN7rocprim17ROCPRIM_400000_NS6detail44device_merge_sort_compile_time_verifier_archINS1_11comp_targetILNS1_3genE9ELNS1_11target_archE1100ELNS1_3gpuE3ELNS1_3repE0EEES8_NS1_28merge_sort_block_sort_configILj256ELj4ELNS0_20block_sort_algorithmE0EEENS0_14default_configENS1_37merge_sort_block_sort_config_selectorItNS0_10empty_typeEEENS1_38merge_sort_block_merge_config_selectorItSE_EEEEvv,comdat
.Lfunc_end464:
	.size	_ZN7rocprim17ROCPRIM_400000_NS6detail44device_merge_sort_compile_time_verifier_archINS1_11comp_targetILNS1_3genE9ELNS1_11target_archE1100ELNS1_3gpuE3ELNS1_3repE0EEES8_NS1_28merge_sort_block_sort_configILj256ELj4ELNS0_20block_sort_algorithmE0EEENS0_14default_configENS1_37merge_sort_block_sort_config_selectorItNS0_10empty_typeEEENS1_38merge_sort_block_merge_config_selectorItSE_EEEEvv, .Lfunc_end464-_ZN7rocprim17ROCPRIM_400000_NS6detail44device_merge_sort_compile_time_verifier_archINS1_11comp_targetILNS1_3genE9ELNS1_11target_archE1100ELNS1_3gpuE3ELNS1_3repE0EEES8_NS1_28merge_sort_block_sort_configILj256ELj4ELNS0_20block_sort_algorithmE0EEENS0_14default_configENS1_37merge_sort_block_sort_config_selectorItNS0_10empty_typeEEENS1_38merge_sort_block_merge_config_selectorItSE_EEEEvv
                                        ; -- End function
	.section	.AMDGPU.csdata,"",@progbits
; Kernel info:
; codeLenInByte = 4
; NumSgprs: 4
; NumVgprs: 0
; NumAgprs: 0
; TotalNumVgprs: 0
; ScratchSize: 0
; MemoryBound: 0
; FloatMode: 240
; IeeeMode: 1
; LDSByteSize: 0 bytes/workgroup (compile time only)
; SGPRBlocks: 0
; VGPRBlocks: 0
; NumSGPRsForWavesPerEU: 4
; NumVGPRsForWavesPerEU: 1
; AccumOffset: 4
; Occupancy: 8
; WaveLimiterHint : 0
; COMPUTE_PGM_RSRC2:SCRATCH_EN: 0
; COMPUTE_PGM_RSRC2:USER_SGPR: 4
; COMPUTE_PGM_RSRC2:TRAP_HANDLER: 0
; COMPUTE_PGM_RSRC2:TGID_X_EN: 1
; COMPUTE_PGM_RSRC2:TGID_Y_EN: 0
; COMPUTE_PGM_RSRC2:TGID_Z_EN: 0
; COMPUTE_PGM_RSRC2:TIDIG_COMP_CNT: 0
; COMPUTE_PGM_RSRC3_GFX90A:ACCUM_OFFSET: 0
; COMPUTE_PGM_RSRC3_GFX90A:TG_SPLIT: 0
	.section	.text._ZN7rocprim17ROCPRIM_400000_NS6detail44device_merge_sort_compile_time_verifier_archINS1_11comp_targetILNS1_3genE8ELNS1_11target_archE1030ELNS1_3gpuE2ELNS1_3repE0EEES8_NS1_28merge_sort_block_sort_configILj256ELj4ELNS0_20block_sort_algorithmE0EEENS0_14default_configENS1_37merge_sort_block_sort_config_selectorItNS0_10empty_typeEEENS1_38merge_sort_block_merge_config_selectorItSE_EEEEvv,"axG",@progbits,_ZN7rocprim17ROCPRIM_400000_NS6detail44device_merge_sort_compile_time_verifier_archINS1_11comp_targetILNS1_3genE8ELNS1_11target_archE1030ELNS1_3gpuE2ELNS1_3repE0EEES8_NS1_28merge_sort_block_sort_configILj256ELj4ELNS0_20block_sort_algorithmE0EEENS0_14default_configENS1_37merge_sort_block_sort_config_selectorItNS0_10empty_typeEEENS1_38merge_sort_block_merge_config_selectorItSE_EEEEvv,comdat
	.protected	_ZN7rocprim17ROCPRIM_400000_NS6detail44device_merge_sort_compile_time_verifier_archINS1_11comp_targetILNS1_3genE8ELNS1_11target_archE1030ELNS1_3gpuE2ELNS1_3repE0EEES8_NS1_28merge_sort_block_sort_configILj256ELj4ELNS0_20block_sort_algorithmE0EEENS0_14default_configENS1_37merge_sort_block_sort_config_selectorItNS0_10empty_typeEEENS1_38merge_sort_block_merge_config_selectorItSE_EEEEvv ; -- Begin function _ZN7rocprim17ROCPRIM_400000_NS6detail44device_merge_sort_compile_time_verifier_archINS1_11comp_targetILNS1_3genE8ELNS1_11target_archE1030ELNS1_3gpuE2ELNS1_3repE0EEES8_NS1_28merge_sort_block_sort_configILj256ELj4ELNS0_20block_sort_algorithmE0EEENS0_14default_configENS1_37merge_sort_block_sort_config_selectorItNS0_10empty_typeEEENS1_38merge_sort_block_merge_config_selectorItSE_EEEEvv
	.globl	_ZN7rocprim17ROCPRIM_400000_NS6detail44device_merge_sort_compile_time_verifier_archINS1_11comp_targetILNS1_3genE8ELNS1_11target_archE1030ELNS1_3gpuE2ELNS1_3repE0EEES8_NS1_28merge_sort_block_sort_configILj256ELj4ELNS0_20block_sort_algorithmE0EEENS0_14default_configENS1_37merge_sort_block_sort_config_selectorItNS0_10empty_typeEEENS1_38merge_sort_block_merge_config_selectorItSE_EEEEvv
	.p2align	8
	.type	_ZN7rocprim17ROCPRIM_400000_NS6detail44device_merge_sort_compile_time_verifier_archINS1_11comp_targetILNS1_3genE8ELNS1_11target_archE1030ELNS1_3gpuE2ELNS1_3repE0EEES8_NS1_28merge_sort_block_sort_configILj256ELj4ELNS0_20block_sort_algorithmE0EEENS0_14default_configENS1_37merge_sort_block_sort_config_selectorItNS0_10empty_typeEEENS1_38merge_sort_block_merge_config_selectorItSE_EEEEvv,@function
_ZN7rocprim17ROCPRIM_400000_NS6detail44device_merge_sort_compile_time_verifier_archINS1_11comp_targetILNS1_3genE8ELNS1_11target_archE1030ELNS1_3gpuE2ELNS1_3repE0EEES8_NS1_28merge_sort_block_sort_configILj256ELj4ELNS0_20block_sort_algorithmE0EEENS0_14default_configENS1_37merge_sort_block_sort_config_selectorItNS0_10empty_typeEEENS1_38merge_sort_block_merge_config_selectorItSE_EEEEvv: ; @_ZN7rocprim17ROCPRIM_400000_NS6detail44device_merge_sort_compile_time_verifier_archINS1_11comp_targetILNS1_3genE8ELNS1_11target_archE1030ELNS1_3gpuE2ELNS1_3repE0EEES8_NS1_28merge_sort_block_sort_configILj256ELj4ELNS0_20block_sort_algorithmE0EEENS0_14default_configENS1_37merge_sort_block_sort_config_selectorItNS0_10empty_typeEEENS1_38merge_sort_block_merge_config_selectorItSE_EEEEvv
; %bb.0:
	s_endpgm
	.section	.rodata,"a",@progbits
	.p2align	6, 0x0
	.amdhsa_kernel _ZN7rocprim17ROCPRIM_400000_NS6detail44device_merge_sort_compile_time_verifier_archINS1_11comp_targetILNS1_3genE8ELNS1_11target_archE1030ELNS1_3gpuE2ELNS1_3repE0EEES8_NS1_28merge_sort_block_sort_configILj256ELj4ELNS0_20block_sort_algorithmE0EEENS0_14default_configENS1_37merge_sort_block_sort_config_selectorItNS0_10empty_typeEEENS1_38merge_sort_block_merge_config_selectorItSE_EEEEvv
		.amdhsa_group_segment_fixed_size 0
		.amdhsa_private_segment_fixed_size 0
		.amdhsa_kernarg_size 0
		.amdhsa_user_sgpr_count 4
		.amdhsa_user_sgpr_private_segment_buffer 1
		.amdhsa_user_sgpr_dispatch_ptr 0
		.amdhsa_user_sgpr_queue_ptr 0
		.amdhsa_user_sgpr_kernarg_segment_ptr 0
		.amdhsa_user_sgpr_dispatch_id 0
		.amdhsa_user_sgpr_flat_scratch_init 0
		.amdhsa_user_sgpr_kernarg_preload_length 0
		.amdhsa_user_sgpr_kernarg_preload_offset 0
		.amdhsa_user_sgpr_private_segment_size 0
		.amdhsa_uses_dynamic_stack 0
		.amdhsa_system_sgpr_private_segment_wavefront_offset 0
		.amdhsa_system_sgpr_workgroup_id_x 1
		.amdhsa_system_sgpr_workgroup_id_y 0
		.amdhsa_system_sgpr_workgroup_id_z 0
		.amdhsa_system_sgpr_workgroup_info 0
		.amdhsa_system_vgpr_workitem_id 0
		.amdhsa_next_free_vgpr 1
		.amdhsa_next_free_sgpr 0
		.amdhsa_accum_offset 4
		.amdhsa_reserve_vcc 0
		.amdhsa_reserve_flat_scratch 0
		.amdhsa_float_round_mode_32 0
		.amdhsa_float_round_mode_16_64 0
		.amdhsa_float_denorm_mode_32 3
		.amdhsa_float_denorm_mode_16_64 3
		.amdhsa_dx10_clamp 1
		.amdhsa_ieee_mode 1
		.amdhsa_fp16_overflow 0
		.amdhsa_tg_split 0
		.amdhsa_exception_fp_ieee_invalid_op 0
		.amdhsa_exception_fp_denorm_src 0
		.amdhsa_exception_fp_ieee_div_zero 0
		.amdhsa_exception_fp_ieee_overflow 0
		.amdhsa_exception_fp_ieee_underflow 0
		.amdhsa_exception_fp_ieee_inexact 0
		.amdhsa_exception_int_div_zero 0
	.end_amdhsa_kernel
	.section	.text._ZN7rocprim17ROCPRIM_400000_NS6detail44device_merge_sort_compile_time_verifier_archINS1_11comp_targetILNS1_3genE8ELNS1_11target_archE1030ELNS1_3gpuE2ELNS1_3repE0EEES8_NS1_28merge_sort_block_sort_configILj256ELj4ELNS0_20block_sort_algorithmE0EEENS0_14default_configENS1_37merge_sort_block_sort_config_selectorItNS0_10empty_typeEEENS1_38merge_sort_block_merge_config_selectorItSE_EEEEvv,"axG",@progbits,_ZN7rocprim17ROCPRIM_400000_NS6detail44device_merge_sort_compile_time_verifier_archINS1_11comp_targetILNS1_3genE8ELNS1_11target_archE1030ELNS1_3gpuE2ELNS1_3repE0EEES8_NS1_28merge_sort_block_sort_configILj256ELj4ELNS0_20block_sort_algorithmE0EEENS0_14default_configENS1_37merge_sort_block_sort_config_selectorItNS0_10empty_typeEEENS1_38merge_sort_block_merge_config_selectorItSE_EEEEvv,comdat
.Lfunc_end465:
	.size	_ZN7rocprim17ROCPRIM_400000_NS6detail44device_merge_sort_compile_time_verifier_archINS1_11comp_targetILNS1_3genE8ELNS1_11target_archE1030ELNS1_3gpuE2ELNS1_3repE0EEES8_NS1_28merge_sort_block_sort_configILj256ELj4ELNS0_20block_sort_algorithmE0EEENS0_14default_configENS1_37merge_sort_block_sort_config_selectorItNS0_10empty_typeEEENS1_38merge_sort_block_merge_config_selectorItSE_EEEEvv, .Lfunc_end465-_ZN7rocprim17ROCPRIM_400000_NS6detail44device_merge_sort_compile_time_verifier_archINS1_11comp_targetILNS1_3genE8ELNS1_11target_archE1030ELNS1_3gpuE2ELNS1_3repE0EEES8_NS1_28merge_sort_block_sort_configILj256ELj4ELNS0_20block_sort_algorithmE0EEENS0_14default_configENS1_37merge_sort_block_sort_config_selectorItNS0_10empty_typeEEENS1_38merge_sort_block_merge_config_selectorItSE_EEEEvv
                                        ; -- End function
	.section	.AMDGPU.csdata,"",@progbits
; Kernel info:
; codeLenInByte = 4
; NumSgprs: 4
; NumVgprs: 0
; NumAgprs: 0
; TotalNumVgprs: 0
; ScratchSize: 0
; MemoryBound: 0
; FloatMode: 240
; IeeeMode: 1
; LDSByteSize: 0 bytes/workgroup (compile time only)
; SGPRBlocks: 0
; VGPRBlocks: 0
; NumSGPRsForWavesPerEU: 4
; NumVGPRsForWavesPerEU: 1
; AccumOffset: 4
; Occupancy: 8
; WaveLimiterHint : 0
; COMPUTE_PGM_RSRC2:SCRATCH_EN: 0
; COMPUTE_PGM_RSRC2:USER_SGPR: 4
; COMPUTE_PGM_RSRC2:TRAP_HANDLER: 0
; COMPUTE_PGM_RSRC2:TGID_X_EN: 1
; COMPUTE_PGM_RSRC2:TGID_Y_EN: 0
; COMPUTE_PGM_RSRC2:TGID_Z_EN: 0
; COMPUTE_PGM_RSRC2:TIDIG_COMP_CNT: 0
; COMPUTE_PGM_RSRC3_GFX90A:ACCUM_OFFSET: 0
; COMPUTE_PGM_RSRC3_GFX90A:TG_SPLIT: 0
	.section	.text._ZN7rocprim17ROCPRIM_400000_NS6detail17trampoline_kernelINS0_14default_configENS1_38merge_sort_block_merge_config_selectorItNS0_10empty_typeEEEZZNS1_27merge_sort_block_merge_implIS3_PtPS5_jNS1_19radix_merge_compareILb0ELb0EtNS0_19identity_decomposerEEEEE10hipError_tT0_T1_T2_jT3_P12ihipStream_tbPNSt15iterator_traitsISE_E10value_typeEPNSK_ISF_E10value_typeEPSG_NS1_7vsmem_tEENKUlT_SE_SF_SG_E_clIS8_S8_S9_S9_EESD_ST_SE_SF_SG_EUlST_E_NS1_11comp_targetILNS1_3genE0ELNS1_11target_archE4294967295ELNS1_3gpuE0ELNS1_3repE0EEENS1_48merge_mergepath_partition_config_static_selectorELNS0_4arch9wavefront6targetE1EEEvSF_,"axG",@progbits,_ZN7rocprim17ROCPRIM_400000_NS6detail17trampoline_kernelINS0_14default_configENS1_38merge_sort_block_merge_config_selectorItNS0_10empty_typeEEEZZNS1_27merge_sort_block_merge_implIS3_PtPS5_jNS1_19radix_merge_compareILb0ELb0EtNS0_19identity_decomposerEEEEE10hipError_tT0_T1_T2_jT3_P12ihipStream_tbPNSt15iterator_traitsISE_E10value_typeEPNSK_ISF_E10value_typeEPSG_NS1_7vsmem_tEENKUlT_SE_SF_SG_E_clIS8_S8_S9_S9_EESD_ST_SE_SF_SG_EUlST_E_NS1_11comp_targetILNS1_3genE0ELNS1_11target_archE4294967295ELNS1_3gpuE0ELNS1_3repE0EEENS1_48merge_mergepath_partition_config_static_selectorELNS0_4arch9wavefront6targetE1EEEvSF_,comdat
	.protected	_ZN7rocprim17ROCPRIM_400000_NS6detail17trampoline_kernelINS0_14default_configENS1_38merge_sort_block_merge_config_selectorItNS0_10empty_typeEEEZZNS1_27merge_sort_block_merge_implIS3_PtPS5_jNS1_19radix_merge_compareILb0ELb0EtNS0_19identity_decomposerEEEEE10hipError_tT0_T1_T2_jT3_P12ihipStream_tbPNSt15iterator_traitsISE_E10value_typeEPNSK_ISF_E10value_typeEPSG_NS1_7vsmem_tEENKUlT_SE_SF_SG_E_clIS8_S8_S9_S9_EESD_ST_SE_SF_SG_EUlST_E_NS1_11comp_targetILNS1_3genE0ELNS1_11target_archE4294967295ELNS1_3gpuE0ELNS1_3repE0EEENS1_48merge_mergepath_partition_config_static_selectorELNS0_4arch9wavefront6targetE1EEEvSF_ ; -- Begin function _ZN7rocprim17ROCPRIM_400000_NS6detail17trampoline_kernelINS0_14default_configENS1_38merge_sort_block_merge_config_selectorItNS0_10empty_typeEEEZZNS1_27merge_sort_block_merge_implIS3_PtPS5_jNS1_19radix_merge_compareILb0ELb0EtNS0_19identity_decomposerEEEEE10hipError_tT0_T1_T2_jT3_P12ihipStream_tbPNSt15iterator_traitsISE_E10value_typeEPNSK_ISF_E10value_typeEPSG_NS1_7vsmem_tEENKUlT_SE_SF_SG_E_clIS8_S8_S9_S9_EESD_ST_SE_SF_SG_EUlST_E_NS1_11comp_targetILNS1_3genE0ELNS1_11target_archE4294967295ELNS1_3gpuE0ELNS1_3repE0EEENS1_48merge_mergepath_partition_config_static_selectorELNS0_4arch9wavefront6targetE1EEEvSF_
	.globl	_ZN7rocprim17ROCPRIM_400000_NS6detail17trampoline_kernelINS0_14default_configENS1_38merge_sort_block_merge_config_selectorItNS0_10empty_typeEEEZZNS1_27merge_sort_block_merge_implIS3_PtPS5_jNS1_19radix_merge_compareILb0ELb0EtNS0_19identity_decomposerEEEEE10hipError_tT0_T1_T2_jT3_P12ihipStream_tbPNSt15iterator_traitsISE_E10value_typeEPNSK_ISF_E10value_typeEPSG_NS1_7vsmem_tEENKUlT_SE_SF_SG_E_clIS8_S8_S9_S9_EESD_ST_SE_SF_SG_EUlST_E_NS1_11comp_targetILNS1_3genE0ELNS1_11target_archE4294967295ELNS1_3gpuE0ELNS1_3repE0EEENS1_48merge_mergepath_partition_config_static_selectorELNS0_4arch9wavefront6targetE1EEEvSF_
	.p2align	8
	.type	_ZN7rocprim17ROCPRIM_400000_NS6detail17trampoline_kernelINS0_14default_configENS1_38merge_sort_block_merge_config_selectorItNS0_10empty_typeEEEZZNS1_27merge_sort_block_merge_implIS3_PtPS5_jNS1_19radix_merge_compareILb0ELb0EtNS0_19identity_decomposerEEEEE10hipError_tT0_T1_T2_jT3_P12ihipStream_tbPNSt15iterator_traitsISE_E10value_typeEPNSK_ISF_E10value_typeEPSG_NS1_7vsmem_tEENKUlT_SE_SF_SG_E_clIS8_S8_S9_S9_EESD_ST_SE_SF_SG_EUlST_E_NS1_11comp_targetILNS1_3genE0ELNS1_11target_archE4294967295ELNS1_3gpuE0ELNS1_3repE0EEENS1_48merge_mergepath_partition_config_static_selectorELNS0_4arch9wavefront6targetE1EEEvSF_,@function
_ZN7rocprim17ROCPRIM_400000_NS6detail17trampoline_kernelINS0_14default_configENS1_38merge_sort_block_merge_config_selectorItNS0_10empty_typeEEEZZNS1_27merge_sort_block_merge_implIS3_PtPS5_jNS1_19radix_merge_compareILb0ELb0EtNS0_19identity_decomposerEEEEE10hipError_tT0_T1_T2_jT3_P12ihipStream_tbPNSt15iterator_traitsISE_E10value_typeEPNSK_ISF_E10value_typeEPSG_NS1_7vsmem_tEENKUlT_SE_SF_SG_E_clIS8_S8_S9_S9_EESD_ST_SE_SF_SG_EUlST_E_NS1_11comp_targetILNS1_3genE0ELNS1_11target_archE4294967295ELNS1_3gpuE0ELNS1_3repE0EEENS1_48merge_mergepath_partition_config_static_selectorELNS0_4arch9wavefront6targetE1EEEvSF_: ; @_ZN7rocprim17ROCPRIM_400000_NS6detail17trampoline_kernelINS0_14default_configENS1_38merge_sort_block_merge_config_selectorItNS0_10empty_typeEEEZZNS1_27merge_sort_block_merge_implIS3_PtPS5_jNS1_19radix_merge_compareILb0ELb0EtNS0_19identity_decomposerEEEEE10hipError_tT0_T1_T2_jT3_P12ihipStream_tbPNSt15iterator_traitsISE_E10value_typeEPNSK_ISF_E10value_typeEPSG_NS1_7vsmem_tEENKUlT_SE_SF_SG_E_clIS8_S8_S9_S9_EESD_ST_SE_SF_SG_EUlST_E_NS1_11comp_targetILNS1_3genE0ELNS1_11target_archE4294967295ELNS1_3gpuE0ELNS1_3repE0EEENS1_48merge_mergepath_partition_config_static_selectorELNS0_4arch9wavefront6targetE1EEEvSF_
; %bb.0:
	.section	.rodata,"a",@progbits
	.p2align	6, 0x0
	.amdhsa_kernel _ZN7rocprim17ROCPRIM_400000_NS6detail17trampoline_kernelINS0_14default_configENS1_38merge_sort_block_merge_config_selectorItNS0_10empty_typeEEEZZNS1_27merge_sort_block_merge_implIS3_PtPS5_jNS1_19radix_merge_compareILb0ELb0EtNS0_19identity_decomposerEEEEE10hipError_tT0_T1_T2_jT3_P12ihipStream_tbPNSt15iterator_traitsISE_E10value_typeEPNSK_ISF_E10value_typeEPSG_NS1_7vsmem_tEENKUlT_SE_SF_SG_E_clIS8_S8_S9_S9_EESD_ST_SE_SF_SG_EUlST_E_NS1_11comp_targetILNS1_3genE0ELNS1_11target_archE4294967295ELNS1_3gpuE0ELNS1_3repE0EEENS1_48merge_mergepath_partition_config_static_selectorELNS0_4arch9wavefront6targetE1EEEvSF_
		.amdhsa_group_segment_fixed_size 0
		.amdhsa_private_segment_fixed_size 0
		.amdhsa_kernarg_size 40
		.amdhsa_user_sgpr_count 6
		.amdhsa_user_sgpr_private_segment_buffer 1
		.amdhsa_user_sgpr_dispatch_ptr 0
		.amdhsa_user_sgpr_queue_ptr 0
		.amdhsa_user_sgpr_kernarg_segment_ptr 1
		.amdhsa_user_sgpr_dispatch_id 0
		.amdhsa_user_sgpr_flat_scratch_init 0
		.amdhsa_user_sgpr_kernarg_preload_length 0
		.amdhsa_user_sgpr_kernarg_preload_offset 0
		.amdhsa_user_sgpr_private_segment_size 0
		.amdhsa_uses_dynamic_stack 0
		.amdhsa_system_sgpr_private_segment_wavefront_offset 0
		.amdhsa_system_sgpr_workgroup_id_x 1
		.amdhsa_system_sgpr_workgroup_id_y 0
		.amdhsa_system_sgpr_workgroup_id_z 0
		.amdhsa_system_sgpr_workgroup_info 0
		.amdhsa_system_vgpr_workitem_id 0
		.amdhsa_next_free_vgpr 1
		.amdhsa_next_free_sgpr 0
		.amdhsa_accum_offset 4
		.amdhsa_reserve_vcc 0
		.amdhsa_reserve_flat_scratch 0
		.amdhsa_float_round_mode_32 0
		.amdhsa_float_round_mode_16_64 0
		.amdhsa_float_denorm_mode_32 3
		.amdhsa_float_denorm_mode_16_64 3
		.amdhsa_dx10_clamp 1
		.amdhsa_ieee_mode 1
		.amdhsa_fp16_overflow 0
		.amdhsa_tg_split 0
		.amdhsa_exception_fp_ieee_invalid_op 0
		.amdhsa_exception_fp_denorm_src 0
		.amdhsa_exception_fp_ieee_div_zero 0
		.amdhsa_exception_fp_ieee_overflow 0
		.amdhsa_exception_fp_ieee_underflow 0
		.amdhsa_exception_fp_ieee_inexact 0
		.amdhsa_exception_int_div_zero 0
	.end_amdhsa_kernel
	.section	.text._ZN7rocprim17ROCPRIM_400000_NS6detail17trampoline_kernelINS0_14default_configENS1_38merge_sort_block_merge_config_selectorItNS0_10empty_typeEEEZZNS1_27merge_sort_block_merge_implIS3_PtPS5_jNS1_19radix_merge_compareILb0ELb0EtNS0_19identity_decomposerEEEEE10hipError_tT0_T1_T2_jT3_P12ihipStream_tbPNSt15iterator_traitsISE_E10value_typeEPNSK_ISF_E10value_typeEPSG_NS1_7vsmem_tEENKUlT_SE_SF_SG_E_clIS8_S8_S9_S9_EESD_ST_SE_SF_SG_EUlST_E_NS1_11comp_targetILNS1_3genE0ELNS1_11target_archE4294967295ELNS1_3gpuE0ELNS1_3repE0EEENS1_48merge_mergepath_partition_config_static_selectorELNS0_4arch9wavefront6targetE1EEEvSF_,"axG",@progbits,_ZN7rocprim17ROCPRIM_400000_NS6detail17trampoline_kernelINS0_14default_configENS1_38merge_sort_block_merge_config_selectorItNS0_10empty_typeEEEZZNS1_27merge_sort_block_merge_implIS3_PtPS5_jNS1_19radix_merge_compareILb0ELb0EtNS0_19identity_decomposerEEEEE10hipError_tT0_T1_T2_jT3_P12ihipStream_tbPNSt15iterator_traitsISE_E10value_typeEPNSK_ISF_E10value_typeEPSG_NS1_7vsmem_tEENKUlT_SE_SF_SG_E_clIS8_S8_S9_S9_EESD_ST_SE_SF_SG_EUlST_E_NS1_11comp_targetILNS1_3genE0ELNS1_11target_archE4294967295ELNS1_3gpuE0ELNS1_3repE0EEENS1_48merge_mergepath_partition_config_static_selectorELNS0_4arch9wavefront6targetE1EEEvSF_,comdat
.Lfunc_end466:
	.size	_ZN7rocprim17ROCPRIM_400000_NS6detail17trampoline_kernelINS0_14default_configENS1_38merge_sort_block_merge_config_selectorItNS0_10empty_typeEEEZZNS1_27merge_sort_block_merge_implIS3_PtPS5_jNS1_19radix_merge_compareILb0ELb0EtNS0_19identity_decomposerEEEEE10hipError_tT0_T1_T2_jT3_P12ihipStream_tbPNSt15iterator_traitsISE_E10value_typeEPNSK_ISF_E10value_typeEPSG_NS1_7vsmem_tEENKUlT_SE_SF_SG_E_clIS8_S8_S9_S9_EESD_ST_SE_SF_SG_EUlST_E_NS1_11comp_targetILNS1_3genE0ELNS1_11target_archE4294967295ELNS1_3gpuE0ELNS1_3repE0EEENS1_48merge_mergepath_partition_config_static_selectorELNS0_4arch9wavefront6targetE1EEEvSF_, .Lfunc_end466-_ZN7rocprim17ROCPRIM_400000_NS6detail17trampoline_kernelINS0_14default_configENS1_38merge_sort_block_merge_config_selectorItNS0_10empty_typeEEEZZNS1_27merge_sort_block_merge_implIS3_PtPS5_jNS1_19radix_merge_compareILb0ELb0EtNS0_19identity_decomposerEEEEE10hipError_tT0_T1_T2_jT3_P12ihipStream_tbPNSt15iterator_traitsISE_E10value_typeEPNSK_ISF_E10value_typeEPSG_NS1_7vsmem_tEENKUlT_SE_SF_SG_E_clIS8_S8_S9_S9_EESD_ST_SE_SF_SG_EUlST_E_NS1_11comp_targetILNS1_3genE0ELNS1_11target_archE4294967295ELNS1_3gpuE0ELNS1_3repE0EEENS1_48merge_mergepath_partition_config_static_selectorELNS0_4arch9wavefront6targetE1EEEvSF_
                                        ; -- End function
	.section	.AMDGPU.csdata,"",@progbits
; Kernel info:
; codeLenInByte = 0
; NumSgprs: 4
; NumVgprs: 0
; NumAgprs: 0
; TotalNumVgprs: 0
; ScratchSize: 0
; MemoryBound: 0
; FloatMode: 240
; IeeeMode: 1
; LDSByteSize: 0 bytes/workgroup (compile time only)
; SGPRBlocks: 0
; VGPRBlocks: 0
; NumSGPRsForWavesPerEU: 4
; NumVGPRsForWavesPerEU: 1
; AccumOffset: 4
; Occupancy: 8
; WaveLimiterHint : 0
; COMPUTE_PGM_RSRC2:SCRATCH_EN: 0
; COMPUTE_PGM_RSRC2:USER_SGPR: 6
; COMPUTE_PGM_RSRC2:TRAP_HANDLER: 0
; COMPUTE_PGM_RSRC2:TGID_X_EN: 1
; COMPUTE_PGM_RSRC2:TGID_Y_EN: 0
; COMPUTE_PGM_RSRC2:TGID_Z_EN: 0
; COMPUTE_PGM_RSRC2:TIDIG_COMP_CNT: 0
; COMPUTE_PGM_RSRC3_GFX90A:ACCUM_OFFSET: 0
; COMPUTE_PGM_RSRC3_GFX90A:TG_SPLIT: 0
	.section	.text._ZN7rocprim17ROCPRIM_400000_NS6detail17trampoline_kernelINS0_14default_configENS1_38merge_sort_block_merge_config_selectorItNS0_10empty_typeEEEZZNS1_27merge_sort_block_merge_implIS3_PtPS5_jNS1_19radix_merge_compareILb0ELb0EtNS0_19identity_decomposerEEEEE10hipError_tT0_T1_T2_jT3_P12ihipStream_tbPNSt15iterator_traitsISE_E10value_typeEPNSK_ISF_E10value_typeEPSG_NS1_7vsmem_tEENKUlT_SE_SF_SG_E_clIS8_S8_S9_S9_EESD_ST_SE_SF_SG_EUlST_E_NS1_11comp_targetILNS1_3genE10ELNS1_11target_archE1201ELNS1_3gpuE5ELNS1_3repE0EEENS1_48merge_mergepath_partition_config_static_selectorELNS0_4arch9wavefront6targetE1EEEvSF_,"axG",@progbits,_ZN7rocprim17ROCPRIM_400000_NS6detail17trampoline_kernelINS0_14default_configENS1_38merge_sort_block_merge_config_selectorItNS0_10empty_typeEEEZZNS1_27merge_sort_block_merge_implIS3_PtPS5_jNS1_19radix_merge_compareILb0ELb0EtNS0_19identity_decomposerEEEEE10hipError_tT0_T1_T2_jT3_P12ihipStream_tbPNSt15iterator_traitsISE_E10value_typeEPNSK_ISF_E10value_typeEPSG_NS1_7vsmem_tEENKUlT_SE_SF_SG_E_clIS8_S8_S9_S9_EESD_ST_SE_SF_SG_EUlST_E_NS1_11comp_targetILNS1_3genE10ELNS1_11target_archE1201ELNS1_3gpuE5ELNS1_3repE0EEENS1_48merge_mergepath_partition_config_static_selectorELNS0_4arch9wavefront6targetE1EEEvSF_,comdat
	.protected	_ZN7rocprim17ROCPRIM_400000_NS6detail17trampoline_kernelINS0_14default_configENS1_38merge_sort_block_merge_config_selectorItNS0_10empty_typeEEEZZNS1_27merge_sort_block_merge_implIS3_PtPS5_jNS1_19radix_merge_compareILb0ELb0EtNS0_19identity_decomposerEEEEE10hipError_tT0_T1_T2_jT3_P12ihipStream_tbPNSt15iterator_traitsISE_E10value_typeEPNSK_ISF_E10value_typeEPSG_NS1_7vsmem_tEENKUlT_SE_SF_SG_E_clIS8_S8_S9_S9_EESD_ST_SE_SF_SG_EUlST_E_NS1_11comp_targetILNS1_3genE10ELNS1_11target_archE1201ELNS1_3gpuE5ELNS1_3repE0EEENS1_48merge_mergepath_partition_config_static_selectorELNS0_4arch9wavefront6targetE1EEEvSF_ ; -- Begin function _ZN7rocprim17ROCPRIM_400000_NS6detail17trampoline_kernelINS0_14default_configENS1_38merge_sort_block_merge_config_selectorItNS0_10empty_typeEEEZZNS1_27merge_sort_block_merge_implIS3_PtPS5_jNS1_19radix_merge_compareILb0ELb0EtNS0_19identity_decomposerEEEEE10hipError_tT0_T1_T2_jT3_P12ihipStream_tbPNSt15iterator_traitsISE_E10value_typeEPNSK_ISF_E10value_typeEPSG_NS1_7vsmem_tEENKUlT_SE_SF_SG_E_clIS8_S8_S9_S9_EESD_ST_SE_SF_SG_EUlST_E_NS1_11comp_targetILNS1_3genE10ELNS1_11target_archE1201ELNS1_3gpuE5ELNS1_3repE0EEENS1_48merge_mergepath_partition_config_static_selectorELNS0_4arch9wavefront6targetE1EEEvSF_
	.globl	_ZN7rocprim17ROCPRIM_400000_NS6detail17trampoline_kernelINS0_14default_configENS1_38merge_sort_block_merge_config_selectorItNS0_10empty_typeEEEZZNS1_27merge_sort_block_merge_implIS3_PtPS5_jNS1_19radix_merge_compareILb0ELb0EtNS0_19identity_decomposerEEEEE10hipError_tT0_T1_T2_jT3_P12ihipStream_tbPNSt15iterator_traitsISE_E10value_typeEPNSK_ISF_E10value_typeEPSG_NS1_7vsmem_tEENKUlT_SE_SF_SG_E_clIS8_S8_S9_S9_EESD_ST_SE_SF_SG_EUlST_E_NS1_11comp_targetILNS1_3genE10ELNS1_11target_archE1201ELNS1_3gpuE5ELNS1_3repE0EEENS1_48merge_mergepath_partition_config_static_selectorELNS0_4arch9wavefront6targetE1EEEvSF_
	.p2align	8
	.type	_ZN7rocprim17ROCPRIM_400000_NS6detail17trampoline_kernelINS0_14default_configENS1_38merge_sort_block_merge_config_selectorItNS0_10empty_typeEEEZZNS1_27merge_sort_block_merge_implIS3_PtPS5_jNS1_19radix_merge_compareILb0ELb0EtNS0_19identity_decomposerEEEEE10hipError_tT0_T1_T2_jT3_P12ihipStream_tbPNSt15iterator_traitsISE_E10value_typeEPNSK_ISF_E10value_typeEPSG_NS1_7vsmem_tEENKUlT_SE_SF_SG_E_clIS8_S8_S9_S9_EESD_ST_SE_SF_SG_EUlST_E_NS1_11comp_targetILNS1_3genE10ELNS1_11target_archE1201ELNS1_3gpuE5ELNS1_3repE0EEENS1_48merge_mergepath_partition_config_static_selectorELNS0_4arch9wavefront6targetE1EEEvSF_,@function
_ZN7rocprim17ROCPRIM_400000_NS6detail17trampoline_kernelINS0_14default_configENS1_38merge_sort_block_merge_config_selectorItNS0_10empty_typeEEEZZNS1_27merge_sort_block_merge_implIS3_PtPS5_jNS1_19radix_merge_compareILb0ELb0EtNS0_19identity_decomposerEEEEE10hipError_tT0_T1_T2_jT3_P12ihipStream_tbPNSt15iterator_traitsISE_E10value_typeEPNSK_ISF_E10value_typeEPSG_NS1_7vsmem_tEENKUlT_SE_SF_SG_E_clIS8_S8_S9_S9_EESD_ST_SE_SF_SG_EUlST_E_NS1_11comp_targetILNS1_3genE10ELNS1_11target_archE1201ELNS1_3gpuE5ELNS1_3repE0EEENS1_48merge_mergepath_partition_config_static_selectorELNS0_4arch9wavefront6targetE1EEEvSF_: ; @_ZN7rocprim17ROCPRIM_400000_NS6detail17trampoline_kernelINS0_14default_configENS1_38merge_sort_block_merge_config_selectorItNS0_10empty_typeEEEZZNS1_27merge_sort_block_merge_implIS3_PtPS5_jNS1_19radix_merge_compareILb0ELb0EtNS0_19identity_decomposerEEEEE10hipError_tT0_T1_T2_jT3_P12ihipStream_tbPNSt15iterator_traitsISE_E10value_typeEPNSK_ISF_E10value_typeEPSG_NS1_7vsmem_tEENKUlT_SE_SF_SG_E_clIS8_S8_S9_S9_EESD_ST_SE_SF_SG_EUlST_E_NS1_11comp_targetILNS1_3genE10ELNS1_11target_archE1201ELNS1_3gpuE5ELNS1_3repE0EEENS1_48merge_mergepath_partition_config_static_selectorELNS0_4arch9wavefront6targetE1EEEvSF_
; %bb.0:
	.section	.rodata,"a",@progbits
	.p2align	6, 0x0
	.amdhsa_kernel _ZN7rocprim17ROCPRIM_400000_NS6detail17trampoline_kernelINS0_14default_configENS1_38merge_sort_block_merge_config_selectorItNS0_10empty_typeEEEZZNS1_27merge_sort_block_merge_implIS3_PtPS5_jNS1_19radix_merge_compareILb0ELb0EtNS0_19identity_decomposerEEEEE10hipError_tT0_T1_T2_jT3_P12ihipStream_tbPNSt15iterator_traitsISE_E10value_typeEPNSK_ISF_E10value_typeEPSG_NS1_7vsmem_tEENKUlT_SE_SF_SG_E_clIS8_S8_S9_S9_EESD_ST_SE_SF_SG_EUlST_E_NS1_11comp_targetILNS1_3genE10ELNS1_11target_archE1201ELNS1_3gpuE5ELNS1_3repE0EEENS1_48merge_mergepath_partition_config_static_selectorELNS0_4arch9wavefront6targetE1EEEvSF_
		.amdhsa_group_segment_fixed_size 0
		.amdhsa_private_segment_fixed_size 0
		.amdhsa_kernarg_size 40
		.amdhsa_user_sgpr_count 6
		.amdhsa_user_sgpr_private_segment_buffer 1
		.amdhsa_user_sgpr_dispatch_ptr 0
		.amdhsa_user_sgpr_queue_ptr 0
		.amdhsa_user_sgpr_kernarg_segment_ptr 1
		.amdhsa_user_sgpr_dispatch_id 0
		.amdhsa_user_sgpr_flat_scratch_init 0
		.amdhsa_user_sgpr_kernarg_preload_length 0
		.amdhsa_user_sgpr_kernarg_preload_offset 0
		.amdhsa_user_sgpr_private_segment_size 0
		.amdhsa_uses_dynamic_stack 0
		.amdhsa_system_sgpr_private_segment_wavefront_offset 0
		.amdhsa_system_sgpr_workgroup_id_x 1
		.amdhsa_system_sgpr_workgroup_id_y 0
		.amdhsa_system_sgpr_workgroup_id_z 0
		.amdhsa_system_sgpr_workgroup_info 0
		.amdhsa_system_vgpr_workitem_id 0
		.amdhsa_next_free_vgpr 1
		.amdhsa_next_free_sgpr 0
		.amdhsa_accum_offset 4
		.amdhsa_reserve_vcc 0
		.amdhsa_reserve_flat_scratch 0
		.amdhsa_float_round_mode_32 0
		.amdhsa_float_round_mode_16_64 0
		.amdhsa_float_denorm_mode_32 3
		.amdhsa_float_denorm_mode_16_64 3
		.amdhsa_dx10_clamp 1
		.amdhsa_ieee_mode 1
		.amdhsa_fp16_overflow 0
		.amdhsa_tg_split 0
		.amdhsa_exception_fp_ieee_invalid_op 0
		.amdhsa_exception_fp_denorm_src 0
		.amdhsa_exception_fp_ieee_div_zero 0
		.amdhsa_exception_fp_ieee_overflow 0
		.amdhsa_exception_fp_ieee_underflow 0
		.amdhsa_exception_fp_ieee_inexact 0
		.amdhsa_exception_int_div_zero 0
	.end_amdhsa_kernel
	.section	.text._ZN7rocprim17ROCPRIM_400000_NS6detail17trampoline_kernelINS0_14default_configENS1_38merge_sort_block_merge_config_selectorItNS0_10empty_typeEEEZZNS1_27merge_sort_block_merge_implIS3_PtPS5_jNS1_19radix_merge_compareILb0ELb0EtNS0_19identity_decomposerEEEEE10hipError_tT0_T1_T2_jT3_P12ihipStream_tbPNSt15iterator_traitsISE_E10value_typeEPNSK_ISF_E10value_typeEPSG_NS1_7vsmem_tEENKUlT_SE_SF_SG_E_clIS8_S8_S9_S9_EESD_ST_SE_SF_SG_EUlST_E_NS1_11comp_targetILNS1_3genE10ELNS1_11target_archE1201ELNS1_3gpuE5ELNS1_3repE0EEENS1_48merge_mergepath_partition_config_static_selectorELNS0_4arch9wavefront6targetE1EEEvSF_,"axG",@progbits,_ZN7rocprim17ROCPRIM_400000_NS6detail17trampoline_kernelINS0_14default_configENS1_38merge_sort_block_merge_config_selectorItNS0_10empty_typeEEEZZNS1_27merge_sort_block_merge_implIS3_PtPS5_jNS1_19radix_merge_compareILb0ELb0EtNS0_19identity_decomposerEEEEE10hipError_tT0_T1_T2_jT3_P12ihipStream_tbPNSt15iterator_traitsISE_E10value_typeEPNSK_ISF_E10value_typeEPSG_NS1_7vsmem_tEENKUlT_SE_SF_SG_E_clIS8_S8_S9_S9_EESD_ST_SE_SF_SG_EUlST_E_NS1_11comp_targetILNS1_3genE10ELNS1_11target_archE1201ELNS1_3gpuE5ELNS1_3repE0EEENS1_48merge_mergepath_partition_config_static_selectorELNS0_4arch9wavefront6targetE1EEEvSF_,comdat
.Lfunc_end467:
	.size	_ZN7rocprim17ROCPRIM_400000_NS6detail17trampoline_kernelINS0_14default_configENS1_38merge_sort_block_merge_config_selectorItNS0_10empty_typeEEEZZNS1_27merge_sort_block_merge_implIS3_PtPS5_jNS1_19radix_merge_compareILb0ELb0EtNS0_19identity_decomposerEEEEE10hipError_tT0_T1_T2_jT3_P12ihipStream_tbPNSt15iterator_traitsISE_E10value_typeEPNSK_ISF_E10value_typeEPSG_NS1_7vsmem_tEENKUlT_SE_SF_SG_E_clIS8_S8_S9_S9_EESD_ST_SE_SF_SG_EUlST_E_NS1_11comp_targetILNS1_3genE10ELNS1_11target_archE1201ELNS1_3gpuE5ELNS1_3repE0EEENS1_48merge_mergepath_partition_config_static_selectorELNS0_4arch9wavefront6targetE1EEEvSF_, .Lfunc_end467-_ZN7rocprim17ROCPRIM_400000_NS6detail17trampoline_kernelINS0_14default_configENS1_38merge_sort_block_merge_config_selectorItNS0_10empty_typeEEEZZNS1_27merge_sort_block_merge_implIS3_PtPS5_jNS1_19radix_merge_compareILb0ELb0EtNS0_19identity_decomposerEEEEE10hipError_tT0_T1_T2_jT3_P12ihipStream_tbPNSt15iterator_traitsISE_E10value_typeEPNSK_ISF_E10value_typeEPSG_NS1_7vsmem_tEENKUlT_SE_SF_SG_E_clIS8_S8_S9_S9_EESD_ST_SE_SF_SG_EUlST_E_NS1_11comp_targetILNS1_3genE10ELNS1_11target_archE1201ELNS1_3gpuE5ELNS1_3repE0EEENS1_48merge_mergepath_partition_config_static_selectorELNS0_4arch9wavefront6targetE1EEEvSF_
                                        ; -- End function
	.section	.AMDGPU.csdata,"",@progbits
; Kernel info:
; codeLenInByte = 0
; NumSgprs: 4
; NumVgprs: 0
; NumAgprs: 0
; TotalNumVgprs: 0
; ScratchSize: 0
; MemoryBound: 0
; FloatMode: 240
; IeeeMode: 1
; LDSByteSize: 0 bytes/workgroup (compile time only)
; SGPRBlocks: 0
; VGPRBlocks: 0
; NumSGPRsForWavesPerEU: 4
; NumVGPRsForWavesPerEU: 1
; AccumOffset: 4
; Occupancy: 8
; WaveLimiterHint : 0
; COMPUTE_PGM_RSRC2:SCRATCH_EN: 0
; COMPUTE_PGM_RSRC2:USER_SGPR: 6
; COMPUTE_PGM_RSRC2:TRAP_HANDLER: 0
; COMPUTE_PGM_RSRC2:TGID_X_EN: 1
; COMPUTE_PGM_RSRC2:TGID_Y_EN: 0
; COMPUTE_PGM_RSRC2:TGID_Z_EN: 0
; COMPUTE_PGM_RSRC2:TIDIG_COMP_CNT: 0
; COMPUTE_PGM_RSRC3_GFX90A:ACCUM_OFFSET: 0
; COMPUTE_PGM_RSRC3_GFX90A:TG_SPLIT: 0
	.section	.text._ZN7rocprim17ROCPRIM_400000_NS6detail17trampoline_kernelINS0_14default_configENS1_38merge_sort_block_merge_config_selectorItNS0_10empty_typeEEEZZNS1_27merge_sort_block_merge_implIS3_PtPS5_jNS1_19radix_merge_compareILb0ELb0EtNS0_19identity_decomposerEEEEE10hipError_tT0_T1_T2_jT3_P12ihipStream_tbPNSt15iterator_traitsISE_E10value_typeEPNSK_ISF_E10value_typeEPSG_NS1_7vsmem_tEENKUlT_SE_SF_SG_E_clIS8_S8_S9_S9_EESD_ST_SE_SF_SG_EUlST_E_NS1_11comp_targetILNS1_3genE5ELNS1_11target_archE942ELNS1_3gpuE9ELNS1_3repE0EEENS1_48merge_mergepath_partition_config_static_selectorELNS0_4arch9wavefront6targetE1EEEvSF_,"axG",@progbits,_ZN7rocprim17ROCPRIM_400000_NS6detail17trampoline_kernelINS0_14default_configENS1_38merge_sort_block_merge_config_selectorItNS0_10empty_typeEEEZZNS1_27merge_sort_block_merge_implIS3_PtPS5_jNS1_19radix_merge_compareILb0ELb0EtNS0_19identity_decomposerEEEEE10hipError_tT0_T1_T2_jT3_P12ihipStream_tbPNSt15iterator_traitsISE_E10value_typeEPNSK_ISF_E10value_typeEPSG_NS1_7vsmem_tEENKUlT_SE_SF_SG_E_clIS8_S8_S9_S9_EESD_ST_SE_SF_SG_EUlST_E_NS1_11comp_targetILNS1_3genE5ELNS1_11target_archE942ELNS1_3gpuE9ELNS1_3repE0EEENS1_48merge_mergepath_partition_config_static_selectorELNS0_4arch9wavefront6targetE1EEEvSF_,comdat
	.protected	_ZN7rocprim17ROCPRIM_400000_NS6detail17trampoline_kernelINS0_14default_configENS1_38merge_sort_block_merge_config_selectorItNS0_10empty_typeEEEZZNS1_27merge_sort_block_merge_implIS3_PtPS5_jNS1_19radix_merge_compareILb0ELb0EtNS0_19identity_decomposerEEEEE10hipError_tT0_T1_T2_jT3_P12ihipStream_tbPNSt15iterator_traitsISE_E10value_typeEPNSK_ISF_E10value_typeEPSG_NS1_7vsmem_tEENKUlT_SE_SF_SG_E_clIS8_S8_S9_S9_EESD_ST_SE_SF_SG_EUlST_E_NS1_11comp_targetILNS1_3genE5ELNS1_11target_archE942ELNS1_3gpuE9ELNS1_3repE0EEENS1_48merge_mergepath_partition_config_static_selectorELNS0_4arch9wavefront6targetE1EEEvSF_ ; -- Begin function _ZN7rocprim17ROCPRIM_400000_NS6detail17trampoline_kernelINS0_14default_configENS1_38merge_sort_block_merge_config_selectorItNS0_10empty_typeEEEZZNS1_27merge_sort_block_merge_implIS3_PtPS5_jNS1_19radix_merge_compareILb0ELb0EtNS0_19identity_decomposerEEEEE10hipError_tT0_T1_T2_jT3_P12ihipStream_tbPNSt15iterator_traitsISE_E10value_typeEPNSK_ISF_E10value_typeEPSG_NS1_7vsmem_tEENKUlT_SE_SF_SG_E_clIS8_S8_S9_S9_EESD_ST_SE_SF_SG_EUlST_E_NS1_11comp_targetILNS1_3genE5ELNS1_11target_archE942ELNS1_3gpuE9ELNS1_3repE0EEENS1_48merge_mergepath_partition_config_static_selectorELNS0_4arch9wavefront6targetE1EEEvSF_
	.globl	_ZN7rocprim17ROCPRIM_400000_NS6detail17trampoline_kernelINS0_14default_configENS1_38merge_sort_block_merge_config_selectorItNS0_10empty_typeEEEZZNS1_27merge_sort_block_merge_implIS3_PtPS5_jNS1_19radix_merge_compareILb0ELb0EtNS0_19identity_decomposerEEEEE10hipError_tT0_T1_T2_jT3_P12ihipStream_tbPNSt15iterator_traitsISE_E10value_typeEPNSK_ISF_E10value_typeEPSG_NS1_7vsmem_tEENKUlT_SE_SF_SG_E_clIS8_S8_S9_S9_EESD_ST_SE_SF_SG_EUlST_E_NS1_11comp_targetILNS1_3genE5ELNS1_11target_archE942ELNS1_3gpuE9ELNS1_3repE0EEENS1_48merge_mergepath_partition_config_static_selectorELNS0_4arch9wavefront6targetE1EEEvSF_
	.p2align	8
	.type	_ZN7rocprim17ROCPRIM_400000_NS6detail17trampoline_kernelINS0_14default_configENS1_38merge_sort_block_merge_config_selectorItNS0_10empty_typeEEEZZNS1_27merge_sort_block_merge_implIS3_PtPS5_jNS1_19radix_merge_compareILb0ELb0EtNS0_19identity_decomposerEEEEE10hipError_tT0_T1_T2_jT3_P12ihipStream_tbPNSt15iterator_traitsISE_E10value_typeEPNSK_ISF_E10value_typeEPSG_NS1_7vsmem_tEENKUlT_SE_SF_SG_E_clIS8_S8_S9_S9_EESD_ST_SE_SF_SG_EUlST_E_NS1_11comp_targetILNS1_3genE5ELNS1_11target_archE942ELNS1_3gpuE9ELNS1_3repE0EEENS1_48merge_mergepath_partition_config_static_selectorELNS0_4arch9wavefront6targetE1EEEvSF_,@function
_ZN7rocprim17ROCPRIM_400000_NS6detail17trampoline_kernelINS0_14default_configENS1_38merge_sort_block_merge_config_selectorItNS0_10empty_typeEEEZZNS1_27merge_sort_block_merge_implIS3_PtPS5_jNS1_19radix_merge_compareILb0ELb0EtNS0_19identity_decomposerEEEEE10hipError_tT0_T1_T2_jT3_P12ihipStream_tbPNSt15iterator_traitsISE_E10value_typeEPNSK_ISF_E10value_typeEPSG_NS1_7vsmem_tEENKUlT_SE_SF_SG_E_clIS8_S8_S9_S9_EESD_ST_SE_SF_SG_EUlST_E_NS1_11comp_targetILNS1_3genE5ELNS1_11target_archE942ELNS1_3gpuE9ELNS1_3repE0EEENS1_48merge_mergepath_partition_config_static_selectorELNS0_4arch9wavefront6targetE1EEEvSF_: ; @_ZN7rocprim17ROCPRIM_400000_NS6detail17trampoline_kernelINS0_14default_configENS1_38merge_sort_block_merge_config_selectorItNS0_10empty_typeEEEZZNS1_27merge_sort_block_merge_implIS3_PtPS5_jNS1_19radix_merge_compareILb0ELb0EtNS0_19identity_decomposerEEEEE10hipError_tT0_T1_T2_jT3_P12ihipStream_tbPNSt15iterator_traitsISE_E10value_typeEPNSK_ISF_E10value_typeEPSG_NS1_7vsmem_tEENKUlT_SE_SF_SG_E_clIS8_S8_S9_S9_EESD_ST_SE_SF_SG_EUlST_E_NS1_11comp_targetILNS1_3genE5ELNS1_11target_archE942ELNS1_3gpuE9ELNS1_3repE0EEENS1_48merge_mergepath_partition_config_static_selectorELNS0_4arch9wavefront6targetE1EEEvSF_
; %bb.0:
	.section	.rodata,"a",@progbits
	.p2align	6, 0x0
	.amdhsa_kernel _ZN7rocprim17ROCPRIM_400000_NS6detail17trampoline_kernelINS0_14default_configENS1_38merge_sort_block_merge_config_selectorItNS0_10empty_typeEEEZZNS1_27merge_sort_block_merge_implIS3_PtPS5_jNS1_19radix_merge_compareILb0ELb0EtNS0_19identity_decomposerEEEEE10hipError_tT0_T1_T2_jT3_P12ihipStream_tbPNSt15iterator_traitsISE_E10value_typeEPNSK_ISF_E10value_typeEPSG_NS1_7vsmem_tEENKUlT_SE_SF_SG_E_clIS8_S8_S9_S9_EESD_ST_SE_SF_SG_EUlST_E_NS1_11comp_targetILNS1_3genE5ELNS1_11target_archE942ELNS1_3gpuE9ELNS1_3repE0EEENS1_48merge_mergepath_partition_config_static_selectorELNS0_4arch9wavefront6targetE1EEEvSF_
		.amdhsa_group_segment_fixed_size 0
		.amdhsa_private_segment_fixed_size 0
		.amdhsa_kernarg_size 40
		.amdhsa_user_sgpr_count 6
		.amdhsa_user_sgpr_private_segment_buffer 1
		.amdhsa_user_sgpr_dispatch_ptr 0
		.amdhsa_user_sgpr_queue_ptr 0
		.amdhsa_user_sgpr_kernarg_segment_ptr 1
		.amdhsa_user_sgpr_dispatch_id 0
		.amdhsa_user_sgpr_flat_scratch_init 0
		.amdhsa_user_sgpr_kernarg_preload_length 0
		.amdhsa_user_sgpr_kernarg_preload_offset 0
		.amdhsa_user_sgpr_private_segment_size 0
		.amdhsa_uses_dynamic_stack 0
		.amdhsa_system_sgpr_private_segment_wavefront_offset 0
		.amdhsa_system_sgpr_workgroup_id_x 1
		.amdhsa_system_sgpr_workgroup_id_y 0
		.amdhsa_system_sgpr_workgroup_id_z 0
		.amdhsa_system_sgpr_workgroup_info 0
		.amdhsa_system_vgpr_workitem_id 0
		.amdhsa_next_free_vgpr 1
		.amdhsa_next_free_sgpr 0
		.amdhsa_accum_offset 4
		.amdhsa_reserve_vcc 0
		.amdhsa_reserve_flat_scratch 0
		.amdhsa_float_round_mode_32 0
		.amdhsa_float_round_mode_16_64 0
		.amdhsa_float_denorm_mode_32 3
		.amdhsa_float_denorm_mode_16_64 3
		.amdhsa_dx10_clamp 1
		.amdhsa_ieee_mode 1
		.amdhsa_fp16_overflow 0
		.amdhsa_tg_split 0
		.amdhsa_exception_fp_ieee_invalid_op 0
		.amdhsa_exception_fp_denorm_src 0
		.amdhsa_exception_fp_ieee_div_zero 0
		.amdhsa_exception_fp_ieee_overflow 0
		.amdhsa_exception_fp_ieee_underflow 0
		.amdhsa_exception_fp_ieee_inexact 0
		.amdhsa_exception_int_div_zero 0
	.end_amdhsa_kernel
	.section	.text._ZN7rocprim17ROCPRIM_400000_NS6detail17trampoline_kernelINS0_14default_configENS1_38merge_sort_block_merge_config_selectorItNS0_10empty_typeEEEZZNS1_27merge_sort_block_merge_implIS3_PtPS5_jNS1_19radix_merge_compareILb0ELb0EtNS0_19identity_decomposerEEEEE10hipError_tT0_T1_T2_jT3_P12ihipStream_tbPNSt15iterator_traitsISE_E10value_typeEPNSK_ISF_E10value_typeEPSG_NS1_7vsmem_tEENKUlT_SE_SF_SG_E_clIS8_S8_S9_S9_EESD_ST_SE_SF_SG_EUlST_E_NS1_11comp_targetILNS1_3genE5ELNS1_11target_archE942ELNS1_3gpuE9ELNS1_3repE0EEENS1_48merge_mergepath_partition_config_static_selectorELNS0_4arch9wavefront6targetE1EEEvSF_,"axG",@progbits,_ZN7rocprim17ROCPRIM_400000_NS6detail17trampoline_kernelINS0_14default_configENS1_38merge_sort_block_merge_config_selectorItNS0_10empty_typeEEEZZNS1_27merge_sort_block_merge_implIS3_PtPS5_jNS1_19radix_merge_compareILb0ELb0EtNS0_19identity_decomposerEEEEE10hipError_tT0_T1_T2_jT3_P12ihipStream_tbPNSt15iterator_traitsISE_E10value_typeEPNSK_ISF_E10value_typeEPSG_NS1_7vsmem_tEENKUlT_SE_SF_SG_E_clIS8_S8_S9_S9_EESD_ST_SE_SF_SG_EUlST_E_NS1_11comp_targetILNS1_3genE5ELNS1_11target_archE942ELNS1_3gpuE9ELNS1_3repE0EEENS1_48merge_mergepath_partition_config_static_selectorELNS0_4arch9wavefront6targetE1EEEvSF_,comdat
.Lfunc_end468:
	.size	_ZN7rocprim17ROCPRIM_400000_NS6detail17trampoline_kernelINS0_14default_configENS1_38merge_sort_block_merge_config_selectorItNS0_10empty_typeEEEZZNS1_27merge_sort_block_merge_implIS3_PtPS5_jNS1_19radix_merge_compareILb0ELb0EtNS0_19identity_decomposerEEEEE10hipError_tT0_T1_T2_jT3_P12ihipStream_tbPNSt15iterator_traitsISE_E10value_typeEPNSK_ISF_E10value_typeEPSG_NS1_7vsmem_tEENKUlT_SE_SF_SG_E_clIS8_S8_S9_S9_EESD_ST_SE_SF_SG_EUlST_E_NS1_11comp_targetILNS1_3genE5ELNS1_11target_archE942ELNS1_3gpuE9ELNS1_3repE0EEENS1_48merge_mergepath_partition_config_static_selectorELNS0_4arch9wavefront6targetE1EEEvSF_, .Lfunc_end468-_ZN7rocprim17ROCPRIM_400000_NS6detail17trampoline_kernelINS0_14default_configENS1_38merge_sort_block_merge_config_selectorItNS0_10empty_typeEEEZZNS1_27merge_sort_block_merge_implIS3_PtPS5_jNS1_19radix_merge_compareILb0ELb0EtNS0_19identity_decomposerEEEEE10hipError_tT0_T1_T2_jT3_P12ihipStream_tbPNSt15iterator_traitsISE_E10value_typeEPNSK_ISF_E10value_typeEPSG_NS1_7vsmem_tEENKUlT_SE_SF_SG_E_clIS8_S8_S9_S9_EESD_ST_SE_SF_SG_EUlST_E_NS1_11comp_targetILNS1_3genE5ELNS1_11target_archE942ELNS1_3gpuE9ELNS1_3repE0EEENS1_48merge_mergepath_partition_config_static_selectorELNS0_4arch9wavefront6targetE1EEEvSF_
                                        ; -- End function
	.section	.AMDGPU.csdata,"",@progbits
; Kernel info:
; codeLenInByte = 0
; NumSgprs: 4
; NumVgprs: 0
; NumAgprs: 0
; TotalNumVgprs: 0
; ScratchSize: 0
; MemoryBound: 0
; FloatMode: 240
; IeeeMode: 1
; LDSByteSize: 0 bytes/workgroup (compile time only)
; SGPRBlocks: 0
; VGPRBlocks: 0
; NumSGPRsForWavesPerEU: 4
; NumVGPRsForWavesPerEU: 1
; AccumOffset: 4
; Occupancy: 8
; WaveLimiterHint : 0
; COMPUTE_PGM_RSRC2:SCRATCH_EN: 0
; COMPUTE_PGM_RSRC2:USER_SGPR: 6
; COMPUTE_PGM_RSRC2:TRAP_HANDLER: 0
; COMPUTE_PGM_RSRC2:TGID_X_EN: 1
; COMPUTE_PGM_RSRC2:TGID_Y_EN: 0
; COMPUTE_PGM_RSRC2:TGID_Z_EN: 0
; COMPUTE_PGM_RSRC2:TIDIG_COMP_CNT: 0
; COMPUTE_PGM_RSRC3_GFX90A:ACCUM_OFFSET: 0
; COMPUTE_PGM_RSRC3_GFX90A:TG_SPLIT: 0
	.section	.text._ZN7rocprim17ROCPRIM_400000_NS6detail17trampoline_kernelINS0_14default_configENS1_38merge_sort_block_merge_config_selectorItNS0_10empty_typeEEEZZNS1_27merge_sort_block_merge_implIS3_PtPS5_jNS1_19radix_merge_compareILb0ELb0EtNS0_19identity_decomposerEEEEE10hipError_tT0_T1_T2_jT3_P12ihipStream_tbPNSt15iterator_traitsISE_E10value_typeEPNSK_ISF_E10value_typeEPSG_NS1_7vsmem_tEENKUlT_SE_SF_SG_E_clIS8_S8_S9_S9_EESD_ST_SE_SF_SG_EUlST_E_NS1_11comp_targetILNS1_3genE4ELNS1_11target_archE910ELNS1_3gpuE8ELNS1_3repE0EEENS1_48merge_mergepath_partition_config_static_selectorELNS0_4arch9wavefront6targetE1EEEvSF_,"axG",@progbits,_ZN7rocprim17ROCPRIM_400000_NS6detail17trampoline_kernelINS0_14default_configENS1_38merge_sort_block_merge_config_selectorItNS0_10empty_typeEEEZZNS1_27merge_sort_block_merge_implIS3_PtPS5_jNS1_19radix_merge_compareILb0ELb0EtNS0_19identity_decomposerEEEEE10hipError_tT0_T1_T2_jT3_P12ihipStream_tbPNSt15iterator_traitsISE_E10value_typeEPNSK_ISF_E10value_typeEPSG_NS1_7vsmem_tEENKUlT_SE_SF_SG_E_clIS8_S8_S9_S9_EESD_ST_SE_SF_SG_EUlST_E_NS1_11comp_targetILNS1_3genE4ELNS1_11target_archE910ELNS1_3gpuE8ELNS1_3repE0EEENS1_48merge_mergepath_partition_config_static_selectorELNS0_4arch9wavefront6targetE1EEEvSF_,comdat
	.protected	_ZN7rocprim17ROCPRIM_400000_NS6detail17trampoline_kernelINS0_14default_configENS1_38merge_sort_block_merge_config_selectorItNS0_10empty_typeEEEZZNS1_27merge_sort_block_merge_implIS3_PtPS5_jNS1_19radix_merge_compareILb0ELb0EtNS0_19identity_decomposerEEEEE10hipError_tT0_T1_T2_jT3_P12ihipStream_tbPNSt15iterator_traitsISE_E10value_typeEPNSK_ISF_E10value_typeEPSG_NS1_7vsmem_tEENKUlT_SE_SF_SG_E_clIS8_S8_S9_S9_EESD_ST_SE_SF_SG_EUlST_E_NS1_11comp_targetILNS1_3genE4ELNS1_11target_archE910ELNS1_3gpuE8ELNS1_3repE0EEENS1_48merge_mergepath_partition_config_static_selectorELNS0_4arch9wavefront6targetE1EEEvSF_ ; -- Begin function _ZN7rocprim17ROCPRIM_400000_NS6detail17trampoline_kernelINS0_14default_configENS1_38merge_sort_block_merge_config_selectorItNS0_10empty_typeEEEZZNS1_27merge_sort_block_merge_implIS3_PtPS5_jNS1_19radix_merge_compareILb0ELb0EtNS0_19identity_decomposerEEEEE10hipError_tT0_T1_T2_jT3_P12ihipStream_tbPNSt15iterator_traitsISE_E10value_typeEPNSK_ISF_E10value_typeEPSG_NS1_7vsmem_tEENKUlT_SE_SF_SG_E_clIS8_S8_S9_S9_EESD_ST_SE_SF_SG_EUlST_E_NS1_11comp_targetILNS1_3genE4ELNS1_11target_archE910ELNS1_3gpuE8ELNS1_3repE0EEENS1_48merge_mergepath_partition_config_static_selectorELNS0_4arch9wavefront6targetE1EEEvSF_
	.globl	_ZN7rocprim17ROCPRIM_400000_NS6detail17trampoline_kernelINS0_14default_configENS1_38merge_sort_block_merge_config_selectorItNS0_10empty_typeEEEZZNS1_27merge_sort_block_merge_implIS3_PtPS5_jNS1_19radix_merge_compareILb0ELb0EtNS0_19identity_decomposerEEEEE10hipError_tT0_T1_T2_jT3_P12ihipStream_tbPNSt15iterator_traitsISE_E10value_typeEPNSK_ISF_E10value_typeEPSG_NS1_7vsmem_tEENKUlT_SE_SF_SG_E_clIS8_S8_S9_S9_EESD_ST_SE_SF_SG_EUlST_E_NS1_11comp_targetILNS1_3genE4ELNS1_11target_archE910ELNS1_3gpuE8ELNS1_3repE0EEENS1_48merge_mergepath_partition_config_static_selectorELNS0_4arch9wavefront6targetE1EEEvSF_
	.p2align	8
	.type	_ZN7rocprim17ROCPRIM_400000_NS6detail17trampoline_kernelINS0_14default_configENS1_38merge_sort_block_merge_config_selectorItNS0_10empty_typeEEEZZNS1_27merge_sort_block_merge_implIS3_PtPS5_jNS1_19radix_merge_compareILb0ELb0EtNS0_19identity_decomposerEEEEE10hipError_tT0_T1_T2_jT3_P12ihipStream_tbPNSt15iterator_traitsISE_E10value_typeEPNSK_ISF_E10value_typeEPSG_NS1_7vsmem_tEENKUlT_SE_SF_SG_E_clIS8_S8_S9_S9_EESD_ST_SE_SF_SG_EUlST_E_NS1_11comp_targetILNS1_3genE4ELNS1_11target_archE910ELNS1_3gpuE8ELNS1_3repE0EEENS1_48merge_mergepath_partition_config_static_selectorELNS0_4arch9wavefront6targetE1EEEvSF_,@function
_ZN7rocprim17ROCPRIM_400000_NS6detail17trampoline_kernelINS0_14default_configENS1_38merge_sort_block_merge_config_selectorItNS0_10empty_typeEEEZZNS1_27merge_sort_block_merge_implIS3_PtPS5_jNS1_19radix_merge_compareILb0ELb0EtNS0_19identity_decomposerEEEEE10hipError_tT0_T1_T2_jT3_P12ihipStream_tbPNSt15iterator_traitsISE_E10value_typeEPNSK_ISF_E10value_typeEPSG_NS1_7vsmem_tEENKUlT_SE_SF_SG_E_clIS8_S8_S9_S9_EESD_ST_SE_SF_SG_EUlST_E_NS1_11comp_targetILNS1_3genE4ELNS1_11target_archE910ELNS1_3gpuE8ELNS1_3repE0EEENS1_48merge_mergepath_partition_config_static_selectorELNS0_4arch9wavefront6targetE1EEEvSF_: ; @_ZN7rocprim17ROCPRIM_400000_NS6detail17trampoline_kernelINS0_14default_configENS1_38merge_sort_block_merge_config_selectorItNS0_10empty_typeEEEZZNS1_27merge_sort_block_merge_implIS3_PtPS5_jNS1_19radix_merge_compareILb0ELb0EtNS0_19identity_decomposerEEEEE10hipError_tT0_T1_T2_jT3_P12ihipStream_tbPNSt15iterator_traitsISE_E10value_typeEPNSK_ISF_E10value_typeEPSG_NS1_7vsmem_tEENKUlT_SE_SF_SG_E_clIS8_S8_S9_S9_EESD_ST_SE_SF_SG_EUlST_E_NS1_11comp_targetILNS1_3genE4ELNS1_11target_archE910ELNS1_3gpuE8ELNS1_3repE0EEENS1_48merge_mergepath_partition_config_static_selectorELNS0_4arch9wavefront6targetE1EEEvSF_
; %bb.0:
	s_load_dword s0, s[4:5], 0x0
	v_lshl_or_b32 v0, s6, 7, v0
	s_waitcnt lgkmcnt(0)
	v_cmp_gt_u32_e32 vcc, s0, v0
	s_and_saveexec_b64 s[0:1], vcc
	s_cbranch_execz .LBB469_6
; %bb.1:
	s_load_dwordx2 s[2:3], s[4:5], 0x4
	s_load_dwordx2 s[0:1], s[4:5], 0x20
	s_waitcnt lgkmcnt(0)
	s_lshr_b32 s6, s2, 9
	s_and_b32 s6, s6, 0x7ffffe
	s_add_i32 s7, s6, -1
	s_sub_i32 s6, 0, s6
	v_and_b32_e32 v1, s6, v0
	v_lshlrev_b32_e32 v1, 10, v1
	v_min_u32_e32 v2, s3, v1
	v_add_u32_e32 v1, s2, v1
	v_min_u32_e32 v4, s3, v1
	v_add_u32_e32 v1, s2, v4
	v_and_b32_e32 v3, s7, v0
	v_min_u32_e32 v1, s3, v1
	v_sub_u32_e32 v5, v1, v2
	v_lshlrev_b32_e32 v3, 10, v3
	v_min_u32_e32 v6, v5, v3
	v_sub_u32_e32 v3, v4, v2
	v_sub_u32_e32 v1, v1, v4
	v_sub_u32_e64 v1, v6, v1 clamp
	v_min_u32_e32 v7, v6, v3
	v_cmp_lt_u32_e32 vcc, v1, v7
	s_and_saveexec_b64 s[2:3], vcc
	s_cbranch_execz .LBB469_5
; %bb.2:
	s_load_dwordx2 s[4:5], s[4:5], 0x10
	v_mov_b32_e32 v5, 0
	v_mov_b32_e32 v3, v5
	v_lshlrev_b64 v[8:9], 1, v[2:3]
	v_lshlrev_b64 v[10:11], 1, v[4:5]
	s_waitcnt lgkmcnt(0)
	v_mov_b32_e32 v12, s5
	v_add_co_u32_e32 v3, vcc, s4, v8
	v_addc_co_u32_e32 v8, vcc, v12, v9, vcc
	v_add_co_u32_e32 v9, vcc, s4, v10
	v_addc_co_u32_e32 v10, vcc, v12, v11, vcc
	s_mov_b64 s[4:5], 0
.LBB469_3:                              ; =>This Inner Loop Header: Depth=1
	v_add_u32_e32 v4, v7, v1
	v_and_b32_e32 v12, -2, v4
	v_lshrrev_b32_e32 v11, 1, v4
	v_add_co_u32_e32 v12, vcc, v3, v12
	v_xad_u32 v4, v11, -1, v6
	v_addc_co_u32_e32 v13, vcc, 0, v8, vcc
	global_load_ushort v14, v[12:13], off
	v_lshlrev_b64 v[12:13], 1, v[4:5]
	v_add_co_u32_e32 v12, vcc, v9, v12
	v_addc_co_u32_e32 v13, vcc, v10, v13, vcc
	global_load_ushort v4, v[12:13], off
	v_add_u32_e32 v12, 1, v11
	s_waitcnt vmcnt(0)
	v_cmp_gt_u16_e32 vcc, v14, v4
	v_cndmask_b32_e32 v7, v7, v11, vcc
	v_cndmask_b32_e32 v1, v12, v1, vcc
	v_cmp_ge_u32_e32 vcc, v1, v7
	s_or_b64 s[4:5], vcc, s[4:5]
	s_andn2_b64 exec, exec, s[4:5]
	s_cbranch_execnz .LBB469_3
; %bb.4:
	s_or_b64 exec, exec, s[4:5]
.LBB469_5:
	s_or_b64 exec, exec, s[2:3]
	v_add_u32_e32 v2, v1, v2
	v_mov_b32_e32 v1, 0
	v_lshlrev_b64 v[0:1], 2, v[0:1]
	v_mov_b32_e32 v3, s1
	v_add_co_u32_e32 v0, vcc, s0, v0
	v_addc_co_u32_e32 v1, vcc, v3, v1, vcc
	global_store_dword v[0:1], v2, off
.LBB469_6:
	s_endpgm
	.section	.rodata,"a",@progbits
	.p2align	6, 0x0
	.amdhsa_kernel _ZN7rocprim17ROCPRIM_400000_NS6detail17trampoline_kernelINS0_14default_configENS1_38merge_sort_block_merge_config_selectorItNS0_10empty_typeEEEZZNS1_27merge_sort_block_merge_implIS3_PtPS5_jNS1_19radix_merge_compareILb0ELb0EtNS0_19identity_decomposerEEEEE10hipError_tT0_T1_T2_jT3_P12ihipStream_tbPNSt15iterator_traitsISE_E10value_typeEPNSK_ISF_E10value_typeEPSG_NS1_7vsmem_tEENKUlT_SE_SF_SG_E_clIS8_S8_S9_S9_EESD_ST_SE_SF_SG_EUlST_E_NS1_11comp_targetILNS1_3genE4ELNS1_11target_archE910ELNS1_3gpuE8ELNS1_3repE0EEENS1_48merge_mergepath_partition_config_static_selectorELNS0_4arch9wavefront6targetE1EEEvSF_
		.amdhsa_group_segment_fixed_size 0
		.amdhsa_private_segment_fixed_size 0
		.amdhsa_kernarg_size 40
		.amdhsa_user_sgpr_count 6
		.amdhsa_user_sgpr_private_segment_buffer 1
		.amdhsa_user_sgpr_dispatch_ptr 0
		.amdhsa_user_sgpr_queue_ptr 0
		.amdhsa_user_sgpr_kernarg_segment_ptr 1
		.amdhsa_user_sgpr_dispatch_id 0
		.amdhsa_user_sgpr_flat_scratch_init 0
		.amdhsa_user_sgpr_kernarg_preload_length 0
		.amdhsa_user_sgpr_kernarg_preload_offset 0
		.amdhsa_user_sgpr_private_segment_size 0
		.amdhsa_uses_dynamic_stack 0
		.amdhsa_system_sgpr_private_segment_wavefront_offset 0
		.amdhsa_system_sgpr_workgroup_id_x 1
		.amdhsa_system_sgpr_workgroup_id_y 0
		.amdhsa_system_sgpr_workgroup_id_z 0
		.amdhsa_system_sgpr_workgroup_info 0
		.amdhsa_system_vgpr_workitem_id 0
		.amdhsa_next_free_vgpr 15
		.amdhsa_next_free_sgpr 8
		.amdhsa_accum_offset 16
		.amdhsa_reserve_vcc 1
		.amdhsa_reserve_flat_scratch 0
		.amdhsa_float_round_mode_32 0
		.amdhsa_float_round_mode_16_64 0
		.amdhsa_float_denorm_mode_32 3
		.amdhsa_float_denorm_mode_16_64 3
		.amdhsa_dx10_clamp 1
		.amdhsa_ieee_mode 1
		.amdhsa_fp16_overflow 0
		.amdhsa_tg_split 0
		.amdhsa_exception_fp_ieee_invalid_op 0
		.amdhsa_exception_fp_denorm_src 0
		.amdhsa_exception_fp_ieee_div_zero 0
		.amdhsa_exception_fp_ieee_overflow 0
		.amdhsa_exception_fp_ieee_underflow 0
		.amdhsa_exception_fp_ieee_inexact 0
		.amdhsa_exception_int_div_zero 0
	.end_amdhsa_kernel
	.section	.text._ZN7rocprim17ROCPRIM_400000_NS6detail17trampoline_kernelINS0_14default_configENS1_38merge_sort_block_merge_config_selectorItNS0_10empty_typeEEEZZNS1_27merge_sort_block_merge_implIS3_PtPS5_jNS1_19radix_merge_compareILb0ELb0EtNS0_19identity_decomposerEEEEE10hipError_tT0_T1_T2_jT3_P12ihipStream_tbPNSt15iterator_traitsISE_E10value_typeEPNSK_ISF_E10value_typeEPSG_NS1_7vsmem_tEENKUlT_SE_SF_SG_E_clIS8_S8_S9_S9_EESD_ST_SE_SF_SG_EUlST_E_NS1_11comp_targetILNS1_3genE4ELNS1_11target_archE910ELNS1_3gpuE8ELNS1_3repE0EEENS1_48merge_mergepath_partition_config_static_selectorELNS0_4arch9wavefront6targetE1EEEvSF_,"axG",@progbits,_ZN7rocprim17ROCPRIM_400000_NS6detail17trampoline_kernelINS0_14default_configENS1_38merge_sort_block_merge_config_selectorItNS0_10empty_typeEEEZZNS1_27merge_sort_block_merge_implIS3_PtPS5_jNS1_19radix_merge_compareILb0ELb0EtNS0_19identity_decomposerEEEEE10hipError_tT0_T1_T2_jT3_P12ihipStream_tbPNSt15iterator_traitsISE_E10value_typeEPNSK_ISF_E10value_typeEPSG_NS1_7vsmem_tEENKUlT_SE_SF_SG_E_clIS8_S8_S9_S9_EESD_ST_SE_SF_SG_EUlST_E_NS1_11comp_targetILNS1_3genE4ELNS1_11target_archE910ELNS1_3gpuE8ELNS1_3repE0EEENS1_48merge_mergepath_partition_config_static_selectorELNS0_4arch9wavefront6targetE1EEEvSF_,comdat
.Lfunc_end469:
	.size	_ZN7rocprim17ROCPRIM_400000_NS6detail17trampoline_kernelINS0_14default_configENS1_38merge_sort_block_merge_config_selectorItNS0_10empty_typeEEEZZNS1_27merge_sort_block_merge_implIS3_PtPS5_jNS1_19radix_merge_compareILb0ELb0EtNS0_19identity_decomposerEEEEE10hipError_tT0_T1_T2_jT3_P12ihipStream_tbPNSt15iterator_traitsISE_E10value_typeEPNSK_ISF_E10value_typeEPSG_NS1_7vsmem_tEENKUlT_SE_SF_SG_E_clIS8_S8_S9_S9_EESD_ST_SE_SF_SG_EUlST_E_NS1_11comp_targetILNS1_3genE4ELNS1_11target_archE910ELNS1_3gpuE8ELNS1_3repE0EEENS1_48merge_mergepath_partition_config_static_selectorELNS0_4arch9wavefront6targetE1EEEvSF_, .Lfunc_end469-_ZN7rocprim17ROCPRIM_400000_NS6detail17trampoline_kernelINS0_14default_configENS1_38merge_sort_block_merge_config_selectorItNS0_10empty_typeEEEZZNS1_27merge_sort_block_merge_implIS3_PtPS5_jNS1_19radix_merge_compareILb0ELb0EtNS0_19identity_decomposerEEEEE10hipError_tT0_T1_T2_jT3_P12ihipStream_tbPNSt15iterator_traitsISE_E10value_typeEPNSK_ISF_E10value_typeEPSG_NS1_7vsmem_tEENKUlT_SE_SF_SG_E_clIS8_S8_S9_S9_EESD_ST_SE_SF_SG_EUlST_E_NS1_11comp_targetILNS1_3genE4ELNS1_11target_archE910ELNS1_3gpuE8ELNS1_3repE0EEENS1_48merge_mergepath_partition_config_static_selectorELNS0_4arch9wavefront6targetE1EEEvSF_
                                        ; -- End function
	.section	.AMDGPU.csdata,"",@progbits
; Kernel info:
; codeLenInByte = 352
; NumSgprs: 12
; NumVgprs: 15
; NumAgprs: 0
; TotalNumVgprs: 15
; ScratchSize: 0
; MemoryBound: 0
; FloatMode: 240
; IeeeMode: 1
; LDSByteSize: 0 bytes/workgroup (compile time only)
; SGPRBlocks: 1
; VGPRBlocks: 1
; NumSGPRsForWavesPerEU: 12
; NumVGPRsForWavesPerEU: 15
; AccumOffset: 16
; Occupancy: 8
; WaveLimiterHint : 0
; COMPUTE_PGM_RSRC2:SCRATCH_EN: 0
; COMPUTE_PGM_RSRC2:USER_SGPR: 6
; COMPUTE_PGM_RSRC2:TRAP_HANDLER: 0
; COMPUTE_PGM_RSRC2:TGID_X_EN: 1
; COMPUTE_PGM_RSRC2:TGID_Y_EN: 0
; COMPUTE_PGM_RSRC2:TGID_Z_EN: 0
; COMPUTE_PGM_RSRC2:TIDIG_COMP_CNT: 0
; COMPUTE_PGM_RSRC3_GFX90A:ACCUM_OFFSET: 3
; COMPUTE_PGM_RSRC3_GFX90A:TG_SPLIT: 0
	.section	.text._ZN7rocprim17ROCPRIM_400000_NS6detail17trampoline_kernelINS0_14default_configENS1_38merge_sort_block_merge_config_selectorItNS0_10empty_typeEEEZZNS1_27merge_sort_block_merge_implIS3_PtPS5_jNS1_19radix_merge_compareILb0ELb0EtNS0_19identity_decomposerEEEEE10hipError_tT0_T1_T2_jT3_P12ihipStream_tbPNSt15iterator_traitsISE_E10value_typeEPNSK_ISF_E10value_typeEPSG_NS1_7vsmem_tEENKUlT_SE_SF_SG_E_clIS8_S8_S9_S9_EESD_ST_SE_SF_SG_EUlST_E_NS1_11comp_targetILNS1_3genE3ELNS1_11target_archE908ELNS1_3gpuE7ELNS1_3repE0EEENS1_48merge_mergepath_partition_config_static_selectorELNS0_4arch9wavefront6targetE1EEEvSF_,"axG",@progbits,_ZN7rocprim17ROCPRIM_400000_NS6detail17trampoline_kernelINS0_14default_configENS1_38merge_sort_block_merge_config_selectorItNS0_10empty_typeEEEZZNS1_27merge_sort_block_merge_implIS3_PtPS5_jNS1_19radix_merge_compareILb0ELb0EtNS0_19identity_decomposerEEEEE10hipError_tT0_T1_T2_jT3_P12ihipStream_tbPNSt15iterator_traitsISE_E10value_typeEPNSK_ISF_E10value_typeEPSG_NS1_7vsmem_tEENKUlT_SE_SF_SG_E_clIS8_S8_S9_S9_EESD_ST_SE_SF_SG_EUlST_E_NS1_11comp_targetILNS1_3genE3ELNS1_11target_archE908ELNS1_3gpuE7ELNS1_3repE0EEENS1_48merge_mergepath_partition_config_static_selectorELNS0_4arch9wavefront6targetE1EEEvSF_,comdat
	.protected	_ZN7rocprim17ROCPRIM_400000_NS6detail17trampoline_kernelINS0_14default_configENS1_38merge_sort_block_merge_config_selectorItNS0_10empty_typeEEEZZNS1_27merge_sort_block_merge_implIS3_PtPS5_jNS1_19radix_merge_compareILb0ELb0EtNS0_19identity_decomposerEEEEE10hipError_tT0_T1_T2_jT3_P12ihipStream_tbPNSt15iterator_traitsISE_E10value_typeEPNSK_ISF_E10value_typeEPSG_NS1_7vsmem_tEENKUlT_SE_SF_SG_E_clIS8_S8_S9_S9_EESD_ST_SE_SF_SG_EUlST_E_NS1_11comp_targetILNS1_3genE3ELNS1_11target_archE908ELNS1_3gpuE7ELNS1_3repE0EEENS1_48merge_mergepath_partition_config_static_selectorELNS0_4arch9wavefront6targetE1EEEvSF_ ; -- Begin function _ZN7rocprim17ROCPRIM_400000_NS6detail17trampoline_kernelINS0_14default_configENS1_38merge_sort_block_merge_config_selectorItNS0_10empty_typeEEEZZNS1_27merge_sort_block_merge_implIS3_PtPS5_jNS1_19radix_merge_compareILb0ELb0EtNS0_19identity_decomposerEEEEE10hipError_tT0_T1_T2_jT3_P12ihipStream_tbPNSt15iterator_traitsISE_E10value_typeEPNSK_ISF_E10value_typeEPSG_NS1_7vsmem_tEENKUlT_SE_SF_SG_E_clIS8_S8_S9_S9_EESD_ST_SE_SF_SG_EUlST_E_NS1_11comp_targetILNS1_3genE3ELNS1_11target_archE908ELNS1_3gpuE7ELNS1_3repE0EEENS1_48merge_mergepath_partition_config_static_selectorELNS0_4arch9wavefront6targetE1EEEvSF_
	.globl	_ZN7rocprim17ROCPRIM_400000_NS6detail17trampoline_kernelINS0_14default_configENS1_38merge_sort_block_merge_config_selectorItNS0_10empty_typeEEEZZNS1_27merge_sort_block_merge_implIS3_PtPS5_jNS1_19radix_merge_compareILb0ELb0EtNS0_19identity_decomposerEEEEE10hipError_tT0_T1_T2_jT3_P12ihipStream_tbPNSt15iterator_traitsISE_E10value_typeEPNSK_ISF_E10value_typeEPSG_NS1_7vsmem_tEENKUlT_SE_SF_SG_E_clIS8_S8_S9_S9_EESD_ST_SE_SF_SG_EUlST_E_NS1_11comp_targetILNS1_3genE3ELNS1_11target_archE908ELNS1_3gpuE7ELNS1_3repE0EEENS1_48merge_mergepath_partition_config_static_selectorELNS0_4arch9wavefront6targetE1EEEvSF_
	.p2align	8
	.type	_ZN7rocprim17ROCPRIM_400000_NS6detail17trampoline_kernelINS0_14default_configENS1_38merge_sort_block_merge_config_selectorItNS0_10empty_typeEEEZZNS1_27merge_sort_block_merge_implIS3_PtPS5_jNS1_19radix_merge_compareILb0ELb0EtNS0_19identity_decomposerEEEEE10hipError_tT0_T1_T2_jT3_P12ihipStream_tbPNSt15iterator_traitsISE_E10value_typeEPNSK_ISF_E10value_typeEPSG_NS1_7vsmem_tEENKUlT_SE_SF_SG_E_clIS8_S8_S9_S9_EESD_ST_SE_SF_SG_EUlST_E_NS1_11comp_targetILNS1_3genE3ELNS1_11target_archE908ELNS1_3gpuE7ELNS1_3repE0EEENS1_48merge_mergepath_partition_config_static_selectorELNS0_4arch9wavefront6targetE1EEEvSF_,@function
_ZN7rocprim17ROCPRIM_400000_NS6detail17trampoline_kernelINS0_14default_configENS1_38merge_sort_block_merge_config_selectorItNS0_10empty_typeEEEZZNS1_27merge_sort_block_merge_implIS3_PtPS5_jNS1_19radix_merge_compareILb0ELb0EtNS0_19identity_decomposerEEEEE10hipError_tT0_T1_T2_jT3_P12ihipStream_tbPNSt15iterator_traitsISE_E10value_typeEPNSK_ISF_E10value_typeEPSG_NS1_7vsmem_tEENKUlT_SE_SF_SG_E_clIS8_S8_S9_S9_EESD_ST_SE_SF_SG_EUlST_E_NS1_11comp_targetILNS1_3genE3ELNS1_11target_archE908ELNS1_3gpuE7ELNS1_3repE0EEENS1_48merge_mergepath_partition_config_static_selectorELNS0_4arch9wavefront6targetE1EEEvSF_: ; @_ZN7rocprim17ROCPRIM_400000_NS6detail17trampoline_kernelINS0_14default_configENS1_38merge_sort_block_merge_config_selectorItNS0_10empty_typeEEEZZNS1_27merge_sort_block_merge_implIS3_PtPS5_jNS1_19radix_merge_compareILb0ELb0EtNS0_19identity_decomposerEEEEE10hipError_tT0_T1_T2_jT3_P12ihipStream_tbPNSt15iterator_traitsISE_E10value_typeEPNSK_ISF_E10value_typeEPSG_NS1_7vsmem_tEENKUlT_SE_SF_SG_E_clIS8_S8_S9_S9_EESD_ST_SE_SF_SG_EUlST_E_NS1_11comp_targetILNS1_3genE3ELNS1_11target_archE908ELNS1_3gpuE7ELNS1_3repE0EEENS1_48merge_mergepath_partition_config_static_selectorELNS0_4arch9wavefront6targetE1EEEvSF_
; %bb.0:
	.section	.rodata,"a",@progbits
	.p2align	6, 0x0
	.amdhsa_kernel _ZN7rocprim17ROCPRIM_400000_NS6detail17trampoline_kernelINS0_14default_configENS1_38merge_sort_block_merge_config_selectorItNS0_10empty_typeEEEZZNS1_27merge_sort_block_merge_implIS3_PtPS5_jNS1_19radix_merge_compareILb0ELb0EtNS0_19identity_decomposerEEEEE10hipError_tT0_T1_T2_jT3_P12ihipStream_tbPNSt15iterator_traitsISE_E10value_typeEPNSK_ISF_E10value_typeEPSG_NS1_7vsmem_tEENKUlT_SE_SF_SG_E_clIS8_S8_S9_S9_EESD_ST_SE_SF_SG_EUlST_E_NS1_11comp_targetILNS1_3genE3ELNS1_11target_archE908ELNS1_3gpuE7ELNS1_3repE0EEENS1_48merge_mergepath_partition_config_static_selectorELNS0_4arch9wavefront6targetE1EEEvSF_
		.amdhsa_group_segment_fixed_size 0
		.amdhsa_private_segment_fixed_size 0
		.amdhsa_kernarg_size 40
		.amdhsa_user_sgpr_count 6
		.amdhsa_user_sgpr_private_segment_buffer 1
		.amdhsa_user_sgpr_dispatch_ptr 0
		.amdhsa_user_sgpr_queue_ptr 0
		.amdhsa_user_sgpr_kernarg_segment_ptr 1
		.amdhsa_user_sgpr_dispatch_id 0
		.amdhsa_user_sgpr_flat_scratch_init 0
		.amdhsa_user_sgpr_kernarg_preload_length 0
		.amdhsa_user_sgpr_kernarg_preload_offset 0
		.amdhsa_user_sgpr_private_segment_size 0
		.amdhsa_uses_dynamic_stack 0
		.amdhsa_system_sgpr_private_segment_wavefront_offset 0
		.amdhsa_system_sgpr_workgroup_id_x 1
		.amdhsa_system_sgpr_workgroup_id_y 0
		.amdhsa_system_sgpr_workgroup_id_z 0
		.amdhsa_system_sgpr_workgroup_info 0
		.amdhsa_system_vgpr_workitem_id 0
		.amdhsa_next_free_vgpr 1
		.amdhsa_next_free_sgpr 0
		.amdhsa_accum_offset 4
		.amdhsa_reserve_vcc 0
		.amdhsa_reserve_flat_scratch 0
		.amdhsa_float_round_mode_32 0
		.amdhsa_float_round_mode_16_64 0
		.amdhsa_float_denorm_mode_32 3
		.amdhsa_float_denorm_mode_16_64 3
		.amdhsa_dx10_clamp 1
		.amdhsa_ieee_mode 1
		.amdhsa_fp16_overflow 0
		.amdhsa_tg_split 0
		.amdhsa_exception_fp_ieee_invalid_op 0
		.amdhsa_exception_fp_denorm_src 0
		.amdhsa_exception_fp_ieee_div_zero 0
		.amdhsa_exception_fp_ieee_overflow 0
		.amdhsa_exception_fp_ieee_underflow 0
		.amdhsa_exception_fp_ieee_inexact 0
		.amdhsa_exception_int_div_zero 0
	.end_amdhsa_kernel
	.section	.text._ZN7rocprim17ROCPRIM_400000_NS6detail17trampoline_kernelINS0_14default_configENS1_38merge_sort_block_merge_config_selectorItNS0_10empty_typeEEEZZNS1_27merge_sort_block_merge_implIS3_PtPS5_jNS1_19radix_merge_compareILb0ELb0EtNS0_19identity_decomposerEEEEE10hipError_tT0_T1_T2_jT3_P12ihipStream_tbPNSt15iterator_traitsISE_E10value_typeEPNSK_ISF_E10value_typeEPSG_NS1_7vsmem_tEENKUlT_SE_SF_SG_E_clIS8_S8_S9_S9_EESD_ST_SE_SF_SG_EUlST_E_NS1_11comp_targetILNS1_3genE3ELNS1_11target_archE908ELNS1_3gpuE7ELNS1_3repE0EEENS1_48merge_mergepath_partition_config_static_selectorELNS0_4arch9wavefront6targetE1EEEvSF_,"axG",@progbits,_ZN7rocprim17ROCPRIM_400000_NS6detail17trampoline_kernelINS0_14default_configENS1_38merge_sort_block_merge_config_selectorItNS0_10empty_typeEEEZZNS1_27merge_sort_block_merge_implIS3_PtPS5_jNS1_19radix_merge_compareILb0ELb0EtNS0_19identity_decomposerEEEEE10hipError_tT0_T1_T2_jT3_P12ihipStream_tbPNSt15iterator_traitsISE_E10value_typeEPNSK_ISF_E10value_typeEPSG_NS1_7vsmem_tEENKUlT_SE_SF_SG_E_clIS8_S8_S9_S9_EESD_ST_SE_SF_SG_EUlST_E_NS1_11comp_targetILNS1_3genE3ELNS1_11target_archE908ELNS1_3gpuE7ELNS1_3repE0EEENS1_48merge_mergepath_partition_config_static_selectorELNS0_4arch9wavefront6targetE1EEEvSF_,comdat
.Lfunc_end470:
	.size	_ZN7rocprim17ROCPRIM_400000_NS6detail17trampoline_kernelINS0_14default_configENS1_38merge_sort_block_merge_config_selectorItNS0_10empty_typeEEEZZNS1_27merge_sort_block_merge_implIS3_PtPS5_jNS1_19radix_merge_compareILb0ELb0EtNS0_19identity_decomposerEEEEE10hipError_tT0_T1_T2_jT3_P12ihipStream_tbPNSt15iterator_traitsISE_E10value_typeEPNSK_ISF_E10value_typeEPSG_NS1_7vsmem_tEENKUlT_SE_SF_SG_E_clIS8_S8_S9_S9_EESD_ST_SE_SF_SG_EUlST_E_NS1_11comp_targetILNS1_3genE3ELNS1_11target_archE908ELNS1_3gpuE7ELNS1_3repE0EEENS1_48merge_mergepath_partition_config_static_selectorELNS0_4arch9wavefront6targetE1EEEvSF_, .Lfunc_end470-_ZN7rocprim17ROCPRIM_400000_NS6detail17trampoline_kernelINS0_14default_configENS1_38merge_sort_block_merge_config_selectorItNS0_10empty_typeEEEZZNS1_27merge_sort_block_merge_implIS3_PtPS5_jNS1_19radix_merge_compareILb0ELb0EtNS0_19identity_decomposerEEEEE10hipError_tT0_T1_T2_jT3_P12ihipStream_tbPNSt15iterator_traitsISE_E10value_typeEPNSK_ISF_E10value_typeEPSG_NS1_7vsmem_tEENKUlT_SE_SF_SG_E_clIS8_S8_S9_S9_EESD_ST_SE_SF_SG_EUlST_E_NS1_11comp_targetILNS1_3genE3ELNS1_11target_archE908ELNS1_3gpuE7ELNS1_3repE0EEENS1_48merge_mergepath_partition_config_static_selectorELNS0_4arch9wavefront6targetE1EEEvSF_
                                        ; -- End function
	.section	.AMDGPU.csdata,"",@progbits
; Kernel info:
; codeLenInByte = 0
; NumSgprs: 4
; NumVgprs: 0
; NumAgprs: 0
; TotalNumVgprs: 0
; ScratchSize: 0
; MemoryBound: 0
; FloatMode: 240
; IeeeMode: 1
; LDSByteSize: 0 bytes/workgroup (compile time only)
; SGPRBlocks: 0
; VGPRBlocks: 0
; NumSGPRsForWavesPerEU: 4
; NumVGPRsForWavesPerEU: 1
; AccumOffset: 4
; Occupancy: 8
; WaveLimiterHint : 0
; COMPUTE_PGM_RSRC2:SCRATCH_EN: 0
; COMPUTE_PGM_RSRC2:USER_SGPR: 6
; COMPUTE_PGM_RSRC2:TRAP_HANDLER: 0
; COMPUTE_PGM_RSRC2:TGID_X_EN: 1
; COMPUTE_PGM_RSRC2:TGID_Y_EN: 0
; COMPUTE_PGM_RSRC2:TGID_Z_EN: 0
; COMPUTE_PGM_RSRC2:TIDIG_COMP_CNT: 0
; COMPUTE_PGM_RSRC3_GFX90A:ACCUM_OFFSET: 0
; COMPUTE_PGM_RSRC3_GFX90A:TG_SPLIT: 0
	.section	.text._ZN7rocprim17ROCPRIM_400000_NS6detail17trampoline_kernelINS0_14default_configENS1_38merge_sort_block_merge_config_selectorItNS0_10empty_typeEEEZZNS1_27merge_sort_block_merge_implIS3_PtPS5_jNS1_19radix_merge_compareILb0ELb0EtNS0_19identity_decomposerEEEEE10hipError_tT0_T1_T2_jT3_P12ihipStream_tbPNSt15iterator_traitsISE_E10value_typeEPNSK_ISF_E10value_typeEPSG_NS1_7vsmem_tEENKUlT_SE_SF_SG_E_clIS8_S8_S9_S9_EESD_ST_SE_SF_SG_EUlST_E_NS1_11comp_targetILNS1_3genE2ELNS1_11target_archE906ELNS1_3gpuE6ELNS1_3repE0EEENS1_48merge_mergepath_partition_config_static_selectorELNS0_4arch9wavefront6targetE1EEEvSF_,"axG",@progbits,_ZN7rocprim17ROCPRIM_400000_NS6detail17trampoline_kernelINS0_14default_configENS1_38merge_sort_block_merge_config_selectorItNS0_10empty_typeEEEZZNS1_27merge_sort_block_merge_implIS3_PtPS5_jNS1_19radix_merge_compareILb0ELb0EtNS0_19identity_decomposerEEEEE10hipError_tT0_T1_T2_jT3_P12ihipStream_tbPNSt15iterator_traitsISE_E10value_typeEPNSK_ISF_E10value_typeEPSG_NS1_7vsmem_tEENKUlT_SE_SF_SG_E_clIS8_S8_S9_S9_EESD_ST_SE_SF_SG_EUlST_E_NS1_11comp_targetILNS1_3genE2ELNS1_11target_archE906ELNS1_3gpuE6ELNS1_3repE0EEENS1_48merge_mergepath_partition_config_static_selectorELNS0_4arch9wavefront6targetE1EEEvSF_,comdat
	.protected	_ZN7rocprim17ROCPRIM_400000_NS6detail17trampoline_kernelINS0_14default_configENS1_38merge_sort_block_merge_config_selectorItNS0_10empty_typeEEEZZNS1_27merge_sort_block_merge_implIS3_PtPS5_jNS1_19radix_merge_compareILb0ELb0EtNS0_19identity_decomposerEEEEE10hipError_tT0_T1_T2_jT3_P12ihipStream_tbPNSt15iterator_traitsISE_E10value_typeEPNSK_ISF_E10value_typeEPSG_NS1_7vsmem_tEENKUlT_SE_SF_SG_E_clIS8_S8_S9_S9_EESD_ST_SE_SF_SG_EUlST_E_NS1_11comp_targetILNS1_3genE2ELNS1_11target_archE906ELNS1_3gpuE6ELNS1_3repE0EEENS1_48merge_mergepath_partition_config_static_selectorELNS0_4arch9wavefront6targetE1EEEvSF_ ; -- Begin function _ZN7rocprim17ROCPRIM_400000_NS6detail17trampoline_kernelINS0_14default_configENS1_38merge_sort_block_merge_config_selectorItNS0_10empty_typeEEEZZNS1_27merge_sort_block_merge_implIS3_PtPS5_jNS1_19radix_merge_compareILb0ELb0EtNS0_19identity_decomposerEEEEE10hipError_tT0_T1_T2_jT3_P12ihipStream_tbPNSt15iterator_traitsISE_E10value_typeEPNSK_ISF_E10value_typeEPSG_NS1_7vsmem_tEENKUlT_SE_SF_SG_E_clIS8_S8_S9_S9_EESD_ST_SE_SF_SG_EUlST_E_NS1_11comp_targetILNS1_3genE2ELNS1_11target_archE906ELNS1_3gpuE6ELNS1_3repE0EEENS1_48merge_mergepath_partition_config_static_selectorELNS0_4arch9wavefront6targetE1EEEvSF_
	.globl	_ZN7rocprim17ROCPRIM_400000_NS6detail17trampoline_kernelINS0_14default_configENS1_38merge_sort_block_merge_config_selectorItNS0_10empty_typeEEEZZNS1_27merge_sort_block_merge_implIS3_PtPS5_jNS1_19radix_merge_compareILb0ELb0EtNS0_19identity_decomposerEEEEE10hipError_tT0_T1_T2_jT3_P12ihipStream_tbPNSt15iterator_traitsISE_E10value_typeEPNSK_ISF_E10value_typeEPSG_NS1_7vsmem_tEENKUlT_SE_SF_SG_E_clIS8_S8_S9_S9_EESD_ST_SE_SF_SG_EUlST_E_NS1_11comp_targetILNS1_3genE2ELNS1_11target_archE906ELNS1_3gpuE6ELNS1_3repE0EEENS1_48merge_mergepath_partition_config_static_selectorELNS0_4arch9wavefront6targetE1EEEvSF_
	.p2align	8
	.type	_ZN7rocprim17ROCPRIM_400000_NS6detail17trampoline_kernelINS0_14default_configENS1_38merge_sort_block_merge_config_selectorItNS0_10empty_typeEEEZZNS1_27merge_sort_block_merge_implIS3_PtPS5_jNS1_19radix_merge_compareILb0ELb0EtNS0_19identity_decomposerEEEEE10hipError_tT0_T1_T2_jT3_P12ihipStream_tbPNSt15iterator_traitsISE_E10value_typeEPNSK_ISF_E10value_typeEPSG_NS1_7vsmem_tEENKUlT_SE_SF_SG_E_clIS8_S8_S9_S9_EESD_ST_SE_SF_SG_EUlST_E_NS1_11comp_targetILNS1_3genE2ELNS1_11target_archE906ELNS1_3gpuE6ELNS1_3repE0EEENS1_48merge_mergepath_partition_config_static_selectorELNS0_4arch9wavefront6targetE1EEEvSF_,@function
_ZN7rocprim17ROCPRIM_400000_NS6detail17trampoline_kernelINS0_14default_configENS1_38merge_sort_block_merge_config_selectorItNS0_10empty_typeEEEZZNS1_27merge_sort_block_merge_implIS3_PtPS5_jNS1_19radix_merge_compareILb0ELb0EtNS0_19identity_decomposerEEEEE10hipError_tT0_T1_T2_jT3_P12ihipStream_tbPNSt15iterator_traitsISE_E10value_typeEPNSK_ISF_E10value_typeEPSG_NS1_7vsmem_tEENKUlT_SE_SF_SG_E_clIS8_S8_S9_S9_EESD_ST_SE_SF_SG_EUlST_E_NS1_11comp_targetILNS1_3genE2ELNS1_11target_archE906ELNS1_3gpuE6ELNS1_3repE0EEENS1_48merge_mergepath_partition_config_static_selectorELNS0_4arch9wavefront6targetE1EEEvSF_: ; @_ZN7rocprim17ROCPRIM_400000_NS6detail17trampoline_kernelINS0_14default_configENS1_38merge_sort_block_merge_config_selectorItNS0_10empty_typeEEEZZNS1_27merge_sort_block_merge_implIS3_PtPS5_jNS1_19radix_merge_compareILb0ELb0EtNS0_19identity_decomposerEEEEE10hipError_tT0_T1_T2_jT3_P12ihipStream_tbPNSt15iterator_traitsISE_E10value_typeEPNSK_ISF_E10value_typeEPSG_NS1_7vsmem_tEENKUlT_SE_SF_SG_E_clIS8_S8_S9_S9_EESD_ST_SE_SF_SG_EUlST_E_NS1_11comp_targetILNS1_3genE2ELNS1_11target_archE906ELNS1_3gpuE6ELNS1_3repE0EEENS1_48merge_mergepath_partition_config_static_selectorELNS0_4arch9wavefront6targetE1EEEvSF_
; %bb.0:
	.section	.rodata,"a",@progbits
	.p2align	6, 0x0
	.amdhsa_kernel _ZN7rocprim17ROCPRIM_400000_NS6detail17trampoline_kernelINS0_14default_configENS1_38merge_sort_block_merge_config_selectorItNS0_10empty_typeEEEZZNS1_27merge_sort_block_merge_implIS3_PtPS5_jNS1_19radix_merge_compareILb0ELb0EtNS0_19identity_decomposerEEEEE10hipError_tT0_T1_T2_jT3_P12ihipStream_tbPNSt15iterator_traitsISE_E10value_typeEPNSK_ISF_E10value_typeEPSG_NS1_7vsmem_tEENKUlT_SE_SF_SG_E_clIS8_S8_S9_S9_EESD_ST_SE_SF_SG_EUlST_E_NS1_11comp_targetILNS1_3genE2ELNS1_11target_archE906ELNS1_3gpuE6ELNS1_3repE0EEENS1_48merge_mergepath_partition_config_static_selectorELNS0_4arch9wavefront6targetE1EEEvSF_
		.amdhsa_group_segment_fixed_size 0
		.amdhsa_private_segment_fixed_size 0
		.amdhsa_kernarg_size 40
		.amdhsa_user_sgpr_count 6
		.amdhsa_user_sgpr_private_segment_buffer 1
		.amdhsa_user_sgpr_dispatch_ptr 0
		.amdhsa_user_sgpr_queue_ptr 0
		.amdhsa_user_sgpr_kernarg_segment_ptr 1
		.amdhsa_user_sgpr_dispatch_id 0
		.amdhsa_user_sgpr_flat_scratch_init 0
		.amdhsa_user_sgpr_kernarg_preload_length 0
		.amdhsa_user_sgpr_kernarg_preload_offset 0
		.amdhsa_user_sgpr_private_segment_size 0
		.amdhsa_uses_dynamic_stack 0
		.amdhsa_system_sgpr_private_segment_wavefront_offset 0
		.amdhsa_system_sgpr_workgroup_id_x 1
		.amdhsa_system_sgpr_workgroup_id_y 0
		.amdhsa_system_sgpr_workgroup_id_z 0
		.amdhsa_system_sgpr_workgroup_info 0
		.amdhsa_system_vgpr_workitem_id 0
		.amdhsa_next_free_vgpr 1
		.amdhsa_next_free_sgpr 0
		.amdhsa_accum_offset 4
		.amdhsa_reserve_vcc 0
		.amdhsa_reserve_flat_scratch 0
		.amdhsa_float_round_mode_32 0
		.amdhsa_float_round_mode_16_64 0
		.amdhsa_float_denorm_mode_32 3
		.amdhsa_float_denorm_mode_16_64 3
		.amdhsa_dx10_clamp 1
		.amdhsa_ieee_mode 1
		.amdhsa_fp16_overflow 0
		.amdhsa_tg_split 0
		.amdhsa_exception_fp_ieee_invalid_op 0
		.amdhsa_exception_fp_denorm_src 0
		.amdhsa_exception_fp_ieee_div_zero 0
		.amdhsa_exception_fp_ieee_overflow 0
		.amdhsa_exception_fp_ieee_underflow 0
		.amdhsa_exception_fp_ieee_inexact 0
		.amdhsa_exception_int_div_zero 0
	.end_amdhsa_kernel
	.section	.text._ZN7rocprim17ROCPRIM_400000_NS6detail17trampoline_kernelINS0_14default_configENS1_38merge_sort_block_merge_config_selectorItNS0_10empty_typeEEEZZNS1_27merge_sort_block_merge_implIS3_PtPS5_jNS1_19radix_merge_compareILb0ELb0EtNS0_19identity_decomposerEEEEE10hipError_tT0_T1_T2_jT3_P12ihipStream_tbPNSt15iterator_traitsISE_E10value_typeEPNSK_ISF_E10value_typeEPSG_NS1_7vsmem_tEENKUlT_SE_SF_SG_E_clIS8_S8_S9_S9_EESD_ST_SE_SF_SG_EUlST_E_NS1_11comp_targetILNS1_3genE2ELNS1_11target_archE906ELNS1_3gpuE6ELNS1_3repE0EEENS1_48merge_mergepath_partition_config_static_selectorELNS0_4arch9wavefront6targetE1EEEvSF_,"axG",@progbits,_ZN7rocprim17ROCPRIM_400000_NS6detail17trampoline_kernelINS0_14default_configENS1_38merge_sort_block_merge_config_selectorItNS0_10empty_typeEEEZZNS1_27merge_sort_block_merge_implIS3_PtPS5_jNS1_19radix_merge_compareILb0ELb0EtNS0_19identity_decomposerEEEEE10hipError_tT0_T1_T2_jT3_P12ihipStream_tbPNSt15iterator_traitsISE_E10value_typeEPNSK_ISF_E10value_typeEPSG_NS1_7vsmem_tEENKUlT_SE_SF_SG_E_clIS8_S8_S9_S9_EESD_ST_SE_SF_SG_EUlST_E_NS1_11comp_targetILNS1_3genE2ELNS1_11target_archE906ELNS1_3gpuE6ELNS1_3repE0EEENS1_48merge_mergepath_partition_config_static_selectorELNS0_4arch9wavefront6targetE1EEEvSF_,comdat
.Lfunc_end471:
	.size	_ZN7rocprim17ROCPRIM_400000_NS6detail17trampoline_kernelINS0_14default_configENS1_38merge_sort_block_merge_config_selectorItNS0_10empty_typeEEEZZNS1_27merge_sort_block_merge_implIS3_PtPS5_jNS1_19radix_merge_compareILb0ELb0EtNS0_19identity_decomposerEEEEE10hipError_tT0_T1_T2_jT3_P12ihipStream_tbPNSt15iterator_traitsISE_E10value_typeEPNSK_ISF_E10value_typeEPSG_NS1_7vsmem_tEENKUlT_SE_SF_SG_E_clIS8_S8_S9_S9_EESD_ST_SE_SF_SG_EUlST_E_NS1_11comp_targetILNS1_3genE2ELNS1_11target_archE906ELNS1_3gpuE6ELNS1_3repE0EEENS1_48merge_mergepath_partition_config_static_selectorELNS0_4arch9wavefront6targetE1EEEvSF_, .Lfunc_end471-_ZN7rocprim17ROCPRIM_400000_NS6detail17trampoline_kernelINS0_14default_configENS1_38merge_sort_block_merge_config_selectorItNS0_10empty_typeEEEZZNS1_27merge_sort_block_merge_implIS3_PtPS5_jNS1_19radix_merge_compareILb0ELb0EtNS0_19identity_decomposerEEEEE10hipError_tT0_T1_T2_jT3_P12ihipStream_tbPNSt15iterator_traitsISE_E10value_typeEPNSK_ISF_E10value_typeEPSG_NS1_7vsmem_tEENKUlT_SE_SF_SG_E_clIS8_S8_S9_S9_EESD_ST_SE_SF_SG_EUlST_E_NS1_11comp_targetILNS1_3genE2ELNS1_11target_archE906ELNS1_3gpuE6ELNS1_3repE0EEENS1_48merge_mergepath_partition_config_static_selectorELNS0_4arch9wavefront6targetE1EEEvSF_
                                        ; -- End function
	.section	.AMDGPU.csdata,"",@progbits
; Kernel info:
; codeLenInByte = 0
; NumSgprs: 4
; NumVgprs: 0
; NumAgprs: 0
; TotalNumVgprs: 0
; ScratchSize: 0
; MemoryBound: 0
; FloatMode: 240
; IeeeMode: 1
; LDSByteSize: 0 bytes/workgroup (compile time only)
; SGPRBlocks: 0
; VGPRBlocks: 0
; NumSGPRsForWavesPerEU: 4
; NumVGPRsForWavesPerEU: 1
; AccumOffset: 4
; Occupancy: 8
; WaveLimiterHint : 0
; COMPUTE_PGM_RSRC2:SCRATCH_EN: 0
; COMPUTE_PGM_RSRC2:USER_SGPR: 6
; COMPUTE_PGM_RSRC2:TRAP_HANDLER: 0
; COMPUTE_PGM_RSRC2:TGID_X_EN: 1
; COMPUTE_PGM_RSRC2:TGID_Y_EN: 0
; COMPUTE_PGM_RSRC2:TGID_Z_EN: 0
; COMPUTE_PGM_RSRC2:TIDIG_COMP_CNT: 0
; COMPUTE_PGM_RSRC3_GFX90A:ACCUM_OFFSET: 0
; COMPUTE_PGM_RSRC3_GFX90A:TG_SPLIT: 0
	.section	.text._ZN7rocprim17ROCPRIM_400000_NS6detail17trampoline_kernelINS0_14default_configENS1_38merge_sort_block_merge_config_selectorItNS0_10empty_typeEEEZZNS1_27merge_sort_block_merge_implIS3_PtPS5_jNS1_19radix_merge_compareILb0ELb0EtNS0_19identity_decomposerEEEEE10hipError_tT0_T1_T2_jT3_P12ihipStream_tbPNSt15iterator_traitsISE_E10value_typeEPNSK_ISF_E10value_typeEPSG_NS1_7vsmem_tEENKUlT_SE_SF_SG_E_clIS8_S8_S9_S9_EESD_ST_SE_SF_SG_EUlST_E_NS1_11comp_targetILNS1_3genE9ELNS1_11target_archE1100ELNS1_3gpuE3ELNS1_3repE0EEENS1_48merge_mergepath_partition_config_static_selectorELNS0_4arch9wavefront6targetE1EEEvSF_,"axG",@progbits,_ZN7rocprim17ROCPRIM_400000_NS6detail17trampoline_kernelINS0_14default_configENS1_38merge_sort_block_merge_config_selectorItNS0_10empty_typeEEEZZNS1_27merge_sort_block_merge_implIS3_PtPS5_jNS1_19radix_merge_compareILb0ELb0EtNS0_19identity_decomposerEEEEE10hipError_tT0_T1_T2_jT3_P12ihipStream_tbPNSt15iterator_traitsISE_E10value_typeEPNSK_ISF_E10value_typeEPSG_NS1_7vsmem_tEENKUlT_SE_SF_SG_E_clIS8_S8_S9_S9_EESD_ST_SE_SF_SG_EUlST_E_NS1_11comp_targetILNS1_3genE9ELNS1_11target_archE1100ELNS1_3gpuE3ELNS1_3repE0EEENS1_48merge_mergepath_partition_config_static_selectorELNS0_4arch9wavefront6targetE1EEEvSF_,comdat
	.protected	_ZN7rocprim17ROCPRIM_400000_NS6detail17trampoline_kernelINS0_14default_configENS1_38merge_sort_block_merge_config_selectorItNS0_10empty_typeEEEZZNS1_27merge_sort_block_merge_implIS3_PtPS5_jNS1_19radix_merge_compareILb0ELb0EtNS0_19identity_decomposerEEEEE10hipError_tT0_T1_T2_jT3_P12ihipStream_tbPNSt15iterator_traitsISE_E10value_typeEPNSK_ISF_E10value_typeEPSG_NS1_7vsmem_tEENKUlT_SE_SF_SG_E_clIS8_S8_S9_S9_EESD_ST_SE_SF_SG_EUlST_E_NS1_11comp_targetILNS1_3genE9ELNS1_11target_archE1100ELNS1_3gpuE3ELNS1_3repE0EEENS1_48merge_mergepath_partition_config_static_selectorELNS0_4arch9wavefront6targetE1EEEvSF_ ; -- Begin function _ZN7rocprim17ROCPRIM_400000_NS6detail17trampoline_kernelINS0_14default_configENS1_38merge_sort_block_merge_config_selectorItNS0_10empty_typeEEEZZNS1_27merge_sort_block_merge_implIS3_PtPS5_jNS1_19radix_merge_compareILb0ELb0EtNS0_19identity_decomposerEEEEE10hipError_tT0_T1_T2_jT3_P12ihipStream_tbPNSt15iterator_traitsISE_E10value_typeEPNSK_ISF_E10value_typeEPSG_NS1_7vsmem_tEENKUlT_SE_SF_SG_E_clIS8_S8_S9_S9_EESD_ST_SE_SF_SG_EUlST_E_NS1_11comp_targetILNS1_3genE9ELNS1_11target_archE1100ELNS1_3gpuE3ELNS1_3repE0EEENS1_48merge_mergepath_partition_config_static_selectorELNS0_4arch9wavefront6targetE1EEEvSF_
	.globl	_ZN7rocprim17ROCPRIM_400000_NS6detail17trampoline_kernelINS0_14default_configENS1_38merge_sort_block_merge_config_selectorItNS0_10empty_typeEEEZZNS1_27merge_sort_block_merge_implIS3_PtPS5_jNS1_19radix_merge_compareILb0ELb0EtNS0_19identity_decomposerEEEEE10hipError_tT0_T1_T2_jT3_P12ihipStream_tbPNSt15iterator_traitsISE_E10value_typeEPNSK_ISF_E10value_typeEPSG_NS1_7vsmem_tEENKUlT_SE_SF_SG_E_clIS8_S8_S9_S9_EESD_ST_SE_SF_SG_EUlST_E_NS1_11comp_targetILNS1_3genE9ELNS1_11target_archE1100ELNS1_3gpuE3ELNS1_3repE0EEENS1_48merge_mergepath_partition_config_static_selectorELNS0_4arch9wavefront6targetE1EEEvSF_
	.p2align	8
	.type	_ZN7rocprim17ROCPRIM_400000_NS6detail17trampoline_kernelINS0_14default_configENS1_38merge_sort_block_merge_config_selectorItNS0_10empty_typeEEEZZNS1_27merge_sort_block_merge_implIS3_PtPS5_jNS1_19radix_merge_compareILb0ELb0EtNS0_19identity_decomposerEEEEE10hipError_tT0_T1_T2_jT3_P12ihipStream_tbPNSt15iterator_traitsISE_E10value_typeEPNSK_ISF_E10value_typeEPSG_NS1_7vsmem_tEENKUlT_SE_SF_SG_E_clIS8_S8_S9_S9_EESD_ST_SE_SF_SG_EUlST_E_NS1_11comp_targetILNS1_3genE9ELNS1_11target_archE1100ELNS1_3gpuE3ELNS1_3repE0EEENS1_48merge_mergepath_partition_config_static_selectorELNS0_4arch9wavefront6targetE1EEEvSF_,@function
_ZN7rocprim17ROCPRIM_400000_NS6detail17trampoline_kernelINS0_14default_configENS1_38merge_sort_block_merge_config_selectorItNS0_10empty_typeEEEZZNS1_27merge_sort_block_merge_implIS3_PtPS5_jNS1_19radix_merge_compareILb0ELb0EtNS0_19identity_decomposerEEEEE10hipError_tT0_T1_T2_jT3_P12ihipStream_tbPNSt15iterator_traitsISE_E10value_typeEPNSK_ISF_E10value_typeEPSG_NS1_7vsmem_tEENKUlT_SE_SF_SG_E_clIS8_S8_S9_S9_EESD_ST_SE_SF_SG_EUlST_E_NS1_11comp_targetILNS1_3genE9ELNS1_11target_archE1100ELNS1_3gpuE3ELNS1_3repE0EEENS1_48merge_mergepath_partition_config_static_selectorELNS0_4arch9wavefront6targetE1EEEvSF_: ; @_ZN7rocprim17ROCPRIM_400000_NS6detail17trampoline_kernelINS0_14default_configENS1_38merge_sort_block_merge_config_selectorItNS0_10empty_typeEEEZZNS1_27merge_sort_block_merge_implIS3_PtPS5_jNS1_19radix_merge_compareILb0ELb0EtNS0_19identity_decomposerEEEEE10hipError_tT0_T1_T2_jT3_P12ihipStream_tbPNSt15iterator_traitsISE_E10value_typeEPNSK_ISF_E10value_typeEPSG_NS1_7vsmem_tEENKUlT_SE_SF_SG_E_clIS8_S8_S9_S9_EESD_ST_SE_SF_SG_EUlST_E_NS1_11comp_targetILNS1_3genE9ELNS1_11target_archE1100ELNS1_3gpuE3ELNS1_3repE0EEENS1_48merge_mergepath_partition_config_static_selectorELNS0_4arch9wavefront6targetE1EEEvSF_
; %bb.0:
	.section	.rodata,"a",@progbits
	.p2align	6, 0x0
	.amdhsa_kernel _ZN7rocprim17ROCPRIM_400000_NS6detail17trampoline_kernelINS0_14default_configENS1_38merge_sort_block_merge_config_selectorItNS0_10empty_typeEEEZZNS1_27merge_sort_block_merge_implIS3_PtPS5_jNS1_19radix_merge_compareILb0ELb0EtNS0_19identity_decomposerEEEEE10hipError_tT0_T1_T2_jT3_P12ihipStream_tbPNSt15iterator_traitsISE_E10value_typeEPNSK_ISF_E10value_typeEPSG_NS1_7vsmem_tEENKUlT_SE_SF_SG_E_clIS8_S8_S9_S9_EESD_ST_SE_SF_SG_EUlST_E_NS1_11comp_targetILNS1_3genE9ELNS1_11target_archE1100ELNS1_3gpuE3ELNS1_3repE0EEENS1_48merge_mergepath_partition_config_static_selectorELNS0_4arch9wavefront6targetE1EEEvSF_
		.amdhsa_group_segment_fixed_size 0
		.amdhsa_private_segment_fixed_size 0
		.amdhsa_kernarg_size 40
		.amdhsa_user_sgpr_count 6
		.amdhsa_user_sgpr_private_segment_buffer 1
		.amdhsa_user_sgpr_dispatch_ptr 0
		.amdhsa_user_sgpr_queue_ptr 0
		.amdhsa_user_sgpr_kernarg_segment_ptr 1
		.amdhsa_user_sgpr_dispatch_id 0
		.amdhsa_user_sgpr_flat_scratch_init 0
		.amdhsa_user_sgpr_kernarg_preload_length 0
		.amdhsa_user_sgpr_kernarg_preload_offset 0
		.amdhsa_user_sgpr_private_segment_size 0
		.amdhsa_uses_dynamic_stack 0
		.amdhsa_system_sgpr_private_segment_wavefront_offset 0
		.amdhsa_system_sgpr_workgroup_id_x 1
		.amdhsa_system_sgpr_workgroup_id_y 0
		.amdhsa_system_sgpr_workgroup_id_z 0
		.amdhsa_system_sgpr_workgroup_info 0
		.amdhsa_system_vgpr_workitem_id 0
		.amdhsa_next_free_vgpr 1
		.amdhsa_next_free_sgpr 0
		.amdhsa_accum_offset 4
		.amdhsa_reserve_vcc 0
		.amdhsa_reserve_flat_scratch 0
		.amdhsa_float_round_mode_32 0
		.amdhsa_float_round_mode_16_64 0
		.amdhsa_float_denorm_mode_32 3
		.amdhsa_float_denorm_mode_16_64 3
		.amdhsa_dx10_clamp 1
		.amdhsa_ieee_mode 1
		.amdhsa_fp16_overflow 0
		.amdhsa_tg_split 0
		.amdhsa_exception_fp_ieee_invalid_op 0
		.amdhsa_exception_fp_denorm_src 0
		.amdhsa_exception_fp_ieee_div_zero 0
		.amdhsa_exception_fp_ieee_overflow 0
		.amdhsa_exception_fp_ieee_underflow 0
		.amdhsa_exception_fp_ieee_inexact 0
		.amdhsa_exception_int_div_zero 0
	.end_amdhsa_kernel
	.section	.text._ZN7rocprim17ROCPRIM_400000_NS6detail17trampoline_kernelINS0_14default_configENS1_38merge_sort_block_merge_config_selectorItNS0_10empty_typeEEEZZNS1_27merge_sort_block_merge_implIS3_PtPS5_jNS1_19radix_merge_compareILb0ELb0EtNS0_19identity_decomposerEEEEE10hipError_tT0_T1_T2_jT3_P12ihipStream_tbPNSt15iterator_traitsISE_E10value_typeEPNSK_ISF_E10value_typeEPSG_NS1_7vsmem_tEENKUlT_SE_SF_SG_E_clIS8_S8_S9_S9_EESD_ST_SE_SF_SG_EUlST_E_NS1_11comp_targetILNS1_3genE9ELNS1_11target_archE1100ELNS1_3gpuE3ELNS1_3repE0EEENS1_48merge_mergepath_partition_config_static_selectorELNS0_4arch9wavefront6targetE1EEEvSF_,"axG",@progbits,_ZN7rocprim17ROCPRIM_400000_NS6detail17trampoline_kernelINS0_14default_configENS1_38merge_sort_block_merge_config_selectorItNS0_10empty_typeEEEZZNS1_27merge_sort_block_merge_implIS3_PtPS5_jNS1_19radix_merge_compareILb0ELb0EtNS0_19identity_decomposerEEEEE10hipError_tT0_T1_T2_jT3_P12ihipStream_tbPNSt15iterator_traitsISE_E10value_typeEPNSK_ISF_E10value_typeEPSG_NS1_7vsmem_tEENKUlT_SE_SF_SG_E_clIS8_S8_S9_S9_EESD_ST_SE_SF_SG_EUlST_E_NS1_11comp_targetILNS1_3genE9ELNS1_11target_archE1100ELNS1_3gpuE3ELNS1_3repE0EEENS1_48merge_mergepath_partition_config_static_selectorELNS0_4arch9wavefront6targetE1EEEvSF_,comdat
.Lfunc_end472:
	.size	_ZN7rocprim17ROCPRIM_400000_NS6detail17trampoline_kernelINS0_14default_configENS1_38merge_sort_block_merge_config_selectorItNS0_10empty_typeEEEZZNS1_27merge_sort_block_merge_implIS3_PtPS5_jNS1_19radix_merge_compareILb0ELb0EtNS0_19identity_decomposerEEEEE10hipError_tT0_T1_T2_jT3_P12ihipStream_tbPNSt15iterator_traitsISE_E10value_typeEPNSK_ISF_E10value_typeEPSG_NS1_7vsmem_tEENKUlT_SE_SF_SG_E_clIS8_S8_S9_S9_EESD_ST_SE_SF_SG_EUlST_E_NS1_11comp_targetILNS1_3genE9ELNS1_11target_archE1100ELNS1_3gpuE3ELNS1_3repE0EEENS1_48merge_mergepath_partition_config_static_selectorELNS0_4arch9wavefront6targetE1EEEvSF_, .Lfunc_end472-_ZN7rocprim17ROCPRIM_400000_NS6detail17trampoline_kernelINS0_14default_configENS1_38merge_sort_block_merge_config_selectorItNS0_10empty_typeEEEZZNS1_27merge_sort_block_merge_implIS3_PtPS5_jNS1_19radix_merge_compareILb0ELb0EtNS0_19identity_decomposerEEEEE10hipError_tT0_T1_T2_jT3_P12ihipStream_tbPNSt15iterator_traitsISE_E10value_typeEPNSK_ISF_E10value_typeEPSG_NS1_7vsmem_tEENKUlT_SE_SF_SG_E_clIS8_S8_S9_S9_EESD_ST_SE_SF_SG_EUlST_E_NS1_11comp_targetILNS1_3genE9ELNS1_11target_archE1100ELNS1_3gpuE3ELNS1_3repE0EEENS1_48merge_mergepath_partition_config_static_selectorELNS0_4arch9wavefront6targetE1EEEvSF_
                                        ; -- End function
	.section	.AMDGPU.csdata,"",@progbits
; Kernel info:
; codeLenInByte = 0
; NumSgprs: 4
; NumVgprs: 0
; NumAgprs: 0
; TotalNumVgprs: 0
; ScratchSize: 0
; MemoryBound: 0
; FloatMode: 240
; IeeeMode: 1
; LDSByteSize: 0 bytes/workgroup (compile time only)
; SGPRBlocks: 0
; VGPRBlocks: 0
; NumSGPRsForWavesPerEU: 4
; NumVGPRsForWavesPerEU: 1
; AccumOffset: 4
; Occupancy: 8
; WaveLimiterHint : 0
; COMPUTE_PGM_RSRC2:SCRATCH_EN: 0
; COMPUTE_PGM_RSRC2:USER_SGPR: 6
; COMPUTE_PGM_RSRC2:TRAP_HANDLER: 0
; COMPUTE_PGM_RSRC2:TGID_X_EN: 1
; COMPUTE_PGM_RSRC2:TGID_Y_EN: 0
; COMPUTE_PGM_RSRC2:TGID_Z_EN: 0
; COMPUTE_PGM_RSRC2:TIDIG_COMP_CNT: 0
; COMPUTE_PGM_RSRC3_GFX90A:ACCUM_OFFSET: 0
; COMPUTE_PGM_RSRC3_GFX90A:TG_SPLIT: 0
	.section	.text._ZN7rocprim17ROCPRIM_400000_NS6detail17trampoline_kernelINS0_14default_configENS1_38merge_sort_block_merge_config_selectorItNS0_10empty_typeEEEZZNS1_27merge_sort_block_merge_implIS3_PtPS5_jNS1_19radix_merge_compareILb0ELb0EtNS0_19identity_decomposerEEEEE10hipError_tT0_T1_T2_jT3_P12ihipStream_tbPNSt15iterator_traitsISE_E10value_typeEPNSK_ISF_E10value_typeEPSG_NS1_7vsmem_tEENKUlT_SE_SF_SG_E_clIS8_S8_S9_S9_EESD_ST_SE_SF_SG_EUlST_E_NS1_11comp_targetILNS1_3genE8ELNS1_11target_archE1030ELNS1_3gpuE2ELNS1_3repE0EEENS1_48merge_mergepath_partition_config_static_selectorELNS0_4arch9wavefront6targetE1EEEvSF_,"axG",@progbits,_ZN7rocprim17ROCPRIM_400000_NS6detail17trampoline_kernelINS0_14default_configENS1_38merge_sort_block_merge_config_selectorItNS0_10empty_typeEEEZZNS1_27merge_sort_block_merge_implIS3_PtPS5_jNS1_19radix_merge_compareILb0ELb0EtNS0_19identity_decomposerEEEEE10hipError_tT0_T1_T2_jT3_P12ihipStream_tbPNSt15iterator_traitsISE_E10value_typeEPNSK_ISF_E10value_typeEPSG_NS1_7vsmem_tEENKUlT_SE_SF_SG_E_clIS8_S8_S9_S9_EESD_ST_SE_SF_SG_EUlST_E_NS1_11comp_targetILNS1_3genE8ELNS1_11target_archE1030ELNS1_3gpuE2ELNS1_3repE0EEENS1_48merge_mergepath_partition_config_static_selectorELNS0_4arch9wavefront6targetE1EEEvSF_,comdat
	.protected	_ZN7rocprim17ROCPRIM_400000_NS6detail17trampoline_kernelINS0_14default_configENS1_38merge_sort_block_merge_config_selectorItNS0_10empty_typeEEEZZNS1_27merge_sort_block_merge_implIS3_PtPS5_jNS1_19radix_merge_compareILb0ELb0EtNS0_19identity_decomposerEEEEE10hipError_tT0_T1_T2_jT3_P12ihipStream_tbPNSt15iterator_traitsISE_E10value_typeEPNSK_ISF_E10value_typeEPSG_NS1_7vsmem_tEENKUlT_SE_SF_SG_E_clIS8_S8_S9_S9_EESD_ST_SE_SF_SG_EUlST_E_NS1_11comp_targetILNS1_3genE8ELNS1_11target_archE1030ELNS1_3gpuE2ELNS1_3repE0EEENS1_48merge_mergepath_partition_config_static_selectorELNS0_4arch9wavefront6targetE1EEEvSF_ ; -- Begin function _ZN7rocprim17ROCPRIM_400000_NS6detail17trampoline_kernelINS0_14default_configENS1_38merge_sort_block_merge_config_selectorItNS0_10empty_typeEEEZZNS1_27merge_sort_block_merge_implIS3_PtPS5_jNS1_19radix_merge_compareILb0ELb0EtNS0_19identity_decomposerEEEEE10hipError_tT0_T1_T2_jT3_P12ihipStream_tbPNSt15iterator_traitsISE_E10value_typeEPNSK_ISF_E10value_typeEPSG_NS1_7vsmem_tEENKUlT_SE_SF_SG_E_clIS8_S8_S9_S9_EESD_ST_SE_SF_SG_EUlST_E_NS1_11comp_targetILNS1_3genE8ELNS1_11target_archE1030ELNS1_3gpuE2ELNS1_3repE0EEENS1_48merge_mergepath_partition_config_static_selectorELNS0_4arch9wavefront6targetE1EEEvSF_
	.globl	_ZN7rocprim17ROCPRIM_400000_NS6detail17trampoline_kernelINS0_14default_configENS1_38merge_sort_block_merge_config_selectorItNS0_10empty_typeEEEZZNS1_27merge_sort_block_merge_implIS3_PtPS5_jNS1_19radix_merge_compareILb0ELb0EtNS0_19identity_decomposerEEEEE10hipError_tT0_T1_T2_jT3_P12ihipStream_tbPNSt15iterator_traitsISE_E10value_typeEPNSK_ISF_E10value_typeEPSG_NS1_7vsmem_tEENKUlT_SE_SF_SG_E_clIS8_S8_S9_S9_EESD_ST_SE_SF_SG_EUlST_E_NS1_11comp_targetILNS1_3genE8ELNS1_11target_archE1030ELNS1_3gpuE2ELNS1_3repE0EEENS1_48merge_mergepath_partition_config_static_selectorELNS0_4arch9wavefront6targetE1EEEvSF_
	.p2align	8
	.type	_ZN7rocprim17ROCPRIM_400000_NS6detail17trampoline_kernelINS0_14default_configENS1_38merge_sort_block_merge_config_selectorItNS0_10empty_typeEEEZZNS1_27merge_sort_block_merge_implIS3_PtPS5_jNS1_19radix_merge_compareILb0ELb0EtNS0_19identity_decomposerEEEEE10hipError_tT0_T1_T2_jT3_P12ihipStream_tbPNSt15iterator_traitsISE_E10value_typeEPNSK_ISF_E10value_typeEPSG_NS1_7vsmem_tEENKUlT_SE_SF_SG_E_clIS8_S8_S9_S9_EESD_ST_SE_SF_SG_EUlST_E_NS1_11comp_targetILNS1_3genE8ELNS1_11target_archE1030ELNS1_3gpuE2ELNS1_3repE0EEENS1_48merge_mergepath_partition_config_static_selectorELNS0_4arch9wavefront6targetE1EEEvSF_,@function
_ZN7rocprim17ROCPRIM_400000_NS6detail17trampoline_kernelINS0_14default_configENS1_38merge_sort_block_merge_config_selectorItNS0_10empty_typeEEEZZNS1_27merge_sort_block_merge_implIS3_PtPS5_jNS1_19radix_merge_compareILb0ELb0EtNS0_19identity_decomposerEEEEE10hipError_tT0_T1_T2_jT3_P12ihipStream_tbPNSt15iterator_traitsISE_E10value_typeEPNSK_ISF_E10value_typeEPSG_NS1_7vsmem_tEENKUlT_SE_SF_SG_E_clIS8_S8_S9_S9_EESD_ST_SE_SF_SG_EUlST_E_NS1_11comp_targetILNS1_3genE8ELNS1_11target_archE1030ELNS1_3gpuE2ELNS1_3repE0EEENS1_48merge_mergepath_partition_config_static_selectorELNS0_4arch9wavefront6targetE1EEEvSF_: ; @_ZN7rocprim17ROCPRIM_400000_NS6detail17trampoline_kernelINS0_14default_configENS1_38merge_sort_block_merge_config_selectorItNS0_10empty_typeEEEZZNS1_27merge_sort_block_merge_implIS3_PtPS5_jNS1_19radix_merge_compareILb0ELb0EtNS0_19identity_decomposerEEEEE10hipError_tT0_T1_T2_jT3_P12ihipStream_tbPNSt15iterator_traitsISE_E10value_typeEPNSK_ISF_E10value_typeEPSG_NS1_7vsmem_tEENKUlT_SE_SF_SG_E_clIS8_S8_S9_S9_EESD_ST_SE_SF_SG_EUlST_E_NS1_11comp_targetILNS1_3genE8ELNS1_11target_archE1030ELNS1_3gpuE2ELNS1_3repE0EEENS1_48merge_mergepath_partition_config_static_selectorELNS0_4arch9wavefront6targetE1EEEvSF_
; %bb.0:
	.section	.rodata,"a",@progbits
	.p2align	6, 0x0
	.amdhsa_kernel _ZN7rocprim17ROCPRIM_400000_NS6detail17trampoline_kernelINS0_14default_configENS1_38merge_sort_block_merge_config_selectorItNS0_10empty_typeEEEZZNS1_27merge_sort_block_merge_implIS3_PtPS5_jNS1_19radix_merge_compareILb0ELb0EtNS0_19identity_decomposerEEEEE10hipError_tT0_T1_T2_jT3_P12ihipStream_tbPNSt15iterator_traitsISE_E10value_typeEPNSK_ISF_E10value_typeEPSG_NS1_7vsmem_tEENKUlT_SE_SF_SG_E_clIS8_S8_S9_S9_EESD_ST_SE_SF_SG_EUlST_E_NS1_11comp_targetILNS1_3genE8ELNS1_11target_archE1030ELNS1_3gpuE2ELNS1_3repE0EEENS1_48merge_mergepath_partition_config_static_selectorELNS0_4arch9wavefront6targetE1EEEvSF_
		.amdhsa_group_segment_fixed_size 0
		.amdhsa_private_segment_fixed_size 0
		.amdhsa_kernarg_size 40
		.amdhsa_user_sgpr_count 6
		.amdhsa_user_sgpr_private_segment_buffer 1
		.amdhsa_user_sgpr_dispatch_ptr 0
		.amdhsa_user_sgpr_queue_ptr 0
		.amdhsa_user_sgpr_kernarg_segment_ptr 1
		.amdhsa_user_sgpr_dispatch_id 0
		.amdhsa_user_sgpr_flat_scratch_init 0
		.amdhsa_user_sgpr_kernarg_preload_length 0
		.amdhsa_user_sgpr_kernarg_preload_offset 0
		.amdhsa_user_sgpr_private_segment_size 0
		.amdhsa_uses_dynamic_stack 0
		.amdhsa_system_sgpr_private_segment_wavefront_offset 0
		.amdhsa_system_sgpr_workgroup_id_x 1
		.amdhsa_system_sgpr_workgroup_id_y 0
		.amdhsa_system_sgpr_workgroup_id_z 0
		.amdhsa_system_sgpr_workgroup_info 0
		.amdhsa_system_vgpr_workitem_id 0
		.amdhsa_next_free_vgpr 1
		.amdhsa_next_free_sgpr 0
		.amdhsa_accum_offset 4
		.amdhsa_reserve_vcc 0
		.amdhsa_reserve_flat_scratch 0
		.amdhsa_float_round_mode_32 0
		.amdhsa_float_round_mode_16_64 0
		.amdhsa_float_denorm_mode_32 3
		.amdhsa_float_denorm_mode_16_64 3
		.amdhsa_dx10_clamp 1
		.amdhsa_ieee_mode 1
		.amdhsa_fp16_overflow 0
		.amdhsa_tg_split 0
		.amdhsa_exception_fp_ieee_invalid_op 0
		.amdhsa_exception_fp_denorm_src 0
		.amdhsa_exception_fp_ieee_div_zero 0
		.amdhsa_exception_fp_ieee_overflow 0
		.amdhsa_exception_fp_ieee_underflow 0
		.amdhsa_exception_fp_ieee_inexact 0
		.amdhsa_exception_int_div_zero 0
	.end_amdhsa_kernel
	.section	.text._ZN7rocprim17ROCPRIM_400000_NS6detail17trampoline_kernelINS0_14default_configENS1_38merge_sort_block_merge_config_selectorItNS0_10empty_typeEEEZZNS1_27merge_sort_block_merge_implIS3_PtPS5_jNS1_19radix_merge_compareILb0ELb0EtNS0_19identity_decomposerEEEEE10hipError_tT0_T1_T2_jT3_P12ihipStream_tbPNSt15iterator_traitsISE_E10value_typeEPNSK_ISF_E10value_typeEPSG_NS1_7vsmem_tEENKUlT_SE_SF_SG_E_clIS8_S8_S9_S9_EESD_ST_SE_SF_SG_EUlST_E_NS1_11comp_targetILNS1_3genE8ELNS1_11target_archE1030ELNS1_3gpuE2ELNS1_3repE0EEENS1_48merge_mergepath_partition_config_static_selectorELNS0_4arch9wavefront6targetE1EEEvSF_,"axG",@progbits,_ZN7rocprim17ROCPRIM_400000_NS6detail17trampoline_kernelINS0_14default_configENS1_38merge_sort_block_merge_config_selectorItNS0_10empty_typeEEEZZNS1_27merge_sort_block_merge_implIS3_PtPS5_jNS1_19radix_merge_compareILb0ELb0EtNS0_19identity_decomposerEEEEE10hipError_tT0_T1_T2_jT3_P12ihipStream_tbPNSt15iterator_traitsISE_E10value_typeEPNSK_ISF_E10value_typeEPSG_NS1_7vsmem_tEENKUlT_SE_SF_SG_E_clIS8_S8_S9_S9_EESD_ST_SE_SF_SG_EUlST_E_NS1_11comp_targetILNS1_3genE8ELNS1_11target_archE1030ELNS1_3gpuE2ELNS1_3repE0EEENS1_48merge_mergepath_partition_config_static_selectorELNS0_4arch9wavefront6targetE1EEEvSF_,comdat
.Lfunc_end473:
	.size	_ZN7rocprim17ROCPRIM_400000_NS6detail17trampoline_kernelINS0_14default_configENS1_38merge_sort_block_merge_config_selectorItNS0_10empty_typeEEEZZNS1_27merge_sort_block_merge_implIS3_PtPS5_jNS1_19radix_merge_compareILb0ELb0EtNS0_19identity_decomposerEEEEE10hipError_tT0_T1_T2_jT3_P12ihipStream_tbPNSt15iterator_traitsISE_E10value_typeEPNSK_ISF_E10value_typeEPSG_NS1_7vsmem_tEENKUlT_SE_SF_SG_E_clIS8_S8_S9_S9_EESD_ST_SE_SF_SG_EUlST_E_NS1_11comp_targetILNS1_3genE8ELNS1_11target_archE1030ELNS1_3gpuE2ELNS1_3repE0EEENS1_48merge_mergepath_partition_config_static_selectorELNS0_4arch9wavefront6targetE1EEEvSF_, .Lfunc_end473-_ZN7rocprim17ROCPRIM_400000_NS6detail17trampoline_kernelINS0_14default_configENS1_38merge_sort_block_merge_config_selectorItNS0_10empty_typeEEEZZNS1_27merge_sort_block_merge_implIS3_PtPS5_jNS1_19radix_merge_compareILb0ELb0EtNS0_19identity_decomposerEEEEE10hipError_tT0_T1_T2_jT3_P12ihipStream_tbPNSt15iterator_traitsISE_E10value_typeEPNSK_ISF_E10value_typeEPSG_NS1_7vsmem_tEENKUlT_SE_SF_SG_E_clIS8_S8_S9_S9_EESD_ST_SE_SF_SG_EUlST_E_NS1_11comp_targetILNS1_3genE8ELNS1_11target_archE1030ELNS1_3gpuE2ELNS1_3repE0EEENS1_48merge_mergepath_partition_config_static_selectorELNS0_4arch9wavefront6targetE1EEEvSF_
                                        ; -- End function
	.section	.AMDGPU.csdata,"",@progbits
; Kernel info:
; codeLenInByte = 0
; NumSgprs: 4
; NumVgprs: 0
; NumAgprs: 0
; TotalNumVgprs: 0
; ScratchSize: 0
; MemoryBound: 0
; FloatMode: 240
; IeeeMode: 1
; LDSByteSize: 0 bytes/workgroup (compile time only)
; SGPRBlocks: 0
; VGPRBlocks: 0
; NumSGPRsForWavesPerEU: 4
; NumVGPRsForWavesPerEU: 1
; AccumOffset: 4
; Occupancy: 8
; WaveLimiterHint : 0
; COMPUTE_PGM_RSRC2:SCRATCH_EN: 0
; COMPUTE_PGM_RSRC2:USER_SGPR: 6
; COMPUTE_PGM_RSRC2:TRAP_HANDLER: 0
; COMPUTE_PGM_RSRC2:TGID_X_EN: 1
; COMPUTE_PGM_RSRC2:TGID_Y_EN: 0
; COMPUTE_PGM_RSRC2:TGID_Z_EN: 0
; COMPUTE_PGM_RSRC2:TIDIG_COMP_CNT: 0
; COMPUTE_PGM_RSRC3_GFX90A:ACCUM_OFFSET: 0
; COMPUTE_PGM_RSRC3_GFX90A:TG_SPLIT: 0
	.section	.text._ZN7rocprim17ROCPRIM_400000_NS6detail17trampoline_kernelINS0_14default_configENS1_38merge_sort_block_merge_config_selectorItNS0_10empty_typeEEEZZNS1_27merge_sort_block_merge_implIS3_PtPS5_jNS1_19radix_merge_compareILb0ELb0EtNS0_19identity_decomposerEEEEE10hipError_tT0_T1_T2_jT3_P12ihipStream_tbPNSt15iterator_traitsISE_E10value_typeEPNSK_ISF_E10value_typeEPSG_NS1_7vsmem_tEENKUlT_SE_SF_SG_E_clIS8_S8_S9_S9_EESD_ST_SE_SF_SG_EUlST_E0_NS1_11comp_targetILNS1_3genE0ELNS1_11target_archE4294967295ELNS1_3gpuE0ELNS1_3repE0EEENS1_38merge_mergepath_config_static_selectorELNS0_4arch9wavefront6targetE1EEEvSF_,"axG",@progbits,_ZN7rocprim17ROCPRIM_400000_NS6detail17trampoline_kernelINS0_14default_configENS1_38merge_sort_block_merge_config_selectorItNS0_10empty_typeEEEZZNS1_27merge_sort_block_merge_implIS3_PtPS5_jNS1_19radix_merge_compareILb0ELb0EtNS0_19identity_decomposerEEEEE10hipError_tT0_T1_T2_jT3_P12ihipStream_tbPNSt15iterator_traitsISE_E10value_typeEPNSK_ISF_E10value_typeEPSG_NS1_7vsmem_tEENKUlT_SE_SF_SG_E_clIS8_S8_S9_S9_EESD_ST_SE_SF_SG_EUlST_E0_NS1_11comp_targetILNS1_3genE0ELNS1_11target_archE4294967295ELNS1_3gpuE0ELNS1_3repE0EEENS1_38merge_mergepath_config_static_selectorELNS0_4arch9wavefront6targetE1EEEvSF_,comdat
	.protected	_ZN7rocprim17ROCPRIM_400000_NS6detail17trampoline_kernelINS0_14default_configENS1_38merge_sort_block_merge_config_selectorItNS0_10empty_typeEEEZZNS1_27merge_sort_block_merge_implIS3_PtPS5_jNS1_19radix_merge_compareILb0ELb0EtNS0_19identity_decomposerEEEEE10hipError_tT0_T1_T2_jT3_P12ihipStream_tbPNSt15iterator_traitsISE_E10value_typeEPNSK_ISF_E10value_typeEPSG_NS1_7vsmem_tEENKUlT_SE_SF_SG_E_clIS8_S8_S9_S9_EESD_ST_SE_SF_SG_EUlST_E0_NS1_11comp_targetILNS1_3genE0ELNS1_11target_archE4294967295ELNS1_3gpuE0ELNS1_3repE0EEENS1_38merge_mergepath_config_static_selectorELNS0_4arch9wavefront6targetE1EEEvSF_ ; -- Begin function _ZN7rocprim17ROCPRIM_400000_NS6detail17trampoline_kernelINS0_14default_configENS1_38merge_sort_block_merge_config_selectorItNS0_10empty_typeEEEZZNS1_27merge_sort_block_merge_implIS3_PtPS5_jNS1_19radix_merge_compareILb0ELb0EtNS0_19identity_decomposerEEEEE10hipError_tT0_T1_T2_jT3_P12ihipStream_tbPNSt15iterator_traitsISE_E10value_typeEPNSK_ISF_E10value_typeEPSG_NS1_7vsmem_tEENKUlT_SE_SF_SG_E_clIS8_S8_S9_S9_EESD_ST_SE_SF_SG_EUlST_E0_NS1_11comp_targetILNS1_3genE0ELNS1_11target_archE4294967295ELNS1_3gpuE0ELNS1_3repE0EEENS1_38merge_mergepath_config_static_selectorELNS0_4arch9wavefront6targetE1EEEvSF_
	.globl	_ZN7rocprim17ROCPRIM_400000_NS6detail17trampoline_kernelINS0_14default_configENS1_38merge_sort_block_merge_config_selectorItNS0_10empty_typeEEEZZNS1_27merge_sort_block_merge_implIS3_PtPS5_jNS1_19radix_merge_compareILb0ELb0EtNS0_19identity_decomposerEEEEE10hipError_tT0_T1_T2_jT3_P12ihipStream_tbPNSt15iterator_traitsISE_E10value_typeEPNSK_ISF_E10value_typeEPSG_NS1_7vsmem_tEENKUlT_SE_SF_SG_E_clIS8_S8_S9_S9_EESD_ST_SE_SF_SG_EUlST_E0_NS1_11comp_targetILNS1_3genE0ELNS1_11target_archE4294967295ELNS1_3gpuE0ELNS1_3repE0EEENS1_38merge_mergepath_config_static_selectorELNS0_4arch9wavefront6targetE1EEEvSF_
	.p2align	8
	.type	_ZN7rocprim17ROCPRIM_400000_NS6detail17trampoline_kernelINS0_14default_configENS1_38merge_sort_block_merge_config_selectorItNS0_10empty_typeEEEZZNS1_27merge_sort_block_merge_implIS3_PtPS5_jNS1_19radix_merge_compareILb0ELb0EtNS0_19identity_decomposerEEEEE10hipError_tT0_T1_T2_jT3_P12ihipStream_tbPNSt15iterator_traitsISE_E10value_typeEPNSK_ISF_E10value_typeEPSG_NS1_7vsmem_tEENKUlT_SE_SF_SG_E_clIS8_S8_S9_S9_EESD_ST_SE_SF_SG_EUlST_E0_NS1_11comp_targetILNS1_3genE0ELNS1_11target_archE4294967295ELNS1_3gpuE0ELNS1_3repE0EEENS1_38merge_mergepath_config_static_selectorELNS0_4arch9wavefront6targetE1EEEvSF_,@function
_ZN7rocprim17ROCPRIM_400000_NS6detail17trampoline_kernelINS0_14default_configENS1_38merge_sort_block_merge_config_selectorItNS0_10empty_typeEEEZZNS1_27merge_sort_block_merge_implIS3_PtPS5_jNS1_19radix_merge_compareILb0ELb0EtNS0_19identity_decomposerEEEEE10hipError_tT0_T1_T2_jT3_P12ihipStream_tbPNSt15iterator_traitsISE_E10value_typeEPNSK_ISF_E10value_typeEPSG_NS1_7vsmem_tEENKUlT_SE_SF_SG_E_clIS8_S8_S9_S9_EESD_ST_SE_SF_SG_EUlST_E0_NS1_11comp_targetILNS1_3genE0ELNS1_11target_archE4294967295ELNS1_3gpuE0ELNS1_3repE0EEENS1_38merge_mergepath_config_static_selectorELNS0_4arch9wavefront6targetE1EEEvSF_: ; @_ZN7rocprim17ROCPRIM_400000_NS6detail17trampoline_kernelINS0_14default_configENS1_38merge_sort_block_merge_config_selectorItNS0_10empty_typeEEEZZNS1_27merge_sort_block_merge_implIS3_PtPS5_jNS1_19radix_merge_compareILb0ELb0EtNS0_19identity_decomposerEEEEE10hipError_tT0_T1_T2_jT3_P12ihipStream_tbPNSt15iterator_traitsISE_E10value_typeEPNSK_ISF_E10value_typeEPSG_NS1_7vsmem_tEENKUlT_SE_SF_SG_E_clIS8_S8_S9_S9_EESD_ST_SE_SF_SG_EUlST_E0_NS1_11comp_targetILNS1_3genE0ELNS1_11target_archE4294967295ELNS1_3gpuE0ELNS1_3repE0EEENS1_38merge_mergepath_config_static_selectorELNS0_4arch9wavefront6targetE1EEEvSF_
; %bb.0:
	.section	.rodata,"a",@progbits
	.p2align	6, 0x0
	.amdhsa_kernel _ZN7rocprim17ROCPRIM_400000_NS6detail17trampoline_kernelINS0_14default_configENS1_38merge_sort_block_merge_config_selectorItNS0_10empty_typeEEEZZNS1_27merge_sort_block_merge_implIS3_PtPS5_jNS1_19radix_merge_compareILb0ELb0EtNS0_19identity_decomposerEEEEE10hipError_tT0_T1_T2_jT3_P12ihipStream_tbPNSt15iterator_traitsISE_E10value_typeEPNSK_ISF_E10value_typeEPSG_NS1_7vsmem_tEENKUlT_SE_SF_SG_E_clIS8_S8_S9_S9_EESD_ST_SE_SF_SG_EUlST_E0_NS1_11comp_targetILNS1_3genE0ELNS1_11target_archE4294967295ELNS1_3gpuE0ELNS1_3repE0EEENS1_38merge_mergepath_config_static_selectorELNS0_4arch9wavefront6targetE1EEEvSF_
		.amdhsa_group_segment_fixed_size 0
		.amdhsa_private_segment_fixed_size 0
		.amdhsa_kernarg_size 64
		.amdhsa_user_sgpr_count 6
		.amdhsa_user_sgpr_private_segment_buffer 1
		.amdhsa_user_sgpr_dispatch_ptr 0
		.amdhsa_user_sgpr_queue_ptr 0
		.amdhsa_user_sgpr_kernarg_segment_ptr 1
		.amdhsa_user_sgpr_dispatch_id 0
		.amdhsa_user_sgpr_flat_scratch_init 0
		.amdhsa_user_sgpr_kernarg_preload_length 0
		.amdhsa_user_sgpr_kernarg_preload_offset 0
		.amdhsa_user_sgpr_private_segment_size 0
		.amdhsa_uses_dynamic_stack 0
		.amdhsa_system_sgpr_private_segment_wavefront_offset 0
		.amdhsa_system_sgpr_workgroup_id_x 1
		.amdhsa_system_sgpr_workgroup_id_y 0
		.amdhsa_system_sgpr_workgroup_id_z 0
		.amdhsa_system_sgpr_workgroup_info 0
		.amdhsa_system_vgpr_workitem_id 0
		.amdhsa_next_free_vgpr 1
		.amdhsa_next_free_sgpr 0
		.amdhsa_accum_offset 4
		.amdhsa_reserve_vcc 0
		.amdhsa_reserve_flat_scratch 0
		.amdhsa_float_round_mode_32 0
		.amdhsa_float_round_mode_16_64 0
		.amdhsa_float_denorm_mode_32 3
		.amdhsa_float_denorm_mode_16_64 3
		.amdhsa_dx10_clamp 1
		.amdhsa_ieee_mode 1
		.amdhsa_fp16_overflow 0
		.amdhsa_tg_split 0
		.amdhsa_exception_fp_ieee_invalid_op 0
		.amdhsa_exception_fp_denorm_src 0
		.amdhsa_exception_fp_ieee_div_zero 0
		.amdhsa_exception_fp_ieee_overflow 0
		.amdhsa_exception_fp_ieee_underflow 0
		.amdhsa_exception_fp_ieee_inexact 0
		.amdhsa_exception_int_div_zero 0
	.end_amdhsa_kernel
	.section	.text._ZN7rocprim17ROCPRIM_400000_NS6detail17trampoline_kernelINS0_14default_configENS1_38merge_sort_block_merge_config_selectorItNS0_10empty_typeEEEZZNS1_27merge_sort_block_merge_implIS3_PtPS5_jNS1_19radix_merge_compareILb0ELb0EtNS0_19identity_decomposerEEEEE10hipError_tT0_T1_T2_jT3_P12ihipStream_tbPNSt15iterator_traitsISE_E10value_typeEPNSK_ISF_E10value_typeEPSG_NS1_7vsmem_tEENKUlT_SE_SF_SG_E_clIS8_S8_S9_S9_EESD_ST_SE_SF_SG_EUlST_E0_NS1_11comp_targetILNS1_3genE0ELNS1_11target_archE4294967295ELNS1_3gpuE0ELNS1_3repE0EEENS1_38merge_mergepath_config_static_selectorELNS0_4arch9wavefront6targetE1EEEvSF_,"axG",@progbits,_ZN7rocprim17ROCPRIM_400000_NS6detail17trampoline_kernelINS0_14default_configENS1_38merge_sort_block_merge_config_selectorItNS0_10empty_typeEEEZZNS1_27merge_sort_block_merge_implIS3_PtPS5_jNS1_19radix_merge_compareILb0ELb0EtNS0_19identity_decomposerEEEEE10hipError_tT0_T1_T2_jT3_P12ihipStream_tbPNSt15iterator_traitsISE_E10value_typeEPNSK_ISF_E10value_typeEPSG_NS1_7vsmem_tEENKUlT_SE_SF_SG_E_clIS8_S8_S9_S9_EESD_ST_SE_SF_SG_EUlST_E0_NS1_11comp_targetILNS1_3genE0ELNS1_11target_archE4294967295ELNS1_3gpuE0ELNS1_3repE0EEENS1_38merge_mergepath_config_static_selectorELNS0_4arch9wavefront6targetE1EEEvSF_,comdat
.Lfunc_end474:
	.size	_ZN7rocprim17ROCPRIM_400000_NS6detail17trampoline_kernelINS0_14default_configENS1_38merge_sort_block_merge_config_selectorItNS0_10empty_typeEEEZZNS1_27merge_sort_block_merge_implIS3_PtPS5_jNS1_19radix_merge_compareILb0ELb0EtNS0_19identity_decomposerEEEEE10hipError_tT0_T1_T2_jT3_P12ihipStream_tbPNSt15iterator_traitsISE_E10value_typeEPNSK_ISF_E10value_typeEPSG_NS1_7vsmem_tEENKUlT_SE_SF_SG_E_clIS8_S8_S9_S9_EESD_ST_SE_SF_SG_EUlST_E0_NS1_11comp_targetILNS1_3genE0ELNS1_11target_archE4294967295ELNS1_3gpuE0ELNS1_3repE0EEENS1_38merge_mergepath_config_static_selectorELNS0_4arch9wavefront6targetE1EEEvSF_, .Lfunc_end474-_ZN7rocprim17ROCPRIM_400000_NS6detail17trampoline_kernelINS0_14default_configENS1_38merge_sort_block_merge_config_selectorItNS0_10empty_typeEEEZZNS1_27merge_sort_block_merge_implIS3_PtPS5_jNS1_19radix_merge_compareILb0ELb0EtNS0_19identity_decomposerEEEEE10hipError_tT0_T1_T2_jT3_P12ihipStream_tbPNSt15iterator_traitsISE_E10value_typeEPNSK_ISF_E10value_typeEPSG_NS1_7vsmem_tEENKUlT_SE_SF_SG_E_clIS8_S8_S9_S9_EESD_ST_SE_SF_SG_EUlST_E0_NS1_11comp_targetILNS1_3genE0ELNS1_11target_archE4294967295ELNS1_3gpuE0ELNS1_3repE0EEENS1_38merge_mergepath_config_static_selectorELNS0_4arch9wavefront6targetE1EEEvSF_
                                        ; -- End function
	.section	.AMDGPU.csdata,"",@progbits
; Kernel info:
; codeLenInByte = 0
; NumSgprs: 4
; NumVgprs: 0
; NumAgprs: 0
; TotalNumVgprs: 0
; ScratchSize: 0
; MemoryBound: 0
; FloatMode: 240
; IeeeMode: 1
; LDSByteSize: 0 bytes/workgroup (compile time only)
; SGPRBlocks: 0
; VGPRBlocks: 0
; NumSGPRsForWavesPerEU: 4
; NumVGPRsForWavesPerEU: 1
; AccumOffset: 4
; Occupancy: 8
; WaveLimiterHint : 0
; COMPUTE_PGM_RSRC2:SCRATCH_EN: 0
; COMPUTE_PGM_RSRC2:USER_SGPR: 6
; COMPUTE_PGM_RSRC2:TRAP_HANDLER: 0
; COMPUTE_PGM_RSRC2:TGID_X_EN: 1
; COMPUTE_PGM_RSRC2:TGID_Y_EN: 0
; COMPUTE_PGM_RSRC2:TGID_Z_EN: 0
; COMPUTE_PGM_RSRC2:TIDIG_COMP_CNT: 0
; COMPUTE_PGM_RSRC3_GFX90A:ACCUM_OFFSET: 0
; COMPUTE_PGM_RSRC3_GFX90A:TG_SPLIT: 0
	.section	.text._ZN7rocprim17ROCPRIM_400000_NS6detail17trampoline_kernelINS0_14default_configENS1_38merge_sort_block_merge_config_selectorItNS0_10empty_typeEEEZZNS1_27merge_sort_block_merge_implIS3_PtPS5_jNS1_19radix_merge_compareILb0ELb0EtNS0_19identity_decomposerEEEEE10hipError_tT0_T1_T2_jT3_P12ihipStream_tbPNSt15iterator_traitsISE_E10value_typeEPNSK_ISF_E10value_typeEPSG_NS1_7vsmem_tEENKUlT_SE_SF_SG_E_clIS8_S8_S9_S9_EESD_ST_SE_SF_SG_EUlST_E0_NS1_11comp_targetILNS1_3genE10ELNS1_11target_archE1201ELNS1_3gpuE5ELNS1_3repE0EEENS1_38merge_mergepath_config_static_selectorELNS0_4arch9wavefront6targetE1EEEvSF_,"axG",@progbits,_ZN7rocprim17ROCPRIM_400000_NS6detail17trampoline_kernelINS0_14default_configENS1_38merge_sort_block_merge_config_selectorItNS0_10empty_typeEEEZZNS1_27merge_sort_block_merge_implIS3_PtPS5_jNS1_19radix_merge_compareILb0ELb0EtNS0_19identity_decomposerEEEEE10hipError_tT0_T1_T2_jT3_P12ihipStream_tbPNSt15iterator_traitsISE_E10value_typeEPNSK_ISF_E10value_typeEPSG_NS1_7vsmem_tEENKUlT_SE_SF_SG_E_clIS8_S8_S9_S9_EESD_ST_SE_SF_SG_EUlST_E0_NS1_11comp_targetILNS1_3genE10ELNS1_11target_archE1201ELNS1_3gpuE5ELNS1_3repE0EEENS1_38merge_mergepath_config_static_selectorELNS0_4arch9wavefront6targetE1EEEvSF_,comdat
	.protected	_ZN7rocprim17ROCPRIM_400000_NS6detail17trampoline_kernelINS0_14default_configENS1_38merge_sort_block_merge_config_selectorItNS0_10empty_typeEEEZZNS1_27merge_sort_block_merge_implIS3_PtPS5_jNS1_19radix_merge_compareILb0ELb0EtNS0_19identity_decomposerEEEEE10hipError_tT0_T1_T2_jT3_P12ihipStream_tbPNSt15iterator_traitsISE_E10value_typeEPNSK_ISF_E10value_typeEPSG_NS1_7vsmem_tEENKUlT_SE_SF_SG_E_clIS8_S8_S9_S9_EESD_ST_SE_SF_SG_EUlST_E0_NS1_11comp_targetILNS1_3genE10ELNS1_11target_archE1201ELNS1_3gpuE5ELNS1_3repE0EEENS1_38merge_mergepath_config_static_selectorELNS0_4arch9wavefront6targetE1EEEvSF_ ; -- Begin function _ZN7rocprim17ROCPRIM_400000_NS6detail17trampoline_kernelINS0_14default_configENS1_38merge_sort_block_merge_config_selectorItNS0_10empty_typeEEEZZNS1_27merge_sort_block_merge_implIS3_PtPS5_jNS1_19radix_merge_compareILb0ELb0EtNS0_19identity_decomposerEEEEE10hipError_tT0_T1_T2_jT3_P12ihipStream_tbPNSt15iterator_traitsISE_E10value_typeEPNSK_ISF_E10value_typeEPSG_NS1_7vsmem_tEENKUlT_SE_SF_SG_E_clIS8_S8_S9_S9_EESD_ST_SE_SF_SG_EUlST_E0_NS1_11comp_targetILNS1_3genE10ELNS1_11target_archE1201ELNS1_3gpuE5ELNS1_3repE0EEENS1_38merge_mergepath_config_static_selectorELNS0_4arch9wavefront6targetE1EEEvSF_
	.globl	_ZN7rocprim17ROCPRIM_400000_NS6detail17trampoline_kernelINS0_14default_configENS1_38merge_sort_block_merge_config_selectorItNS0_10empty_typeEEEZZNS1_27merge_sort_block_merge_implIS3_PtPS5_jNS1_19radix_merge_compareILb0ELb0EtNS0_19identity_decomposerEEEEE10hipError_tT0_T1_T2_jT3_P12ihipStream_tbPNSt15iterator_traitsISE_E10value_typeEPNSK_ISF_E10value_typeEPSG_NS1_7vsmem_tEENKUlT_SE_SF_SG_E_clIS8_S8_S9_S9_EESD_ST_SE_SF_SG_EUlST_E0_NS1_11comp_targetILNS1_3genE10ELNS1_11target_archE1201ELNS1_3gpuE5ELNS1_3repE0EEENS1_38merge_mergepath_config_static_selectorELNS0_4arch9wavefront6targetE1EEEvSF_
	.p2align	8
	.type	_ZN7rocprim17ROCPRIM_400000_NS6detail17trampoline_kernelINS0_14default_configENS1_38merge_sort_block_merge_config_selectorItNS0_10empty_typeEEEZZNS1_27merge_sort_block_merge_implIS3_PtPS5_jNS1_19radix_merge_compareILb0ELb0EtNS0_19identity_decomposerEEEEE10hipError_tT0_T1_T2_jT3_P12ihipStream_tbPNSt15iterator_traitsISE_E10value_typeEPNSK_ISF_E10value_typeEPSG_NS1_7vsmem_tEENKUlT_SE_SF_SG_E_clIS8_S8_S9_S9_EESD_ST_SE_SF_SG_EUlST_E0_NS1_11comp_targetILNS1_3genE10ELNS1_11target_archE1201ELNS1_3gpuE5ELNS1_3repE0EEENS1_38merge_mergepath_config_static_selectorELNS0_4arch9wavefront6targetE1EEEvSF_,@function
_ZN7rocprim17ROCPRIM_400000_NS6detail17trampoline_kernelINS0_14default_configENS1_38merge_sort_block_merge_config_selectorItNS0_10empty_typeEEEZZNS1_27merge_sort_block_merge_implIS3_PtPS5_jNS1_19radix_merge_compareILb0ELb0EtNS0_19identity_decomposerEEEEE10hipError_tT0_T1_T2_jT3_P12ihipStream_tbPNSt15iterator_traitsISE_E10value_typeEPNSK_ISF_E10value_typeEPSG_NS1_7vsmem_tEENKUlT_SE_SF_SG_E_clIS8_S8_S9_S9_EESD_ST_SE_SF_SG_EUlST_E0_NS1_11comp_targetILNS1_3genE10ELNS1_11target_archE1201ELNS1_3gpuE5ELNS1_3repE0EEENS1_38merge_mergepath_config_static_selectorELNS0_4arch9wavefront6targetE1EEEvSF_: ; @_ZN7rocprim17ROCPRIM_400000_NS6detail17trampoline_kernelINS0_14default_configENS1_38merge_sort_block_merge_config_selectorItNS0_10empty_typeEEEZZNS1_27merge_sort_block_merge_implIS3_PtPS5_jNS1_19radix_merge_compareILb0ELb0EtNS0_19identity_decomposerEEEEE10hipError_tT0_T1_T2_jT3_P12ihipStream_tbPNSt15iterator_traitsISE_E10value_typeEPNSK_ISF_E10value_typeEPSG_NS1_7vsmem_tEENKUlT_SE_SF_SG_E_clIS8_S8_S9_S9_EESD_ST_SE_SF_SG_EUlST_E0_NS1_11comp_targetILNS1_3genE10ELNS1_11target_archE1201ELNS1_3gpuE5ELNS1_3repE0EEENS1_38merge_mergepath_config_static_selectorELNS0_4arch9wavefront6targetE1EEEvSF_
; %bb.0:
	.section	.rodata,"a",@progbits
	.p2align	6, 0x0
	.amdhsa_kernel _ZN7rocprim17ROCPRIM_400000_NS6detail17trampoline_kernelINS0_14default_configENS1_38merge_sort_block_merge_config_selectorItNS0_10empty_typeEEEZZNS1_27merge_sort_block_merge_implIS3_PtPS5_jNS1_19radix_merge_compareILb0ELb0EtNS0_19identity_decomposerEEEEE10hipError_tT0_T1_T2_jT3_P12ihipStream_tbPNSt15iterator_traitsISE_E10value_typeEPNSK_ISF_E10value_typeEPSG_NS1_7vsmem_tEENKUlT_SE_SF_SG_E_clIS8_S8_S9_S9_EESD_ST_SE_SF_SG_EUlST_E0_NS1_11comp_targetILNS1_3genE10ELNS1_11target_archE1201ELNS1_3gpuE5ELNS1_3repE0EEENS1_38merge_mergepath_config_static_selectorELNS0_4arch9wavefront6targetE1EEEvSF_
		.amdhsa_group_segment_fixed_size 0
		.amdhsa_private_segment_fixed_size 0
		.amdhsa_kernarg_size 64
		.amdhsa_user_sgpr_count 6
		.amdhsa_user_sgpr_private_segment_buffer 1
		.amdhsa_user_sgpr_dispatch_ptr 0
		.amdhsa_user_sgpr_queue_ptr 0
		.amdhsa_user_sgpr_kernarg_segment_ptr 1
		.amdhsa_user_sgpr_dispatch_id 0
		.amdhsa_user_sgpr_flat_scratch_init 0
		.amdhsa_user_sgpr_kernarg_preload_length 0
		.amdhsa_user_sgpr_kernarg_preload_offset 0
		.amdhsa_user_sgpr_private_segment_size 0
		.amdhsa_uses_dynamic_stack 0
		.amdhsa_system_sgpr_private_segment_wavefront_offset 0
		.amdhsa_system_sgpr_workgroup_id_x 1
		.amdhsa_system_sgpr_workgroup_id_y 0
		.amdhsa_system_sgpr_workgroup_id_z 0
		.amdhsa_system_sgpr_workgroup_info 0
		.amdhsa_system_vgpr_workitem_id 0
		.amdhsa_next_free_vgpr 1
		.amdhsa_next_free_sgpr 0
		.amdhsa_accum_offset 4
		.amdhsa_reserve_vcc 0
		.amdhsa_reserve_flat_scratch 0
		.amdhsa_float_round_mode_32 0
		.amdhsa_float_round_mode_16_64 0
		.amdhsa_float_denorm_mode_32 3
		.amdhsa_float_denorm_mode_16_64 3
		.amdhsa_dx10_clamp 1
		.amdhsa_ieee_mode 1
		.amdhsa_fp16_overflow 0
		.amdhsa_tg_split 0
		.amdhsa_exception_fp_ieee_invalid_op 0
		.amdhsa_exception_fp_denorm_src 0
		.amdhsa_exception_fp_ieee_div_zero 0
		.amdhsa_exception_fp_ieee_overflow 0
		.amdhsa_exception_fp_ieee_underflow 0
		.amdhsa_exception_fp_ieee_inexact 0
		.amdhsa_exception_int_div_zero 0
	.end_amdhsa_kernel
	.section	.text._ZN7rocprim17ROCPRIM_400000_NS6detail17trampoline_kernelINS0_14default_configENS1_38merge_sort_block_merge_config_selectorItNS0_10empty_typeEEEZZNS1_27merge_sort_block_merge_implIS3_PtPS5_jNS1_19radix_merge_compareILb0ELb0EtNS0_19identity_decomposerEEEEE10hipError_tT0_T1_T2_jT3_P12ihipStream_tbPNSt15iterator_traitsISE_E10value_typeEPNSK_ISF_E10value_typeEPSG_NS1_7vsmem_tEENKUlT_SE_SF_SG_E_clIS8_S8_S9_S9_EESD_ST_SE_SF_SG_EUlST_E0_NS1_11comp_targetILNS1_3genE10ELNS1_11target_archE1201ELNS1_3gpuE5ELNS1_3repE0EEENS1_38merge_mergepath_config_static_selectorELNS0_4arch9wavefront6targetE1EEEvSF_,"axG",@progbits,_ZN7rocprim17ROCPRIM_400000_NS6detail17trampoline_kernelINS0_14default_configENS1_38merge_sort_block_merge_config_selectorItNS0_10empty_typeEEEZZNS1_27merge_sort_block_merge_implIS3_PtPS5_jNS1_19radix_merge_compareILb0ELb0EtNS0_19identity_decomposerEEEEE10hipError_tT0_T1_T2_jT3_P12ihipStream_tbPNSt15iterator_traitsISE_E10value_typeEPNSK_ISF_E10value_typeEPSG_NS1_7vsmem_tEENKUlT_SE_SF_SG_E_clIS8_S8_S9_S9_EESD_ST_SE_SF_SG_EUlST_E0_NS1_11comp_targetILNS1_3genE10ELNS1_11target_archE1201ELNS1_3gpuE5ELNS1_3repE0EEENS1_38merge_mergepath_config_static_selectorELNS0_4arch9wavefront6targetE1EEEvSF_,comdat
.Lfunc_end475:
	.size	_ZN7rocprim17ROCPRIM_400000_NS6detail17trampoline_kernelINS0_14default_configENS1_38merge_sort_block_merge_config_selectorItNS0_10empty_typeEEEZZNS1_27merge_sort_block_merge_implIS3_PtPS5_jNS1_19radix_merge_compareILb0ELb0EtNS0_19identity_decomposerEEEEE10hipError_tT0_T1_T2_jT3_P12ihipStream_tbPNSt15iterator_traitsISE_E10value_typeEPNSK_ISF_E10value_typeEPSG_NS1_7vsmem_tEENKUlT_SE_SF_SG_E_clIS8_S8_S9_S9_EESD_ST_SE_SF_SG_EUlST_E0_NS1_11comp_targetILNS1_3genE10ELNS1_11target_archE1201ELNS1_3gpuE5ELNS1_3repE0EEENS1_38merge_mergepath_config_static_selectorELNS0_4arch9wavefront6targetE1EEEvSF_, .Lfunc_end475-_ZN7rocprim17ROCPRIM_400000_NS6detail17trampoline_kernelINS0_14default_configENS1_38merge_sort_block_merge_config_selectorItNS0_10empty_typeEEEZZNS1_27merge_sort_block_merge_implIS3_PtPS5_jNS1_19radix_merge_compareILb0ELb0EtNS0_19identity_decomposerEEEEE10hipError_tT0_T1_T2_jT3_P12ihipStream_tbPNSt15iterator_traitsISE_E10value_typeEPNSK_ISF_E10value_typeEPSG_NS1_7vsmem_tEENKUlT_SE_SF_SG_E_clIS8_S8_S9_S9_EESD_ST_SE_SF_SG_EUlST_E0_NS1_11comp_targetILNS1_3genE10ELNS1_11target_archE1201ELNS1_3gpuE5ELNS1_3repE0EEENS1_38merge_mergepath_config_static_selectorELNS0_4arch9wavefront6targetE1EEEvSF_
                                        ; -- End function
	.section	.AMDGPU.csdata,"",@progbits
; Kernel info:
; codeLenInByte = 0
; NumSgprs: 4
; NumVgprs: 0
; NumAgprs: 0
; TotalNumVgprs: 0
; ScratchSize: 0
; MemoryBound: 0
; FloatMode: 240
; IeeeMode: 1
; LDSByteSize: 0 bytes/workgroup (compile time only)
; SGPRBlocks: 0
; VGPRBlocks: 0
; NumSGPRsForWavesPerEU: 4
; NumVGPRsForWavesPerEU: 1
; AccumOffset: 4
; Occupancy: 8
; WaveLimiterHint : 0
; COMPUTE_PGM_RSRC2:SCRATCH_EN: 0
; COMPUTE_PGM_RSRC2:USER_SGPR: 6
; COMPUTE_PGM_RSRC2:TRAP_HANDLER: 0
; COMPUTE_PGM_RSRC2:TGID_X_EN: 1
; COMPUTE_PGM_RSRC2:TGID_Y_EN: 0
; COMPUTE_PGM_RSRC2:TGID_Z_EN: 0
; COMPUTE_PGM_RSRC2:TIDIG_COMP_CNT: 0
; COMPUTE_PGM_RSRC3_GFX90A:ACCUM_OFFSET: 0
; COMPUTE_PGM_RSRC3_GFX90A:TG_SPLIT: 0
	.section	.text._ZN7rocprim17ROCPRIM_400000_NS6detail17trampoline_kernelINS0_14default_configENS1_38merge_sort_block_merge_config_selectorItNS0_10empty_typeEEEZZNS1_27merge_sort_block_merge_implIS3_PtPS5_jNS1_19radix_merge_compareILb0ELb0EtNS0_19identity_decomposerEEEEE10hipError_tT0_T1_T2_jT3_P12ihipStream_tbPNSt15iterator_traitsISE_E10value_typeEPNSK_ISF_E10value_typeEPSG_NS1_7vsmem_tEENKUlT_SE_SF_SG_E_clIS8_S8_S9_S9_EESD_ST_SE_SF_SG_EUlST_E0_NS1_11comp_targetILNS1_3genE5ELNS1_11target_archE942ELNS1_3gpuE9ELNS1_3repE0EEENS1_38merge_mergepath_config_static_selectorELNS0_4arch9wavefront6targetE1EEEvSF_,"axG",@progbits,_ZN7rocprim17ROCPRIM_400000_NS6detail17trampoline_kernelINS0_14default_configENS1_38merge_sort_block_merge_config_selectorItNS0_10empty_typeEEEZZNS1_27merge_sort_block_merge_implIS3_PtPS5_jNS1_19radix_merge_compareILb0ELb0EtNS0_19identity_decomposerEEEEE10hipError_tT0_T1_T2_jT3_P12ihipStream_tbPNSt15iterator_traitsISE_E10value_typeEPNSK_ISF_E10value_typeEPSG_NS1_7vsmem_tEENKUlT_SE_SF_SG_E_clIS8_S8_S9_S9_EESD_ST_SE_SF_SG_EUlST_E0_NS1_11comp_targetILNS1_3genE5ELNS1_11target_archE942ELNS1_3gpuE9ELNS1_3repE0EEENS1_38merge_mergepath_config_static_selectorELNS0_4arch9wavefront6targetE1EEEvSF_,comdat
	.protected	_ZN7rocprim17ROCPRIM_400000_NS6detail17trampoline_kernelINS0_14default_configENS1_38merge_sort_block_merge_config_selectorItNS0_10empty_typeEEEZZNS1_27merge_sort_block_merge_implIS3_PtPS5_jNS1_19radix_merge_compareILb0ELb0EtNS0_19identity_decomposerEEEEE10hipError_tT0_T1_T2_jT3_P12ihipStream_tbPNSt15iterator_traitsISE_E10value_typeEPNSK_ISF_E10value_typeEPSG_NS1_7vsmem_tEENKUlT_SE_SF_SG_E_clIS8_S8_S9_S9_EESD_ST_SE_SF_SG_EUlST_E0_NS1_11comp_targetILNS1_3genE5ELNS1_11target_archE942ELNS1_3gpuE9ELNS1_3repE0EEENS1_38merge_mergepath_config_static_selectorELNS0_4arch9wavefront6targetE1EEEvSF_ ; -- Begin function _ZN7rocprim17ROCPRIM_400000_NS6detail17trampoline_kernelINS0_14default_configENS1_38merge_sort_block_merge_config_selectorItNS0_10empty_typeEEEZZNS1_27merge_sort_block_merge_implIS3_PtPS5_jNS1_19radix_merge_compareILb0ELb0EtNS0_19identity_decomposerEEEEE10hipError_tT0_T1_T2_jT3_P12ihipStream_tbPNSt15iterator_traitsISE_E10value_typeEPNSK_ISF_E10value_typeEPSG_NS1_7vsmem_tEENKUlT_SE_SF_SG_E_clIS8_S8_S9_S9_EESD_ST_SE_SF_SG_EUlST_E0_NS1_11comp_targetILNS1_3genE5ELNS1_11target_archE942ELNS1_3gpuE9ELNS1_3repE0EEENS1_38merge_mergepath_config_static_selectorELNS0_4arch9wavefront6targetE1EEEvSF_
	.globl	_ZN7rocprim17ROCPRIM_400000_NS6detail17trampoline_kernelINS0_14default_configENS1_38merge_sort_block_merge_config_selectorItNS0_10empty_typeEEEZZNS1_27merge_sort_block_merge_implIS3_PtPS5_jNS1_19radix_merge_compareILb0ELb0EtNS0_19identity_decomposerEEEEE10hipError_tT0_T1_T2_jT3_P12ihipStream_tbPNSt15iterator_traitsISE_E10value_typeEPNSK_ISF_E10value_typeEPSG_NS1_7vsmem_tEENKUlT_SE_SF_SG_E_clIS8_S8_S9_S9_EESD_ST_SE_SF_SG_EUlST_E0_NS1_11comp_targetILNS1_3genE5ELNS1_11target_archE942ELNS1_3gpuE9ELNS1_3repE0EEENS1_38merge_mergepath_config_static_selectorELNS0_4arch9wavefront6targetE1EEEvSF_
	.p2align	8
	.type	_ZN7rocprim17ROCPRIM_400000_NS6detail17trampoline_kernelINS0_14default_configENS1_38merge_sort_block_merge_config_selectorItNS0_10empty_typeEEEZZNS1_27merge_sort_block_merge_implIS3_PtPS5_jNS1_19radix_merge_compareILb0ELb0EtNS0_19identity_decomposerEEEEE10hipError_tT0_T1_T2_jT3_P12ihipStream_tbPNSt15iterator_traitsISE_E10value_typeEPNSK_ISF_E10value_typeEPSG_NS1_7vsmem_tEENKUlT_SE_SF_SG_E_clIS8_S8_S9_S9_EESD_ST_SE_SF_SG_EUlST_E0_NS1_11comp_targetILNS1_3genE5ELNS1_11target_archE942ELNS1_3gpuE9ELNS1_3repE0EEENS1_38merge_mergepath_config_static_selectorELNS0_4arch9wavefront6targetE1EEEvSF_,@function
_ZN7rocprim17ROCPRIM_400000_NS6detail17trampoline_kernelINS0_14default_configENS1_38merge_sort_block_merge_config_selectorItNS0_10empty_typeEEEZZNS1_27merge_sort_block_merge_implIS3_PtPS5_jNS1_19radix_merge_compareILb0ELb0EtNS0_19identity_decomposerEEEEE10hipError_tT0_T1_T2_jT3_P12ihipStream_tbPNSt15iterator_traitsISE_E10value_typeEPNSK_ISF_E10value_typeEPSG_NS1_7vsmem_tEENKUlT_SE_SF_SG_E_clIS8_S8_S9_S9_EESD_ST_SE_SF_SG_EUlST_E0_NS1_11comp_targetILNS1_3genE5ELNS1_11target_archE942ELNS1_3gpuE9ELNS1_3repE0EEENS1_38merge_mergepath_config_static_selectorELNS0_4arch9wavefront6targetE1EEEvSF_: ; @_ZN7rocprim17ROCPRIM_400000_NS6detail17trampoline_kernelINS0_14default_configENS1_38merge_sort_block_merge_config_selectorItNS0_10empty_typeEEEZZNS1_27merge_sort_block_merge_implIS3_PtPS5_jNS1_19radix_merge_compareILb0ELb0EtNS0_19identity_decomposerEEEEE10hipError_tT0_T1_T2_jT3_P12ihipStream_tbPNSt15iterator_traitsISE_E10value_typeEPNSK_ISF_E10value_typeEPSG_NS1_7vsmem_tEENKUlT_SE_SF_SG_E_clIS8_S8_S9_S9_EESD_ST_SE_SF_SG_EUlST_E0_NS1_11comp_targetILNS1_3genE5ELNS1_11target_archE942ELNS1_3gpuE9ELNS1_3repE0EEENS1_38merge_mergepath_config_static_selectorELNS0_4arch9wavefront6targetE1EEEvSF_
; %bb.0:
	.section	.rodata,"a",@progbits
	.p2align	6, 0x0
	.amdhsa_kernel _ZN7rocprim17ROCPRIM_400000_NS6detail17trampoline_kernelINS0_14default_configENS1_38merge_sort_block_merge_config_selectorItNS0_10empty_typeEEEZZNS1_27merge_sort_block_merge_implIS3_PtPS5_jNS1_19radix_merge_compareILb0ELb0EtNS0_19identity_decomposerEEEEE10hipError_tT0_T1_T2_jT3_P12ihipStream_tbPNSt15iterator_traitsISE_E10value_typeEPNSK_ISF_E10value_typeEPSG_NS1_7vsmem_tEENKUlT_SE_SF_SG_E_clIS8_S8_S9_S9_EESD_ST_SE_SF_SG_EUlST_E0_NS1_11comp_targetILNS1_3genE5ELNS1_11target_archE942ELNS1_3gpuE9ELNS1_3repE0EEENS1_38merge_mergepath_config_static_selectorELNS0_4arch9wavefront6targetE1EEEvSF_
		.amdhsa_group_segment_fixed_size 0
		.amdhsa_private_segment_fixed_size 0
		.amdhsa_kernarg_size 64
		.amdhsa_user_sgpr_count 6
		.amdhsa_user_sgpr_private_segment_buffer 1
		.amdhsa_user_sgpr_dispatch_ptr 0
		.amdhsa_user_sgpr_queue_ptr 0
		.amdhsa_user_sgpr_kernarg_segment_ptr 1
		.amdhsa_user_sgpr_dispatch_id 0
		.amdhsa_user_sgpr_flat_scratch_init 0
		.amdhsa_user_sgpr_kernarg_preload_length 0
		.amdhsa_user_sgpr_kernarg_preload_offset 0
		.amdhsa_user_sgpr_private_segment_size 0
		.amdhsa_uses_dynamic_stack 0
		.amdhsa_system_sgpr_private_segment_wavefront_offset 0
		.amdhsa_system_sgpr_workgroup_id_x 1
		.amdhsa_system_sgpr_workgroup_id_y 0
		.amdhsa_system_sgpr_workgroup_id_z 0
		.amdhsa_system_sgpr_workgroup_info 0
		.amdhsa_system_vgpr_workitem_id 0
		.amdhsa_next_free_vgpr 1
		.amdhsa_next_free_sgpr 0
		.amdhsa_accum_offset 4
		.amdhsa_reserve_vcc 0
		.amdhsa_reserve_flat_scratch 0
		.amdhsa_float_round_mode_32 0
		.amdhsa_float_round_mode_16_64 0
		.amdhsa_float_denorm_mode_32 3
		.amdhsa_float_denorm_mode_16_64 3
		.amdhsa_dx10_clamp 1
		.amdhsa_ieee_mode 1
		.amdhsa_fp16_overflow 0
		.amdhsa_tg_split 0
		.amdhsa_exception_fp_ieee_invalid_op 0
		.amdhsa_exception_fp_denorm_src 0
		.amdhsa_exception_fp_ieee_div_zero 0
		.amdhsa_exception_fp_ieee_overflow 0
		.amdhsa_exception_fp_ieee_underflow 0
		.amdhsa_exception_fp_ieee_inexact 0
		.amdhsa_exception_int_div_zero 0
	.end_amdhsa_kernel
	.section	.text._ZN7rocprim17ROCPRIM_400000_NS6detail17trampoline_kernelINS0_14default_configENS1_38merge_sort_block_merge_config_selectorItNS0_10empty_typeEEEZZNS1_27merge_sort_block_merge_implIS3_PtPS5_jNS1_19radix_merge_compareILb0ELb0EtNS0_19identity_decomposerEEEEE10hipError_tT0_T1_T2_jT3_P12ihipStream_tbPNSt15iterator_traitsISE_E10value_typeEPNSK_ISF_E10value_typeEPSG_NS1_7vsmem_tEENKUlT_SE_SF_SG_E_clIS8_S8_S9_S9_EESD_ST_SE_SF_SG_EUlST_E0_NS1_11comp_targetILNS1_3genE5ELNS1_11target_archE942ELNS1_3gpuE9ELNS1_3repE0EEENS1_38merge_mergepath_config_static_selectorELNS0_4arch9wavefront6targetE1EEEvSF_,"axG",@progbits,_ZN7rocprim17ROCPRIM_400000_NS6detail17trampoline_kernelINS0_14default_configENS1_38merge_sort_block_merge_config_selectorItNS0_10empty_typeEEEZZNS1_27merge_sort_block_merge_implIS3_PtPS5_jNS1_19radix_merge_compareILb0ELb0EtNS0_19identity_decomposerEEEEE10hipError_tT0_T1_T2_jT3_P12ihipStream_tbPNSt15iterator_traitsISE_E10value_typeEPNSK_ISF_E10value_typeEPSG_NS1_7vsmem_tEENKUlT_SE_SF_SG_E_clIS8_S8_S9_S9_EESD_ST_SE_SF_SG_EUlST_E0_NS1_11comp_targetILNS1_3genE5ELNS1_11target_archE942ELNS1_3gpuE9ELNS1_3repE0EEENS1_38merge_mergepath_config_static_selectorELNS0_4arch9wavefront6targetE1EEEvSF_,comdat
.Lfunc_end476:
	.size	_ZN7rocprim17ROCPRIM_400000_NS6detail17trampoline_kernelINS0_14default_configENS1_38merge_sort_block_merge_config_selectorItNS0_10empty_typeEEEZZNS1_27merge_sort_block_merge_implIS3_PtPS5_jNS1_19radix_merge_compareILb0ELb0EtNS0_19identity_decomposerEEEEE10hipError_tT0_T1_T2_jT3_P12ihipStream_tbPNSt15iterator_traitsISE_E10value_typeEPNSK_ISF_E10value_typeEPSG_NS1_7vsmem_tEENKUlT_SE_SF_SG_E_clIS8_S8_S9_S9_EESD_ST_SE_SF_SG_EUlST_E0_NS1_11comp_targetILNS1_3genE5ELNS1_11target_archE942ELNS1_3gpuE9ELNS1_3repE0EEENS1_38merge_mergepath_config_static_selectorELNS0_4arch9wavefront6targetE1EEEvSF_, .Lfunc_end476-_ZN7rocprim17ROCPRIM_400000_NS6detail17trampoline_kernelINS0_14default_configENS1_38merge_sort_block_merge_config_selectorItNS0_10empty_typeEEEZZNS1_27merge_sort_block_merge_implIS3_PtPS5_jNS1_19radix_merge_compareILb0ELb0EtNS0_19identity_decomposerEEEEE10hipError_tT0_T1_T2_jT3_P12ihipStream_tbPNSt15iterator_traitsISE_E10value_typeEPNSK_ISF_E10value_typeEPSG_NS1_7vsmem_tEENKUlT_SE_SF_SG_E_clIS8_S8_S9_S9_EESD_ST_SE_SF_SG_EUlST_E0_NS1_11comp_targetILNS1_3genE5ELNS1_11target_archE942ELNS1_3gpuE9ELNS1_3repE0EEENS1_38merge_mergepath_config_static_selectorELNS0_4arch9wavefront6targetE1EEEvSF_
                                        ; -- End function
	.section	.AMDGPU.csdata,"",@progbits
; Kernel info:
; codeLenInByte = 0
; NumSgprs: 4
; NumVgprs: 0
; NumAgprs: 0
; TotalNumVgprs: 0
; ScratchSize: 0
; MemoryBound: 0
; FloatMode: 240
; IeeeMode: 1
; LDSByteSize: 0 bytes/workgroup (compile time only)
; SGPRBlocks: 0
; VGPRBlocks: 0
; NumSGPRsForWavesPerEU: 4
; NumVGPRsForWavesPerEU: 1
; AccumOffset: 4
; Occupancy: 8
; WaveLimiterHint : 0
; COMPUTE_PGM_RSRC2:SCRATCH_EN: 0
; COMPUTE_PGM_RSRC2:USER_SGPR: 6
; COMPUTE_PGM_RSRC2:TRAP_HANDLER: 0
; COMPUTE_PGM_RSRC2:TGID_X_EN: 1
; COMPUTE_PGM_RSRC2:TGID_Y_EN: 0
; COMPUTE_PGM_RSRC2:TGID_Z_EN: 0
; COMPUTE_PGM_RSRC2:TIDIG_COMP_CNT: 0
; COMPUTE_PGM_RSRC3_GFX90A:ACCUM_OFFSET: 0
; COMPUTE_PGM_RSRC3_GFX90A:TG_SPLIT: 0
	.section	.text._ZN7rocprim17ROCPRIM_400000_NS6detail17trampoline_kernelINS0_14default_configENS1_38merge_sort_block_merge_config_selectorItNS0_10empty_typeEEEZZNS1_27merge_sort_block_merge_implIS3_PtPS5_jNS1_19radix_merge_compareILb0ELb0EtNS0_19identity_decomposerEEEEE10hipError_tT0_T1_T2_jT3_P12ihipStream_tbPNSt15iterator_traitsISE_E10value_typeEPNSK_ISF_E10value_typeEPSG_NS1_7vsmem_tEENKUlT_SE_SF_SG_E_clIS8_S8_S9_S9_EESD_ST_SE_SF_SG_EUlST_E0_NS1_11comp_targetILNS1_3genE4ELNS1_11target_archE910ELNS1_3gpuE8ELNS1_3repE0EEENS1_38merge_mergepath_config_static_selectorELNS0_4arch9wavefront6targetE1EEEvSF_,"axG",@progbits,_ZN7rocprim17ROCPRIM_400000_NS6detail17trampoline_kernelINS0_14default_configENS1_38merge_sort_block_merge_config_selectorItNS0_10empty_typeEEEZZNS1_27merge_sort_block_merge_implIS3_PtPS5_jNS1_19radix_merge_compareILb0ELb0EtNS0_19identity_decomposerEEEEE10hipError_tT0_T1_T2_jT3_P12ihipStream_tbPNSt15iterator_traitsISE_E10value_typeEPNSK_ISF_E10value_typeEPSG_NS1_7vsmem_tEENKUlT_SE_SF_SG_E_clIS8_S8_S9_S9_EESD_ST_SE_SF_SG_EUlST_E0_NS1_11comp_targetILNS1_3genE4ELNS1_11target_archE910ELNS1_3gpuE8ELNS1_3repE0EEENS1_38merge_mergepath_config_static_selectorELNS0_4arch9wavefront6targetE1EEEvSF_,comdat
	.protected	_ZN7rocprim17ROCPRIM_400000_NS6detail17trampoline_kernelINS0_14default_configENS1_38merge_sort_block_merge_config_selectorItNS0_10empty_typeEEEZZNS1_27merge_sort_block_merge_implIS3_PtPS5_jNS1_19radix_merge_compareILb0ELb0EtNS0_19identity_decomposerEEEEE10hipError_tT0_T1_T2_jT3_P12ihipStream_tbPNSt15iterator_traitsISE_E10value_typeEPNSK_ISF_E10value_typeEPSG_NS1_7vsmem_tEENKUlT_SE_SF_SG_E_clIS8_S8_S9_S9_EESD_ST_SE_SF_SG_EUlST_E0_NS1_11comp_targetILNS1_3genE4ELNS1_11target_archE910ELNS1_3gpuE8ELNS1_3repE0EEENS1_38merge_mergepath_config_static_selectorELNS0_4arch9wavefront6targetE1EEEvSF_ ; -- Begin function _ZN7rocprim17ROCPRIM_400000_NS6detail17trampoline_kernelINS0_14default_configENS1_38merge_sort_block_merge_config_selectorItNS0_10empty_typeEEEZZNS1_27merge_sort_block_merge_implIS3_PtPS5_jNS1_19radix_merge_compareILb0ELb0EtNS0_19identity_decomposerEEEEE10hipError_tT0_T1_T2_jT3_P12ihipStream_tbPNSt15iterator_traitsISE_E10value_typeEPNSK_ISF_E10value_typeEPSG_NS1_7vsmem_tEENKUlT_SE_SF_SG_E_clIS8_S8_S9_S9_EESD_ST_SE_SF_SG_EUlST_E0_NS1_11comp_targetILNS1_3genE4ELNS1_11target_archE910ELNS1_3gpuE8ELNS1_3repE0EEENS1_38merge_mergepath_config_static_selectorELNS0_4arch9wavefront6targetE1EEEvSF_
	.globl	_ZN7rocprim17ROCPRIM_400000_NS6detail17trampoline_kernelINS0_14default_configENS1_38merge_sort_block_merge_config_selectorItNS0_10empty_typeEEEZZNS1_27merge_sort_block_merge_implIS3_PtPS5_jNS1_19radix_merge_compareILb0ELb0EtNS0_19identity_decomposerEEEEE10hipError_tT0_T1_T2_jT3_P12ihipStream_tbPNSt15iterator_traitsISE_E10value_typeEPNSK_ISF_E10value_typeEPSG_NS1_7vsmem_tEENKUlT_SE_SF_SG_E_clIS8_S8_S9_S9_EESD_ST_SE_SF_SG_EUlST_E0_NS1_11comp_targetILNS1_3genE4ELNS1_11target_archE910ELNS1_3gpuE8ELNS1_3repE0EEENS1_38merge_mergepath_config_static_selectorELNS0_4arch9wavefront6targetE1EEEvSF_
	.p2align	8
	.type	_ZN7rocprim17ROCPRIM_400000_NS6detail17trampoline_kernelINS0_14default_configENS1_38merge_sort_block_merge_config_selectorItNS0_10empty_typeEEEZZNS1_27merge_sort_block_merge_implIS3_PtPS5_jNS1_19radix_merge_compareILb0ELb0EtNS0_19identity_decomposerEEEEE10hipError_tT0_T1_T2_jT3_P12ihipStream_tbPNSt15iterator_traitsISE_E10value_typeEPNSK_ISF_E10value_typeEPSG_NS1_7vsmem_tEENKUlT_SE_SF_SG_E_clIS8_S8_S9_S9_EESD_ST_SE_SF_SG_EUlST_E0_NS1_11comp_targetILNS1_3genE4ELNS1_11target_archE910ELNS1_3gpuE8ELNS1_3repE0EEENS1_38merge_mergepath_config_static_selectorELNS0_4arch9wavefront6targetE1EEEvSF_,@function
_ZN7rocprim17ROCPRIM_400000_NS6detail17trampoline_kernelINS0_14default_configENS1_38merge_sort_block_merge_config_selectorItNS0_10empty_typeEEEZZNS1_27merge_sort_block_merge_implIS3_PtPS5_jNS1_19radix_merge_compareILb0ELb0EtNS0_19identity_decomposerEEEEE10hipError_tT0_T1_T2_jT3_P12ihipStream_tbPNSt15iterator_traitsISE_E10value_typeEPNSK_ISF_E10value_typeEPSG_NS1_7vsmem_tEENKUlT_SE_SF_SG_E_clIS8_S8_S9_S9_EESD_ST_SE_SF_SG_EUlST_E0_NS1_11comp_targetILNS1_3genE4ELNS1_11target_archE910ELNS1_3gpuE8ELNS1_3repE0EEENS1_38merge_mergepath_config_static_selectorELNS0_4arch9wavefront6targetE1EEEvSF_: ; @_ZN7rocprim17ROCPRIM_400000_NS6detail17trampoline_kernelINS0_14default_configENS1_38merge_sort_block_merge_config_selectorItNS0_10empty_typeEEEZZNS1_27merge_sort_block_merge_implIS3_PtPS5_jNS1_19radix_merge_compareILb0ELb0EtNS0_19identity_decomposerEEEEE10hipError_tT0_T1_T2_jT3_P12ihipStream_tbPNSt15iterator_traitsISE_E10value_typeEPNSK_ISF_E10value_typeEPSG_NS1_7vsmem_tEENKUlT_SE_SF_SG_E_clIS8_S8_S9_S9_EESD_ST_SE_SF_SG_EUlST_E0_NS1_11comp_targetILNS1_3genE4ELNS1_11target_archE910ELNS1_3gpuE8ELNS1_3repE0EEENS1_38merge_mergepath_config_static_selectorELNS0_4arch9wavefront6targetE1EEEvSF_
; %bb.0:
	s_load_dwordx2 s[10:11], s[4:5], 0x40
	s_load_dword s3, s[4:5], 0x30
	s_add_u32 s0, s4, 64
	s_addc_u32 s1, s5, 0
	s_waitcnt lgkmcnt(0)
	s_mul_i32 s2, s11, s8
	s_add_i32 s2, s2, s7
	s_mul_i32 s2, s2, s10
	s_add_i32 s2, s2, s6
	s_cmp_ge_u32 s2, s3
	s_cbranch_scc1 .LBB477_43
; %bb.1:
	s_load_dwordx2 s[14:15], s[4:5], 0x28
	s_load_dwordx2 s[8:9], s[4:5], 0x38
	;; [unrolled: 1-line block ×3, first 2 shown]
	s_mov_b32 s3, 0
	s_mov_b32 s23, s3
	s_waitcnt lgkmcnt(0)
	s_lshr_b32 s17, s14, 10
	s_cmp_lg_u32 s2, s17
	s_cselect_b64 s[18:19], -1, 0
	s_lshl_b64 s[12:13], s[2:3], 2
	s_add_u32 s8, s8, s12
	s_addc_u32 s9, s9, s13
	s_lshr_b32 s7, s15, 9
	s_and_b32 s7, s7, 0x7ffffe
	s_load_dwordx2 s[8:9], s[8:9], 0x0
	s_sub_i32 s7, 0, s7
	s_and_b32 s11, s2, s7
	s_lshl_b32 s12, s11, 10
	s_lshl_b32 s16, s2, 10
	;; [unrolled: 1-line block ×3, first 2 shown]
	s_sub_i32 s13, s16, s12
	s_add_i32 s11, s11, s15
	s_add_i32 s13, s11, s13
	s_waitcnt lgkmcnt(0)
	s_sub_i32 s22, s13, s8
	s_sub_i32 s13, s13, s9
	;; [unrolled: 1-line block ×3, first 2 shown]
	s_min_u32 s22, s14, s22
	s_addk_i32 s13, 0x400
	s_or_b32 s7, s2, s7
	s_min_u32 s12, s14, s11
	s_add_i32 s11, s11, s15
	s_cmp_eq_u32 s7, -1
	s_cselect_b32 s7, s11, s13
	s_cselect_b32 s9, s12, s9
	s_min_u32 s7, s7, s14
	s_sub_i32 s15, s9, s8
	s_mov_b32 s9, s3
	s_sub_i32 s7, s7, s22
	s_lshl_b64 s[8:9], s[8:9], 1
	s_add_u32 s11, s20, s8
	s_addc_u32 s12, s21, s9
	s_lshl_b64 s[8:9], s[22:23], 1
	s_add_u32 s8, s20, s8
	s_addc_u32 s9, s21, s9
	s_cmp_lt_u32 s6, s10
	v_mov_b32_e32 v3, 0
	s_cselect_b32 s3, 12, 18
	global_load_dword v1, v3, s[0:1] offset:14
	s_add_u32 s0, s0, s3
	s_addc_u32 s1, s1, 0
	global_load_ushort v2, v3, s[0:1]
	s_cmp_eq_u32 s2, s17
	s_waitcnt vmcnt(1)
	v_lshrrev_b32_e32 v4, 16, v1
	v_and_b32_e32 v1, 0xffff, v1
	v_mul_lo_u32 v1, v1, v4
	s_waitcnt vmcnt(0)
	v_mul_lo_u32 v10, v1, v2
	v_add_u32_e32 v8, v10, v0
	v_lshlrev_b32_e32 v1, 1, v0
	v_add_u32_e32 v6, v8, v10
	s_cbranch_scc1 .LBB477_3
; %bb.2:
	v_mov_b32_e32 v2, s12
	v_add_co_u32_e32 v7, vcc, s11, v1
	v_addc_co_u32_e32 v9, vcc, 0, v2, vcc
	v_subrev_u32_e32 v2, s15, v0
	v_lshlrev_b64 v[4:5], 1, v[2:3]
	v_mov_b32_e32 v2, s9
	v_add_co_u32_e32 v4, vcc, s8, v4
	v_addc_co_u32_e32 v2, vcc, v2, v5, vcc
	v_cmp_gt_u32_e32 vcc, s15, v0
	v_cndmask_b32_e32 v5, v2, v9, vcc
	v_cndmask_b32_e32 v4, v4, v7, vcc
	v_mov_b32_e32 v9, v3
	global_load_ushort v11, v[4:5], off
	v_lshlrev_b64 v[4:5], 1, v[8:9]
	v_mov_b32_e32 v2, s12
	v_add_co_u32_e32 v7, vcc, s11, v4
	v_addc_co_u32_e32 v9, vcc, v2, v5, vcc
	v_subrev_u32_e32 v2, s15, v8
	v_lshlrev_b64 v[4:5], 1, v[2:3]
	v_mov_b32_e32 v2, s9
	v_add_co_u32_e32 v4, vcc, s8, v4
	v_addc_co_u32_e32 v2, vcc, v2, v5, vcc
	v_cmp_gt_u32_e32 vcc, s15, v8
	v_cndmask_b32_e32 v5, v2, v9, vcc
	v_cndmask_b32_e32 v4, v4, v7, vcc
	v_mov_b32_e32 v7, v3
	global_load_ushort v9, v[4:5], off
	v_lshlrev_b64 v[4:5], 1, v[6:7]
	v_mov_b32_e32 v2, s12
	v_add_co_u32_e32 v7, vcc, s11, v4
	v_addc_co_u32_e32 v12, vcc, v2, v5, vcc
	v_subrev_u32_e32 v2, s15, v6
	v_lshlrev_b64 v[4:5], 1, v[2:3]
	v_mov_b32_e32 v2, s9
	v_add_co_u32_e32 v4, vcc, s8, v4
	v_addc_co_u32_e32 v2, vcc, v2, v5, vcc
	v_cmp_gt_u32_e32 vcc, s15, v6
	v_cndmask_b32_e32 v5, v2, v12, vcc
	v_cndmask_b32_e32 v4, v4, v7, vcc
	v_add_u32_e32 v2, v6, v10
	global_load_ushort v7, v[4:5], off
	v_lshlrev_b64 v[4:5], 1, v[2:3]
	v_mov_b32_e32 v12, s12
	v_add_co_u32_e32 v13, vcc, s11, v4
	v_addc_co_u32_e32 v12, vcc, v12, v5, vcc
	v_subrev_u32_e32 v4, s15, v2
	v_mov_b32_e32 v5, v3
	v_lshlrev_b64 v[4:5], 1, v[4:5]
	v_mov_b32_e32 v14, s9
	v_add_co_u32_e32 v4, vcc, s8, v4
	v_addc_co_u32_e32 v5, vcc, v14, v5, vcc
	v_cmp_gt_u32_e32 vcc, s15, v2
	v_cndmask_b32_e32 v5, v5, v12, vcc
	v_cndmask_b32_e32 v4, v4, v13, vcc
	v_add_u32_e32 v2, v2, v10
	global_load_ushort v12, v[4:5], off
	v_lshlrev_b64 v[4:5], 1, v[2:3]
	v_mov_b32_e32 v13, s12
	v_add_co_u32_e32 v14, vcc, s11, v4
	v_addc_co_u32_e32 v13, vcc, v13, v5, vcc
	v_subrev_u32_e32 v4, s15, v2
	v_mov_b32_e32 v5, v3
	;; [unrolled: 15-line block ×4, first 2 shown]
	v_lshlrev_b64 v[4:5], 1, v[4:5]
	v_mov_b32_e32 v17, s9
	v_add_co_u32_e32 v4, vcc, s8, v4
	v_addc_co_u32_e32 v5, vcc, v17, v5, vcc
	v_cmp_gt_u32_e32 vcc, s15, v2
	v_cndmask_b32_e32 v5, v5, v15, vcc
	v_cndmask_b32_e32 v4, v4, v16, vcc
	v_add_u32_e32 v2, v2, v10
	global_load_ushort v15, v[4:5], off
	v_lshlrev_b64 v[4:5], 1, v[2:3]
	v_mov_b32_e32 v16, s12
	v_add_co_u32_e32 v4, vcc, s11, v4
	v_addc_co_u32_e32 v5, vcc, v16, v5, vcc
	v_cmp_gt_u32_e32 vcc, s15, v2
	v_subrev_u32_e32 v2, s15, v2
	v_lshlrev_b64 v[2:3], 1, v[2:3]
	v_mov_b32_e32 v16, s9
	v_add_co_u32_e64 v2, s[0:1], s8, v2
	v_addc_co_u32_e64 v3, s[0:1], v16, v3, s[0:1]
	v_cndmask_b32_e32 v3, v3, v5, vcc
	v_cndmask_b32_e32 v2, v2, v4, vcc
	global_load_ushort v5, v[2:3], off
	s_mov_b32 s0, 0x5040100
	s_waitcnt vmcnt(6)
	v_perm_b32 v2, v9, v11, s0
	s_add_i32 s17, s7, s15
	s_waitcnt vmcnt(4)
	v_perm_b32 v3, v12, v7, s0
	s_waitcnt vmcnt(2)
	v_perm_b32 v4, v14, v13, s0
	;; [unrolled: 2-line block ×3, first 2 shown]
	s_load_dwordx2 s[20:21], s[4:5], 0x10
	s_cbranch_execz .LBB477_4
	s_branch .LBB477_19
.LBB477_3:
                                        ; implicit-def: $vgpr2_vgpr3_vgpr4_vgpr5
                                        ; implicit-def: $sgpr17
	s_load_dwordx2 s[20:21], s[4:5], 0x10
.LBB477_4:
	s_add_i32 s17, s7, s15
	v_cmp_gt_u32_e32 vcc, s17, v0
                                        ; implicit-def: $vgpr2_vgpr3_vgpr4_vgpr5
	s_and_saveexec_b64 s[0:1], vcc
	s_cbranch_execnz .LBB477_44
; %bb.5:
	s_or_b64 exec, exec, s[0:1]
	v_cmp_gt_u32_e32 vcc, s17, v8
	s_and_saveexec_b64 s[2:3], vcc
	s_cbranch_execnz .LBB477_45
.LBB477_6:
	s_or_b64 exec, exec, s[2:3]
	v_cmp_gt_u32_e32 vcc, s17, v6
	s_and_saveexec_b64 s[0:1], vcc
	s_cbranch_execz .LBB477_8
.LBB477_7:
	v_mov_b32_e32 v7, 0
	v_lshlrev_b64 v[8:9], 1, v[6:7]
	v_mov_b32_e32 v11, s12
	v_add_co_u32_e32 v12, vcc, s11, v8
	v_addc_co_u32_e32 v11, vcc, v11, v9, vcc
	v_subrev_u32_e32 v8, s15, v6
	v_mov_b32_e32 v9, v7
	v_lshlrev_b64 v[8:9], 1, v[8:9]
	v_mov_b32_e32 v7, s9
	v_add_co_u32_e32 v8, vcc, s8, v8
	v_addc_co_u32_e32 v7, vcc, v7, v9, vcc
	v_cmp_gt_u32_e32 vcc, s15, v6
	v_cndmask_b32_e32 v9, v7, v11, vcc
	v_cndmask_b32_e32 v8, v8, v12, vcc
	global_load_ushort v7, v[8:9], off
	s_mov_b32 s2, 0xffff
	s_waitcnt vmcnt(0)
	v_bfi_b32 v3, s2, v7, v3
.LBB477_8:
	s_or_b64 exec, exec, s[0:1]
	v_add_u32_e32 v6, v6, v10
	v_cmp_gt_u32_e32 vcc, s17, v6
	s_and_saveexec_b64 s[0:1], vcc
	s_cbranch_execz .LBB477_10
; %bb.9:
	v_mov_b32_e32 v7, 0
	v_lshlrev_b64 v[8:9], 1, v[6:7]
	v_mov_b32_e32 v11, s12
	v_add_co_u32_e32 v12, vcc, s11, v8
	v_addc_co_u32_e32 v11, vcc, v11, v9, vcc
	v_subrev_u32_e32 v8, s15, v6
	v_mov_b32_e32 v9, v7
	v_lshlrev_b64 v[8:9], 1, v[8:9]
	v_mov_b32_e32 v7, s9
	v_add_co_u32_e32 v8, vcc, s8, v8
	v_addc_co_u32_e32 v7, vcc, v7, v9, vcc
	v_cmp_gt_u32_e32 vcc, s15, v6
	v_cndmask_b32_e32 v9, v7, v11, vcc
	v_cndmask_b32_e32 v8, v8, v12, vcc
	global_load_ushort v7, v[8:9], off
	s_mov_b32 s2, 0x5040100
	s_waitcnt vmcnt(0)
	v_perm_b32 v3, v7, v3, s2
.LBB477_10:
	s_or_b64 exec, exec, s[0:1]
	v_add_u32_e32 v6, v6, v10
	v_cmp_gt_u32_e32 vcc, s17, v6
	s_and_saveexec_b64 s[0:1], vcc
	s_cbranch_execz .LBB477_12
; %bb.11:
	v_mov_b32_e32 v7, 0
	v_lshlrev_b64 v[8:9], 1, v[6:7]
	v_mov_b32_e32 v11, s12
	v_add_co_u32_e32 v12, vcc, s11, v8
	v_addc_co_u32_e32 v11, vcc, v11, v9, vcc
	v_subrev_u32_e32 v8, s15, v6
	v_mov_b32_e32 v9, v7
	v_lshlrev_b64 v[8:9], 1, v[8:9]
	v_mov_b32_e32 v7, s9
	v_add_co_u32_e32 v8, vcc, s8, v8
	v_addc_co_u32_e32 v7, vcc, v7, v9, vcc
	v_cmp_gt_u32_e32 vcc, s15, v6
	v_cndmask_b32_e32 v9, v7, v11, vcc
	v_cndmask_b32_e32 v8, v8, v12, vcc
	global_load_ushort v7, v[8:9], off
	s_mov_b32 s2, 0xffff
	s_waitcnt vmcnt(0)
	v_bfi_b32 v4, s2, v7, v4
.LBB477_12:
	s_or_b64 exec, exec, s[0:1]
	v_add_u32_e32 v6, v6, v10
	v_cmp_gt_u32_e32 vcc, s17, v6
	s_and_saveexec_b64 s[0:1], vcc
	s_cbranch_execz .LBB477_14
; %bb.13:
	v_mov_b32_e32 v7, 0
	v_lshlrev_b64 v[8:9], 1, v[6:7]
	v_mov_b32_e32 v11, s12
	v_add_co_u32_e32 v12, vcc, s11, v8
	v_addc_co_u32_e32 v11, vcc, v11, v9, vcc
	v_subrev_u32_e32 v8, s15, v6
	v_mov_b32_e32 v9, v7
	v_lshlrev_b64 v[8:9], 1, v[8:9]
	v_mov_b32_e32 v7, s9
	v_add_co_u32_e32 v8, vcc, s8, v8
	v_addc_co_u32_e32 v7, vcc, v7, v9, vcc
	v_cmp_gt_u32_e32 vcc, s15, v6
	v_cndmask_b32_e32 v9, v7, v11, vcc
	v_cndmask_b32_e32 v8, v8, v12, vcc
	global_load_ushort v7, v[8:9], off
	s_mov_b32 s2, 0x5040100
	s_waitcnt vmcnt(0)
	v_perm_b32 v4, v7, v4, s2
.LBB477_14:
	s_or_b64 exec, exec, s[0:1]
	v_add_u32_e32 v6, v6, v10
	v_cmp_gt_u32_e32 vcc, s17, v6
	s_and_saveexec_b64 s[0:1], vcc
	s_cbranch_execz .LBB477_16
; %bb.15:
	v_mov_b32_e32 v7, 0
	v_lshlrev_b64 v[8:9], 1, v[6:7]
	v_mov_b32_e32 v11, s12
	v_add_co_u32_e32 v12, vcc, s11, v8
	v_addc_co_u32_e32 v11, vcc, v11, v9, vcc
	v_subrev_u32_e32 v8, s15, v6
	v_mov_b32_e32 v9, v7
	v_lshlrev_b64 v[8:9], 1, v[8:9]
	v_mov_b32_e32 v7, s9
	v_add_co_u32_e32 v8, vcc, s8, v8
	v_addc_co_u32_e32 v7, vcc, v7, v9, vcc
	v_cmp_gt_u32_e32 vcc, s15, v6
	v_cndmask_b32_e32 v9, v7, v11, vcc
	v_cndmask_b32_e32 v8, v8, v12, vcc
	global_load_ushort v7, v[8:9], off
	s_mov_b32 s2, 0xffff
	s_waitcnt vmcnt(0)
	v_bfi_b32 v5, s2, v7, v5
.LBB477_16:
	s_or_b64 exec, exec, s[0:1]
	v_add_u32_e32 v6, v6, v10
	v_cmp_gt_u32_e32 vcc, s17, v6
	s_and_saveexec_b64 s[2:3], vcc
	s_cbranch_execz .LBB477_18
; %bb.17:
	v_mov_b32_e32 v7, 0
	v_lshlrev_b64 v[8:9], 1, v[6:7]
	v_mov_b32_e32 v10, s12
	v_add_co_u32_e32 v8, vcc, s11, v8
	v_addc_co_u32_e32 v9, vcc, v10, v9, vcc
	v_cmp_gt_u32_e32 vcc, s15, v6
	v_subrev_u32_e32 v6, s15, v6
	v_lshlrev_b64 v[6:7], 1, v[6:7]
	v_mov_b32_e32 v10, s9
	v_add_co_u32_e64 v6, s[0:1], s8, v6
	v_addc_co_u32_e64 v7, s[0:1], v10, v7, s[0:1]
	v_cndmask_b32_e32 v7, v7, v9, vcc
	v_cndmask_b32_e32 v6, v6, v8, vcc
	global_load_ushort v6, v[6:7], off
	s_mov_b32 s0, 0x5040100
	s_waitcnt vmcnt(0)
	v_perm_b32 v5, v6, v5, s0
.LBB477_18:
	s_or_b64 exec, exec, s[2:3]
.LBB477_19:
	v_lshlrev_b32_e32 v6, 3, v0
	v_min_u32_e32 v12, s17, v6
	v_sub_u32_e64 v11, v12, s7 clamp
	v_min_u32_e32 v13, s15, v12
	s_waitcnt vmcnt(0)
	v_lshrrev_b32_e32 v7, 16, v2
	v_lshrrev_b32_e32 v8, 16, v3
	;; [unrolled: 1-line block ×4, first 2 shown]
	v_cmp_lt_u32_e32 vcc, v11, v13
	ds_write_b16 v1, v2
	ds_write_b16 v1, v7 offset:256
	ds_write_b16 v1, v3 offset:512
	;; [unrolled: 1-line block ×7, first 2 shown]
	s_waitcnt lgkmcnt(0)
	s_barrier
	s_and_saveexec_b64 s[0:1], vcc
	s_cbranch_execz .LBB477_23
; %bb.20:
	v_lshlrev_b32_e32 v14, 1, v12
	v_lshl_add_u32 v14, s15, 1, v14
	s_mov_b64 s[2:3], 0
.LBB477_21:                             ; =>This Inner Loop Header: Depth=1
	v_add_u32_e32 v15, v13, v11
	v_lshrrev_b32_e32 v16, 1, v15
	v_not_b32_e32 v17, v16
	v_and_b32_e32 v15, -2, v15
	v_lshl_add_u32 v17, v17, 1, v14
	ds_read_u16 v15, v15
	ds_read_u16 v17, v17
	v_add_u32_e32 v18, 1, v16
	s_waitcnt lgkmcnt(0)
	v_cmp_gt_u16_e32 vcc, v15, v17
	v_cndmask_b32_e32 v13, v13, v16, vcc
	v_cndmask_b32_e32 v11, v18, v11, vcc
	v_cmp_ge_u32_e32 vcc, v11, v13
	s_or_b64 s[2:3], vcc, s[2:3]
	s_andn2_b64 exec, exec, s[2:3]
	s_cbranch_execnz .LBB477_21
; %bb.22:
	s_or_b64 exec, exec, s[2:3]
.LBB477_23:
	s_or_b64 exec, exec, s[0:1]
	v_sub_u32_e32 v12, v12, v11
	v_add_u32_e32 v12, s15, v12
	v_cmp_ge_u32_e32 vcc, s15, v11
	v_cmp_ge_u32_e64 s[0:1], s17, v12
	s_or_b64 s[0:1], vcc, s[0:1]
	s_and_saveexec_b64 s[22:23], s[0:1]
	s_cbranch_execz .LBB477_29
; %bb.24:
	v_cmp_gt_u32_e32 vcc, s15, v11
                                        ; implicit-def: $vgpr2
	s_and_saveexec_b64 s[0:1], vcc
	s_cbranch_execz .LBB477_26
; %bb.25:
	v_lshlrev_b32_e32 v2, 1, v11
	ds_read_u16 v2, v2
.LBB477_26:
	s_or_b64 exec, exec, s[0:1]
	v_cmp_le_u32_e64 s[0:1], s17, v12
	v_cmp_gt_u32_e64 s[2:3], s17, v12
                                        ; implicit-def: $vgpr3
	s_and_saveexec_b64 s[4:5], s[2:3]
	s_cbranch_execz .LBB477_28
; %bb.27:
	v_lshlrev_b32_e32 v3, 1, v12
	ds_read_u16 v3, v3
.LBB477_28:
	s_or_b64 exec, exec, s[4:5]
	s_waitcnt lgkmcnt(0)
	v_cmp_le_u16_e64 s[2:3], v2, v3
	s_and_b64 s[2:3], vcc, s[2:3]
	s_or_b64 vcc, s[0:1], s[2:3]
	v_mov_b32_e32 v5, s17
	v_mov_b32_e32 v8, s15
	v_cndmask_b32_e32 v4, v12, v11, vcc
	v_cndmask_b32_e32 v7, v5, v8, vcc
	v_add_u32_e32 v4, 1, v4
	v_add_u32_e32 v7, -1, v7
	v_min_u32_e32 v7, v4, v7
	v_lshlrev_b32_e32 v7, 1, v7
	ds_read_u16 v7, v7
	v_cndmask_b32_e32 v10, v4, v12, vcc
	v_cndmask_b32_e32 v4, v11, v4, vcc
	v_cmp_gt_u32_e64 s[2:3], s15, v4
	v_cmp_le_u32_e64 s[0:1], s17, v10
	s_waitcnt lgkmcnt(0)
	v_cndmask_b32_e32 v9, v7, v3, vcc
	v_cndmask_b32_e32 v7, v2, v7, vcc
	v_cmp_le_u16_e64 s[4:5], v7, v9
	s_and_b64 s[2:3], s[2:3], s[4:5]
	s_or_b64 s[0:1], s[0:1], s[2:3]
	v_cndmask_b32_e64 v11, v10, v4, s[0:1]
	v_cndmask_b32_e64 v12, v5, v8, s[0:1]
	v_add_u32_e32 v11, 1, v11
	v_add_u32_e32 v12, -1, v12
	v_min_u32_e32 v12, v11, v12
	v_lshlrev_b32_e32 v12, 1, v12
	ds_read_u16 v12, v12
	v_cndmask_b32_e64 v4, v4, v11, s[0:1]
	v_cndmask_b32_e64 v10, v11, v10, s[0:1]
	v_cmp_gt_u32_e64 s[4:5], s15, v4
	v_cmp_le_u32_e64 s[2:3], s17, v10
	s_waitcnt lgkmcnt(0)
	v_cndmask_b32_e64 v13, v12, v9, s[0:1]
	v_cndmask_b32_e64 v12, v7, v12, s[0:1]
	v_cmp_le_u16_e64 s[6:7], v12, v13
	s_and_b64 s[4:5], s[4:5], s[6:7]
	s_or_b64 s[2:3], s[2:3], s[4:5]
	v_cndmask_b32_e64 v11, v10, v4, s[2:3]
	v_cndmask_b32_e64 v14, v5, v8, s[2:3]
	v_add_u32_e32 v11, 1, v11
	v_add_u32_e32 v14, -1, v14
	v_min_u32_e32 v14, v11, v14
	v_lshlrev_b32_e32 v14, 1, v14
	ds_read_u16 v14, v14
	v_cndmask_b32_e64 v4, v4, v11, s[2:3]
	v_cndmask_b32_e64 v10, v11, v10, s[2:3]
	v_cmp_gt_u32_e64 s[6:7], s15, v4
	v_cmp_le_u32_e64 s[4:5], s17, v10
	s_waitcnt lgkmcnt(0)
	v_cndmask_b32_e64 v15, v14, v13, s[2:3]
	v_cndmask_b32_e64 v14, v12, v14, s[2:3]
	;; [unrolled: 17-line block ×4, first 2 shown]
	v_cmp_le_u16_e64 s[12:13], v18, v19
	s_and_b64 s[10:11], s[10:11], s[12:13]
	s_or_b64 s[8:9], s[8:9], s[10:11]
	v_cndmask_b32_e64 v11, v10, v4, s[8:9]
	v_cndmask_b32_e64 v20, v5, v8, s[8:9]
	v_add_u32_e32 v11, 1, v11
	v_add_u32_e32 v20, -1, v20
	v_min_u32_e32 v20, v11, v20
	v_lshlrev_b32_e32 v20, 1, v20
	ds_read_u16 v20, v20
	v_cndmask_b32_e32 v2, v3, v2, vcc
	v_cndmask_b32_e64 v3, v13, v12, s[2:3]
	v_cndmask_b32_e64 v10, v11, v10, s[8:9]
	;; [unrolled: 1-line block ×3, first 2 shown]
	s_waitcnt lgkmcnt(0)
	v_cndmask_b32_e64 v12, v20, v19, s[8:9]
	v_cndmask_b32_e64 v13, v18, v20, s[8:9]
	;; [unrolled: 1-line block ×3, first 2 shown]
	v_cmp_gt_u32_e64 s[0:1], s15, v11
	v_cmp_le_u16_e64 s[2:3], v13, v12
	v_cmp_le_u32_e32 vcc, s17, v10
	s_and_b64 s[0:1], s[0:1], s[2:3]
	s_or_b64 vcc, vcc, s[0:1]
	v_cndmask_b32_e32 v4, v10, v11, vcc
	v_cndmask_b32_e32 v5, v5, v8, vcc
	v_add_u32_e32 v20, 1, v4
	v_add_u32_e32 v4, -1, v5
	v_min_u32_e32 v4, v20, v4
	v_lshlrev_b32_e32 v4, 1, v4
	ds_read_u16 v21, v4
	v_cndmask_b32_e32 v5, v12, v13, vcc
	v_cndmask_b32_e32 v11, v11, v20, vcc
	;; [unrolled: 1-line block ×3, first 2 shown]
	v_cmp_gt_u32_e64 s[0:1], s15, v11
	s_waitcnt lgkmcnt(0)
	v_cndmask_b32_e32 v12, v21, v12, vcc
	v_cndmask_b32_e32 v13, v13, v21, vcc
	v_cmp_le_u16_e64 s[2:3], v13, v12
	v_cmp_le_u32_e32 vcc, s17, v10
	s_and_b64 s[0:1], s[0:1], s[2:3]
	s_or_b64 vcc, vcc, s[0:1]
	v_cndmask_b32_e64 v8, v15, v14, s[4:5]
	v_cndmask_b32_e64 v4, v17, v16, s[6:7]
	;; [unrolled: 1-line block ×3, first 2 shown]
	v_cndmask_b32_e32 v10, v12, v13, vcc
.LBB477_29:
	s_or_b64 exec, exec, s[22:23]
	v_lshrrev_b32_e32 v11, 2, v0
	v_and_b32_e32 v11, 30, v11
	s_mov_b32 s2, 0x5040100
	v_add_lshl_u32 v6, v11, v6, 1
	v_perm_b32 v3, v8, v3, s2
	v_perm_b32 v2, v7, v2, s2
	s_barrier
	s_barrier
	ds_write2_b32 v6, v2, v3 offset1:1
	v_perm_b32 v2, v10, v5, s2
	v_perm_b32 v3, v9, v4, s2
	ds_write2_b32 v6, v3, v2 offset0:2 offset1:3
	v_lshrrev_b32_e32 v2, 4, v0
	v_and_b32_e32 v2, 4, v2
	v_or_b32_e32 v10, 0x80, v0
	v_add_u32_e32 v11, v1, v2
	v_lshrrev_b32_e32 v2, 4, v10
	v_and_b32_e32 v2, 12, v2
	v_or_b32_e32 v9, 0x100, v0
	v_add_u32_e32 v12, v1, v2
	;; [unrolled: 4-line block ×5, first 2 shown]
	v_lshrrev_b32_e32 v2, 4, v6
	v_and_b32_e32 v2, 44, v2
	v_or_b32_e32 v5, 0x300, v0
	s_mov_b32 s17, 0
	v_add_u32_e32 v16, v1, v2
	v_lshrrev_b32_e32 v2, 4, v5
	s_lshl_b64 s[0:1], s[16:17], 1
	v_and_b32_e32 v2, 52, v2
	v_or_b32_e32 v4, 0x380, v0
	s_add_u32 s0, s20, s0
	v_add_u32_e32 v17, v1, v2
	v_lshrrev_b32_e32 v2, 4, v4
	s_addc_u32 s1, s21, s1
	v_and_b32_e32 v2, 60, v2
	v_add_u32_e32 v18, v1, v2
	v_mov_b32_e32 v3, s1
	v_add_co_u32_e32 v2, vcc, s0, v1
	v_addc_co_u32_e32 v3, vcc, 0, v3, vcc
	s_and_b64 vcc, exec, s[18:19]
	s_waitcnt lgkmcnt(0)
	s_cbranch_vccz .LBB477_31
; %bb.30:
	s_barrier
	ds_read_u16 v19, v11
	ds_read_u16 v20, v12 offset:256
	ds_read_u16 v21, v13 offset:512
	;; [unrolled: 1-line block ×7, first 2 shown]
	s_waitcnt lgkmcnt(7)
	global_store_short v[2:3], v19, off
	s_waitcnt lgkmcnt(6)
	global_store_short v[2:3], v20, off offset:256
	s_waitcnt lgkmcnt(5)
	global_store_short v[2:3], v21, off offset:512
	;; [unrolled: 2-line block ×6, first 2 shown]
	s_mov_b64 s[0:1], -1
	s_cbranch_execz .LBB477_32
	s_branch .LBB477_41
.LBB477_31:
	s_mov_b64 s[0:1], 0
                                        ; implicit-def: $vgpr1
.LBB477_32:
	s_barrier
	s_waitcnt lgkmcnt(0)
	ds_read_u16 v21, v12 offset:256
	ds_read_u16 v20, v13 offset:512
	;; [unrolled: 1-line block ×7, first 2 shown]
	s_sub_i32 s2, s14, s16
	v_cmp_gt_u32_e32 vcc, s2, v0
	s_and_saveexec_b64 s[0:1], vcc
	s_cbranch_execnz .LBB477_46
; %bb.33:
	s_or_b64 exec, exec, s[0:1]
	v_cmp_gt_u32_e32 vcc, s2, v10
	s_and_saveexec_b64 s[0:1], vcc
	s_cbranch_execnz .LBB477_47
.LBB477_34:
	s_or_b64 exec, exec, s[0:1]
	v_cmp_gt_u32_e32 vcc, s2, v9
	s_and_saveexec_b64 s[0:1], vcc
	s_cbranch_execnz .LBB477_48
.LBB477_35:
	s_or_b64 exec, exec, s[0:1]
	v_cmp_gt_u32_e32 vcc, s2, v8
	s_and_saveexec_b64 s[0:1], vcc
	s_cbranch_execnz .LBB477_49
.LBB477_36:
	s_or_b64 exec, exec, s[0:1]
	v_cmp_gt_u32_e32 vcc, s2, v7
	s_and_saveexec_b64 s[0:1], vcc
	s_cbranch_execnz .LBB477_50
.LBB477_37:
	s_or_b64 exec, exec, s[0:1]
	v_cmp_gt_u32_e32 vcc, s2, v6
	s_and_saveexec_b64 s[0:1], vcc
	s_cbranch_execnz .LBB477_51
.LBB477_38:
	s_or_b64 exec, exec, s[0:1]
	v_cmp_gt_u32_e32 vcc, s2, v5
	s_and_saveexec_b64 s[0:1], vcc
	s_cbranch_execz .LBB477_40
.LBB477_39:
	s_waitcnt lgkmcnt(1)
	global_store_short v[2:3], v12, off offset:1536
.LBB477_40:
	s_or_b64 exec, exec, s[0:1]
	v_cmp_gt_u32_e64 s[0:1], s2, v4
.LBB477_41:
	s_and_saveexec_b64 s[2:3], s[0:1]
	s_cbranch_execz .LBB477_43
; %bb.42:
	s_waitcnt lgkmcnt(0)
	global_store_short v[2:3], v1, off offset:1792
.LBB477_43:
	s_endpgm
.LBB477_44:
	v_mov_b32_e32 v2, s12
	v_add_co_u32_e32 v4, vcc, s11, v1
	v_mov_b32_e32 v3, 0
	v_addc_co_u32_e32 v5, vcc, 0, v2, vcc
	v_subrev_u32_e32 v2, s15, v0
	v_lshlrev_b64 v[2:3], 1, v[2:3]
	v_mov_b32_e32 v7, s9
	v_add_co_u32_e32 v2, vcc, s8, v2
	v_addc_co_u32_e32 v3, vcc, v7, v3, vcc
	v_cmp_gt_u32_e32 vcc, s15, v0
	v_cndmask_b32_e32 v3, v3, v5, vcc
	v_cndmask_b32_e32 v2, v2, v4, vcc
	global_load_ushort v2, v[2:3], off
	s_or_b64 exec, exec, s[0:1]
	v_cmp_gt_u32_e32 vcc, s17, v8
	s_and_saveexec_b64 s[2:3], vcc
	s_cbranch_execz .LBB477_6
.LBB477_45:
	v_mov_b32_e32 v9, 0
	v_lshlrev_b64 v[12:13], 1, v[8:9]
	v_mov_b32_e32 v7, s12
	v_add_co_u32_e32 v11, vcc, s11, v12
	v_addc_co_u32_e32 v7, vcc, v7, v13, vcc
	v_cmp_gt_u32_e32 vcc, s15, v8
	v_subrev_u32_e32 v8, s15, v8
	v_lshlrev_b64 v[8:9], 1, v[8:9]
	v_mov_b32_e32 v12, s9
	v_add_co_u32_e64 v8, s[0:1], s8, v8
	v_addc_co_u32_e64 v9, s[0:1], v12, v9, s[0:1]
	v_cndmask_b32_e32 v9, v9, v7, vcc
	v_cndmask_b32_e32 v8, v8, v11, vcc
	global_load_ushort v7, v[8:9], off
	s_mov_b32 s0, 0x5040100
	s_waitcnt vmcnt(0)
	v_perm_b32 v2, v7, v2, s0
	s_or_b64 exec, exec, s[2:3]
	v_cmp_gt_u32_e32 vcc, s17, v6
	s_and_saveexec_b64 s[0:1], vcc
	s_cbranch_execnz .LBB477_7
	s_branch .LBB477_8
.LBB477_46:
	ds_read_u16 v0, v11
	s_waitcnt lgkmcnt(0)
	global_store_short v[2:3], v0, off
	s_or_b64 exec, exec, s[0:1]
	v_cmp_gt_u32_e32 vcc, s2, v10
	s_and_saveexec_b64 s[0:1], vcc
	s_cbranch_execz .LBB477_34
.LBB477_47:
	s_waitcnt lgkmcnt(6)
	global_store_short v[2:3], v21, off offset:256
	s_or_b64 exec, exec, s[0:1]
	v_cmp_gt_u32_e32 vcc, s2, v9
	s_and_saveexec_b64 s[0:1], vcc
	s_cbranch_execz .LBB477_35
.LBB477_48:
	s_waitcnt lgkmcnt(5)
	global_store_short v[2:3], v20, off offset:512
	s_or_b64 exec, exec, s[0:1]
	v_cmp_gt_u32_e32 vcc, s2, v8
	s_and_saveexec_b64 s[0:1], vcc
	s_cbranch_execz .LBB477_36
.LBB477_49:
	s_waitcnt lgkmcnt(4)
	global_store_short v[2:3], v19, off offset:768
	s_or_b64 exec, exec, s[0:1]
	v_cmp_gt_u32_e32 vcc, s2, v7
	s_and_saveexec_b64 s[0:1], vcc
	s_cbranch_execz .LBB477_37
.LBB477_50:
	s_waitcnt lgkmcnt(3)
	global_store_short v[2:3], v14, off offset:1024
	s_or_b64 exec, exec, s[0:1]
	v_cmp_gt_u32_e32 vcc, s2, v6
	s_and_saveexec_b64 s[0:1], vcc
	s_cbranch_execz .LBB477_38
.LBB477_51:
	s_waitcnt lgkmcnt(2)
	global_store_short v[2:3], v13, off offset:1280
	s_or_b64 exec, exec, s[0:1]
	v_cmp_gt_u32_e32 vcc, s2, v5
	s_and_saveexec_b64 s[0:1], vcc
	s_cbranch_execnz .LBB477_39
	s_branch .LBB477_40
	.section	.rodata,"a",@progbits
	.p2align	6, 0x0
	.amdhsa_kernel _ZN7rocprim17ROCPRIM_400000_NS6detail17trampoline_kernelINS0_14default_configENS1_38merge_sort_block_merge_config_selectorItNS0_10empty_typeEEEZZNS1_27merge_sort_block_merge_implIS3_PtPS5_jNS1_19radix_merge_compareILb0ELb0EtNS0_19identity_decomposerEEEEE10hipError_tT0_T1_T2_jT3_P12ihipStream_tbPNSt15iterator_traitsISE_E10value_typeEPNSK_ISF_E10value_typeEPSG_NS1_7vsmem_tEENKUlT_SE_SF_SG_E_clIS8_S8_S9_S9_EESD_ST_SE_SF_SG_EUlST_E0_NS1_11comp_targetILNS1_3genE4ELNS1_11target_archE910ELNS1_3gpuE8ELNS1_3repE0EEENS1_38merge_mergepath_config_static_selectorELNS0_4arch9wavefront6targetE1EEEvSF_
		.amdhsa_group_segment_fixed_size 2112
		.amdhsa_private_segment_fixed_size 0
		.amdhsa_kernarg_size 320
		.amdhsa_user_sgpr_count 6
		.amdhsa_user_sgpr_private_segment_buffer 1
		.amdhsa_user_sgpr_dispatch_ptr 0
		.amdhsa_user_sgpr_queue_ptr 0
		.amdhsa_user_sgpr_kernarg_segment_ptr 1
		.amdhsa_user_sgpr_dispatch_id 0
		.amdhsa_user_sgpr_flat_scratch_init 0
		.amdhsa_user_sgpr_kernarg_preload_length 0
		.amdhsa_user_sgpr_kernarg_preload_offset 0
		.amdhsa_user_sgpr_private_segment_size 0
		.amdhsa_uses_dynamic_stack 0
		.amdhsa_system_sgpr_private_segment_wavefront_offset 0
		.amdhsa_system_sgpr_workgroup_id_x 1
		.amdhsa_system_sgpr_workgroup_id_y 1
		.amdhsa_system_sgpr_workgroup_id_z 1
		.amdhsa_system_sgpr_workgroup_info 0
		.amdhsa_system_vgpr_workitem_id 0
		.amdhsa_next_free_vgpr 26
		.amdhsa_next_free_sgpr 24
		.amdhsa_accum_offset 28
		.amdhsa_reserve_vcc 1
		.amdhsa_reserve_flat_scratch 0
		.amdhsa_float_round_mode_32 0
		.amdhsa_float_round_mode_16_64 0
		.amdhsa_float_denorm_mode_32 3
		.amdhsa_float_denorm_mode_16_64 3
		.amdhsa_dx10_clamp 1
		.amdhsa_ieee_mode 1
		.amdhsa_fp16_overflow 0
		.amdhsa_tg_split 0
		.amdhsa_exception_fp_ieee_invalid_op 0
		.amdhsa_exception_fp_denorm_src 0
		.amdhsa_exception_fp_ieee_div_zero 0
		.amdhsa_exception_fp_ieee_overflow 0
		.amdhsa_exception_fp_ieee_underflow 0
		.amdhsa_exception_fp_ieee_inexact 0
		.amdhsa_exception_int_div_zero 0
	.end_amdhsa_kernel
	.section	.text._ZN7rocprim17ROCPRIM_400000_NS6detail17trampoline_kernelINS0_14default_configENS1_38merge_sort_block_merge_config_selectorItNS0_10empty_typeEEEZZNS1_27merge_sort_block_merge_implIS3_PtPS5_jNS1_19radix_merge_compareILb0ELb0EtNS0_19identity_decomposerEEEEE10hipError_tT0_T1_T2_jT3_P12ihipStream_tbPNSt15iterator_traitsISE_E10value_typeEPNSK_ISF_E10value_typeEPSG_NS1_7vsmem_tEENKUlT_SE_SF_SG_E_clIS8_S8_S9_S9_EESD_ST_SE_SF_SG_EUlST_E0_NS1_11comp_targetILNS1_3genE4ELNS1_11target_archE910ELNS1_3gpuE8ELNS1_3repE0EEENS1_38merge_mergepath_config_static_selectorELNS0_4arch9wavefront6targetE1EEEvSF_,"axG",@progbits,_ZN7rocprim17ROCPRIM_400000_NS6detail17trampoline_kernelINS0_14default_configENS1_38merge_sort_block_merge_config_selectorItNS0_10empty_typeEEEZZNS1_27merge_sort_block_merge_implIS3_PtPS5_jNS1_19radix_merge_compareILb0ELb0EtNS0_19identity_decomposerEEEEE10hipError_tT0_T1_T2_jT3_P12ihipStream_tbPNSt15iterator_traitsISE_E10value_typeEPNSK_ISF_E10value_typeEPSG_NS1_7vsmem_tEENKUlT_SE_SF_SG_E_clIS8_S8_S9_S9_EESD_ST_SE_SF_SG_EUlST_E0_NS1_11comp_targetILNS1_3genE4ELNS1_11target_archE910ELNS1_3gpuE8ELNS1_3repE0EEENS1_38merge_mergepath_config_static_selectorELNS0_4arch9wavefront6targetE1EEEvSF_,comdat
.Lfunc_end477:
	.size	_ZN7rocprim17ROCPRIM_400000_NS6detail17trampoline_kernelINS0_14default_configENS1_38merge_sort_block_merge_config_selectorItNS0_10empty_typeEEEZZNS1_27merge_sort_block_merge_implIS3_PtPS5_jNS1_19radix_merge_compareILb0ELb0EtNS0_19identity_decomposerEEEEE10hipError_tT0_T1_T2_jT3_P12ihipStream_tbPNSt15iterator_traitsISE_E10value_typeEPNSK_ISF_E10value_typeEPSG_NS1_7vsmem_tEENKUlT_SE_SF_SG_E_clIS8_S8_S9_S9_EESD_ST_SE_SF_SG_EUlST_E0_NS1_11comp_targetILNS1_3genE4ELNS1_11target_archE910ELNS1_3gpuE8ELNS1_3repE0EEENS1_38merge_mergepath_config_static_selectorELNS0_4arch9wavefront6targetE1EEEvSF_, .Lfunc_end477-_ZN7rocprim17ROCPRIM_400000_NS6detail17trampoline_kernelINS0_14default_configENS1_38merge_sort_block_merge_config_selectorItNS0_10empty_typeEEEZZNS1_27merge_sort_block_merge_implIS3_PtPS5_jNS1_19radix_merge_compareILb0ELb0EtNS0_19identity_decomposerEEEEE10hipError_tT0_T1_T2_jT3_P12ihipStream_tbPNSt15iterator_traitsISE_E10value_typeEPNSK_ISF_E10value_typeEPSG_NS1_7vsmem_tEENKUlT_SE_SF_SG_E_clIS8_S8_S9_S9_EESD_ST_SE_SF_SG_EUlST_E0_NS1_11comp_targetILNS1_3genE4ELNS1_11target_archE910ELNS1_3gpuE8ELNS1_3repE0EEENS1_38merge_mergepath_config_static_selectorELNS0_4arch9wavefront6targetE1EEEvSF_
                                        ; -- End function
	.section	.AMDGPU.csdata,"",@progbits
; Kernel info:
; codeLenInByte = 3836
; NumSgprs: 28
; NumVgprs: 26
; NumAgprs: 0
; TotalNumVgprs: 26
; ScratchSize: 0
; MemoryBound: 0
; FloatMode: 240
; IeeeMode: 1
; LDSByteSize: 2112 bytes/workgroup (compile time only)
; SGPRBlocks: 3
; VGPRBlocks: 3
; NumSGPRsForWavesPerEU: 28
; NumVGPRsForWavesPerEU: 26
; AccumOffset: 28
; Occupancy: 8
; WaveLimiterHint : 1
; COMPUTE_PGM_RSRC2:SCRATCH_EN: 0
; COMPUTE_PGM_RSRC2:USER_SGPR: 6
; COMPUTE_PGM_RSRC2:TRAP_HANDLER: 0
; COMPUTE_PGM_RSRC2:TGID_X_EN: 1
; COMPUTE_PGM_RSRC2:TGID_Y_EN: 1
; COMPUTE_PGM_RSRC2:TGID_Z_EN: 1
; COMPUTE_PGM_RSRC2:TIDIG_COMP_CNT: 0
; COMPUTE_PGM_RSRC3_GFX90A:ACCUM_OFFSET: 6
; COMPUTE_PGM_RSRC3_GFX90A:TG_SPLIT: 0
	.section	.text._ZN7rocprim17ROCPRIM_400000_NS6detail17trampoline_kernelINS0_14default_configENS1_38merge_sort_block_merge_config_selectorItNS0_10empty_typeEEEZZNS1_27merge_sort_block_merge_implIS3_PtPS5_jNS1_19radix_merge_compareILb0ELb0EtNS0_19identity_decomposerEEEEE10hipError_tT0_T1_T2_jT3_P12ihipStream_tbPNSt15iterator_traitsISE_E10value_typeEPNSK_ISF_E10value_typeEPSG_NS1_7vsmem_tEENKUlT_SE_SF_SG_E_clIS8_S8_S9_S9_EESD_ST_SE_SF_SG_EUlST_E0_NS1_11comp_targetILNS1_3genE3ELNS1_11target_archE908ELNS1_3gpuE7ELNS1_3repE0EEENS1_38merge_mergepath_config_static_selectorELNS0_4arch9wavefront6targetE1EEEvSF_,"axG",@progbits,_ZN7rocprim17ROCPRIM_400000_NS6detail17trampoline_kernelINS0_14default_configENS1_38merge_sort_block_merge_config_selectorItNS0_10empty_typeEEEZZNS1_27merge_sort_block_merge_implIS3_PtPS5_jNS1_19radix_merge_compareILb0ELb0EtNS0_19identity_decomposerEEEEE10hipError_tT0_T1_T2_jT3_P12ihipStream_tbPNSt15iterator_traitsISE_E10value_typeEPNSK_ISF_E10value_typeEPSG_NS1_7vsmem_tEENKUlT_SE_SF_SG_E_clIS8_S8_S9_S9_EESD_ST_SE_SF_SG_EUlST_E0_NS1_11comp_targetILNS1_3genE3ELNS1_11target_archE908ELNS1_3gpuE7ELNS1_3repE0EEENS1_38merge_mergepath_config_static_selectorELNS0_4arch9wavefront6targetE1EEEvSF_,comdat
	.protected	_ZN7rocprim17ROCPRIM_400000_NS6detail17trampoline_kernelINS0_14default_configENS1_38merge_sort_block_merge_config_selectorItNS0_10empty_typeEEEZZNS1_27merge_sort_block_merge_implIS3_PtPS5_jNS1_19radix_merge_compareILb0ELb0EtNS0_19identity_decomposerEEEEE10hipError_tT0_T1_T2_jT3_P12ihipStream_tbPNSt15iterator_traitsISE_E10value_typeEPNSK_ISF_E10value_typeEPSG_NS1_7vsmem_tEENKUlT_SE_SF_SG_E_clIS8_S8_S9_S9_EESD_ST_SE_SF_SG_EUlST_E0_NS1_11comp_targetILNS1_3genE3ELNS1_11target_archE908ELNS1_3gpuE7ELNS1_3repE0EEENS1_38merge_mergepath_config_static_selectorELNS0_4arch9wavefront6targetE1EEEvSF_ ; -- Begin function _ZN7rocprim17ROCPRIM_400000_NS6detail17trampoline_kernelINS0_14default_configENS1_38merge_sort_block_merge_config_selectorItNS0_10empty_typeEEEZZNS1_27merge_sort_block_merge_implIS3_PtPS5_jNS1_19radix_merge_compareILb0ELb0EtNS0_19identity_decomposerEEEEE10hipError_tT0_T1_T2_jT3_P12ihipStream_tbPNSt15iterator_traitsISE_E10value_typeEPNSK_ISF_E10value_typeEPSG_NS1_7vsmem_tEENKUlT_SE_SF_SG_E_clIS8_S8_S9_S9_EESD_ST_SE_SF_SG_EUlST_E0_NS1_11comp_targetILNS1_3genE3ELNS1_11target_archE908ELNS1_3gpuE7ELNS1_3repE0EEENS1_38merge_mergepath_config_static_selectorELNS0_4arch9wavefront6targetE1EEEvSF_
	.globl	_ZN7rocprim17ROCPRIM_400000_NS6detail17trampoline_kernelINS0_14default_configENS1_38merge_sort_block_merge_config_selectorItNS0_10empty_typeEEEZZNS1_27merge_sort_block_merge_implIS3_PtPS5_jNS1_19radix_merge_compareILb0ELb0EtNS0_19identity_decomposerEEEEE10hipError_tT0_T1_T2_jT3_P12ihipStream_tbPNSt15iterator_traitsISE_E10value_typeEPNSK_ISF_E10value_typeEPSG_NS1_7vsmem_tEENKUlT_SE_SF_SG_E_clIS8_S8_S9_S9_EESD_ST_SE_SF_SG_EUlST_E0_NS1_11comp_targetILNS1_3genE3ELNS1_11target_archE908ELNS1_3gpuE7ELNS1_3repE0EEENS1_38merge_mergepath_config_static_selectorELNS0_4arch9wavefront6targetE1EEEvSF_
	.p2align	8
	.type	_ZN7rocprim17ROCPRIM_400000_NS6detail17trampoline_kernelINS0_14default_configENS1_38merge_sort_block_merge_config_selectorItNS0_10empty_typeEEEZZNS1_27merge_sort_block_merge_implIS3_PtPS5_jNS1_19radix_merge_compareILb0ELb0EtNS0_19identity_decomposerEEEEE10hipError_tT0_T1_T2_jT3_P12ihipStream_tbPNSt15iterator_traitsISE_E10value_typeEPNSK_ISF_E10value_typeEPSG_NS1_7vsmem_tEENKUlT_SE_SF_SG_E_clIS8_S8_S9_S9_EESD_ST_SE_SF_SG_EUlST_E0_NS1_11comp_targetILNS1_3genE3ELNS1_11target_archE908ELNS1_3gpuE7ELNS1_3repE0EEENS1_38merge_mergepath_config_static_selectorELNS0_4arch9wavefront6targetE1EEEvSF_,@function
_ZN7rocprim17ROCPRIM_400000_NS6detail17trampoline_kernelINS0_14default_configENS1_38merge_sort_block_merge_config_selectorItNS0_10empty_typeEEEZZNS1_27merge_sort_block_merge_implIS3_PtPS5_jNS1_19radix_merge_compareILb0ELb0EtNS0_19identity_decomposerEEEEE10hipError_tT0_T1_T2_jT3_P12ihipStream_tbPNSt15iterator_traitsISE_E10value_typeEPNSK_ISF_E10value_typeEPSG_NS1_7vsmem_tEENKUlT_SE_SF_SG_E_clIS8_S8_S9_S9_EESD_ST_SE_SF_SG_EUlST_E0_NS1_11comp_targetILNS1_3genE3ELNS1_11target_archE908ELNS1_3gpuE7ELNS1_3repE0EEENS1_38merge_mergepath_config_static_selectorELNS0_4arch9wavefront6targetE1EEEvSF_: ; @_ZN7rocprim17ROCPRIM_400000_NS6detail17trampoline_kernelINS0_14default_configENS1_38merge_sort_block_merge_config_selectorItNS0_10empty_typeEEEZZNS1_27merge_sort_block_merge_implIS3_PtPS5_jNS1_19radix_merge_compareILb0ELb0EtNS0_19identity_decomposerEEEEE10hipError_tT0_T1_T2_jT3_P12ihipStream_tbPNSt15iterator_traitsISE_E10value_typeEPNSK_ISF_E10value_typeEPSG_NS1_7vsmem_tEENKUlT_SE_SF_SG_E_clIS8_S8_S9_S9_EESD_ST_SE_SF_SG_EUlST_E0_NS1_11comp_targetILNS1_3genE3ELNS1_11target_archE908ELNS1_3gpuE7ELNS1_3repE0EEENS1_38merge_mergepath_config_static_selectorELNS0_4arch9wavefront6targetE1EEEvSF_
; %bb.0:
	.section	.rodata,"a",@progbits
	.p2align	6, 0x0
	.amdhsa_kernel _ZN7rocprim17ROCPRIM_400000_NS6detail17trampoline_kernelINS0_14default_configENS1_38merge_sort_block_merge_config_selectorItNS0_10empty_typeEEEZZNS1_27merge_sort_block_merge_implIS3_PtPS5_jNS1_19radix_merge_compareILb0ELb0EtNS0_19identity_decomposerEEEEE10hipError_tT0_T1_T2_jT3_P12ihipStream_tbPNSt15iterator_traitsISE_E10value_typeEPNSK_ISF_E10value_typeEPSG_NS1_7vsmem_tEENKUlT_SE_SF_SG_E_clIS8_S8_S9_S9_EESD_ST_SE_SF_SG_EUlST_E0_NS1_11comp_targetILNS1_3genE3ELNS1_11target_archE908ELNS1_3gpuE7ELNS1_3repE0EEENS1_38merge_mergepath_config_static_selectorELNS0_4arch9wavefront6targetE1EEEvSF_
		.amdhsa_group_segment_fixed_size 0
		.amdhsa_private_segment_fixed_size 0
		.amdhsa_kernarg_size 64
		.amdhsa_user_sgpr_count 6
		.amdhsa_user_sgpr_private_segment_buffer 1
		.amdhsa_user_sgpr_dispatch_ptr 0
		.amdhsa_user_sgpr_queue_ptr 0
		.amdhsa_user_sgpr_kernarg_segment_ptr 1
		.amdhsa_user_sgpr_dispatch_id 0
		.amdhsa_user_sgpr_flat_scratch_init 0
		.amdhsa_user_sgpr_kernarg_preload_length 0
		.amdhsa_user_sgpr_kernarg_preload_offset 0
		.amdhsa_user_sgpr_private_segment_size 0
		.amdhsa_uses_dynamic_stack 0
		.amdhsa_system_sgpr_private_segment_wavefront_offset 0
		.amdhsa_system_sgpr_workgroup_id_x 1
		.amdhsa_system_sgpr_workgroup_id_y 0
		.amdhsa_system_sgpr_workgroup_id_z 0
		.amdhsa_system_sgpr_workgroup_info 0
		.amdhsa_system_vgpr_workitem_id 0
		.amdhsa_next_free_vgpr 1
		.amdhsa_next_free_sgpr 0
		.amdhsa_accum_offset 4
		.amdhsa_reserve_vcc 0
		.amdhsa_reserve_flat_scratch 0
		.amdhsa_float_round_mode_32 0
		.amdhsa_float_round_mode_16_64 0
		.amdhsa_float_denorm_mode_32 3
		.amdhsa_float_denorm_mode_16_64 3
		.amdhsa_dx10_clamp 1
		.amdhsa_ieee_mode 1
		.amdhsa_fp16_overflow 0
		.amdhsa_tg_split 0
		.amdhsa_exception_fp_ieee_invalid_op 0
		.amdhsa_exception_fp_denorm_src 0
		.amdhsa_exception_fp_ieee_div_zero 0
		.amdhsa_exception_fp_ieee_overflow 0
		.amdhsa_exception_fp_ieee_underflow 0
		.amdhsa_exception_fp_ieee_inexact 0
		.amdhsa_exception_int_div_zero 0
	.end_amdhsa_kernel
	.section	.text._ZN7rocprim17ROCPRIM_400000_NS6detail17trampoline_kernelINS0_14default_configENS1_38merge_sort_block_merge_config_selectorItNS0_10empty_typeEEEZZNS1_27merge_sort_block_merge_implIS3_PtPS5_jNS1_19radix_merge_compareILb0ELb0EtNS0_19identity_decomposerEEEEE10hipError_tT0_T1_T2_jT3_P12ihipStream_tbPNSt15iterator_traitsISE_E10value_typeEPNSK_ISF_E10value_typeEPSG_NS1_7vsmem_tEENKUlT_SE_SF_SG_E_clIS8_S8_S9_S9_EESD_ST_SE_SF_SG_EUlST_E0_NS1_11comp_targetILNS1_3genE3ELNS1_11target_archE908ELNS1_3gpuE7ELNS1_3repE0EEENS1_38merge_mergepath_config_static_selectorELNS0_4arch9wavefront6targetE1EEEvSF_,"axG",@progbits,_ZN7rocprim17ROCPRIM_400000_NS6detail17trampoline_kernelINS0_14default_configENS1_38merge_sort_block_merge_config_selectorItNS0_10empty_typeEEEZZNS1_27merge_sort_block_merge_implIS3_PtPS5_jNS1_19radix_merge_compareILb0ELb0EtNS0_19identity_decomposerEEEEE10hipError_tT0_T1_T2_jT3_P12ihipStream_tbPNSt15iterator_traitsISE_E10value_typeEPNSK_ISF_E10value_typeEPSG_NS1_7vsmem_tEENKUlT_SE_SF_SG_E_clIS8_S8_S9_S9_EESD_ST_SE_SF_SG_EUlST_E0_NS1_11comp_targetILNS1_3genE3ELNS1_11target_archE908ELNS1_3gpuE7ELNS1_3repE0EEENS1_38merge_mergepath_config_static_selectorELNS0_4arch9wavefront6targetE1EEEvSF_,comdat
.Lfunc_end478:
	.size	_ZN7rocprim17ROCPRIM_400000_NS6detail17trampoline_kernelINS0_14default_configENS1_38merge_sort_block_merge_config_selectorItNS0_10empty_typeEEEZZNS1_27merge_sort_block_merge_implIS3_PtPS5_jNS1_19radix_merge_compareILb0ELb0EtNS0_19identity_decomposerEEEEE10hipError_tT0_T1_T2_jT3_P12ihipStream_tbPNSt15iterator_traitsISE_E10value_typeEPNSK_ISF_E10value_typeEPSG_NS1_7vsmem_tEENKUlT_SE_SF_SG_E_clIS8_S8_S9_S9_EESD_ST_SE_SF_SG_EUlST_E0_NS1_11comp_targetILNS1_3genE3ELNS1_11target_archE908ELNS1_3gpuE7ELNS1_3repE0EEENS1_38merge_mergepath_config_static_selectorELNS0_4arch9wavefront6targetE1EEEvSF_, .Lfunc_end478-_ZN7rocprim17ROCPRIM_400000_NS6detail17trampoline_kernelINS0_14default_configENS1_38merge_sort_block_merge_config_selectorItNS0_10empty_typeEEEZZNS1_27merge_sort_block_merge_implIS3_PtPS5_jNS1_19radix_merge_compareILb0ELb0EtNS0_19identity_decomposerEEEEE10hipError_tT0_T1_T2_jT3_P12ihipStream_tbPNSt15iterator_traitsISE_E10value_typeEPNSK_ISF_E10value_typeEPSG_NS1_7vsmem_tEENKUlT_SE_SF_SG_E_clIS8_S8_S9_S9_EESD_ST_SE_SF_SG_EUlST_E0_NS1_11comp_targetILNS1_3genE3ELNS1_11target_archE908ELNS1_3gpuE7ELNS1_3repE0EEENS1_38merge_mergepath_config_static_selectorELNS0_4arch9wavefront6targetE1EEEvSF_
                                        ; -- End function
	.section	.AMDGPU.csdata,"",@progbits
; Kernel info:
; codeLenInByte = 0
; NumSgprs: 4
; NumVgprs: 0
; NumAgprs: 0
; TotalNumVgprs: 0
; ScratchSize: 0
; MemoryBound: 0
; FloatMode: 240
; IeeeMode: 1
; LDSByteSize: 0 bytes/workgroup (compile time only)
; SGPRBlocks: 0
; VGPRBlocks: 0
; NumSGPRsForWavesPerEU: 4
; NumVGPRsForWavesPerEU: 1
; AccumOffset: 4
; Occupancy: 8
; WaveLimiterHint : 0
; COMPUTE_PGM_RSRC2:SCRATCH_EN: 0
; COMPUTE_PGM_RSRC2:USER_SGPR: 6
; COMPUTE_PGM_RSRC2:TRAP_HANDLER: 0
; COMPUTE_PGM_RSRC2:TGID_X_EN: 1
; COMPUTE_PGM_RSRC2:TGID_Y_EN: 0
; COMPUTE_PGM_RSRC2:TGID_Z_EN: 0
; COMPUTE_PGM_RSRC2:TIDIG_COMP_CNT: 0
; COMPUTE_PGM_RSRC3_GFX90A:ACCUM_OFFSET: 0
; COMPUTE_PGM_RSRC3_GFX90A:TG_SPLIT: 0
	.section	.text._ZN7rocprim17ROCPRIM_400000_NS6detail17trampoline_kernelINS0_14default_configENS1_38merge_sort_block_merge_config_selectorItNS0_10empty_typeEEEZZNS1_27merge_sort_block_merge_implIS3_PtPS5_jNS1_19radix_merge_compareILb0ELb0EtNS0_19identity_decomposerEEEEE10hipError_tT0_T1_T2_jT3_P12ihipStream_tbPNSt15iterator_traitsISE_E10value_typeEPNSK_ISF_E10value_typeEPSG_NS1_7vsmem_tEENKUlT_SE_SF_SG_E_clIS8_S8_S9_S9_EESD_ST_SE_SF_SG_EUlST_E0_NS1_11comp_targetILNS1_3genE2ELNS1_11target_archE906ELNS1_3gpuE6ELNS1_3repE0EEENS1_38merge_mergepath_config_static_selectorELNS0_4arch9wavefront6targetE1EEEvSF_,"axG",@progbits,_ZN7rocprim17ROCPRIM_400000_NS6detail17trampoline_kernelINS0_14default_configENS1_38merge_sort_block_merge_config_selectorItNS0_10empty_typeEEEZZNS1_27merge_sort_block_merge_implIS3_PtPS5_jNS1_19radix_merge_compareILb0ELb0EtNS0_19identity_decomposerEEEEE10hipError_tT0_T1_T2_jT3_P12ihipStream_tbPNSt15iterator_traitsISE_E10value_typeEPNSK_ISF_E10value_typeEPSG_NS1_7vsmem_tEENKUlT_SE_SF_SG_E_clIS8_S8_S9_S9_EESD_ST_SE_SF_SG_EUlST_E0_NS1_11comp_targetILNS1_3genE2ELNS1_11target_archE906ELNS1_3gpuE6ELNS1_3repE0EEENS1_38merge_mergepath_config_static_selectorELNS0_4arch9wavefront6targetE1EEEvSF_,comdat
	.protected	_ZN7rocprim17ROCPRIM_400000_NS6detail17trampoline_kernelINS0_14default_configENS1_38merge_sort_block_merge_config_selectorItNS0_10empty_typeEEEZZNS1_27merge_sort_block_merge_implIS3_PtPS5_jNS1_19radix_merge_compareILb0ELb0EtNS0_19identity_decomposerEEEEE10hipError_tT0_T1_T2_jT3_P12ihipStream_tbPNSt15iterator_traitsISE_E10value_typeEPNSK_ISF_E10value_typeEPSG_NS1_7vsmem_tEENKUlT_SE_SF_SG_E_clIS8_S8_S9_S9_EESD_ST_SE_SF_SG_EUlST_E0_NS1_11comp_targetILNS1_3genE2ELNS1_11target_archE906ELNS1_3gpuE6ELNS1_3repE0EEENS1_38merge_mergepath_config_static_selectorELNS0_4arch9wavefront6targetE1EEEvSF_ ; -- Begin function _ZN7rocprim17ROCPRIM_400000_NS6detail17trampoline_kernelINS0_14default_configENS1_38merge_sort_block_merge_config_selectorItNS0_10empty_typeEEEZZNS1_27merge_sort_block_merge_implIS3_PtPS5_jNS1_19radix_merge_compareILb0ELb0EtNS0_19identity_decomposerEEEEE10hipError_tT0_T1_T2_jT3_P12ihipStream_tbPNSt15iterator_traitsISE_E10value_typeEPNSK_ISF_E10value_typeEPSG_NS1_7vsmem_tEENKUlT_SE_SF_SG_E_clIS8_S8_S9_S9_EESD_ST_SE_SF_SG_EUlST_E0_NS1_11comp_targetILNS1_3genE2ELNS1_11target_archE906ELNS1_3gpuE6ELNS1_3repE0EEENS1_38merge_mergepath_config_static_selectorELNS0_4arch9wavefront6targetE1EEEvSF_
	.globl	_ZN7rocprim17ROCPRIM_400000_NS6detail17trampoline_kernelINS0_14default_configENS1_38merge_sort_block_merge_config_selectorItNS0_10empty_typeEEEZZNS1_27merge_sort_block_merge_implIS3_PtPS5_jNS1_19radix_merge_compareILb0ELb0EtNS0_19identity_decomposerEEEEE10hipError_tT0_T1_T2_jT3_P12ihipStream_tbPNSt15iterator_traitsISE_E10value_typeEPNSK_ISF_E10value_typeEPSG_NS1_7vsmem_tEENKUlT_SE_SF_SG_E_clIS8_S8_S9_S9_EESD_ST_SE_SF_SG_EUlST_E0_NS1_11comp_targetILNS1_3genE2ELNS1_11target_archE906ELNS1_3gpuE6ELNS1_3repE0EEENS1_38merge_mergepath_config_static_selectorELNS0_4arch9wavefront6targetE1EEEvSF_
	.p2align	8
	.type	_ZN7rocprim17ROCPRIM_400000_NS6detail17trampoline_kernelINS0_14default_configENS1_38merge_sort_block_merge_config_selectorItNS0_10empty_typeEEEZZNS1_27merge_sort_block_merge_implIS3_PtPS5_jNS1_19radix_merge_compareILb0ELb0EtNS0_19identity_decomposerEEEEE10hipError_tT0_T1_T2_jT3_P12ihipStream_tbPNSt15iterator_traitsISE_E10value_typeEPNSK_ISF_E10value_typeEPSG_NS1_7vsmem_tEENKUlT_SE_SF_SG_E_clIS8_S8_S9_S9_EESD_ST_SE_SF_SG_EUlST_E0_NS1_11comp_targetILNS1_3genE2ELNS1_11target_archE906ELNS1_3gpuE6ELNS1_3repE0EEENS1_38merge_mergepath_config_static_selectorELNS0_4arch9wavefront6targetE1EEEvSF_,@function
_ZN7rocprim17ROCPRIM_400000_NS6detail17trampoline_kernelINS0_14default_configENS1_38merge_sort_block_merge_config_selectorItNS0_10empty_typeEEEZZNS1_27merge_sort_block_merge_implIS3_PtPS5_jNS1_19radix_merge_compareILb0ELb0EtNS0_19identity_decomposerEEEEE10hipError_tT0_T1_T2_jT3_P12ihipStream_tbPNSt15iterator_traitsISE_E10value_typeEPNSK_ISF_E10value_typeEPSG_NS1_7vsmem_tEENKUlT_SE_SF_SG_E_clIS8_S8_S9_S9_EESD_ST_SE_SF_SG_EUlST_E0_NS1_11comp_targetILNS1_3genE2ELNS1_11target_archE906ELNS1_3gpuE6ELNS1_3repE0EEENS1_38merge_mergepath_config_static_selectorELNS0_4arch9wavefront6targetE1EEEvSF_: ; @_ZN7rocprim17ROCPRIM_400000_NS6detail17trampoline_kernelINS0_14default_configENS1_38merge_sort_block_merge_config_selectorItNS0_10empty_typeEEEZZNS1_27merge_sort_block_merge_implIS3_PtPS5_jNS1_19radix_merge_compareILb0ELb0EtNS0_19identity_decomposerEEEEE10hipError_tT0_T1_T2_jT3_P12ihipStream_tbPNSt15iterator_traitsISE_E10value_typeEPNSK_ISF_E10value_typeEPSG_NS1_7vsmem_tEENKUlT_SE_SF_SG_E_clIS8_S8_S9_S9_EESD_ST_SE_SF_SG_EUlST_E0_NS1_11comp_targetILNS1_3genE2ELNS1_11target_archE906ELNS1_3gpuE6ELNS1_3repE0EEENS1_38merge_mergepath_config_static_selectorELNS0_4arch9wavefront6targetE1EEEvSF_
; %bb.0:
	.section	.rodata,"a",@progbits
	.p2align	6, 0x0
	.amdhsa_kernel _ZN7rocprim17ROCPRIM_400000_NS6detail17trampoline_kernelINS0_14default_configENS1_38merge_sort_block_merge_config_selectorItNS0_10empty_typeEEEZZNS1_27merge_sort_block_merge_implIS3_PtPS5_jNS1_19radix_merge_compareILb0ELb0EtNS0_19identity_decomposerEEEEE10hipError_tT0_T1_T2_jT3_P12ihipStream_tbPNSt15iterator_traitsISE_E10value_typeEPNSK_ISF_E10value_typeEPSG_NS1_7vsmem_tEENKUlT_SE_SF_SG_E_clIS8_S8_S9_S9_EESD_ST_SE_SF_SG_EUlST_E0_NS1_11comp_targetILNS1_3genE2ELNS1_11target_archE906ELNS1_3gpuE6ELNS1_3repE0EEENS1_38merge_mergepath_config_static_selectorELNS0_4arch9wavefront6targetE1EEEvSF_
		.amdhsa_group_segment_fixed_size 0
		.amdhsa_private_segment_fixed_size 0
		.amdhsa_kernarg_size 64
		.amdhsa_user_sgpr_count 6
		.amdhsa_user_sgpr_private_segment_buffer 1
		.amdhsa_user_sgpr_dispatch_ptr 0
		.amdhsa_user_sgpr_queue_ptr 0
		.amdhsa_user_sgpr_kernarg_segment_ptr 1
		.amdhsa_user_sgpr_dispatch_id 0
		.amdhsa_user_sgpr_flat_scratch_init 0
		.amdhsa_user_sgpr_kernarg_preload_length 0
		.amdhsa_user_sgpr_kernarg_preload_offset 0
		.amdhsa_user_sgpr_private_segment_size 0
		.amdhsa_uses_dynamic_stack 0
		.amdhsa_system_sgpr_private_segment_wavefront_offset 0
		.amdhsa_system_sgpr_workgroup_id_x 1
		.amdhsa_system_sgpr_workgroup_id_y 0
		.amdhsa_system_sgpr_workgroup_id_z 0
		.amdhsa_system_sgpr_workgroup_info 0
		.amdhsa_system_vgpr_workitem_id 0
		.amdhsa_next_free_vgpr 1
		.amdhsa_next_free_sgpr 0
		.amdhsa_accum_offset 4
		.amdhsa_reserve_vcc 0
		.amdhsa_reserve_flat_scratch 0
		.amdhsa_float_round_mode_32 0
		.amdhsa_float_round_mode_16_64 0
		.amdhsa_float_denorm_mode_32 3
		.amdhsa_float_denorm_mode_16_64 3
		.amdhsa_dx10_clamp 1
		.amdhsa_ieee_mode 1
		.amdhsa_fp16_overflow 0
		.amdhsa_tg_split 0
		.amdhsa_exception_fp_ieee_invalid_op 0
		.amdhsa_exception_fp_denorm_src 0
		.amdhsa_exception_fp_ieee_div_zero 0
		.amdhsa_exception_fp_ieee_overflow 0
		.amdhsa_exception_fp_ieee_underflow 0
		.amdhsa_exception_fp_ieee_inexact 0
		.amdhsa_exception_int_div_zero 0
	.end_amdhsa_kernel
	.section	.text._ZN7rocprim17ROCPRIM_400000_NS6detail17trampoline_kernelINS0_14default_configENS1_38merge_sort_block_merge_config_selectorItNS0_10empty_typeEEEZZNS1_27merge_sort_block_merge_implIS3_PtPS5_jNS1_19radix_merge_compareILb0ELb0EtNS0_19identity_decomposerEEEEE10hipError_tT0_T1_T2_jT3_P12ihipStream_tbPNSt15iterator_traitsISE_E10value_typeEPNSK_ISF_E10value_typeEPSG_NS1_7vsmem_tEENKUlT_SE_SF_SG_E_clIS8_S8_S9_S9_EESD_ST_SE_SF_SG_EUlST_E0_NS1_11comp_targetILNS1_3genE2ELNS1_11target_archE906ELNS1_3gpuE6ELNS1_3repE0EEENS1_38merge_mergepath_config_static_selectorELNS0_4arch9wavefront6targetE1EEEvSF_,"axG",@progbits,_ZN7rocprim17ROCPRIM_400000_NS6detail17trampoline_kernelINS0_14default_configENS1_38merge_sort_block_merge_config_selectorItNS0_10empty_typeEEEZZNS1_27merge_sort_block_merge_implIS3_PtPS5_jNS1_19radix_merge_compareILb0ELb0EtNS0_19identity_decomposerEEEEE10hipError_tT0_T1_T2_jT3_P12ihipStream_tbPNSt15iterator_traitsISE_E10value_typeEPNSK_ISF_E10value_typeEPSG_NS1_7vsmem_tEENKUlT_SE_SF_SG_E_clIS8_S8_S9_S9_EESD_ST_SE_SF_SG_EUlST_E0_NS1_11comp_targetILNS1_3genE2ELNS1_11target_archE906ELNS1_3gpuE6ELNS1_3repE0EEENS1_38merge_mergepath_config_static_selectorELNS0_4arch9wavefront6targetE1EEEvSF_,comdat
.Lfunc_end479:
	.size	_ZN7rocprim17ROCPRIM_400000_NS6detail17trampoline_kernelINS0_14default_configENS1_38merge_sort_block_merge_config_selectorItNS0_10empty_typeEEEZZNS1_27merge_sort_block_merge_implIS3_PtPS5_jNS1_19radix_merge_compareILb0ELb0EtNS0_19identity_decomposerEEEEE10hipError_tT0_T1_T2_jT3_P12ihipStream_tbPNSt15iterator_traitsISE_E10value_typeEPNSK_ISF_E10value_typeEPSG_NS1_7vsmem_tEENKUlT_SE_SF_SG_E_clIS8_S8_S9_S9_EESD_ST_SE_SF_SG_EUlST_E0_NS1_11comp_targetILNS1_3genE2ELNS1_11target_archE906ELNS1_3gpuE6ELNS1_3repE0EEENS1_38merge_mergepath_config_static_selectorELNS0_4arch9wavefront6targetE1EEEvSF_, .Lfunc_end479-_ZN7rocprim17ROCPRIM_400000_NS6detail17trampoline_kernelINS0_14default_configENS1_38merge_sort_block_merge_config_selectorItNS0_10empty_typeEEEZZNS1_27merge_sort_block_merge_implIS3_PtPS5_jNS1_19radix_merge_compareILb0ELb0EtNS0_19identity_decomposerEEEEE10hipError_tT0_T1_T2_jT3_P12ihipStream_tbPNSt15iterator_traitsISE_E10value_typeEPNSK_ISF_E10value_typeEPSG_NS1_7vsmem_tEENKUlT_SE_SF_SG_E_clIS8_S8_S9_S9_EESD_ST_SE_SF_SG_EUlST_E0_NS1_11comp_targetILNS1_3genE2ELNS1_11target_archE906ELNS1_3gpuE6ELNS1_3repE0EEENS1_38merge_mergepath_config_static_selectorELNS0_4arch9wavefront6targetE1EEEvSF_
                                        ; -- End function
	.section	.AMDGPU.csdata,"",@progbits
; Kernel info:
; codeLenInByte = 0
; NumSgprs: 4
; NumVgprs: 0
; NumAgprs: 0
; TotalNumVgprs: 0
; ScratchSize: 0
; MemoryBound: 0
; FloatMode: 240
; IeeeMode: 1
; LDSByteSize: 0 bytes/workgroup (compile time only)
; SGPRBlocks: 0
; VGPRBlocks: 0
; NumSGPRsForWavesPerEU: 4
; NumVGPRsForWavesPerEU: 1
; AccumOffset: 4
; Occupancy: 8
; WaveLimiterHint : 0
; COMPUTE_PGM_RSRC2:SCRATCH_EN: 0
; COMPUTE_PGM_RSRC2:USER_SGPR: 6
; COMPUTE_PGM_RSRC2:TRAP_HANDLER: 0
; COMPUTE_PGM_RSRC2:TGID_X_EN: 1
; COMPUTE_PGM_RSRC2:TGID_Y_EN: 0
; COMPUTE_PGM_RSRC2:TGID_Z_EN: 0
; COMPUTE_PGM_RSRC2:TIDIG_COMP_CNT: 0
; COMPUTE_PGM_RSRC3_GFX90A:ACCUM_OFFSET: 0
; COMPUTE_PGM_RSRC3_GFX90A:TG_SPLIT: 0
	.section	.text._ZN7rocprim17ROCPRIM_400000_NS6detail17trampoline_kernelINS0_14default_configENS1_38merge_sort_block_merge_config_selectorItNS0_10empty_typeEEEZZNS1_27merge_sort_block_merge_implIS3_PtPS5_jNS1_19radix_merge_compareILb0ELb0EtNS0_19identity_decomposerEEEEE10hipError_tT0_T1_T2_jT3_P12ihipStream_tbPNSt15iterator_traitsISE_E10value_typeEPNSK_ISF_E10value_typeEPSG_NS1_7vsmem_tEENKUlT_SE_SF_SG_E_clIS8_S8_S9_S9_EESD_ST_SE_SF_SG_EUlST_E0_NS1_11comp_targetILNS1_3genE9ELNS1_11target_archE1100ELNS1_3gpuE3ELNS1_3repE0EEENS1_38merge_mergepath_config_static_selectorELNS0_4arch9wavefront6targetE1EEEvSF_,"axG",@progbits,_ZN7rocprim17ROCPRIM_400000_NS6detail17trampoline_kernelINS0_14default_configENS1_38merge_sort_block_merge_config_selectorItNS0_10empty_typeEEEZZNS1_27merge_sort_block_merge_implIS3_PtPS5_jNS1_19radix_merge_compareILb0ELb0EtNS0_19identity_decomposerEEEEE10hipError_tT0_T1_T2_jT3_P12ihipStream_tbPNSt15iterator_traitsISE_E10value_typeEPNSK_ISF_E10value_typeEPSG_NS1_7vsmem_tEENKUlT_SE_SF_SG_E_clIS8_S8_S9_S9_EESD_ST_SE_SF_SG_EUlST_E0_NS1_11comp_targetILNS1_3genE9ELNS1_11target_archE1100ELNS1_3gpuE3ELNS1_3repE0EEENS1_38merge_mergepath_config_static_selectorELNS0_4arch9wavefront6targetE1EEEvSF_,comdat
	.protected	_ZN7rocprim17ROCPRIM_400000_NS6detail17trampoline_kernelINS0_14default_configENS1_38merge_sort_block_merge_config_selectorItNS0_10empty_typeEEEZZNS1_27merge_sort_block_merge_implIS3_PtPS5_jNS1_19radix_merge_compareILb0ELb0EtNS0_19identity_decomposerEEEEE10hipError_tT0_T1_T2_jT3_P12ihipStream_tbPNSt15iterator_traitsISE_E10value_typeEPNSK_ISF_E10value_typeEPSG_NS1_7vsmem_tEENKUlT_SE_SF_SG_E_clIS8_S8_S9_S9_EESD_ST_SE_SF_SG_EUlST_E0_NS1_11comp_targetILNS1_3genE9ELNS1_11target_archE1100ELNS1_3gpuE3ELNS1_3repE0EEENS1_38merge_mergepath_config_static_selectorELNS0_4arch9wavefront6targetE1EEEvSF_ ; -- Begin function _ZN7rocprim17ROCPRIM_400000_NS6detail17trampoline_kernelINS0_14default_configENS1_38merge_sort_block_merge_config_selectorItNS0_10empty_typeEEEZZNS1_27merge_sort_block_merge_implIS3_PtPS5_jNS1_19radix_merge_compareILb0ELb0EtNS0_19identity_decomposerEEEEE10hipError_tT0_T1_T2_jT3_P12ihipStream_tbPNSt15iterator_traitsISE_E10value_typeEPNSK_ISF_E10value_typeEPSG_NS1_7vsmem_tEENKUlT_SE_SF_SG_E_clIS8_S8_S9_S9_EESD_ST_SE_SF_SG_EUlST_E0_NS1_11comp_targetILNS1_3genE9ELNS1_11target_archE1100ELNS1_3gpuE3ELNS1_3repE0EEENS1_38merge_mergepath_config_static_selectorELNS0_4arch9wavefront6targetE1EEEvSF_
	.globl	_ZN7rocprim17ROCPRIM_400000_NS6detail17trampoline_kernelINS0_14default_configENS1_38merge_sort_block_merge_config_selectorItNS0_10empty_typeEEEZZNS1_27merge_sort_block_merge_implIS3_PtPS5_jNS1_19radix_merge_compareILb0ELb0EtNS0_19identity_decomposerEEEEE10hipError_tT0_T1_T2_jT3_P12ihipStream_tbPNSt15iterator_traitsISE_E10value_typeEPNSK_ISF_E10value_typeEPSG_NS1_7vsmem_tEENKUlT_SE_SF_SG_E_clIS8_S8_S9_S9_EESD_ST_SE_SF_SG_EUlST_E0_NS1_11comp_targetILNS1_3genE9ELNS1_11target_archE1100ELNS1_3gpuE3ELNS1_3repE0EEENS1_38merge_mergepath_config_static_selectorELNS0_4arch9wavefront6targetE1EEEvSF_
	.p2align	8
	.type	_ZN7rocprim17ROCPRIM_400000_NS6detail17trampoline_kernelINS0_14default_configENS1_38merge_sort_block_merge_config_selectorItNS0_10empty_typeEEEZZNS1_27merge_sort_block_merge_implIS3_PtPS5_jNS1_19radix_merge_compareILb0ELb0EtNS0_19identity_decomposerEEEEE10hipError_tT0_T1_T2_jT3_P12ihipStream_tbPNSt15iterator_traitsISE_E10value_typeEPNSK_ISF_E10value_typeEPSG_NS1_7vsmem_tEENKUlT_SE_SF_SG_E_clIS8_S8_S9_S9_EESD_ST_SE_SF_SG_EUlST_E0_NS1_11comp_targetILNS1_3genE9ELNS1_11target_archE1100ELNS1_3gpuE3ELNS1_3repE0EEENS1_38merge_mergepath_config_static_selectorELNS0_4arch9wavefront6targetE1EEEvSF_,@function
_ZN7rocprim17ROCPRIM_400000_NS6detail17trampoline_kernelINS0_14default_configENS1_38merge_sort_block_merge_config_selectorItNS0_10empty_typeEEEZZNS1_27merge_sort_block_merge_implIS3_PtPS5_jNS1_19radix_merge_compareILb0ELb0EtNS0_19identity_decomposerEEEEE10hipError_tT0_T1_T2_jT3_P12ihipStream_tbPNSt15iterator_traitsISE_E10value_typeEPNSK_ISF_E10value_typeEPSG_NS1_7vsmem_tEENKUlT_SE_SF_SG_E_clIS8_S8_S9_S9_EESD_ST_SE_SF_SG_EUlST_E0_NS1_11comp_targetILNS1_3genE9ELNS1_11target_archE1100ELNS1_3gpuE3ELNS1_3repE0EEENS1_38merge_mergepath_config_static_selectorELNS0_4arch9wavefront6targetE1EEEvSF_: ; @_ZN7rocprim17ROCPRIM_400000_NS6detail17trampoline_kernelINS0_14default_configENS1_38merge_sort_block_merge_config_selectorItNS0_10empty_typeEEEZZNS1_27merge_sort_block_merge_implIS3_PtPS5_jNS1_19radix_merge_compareILb0ELb0EtNS0_19identity_decomposerEEEEE10hipError_tT0_T1_T2_jT3_P12ihipStream_tbPNSt15iterator_traitsISE_E10value_typeEPNSK_ISF_E10value_typeEPSG_NS1_7vsmem_tEENKUlT_SE_SF_SG_E_clIS8_S8_S9_S9_EESD_ST_SE_SF_SG_EUlST_E0_NS1_11comp_targetILNS1_3genE9ELNS1_11target_archE1100ELNS1_3gpuE3ELNS1_3repE0EEENS1_38merge_mergepath_config_static_selectorELNS0_4arch9wavefront6targetE1EEEvSF_
; %bb.0:
	.section	.rodata,"a",@progbits
	.p2align	6, 0x0
	.amdhsa_kernel _ZN7rocprim17ROCPRIM_400000_NS6detail17trampoline_kernelINS0_14default_configENS1_38merge_sort_block_merge_config_selectorItNS0_10empty_typeEEEZZNS1_27merge_sort_block_merge_implIS3_PtPS5_jNS1_19radix_merge_compareILb0ELb0EtNS0_19identity_decomposerEEEEE10hipError_tT0_T1_T2_jT3_P12ihipStream_tbPNSt15iterator_traitsISE_E10value_typeEPNSK_ISF_E10value_typeEPSG_NS1_7vsmem_tEENKUlT_SE_SF_SG_E_clIS8_S8_S9_S9_EESD_ST_SE_SF_SG_EUlST_E0_NS1_11comp_targetILNS1_3genE9ELNS1_11target_archE1100ELNS1_3gpuE3ELNS1_3repE0EEENS1_38merge_mergepath_config_static_selectorELNS0_4arch9wavefront6targetE1EEEvSF_
		.amdhsa_group_segment_fixed_size 0
		.amdhsa_private_segment_fixed_size 0
		.amdhsa_kernarg_size 64
		.amdhsa_user_sgpr_count 6
		.amdhsa_user_sgpr_private_segment_buffer 1
		.amdhsa_user_sgpr_dispatch_ptr 0
		.amdhsa_user_sgpr_queue_ptr 0
		.amdhsa_user_sgpr_kernarg_segment_ptr 1
		.amdhsa_user_sgpr_dispatch_id 0
		.amdhsa_user_sgpr_flat_scratch_init 0
		.amdhsa_user_sgpr_kernarg_preload_length 0
		.amdhsa_user_sgpr_kernarg_preload_offset 0
		.amdhsa_user_sgpr_private_segment_size 0
		.amdhsa_uses_dynamic_stack 0
		.amdhsa_system_sgpr_private_segment_wavefront_offset 0
		.amdhsa_system_sgpr_workgroup_id_x 1
		.amdhsa_system_sgpr_workgroup_id_y 0
		.amdhsa_system_sgpr_workgroup_id_z 0
		.amdhsa_system_sgpr_workgroup_info 0
		.amdhsa_system_vgpr_workitem_id 0
		.amdhsa_next_free_vgpr 1
		.amdhsa_next_free_sgpr 0
		.amdhsa_accum_offset 4
		.amdhsa_reserve_vcc 0
		.amdhsa_reserve_flat_scratch 0
		.amdhsa_float_round_mode_32 0
		.amdhsa_float_round_mode_16_64 0
		.amdhsa_float_denorm_mode_32 3
		.amdhsa_float_denorm_mode_16_64 3
		.amdhsa_dx10_clamp 1
		.amdhsa_ieee_mode 1
		.amdhsa_fp16_overflow 0
		.amdhsa_tg_split 0
		.amdhsa_exception_fp_ieee_invalid_op 0
		.amdhsa_exception_fp_denorm_src 0
		.amdhsa_exception_fp_ieee_div_zero 0
		.amdhsa_exception_fp_ieee_overflow 0
		.amdhsa_exception_fp_ieee_underflow 0
		.amdhsa_exception_fp_ieee_inexact 0
		.amdhsa_exception_int_div_zero 0
	.end_amdhsa_kernel
	.section	.text._ZN7rocprim17ROCPRIM_400000_NS6detail17trampoline_kernelINS0_14default_configENS1_38merge_sort_block_merge_config_selectorItNS0_10empty_typeEEEZZNS1_27merge_sort_block_merge_implIS3_PtPS5_jNS1_19radix_merge_compareILb0ELb0EtNS0_19identity_decomposerEEEEE10hipError_tT0_T1_T2_jT3_P12ihipStream_tbPNSt15iterator_traitsISE_E10value_typeEPNSK_ISF_E10value_typeEPSG_NS1_7vsmem_tEENKUlT_SE_SF_SG_E_clIS8_S8_S9_S9_EESD_ST_SE_SF_SG_EUlST_E0_NS1_11comp_targetILNS1_3genE9ELNS1_11target_archE1100ELNS1_3gpuE3ELNS1_3repE0EEENS1_38merge_mergepath_config_static_selectorELNS0_4arch9wavefront6targetE1EEEvSF_,"axG",@progbits,_ZN7rocprim17ROCPRIM_400000_NS6detail17trampoline_kernelINS0_14default_configENS1_38merge_sort_block_merge_config_selectorItNS0_10empty_typeEEEZZNS1_27merge_sort_block_merge_implIS3_PtPS5_jNS1_19radix_merge_compareILb0ELb0EtNS0_19identity_decomposerEEEEE10hipError_tT0_T1_T2_jT3_P12ihipStream_tbPNSt15iterator_traitsISE_E10value_typeEPNSK_ISF_E10value_typeEPSG_NS1_7vsmem_tEENKUlT_SE_SF_SG_E_clIS8_S8_S9_S9_EESD_ST_SE_SF_SG_EUlST_E0_NS1_11comp_targetILNS1_3genE9ELNS1_11target_archE1100ELNS1_3gpuE3ELNS1_3repE0EEENS1_38merge_mergepath_config_static_selectorELNS0_4arch9wavefront6targetE1EEEvSF_,comdat
.Lfunc_end480:
	.size	_ZN7rocprim17ROCPRIM_400000_NS6detail17trampoline_kernelINS0_14default_configENS1_38merge_sort_block_merge_config_selectorItNS0_10empty_typeEEEZZNS1_27merge_sort_block_merge_implIS3_PtPS5_jNS1_19radix_merge_compareILb0ELb0EtNS0_19identity_decomposerEEEEE10hipError_tT0_T1_T2_jT3_P12ihipStream_tbPNSt15iterator_traitsISE_E10value_typeEPNSK_ISF_E10value_typeEPSG_NS1_7vsmem_tEENKUlT_SE_SF_SG_E_clIS8_S8_S9_S9_EESD_ST_SE_SF_SG_EUlST_E0_NS1_11comp_targetILNS1_3genE9ELNS1_11target_archE1100ELNS1_3gpuE3ELNS1_3repE0EEENS1_38merge_mergepath_config_static_selectorELNS0_4arch9wavefront6targetE1EEEvSF_, .Lfunc_end480-_ZN7rocprim17ROCPRIM_400000_NS6detail17trampoline_kernelINS0_14default_configENS1_38merge_sort_block_merge_config_selectorItNS0_10empty_typeEEEZZNS1_27merge_sort_block_merge_implIS3_PtPS5_jNS1_19radix_merge_compareILb0ELb0EtNS0_19identity_decomposerEEEEE10hipError_tT0_T1_T2_jT3_P12ihipStream_tbPNSt15iterator_traitsISE_E10value_typeEPNSK_ISF_E10value_typeEPSG_NS1_7vsmem_tEENKUlT_SE_SF_SG_E_clIS8_S8_S9_S9_EESD_ST_SE_SF_SG_EUlST_E0_NS1_11comp_targetILNS1_3genE9ELNS1_11target_archE1100ELNS1_3gpuE3ELNS1_3repE0EEENS1_38merge_mergepath_config_static_selectorELNS0_4arch9wavefront6targetE1EEEvSF_
                                        ; -- End function
	.section	.AMDGPU.csdata,"",@progbits
; Kernel info:
; codeLenInByte = 0
; NumSgprs: 4
; NumVgprs: 0
; NumAgprs: 0
; TotalNumVgprs: 0
; ScratchSize: 0
; MemoryBound: 0
; FloatMode: 240
; IeeeMode: 1
; LDSByteSize: 0 bytes/workgroup (compile time only)
; SGPRBlocks: 0
; VGPRBlocks: 0
; NumSGPRsForWavesPerEU: 4
; NumVGPRsForWavesPerEU: 1
; AccumOffset: 4
; Occupancy: 8
; WaveLimiterHint : 0
; COMPUTE_PGM_RSRC2:SCRATCH_EN: 0
; COMPUTE_PGM_RSRC2:USER_SGPR: 6
; COMPUTE_PGM_RSRC2:TRAP_HANDLER: 0
; COMPUTE_PGM_RSRC2:TGID_X_EN: 1
; COMPUTE_PGM_RSRC2:TGID_Y_EN: 0
; COMPUTE_PGM_RSRC2:TGID_Z_EN: 0
; COMPUTE_PGM_RSRC2:TIDIG_COMP_CNT: 0
; COMPUTE_PGM_RSRC3_GFX90A:ACCUM_OFFSET: 0
; COMPUTE_PGM_RSRC3_GFX90A:TG_SPLIT: 0
	.section	.text._ZN7rocprim17ROCPRIM_400000_NS6detail17trampoline_kernelINS0_14default_configENS1_38merge_sort_block_merge_config_selectorItNS0_10empty_typeEEEZZNS1_27merge_sort_block_merge_implIS3_PtPS5_jNS1_19radix_merge_compareILb0ELb0EtNS0_19identity_decomposerEEEEE10hipError_tT0_T1_T2_jT3_P12ihipStream_tbPNSt15iterator_traitsISE_E10value_typeEPNSK_ISF_E10value_typeEPSG_NS1_7vsmem_tEENKUlT_SE_SF_SG_E_clIS8_S8_S9_S9_EESD_ST_SE_SF_SG_EUlST_E0_NS1_11comp_targetILNS1_3genE8ELNS1_11target_archE1030ELNS1_3gpuE2ELNS1_3repE0EEENS1_38merge_mergepath_config_static_selectorELNS0_4arch9wavefront6targetE1EEEvSF_,"axG",@progbits,_ZN7rocprim17ROCPRIM_400000_NS6detail17trampoline_kernelINS0_14default_configENS1_38merge_sort_block_merge_config_selectorItNS0_10empty_typeEEEZZNS1_27merge_sort_block_merge_implIS3_PtPS5_jNS1_19radix_merge_compareILb0ELb0EtNS0_19identity_decomposerEEEEE10hipError_tT0_T1_T2_jT3_P12ihipStream_tbPNSt15iterator_traitsISE_E10value_typeEPNSK_ISF_E10value_typeEPSG_NS1_7vsmem_tEENKUlT_SE_SF_SG_E_clIS8_S8_S9_S9_EESD_ST_SE_SF_SG_EUlST_E0_NS1_11comp_targetILNS1_3genE8ELNS1_11target_archE1030ELNS1_3gpuE2ELNS1_3repE0EEENS1_38merge_mergepath_config_static_selectorELNS0_4arch9wavefront6targetE1EEEvSF_,comdat
	.protected	_ZN7rocprim17ROCPRIM_400000_NS6detail17trampoline_kernelINS0_14default_configENS1_38merge_sort_block_merge_config_selectorItNS0_10empty_typeEEEZZNS1_27merge_sort_block_merge_implIS3_PtPS5_jNS1_19radix_merge_compareILb0ELb0EtNS0_19identity_decomposerEEEEE10hipError_tT0_T1_T2_jT3_P12ihipStream_tbPNSt15iterator_traitsISE_E10value_typeEPNSK_ISF_E10value_typeEPSG_NS1_7vsmem_tEENKUlT_SE_SF_SG_E_clIS8_S8_S9_S9_EESD_ST_SE_SF_SG_EUlST_E0_NS1_11comp_targetILNS1_3genE8ELNS1_11target_archE1030ELNS1_3gpuE2ELNS1_3repE0EEENS1_38merge_mergepath_config_static_selectorELNS0_4arch9wavefront6targetE1EEEvSF_ ; -- Begin function _ZN7rocprim17ROCPRIM_400000_NS6detail17trampoline_kernelINS0_14default_configENS1_38merge_sort_block_merge_config_selectorItNS0_10empty_typeEEEZZNS1_27merge_sort_block_merge_implIS3_PtPS5_jNS1_19radix_merge_compareILb0ELb0EtNS0_19identity_decomposerEEEEE10hipError_tT0_T1_T2_jT3_P12ihipStream_tbPNSt15iterator_traitsISE_E10value_typeEPNSK_ISF_E10value_typeEPSG_NS1_7vsmem_tEENKUlT_SE_SF_SG_E_clIS8_S8_S9_S9_EESD_ST_SE_SF_SG_EUlST_E0_NS1_11comp_targetILNS1_3genE8ELNS1_11target_archE1030ELNS1_3gpuE2ELNS1_3repE0EEENS1_38merge_mergepath_config_static_selectorELNS0_4arch9wavefront6targetE1EEEvSF_
	.globl	_ZN7rocprim17ROCPRIM_400000_NS6detail17trampoline_kernelINS0_14default_configENS1_38merge_sort_block_merge_config_selectorItNS0_10empty_typeEEEZZNS1_27merge_sort_block_merge_implIS3_PtPS5_jNS1_19radix_merge_compareILb0ELb0EtNS0_19identity_decomposerEEEEE10hipError_tT0_T1_T2_jT3_P12ihipStream_tbPNSt15iterator_traitsISE_E10value_typeEPNSK_ISF_E10value_typeEPSG_NS1_7vsmem_tEENKUlT_SE_SF_SG_E_clIS8_S8_S9_S9_EESD_ST_SE_SF_SG_EUlST_E0_NS1_11comp_targetILNS1_3genE8ELNS1_11target_archE1030ELNS1_3gpuE2ELNS1_3repE0EEENS1_38merge_mergepath_config_static_selectorELNS0_4arch9wavefront6targetE1EEEvSF_
	.p2align	8
	.type	_ZN7rocprim17ROCPRIM_400000_NS6detail17trampoline_kernelINS0_14default_configENS1_38merge_sort_block_merge_config_selectorItNS0_10empty_typeEEEZZNS1_27merge_sort_block_merge_implIS3_PtPS5_jNS1_19radix_merge_compareILb0ELb0EtNS0_19identity_decomposerEEEEE10hipError_tT0_T1_T2_jT3_P12ihipStream_tbPNSt15iterator_traitsISE_E10value_typeEPNSK_ISF_E10value_typeEPSG_NS1_7vsmem_tEENKUlT_SE_SF_SG_E_clIS8_S8_S9_S9_EESD_ST_SE_SF_SG_EUlST_E0_NS1_11comp_targetILNS1_3genE8ELNS1_11target_archE1030ELNS1_3gpuE2ELNS1_3repE0EEENS1_38merge_mergepath_config_static_selectorELNS0_4arch9wavefront6targetE1EEEvSF_,@function
_ZN7rocprim17ROCPRIM_400000_NS6detail17trampoline_kernelINS0_14default_configENS1_38merge_sort_block_merge_config_selectorItNS0_10empty_typeEEEZZNS1_27merge_sort_block_merge_implIS3_PtPS5_jNS1_19radix_merge_compareILb0ELb0EtNS0_19identity_decomposerEEEEE10hipError_tT0_T1_T2_jT3_P12ihipStream_tbPNSt15iterator_traitsISE_E10value_typeEPNSK_ISF_E10value_typeEPSG_NS1_7vsmem_tEENKUlT_SE_SF_SG_E_clIS8_S8_S9_S9_EESD_ST_SE_SF_SG_EUlST_E0_NS1_11comp_targetILNS1_3genE8ELNS1_11target_archE1030ELNS1_3gpuE2ELNS1_3repE0EEENS1_38merge_mergepath_config_static_selectorELNS0_4arch9wavefront6targetE1EEEvSF_: ; @_ZN7rocprim17ROCPRIM_400000_NS6detail17trampoline_kernelINS0_14default_configENS1_38merge_sort_block_merge_config_selectorItNS0_10empty_typeEEEZZNS1_27merge_sort_block_merge_implIS3_PtPS5_jNS1_19radix_merge_compareILb0ELb0EtNS0_19identity_decomposerEEEEE10hipError_tT0_T1_T2_jT3_P12ihipStream_tbPNSt15iterator_traitsISE_E10value_typeEPNSK_ISF_E10value_typeEPSG_NS1_7vsmem_tEENKUlT_SE_SF_SG_E_clIS8_S8_S9_S9_EESD_ST_SE_SF_SG_EUlST_E0_NS1_11comp_targetILNS1_3genE8ELNS1_11target_archE1030ELNS1_3gpuE2ELNS1_3repE0EEENS1_38merge_mergepath_config_static_selectorELNS0_4arch9wavefront6targetE1EEEvSF_
; %bb.0:
	.section	.rodata,"a",@progbits
	.p2align	6, 0x0
	.amdhsa_kernel _ZN7rocprim17ROCPRIM_400000_NS6detail17trampoline_kernelINS0_14default_configENS1_38merge_sort_block_merge_config_selectorItNS0_10empty_typeEEEZZNS1_27merge_sort_block_merge_implIS3_PtPS5_jNS1_19radix_merge_compareILb0ELb0EtNS0_19identity_decomposerEEEEE10hipError_tT0_T1_T2_jT3_P12ihipStream_tbPNSt15iterator_traitsISE_E10value_typeEPNSK_ISF_E10value_typeEPSG_NS1_7vsmem_tEENKUlT_SE_SF_SG_E_clIS8_S8_S9_S9_EESD_ST_SE_SF_SG_EUlST_E0_NS1_11comp_targetILNS1_3genE8ELNS1_11target_archE1030ELNS1_3gpuE2ELNS1_3repE0EEENS1_38merge_mergepath_config_static_selectorELNS0_4arch9wavefront6targetE1EEEvSF_
		.amdhsa_group_segment_fixed_size 0
		.amdhsa_private_segment_fixed_size 0
		.amdhsa_kernarg_size 64
		.amdhsa_user_sgpr_count 6
		.amdhsa_user_sgpr_private_segment_buffer 1
		.amdhsa_user_sgpr_dispatch_ptr 0
		.amdhsa_user_sgpr_queue_ptr 0
		.amdhsa_user_sgpr_kernarg_segment_ptr 1
		.amdhsa_user_sgpr_dispatch_id 0
		.amdhsa_user_sgpr_flat_scratch_init 0
		.amdhsa_user_sgpr_kernarg_preload_length 0
		.amdhsa_user_sgpr_kernarg_preload_offset 0
		.amdhsa_user_sgpr_private_segment_size 0
		.amdhsa_uses_dynamic_stack 0
		.amdhsa_system_sgpr_private_segment_wavefront_offset 0
		.amdhsa_system_sgpr_workgroup_id_x 1
		.amdhsa_system_sgpr_workgroup_id_y 0
		.amdhsa_system_sgpr_workgroup_id_z 0
		.amdhsa_system_sgpr_workgroup_info 0
		.amdhsa_system_vgpr_workitem_id 0
		.amdhsa_next_free_vgpr 1
		.amdhsa_next_free_sgpr 0
		.amdhsa_accum_offset 4
		.amdhsa_reserve_vcc 0
		.amdhsa_reserve_flat_scratch 0
		.amdhsa_float_round_mode_32 0
		.amdhsa_float_round_mode_16_64 0
		.amdhsa_float_denorm_mode_32 3
		.amdhsa_float_denorm_mode_16_64 3
		.amdhsa_dx10_clamp 1
		.amdhsa_ieee_mode 1
		.amdhsa_fp16_overflow 0
		.amdhsa_tg_split 0
		.amdhsa_exception_fp_ieee_invalid_op 0
		.amdhsa_exception_fp_denorm_src 0
		.amdhsa_exception_fp_ieee_div_zero 0
		.amdhsa_exception_fp_ieee_overflow 0
		.amdhsa_exception_fp_ieee_underflow 0
		.amdhsa_exception_fp_ieee_inexact 0
		.amdhsa_exception_int_div_zero 0
	.end_amdhsa_kernel
	.section	.text._ZN7rocprim17ROCPRIM_400000_NS6detail17trampoline_kernelINS0_14default_configENS1_38merge_sort_block_merge_config_selectorItNS0_10empty_typeEEEZZNS1_27merge_sort_block_merge_implIS3_PtPS5_jNS1_19radix_merge_compareILb0ELb0EtNS0_19identity_decomposerEEEEE10hipError_tT0_T1_T2_jT3_P12ihipStream_tbPNSt15iterator_traitsISE_E10value_typeEPNSK_ISF_E10value_typeEPSG_NS1_7vsmem_tEENKUlT_SE_SF_SG_E_clIS8_S8_S9_S9_EESD_ST_SE_SF_SG_EUlST_E0_NS1_11comp_targetILNS1_3genE8ELNS1_11target_archE1030ELNS1_3gpuE2ELNS1_3repE0EEENS1_38merge_mergepath_config_static_selectorELNS0_4arch9wavefront6targetE1EEEvSF_,"axG",@progbits,_ZN7rocprim17ROCPRIM_400000_NS6detail17trampoline_kernelINS0_14default_configENS1_38merge_sort_block_merge_config_selectorItNS0_10empty_typeEEEZZNS1_27merge_sort_block_merge_implIS3_PtPS5_jNS1_19radix_merge_compareILb0ELb0EtNS0_19identity_decomposerEEEEE10hipError_tT0_T1_T2_jT3_P12ihipStream_tbPNSt15iterator_traitsISE_E10value_typeEPNSK_ISF_E10value_typeEPSG_NS1_7vsmem_tEENKUlT_SE_SF_SG_E_clIS8_S8_S9_S9_EESD_ST_SE_SF_SG_EUlST_E0_NS1_11comp_targetILNS1_3genE8ELNS1_11target_archE1030ELNS1_3gpuE2ELNS1_3repE0EEENS1_38merge_mergepath_config_static_selectorELNS0_4arch9wavefront6targetE1EEEvSF_,comdat
.Lfunc_end481:
	.size	_ZN7rocprim17ROCPRIM_400000_NS6detail17trampoline_kernelINS0_14default_configENS1_38merge_sort_block_merge_config_selectorItNS0_10empty_typeEEEZZNS1_27merge_sort_block_merge_implIS3_PtPS5_jNS1_19radix_merge_compareILb0ELb0EtNS0_19identity_decomposerEEEEE10hipError_tT0_T1_T2_jT3_P12ihipStream_tbPNSt15iterator_traitsISE_E10value_typeEPNSK_ISF_E10value_typeEPSG_NS1_7vsmem_tEENKUlT_SE_SF_SG_E_clIS8_S8_S9_S9_EESD_ST_SE_SF_SG_EUlST_E0_NS1_11comp_targetILNS1_3genE8ELNS1_11target_archE1030ELNS1_3gpuE2ELNS1_3repE0EEENS1_38merge_mergepath_config_static_selectorELNS0_4arch9wavefront6targetE1EEEvSF_, .Lfunc_end481-_ZN7rocprim17ROCPRIM_400000_NS6detail17trampoline_kernelINS0_14default_configENS1_38merge_sort_block_merge_config_selectorItNS0_10empty_typeEEEZZNS1_27merge_sort_block_merge_implIS3_PtPS5_jNS1_19radix_merge_compareILb0ELb0EtNS0_19identity_decomposerEEEEE10hipError_tT0_T1_T2_jT3_P12ihipStream_tbPNSt15iterator_traitsISE_E10value_typeEPNSK_ISF_E10value_typeEPSG_NS1_7vsmem_tEENKUlT_SE_SF_SG_E_clIS8_S8_S9_S9_EESD_ST_SE_SF_SG_EUlST_E0_NS1_11comp_targetILNS1_3genE8ELNS1_11target_archE1030ELNS1_3gpuE2ELNS1_3repE0EEENS1_38merge_mergepath_config_static_selectorELNS0_4arch9wavefront6targetE1EEEvSF_
                                        ; -- End function
	.section	.AMDGPU.csdata,"",@progbits
; Kernel info:
; codeLenInByte = 0
; NumSgprs: 4
; NumVgprs: 0
; NumAgprs: 0
; TotalNumVgprs: 0
; ScratchSize: 0
; MemoryBound: 0
; FloatMode: 240
; IeeeMode: 1
; LDSByteSize: 0 bytes/workgroup (compile time only)
; SGPRBlocks: 0
; VGPRBlocks: 0
; NumSGPRsForWavesPerEU: 4
; NumVGPRsForWavesPerEU: 1
; AccumOffset: 4
; Occupancy: 8
; WaveLimiterHint : 0
; COMPUTE_PGM_RSRC2:SCRATCH_EN: 0
; COMPUTE_PGM_RSRC2:USER_SGPR: 6
; COMPUTE_PGM_RSRC2:TRAP_HANDLER: 0
; COMPUTE_PGM_RSRC2:TGID_X_EN: 1
; COMPUTE_PGM_RSRC2:TGID_Y_EN: 0
; COMPUTE_PGM_RSRC2:TGID_Z_EN: 0
; COMPUTE_PGM_RSRC2:TIDIG_COMP_CNT: 0
; COMPUTE_PGM_RSRC3_GFX90A:ACCUM_OFFSET: 0
; COMPUTE_PGM_RSRC3_GFX90A:TG_SPLIT: 0
	.section	.text._ZN7rocprim17ROCPRIM_400000_NS6detail17trampoline_kernelINS0_14default_configENS1_38merge_sort_block_merge_config_selectorItNS0_10empty_typeEEEZZNS1_27merge_sort_block_merge_implIS3_PtPS5_jNS1_19radix_merge_compareILb0ELb0EtNS0_19identity_decomposerEEEEE10hipError_tT0_T1_T2_jT3_P12ihipStream_tbPNSt15iterator_traitsISE_E10value_typeEPNSK_ISF_E10value_typeEPSG_NS1_7vsmem_tEENKUlT_SE_SF_SG_E_clIS8_S8_S9_S9_EESD_ST_SE_SF_SG_EUlST_E1_NS1_11comp_targetILNS1_3genE0ELNS1_11target_archE4294967295ELNS1_3gpuE0ELNS1_3repE0EEENS1_36merge_oddeven_config_static_selectorELNS0_4arch9wavefront6targetE1EEEvSF_,"axG",@progbits,_ZN7rocprim17ROCPRIM_400000_NS6detail17trampoline_kernelINS0_14default_configENS1_38merge_sort_block_merge_config_selectorItNS0_10empty_typeEEEZZNS1_27merge_sort_block_merge_implIS3_PtPS5_jNS1_19radix_merge_compareILb0ELb0EtNS0_19identity_decomposerEEEEE10hipError_tT0_T1_T2_jT3_P12ihipStream_tbPNSt15iterator_traitsISE_E10value_typeEPNSK_ISF_E10value_typeEPSG_NS1_7vsmem_tEENKUlT_SE_SF_SG_E_clIS8_S8_S9_S9_EESD_ST_SE_SF_SG_EUlST_E1_NS1_11comp_targetILNS1_3genE0ELNS1_11target_archE4294967295ELNS1_3gpuE0ELNS1_3repE0EEENS1_36merge_oddeven_config_static_selectorELNS0_4arch9wavefront6targetE1EEEvSF_,comdat
	.protected	_ZN7rocprim17ROCPRIM_400000_NS6detail17trampoline_kernelINS0_14default_configENS1_38merge_sort_block_merge_config_selectorItNS0_10empty_typeEEEZZNS1_27merge_sort_block_merge_implIS3_PtPS5_jNS1_19radix_merge_compareILb0ELb0EtNS0_19identity_decomposerEEEEE10hipError_tT0_T1_T2_jT3_P12ihipStream_tbPNSt15iterator_traitsISE_E10value_typeEPNSK_ISF_E10value_typeEPSG_NS1_7vsmem_tEENKUlT_SE_SF_SG_E_clIS8_S8_S9_S9_EESD_ST_SE_SF_SG_EUlST_E1_NS1_11comp_targetILNS1_3genE0ELNS1_11target_archE4294967295ELNS1_3gpuE0ELNS1_3repE0EEENS1_36merge_oddeven_config_static_selectorELNS0_4arch9wavefront6targetE1EEEvSF_ ; -- Begin function _ZN7rocprim17ROCPRIM_400000_NS6detail17trampoline_kernelINS0_14default_configENS1_38merge_sort_block_merge_config_selectorItNS0_10empty_typeEEEZZNS1_27merge_sort_block_merge_implIS3_PtPS5_jNS1_19radix_merge_compareILb0ELb0EtNS0_19identity_decomposerEEEEE10hipError_tT0_T1_T2_jT3_P12ihipStream_tbPNSt15iterator_traitsISE_E10value_typeEPNSK_ISF_E10value_typeEPSG_NS1_7vsmem_tEENKUlT_SE_SF_SG_E_clIS8_S8_S9_S9_EESD_ST_SE_SF_SG_EUlST_E1_NS1_11comp_targetILNS1_3genE0ELNS1_11target_archE4294967295ELNS1_3gpuE0ELNS1_3repE0EEENS1_36merge_oddeven_config_static_selectorELNS0_4arch9wavefront6targetE1EEEvSF_
	.globl	_ZN7rocprim17ROCPRIM_400000_NS6detail17trampoline_kernelINS0_14default_configENS1_38merge_sort_block_merge_config_selectorItNS0_10empty_typeEEEZZNS1_27merge_sort_block_merge_implIS3_PtPS5_jNS1_19radix_merge_compareILb0ELb0EtNS0_19identity_decomposerEEEEE10hipError_tT0_T1_T2_jT3_P12ihipStream_tbPNSt15iterator_traitsISE_E10value_typeEPNSK_ISF_E10value_typeEPSG_NS1_7vsmem_tEENKUlT_SE_SF_SG_E_clIS8_S8_S9_S9_EESD_ST_SE_SF_SG_EUlST_E1_NS1_11comp_targetILNS1_3genE0ELNS1_11target_archE4294967295ELNS1_3gpuE0ELNS1_3repE0EEENS1_36merge_oddeven_config_static_selectorELNS0_4arch9wavefront6targetE1EEEvSF_
	.p2align	8
	.type	_ZN7rocprim17ROCPRIM_400000_NS6detail17trampoline_kernelINS0_14default_configENS1_38merge_sort_block_merge_config_selectorItNS0_10empty_typeEEEZZNS1_27merge_sort_block_merge_implIS3_PtPS5_jNS1_19radix_merge_compareILb0ELb0EtNS0_19identity_decomposerEEEEE10hipError_tT0_T1_T2_jT3_P12ihipStream_tbPNSt15iterator_traitsISE_E10value_typeEPNSK_ISF_E10value_typeEPSG_NS1_7vsmem_tEENKUlT_SE_SF_SG_E_clIS8_S8_S9_S9_EESD_ST_SE_SF_SG_EUlST_E1_NS1_11comp_targetILNS1_3genE0ELNS1_11target_archE4294967295ELNS1_3gpuE0ELNS1_3repE0EEENS1_36merge_oddeven_config_static_selectorELNS0_4arch9wavefront6targetE1EEEvSF_,@function
_ZN7rocprim17ROCPRIM_400000_NS6detail17trampoline_kernelINS0_14default_configENS1_38merge_sort_block_merge_config_selectorItNS0_10empty_typeEEEZZNS1_27merge_sort_block_merge_implIS3_PtPS5_jNS1_19radix_merge_compareILb0ELb0EtNS0_19identity_decomposerEEEEE10hipError_tT0_T1_T2_jT3_P12ihipStream_tbPNSt15iterator_traitsISE_E10value_typeEPNSK_ISF_E10value_typeEPSG_NS1_7vsmem_tEENKUlT_SE_SF_SG_E_clIS8_S8_S9_S9_EESD_ST_SE_SF_SG_EUlST_E1_NS1_11comp_targetILNS1_3genE0ELNS1_11target_archE4294967295ELNS1_3gpuE0ELNS1_3repE0EEENS1_36merge_oddeven_config_static_selectorELNS0_4arch9wavefront6targetE1EEEvSF_: ; @_ZN7rocprim17ROCPRIM_400000_NS6detail17trampoline_kernelINS0_14default_configENS1_38merge_sort_block_merge_config_selectorItNS0_10empty_typeEEEZZNS1_27merge_sort_block_merge_implIS3_PtPS5_jNS1_19radix_merge_compareILb0ELb0EtNS0_19identity_decomposerEEEEE10hipError_tT0_T1_T2_jT3_P12ihipStream_tbPNSt15iterator_traitsISE_E10value_typeEPNSK_ISF_E10value_typeEPSG_NS1_7vsmem_tEENKUlT_SE_SF_SG_E_clIS8_S8_S9_S9_EESD_ST_SE_SF_SG_EUlST_E1_NS1_11comp_targetILNS1_3genE0ELNS1_11target_archE4294967295ELNS1_3gpuE0ELNS1_3repE0EEENS1_36merge_oddeven_config_static_selectorELNS0_4arch9wavefront6targetE1EEEvSF_
; %bb.0:
	.section	.rodata,"a",@progbits
	.p2align	6, 0x0
	.amdhsa_kernel _ZN7rocprim17ROCPRIM_400000_NS6detail17trampoline_kernelINS0_14default_configENS1_38merge_sort_block_merge_config_selectorItNS0_10empty_typeEEEZZNS1_27merge_sort_block_merge_implIS3_PtPS5_jNS1_19radix_merge_compareILb0ELb0EtNS0_19identity_decomposerEEEEE10hipError_tT0_T1_T2_jT3_P12ihipStream_tbPNSt15iterator_traitsISE_E10value_typeEPNSK_ISF_E10value_typeEPSG_NS1_7vsmem_tEENKUlT_SE_SF_SG_E_clIS8_S8_S9_S9_EESD_ST_SE_SF_SG_EUlST_E1_NS1_11comp_targetILNS1_3genE0ELNS1_11target_archE4294967295ELNS1_3gpuE0ELNS1_3repE0EEENS1_36merge_oddeven_config_static_selectorELNS0_4arch9wavefront6targetE1EEEvSF_
		.amdhsa_group_segment_fixed_size 0
		.amdhsa_private_segment_fixed_size 0
		.amdhsa_kernarg_size 48
		.amdhsa_user_sgpr_count 6
		.amdhsa_user_sgpr_private_segment_buffer 1
		.amdhsa_user_sgpr_dispatch_ptr 0
		.amdhsa_user_sgpr_queue_ptr 0
		.amdhsa_user_sgpr_kernarg_segment_ptr 1
		.amdhsa_user_sgpr_dispatch_id 0
		.amdhsa_user_sgpr_flat_scratch_init 0
		.amdhsa_user_sgpr_kernarg_preload_length 0
		.amdhsa_user_sgpr_kernarg_preload_offset 0
		.amdhsa_user_sgpr_private_segment_size 0
		.amdhsa_uses_dynamic_stack 0
		.amdhsa_system_sgpr_private_segment_wavefront_offset 0
		.amdhsa_system_sgpr_workgroup_id_x 1
		.amdhsa_system_sgpr_workgroup_id_y 0
		.amdhsa_system_sgpr_workgroup_id_z 0
		.amdhsa_system_sgpr_workgroup_info 0
		.amdhsa_system_vgpr_workitem_id 0
		.amdhsa_next_free_vgpr 1
		.amdhsa_next_free_sgpr 0
		.amdhsa_accum_offset 4
		.amdhsa_reserve_vcc 0
		.amdhsa_reserve_flat_scratch 0
		.amdhsa_float_round_mode_32 0
		.amdhsa_float_round_mode_16_64 0
		.amdhsa_float_denorm_mode_32 3
		.amdhsa_float_denorm_mode_16_64 3
		.amdhsa_dx10_clamp 1
		.amdhsa_ieee_mode 1
		.amdhsa_fp16_overflow 0
		.amdhsa_tg_split 0
		.amdhsa_exception_fp_ieee_invalid_op 0
		.amdhsa_exception_fp_denorm_src 0
		.amdhsa_exception_fp_ieee_div_zero 0
		.amdhsa_exception_fp_ieee_overflow 0
		.amdhsa_exception_fp_ieee_underflow 0
		.amdhsa_exception_fp_ieee_inexact 0
		.amdhsa_exception_int_div_zero 0
	.end_amdhsa_kernel
	.section	.text._ZN7rocprim17ROCPRIM_400000_NS6detail17trampoline_kernelINS0_14default_configENS1_38merge_sort_block_merge_config_selectorItNS0_10empty_typeEEEZZNS1_27merge_sort_block_merge_implIS3_PtPS5_jNS1_19radix_merge_compareILb0ELb0EtNS0_19identity_decomposerEEEEE10hipError_tT0_T1_T2_jT3_P12ihipStream_tbPNSt15iterator_traitsISE_E10value_typeEPNSK_ISF_E10value_typeEPSG_NS1_7vsmem_tEENKUlT_SE_SF_SG_E_clIS8_S8_S9_S9_EESD_ST_SE_SF_SG_EUlST_E1_NS1_11comp_targetILNS1_3genE0ELNS1_11target_archE4294967295ELNS1_3gpuE0ELNS1_3repE0EEENS1_36merge_oddeven_config_static_selectorELNS0_4arch9wavefront6targetE1EEEvSF_,"axG",@progbits,_ZN7rocprim17ROCPRIM_400000_NS6detail17trampoline_kernelINS0_14default_configENS1_38merge_sort_block_merge_config_selectorItNS0_10empty_typeEEEZZNS1_27merge_sort_block_merge_implIS3_PtPS5_jNS1_19radix_merge_compareILb0ELb0EtNS0_19identity_decomposerEEEEE10hipError_tT0_T1_T2_jT3_P12ihipStream_tbPNSt15iterator_traitsISE_E10value_typeEPNSK_ISF_E10value_typeEPSG_NS1_7vsmem_tEENKUlT_SE_SF_SG_E_clIS8_S8_S9_S9_EESD_ST_SE_SF_SG_EUlST_E1_NS1_11comp_targetILNS1_3genE0ELNS1_11target_archE4294967295ELNS1_3gpuE0ELNS1_3repE0EEENS1_36merge_oddeven_config_static_selectorELNS0_4arch9wavefront6targetE1EEEvSF_,comdat
.Lfunc_end482:
	.size	_ZN7rocprim17ROCPRIM_400000_NS6detail17trampoline_kernelINS0_14default_configENS1_38merge_sort_block_merge_config_selectorItNS0_10empty_typeEEEZZNS1_27merge_sort_block_merge_implIS3_PtPS5_jNS1_19radix_merge_compareILb0ELb0EtNS0_19identity_decomposerEEEEE10hipError_tT0_T1_T2_jT3_P12ihipStream_tbPNSt15iterator_traitsISE_E10value_typeEPNSK_ISF_E10value_typeEPSG_NS1_7vsmem_tEENKUlT_SE_SF_SG_E_clIS8_S8_S9_S9_EESD_ST_SE_SF_SG_EUlST_E1_NS1_11comp_targetILNS1_3genE0ELNS1_11target_archE4294967295ELNS1_3gpuE0ELNS1_3repE0EEENS1_36merge_oddeven_config_static_selectorELNS0_4arch9wavefront6targetE1EEEvSF_, .Lfunc_end482-_ZN7rocprim17ROCPRIM_400000_NS6detail17trampoline_kernelINS0_14default_configENS1_38merge_sort_block_merge_config_selectorItNS0_10empty_typeEEEZZNS1_27merge_sort_block_merge_implIS3_PtPS5_jNS1_19radix_merge_compareILb0ELb0EtNS0_19identity_decomposerEEEEE10hipError_tT0_T1_T2_jT3_P12ihipStream_tbPNSt15iterator_traitsISE_E10value_typeEPNSK_ISF_E10value_typeEPSG_NS1_7vsmem_tEENKUlT_SE_SF_SG_E_clIS8_S8_S9_S9_EESD_ST_SE_SF_SG_EUlST_E1_NS1_11comp_targetILNS1_3genE0ELNS1_11target_archE4294967295ELNS1_3gpuE0ELNS1_3repE0EEENS1_36merge_oddeven_config_static_selectorELNS0_4arch9wavefront6targetE1EEEvSF_
                                        ; -- End function
	.section	.AMDGPU.csdata,"",@progbits
; Kernel info:
; codeLenInByte = 0
; NumSgprs: 4
; NumVgprs: 0
; NumAgprs: 0
; TotalNumVgprs: 0
; ScratchSize: 0
; MemoryBound: 0
; FloatMode: 240
; IeeeMode: 1
; LDSByteSize: 0 bytes/workgroup (compile time only)
; SGPRBlocks: 0
; VGPRBlocks: 0
; NumSGPRsForWavesPerEU: 4
; NumVGPRsForWavesPerEU: 1
; AccumOffset: 4
; Occupancy: 8
; WaveLimiterHint : 0
; COMPUTE_PGM_RSRC2:SCRATCH_EN: 0
; COMPUTE_PGM_RSRC2:USER_SGPR: 6
; COMPUTE_PGM_RSRC2:TRAP_HANDLER: 0
; COMPUTE_PGM_RSRC2:TGID_X_EN: 1
; COMPUTE_PGM_RSRC2:TGID_Y_EN: 0
; COMPUTE_PGM_RSRC2:TGID_Z_EN: 0
; COMPUTE_PGM_RSRC2:TIDIG_COMP_CNT: 0
; COMPUTE_PGM_RSRC3_GFX90A:ACCUM_OFFSET: 0
; COMPUTE_PGM_RSRC3_GFX90A:TG_SPLIT: 0
	.section	.text._ZN7rocprim17ROCPRIM_400000_NS6detail17trampoline_kernelINS0_14default_configENS1_38merge_sort_block_merge_config_selectorItNS0_10empty_typeEEEZZNS1_27merge_sort_block_merge_implIS3_PtPS5_jNS1_19radix_merge_compareILb0ELb0EtNS0_19identity_decomposerEEEEE10hipError_tT0_T1_T2_jT3_P12ihipStream_tbPNSt15iterator_traitsISE_E10value_typeEPNSK_ISF_E10value_typeEPSG_NS1_7vsmem_tEENKUlT_SE_SF_SG_E_clIS8_S8_S9_S9_EESD_ST_SE_SF_SG_EUlST_E1_NS1_11comp_targetILNS1_3genE10ELNS1_11target_archE1201ELNS1_3gpuE5ELNS1_3repE0EEENS1_36merge_oddeven_config_static_selectorELNS0_4arch9wavefront6targetE1EEEvSF_,"axG",@progbits,_ZN7rocprim17ROCPRIM_400000_NS6detail17trampoline_kernelINS0_14default_configENS1_38merge_sort_block_merge_config_selectorItNS0_10empty_typeEEEZZNS1_27merge_sort_block_merge_implIS3_PtPS5_jNS1_19radix_merge_compareILb0ELb0EtNS0_19identity_decomposerEEEEE10hipError_tT0_T1_T2_jT3_P12ihipStream_tbPNSt15iterator_traitsISE_E10value_typeEPNSK_ISF_E10value_typeEPSG_NS1_7vsmem_tEENKUlT_SE_SF_SG_E_clIS8_S8_S9_S9_EESD_ST_SE_SF_SG_EUlST_E1_NS1_11comp_targetILNS1_3genE10ELNS1_11target_archE1201ELNS1_3gpuE5ELNS1_3repE0EEENS1_36merge_oddeven_config_static_selectorELNS0_4arch9wavefront6targetE1EEEvSF_,comdat
	.protected	_ZN7rocprim17ROCPRIM_400000_NS6detail17trampoline_kernelINS0_14default_configENS1_38merge_sort_block_merge_config_selectorItNS0_10empty_typeEEEZZNS1_27merge_sort_block_merge_implIS3_PtPS5_jNS1_19radix_merge_compareILb0ELb0EtNS0_19identity_decomposerEEEEE10hipError_tT0_T1_T2_jT3_P12ihipStream_tbPNSt15iterator_traitsISE_E10value_typeEPNSK_ISF_E10value_typeEPSG_NS1_7vsmem_tEENKUlT_SE_SF_SG_E_clIS8_S8_S9_S9_EESD_ST_SE_SF_SG_EUlST_E1_NS1_11comp_targetILNS1_3genE10ELNS1_11target_archE1201ELNS1_3gpuE5ELNS1_3repE0EEENS1_36merge_oddeven_config_static_selectorELNS0_4arch9wavefront6targetE1EEEvSF_ ; -- Begin function _ZN7rocprim17ROCPRIM_400000_NS6detail17trampoline_kernelINS0_14default_configENS1_38merge_sort_block_merge_config_selectorItNS0_10empty_typeEEEZZNS1_27merge_sort_block_merge_implIS3_PtPS5_jNS1_19radix_merge_compareILb0ELb0EtNS0_19identity_decomposerEEEEE10hipError_tT0_T1_T2_jT3_P12ihipStream_tbPNSt15iterator_traitsISE_E10value_typeEPNSK_ISF_E10value_typeEPSG_NS1_7vsmem_tEENKUlT_SE_SF_SG_E_clIS8_S8_S9_S9_EESD_ST_SE_SF_SG_EUlST_E1_NS1_11comp_targetILNS1_3genE10ELNS1_11target_archE1201ELNS1_3gpuE5ELNS1_3repE0EEENS1_36merge_oddeven_config_static_selectorELNS0_4arch9wavefront6targetE1EEEvSF_
	.globl	_ZN7rocprim17ROCPRIM_400000_NS6detail17trampoline_kernelINS0_14default_configENS1_38merge_sort_block_merge_config_selectorItNS0_10empty_typeEEEZZNS1_27merge_sort_block_merge_implIS3_PtPS5_jNS1_19radix_merge_compareILb0ELb0EtNS0_19identity_decomposerEEEEE10hipError_tT0_T1_T2_jT3_P12ihipStream_tbPNSt15iterator_traitsISE_E10value_typeEPNSK_ISF_E10value_typeEPSG_NS1_7vsmem_tEENKUlT_SE_SF_SG_E_clIS8_S8_S9_S9_EESD_ST_SE_SF_SG_EUlST_E1_NS1_11comp_targetILNS1_3genE10ELNS1_11target_archE1201ELNS1_3gpuE5ELNS1_3repE0EEENS1_36merge_oddeven_config_static_selectorELNS0_4arch9wavefront6targetE1EEEvSF_
	.p2align	8
	.type	_ZN7rocprim17ROCPRIM_400000_NS6detail17trampoline_kernelINS0_14default_configENS1_38merge_sort_block_merge_config_selectorItNS0_10empty_typeEEEZZNS1_27merge_sort_block_merge_implIS3_PtPS5_jNS1_19radix_merge_compareILb0ELb0EtNS0_19identity_decomposerEEEEE10hipError_tT0_T1_T2_jT3_P12ihipStream_tbPNSt15iterator_traitsISE_E10value_typeEPNSK_ISF_E10value_typeEPSG_NS1_7vsmem_tEENKUlT_SE_SF_SG_E_clIS8_S8_S9_S9_EESD_ST_SE_SF_SG_EUlST_E1_NS1_11comp_targetILNS1_3genE10ELNS1_11target_archE1201ELNS1_3gpuE5ELNS1_3repE0EEENS1_36merge_oddeven_config_static_selectorELNS0_4arch9wavefront6targetE1EEEvSF_,@function
_ZN7rocprim17ROCPRIM_400000_NS6detail17trampoline_kernelINS0_14default_configENS1_38merge_sort_block_merge_config_selectorItNS0_10empty_typeEEEZZNS1_27merge_sort_block_merge_implIS3_PtPS5_jNS1_19radix_merge_compareILb0ELb0EtNS0_19identity_decomposerEEEEE10hipError_tT0_T1_T2_jT3_P12ihipStream_tbPNSt15iterator_traitsISE_E10value_typeEPNSK_ISF_E10value_typeEPSG_NS1_7vsmem_tEENKUlT_SE_SF_SG_E_clIS8_S8_S9_S9_EESD_ST_SE_SF_SG_EUlST_E1_NS1_11comp_targetILNS1_3genE10ELNS1_11target_archE1201ELNS1_3gpuE5ELNS1_3repE0EEENS1_36merge_oddeven_config_static_selectorELNS0_4arch9wavefront6targetE1EEEvSF_: ; @_ZN7rocprim17ROCPRIM_400000_NS6detail17trampoline_kernelINS0_14default_configENS1_38merge_sort_block_merge_config_selectorItNS0_10empty_typeEEEZZNS1_27merge_sort_block_merge_implIS3_PtPS5_jNS1_19radix_merge_compareILb0ELb0EtNS0_19identity_decomposerEEEEE10hipError_tT0_T1_T2_jT3_P12ihipStream_tbPNSt15iterator_traitsISE_E10value_typeEPNSK_ISF_E10value_typeEPSG_NS1_7vsmem_tEENKUlT_SE_SF_SG_E_clIS8_S8_S9_S9_EESD_ST_SE_SF_SG_EUlST_E1_NS1_11comp_targetILNS1_3genE10ELNS1_11target_archE1201ELNS1_3gpuE5ELNS1_3repE0EEENS1_36merge_oddeven_config_static_selectorELNS0_4arch9wavefront6targetE1EEEvSF_
; %bb.0:
	.section	.rodata,"a",@progbits
	.p2align	6, 0x0
	.amdhsa_kernel _ZN7rocprim17ROCPRIM_400000_NS6detail17trampoline_kernelINS0_14default_configENS1_38merge_sort_block_merge_config_selectorItNS0_10empty_typeEEEZZNS1_27merge_sort_block_merge_implIS3_PtPS5_jNS1_19radix_merge_compareILb0ELb0EtNS0_19identity_decomposerEEEEE10hipError_tT0_T1_T2_jT3_P12ihipStream_tbPNSt15iterator_traitsISE_E10value_typeEPNSK_ISF_E10value_typeEPSG_NS1_7vsmem_tEENKUlT_SE_SF_SG_E_clIS8_S8_S9_S9_EESD_ST_SE_SF_SG_EUlST_E1_NS1_11comp_targetILNS1_3genE10ELNS1_11target_archE1201ELNS1_3gpuE5ELNS1_3repE0EEENS1_36merge_oddeven_config_static_selectorELNS0_4arch9wavefront6targetE1EEEvSF_
		.amdhsa_group_segment_fixed_size 0
		.amdhsa_private_segment_fixed_size 0
		.amdhsa_kernarg_size 48
		.amdhsa_user_sgpr_count 6
		.amdhsa_user_sgpr_private_segment_buffer 1
		.amdhsa_user_sgpr_dispatch_ptr 0
		.amdhsa_user_sgpr_queue_ptr 0
		.amdhsa_user_sgpr_kernarg_segment_ptr 1
		.amdhsa_user_sgpr_dispatch_id 0
		.amdhsa_user_sgpr_flat_scratch_init 0
		.amdhsa_user_sgpr_kernarg_preload_length 0
		.amdhsa_user_sgpr_kernarg_preload_offset 0
		.amdhsa_user_sgpr_private_segment_size 0
		.amdhsa_uses_dynamic_stack 0
		.amdhsa_system_sgpr_private_segment_wavefront_offset 0
		.amdhsa_system_sgpr_workgroup_id_x 1
		.amdhsa_system_sgpr_workgroup_id_y 0
		.amdhsa_system_sgpr_workgroup_id_z 0
		.amdhsa_system_sgpr_workgroup_info 0
		.amdhsa_system_vgpr_workitem_id 0
		.amdhsa_next_free_vgpr 1
		.amdhsa_next_free_sgpr 0
		.amdhsa_accum_offset 4
		.amdhsa_reserve_vcc 0
		.amdhsa_reserve_flat_scratch 0
		.amdhsa_float_round_mode_32 0
		.amdhsa_float_round_mode_16_64 0
		.amdhsa_float_denorm_mode_32 3
		.amdhsa_float_denorm_mode_16_64 3
		.amdhsa_dx10_clamp 1
		.amdhsa_ieee_mode 1
		.amdhsa_fp16_overflow 0
		.amdhsa_tg_split 0
		.amdhsa_exception_fp_ieee_invalid_op 0
		.amdhsa_exception_fp_denorm_src 0
		.amdhsa_exception_fp_ieee_div_zero 0
		.amdhsa_exception_fp_ieee_overflow 0
		.amdhsa_exception_fp_ieee_underflow 0
		.amdhsa_exception_fp_ieee_inexact 0
		.amdhsa_exception_int_div_zero 0
	.end_amdhsa_kernel
	.section	.text._ZN7rocprim17ROCPRIM_400000_NS6detail17trampoline_kernelINS0_14default_configENS1_38merge_sort_block_merge_config_selectorItNS0_10empty_typeEEEZZNS1_27merge_sort_block_merge_implIS3_PtPS5_jNS1_19radix_merge_compareILb0ELb0EtNS0_19identity_decomposerEEEEE10hipError_tT0_T1_T2_jT3_P12ihipStream_tbPNSt15iterator_traitsISE_E10value_typeEPNSK_ISF_E10value_typeEPSG_NS1_7vsmem_tEENKUlT_SE_SF_SG_E_clIS8_S8_S9_S9_EESD_ST_SE_SF_SG_EUlST_E1_NS1_11comp_targetILNS1_3genE10ELNS1_11target_archE1201ELNS1_3gpuE5ELNS1_3repE0EEENS1_36merge_oddeven_config_static_selectorELNS0_4arch9wavefront6targetE1EEEvSF_,"axG",@progbits,_ZN7rocprim17ROCPRIM_400000_NS6detail17trampoline_kernelINS0_14default_configENS1_38merge_sort_block_merge_config_selectorItNS0_10empty_typeEEEZZNS1_27merge_sort_block_merge_implIS3_PtPS5_jNS1_19radix_merge_compareILb0ELb0EtNS0_19identity_decomposerEEEEE10hipError_tT0_T1_T2_jT3_P12ihipStream_tbPNSt15iterator_traitsISE_E10value_typeEPNSK_ISF_E10value_typeEPSG_NS1_7vsmem_tEENKUlT_SE_SF_SG_E_clIS8_S8_S9_S9_EESD_ST_SE_SF_SG_EUlST_E1_NS1_11comp_targetILNS1_3genE10ELNS1_11target_archE1201ELNS1_3gpuE5ELNS1_3repE0EEENS1_36merge_oddeven_config_static_selectorELNS0_4arch9wavefront6targetE1EEEvSF_,comdat
.Lfunc_end483:
	.size	_ZN7rocprim17ROCPRIM_400000_NS6detail17trampoline_kernelINS0_14default_configENS1_38merge_sort_block_merge_config_selectorItNS0_10empty_typeEEEZZNS1_27merge_sort_block_merge_implIS3_PtPS5_jNS1_19radix_merge_compareILb0ELb0EtNS0_19identity_decomposerEEEEE10hipError_tT0_T1_T2_jT3_P12ihipStream_tbPNSt15iterator_traitsISE_E10value_typeEPNSK_ISF_E10value_typeEPSG_NS1_7vsmem_tEENKUlT_SE_SF_SG_E_clIS8_S8_S9_S9_EESD_ST_SE_SF_SG_EUlST_E1_NS1_11comp_targetILNS1_3genE10ELNS1_11target_archE1201ELNS1_3gpuE5ELNS1_3repE0EEENS1_36merge_oddeven_config_static_selectorELNS0_4arch9wavefront6targetE1EEEvSF_, .Lfunc_end483-_ZN7rocprim17ROCPRIM_400000_NS6detail17trampoline_kernelINS0_14default_configENS1_38merge_sort_block_merge_config_selectorItNS0_10empty_typeEEEZZNS1_27merge_sort_block_merge_implIS3_PtPS5_jNS1_19radix_merge_compareILb0ELb0EtNS0_19identity_decomposerEEEEE10hipError_tT0_T1_T2_jT3_P12ihipStream_tbPNSt15iterator_traitsISE_E10value_typeEPNSK_ISF_E10value_typeEPSG_NS1_7vsmem_tEENKUlT_SE_SF_SG_E_clIS8_S8_S9_S9_EESD_ST_SE_SF_SG_EUlST_E1_NS1_11comp_targetILNS1_3genE10ELNS1_11target_archE1201ELNS1_3gpuE5ELNS1_3repE0EEENS1_36merge_oddeven_config_static_selectorELNS0_4arch9wavefront6targetE1EEEvSF_
                                        ; -- End function
	.section	.AMDGPU.csdata,"",@progbits
; Kernel info:
; codeLenInByte = 0
; NumSgprs: 4
; NumVgprs: 0
; NumAgprs: 0
; TotalNumVgprs: 0
; ScratchSize: 0
; MemoryBound: 0
; FloatMode: 240
; IeeeMode: 1
; LDSByteSize: 0 bytes/workgroup (compile time only)
; SGPRBlocks: 0
; VGPRBlocks: 0
; NumSGPRsForWavesPerEU: 4
; NumVGPRsForWavesPerEU: 1
; AccumOffset: 4
; Occupancy: 8
; WaveLimiterHint : 0
; COMPUTE_PGM_RSRC2:SCRATCH_EN: 0
; COMPUTE_PGM_RSRC2:USER_SGPR: 6
; COMPUTE_PGM_RSRC2:TRAP_HANDLER: 0
; COMPUTE_PGM_RSRC2:TGID_X_EN: 1
; COMPUTE_PGM_RSRC2:TGID_Y_EN: 0
; COMPUTE_PGM_RSRC2:TGID_Z_EN: 0
; COMPUTE_PGM_RSRC2:TIDIG_COMP_CNT: 0
; COMPUTE_PGM_RSRC3_GFX90A:ACCUM_OFFSET: 0
; COMPUTE_PGM_RSRC3_GFX90A:TG_SPLIT: 0
	.section	.text._ZN7rocprim17ROCPRIM_400000_NS6detail17trampoline_kernelINS0_14default_configENS1_38merge_sort_block_merge_config_selectorItNS0_10empty_typeEEEZZNS1_27merge_sort_block_merge_implIS3_PtPS5_jNS1_19radix_merge_compareILb0ELb0EtNS0_19identity_decomposerEEEEE10hipError_tT0_T1_T2_jT3_P12ihipStream_tbPNSt15iterator_traitsISE_E10value_typeEPNSK_ISF_E10value_typeEPSG_NS1_7vsmem_tEENKUlT_SE_SF_SG_E_clIS8_S8_S9_S9_EESD_ST_SE_SF_SG_EUlST_E1_NS1_11comp_targetILNS1_3genE5ELNS1_11target_archE942ELNS1_3gpuE9ELNS1_3repE0EEENS1_36merge_oddeven_config_static_selectorELNS0_4arch9wavefront6targetE1EEEvSF_,"axG",@progbits,_ZN7rocprim17ROCPRIM_400000_NS6detail17trampoline_kernelINS0_14default_configENS1_38merge_sort_block_merge_config_selectorItNS0_10empty_typeEEEZZNS1_27merge_sort_block_merge_implIS3_PtPS5_jNS1_19radix_merge_compareILb0ELb0EtNS0_19identity_decomposerEEEEE10hipError_tT0_T1_T2_jT3_P12ihipStream_tbPNSt15iterator_traitsISE_E10value_typeEPNSK_ISF_E10value_typeEPSG_NS1_7vsmem_tEENKUlT_SE_SF_SG_E_clIS8_S8_S9_S9_EESD_ST_SE_SF_SG_EUlST_E1_NS1_11comp_targetILNS1_3genE5ELNS1_11target_archE942ELNS1_3gpuE9ELNS1_3repE0EEENS1_36merge_oddeven_config_static_selectorELNS0_4arch9wavefront6targetE1EEEvSF_,comdat
	.protected	_ZN7rocprim17ROCPRIM_400000_NS6detail17trampoline_kernelINS0_14default_configENS1_38merge_sort_block_merge_config_selectorItNS0_10empty_typeEEEZZNS1_27merge_sort_block_merge_implIS3_PtPS5_jNS1_19radix_merge_compareILb0ELb0EtNS0_19identity_decomposerEEEEE10hipError_tT0_T1_T2_jT3_P12ihipStream_tbPNSt15iterator_traitsISE_E10value_typeEPNSK_ISF_E10value_typeEPSG_NS1_7vsmem_tEENKUlT_SE_SF_SG_E_clIS8_S8_S9_S9_EESD_ST_SE_SF_SG_EUlST_E1_NS1_11comp_targetILNS1_3genE5ELNS1_11target_archE942ELNS1_3gpuE9ELNS1_3repE0EEENS1_36merge_oddeven_config_static_selectorELNS0_4arch9wavefront6targetE1EEEvSF_ ; -- Begin function _ZN7rocprim17ROCPRIM_400000_NS6detail17trampoline_kernelINS0_14default_configENS1_38merge_sort_block_merge_config_selectorItNS0_10empty_typeEEEZZNS1_27merge_sort_block_merge_implIS3_PtPS5_jNS1_19radix_merge_compareILb0ELb0EtNS0_19identity_decomposerEEEEE10hipError_tT0_T1_T2_jT3_P12ihipStream_tbPNSt15iterator_traitsISE_E10value_typeEPNSK_ISF_E10value_typeEPSG_NS1_7vsmem_tEENKUlT_SE_SF_SG_E_clIS8_S8_S9_S9_EESD_ST_SE_SF_SG_EUlST_E1_NS1_11comp_targetILNS1_3genE5ELNS1_11target_archE942ELNS1_3gpuE9ELNS1_3repE0EEENS1_36merge_oddeven_config_static_selectorELNS0_4arch9wavefront6targetE1EEEvSF_
	.globl	_ZN7rocprim17ROCPRIM_400000_NS6detail17trampoline_kernelINS0_14default_configENS1_38merge_sort_block_merge_config_selectorItNS0_10empty_typeEEEZZNS1_27merge_sort_block_merge_implIS3_PtPS5_jNS1_19radix_merge_compareILb0ELb0EtNS0_19identity_decomposerEEEEE10hipError_tT0_T1_T2_jT3_P12ihipStream_tbPNSt15iterator_traitsISE_E10value_typeEPNSK_ISF_E10value_typeEPSG_NS1_7vsmem_tEENKUlT_SE_SF_SG_E_clIS8_S8_S9_S9_EESD_ST_SE_SF_SG_EUlST_E1_NS1_11comp_targetILNS1_3genE5ELNS1_11target_archE942ELNS1_3gpuE9ELNS1_3repE0EEENS1_36merge_oddeven_config_static_selectorELNS0_4arch9wavefront6targetE1EEEvSF_
	.p2align	8
	.type	_ZN7rocprim17ROCPRIM_400000_NS6detail17trampoline_kernelINS0_14default_configENS1_38merge_sort_block_merge_config_selectorItNS0_10empty_typeEEEZZNS1_27merge_sort_block_merge_implIS3_PtPS5_jNS1_19radix_merge_compareILb0ELb0EtNS0_19identity_decomposerEEEEE10hipError_tT0_T1_T2_jT3_P12ihipStream_tbPNSt15iterator_traitsISE_E10value_typeEPNSK_ISF_E10value_typeEPSG_NS1_7vsmem_tEENKUlT_SE_SF_SG_E_clIS8_S8_S9_S9_EESD_ST_SE_SF_SG_EUlST_E1_NS1_11comp_targetILNS1_3genE5ELNS1_11target_archE942ELNS1_3gpuE9ELNS1_3repE0EEENS1_36merge_oddeven_config_static_selectorELNS0_4arch9wavefront6targetE1EEEvSF_,@function
_ZN7rocprim17ROCPRIM_400000_NS6detail17trampoline_kernelINS0_14default_configENS1_38merge_sort_block_merge_config_selectorItNS0_10empty_typeEEEZZNS1_27merge_sort_block_merge_implIS3_PtPS5_jNS1_19radix_merge_compareILb0ELb0EtNS0_19identity_decomposerEEEEE10hipError_tT0_T1_T2_jT3_P12ihipStream_tbPNSt15iterator_traitsISE_E10value_typeEPNSK_ISF_E10value_typeEPSG_NS1_7vsmem_tEENKUlT_SE_SF_SG_E_clIS8_S8_S9_S9_EESD_ST_SE_SF_SG_EUlST_E1_NS1_11comp_targetILNS1_3genE5ELNS1_11target_archE942ELNS1_3gpuE9ELNS1_3repE0EEENS1_36merge_oddeven_config_static_selectorELNS0_4arch9wavefront6targetE1EEEvSF_: ; @_ZN7rocprim17ROCPRIM_400000_NS6detail17trampoline_kernelINS0_14default_configENS1_38merge_sort_block_merge_config_selectorItNS0_10empty_typeEEEZZNS1_27merge_sort_block_merge_implIS3_PtPS5_jNS1_19radix_merge_compareILb0ELb0EtNS0_19identity_decomposerEEEEE10hipError_tT0_T1_T2_jT3_P12ihipStream_tbPNSt15iterator_traitsISE_E10value_typeEPNSK_ISF_E10value_typeEPSG_NS1_7vsmem_tEENKUlT_SE_SF_SG_E_clIS8_S8_S9_S9_EESD_ST_SE_SF_SG_EUlST_E1_NS1_11comp_targetILNS1_3genE5ELNS1_11target_archE942ELNS1_3gpuE9ELNS1_3repE0EEENS1_36merge_oddeven_config_static_selectorELNS0_4arch9wavefront6targetE1EEEvSF_
; %bb.0:
	.section	.rodata,"a",@progbits
	.p2align	6, 0x0
	.amdhsa_kernel _ZN7rocprim17ROCPRIM_400000_NS6detail17trampoline_kernelINS0_14default_configENS1_38merge_sort_block_merge_config_selectorItNS0_10empty_typeEEEZZNS1_27merge_sort_block_merge_implIS3_PtPS5_jNS1_19radix_merge_compareILb0ELb0EtNS0_19identity_decomposerEEEEE10hipError_tT0_T1_T2_jT3_P12ihipStream_tbPNSt15iterator_traitsISE_E10value_typeEPNSK_ISF_E10value_typeEPSG_NS1_7vsmem_tEENKUlT_SE_SF_SG_E_clIS8_S8_S9_S9_EESD_ST_SE_SF_SG_EUlST_E1_NS1_11comp_targetILNS1_3genE5ELNS1_11target_archE942ELNS1_3gpuE9ELNS1_3repE0EEENS1_36merge_oddeven_config_static_selectorELNS0_4arch9wavefront6targetE1EEEvSF_
		.amdhsa_group_segment_fixed_size 0
		.amdhsa_private_segment_fixed_size 0
		.amdhsa_kernarg_size 48
		.amdhsa_user_sgpr_count 6
		.amdhsa_user_sgpr_private_segment_buffer 1
		.amdhsa_user_sgpr_dispatch_ptr 0
		.amdhsa_user_sgpr_queue_ptr 0
		.amdhsa_user_sgpr_kernarg_segment_ptr 1
		.amdhsa_user_sgpr_dispatch_id 0
		.amdhsa_user_sgpr_flat_scratch_init 0
		.amdhsa_user_sgpr_kernarg_preload_length 0
		.amdhsa_user_sgpr_kernarg_preload_offset 0
		.amdhsa_user_sgpr_private_segment_size 0
		.amdhsa_uses_dynamic_stack 0
		.amdhsa_system_sgpr_private_segment_wavefront_offset 0
		.amdhsa_system_sgpr_workgroup_id_x 1
		.amdhsa_system_sgpr_workgroup_id_y 0
		.amdhsa_system_sgpr_workgroup_id_z 0
		.amdhsa_system_sgpr_workgroup_info 0
		.amdhsa_system_vgpr_workitem_id 0
		.amdhsa_next_free_vgpr 1
		.amdhsa_next_free_sgpr 0
		.amdhsa_accum_offset 4
		.amdhsa_reserve_vcc 0
		.amdhsa_reserve_flat_scratch 0
		.amdhsa_float_round_mode_32 0
		.amdhsa_float_round_mode_16_64 0
		.amdhsa_float_denorm_mode_32 3
		.amdhsa_float_denorm_mode_16_64 3
		.amdhsa_dx10_clamp 1
		.amdhsa_ieee_mode 1
		.amdhsa_fp16_overflow 0
		.amdhsa_tg_split 0
		.amdhsa_exception_fp_ieee_invalid_op 0
		.amdhsa_exception_fp_denorm_src 0
		.amdhsa_exception_fp_ieee_div_zero 0
		.amdhsa_exception_fp_ieee_overflow 0
		.amdhsa_exception_fp_ieee_underflow 0
		.amdhsa_exception_fp_ieee_inexact 0
		.amdhsa_exception_int_div_zero 0
	.end_amdhsa_kernel
	.section	.text._ZN7rocprim17ROCPRIM_400000_NS6detail17trampoline_kernelINS0_14default_configENS1_38merge_sort_block_merge_config_selectorItNS0_10empty_typeEEEZZNS1_27merge_sort_block_merge_implIS3_PtPS5_jNS1_19radix_merge_compareILb0ELb0EtNS0_19identity_decomposerEEEEE10hipError_tT0_T1_T2_jT3_P12ihipStream_tbPNSt15iterator_traitsISE_E10value_typeEPNSK_ISF_E10value_typeEPSG_NS1_7vsmem_tEENKUlT_SE_SF_SG_E_clIS8_S8_S9_S9_EESD_ST_SE_SF_SG_EUlST_E1_NS1_11comp_targetILNS1_3genE5ELNS1_11target_archE942ELNS1_3gpuE9ELNS1_3repE0EEENS1_36merge_oddeven_config_static_selectorELNS0_4arch9wavefront6targetE1EEEvSF_,"axG",@progbits,_ZN7rocprim17ROCPRIM_400000_NS6detail17trampoline_kernelINS0_14default_configENS1_38merge_sort_block_merge_config_selectorItNS0_10empty_typeEEEZZNS1_27merge_sort_block_merge_implIS3_PtPS5_jNS1_19radix_merge_compareILb0ELb0EtNS0_19identity_decomposerEEEEE10hipError_tT0_T1_T2_jT3_P12ihipStream_tbPNSt15iterator_traitsISE_E10value_typeEPNSK_ISF_E10value_typeEPSG_NS1_7vsmem_tEENKUlT_SE_SF_SG_E_clIS8_S8_S9_S9_EESD_ST_SE_SF_SG_EUlST_E1_NS1_11comp_targetILNS1_3genE5ELNS1_11target_archE942ELNS1_3gpuE9ELNS1_3repE0EEENS1_36merge_oddeven_config_static_selectorELNS0_4arch9wavefront6targetE1EEEvSF_,comdat
.Lfunc_end484:
	.size	_ZN7rocprim17ROCPRIM_400000_NS6detail17trampoline_kernelINS0_14default_configENS1_38merge_sort_block_merge_config_selectorItNS0_10empty_typeEEEZZNS1_27merge_sort_block_merge_implIS3_PtPS5_jNS1_19radix_merge_compareILb0ELb0EtNS0_19identity_decomposerEEEEE10hipError_tT0_T1_T2_jT3_P12ihipStream_tbPNSt15iterator_traitsISE_E10value_typeEPNSK_ISF_E10value_typeEPSG_NS1_7vsmem_tEENKUlT_SE_SF_SG_E_clIS8_S8_S9_S9_EESD_ST_SE_SF_SG_EUlST_E1_NS1_11comp_targetILNS1_3genE5ELNS1_11target_archE942ELNS1_3gpuE9ELNS1_3repE0EEENS1_36merge_oddeven_config_static_selectorELNS0_4arch9wavefront6targetE1EEEvSF_, .Lfunc_end484-_ZN7rocprim17ROCPRIM_400000_NS6detail17trampoline_kernelINS0_14default_configENS1_38merge_sort_block_merge_config_selectorItNS0_10empty_typeEEEZZNS1_27merge_sort_block_merge_implIS3_PtPS5_jNS1_19radix_merge_compareILb0ELb0EtNS0_19identity_decomposerEEEEE10hipError_tT0_T1_T2_jT3_P12ihipStream_tbPNSt15iterator_traitsISE_E10value_typeEPNSK_ISF_E10value_typeEPSG_NS1_7vsmem_tEENKUlT_SE_SF_SG_E_clIS8_S8_S9_S9_EESD_ST_SE_SF_SG_EUlST_E1_NS1_11comp_targetILNS1_3genE5ELNS1_11target_archE942ELNS1_3gpuE9ELNS1_3repE0EEENS1_36merge_oddeven_config_static_selectorELNS0_4arch9wavefront6targetE1EEEvSF_
                                        ; -- End function
	.section	.AMDGPU.csdata,"",@progbits
; Kernel info:
; codeLenInByte = 0
; NumSgprs: 4
; NumVgprs: 0
; NumAgprs: 0
; TotalNumVgprs: 0
; ScratchSize: 0
; MemoryBound: 0
; FloatMode: 240
; IeeeMode: 1
; LDSByteSize: 0 bytes/workgroup (compile time only)
; SGPRBlocks: 0
; VGPRBlocks: 0
; NumSGPRsForWavesPerEU: 4
; NumVGPRsForWavesPerEU: 1
; AccumOffset: 4
; Occupancy: 8
; WaveLimiterHint : 0
; COMPUTE_PGM_RSRC2:SCRATCH_EN: 0
; COMPUTE_PGM_RSRC2:USER_SGPR: 6
; COMPUTE_PGM_RSRC2:TRAP_HANDLER: 0
; COMPUTE_PGM_RSRC2:TGID_X_EN: 1
; COMPUTE_PGM_RSRC2:TGID_Y_EN: 0
; COMPUTE_PGM_RSRC2:TGID_Z_EN: 0
; COMPUTE_PGM_RSRC2:TIDIG_COMP_CNT: 0
; COMPUTE_PGM_RSRC3_GFX90A:ACCUM_OFFSET: 0
; COMPUTE_PGM_RSRC3_GFX90A:TG_SPLIT: 0
	.section	.text._ZN7rocprim17ROCPRIM_400000_NS6detail17trampoline_kernelINS0_14default_configENS1_38merge_sort_block_merge_config_selectorItNS0_10empty_typeEEEZZNS1_27merge_sort_block_merge_implIS3_PtPS5_jNS1_19radix_merge_compareILb0ELb0EtNS0_19identity_decomposerEEEEE10hipError_tT0_T1_T2_jT3_P12ihipStream_tbPNSt15iterator_traitsISE_E10value_typeEPNSK_ISF_E10value_typeEPSG_NS1_7vsmem_tEENKUlT_SE_SF_SG_E_clIS8_S8_S9_S9_EESD_ST_SE_SF_SG_EUlST_E1_NS1_11comp_targetILNS1_3genE4ELNS1_11target_archE910ELNS1_3gpuE8ELNS1_3repE0EEENS1_36merge_oddeven_config_static_selectorELNS0_4arch9wavefront6targetE1EEEvSF_,"axG",@progbits,_ZN7rocprim17ROCPRIM_400000_NS6detail17trampoline_kernelINS0_14default_configENS1_38merge_sort_block_merge_config_selectorItNS0_10empty_typeEEEZZNS1_27merge_sort_block_merge_implIS3_PtPS5_jNS1_19radix_merge_compareILb0ELb0EtNS0_19identity_decomposerEEEEE10hipError_tT0_T1_T2_jT3_P12ihipStream_tbPNSt15iterator_traitsISE_E10value_typeEPNSK_ISF_E10value_typeEPSG_NS1_7vsmem_tEENKUlT_SE_SF_SG_E_clIS8_S8_S9_S9_EESD_ST_SE_SF_SG_EUlST_E1_NS1_11comp_targetILNS1_3genE4ELNS1_11target_archE910ELNS1_3gpuE8ELNS1_3repE0EEENS1_36merge_oddeven_config_static_selectorELNS0_4arch9wavefront6targetE1EEEvSF_,comdat
	.protected	_ZN7rocprim17ROCPRIM_400000_NS6detail17trampoline_kernelINS0_14default_configENS1_38merge_sort_block_merge_config_selectorItNS0_10empty_typeEEEZZNS1_27merge_sort_block_merge_implIS3_PtPS5_jNS1_19radix_merge_compareILb0ELb0EtNS0_19identity_decomposerEEEEE10hipError_tT0_T1_T2_jT3_P12ihipStream_tbPNSt15iterator_traitsISE_E10value_typeEPNSK_ISF_E10value_typeEPSG_NS1_7vsmem_tEENKUlT_SE_SF_SG_E_clIS8_S8_S9_S9_EESD_ST_SE_SF_SG_EUlST_E1_NS1_11comp_targetILNS1_3genE4ELNS1_11target_archE910ELNS1_3gpuE8ELNS1_3repE0EEENS1_36merge_oddeven_config_static_selectorELNS0_4arch9wavefront6targetE1EEEvSF_ ; -- Begin function _ZN7rocprim17ROCPRIM_400000_NS6detail17trampoline_kernelINS0_14default_configENS1_38merge_sort_block_merge_config_selectorItNS0_10empty_typeEEEZZNS1_27merge_sort_block_merge_implIS3_PtPS5_jNS1_19radix_merge_compareILb0ELb0EtNS0_19identity_decomposerEEEEE10hipError_tT0_T1_T2_jT3_P12ihipStream_tbPNSt15iterator_traitsISE_E10value_typeEPNSK_ISF_E10value_typeEPSG_NS1_7vsmem_tEENKUlT_SE_SF_SG_E_clIS8_S8_S9_S9_EESD_ST_SE_SF_SG_EUlST_E1_NS1_11comp_targetILNS1_3genE4ELNS1_11target_archE910ELNS1_3gpuE8ELNS1_3repE0EEENS1_36merge_oddeven_config_static_selectorELNS0_4arch9wavefront6targetE1EEEvSF_
	.globl	_ZN7rocprim17ROCPRIM_400000_NS6detail17trampoline_kernelINS0_14default_configENS1_38merge_sort_block_merge_config_selectorItNS0_10empty_typeEEEZZNS1_27merge_sort_block_merge_implIS3_PtPS5_jNS1_19radix_merge_compareILb0ELb0EtNS0_19identity_decomposerEEEEE10hipError_tT0_T1_T2_jT3_P12ihipStream_tbPNSt15iterator_traitsISE_E10value_typeEPNSK_ISF_E10value_typeEPSG_NS1_7vsmem_tEENKUlT_SE_SF_SG_E_clIS8_S8_S9_S9_EESD_ST_SE_SF_SG_EUlST_E1_NS1_11comp_targetILNS1_3genE4ELNS1_11target_archE910ELNS1_3gpuE8ELNS1_3repE0EEENS1_36merge_oddeven_config_static_selectorELNS0_4arch9wavefront6targetE1EEEvSF_
	.p2align	8
	.type	_ZN7rocprim17ROCPRIM_400000_NS6detail17trampoline_kernelINS0_14default_configENS1_38merge_sort_block_merge_config_selectorItNS0_10empty_typeEEEZZNS1_27merge_sort_block_merge_implIS3_PtPS5_jNS1_19radix_merge_compareILb0ELb0EtNS0_19identity_decomposerEEEEE10hipError_tT0_T1_T2_jT3_P12ihipStream_tbPNSt15iterator_traitsISE_E10value_typeEPNSK_ISF_E10value_typeEPSG_NS1_7vsmem_tEENKUlT_SE_SF_SG_E_clIS8_S8_S9_S9_EESD_ST_SE_SF_SG_EUlST_E1_NS1_11comp_targetILNS1_3genE4ELNS1_11target_archE910ELNS1_3gpuE8ELNS1_3repE0EEENS1_36merge_oddeven_config_static_selectorELNS0_4arch9wavefront6targetE1EEEvSF_,@function
_ZN7rocprim17ROCPRIM_400000_NS6detail17trampoline_kernelINS0_14default_configENS1_38merge_sort_block_merge_config_selectorItNS0_10empty_typeEEEZZNS1_27merge_sort_block_merge_implIS3_PtPS5_jNS1_19radix_merge_compareILb0ELb0EtNS0_19identity_decomposerEEEEE10hipError_tT0_T1_T2_jT3_P12ihipStream_tbPNSt15iterator_traitsISE_E10value_typeEPNSK_ISF_E10value_typeEPSG_NS1_7vsmem_tEENKUlT_SE_SF_SG_E_clIS8_S8_S9_S9_EESD_ST_SE_SF_SG_EUlST_E1_NS1_11comp_targetILNS1_3genE4ELNS1_11target_archE910ELNS1_3gpuE8ELNS1_3repE0EEENS1_36merge_oddeven_config_static_selectorELNS0_4arch9wavefront6targetE1EEEvSF_: ; @_ZN7rocprim17ROCPRIM_400000_NS6detail17trampoline_kernelINS0_14default_configENS1_38merge_sort_block_merge_config_selectorItNS0_10empty_typeEEEZZNS1_27merge_sort_block_merge_implIS3_PtPS5_jNS1_19radix_merge_compareILb0ELb0EtNS0_19identity_decomposerEEEEE10hipError_tT0_T1_T2_jT3_P12ihipStream_tbPNSt15iterator_traitsISE_E10value_typeEPNSK_ISF_E10value_typeEPSG_NS1_7vsmem_tEENKUlT_SE_SF_SG_E_clIS8_S8_S9_S9_EESD_ST_SE_SF_SG_EUlST_E1_NS1_11comp_targetILNS1_3genE4ELNS1_11target_archE910ELNS1_3gpuE8ELNS1_3repE0EEENS1_36merge_oddeven_config_static_selectorELNS0_4arch9wavefront6targetE1EEEvSF_
; %bb.0:
	s_load_dword s18, s[4:5], 0x20
	s_waitcnt lgkmcnt(0)
	s_lshr_b32 s0, s18, 8
	s_cmp_lg_u32 s6, s0
	s_cselect_b64 s[14:15], -1, 0
	s_cmp_eq_u32 s6, s0
	s_cselect_b64 s[12:13], -1, 0
	s_lshl_b32 s16, s6, 8
	s_sub_i32 s0, s18, s16
	v_cmp_gt_u32_e64 s[2:3], s0, v0
	s_or_b64 s[0:1], s[14:15], s[2:3]
	s_and_saveexec_b64 s[8:9], s[0:1]
	s_cbranch_execz .LBB485_20
; %bb.1:
	s_load_dwordx4 s[8:11], s[4:5], 0x0
	s_load_dword s19, s[4:5], 0x24
	s_mov_b32 s17, 0
	s_lshl_b64 s[0:1], s[16:17], 1
	v_lshlrev_b32_e32 v1, 1, v0
	s_waitcnt lgkmcnt(0)
	s_add_u32 s0, s8, s0
	s_addc_u32 s1, s9, s1
	global_load_ushort v2, v1, s[0:1]
	s_lshr_b32 s0, s19, 8
	s_sub_i32 s1, 0, s0
	s_and_b32 s1, s6, s1
	s_and_b32 s0, s1, s0
	s_lshl_b32 s20, s1, 8
	s_sub_i32 s6, 0, s19
	s_cmp_eq_u32 s0, 0
	s_cselect_b64 s[0:1], -1, 0
	s_and_b64 s[4:5], s[0:1], exec
	s_cselect_b32 s17, s19, s6
	s_add_i32 s17, s17, s20
	s_cmp_lt_u32 s17, s18
	v_add_u32_e32 v0, s16, v0
	s_cbranch_scc1 .LBB485_3
; %bb.2:
	v_cmp_gt_u32_e32 vcc, s18, v0
	s_or_b64 s[4:5], vcc, s[14:15]
	s_and_b64 s[4:5], s[4:5], exec
	s_cbranch_execz .LBB485_4
	s_branch .LBB485_18
.LBB485_3:
	s_mov_b64 s[4:5], 0
.LBB485_4:
	s_min_u32 s14, s17, s18
	s_add_i32 s6, s14, s19
	s_min_u32 s15, s6, s18
	s_min_u32 s6, s20, s14
	s_add_i32 s20, s20, s14
	v_subrev_u32_e32 v0, s20, v0
	v_add_u32_e32 v1, s6, v0
	s_and_b64 vcc, exec, s[12:13]
	s_cbranch_vccz .LBB485_12
; %bb.5:
                                        ; implicit-def: $vgpr0
	s_and_saveexec_b64 s[6:7], s[2:3]
	s_cbranch_execz .LBB485_11
; %bb.6:
	s_cmp_ge_u32 s17, s15
	v_mov_b32_e32 v0, s14
	s_cbranch_scc1 .LBB485_10
; %bb.7:
	s_mov_b64 s[2:3], 0
	v_mov_b32_e32 v3, s15
	v_mov_b32_e32 v0, s14
.LBB485_8:                              ; =>This Inner Loop Header: Depth=1
	v_add_u32_e32 v4, v0, v3
	v_and_b32_e32 v5, -2, v4
	global_load_ushort v5, v5, s[8:9]
	v_lshrrev_b32_e32 v4, 1, v4
	v_add_u32_e32 v6, 1, v4
	s_waitcnt vmcnt(0)
	v_cmp_gt_u16_e32 vcc, v2, v5
	v_cndmask_b32_e64 v7, 0, 1, vcc
	v_cmp_le_u16_e32 vcc, v5, v2
	v_cndmask_b32_e64 v5, 0, 1, vcc
	v_cndmask_b32_e64 v5, v5, v7, s[0:1]
	v_and_b32_e32 v5, 1, v5
	v_cmp_eq_u32_e32 vcc, 1, v5
	v_cndmask_b32_e32 v3, v4, v3, vcc
	v_cndmask_b32_e32 v0, v0, v6, vcc
	v_cmp_ge_u32_e32 vcc, v0, v3
	s_or_b64 s[2:3], vcc, s[2:3]
	s_andn2_b64 exec, exec, s[2:3]
	s_cbranch_execnz .LBB485_8
; %bb.9:
	s_or_b64 exec, exec, s[2:3]
.LBB485_10:
	v_add_u32_e32 v0, v0, v1
	s_or_b64 s[4:5], s[4:5], exec
.LBB485_11:
	s_or_b64 exec, exec, s[6:7]
	s_branch .LBB485_18
.LBB485_12:
                                        ; implicit-def: $vgpr0
	s_cbranch_execz .LBB485_18
; %bb.13:
	s_cmp_ge_u32 s17, s15
	v_mov_b32_e32 v0, s14
	s_cbranch_scc1 .LBB485_17
; %bb.14:
	s_mov_b64 s[2:3], 0
	v_mov_b32_e32 v3, s15
	v_mov_b32_e32 v0, s14
.LBB485_15:                             ; =>This Inner Loop Header: Depth=1
	v_add_u32_e32 v4, v0, v3
	v_and_b32_e32 v5, -2, v4
	global_load_ushort v5, v5, s[8:9]
	v_lshrrev_b32_e32 v4, 1, v4
	v_add_u32_e32 v6, 1, v4
	s_waitcnt vmcnt(0)
	v_cmp_gt_u16_e32 vcc, v2, v5
	v_cndmask_b32_e64 v7, 0, 1, vcc
	v_cmp_le_u16_e32 vcc, v5, v2
	v_cndmask_b32_e64 v5, 0, 1, vcc
	v_cndmask_b32_e64 v5, v5, v7, s[0:1]
	v_and_b32_e32 v5, 1, v5
	v_cmp_eq_u32_e32 vcc, 1, v5
	v_cndmask_b32_e32 v3, v4, v3, vcc
	v_cndmask_b32_e32 v0, v0, v6, vcc
	v_cmp_ge_u32_e32 vcc, v0, v3
	s_or_b64 s[2:3], vcc, s[2:3]
	s_andn2_b64 exec, exec, s[2:3]
	s_cbranch_execnz .LBB485_15
; %bb.16:
	s_or_b64 exec, exec, s[2:3]
.LBB485_17:
	v_add_u32_e32 v0, v0, v1
	s_mov_b64 s[4:5], -1
.LBB485_18:
	s_and_b64 exec, exec, s[4:5]
	s_cbranch_execz .LBB485_20
; %bb.19:
	v_mov_b32_e32 v1, 0
	v_lshlrev_b64 v[0:1], 1, v[0:1]
	v_mov_b32_e32 v3, s11
	v_add_co_u32_e32 v0, vcc, s10, v0
	v_addc_co_u32_e32 v1, vcc, v3, v1, vcc
	s_waitcnt vmcnt(0)
	global_store_short v[0:1], v2, off
.LBB485_20:
	s_endpgm
	.section	.rodata,"a",@progbits
	.p2align	6, 0x0
	.amdhsa_kernel _ZN7rocprim17ROCPRIM_400000_NS6detail17trampoline_kernelINS0_14default_configENS1_38merge_sort_block_merge_config_selectorItNS0_10empty_typeEEEZZNS1_27merge_sort_block_merge_implIS3_PtPS5_jNS1_19radix_merge_compareILb0ELb0EtNS0_19identity_decomposerEEEEE10hipError_tT0_T1_T2_jT3_P12ihipStream_tbPNSt15iterator_traitsISE_E10value_typeEPNSK_ISF_E10value_typeEPSG_NS1_7vsmem_tEENKUlT_SE_SF_SG_E_clIS8_S8_S9_S9_EESD_ST_SE_SF_SG_EUlST_E1_NS1_11comp_targetILNS1_3genE4ELNS1_11target_archE910ELNS1_3gpuE8ELNS1_3repE0EEENS1_36merge_oddeven_config_static_selectorELNS0_4arch9wavefront6targetE1EEEvSF_
		.amdhsa_group_segment_fixed_size 0
		.amdhsa_private_segment_fixed_size 0
		.amdhsa_kernarg_size 48
		.amdhsa_user_sgpr_count 6
		.amdhsa_user_sgpr_private_segment_buffer 1
		.amdhsa_user_sgpr_dispatch_ptr 0
		.amdhsa_user_sgpr_queue_ptr 0
		.amdhsa_user_sgpr_kernarg_segment_ptr 1
		.amdhsa_user_sgpr_dispatch_id 0
		.amdhsa_user_sgpr_flat_scratch_init 0
		.amdhsa_user_sgpr_kernarg_preload_length 0
		.amdhsa_user_sgpr_kernarg_preload_offset 0
		.amdhsa_user_sgpr_private_segment_size 0
		.amdhsa_uses_dynamic_stack 0
		.amdhsa_system_sgpr_private_segment_wavefront_offset 0
		.amdhsa_system_sgpr_workgroup_id_x 1
		.amdhsa_system_sgpr_workgroup_id_y 0
		.amdhsa_system_sgpr_workgroup_id_z 0
		.amdhsa_system_sgpr_workgroup_info 0
		.amdhsa_system_vgpr_workitem_id 0
		.amdhsa_next_free_vgpr 8
		.amdhsa_next_free_sgpr 21
		.amdhsa_accum_offset 8
		.amdhsa_reserve_vcc 1
		.amdhsa_reserve_flat_scratch 0
		.amdhsa_float_round_mode_32 0
		.amdhsa_float_round_mode_16_64 0
		.amdhsa_float_denorm_mode_32 3
		.amdhsa_float_denorm_mode_16_64 3
		.amdhsa_dx10_clamp 1
		.amdhsa_ieee_mode 1
		.amdhsa_fp16_overflow 0
		.amdhsa_tg_split 0
		.amdhsa_exception_fp_ieee_invalid_op 0
		.amdhsa_exception_fp_denorm_src 0
		.amdhsa_exception_fp_ieee_div_zero 0
		.amdhsa_exception_fp_ieee_overflow 0
		.amdhsa_exception_fp_ieee_underflow 0
		.amdhsa_exception_fp_ieee_inexact 0
		.amdhsa_exception_int_div_zero 0
	.end_amdhsa_kernel
	.section	.text._ZN7rocprim17ROCPRIM_400000_NS6detail17trampoline_kernelINS0_14default_configENS1_38merge_sort_block_merge_config_selectorItNS0_10empty_typeEEEZZNS1_27merge_sort_block_merge_implIS3_PtPS5_jNS1_19radix_merge_compareILb0ELb0EtNS0_19identity_decomposerEEEEE10hipError_tT0_T1_T2_jT3_P12ihipStream_tbPNSt15iterator_traitsISE_E10value_typeEPNSK_ISF_E10value_typeEPSG_NS1_7vsmem_tEENKUlT_SE_SF_SG_E_clIS8_S8_S9_S9_EESD_ST_SE_SF_SG_EUlST_E1_NS1_11comp_targetILNS1_3genE4ELNS1_11target_archE910ELNS1_3gpuE8ELNS1_3repE0EEENS1_36merge_oddeven_config_static_selectorELNS0_4arch9wavefront6targetE1EEEvSF_,"axG",@progbits,_ZN7rocprim17ROCPRIM_400000_NS6detail17trampoline_kernelINS0_14default_configENS1_38merge_sort_block_merge_config_selectorItNS0_10empty_typeEEEZZNS1_27merge_sort_block_merge_implIS3_PtPS5_jNS1_19radix_merge_compareILb0ELb0EtNS0_19identity_decomposerEEEEE10hipError_tT0_T1_T2_jT3_P12ihipStream_tbPNSt15iterator_traitsISE_E10value_typeEPNSK_ISF_E10value_typeEPSG_NS1_7vsmem_tEENKUlT_SE_SF_SG_E_clIS8_S8_S9_S9_EESD_ST_SE_SF_SG_EUlST_E1_NS1_11comp_targetILNS1_3genE4ELNS1_11target_archE910ELNS1_3gpuE8ELNS1_3repE0EEENS1_36merge_oddeven_config_static_selectorELNS0_4arch9wavefront6targetE1EEEvSF_,comdat
.Lfunc_end485:
	.size	_ZN7rocprim17ROCPRIM_400000_NS6detail17trampoline_kernelINS0_14default_configENS1_38merge_sort_block_merge_config_selectorItNS0_10empty_typeEEEZZNS1_27merge_sort_block_merge_implIS3_PtPS5_jNS1_19radix_merge_compareILb0ELb0EtNS0_19identity_decomposerEEEEE10hipError_tT0_T1_T2_jT3_P12ihipStream_tbPNSt15iterator_traitsISE_E10value_typeEPNSK_ISF_E10value_typeEPSG_NS1_7vsmem_tEENKUlT_SE_SF_SG_E_clIS8_S8_S9_S9_EESD_ST_SE_SF_SG_EUlST_E1_NS1_11comp_targetILNS1_3genE4ELNS1_11target_archE910ELNS1_3gpuE8ELNS1_3repE0EEENS1_36merge_oddeven_config_static_selectorELNS0_4arch9wavefront6targetE1EEEvSF_, .Lfunc_end485-_ZN7rocprim17ROCPRIM_400000_NS6detail17trampoline_kernelINS0_14default_configENS1_38merge_sort_block_merge_config_selectorItNS0_10empty_typeEEEZZNS1_27merge_sort_block_merge_implIS3_PtPS5_jNS1_19radix_merge_compareILb0ELb0EtNS0_19identity_decomposerEEEEE10hipError_tT0_T1_T2_jT3_P12ihipStream_tbPNSt15iterator_traitsISE_E10value_typeEPNSK_ISF_E10value_typeEPSG_NS1_7vsmem_tEENKUlT_SE_SF_SG_E_clIS8_S8_S9_S9_EESD_ST_SE_SF_SG_EUlST_E1_NS1_11comp_targetILNS1_3genE4ELNS1_11target_archE910ELNS1_3gpuE8ELNS1_3repE0EEENS1_36merge_oddeven_config_static_selectorELNS0_4arch9wavefront6targetE1EEEvSF_
                                        ; -- End function
	.section	.AMDGPU.csdata,"",@progbits
; Kernel info:
; codeLenInByte = 548
; NumSgprs: 25
; NumVgprs: 8
; NumAgprs: 0
; TotalNumVgprs: 8
; ScratchSize: 0
; MemoryBound: 0
; FloatMode: 240
; IeeeMode: 1
; LDSByteSize: 0 bytes/workgroup (compile time only)
; SGPRBlocks: 3
; VGPRBlocks: 0
; NumSGPRsForWavesPerEU: 25
; NumVGPRsForWavesPerEU: 8
; AccumOffset: 8
; Occupancy: 8
; WaveLimiterHint : 0
; COMPUTE_PGM_RSRC2:SCRATCH_EN: 0
; COMPUTE_PGM_RSRC2:USER_SGPR: 6
; COMPUTE_PGM_RSRC2:TRAP_HANDLER: 0
; COMPUTE_PGM_RSRC2:TGID_X_EN: 1
; COMPUTE_PGM_RSRC2:TGID_Y_EN: 0
; COMPUTE_PGM_RSRC2:TGID_Z_EN: 0
; COMPUTE_PGM_RSRC2:TIDIG_COMP_CNT: 0
; COMPUTE_PGM_RSRC3_GFX90A:ACCUM_OFFSET: 1
; COMPUTE_PGM_RSRC3_GFX90A:TG_SPLIT: 0
	.section	.text._ZN7rocprim17ROCPRIM_400000_NS6detail17trampoline_kernelINS0_14default_configENS1_38merge_sort_block_merge_config_selectorItNS0_10empty_typeEEEZZNS1_27merge_sort_block_merge_implIS3_PtPS5_jNS1_19radix_merge_compareILb0ELb0EtNS0_19identity_decomposerEEEEE10hipError_tT0_T1_T2_jT3_P12ihipStream_tbPNSt15iterator_traitsISE_E10value_typeEPNSK_ISF_E10value_typeEPSG_NS1_7vsmem_tEENKUlT_SE_SF_SG_E_clIS8_S8_S9_S9_EESD_ST_SE_SF_SG_EUlST_E1_NS1_11comp_targetILNS1_3genE3ELNS1_11target_archE908ELNS1_3gpuE7ELNS1_3repE0EEENS1_36merge_oddeven_config_static_selectorELNS0_4arch9wavefront6targetE1EEEvSF_,"axG",@progbits,_ZN7rocprim17ROCPRIM_400000_NS6detail17trampoline_kernelINS0_14default_configENS1_38merge_sort_block_merge_config_selectorItNS0_10empty_typeEEEZZNS1_27merge_sort_block_merge_implIS3_PtPS5_jNS1_19radix_merge_compareILb0ELb0EtNS0_19identity_decomposerEEEEE10hipError_tT0_T1_T2_jT3_P12ihipStream_tbPNSt15iterator_traitsISE_E10value_typeEPNSK_ISF_E10value_typeEPSG_NS1_7vsmem_tEENKUlT_SE_SF_SG_E_clIS8_S8_S9_S9_EESD_ST_SE_SF_SG_EUlST_E1_NS1_11comp_targetILNS1_3genE3ELNS1_11target_archE908ELNS1_3gpuE7ELNS1_3repE0EEENS1_36merge_oddeven_config_static_selectorELNS0_4arch9wavefront6targetE1EEEvSF_,comdat
	.protected	_ZN7rocprim17ROCPRIM_400000_NS6detail17trampoline_kernelINS0_14default_configENS1_38merge_sort_block_merge_config_selectorItNS0_10empty_typeEEEZZNS1_27merge_sort_block_merge_implIS3_PtPS5_jNS1_19radix_merge_compareILb0ELb0EtNS0_19identity_decomposerEEEEE10hipError_tT0_T1_T2_jT3_P12ihipStream_tbPNSt15iterator_traitsISE_E10value_typeEPNSK_ISF_E10value_typeEPSG_NS1_7vsmem_tEENKUlT_SE_SF_SG_E_clIS8_S8_S9_S9_EESD_ST_SE_SF_SG_EUlST_E1_NS1_11comp_targetILNS1_3genE3ELNS1_11target_archE908ELNS1_3gpuE7ELNS1_3repE0EEENS1_36merge_oddeven_config_static_selectorELNS0_4arch9wavefront6targetE1EEEvSF_ ; -- Begin function _ZN7rocprim17ROCPRIM_400000_NS6detail17trampoline_kernelINS0_14default_configENS1_38merge_sort_block_merge_config_selectorItNS0_10empty_typeEEEZZNS1_27merge_sort_block_merge_implIS3_PtPS5_jNS1_19radix_merge_compareILb0ELb0EtNS0_19identity_decomposerEEEEE10hipError_tT0_T1_T2_jT3_P12ihipStream_tbPNSt15iterator_traitsISE_E10value_typeEPNSK_ISF_E10value_typeEPSG_NS1_7vsmem_tEENKUlT_SE_SF_SG_E_clIS8_S8_S9_S9_EESD_ST_SE_SF_SG_EUlST_E1_NS1_11comp_targetILNS1_3genE3ELNS1_11target_archE908ELNS1_3gpuE7ELNS1_3repE0EEENS1_36merge_oddeven_config_static_selectorELNS0_4arch9wavefront6targetE1EEEvSF_
	.globl	_ZN7rocprim17ROCPRIM_400000_NS6detail17trampoline_kernelINS0_14default_configENS1_38merge_sort_block_merge_config_selectorItNS0_10empty_typeEEEZZNS1_27merge_sort_block_merge_implIS3_PtPS5_jNS1_19radix_merge_compareILb0ELb0EtNS0_19identity_decomposerEEEEE10hipError_tT0_T1_T2_jT3_P12ihipStream_tbPNSt15iterator_traitsISE_E10value_typeEPNSK_ISF_E10value_typeEPSG_NS1_7vsmem_tEENKUlT_SE_SF_SG_E_clIS8_S8_S9_S9_EESD_ST_SE_SF_SG_EUlST_E1_NS1_11comp_targetILNS1_3genE3ELNS1_11target_archE908ELNS1_3gpuE7ELNS1_3repE0EEENS1_36merge_oddeven_config_static_selectorELNS0_4arch9wavefront6targetE1EEEvSF_
	.p2align	8
	.type	_ZN7rocprim17ROCPRIM_400000_NS6detail17trampoline_kernelINS0_14default_configENS1_38merge_sort_block_merge_config_selectorItNS0_10empty_typeEEEZZNS1_27merge_sort_block_merge_implIS3_PtPS5_jNS1_19radix_merge_compareILb0ELb0EtNS0_19identity_decomposerEEEEE10hipError_tT0_T1_T2_jT3_P12ihipStream_tbPNSt15iterator_traitsISE_E10value_typeEPNSK_ISF_E10value_typeEPSG_NS1_7vsmem_tEENKUlT_SE_SF_SG_E_clIS8_S8_S9_S9_EESD_ST_SE_SF_SG_EUlST_E1_NS1_11comp_targetILNS1_3genE3ELNS1_11target_archE908ELNS1_3gpuE7ELNS1_3repE0EEENS1_36merge_oddeven_config_static_selectorELNS0_4arch9wavefront6targetE1EEEvSF_,@function
_ZN7rocprim17ROCPRIM_400000_NS6detail17trampoline_kernelINS0_14default_configENS1_38merge_sort_block_merge_config_selectorItNS0_10empty_typeEEEZZNS1_27merge_sort_block_merge_implIS3_PtPS5_jNS1_19radix_merge_compareILb0ELb0EtNS0_19identity_decomposerEEEEE10hipError_tT0_T1_T2_jT3_P12ihipStream_tbPNSt15iterator_traitsISE_E10value_typeEPNSK_ISF_E10value_typeEPSG_NS1_7vsmem_tEENKUlT_SE_SF_SG_E_clIS8_S8_S9_S9_EESD_ST_SE_SF_SG_EUlST_E1_NS1_11comp_targetILNS1_3genE3ELNS1_11target_archE908ELNS1_3gpuE7ELNS1_3repE0EEENS1_36merge_oddeven_config_static_selectorELNS0_4arch9wavefront6targetE1EEEvSF_: ; @_ZN7rocprim17ROCPRIM_400000_NS6detail17trampoline_kernelINS0_14default_configENS1_38merge_sort_block_merge_config_selectorItNS0_10empty_typeEEEZZNS1_27merge_sort_block_merge_implIS3_PtPS5_jNS1_19radix_merge_compareILb0ELb0EtNS0_19identity_decomposerEEEEE10hipError_tT0_T1_T2_jT3_P12ihipStream_tbPNSt15iterator_traitsISE_E10value_typeEPNSK_ISF_E10value_typeEPSG_NS1_7vsmem_tEENKUlT_SE_SF_SG_E_clIS8_S8_S9_S9_EESD_ST_SE_SF_SG_EUlST_E1_NS1_11comp_targetILNS1_3genE3ELNS1_11target_archE908ELNS1_3gpuE7ELNS1_3repE0EEENS1_36merge_oddeven_config_static_selectorELNS0_4arch9wavefront6targetE1EEEvSF_
; %bb.0:
	.section	.rodata,"a",@progbits
	.p2align	6, 0x0
	.amdhsa_kernel _ZN7rocprim17ROCPRIM_400000_NS6detail17trampoline_kernelINS0_14default_configENS1_38merge_sort_block_merge_config_selectorItNS0_10empty_typeEEEZZNS1_27merge_sort_block_merge_implIS3_PtPS5_jNS1_19radix_merge_compareILb0ELb0EtNS0_19identity_decomposerEEEEE10hipError_tT0_T1_T2_jT3_P12ihipStream_tbPNSt15iterator_traitsISE_E10value_typeEPNSK_ISF_E10value_typeEPSG_NS1_7vsmem_tEENKUlT_SE_SF_SG_E_clIS8_S8_S9_S9_EESD_ST_SE_SF_SG_EUlST_E1_NS1_11comp_targetILNS1_3genE3ELNS1_11target_archE908ELNS1_3gpuE7ELNS1_3repE0EEENS1_36merge_oddeven_config_static_selectorELNS0_4arch9wavefront6targetE1EEEvSF_
		.amdhsa_group_segment_fixed_size 0
		.amdhsa_private_segment_fixed_size 0
		.amdhsa_kernarg_size 48
		.amdhsa_user_sgpr_count 6
		.amdhsa_user_sgpr_private_segment_buffer 1
		.amdhsa_user_sgpr_dispatch_ptr 0
		.amdhsa_user_sgpr_queue_ptr 0
		.amdhsa_user_sgpr_kernarg_segment_ptr 1
		.amdhsa_user_sgpr_dispatch_id 0
		.amdhsa_user_sgpr_flat_scratch_init 0
		.amdhsa_user_sgpr_kernarg_preload_length 0
		.amdhsa_user_sgpr_kernarg_preload_offset 0
		.amdhsa_user_sgpr_private_segment_size 0
		.amdhsa_uses_dynamic_stack 0
		.amdhsa_system_sgpr_private_segment_wavefront_offset 0
		.amdhsa_system_sgpr_workgroup_id_x 1
		.amdhsa_system_sgpr_workgroup_id_y 0
		.amdhsa_system_sgpr_workgroup_id_z 0
		.amdhsa_system_sgpr_workgroup_info 0
		.amdhsa_system_vgpr_workitem_id 0
		.amdhsa_next_free_vgpr 1
		.amdhsa_next_free_sgpr 0
		.amdhsa_accum_offset 4
		.amdhsa_reserve_vcc 0
		.amdhsa_reserve_flat_scratch 0
		.amdhsa_float_round_mode_32 0
		.amdhsa_float_round_mode_16_64 0
		.amdhsa_float_denorm_mode_32 3
		.amdhsa_float_denorm_mode_16_64 3
		.amdhsa_dx10_clamp 1
		.amdhsa_ieee_mode 1
		.amdhsa_fp16_overflow 0
		.amdhsa_tg_split 0
		.amdhsa_exception_fp_ieee_invalid_op 0
		.amdhsa_exception_fp_denorm_src 0
		.amdhsa_exception_fp_ieee_div_zero 0
		.amdhsa_exception_fp_ieee_overflow 0
		.amdhsa_exception_fp_ieee_underflow 0
		.amdhsa_exception_fp_ieee_inexact 0
		.amdhsa_exception_int_div_zero 0
	.end_amdhsa_kernel
	.section	.text._ZN7rocprim17ROCPRIM_400000_NS6detail17trampoline_kernelINS0_14default_configENS1_38merge_sort_block_merge_config_selectorItNS0_10empty_typeEEEZZNS1_27merge_sort_block_merge_implIS3_PtPS5_jNS1_19radix_merge_compareILb0ELb0EtNS0_19identity_decomposerEEEEE10hipError_tT0_T1_T2_jT3_P12ihipStream_tbPNSt15iterator_traitsISE_E10value_typeEPNSK_ISF_E10value_typeEPSG_NS1_7vsmem_tEENKUlT_SE_SF_SG_E_clIS8_S8_S9_S9_EESD_ST_SE_SF_SG_EUlST_E1_NS1_11comp_targetILNS1_3genE3ELNS1_11target_archE908ELNS1_3gpuE7ELNS1_3repE0EEENS1_36merge_oddeven_config_static_selectorELNS0_4arch9wavefront6targetE1EEEvSF_,"axG",@progbits,_ZN7rocprim17ROCPRIM_400000_NS6detail17trampoline_kernelINS0_14default_configENS1_38merge_sort_block_merge_config_selectorItNS0_10empty_typeEEEZZNS1_27merge_sort_block_merge_implIS3_PtPS5_jNS1_19radix_merge_compareILb0ELb0EtNS0_19identity_decomposerEEEEE10hipError_tT0_T1_T2_jT3_P12ihipStream_tbPNSt15iterator_traitsISE_E10value_typeEPNSK_ISF_E10value_typeEPSG_NS1_7vsmem_tEENKUlT_SE_SF_SG_E_clIS8_S8_S9_S9_EESD_ST_SE_SF_SG_EUlST_E1_NS1_11comp_targetILNS1_3genE3ELNS1_11target_archE908ELNS1_3gpuE7ELNS1_3repE0EEENS1_36merge_oddeven_config_static_selectorELNS0_4arch9wavefront6targetE1EEEvSF_,comdat
.Lfunc_end486:
	.size	_ZN7rocprim17ROCPRIM_400000_NS6detail17trampoline_kernelINS0_14default_configENS1_38merge_sort_block_merge_config_selectorItNS0_10empty_typeEEEZZNS1_27merge_sort_block_merge_implIS3_PtPS5_jNS1_19radix_merge_compareILb0ELb0EtNS0_19identity_decomposerEEEEE10hipError_tT0_T1_T2_jT3_P12ihipStream_tbPNSt15iterator_traitsISE_E10value_typeEPNSK_ISF_E10value_typeEPSG_NS1_7vsmem_tEENKUlT_SE_SF_SG_E_clIS8_S8_S9_S9_EESD_ST_SE_SF_SG_EUlST_E1_NS1_11comp_targetILNS1_3genE3ELNS1_11target_archE908ELNS1_3gpuE7ELNS1_3repE0EEENS1_36merge_oddeven_config_static_selectorELNS0_4arch9wavefront6targetE1EEEvSF_, .Lfunc_end486-_ZN7rocprim17ROCPRIM_400000_NS6detail17trampoline_kernelINS0_14default_configENS1_38merge_sort_block_merge_config_selectorItNS0_10empty_typeEEEZZNS1_27merge_sort_block_merge_implIS3_PtPS5_jNS1_19radix_merge_compareILb0ELb0EtNS0_19identity_decomposerEEEEE10hipError_tT0_T1_T2_jT3_P12ihipStream_tbPNSt15iterator_traitsISE_E10value_typeEPNSK_ISF_E10value_typeEPSG_NS1_7vsmem_tEENKUlT_SE_SF_SG_E_clIS8_S8_S9_S9_EESD_ST_SE_SF_SG_EUlST_E1_NS1_11comp_targetILNS1_3genE3ELNS1_11target_archE908ELNS1_3gpuE7ELNS1_3repE0EEENS1_36merge_oddeven_config_static_selectorELNS0_4arch9wavefront6targetE1EEEvSF_
                                        ; -- End function
	.section	.AMDGPU.csdata,"",@progbits
; Kernel info:
; codeLenInByte = 0
; NumSgprs: 4
; NumVgprs: 0
; NumAgprs: 0
; TotalNumVgprs: 0
; ScratchSize: 0
; MemoryBound: 0
; FloatMode: 240
; IeeeMode: 1
; LDSByteSize: 0 bytes/workgroup (compile time only)
; SGPRBlocks: 0
; VGPRBlocks: 0
; NumSGPRsForWavesPerEU: 4
; NumVGPRsForWavesPerEU: 1
; AccumOffset: 4
; Occupancy: 8
; WaveLimiterHint : 0
; COMPUTE_PGM_RSRC2:SCRATCH_EN: 0
; COMPUTE_PGM_RSRC2:USER_SGPR: 6
; COMPUTE_PGM_RSRC2:TRAP_HANDLER: 0
; COMPUTE_PGM_RSRC2:TGID_X_EN: 1
; COMPUTE_PGM_RSRC2:TGID_Y_EN: 0
; COMPUTE_PGM_RSRC2:TGID_Z_EN: 0
; COMPUTE_PGM_RSRC2:TIDIG_COMP_CNT: 0
; COMPUTE_PGM_RSRC3_GFX90A:ACCUM_OFFSET: 0
; COMPUTE_PGM_RSRC3_GFX90A:TG_SPLIT: 0
	.section	.text._ZN7rocprim17ROCPRIM_400000_NS6detail17trampoline_kernelINS0_14default_configENS1_38merge_sort_block_merge_config_selectorItNS0_10empty_typeEEEZZNS1_27merge_sort_block_merge_implIS3_PtPS5_jNS1_19radix_merge_compareILb0ELb0EtNS0_19identity_decomposerEEEEE10hipError_tT0_T1_T2_jT3_P12ihipStream_tbPNSt15iterator_traitsISE_E10value_typeEPNSK_ISF_E10value_typeEPSG_NS1_7vsmem_tEENKUlT_SE_SF_SG_E_clIS8_S8_S9_S9_EESD_ST_SE_SF_SG_EUlST_E1_NS1_11comp_targetILNS1_3genE2ELNS1_11target_archE906ELNS1_3gpuE6ELNS1_3repE0EEENS1_36merge_oddeven_config_static_selectorELNS0_4arch9wavefront6targetE1EEEvSF_,"axG",@progbits,_ZN7rocprim17ROCPRIM_400000_NS6detail17trampoline_kernelINS0_14default_configENS1_38merge_sort_block_merge_config_selectorItNS0_10empty_typeEEEZZNS1_27merge_sort_block_merge_implIS3_PtPS5_jNS1_19radix_merge_compareILb0ELb0EtNS0_19identity_decomposerEEEEE10hipError_tT0_T1_T2_jT3_P12ihipStream_tbPNSt15iterator_traitsISE_E10value_typeEPNSK_ISF_E10value_typeEPSG_NS1_7vsmem_tEENKUlT_SE_SF_SG_E_clIS8_S8_S9_S9_EESD_ST_SE_SF_SG_EUlST_E1_NS1_11comp_targetILNS1_3genE2ELNS1_11target_archE906ELNS1_3gpuE6ELNS1_3repE0EEENS1_36merge_oddeven_config_static_selectorELNS0_4arch9wavefront6targetE1EEEvSF_,comdat
	.protected	_ZN7rocprim17ROCPRIM_400000_NS6detail17trampoline_kernelINS0_14default_configENS1_38merge_sort_block_merge_config_selectorItNS0_10empty_typeEEEZZNS1_27merge_sort_block_merge_implIS3_PtPS5_jNS1_19radix_merge_compareILb0ELb0EtNS0_19identity_decomposerEEEEE10hipError_tT0_T1_T2_jT3_P12ihipStream_tbPNSt15iterator_traitsISE_E10value_typeEPNSK_ISF_E10value_typeEPSG_NS1_7vsmem_tEENKUlT_SE_SF_SG_E_clIS8_S8_S9_S9_EESD_ST_SE_SF_SG_EUlST_E1_NS1_11comp_targetILNS1_3genE2ELNS1_11target_archE906ELNS1_3gpuE6ELNS1_3repE0EEENS1_36merge_oddeven_config_static_selectorELNS0_4arch9wavefront6targetE1EEEvSF_ ; -- Begin function _ZN7rocprim17ROCPRIM_400000_NS6detail17trampoline_kernelINS0_14default_configENS1_38merge_sort_block_merge_config_selectorItNS0_10empty_typeEEEZZNS1_27merge_sort_block_merge_implIS3_PtPS5_jNS1_19radix_merge_compareILb0ELb0EtNS0_19identity_decomposerEEEEE10hipError_tT0_T1_T2_jT3_P12ihipStream_tbPNSt15iterator_traitsISE_E10value_typeEPNSK_ISF_E10value_typeEPSG_NS1_7vsmem_tEENKUlT_SE_SF_SG_E_clIS8_S8_S9_S9_EESD_ST_SE_SF_SG_EUlST_E1_NS1_11comp_targetILNS1_3genE2ELNS1_11target_archE906ELNS1_3gpuE6ELNS1_3repE0EEENS1_36merge_oddeven_config_static_selectorELNS0_4arch9wavefront6targetE1EEEvSF_
	.globl	_ZN7rocprim17ROCPRIM_400000_NS6detail17trampoline_kernelINS0_14default_configENS1_38merge_sort_block_merge_config_selectorItNS0_10empty_typeEEEZZNS1_27merge_sort_block_merge_implIS3_PtPS5_jNS1_19radix_merge_compareILb0ELb0EtNS0_19identity_decomposerEEEEE10hipError_tT0_T1_T2_jT3_P12ihipStream_tbPNSt15iterator_traitsISE_E10value_typeEPNSK_ISF_E10value_typeEPSG_NS1_7vsmem_tEENKUlT_SE_SF_SG_E_clIS8_S8_S9_S9_EESD_ST_SE_SF_SG_EUlST_E1_NS1_11comp_targetILNS1_3genE2ELNS1_11target_archE906ELNS1_3gpuE6ELNS1_3repE0EEENS1_36merge_oddeven_config_static_selectorELNS0_4arch9wavefront6targetE1EEEvSF_
	.p2align	8
	.type	_ZN7rocprim17ROCPRIM_400000_NS6detail17trampoline_kernelINS0_14default_configENS1_38merge_sort_block_merge_config_selectorItNS0_10empty_typeEEEZZNS1_27merge_sort_block_merge_implIS3_PtPS5_jNS1_19radix_merge_compareILb0ELb0EtNS0_19identity_decomposerEEEEE10hipError_tT0_T1_T2_jT3_P12ihipStream_tbPNSt15iterator_traitsISE_E10value_typeEPNSK_ISF_E10value_typeEPSG_NS1_7vsmem_tEENKUlT_SE_SF_SG_E_clIS8_S8_S9_S9_EESD_ST_SE_SF_SG_EUlST_E1_NS1_11comp_targetILNS1_3genE2ELNS1_11target_archE906ELNS1_3gpuE6ELNS1_3repE0EEENS1_36merge_oddeven_config_static_selectorELNS0_4arch9wavefront6targetE1EEEvSF_,@function
_ZN7rocprim17ROCPRIM_400000_NS6detail17trampoline_kernelINS0_14default_configENS1_38merge_sort_block_merge_config_selectorItNS0_10empty_typeEEEZZNS1_27merge_sort_block_merge_implIS3_PtPS5_jNS1_19radix_merge_compareILb0ELb0EtNS0_19identity_decomposerEEEEE10hipError_tT0_T1_T2_jT3_P12ihipStream_tbPNSt15iterator_traitsISE_E10value_typeEPNSK_ISF_E10value_typeEPSG_NS1_7vsmem_tEENKUlT_SE_SF_SG_E_clIS8_S8_S9_S9_EESD_ST_SE_SF_SG_EUlST_E1_NS1_11comp_targetILNS1_3genE2ELNS1_11target_archE906ELNS1_3gpuE6ELNS1_3repE0EEENS1_36merge_oddeven_config_static_selectorELNS0_4arch9wavefront6targetE1EEEvSF_: ; @_ZN7rocprim17ROCPRIM_400000_NS6detail17trampoline_kernelINS0_14default_configENS1_38merge_sort_block_merge_config_selectorItNS0_10empty_typeEEEZZNS1_27merge_sort_block_merge_implIS3_PtPS5_jNS1_19radix_merge_compareILb0ELb0EtNS0_19identity_decomposerEEEEE10hipError_tT0_T1_T2_jT3_P12ihipStream_tbPNSt15iterator_traitsISE_E10value_typeEPNSK_ISF_E10value_typeEPSG_NS1_7vsmem_tEENKUlT_SE_SF_SG_E_clIS8_S8_S9_S9_EESD_ST_SE_SF_SG_EUlST_E1_NS1_11comp_targetILNS1_3genE2ELNS1_11target_archE906ELNS1_3gpuE6ELNS1_3repE0EEENS1_36merge_oddeven_config_static_selectorELNS0_4arch9wavefront6targetE1EEEvSF_
; %bb.0:
	.section	.rodata,"a",@progbits
	.p2align	6, 0x0
	.amdhsa_kernel _ZN7rocprim17ROCPRIM_400000_NS6detail17trampoline_kernelINS0_14default_configENS1_38merge_sort_block_merge_config_selectorItNS0_10empty_typeEEEZZNS1_27merge_sort_block_merge_implIS3_PtPS5_jNS1_19radix_merge_compareILb0ELb0EtNS0_19identity_decomposerEEEEE10hipError_tT0_T1_T2_jT3_P12ihipStream_tbPNSt15iterator_traitsISE_E10value_typeEPNSK_ISF_E10value_typeEPSG_NS1_7vsmem_tEENKUlT_SE_SF_SG_E_clIS8_S8_S9_S9_EESD_ST_SE_SF_SG_EUlST_E1_NS1_11comp_targetILNS1_3genE2ELNS1_11target_archE906ELNS1_3gpuE6ELNS1_3repE0EEENS1_36merge_oddeven_config_static_selectorELNS0_4arch9wavefront6targetE1EEEvSF_
		.amdhsa_group_segment_fixed_size 0
		.amdhsa_private_segment_fixed_size 0
		.amdhsa_kernarg_size 48
		.amdhsa_user_sgpr_count 6
		.amdhsa_user_sgpr_private_segment_buffer 1
		.amdhsa_user_sgpr_dispatch_ptr 0
		.amdhsa_user_sgpr_queue_ptr 0
		.amdhsa_user_sgpr_kernarg_segment_ptr 1
		.amdhsa_user_sgpr_dispatch_id 0
		.amdhsa_user_sgpr_flat_scratch_init 0
		.amdhsa_user_sgpr_kernarg_preload_length 0
		.amdhsa_user_sgpr_kernarg_preload_offset 0
		.amdhsa_user_sgpr_private_segment_size 0
		.amdhsa_uses_dynamic_stack 0
		.amdhsa_system_sgpr_private_segment_wavefront_offset 0
		.amdhsa_system_sgpr_workgroup_id_x 1
		.amdhsa_system_sgpr_workgroup_id_y 0
		.amdhsa_system_sgpr_workgroup_id_z 0
		.amdhsa_system_sgpr_workgroup_info 0
		.amdhsa_system_vgpr_workitem_id 0
		.amdhsa_next_free_vgpr 1
		.amdhsa_next_free_sgpr 0
		.amdhsa_accum_offset 4
		.amdhsa_reserve_vcc 0
		.amdhsa_reserve_flat_scratch 0
		.amdhsa_float_round_mode_32 0
		.amdhsa_float_round_mode_16_64 0
		.amdhsa_float_denorm_mode_32 3
		.amdhsa_float_denorm_mode_16_64 3
		.amdhsa_dx10_clamp 1
		.amdhsa_ieee_mode 1
		.amdhsa_fp16_overflow 0
		.amdhsa_tg_split 0
		.amdhsa_exception_fp_ieee_invalid_op 0
		.amdhsa_exception_fp_denorm_src 0
		.amdhsa_exception_fp_ieee_div_zero 0
		.amdhsa_exception_fp_ieee_overflow 0
		.amdhsa_exception_fp_ieee_underflow 0
		.amdhsa_exception_fp_ieee_inexact 0
		.amdhsa_exception_int_div_zero 0
	.end_amdhsa_kernel
	.section	.text._ZN7rocprim17ROCPRIM_400000_NS6detail17trampoline_kernelINS0_14default_configENS1_38merge_sort_block_merge_config_selectorItNS0_10empty_typeEEEZZNS1_27merge_sort_block_merge_implIS3_PtPS5_jNS1_19radix_merge_compareILb0ELb0EtNS0_19identity_decomposerEEEEE10hipError_tT0_T1_T2_jT3_P12ihipStream_tbPNSt15iterator_traitsISE_E10value_typeEPNSK_ISF_E10value_typeEPSG_NS1_7vsmem_tEENKUlT_SE_SF_SG_E_clIS8_S8_S9_S9_EESD_ST_SE_SF_SG_EUlST_E1_NS1_11comp_targetILNS1_3genE2ELNS1_11target_archE906ELNS1_3gpuE6ELNS1_3repE0EEENS1_36merge_oddeven_config_static_selectorELNS0_4arch9wavefront6targetE1EEEvSF_,"axG",@progbits,_ZN7rocprim17ROCPRIM_400000_NS6detail17trampoline_kernelINS0_14default_configENS1_38merge_sort_block_merge_config_selectorItNS0_10empty_typeEEEZZNS1_27merge_sort_block_merge_implIS3_PtPS5_jNS1_19radix_merge_compareILb0ELb0EtNS0_19identity_decomposerEEEEE10hipError_tT0_T1_T2_jT3_P12ihipStream_tbPNSt15iterator_traitsISE_E10value_typeEPNSK_ISF_E10value_typeEPSG_NS1_7vsmem_tEENKUlT_SE_SF_SG_E_clIS8_S8_S9_S9_EESD_ST_SE_SF_SG_EUlST_E1_NS1_11comp_targetILNS1_3genE2ELNS1_11target_archE906ELNS1_3gpuE6ELNS1_3repE0EEENS1_36merge_oddeven_config_static_selectorELNS0_4arch9wavefront6targetE1EEEvSF_,comdat
.Lfunc_end487:
	.size	_ZN7rocprim17ROCPRIM_400000_NS6detail17trampoline_kernelINS0_14default_configENS1_38merge_sort_block_merge_config_selectorItNS0_10empty_typeEEEZZNS1_27merge_sort_block_merge_implIS3_PtPS5_jNS1_19radix_merge_compareILb0ELb0EtNS0_19identity_decomposerEEEEE10hipError_tT0_T1_T2_jT3_P12ihipStream_tbPNSt15iterator_traitsISE_E10value_typeEPNSK_ISF_E10value_typeEPSG_NS1_7vsmem_tEENKUlT_SE_SF_SG_E_clIS8_S8_S9_S9_EESD_ST_SE_SF_SG_EUlST_E1_NS1_11comp_targetILNS1_3genE2ELNS1_11target_archE906ELNS1_3gpuE6ELNS1_3repE0EEENS1_36merge_oddeven_config_static_selectorELNS0_4arch9wavefront6targetE1EEEvSF_, .Lfunc_end487-_ZN7rocprim17ROCPRIM_400000_NS6detail17trampoline_kernelINS0_14default_configENS1_38merge_sort_block_merge_config_selectorItNS0_10empty_typeEEEZZNS1_27merge_sort_block_merge_implIS3_PtPS5_jNS1_19radix_merge_compareILb0ELb0EtNS0_19identity_decomposerEEEEE10hipError_tT0_T1_T2_jT3_P12ihipStream_tbPNSt15iterator_traitsISE_E10value_typeEPNSK_ISF_E10value_typeEPSG_NS1_7vsmem_tEENKUlT_SE_SF_SG_E_clIS8_S8_S9_S9_EESD_ST_SE_SF_SG_EUlST_E1_NS1_11comp_targetILNS1_3genE2ELNS1_11target_archE906ELNS1_3gpuE6ELNS1_3repE0EEENS1_36merge_oddeven_config_static_selectorELNS0_4arch9wavefront6targetE1EEEvSF_
                                        ; -- End function
	.section	.AMDGPU.csdata,"",@progbits
; Kernel info:
; codeLenInByte = 0
; NumSgprs: 4
; NumVgprs: 0
; NumAgprs: 0
; TotalNumVgprs: 0
; ScratchSize: 0
; MemoryBound: 0
; FloatMode: 240
; IeeeMode: 1
; LDSByteSize: 0 bytes/workgroup (compile time only)
; SGPRBlocks: 0
; VGPRBlocks: 0
; NumSGPRsForWavesPerEU: 4
; NumVGPRsForWavesPerEU: 1
; AccumOffset: 4
; Occupancy: 8
; WaveLimiterHint : 0
; COMPUTE_PGM_RSRC2:SCRATCH_EN: 0
; COMPUTE_PGM_RSRC2:USER_SGPR: 6
; COMPUTE_PGM_RSRC2:TRAP_HANDLER: 0
; COMPUTE_PGM_RSRC2:TGID_X_EN: 1
; COMPUTE_PGM_RSRC2:TGID_Y_EN: 0
; COMPUTE_PGM_RSRC2:TGID_Z_EN: 0
; COMPUTE_PGM_RSRC2:TIDIG_COMP_CNT: 0
; COMPUTE_PGM_RSRC3_GFX90A:ACCUM_OFFSET: 0
; COMPUTE_PGM_RSRC3_GFX90A:TG_SPLIT: 0
	.section	.text._ZN7rocprim17ROCPRIM_400000_NS6detail17trampoline_kernelINS0_14default_configENS1_38merge_sort_block_merge_config_selectorItNS0_10empty_typeEEEZZNS1_27merge_sort_block_merge_implIS3_PtPS5_jNS1_19radix_merge_compareILb0ELb0EtNS0_19identity_decomposerEEEEE10hipError_tT0_T1_T2_jT3_P12ihipStream_tbPNSt15iterator_traitsISE_E10value_typeEPNSK_ISF_E10value_typeEPSG_NS1_7vsmem_tEENKUlT_SE_SF_SG_E_clIS8_S8_S9_S9_EESD_ST_SE_SF_SG_EUlST_E1_NS1_11comp_targetILNS1_3genE9ELNS1_11target_archE1100ELNS1_3gpuE3ELNS1_3repE0EEENS1_36merge_oddeven_config_static_selectorELNS0_4arch9wavefront6targetE1EEEvSF_,"axG",@progbits,_ZN7rocprim17ROCPRIM_400000_NS6detail17trampoline_kernelINS0_14default_configENS1_38merge_sort_block_merge_config_selectorItNS0_10empty_typeEEEZZNS1_27merge_sort_block_merge_implIS3_PtPS5_jNS1_19radix_merge_compareILb0ELb0EtNS0_19identity_decomposerEEEEE10hipError_tT0_T1_T2_jT3_P12ihipStream_tbPNSt15iterator_traitsISE_E10value_typeEPNSK_ISF_E10value_typeEPSG_NS1_7vsmem_tEENKUlT_SE_SF_SG_E_clIS8_S8_S9_S9_EESD_ST_SE_SF_SG_EUlST_E1_NS1_11comp_targetILNS1_3genE9ELNS1_11target_archE1100ELNS1_3gpuE3ELNS1_3repE0EEENS1_36merge_oddeven_config_static_selectorELNS0_4arch9wavefront6targetE1EEEvSF_,comdat
	.protected	_ZN7rocprim17ROCPRIM_400000_NS6detail17trampoline_kernelINS0_14default_configENS1_38merge_sort_block_merge_config_selectorItNS0_10empty_typeEEEZZNS1_27merge_sort_block_merge_implIS3_PtPS5_jNS1_19radix_merge_compareILb0ELb0EtNS0_19identity_decomposerEEEEE10hipError_tT0_T1_T2_jT3_P12ihipStream_tbPNSt15iterator_traitsISE_E10value_typeEPNSK_ISF_E10value_typeEPSG_NS1_7vsmem_tEENKUlT_SE_SF_SG_E_clIS8_S8_S9_S9_EESD_ST_SE_SF_SG_EUlST_E1_NS1_11comp_targetILNS1_3genE9ELNS1_11target_archE1100ELNS1_3gpuE3ELNS1_3repE0EEENS1_36merge_oddeven_config_static_selectorELNS0_4arch9wavefront6targetE1EEEvSF_ ; -- Begin function _ZN7rocprim17ROCPRIM_400000_NS6detail17trampoline_kernelINS0_14default_configENS1_38merge_sort_block_merge_config_selectorItNS0_10empty_typeEEEZZNS1_27merge_sort_block_merge_implIS3_PtPS5_jNS1_19radix_merge_compareILb0ELb0EtNS0_19identity_decomposerEEEEE10hipError_tT0_T1_T2_jT3_P12ihipStream_tbPNSt15iterator_traitsISE_E10value_typeEPNSK_ISF_E10value_typeEPSG_NS1_7vsmem_tEENKUlT_SE_SF_SG_E_clIS8_S8_S9_S9_EESD_ST_SE_SF_SG_EUlST_E1_NS1_11comp_targetILNS1_3genE9ELNS1_11target_archE1100ELNS1_3gpuE3ELNS1_3repE0EEENS1_36merge_oddeven_config_static_selectorELNS0_4arch9wavefront6targetE1EEEvSF_
	.globl	_ZN7rocprim17ROCPRIM_400000_NS6detail17trampoline_kernelINS0_14default_configENS1_38merge_sort_block_merge_config_selectorItNS0_10empty_typeEEEZZNS1_27merge_sort_block_merge_implIS3_PtPS5_jNS1_19radix_merge_compareILb0ELb0EtNS0_19identity_decomposerEEEEE10hipError_tT0_T1_T2_jT3_P12ihipStream_tbPNSt15iterator_traitsISE_E10value_typeEPNSK_ISF_E10value_typeEPSG_NS1_7vsmem_tEENKUlT_SE_SF_SG_E_clIS8_S8_S9_S9_EESD_ST_SE_SF_SG_EUlST_E1_NS1_11comp_targetILNS1_3genE9ELNS1_11target_archE1100ELNS1_3gpuE3ELNS1_3repE0EEENS1_36merge_oddeven_config_static_selectorELNS0_4arch9wavefront6targetE1EEEvSF_
	.p2align	8
	.type	_ZN7rocprim17ROCPRIM_400000_NS6detail17trampoline_kernelINS0_14default_configENS1_38merge_sort_block_merge_config_selectorItNS0_10empty_typeEEEZZNS1_27merge_sort_block_merge_implIS3_PtPS5_jNS1_19radix_merge_compareILb0ELb0EtNS0_19identity_decomposerEEEEE10hipError_tT0_T1_T2_jT3_P12ihipStream_tbPNSt15iterator_traitsISE_E10value_typeEPNSK_ISF_E10value_typeEPSG_NS1_7vsmem_tEENKUlT_SE_SF_SG_E_clIS8_S8_S9_S9_EESD_ST_SE_SF_SG_EUlST_E1_NS1_11comp_targetILNS1_3genE9ELNS1_11target_archE1100ELNS1_3gpuE3ELNS1_3repE0EEENS1_36merge_oddeven_config_static_selectorELNS0_4arch9wavefront6targetE1EEEvSF_,@function
_ZN7rocprim17ROCPRIM_400000_NS6detail17trampoline_kernelINS0_14default_configENS1_38merge_sort_block_merge_config_selectorItNS0_10empty_typeEEEZZNS1_27merge_sort_block_merge_implIS3_PtPS5_jNS1_19radix_merge_compareILb0ELb0EtNS0_19identity_decomposerEEEEE10hipError_tT0_T1_T2_jT3_P12ihipStream_tbPNSt15iterator_traitsISE_E10value_typeEPNSK_ISF_E10value_typeEPSG_NS1_7vsmem_tEENKUlT_SE_SF_SG_E_clIS8_S8_S9_S9_EESD_ST_SE_SF_SG_EUlST_E1_NS1_11comp_targetILNS1_3genE9ELNS1_11target_archE1100ELNS1_3gpuE3ELNS1_3repE0EEENS1_36merge_oddeven_config_static_selectorELNS0_4arch9wavefront6targetE1EEEvSF_: ; @_ZN7rocprim17ROCPRIM_400000_NS6detail17trampoline_kernelINS0_14default_configENS1_38merge_sort_block_merge_config_selectorItNS0_10empty_typeEEEZZNS1_27merge_sort_block_merge_implIS3_PtPS5_jNS1_19radix_merge_compareILb0ELb0EtNS0_19identity_decomposerEEEEE10hipError_tT0_T1_T2_jT3_P12ihipStream_tbPNSt15iterator_traitsISE_E10value_typeEPNSK_ISF_E10value_typeEPSG_NS1_7vsmem_tEENKUlT_SE_SF_SG_E_clIS8_S8_S9_S9_EESD_ST_SE_SF_SG_EUlST_E1_NS1_11comp_targetILNS1_3genE9ELNS1_11target_archE1100ELNS1_3gpuE3ELNS1_3repE0EEENS1_36merge_oddeven_config_static_selectorELNS0_4arch9wavefront6targetE1EEEvSF_
; %bb.0:
	.section	.rodata,"a",@progbits
	.p2align	6, 0x0
	.amdhsa_kernel _ZN7rocprim17ROCPRIM_400000_NS6detail17trampoline_kernelINS0_14default_configENS1_38merge_sort_block_merge_config_selectorItNS0_10empty_typeEEEZZNS1_27merge_sort_block_merge_implIS3_PtPS5_jNS1_19radix_merge_compareILb0ELb0EtNS0_19identity_decomposerEEEEE10hipError_tT0_T1_T2_jT3_P12ihipStream_tbPNSt15iterator_traitsISE_E10value_typeEPNSK_ISF_E10value_typeEPSG_NS1_7vsmem_tEENKUlT_SE_SF_SG_E_clIS8_S8_S9_S9_EESD_ST_SE_SF_SG_EUlST_E1_NS1_11comp_targetILNS1_3genE9ELNS1_11target_archE1100ELNS1_3gpuE3ELNS1_3repE0EEENS1_36merge_oddeven_config_static_selectorELNS0_4arch9wavefront6targetE1EEEvSF_
		.amdhsa_group_segment_fixed_size 0
		.amdhsa_private_segment_fixed_size 0
		.amdhsa_kernarg_size 48
		.amdhsa_user_sgpr_count 6
		.amdhsa_user_sgpr_private_segment_buffer 1
		.amdhsa_user_sgpr_dispatch_ptr 0
		.amdhsa_user_sgpr_queue_ptr 0
		.amdhsa_user_sgpr_kernarg_segment_ptr 1
		.amdhsa_user_sgpr_dispatch_id 0
		.amdhsa_user_sgpr_flat_scratch_init 0
		.amdhsa_user_sgpr_kernarg_preload_length 0
		.amdhsa_user_sgpr_kernarg_preload_offset 0
		.amdhsa_user_sgpr_private_segment_size 0
		.amdhsa_uses_dynamic_stack 0
		.amdhsa_system_sgpr_private_segment_wavefront_offset 0
		.amdhsa_system_sgpr_workgroup_id_x 1
		.amdhsa_system_sgpr_workgroup_id_y 0
		.amdhsa_system_sgpr_workgroup_id_z 0
		.amdhsa_system_sgpr_workgroup_info 0
		.amdhsa_system_vgpr_workitem_id 0
		.amdhsa_next_free_vgpr 1
		.amdhsa_next_free_sgpr 0
		.amdhsa_accum_offset 4
		.amdhsa_reserve_vcc 0
		.amdhsa_reserve_flat_scratch 0
		.amdhsa_float_round_mode_32 0
		.amdhsa_float_round_mode_16_64 0
		.amdhsa_float_denorm_mode_32 3
		.amdhsa_float_denorm_mode_16_64 3
		.amdhsa_dx10_clamp 1
		.amdhsa_ieee_mode 1
		.amdhsa_fp16_overflow 0
		.amdhsa_tg_split 0
		.amdhsa_exception_fp_ieee_invalid_op 0
		.amdhsa_exception_fp_denorm_src 0
		.amdhsa_exception_fp_ieee_div_zero 0
		.amdhsa_exception_fp_ieee_overflow 0
		.amdhsa_exception_fp_ieee_underflow 0
		.amdhsa_exception_fp_ieee_inexact 0
		.amdhsa_exception_int_div_zero 0
	.end_amdhsa_kernel
	.section	.text._ZN7rocprim17ROCPRIM_400000_NS6detail17trampoline_kernelINS0_14default_configENS1_38merge_sort_block_merge_config_selectorItNS0_10empty_typeEEEZZNS1_27merge_sort_block_merge_implIS3_PtPS5_jNS1_19radix_merge_compareILb0ELb0EtNS0_19identity_decomposerEEEEE10hipError_tT0_T1_T2_jT3_P12ihipStream_tbPNSt15iterator_traitsISE_E10value_typeEPNSK_ISF_E10value_typeEPSG_NS1_7vsmem_tEENKUlT_SE_SF_SG_E_clIS8_S8_S9_S9_EESD_ST_SE_SF_SG_EUlST_E1_NS1_11comp_targetILNS1_3genE9ELNS1_11target_archE1100ELNS1_3gpuE3ELNS1_3repE0EEENS1_36merge_oddeven_config_static_selectorELNS0_4arch9wavefront6targetE1EEEvSF_,"axG",@progbits,_ZN7rocprim17ROCPRIM_400000_NS6detail17trampoline_kernelINS0_14default_configENS1_38merge_sort_block_merge_config_selectorItNS0_10empty_typeEEEZZNS1_27merge_sort_block_merge_implIS3_PtPS5_jNS1_19radix_merge_compareILb0ELb0EtNS0_19identity_decomposerEEEEE10hipError_tT0_T1_T2_jT3_P12ihipStream_tbPNSt15iterator_traitsISE_E10value_typeEPNSK_ISF_E10value_typeEPSG_NS1_7vsmem_tEENKUlT_SE_SF_SG_E_clIS8_S8_S9_S9_EESD_ST_SE_SF_SG_EUlST_E1_NS1_11comp_targetILNS1_3genE9ELNS1_11target_archE1100ELNS1_3gpuE3ELNS1_3repE0EEENS1_36merge_oddeven_config_static_selectorELNS0_4arch9wavefront6targetE1EEEvSF_,comdat
.Lfunc_end488:
	.size	_ZN7rocprim17ROCPRIM_400000_NS6detail17trampoline_kernelINS0_14default_configENS1_38merge_sort_block_merge_config_selectorItNS0_10empty_typeEEEZZNS1_27merge_sort_block_merge_implIS3_PtPS5_jNS1_19radix_merge_compareILb0ELb0EtNS0_19identity_decomposerEEEEE10hipError_tT0_T1_T2_jT3_P12ihipStream_tbPNSt15iterator_traitsISE_E10value_typeEPNSK_ISF_E10value_typeEPSG_NS1_7vsmem_tEENKUlT_SE_SF_SG_E_clIS8_S8_S9_S9_EESD_ST_SE_SF_SG_EUlST_E1_NS1_11comp_targetILNS1_3genE9ELNS1_11target_archE1100ELNS1_3gpuE3ELNS1_3repE0EEENS1_36merge_oddeven_config_static_selectorELNS0_4arch9wavefront6targetE1EEEvSF_, .Lfunc_end488-_ZN7rocprim17ROCPRIM_400000_NS6detail17trampoline_kernelINS0_14default_configENS1_38merge_sort_block_merge_config_selectorItNS0_10empty_typeEEEZZNS1_27merge_sort_block_merge_implIS3_PtPS5_jNS1_19radix_merge_compareILb0ELb0EtNS0_19identity_decomposerEEEEE10hipError_tT0_T1_T2_jT3_P12ihipStream_tbPNSt15iterator_traitsISE_E10value_typeEPNSK_ISF_E10value_typeEPSG_NS1_7vsmem_tEENKUlT_SE_SF_SG_E_clIS8_S8_S9_S9_EESD_ST_SE_SF_SG_EUlST_E1_NS1_11comp_targetILNS1_3genE9ELNS1_11target_archE1100ELNS1_3gpuE3ELNS1_3repE0EEENS1_36merge_oddeven_config_static_selectorELNS0_4arch9wavefront6targetE1EEEvSF_
                                        ; -- End function
	.section	.AMDGPU.csdata,"",@progbits
; Kernel info:
; codeLenInByte = 0
; NumSgprs: 4
; NumVgprs: 0
; NumAgprs: 0
; TotalNumVgprs: 0
; ScratchSize: 0
; MemoryBound: 0
; FloatMode: 240
; IeeeMode: 1
; LDSByteSize: 0 bytes/workgroup (compile time only)
; SGPRBlocks: 0
; VGPRBlocks: 0
; NumSGPRsForWavesPerEU: 4
; NumVGPRsForWavesPerEU: 1
; AccumOffset: 4
; Occupancy: 8
; WaveLimiterHint : 0
; COMPUTE_PGM_RSRC2:SCRATCH_EN: 0
; COMPUTE_PGM_RSRC2:USER_SGPR: 6
; COMPUTE_PGM_RSRC2:TRAP_HANDLER: 0
; COMPUTE_PGM_RSRC2:TGID_X_EN: 1
; COMPUTE_PGM_RSRC2:TGID_Y_EN: 0
; COMPUTE_PGM_RSRC2:TGID_Z_EN: 0
; COMPUTE_PGM_RSRC2:TIDIG_COMP_CNT: 0
; COMPUTE_PGM_RSRC3_GFX90A:ACCUM_OFFSET: 0
; COMPUTE_PGM_RSRC3_GFX90A:TG_SPLIT: 0
	.section	.text._ZN7rocprim17ROCPRIM_400000_NS6detail17trampoline_kernelINS0_14default_configENS1_38merge_sort_block_merge_config_selectorItNS0_10empty_typeEEEZZNS1_27merge_sort_block_merge_implIS3_PtPS5_jNS1_19radix_merge_compareILb0ELb0EtNS0_19identity_decomposerEEEEE10hipError_tT0_T1_T2_jT3_P12ihipStream_tbPNSt15iterator_traitsISE_E10value_typeEPNSK_ISF_E10value_typeEPSG_NS1_7vsmem_tEENKUlT_SE_SF_SG_E_clIS8_S8_S9_S9_EESD_ST_SE_SF_SG_EUlST_E1_NS1_11comp_targetILNS1_3genE8ELNS1_11target_archE1030ELNS1_3gpuE2ELNS1_3repE0EEENS1_36merge_oddeven_config_static_selectorELNS0_4arch9wavefront6targetE1EEEvSF_,"axG",@progbits,_ZN7rocprim17ROCPRIM_400000_NS6detail17trampoline_kernelINS0_14default_configENS1_38merge_sort_block_merge_config_selectorItNS0_10empty_typeEEEZZNS1_27merge_sort_block_merge_implIS3_PtPS5_jNS1_19radix_merge_compareILb0ELb0EtNS0_19identity_decomposerEEEEE10hipError_tT0_T1_T2_jT3_P12ihipStream_tbPNSt15iterator_traitsISE_E10value_typeEPNSK_ISF_E10value_typeEPSG_NS1_7vsmem_tEENKUlT_SE_SF_SG_E_clIS8_S8_S9_S9_EESD_ST_SE_SF_SG_EUlST_E1_NS1_11comp_targetILNS1_3genE8ELNS1_11target_archE1030ELNS1_3gpuE2ELNS1_3repE0EEENS1_36merge_oddeven_config_static_selectorELNS0_4arch9wavefront6targetE1EEEvSF_,comdat
	.protected	_ZN7rocprim17ROCPRIM_400000_NS6detail17trampoline_kernelINS0_14default_configENS1_38merge_sort_block_merge_config_selectorItNS0_10empty_typeEEEZZNS1_27merge_sort_block_merge_implIS3_PtPS5_jNS1_19radix_merge_compareILb0ELb0EtNS0_19identity_decomposerEEEEE10hipError_tT0_T1_T2_jT3_P12ihipStream_tbPNSt15iterator_traitsISE_E10value_typeEPNSK_ISF_E10value_typeEPSG_NS1_7vsmem_tEENKUlT_SE_SF_SG_E_clIS8_S8_S9_S9_EESD_ST_SE_SF_SG_EUlST_E1_NS1_11comp_targetILNS1_3genE8ELNS1_11target_archE1030ELNS1_3gpuE2ELNS1_3repE0EEENS1_36merge_oddeven_config_static_selectorELNS0_4arch9wavefront6targetE1EEEvSF_ ; -- Begin function _ZN7rocprim17ROCPRIM_400000_NS6detail17trampoline_kernelINS0_14default_configENS1_38merge_sort_block_merge_config_selectorItNS0_10empty_typeEEEZZNS1_27merge_sort_block_merge_implIS3_PtPS5_jNS1_19radix_merge_compareILb0ELb0EtNS0_19identity_decomposerEEEEE10hipError_tT0_T1_T2_jT3_P12ihipStream_tbPNSt15iterator_traitsISE_E10value_typeEPNSK_ISF_E10value_typeEPSG_NS1_7vsmem_tEENKUlT_SE_SF_SG_E_clIS8_S8_S9_S9_EESD_ST_SE_SF_SG_EUlST_E1_NS1_11comp_targetILNS1_3genE8ELNS1_11target_archE1030ELNS1_3gpuE2ELNS1_3repE0EEENS1_36merge_oddeven_config_static_selectorELNS0_4arch9wavefront6targetE1EEEvSF_
	.globl	_ZN7rocprim17ROCPRIM_400000_NS6detail17trampoline_kernelINS0_14default_configENS1_38merge_sort_block_merge_config_selectorItNS0_10empty_typeEEEZZNS1_27merge_sort_block_merge_implIS3_PtPS5_jNS1_19radix_merge_compareILb0ELb0EtNS0_19identity_decomposerEEEEE10hipError_tT0_T1_T2_jT3_P12ihipStream_tbPNSt15iterator_traitsISE_E10value_typeEPNSK_ISF_E10value_typeEPSG_NS1_7vsmem_tEENKUlT_SE_SF_SG_E_clIS8_S8_S9_S9_EESD_ST_SE_SF_SG_EUlST_E1_NS1_11comp_targetILNS1_3genE8ELNS1_11target_archE1030ELNS1_3gpuE2ELNS1_3repE0EEENS1_36merge_oddeven_config_static_selectorELNS0_4arch9wavefront6targetE1EEEvSF_
	.p2align	8
	.type	_ZN7rocprim17ROCPRIM_400000_NS6detail17trampoline_kernelINS0_14default_configENS1_38merge_sort_block_merge_config_selectorItNS0_10empty_typeEEEZZNS1_27merge_sort_block_merge_implIS3_PtPS5_jNS1_19radix_merge_compareILb0ELb0EtNS0_19identity_decomposerEEEEE10hipError_tT0_T1_T2_jT3_P12ihipStream_tbPNSt15iterator_traitsISE_E10value_typeEPNSK_ISF_E10value_typeEPSG_NS1_7vsmem_tEENKUlT_SE_SF_SG_E_clIS8_S8_S9_S9_EESD_ST_SE_SF_SG_EUlST_E1_NS1_11comp_targetILNS1_3genE8ELNS1_11target_archE1030ELNS1_3gpuE2ELNS1_3repE0EEENS1_36merge_oddeven_config_static_selectorELNS0_4arch9wavefront6targetE1EEEvSF_,@function
_ZN7rocprim17ROCPRIM_400000_NS6detail17trampoline_kernelINS0_14default_configENS1_38merge_sort_block_merge_config_selectorItNS0_10empty_typeEEEZZNS1_27merge_sort_block_merge_implIS3_PtPS5_jNS1_19radix_merge_compareILb0ELb0EtNS0_19identity_decomposerEEEEE10hipError_tT0_T1_T2_jT3_P12ihipStream_tbPNSt15iterator_traitsISE_E10value_typeEPNSK_ISF_E10value_typeEPSG_NS1_7vsmem_tEENKUlT_SE_SF_SG_E_clIS8_S8_S9_S9_EESD_ST_SE_SF_SG_EUlST_E1_NS1_11comp_targetILNS1_3genE8ELNS1_11target_archE1030ELNS1_3gpuE2ELNS1_3repE0EEENS1_36merge_oddeven_config_static_selectorELNS0_4arch9wavefront6targetE1EEEvSF_: ; @_ZN7rocprim17ROCPRIM_400000_NS6detail17trampoline_kernelINS0_14default_configENS1_38merge_sort_block_merge_config_selectorItNS0_10empty_typeEEEZZNS1_27merge_sort_block_merge_implIS3_PtPS5_jNS1_19radix_merge_compareILb0ELb0EtNS0_19identity_decomposerEEEEE10hipError_tT0_T1_T2_jT3_P12ihipStream_tbPNSt15iterator_traitsISE_E10value_typeEPNSK_ISF_E10value_typeEPSG_NS1_7vsmem_tEENKUlT_SE_SF_SG_E_clIS8_S8_S9_S9_EESD_ST_SE_SF_SG_EUlST_E1_NS1_11comp_targetILNS1_3genE8ELNS1_11target_archE1030ELNS1_3gpuE2ELNS1_3repE0EEENS1_36merge_oddeven_config_static_selectorELNS0_4arch9wavefront6targetE1EEEvSF_
; %bb.0:
	.section	.rodata,"a",@progbits
	.p2align	6, 0x0
	.amdhsa_kernel _ZN7rocprim17ROCPRIM_400000_NS6detail17trampoline_kernelINS0_14default_configENS1_38merge_sort_block_merge_config_selectorItNS0_10empty_typeEEEZZNS1_27merge_sort_block_merge_implIS3_PtPS5_jNS1_19radix_merge_compareILb0ELb0EtNS0_19identity_decomposerEEEEE10hipError_tT0_T1_T2_jT3_P12ihipStream_tbPNSt15iterator_traitsISE_E10value_typeEPNSK_ISF_E10value_typeEPSG_NS1_7vsmem_tEENKUlT_SE_SF_SG_E_clIS8_S8_S9_S9_EESD_ST_SE_SF_SG_EUlST_E1_NS1_11comp_targetILNS1_3genE8ELNS1_11target_archE1030ELNS1_3gpuE2ELNS1_3repE0EEENS1_36merge_oddeven_config_static_selectorELNS0_4arch9wavefront6targetE1EEEvSF_
		.amdhsa_group_segment_fixed_size 0
		.amdhsa_private_segment_fixed_size 0
		.amdhsa_kernarg_size 48
		.amdhsa_user_sgpr_count 6
		.amdhsa_user_sgpr_private_segment_buffer 1
		.amdhsa_user_sgpr_dispatch_ptr 0
		.amdhsa_user_sgpr_queue_ptr 0
		.amdhsa_user_sgpr_kernarg_segment_ptr 1
		.amdhsa_user_sgpr_dispatch_id 0
		.amdhsa_user_sgpr_flat_scratch_init 0
		.amdhsa_user_sgpr_kernarg_preload_length 0
		.amdhsa_user_sgpr_kernarg_preload_offset 0
		.amdhsa_user_sgpr_private_segment_size 0
		.amdhsa_uses_dynamic_stack 0
		.amdhsa_system_sgpr_private_segment_wavefront_offset 0
		.amdhsa_system_sgpr_workgroup_id_x 1
		.amdhsa_system_sgpr_workgroup_id_y 0
		.amdhsa_system_sgpr_workgroup_id_z 0
		.amdhsa_system_sgpr_workgroup_info 0
		.amdhsa_system_vgpr_workitem_id 0
		.amdhsa_next_free_vgpr 1
		.amdhsa_next_free_sgpr 0
		.amdhsa_accum_offset 4
		.amdhsa_reserve_vcc 0
		.amdhsa_reserve_flat_scratch 0
		.amdhsa_float_round_mode_32 0
		.amdhsa_float_round_mode_16_64 0
		.amdhsa_float_denorm_mode_32 3
		.amdhsa_float_denorm_mode_16_64 3
		.amdhsa_dx10_clamp 1
		.amdhsa_ieee_mode 1
		.amdhsa_fp16_overflow 0
		.amdhsa_tg_split 0
		.amdhsa_exception_fp_ieee_invalid_op 0
		.amdhsa_exception_fp_denorm_src 0
		.amdhsa_exception_fp_ieee_div_zero 0
		.amdhsa_exception_fp_ieee_overflow 0
		.amdhsa_exception_fp_ieee_underflow 0
		.amdhsa_exception_fp_ieee_inexact 0
		.amdhsa_exception_int_div_zero 0
	.end_amdhsa_kernel
	.section	.text._ZN7rocprim17ROCPRIM_400000_NS6detail17trampoline_kernelINS0_14default_configENS1_38merge_sort_block_merge_config_selectorItNS0_10empty_typeEEEZZNS1_27merge_sort_block_merge_implIS3_PtPS5_jNS1_19radix_merge_compareILb0ELb0EtNS0_19identity_decomposerEEEEE10hipError_tT0_T1_T2_jT3_P12ihipStream_tbPNSt15iterator_traitsISE_E10value_typeEPNSK_ISF_E10value_typeEPSG_NS1_7vsmem_tEENKUlT_SE_SF_SG_E_clIS8_S8_S9_S9_EESD_ST_SE_SF_SG_EUlST_E1_NS1_11comp_targetILNS1_3genE8ELNS1_11target_archE1030ELNS1_3gpuE2ELNS1_3repE0EEENS1_36merge_oddeven_config_static_selectorELNS0_4arch9wavefront6targetE1EEEvSF_,"axG",@progbits,_ZN7rocprim17ROCPRIM_400000_NS6detail17trampoline_kernelINS0_14default_configENS1_38merge_sort_block_merge_config_selectorItNS0_10empty_typeEEEZZNS1_27merge_sort_block_merge_implIS3_PtPS5_jNS1_19radix_merge_compareILb0ELb0EtNS0_19identity_decomposerEEEEE10hipError_tT0_T1_T2_jT3_P12ihipStream_tbPNSt15iterator_traitsISE_E10value_typeEPNSK_ISF_E10value_typeEPSG_NS1_7vsmem_tEENKUlT_SE_SF_SG_E_clIS8_S8_S9_S9_EESD_ST_SE_SF_SG_EUlST_E1_NS1_11comp_targetILNS1_3genE8ELNS1_11target_archE1030ELNS1_3gpuE2ELNS1_3repE0EEENS1_36merge_oddeven_config_static_selectorELNS0_4arch9wavefront6targetE1EEEvSF_,comdat
.Lfunc_end489:
	.size	_ZN7rocprim17ROCPRIM_400000_NS6detail17trampoline_kernelINS0_14default_configENS1_38merge_sort_block_merge_config_selectorItNS0_10empty_typeEEEZZNS1_27merge_sort_block_merge_implIS3_PtPS5_jNS1_19radix_merge_compareILb0ELb0EtNS0_19identity_decomposerEEEEE10hipError_tT0_T1_T2_jT3_P12ihipStream_tbPNSt15iterator_traitsISE_E10value_typeEPNSK_ISF_E10value_typeEPSG_NS1_7vsmem_tEENKUlT_SE_SF_SG_E_clIS8_S8_S9_S9_EESD_ST_SE_SF_SG_EUlST_E1_NS1_11comp_targetILNS1_3genE8ELNS1_11target_archE1030ELNS1_3gpuE2ELNS1_3repE0EEENS1_36merge_oddeven_config_static_selectorELNS0_4arch9wavefront6targetE1EEEvSF_, .Lfunc_end489-_ZN7rocprim17ROCPRIM_400000_NS6detail17trampoline_kernelINS0_14default_configENS1_38merge_sort_block_merge_config_selectorItNS0_10empty_typeEEEZZNS1_27merge_sort_block_merge_implIS3_PtPS5_jNS1_19radix_merge_compareILb0ELb0EtNS0_19identity_decomposerEEEEE10hipError_tT0_T1_T2_jT3_P12ihipStream_tbPNSt15iterator_traitsISE_E10value_typeEPNSK_ISF_E10value_typeEPSG_NS1_7vsmem_tEENKUlT_SE_SF_SG_E_clIS8_S8_S9_S9_EESD_ST_SE_SF_SG_EUlST_E1_NS1_11comp_targetILNS1_3genE8ELNS1_11target_archE1030ELNS1_3gpuE2ELNS1_3repE0EEENS1_36merge_oddeven_config_static_selectorELNS0_4arch9wavefront6targetE1EEEvSF_
                                        ; -- End function
	.section	.AMDGPU.csdata,"",@progbits
; Kernel info:
; codeLenInByte = 0
; NumSgprs: 4
; NumVgprs: 0
; NumAgprs: 0
; TotalNumVgprs: 0
; ScratchSize: 0
; MemoryBound: 0
; FloatMode: 240
; IeeeMode: 1
; LDSByteSize: 0 bytes/workgroup (compile time only)
; SGPRBlocks: 0
; VGPRBlocks: 0
; NumSGPRsForWavesPerEU: 4
; NumVGPRsForWavesPerEU: 1
; AccumOffset: 4
; Occupancy: 8
; WaveLimiterHint : 0
; COMPUTE_PGM_RSRC2:SCRATCH_EN: 0
; COMPUTE_PGM_RSRC2:USER_SGPR: 6
; COMPUTE_PGM_RSRC2:TRAP_HANDLER: 0
; COMPUTE_PGM_RSRC2:TGID_X_EN: 1
; COMPUTE_PGM_RSRC2:TGID_Y_EN: 0
; COMPUTE_PGM_RSRC2:TGID_Z_EN: 0
; COMPUTE_PGM_RSRC2:TIDIG_COMP_CNT: 0
; COMPUTE_PGM_RSRC3_GFX90A:ACCUM_OFFSET: 0
; COMPUTE_PGM_RSRC3_GFX90A:TG_SPLIT: 0
	.section	.text._ZN7rocprim17ROCPRIM_400000_NS6detail17trampoline_kernelINS0_14default_configENS1_25transform_config_selectorItLb1EEEZNS1_14transform_implILb1ES3_S5_PtS7_NS0_8identityItEEEE10hipError_tT2_T3_mT4_P12ihipStream_tbEUlT_E_NS1_11comp_targetILNS1_3genE0ELNS1_11target_archE4294967295ELNS1_3gpuE0ELNS1_3repE0EEENS1_30default_config_static_selectorELNS0_4arch9wavefront6targetE1EEEvT1_,"axG",@progbits,_ZN7rocprim17ROCPRIM_400000_NS6detail17trampoline_kernelINS0_14default_configENS1_25transform_config_selectorItLb1EEEZNS1_14transform_implILb1ES3_S5_PtS7_NS0_8identityItEEEE10hipError_tT2_T3_mT4_P12ihipStream_tbEUlT_E_NS1_11comp_targetILNS1_3genE0ELNS1_11target_archE4294967295ELNS1_3gpuE0ELNS1_3repE0EEENS1_30default_config_static_selectorELNS0_4arch9wavefront6targetE1EEEvT1_,comdat
	.protected	_ZN7rocprim17ROCPRIM_400000_NS6detail17trampoline_kernelINS0_14default_configENS1_25transform_config_selectorItLb1EEEZNS1_14transform_implILb1ES3_S5_PtS7_NS0_8identityItEEEE10hipError_tT2_T3_mT4_P12ihipStream_tbEUlT_E_NS1_11comp_targetILNS1_3genE0ELNS1_11target_archE4294967295ELNS1_3gpuE0ELNS1_3repE0EEENS1_30default_config_static_selectorELNS0_4arch9wavefront6targetE1EEEvT1_ ; -- Begin function _ZN7rocprim17ROCPRIM_400000_NS6detail17trampoline_kernelINS0_14default_configENS1_25transform_config_selectorItLb1EEEZNS1_14transform_implILb1ES3_S5_PtS7_NS0_8identityItEEEE10hipError_tT2_T3_mT4_P12ihipStream_tbEUlT_E_NS1_11comp_targetILNS1_3genE0ELNS1_11target_archE4294967295ELNS1_3gpuE0ELNS1_3repE0EEENS1_30default_config_static_selectorELNS0_4arch9wavefront6targetE1EEEvT1_
	.globl	_ZN7rocprim17ROCPRIM_400000_NS6detail17trampoline_kernelINS0_14default_configENS1_25transform_config_selectorItLb1EEEZNS1_14transform_implILb1ES3_S5_PtS7_NS0_8identityItEEEE10hipError_tT2_T3_mT4_P12ihipStream_tbEUlT_E_NS1_11comp_targetILNS1_3genE0ELNS1_11target_archE4294967295ELNS1_3gpuE0ELNS1_3repE0EEENS1_30default_config_static_selectorELNS0_4arch9wavefront6targetE1EEEvT1_
	.p2align	8
	.type	_ZN7rocprim17ROCPRIM_400000_NS6detail17trampoline_kernelINS0_14default_configENS1_25transform_config_selectorItLb1EEEZNS1_14transform_implILb1ES3_S5_PtS7_NS0_8identityItEEEE10hipError_tT2_T3_mT4_P12ihipStream_tbEUlT_E_NS1_11comp_targetILNS1_3genE0ELNS1_11target_archE4294967295ELNS1_3gpuE0ELNS1_3repE0EEENS1_30default_config_static_selectorELNS0_4arch9wavefront6targetE1EEEvT1_,@function
_ZN7rocprim17ROCPRIM_400000_NS6detail17trampoline_kernelINS0_14default_configENS1_25transform_config_selectorItLb1EEEZNS1_14transform_implILb1ES3_S5_PtS7_NS0_8identityItEEEE10hipError_tT2_T3_mT4_P12ihipStream_tbEUlT_E_NS1_11comp_targetILNS1_3genE0ELNS1_11target_archE4294967295ELNS1_3gpuE0ELNS1_3repE0EEENS1_30default_config_static_selectorELNS0_4arch9wavefront6targetE1EEEvT1_: ; @_ZN7rocprim17ROCPRIM_400000_NS6detail17trampoline_kernelINS0_14default_configENS1_25transform_config_selectorItLb1EEEZNS1_14transform_implILb1ES3_S5_PtS7_NS0_8identityItEEEE10hipError_tT2_T3_mT4_P12ihipStream_tbEUlT_E_NS1_11comp_targetILNS1_3genE0ELNS1_11target_archE4294967295ELNS1_3gpuE0ELNS1_3repE0EEENS1_30default_config_static_selectorELNS0_4arch9wavefront6targetE1EEEvT1_
; %bb.0:
	.section	.rodata,"a",@progbits
	.p2align	6, 0x0
	.amdhsa_kernel _ZN7rocprim17ROCPRIM_400000_NS6detail17trampoline_kernelINS0_14default_configENS1_25transform_config_selectorItLb1EEEZNS1_14transform_implILb1ES3_S5_PtS7_NS0_8identityItEEEE10hipError_tT2_T3_mT4_P12ihipStream_tbEUlT_E_NS1_11comp_targetILNS1_3genE0ELNS1_11target_archE4294967295ELNS1_3gpuE0ELNS1_3repE0EEENS1_30default_config_static_selectorELNS0_4arch9wavefront6targetE1EEEvT1_
		.amdhsa_group_segment_fixed_size 0
		.amdhsa_private_segment_fixed_size 0
		.amdhsa_kernarg_size 40
		.amdhsa_user_sgpr_count 6
		.amdhsa_user_sgpr_private_segment_buffer 1
		.amdhsa_user_sgpr_dispatch_ptr 0
		.amdhsa_user_sgpr_queue_ptr 0
		.amdhsa_user_sgpr_kernarg_segment_ptr 1
		.amdhsa_user_sgpr_dispatch_id 0
		.amdhsa_user_sgpr_flat_scratch_init 0
		.amdhsa_user_sgpr_kernarg_preload_length 0
		.amdhsa_user_sgpr_kernarg_preload_offset 0
		.amdhsa_user_sgpr_private_segment_size 0
		.amdhsa_uses_dynamic_stack 0
		.amdhsa_system_sgpr_private_segment_wavefront_offset 0
		.amdhsa_system_sgpr_workgroup_id_x 1
		.amdhsa_system_sgpr_workgroup_id_y 0
		.amdhsa_system_sgpr_workgroup_id_z 0
		.amdhsa_system_sgpr_workgroup_info 0
		.amdhsa_system_vgpr_workitem_id 0
		.amdhsa_next_free_vgpr 1
		.amdhsa_next_free_sgpr 0
		.amdhsa_accum_offset 4
		.amdhsa_reserve_vcc 0
		.amdhsa_reserve_flat_scratch 0
		.amdhsa_float_round_mode_32 0
		.amdhsa_float_round_mode_16_64 0
		.amdhsa_float_denorm_mode_32 3
		.amdhsa_float_denorm_mode_16_64 3
		.amdhsa_dx10_clamp 1
		.amdhsa_ieee_mode 1
		.amdhsa_fp16_overflow 0
		.amdhsa_tg_split 0
		.amdhsa_exception_fp_ieee_invalid_op 0
		.amdhsa_exception_fp_denorm_src 0
		.amdhsa_exception_fp_ieee_div_zero 0
		.amdhsa_exception_fp_ieee_overflow 0
		.amdhsa_exception_fp_ieee_underflow 0
		.amdhsa_exception_fp_ieee_inexact 0
		.amdhsa_exception_int_div_zero 0
	.end_amdhsa_kernel
	.section	.text._ZN7rocprim17ROCPRIM_400000_NS6detail17trampoline_kernelINS0_14default_configENS1_25transform_config_selectorItLb1EEEZNS1_14transform_implILb1ES3_S5_PtS7_NS0_8identityItEEEE10hipError_tT2_T3_mT4_P12ihipStream_tbEUlT_E_NS1_11comp_targetILNS1_3genE0ELNS1_11target_archE4294967295ELNS1_3gpuE0ELNS1_3repE0EEENS1_30default_config_static_selectorELNS0_4arch9wavefront6targetE1EEEvT1_,"axG",@progbits,_ZN7rocprim17ROCPRIM_400000_NS6detail17trampoline_kernelINS0_14default_configENS1_25transform_config_selectorItLb1EEEZNS1_14transform_implILb1ES3_S5_PtS7_NS0_8identityItEEEE10hipError_tT2_T3_mT4_P12ihipStream_tbEUlT_E_NS1_11comp_targetILNS1_3genE0ELNS1_11target_archE4294967295ELNS1_3gpuE0ELNS1_3repE0EEENS1_30default_config_static_selectorELNS0_4arch9wavefront6targetE1EEEvT1_,comdat
.Lfunc_end490:
	.size	_ZN7rocprim17ROCPRIM_400000_NS6detail17trampoline_kernelINS0_14default_configENS1_25transform_config_selectorItLb1EEEZNS1_14transform_implILb1ES3_S5_PtS7_NS0_8identityItEEEE10hipError_tT2_T3_mT4_P12ihipStream_tbEUlT_E_NS1_11comp_targetILNS1_3genE0ELNS1_11target_archE4294967295ELNS1_3gpuE0ELNS1_3repE0EEENS1_30default_config_static_selectorELNS0_4arch9wavefront6targetE1EEEvT1_, .Lfunc_end490-_ZN7rocprim17ROCPRIM_400000_NS6detail17trampoline_kernelINS0_14default_configENS1_25transform_config_selectorItLb1EEEZNS1_14transform_implILb1ES3_S5_PtS7_NS0_8identityItEEEE10hipError_tT2_T3_mT4_P12ihipStream_tbEUlT_E_NS1_11comp_targetILNS1_3genE0ELNS1_11target_archE4294967295ELNS1_3gpuE0ELNS1_3repE0EEENS1_30default_config_static_selectorELNS0_4arch9wavefront6targetE1EEEvT1_
                                        ; -- End function
	.section	.AMDGPU.csdata,"",@progbits
; Kernel info:
; codeLenInByte = 0
; NumSgprs: 4
; NumVgprs: 0
; NumAgprs: 0
; TotalNumVgprs: 0
; ScratchSize: 0
; MemoryBound: 0
; FloatMode: 240
; IeeeMode: 1
; LDSByteSize: 0 bytes/workgroup (compile time only)
; SGPRBlocks: 0
; VGPRBlocks: 0
; NumSGPRsForWavesPerEU: 4
; NumVGPRsForWavesPerEU: 1
; AccumOffset: 4
; Occupancy: 8
; WaveLimiterHint : 0
; COMPUTE_PGM_RSRC2:SCRATCH_EN: 0
; COMPUTE_PGM_RSRC2:USER_SGPR: 6
; COMPUTE_PGM_RSRC2:TRAP_HANDLER: 0
; COMPUTE_PGM_RSRC2:TGID_X_EN: 1
; COMPUTE_PGM_RSRC2:TGID_Y_EN: 0
; COMPUTE_PGM_RSRC2:TGID_Z_EN: 0
; COMPUTE_PGM_RSRC2:TIDIG_COMP_CNT: 0
; COMPUTE_PGM_RSRC3_GFX90A:ACCUM_OFFSET: 0
; COMPUTE_PGM_RSRC3_GFX90A:TG_SPLIT: 0
	.section	.text._ZN7rocprim17ROCPRIM_400000_NS6detail17trampoline_kernelINS0_14default_configENS1_25transform_config_selectorItLb1EEEZNS1_14transform_implILb1ES3_S5_PtS7_NS0_8identityItEEEE10hipError_tT2_T3_mT4_P12ihipStream_tbEUlT_E_NS1_11comp_targetILNS1_3genE10ELNS1_11target_archE1201ELNS1_3gpuE5ELNS1_3repE0EEENS1_30default_config_static_selectorELNS0_4arch9wavefront6targetE1EEEvT1_,"axG",@progbits,_ZN7rocprim17ROCPRIM_400000_NS6detail17trampoline_kernelINS0_14default_configENS1_25transform_config_selectorItLb1EEEZNS1_14transform_implILb1ES3_S5_PtS7_NS0_8identityItEEEE10hipError_tT2_T3_mT4_P12ihipStream_tbEUlT_E_NS1_11comp_targetILNS1_3genE10ELNS1_11target_archE1201ELNS1_3gpuE5ELNS1_3repE0EEENS1_30default_config_static_selectorELNS0_4arch9wavefront6targetE1EEEvT1_,comdat
	.protected	_ZN7rocprim17ROCPRIM_400000_NS6detail17trampoline_kernelINS0_14default_configENS1_25transform_config_selectorItLb1EEEZNS1_14transform_implILb1ES3_S5_PtS7_NS0_8identityItEEEE10hipError_tT2_T3_mT4_P12ihipStream_tbEUlT_E_NS1_11comp_targetILNS1_3genE10ELNS1_11target_archE1201ELNS1_3gpuE5ELNS1_3repE0EEENS1_30default_config_static_selectorELNS0_4arch9wavefront6targetE1EEEvT1_ ; -- Begin function _ZN7rocprim17ROCPRIM_400000_NS6detail17trampoline_kernelINS0_14default_configENS1_25transform_config_selectorItLb1EEEZNS1_14transform_implILb1ES3_S5_PtS7_NS0_8identityItEEEE10hipError_tT2_T3_mT4_P12ihipStream_tbEUlT_E_NS1_11comp_targetILNS1_3genE10ELNS1_11target_archE1201ELNS1_3gpuE5ELNS1_3repE0EEENS1_30default_config_static_selectorELNS0_4arch9wavefront6targetE1EEEvT1_
	.globl	_ZN7rocprim17ROCPRIM_400000_NS6detail17trampoline_kernelINS0_14default_configENS1_25transform_config_selectorItLb1EEEZNS1_14transform_implILb1ES3_S5_PtS7_NS0_8identityItEEEE10hipError_tT2_T3_mT4_P12ihipStream_tbEUlT_E_NS1_11comp_targetILNS1_3genE10ELNS1_11target_archE1201ELNS1_3gpuE5ELNS1_3repE0EEENS1_30default_config_static_selectorELNS0_4arch9wavefront6targetE1EEEvT1_
	.p2align	8
	.type	_ZN7rocprim17ROCPRIM_400000_NS6detail17trampoline_kernelINS0_14default_configENS1_25transform_config_selectorItLb1EEEZNS1_14transform_implILb1ES3_S5_PtS7_NS0_8identityItEEEE10hipError_tT2_T3_mT4_P12ihipStream_tbEUlT_E_NS1_11comp_targetILNS1_3genE10ELNS1_11target_archE1201ELNS1_3gpuE5ELNS1_3repE0EEENS1_30default_config_static_selectorELNS0_4arch9wavefront6targetE1EEEvT1_,@function
_ZN7rocprim17ROCPRIM_400000_NS6detail17trampoline_kernelINS0_14default_configENS1_25transform_config_selectorItLb1EEEZNS1_14transform_implILb1ES3_S5_PtS7_NS0_8identityItEEEE10hipError_tT2_T3_mT4_P12ihipStream_tbEUlT_E_NS1_11comp_targetILNS1_3genE10ELNS1_11target_archE1201ELNS1_3gpuE5ELNS1_3repE0EEENS1_30default_config_static_selectorELNS0_4arch9wavefront6targetE1EEEvT1_: ; @_ZN7rocprim17ROCPRIM_400000_NS6detail17trampoline_kernelINS0_14default_configENS1_25transform_config_selectorItLb1EEEZNS1_14transform_implILb1ES3_S5_PtS7_NS0_8identityItEEEE10hipError_tT2_T3_mT4_P12ihipStream_tbEUlT_E_NS1_11comp_targetILNS1_3genE10ELNS1_11target_archE1201ELNS1_3gpuE5ELNS1_3repE0EEENS1_30default_config_static_selectorELNS0_4arch9wavefront6targetE1EEEvT1_
; %bb.0:
	.section	.rodata,"a",@progbits
	.p2align	6, 0x0
	.amdhsa_kernel _ZN7rocprim17ROCPRIM_400000_NS6detail17trampoline_kernelINS0_14default_configENS1_25transform_config_selectorItLb1EEEZNS1_14transform_implILb1ES3_S5_PtS7_NS0_8identityItEEEE10hipError_tT2_T3_mT4_P12ihipStream_tbEUlT_E_NS1_11comp_targetILNS1_3genE10ELNS1_11target_archE1201ELNS1_3gpuE5ELNS1_3repE0EEENS1_30default_config_static_selectorELNS0_4arch9wavefront6targetE1EEEvT1_
		.amdhsa_group_segment_fixed_size 0
		.amdhsa_private_segment_fixed_size 0
		.amdhsa_kernarg_size 40
		.amdhsa_user_sgpr_count 6
		.amdhsa_user_sgpr_private_segment_buffer 1
		.amdhsa_user_sgpr_dispatch_ptr 0
		.amdhsa_user_sgpr_queue_ptr 0
		.amdhsa_user_sgpr_kernarg_segment_ptr 1
		.amdhsa_user_sgpr_dispatch_id 0
		.amdhsa_user_sgpr_flat_scratch_init 0
		.amdhsa_user_sgpr_kernarg_preload_length 0
		.amdhsa_user_sgpr_kernarg_preload_offset 0
		.amdhsa_user_sgpr_private_segment_size 0
		.amdhsa_uses_dynamic_stack 0
		.amdhsa_system_sgpr_private_segment_wavefront_offset 0
		.amdhsa_system_sgpr_workgroup_id_x 1
		.amdhsa_system_sgpr_workgroup_id_y 0
		.amdhsa_system_sgpr_workgroup_id_z 0
		.amdhsa_system_sgpr_workgroup_info 0
		.amdhsa_system_vgpr_workitem_id 0
		.amdhsa_next_free_vgpr 1
		.amdhsa_next_free_sgpr 0
		.amdhsa_accum_offset 4
		.amdhsa_reserve_vcc 0
		.amdhsa_reserve_flat_scratch 0
		.amdhsa_float_round_mode_32 0
		.amdhsa_float_round_mode_16_64 0
		.amdhsa_float_denorm_mode_32 3
		.amdhsa_float_denorm_mode_16_64 3
		.amdhsa_dx10_clamp 1
		.amdhsa_ieee_mode 1
		.amdhsa_fp16_overflow 0
		.amdhsa_tg_split 0
		.amdhsa_exception_fp_ieee_invalid_op 0
		.amdhsa_exception_fp_denorm_src 0
		.amdhsa_exception_fp_ieee_div_zero 0
		.amdhsa_exception_fp_ieee_overflow 0
		.amdhsa_exception_fp_ieee_underflow 0
		.amdhsa_exception_fp_ieee_inexact 0
		.amdhsa_exception_int_div_zero 0
	.end_amdhsa_kernel
	.section	.text._ZN7rocprim17ROCPRIM_400000_NS6detail17trampoline_kernelINS0_14default_configENS1_25transform_config_selectorItLb1EEEZNS1_14transform_implILb1ES3_S5_PtS7_NS0_8identityItEEEE10hipError_tT2_T3_mT4_P12ihipStream_tbEUlT_E_NS1_11comp_targetILNS1_3genE10ELNS1_11target_archE1201ELNS1_3gpuE5ELNS1_3repE0EEENS1_30default_config_static_selectorELNS0_4arch9wavefront6targetE1EEEvT1_,"axG",@progbits,_ZN7rocprim17ROCPRIM_400000_NS6detail17trampoline_kernelINS0_14default_configENS1_25transform_config_selectorItLb1EEEZNS1_14transform_implILb1ES3_S5_PtS7_NS0_8identityItEEEE10hipError_tT2_T3_mT4_P12ihipStream_tbEUlT_E_NS1_11comp_targetILNS1_3genE10ELNS1_11target_archE1201ELNS1_3gpuE5ELNS1_3repE0EEENS1_30default_config_static_selectorELNS0_4arch9wavefront6targetE1EEEvT1_,comdat
.Lfunc_end491:
	.size	_ZN7rocprim17ROCPRIM_400000_NS6detail17trampoline_kernelINS0_14default_configENS1_25transform_config_selectorItLb1EEEZNS1_14transform_implILb1ES3_S5_PtS7_NS0_8identityItEEEE10hipError_tT2_T3_mT4_P12ihipStream_tbEUlT_E_NS1_11comp_targetILNS1_3genE10ELNS1_11target_archE1201ELNS1_3gpuE5ELNS1_3repE0EEENS1_30default_config_static_selectorELNS0_4arch9wavefront6targetE1EEEvT1_, .Lfunc_end491-_ZN7rocprim17ROCPRIM_400000_NS6detail17trampoline_kernelINS0_14default_configENS1_25transform_config_selectorItLb1EEEZNS1_14transform_implILb1ES3_S5_PtS7_NS0_8identityItEEEE10hipError_tT2_T3_mT4_P12ihipStream_tbEUlT_E_NS1_11comp_targetILNS1_3genE10ELNS1_11target_archE1201ELNS1_3gpuE5ELNS1_3repE0EEENS1_30default_config_static_selectorELNS0_4arch9wavefront6targetE1EEEvT1_
                                        ; -- End function
	.section	.AMDGPU.csdata,"",@progbits
; Kernel info:
; codeLenInByte = 0
; NumSgprs: 4
; NumVgprs: 0
; NumAgprs: 0
; TotalNumVgprs: 0
; ScratchSize: 0
; MemoryBound: 0
; FloatMode: 240
; IeeeMode: 1
; LDSByteSize: 0 bytes/workgroup (compile time only)
; SGPRBlocks: 0
; VGPRBlocks: 0
; NumSGPRsForWavesPerEU: 4
; NumVGPRsForWavesPerEU: 1
; AccumOffset: 4
; Occupancy: 8
; WaveLimiterHint : 0
; COMPUTE_PGM_RSRC2:SCRATCH_EN: 0
; COMPUTE_PGM_RSRC2:USER_SGPR: 6
; COMPUTE_PGM_RSRC2:TRAP_HANDLER: 0
; COMPUTE_PGM_RSRC2:TGID_X_EN: 1
; COMPUTE_PGM_RSRC2:TGID_Y_EN: 0
; COMPUTE_PGM_RSRC2:TGID_Z_EN: 0
; COMPUTE_PGM_RSRC2:TIDIG_COMP_CNT: 0
; COMPUTE_PGM_RSRC3_GFX90A:ACCUM_OFFSET: 0
; COMPUTE_PGM_RSRC3_GFX90A:TG_SPLIT: 0
	.section	.text._ZN7rocprim17ROCPRIM_400000_NS6detail17trampoline_kernelINS0_14default_configENS1_25transform_config_selectorItLb1EEEZNS1_14transform_implILb1ES3_S5_PtS7_NS0_8identityItEEEE10hipError_tT2_T3_mT4_P12ihipStream_tbEUlT_E_NS1_11comp_targetILNS1_3genE5ELNS1_11target_archE942ELNS1_3gpuE9ELNS1_3repE0EEENS1_30default_config_static_selectorELNS0_4arch9wavefront6targetE1EEEvT1_,"axG",@progbits,_ZN7rocprim17ROCPRIM_400000_NS6detail17trampoline_kernelINS0_14default_configENS1_25transform_config_selectorItLb1EEEZNS1_14transform_implILb1ES3_S5_PtS7_NS0_8identityItEEEE10hipError_tT2_T3_mT4_P12ihipStream_tbEUlT_E_NS1_11comp_targetILNS1_3genE5ELNS1_11target_archE942ELNS1_3gpuE9ELNS1_3repE0EEENS1_30default_config_static_selectorELNS0_4arch9wavefront6targetE1EEEvT1_,comdat
	.protected	_ZN7rocprim17ROCPRIM_400000_NS6detail17trampoline_kernelINS0_14default_configENS1_25transform_config_selectorItLb1EEEZNS1_14transform_implILb1ES3_S5_PtS7_NS0_8identityItEEEE10hipError_tT2_T3_mT4_P12ihipStream_tbEUlT_E_NS1_11comp_targetILNS1_3genE5ELNS1_11target_archE942ELNS1_3gpuE9ELNS1_3repE0EEENS1_30default_config_static_selectorELNS0_4arch9wavefront6targetE1EEEvT1_ ; -- Begin function _ZN7rocprim17ROCPRIM_400000_NS6detail17trampoline_kernelINS0_14default_configENS1_25transform_config_selectorItLb1EEEZNS1_14transform_implILb1ES3_S5_PtS7_NS0_8identityItEEEE10hipError_tT2_T3_mT4_P12ihipStream_tbEUlT_E_NS1_11comp_targetILNS1_3genE5ELNS1_11target_archE942ELNS1_3gpuE9ELNS1_3repE0EEENS1_30default_config_static_selectorELNS0_4arch9wavefront6targetE1EEEvT1_
	.globl	_ZN7rocprim17ROCPRIM_400000_NS6detail17trampoline_kernelINS0_14default_configENS1_25transform_config_selectorItLb1EEEZNS1_14transform_implILb1ES3_S5_PtS7_NS0_8identityItEEEE10hipError_tT2_T3_mT4_P12ihipStream_tbEUlT_E_NS1_11comp_targetILNS1_3genE5ELNS1_11target_archE942ELNS1_3gpuE9ELNS1_3repE0EEENS1_30default_config_static_selectorELNS0_4arch9wavefront6targetE1EEEvT1_
	.p2align	8
	.type	_ZN7rocprim17ROCPRIM_400000_NS6detail17trampoline_kernelINS0_14default_configENS1_25transform_config_selectorItLb1EEEZNS1_14transform_implILb1ES3_S5_PtS7_NS0_8identityItEEEE10hipError_tT2_T3_mT4_P12ihipStream_tbEUlT_E_NS1_11comp_targetILNS1_3genE5ELNS1_11target_archE942ELNS1_3gpuE9ELNS1_3repE0EEENS1_30default_config_static_selectorELNS0_4arch9wavefront6targetE1EEEvT1_,@function
_ZN7rocprim17ROCPRIM_400000_NS6detail17trampoline_kernelINS0_14default_configENS1_25transform_config_selectorItLb1EEEZNS1_14transform_implILb1ES3_S5_PtS7_NS0_8identityItEEEE10hipError_tT2_T3_mT4_P12ihipStream_tbEUlT_E_NS1_11comp_targetILNS1_3genE5ELNS1_11target_archE942ELNS1_3gpuE9ELNS1_3repE0EEENS1_30default_config_static_selectorELNS0_4arch9wavefront6targetE1EEEvT1_: ; @_ZN7rocprim17ROCPRIM_400000_NS6detail17trampoline_kernelINS0_14default_configENS1_25transform_config_selectorItLb1EEEZNS1_14transform_implILb1ES3_S5_PtS7_NS0_8identityItEEEE10hipError_tT2_T3_mT4_P12ihipStream_tbEUlT_E_NS1_11comp_targetILNS1_3genE5ELNS1_11target_archE942ELNS1_3gpuE9ELNS1_3repE0EEENS1_30default_config_static_selectorELNS0_4arch9wavefront6targetE1EEEvT1_
; %bb.0:
	.section	.rodata,"a",@progbits
	.p2align	6, 0x0
	.amdhsa_kernel _ZN7rocprim17ROCPRIM_400000_NS6detail17trampoline_kernelINS0_14default_configENS1_25transform_config_selectorItLb1EEEZNS1_14transform_implILb1ES3_S5_PtS7_NS0_8identityItEEEE10hipError_tT2_T3_mT4_P12ihipStream_tbEUlT_E_NS1_11comp_targetILNS1_3genE5ELNS1_11target_archE942ELNS1_3gpuE9ELNS1_3repE0EEENS1_30default_config_static_selectorELNS0_4arch9wavefront6targetE1EEEvT1_
		.amdhsa_group_segment_fixed_size 0
		.amdhsa_private_segment_fixed_size 0
		.amdhsa_kernarg_size 40
		.amdhsa_user_sgpr_count 6
		.amdhsa_user_sgpr_private_segment_buffer 1
		.amdhsa_user_sgpr_dispatch_ptr 0
		.amdhsa_user_sgpr_queue_ptr 0
		.amdhsa_user_sgpr_kernarg_segment_ptr 1
		.amdhsa_user_sgpr_dispatch_id 0
		.amdhsa_user_sgpr_flat_scratch_init 0
		.amdhsa_user_sgpr_kernarg_preload_length 0
		.amdhsa_user_sgpr_kernarg_preload_offset 0
		.amdhsa_user_sgpr_private_segment_size 0
		.amdhsa_uses_dynamic_stack 0
		.amdhsa_system_sgpr_private_segment_wavefront_offset 0
		.amdhsa_system_sgpr_workgroup_id_x 1
		.amdhsa_system_sgpr_workgroup_id_y 0
		.amdhsa_system_sgpr_workgroup_id_z 0
		.amdhsa_system_sgpr_workgroup_info 0
		.amdhsa_system_vgpr_workitem_id 0
		.amdhsa_next_free_vgpr 1
		.amdhsa_next_free_sgpr 0
		.amdhsa_accum_offset 4
		.amdhsa_reserve_vcc 0
		.amdhsa_reserve_flat_scratch 0
		.amdhsa_float_round_mode_32 0
		.amdhsa_float_round_mode_16_64 0
		.amdhsa_float_denorm_mode_32 3
		.amdhsa_float_denorm_mode_16_64 3
		.amdhsa_dx10_clamp 1
		.amdhsa_ieee_mode 1
		.amdhsa_fp16_overflow 0
		.amdhsa_tg_split 0
		.amdhsa_exception_fp_ieee_invalid_op 0
		.amdhsa_exception_fp_denorm_src 0
		.amdhsa_exception_fp_ieee_div_zero 0
		.amdhsa_exception_fp_ieee_overflow 0
		.amdhsa_exception_fp_ieee_underflow 0
		.amdhsa_exception_fp_ieee_inexact 0
		.amdhsa_exception_int_div_zero 0
	.end_amdhsa_kernel
	.section	.text._ZN7rocprim17ROCPRIM_400000_NS6detail17trampoline_kernelINS0_14default_configENS1_25transform_config_selectorItLb1EEEZNS1_14transform_implILb1ES3_S5_PtS7_NS0_8identityItEEEE10hipError_tT2_T3_mT4_P12ihipStream_tbEUlT_E_NS1_11comp_targetILNS1_3genE5ELNS1_11target_archE942ELNS1_3gpuE9ELNS1_3repE0EEENS1_30default_config_static_selectorELNS0_4arch9wavefront6targetE1EEEvT1_,"axG",@progbits,_ZN7rocprim17ROCPRIM_400000_NS6detail17trampoline_kernelINS0_14default_configENS1_25transform_config_selectorItLb1EEEZNS1_14transform_implILb1ES3_S5_PtS7_NS0_8identityItEEEE10hipError_tT2_T3_mT4_P12ihipStream_tbEUlT_E_NS1_11comp_targetILNS1_3genE5ELNS1_11target_archE942ELNS1_3gpuE9ELNS1_3repE0EEENS1_30default_config_static_selectorELNS0_4arch9wavefront6targetE1EEEvT1_,comdat
.Lfunc_end492:
	.size	_ZN7rocprim17ROCPRIM_400000_NS6detail17trampoline_kernelINS0_14default_configENS1_25transform_config_selectorItLb1EEEZNS1_14transform_implILb1ES3_S5_PtS7_NS0_8identityItEEEE10hipError_tT2_T3_mT4_P12ihipStream_tbEUlT_E_NS1_11comp_targetILNS1_3genE5ELNS1_11target_archE942ELNS1_3gpuE9ELNS1_3repE0EEENS1_30default_config_static_selectorELNS0_4arch9wavefront6targetE1EEEvT1_, .Lfunc_end492-_ZN7rocprim17ROCPRIM_400000_NS6detail17trampoline_kernelINS0_14default_configENS1_25transform_config_selectorItLb1EEEZNS1_14transform_implILb1ES3_S5_PtS7_NS0_8identityItEEEE10hipError_tT2_T3_mT4_P12ihipStream_tbEUlT_E_NS1_11comp_targetILNS1_3genE5ELNS1_11target_archE942ELNS1_3gpuE9ELNS1_3repE0EEENS1_30default_config_static_selectorELNS0_4arch9wavefront6targetE1EEEvT1_
                                        ; -- End function
	.section	.AMDGPU.csdata,"",@progbits
; Kernel info:
; codeLenInByte = 0
; NumSgprs: 4
; NumVgprs: 0
; NumAgprs: 0
; TotalNumVgprs: 0
; ScratchSize: 0
; MemoryBound: 0
; FloatMode: 240
; IeeeMode: 1
; LDSByteSize: 0 bytes/workgroup (compile time only)
; SGPRBlocks: 0
; VGPRBlocks: 0
; NumSGPRsForWavesPerEU: 4
; NumVGPRsForWavesPerEU: 1
; AccumOffset: 4
; Occupancy: 8
; WaveLimiterHint : 0
; COMPUTE_PGM_RSRC2:SCRATCH_EN: 0
; COMPUTE_PGM_RSRC2:USER_SGPR: 6
; COMPUTE_PGM_RSRC2:TRAP_HANDLER: 0
; COMPUTE_PGM_RSRC2:TGID_X_EN: 1
; COMPUTE_PGM_RSRC2:TGID_Y_EN: 0
; COMPUTE_PGM_RSRC2:TGID_Z_EN: 0
; COMPUTE_PGM_RSRC2:TIDIG_COMP_CNT: 0
; COMPUTE_PGM_RSRC3_GFX90A:ACCUM_OFFSET: 0
; COMPUTE_PGM_RSRC3_GFX90A:TG_SPLIT: 0
	.section	.text._ZN7rocprim17ROCPRIM_400000_NS6detail17trampoline_kernelINS0_14default_configENS1_25transform_config_selectorItLb1EEEZNS1_14transform_implILb1ES3_S5_PtS7_NS0_8identityItEEEE10hipError_tT2_T3_mT4_P12ihipStream_tbEUlT_E_NS1_11comp_targetILNS1_3genE4ELNS1_11target_archE910ELNS1_3gpuE8ELNS1_3repE0EEENS1_30default_config_static_selectorELNS0_4arch9wavefront6targetE1EEEvT1_,"axG",@progbits,_ZN7rocprim17ROCPRIM_400000_NS6detail17trampoline_kernelINS0_14default_configENS1_25transform_config_selectorItLb1EEEZNS1_14transform_implILb1ES3_S5_PtS7_NS0_8identityItEEEE10hipError_tT2_T3_mT4_P12ihipStream_tbEUlT_E_NS1_11comp_targetILNS1_3genE4ELNS1_11target_archE910ELNS1_3gpuE8ELNS1_3repE0EEENS1_30default_config_static_selectorELNS0_4arch9wavefront6targetE1EEEvT1_,comdat
	.protected	_ZN7rocprim17ROCPRIM_400000_NS6detail17trampoline_kernelINS0_14default_configENS1_25transform_config_selectorItLb1EEEZNS1_14transform_implILb1ES3_S5_PtS7_NS0_8identityItEEEE10hipError_tT2_T3_mT4_P12ihipStream_tbEUlT_E_NS1_11comp_targetILNS1_3genE4ELNS1_11target_archE910ELNS1_3gpuE8ELNS1_3repE0EEENS1_30default_config_static_selectorELNS0_4arch9wavefront6targetE1EEEvT1_ ; -- Begin function _ZN7rocprim17ROCPRIM_400000_NS6detail17trampoline_kernelINS0_14default_configENS1_25transform_config_selectorItLb1EEEZNS1_14transform_implILb1ES3_S5_PtS7_NS0_8identityItEEEE10hipError_tT2_T3_mT4_P12ihipStream_tbEUlT_E_NS1_11comp_targetILNS1_3genE4ELNS1_11target_archE910ELNS1_3gpuE8ELNS1_3repE0EEENS1_30default_config_static_selectorELNS0_4arch9wavefront6targetE1EEEvT1_
	.globl	_ZN7rocprim17ROCPRIM_400000_NS6detail17trampoline_kernelINS0_14default_configENS1_25transform_config_selectorItLb1EEEZNS1_14transform_implILb1ES3_S5_PtS7_NS0_8identityItEEEE10hipError_tT2_T3_mT4_P12ihipStream_tbEUlT_E_NS1_11comp_targetILNS1_3genE4ELNS1_11target_archE910ELNS1_3gpuE8ELNS1_3repE0EEENS1_30default_config_static_selectorELNS0_4arch9wavefront6targetE1EEEvT1_
	.p2align	8
	.type	_ZN7rocprim17ROCPRIM_400000_NS6detail17trampoline_kernelINS0_14default_configENS1_25transform_config_selectorItLb1EEEZNS1_14transform_implILb1ES3_S5_PtS7_NS0_8identityItEEEE10hipError_tT2_T3_mT4_P12ihipStream_tbEUlT_E_NS1_11comp_targetILNS1_3genE4ELNS1_11target_archE910ELNS1_3gpuE8ELNS1_3repE0EEENS1_30default_config_static_selectorELNS0_4arch9wavefront6targetE1EEEvT1_,@function
_ZN7rocprim17ROCPRIM_400000_NS6detail17trampoline_kernelINS0_14default_configENS1_25transform_config_selectorItLb1EEEZNS1_14transform_implILb1ES3_S5_PtS7_NS0_8identityItEEEE10hipError_tT2_T3_mT4_P12ihipStream_tbEUlT_E_NS1_11comp_targetILNS1_3genE4ELNS1_11target_archE910ELNS1_3gpuE8ELNS1_3repE0EEENS1_30default_config_static_selectorELNS0_4arch9wavefront6targetE1EEEvT1_: ; @_ZN7rocprim17ROCPRIM_400000_NS6detail17trampoline_kernelINS0_14default_configENS1_25transform_config_selectorItLb1EEEZNS1_14transform_implILb1ES3_S5_PtS7_NS0_8identityItEEEE10hipError_tT2_T3_mT4_P12ihipStream_tbEUlT_E_NS1_11comp_targetILNS1_3genE4ELNS1_11target_archE910ELNS1_3gpuE8ELNS1_3repE0EEENS1_30default_config_static_selectorELNS0_4arch9wavefront6targetE1EEEvT1_
; %bb.0:
	s_load_dwordx8 s[8:15], s[4:5], 0x0
	s_load_dword s2, s[4:5], 0x28
	s_waitcnt lgkmcnt(0)
	s_lshl_b64 s[0:1], s[10:11], 1
	s_add_u32 s3, s8, s0
	s_addc_u32 s4, s9, s1
	s_add_u32 s20, s14, s0
	s_addc_u32 s21, s15, s1
	s_lshl_b32 s0, s6, 13
	s_mov_b32 s1, 0
	s_add_i32 s2, s2, -1
	s_lshl_b64 s[14:15], s[0:1], 1
	s_add_u32 s16, s3, s14
	s_addc_u32 s17, s4, s15
	s_cmp_lg_u32 s6, s2
	s_mov_b64 s[2:3], -1
	s_cbranch_scc0 .LBB493_2
; %bb.1:
	v_lshlrev_b32_e32 v1, 4, v0
	global_load_dwordx4 v[2:5], v1, s[16:17]
	s_add_u32 s2, s20, s14
	s_addc_u32 s3, s21, s15
	s_waitcnt vmcnt(0)
	global_store_dwordx4 v1, v[2:5], s[2:3]
	s_mov_b64 s[2:3], 0
.LBB493_2:
	s_andn2_b64 vcc, exec, s[2:3]
	s_cbranch_vccnz .LBB493_31
; %bb.3:
	s_sub_i32 s18, s12, s0
	v_cmp_gt_u32_e32 vcc, s18, v0
	v_lshlrev_b32_e32 v1, 1, v0
                                        ; implicit-def: $vgpr2_vgpr3_vgpr4_vgpr5
	s_and_saveexec_b64 s[0:1], vcc
	s_cbranch_execz .LBB493_5
; %bb.4:
	global_load_ushort v2, v1, s[16:17]
.LBB493_5:
	s_or_b64 exec, exec, s[0:1]
	v_or_b32_e32 v6, 0x400, v0
	v_cmp_gt_u32_e64 s[0:1], s18, v6
	s_and_saveexec_b64 s[2:3], s[0:1]
	s_cbranch_execz .LBB493_7
; %bb.6:
	global_load_ushort v6, v1, s[16:17] offset:2048
	s_mov_b32 s4, 0x5040100
	s_waitcnt vmcnt(0)
	v_perm_b32 v2, v6, v2, s4
.LBB493_7:
	s_or_b64 exec, exec, s[2:3]
	v_or_b32_e32 v6, 0x800, v0
	v_cmp_gt_u32_e64 s[2:3], s18, v6
	s_and_saveexec_b64 s[4:5], s[2:3]
	s_cbranch_execz .LBB493_9
; %bb.8:
	v_lshlrev_b32_e32 v6, 1, v6
	global_load_ushort v6, v6, s[16:17]
	s_mov_b32 s6, 0xffff
	s_waitcnt vmcnt(0)
	v_bfi_b32 v3, s6, v6, v3
.LBB493_9:
	s_or_b64 exec, exec, s[4:5]
	v_or_b32_e32 v6, 0xc00, v0
	v_cmp_gt_u32_e64 s[4:5], s18, v6
	s_and_saveexec_b64 s[6:7], s[4:5]
	s_cbranch_execz .LBB493_11
; %bb.10:
	v_lshlrev_b32_e32 v6, 1, v6
	global_load_ushort v6, v6, s[16:17]
	s_mov_b32 s8, 0x5040100
	s_waitcnt vmcnt(0)
	v_perm_b32 v3, v6, v3, s8
.LBB493_11:
	s_or_b64 exec, exec, s[6:7]
	v_or_b32_e32 v6, 0x1000, v0
	v_cmp_gt_u32_e64 s[6:7], s18, v6
	s_and_saveexec_b64 s[8:9], s[6:7]
	s_cbranch_execz .LBB493_13
; %bb.12:
	v_lshlrev_b32_e32 v6, 1, v6
	global_load_ushort v6, v6, s[16:17]
	s_mov_b32 s10, 0xffff
	s_waitcnt vmcnt(0)
	v_bfi_b32 v4, s10, v6, v4
.LBB493_13:
	s_or_b64 exec, exec, s[8:9]
	v_or_b32_e32 v6, 0x1400, v0
	v_cmp_gt_u32_e64 s[8:9], s18, v6
	s_and_saveexec_b64 s[10:11], s[8:9]
	s_cbranch_execz .LBB493_15
; %bb.14:
	v_lshlrev_b32_e32 v6, 1, v6
	global_load_ushort v6, v6, s[16:17]
	s_mov_b32 s12, 0x5040100
	s_waitcnt vmcnt(0)
	v_perm_b32 v4, v6, v4, s12
.LBB493_15:
	;; [unrolled: 24-line block ×3, first 2 shown]
	s_or_b64 exec, exec, s[18:19]
	s_add_u32 s14, s20, s14
	s_addc_u32 s15, s21, s15
	v_mov_b32_e32 v6, s15
	v_add_co_u32_e64 v0, s[14:15], s14, v1
	v_addc_co_u32_e64 v1, s[14:15], 0, v6, s[14:15]
	s_and_saveexec_b64 s[14:15], vcc
	s_cbranch_execnz .LBB493_32
; %bb.20:
	s_or_b64 exec, exec, s[14:15]
	s_and_saveexec_b64 s[14:15], s[0:1]
	s_cbranch_execnz .LBB493_33
.LBB493_21:
	s_or_b64 exec, exec, s[14:15]
	s_mov_b32 s14, 0xffff
	s_and_saveexec_b64 s[0:1], s[2:3]
	s_cbranch_execz .LBB493_23
.LBB493_22:
	v_add_co_u32_e32 v6, vcc, 0x1000, v0
	v_addc_co_u32_e32 v7, vcc, 0, v1, vcc
	global_store_short v[6:7], v3, off
.LBB493_23:
	s_or_b64 exec, exec, s[0:1]
	s_waitcnt vmcnt(0)
	v_bfi_b32 v2, s14, v3, v3
	v_cndmask_b32_e64 v2, v2, v3, s[4:5]
	s_and_saveexec_b64 s[0:1], s[4:5]
	s_cbranch_execz .LBB493_25
; %bb.24:
	v_add_co_u32_e32 v6, vcc, 0x1000, v0
	v_addc_co_u32_e32 v7, vcc, 0, v1, vcc
	global_store_short_d16_hi v[6:7], v2, off offset:2048
.LBB493_25:
	s_or_b64 exec, exec, s[0:1]
	s_mov_b32 s2, 0xffff
	v_cndmask_b32_e64 v2, v4, v4, s[6:7]
	s_and_saveexec_b64 s[0:1], s[6:7]
	s_cbranch_execz .LBB493_27
; %bb.26:
	v_add_co_u32_e32 v6, vcc, 0x2000, v0
	v_addc_co_u32_e32 v7, vcc, 0, v1, vcc
	global_store_short v[6:7], v2, off
.LBB493_27:
	s_or_b64 exec, exec, s[0:1]
	v_bfi_b32 v2, s2, v2, v4
	v_cndmask_b32_e64 v2, v2, v4, s[8:9]
	s_and_saveexec_b64 s[0:1], s[8:9]
	s_cbranch_execnz .LBB493_34
; %bb.28:
	s_or_b64 exec, exec, s[0:1]
	s_and_saveexec_b64 s[0:1], s[10:11]
	s_cbranch_execnz .LBB493_35
.LBB493_29:
	s_or_b64 exec, exec, s[0:1]
	s_and_saveexec_b64 s[0:1], s[12:13]
	s_cbranch_execz .LBB493_31
.LBB493_30:
	v_add_co_u32_e32 v0, vcc, 0x3000, v0
	v_cndmask_b32_e64 v2, v5, v5, s[12:13]
	v_addc_co_u32_e32 v1, vcc, 0, v1, vcc
	global_store_short_d16_hi v[0:1], v2, off offset:2048
.LBB493_31:
	s_endpgm
.LBB493_32:
	s_waitcnt vmcnt(0)
	global_store_short v[0:1], v2, off
	s_or_b64 exec, exec, s[14:15]
	s_and_saveexec_b64 s[14:15], s[0:1]
	s_cbranch_execz .LBB493_21
.LBB493_33:
	s_waitcnt vmcnt(0)
	global_store_short_d16_hi v[0:1], v2, off offset:2048
	s_or_b64 exec, exec, s[14:15]
	s_mov_b32 s14, 0xffff
	s_and_saveexec_b64 s[0:1], s[2:3]
	s_cbranch_execnz .LBB493_22
	s_branch .LBB493_23
.LBB493_34:
	v_add_co_u32_e32 v6, vcc, 0x2000, v0
	v_addc_co_u32_e32 v7, vcc, 0, v1, vcc
	global_store_short_d16_hi v[6:7], v2, off offset:2048
	s_or_b64 exec, exec, s[0:1]
	s_and_saveexec_b64 s[0:1], s[10:11]
	s_cbranch_execz .LBB493_29
.LBB493_35:
	v_add_co_u32_e32 v2, vcc, 0x3000, v0
	v_cndmask_b32_e64 v4, v5, v5, s[10:11]
	v_addc_co_u32_e32 v3, vcc, 0, v1, vcc
	global_store_short v[2:3], v4, off
	s_or_b64 exec, exec, s[0:1]
	s_and_saveexec_b64 s[0:1], s[12:13]
	s_cbranch_execnz .LBB493_30
	s_branch .LBB493_31
	.section	.rodata,"a",@progbits
	.p2align	6, 0x0
	.amdhsa_kernel _ZN7rocprim17ROCPRIM_400000_NS6detail17trampoline_kernelINS0_14default_configENS1_25transform_config_selectorItLb1EEEZNS1_14transform_implILb1ES3_S5_PtS7_NS0_8identityItEEEE10hipError_tT2_T3_mT4_P12ihipStream_tbEUlT_E_NS1_11comp_targetILNS1_3genE4ELNS1_11target_archE910ELNS1_3gpuE8ELNS1_3repE0EEENS1_30default_config_static_selectorELNS0_4arch9wavefront6targetE1EEEvT1_
		.amdhsa_group_segment_fixed_size 0
		.amdhsa_private_segment_fixed_size 0
		.amdhsa_kernarg_size 296
		.amdhsa_user_sgpr_count 6
		.amdhsa_user_sgpr_private_segment_buffer 1
		.amdhsa_user_sgpr_dispatch_ptr 0
		.amdhsa_user_sgpr_queue_ptr 0
		.amdhsa_user_sgpr_kernarg_segment_ptr 1
		.amdhsa_user_sgpr_dispatch_id 0
		.amdhsa_user_sgpr_flat_scratch_init 0
		.amdhsa_user_sgpr_kernarg_preload_length 0
		.amdhsa_user_sgpr_kernarg_preload_offset 0
		.amdhsa_user_sgpr_private_segment_size 0
		.amdhsa_uses_dynamic_stack 0
		.amdhsa_system_sgpr_private_segment_wavefront_offset 0
		.amdhsa_system_sgpr_workgroup_id_x 1
		.amdhsa_system_sgpr_workgroup_id_y 0
		.amdhsa_system_sgpr_workgroup_id_z 0
		.amdhsa_system_sgpr_workgroup_info 0
		.amdhsa_system_vgpr_workitem_id 0
		.amdhsa_next_free_vgpr 8
		.amdhsa_next_free_sgpr 22
		.amdhsa_accum_offset 8
		.amdhsa_reserve_vcc 1
		.amdhsa_reserve_flat_scratch 0
		.amdhsa_float_round_mode_32 0
		.amdhsa_float_round_mode_16_64 0
		.amdhsa_float_denorm_mode_32 3
		.amdhsa_float_denorm_mode_16_64 3
		.amdhsa_dx10_clamp 1
		.amdhsa_ieee_mode 1
		.amdhsa_fp16_overflow 0
		.amdhsa_tg_split 0
		.amdhsa_exception_fp_ieee_invalid_op 0
		.amdhsa_exception_fp_denorm_src 0
		.amdhsa_exception_fp_ieee_div_zero 0
		.amdhsa_exception_fp_ieee_overflow 0
		.amdhsa_exception_fp_ieee_underflow 0
		.amdhsa_exception_fp_ieee_inexact 0
		.amdhsa_exception_int_div_zero 0
	.end_amdhsa_kernel
	.section	.text._ZN7rocprim17ROCPRIM_400000_NS6detail17trampoline_kernelINS0_14default_configENS1_25transform_config_selectorItLb1EEEZNS1_14transform_implILb1ES3_S5_PtS7_NS0_8identityItEEEE10hipError_tT2_T3_mT4_P12ihipStream_tbEUlT_E_NS1_11comp_targetILNS1_3genE4ELNS1_11target_archE910ELNS1_3gpuE8ELNS1_3repE0EEENS1_30default_config_static_selectorELNS0_4arch9wavefront6targetE1EEEvT1_,"axG",@progbits,_ZN7rocprim17ROCPRIM_400000_NS6detail17trampoline_kernelINS0_14default_configENS1_25transform_config_selectorItLb1EEEZNS1_14transform_implILb1ES3_S5_PtS7_NS0_8identityItEEEE10hipError_tT2_T3_mT4_P12ihipStream_tbEUlT_E_NS1_11comp_targetILNS1_3genE4ELNS1_11target_archE910ELNS1_3gpuE8ELNS1_3repE0EEENS1_30default_config_static_selectorELNS0_4arch9wavefront6targetE1EEEvT1_,comdat
.Lfunc_end493:
	.size	_ZN7rocprim17ROCPRIM_400000_NS6detail17trampoline_kernelINS0_14default_configENS1_25transform_config_selectorItLb1EEEZNS1_14transform_implILb1ES3_S5_PtS7_NS0_8identityItEEEE10hipError_tT2_T3_mT4_P12ihipStream_tbEUlT_E_NS1_11comp_targetILNS1_3genE4ELNS1_11target_archE910ELNS1_3gpuE8ELNS1_3repE0EEENS1_30default_config_static_selectorELNS0_4arch9wavefront6targetE1EEEvT1_, .Lfunc_end493-_ZN7rocprim17ROCPRIM_400000_NS6detail17trampoline_kernelINS0_14default_configENS1_25transform_config_selectorItLb1EEEZNS1_14transform_implILb1ES3_S5_PtS7_NS0_8identityItEEEE10hipError_tT2_T3_mT4_P12ihipStream_tbEUlT_E_NS1_11comp_targetILNS1_3genE4ELNS1_11target_archE910ELNS1_3gpuE8ELNS1_3repE0EEENS1_30default_config_static_selectorELNS0_4arch9wavefront6targetE1EEEvT1_
                                        ; -- End function
	.section	.AMDGPU.csdata,"",@progbits
; Kernel info:
; codeLenInByte = 976
; NumSgprs: 26
; NumVgprs: 8
; NumAgprs: 0
; TotalNumVgprs: 8
; ScratchSize: 0
; MemoryBound: 1
; FloatMode: 240
; IeeeMode: 1
; LDSByteSize: 0 bytes/workgroup (compile time only)
; SGPRBlocks: 3
; VGPRBlocks: 0
; NumSGPRsForWavesPerEU: 26
; NumVGPRsForWavesPerEU: 8
; AccumOffset: 8
; Occupancy: 8
; WaveLimiterHint : 0
; COMPUTE_PGM_RSRC2:SCRATCH_EN: 0
; COMPUTE_PGM_RSRC2:USER_SGPR: 6
; COMPUTE_PGM_RSRC2:TRAP_HANDLER: 0
; COMPUTE_PGM_RSRC2:TGID_X_EN: 1
; COMPUTE_PGM_RSRC2:TGID_Y_EN: 0
; COMPUTE_PGM_RSRC2:TGID_Z_EN: 0
; COMPUTE_PGM_RSRC2:TIDIG_COMP_CNT: 0
; COMPUTE_PGM_RSRC3_GFX90A:ACCUM_OFFSET: 1
; COMPUTE_PGM_RSRC3_GFX90A:TG_SPLIT: 0
	.section	.text._ZN7rocprim17ROCPRIM_400000_NS6detail17trampoline_kernelINS0_14default_configENS1_25transform_config_selectorItLb1EEEZNS1_14transform_implILb1ES3_S5_PtS7_NS0_8identityItEEEE10hipError_tT2_T3_mT4_P12ihipStream_tbEUlT_E_NS1_11comp_targetILNS1_3genE3ELNS1_11target_archE908ELNS1_3gpuE7ELNS1_3repE0EEENS1_30default_config_static_selectorELNS0_4arch9wavefront6targetE1EEEvT1_,"axG",@progbits,_ZN7rocprim17ROCPRIM_400000_NS6detail17trampoline_kernelINS0_14default_configENS1_25transform_config_selectorItLb1EEEZNS1_14transform_implILb1ES3_S5_PtS7_NS0_8identityItEEEE10hipError_tT2_T3_mT4_P12ihipStream_tbEUlT_E_NS1_11comp_targetILNS1_3genE3ELNS1_11target_archE908ELNS1_3gpuE7ELNS1_3repE0EEENS1_30default_config_static_selectorELNS0_4arch9wavefront6targetE1EEEvT1_,comdat
	.protected	_ZN7rocprim17ROCPRIM_400000_NS6detail17trampoline_kernelINS0_14default_configENS1_25transform_config_selectorItLb1EEEZNS1_14transform_implILb1ES3_S5_PtS7_NS0_8identityItEEEE10hipError_tT2_T3_mT4_P12ihipStream_tbEUlT_E_NS1_11comp_targetILNS1_3genE3ELNS1_11target_archE908ELNS1_3gpuE7ELNS1_3repE0EEENS1_30default_config_static_selectorELNS0_4arch9wavefront6targetE1EEEvT1_ ; -- Begin function _ZN7rocprim17ROCPRIM_400000_NS6detail17trampoline_kernelINS0_14default_configENS1_25transform_config_selectorItLb1EEEZNS1_14transform_implILb1ES3_S5_PtS7_NS0_8identityItEEEE10hipError_tT2_T3_mT4_P12ihipStream_tbEUlT_E_NS1_11comp_targetILNS1_3genE3ELNS1_11target_archE908ELNS1_3gpuE7ELNS1_3repE0EEENS1_30default_config_static_selectorELNS0_4arch9wavefront6targetE1EEEvT1_
	.globl	_ZN7rocprim17ROCPRIM_400000_NS6detail17trampoline_kernelINS0_14default_configENS1_25transform_config_selectorItLb1EEEZNS1_14transform_implILb1ES3_S5_PtS7_NS0_8identityItEEEE10hipError_tT2_T3_mT4_P12ihipStream_tbEUlT_E_NS1_11comp_targetILNS1_3genE3ELNS1_11target_archE908ELNS1_3gpuE7ELNS1_3repE0EEENS1_30default_config_static_selectorELNS0_4arch9wavefront6targetE1EEEvT1_
	.p2align	8
	.type	_ZN7rocprim17ROCPRIM_400000_NS6detail17trampoline_kernelINS0_14default_configENS1_25transform_config_selectorItLb1EEEZNS1_14transform_implILb1ES3_S5_PtS7_NS0_8identityItEEEE10hipError_tT2_T3_mT4_P12ihipStream_tbEUlT_E_NS1_11comp_targetILNS1_3genE3ELNS1_11target_archE908ELNS1_3gpuE7ELNS1_3repE0EEENS1_30default_config_static_selectorELNS0_4arch9wavefront6targetE1EEEvT1_,@function
_ZN7rocprim17ROCPRIM_400000_NS6detail17trampoline_kernelINS0_14default_configENS1_25transform_config_selectorItLb1EEEZNS1_14transform_implILb1ES3_S5_PtS7_NS0_8identityItEEEE10hipError_tT2_T3_mT4_P12ihipStream_tbEUlT_E_NS1_11comp_targetILNS1_3genE3ELNS1_11target_archE908ELNS1_3gpuE7ELNS1_3repE0EEENS1_30default_config_static_selectorELNS0_4arch9wavefront6targetE1EEEvT1_: ; @_ZN7rocprim17ROCPRIM_400000_NS6detail17trampoline_kernelINS0_14default_configENS1_25transform_config_selectorItLb1EEEZNS1_14transform_implILb1ES3_S5_PtS7_NS0_8identityItEEEE10hipError_tT2_T3_mT4_P12ihipStream_tbEUlT_E_NS1_11comp_targetILNS1_3genE3ELNS1_11target_archE908ELNS1_3gpuE7ELNS1_3repE0EEENS1_30default_config_static_selectorELNS0_4arch9wavefront6targetE1EEEvT1_
; %bb.0:
	.section	.rodata,"a",@progbits
	.p2align	6, 0x0
	.amdhsa_kernel _ZN7rocprim17ROCPRIM_400000_NS6detail17trampoline_kernelINS0_14default_configENS1_25transform_config_selectorItLb1EEEZNS1_14transform_implILb1ES3_S5_PtS7_NS0_8identityItEEEE10hipError_tT2_T3_mT4_P12ihipStream_tbEUlT_E_NS1_11comp_targetILNS1_3genE3ELNS1_11target_archE908ELNS1_3gpuE7ELNS1_3repE0EEENS1_30default_config_static_selectorELNS0_4arch9wavefront6targetE1EEEvT1_
		.amdhsa_group_segment_fixed_size 0
		.amdhsa_private_segment_fixed_size 0
		.amdhsa_kernarg_size 40
		.amdhsa_user_sgpr_count 6
		.amdhsa_user_sgpr_private_segment_buffer 1
		.amdhsa_user_sgpr_dispatch_ptr 0
		.amdhsa_user_sgpr_queue_ptr 0
		.amdhsa_user_sgpr_kernarg_segment_ptr 1
		.amdhsa_user_sgpr_dispatch_id 0
		.amdhsa_user_sgpr_flat_scratch_init 0
		.amdhsa_user_sgpr_kernarg_preload_length 0
		.amdhsa_user_sgpr_kernarg_preload_offset 0
		.amdhsa_user_sgpr_private_segment_size 0
		.amdhsa_uses_dynamic_stack 0
		.amdhsa_system_sgpr_private_segment_wavefront_offset 0
		.amdhsa_system_sgpr_workgroup_id_x 1
		.amdhsa_system_sgpr_workgroup_id_y 0
		.amdhsa_system_sgpr_workgroup_id_z 0
		.amdhsa_system_sgpr_workgroup_info 0
		.amdhsa_system_vgpr_workitem_id 0
		.amdhsa_next_free_vgpr 1
		.amdhsa_next_free_sgpr 0
		.amdhsa_accum_offset 4
		.amdhsa_reserve_vcc 0
		.amdhsa_reserve_flat_scratch 0
		.amdhsa_float_round_mode_32 0
		.amdhsa_float_round_mode_16_64 0
		.amdhsa_float_denorm_mode_32 3
		.amdhsa_float_denorm_mode_16_64 3
		.amdhsa_dx10_clamp 1
		.amdhsa_ieee_mode 1
		.amdhsa_fp16_overflow 0
		.amdhsa_tg_split 0
		.amdhsa_exception_fp_ieee_invalid_op 0
		.amdhsa_exception_fp_denorm_src 0
		.amdhsa_exception_fp_ieee_div_zero 0
		.amdhsa_exception_fp_ieee_overflow 0
		.amdhsa_exception_fp_ieee_underflow 0
		.amdhsa_exception_fp_ieee_inexact 0
		.amdhsa_exception_int_div_zero 0
	.end_amdhsa_kernel
	.section	.text._ZN7rocprim17ROCPRIM_400000_NS6detail17trampoline_kernelINS0_14default_configENS1_25transform_config_selectorItLb1EEEZNS1_14transform_implILb1ES3_S5_PtS7_NS0_8identityItEEEE10hipError_tT2_T3_mT4_P12ihipStream_tbEUlT_E_NS1_11comp_targetILNS1_3genE3ELNS1_11target_archE908ELNS1_3gpuE7ELNS1_3repE0EEENS1_30default_config_static_selectorELNS0_4arch9wavefront6targetE1EEEvT1_,"axG",@progbits,_ZN7rocprim17ROCPRIM_400000_NS6detail17trampoline_kernelINS0_14default_configENS1_25transform_config_selectorItLb1EEEZNS1_14transform_implILb1ES3_S5_PtS7_NS0_8identityItEEEE10hipError_tT2_T3_mT4_P12ihipStream_tbEUlT_E_NS1_11comp_targetILNS1_3genE3ELNS1_11target_archE908ELNS1_3gpuE7ELNS1_3repE0EEENS1_30default_config_static_selectorELNS0_4arch9wavefront6targetE1EEEvT1_,comdat
.Lfunc_end494:
	.size	_ZN7rocprim17ROCPRIM_400000_NS6detail17trampoline_kernelINS0_14default_configENS1_25transform_config_selectorItLb1EEEZNS1_14transform_implILb1ES3_S5_PtS7_NS0_8identityItEEEE10hipError_tT2_T3_mT4_P12ihipStream_tbEUlT_E_NS1_11comp_targetILNS1_3genE3ELNS1_11target_archE908ELNS1_3gpuE7ELNS1_3repE0EEENS1_30default_config_static_selectorELNS0_4arch9wavefront6targetE1EEEvT1_, .Lfunc_end494-_ZN7rocprim17ROCPRIM_400000_NS6detail17trampoline_kernelINS0_14default_configENS1_25transform_config_selectorItLb1EEEZNS1_14transform_implILb1ES3_S5_PtS7_NS0_8identityItEEEE10hipError_tT2_T3_mT4_P12ihipStream_tbEUlT_E_NS1_11comp_targetILNS1_3genE3ELNS1_11target_archE908ELNS1_3gpuE7ELNS1_3repE0EEENS1_30default_config_static_selectorELNS0_4arch9wavefront6targetE1EEEvT1_
                                        ; -- End function
	.section	.AMDGPU.csdata,"",@progbits
; Kernel info:
; codeLenInByte = 0
; NumSgprs: 4
; NumVgprs: 0
; NumAgprs: 0
; TotalNumVgprs: 0
; ScratchSize: 0
; MemoryBound: 0
; FloatMode: 240
; IeeeMode: 1
; LDSByteSize: 0 bytes/workgroup (compile time only)
; SGPRBlocks: 0
; VGPRBlocks: 0
; NumSGPRsForWavesPerEU: 4
; NumVGPRsForWavesPerEU: 1
; AccumOffset: 4
; Occupancy: 8
; WaveLimiterHint : 0
; COMPUTE_PGM_RSRC2:SCRATCH_EN: 0
; COMPUTE_PGM_RSRC2:USER_SGPR: 6
; COMPUTE_PGM_RSRC2:TRAP_HANDLER: 0
; COMPUTE_PGM_RSRC2:TGID_X_EN: 1
; COMPUTE_PGM_RSRC2:TGID_Y_EN: 0
; COMPUTE_PGM_RSRC2:TGID_Z_EN: 0
; COMPUTE_PGM_RSRC2:TIDIG_COMP_CNT: 0
; COMPUTE_PGM_RSRC3_GFX90A:ACCUM_OFFSET: 0
; COMPUTE_PGM_RSRC3_GFX90A:TG_SPLIT: 0
	.section	.text._ZN7rocprim17ROCPRIM_400000_NS6detail17trampoline_kernelINS0_14default_configENS1_25transform_config_selectorItLb1EEEZNS1_14transform_implILb1ES3_S5_PtS7_NS0_8identityItEEEE10hipError_tT2_T3_mT4_P12ihipStream_tbEUlT_E_NS1_11comp_targetILNS1_3genE2ELNS1_11target_archE906ELNS1_3gpuE6ELNS1_3repE0EEENS1_30default_config_static_selectorELNS0_4arch9wavefront6targetE1EEEvT1_,"axG",@progbits,_ZN7rocprim17ROCPRIM_400000_NS6detail17trampoline_kernelINS0_14default_configENS1_25transform_config_selectorItLb1EEEZNS1_14transform_implILb1ES3_S5_PtS7_NS0_8identityItEEEE10hipError_tT2_T3_mT4_P12ihipStream_tbEUlT_E_NS1_11comp_targetILNS1_3genE2ELNS1_11target_archE906ELNS1_3gpuE6ELNS1_3repE0EEENS1_30default_config_static_selectorELNS0_4arch9wavefront6targetE1EEEvT1_,comdat
	.protected	_ZN7rocprim17ROCPRIM_400000_NS6detail17trampoline_kernelINS0_14default_configENS1_25transform_config_selectorItLb1EEEZNS1_14transform_implILb1ES3_S5_PtS7_NS0_8identityItEEEE10hipError_tT2_T3_mT4_P12ihipStream_tbEUlT_E_NS1_11comp_targetILNS1_3genE2ELNS1_11target_archE906ELNS1_3gpuE6ELNS1_3repE0EEENS1_30default_config_static_selectorELNS0_4arch9wavefront6targetE1EEEvT1_ ; -- Begin function _ZN7rocprim17ROCPRIM_400000_NS6detail17trampoline_kernelINS0_14default_configENS1_25transform_config_selectorItLb1EEEZNS1_14transform_implILb1ES3_S5_PtS7_NS0_8identityItEEEE10hipError_tT2_T3_mT4_P12ihipStream_tbEUlT_E_NS1_11comp_targetILNS1_3genE2ELNS1_11target_archE906ELNS1_3gpuE6ELNS1_3repE0EEENS1_30default_config_static_selectorELNS0_4arch9wavefront6targetE1EEEvT1_
	.globl	_ZN7rocprim17ROCPRIM_400000_NS6detail17trampoline_kernelINS0_14default_configENS1_25transform_config_selectorItLb1EEEZNS1_14transform_implILb1ES3_S5_PtS7_NS0_8identityItEEEE10hipError_tT2_T3_mT4_P12ihipStream_tbEUlT_E_NS1_11comp_targetILNS1_3genE2ELNS1_11target_archE906ELNS1_3gpuE6ELNS1_3repE0EEENS1_30default_config_static_selectorELNS0_4arch9wavefront6targetE1EEEvT1_
	.p2align	8
	.type	_ZN7rocprim17ROCPRIM_400000_NS6detail17trampoline_kernelINS0_14default_configENS1_25transform_config_selectorItLb1EEEZNS1_14transform_implILb1ES3_S5_PtS7_NS0_8identityItEEEE10hipError_tT2_T3_mT4_P12ihipStream_tbEUlT_E_NS1_11comp_targetILNS1_3genE2ELNS1_11target_archE906ELNS1_3gpuE6ELNS1_3repE0EEENS1_30default_config_static_selectorELNS0_4arch9wavefront6targetE1EEEvT1_,@function
_ZN7rocprim17ROCPRIM_400000_NS6detail17trampoline_kernelINS0_14default_configENS1_25transform_config_selectorItLb1EEEZNS1_14transform_implILb1ES3_S5_PtS7_NS0_8identityItEEEE10hipError_tT2_T3_mT4_P12ihipStream_tbEUlT_E_NS1_11comp_targetILNS1_3genE2ELNS1_11target_archE906ELNS1_3gpuE6ELNS1_3repE0EEENS1_30default_config_static_selectorELNS0_4arch9wavefront6targetE1EEEvT1_: ; @_ZN7rocprim17ROCPRIM_400000_NS6detail17trampoline_kernelINS0_14default_configENS1_25transform_config_selectorItLb1EEEZNS1_14transform_implILb1ES3_S5_PtS7_NS0_8identityItEEEE10hipError_tT2_T3_mT4_P12ihipStream_tbEUlT_E_NS1_11comp_targetILNS1_3genE2ELNS1_11target_archE906ELNS1_3gpuE6ELNS1_3repE0EEENS1_30default_config_static_selectorELNS0_4arch9wavefront6targetE1EEEvT1_
; %bb.0:
	.section	.rodata,"a",@progbits
	.p2align	6, 0x0
	.amdhsa_kernel _ZN7rocprim17ROCPRIM_400000_NS6detail17trampoline_kernelINS0_14default_configENS1_25transform_config_selectorItLb1EEEZNS1_14transform_implILb1ES3_S5_PtS7_NS0_8identityItEEEE10hipError_tT2_T3_mT4_P12ihipStream_tbEUlT_E_NS1_11comp_targetILNS1_3genE2ELNS1_11target_archE906ELNS1_3gpuE6ELNS1_3repE0EEENS1_30default_config_static_selectorELNS0_4arch9wavefront6targetE1EEEvT1_
		.amdhsa_group_segment_fixed_size 0
		.amdhsa_private_segment_fixed_size 0
		.amdhsa_kernarg_size 40
		.amdhsa_user_sgpr_count 6
		.amdhsa_user_sgpr_private_segment_buffer 1
		.amdhsa_user_sgpr_dispatch_ptr 0
		.amdhsa_user_sgpr_queue_ptr 0
		.amdhsa_user_sgpr_kernarg_segment_ptr 1
		.amdhsa_user_sgpr_dispatch_id 0
		.amdhsa_user_sgpr_flat_scratch_init 0
		.amdhsa_user_sgpr_kernarg_preload_length 0
		.amdhsa_user_sgpr_kernarg_preload_offset 0
		.amdhsa_user_sgpr_private_segment_size 0
		.amdhsa_uses_dynamic_stack 0
		.amdhsa_system_sgpr_private_segment_wavefront_offset 0
		.amdhsa_system_sgpr_workgroup_id_x 1
		.amdhsa_system_sgpr_workgroup_id_y 0
		.amdhsa_system_sgpr_workgroup_id_z 0
		.amdhsa_system_sgpr_workgroup_info 0
		.amdhsa_system_vgpr_workitem_id 0
		.amdhsa_next_free_vgpr 1
		.amdhsa_next_free_sgpr 0
		.amdhsa_accum_offset 4
		.amdhsa_reserve_vcc 0
		.amdhsa_reserve_flat_scratch 0
		.amdhsa_float_round_mode_32 0
		.amdhsa_float_round_mode_16_64 0
		.amdhsa_float_denorm_mode_32 3
		.amdhsa_float_denorm_mode_16_64 3
		.amdhsa_dx10_clamp 1
		.amdhsa_ieee_mode 1
		.amdhsa_fp16_overflow 0
		.amdhsa_tg_split 0
		.amdhsa_exception_fp_ieee_invalid_op 0
		.amdhsa_exception_fp_denorm_src 0
		.amdhsa_exception_fp_ieee_div_zero 0
		.amdhsa_exception_fp_ieee_overflow 0
		.amdhsa_exception_fp_ieee_underflow 0
		.amdhsa_exception_fp_ieee_inexact 0
		.amdhsa_exception_int_div_zero 0
	.end_amdhsa_kernel
	.section	.text._ZN7rocprim17ROCPRIM_400000_NS6detail17trampoline_kernelINS0_14default_configENS1_25transform_config_selectorItLb1EEEZNS1_14transform_implILb1ES3_S5_PtS7_NS0_8identityItEEEE10hipError_tT2_T3_mT4_P12ihipStream_tbEUlT_E_NS1_11comp_targetILNS1_3genE2ELNS1_11target_archE906ELNS1_3gpuE6ELNS1_3repE0EEENS1_30default_config_static_selectorELNS0_4arch9wavefront6targetE1EEEvT1_,"axG",@progbits,_ZN7rocprim17ROCPRIM_400000_NS6detail17trampoline_kernelINS0_14default_configENS1_25transform_config_selectorItLb1EEEZNS1_14transform_implILb1ES3_S5_PtS7_NS0_8identityItEEEE10hipError_tT2_T3_mT4_P12ihipStream_tbEUlT_E_NS1_11comp_targetILNS1_3genE2ELNS1_11target_archE906ELNS1_3gpuE6ELNS1_3repE0EEENS1_30default_config_static_selectorELNS0_4arch9wavefront6targetE1EEEvT1_,comdat
.Lfunc_end495:
	.size	_ZN7rocprim17ROCPRIM_400000_NS6detail17trampoline_kernelINS0_14default_configENS1_25transform_config_selectorItLb1EEEZNS1_14transform_implILb1ES3_S5_PtS7_NS0_8identityItEEEE10hipError_tT2_T3_mT4_P12ihipStream_tbEUlT_E_NS1_11comp_targetILNS1_3genE2ELNS1_11target_archE906ELNS1_3gpuE6ELNS1_3repE0EEENS1_30default_config_static_selectorELNS0_4arch9wavefront6targetE1EEEvT1_, .Lfunc_end495-_ZN7rocprim17ROCPRIM_400000_NS6detail17trampoline_kernelINS0_14default_configENS1_25transform_config_selectorItLb1EEEZNS1_14transform_implILb1ES3_S5_PtS7_NS0_8identityItEEEE10hipError_tT2_T3_mT4_P12ihipStream_tbEUlT_E_NS1_11comp_targetILNS1_3genE2ELNS1_11target_archE906ELNS1_3gpuE6ELNS1_3repE0EEENS1_30default_config_static_selectorELNS0_4arch9wavefront6targetE1EEEvT1_
                                        ; -- End function
	.section	.AMDGPU.csdata,"",@progbits
; Kernel info:
; codeLenInByte = 0
; NumSgprs: 4
; NumVgprs: 0
; NumAgprs: 0
; TotalNumVgprs: 0
; ScratchSize: 0
; MemoryBound: 0
; FloatMode: 240
; IeeeMode: 1
; LDSByteSize: 0 bytes/workgroup (compile time only)
; SGPRBlocks: 0
; VGPRBlocks: 0
; NumSGPRsForWavesPerEU: 4
; NumVGPRsForWavesPerEU: 1
; AccumOffset: 4
; Occupancy: 8
; WaveLimiterHint : 0
; COMPUTE_PGM_RSRC2:SCRATCH_EN: 0
; COMPUTE_PGM_RSRC2:USER_SGPR: 6
; COMPUTE_PGM_RSRC2:TRAP_HANDLER: 0
; COMPUTE_PGM_RSRC2:TGID_X_EN: 1
; COMPUTE_PGM_RSRC2:TGID_Y_EN: 0
; COMPUTE_PGM_RSRC2:TGID_Z_EN: 0
; COMPUTE_PGM_RSRC2:TIDIG_COMP_CNT: 0
; COMPUTE_PGM_RSRC3_GFX90A:ACCUM_OFFSET: 0
; COMPUTE_PGM_RSRC3_GFX90A:TG_SPLIT: 0
	.section	.text._ZN7rocprim17ROCPRIM_400000_NS6detail17trampoline_kernelINS0_14default_configENS1_25transform_config_selectorItLb1EEEZNS1_14transform_implILb1ES3_S5_PtS7_NS0_8identityItEEEE10hipError_tT2_T3_mT4_P12ihipStream_tbEUlT_E_NS1_11comp_targetILNS1_3genE9ELNS1_11target_archE1100ELNS1_3gpuE3ELNS1_3repE0EEENS1_30default_config_static_selectorELNS0_4arch9wavefront6targetE1EEEvT1_,"axG",@progbits,_ZN7rocprim17ROCPRIM_400000_NS6detail17trampoline_kernelINS0_14default_configENS1_25transform_config_selectorItLb1EEEZNS1_14transform_implILb1ES3_S5_PtS7_NS0_8identityItEEEE10hipError_tT2_T3_mT4_P12ihipStream_tbEUlT_E_NS1_11comp_targetILNS1_3genE9ELNS1_11target_archE1100ELNS1_3gpuE3ELNS1_3repE0EEENS1_30default_config_static_selectorELNS0_4arch9wavefront6targetE1EEEvT1_,comdat
	.protected	_ZN7rocprim17ROCPRIM_400000_NS6detail17trampoline_kernelINS0_14default_configENS1_25transform_config_selectorItLb1EEEZNS1_14transform_implILb1ES3_S5_PtS7_NS0_8identityItEEEE10hipError_tT2_T3_mT4_P12ihipStream_tbEUlT_E_NS1_11comp_targetILNS1_3genE9ELNS1_11target_archE1100ELNS1_3gpuE3ELNS1_3repE0EEENS1_30default_config_static_selectorELNS0_4arch9wavefront6targetE1EEEvT1_ ; -- Begin function _ZN7rocprim17ROCPRIM_400000_NS6detail17trampoline_kernelINS0_14default_configENS1_25transform_config_selectorItLb1EEEZNS1_14transform_implILb1ES3_S5_PtS7_NS0_8identityItEEEE10hipError_tT2_T3_mT4_P12ihipStream_tbEUlT_E_NS1_11comp_targetILNS1_3genE9ELNS1_11target_archE1100ELNS1_3gpuE3ELNS1_3repE0EEENS1_30default_config_static_selectorELNS0_4arch9wavefront6targetE1EEEvT1_
	.globl	_ZN7rocprim17ROCPRIM_400000_NS6detail17trampoline_kernelINS0_14default_configENS1_25transform_config_selectorItLb1EEEZNS1_14transform_implILb1ES3_S5_PtS7_NS0_8identityItEEEE10hipError_tT2_T3_mT4_P12ihipStream_tbEUlT_E_NS1_11comp_targetILNS1_3genE9ELNS1_11target_archE1100ELNS1_3gpuE3ELNS1_3repE0EEENS1_30default_config_static_selectorELNS0_4arch9wavefront6targetE1EEEvT1_
	.p2align	8
	.type	_ZN7rocprim17ROCPRIM_400000_NS6detail17trampoline_kernelINS0_14default_configENS1_25transform_config_selectorItLb1EEEZNS1_14transform_implILb1ES3_S5_PtS7_NS0_8identityItEEEE10hipError_tT2_T3_mT4_P12ihipStream_tbEUlT_E_NS1_11comp_targetILNS1_3genE9ELNS1_11target_archE1100ELNS1_3gpuE3ELNS1_3repE0EEENS1_30default_config_static_selectorELNS0_4arch9wavefront6targetE1EEEvT1_,@function
_ZN7rocprim17ROCPRIM_400000_NS6detail17trampoline_kernelINS0_14default_configENS1_25transform_config_selectorItLb1EEEZNS1_14transform_implILb1ES3_S5_PtS7_NS0_8identityItEEEE10hipError_tT2_T3_mT4_P12ihipStream_tbEUlT_E_NS1_11comp_targetILNS1_3genE9ELNS1_11target_archE1100ELNS1_3gpuE3ELNS1_3repE0EEENS1_30default_config_static_selectorELNS0_4arch9wavefront6targetE1EEEvT1_: ; @_ZN7rocprim17ROCPRIM_400000_NS6detail17trampoline_kernelINS0_14default_configENS1_25transform_config_selectorItLb1EEEZNS1_14transform_implILb1ES3_S5_PtS7_NS0_8identityItEEEE10hipError_tT2_T3_mT4_P12ihipStream_tbEUlT_E_NS1_11comp_targetILNS1_3genE9ELNS1_11target_archE1100ELNS1_3gpuE3ELNS1_3repE0EEENS1_30default_config_static_selectorELNS0_4arch9wavefront6targetE1EEEvT1_
; %bb.0:
	.section	.rodata,"a",@progbits
	.p2align	6, 0x0
	.amdhsa_kernel _ZN7rocprim17ROCPRIM_400000_NS6detail17trampoline_kernelINS0_14default_configENS1_25transform_config_selectorItLb1EEEZNS1_14transform_implILb1ES3_S5_PtS7_NS0_8identityItEEEE10hipError_tT2_T3_mT4_P12ihipStream_tbEUlT_E_NS1_11comp_targetILNS1_3genE9ELNS1_11target_archE1100ELNS1_3gpuE3ELNS1_3repE0EEENS1_30default_config_static_selectorELNS0_4arch9wavefront6targetE1EEEvT1_
		.amdhsa_group_segment_fixed_size 0
		.amdhsa_private_segment_fixed_size 0
		.amdhsa_kernarg_size 40
		.amdhsa_user_sgpr_count 6
		.amdhsa_user_sgpr_private_segment_buffer 1
		.amdhsa_user_sgpr_dispatch_ptr 0
		.amdhsa_user_sgpr_queue_ptr 0
		.amdhsa_user_sgpr_kernarg_segment_ptr 1
		.amdhsa_user_sgpr_dispatch_id 0
		.amdhsa_user_sgpr_flat_scratch_init 0
		.amdhsa_user_sgpr_kernarg_preload_length 0
		.amdhsa_user_sgpr_kernarg_preload_offset 0
		.amdhsa_user_sgpr_private_segment_size 0
		.amdhsa_uses_dynamic_stack 0
		.amdhsa_system_sgpr_private_segment_wavefront_offset 0
		.amdhsa_system_sgpr_workgroup_id_x 1
		.amdhsa_system_sgpr_workgroup_id_y 0
		.amdhsa_system_sgpr_workgroup_id_z 0
		.amdhsa_system_sgpr_workgroup_info 0
		.amdhsa_system_vgpr_workitem_id 0
		.amdhsa_next_free_vgpr 1
		.amdhsa_next_free_sgpr 0
		.amdhsa_accum_offset 4
		.amdhsa_reserve_vcc 0
		.amdhsa_reserve_flat_scratch 0
		.amdhsa_float_round_mode_32 0
		.amdhsa_float_round_mode_16_64 0
		.amdhsa_float_denorm_mode_32 3
		.amdhsa_float_denorm_mode_16_64 3
		.amdhsa_dx10_clamp 1
		.amdhsa_ieee_mode 1
		.amdhsa_fp16_overflow 0
		.amdhsa_tg_split 0
		.amdhsa_exception_fp_ieee_invalid_op 0
		.amdhsa_exception_fp_denorm_src 0
		.amdhsa_exception_fp_ieee_div_zero 0
		.amdhsa_exception_fp_ieee_overflow 0
		.amdhsa_exception_fp_ieee_underflow 0
		.amdhsa_exception_fp_ieee_inexact 0
		.amdhsa_exception_int_div_zero 0
	.end_amdhsa_kernel
	.section	.text._ZN7rocprim17ROCPRIM_400000_NS6detail17trampoline_kernelINS0_14default_configENS1_25transform_config_selectorItLb1EEEZNS1_14transform_implILb1ES3_S5_PtS7_NS0_8identityItEEEE10hipError_tT2_T3_mT4_P12ihipStream_tbEUlT_E_NS1_11comp_targetILNS1_3genE9ELNS1_11target_archE1100ELNS1_3gpuE3ELNS1_3repE0EEENS1_30default_config_static_selectorELNS0_4arch9wavefront6targetE1EEEvT1_,"axG",@progbits,_ZN7rocprim17ROCPRIM_400000_NS6detail17trampoline_kernelINS0_14default_configENS1_25transform_config_selectorItLb1EEEZNS1_14transform_implILb1ES3_S5_PtS7_NS0_8identityItEEEE10hipError_tT2_T3_mT4_P12ihipStream_tbEUlT_E_NS1_11comp_targetILNS1_3genE9ELNS1_11target_archE1100ELNS1_3gpuE3ELNS1_3repE0EEENS1_30default_config_static_selectorELNS0_4arch9wavefront6targetE1EEEvT1_,comdat
.Lfunc_end496:
	.size	_ZN7rocprim17ROCPRIM_400000_NS6detail17trampoline_kernelINS0_14default_configENS1_25transform_config_selectorItLb1EEEZNS1_14transform_implILb1ES3_S5_PtS7_NS0_8identityItEEEE10hipError_tT2_T3_mT4_P12ihipStream_tbEUlT_E_NS1_11comp_targetILNS1_3genE9ELNS1_11target_archE1100ELNS1_3gpuE3ELNS1_3repE0EEENS1_30default_config_static_selectorELNS0_4arch9wavefront6targetE1EEEvT1_, .Lfunc_end496-_ZN7rocprim17ROCPRIM_400000_NS6detail17trampoline_kernelINS0_14default_configENS1_25transform_config_selectorItLb1EEEZNS1_14transform_implILb1ES3_S5_PtS7_NS0_8identityItEEEE10hipError_tT2_T3_mT4_P12ihipStream_tbEUlT_E_NS1_11comp_targetILNS1_3genE9ELNS1_11target_archE1100ELNS1_3gpuE3ELNS1_3repE0EEENS1_30default_config_static_selectorELNS0_4arch9wavefront6targetE1EEEvT1_
                                        ; -- End function
	.section	.AMDGPU.csdata,"",@progbits
; Kernel info:
; codeLenInByte = 0
; NumSgprs: 4
; NumVgprs: 0
; NumAgprs: 0
; TotalNumVgprs: 0
; ScratchSize: 0
; MemoryBound: 0
; FloatMode: 240
; IeeeMode: 1
; LDSByteSize: 0 bytes/workgroup (compile time only)
; SGPRBlocks: 0
; VGPRBlocks: 0
; NumSGPRsForWavesPerEU: 4
; NumVGPRsForWavesPerEU: 1
; AccumOffset: 4
; Occupancy: 8
; WaveLimiterHint : 0
; COMPUTE_PGM_RSRC2:SCRATCH_EN: 0
; COMPUTE_PGM_RSRC2:USER_SGPR: 6
; COMPUTE_PGM_RSRC2:TRAP_HANDLER: 0
; COMPUTE_PGM_RSRC2:TGID_X_EN: 1
; COMPUTE_PGM_RSRC2:TGID_Y_EN: 0
; COMPUTE_PGM_RSRC2:TGID_Z_EN: 0
; COMPUTE_PGM_RSRC2:TIDIG_COMP_CNT: 0
; COMPUTE_PGM_RSRC3_GFX90A:ACCUM_OFFSET: 0
; COMPUTE_PGM_RSRC3_GFX90A:TG_SPLIT: 0
	.section	.text._ZN7rocprim17ROCPRIM_400000_NS6detail17trampoline_kernelINS0_14default_configENS1_25transform_config_selectorItLb1EEEZNS1_14transform_implILb1ES3_S5_PtS7_NS0_8identityItEEEE10hipError_tT2_T3_mT4_P12ihipStream_tbEUlT_E_NS1_11comp_targetILNS1_3genE8ELNS1_11target_archE1030ELNS1_3gpuE2ELNS1_3repE0EEENS1_30default_config_static_selectorELNS0_4arch9wavefront6targetE1EEEvT1_,"axG",@progbits,_ZN7rocprim17ROCPRIM_400000_NS6detail17trampoline_kernelINS0_14default_configENS1_25transform_config_selectorItLb1EEEZNS1_14transform_implILb1ES3_S5_PtS7_NS0_8identityItEEEE10hipError_tT2_T3_mT4_P12ihipStream_tbEUlT_E_NS1_11comp_targetILNS1_3genE8ELNS1_11target_archE1030ELNS1_3gpuE2ELNS1_3repE0EEENS1_30default_config_static_selectorELNS0_4arch9wavefront6targetE1EEEvT1_,comdat
	.protected	_ZN7rocprim17ROCPRIM_400000_NS6detail17trampoline_kernelINS0_14default_configENS1_25transform_config_selectorItLb1EEEZNS1_14transform_implILb1ES3_S5_PtS7_NS0_8identityItEEEE10hipError_tT2_T3_mT4_P12ihipStream_tbEUlT_E_NS1_11comp_targetILNS1_3genE8ELNS1_11target_archE1030ELNS1_3gpuE2ELNS1_3repE0EEENS1_30default_config_static_selectorELNS0_4arch9wavefront6targetE1EEEvT1_ ; -- Begin function _ZN7rocprim17ROCPRIM_400000_NS6detail17trampoline_kernelINS0_14default_configENS1_25transform_config_selectorItLb1EEEZNS1_14transform_implILb1ES3_S5_PtS7_NS0_8identityItEEEE10hipError_tT2_T3_mT4_P12ihipStream_tbEUlT_E_NS1_11comp_targetILNS1_3genE8ELNS1_11target_archE1030ELNS1_3gpuE2ELNS1_3repE0EEENS1_30default_config_static_selectorELNS0_4arch9wavefront6targetE1EEEvT1_
	.globl	_ZN7rocprim17ROCPRIM_400000_NS6detail17trampoline_kernelINS0_14default_configENS1_25transform_config_selectorItLb1EEEZNS1_14transform_implILb1ES3_S5_PtS7_NS0_8identityItEEEE10hipError_tT2_T3_mT4_P12ihipStream_tbEUlT_E_NS1_11comp_targetILNS1_3genE8ELNS1_11target_archE1030ELNS1_3gpuE2ELNS1_3repE0EEENS1_30default_config_static_selectorELNS0_4arch9wavefront6targetE1EEEvT1_
	.p2align	8
	.type	_ZN7rocprim17ROCPRIM_400000_NS6detail17trampoline_kernelINS0_14default_configENS1_25transform_config_selectorItLb1EEEZNS1_14transform_implILb1ES3_S5_PtS7_NS0_8identityItEEEE10hipError_tT2_T3_mT4_P12ihipStream_tbEUlT_E_NS1_11comp_targetILNS1_3genE8ELNS1_11target_archE1030ELNS1_3gpuE2ELNS1_3repE0EEENS1_30default_config_static_selectorELNS0_4arch9wavefront6targetE1EEEvT1_,@function
_ZN7rocprim17ROCPRIM_400000_NS6detail17trampoline_kernelINS0_14default_configENS1_25transform_config_selectorItLb1EEEZNS1_14transform_implILb1ES3_S5_PtS7_NS0_8identityItEEEE10hipError_tT2_T3_mT4_P12ihipStream_tbEUlT_E_NS1_11comp_targetILNS1_3genE8ELNS1_11target_archE1030ELNS1_3gpuE2ELNS1_3repE0EEENS1_30default_config_static_selectorELNS0_4arch9wavefront6targetE1EEEvT1_: ; @_ZN7rocprim17ROCPRIM_400000_NS6detail17trampoline_kernelINS0_14default_configENS1_25transform_config_selectorItLb1EEEZNS1_14transform_implILb1ES3_S5_PtS7_NS0_8identityItEEEE10hipError_tT2_T3_mT4_P12ihipStream_tbEUlT_E_NS1_11comp_targetILNS1_3genE8ELNS1_11target_archE1030ELNS1_3gpuE2ELNS1_3repE0EEENS1_30default_config_static_selectorELNS0_4arch9wavefront6targetE1EEEvT1_
; %bb.0:
	.section	.rodata,"a",@progbits
	.p2align	6, 0x0
	.amdhsa_kernel _ZN7rocprim17ROCPRIM_400000_NS6detail17trampoline_kernelINS0_14default_configENS1_25transform_config_selectorItLb1EEEZNS1_14transform_implILb1ES3_S5_PtS7_NS0_8identityItEEEE10hipError_tT2_T3_mT4_P12ihipStream_tbEUlT_E_NS1_11comp_targetILNS1_3genE8ELNS1_11target_archE1030ELNS1_3gpuE2ELNS1_3repE0EEENS1_30default_config_static_selectorELNS0_4arch9wavefront6targetE1EEEvT1_
		.amdhsa_group_segment_fixed_size 0
		.amdhsa_private_segment_fixed_size 0
		.amdhsa_kernarg_size 40
		.amdhsa_user_sgpr_count 6
		.amdhsa_user_sgpr_private_segment_buffer 1
		.amdhsa_user_sgpr_dispatch_ptr 0
		.amdhsa_user_sgpr_queue_ptr 0
		.amdhsa_user_sgpr_kernarg_segment_ptr 1
		.amdhsa_user_sgpr_dispatch_id 0
		.amdhsa_user_sgpr_flat_scratch_init 0
		.amdhsa_user_sgpr_kernarg_preload_length 0
		.amdhsa_user_sgpr_kernarg_preload_offset 0
		.amdhsa_user_sgpr_private_segment_size 0
		.amdhsa_uses_dynamic_stack 0
		.amdhsa_system_sgpr_private_segment_wavefront_offset 0
		.amdhsa_system_sgpr_workgroup_id_x 1
		.amdhsa_system_sgpr_workgroup_id_y 0
		.amdhsa_system_sgpr_workgroup_id_z 0
		.amdhsa_system_sgpr_workgroup_info 0
		.amdhsa_system_vgpr_workitem_id 0
		.amdhsa_next_free_vgpr 1
		.amdhsa_next_free_sgpr 0
		.amdhsa_accum_offset 4
		.amdhsa_reserve_vcc 0
		.amdhsa_reserve_flat_scratch 0
		.amdhsa_float_round_mode_32 0
		.amdhsa_float_round_mode_16_64 0
		.amdhsa_float_denorm_mode_32 3
		.amdhsa_float_denorm_mode_16_64 3
		.amdhsa_dx10_clamp 1
		.amdhsa_ieee_mode 1
		.amdhsa_fp16_overflow 0
		.amdhsa_tg_split 0
		.amdhsa_exception_fp_ieee_invalid_op 0
		.amdhsa_exception_fp_denorm_src 0
		.amdhsa_exception_fp_ieee_div_zero 0
		.amdhsa_exception_fp_ieee_overflow 0
		.amdhsa_exception_fp_ieee_underflow 0
		.amdhsa_exception_fp_ieee_inexact 0
		.amdhsa_exception_int_div_zero 0
	.end_amdhsa_kernel
	.section	.text._ZN7rocprim17ROCPRIM_400000_NS6detail17trampoline_kernelINS0_14default_configENS1_25transform_config_selectorItLb1EEEZNS1_14transform_implILb1ES3_S5_PtS7_NS0_8identityItEEEE10hipError_tT2_T3_mT4_P12ihipStream_tbEUlT_E_NS1_11comp_targetILNS1_3genE8ELNS1_11target_archE1030ELNS1_3gpuE2ELNS1_3repE0EEENS1_30default_config_static_selectorELNS0_4arch9wavefront6targetE1EEEvT1_,"axG",@progbits,_ZN7rocprim17ROCPRIM_400000_NS6detail17trampoline_kernelINS0_14default_configENS1_25transform_config_selectorItLb1EEEZNS1_14transform_implILb1ES3_S5_PtS7_NS0_8identityItEEEE10hipError_tT2_T3_mT4_P12ihipStream_tbEUlT_E_NS1_11comp_targetILNS1_3genE8ELNS1_11target_archE1030ELNS1_3gpuE2ELNS1_3repE0EEENS1_30default_config_static_selectorELNS0_4arch9wavefront6targetE1EEEvT1_,comdat
.Lfunc_end497:
	.size	_ZN7rocprim17ROCPRIM_400000_NS6detail17trampoline_kernelINS0_14default_configENS1_25transform_config_selectorItLb1EEEZNS1_14transform_implILb1ES3_S5_PtS7_NS0_8identityItEEEE10hipError_tT2_T3_mT4_P12ihipStream_tbEUlT_E_NS1_11comp_targetILNS1_3genE8ELNS1_11target_archE1030ELNS1_3gpuE2ELNS1_3repE0EEENS1_30default_config_static_selectorELNS0_4arch9wavefront6targetE1EEEvT1_, .Lfunc_end497-_ZN7rocprim17ROCPRIM_400000_NS6detail17trampoline_kernelINS0_14default_configENS1_25transform_config_selectorItLb1EEEZNS1_14transform_implILb1ES3_S5_PtS7_NS0_8identityItEEEE10hipError_tT2_T3_mT4_P12ihipStream_tbEUlT_E_NS1_11comp_targetILNS1_3genE8ELNS1_11target_archE1030ELNS1_3gpuE2ELNS1_3repE0EEENS1_30default_config_static_selectorELNS0_4arch9wavefront6targetE1EEEvT1_
                                        ; -- End function
	.section	.AMDGPU.csdata,"",@progbits
; Kernel info:
; codeLenInByte = 0
; NumSgprs: 4
; NumVgprs: 0
; NumAgprs: 0
; TotalNumVgprs: 0
; ScratchSize: 0
; MemoryBound: 0
; FloatMode: 240
; IeeeMode: 1
; LDSByteSize: 0 bytes/workgroup (compile time only)
; SGPRBlocks: 0
; VGPRBlocks: 0
; NumSGPRsForWavesPerEU: 4
; NumVGPRsForWavesPerEU: 1
; AccumOffset: 4
; Occupancy: 8
; WaveLimiterHint : 0
; COMPUTE_PGM_RSRC2:SCRATCH_EN: 0
; COMPUTE_PGM_RSRC2:USER_SGPR: 6
; COMPUTE_PGM_RSRC2:TRAP_HANDLER: 0
; COMPUTE_PGM_RSRC2:TGID_X_EN: 1
; COMPUTE_PGM_RSRC2:TGID_Y_EN: 0
; COMPUTE_PGM_RSRC2:TGID_Z_EN: 0
; COMPUTE_PGM_RSRC2:TIDIG_COMP_CNT: 0
; COMPUTE_PGM_RSRC3_GFX90A:ACCUM_OFFSET: 0
; COMPUTE_PGM_RSRC3_GFX90A:TG_SPLIT: 0
	.section	.text._ZN7rocprim17ROCPRIM_400000_NS6detail17trampoline_kernelINS0_14default_configENS1_38merge_sort_block_merge_config_selectorItNS0_10empty_typeEEEZZNS1_27merge_sort_block_merge_implIS3_PtPS5_jNS1_19radix_merge_compareILb0ELb1EtNS0_19identity_decomposerEEEEE10hipError_tT0_T1_T2_jT3_P12ihipStream_tbPNSt15iterator_traitsISE_E10value_typeEPNSK_ISF_E10value_typeEPSG_NS1_7vsmem_tEENKUlT_SE_SF_SG_E_clIS8_S8_S9_S9_EESD_ST_SE_SF_SG_EUlST_E_NS1_11comp_targetILNS1_3genE0ELNS1_11target_archE4294967295ELNS1_3gpuE0ELNS1_3repE0EEENS1_48merge_mergepath_partition_config_static_selectorELNS0_4arch9wavefront6targetE1EEEvSF_,"axG",@progbits,_ZN7rocprim17ROCPRIM_400000_NS6detail17trampoline_kernelINS0_14default_configENS1_38merge_sort_block_merge_config_selectorItNS0_10empty_typeEEEZZNS1_27merge_sort_block_merge_implIS3_PtPS5_jNS1_19radix_merge_compareILb0ELb1EtNS0_19identity_decomposerEEEEE10hipError_tT0_T1_T2_jT3_P12ihipStream_tbPNSt15iterator_traitsISE_E10value_typeEPNSK_ISF_E10value_typeEPSG_NS1_7vsmem_tEENKUlT_SE_SF_SG_E_clIS8_S8_S9_S9_EESD_ST_SE_SF_SG_EUlST_E_NS1_11comp_targetILNS1_3genE0ELNS1_11target_archE4294967295ELNS1_3gpuE0ELNS1_3repE0EEENS1_48merge_mergepath_partition_config_static_selectorELNS0_4arch9wavefront6targetE1EEEvSF_,comdat
	.protected	_ZN7rocprim17ROCPRIM_400000_NS6detail17trampoline_kernelINS0_14default_configENS1_38merge_sort_block_merge_config_selectorItNS0_10empty_typeEEEZZNS1_27merge_sort_block_merge_implIS3_PtPS5_jNS1_19radix_merge_compareILb0ELb1EtNS0_19identity_decomposerEEEEE10hipError_tT0_T1_T2_jT3_P12ihipStream_tbPNSt15iterator_traitsISE_E10value_typeEPNSK_ISF_E10value_typeEPSG_NS1_7vsmem_tEENKUlT_SE_SF_SG_E_clIS8_S8_S9_S9_EESD_ST_SE_SF_SG_EUlST_E_NS1_11comp_targetILNS1_3genE0ELNS1_11target_archE4294967295ELNS1_3gpuE0ELNS1_3repE0EEENS1_48merge_mergepath_partition_config_static_selectorELNS0_4arch9wavefront6targetE1EEEvSF_ ; -- Begin function _ZN7rocprim17ROCPRIM_400000_NS6detail17trampoline_kernelINS0_14default_configENS1_38merge_sort_block_merge_config_selectorItNS0_10empty_typeEEEZZNS1_27merge_sort_block_merge_implIS3_PtPS5_jNS1_19radix_merge_compareILb0ELb1EtNS0_19identity_decomposerEEEEE10hipError_tT0_T1_T2_jT3_P12ihipStream_tbPNSt15iterator_traitsISE_E10value_typeEPNSK_ISF_E10value_typeEPSG_NS1_7vsmem_tEENKUlT_SE_SF_SG_E_clIS8_S8_S9_S9_EESD_ST_SE_SF_SG_EUlST_E_NS1_11comp_targetILNS1_3genE0ELNS1_11target_archE4294967295ELNS1_3gpuE0ELNS1_3repE0EEENS1_48merge_mergepath_partition_config_static_selectorELNS0_4arch9wavefront6targetE1EEEvSF_
	.globl	_ZN7rocprim17ROCPRIM_400000_NS6detail17trampoline_kernelINS0_14default_configENS1_38merge_sort_block_merge_config_selectorItNS0_10empty_typeEEEZZNS1_27merge_sort_block_merge_implIS3_PtPS5_jNS1_19radix_merge_compareILb0ELb1EtNS0_19identity_decomposerEEEEE10hipError_tT0_T1_T2_jT3_P12ihipStream_tbPNSt15iterator_traitsISE_E10value_typeEPNSK_ISF_E10value_typeEPSG_NS1_7vsmem_tEENKUlT_SE_SF_SG_E_clIS8_S8_S9_S9_EESD_ST_SE_SF_SG_EUlST_E_NS1_11comp_targetILNS1_3genE0ELNS1_11target_archE4294967295ELNS1_3gpuE0ELNS1_3repE0EEENS1_48merge_mergepath_partition_config_static_selectorELNS0_4arch9wavefront6targetE1EEEvSF_
	.p2align	8
	.type	_ZN7rocprim17ROCPRIM_400000_NS6detail17trampoline_kernelINS0_14default_configENS1_38merge_sort_block_merge_config_selectorItNS0_10empty_typeEEEZZNS1_27merge_sort_block_merge_implIS3_PtPS5_jNS1_19radix_merge_compareILb0ELb1EtNS0_19identity_decomposerEEEEE10hipError_tT0_T1_T2_jT3_P12ihipStream_tbPNSt15iterator_traitsISE_E10value_typeEPNSK_ISF_E10value_typeEPSG_NS1_7vsmem_tEENKUlT_SE_SF_SG_E_clIS8_S8_S9_S9_EESD_ST_SE_SF_SG_EUlST_E_NS1_11comp_targetILNS1_3genE0ELNS1_11target_archE4294967295ELNS1_3gpuE0ELNS1_3repE0EEENS1_48merge_mergepath_partition_config_static_selectorELNS0_4arch9wavefront6targetE1EEEvSF_,@function
_ZN7rocprim17ROCPRIM_400000_NS6detail17trampoline_kernelINS0_14default_configENS1_38merge_sort_block_merge_config_selectorItNS0_10empty_typeEEEZZNS1_27merge_sort_block_merge_implIS3_PtPS5_jNS1_19radix_merge_compareILb0ELb1EtNS0_19identity_decomposerEEEEE10hipError_tT0_T1_T2_jT3_P12ihipStream_tbPNSt15iterator_traitsISE_E10value_typeEPNSK_ISF_E10value_typeEPSG_NS1_7vsmem_tEENKUlT_SE_SF_SG_E_clIS8_S8_S9_S9_EESD_ST_SE_SF_SG_EUlST_E_NS1_11comp_targetILNS1_3genE0ELNS1_11target_archE4294967295ELNS1_3gpuE0ELNS1_3repE0EEENS1_48merge_mergepath_partition_config_static_selectorELNS0_4arch9wavefront6targetE1EEEvSF_: ; @_ZN7rocprim17ROCPRIM_400000_NS6detail17trampoline_kernelINS0_14default_configENS1_38merge_sort_block_merge_config_selectorItNS0_10empty_typeEEEZZNS1_27merge_sort_block_merge_implIS3_PtPS5_jNS1_19radix_merge_compareILb0ELb1EtNS0_19identity_decomposerEEEEE10hipError_tT0_T1_T2_jT3_P12ihipStream_tbPNSt15iterator_traitsISE_E10value_typeEPNSK_ISF_E10value_typeEPSG_NS1_7vsmem_tEENKUlT_SE_SF_SG_E_clIS8_S8_S9_S9_EESD_ST_SE_SF_SG_EUlST_E_NS1_11comp_targetILNS1_3genE0ELNS1_11target_archE4294967295ELNS1_3gpuE0ELNS1_3repE0EEENS1_48merge_mergepath_partition_config_static_selectorELNS0_4arch9wavefront6targetE1EEEvSF_
; %bb.0:
	.section	.rodata,"a",@progbits
	.p2align	6, 0x0
	.amdhsa_kernel _ZN7rocprim17ROCPRIM_400000_NS6detail17trampoline_kernelINS0_14default_configENS1_38merge_sort_block_merge_config_selectorItNS0_10empty_typeEEEZZNS1_27merge_sort_block_merge_implIS3_PtPS5_jNS1_19radix_merge_compareILb0ELb1EtNS0_19identity_decomposerEEEEE10hipError_tT0_T1_T2_jT3_P12ihipStream_tbPNSt15iterator_traitsISE_E10value_typeEPNSK_ISF_E10value_typeEPSG_NS1_7vsmem_tEENKUlT_SE_SF_SG_E_clIS8_S8_S9_S9_EESD_ST_SE_SF_SG_EUlST_E_NS1_11comp_targetILNS1_3genE0ELNS1_11target_archE4294967295ELNS1_3gpuE0ELNS1_3repE0EEENS1_48merge_mergepath_partition_config_static_selectorELNS0_4arch9wavefront6targetE1EEEvSF_
		.amdhsa_group_segment_fixed_size 0
		.amdhsa_private_segment_fixed_size 0
		.amdhsa_kernarg_size 40
		.amdhsa_user_sgpr_count 6
		.amdhsa_user_sgpr_private_segment_buffer 1
		.amdhsa_user_sgpr_dispatch_ptr 0
		.amdhsa_user_sgpr_queue_ptr 0
		.amdhsa_user_sgpr_kernarg_segment_ptr 1
		.amdhsa_user_sgpr_dispatch_id 0
		.amdhsa_user_sgpr_flat_scratch_init 0
		.amdhsa_user_sgpr_kernarg_preload_length 0
		.amdhsa_user_sgpr_kernarg_preload_offset 0
		.amdhsa_user_sgpr_private_segment_size 0
		.amdhsa_uses_dynamic_stack 0
		.amdhsa_system_sgpr_private_segment_wavefront_offset 0
		.amdhsa_system_sgpr_workgroup_id_x 1
		.amdhsa_system_sgpr_workgroup_id_y 0
		.amdhsa_system_sgpr_workgroup_id_z 0
		.amdhsa_system_sgpr_workgroup_info 0
		.amdhsa_system_vgpr_workitem_id 0
		.amdhsa_next_free_vgpr 1
		.amdhsa_next_free_sgpr 0
		.amdhsa_accum_offset 4
		.amdhsa_reserve_vcc 0
		.amdhsa_reserve_flat_scratch 0
		.amdhsa_float_round_mode_32 0
		.amdhsa_float_round_mode_16_64 0
		.amdhsa_float_denorm_mode_32 3
		.amdhsa_float_denorm_mode_16_64 3
		.amdhsa_dx10_clamp 1
		.amdhsa_ieee_mode 1
		.amdhsa_fp16_overflow 0
		.amdhsa_tg_split 0
		.amdhsa_exception_fp_ieee_invalid_op 0
		.amdhsa_exception_fp_denorm_src 0
		.amdhsa_exception_fp_ieee_div_zero 0
		.amdhsa_exception_fp_ieee_overflow 0
		.amdhsa_exception_fp_ieee_underflow 0
		.amdhsa_exception_fp_ieee_inexact 0
		.amdhsa_exception_int_div_zero 0
	.end_amdhsa_kernel
	.section	.text._ZN7rocprim17ROCPRIM_400000_NS6detail17trampoline_kernelINS0_14default_configENS1_38merge_sort_block_merge_config_selectorItNS0_10empty_typeEEEZZNS1_27merge_sort_block_merge_implIS3_PtPS5_jNS1_19radix_merge_compareILb0ELb1EtNS0_19identity_decomposerEEEEE10hipError_tT0_T1_T2_jT3_P12ihipStream_tbPNSt15iterator_traitsISE_E10value_typeEPNSK_ISF_E10value_typeEPSG_NS1_7vsmem_tEENKUlT_SE_SF_SG_E_clIS8_S8_S9_S9_EESD_ST_SE_SF_SG_EUlST_E_NS1_11comp_targetILNS1_3genE0ELNS1_11target_archE4294967295ELNS1_3gpuE0ELNS1_3repE0EEENS1_48merge_mergepath_partition_config_static_selectorELNS0_4arch9wavefront6targetE1EEEvSF_,"axG",@progbits,_ZN7rocprim17ROCPRIM_400000_NS6detail17trampoline_kernelINS0_14default_configENS1_38merge_sort_block_merge_config_selectorItNS0_10empty_typeEEEZZNS1_27merge_sort_block_merge_implIS3_PtPS5_jNS1_19radix_merge_compareILb0ELb1EtNS0_19identity_decomposerEEEEE10hipError_tT0_T1_T2_jT3_P12ihipStream_tbPNSt15iterator_traitsISE_E10value_typeEPNSK_ISF_E10value_typeEPSG_NS1_7vsmem_tEENKUlT_SE_SF_SG_E_clIS8_S8_S9_S9_EESD_ST_SE_SF_SG_EUlST_E_NS1_11comp_targetILNS1_3genE0ELNS1_11target_archE4294967295ELNS1_3gpuE0ELNS1_3repE0EEENS1_48merge_mergepath_partition_config_static_selectorELNS0_4arch9wavefront6targetE1EEEvSF_,comdat
.Lfunc_end498:
	.size	_ZN7rocprim17ROCPRIM_400000_NS6detail17trampoline_kernelINS0_14default_configENS1_38merge_sort_block_merge_config_selectorItNS0_10empty_typeEEEZZNS1_27merge_sort_block_merge_implIS3_PtPS5_jNS1_19radix_merge_compareILb0ELb1EtNS0_19identity_decomposerEEEEE10hipError_tT0_T1_T2_jT3_P12ihipStream_tbPNSt15iterator_traitsISE_E10value_typeEPNSK_ISF_E10value_typeEPSG_NS1_7vsmem_tEENKUlT_SE_SF_SG_E_clIS8_S8_S9_S9_EESD_ST_SE_SF_SG_EUlST_E_NS1_11comp_targetILNS1_3genE0ELNS1_11target_archE4294967295ELNS1_3gpuE0ELNS1_3repE0EEENS1_48merge_mergepath_partition_config_static_selectorELNS0_4arch9wavefront6targetE1EEEvSF_, .Lfunc_end498-_ZN7rocprim17ROCPRIM_400000_NS6detail17trampoline_kernelINS0_14default_configENS1_38merge_sort_block_merge_config_selectorItNS0_10empty_typeEEEZZNS1_27merge_sort_block_merge_implIS3_PtPS5_jNS1_19radix_merge_compareILb0ELb1EtNS0_19identity_decomposerEEEEE10hipError_tT0_T1_T2_jT3_P12ihipStream_tbPNSt15iterator_traitsISE_E10value_typeEPNSK_ISF_E10value_typeEPSG_NS1_7vsmem_tEENKUlT_SE_SF_SG_E_clIS8_S8_S9_S9_EESD_ST_SE_SF_SG_EUlST_E_NS1_11comp_targetILNS1_3genE0ELNS1_11target_archE4294967295ELNS1_3gpuE0ELNS1_3repE0EEENS1_48merge_mergepath_partition_config_static_selectorELNS0_4arch9wavefront6targetE1EEEvSF_
                                        ; -- End function
	.section	.AMDGPU.csdata,"",@progbits
; Kernel info:
; codeLenInByte = 0
; NumSgprs: 4
; NumVgprs: 0
; NumAgprs: 0
; TotalNumVgprs: 0
; ScratchSize: 0
; MemoryBound: 0
; FloatMode: 240
; IeeeMode: 1
; LDSByteSize: 0 bytes/workgroup (compile time only)
; SGPRBlocks: 0
; VGPRBlocks: 0
; NumSGPRsForWavesPerEU: 4
; NumVGPRsForWavesPerEU: 1
; AccumOffset: 4
; Occupancy: 8
; WaveLimiterHint : 0
; COMPUTE_PGM_RSRC2:SCRATCH_EN: 0
; COMPUTE_PGM_RSRC2:USER_SGPR: 6
; COMPUTE_PGM_RSRC2:TRAP_HANDLER: 0
; COMPUTE_PGM_RSRC2:TGID_X_EN: 1
; COMPUTE_PGM_RSRC2:TGID_Y_EN: 0
; COMPUTE_PGM_RSRC2:TGID_Z_EN: 0
; COMPUTE_PGM_RSRC2:TIDIG_COMP_CNT: 0
; COMPUTE_PGM_RSRC3_GFX90A:ACCUM_OFFSET: 0
; COMPUTE_PGM_RSRC3_GFX90A:TG_SPLIT: 0
	.section	.text._ZN7rocprim17ROCPRIM_400000_NS6detail17trampoline_kernelINS0_14default_configENS1_38merge_sort_block_merge_config_selectorItNS0_10empty_typeEEEZZNS1_27merge_sort_block_merge_implIS3_PtPS5_jNS1_19radix_merge_compareILb0ELb1EtNS0_19identity_decomposerEEEEE10hipError_tT0_T1_T2_jT3_P12ihipStream_tbPNSt15iterator_traitsISE_E10value_typeEPNSK_ISF_E10value_typeEPSG_NS1_7vsmem_tEENKUlT_SE_SF_SG_E_clIS8_S8_S9_S9_EESD_ST_SE_SF_SG_EUlST_E_NS1_11comp_targetILNS1_3genE10ELNS1_11target_archE1201ELNS1_3gpuE5ELNS1_3repE0EEENS1_48merge_mergepath_partition_config_static_selectorELNS0_4arch9wavefront6targetE1EEEvSF_,"axG",@progbits,_ZN7rocprim17ROCPRIM_400000_NS6detail17trampoline_kernelINS0_14default_configENS1_38merge_sort_block_merge_config_selectorItNS0_10empty_typeEEEZZNS1_27merge_sort_block_merge_implIS3_PtPS5_jNS1_19radix_merge_compareILb0ELb1EtNS0_19identity_decomposerEEEEE10hipError_tT0_T1_T2_jT3_P12ihipStream_tbPNSt15iterator_traitsISE_E10value_typeEPNSK_ISF_E10value_typeEPSG_NS1_7vsmem_tEENKUlT_SE_SF_SG_E_clIS8_S8_S9_S9_EESD_ST_SE_SF_SG_EUlST_E_NS1_11comp_targetILNS1_3genE10ELNS1_11target_archE1201ELNS1_3gpuE5ELNS1_3repE0EEENS1_48merge_mergepath_partition_config_static_selectorELNS0_4arch9wavefront6targetE1EEEvSF_,comdat
	.protected	_ZN7rocprim17ROCPRIM_400000_NS6detail17trampoline_kernelINS0_14default_configENS1_38merge_sort_block_merge_config_selectorItNS0_10empty_typeEEEZZNS1_27merge_sort_block_merge_implIS3_PtPS5_jNS1_19radix_merge_compareILb0ELb1EtNS0_19identity_decomposerEEEEE10hipError_tT0_T1_T2_jT3_P12ihipStream_tbPNSt15iterator_traitsISE_E10value_typeEPNSK_ISF_E10value_typeEPSG_NS1_7vsmem_tEENKUlT_SE_SF_SG_E_clIS8_S8_S9_S9_EESD_ST_SE_SF_SG_EUlST_E_NS1_11comp_targetILNS1_3genE10ELNS1_11target_archE1201ELNS1_3gpuE5ELNS1_3repE0EEENS1_48merge_mergepath_partition_config_static_selectorELNS0_4arch9wavefront6targetE1EEEvSF_ ; -- Begin function _ZN7rocprim17ROCPRIM_400000_NS6detail17trampoline_kernelINS0_14default_configENS1_38merge_sort_block_merge_config_selectorItNS0_10empty_typeEEEZZNS1_27merge_sort_block_merge_implIS3_PtPS5_jNS1_19radix_merge_compareILb0ELb1EtNS0_19identity_decomposerEEEEE10hipError_tT0_T1_T2_jT3_P12ihipStream_tbPNSt15iterator_traitsISE_E10value_typeEPNSK_ISF_E10value_typeEPSG_NS1_7vsmem_tEENKUlT_SE_SF_SG_E_clIS8_S8_S9_S9_EESD_ST_SE_SF_SG_EUlST_E_NS1_11comp_targetILNS1_3genE10ELNS1_11target_archE1201ELNS1_3gpuE5ELNS1_3repE0EEENS1_48merge_mergepath_partition_config_static_selectorELNS0_4arch9wavefront6targetE1EEEvSF_
	.globl	_ZN7rocprim17ROCPRIM_400000_NS6detail17trampoline_kernelINS0_14default_configENS1_38merge_sort_block_merge_config_selectorItNS0_10empty_typeEEEZZNS1_27merge_sort_block_merge_implIS3_PtPS5_jNS1_19radix_merge_compareILb0ELb1EtNS0_19identity_decomposerEEEEE10hipError_tT0_T1_T2_jT3_P12ihipStream_tbPNSt15iterator_traitsISE_E10value_typeEPNSK_ISF_E10value_typeEPSG_NS1_7vsmem_tEENKUlT_SE_SF_SG_E_clIS8_S8_S9_S9_EESD_ST_SE_SF_SG_EUlST_E_NS1_11comp_targetILNS1_3genE10ELNS1_11target_archE1201ELNS1_3gpuE5ELNS1_3repE0EEENS1_48merge_mergepath_partition_config_static_selectorELNS0_4arch9wavefront6targetE1EEEvSF_
	.p2align	8
	.type	_ZN7rocprim17ROCPRIM_400000_NS6detail17trampoline_kernelINS0_14default_configENS1_38merge_sort_block_merge_config_selectorItNS0_10empty_typeEEEZZNS1_27merge_sort_block_merge_implIS3_PtPS5_jNS1_19radix_merge_compareILb0ELb1EtNS0_19identity_decomposerEEEEE10hipError_tT0_T1_T2_jT3_P12ihipStream_tbPNSt15iterator_traitsISE_E10value_typeEPNSK_ISF_E10value_typeEPSG_NS1_7vsmem_tEENKUlT_SE_SF_SG_E_clIS8_S8_S9_S9_EESD_ST_SE_SF_SG_EUlST_E_NS1_11comp_targetILNS1_3genE10ELNS1_11target_archE1201ELNS1_3gpuE5ELNS1_3repE0EEENS1_48merge_mergepath_partition_config_static_selectorELNS0_4arch9wavefront6targetE1EEEvSF_,@function
_ZN7rocprim17ROCPRIM_400000_NS6detail17trampoline_kernelINS0_14default_configENS1_38merge_sort_block_merge_config_selectorItNS0_10empty_typeEEEZZNS1_27merge_sort_block_merge_implIS3_PtPS5_jNS1_19radix_merge_compareILb0ELb1EtNS0_19identity_decomposerEEEEE10hipError_tT0_T1_T2_jT3_P12ihipStream_tbPNSt15iterator_traitsISE_E10value_typeEPNSK_ISF_E10value_typeEPSG_NS1_7vsmem_tEENKUlT_SE_SF_SG_E_clIS8_S8_S9_S9_EESD_ST_SE_SF_SG_EUlST_E_NS1_11comp_targetILNS1_3genE10ELNS1_11target_archE1201ELNS1_3gpuE5ELNS1_3repE0EEENS1_48merge_mergepath_partition_config_static_selectorELNS0_4arch9wavefront6targetE1EEEvSF_: ; @_ZN7rocprim17ROCPRIM_400000_NS6detail17trampoline_kernelINS0_14default_configENS1_38merge_sort_block_merge_config_selectorItNS0_10empty_typeEEEZZNS1_27merge_sort_block_merge_implIS3_PtPS5_jNS1_19radix_merge_compareILb0ELb1EtNS0_19identity_decomposerEEEEE10hipError_tT0_T1_T2_jT3_P12ihipStream_tbPNSt15iterator_traitsISE_E10value_typeEPNSK_ISF_E10value_typeEPSG_NS1_7vsmem_tEENKUlT_SE_SF_SG_E_clIS8_S8_S9_S9_EESD_ST_SE_SF_SG_EUlST_E_NS1_11comp_targetILNS1_3genE10ELNS1_11target_archE1201ELNS1_3gpuE5ELNS1_3repE0EEENS1_48merge_mergepath_partition_config_static_selectorELNS0_4arch9wavefront6targetE1EEEvSF_
; %bb.0:
	.section	.rodata,"a",@progbits
	.p2align	6, 0x0
	.amdhsa_kernel _ZN7rocprim17ROCPRIM_400000_NS6detail17trampoline_kernelINS0_14default_configENS1_38merge_sort_block_merge_config_selectorItNS0_10empty_typeEEEZZNS1_27merge_sort_block_merge_implIS3_PtPS5_jNS1_19radix_merge_compareILb0ELb1EtNS0_19identity_decomposerEEEEE10hipError_tT0_T1_T2_jT3_P12ihipStream_tbPNSt15iterator_traitsISE_E10value_typeEPNSK_ISF_E10value_typeEPSG_NS1_7vsmem_tEENKUlT_SE_SF_SG_E_clIS8_S8_S9_S9_EESD_ST_SE_SF_SG_EUlST_E_NS1_11comp_targetILNS1_3genE10ELNS1_11target_archE1201ELNS1_3gpuE5ELNS1_3repE0EEENS1_48merge_mergepath_partition_config_static_selectorELNS0_4arch9wavefront6targetE1EEEvSF_
		.amdhsa_group_segment_fixed_size 0
		.amdhsa_private_segment_fixed_size 0
		.amdhsa_kernarg_size 40
		.amdhsa_user_sgpr_count 6
		.amdhsa_user_sgpr_private_segment_buffer 1
		.amdhsa_user_sgpr_dispatch_ptr 0
		.amdhsa_user_sgpr_queue_ptr 0
		.amdhsa_user_sgpr_kernarg_segment_ptr 1
		.amdhsa_user_sgpr_dispatch_id 0
		.amdhsa_user_sgpr_flat_scratch_init 0
		.amdhsa_user_sgpr_kernarg_preload_length 0
		.amdhsa_user_sgpr_kernarg_preload_offset 0
		.amdhsa_user_sgpr_private_segment_size 0
		.amdhsa_uses_dynamic_stack 0
		.amdhsa_system_sgpr_private_segment_wavefront_offset 0
		.amdhsa_system_sgpr_workgroup_id_x 1
		.amdhsa_system_sgpr_workgroup_id_y 0
		.amdhsa_system_sgpr_workgroup_id_z 0
		.amdhsa_system_sgpr_workgroup_info 0
		.amdhsa_system_vgpr_workitem_id 0
		.amdhsa_next_free_vgpr 1
		.amdhsa_next_free_sgpr 0
		.amdhsa_accum_offset 4
		.amdhsa_reserve_vcc 0
		.amdhsa_reserve_flat_scratch 0
		.amdhsa_float_round_mode_32 0
		.amdhsa_float_round_mode_16_64 0
		.amdhsa_float_denorm_mode_32 3
		.amdhsa_float_denorm_mode_16_64 3
		.amdhsa_dx10_clamp 1
		.amdhsa_ieee_mode 1
		.amdhsa_fp16_overflow 0
		.amdhsa_tg_split 0
		.amdhsa_exception_fp_ieee_invalid_op 0
		.amdhsa_exception_fp_denorm_src 0
		.amdhsa_exception_fp_ieee_div_zero 0
		.amdhsa_exception_fp_ieee_overflow 0
		.amdhsa_exception_fp_ieee_underflow 0
		.amdhsa_exception_fp_ieee_inexact 0
		.amdhsa_exception_int_div_zero 0
	.end_amdhsa_kernel
	.section	.text._ZN7rocprim17ROCPRIM_400000_NS6detail17trampoline_kernelINS0_14default_configENS1_38merge_sort_block_merge_config_selectorItNS0_10empty_typeEEEZZNS1_27merge_sort_block_merge_implIS3_PtPS5_jNS1_19radix_merge_compareILb0ELb1EtNS0_19identity_decomposerEEEEE10hipError_tT0_T1_T2_jT3_P12ihipStream_tbPNSt15iterator_traitsISE_E10value_typeEPNSK_ISF_E10value_typeEPSG_NS1_7vsmem_tEENKUlT_SE_SF_SG_E_clIS8_S8_S9_S9_EESD_ST_SE_SF_SG_EUlST_E_NS1_11comp_targetILNS1_3genE10ELNS1_11target_archE1201ELNS1_3gpuE5ELNS1_3repE0EEENS1_48merge_mergepath_partition_config_static_selectorELNS0_4arch9wavefront6targetE1EEEvSF_,"axG",@progbits,_ZN7rocprim17ROCPRIM_400000_NS6detail17trampoline_kernelINS0_14default_configENS1_38merge_sort_block_merge_config_selectorItNS0_10empty_typeEEEZZNS1_27merge_sort_block_merge_implIS3_PtPS5_jNS1_19radix_merge_compareILb0ELb1EtNS0_19identity_decomposerEEEEE10hipError_tT0_T1_T2_jT3_P12ihipStream_tbPNSt15iterator_traitsISE_E10value_typeEPNSK_ISF_E10value_typeEPSG_NS1_7vsmem_tEENKUlT_SE_SF_SG_E_clIS8_S8_S9_S9_EESD_ST_SE_SF_SG_EUlST_E_NS1_11comp_targetILNS1_3genE10ELNS1_11target_archE1201ELNS1_3gpuE5ELNS1_3repE0EEENS1_48merge_mergepath_partition_config_static_selectorELNS0_4arch9wavefront6targetE1EEEvSF_,comdat
.Lfunc_end499:
	.size	_ZN7rocprim17ROCPRIM_400000_NS6detail17trampoline_kernelINS0_14default_configENS1_38merge_sort_block_merge_config_selectorItNS0_10empty_typeEEEZZNS1_27merge_sort_block_merge_implIS3_PtPS5_jNS1_19radix_merge_compareILb0ELb1EtNS0_19identity_decomposerEEEEE10hipError_tT0_T1_T2_jT3_P12ihipStream_tbPNSt15iterator_traitsISE_E10value_typeEPNSK_ISF_E10value_typeEPSG_NS1_7vsmem_tEENKUlT_SE_SF_SG_E_clIS8_S8_S9_S9_EESD_ST_SE_SF_SG_EUlST_E_NS1_11comp_targetILNS1_3genE10ELNS1_11target_archE1201ELNS1_3gpuE5ELNS1_3repE0EEENS1_48merge_mergepath_partition_config_static_selectorELNS0_4arch9wavefront6targetE1EEEvSF_, .Lfunc_end499-_ZN7rocprim17ROCPRIM_400000_NS6detail17trampoline_kernelINS0_14default_configENS1_38merge_sort_block_merge_config_selectorItNS0_10empty_typeEEEZZNS1_27merge_sort_block_merge_implIS3_PtPS5_jNS1_19radix_merge_compareILb0ELb1EtNS0_19identity_decomposerEEEEE10hipError_tT0_T1_T2_jT3_P12ihipStream_tbPNSt15iterator_traitsISE_E10value_typeEPNSK_ISF_E10value_typeEPSG_NS1_7vsmem_tEENKUlT_SE_SF_SG_E_clIS8_S8_S9_S9_EESD_ST_SE_SF_SG_EUlST_E_NS1_11comp_targetILNS1_3genE10ELNS1_11target_archE1201ELNS1_3gpuE5ELNS1_3repE0EEENS1_48merge_mergepath_partition_config_static_selectorELNS0_4arch9wavefront6targetE1EEEvSF_
                                        ; -- End function
	.section	.AMDGPU.csdata,"",@progbits
; Kernel info:
; codeLenInByte = 0
; NumSgprs: 4
; NumVgprs: 0
; NumAgprs: 0
; TotalNumVgprs: 0
; ScratchSize: 0
; MemoryBound: 0
; FloatMode: 240
; IeeeMode: 1
; LDSByteSize: 0 bytes/workgroup (compile time only)
; SGPRBlocks: 0
; VGPRBlocks: 0
; NumSGPRsForWavesPerEU: 4
; NumVGPRsForWavesPerEU: 1
; AccumOffset: 4
; Occupancy: 8
; WaveLimiterHint : 0
; COMPUTE_PGM_RSRC2:SCRATCH_EN: 0
; COMPUTE_PGM_RSRC2:USER_SGPR: 6
; COMPUTE_PGM_RSRC2:TRAP_HANDLER: 0
; COMPUTE_PGM_RSRC2:TGID_X_EN: 1
; COMPUTE_PGM_RSRC2:TGID_Y_EN: 0
; COMPUTE_PGM_RSRC2:TGID_Z_EN: 0
; COMPUTE_PGM_RSRC2:TIDIG_COMP_CNT: 0
; COMPUTE_PGM_RSRC3_GFX90A:ACCUM_OFFSET: 0
; COMPUTE_PGM_RSRC3_GFX90A:TG_SPLIT: 0
	.section	.text._ZN7rocprim17ROCPRIM_400000_NS6detail17trampoline_kernelINS0_14default_configENS1_38merge_sort_block_merge_config_selectorItNS0_10empty_typeEEEZZNS1_27merge_sort_block_merge_implIS3_PtPS5_jNS1_19radix_merge_compareILb0ELb1EtNS0_19identity_decomposerEEEEE10hipError_tT0_T1_T2_jT3_P12ihipStream_tbPNSt15iterator_traitsISE_E10value_typeEPNSK_ISF_E10value_typeEPSG_NS1_7vsmem_tEENKUlT_SE_SF_SG_E_clIS8_S8_S9_S9_EESD_ST_SE_SF_SG_EUlST_E_NS1_11comp_targetILNS1_3genE5ELNS1_11target_archE942ELNS1_3gpuE9ELNS1_3repE0EEENS1_48merge_mergepath_partition_config_static_selectorELNS0_4arch9wavefront6targetE1EEEvSF_,"axG",@progbits,_ZN7rocprim17ROCPRIM_400000_NS6detail17trampoline_kernelINS0_14default_configENS1_38merge_sort_block_merge_config_selectorItNS0_10empty_typeEEEZZNS1_27merge_sort_block_merge_implIS3_PtPS5_jNS1_19radix_merge_compareILb0ELb1EtNS0_19identity_decomposerEEEEE10hipError_tT0_T1_T2_jT3_P12ihipStream_tbPNSt15iterator_traitsISE_E10value_typeEPNSK_ISF_E10value_typeEPSG_NS1_7vsmem_tEENKUlT_SE_SF_SG_E_clIS8_S8_S9_S9_EESD_ST_SE_SF_SG_EUlST_E_NS1_11comp_targetILNS1_3genE5ELNS1_11target_archE942ELNS1_3gpuE9ELNS1_3repE0EEENS1_48merge_mergepath_partition_config_static_selectorELNS0_4arch9wavefront6targetE1EEEvSF_,comdat
	.protected	_ZN7rocprim17ROCPRIM_400000_NS6detail17trampoline_kernelINS0_14default_configENS1_38merge_sort_block_merge_config_selectorItNS0_10empty_typeEEEZZNS1_27merge_sort_block_merge_implIS3_PtPS5_jNS1_19radix_merge_compareILb0ELb1EtNS0_19identity_decomposerEEEEE10hipError_tT0_T1_T2_jT3_P12ihipStream_tbPNSt15iterator_traitsISE_E10value_typeEPNSK_ISF_E10value_typeEPSG_NS1_7vsmem_tEENKUlT_SE_SF_SG_E_clIS8_S8_S9_S9_EESD_ST_SE_SF_SG_EUlST_E_NS1_11comp_targetILNS1_3genE5ELNS1_11target_archE942ELNS1_3gpuE9ELNS1_3repE0EEENS1_48merge_mergepath_partition_config_static_selectorELNS0_4arch9wavefront6targetE1EEEvSF_ ; -- Begin function _ZN7rocprim17ROCPRIM_400000_NS6detail17trampoline_kernelINS0_14default_configENS1_38merge_sort_block_merge_config_selectorItNS0_10empty_typeEEEZZNS1_27merge_sort_block_merge_implIS3_PtPS5_jNS1_19radix_merge_compareILb0ELb1EtNS0_19identity_decomposerEEEEE10hipError_tT0_T1_T2_jT3_P12ihipStream_tbPNSt15iterator_traitsISE_E10value_typeEPNSK_ISF_E10value_typeEPSG_NS1_7vsmem_tEENKUlT_SE_SF_SG_E_clIS8_S8_S9_S9_EESD_ST_SE_SF_SG_EUlST_E_NS1_11comp_targetILNS1_3genE5ELNS1_11target_archE942ELNS1_3gpuE9ELNS1_3repE0EEENS1_48merge_mergepath_partition_config_static_selectorELNS0_4arch9wavefront6targetE1EEEvSF_
	.globl	_ZN7rocprim17ROCPRIM_400000_NS6detail17trampoline_kernelINS0_14default_configENS1_38merge_sort_block_merge_config_selectorItNS0_10empty_typeEEEZZNS1_27merge_sort_block_merge_implIS3_PtPS5_jNS1_19radix_merge_compareILb0ELb1EtNS0_19identity_decomposerEEEEE10hipError_tT0_T1_T2_jT3_P12ihipStream_tbPNSt15iterator_traitsISE_E10value_typeEPNSK_ISF_E10value_typeEPSG_NS1_7vsmem_tEENKUlT_SE_SF_SG_E_clIS8_S8_S9_S9_EESD_ST_SE_SF_SG_EUlST_E_NS1_11comp_targetILNS1_3genE5ELNS1_11target_archE942ELNS1_3gpuE9ELNS1_3repE0EEENS1_48merge_mergepath_partition_config_static_selectorELNS0_4arch9wavefront6targetE1EEEvSF_
	.p2align	8
	.type	_ZN7rocprim17ROCPRIM_400000_NS6detail17trampoline_kernelINS0_14default_configENS1_38merge_sort_block_merge_config_selectorItNS0_10empty_typeEEEZZNS1_27merge_sort_block_merge_implIS3_PtPS5_jNS1_19radix_merge_compareILb0ELb1EtNS0_19identity_decomposerEEEEE10hipError_tT0_T1_T2_jT3_P12ihipStream_tbPNSt15iterator_traitsISE_E10value_typeEPNSK_ISF_E10value_typeEPSG_NS1_7vsmem_tEENKUlT_SE_SF_SG_E_clIS8_S8_S9_S9_EESD_ST_SE_SF_SG_EUlST_E_NS1_11comp_targetILNS1_3genE5ELNS1_11target_archE942ELNS1_3gpuE9ELNS1_3repE0EEENS1_48merge_mergepath_partition_config_static_selectorELNS0_4arch9wavefront6targetE1EEEvSF_,@function
_ZN7rocprim17ROCPRIM_400000_NS6detail17trampoline_kernelINS0_14default_configENS1_38merge_sort_block_merge_config_selectorItNS0_10empty_typeEEEZZNS1_27merge_sort_block_merge_implIS3_PtPS5_jNS1_19radix_merge_compareILb0ELb1EtNS0_19identity_decomposerEEEEE10hipError_tT0_T1_T2_jT3_P12ihipStream_tbPNSt15iterator_traitsISE_E10value_typeEPNSK_ISF_E10value_typeEPSG_NS1_7vsmem_tEENKUlT_SE_SF_SG_E_clIS8_S8_S9_S9_EESD_ST_SE_SF_SG_EUlST_E_NS1_11comp_targetILNS1_3genE5ELNS1_11target_archE942ELNS1_3gpuE9ELNS1_3repE0EEENS1_48merge_mergepath_partition_config_static_selectorELNS0_4arch9wavefront6targetE1EEEvSF_: ; @_ZN7rocprim17ROCPRIM_400000_NS6detail17trampoline_kernelINS0_14default_configENS1_38merge_sort_block_merge_config_selectorItNS0_10empty_typeEEEZZNS1_27merge_sort_block_merge_implIS3_PtPS5_jNS1_19radix_merge_compareILb0ELb1EtNS0_19identity_decomposerEEEEE10hipError_tT0_T1_T2_jT3_P12ihipStream_tbPNSt15iterator_traitsISE_E10value_typeEPNSK_ISF_E10value_typeEPSG_NS1_7vsmem_tEENKUlT_SE_SF_SG_E_clIS8_S8_S9_S9_EESD_ST_SE_SF_SG_EUlST_E_NS1_11comp_targetILNS1_3genE5ELNS1_11target_archE942ELNS1_3gpuE9ELNS1_3repE0EEENS1_48merge_mergepath_partition_config_static_selectorELNS0_4arch9wavefront6targetE1EEEvSF_
; %bb.0:
	.section	.rodata,"a",@progbits
	.p2align	6, 0x0
	.amdhsa_kernel _ZN7rocprim17ROCPRIM_400000_NS6detail17trampoline_kernelINS0_14default_configENS1_38merge_sort_block_merge_config_selectorItNS0_10empty_typeEEEZZNS1_27merge_sort_block_merge_implIS3_PtPS5_jNS1_19radix_merge_compareILb0ELb1EtNS0_19identity_decomposerEEEEE10hipError_tT0_T1_T2_jT3_P12ihipStream_tbPNSt15iterator_traitsISE_E10value_typeEPNSK_ISF_E10value_typeEPSG_NS1_7vsmem_tEENKUlT_SE_SF_SG_E_clIS8_S8_S9_S9_EESD_ST_SE_SF_SG_EUlST_E_NS1_11comp_targetILNS1_3genE5ELNS1_11target_archE942ELNS1_3gpuE9ELNS1_3repE0EEENS1_48merge_mergepath_partition_config_static_selectorELNS0_4arch9wavefront6targetE1EEEvSF_
		.amdhsa_group_segment_fixed_size 0
		.amdhsa_private_segment_fixed_size 0
		.amdhsa_kernarg_size 40
		.amdhsa_user_sgpr_count 6
		.amdhsa_user_sgpr_private_segment_buffer 1
		.amdhsa_user_sgpr_dispatch_ptr 0
		.amdhsa_user_sgpr_queue_ptr 0
		.amdhsa_user_sgpr_kernarg_segment_ptr 1
		.amdhsa_user_sgpr_dispatch_id 0
		.amdhsa_user_sgpr_flat_scratch_init 0
		.amdhsa_user_sgpr_kernarg_preload_length 0
		.amdhsa_user_sgpr_kernarg_preload_offset 0
		.amdhsa_user_sgpr_private_segment_size 0
		.amdhsa_uses_dynamic_stack 0
		.amdhsa_system_sgpr_private_segment_wavefront_offset 0
		.amdhsa_system_sgpr_workgroup_id_x 1
		.amdhsa_system_sgpr_workgroup_id_y 0
		.amdhsa_system_sgpr_workgroup_id_z 0
		.amdhsa_system_sgpr_workgroup_info 0
		.amdhsa_system_vgpr_workitem_id 0
		.amdhsa_next_free_vgpr 1
		.amdhsa_next_free_sgpr 0
		.amdhsa_accum_offset 4
		.amdhsa_reserve_vcc 0
		.amdhsa_reserve_flat_scratch 0
		.amdhsa_float_round_mode_32 0
		.amdhsa_float_round_mode_16_64 0
		.amdhsa_float_denorm_mode_32 3
		.amdhsa_float_denorm_mode_16_64 3
		.amdhsa_dx10_clamp 1
		.amdhsa_ieee_mode 1
		.amdhsa_fp16_overflow 0
		.amdhsa_tg_split 0
		.amdhsa_exception_fp_ieee_invalid_op 0
		.amdhsa_exception_fp_denorm_src 0
		.amdhsa_exception_fp_ieee_div_zero 0
		.amdhsa_exception_fp_ieee_overflow 0
		.amdhsa_exception_fp_ieee_underflow 0
		.amdhsa_exception_fp_ieee_inexact 0
		.amdhsa_exception_int_div_zero 0
	.end_amdhsa_kernel
	.section	.text._ZN7rocprim17ROCPRIM_400000_NS6detail17trampoline_kernelINS0_14default_configENS1_38merge_sort_block_merge_config_selectorItNS0_10empty_typeEEEZZNS1_27merge_sort_block_merge_implIS3_PtPS5_jNS1_19radix_merge_compareILb0ELb1EtNS0_19identity_decomposerEEEEE10hipError_tT0_T1_T2_jT3_P12ihipStream_tbPNSt15iterator_traitsISE_E10value_typeEPNSK_ISF_E10value_typeEPSG_NS1_7vsmem_tEENKUlT_SE_SF_SG_E_clIS8_S8_S9_S9_EESD_ST_SE_SF_SG_EUlST_E_NS1_11comp_targetILNS1_3genE5ELNS1_11target_archE942ELNS1_3gpuE9ELNS1_3repE0EEENS1_48merge_mergepath_partition_config_static_selectorELNS0_4arch9wavefront6targetE1EEEvSF_,"axG",@progbits,_ZN7rocprim17ROCPRIM_400000_NS6detail17trampoline_kernelINS0_14default_configENS1_38merge_sort_block_merge_config_selectorItNS0_10empty_typeEEEZZNS1_27merge_sort_block_merge_implIS3_PtPS5_jNS1_19radix_merge_compareILb0ELb1EtNS0_19identity_decomposerEEEEE10hipError_tT0_T1_T2_jT3_P12ihipStream_tbPNSt15iterator_traitsISE_E10value_typeEPNSK_ISF_E10value_typeEPSG_NS1_7vsmem_tEENKUlT_SE_SF_SG_E_clIS8_S8_S9_S9_EESD_ST_SE_SF_SG_EUlST_E_NS1_11comp_targetILNS1_3genE5ELNS1_11target_archE942ELNS1_3gpuE9ELNS1_3repE0EEENS1_48merge_mergepath_partition_config_static_selectorELNS0_4arch9wavefront6targetE1EEEvSF_,comdat
.Lfunc_end500:
	.size	_ZN7rocprim17ROCPRIM_400000_NS6detail17trampoline_kernelINS0_14default_configENS1_38merge_sort_block_merge_config_selectorItNS0_10empty_typeEEEZZNS1_27merge_sort_block_merge_implIS3_PtPS5_jNS1_19radix_merge_compareILb0ELb1EtNS0_19identity_decomposerEEEEE10hipError_tT0_T1_T2_jT3_P12ihipStream_tbPNSt15iterator_traitsISE_E10value_typeEPNSK_ISF_E10value_typeEPSG_NS1_7vsmem_tEENKUlT_SE_SF_SG_E_clIS8_S8_S9_S9_EESD_ST_SE_SF_SG_EUlST_E_NS1_11comp_targetILNS1_3genE5ELNS1_11target_archE942ELNS1_3gpuE9ELNS1_3repE0EEENS1_48merge_mergepath_partition_config_static_selectorELNS0_4arch9wavefront6targetE1EEEvSF_, .Lfunc_end500-_ZN7rocprim17ROCPRIM_400000_NS6detail17trampoline_kernelINS0_14default_configENS1_38merge_sort_block_merge_config_selectorItNS0_10empty_typeEEEZZNS1_27merge_sort_block_merge_implIS3_PtPS5_jNS1_19radix_merge_compareILb0ELb1EtNS0_19identity_decomposerEEEEE10hipError_tT0_T1_T2_jT3_P12ihipStream_tbPNSt15iterator_traitsISE_E10value_typeEPNSK_ISF_E10value_typeEPSG_NS1_7vsmem_tEENKUlT_SE_SF_SG_E_clIS8_S8_S9_S9_EESD_ST_SE_SF_SG_EUlST_E_NS1_11comp_targetILNS1_3genE5ELNS1_11target_archE942ELNS1_3gpuE9ELNS1_3repE0EEENS1_48merge_mergepath_partition_config_static_selectorELNS0_4arch9wavefront6targetE1EEEvSF_
                                        ; -- End function
	.section	.AMDGPU.csdata,"",@progbits
; Kernel info:
; codeLenInByte = 0
; NumSgprs: 4
; NumVgprs: 0
; NumAgprs: 0
; TotalNumVgprs: 0
; ScratchSize: 0
; MemoryBound: 0
; FloatMode: 240
; IeeeMode: 1
; LDSByteSize: 0 bytes/workgroup (compile time only)
; SGPRBlocks: 0
; VGPRBlocks: 0
; NumSGPRsForWavesPerEU: 4
; NumVGPRsForWavesPerEU: 1
; AccumOffset: 4
; Occupancy: 8
; WaveLimiterHint : 0
; COMPUTE_PGM_RSRC2:SCRATCH_EN: 0
; COMPUTE_PGM_RSRC2:USER_SGPR: 6
; COMPUTE_PGM_RSRC2:TRAP_HANDLER: 0
; COMPUTE_PGM_RSRC2:TGID_X_EN: 1
; COMPUTE_PGM_RSRC2:TGID_Y_EN: 0
; COMPUTE_PGM_RSRC2:TGID_Z_EN: 0
; COMPUTE_PGM_RSRC2:TIDIG_COMP_CNT: 0
; COMPUTE_PGM_RSRC3_GFX90A:ACCUM_OFFSET: 0
; COMPUTE_PGM_RSRC3_GFX90A:TG_SPLIT: 0
	.section	.text._ZN7rocprim17ROCPRIM_400000_NS6detail17trampoline_kernelINS0_14default_configENS1_38merge_sort_block_merge_config_selectorItNS0_10empty_typeEEEZZNS1_27merge_sort_block_merge_implIS3_PtPS5_jNS1_19radix_merge_compareILb0ELb1EtNS0_19identity_decomposerEEEEE10hipError_tT0_T1_T2_jT3_P12ihipStream_tbPNSt15iterator_traitsISE_E10value_typeEPNSK_ISF_E10value_typeEPSG_NS1_7vsmem_tEENKUlT_SE_SF_SG_E_clIS8_S8_S9_S9_EESD_ST_SE_SF_SG_EUlST_E_NS1_11comp_targetILNS1_3genE4ELNS1_11target_archE910ELNS1_3gpuE8ELNS1_3repE0EEENS1_48merge_mergepath_partition_config_static_selectorELNS0_4arch9wavefront6targetE1EEEvSF_,"axG",@progbits,_ZN7rocprim17ROCPRIM_400000_NS6detail17trampoline_kernelINS0_14default_configENS1_38merge_sort_block_merge_config_selectorItNS0_10empty_typeEEEZZNS1_27merge_sort_block_merge_implIS3_PtPS5_jNS1_19radix_merge_compareILb0ELb1EtNS0_19identity_decomposerEEEEE10hipError_tT0_T1_T2_jT3_P12ihipStream_tbPNSt15iterator_traitsISE_E10value_typeEPNSK_ISF_E10value_typeEPSG_NS1_7vsmem_tEENKUlT_SE_SF_SG_E_clIS8_S8_S9_S9_EESD_ST_SE_SF_SG_EUlST_E_NS1_11comp_targetILNS1_3genE4ELNS1_11target_archE910ELNS1_3gpuE8ELNS1_3repE0EEENS1_48merge_mergepath_partition_config_static_selectorELNS0_4arch9wavefront6targetE1EEEvSF_,comdat
	.protected	_ZN7rocprim17ROCPRIM_400000_NS6detail17trampoline_kernelINS0_14default_configENS1_38merge_sort_block_merge_config_selectorItNS0_10empty_typeEEEZZNS1_27merge_sort_block_merge_implIS3_PtPS5_jNS1_19radix_merge_compareILb0ELb1EtNS0_19identity_decomposerEEEEE10hipError_tT0_T1_T2_jT3_P12ihipStream_tbPNSt15iterator_traitsISE_E10value_typeEPNSK_ISF_E10value_typeEPSG_NS1_7vsmem_tEENKUlT_SE_SF_SG_E_clIS8_S8_S9_S9_EESD_ST_SE_SF_SG_EUlST_E_NS1_11comp_targetILNS1_3genE4ELNS1_11target_archE910ELNS1_3gpuE8ELNS1_3repE0EEENS1_48merge_mergepath_partition_config_static_selectorELNS0_4arch9wavefront6targetE1EEEvSF_ ; -- Begin function _ZN7rocprim17ROCPRIM_400000_NS6detail17trampoline_kernelINS0_14default_configENS1_38merge_sort_block_merge_config_selectorItNS0_10empty_typeEEEZZNS1_27merge_sort_block_merge_implIS3_PtPS5_jNS1_19radix_merge_compareILb0ELb1EtNS0_19identity_decomposerEEEEE10hipError_tT0_T1_T2_jT3_P12ihipStream_tbPNSt15iterator_traitsISE_E10value_typeEPNSK_ISF_E10value_typeEPSG_NS1_7vsmem_tEENKUlT_SE_SF_SG_E_clIS8_S8_S9_S9_EESD_ST_SE_SF_SG_EUlST_E_NS1_11comp_targetILNS1_3genE4ELNS1_11target_archE910ELNS1_3gpuE8ELNS1_3repE0EEENS1_48merge_mergepath_partition_config_static_selectorELNS0_4arch9wavefront6targetE1EEEvSF_
	.globl	_ZN7rocprim17ROCPRIM_400000_NS6detail17trampoline_kernelINS0_14default_configENS1_38merge_sort_block_merge_config_selectorItNS0_10empty_typeEEEZZNS1_27merge_sort_block_merge_implIS3_PtPS5_jNS1_19radix_merge_compareILb0ELb1EtNS0_19identity_decomposerEEEEE10hipError_tT0_T1_T2_jT3_P12ihipStream_tbPNSt15iterator_traitsISE_E10value_typeEPNSK_ISF_E10value_typeEPSG_NS1_7vsmem_tEENKUlT_SE_SF_SG_E_clIS8_S8_S9_S9_EESD_ST_SE_SF_SG_EUlST_E_NS1_11comp_targetILNS1_3genE4ELNS1_11target_archE910ELNS1_3gpuE8ELNS1_3repE0EEENS1_48merge_mergepath_partition_config_static_selectorELNS0_4arch9wavefront6targetE1EEEvSF_
	.p2align	8
	.type	_ZN7rocprim17ROCPRIM_400000_NS6detail17trampoline_kernelINS0_14default_configENS1_38merge_sort_block_merge_config_selectorItNS0_10empty_typeEEEZZNS1_27merge_sort_block_merge_implIS3_PtPS5_jNS1_19radix_merge_compareILb0ELb1EtNS0_19identity_decomposerEEEEE10hipError_tT0_T1_T2_jT3_P12ihipStream_tbPNSt15iterator_traitsISE_E10value_typeEPNSK_ISF_E10value_typeEPSG_NS1_7vsmem_tEENKUlT_SE_SF_SG_E_clIS8_S8_S9_S9_EESD_ST_SE_SF_SG_EUlST_E_NS1_11comp_targetILNS1_3genE4ELNS1_11target_archE910ELNS1_3gpuE8ELNS1_3repE0EEENS1_48merge_mergepath_partition_config_static_selectorELNS0_4arch9wavefront6targetE1EEEvSF_,@function
_ZN7rocprim17ROCPRIM_400000_NS6detail17trampoline_kernelINS0_14default_configENS1_38merge_sort_block_merge_config_selectorItNS0_10empty_typeEEEZZNS1_27merge_sort_block_merge_implIS3_PtPS5_jNS1_19radix_merge_compareILb0ELb1EtNS0_19identity_decomposerEEEEE10hipError_tT0_T1_T2_jT3_P12ihipStream_tbPNSt15iterator_traitsISE_E10value_typeEPNSK_ISF_E10value_typeEPSG_NS1_7vsmem_tEENKUlT_SE_SF_SG_E_clIS8_S8_S9_S9_EESD_ST_SE_SF_SG_EUlST_E_NS1_11comp_targetILNS1_3genE4ELNS1_11target_archE910ELNS1_3gpuE8ELNS1_3repE0EEENS1_48merge_mergepath_partition_config_static_selectorELNS0_4arch9wavefront6targetE1EEEvSF_: ; @_ZN7rocprim17ROCPRIM_400000_NS6detail17trampoline_kernelINS0_14default_configENS1_38merge_sort_block_merge_config_selectorItNS0_10empty_typeEEEZZNS1_27merge_sort_block_merge_implIS3_PtPS5_jNS1_19radix_merge_compareILb0ELb1EtNS0_19identity_decomposerEEEEE10hipError_tT0_T1_T2_jT3_P12ihipStream_tbPNSt15iterator_traitsISE_E10value_typeEPNSK_ISF_E10value_typeEPSG_NS1_7vsmem_tEENKUlT_SE_SF_SG_E_clIS8_S8_S9_S9_EESD_ST_SE_SF_SG_EUlST_E_NS1_11comp_targetILNS1_3genE4ELNS1_11target_archE910ELNS1_3gpuE8ELNS1_3repE0EEENS1_48merge_mergepath_partition_config_static_selectorELNS0_4arch9wavefront6targetE1EEEvSF_
; %bb.0:
	s_load_dword s0, s[4:5], 0x0
	v_lshl_or_b32 v0, s6, 7, v0
	s_waitcnt lgkmcnt(0)
	v_cmp_gt_u32_e32 vcc, s0, v0
	s_and_saveexec_b64 s[0:1], vcc
	s_cbranch_execz .LBB501_6
; %bb.1:
	s_load_dwordx2 s[2:3], s[4:5], 0x4
	s_load_dwordx2 s[0:1], s[4:5], 0x20
	s_waitcnt lgkmcnt(0)
	s_lshr_b32 s6, s2, 9
	s_and_b32 s6, s6, 0x7ffffe
	s_add_i32 s7, s6, -1
	s_sub_i32 s6, 0, s6
	v_and_b32_e32 v1, s6, v0
	v_lshlrev_b32_e32 v1, 10, v1
	v_min_u32_e32 v2, s3, v1
	v_add_u32_e32 v1, s2, v1
	v_min_u32_e32 v4, s3, v1
	v_add_u32_e32 v1, s2, v4
	v_and_b32_e32 v3, s7, v0
	v_min_u32_e32 v1, s3, v1
	v_sub_u32_e32 v5, v1, v2
	v_lshlrev_b32_e32 v3, 10, v3
	v_min_u32_e32 v6, v5, v3
	v_sub_u32_e32 v3, v4, v2
	v_sub_u32_e32 v1, v1, v4
	v_sub_u32_e64 v1, v6, v1 clamp
	v_min_u32_e32 v7, v6, v3
	v_cmp_lt_u32_e32 vcc, v1, v7
	s_and_saveexec_b64 s[2:3], vcc
	s_cbranch_execz .LBB501_5
; %bb.2:
	s_load_dwordx2 s[8:9], s[4:5], 0x10
	s_load_dword s6, s[4:5], 0x18
	v_mov_b32_e32 v5, 0
	v_mov_b32_e32 v3, v5
	v_lshlrev_b64 v[8:9], 1, v[2:3]
	s_waitcnt lgkmcnt(0)
	v_mov_b32_e32 v12, s9
	v_add_co_u32_e32 v3, vcc, s8, v8
	v_addc_co_u32_e32 v8, vcc, v12, v9, vcc
	v_lshlrev_b64 v[10:11], 1, v[4:5]
	v_add_co_u32_e32 v9, vcc, s8, v10
	v_addc_co_u32_e32 v10, vcc, v12, v11, vcc
	s_mov_b64 s[4:5], 0
.LBB501_3:                              ; =>This Inner Loop Header: Depth=1
	v_add_u32_e32 v4, v7, v1
	v_and_b32_e32 v12, -2, v4
	v_lshrrev_b32_e32 v11, 1, v4
	v_add_co_u32_e32 v12, vcc, v3, v12
	v_xad_u32 v4, v11, -1, v6
	v_addc_co_u32_e32 v13, vcc, 0, v8, vcc
	global_load_ushort v14, v[12:13], off
	v_lshlrev_b64 v[12:13], 1, v[4:5]
	v_add_co_u32_e32 v12, vcc, v9, v12
	v_addc_co_u32_e32 v13, vcc, v10, v13, vcc
	global_load_ushort v4, v[12:13], off
	v_add_u32_e32 v12, 1, v11
	s_waitcnt vmcnt(1)
	v_and_b32_e32 v13, s6, v14
	s_waitcnt vmcnt(0)
	v_and_b32_e32 v4, s6, v4
	v_cmp_gt_u16_e32 vcc, v13, v4
	v_cndmask_b32_e32 v7, v7, v11, vcc
	v_cndmask_b32_e32 v1, v12, v1, vcc
	v_cmp_ge_u32_e32 vcc, v1, v7
	s_or_b64 s[4:5], vcc, s[4:5]
	s_andn2_b64 exec, exec, s[4:5]
	s_cbranch_execnz .LBB501_3
; %bb.4:
	s_or_b64 exec, exec, s[4:5]
.LBB501_5:
	s_or_b64 exec, exec, s[2:3]
	v_add_u32_e32 v2, v1, v2
	v_mov_b32_e32 v1, 0
	v_lshlrev_b64 v[0:1], 2, v[0:1]
	v_mov_b32_e32 v3, s1
	v_add_co_u32_e32 v0, vcc, s0, v0
	v_addc_co_u32_e32 v1, vcc, v3, v1, vcc
	global_store_dword v[0:1], v2, off
.LBB501_6:
	s_endpgm
	.section	.rodata,"a",@progbits
	.p2align	6, 0x0
	.amdhsa_kernel _ZN7rocprim17ROCPRIM_400000_NS6detail17trampoline_kernelINS0_14default_configENS1_38merge_sort_block_merge_config_selectorItNS0_10empty_typeEEEZZNS1_27merge_sort_block_merge_implIS3_PtPS5_jNS1_19radix_merge_compareILb0ELb1EtNS0_19identity_decomposerEEEEE10hipError_tT0_T1_T2_jT3_P12ihipStream_tbPNSt15iterator_traitsISE_E10value_typeEPNSK_ISF_E10value_typeEPSG_NS1_7vsmem_tEENKUlT_SE_SF_SG_E_clIS8_S8_S9_S9_EESD_ST_SE_SF_SG_EUlST_E_NS1_11comp_targetILNS1_3genE4ELNS1_11target_archE910ELNS1_3gpuE8ELNS1_3repE0EEENS1_48merge_mergepath_partition_config_static_selectorELNS0_4arch9wavefront6targetE1EEEvSF_
		.amdhsa_group_segment_fixed_size 0
		.amdhsa_private_segment_fixed_size 0
		.amdhsa_kernarg_size 40
		.amdhsa_user_sgpr_count 6
		.amdhsa_user_sgpr_private_segment_buffer 1
		.amdhsa_user_sgpr_dispatch_ptr 0
		.amdhsa_user_sgpr_queue_ptr 0
		.amdhsa_user_sgpr_kernarg_segment_ptr 1
		.amdhsa_user_sgpr_dispatch_id 0
		.amdhsa_user_sgpr_flat_scratch_init 0
		.amdhsa_user_sgpr_kernarg_preload_length 0
		.amdhsa_user_sgpr_kernarg_preload_offset 0
		.amdhsa_user_sgpr_private_segment_size 0
		.amdhsa_uses_dynamic_stack 0
		.amdhsa_system_sgpr_private_segment_wavefront_offset 0
		.amdhsa_system_sgpr_workgroup_id_x 1
		.amdhsa_system_sgpr_workgroup_id_y 0
		.amdhsa_system_sgpr_workgroup_id_z 0
		.amdhsa_system_sgpr_workgroup_info 0
		.amdhsa_system_vgpr_workitem_id 0
		.amdhsa_next_free_vgpr 15
		.amdhsa_next_free_sgpr 10
		.amdhsa_accum_offset 16
		.amdhsa_reserve_vcc 1
		.amdhsa_reserve_flat_scratch 0
		.amdhsa_float_round_mode_32 0
		.amdhsa_float_round_mode_16_64 0
		.amdhsa_float_denorm_mode_32 3
		.amdhsa_float_denorm_mode_16_64 3
		.amdhsa_dx10_clamp 1
		.amdhsa_ieee_mode 1
		.amdhsa_fp16_overflow 0
		.amdhsa_tg_split 0
		.amdhsa_exception_fp_ieee_invalid_op 0
		.amdhsa_exception_fp_denorm_src 0
		.amdhsa_exception_fp_ieee_div_zero 0
		.amdhsa_exception_fp_ieee_overflow 0
		.amdhsa_exception_fp_ieee_underflow 0
		.amdhsa_exception_fp_ieee_inexact 0
		.amdhsa_exception_int_div_zero 0
	.end_amdhsa_kernel
	.section	.text._ZN7rocprim17ROCPRIM_400000_NS6detail17trampoline_kernelINS0_14default_configENS1_38merge_sort_block_merge_config_selectorItNS0_10empty_typeEEEZZNS1_27merge_sort_block_merge_implIS3_PtPS5_jNS1_19radix_merge_compareILb0ELb1EtNS0_19identity_decomposerEEEEE10hipError_tT0_T1_T2_jT3_P12ihipStream_tbPNSt15iterator_traitsISE_E10value_typeEPNSK_ISF_E10value_typeEPSG_NS1_7vsmem_tEENKUlT_SE_SF_SG_E_clIS8_S8_S9_S9_EESD_ST_SE_SF_SG_EUlST_E_NS1_11comp_targetILNS1_3genE4ELNS1_11target_archE910ELNS1_3gpuE8ELNS1_3repE0EEENS1_48merge_mergepath_partition_config_static_selectorELNS0_4arch9wavefront6targetE1EEEvSF_,"axG",@progbits,_ZN7rocprim17ROCPRIM_400000_NS6detail17trampoline_kernelINS0_14default_configENS1_38merge_sort_block_merge_config_selectorItNS0_10empty_typeEEEZZNS1_27merge_sort_block_merge_implIS3_PtPS5_jNS1_19radix_merge_compareILb0ELb1EtNS0_19identity_decomposerEEEEE10hipError_tT0_T1_T2_jT3_P12ihipStream_tbPNSt15iterator_traitsISE_E10value_typeEPNSK_ISF_E10value_typeEPSG_NS1_7vsmem_tEENKUlT_SE_SF_SG_E_clIS8_S8_S9_S9_EESD_ST_SE_SF_SG_EUlST_E_NS1_11comp_targetILNS1_3genE4ELNS1_11target_archE910ELNS1_3gpuE8ELNS1_3repE0EEENS1_48merge_mergepath_partition_config_static_selectorELNS0_4arch9wavefront6targetE1EEEvSF_,comdat
.Lfunc_end501:
	.size	_ZN7rocprim17ROCPRIM_400000_NS6detail17trampoline_kernelINS0_14default_configENS1_38merge_sort_block_merge_config_selectorItNS0_10empty_typeEEEZZNS1_27merge_sort_block_merge_implIS3_PtPS5_jNS1_19radix_merge_compareILb0ELb1EtNS0_19identity_decomposerEEEEE10hipError_tT0_T1_T2_jT3_P12ihipStream_tbPNSt15iterator_traitsISE_E10value_typeEPNSK_ISF_E10value_typeEPSG_NS1_7vsmem_tEENKUlT_SE_SF_SG_E_clIS8_S8_S9_S9_EESD_ST_SE_SF_SG_EUlST_E_NS1_11comp_targetILNS1_3genE4ELNS1_11target_archE910ELNS1_3gpuE8ELNS1_3repE0EEENS1_48merge_mergepath_partition_config_static_selectorELNS0_4arch9wavefront6targetE1EEEvSF_, .Lfunc_end501-_ZN7rocprim17ROCPRIM_400000_NS6detail17trampoline_kernelINS0_14default_configENS1_38merge_sort_block_merge_config_selectorItNS0_10empty_typeEEEZZNS1_27merge_sort_block_merge_implIS3_PtPS5_jNS1_19radix_merge_compareILb0ELb1EtNS0_19identity_decomposerEEEEE10hipError_tT0_T1_T2_jT3_P12ihipStream_tbPNSt15iterator_traitsISE_E10value_typeEPNSK_ISF_E10value_typeEPSG_NS1_7vsmem_tEENKUlT_SE_SF_SG_E_clIS8_S8_S9_S9_EESD_ST_SE_SF_SG_EUlST_E_NS1_11comp_targetILNS1_3genE4ELNS1_11target_archE910ELNS1_3gpuE8ELNS1_3repE0EEENS1_48merge_mergepath_partition_config_static_selectorELNS0_4arch9wavefront6targetE1EEEvSF_
                                        ; -- End function
	.section	.AMDGPU.csdata,"",@progbits
; Kernel info:
; codeLenInByte = 372
; NumSgprs: 14
; NumVgprs: 15
; NumAgprs: 0
; TotalNumVgprs: 15
; ScratchSize: 0
; MemoryBound: 0
; FloatMode: 240
; IeeeMode: 1
; LDSByteSize: 0 bytes/workgroup (compile time only)
; SGPRBlocks: 1
; VGPRBlocks: 1
; NumSGPRsForWavesPerEU: 14
; NumVGPRsForWavesPerEU: 15
; AccumOffset: 16
; Occupancy: 8
; WaveLimiterHint : 0
; COMPUTE_PGM_RSRC2:SCRATCH_EN: 0
; COMPUTE_PGM_RSRC2:USER_SGPR: 6
; COMPUTE_PGM_RSRC2:TRAP_HANDLER: 0
; COMPUTE_PGM_RSRC2:TGID_X_EN: 1
; COMPUTE_PGM_RSRC2:TGID_Y_EN: 0
; COMPUTE_PGM_RSRC2:TGID_Z_EN: 0
; COMPUTE_PGM_RSRC2:TIDIG_COMP_CNT: 0
; COMPUTE_PGM_RSRC3_GFX90A:ACCUM_OFFSET: 3
; COMPUTE_PGM_RSRC3_GFX90A:TG_SPLIT: 0
	.section	.text._ZN7rocprim17ROCPRIM_400000_NS6detail17trampoline_kernelINS0_14default_configENS1_38merge_sort_block_merge_config_selectorItNS0_10empty_typeEEEZZNS1_27merge_sort_block_merge_implIS3_PtPS5_jNS1_19radix_merge_compareILb0ELb1EtNS0_19identity_decomposerEEEEE10hipError_tT0_T1_T2_jT3_P12ihipStream_tbPNSt15iterator_traitsISE_E10value_typeEPNSK_ISF_E10value_typeEPSG_NS1_7vsmem_tEENKUlT_SE_SF_SG_E_clIS8_S8_S9_S9_EESD_ST_SE_SF_SG_EUlST_E_NS1_11comp_targetILNS1_3genE3ELNS1_11target_archE908ELNS1_3gpuE7ELNS1_3repE0EEENS1_48merge_mergepath_partition_config_static_selectorELNS0_4arch9wavefront6targetE1EEEvSF_,"axG",@progbits,_ZN7rocprim17ROCPRIM_400000_NS6detail17trampoline_kernelINS0_14default_configENS1_38merge_sort_block_merge_config_selectorItNS0_10empty_typeEEEZZNS1_27merge_sort_block_merge_implIS3_PtPS5_jNS1_19radix_merge_compareILb0ELb1EtNS0_19identity_decomposerEEEEE10hipError_tT0_T1_T2_jT3_P12ihipStream_tbPNSt15iterator_traitsISE_E10value_typeEPNSK_ISF_E10value_typeEPSG_NS1_7vsmem_tEENKUlT_SE_SF_SG_E_clIS8_S8_S9_S9_EESD_ST_SE_SF_SG_EUlST_E_NS1_11comp_targetILNS1_3genE3ELNS1_11target_archE908ELNS1_3gpuE7ELNS1_3repE0EEENS1_48merge_mergepath_partition_config_static_selectorELNS0_4arch9wavefront6targetE1EEEvSF_,comdat
	.protected	_ZN7rocprim17ROCPRIM_400000_NS6detail17trampoline_kernelINS0_14default_configENS1_38merge_sort_block_merge_config_selectorItNS0_10empty_typeEEEZZNS1_27merge_sort_block_merge_implIS3_PtPS5_jNS1_19radix_merge_compareILb0ELb1EtNS0_19identity_decomposerEEEEE10hipError_tT0_T1_T2_jT3_P12ihipStream_tbPNSt15iterator_traitsISE_E10value_typeEPNSK_ISF_E10value_typeEPSG_NS1_7vsmem_tEENKUlT_SE_SF_SG_E_clIS8_S8_S9_S9_EESD_ST_SE_SF_SG_EUlST_E_NS1_11comp_targetILNS1_3genE3ELNS1_11target_archE908ELNS1_3gpuE7ELNS1_3repE0EEENS1_48merge_mergepath_partition_config_static_selectorELNS0_4arch9wavefront6targetE1EEEvSF_ ; -- Begin function _ZN7rocprim17ROCPRIM_400000_NS6detail17trampoline_kernelINS0_14default_configENS1_38merge_sort_block_merge_config_selectorItNS0_10empty_typeEEEZZNS1_27merge_sort_block_merge_implIS3_PtPS5_jNS1_19radix_merge_compareILb0ELb1EtNS0_19identity_decomposerEEEEE10hipError_tT0_T1_T2_jT3_P12ihipStream_tbPNSt15iterator_traitsISE_E10value_typeEPNSK_ISF_E10value_typeEPSG_NS1_7vsmem_tEENKUlT_SE_SF_SG_E_clIS8_S8_S9_S9_EESD_ST_SE_SF_SG_EUlST_E_NS1_11comp_targetILNS1_3genE3ELNS1_11target_archE908ELNS1_3gpuE7ELNS1_3repE0EEENS1_48merge_mergepath_partition_config_static_selectorELNS0_4arch9wavefront6targetE1EEEvSF_
	.globl	_ZN7rocprim17ROCPRIM_400000_NS6detail17trampoline_kernelINS0_14default_configENS1_38merge_sort_block_merge_config_selectorItNS0_10empty_typeEEEZZNS1_27merge_sort_block_merge_implIS3_PtPS5_jNS1_19radix_merge_compareILb0ELb1EtNS0_19identity_decomposerEEEEE10hipError_tT0_T1_T2_jT3_P12ihipStream_tbPNSt15iterator_traitsISE_E10value_typeEPNSK_ISF_E10value_typeEPSG_NS1_7vsmem_tEENKUlT_SE_SF_SG_E_clIS8_S8_S9_S9_EESD_ST_SE_SF_SG_EUlST_E_NS1_11comp_targetILNS1_3genE3ELNS1_11target_archE908ELNS1_3gpuE7ELNS1_3repE0EEENS1_48merge_mergepath_partition_config_static_selectorELNS0_4arch9wavefront6targetE1EEEvSF_
	.p2align	8
	.type	_ZN7rocprim17ROCPRIM_400000_NS6detail17trampoline_kernelINS0_14default_configENS1_38merge_sort_block_merge_config_selectorItNS0_10empty_typeEEEZZNS1_27merge_sort_block_merge_implIS3_PtPS5_jNS1_19radix_merge_compareILb0ELb1EtNS0_19identity_decomposerEEEEE10hipError_tT0_T1_T2_jT3_P12ihipStream_tbPNSt15iterator_traitsISE_E10value_typeEPNSK_ISF_E10value_typeEPSG_NS1_7vsmem_tEENKUlT_SE_SF_SG_E_clIS8_S8_S9_S9_EESD_ST_SE_SF_SG_EUlST_E_NS1_11comp_targetILNS1_3genE3ELNS1_11target_archE908ELNS1_3gpuE7ELNS1_3repE0EEENS1_48merge_mergepath_partition_config_static_selectorELNS0_4arch9wavefront6targetE1EEEvSF_,@function
_ZN7rocprim17ROCPRIM_400000_NS6detail17trampoline_kernelINS0_14default_configENS1_38merge_sort_block_merge_config_selectorItNS0_10empty_typeEEEZZNS1_27merge_sort_block_merge_implIS3_PtPS5_jNS1_19radix_merge_compareILb0ELb1EtNS0_19identity_decomposerEEEEE10hipError_tT0_T1_T2_jT3_P12ihipStream_tbPNSt15iterator_traitsISE_E10value_typeEPNSK_ISF_E10value_typeEPSG_NS1_7vsmem_tEENKUlT_SE_SF_SG_E_clIS8_S8_S9_S9_EESD_ST_SE_SF_SG_EUlST_E_NS1_11comp_targetILNS1_3genE3ELNS1_11target_archE908ELNS1_3gpuE7ELNS1_3repE0EEENS1_48merge_mergepath_partition_config_static_selectorELNS0_4arch9wavefront6targetE1EEEvSF_: ; @_ZN7rocprim17ROCPRIM_400000_NS6detail17trampoline_kernelINS0_14default_configENS1_38merge_sort_block_merge_config_selectorItNS0_10empty_typeEEEZZNS1_27merge_sort_block_merge_implIS3_PtPS5_jNS1_19radix_merge_compareILb0ELb1EtNS0_19identity_decomposerEEEEE10hipError_tT0_T1_T2_jT3_P12ihipStream_tbPNSt15iterator_traitsISE_E10value_typeEPNSK_ISF_E10value_typeEPSG_NS1_7vsmem_tEENKUlT_SE_SF_SG_E_clIS8_S8_S9_S9_EESD_ST_SE_SF_SG_EUlST_E_NS1_11comp_targetILNS1_3genE3ELNS1_11target_archE908ELNS1_3gpuE7ELNS1_3repE0EEENS1_48merge_mergepath_partition_config_static_selectorELNS0_4arch9wavefront6targetE1EEEvSF_
; %bb.0:
	.section	.rodata,"a",@progbits
	.p2align	6, 0x0
	.amdhsa_kernel _ZN7rocprim17ROCPRIM_400000_NS6detail17trampoline_kernelINS0_14default_configENS1_38merge_sort_block_merge_config_selectorItNS0_10empty_typeEEEZZNS1_27merge_sort_block_merge_implIS3_PtPS5_jNS1_19radix_merge_compareILb0ELb1EtNS0_19identity_decomposerEEEEE10hipError_tT0_T1_T2_jT3_P12ihipStream_tbPNSt15iterator_traitsISE_E10value_typeEPNSK_ISF_E10value_typeEPSG_NS1_7vsmem_tEENKUlT_SE_SF_SG_E_clIS8_S8_S9_S9_EESD_ST_SE_SF_SG_EUlST_E_NS1_11comp_targetILNS1_3genE3ELNS1_11target_archE908ELNS1_3gpuE7ELNS1_3repE0EEENS1_48merge_mergepath_partition_config_static_selectorELNS0_4arch9wavefront6targetE1EEEvSF_
		.amdhsa_group_segment_fixed_size 0
		.amdhsa_private_segment_fixed_size 0
		.amdhsa_kernarg_size 40
		.amdhsa_user_sgpr_count 6
		.amdhsa_user_sgpr_private_segment_buffer 1
		.amdhsa_user_sgpr_dispatch_ptr 0
		.amdhsa_user_sgpr_queue_ptr 0
		.amdhsa_user_sgpr_kernarg_segment_ptr 1
		.amdhsa_user_sgpr_dispatch_id 0
		.amdhsa_user_sgpr_flat_scratch_init 0
		.amdhsa_user_sgpr_kernarg_preload_length 0
		.amdhsa_user_sgpr_kernarg_preload_offset 0
		.amdhsa_user_sgpr_private_segment_size 0
		.amdhsa_uses_dynamic_stack 0
		.amdhsa_system_sgpr_private_segment_wavefront_offset 0
		.amdhsa_system_sgpr_workgroup_id_x 1
		.amdhsa_system_sgpr_workgroup_id_y 0
		.amdhsa_system_sgpr_workgroup_id_z 0
		.amdhsa_system_sgpr_workgroup_info 0
		.amdhsa_system_vgpr_workitem_id 0
		.amdhsa_next_free_vgpr 1
		.amdhsa_next_free_sgpr 0
		.amdhsa_accum_offset 4
		.amdhsa_reserve_vcc 0
		.amdhsa_reserve_flat_scratch 0
		.amdhsa_float_round_mode_32 0
		.amdhsa_float_round_mode_16_64 0
		.amdhsa_float_denorm_mode_32 3
		.amdhsa_float_denorm_mode_16_64 3
		.amdhsa_dx10_clamp 1
		.amdhsa_ieee_mode 1
		.amdhsa_fp16_overflow 0
		.amdhsa_tg_split 0
		.amdhsa_exception_fp_ieee_invalid_op 0
		.amdhsa_exception_fp_denorm_src 0
		.amdhsa_exception_fp_ieee_div_zero 0
		.amdhsa_exception_fp_ieee_overflow 0
		.amdhsa_exception_fp_ieee_underflow 0
		.amdhsa_exception_fp_ieee_inexact 0
		.amdhsa_exception_int_div_zero 0
	.end_amdhsa_kernel
	.section	.text._ZN7rocprim17ROCPRIM_400000_NS6detail17trampoline_kernelINS0_14default_configENS1_38merge_sort_block_merge_config_selectorItNS0_10empty_typeEEEZZNS1_27merge_sort_block_merge_implIS3_PtPS5_jNS1_19radix_merge_compareILb0ELb1EtNS0_19identity_decomposerEEEEE10hipError_tT0_T1_T2_jT3_P12ihipStream_tbPNSt15iterator_traitsISE_E10value_typeEPNSK_ISF_E10value_typeEPSG_NS1_7vsmem_tEENKUlT_SE_SF_SG_E_clIS8_S8_S9_S9_EESD_ST_SE_SF_SG_EUlST_E_NS1_11comp_targetILNS1_3genE3ELNS1_11target_archE908ELNS1_3gpuE7ELNS1_3repE0EEENS1_48merge_mergepath_partition_config_static_selectorELNS0_4arch9wavefront6targetE1EEEvSF_,"axG",@progbits,_ZN7rocprim17ROCPRIM_400000_NS6detail17trampoline_kernelINS0_14default_configENS1_38merge_sort_block_merge_config_selectorItNS0_10empty_typeEEEZZNS1_27merge_sort_block_merge_implIS3_PtPS5_jNS1_19radix_merge_compareILb0ELb1EtNS0_19identity_decomposerEEEEE10hipError_tT0_T1_T2_jT3_P12ihipStream_tbPNSt15iterator_traitsISE_E10value_typeEPNSK_ISF_E10value_typeEPSG_NS1_7vsmem_tEENKUlT_SE_SF_SG_E_clIS8_S8_S9_S9_EESD_ST_SE_SF_SG_EUlST_E_NS1_11comp_targetILNS1_3genE3ELNS1_11target_archE908ELNS1_3gpuE7ELNS1_3repE0EEENS1_48merge_mergepath_partition_config_static_selectorELNS0_4arch9wavefront6targetE1EEEvSF_,comdat
.Lfunc_end502:
	.size	_ZN7rocprim17ROCPRIM_400000_NS6detail17trampoline_kernelINS0_14default_configENS1_38merge_sort_block_merge_config_selectorItNS0_10empty_typeEEEZZNS1_27merge_sort_block_merge_implIS3_PtPS5_jNS1_19radix_merge_compareILb0ELb1EtNS0_19identity_decomposerEEEEE10hipError_tT0_T1_T2_jT3_P12ihipStream_tbPNSt15iterator_traitsISE_E10value_typeEPNSK_ISF_E10value_typeEPSG_NS1_7vsmem_tEENKUlT_SE_SF_SG_E_clIS8_S8_S9_S9_EESD_ST_SE_SF_SG_EUlST_E_NS1_11comp_targetILNS1_3genE3ELNS1_11target_archE908ELNS1_3gpuE7ELNS1_3repE0EEENS1_48merge_mergepath_partition_config_static_selectorELNS0_4arch9wavefront6targetE1EEEvSF_, .Lfunc_end502-_ZN7rocprim17ROCPRIM_400000_NS6detail17trampoline_kernelINS0_14default_configENS1_38merge_sort_block_merge_config_selectorItNS0_10empty_typeEEEZZNS1_27merge_sort_block_merge_implIS3_PtPS5_jNS1_19radix_merge_compareILb0ELb1EtNS0_19identity_decomposerEEEEE10hipError_tT0_T1_T2_jT3_P12ihipStream_tbPNSt15iterator_traitsISE_E10value_typeEPNSK_ISF_E10value_typeEPSG_NS1_7vsmem_tEENKUlT_SE_SF_SG_E_clIS8_S8_S9_S9_EESD_ST_SE_SF_SG_EUlST_E_NS1_11comp_targetILNS1_3genE3ELNS1_11target_archE908ELNS1_3gpuE7ELNS1_3repE0EEENS1_48merge_mergepath_partition_config_static_selectorELNS0_4arch9wavefront6targetE1EEEvSF_
                                        ; -- End function
	.section	.AMDGPU.csdata,"",@progbits
; Kernel info:
; codeLenInByte = 0
; NumSgprs: 4
; NumVgprs: 0
; NumAgprs: 0
; TotalNumVgprs: 0
; ScratchSize: 0
; MemoryBound: 0
; FloatMode: 240
; IeeeMode: 1
; LDSByteSize: 0 bytes/workgroup (compile time only)
; SGPRBlocks: 0
; VGPRBlocks: 0
; NumSGPRsForWavesPerEU: 4
; NumVGPRsForWavesPerEU: 1
; AccumOffset: 4
; Occupancy: 8
; WaveLimiterHint : 0
; COMPUTE_PGM_RSRC2:SCRATCH_EN: 0
; COMPUTE_PGM_RSRC2:USER_SGPR: 6
; COMPUTE_PGM_RSRC2:TRAP_HANDLER: 0
; COMPUTE_PGM_RSRC2:TGID_X_EN: 1
; COMPUTE_PGM_RSRC2:TGID_Y_EN: 0
; COMPUTE_PGM_RSRC2:TGID_Z_EN: 0
; COMPUTE_PGM_RSRC2:TIDIG_COMP_CNT: 0
; COMPUTE_PGM_RSRC3_GFX90A:ACCUM_OFFSET: 0
; COMPUTE_PGM_RSRC3_GFX90A:TG_SPLIT: 0
	.section	.text._ZN7rocprim17ROCPRIM_400000_NS6detail17trampoline_kernelINS0_14default_configENS1_38merge_sort_block_merge_config_selectorItNS0_10empty_typeEEEZZNS1_27merge_sort_block_merge_implIS3_PtPS5_jNS1_19radix_merge_compareILb0ELb1EtNS0_19identity_decomposerEEEEE10hipError_tT0_T1_T2_jT3_P12ihipStream_tbPNSt15iterator_traitsISE_E10value_typeEPNSK_ISF_E10value_typeEPSG_NS1_7vsmem_tEENKUlT_SE_SF_SG_E_clIS8_S8_S9_S9_EESD_ST_SE_SF_SG_EUlST_E_NS1_11comp_targetILNS1_3genE2ELNS1_11target_archE906ELNS1_3gpuE6ELNS1_3repE0EEENS1_48merge_mergepath_partition_config_static_selectorELNS0_4arch9wavefront6targetE1EEEvSF_,"axG",@progbits,_ZN7rocprim17ROCPRIM_400000_NS6detail17trampoline_kernelINS0_14default_configENS1_38merge_sort_block_merge_config_selectorItNS0_10empty_typeEEEZZNS1_27merge_sort_block_merge_implIS3_PtPS5_jNS1_19radix_merge_compareILb0ELb1EtNS0_19identity_decomposerEEEEE10hipError_tT0_T1_T2_jT3_P12ihipStream_tbPNSt15iterator_traitsISE_E10value_typeEPNSK_ISF_E10value_typeEPSG_NS1_7vsmem_tEENKUlT_SE_SF_SG_E_clIS8_S8_S9_S9_EESD_ST_SE_SF_SG_EUlST_E_NS1_11comp_targetILNS1_3genE2ELNS1_11target_archE906ELNS1_3gpuE6ELNS1_3repE0EEENS1_48merge_mergepath_partition_config_static_selectorELNS0_4arch9wavefront6targetE1EEEvSF_,comdat
	.protected	_ZN7rocprim17ROCPRIM_400000_NS6detail17trampoline_kernelINS0_14default_configENS1_38merge_sort_block_merge_config_selectorItNS0_10empty_typeEEEZZNS1_27merge_sort_block_merge_implIS3_PtPS5_jNS1_19radix_merge_compareILb0ELb1EtNS0_19identity_decomposerEEEEE10hipError_tT0_T1_T2_jT3_P12ihipStream_tbPNSt15iterator_traitsISE_E10value_typeEPNSK_ISF_E10value_typeEPSG_NS1_7vsmem_tEENKUlT_SE_SF_SG_E_clIS8_S8_S9_S9_EESD_ST_SE_SF_SG_EUlST_E_NS1_11comp_targetILNS1_3genE2ELNS1_11target_archE906ELNS1_3gpuE6ELNS1_3repE0EEENS1_48merge_mergepath_partition_config_static_selectorELNS0_4arch9wavefront6targetE1EEEvSF_ ; -- Begin function _ZN7rocprim17ROCPRIM_400000_NS6detail17trampoline_kernelINS0_14default_configENS1_38merge_sort_block_merge_config_selectorItNS0_10empty_typeEEEZZNS1_27merge_sort_block_merge_implIS3_PtPS5_jNS1_19radix_merge_compareILb0ELb1EtNS0_19identity_decomposerEEEEE10hipError_tT0_T1_T2_jT3_P12ihipStream_tbPNSt15iterator_traitsISE_E10value_typeEPNSK_ISF_E10value_typeEPSG_NS1_7vsmem_tEENKUlT_SE_SF_SG_E_clIS8_S8_S9_S9_EESD_ST_SE_SF_SG_EUlST_E_NS1_11comp_targetILNS1_3genE2ELNS1_11target_archE906ELNS1_3gpuE6ELNS1_3repE0EEENS1_48merge_mergepath_partition_config_static_selectorELNS0_4arch9wavefront6targetE1EEEvSF_
	.globl	_ZN7rocprim17ROCPRIM_400000_NS6detail17trampoline_kernelINS0_14default_configENS1_38merge_sort_block_merge_config_selectorItNS0_10empty_typeEEEZZNS1_27merge_sort_block_merge_implIS3_PtPS5_jNS1_19radix_merge_compareILb0ELb1EtNS0_19identity_decomposerEEEEE10hipError_tT0_T1_T2_jT3_P12ihipStream_tbPNSt15iterator_traitsISE_E10value_typeEPNSK_ISF_E10value_typeEPSG_NS1_7vsmem_tEENKUlT_SE_SF_SG_E_clIS8_S8_S9_S9_EESD_ST_SE_SF_SG_EUlST_E_NS1_11comp_targetILNS1_3genE2ELNS1_11target_archE906ELNS1_3gpuE6ELNS1_3repE0EEENS1_48merge_mergepath_partition_config_static_selectorELNS0_4arch9wavefront6targetE1EEEvSF_
	.p2align	8
	.type	_ZN7rocprim17ROCPRIM_400000_NS6detail17trampoline_kernelINS0_14default_configENS1_38merge_sort_block_merge_config_selectorItNS0_10empty_typeEEEZZNS1_27merge_sort_block_merge_implIS3_PtPS5_jNS1_19radix_merge_compareILb0ELb1EtNS0_19identity_decomposerEEEEE10hipError_tT0_T1_T2_jT3_P12ihipStream_tbPNSt15iterator_traitsISE_E10value_typeEPNSK_ISF_E10value_typeEPSG_NS1_7vsmem_tEENKUlT_SE_SF_SG_E_clIS8_S8_S9_S9_EESD_ST_SE_SF_SG_EUlST_E_NS1_11comp_targetILNS1_3genE2ELNS1_11target_archE906ELNS1_3gpuE6ELNS1_3repE0EEENS1_48merge_mergepath_partition_config_static_selectorELNS0_4arch9wavefront6targetE1EEEvSF_,@function
_ZN7rocprim17ROCPRIM_400000_NS6detail17trampoline_kernelINS0_14default_configENS1_38merge_sort_block_merge_config_selectorItNS0_10empty_typeEEEZZNS1_27merge_sort_block_merge_implIS3_PtPS5_jNS1_19radix_merge_compareILb0ELb1EtNS0_19identity_decomposerEEEEE10hipError_tT0_T1_T2_jT3_P12ihipStream_tbPNSt15iterator_traitsISE_E10value_typeEPNSK_ISF_E10value_typeEPSG_NS1_7vsmem_tEENKUlT_SE_SF_SG_E_clIS8_S8_S9_S9_EESD_ST_SE_SF_SG_EUlST_E_NS1_11comp_targetILNS1_3genE2ELNS1_11target_archE906ELNS1_3gpuE6ELNS1_3repE0EEENS1_48merge_mergepath_partition_config_static_selectorELNS0_4arch9wavefront6targetE1EEEvSF_: ; @_ZN7rocprim17ROCPRIM_400000_NS6detail17trampoline_kernelINS0_14default_configENS1_38merge_sort_block_merge_config_selectorItNS0_10empty_typeEEEZZNS1_27merge_sort_block_merge_implIS3_PtPS5_jNS1_19radix_merge_compareILb0ELb1EtNS0_19identity_decomposerEEEEE10hipError_tT0_T1_T2_jT3_P12ihipStream_tbPNSt15iterator_traitsISE_E10value_typeEPNSK_ISF_E10value_typeEPSG_NS1_7vsmem_tEENKUlT_SE_SF_SG_E_clIS8_S8_S9_S9_EESD_ST_SE_SF_SG_EUlST_E_NS1_11comp_targetILNS1_3genE2ELNS1_11target_archE906ELNS1_3gpuE6ELNS1_3repE0EEENS1_48merge_mergepath_partition_config_static_selectorELNS0_4arch9wavefront6targetE1EEEvSF_
; %bb.0:
	.section	.rodata,"a",@progbits
	.p2align	6, 0x0
	.amdhsa_kernel _ZN7rocprim17ROCPRIM_400000_NS6detail17trampoline_kernelINS0_14default_configENS1_38merge_sort_block_merge_config_selectorItNS0_10empty_typeEEEZZNS1_27merge_sort_block_merge_implIS3_PtPS5_jNS1_19radix_merge_compareILb0ELb1EtNS0_19identity_decomposerEEEEE10hipError_tT0_T1_T2_jT3_P12ihipStream_tbPNSt15iterator_traitsISE_E10value_typeEPNSK_ISF_E10value_typeEPSG_NS1_7vsmem_tEENKUlT_SE_SF_SG_E_clIS8_S8_S9_S9_EESD_ST_SE_SF_SG_EUlST_E_NS1_11comp_targetILNS1_3genE2ELNS1_11target_archE906ELNS1_3gpuE6ELNS1_3repE0EEENS1_48merge_mergepath_partition_config_static_selectorELNS0_4arch9wavefront6targetE1EEEvSF_
		.amdhsa_group_segment_fixed_size 0
		.amdhsa_private_segment_fixed_size 0
		.amdhsa_kernarg_size 40
		.amdhsa_user_sgpr_count 6
		.amdhsa_user_sgpr_private_segment_buffer 1
		.amdhsa_user_sgpr_dispatch_ptr 0
		.amdhsa_user_sgpr_queue_ptr 0
		.amdhsa_user_sgpr_kernarg_segment_ptr 1
		.amdhsa_user_sgpr_dispatch_id 0
		.amdhsa_user_sgpr_flat_scratch_init 0
		.amdhsa_user_sgpr_kernarg_preload_length 0
		.amdhsa_user_sgpr_kernarg_preload_offset 0
		.amdhsa_user_sgpr_private_segment_size 0
		.amdhsa_uses_dynamic_stack 0
		.amdhsa_system_sgpr_private_segment_wavefront_offset 0
		.amdhsa_system_sgpr_workgroup_id_x 1
		.amdhsa_system_sgpr_workgroup_id_y 0
		.amdhsa_system_sgpr_workgroup_id_z 0
		.amdhsa_system_sgpr_workgroup_info 0
		.amdhsa_system_vgpr_workitem_id 0
		.amdhsa_next_free_vgpr 1
		.amdhsa_next_free_sgpr 0
		.amdhsa_accum_offset 4
		.amdhsa_reserve_vcc 0
		.amdhsa_reserve_flat_scratch 0
		.amdhsa_float_round_mode_32 0
		.amdhsa_float_round_mode_16_64 0
		.amdhsa_float_denorm_mode_32 3
		.amdhsa_float_denorm_mode_16_64 3
		.amdhsa_dx10_clamp 1
		.amdhsa_ieee_mode 1
		.amdhsa_fp16_overflow 0
		.amdhsa_tg_split 0
		.amdhsa_exception_fp_ieee_invalid_op 0
		.amdhsa_exception_fp_denorm_src 0
		.amdhsa_exception_fp_ieee_div_zero 0
		.amdhsa_exception_fp_ieee_overflow 0
		.amdhsa_exception_fp_ieee_underflow 0
		.amdhsa_exception_fp_ieee_inexact 0
		.amdhsa_exception_int_div_zero 0
	.end_amdhsa_kernel
	.section	.text._ZN7rocprim17ROCPRIM_400000_NS6detail17trampoline_kernelINS0_14default_configENS1_38merge_sort_block_merge_config_selectorItNS0_10empty_typeEEEZZNS1_27merge_sort_block_merge_implIS3_PtPS5_jNS1_19radix_merge_compareILb0ELb1EtNS0_19identity_decomposerEEEEE10hipError_tT0_T1_T2_jT3_P12ihipStream_tbPNSt15iterator_traitsISE_E10value_typeEPNSK_ISF_E10value_typeEPSG_NS1_7vsmem_tEENKUlT_SE_SF_SG_E_clIS8_S8_S9_S9_EESD_ST_SE_SF_SG_EUlST_E_NS1_11comp_targetILNS1_3genE2ELNS1_11target_archE906ELNS1_3gpuE6ELNS1_3repE0EEENS1_48merge_mergepath_partition_config_static_selectorELNS0_4arch9wavefront6targetE1EEEvSF_,"axG",@progbits,_ZN7rocprim17ROCPRIM_400000_NS6detail17trampoline_kernelINS0_14default_configENS1_38merge_sort_block_merge_config_selectorItNS0_10empty_typeEEEZZNS1_27merge_sort_block_merge_implIS3_PtPS5_jNS1_19radix_merge_compareILb0ELb1EtNS0_19identity_decomposerEEEEE10hipError_tT0_T1_T2_jT3_P12ihipStream_tbPNSt15iterator_traitsISE_E10value_typeEPNSK_ISF_E10value_typeEPSG_NS1_7vsmem_tEENKUlT_SE_SF_SG_E_clIS8_S8_S9_S9_EESD_ST_SE_SF_SG_EUlST_E_NS1_11comp_targetILNS1_3genE2ELNS1_11target_archE906ELNS1_3gpuE6ELNS1_3repE0EEENS1_48merge_mergepath_partition_config_static_selectorELNS0_4arch9wavefront6targetE1EEEvSF_,comdat
.Lfunc_end503:
	.size	_ZN7rocprim17ROCPRIM_400000_NS6detail17trampoline_kernelINS0_14default_configENS1_38merge_sort_block_merge_config_selectorItNS0_10empty_typeEEEZZNS1_27merge_sort_block_merge_implIS3_PtPS5_jNS1_19radix_merge_compareILb0ELb1EtNS0_19identity_decomposerEEEEE10hipError_tT0_T1_T2_jT3_P12ihipStream_tbPNSt15iterator_traitsISE_E10value_typeEPNSK_ISF_E10value_typeEPSG_NS1_7vsmem_tEENKUlT_SE_SF_SG_E_clIS8_S8_S9_S9_EESD_ST_SE_SF_SG_EUlST_E_NS1_11comp_targetILNS1_3genE2ELNS1_11target_archE906ELNS1_3gpuE6ELNS1_3repE0EEENS1_48merge_mergepath_partition_config_static_selectorELNS0_4arch9wavefront6targetE1EEEvSF_, .Lfunc_end503-_ZN7rocprim17ROCPRIM_400000_NS6detail17trampoline_kernelINS0_14default_configENS1_38merge_sort_block_merge_config_selectorItNS0_10empty_typeEEEZZNS1_27merge_sort_block_merge_implIS3_PtPS5_jNS1_19radix_merge_compareILb0ELb1EtNS0_19identity_decomposerEEEEE10hipError_tT0_T1_T2_jT3_P12ihipStream_tbPNSt15iterator_traitsISE_E10value_typeEPNSK_ISF_E10value_typeEPSG_NS1_7vsmem_tEENKUlT_SE_SF_SG_E_clIS8_S8_S9_S9_EESD_ST_SE_SF_SG_EUlST_E_NS1_11comp_targetILNS1_3genE2ELNS1_11target_archE906ELNS1_3gpuE6ELNS1_3repE0EEENS1_48merge_mergepath_partition_config_static_selectorELNS0_4arch9wavefront6targetE1EEEvSF_
                                        ; -- End function
	.section	.AMDGPU.csdata,"",@progbits
; Kernel info:
; codeLenInByte = 0
; NumSgprs: 4
; NumVgprs: 0
; NumAgprs: 0
; TotalNumVgprs: 0
; ScratchSize: 0
; MemoryBound: 0
; FloatMode: 240
; IeeeMode: 1
; LDSByteSize: 0 bytes/workgroup (compile time only)
; SGPRBlocks: 0
; VGPRBlocks: 0
; NumSGPRsForWavesPerEU: 4
; NumVGPRsForWavesPerEU: 1
; AccumOffset: 4
; Occupancy: 8
; WaveLimiterHint : 0
; COMPUTE_PGM_RSRC2:SCRATCH_EN: 0
; COMPUTE_PGM_RSRC2:USER_SGPR: 6
; COMPUTE_PGM_RSRC2:TRAP_HANDLER: 0
; COMPUTE_PGM_RSRC2:TGID_X_EN: 1
; COMPUTE_PGM_RSRC2:TGID_Y_EN: 0
; COMPUTE_PGM_RSRC2:TGID_Z_EN: 0
; COMPUTE_PGM_RSRC2:TIDIG_COMP_CNT: 0
; COMPUTE_PGM_RSRC3_GFX90A:ACCUM_OFFSET: 0
; COMPUTE_PGM_RSRC3_GFX90A:TG_SPLIT: 0
	.section	.text._ZN7rocprim17ROCPRIM_400000_NS6detail17trampoline_kernelINS0_14default_configENS1_38merge_sort_block_merge_config_selectorItNS0_10empty_typeEEEZZNS1_27merge_sort_block_merge_implIS3_PtPS5_jNS1_19radix_merge_compareILb0ELb1EtNS0_19identity_decomposerEEEEE10hipError_tT0_T1_T2_jT3_P12ihipStream_tbPNSt15iterator_traitsISE_E10value_typeEPNSK_ISF_E10value_typeEPSG_NS1_7vsmem_tEENKUlT_SE_SF_SG_E_clIS8_S8_S9_S9_EESD_ST_SE_SF_SG_EUlST_E_NS1_11comp_targetILNS1_3genE9ELNS1_11target_archE1100ELNS1_3gpuE3ELNS1_3repE0EEENS1_48merge_mergepath_partition_config_static_selectorELNS0_4arch9wavefront6targetE1EEEvSF_,"axG",@progbits,_ZN7rocprim17ROCPRIM_400000_NS6detail17trampoline_kernelINS0_14default_configENS1_38merge_sort_block_merge_config_selectorItNS0_10empty_typeEEEZZNS1_27merge_sort_block_merge_implIS3_PtPS5_jNS1_19radix_merge_compareILb0ELb1EtNS0_19identity_decomposerEEEEE10hipError_tT0_T1_T2_jT3_P12ihipStream_tbPNSt15iterator_traitsISE_E10value_typeEPNSK_ISF_E10value_typeEPSG_NS1_7vsmem_tEENKUlT_SE_SF_SG_E_clIS8_S8_S9_S9_EESD_ST_SE_SF_SG_EUlST_E_NS1_11comp_targetILNS1_3genE9ELNS1_11target_archE1100ELNS1_3gpuE3ELNS1_3repE0EEENS1_48merge_mergepath_partition_config_static_selectorELNS0_4arch9wavefront6targetE1EEEvSF_,comdat
	.protected	_ZN7rocprim17ROCPRIM_400000_NS6detail17trampoline_kernelINS0_14default_configENS1_38merge_sort_block_merge_config_selectorItNS0_10empty_typeEEEZZNS1_27merge_sort_block_merge_implIS3_PtPS5_jNS1_19radix_merge_compareILb0ELb1EtNS0_19identity_decomposerEEEEE10hipError_tT0_T1_T2_jT3_P12ihipStream_tbPNSt15iterator_traitsISE_E10value_typeEPNSK_ISF_E10value_typeEPSG_NS1_7vsmem_tEENKUlT_SE_SF_SG_E_clIS8_S8_S9_S9_EESD_ST_SE_SF_SG_EUlST_E_NS1_11comp_targetILNS1_3genE9ELNS1_11target_archE1100ELNS1_3gpuE3ELNS1_3repE0EEENS1_48merge_mergepath_partition_config_static_selectorELNS0_4arch9wavefront6targetE1EEEvSF_ ; -- Begin function _ZN7rocprim17ROCPRIM_400000_NS6detail17trampoline_kernelINS0_14default_configENS1_38merge_sort_block_merge_config_selectorItNS0_10empty_typeEEEZZNS1_27merge_sort_block_merge_implIS3_PtPS5_jNS1_19radix_merge_compareILb0ELb1EtNS0_19identity_decomposerEEEEE10hipError_tT0_T1_T2_jT3_P12ihipStream_tbPNSt15iterator_traitsISE_E10value_typeEPNSK_ISF_E10value_typeEPSG_NS1_7vsmem_tEENKUlT_SE_SF_SG_E_clIS8_S8_S9_S9_EESD_ST_SE_SF_SG_EUlST_E_NS1_11comp_targetILNS1_3genE9ELNS1_11target_archE1100ELNS1_3gpuE3ELNS1_3repE0EEENS1_48merge_mergepath_partition_config_static_selectorELNS0_4arch9wavefront6targetE1EEEvSF_
	.globl	_ZN7rocprim17ROCPRIM_400000_NS6detail17trampoline_kernelINS0_14default_configENS1_38merge_sort_block_merge_config_selectorItNS0_10empty_typeEEEZZNS1_27merge_sort_block_merge_implIS3_PtPS5_jNS1_19radix_merge_compareILb0ELb1EtNS0_19identity_decomposerEEEEE10hipError_tT0_T1_T2_jT3_P12ihipStream_tbPNSt15iterator_traitsISE_E10value_typeEPNSK_ISF_E10value_typeEPSG_NS1_7vsmem_tEENKUlT_SE_SF_SG_E_clIS8_S8_S9_S9_EESD_ST_SE_SF_SG_EUlST_E_NS1_11comp_targetILNS1_3genE9ELNS1_11target_archE1100ELNS1_3gpuE3ELNS1_3repE0EEENS1_48merge_mergepath_partition_config_static_selectorELNS0_4arch9wavefront6targetE1EEEvSF_
	.p2align	8
	.type	_ZN7rocprim17ROCPRIM_400000_NS6detail17trampoline_kernelINS0_14default_configENS1_38merge_sort_block_merge_config_selectorItNS0_10empty_typeEEEZZNS1_27merge_sort_block_merge_implIS3_PtPS5_jNS1_19radix_merge_compareILb0ELb1EtNS0_19identity_decomposerEEEEE10hipError_tT0_T1_T2_jT3_P12ihipStream_tbPNSt15iterator_traitsISE_E10value_typeEPNSK_ISF_E10value_typeEPSG_NS1_7vsmem_tEENKUlT_SE_SF_SG_E_clIS8_S8_S9_S9_EESD_ST_SE_SF_SG_EUlST_E_NS1_11comp_targetILNS1_3genE9ELNS1_11target_archE1100ELNS1_3gpuE3ELNS1_3repE0EEENS1_48merge_mergepath_partition_config_static_selectorELNS0_4arch9wavefront6targetE1EEEvSF_,@function
_ZN7rocprim17ROCPRIM_400000_NS6detail17trampoline_kernelINS0_14default_configENS1_38merge_sort_block_merge_config_selectorItNS0_10empty_typeEEEZZNS1_27merge_sort_block_merge_implIS3_PtPS5_jNS1_19radix_merge_compareILb0ELb1EtNS0_19identity_decomposerEEEEE10hipError_tT0_T1_T2_jT3_P12ihipStream_tbPNSt15iterator_traitsISE_E10value_typeEPNSK_ISF_E10value_typeEPSG_NS1_7vsmem_tEENKUlT_SE_SF_SG_E_clIS8_S8_S9_S9_EESD_ST_SE_SF_SG_EUlST_E_NS1_11comp_targetILNS1_3genE9ELNS1_11target_archE1100ELNS1_3gpuE3ELNS1_3repE0EEENS1_48merge_mergepath_partition_config_static_selectorELNS0_4arch9wavefront6targetE1EEEvSF_: ; @_ZN7rocprim17ROCPRIM_400000_NS6detail17trampoline_kernelINS0_14default_configENS1_38merge_sort_block_merge_config_selectorItNS0_10empty_typeEEEZZNS1_27merge_sort_block_merge_implIS3_PtPS5_jNS1_19radix_merge_compareILb0ELb1EtNS0_19identity_decomposerEEEEE10hipError_tT0_T1_T2_jT3_P12ihipStream_tbPNSt15iterator_traitsISE_E10value_typeEPNSK_ISF_E10value_typeEPSG_NS1_7vsmem_tEENKUlT_SE_SF_SG_E_clIS8_S8_S9_S9_EESD_ST_SE_SF_SG_EUlST_E_NS1_11comp_targetILNS1_3genE9ELNS1_11target_archE1100ELNS1_3gpuE3ELNS1_3repE0EEENS1_48merge_mergepath_partition_config_static_selectorELNS0_4arch9wavefront6targetE1EEEvSF_
; %bb.0:
	.section	.rodata,"a",@progbits
	.p2align	6, 0x0
	.amdhsa_kernel _ZN7rocprim17ROCPRIM_400000_NS6detail17trampoline_kernelINS0_14default_configENS1_38merge_sort_block_merge_config_selectorItNS0_10empty_typeEEEZZNS1_27merge_sort_block_merge_implIS3_PtPS5_jNS1_19radix_merge_compareILb0ELb1EtNS0_19identity_decomposerEEEEE10hipError_tT0_T1_T2_jT3_P12ihipStream_tbPNSt15iterator_traitsISE_E10value_typeEPNSK_ISF_E10value_typeEPSG_NS1_7vsmem_tEENKUlT_SE_SF_SG_E_clIS8_S8_S9_S9_EESD_ST_SE_SF_SG_EUlST_E_NS1_11comp_targetILNS1_3genE9ELNS1_11target_archE1100ELNS1_3gpuE3ELNS1_3repE0EEENS1_48merge_mergepath_partition_config_static_selectorELNS0_4arch9wavefront6targetE1EEEvSF_
		.amdhsa_group_segment_fixed_size 0
		.amdhsa_private_segment_fixed_size 0
		.amdhsa_kernarg_size 40
		.amdhsa_user_sgpr_count 6
		.amdhsa_user_sgpr_private_segment_buffer 1
		.amdhsa_user_sgpr_dispatch_ptr 0
		.amdhsa_user_sgpr_queue_ptr 0
		.amdhsa_user_sgpr_kernarg_segment_ptr 1
		.amdhsa_user_sgpr_dispatch_id 0
		.amdhsa_user_sgpr_flat_scratch_init 0
		.amdhsa_user_sgpr_kernarg_preload_length 0
		.amdhsa_user_sgpr_kernarg_preload_offset 0
		.amdhsa_user_sgpr_private_segment_size 0
		.amdhsa_uses_dynamic_stack 0
		.amdhsa_system_sgpr_private_segment_wavefront_offset 0
		.amdhsa_system_sgpr_workgroup_id_x 1
		.amdhsa_system_sgpr_workgroup_id_y 0
		.amdhsa_system_sgpr_workgroup_id_z 0
		.amdhsa_system_sgpr_workgroup_info 0
		.amdhsa_system_vgpr_workitem_id 0
		.amdhsa_next_free_vgpr 1
		.amdhsa_next_free_sgpr 0
		.amdhsa_accum_offset 4
		.amdhsa_reserve_vcc 0
		.amdhsa_reserve_flat_scratch 0
		.amdhsa_float_round_mode_32 0
		.amdhsa_float_round_mode_16_64 0
		.amdhsa_float_denorm_mode_32 3
		.amdhsa_float_denorm_mode_16_64 3
		.amdhsa_dx10_clamp 1
		.amdhsa_ieee_mode 1
		.amdhsa_fp16_overflow 0
		.amdhsa_tg_split 0
		.amdhsa_exception_fp_ieee_invalid_op 0
		.amdhsa_exception_fp_denorm_src 0
		.amdhsa_exception_fp_ieee_div_zero 0
		.amdhsa_exception_fp_ieee_overflow 0
		.amdhsa_exception_fp_ieee_underflow 0
		.amdhsa_exception_fp_ieee_inexact 0
		.amdhsa_exception_int_div_zero 0
	.end_amdhsa_kernel
	.section	.text._ZN7rocprim17ROCPRIM_400000_NS6detail17trampoline_kernelINS0_14default_configENS1_38merge_sort_block_merge_config_selectorItNS0_10empty_typeEEEZZNS1_27merge_sort_block_merge_implIS3_PtPS5_jNS1_19radix_merge_compareILb0ELb1EtNS0_19identity_decomposerEEEEE10hipError_tT0_T1_T2_jT3_P12ihipStream_tbPNSt15iterator_traitsISE_E10value_typeEPNSK_ISF_E10value_typeEPSG_NS1_7vsmem_tEENKUlT_SE_SF_SG_E_clIS8_S8_S9_S9_EESD_ST_SE_SF_SG_EUlST_E_NS1_11comp_targetILNS1_3genE9ELNS1_11target_archE1100ELNS1_3gpuE3ELNS1_3repE0EEENS1_48merge_mergepath_partition_config_static_selectorELNS0_4arch9wavefront6targetE1EEEvSF_,"axG",@progbits,_ZN7rocprim17ROCPRIM_400000_NS6detail17trampoline_kernelINS0_14default_configENS1_38merge_sort_block_merge_config_selectorItNS0_10empty_typeEEEZZNS1_27merge_sort_block_merge_implIS3_PtPS5_jNS1_19radix_merge_compareILb0ELb1EtNS0_19identity_decomposerEEEEE10hipError_tT0_T1_T2_jT3_P12ihipStream_tbPNSt15iterator_traitsISE_E10value_typeEPNSK_ISF_E10value_typeEPSG_NS1_7vsmem_tEENKUlT_SE_SF_SG_E_clIS8_S8_S9_S9_EESD_ST_SE_SF_SG_EUlST_E_NS1_11comp_targetILNS1_3genE9ELNS1_11target_archE1100ELNS1_3gpuE3ELNS1_3repE0EEENS1_48merge_mergepath_partition_config_static_selectorELNS0_4arch9wavefront6targetE1EEEvSF_,comdat
.Lfunc_end504:
	.size	_ZN7rocprim17ROCPRIM_400000_NS6detail17trampoline_kernelINS0_14default_configENS1_38merge_sort_block_merge_config_selectorItNS0_10empty_typeEEEZZNS1_27merge_sort_block_merge_implIS3_PtPS5_jNS1_19radix_merge_compareILb0ELb1EtNS0_19identity_decomposerEEEEE10hipError_tT0_T1_T2_jT3_P12ihipStream_tbPNSt15iterator_traitsISE_E10value_typeEPNSK_ISF_E10value_typeEPSG_NS1_7vsmem_tEENKUlT_SE_SF_SG_E_clIS8_S8_S9_S9_EESD_ST_SE_SF_SG_EUlST_E_NS1_11comp_targetILNS1_3genE9ELNS1_11target_archE1100ELNS1_3gpuE3ELNS1_3repE0EEENS1_48merge_mergepath_partition_config_static_selectorELNS0_4arch9wavefront6targetE1EEEvSF_, .Lfunc_end504-_ZN7rocprim17ROCPRIM_400000_NS6detail17trampoline_kernelINS0_14default_configENS1_38merge_sort_block_merge_config_selectorItNS0_10empty_typeEEEZZNS1_27merge_sort_block_merge_implIS3_PtPS5_jNS1_19radix_merge_compareILb0ELb1EtNS0_19identity_decomposerEEEEE10hipError_tT0_T1_T2_jT3_P12ihipStream_tbPNSt15iterator_traitsISE_E10value_typeEPNSK_ISF_E10value_typeEPSG_NS1_7vsmem_tEENKUlT_SE_SF_SG_E_clIS8_S8_S9_S9_EESD_ST_SE_SF_SG_EUlST_E_NS1_11comp_targetILNS1_3genE9ELNS1_11target_archE1100ELNS1_3gpuE3ELNS1_3repE0EEENS1_48merge_mergepath_partition_config_static_selectorELNS0_4arch9wavefront6targetE1EEEvSF_
                                        ; -- End function
	.section	.AMDGPU.csdata,"",@progbits
; Kernel info:
; codeLenInByte = 0
; NumSgprs: 4
; NumVgprs: 0
; NumAgprs: 0
; TotalNumVgprs: 0
; ScratchSize: 0
; MemoryBound: 0
; FloatMode: 240
; IeeeMode: 1
; LDSByteSize: 0 bytes/workgroup (compile time only)
; SGPRBlocks: 0
; VGPRBlocks: 0
; NumSGPRsForWavesPerEU: 4
; NumVGPRsForWavesPerEU: 1
; AccumOffset: 4
; Occupancy: 8
; WaveLimiterHint : 0
; COMPUTE_PGM_RSRC2:SCRATCH_EN: 0
; COMPUTE_PGM_RSRC2:USER_SGPR: 6
; COMPUTE_PGM_RSRC2:TRAP_HANDLER: 0
; COMPUTE_PGM_RSRC2:TGID_X_EN: 1
; COMPUTE_PGM_RSRC2:TGID_Y_EN: 0
; COMPUTE_PGM_RSRC2:TGID_Z_EN: 0
; COMPUTE_PGM_RSRC2:TIDIG_COMP_CNT: 0
; COMPUTE_PGM_RSRC3_GFX90A:ACCUM_OFFSET: 0
; COMPUTE_PGM_RSRC3_GFX90A:TG_SPLIT: 0
	.section	.text._ZN7rocprim17ROCPRIM_400000_NS6detail17trampoline_kernelINS0_14default_configENS1_38merge_sort_block_merge_config_selectorItNS0_10empty_typeEEEZZNS1_27merge_sort_block_merge_implIS3_PtPS5_jNS1_19radix_merge_compareILb0ELb1EtNS0_19identity_decomposerEEEEE10hipError_tT0_T1_T2_jT3_P12ihipStream_tbPNSt15iterator_traitsISE_E10value_typeEPNSK_ISF_E10value_typeEPSG_NS1_7vsmem_tEENKUlT_SE_SF_SG_E_clIS8_S8_S9_S9_EESD_ST_SE_SF_SG_EUlST_E_NS1_11comp_targetILNS1_3genE8ELNS1_11target_archE1030ELNS1_3gpuE2ELNS1_3repE0EEENS1_48merge_mergepath_partition_config_static_selectorELNS0_4arch9wavefront6targetE1EEEvSF_,"axG",@progbits,_ZN7rocprim17ROCPRIM_400000_NS6detail17trampoline_kernelINS0_14default_configENS1_38merge_sort_block_merge_config_selectorItNS0_10empty_typeEEEZZNS1_27merge_sort_block_merge_implIS3_PtPS5_jNS1_19radix_merge_compareILb0ELb1EtNS0_19identity_decomposerEEEEE10hipError_tT0_T1_T2_jT3_P12ihipStream_tbPNSt15iterator_traitsISE_E10value_typeEPNSK_ISF_E10value_typeEPSG_NS1_7vsmem_tEENKUlT_SE_SF_SG_E_clIS8_S8_S9_S9_EESD_ST_SE_SF_SG_EUlST_E_NS1_11comp_targetILNS1_3genE8ELNS1_11target_archE1030ELNS1_3gpuE2ELNS1_3repE0EEENS1_48merge_mergepath_partition_config_static_selectorELNS0_4arch9wavefront6targetE1EEEvSF_,comdat
	.protected	_ZN7rocprim17ROCPRIM_400000_NS6detail17trampoline_kernelINS0_14default_configENS1_38merge_sort_block_merge_config_selectorItNS0_10empty_typeEEEZZNS1_27merge_sort_block_merge_implIS3_PtPS5_jNS1_19radix_merge_compareILb0ELb1EtNS0_19identity_decomposerEEEEE10hipError_tT0_T1_T2_jT3_P12ihipStream_tbPNSt15iterator_traitsISE_E10value_typeEPNSK_ISF_E10value_typeEPSG_NS1_7vsmem_tEENKUlT_SE_SF_SG_E_clIS8_S8_S9_S9_EESD_ST_SE_SF_SG_EUlST_E_NS1_11comp_targetILNS1_3genE8ELNS1_11target_archE1030ELNS1_3gpuE2ELNS1_3repE0EEENS1_48merge_mergepath_partition_config_static_selectorELNS0_4arch9wavefront6targetE1EEEvSF_ ; -- Begin function _ZN7rocprim17ROCPRIM_400000_NS6detail17trampoline_kernelINS0_14default_configENS1_38merge_sort_block_merge_config_selectorItNS0_10empty_typeEEEZZNS1_27merge_sort_block_merge_implIS3_PtPS5_jNS1_19radix_merge_compareILb0ELb1EtNS0_19identity_decomposerEEEEE10hipError_tT0_T1_T2_jT3_P12ihipStream_tbPNSt15iterator_traitsISE_E10value_typeEPNSK_ISF_E10value_typeEPSG_NS1_7vsmem_tEENKUlT_SE_SF_SG_E_clIS8_S8_S9_S9_EESD_ST_SE_SF_SG_EUlST_E_NS1_11comp_targetILNS1_3genE8ELNS1_11target_archE1030ELNS1_3gpuE2ELNS1_3repE0EEENS1_48merge_mergepath_partition_config_static_selectorELNS0_4arch9wavefront6targetE1EEEvSF_
	.globl	_ZN7rocprim17ROCPRIM_400000_NS6detail17trampoline_kernelINS0_14default_configENS1_38merge_sort_block_merge_config_selectorItNS0_10empty_typeEEEZZNS1_27merge_sort_block_merge_implIS3_PtPS5_jNS1_19radix_merge_compareILb0ELb1EtNS0_19identity_decomposerEEEEE10hipError_tT0_T1_T2_jT3_P12ihipStream_tbPNSt15iterator_traitsISE_E10value_typeEPNSK_ISF_E10value_typeEPSG_NS1_7vsmem_tEENKUlT_SE_SF_SG_E_clIS8_S8_S9_S9_EESD_ST_SE_SF_SG_EUlST_E_NS1_11comp_targetILNS1_3genE8ELNS1_11target_archE1030ELNS1_3gpuE2ELNS1_3repE0EEENS1_48merge_mergepath_partition_config_static_selectorELNS0_4arch9wavefront6targetE1EEEvSF_
	.p2align	8
	.type	_ZN7rocprim17ROCPRIM_400000_NS6detail17trampoline_kernelINS0_14default_configENS1_38merge_sort_block_merge_config_selectorItNS0_10empty_typeEEEZZNS1_27merge_sort_block_merge_implIS3_PtPS5_jNS1_19radix_merge_compareILb0ELb1EtNS0_19identity_decomposerEEEEE10hipError_tT0_T1_T2_jT3_P12ihipStream_tbPNSt15iterator_traitsISE_E10value_typeEPNSK_ISF_E10value_typeEPSG_NS1_7vsmem_tEENKUlT_SE_SF_SG_E_clIS8_S8_S9_S9_EESD_ST_SE_SF_SG_EUlST_E_NS1_11comp_targetILNS1_3genE8ELNS1_11target_archE1030ELNS1_3gpuE2ELNS1_3repE0EEENS1_48merge_mergepath_partition_config_static_selectorELNS0_4arch9wavefront6targetE1EEEvSF_,@function
_ZN7rocprim17ROCPRIM_400000_NS6detail17trampoline_kernelINS0_14default_configENS1_38merge_sort_block_merge_config_selectorItNS0_10empty_typeEEEZZNS1_27merge_sort_block_merge_implIS3_PtPS5_jNS1_19radix_merge_compareILb0ELb1EtNS0_19identity_decomposerEEEEE10hipError_tT0_T1_T2_jT3_P12ihipStream_tbPNSt15iterator_traitsISE_E10value_typeEPNSK_ISF_E10value_typeEPSG_NS1_7vsmem_tEENKUlT_SE_SF_SG_E_clIS8_S8_S9_S9_EESD_ST_SE_SF_SG_EUlST_E_NS1_11comp_targetILNS1_3genE8ELNS1_11target_archE1030ELNS1_3gpuE2ELNS1_3repE0EEENS1_48merge_mergepath_partition_config_static_selectorELNS0_4arch9wavefront6targetE1EEEvSF_: ; @_ZN7rocprim17ROCPRIM_400000_NS6detail17trampoline_kernelINS0_14default_configENS1_38merge_sort_block_merge_config_selectorItNS0_10empty_typeEEEZZNS1_27merge_sort_block_merge_implIS3_PtPS5_jNS1_19radix_merge_compareILb0ELb1EtNS0_19identity_decomposerEEEEE10hipError_tT0_T1_T2_jT3_P12ihipStream_tbPNSt15iterator_traitsISE_E10value_typeEPNSK_ISF_E10value_typeEPSG_NS1_7vsmem_tEENKUlT_SE_SF_SG_E_clIS8_S8_S9_S9_EESD_ST_SE_SF_SG_EUlST_E_NS1_11comp_targetILNS1_3genE8ELNS1_11target_archE1030ELNS1_3gpuE2ELNS1_3repE0EEENS1_48merge_mergepath_partition_config_static_selectorELNS0_4arch9wavefront6targetE1EEEvSF_
; %bb.0:
	.section	.rodata,"a",@progbits
	.p2align	6, 0x0
	.amdhsa_kernel _ZN7rocprim17ROCPRIM_400000_NS6detail17trampoline_kernelINS0_14default_configENS1_38merge_sort_block_merge_config_selectorItNS0_10empty_typeEEEZZNS1_27merge_sort_block_merge_implIS3_PtPS5_jNS1_19radix_merge_compareILb0ELb1EtNS0_19identity_decomposerEEEEE10hipError_tT0_T1_T2_jT3_P12ihipStream_tbPNSt15iterator_traitsISE_E10value_typeEPNSK_ISF_E10value_typeEPSG_NS1_7vsmem_tEENKUlT_SE_SF_SG_E_clIS8_S8_S9_S9_EESD_ST_SE_SF_SG_EUlST_E_NS1_11comp_targetILNS1_3genE8ELNS1_11target_archE1030ELNS1_3gpuE2ELNS1_3repE0EEENS1_48merge_mergepath_partition_config_static_selectorELNS0_4arch9wavefront6targetE1EEEvSF_
		.amdhsa_group_segment_fixed_size 0
		.amdhsa_private_segment_fixed_size 0
		.amdhsa_kernarg_size 40
		.amdhsa_user_sgpr_count 6
		.amdhsa_user_sgpr_private_segment_buffer 1
		.amdhsa_user_sgpr_dispatch_ptr 0
		.amdhsa_user_sgpr_queue_ptr 0
		.amdhsa_user_sgpr_kernarg_segment_ptr 1
		.amdhsa_user_sgpr_dispatch_id 0
		.amdhsa_user_sgpr_flat_scratch_init 0
		.amdhsa_user_sgpr_kernarg_preload_length 0
		.amdhsa_user_sgpr_kernarg_preload_offset 0
		.amdhsa_user_sgpr_private_segment_size 0
		.amdhsa_uses_dynamic_stack 0
		.amdhsa_system_sgpr_private_segment_wavefront_offset 0
		.amdhsa_system_sgpr_workgroup_id_x 1
		.amdhsa_system_sgpr_workgroup_id_y 0
		.amdhsa_system_sgpr_workgroup_id_z 0
		.amdhsa_system_sgpr_workgroup_info 0
		.amdhsa_system_vgpr_workitem_id 0
		.amdhsa_next_free_vgpr 1
		.amdhsa_next_free_sgpr 0
		.amdhsa_accum_offset 4
		.amdhsa_reserve_vcc 0
		.amdhsa_reserve_flat_scratch 0
		.amdhsa_float_round_mode_32 0
		.amdhsa_float_round_mode_16_64 0
		.amdhsa_float_denorm_mode_32 3
		.amdhsa_float_denorm_mode_16_64 3
		.amdhsa_dx10_clamp 1
		.amdhsa_ieee_mode 1
		.amdhsa_fp16_overflow 0
		.amdhsa_tg_split 0
		.amdhsa_exception_fp_ieee_invalid_op 0
		.amdhsa_exception_fp_denorm_src 0
		.amdhsa_exception_fp_ieee_div_zero 0
		.amdhsa_exception_fp_ieee_overflow 0
		.amdhsa_exception_fp_ieee_underflow 0
		.amdhsa_exception_fp_ieee_inexact 0
		.amdhsa_exception_int_div_zero 0
	.end_amdhsa_kernel
	.section	.text._ZN7rocprim17ROCPRIM_400000_NS6detail17trampoline_kernelINS0_14default_configENS1_38merge_sort_block_merge_config_selectorItNS0_10empty_typeEEEZZNS1_27merge_sort_block_merge_implIS3_PtPS5_jNS1_19radix_merge_compareILb0ELb1EtNS0_19identity_decomposerEEEEE10hipError_tT0_T1_T2_jT3_P12ihipStream_tbPNSt15iterator_traitsISE_E10value_typeEPNSK_ISF_E10value_typeEPSG_NS1_7vsmem_tEENKUlT_SE_SF_SG_E_clIS8_S8_S9_S9_EESD_ST_SE_SF_SG_EUlST_E_NS1_11comp_targetILNS1_3genE8ELNS1_11target_archE1030ELNS1_3gpuE2ELNS1_3repE0EEENS1_48merge_mergepath_partition_config_static_selectorELNS0_4arch9wavefront6targetE1EEEvSF_,"axG",@progbits,_ZN7rocprim17ROCPRIM_400000_NS6detail17trampoline_kernelINS0_14default_configENS1_38merge_sort_block_merge_config_selectorItNS0_10empty_typeEEEZZNS1_27merge_sort_block_merge_implIS3_PtPS5_jNS1_19radix_merge_compareILb0ELb1EtNS0_19identity_decomposerEEEEE10hipError_tT0_T1_T2_jT3_P12ihipStream_tbPNSt15iterator_traitsISE_E10value_typeEPNSK_ISF_E10value_typeEPSG_NS1_7vsmem_tEENKUlT_SE_SF_SG_E_clIS8_S8_S9_S9_EESD_ST_SE_SF_SG_EUlST_E_NS1_11comp_targetILNS1_3genE8ELNS1_11target_archE1030ELNS1_3gpuE2ELNS1_3repE0EEENS1_48merge_mergepath_partition_config_static_selectorELNS0_4arch9wavefront6targetE1EEEvSF_,comdat
.Lfunc_end505:
	.size	_ZN7rocprim17ROCPRIM_400000_NS6detail17trampoline_kernelINS0_14default_configENS1_38merge_sort_block_merge_config_selectorItNS0_10empty_typeEEEZZNS1_27merge_sort_block_merge_implIS3_PtPS5_jNS1_19radix_merge_compareILb0ELb1EtNS0_19identity_decomposerEEEEE10hipError_tT0_T1_T2_jT3_P12ihipStream_tbPNSt15iterator_traitsISE_E10value_typeEPNSK_ISF_E10value_typeEPSG_NS1_7vsmem_tEENKUlT_SE_SF_SG_E_clIS8_S8_S9_S9_EESD_ST_SE_SF_SG_EUlST_E_NS1_11comp_targetILNS1_3genE8ELNS1_11target_archE1030ELNS1_3gpuE2ELNS1_3repE0EEENS1_48merge_mergepath_partition_config_static_selectorELNS0_4arch9wavefront6targetE1EEEvSF_, .Lfunc_end505-_ZN7rocprim17ROCPRIM_400000_NS6detail17trampoline_kernelINS0_14default_configENS1_38merge_sort_block_merge_config_selectorItNS0_10empty_typeEEEZZNS1_27merge_sort_block_merge_implIS3_PtPS5_jNS1_19radix_merge_compareILb0ELb1EtNS0_19identity_decomposerEEEEE10hipError_tT0_T1_T2_jT3_P12ihipStream_tbPNSt15iterator_traitsISE_E10value_typeEPNSK_ISF_E10value_typeEPSG_NS1_7vsmem_tEENKUlT_SE_SF_SG_E_clIS8_S8_S9_S9_EESD_ST_SE_SF_SG_EUlST_E_NS1_11comp_targetILNS1_3genE8ELNS1_11target_archE1030ELNS1_3gpuE2ELNS1_3repE0EEENS1_48merge_mergepath_partition_config_static_selectorELNS0_4arch9wavefront6targetE1EEEvSF_
                                        ; -- End function
	.section	.AMDGPU.csdata,"",@progbits
; Kernel info:
; codeLenInByte = 0
; NumSgprs: 4
; NumVgprs: 0
; NumAgprs: 0
; TotalNumVgprs: 0
; ScratchSize: 0
; MemoryBound: 0
; FloatMode: 240
; IeeeMode: 1
; LDSByteSize: 0 bytes/workgroup (compile time only)
; SGPRBlocks: 0
; VGPRBlocks: 0
; NumSGPRsForWavesPerEU: 4
; NumVGPRsForWavesPerEU: 1
; AccumOffset: 4
; Occupancy: 8
; WaveLimiterHint : 0
; COMPUTE_PGM_RSRC2:SCRATCH_EN: 0
; COMPUTE_PGM_RSRC2:USER_SGPR: 6
; COMPUTE_PGM_RSRC2:TRAP_HANDLER: 0
; COMPUTE_PGM_RSRC2:TGID_X_EN: 1
; COMPUTE_PGM_RSRC2:TGID_Y_EN: 0
; COMPUTE_PGM_RSRC2:TGID_Z_EN: 0
; COMPUTE_PGM_RSRC2:TIDIG_COMP_CNT: 0
; COMPUTE_PGM_RSRC3_GFX90A:ACCUM_OFFSET: 0
; COMPUTE_PGM_RSRC3_GFX90A:TG_SPLIT: 0
	.section	.text._ZN7rocprim17ROCPRIM_400000_NS6detail17trampoline_kernelINS0_14default_configENS1_38merge_sort_block_merge_config_selectorItNS0_10empty_typeEEEZZNS1_27merge_sort_block_merge_implIS3_PtPS5_jNS1_19radix_merge_compareILb0ELb1EtNS0_19identity_decomposerEEEEE10hipError_tT0_T1_T2_jT3_P12ihipStream_tbPNSt15iterator_traitsISE_E10value_typeEPNSK_ISF_E10value_typeEPSG_NS1_7vsmem_tEENKUlT_SE_SF_SG_E_clIS8_S8_S9_S9_EESD_ST_SE_SF_SG_EUlST_E0_NS1_11comp_targetILNS1_3genE0ELNS1_11target_archE4294967295ELNS1_3gpuE0ELNS1_3repE0EEENS1_38merge_mergepath_config_static_selectorELNS0_4arch9wavefront6targetE1EEEvSF_,"axG",@progbits,_ZN7rocprim17ROCPRIM_400000_NS6detail17trampoline_kernelINS0_14default_configENS1_38merge_sort_block_merge_config_selectorItNS0_10empty_typeEEEZZNS1_27merge_sort_block_merge_implIS3_PtPS5_jNS1_19radix_merge_compareILb0ELb1EtNS0_19identity_decomposerEEEEE10hipError_tT0_T1_T2_jT3_P12ihipStream_tbPNSt15iterator_traitsISE_E10value_typeEPNSK_ISF_E10value_typeEPSG_NS1_7vsmem_tEENKUlT_SE_SF_SG_E_clIS8_S8_S9_S9_EESD_ST_SE_SF_SG_EUlST_E0_NS1_11comp_targetILNS1_3genE0ELNS1_11target_archE4294967295ELNS1_3gpuE0ELNS1_3repE0EEENS1_38merge_mergepath_config_static_selectorELNS0_4arch9wavefront6targetE1EEEvSF_,comdat
	.protected	_ZN7rocprim17ROCPRIM_400000_NS6detail17trampoline_kernelINS0_14default_configENS1_38merge_sort_block_merge_config_selectorItNS0_10empty_typeEEEZZNS1_27merge_sort_block_merge_implIS3_PtPS5_jNS1_19radix_merge_compareILb0ELb1EtNS0_19identity_decomposerEEEEE10hipError_tT0_T1_T2_jT3_P12ihipStream_tbPNSt15iterator_traitsISE_E10value_typeEPNSK_ISF_E10value_typeEPSG_NS1_7vsmem_tEENKUlT_SE_SF_SG_E_clIS8_S8_S9_S9_EESD_ST_SE_SF_SG_EUlST_E0_NS1_11comp_targetILNS1_3genE0ELNS1_11target_archE4294967295ELNS1_3gpuE0ELNS1_3repE0EEENS1_38merge_mergepath_config_static_selectorELNS0_4arch9wavefront6targetE1EEEvSF_ ; -- Begin function _ZN7rocprim17ROCPRIM_400000_NS6detail17trampoline_kernelINS0_14default_configENS1_38merge_sort_block_merge_config_selectorItNS0_10empty_typeEEEZZNS1_27merge_sort_block_merge_implIS3_PtPS5_jNS1_19radix_merge_compareILb0ELb1EtNS0_19identity_decomposerEEEEE10hipError_tT0_T1_T2_jT3_P12ihipStream_tbPNSt15iterator_traitsISE_E10value_typeEPNSK_ISF_E10value_typeEPSG_NS1_7vsmem_tEENKUlT_SE_SF_SG_E_clIS8_S8_S9_S9_EESD_ST_SE_SF_SG_EUlST_E0_NS1_11comp_targetILNS1_3genE0ELNS1_11target_archE4294967295ELNS1_3gpuE0ELNS1_3repE0EEENS1_38merge_mergepath_config_static_selectorELNS0_4arch9wavefront6targetE1EEEvSF_
	.globl	_ZN7rocprim17ROCPRIM_400000_NS6detail17trampoline_kernelINS0_14default_configENS1_38merge_sort_block_merge_config_selectorItNS0_10empty_typeEEEZZNS1_27merge_sort_block_merge_implIS3_PtPS5_jNS1_19radix_merge_compareILb0ELb1EtNS0_19identity_decomposerEEEEE10hipError_tT0_T1_T2_jT3_P12ihipStream_tbPNSt15iterator_traitsISE_E10value_typeEPNSK_ISF_E10value_typeEPSG_NS1_7vsmem_tEENKUlT_SE_SF_SG_E_clIS8_S8_S9_S9_EESD_ST_SE_SF_SG_EUlST_E0_NS1_11comp_targetILNS1_3genE0ELNS1_11target_archE4294967295ELNS1_3gpuE0ELNS1_3repE0EEENS1_38merge_mergepath_config_static_selectorELNS0_4arch9wavefront6targetE1EEEvSF_
	.p2align	8
	.type	_ZN7rocprim17ROCPRIM_400000_NS6detail17trampoline_kernelINS0_14default_configENS1_38merge_sort_block_merge_config_selectorItNS0_10empty_typeEEEZZNS1_27merge_sort_block_merge_implIS3_PtPS5_jNS1_19radix_merge_compareILb0ELb1EtNS0_19identity_decomposerEEEEE10hipError_tT0_T1_T2_jT3_P12ihipStream_tbPNSt15iterator_traitsISE_E10value_typeEPNSK_ISF_E10value_typeEPSG_NS1_7vsmem_tEENKUlT_SE_SF_SG_E_clIS8_S8_S9_S9_EESD_ST_SE_SF_SG_EUlST_E0_NS1_11comp_targetILNS1_3genE0ELNS1_11target_archE4294967295ELNS1_3gpuE0ELNS1_3repE0EEENS1_38merge_mergepath_config_static_selectorELNS0_4arch9wavefront6targetE1EEEvSF_,@function
_ZN7rocprim17ROCPRIM_400000_NS6detail17trampoline_kernelINS0_14default_configENS1_38merge_sort_block_merge_config_selectorItNS0_10empty_typeEEEZZNS1_27merge_sort_block_merge_implIS3_PtPS5_jNS1_19radix_merge_compareILb0ELb1EtNS0_19identity_decomposerEEEEE10hipError_tT0_T1_T2_jT3_P12ihipStream_tbPNSt15iterator_traitsISE_E10value_typeEPNSK_ISF_E10value_typeEPSG_NS1_7vsmem_tEENKUlT_SE_SF_SG_E_clIS8_S8_S9_S9_EESD_ST_SE_SF_SG_EUlST_E0_NS1_11comp_targetILNS1_3genE0ELNS1_11target_archE4294967295ELNS1_3gpuE0ELNS1_3repE0EEENS1_38merge_mergepath_config_static_selectorELNS0_4arch9wavefront6targetE1EEEvSF_: ; @_ZN7rocprim17ROCPRIM_400000_NS6detail17trampoline_kernelINS0_14default_configENS1_38merge_sort_block_merge_config_selectorItNS0_10empty_typeEEEZZNS1_27merge_sort_block_merge_implIS3_PtPS5_jNS1_19radix_merge_compareILb0ELb1EtNS0_19identity_decomposerEEEEE10hipError_tT0_T1_T2_jT3_P12ihipStream_tbPNSt15iterator_traitsISE_E10value_typeEPNSK_ISF_E10value_typeEPSG_NS1_7vsmem_tEENKUlT_SE_SF_SG_E_clIS8_S8_S9_S9_EESD_ST_SE_SF_SG_EUlST_E0_NS1_11comp_targetILNS1_3genE0ELNS1_11target_archE4294967295ELNS1_3gpuE0ELNS1_3repE0EEENS1_38merge_mergepath_config_static_selectorELNS0_4arch9wavefront6targetE1EEEvSF_
; %bb.0:
	.section	.rodata,"a",@progbits
	.p2align	6, 0x0
	.amdhsa_kernel _ZN7rocprim17ROCPRIM_400000_NS6detail17trampoline_kernelINS0_14default_configENS1_38merge_sort_block_merge_config_selectorItNS0_10empty_typeEEEZZNS1_27merge_sort_block_merge_implIS3_PtPS5_jNS1_19radix_merge_compareILb0ELb1EtNS0_19identity_decomposerEEEEE10hipError_tT0_T1_T2_jT3_P12ihipStream_tbPNSt15iterator_traitsISE_E10value_typeEPNSK_ISF_E10value_typeEPSG_NS1_7vsmem_tEENKUlT_SE_SF_SG_E_clIS8_S8_S9_S9_EESD_ST_SE_SF_SG_EUlST_E0_NS1_11comp_targetILNS1_3genE0ELNS1_11target_archE4294967295ELNS1_3gpuE0ELNS1_3repE0EEENS1_38merge_mergepath_config_static_selectorELNS0_4arch9wavefront6targetE1EEEvSF_
		.amdhsa_group_segment_fixed_size 0
		.amdhsa_private_segment_fixed_size 0
		.amdhsa_kernarg_size 64
		.amdhsa_user_sgpr_count 6
		.amdhsa_user_sgpr_private_segment_buffer 1
		.amdhsa_user_sgpr_dispatch_ptr 0
		.amdhsa_user_sgpr_queue_ptr 0
		.amdhsa_user_sgpr_kernarg_segment_ptr 1
		.amdhsa_user_sgpr_dispatch_id 0
		.amdhsa_user_sgpr_flat_scratch_init 0
		.amdhsa_user_sgpr_kernarg_preload_length 0
		.amdhsa_user_sgpr_kernarg_preload_offset 0
		.amdhsa_user_sgpr_private_segment_size 0
		.amdhsa_uses_dynamic_stack 0
		.amdhsa_system_sgpr_private_segment_wavefront_offset 0
		.amdhsa_system_sgpr_workgroup_id_x 1
		.amdhsa_system_sgpr_workgroup_id_y 0
		.amdhsa_system_sgpr_workgroup_id_z 0
		.amdhsa_system_sgpr_workgroup_info 0
		.amdhsa_system_vgpr_workitem_id 0
		.amdhsa_next_free_vgpr 1
		.amdhsa_next_free_sgpr 0
		.amdhsa_accum_offset 4
		.amdhsa_reserve_vcc 0
		.amdhsa_reserve_flat_scratch 0
		.amdhsa_float_round_mode_32 0
		.amdhsa_float_round_mode_16_64 0
		.amdhsa_float_denorm_mode_32 3
		.amdhsa_float_denorm_mode_16_64 3
		.amdhsa_dx10_clamp 1
		.amdhsa_ieee_mode 1
		.amdhsa_fp16_overflow 0
		.amdhsa_tg_split 0
		.amdhsa_exception_fp_ieee_invalid_op 0
		.amdhsa_exception_fp_denorm_src 0
		.amdhsa_exception_fp_ieee_div_zero 0
		.amdhsa_exception_fp_ieee_overflow 0
		.amdhsa_exception_fp_ieee_underflow 0
		.amdhsa_exception_fp_ieee_inexact 0
		.amdhsa_exception_int_div_zero 0
	.end_amdhsa_kernel
	.section	.text._ZN7rocprim17ROCPRIM_400000_NS6detail17trampoline_kernelINS0_14default_configENS1_38merge_sort_block_merge_config_selectorItNS0_10empty_typeEEEZZNS1_27merge_sort_block_merge_implIS3_PtPS5_jNS1_19radix_merge_compareILb0ELb1EtNS0_19identity_decomposerEEEEE10hipError_tT0_T1_T2_jT3_P12ihipStream_tbPNSt15iterator_traitsISE_E10value_typeEPNSK_ISF_E10value_typeEPSG_NS1_7vsmem_tEENKUlT_SE_SF_SG_E_clIS8_S8_S9_S9_EESD_ST_SE_SF_SG_EUlST_E0_NS1_11comp_targetILNS1_3genE0ELNS1_11target_archE4294967295ELNS1_3gpuE0ELNS1_3repE0EEENS1_38merge_mergepath_config_static_selectorELNS0_4arch9wavefront6targetE1EEEvSF_,"axG",@progbits,_ZN7rocprim17ROCPRIM_400000_NS6detail17trampoline_kernelINS0_14default_configENS1_38merge_sort_block_merge_config_selectorItNS0_10empty_typeEEEZZNS1_27merge_sort_block_merge_implIS3_PtPS5_jNS1_19radix_merge_compareILb0ELb1EtNS0_19identity_decomposerEEEEE10hipError_tT0_T1_T2_jT3_P12ihipStream_tbPNSt15iterator_traitsISE_E10value_typeEPNSK_ISF_E10value_typeEPSG_NS1_7vsmem_tEENKUlT_SE_SF_SG_E_clIS8_S8_S9_S9_EESD_ST_SE_SF_SG_EUlST_E0_NS1_11comp_targetILNS1_3genE0ELNS1_11target_archE4294967295ELNS1_3gpuE0ELNS1_3repE0EEENS1_38merge_mergepath_config_static_selectorELNS0_4arch9wavefront6targetE1EEEvSF_,comdat
.Lfunc_end506:
	.size	_ZN7rocprim17ROCPRIM_400000_NS6detail17trampoline_kernelINS0_14default_configENS1_38merge_sort_block_merge_config_selectorItNS0_10empty_typeEEEZZNS1_27merge_sort_block_merge_implIS3_PtPS5_jNS1_19radix_merge_compareILb0ELb1EtNS0_19identity_decomposerEEEEE10hipError_tT0_T1_T2_jT3_P12ihipStream_tbPNSt15iterator_traitsISE_E10value_typeEPNSK_ISF_E10value_typeEPSG_NS1_7vsmem_tEENKUlT_SE_SF_SG_E_clIS8_S8_S9_S9_EESD_ST_SE_SF_SG_EUlST_E0_NS1_11comp_targetILNS1_3genE0ELNS1_11target_archE4294967295ELNS1_3gpuE0ELNS1_3repE0EEENS1_38merge_mergepath_config_static_selectorELNS0_4arch9wavefront6targetE1EEEvSF_, .Lfunc_end506-_ZN7rocprim17ROCPRIM_400000_NS6detail17trampoline_kernelINS0_14default_configENS1_38merge_sort_block_merge_config_selectorItNS0_10empty_typeEEEZZNS1_27merge_sort_block_merge_implIS3_PtPS5_jNS1_19radix_merge_compareILb0ELb1EtNS0_19identity_decomposerEEEEE10hipError_tT0_T1_T2_jT3_P12ihipStream_tbPNSt15iterator_traitsISE_E10value_typeEPNSK_ISF_E10value_typeEPSG_NS1_7vsmem_tEENKUlT_SE_SF_SG_E_clIS8_S8_S9_S9_EESD_ST_SE_SF_SG_EUlST_E0_NS1_11comp_targetILNS1_3genE0ELNS1_11target_archE4294967295ELNS1_3gpuE0ELNS1_3repE0EEENS1_38merge_mergepath_config_static_selectorELNS0_4arch9wavefront6targetE1EEEvSF_
                                        ; -- End function
	.section	.AMDGPU.csdata,"",@progbits
; Kernel info:
; codeLenInByte = 0
; NumSgprs: 4
; NumVgprs: 0
; NumAgprs: 0
; TotalNumVgprs: 0
; ScratchSize: 0
; MemoryBound: 0
; FloatMode: 240
; IeeeMode: 1
; LDSByteSize: 0 bytes/workgroup (compile time only)
; SGPRBlocks: 0
; VGPRBlocks: 0
; NumSGPRsForWavesPerEU: 4
; NumVGPRsForWavesPerEU: 1
; AccumOffset: 4
; Occupancy: 8
; WaveLimiterHint : 0
; COMPUTE_PGM_RSRC2:SCRATCH_EN: 0
; COMPUTE_PGM_RSRC2:USER_SGPR: 6
; COMPUTE_PGM_RSRC2:TRAP_HANDLER: 0
; COMPUTE_PGM_RSRC2:TGID_X_EN: 1
; COMPUTE_PGM_RSRC2:TGID_Y_EN: 0
; COMPUTE_PGM_RSRC2:TGID_Z_EN: 0
; COMPUTE_PGM_RSRC2:TIDIG_COMP_CNT: 0
; COMPUTE_PGM_RSRC3_GFX90A:ACCUM_OFFSET: 0
; COMPUTE_PGM_RSRC3_GFX90A:TG_SPLIT: 0
	.section	.text._ZN7rocprim17ROCPRIM_400000_NS6detail17trampoline_kernelINS0_14default_configENS1_38merge_sort_block_merge_config_selectorItNS0_10empty_typeEEEZZNS1_27merge_sort_block_merge_implIS3_PtPS5_jNS1_19radix_merge_compareILb0ELb1EtNS0_19identity_decomposerEEEEE10hipError_tT0_T1_T2_jT3_P12ihipStream_tbPNSt15iterator_traitsISE_E10value_typeEPNSK_ISF_E10value_typeEPSG_NS1_7vsmem_tEENKUlT_SE_SF_SG_E_clIS8_S8_S9_S9_EESD_ST_SE_SF_SG_EUlST_E0_NS1_11comp_targetILNS1_3genE10ELNS1_11target_archE1201ELNS1_3gpuE5ELNS1_3repE0EEENS1_38merge_mergepath_config_static_selectorELNS0_4arch9wavefront6targetE1EEEvSF_,"axG",@progbits,_ZN7rocprim17ROCPRIM_400000_NS6detail17trampoline_kernelINS0_14default_configENS1_38merge_sort_block_merge_config_selectorItNS0_10empty_typeEEEZZNS1_27merge_sort_block_merge_implIS3_PtPS5_jNS1_19radix_merge_compareILb0ELb1EtNS0_19identity_decomposerEEEEE10hipError_tT0_T1_T2_jT3_P12ihipStream_tbPNSt15iterator_traitsISE_E10value_typeEPNSK_ISF_E10value_typeEPSG_NS1_7vsmem_tEENKUlT_SE_SF_SG_E_clIS8_S8_S9_S9_EESD_ST_SE_SF_SG_EUlST_E0_NS1_11comp_targetILNS1_3genE10ELNS1_11target_archE1201ELNS1_3gpuE5ELNS1_3repE0EEENS1_38merge_mergepath_config_static_selectorELNS0_4arch9wavefront6targetE1EEEvSF_,comdat
	.protected	_ZN7rocprim17ROCPRIM_400000_NS6detail17trampoline_kernelINS0_14default_configENS1_38merge_sort_block_merge_config_selectorItNS0_10empty_typeEEEZZNS1_27merge_sort_block_merge_implIS3_PtPS5_jNS1_19radix_merge_compareILb0ELb1EtNS0_19identity_decomposerEEEEE10hipError_tT0_T1_T2_jT3_P12ihipStream_tbPNSt15iterator_traitsISE_E10value_typeEPNSK_ISF_E10value_typeEPSG_NS1_7vsmem_tEENKUlT_SE_SF_SG_E_clIS8_S8_S9_S9_EESD_ST_SE_SF_SG_EUlST_E0_NS1_11comp_targetILNS1_3genE10ELNS1_11target_archE1201ELNS1_3gpuE5ELNS1_3repE0EEENS1_38merge_mergepath_config_static_selectorELNS0_4arch9wavefront6targetE1EEEvSF_ ; -- Begin function _ZN7rocprim17ROCPRIM_400000_NS6detail17trampoline_kernelINS0_14default_configENS1_38merge_sort_block_merge_config_selectorItNS0_10empty_typeEEEZZNS1_27merge_sort_block_merge_implIS3_PtPS5_jNS1_19radix_merge_compareILb0ELb1EtNS0_19identity_decomposerEEEEE10hipError_tT0_T1_T2_jT3_P12ihipStream_tbPNSt15iterator_traitsISE_E10value_typeEPNSK_ISF_E10value_typeEPSG_NS1_7vsmem_tEENKUlT_SE_SF_SG_E_clIS8_S8_S9_S9_EESD_ST_SE_SF_SG_EUlST_E0_NS1_11comp_targetILNS1_3genE10ELNS1_11target_archE1201ELNS1_3gpuE5ELNS1_3repE0EEENS1_38merge_mergepath_config_static_selectorELNS0_4arch9wavefront6targetE1EEEvSF_
	.globl	_ZN7rocprim17ROCPRIM_400000_NS6detail17trampoline_kernelINS0_14default_configENS1_38merge_sort_block_merge_config_selectorItNS0_10empty_typeEEEZZNS1_27merge_sort_block_merge_implIS3_PtPS5_jNS1_19radix_merge_compareILb0ELb1EtNS0_19identity_decomposerEEEEE10hipError_tT0_T1_T2_jT3_P12ihipStream_tbPNSt15iterator_traitsISE_E10value_typeEPNSK_ISF_E10value_typeEPSG_NS1_7vsmem_tEENKUlT_SE_SF_SG_E_clIS8_S8_S9_S9_EESD_ST_SE_SF_SG_EUlST_E0_NS1_11comp_targetILNS1_3genE10ELNS1_11target_archE1201ELNS1_3gpuE5ELNS1_3repE0EEENS1_38merge_mergepath_config_static_selectorELNS0_4arch9wavefront6targetE1EEEvSF_
	.p2align	8
	.type	_ZN7rocprim17ROCPRIM_400000_NS6detail17trampoline_kernelINS0_14default_configENS1_38merge_sort_block_merge_config_selectorItNS0_10empty_typeEEEZZNS1_27merge_sort_block_merge_implIS3_PtPS5_jNS1_19radix_merge_compareILb0ELb1EtNS0_19identity_decomposerEEEEE10hipError_tT0_T1_T2_jT3_P12ihipStream_tbPNSt15iterator_traitsISE_E10value_typeEPNSK_ISF_E10value_typeEPSG_NS1_7vsmem_tEENKUlT_SE_SF_SG_E_clIS8_S8_S9_S9_EESD_ST_SE_SF_SG_EUlST_E0_NS1_11comp_targetILNS1_3genE10ELNS1_11target_archE1201ELNS1_3gpuE5ELNS1_3repE0EEENS1_38merge_mergepath_config_static_selectorELNS0_4arch9wavefront6targetE1EEEvSF_,@function
_ZN7rocprim17ROCPRIM_400000_NS6detail17trampoline_kernelINS0_14default_configENS1_38merge_sort_block_merge_config_selectorItNS0_10empty_typeEEEZZNS1_27merge_sort_block_merge_implIS3_PtPS5_jNS1_19radix_merge_compareILb0ELb1EtNS0_19identity_decomposerEEEEE10hipError_tT0_T1_T2_jT3_P12ihipStream_tbPNSt15iterator_traitsISE_E10value_typeEPNSK_ISF_E10value_typeEPSG_NS1_7vsmem_tEENKUlT_SE_SF_SG_E_clIS8_S8_S9_S9_EESD_ST_SE_SF_SG_EUlST_E0_NS1_11comp_targetILNS1_3genE10ELNS1_11target_archE1201ELNS1_3gpuE5ELNS1_3repE0EEENS1_38merge_mergepath_config_static_selectorELNS0_4arch9wavefront6targetE1EEEvSF_: ; @_ZN7rocprim17ROCPRIM_400000_NS6detail17trampoline_kernelINS0_14default_configENS1_38merge_sort_block_merge_config_selectorItNS0_10empty_typeEEEZZNS1_27merge_sort_block_merge_implIS3_PtPS5_jNS1_19radix_merge_compareILb0ELb1EtNS0_19identity_decomposerEEEEE10hipError_tT0_T1_T2_jT3_P12ihipStream_tbPNSt15iterator_traitsISE_E10value_typeEPNSK_ISF_E10value_typeEPSG_NS1_7vsmem_tEENKUlT_SE_SF_SG_E_clIS8_S8_S9_S9_EESD_ST_SE_SF_SG_EUlST_E0_NS1_11comp_targetILNS1_3genE10ELNS1_11target_archE1201ELNS1_3gpuE5ELNS1_3repE0EEENS1_38merge_mergepath_config_static_selectorELNS0_4arch9wavefront6targetE1EEEvSF_
; %bb.0:
	.section	.rodata,"a",@progbits
	.p2align	6, 0x0
	.amdhsa_kernel _ZN7rocprim17ROCPRIM_400000_NS6detail17trampoline_kernelINS0_14default_configENS1_38merge_sort_block_merge_config_selectorItNS0_10empty_typeEEEZZNS1_27merge_sort_block_merge_implIS3_PtPS5_jNS1_19radix_merge_compareILb0ELb1EtNS0_19identity_decomposerEEEEE10hipError_tT0_T1_T2_jT3_P12ihipStream_tbPNSt15iterator_traitsISE_E10value_typeEPNSK_ISF_E10value_typeEPSG_NS1_7vsmem_tEENKUlT_SE_SF_SG_E_clIS8_S8_S9_S9_EESD_ST_SE_SF_SG_EUlST_E0_NS1_11comp_targetILNS1_3genE10ELNS1_11target_archE1201ELNS1_3gpuE5ELNS1_3repE0EEENS1_38merge_mergepath_config_static_selectorELNS0_4arch9wavefront6targetE1EEEvSF_
		.amdhsa_group_segment_fixed_size 0
		.amdhsa_private_segment_fixed_size 0
		.amdhsa_kernarg_size 64
		.amdhsa_user_sgpr_count 6
		.amdhsa_user_sgpr_private_segment_buffer 1
		.amdhsa_user_sgpr_dispatch_ptr 0
		.amdhsa_user_sgpr_queue_ptr 0
		.amdhsa_user_sgpr_kernarg_segment_ptr 1
		.amdhsa_user_sgpr_dispatch_id 0
		.amdhsa_user_sgpr_flat_scratch_init 0
		.amdhsa_user_sgpr_kernarg_preload_length 0
		.amdhsa_user_sgpr_kernarg_preload_offset 0
		.amdhsa_user_sgpr_private_segment_size 0
		.amdhsa_uses_dynamic_stack 0
		.amdhsa_system_sgpr_private_segment_wavefront_offset 0
		.amdhsa_system_sgpr_workgroup_id_x 1
		.amdhsa_system_sgpr_workgroup_id_y 0
		.amdhsa_system_sgpr_workgroup_id_z 0
		.amdhsa_system_sgpr_workgroup_info 0
		.amdhsa_system_vgpr_workitem_id 0
		.amdhsa_next_free_vgpr 1
		.amdhsa_next_free_sgpr 0
		.amdhsa_accum_offset 4
		.amdhsa_reserve_vcc 0
		.amdhsa_reserve_flat_scratch 0
		.amdhsa_float_round_mode_32 0
		.amdhsa_float_round_mode_16_64 0
		.amdhsa_float_denorm_mode_32 3
		.amdhsa_float_denorm_mode_16_64 3
		.amdhsa_dx10_clamp 1
		.amdhsa_ieee_mode 1
		.amdhsa_fp16_overflow 0
		.amdhsa_tg_split 0
		.amdhsa_exception_fp_ieee_invalid_op 0
		.amdhsa_exception_fp_denorm_src 0
		.amdhsa_exception_fp_ieee_div_zero 0
		.amdhsa_exception_fp_ieee_overflow 0
		.amdhsa_exception_fp_ieee_underflow 0
		.amdhsa_exception_fp_ieee_inexact 0
		.amdhsa_exception_int_div_zero 0
	.end_amdhsa_kernel
	.section	.text._ZN7rocprim17ROCPRIM_400000_NS6detail17trampoline_kernelINS0_14default_configENS1_38merge_sort_block_merge_config_selectorItNS0_10empty_typeEEEZZNS1_27merge_sort_block_merge_implIS3_PtPS5_jNS1_19radix_merge_compareILb0ELb1EtNS0_19identity_decomposerEEEEE10hipError_tT0_T1_T2_jT3_P12ihipStream_tbPNSt15iterator_traitsISE_E10value_typeEPNSK_ISF_E10value_typeEPSG_NS1_7vsmem_tEENKUlT_SE_SF_SG_E_clIS8_S8_S9_S9_EESD_ST_SE_SF_SG_EUlST_E0_NS1_11comp_targetILNS1_3genE10ELNS1_11target_archE1201ELNS1_3gpuE5ELNS1_3repE0EEENS1_38merge_mergepath_config_static_selectorELNS0_4arch9wavefront6targetE1EEEvSF_,"axG",@progbits,_ZN7rocprim17ROCPRIM_400000_NS6detail17trampoline_kernelINS0_14default_configENS1_38merge_sort_block_merge_config_selectorItNS0_10empty_typeEEEZZNS1_27merge_sort_block_merge_implIS3_PtPS5_jNS1_19radix_merge_compareILb0ELb1EtNS0_19identity_decomposerEEEEE10hipError_tT0_T1_T2_jT3_P12ihipStream_tbPNSt15iterator_traitsISE_E10value_typeEPNSK_ISF_E10value_typeEPSG_NS1_7vsmem_tEENKUlT_SE_SF_SG_E_clIS8_S8_S9_S9_EESD_ST_SE_SF_SG_EUlST_E0_NS1_11comp_targetILNS1_3genE10ELNS1_11target_archE1201ELNS1_3gpuE5ELNS1_3repE0EEENS1_38merge_mergepath_config_static_selectorELNS0_4arch9wavefront6targetE1EEEvSF_,comdat
.Lfunc_end507:
	.size	_ZN7rocprim17ROCPRIM_400000_NS6detail17trampoline_kernelINS0_14default_configENS1_38merge_sort_block_merge_config_selectorItNS0_10empty_typeEEEZZNS1_27merge_sort_block_merge_implIS3_PtPS5_jNS1_19radix_merge_compareILb0ELb1EtNS0_19identity_decomposerEEEEE10hipError_tT0_T1_T2_jT3_P12ihipStream_tbPNSt15iterator_traitsISE_E10value_typeEPNSK_ISF_E10value_typeEPSG_NS1_7vsmem_tEENKUlT_SE_SF_SG_E_clIS8_S8_S9_S9_EESD_ST_SE_SF_SG_EUlST_E0_NS1_11comp_targetILNS1_3genE10ELNS1_11target_archE1201ELNS1_3gpuE5ELNS1_3repE0EEENS1_38merge_mergepath_config_static_selectorELNS0_4arch9wavefront6targetE1EEEvSF_, .Lfunc_end507-_ZN7rocprim17ROCPRIM_400000_NS6detail17trampoline_kernelINS0_14default_configENS1_38merge_sort_block_merge_config_selectorItNS0_10empty_typeEEEZZNS1_27merge_sort_block_merge_implIS3_PtPS5_jNS1_19radix_merge_compareILb0ELb1EtNS0_19identity_decomposerEEEEE10hipError_tT0_T1_T2_jT3_P12ihipStream_tbPNSt15iterator_traitsISE_E10value_typeEPNSK_ISF_E10value_typeEPSG_NS1_7vsmem_tEENKUlT_SE_SF_SG_E_clIS8_S8_S9_S9_EESD_ST_SE_SF_SG_EUlST_E0_NS1_11comp_targetILNS1_3genE10ELNS1_11target_archE1201ELNS1_3gpuE5ELNS1_3repE0EEENS1_38merge_mergepath_config_static_selectorELNS0_4arch9wavefront6targetE1EEEvSF_
                                        ; -- End function
	.section	.AMDGPU.csdata,"",@progbits
; Kernel info:
; codeLenInByte = 0
; NumSgprs: 4
; NumVgprs: 0
; NumAgprs: 0
; TotalNumVgprs: 0
; ScratchSize: 0
; MemoryBound: 0
; FloatMode: 240
; IeeeMode: 1
; LDSByteSize: 0 bytes/workgroup (compile time only)
; SGPRBlocks: 0
; VGPRBlocks: 0
; NumSGPRsForWavesPerEU: 4
; NumVGPRsForWavesPerEU: 1
; AccumOffset: 4
; Occupancy: 8
; WaveLimiterHint : 0
; COMPUTE_PGM_RSRC2:SCRATCH_EN: 0
; COMPUTE_PGM_RSRC2:USER_SGPR: 6
; COMPUTE_PGM_RSRC2:TRAP_HANDLER: 0
; COMPUTE_PGM_RSRC2:TGID_X_EN: 1
; COMPUTE_PGM_RSRC2:TGID_Y_EN: 0
; COMPUTE_PGM_RSRC2:TGID_Z_EN: 0
; COMPUTE_PGM_RSRC2:TIDIG_COMP_CNT: 0
; COMPUTE_PGM_RSRC3_GFX90A:ACCUM_OFFSET: 0
; COMPUTE_PGM_RSRC3_GFX90A:TG_SPLIT: 0
	.section	.text._ZN7rocprim17ROCPRIM_400000_NS6detail17trampoline_kernelINS0_14default_configENS1_38merge_sort_block_merge_config_selectorItNS0_10empty_typeEEEZZNS1_27merge_sort_block_merge_implIS3_PtPS5_jNS1_19radix_merge_compareILb0ELb1EtNS0_19identity_decomposerEEEEE10hipError_tT0_T1_T2_jT3_P12ihipStream_tbPNSt15iterator_traitsISE_E10value_typeEPNSK_ISF_E10value_typeEPSG_NS1_7vsmem_tEENKUlT_SE_SF_SG_E_clIS8_S8_S9_S9_EESD_ST_SE_SF_SG_EUlST_E0_NS1_11comp_targetILNS1_3genE5ELNS1_11target_archE942ELNS1_3gpuE9ELNS1_3repE0EEENS1_38merge_mergepath_config_static_selectorELNS0_4arch9wavefront6targetE1EEEvSF_,"axG",@progbits,_ZN7rocprim17ROCPRIM_400000_NS6detail17trampoline_kernelINS0_14default_configENS1_38merge_sort_block_merge_config_selectorItNS0_10empty_typeEEEZZNS1_27merge_sort_block_merge_implIS3_PtPS5_jNS1_19radix_merge_compareILb0ELb1EtNS0_19identity_decomposerEEEEE10hipError_tT0_T1_T2_jT3_P12ihipStream_tbPNSt15iterator_traitsISE_E10value_typeEPNSK_ISF_E10value_typeEPSG_NS1_7vsmem_tEENKUlT_SE_SF_SG_E_clIS8_S8_S9_S9_EESD_ST_SE_SF_SG_EUlST_E0_NS1_11comp_targetILNS1_3genE5ELNS1_11target_archE942ELNS1_3gpuE9ELNS1_3repE0EEENS1_38merge_mergepath_config_static_selectorELNS0_4arch9wavefront6targetE1EEEvSF_,comdat
	.protected	_ZN7rocprim17ROCPRIM_400000_NS6detail17trampoline_kernelINS0_14default_configENS1_38merge_sort_block_merge_config_selectorItNS0_10empty_typeEEEZZNS1_27merge_sort_block_merge_implIS3_PtPS5_jNS1_19radix_merge_compareILb0ELb1EtNS0_19identity_decomposerEEEEE10hipError_tT0_T1_T2_jT3_P12ihipStream_tbPNSt15iterator_traitsISE_E10value_typeEPNSK_ISF_E10value_typeEPSG_NS1_7vsmem_tEENKUlT_SE_SF_SG_E_clIS8_S8_S9_S9_EESD_ST_SE_SF_SG_EUlST_E0_NS1_11comp_targetILNS1_3genE5ELNS1_11target_archE942ELNS1_3gpuE9ELNS1_3repE0EEENS1_38merge_mergepath_config_static_selectorELNS0_4arch9wavefront6targetE1EEEvSF_ ; -- Begin function _ZN7rocprim17ROCPRIM_400000_NS6detail17trampoline_kernelINS0_14default_configENS1_38merge_sort_block_merge_config_selectorItNS0_10empty_typeEEEZZNS1_27merge_sort_block_merge_implIS3_PtPS5_jNS1_19radix_merge_compareILb0ELb1EtNS0_19identity_decomposerEEEEE10hipError_tT0_T1_T2_jT3_P12ihipStream_tbPNSt15iterator_traitsISE_E10value_typeEPNSK_ISF_E10value_typeEPSG_NS1_7vsmem_tEENKUlT_SE_SF_SG_E_clIS8_S8_S9_S9_EESD_ST_SE_SF_SG_EUlST_E0_NS1_11comp_targetILNS1_3genE5ELNS1_11target_archE942ELNS1_3gpuE9ELNS1_3repE0EEENS1_38merge_mergepath_config_static_selectorELNS0_4arch9wavefront6targetE1EEEvSF_
	.globl	_ZN7rocprim17ROCPRIM_400000_NS6detail17trampoline_kernelINS0_14default_configENS1_38merge_sort_block_merge_config_selectorItNS0_10empty_typeEEEZZNS1_27merge_sort_block_merge_implIS3_PtPS5_jNS1_19radix_merge_compareILb0ELb1EtNS0_19identity_decomposerEEEEE10hipError_tT0_T1_T2_jT3_P12ihipStream_tbPNSt15iterator_traitsISE_E10value_typeEPNSK_ISF_E10value_typeEPSG_NS1_7vsmem_tEENKUlT_SE_SF_SG_E_clIS8_S8_S9_S9_EESD_ST_SE_SF_SG_EUlST_E0_NS1_11comp_targetILNS1_3genE5ELNS1_11target_archE942ELNS1_3gpuE9ELNS1_3repE0EEENS1_38merge_mergepath_config_static_selectorELNS0_4arch9wavefront6targetE1EEEvSF_
	.p2align	8
	.type	_ZN7rocprim17ROCPRIM_400000_NS6detail17trampoline_kernelINS0_14default_configENS1_38merge_sort_block_merge_config_selectorItNS0_10empty_typeEEEZZNS1_27merge_sort_block_merge_implIS3_PtPS5_jNS1_19radix_merge_compareILb0ELb1EtNS0_19identity_decomposerEEEEE10hipError_tT0_T1_T2_jT3_P12ihipStream_tbPNSt15iterator_traitsISE_E10value_typeEPNSK_ISF_E10value_typeEPSG_NS1_7vsmem_tEENKUlT_SE_SF_SG_E_clIS8_S8_S9_S9_EESD_ST_SE_SF_SG_EUlST_E0_NS1_11comp_targetILNS1_3genE5ELNS1_11target_archE942ELNS1_3gpuE9ELNS1_3repE0EEENS1_38merge_mergepath_config_static_selectorELNS0_4arch9wavefront6targetE1EEEvSF_,@function
_ZN7rocprim17ROCPRIM_400000_NS6detail17trampoline_kernelINS0_14default_configENS1_38merge_sort_block_merge_config_selectorItNS0_10empty_typeEEEZZNS1_27merge_sort_block_merge_implIS3_PtPS5_jNS1_19radix_merge_compareILb0ELb1EtNS0_19identity_decomposerEEEEE10hipError_tT0_T1_T2_jT3_P12ihipStream_tbPNSt15iterator_traitsISE_E10value_typeEPNSK_ISF_E10value_typeEPSG_NS1_7vsmem_tEENKUlT_SE_SF_SG_E_clIS8_S8_S9_S9_EESD_ST_SE_SF_SG_EUlST_E0_NS1_11comp_targetILNS1_3genE5ELNS1_11target_archE942ELNS1_3gpuE9ELNS1_3repE0EEENS1_38merge_mergepath_config_static_selectorELNS0_4arch9wavefront6targetE1EEEvSF_: ; @_ZN7rocprim17ROCPRIM_400000_NS6detail17trampoline_kernelINS0_14default_configENS1_38merge_sort_block_merge_config_selectorItNS0_10empty_typeEEEZZNS1_27merge_sort_block_merge_implIS3_PtPS5_jNS1_19radix_merge_compareILb0ELb1EtNS0_19identity_decomposerEEEEE10hipError_tT0_T1_T2_jT3_P12ihipStream_tbPNSt15iterator_traitsISE_E10value_typeEPNSK_ISF_E10value_typeEPSG_NS1_7vsmem_tEENKUlT_SE_SF_SG_E_clIS8_S8_S9_S9_EESD_ST_SE_SF_SG_EUlST_E0_NS1_11comp_targetILNS1_3genE5ELNS1_11target_archE942ELNS1_3gpuE9ELNS1_3repE0EEENS1_38merge_mergepath_config_static_selectorELNS0_4arch9wavefront6targetE1EEEvSF_
; %bb.0:
	.section	.rodata,"a",@progbits
	.p2align	6, 0x0
	.amdhsa_kernel _ZN7rocprim17ROCPRIM_400000_NS6detail17trampoline_kernelINS0_14default_configENS1_38merge_sort_block_merge_config_selectorItNS0_10empty_typeEEEZZNS1_27merge_sort_block_merge_implIS3_PtPS5_jNS1_19radix_merge_compareILb0ELb1EtNS0_19identity_decomposerEEEEE10hipError_tT0_T1_T2_jT3_P12ihipStream_tbPNSt15iterator_traitsISE_E10value_typeEPNSK_ISF_E10value_typeEPSG_NS1_7vsmem_tEENKUlT_SE_SF_SG_E_clIS8_S8_S9_S9_EESD_ST_SE_SF_SG_EUlST_E0_NS1_11comp_targetILNS1_3genE5ELNS1_11target_archE942ELNS1_3gpuE9ELNS1_3repE0EEENS1_38merge_mergepath_config_static_selectorELNS0_4arch9wavefront6targetE1EEEvSF_
		.amdhsa_group_segment_fixed_size 0
		.amdhsa_private_segment_fixed_size 0
		.amdhsa_kernarg_size 64
		.amdhsa_user_sgpr_count 6
		.amdhsa_user_sgpr_private_segment_buffer 1
		.amdhsa_user_sgpr_dispatch_ptr 0
		.amdhsa_user_sgpr_queue_ptr 0
		.amdhsa_user_sgpr_kernarg_segment_ptr 1
		.amdhsa_user_sgpr_dispatch_id 0
		.amdhsa_user_sgpr_flat_scratch_init 0
		.amdhsa_user_sgpr_kernarg_preload_length 0
		.amdhsa_user_sgpr_kernarg_preload_offset 0
		.amdhsa_user_sgpr_private_segment_size 0
		.amdhsa_uses_dynamic_stack 0
		.amdhsa_system_sgpr_private_segment_wavefront_offset 0
		.amdhsa_system_sgpr_workgroup_id_x 1
		.amdhsa_system_sgpr_workgroup_id_y 0
		.amdhsa_system_sgpr_workgroup_id_z 0
		.amdhsa_system_sgpr_workgroup_info 0
		.amdhsa_system_vgpr_workitem_id 0
		.amdhsa_next_free_vgpr 1
		.amdhsa_next_free_sgpr 0
		.amdhsa_accum_offset 4
		.amdhsa_reserve_vcc 0
		.amdhsa_reserve_flat_scratch 0
		.amdhsa_float_round_mode_32 0
		.amdhsa_float_round_mode_16_64 0
		.amdhsa_float_denorm_mode_32 3
		.amdhsa_float_denorm_mode_16_64 3
		.amdhsa_dx10_clamp 1
		.amdhsa_ieee_mode 1
		.amdhsa_fp16_overflow 0
		.amdhsa_tg_split 0
		.amdhsa_exception_fp_ieee_invalid_op 0
		.amdhsa_exception_fp_denorm_src 0
		.amdhsa_exception_fp_ieee_div_zero 0
		.amdhsa_exception_fp_ieee_overflow 0
		.amdhsa_exception_fp_ieee_underflow 0
		.amdhsa_exception_fp_ieee_inexact 0
		.amdhsa_exception_int_div_zero 0
	.end_amdhsa_kernel
	.section	.text._ZN7rocprim17ROCPRIM_400000_NS6detail17trampoline_kernelINS0_14default_configENS1_38merge_sort_block_merge_config_selectorItNS0_10empty_typeEEEZZNS1_27merge_sort_block_merge_implIS3_PtPS5_jNS1_19radix_merge_compareILb0ELb1EtNS0_19identity_decomposerEEEEE10hipError_tT0_T1_T2_jT3_P12ihipStream_tbPNSt15iterator_traitsISE_E10value_typeEPNSK_ISF_E10value_typeEPSG_NS1_7vsmem_tEENKUlT_SE_SF_SG_E_clIS8_S8_S9_S9_EESD_ST_SE_SF_SG_EUlST_E0_NS1_11comp_targetILNS1_3genE5ELNS1_11target_archE942ELNS1_3gpuE9ELNS1_3repE0EEENS1_38merge_mergepath_config_static_selectorELNS0_4arch9wavefront6targetE1EEEvSF_,"axG",@progbits,_ZN7rocprim17ROCPRIM_400000_NS6detail17trampoline_kernelINS0_14default_configENS1_38merge_sort_block_merge_config_selectorItNS0_10empty_typeEEEZZNS1_27merge_sort_block_merge_implIS3_PtPS5_jNS1_19radix_merge_compareILb0ELb1EtNS0_19identity_decomposerEEEEE10hipError_tT0_T1_T2_jT3_P12ihipStream_tbPNSt15iterator_traitsISE_E10value_typeEPNSK_ISF_E10value_typeEPSG_NS1_7vsmem_tEENKUlT_SE_SF_SG_E_clIS8_S8_S9_S9_EESD_ST_SE_SF_SG_EUlST_E0_NS1_11comp_targetILNS1_3genE5ELNS1_11target_archE942ELNS1_3gpuE9ELNS1_3repE0EEENS1_38merge_mergepath_config_static_selectorELNS0_4arch9wavefront6targetE1EEEvSF_,comdat
.Lfunc_end508:
	.size	_ZN7rocprim17ROCPRIM_400000_NS6detail17trampoline_kernelINS0_14default_configENS1_38merge_sort_block_merge_config_selectorItNS0_10empty_typeEEEZZNS1_27merge_sort_block_merge_implIS3_PtPS5_jNS1_19radix_merge_compareILb0ELb1EtNS0_19identity_decomposerEEEEE10hipError_tT0_T1_T2_jT3_P12ihipStream_tbPNSt15iterator_traitsISE_E10value_typeEPNSK_ISF_E10value_typeEPSG_NS1_7vsmem_tEENKUlT_SE_SF_SG_E_clIS8_S8_S9_S9_EESD_ST_SE_SF_SG_EUlST_E0_NS1_11comp_targetILNS1_3genE5ELNS1_11target_archE942ELNS1_3gpuE9ELNS1_3repE0EEENS1_38merge_mergepath_config_static_selectorELNS0_4arch9wavefront6targetE1EEEvSF_, .Lfunc_end508-_ZN7rocprim17ROCPRIM_400000_NS6detail17trampoline_kernelINS0_14default_configENS1_38merge_sort_block_merge_config_selectorItNS0_10empty_typeEEEZZNS1_27merge_sort_block_merge_implIS3_PtPS5_jNS1_19radix_merge_compareILb0ELb1EtNS0_19identity_decomposerEEEEE10hipError_tT0_T1_T2_jT3_P12ihipStream_tbPNSt15iterator_traitsISE_E10value_typeEPNSK_ISF_E10value_typeEPSG_NS1_7vsmem_tEENKUlT_SE_SF_SG_E_clIS8_S8_S9_S9_EESD_ST_SE_SF_SG_EUlST_E0_NS1_11comp_targetILNS1_3genE5ELNS1_11target_archE942ELNS1_3gpuE9ELNS1_3repE0EEENS1_38merge_mergepath_config_static_selectorELNS0_4arch9wavefront6targetE1EEEvSF_
                                        ; -- End function
	.section	.AMDGPU.csdata,"",@progbits
; Kernel info:
; codeLenInByte = 0
; NumSgprs: 4
; NumVgprs: 0
; NumAgprs: 0
; TotalNumVgprs: 0
; ScratchSize: 0
; MemoryBound: 0
; FloatMode: 240
; IeeeMode: 1
; LDSByteSize: 0 bytes/workgroup (compile time only)
; SGPRBlocks: 0
; VGPRBlocks: 0
; NumSGPRsForWavesPerEU: 4
; NumVGPRsForWavesPerEU: 1
; AccumOffset: 4
; Occupancy: 8
; WaveLimiterHint : 0
; COMPUTE_PGM_RSRC2:SCRATCH_EN: 0
; COMPUTE_PGM_RSRC2:USER_SGPR: 6
; COMPUTE_PGM_RSRC2:TRAP_HANDLER: 0
; COMPUTE_PGM_RSRC2:TGID_X_EN: 1
; COMPUTE_PGM_RSRC2:TGID_Y_EN: 0
; COMPUTE_PGM_RSRC2:TGID_Z_EN: 0
; COMPUTE_PGM_RSRC2:TIDIG_COMP_CNT: 0
; COMPUTE_PGM_RSRC3_GFX90A:ACCUM_OFFSET: 0
; COMPUTE_PGM_RSRC3_GFX90A:TG_SPLIT: 0
	.section	.text._ZN7rocprim17ROCPRIM_400000_NS6detail17trampoline_kernelINS0_14default_configENS1_38merge_sort_block_merge_config_selectorItNS0_10empty_typeEEEZZNS1_27merge_sort_block_merge_implIS3_PtPS5_jNS1_19radix_merge_compareILb0ELb1EtNS0_19identity_decomposerEEEEE10hipError_tT0_T1_T2_jT3_P12ihipStream_tbPNSt15iterator_traitsISE_E10value_typeEPNSK_ISF_E10value_typeEPSG_NS1_7vsmem_tEENKUlT_SE_SF_SG_E_clIS8_S8_S9_S9_EESD_ST_SE_SF_SG_EUlST_E0_NS1_11comp_targetILNS1_3genE4ELNS1_11target_archE910ELNS1_3gpuE8ELNS1_3repE0EEENS1_38merge_mergepath_config_static_selectorELNS0_4arch9wavefront6targetE1EEEvSF_,"axG",@progbits,_ZN7rocprim17ROCPRIM_400000_NS6detail17trampoline_kernelINS0_14default_configENS1_38merge_sort_block_merge_config_selectorItNS0_10empty_typeEEEZZNS1_27merge_sort_block_merge_implIS3_PtPS5_jNS1_19radix_merge_compareILb0ELb1EtNS0_19identity_decomposerEEEEE10hipError_tT0_T1_T2_jT3_P12ihipStream_tbPNSt15iterator_traitsISE_E10value_typeEPNSK_ISF_E10value_typeEPSG_NS1_7vsmem_tEENKUlT_SE_SF_SG_E_clIS8_S8_S9_S9_EESD_ST_SE_SF_SG_EUlST_E0_NS1_11comp_targetILNS1_3genE4ELNS1_11target_archE910ELNS1_3gpuE8ELNS1_3repE0EEENS1_38merge_mergepath_config_static_selectorELNS0_4arch9wavefront6targetE1EEEvSF_,comdat
	.protected	_ZN7rocprim17ROCPRIM_400000_NS6detail17trampoline_kernelINS0_14default_configENS1_38merge_sort_block_merge_config_selectorItNS0_10empty_typeEEEZZNS1_27merge_sort_block_merge_implIS3_PtPS5_jNS1_19radix_merge_compareILb0ELb1EtNS0_19identity_decomposerEEEEE10hipError_tT0_T1_T2_jT3_P12ihipStream_tbPNSt15iterator_traitsISE_E10value_typeEPNSK_ISF_E10value_typeEPSG_NS1_7vsmem_tEENKUlT_SE_SF_SG_E_clIS8_S8_S9_S9_EESD_ST_SE_SF_SG_EUlST_E0_NS1_11comp_targetILNS1_3genE4ELNS1_11target_archE910ELNS1_3gpuE8ELNS1_3repE0EEENS1_38merge_mergepath_config_static_selectorELNS0_4arch9wavefront6targetE1EEEvSF_ ; -- Begin function _ZN7rocprim17ROCPRIM_400000_NS6detail17trampoline_kernelINS0_14default_configENS1_38merge_sort_block_merge_config_selectorItNS0_10empty_typeEEEZZNS1_27merge_sort_block_merge_implIS3_PtPS5_jNS1_19radix_merge_compareILb0ELb1EtNS0_19identity_decomposerEEEEE10hipError_tT0_T1_T2_jT3_P12ihipStream_tbPNSt15iterator_traitsISE_E10value_typeEPNSK_ISF_E10value_typeEPSG_NS1_7vsmem_tEENKUlT_SE_SF_SG_E_clIS8_S8_S9_S9_EESD_ST_SE_SF_SG_EUlST_E0_NS1_11comp_targetILNS1_3genE4ELNS1_11target_archE910ELNS1_3gpuE8ELNS1_3repE0EEENS1_38merge_mergepath_config_static_selectorELNS0_4arch9wavefront6targetE1EEEvSF_
	.globl	_ZN7rocprim17ROCPRIM_400000_NS6detail17trampoline_kernelINS0_14default_configENS1_38merge_sort_block_merge_config_selectorItNS0_10empty_typeEEEZZNS1_27merge_sort_block_merge_implIS3_PtPS5_jNS1_19radix_merge_compareILb0ELb1EtNS0_19identity_decomposerEEEEE10hipError_tT0_T1_T2_jT3_P12ihipStream_tbPNSt15iterator_traitsISE_E10value_typeEPNSK_ISF_E10value_typeEPSG_NS1_7vsmem_tEENKUlT_SE_SF_SG_E_clIS8_S8_S9_S9_EESD_ST_SE_SF_SG_EUlST_E0_NS1_11comp_targetILNS1_3genE4ELNS1_11target_archE910ELNS1_3gpuE8ELNS1_3repE0EEENS1_38merge_mergepath_config_static_selectorELNS0_4arch9wavefront6targetE1EEEvSF_
	.p2align	8
	.type	_ZN7rocprim17ROCPRIM_400000_NS6detail17trampoline_kernelINS0_14default_configENS1_38merge_sort_block_merge_config_selectorItNS0_10empty_typeEEEZZNS1_27merge_sort_block_merge_implIS3_PtPS5_jNS1_19radix_merge_compareILb0ELb1EtNS0_19identity_decomposerEEEEE10hipError_tT0_T1_T2_jT3_P12ihipStream_tbPNSt15iterator_traitsISE_E10value_typeEPNSK_ISF_E10value_typeEPSG_NS1_7vsmem_tEENKUlT_SE_SF_SG_E_clIS8_S8_S9_S9_EESD_ST_SE_SF_SG_EUlST_E0_NS1_11comp_targetILNS1_3genE4ELNS1_11target_archE910ELNS1_3gpuE8ELNS1_3repE0EEENS1_38merge_mergepath_config_static_selectorELNS0_4arch9wavefront6targetE1EEEvSF_,@function
_ZN7rocprim17ROCPRIM_400000_NS6detail17trampoline_kernelINS0_14default_configENS1_38merge_sort_block_merge_config_selectorItNS0_10empty_typeEEEZZNS1_27merge_sort_block_merge_implIS3_PtPS5_jNS1_19radix_merge_compareILb0ELb1EtNS0_19identity_decomposerEEEEE10hipError_tT0_T1_T2_jT3_P12ihipStream_tbPNSt15iterator_traitsISE_E10value_typeEPNSK_ISF_E10value_typeEPSG_NS1_7vsmem_tEENKUlT_SE_SF_SG_E_clIS8_S8_S9_S9_EESD_ST_SE_SF_SG_EUlST_E0_NS1_11comp_targetILNS1_3genE4ELNS1_11target_archE910ELNS1_3gpuE8ELNS1_3repE0EEENS1_38merge_mergepath_config_static_selectorELNS0_4arch9wavefront6targetE1EEEvSF_: ; @_ZN7rocprim17ROCPRIM_400000_NS6detail17trampoline_kernelINS0_14default_configENS1_38merge_sort_block_merge_config_selectorItNS0_10empty_typeEEEZZNS1_27merge_sort_block_merge_implIS3_PtPS5_jNS1_19radix_merge_compareILb0ELb1EtNS0_19identity_decomposerEEEEE10hipError_tT0_T1_T2_jT3_P12ihipStream_tbPNSt15iterator_traitsISE_E10value_typeEPNSK_ISF_E10value_typeEPSG_NS1_7vsmem_tEENKUlT_SE_SF_SG_E_clIS8_S8_S9_S9_EESD_ST_SE_SF_SG_EUlST_E0_NS1_11comp_targetILNS1_3genE4ELNS1_11target_archE910ELNS1_3gpuE8ELNS1_3repE0EEENS1_38merge_mergepath_config_static_selectorELNS0_4arch9wavefront6targetE1EEEvSF_
; %bb.0:
	s_load_dwordx2 s[10:11], s[4:5], 0x40
	s_load_dword s3, s[4:5], 0x30
	s_add_u32 s0, s4, 64
	s_addc_u32 s1, s5, 0
	s_waitcnt lgkmcnt(0)
	s_mul_i32 s2, s11, s8
	s_add_i32 s2, s2, s7
	s_mul_i32 s2, s2, s10
	s_add_i32 s2, s2, s6
	s_cmp_ge_u32 s2, s3
	s_cbranch_scc1 .LBB509_43
; %bb.1:
	s_load_dwordx2 s[14:15], s[4:5], 0x28
	s_load_dwordx2 s[8:9], s[4:5], 0x38
	;; [unrolled: 1-line block ×3, first 2 shown]
	s_mov_b32 s3, 0
	s_mov_b32 s23, s3
	s_waitcnt lgkmcnt(0)
	s_lshr_b32 s17, s14, 10
	s_cmp_lg_u32 s2, s17
	s_cselect_b64 s[18:19], -1, 0
	s_lshl_b64 s[12:13], s[2:3], 2
	s_add_u32 s8, s8, s12
	s_addc_u32 s9, s9, s13
	s_lshr_b32 s7, s15, 9
	s_and_b32 s7, s7, 0x7ffffe
	s_load_dwordx2 s[8:9], s[8:9], 0x0
	s_sub_i32 s7, 0, s7
	s_and_b32 s11, s2, s7
	s_lshl_b32 s12, s11, 10
	s_lshl_b32 s16, s2, 10
	;; [unrolled: 1-line block ×3, first 2 shown]
	s_sub_i32 s13, s16, s12
	s_add_i32 s11, s11, s15
	s_add_i32 s13, s11, s13
	s_waitcnt lgkmcnt(0)
	s_sub_i32 s22, s13, s8
	s_sub_i32 s13, s13, s9
	;; [unrolled: 1-line block ×3, first 2 shown]
	s_min_u32 s22, s14, s22
	s_addk_i32 s13, 0x400
	s_or_b32 s7, s2, s7
	s_min_u32 s12, s14, s11
	s_add_i32 s11, s11, s15
	s_cmp_eq_u32 s7, -1
	s_cselect_b32 s7, s11, s13
	s_cselect_b32 s9, s12, s9
	s_min_u32 s7, s7, s14
	s_sub_i32 s15, s9, s8
	s_mov_b32 s9, s3
	s_sub_i32 s7, s7, s22
	s_lshl_b64 s[8:9], s[8:9], 1
	s_add_u32 s11, s20, s8
	s_addc_u32 s12, s21, s9
	s_lshl_b64 s[8:9], s[22:23], 1
	s_add_u32 s8, s20, s8
	s_addc_u32 s9, s21, s9
	s_cmp_lt_u32 s6, s10
	v_mov_b32_e32 v3, 0
	s_cselect_b32 s3, 12, 18
	global_load_dword v1, v3, s[0:1] offset:14
	s_add_u32 s0, s0, s3
	s_addc_u32 s1, s1, 0
	global_load_ushort v2, v3, s[0:1]
	s_cmp_eq_u32 s2, s17
	s_waitcnt vmcnt(1)
	v_lshrrev_b32_e32 v4, 16, v1
	v_and_b32_e32 v1, 0xffff, v1
	v_mul_lo_u32 v1, v1, v4
	s_waitcnt vmcnt(0)
	v_mul_lo_u32 v10, v1, v2
	v_add_u32_e32 v8, v10, v0
	v_lshlrev_b32_e32 v1, 1, v0
	v_add_u32_e32 v6, v8, v10
	s_cbranch_scc1 .LBB509_3
; %bb.2:
	v_mov_b32_e32 v2, s12
	v_add_co_u32_e32 v7, vcc, s11, v1
	v_addc_co_u32_e32 v9, vcc, 0, v2, vcc
	v_subrev_u32_e32 v2, s15, v0
	v_lshlrev_b64 v[4:5], 1, v[2:3]
	v_mov_b32_e32 v2, s9
	v_add_co_u32_e32 v4, vcc, s8, v4
	v_addc_co_u32_e32 v2, vcc, v2, v5, vcc
	v_cmp_gt_u32_e32 vcc, s15, v0
	v_cndmask_b32_e32 v5, v2, v9, vcc
	v_cndmask_b32_e32 v4, v4, v7, vcc
	v_mov_b32_e32 v9, v3
	global_load_ushort v11, v[4:5], off
	v_lshlrev_b64 v[4:5], 1, v[8:9]
	v_mov_b32_e32 v2, s12
	v_add_co_u32_e32 v7, vcc, s11, v4
	v_addc_co_u32_e32 v9, vcc, v2, v5, vcc
	v_subrev_u32_e32 v2, s15, v8
	v_lshlrev_b64 v[4:5], 1, v[2:3]
	v_mov_b32_e32 v2, s9
	v_add_co_u32_e32 v4, vcc, s8, v4
	v_addc_co_u32_e32 v2, vcc, v2, v5, vcc
	v_cmp_gt_u32_e32 vcc, s15, v8
	v_cndmask_b32_e32 v5, v2, v9, vcc
	v_cndmask_b32_e32 v4, v4, v7, vcc
	v_mov_b32_e32 v7, v3
	global_load_ushort v9, v[4:5], off
	v_lshlrev_b64 v[4:5], 1, v[6:7]
	v_mov_b32_e32 v2, s12
	v_add_co_u32_e32 v7, vcc, s11, v4
	v_addc_co_u32_e32 v12, vcc, v2, v5, vcc
	v_subrev_u32_e32 v2, s15, v6
	v_lshlrev_b64 v[4:5], 1, v[2:3]
	v_mov_b32_e32 v2, s9
	v_add_co_u32_e32 v4, vcc, s8, v4
	v_addc_co_u32_e32 v2, vcc, v2, v5, vcc
	v_cmp_gt_u32_e32 vcc, s15, v6
	v_cndmask_b32_e32 v5, v2, v12, vcc
	v_cndmask_b32_e32 v4, v4, v7, vcc
	v_add_u32_e32 v2, v6, v10
	global_load_ushort v7, v[4:5], off
	v_lshlrev_b64 v[4:5], 1, v[2:3]
	v_mov_b32_e32 v12, s12
	v_add_co_u32_e32 v13, vcc, s11, v4
	v_addc_co_u32_e32 v12, vcc, v12, v5, vcc
	v_subrev_u32_e32 v4, s15, v2
	v_mov_b32_e32 v5, v3
	v_lshlrev_b64 v[4:5], 1, v[4:5]
	v_mov_b32_e32 v14, s9
	v_add_co_u32_e32 v4, vcc, s8, v4
	v_addc_co_u32_e32 v5, vcc, v14, v5, vcc
	v_cmp_gt_u32_e32 vcc, s15, v2
	v_cndmask_b32_e32 v5, v5, v12, vcc
	v_cndmask_b32_e32 v4, v4, v13, vcc
	v_add_u32_e32 v2, v2, v10
	global_load_ushort v12, v[4:5], off
	v_lshlrev_b64 v[4:5], 1, v[2:3]
	v_mov_b32_e32 v13, s12
	v_add_co_u32_e32 v14, vcc, s11, v4
	v_addc_co_u32_e32 v13, vcc, v13, v5, vcc
	v_subrev_u32_e32 v4, s15, v2
	v_mov_b32_e32 v5, v3
	;; [unrolled: 15-line block ×4, first 2 shown]
	v_lshlrev_b64 v[4:5], 1, v[4:5]
	v_mov_b32_e32 v17, s9
	v_add_co_u32_e32 v4, vcc, s8, v4
	v_addc_co_u32_e32 v5, vcc, v17, v5, vcc
	v_cmp_gt_u32_e32 vcc, s15, v2
	v_cndmask_b32_e32 v5, v5, v15, vcc
	v_cndmask_b32_e32 v4, v4, v16, vcc
	v_add_u32_e32 v2, v2, v10
	global_load_ushort v15, v[4:5], off
	v_lshlrev_b64 v[4:5], 1, v[2:3]
	v_mov_b32_e32 v16, s12
	v_add_co_u32_e32 v4, vcc, s11, v4
	v_addc_co_u32_e32 v5, vcc, v16, v5, vcc
	v_cmp_gt_u32_e32 vcc, s15, v2
	v_subrev_u32_e32 v2, s15, v2
	v_lshlrev_b64 v[2:3], 1, v[2:3]
	v_mov_b32_e32 v16, s9
	v_add_co_u32_e64 v2, s[0:1], s8, v2
	v_addc_co_u32_e64 v3, s[0:1], v16, v3, s[0:1]
	v_cndmask_b32_e32 v3, v3, v5, vcc
	v_cndmask_b32_e32 v2, v2, v4, vcc
	global_load_ushort v5, v[2:3], off
	s_mov_b32 s0, 0x5040100
	s_waitcnt vmcnt(6)
	v_perm_b32 v2, v9, v11, s0
	s_add_i32 s17, s7, s15
	s_waitcnt vmcnt(4)
	v_perm_b32 v3, v12, v7, s0
	s_waitcnt vmcnt(2)
	v_perm_b32 v4, v14, v13, s0
	;; [unrolled: 2-line block ×3, first 2 shown]
	s_load_dwordx2 s[20:21], s[4:5], 0x10
	s_cbranch_execz .LBB509_4
	s_branch .LBB509_19
.LBB509_3:
                                        ; implicit-def: $vgpr2_vgpr3_vgpr4_vgpr5
                                        ; implicit-def: $sgpr17
	s_load_dwordx2 s[20:21], s[4:5], 0x10
.LBB509_4:
	s_add_i32 s17, s7, s15
	v_cmp_gt_u32_e32 vcc, s17, v0
                                        ; implicit-def: $vgpr2_vgpr3_vgpr4_vgpr5
	s_and_saveexec_b64 s[0:1], vcc
	s_cbranch_execnz .LBB509_44
; %bb.5:
	s_or_b64 exec, exec, s[0:1]
	v_cmp_gt_u32_e32 vcc, s17, v8
	s_and_saveexec_b64 s[2:3], vcc
	s_cbranch_execnz .LBB509_45
.LBB509_6:
	s_or_b64 exec, exec, s[2:3]
	v_cmp_gt_u32_e32 vcc, s17, v6
	s_and_saveexec_b64 s[0:1], vcc
	s_cbranch_execz .LBB509_8
.LBB509_7:
	v_mov_b32_e32 v7, 0
	v_lshlrev_b64 v[8:9], 1, v[6:7]
	v_mov_b32_e32 v11, s12
	v_add_co_u32_e32 v12, vcc, s11, v8
	v_addc_co_u32_e32 v11, vcc, v11, v9, vcc
	v_subrev_u32_e32 v8, s15, v6
	v_mov_b32_e32 v9, v7
	v_lshlrev_b64 v[8:9], 1, v[8:9]
	v_mov_b32_e32 v7, s9
	v_add_co_u32_e32 v8, vcc, s8, v8
	v_addc_co_u32_e32 v7, vcc, v7, v9, vcc
	v_cmp_gt_u32_e32 vcc, s15, v6
	v_cndmask_b32_e32 v9, v7, v11, vcc
	v_cndmask_b32_e32 v8, v8, v12, vcc
	global_load_ushort v7, v[8:9], off
	s_mov_b32 s2, 0xffff
	s_waitcnt vmcnt(0)
	v_bfi_b32 v3, s2, v7, v3
.LBB509_8:
	s_or_b64 exec, exec, s[0:1]
	v_add_u32_e32 v6, v6, v10
	v_cmp_gt_u32_e32 vcc, s17, v6
	s_and_saveexec_b64 s[0:1], vcc
	s_cbranch_execz .LBB509_10
; %bb.9:
	v_mov_b32_e32 v7, 0
	v_lshlrev_b64 v[8:9], 1, v[6:7]
	v_mov_b32_e32 v11, s12
	v_add_co_u32_e32 v12, vcc, s11, v8
	v_addc_co_u32_e32 v11, vcc, v11, v9, vcc
	v_subrev_u32_e32 v8, s15, v6
	v_mov_b32_e32 v9, v7
	v_lshlrev_b64 v[8:9], 1, v[8:9]
	v_mov_b32_e32 v7, s9
	v_add_co_u32_e32 v8, vcc, s8, v8
	v_addc_co_u32_e32 v7, vcc, v7, v9, vcc
	v_cmp_gt_u32_e32 vcc, s15, v6
	v_cndmask_b32_e32 v9, v7, v11, vcc
	v_cndmask_b32_e32 v8, v8, v12, vcc
	global_load_ushort v7, v[8:9], off
	s_mov_b32 s2, 0x5040100
	s_waitcnt vmcnt(0)
	v_perm_b32 v3, v7, v3, s2
.LBB509_10:
	s_or_b64 exec, exec, s[0:1]
	v_add_u32_e32 v6, v6, v10
	v_cmp_gt_u32_e32 vcc, s17, v6
	s_and_saveexec_b64 s[0:1], vcc
	s_cbranch_execz .LBB509_12
; %bb.11:
	v_mov_b32_e32 v7, 0
	v_lshlrev_b64 v[8:9], 1, v[6:7]
	v_mov_b32_e32 v11, s12
	v_add_co_u32_e32 v12, vcc, s11, v8
	v_addc_co_u32_e32 v11, vcc, v11, v9, vcc
	v_subrev_u32_e32 v8, s15, v6
	v_mov_b32_e32 v9, v7
	v_lshlrev_b64 v[8:9], 1, v[8:9]
	v_mov_b32_e32 v7, s9
	v_add_co_u32_e32 v8, vcc, s8, v8
	v_addc_co_u32_e32 v7, vcc, v7, v9, vcc
	v_cmp_gt_u32_e32 vcc, s15, v6
	v_cndmask_b32_e32 v9, v7, v11, vcc
	v_cndmask_b32_e32 v8, v8, v12, vcc
	global_load_ushort v7, v[8:9], off
	s_mov_b32 s2, 0xffff
	s_waitcnt vmcnt(0)
	v_bfi_b32 v4, s2, v7, v4
.LBB509_12:
	s_or_b64 exec, exec, s[0:1]
	v_add_u32_e32 v6, v6, v10
	v_cmp_gt_u32_e32 vcc, s17, v6
	s_and_saveexec_b64 s[0:1], vcc
	s_cbranch_execz .LBB509_14
; %bb.13:
	v_mov_b32_e32 v7, 0
	v_lshlrev_b64 v[8:9], 1, v[6:7]
	v_mov_b32_e32 v11, s12
	v_add_co_u32_e32 v12, vcc, s11, v8
	v_addc_co_u32_e32 v11, vcc, v11, v9, vcc
	v_subrev_u32_e32 v8, s15, v6
	v_mov_b32_e32 v9, v7
	v_lshlrev_b64 v[8:9], 1, v[8:9]
	v_mov_b32_e32 v7, s9
	v_add_co_u32_e32 v8, vcc, s8, v8
	v_addc_co_u32_e32 v7, vcc, v7, v9, vcc
	v_cmp_gt_u32_e32 vcc, s15, v6
	v_cndmask_b32_e32 v9, v7, v11, vcc
	v_cndmask_b32_e32 v8, v8, v12, vcc
	global_load_ushort v7, v[8:9], off
	s_mov_b32 s2, 0x5040100
	s_waitcnt vmcnt(0)
	v_perm_b32 v4, v7, v4, s2
.LBB509_14:
	s_or_b64 exec, exec, s[0:1]
	v_add_u32_e32 v6, v6, v10
	v_cmp_gt_u32_e32 vcc, s17, v6
	s_and_saveexec_b64 s[0:1], vcc
	s_cbranch_execz .LBB509_16
; %bb.15:
	v_mov_b32_e32 v7, 0
	v_lshlrev_b64 v[8:9], 1, v[6:7]
	v_mov_b32_e32 v11, s12
	v_add_co_u32_e32 v12, vcc, s11, v8
	v_addc_co_u32_e32 v11, vcc, v11, v9, vcc
	v_subrev_u32_e32 v8, s15, v6
	v_mov_b32_e32 v9, v7
	v_lshlrev_b64 v[8:9], 1, v[8:9]
	v_mov_b32_e32 v7, s9
	v_add_co_u32_e32 v8, vcc, s8, v8
	v_addc_co_u32_e32 v7, vcc, v7, v9, vcc
	v_cmp_gt_u32_e32 vcc, s15, v6
	v_cndmask_b32_e32 v9, v7, v11, vcc
	v_cndmask_b32_e32 v8, v8, v12, vcc
	global_load_ushort v7, v[8:9], off
	s_mov_b32 s2, 0xffff
	s_waitcnt vmcnt(0)
	v_bfi_b32 v5, s2, v7, v5
.LBB509_16:
	s_or_b64 exec, exec, s[0:1]
	v_add_u32_e32 v6, v6, v10
	v_cmp_gt_u32_e32 vcc, s17, v6
	s_and_saveexec_b64 s[2:3], vcc
	s_cbranch_execz .LBB509_18
; %bb.17:
	v_mov_b32_e32 v7, 0
	v_lshlrev_b64 v[8:9], 1, v[6:7]
	v_mov_b32_e32 v10, s12
	v_add_co_u32_e32 v8, vcc, s11, v8
	v_addc_co_u32_e32 v9, vcc, v10, v9, vcc
	v_cmp_gt_u32_e32 vcc, s15, v6
	v_subrev_u32_e32 v6, s15, v6
	v_lshlrev_b64 v[6:7], 1, v[6:7]
	v_mov_b32_e32 v10, s9
	v_add_co_u32_e64 v6, s[0:1], s8, v6
	v_addc_co_u32_e64 v7, s[0:1], v10, v7, s[0:1]
	v_cndmask_b32_e32 v7, v7, v9, vcc
	v_cndmask_b32_e32 v6, v6, v8, vcc
	global_load_ushort v6, v[6:7], off
	s_mov_b32 s0, 0x5040100
	s_waitcnt vmcnt(0)
	v_perm_b32 v5, v6, v5, s0
.LBB509_18:
	s_or_b64 exec, exec, s[2:3]
.LBB509_19:
	s_load_dword s24, s[4:5], 0x34
	v_lshlrev_b32_e32 v6, 3, v0
	v_min_u32_e32 v12, s17, v6
	v_sub_u32_e64 v10, v12, s7 clamp
	v_min_u32_e32 v13, s15, v12
	s_waitcnt vmcnt(0)
	v_lshrrev_b32_e32 v7, 16, v2
	v_lshrrev_b32_e32 v8, 16, v3
	;; [unrolled: 1-line block ×4, first 2 shown]
	v_cmp_lt_u32_e32 vcc, v10, v13
	ds_write_b16 v1, v2
	ds_write_b16 v1, v7 offset:256
	ds_write_b16 v1, v3 offset:512
	;; [unrolled: 1-line block ×7, first 2 shown]
	s_waitcnt lgkmcnt(0)
	s_barrier
	s_and_saveexec_b64 s[0:1], vcc
	s_cbranch_execz .LBB509_23
; %bb.20:
	v_lshlrev_b32_e32 v14, 1, v12
	v_lshl_add_u32 v14, s15, 1, v14
	s_mov_b64 s[2:3], 0
.LBB509_21:                             ; =>This Inner Loop Header: Depth=1
	v_add_u32_e32 v15, v13, v10
	v_lshrrev_b32_e32 v16, 1, v15
	v_not_b32_e32 v17, v16
	v_and_b32_e32 v15, -2, v15
	v_lshl_add_u32 v17, v17, 1, v14
	ds_read_u16 v15, v15
	ds_read_u16 v17, v17
	v_add_u32_e32 v18, 1, v16
	s_waitcnt lgkmcnt(1)
	v_and_b32_e32 v15, s24, v15
	s_waitcnt lgkmcnt(0)
	v_and_b32_e32 v17, s24, v17
	v_cmp_gt_u16_e32 vcc, v15, v17
	v_cndmask_b32_e32 v13, v13, v16, vcc
	v_cndmask_b32_e32 v10, v18, v10, vcc
	v_cmp_ge_u32_e32 vcc, v10, v13
	s_or_b64 s[2:3], vcc, s[2:3]
	s_andn2_b64 exec, exec, s[2:3]
	s_cbranch_execnz .LBB509_21
; %bb.22:
	s_or_b64 exec, exec, s[2:3]
.LBB509_23:
	s_or_b64 exec, exec, s[0:1]
	v_sub_u32_e32 v12, v12, v10
	v_add_u32_e32 v12, s15, v12
	v_cmp_ge_u32_e32 vcc, s15, v10
	v_cmp_ge_u32_e64 s[0:1], s17, v12
	s_or_b64 s[0:1], vcc, s[0:1]
	s_and_saveexec_b64 s[22:23], s[0:1]
	s_cbranch_execz .LBB509_29
; %bb.24:
	v_cmp_gt_u32_e32 vcc, s15, v10
                                        ; implicit-def: $vgpr2
	s_and_saveexec_b64 s[0:1], vcc
	s_cbranch_execz .LBB509_26
; %bb.25:
	v_lshlrev_b32_e32 v2, 1, v10
	ds_read_u16 v2, v2
.LBB509_26:
	s_or_b64 exec, exec, s[0:1]
	v_cmp_le_u32_e64 s[0:1], s17, v12
	v_cmp_gt_u32_e64 s[2:3], s17, v12
                                        ; implicit-def: $vgpr3
	s_and_saveexec_b64 s[4:5], s[2:3]
	s_cbranch_execz .LBB509_28
; %bb.27:
	v_lshlrev_b32_e32 v3, 1, v12
	ds_read_u16 v3, v3
.LBB509_28:
	s_or_b64 exec, exec, s[4:5]
	s_waitcnt lgkmcnt(0)
	v_and_b32_e32 v4, s24, v3
	v_and_b32_e32 v5, s24, v2
	v_cmp_le_u16_e64 s[2:3], v5, v4
	s_and_b64 s[2:3], vcc, s[2:3]
	s_or_b64 vcc, s[0:1], s[2:3]
	v_mov_b32_e32 v5, s17
	v_mov_b32_e32 v8, s15
	v_cndmask_b32_e32 v4, v12, v10, vcc
	v_cndmask_b32_e32 v7, v5, v8, vcc
	v_add_u32_e32 v4, 1, v4
	v_add_u32_e32 v7, -1, v7
	v_min_u32_e32 v7, v4, v7
	v_lshlrev_b32_e32 v7, 1, v7
	ds_read_u16 v7, v7
	v_cndmask_b32_e32 v11, v4, v12, vcc
	v_cndmask_b32_e32 v4, v10, v4, vcc
	v_cmp_gt_u32_e64 s[2:3], s15, v4
	v_cmp_le_u32_e64 s[0:1], s17, v11
	s_waitcnt lgkmcnt(0)
	v_cndmask_b32_e32 v9, v7, v3, vcc
	v_cndmask_b32_e32 v7, v2, v7, vcc
	v_and_b32_e32 v10, s24, v9
	v_and_b32_e32 v12, s24, v7
	v_cmp_le_u16_e64 s[4:5], v12, v10
	s_and_b64 s[2:3], s[2:3], s[4:5]
	s_or_b64 s[0:1], s[0:1], s[2:3]
	v_cndmask_b32_e64 v10, v11, v4, s[0:1]
	v_cndmask_b32_e64 v12, v5, v8, s[0:1]
	v_add_u32_e32 v10, 1, v10
	v_add_u32_e32 v12, -1, v12
	v_min_u32_e32 v12, v10, v12
	v_lshlrev_b32_e32 v12, 1, v12
	ds_read_u16 v12, v12
	v_cndmask_b32_e64 v11, v10, v11, s[0:1]
	v_cndmask_b32_e64 v4, v4, v10, s[0:1]
	v_cmp_gt_u32_e64 s[4:5], s15, v4
	v_cmp_le_u32_e64 s[2:3], s17, v11
	s_waitcnt lgkmcnt(0)
	v_cndmask_b32_e64 v13, v12, v9, s[0:1]
	v_cndmask_b32_e64 v12, v7, v12, s[0:1]
	v_and_b32_e32 v10, s24, v13
	v_and_b32_e32 v14, s24, v12
	v_cmp_le_u16_e64 s[6:7], v14, v10
	s_and_b64 s[4:5], s[4:5], s[6:7]
	s_or_b64 s[2:3], s[2:3], s[4:5]
	v_cndmask_b32_e64 v10, v11, v4, s[2:3]
	v_cndmask_b32_e64 v14, v5, v8, s[2:3]
	v_add_u32_e32 v10, 1, v10
	v_add_u32_e32 v14, -1, v14
	v_min_u32_e32 v14, v10, v14
	v_lshlrev_b32_e32 v14, 1, v14
	ds_read_u16 v14, v14
	v_cndmask_b32_e64 v11, v10, v11, s[2:3]
	v_cndmask_b32_e64 v4, v4, v10, s[2:3]
	v_cmp_gt_u32_e64 s[6:7], s15, v4
	v_cmp_le_u32_e64 s[4:5], s17, v11
	s_waitcnt lgkmcnt(0)
	v_cndmask_b32_e64 v15, v14, v13, s[2:3]
	v_cndmask_b32_e64 v14, v12, v14, s[2:3]
	;; [unrolled: 19-line block ×4, first 2 shown]
	v_and_b32_e32 v10, s24, v19
	v_and_b32_e32 v20, s24, v18
	v_cmp_le_u16_e64 s[12:13], v20, v10
	s_and_b64 s[10:11], s[10:11], s[12:13]
	s_or_b64 s[8:9], s[8:9], s[10:11]
	v_cndmask_b32_e64 v10, v11, v4, s[8:9]
	v_cndmask_b32_e64 v20, v5, v8, s[8:9]
	v_add_u32_e32 v10, 1, v10
	v_add_u32_e32 v20, -1, v20
	v_min_u32_e32 v20, v10, v20
	v_lshlrev_b32_e32 v20, 1, v20
	ds_read_u16 v20, v20
	v_cndmask_b32_e32 v2, v3, v2, vcc
	v_cndmask_b32_e64 v3, v13, v12, s[2:3]
	v_cndmask_b32_e64 v7, v9, v7, s[0:1]
	;; [unrolled: 1-line block ×3, first 2 shown]
	s_waitcnt lgkmcnt(0)
	v_cndmask_b32_e64 v12, v20, v19, s[8:9]
	v_cndmask_b32_e64 v13, v18, v20, s[8:9]
	;; [unrolled: 1-line block ×3, first 2 shown]
	v_and_b32_e32 v4, s24, v12
	v_and_b32_e32 v9, s24, v13
	v_cmp_gt_u32_e64 s[0:1], s15, v10
	v_cmp_le_u16_e64 s[2:3], v9, v4
	v_cmp_le_u32_e32 vcc, s17, v11
	s_and_b64 s[0:1], s[0:1], s[2:3]
	s_or_b64 vcc, vcc, s[0:1]
	v_cndmask_b32_e32 v4, v11, v10, vcc
	v_cndmask_b32_e32 v5, v5, v8, vcc
	v_add_u32_e32 v20, 1, v4
	v_add_u32_e32 v4, -1, v5
	v_min_u32_e32 v4, v20, v4
	v_lshlrev_b32_e32 v4, 1, v4
	ds_read_u16 v21, v4
	v_cndmask_b32_e32 v5, v12, v13, vcc
	v_cndmask_b32_e32 v11, v20, v11, vcc
	;; [unrolled: 1-line block ×3, first 2 shown]
	v_cmp_gt_u32_e64 s[0:1], s15, v10
	s_waitcnt lgkmcnt(0)
	v_cndmask_b32_e32 v12, v21, v12, vcc
	v_cndmask_b32_e32 v13, v13, v21, vcc
	v_cmp_le_u32_e32 vcc, s17, v11
	v_and_b32_e32 v10, s24, v12
	v_and_b32_e32 v11, s24, v13
	v_cmp_le_u16_e64 s[2:3], v11, v10
	s_and_b64 s[0:1], s[0:1], s[2:3]
	s_or_b64 vcc, vcc, s[0:1]
	v_cndmask_b32_e64 v8, v15, v14, s[4:5]
	v_cndmask_b32_e64 v4, v17, v16, s[6:7]
	;; [unrolled: 1-line block ×3, first 2 shown]
	v_cndmask_b32_e32 v11, v12, v13, vcc
.LBB509_29:
	s_or_b64 exec, exec, s[22:23]
	v_lshrrev_b32_e32 v10, 2, v0
	v_and_b32_e32 v10, 30, v10
	s_mov_b32 s2, 0x5040100
	v_add_lshl_u32 v6, v10, v6, 1
	v_perm_b32 v3, v8, v3, s2
	v_perm_b32 v2, v7, v2, s2
	s_barrier
	s_barrier
	ds_write2_b32 v6, v2, v3 offset1:1
	v_perm_b32 v2, v11, v5, s2
	v_perm_b32 v3, v9, v4, s2
	ds_write2_b32 v6, v3, v2 offset0:2 offset1:3
	v_lshrrev_b32_e32 v2, 4, v0
	v_and_b32_e32 v2, 4, v2
	v_or_b32_e32 v10, 0x80, v0
	v_add_u32_e32 v11, v1, v2
	v_lshrrev_b32_e32 v2, 4, v10
	v_and_b32_e32 v2, 12, v2
	v_or_b32_e32 v9, 0x100, v0
	v_add_u32_e32 v12, v1, v2
	;; [unrolled: 4-line block ×5, first 2 shown]
	v_lshrrev_b32_e32 v2, 4, v6
	v_and_b32_e32 v2, 44, v2
	v_or_b32_e32 v5, 0x300, v0
	s_mov_b32 s17, 0
	v_add_u32_e32 v16, v1, v2
	v_lshrrev_b32_e32 v2, 4, v5
	s_lshl_b64 s[0:1], s[16:17], 1
	v_and_b32_e32 v2, 52, v2
	v_or_b32_e32 v4, 0x380, v0
	s_add_u32 s0, s20, s0
	v_add_u32_e32 v17, v1, v2
	v_lshrrev_b32_e32 v2, 4, v4
	s_addc_u32 s1, s21, s1
	v_and_b32_e32 v2, 60, v2
	v_add_u32_e32 v18, v1, v2
	v_mov_b32_e32 v3, s1
	v_add_co_u32_e32 v2, vcc, s0, v1
	v_addc_co_u32_e32 v3, vcc, 0, v3, vcc
	s_and_b64 vcc, exec, s[18:19]
	s_waitcnt lgkmcnt(0)
	s_cbranch_vccz .LBB509_31
; %bb.30:
	s_barrier
	ds_read_u16 v19, v11
	ds_read_u16 v20, v12 offset:256
	ds_read_u16 v21, v13 offset:512
	;; [unrolled: 1-line block ×7, first 2 shown]
	s_waitcnt lgkmcnt(7)
	global_store_short v[2:3], v19, off
	s_waitcnt lgkmcnt(6)
	global_store_short v[2:3], v20, off offset:256
	s_waitcnt lgkmcnt(5)
	global_store_short v[2:3], v21, off offset:512
	;; [unrolled: 2-line block ×6, first 2 shown]
	s_mov_b64 s[0:1], -1
	s_cbranch_execz .LBB509_32
	s_branch .LBB509_41
.LBB509_31:
	s_mov_b64 s[0:1], 0
                                        ; implicit-def: $vgpr1
.LBB509_32:
	s_barrier
	s_waitcnt lgkmcnt(0)
	ds_read_u16 v21, v12 offset:256
	ds_read_u16 v20, v13 offset:512
	;; [unrolled: 1-line block ×7, first 2 shown]
	s_sub_i32 s2, s14, s16
	v_cmp_gt_u32_e32 vcc, s2, v0
	s_and_saveexec_b64 s[0:1], vcc
	s_cbranch_execnz .LBB509_46
; %bb.33:
	s_or_b64 exec, exec, s[0:1]
	v_cmp_gt_u32_e32 vcc, s2, v10
	s_and_saveexec_b64 s[0:1], vcc
	s_cbranch_execnz .LBB509_47
.LBB509_34:
	s_or_b64 exec, exec, s[0:1]
	v_cmp_gt_u32_e32 vcc, s2, v9
	s_and_saveexec_b64 s[0:1], vcc
	s_cbranch_execnz .LBB509_48
.LBB509_35:
	s_or_b64 exec, exec, s[0:1]
	v_cmp_gt_u32_e32 vcc, s2, v8
	s_and_saveexec_b64 s[0:1], vcc
	s_cbranch_execnz .LBB509_49
.LBB509_36:
	s_or_b64 exec, exec, s[0:1]
	v_cmp_gt_u32_e32 vcc, s2, v7
	s_and_saveexec_b64 s[0:1], vcc
	s_cbranch_execnz .LBB509_50
.LBB509_37:
	s_or_b64 exec, exec, s[0:1]
	v_cmp_gt_u32_e32 vcc, s2, v6
	s_and_saveexec_b64 s[0:1], vcc
	s_cbranch_execnz .LBB509_51
.LBB509_38:
	s_or_b64 exec, exec, s[0:1]
	v_cmp_gt_u32_e32 vcc, s2, v5
	s_and_saveexec_b64 s[0:1], vcc
	s_cbranch_execz .LBB509_40
.LBB509_39:
	s_waitcnt lgkmcnt(1)
	global_store_short v[2:3], v12, off offset:1536
.LBB509_40:
	s_or_b64 exec, exec, s[0:1]
	v_cmp_gt_u32_e64 s[0:1], s2, v4
.LBB509_41:
	s_and_saveexec_b64 s[2:3], s[0:1]
	s_cbranch_execz .LBB509_43
; %bb.42:
	s_waitcnt lgkmcnt(0)
	global_store_short v[2:3], v1, off offset:1792
.LBB509_43:
	s_endpgm
.LBB509_44:
	v_mov_b32_e32 v2, s12
	v_add_co_u32_e32 v4, vcc, s11, v1
	v_mov_b32_e32 v3, 0
	v_addc_co_u32_e32 v5, vcc, 0, v2, vcc
	v_subrev_u32_e32 v2, s15, v0
	v_lshlrev_b64 v[2:3], 1, v[2:3]
	v_mov_b32_e32 v7, s9
	v_add_co_u32_e32 v2, vcc, s8, v2
	v_addc_co_u32_e32 v3, vcc, v7, v3, vcc
	v_cmp_gt_u32_e32 vcc, s15, v0
	v_cndmask_b32_e32 v3, v3, v5, vcc
	v_cndmask_b32_e32 v2, v2, v4, vcc
	global_load_ushort v2, v[2:3], off
	s_or_b64 exec, exec, s[0:1]
	v_cmp_gt_u32_e32 vcc, s17, v8
	s_and_saveexec_b64 s[2:3], vcc
	s_cbranch_execz .LBB509_6
.LBB509_45:
	v_mov_b32_e32 v9, 0
	v_lshlrev_b64 v[12:13], 1, v[8:9]
	v_mov_b32_e32 v7, s12
	v_add_co_u32_e32 v11, vcc, s11, v12
	v_addc_co_u32_e32 v7, vcc, v7, v13, vcc
	v_cmp_gt_u32_e32 vcc, s15, v8
	v_subrev_u32_e32 v8, s15, v8
	v_lshlrev_b64 v[8:9], 1, v[8:9]
	v_mov_b32_e32 v12, s9
	v_add_co_u32_e64 v8, s[0:1], s8, v8
	v_addc_co_u32_e64 v9, s[0:1], v12, v9, s[0:1]
	v_cndmask_b32_e32 v9, v9, v7, vcc
	v_cndmask_b32_e32 v8, v8, v11, vcc
	global_load_ushort v7, v[8:9], off
	s_mov_b32 s0, 0x5040100
	s_waitcnt vmcnt(0)
	v_perm_b32 v2, v7, v2, s0
	s_or_b64 exec, exec, s[2:3]
	v_cmp_gt_u32_e32 vcc, s17, v6
	s_and_saveexec_b64 s[0:1], vcc
	s_cbranch_execnz .LBB509_7
	s_branch .LBB509_8
.LBB509_46:
	ds_read_u16 v0, v11
	s_waitcnt lgkmcnt(0)
	global_store_short v[2:3], v0, off
	s_or_b64 exec, exec, s[0:1]
	v_cmp_gt_u32_e32 vcc, s2, v10
	s_and_saveexec_b64 s[0:1], vcc
	s_cbranch_execz .LBB509_34
.LBB509_47:
	s_waitcnt lgkmcnt(6)
	global_store_short v[2:3], v21, off offset:256
	s_or_b64 exec, exec, s[0:1]
	v_cmp_gt_u32_e32 vcc, s2, v9
	s_and_saveexec_b64 s[0:1], vcc
	s_cbranch_execz .LBB509_35
.LBB509_48:
	s_waitcnt lgkmcnt(5)
	global_store_short v[2:3], v20, off offset:512
	s_or_b64 exec, exec, s[0:1]
	v_cmp_gt_u32_e32 vcc, s2, v8
	s_and_saveexec_b64 s[0:1], vcc
	s_cbranch_execz .LBB509_36
.LBB509_49:
	s_waitcnt lgkmcnt(4)
	global_store_short v[2:3], v19, off offset:768
	s_or_b64 exec, exec, s[0:1]
	v_cmp_gt_u32_e32 vcc, s2, v7
	s_and_saveexec_b64 s[0:1], vcc
	s_cbranch_execz .LBB509_37
.LBB509_50:
	s_waitcnt lgkmcnt(3)
	global_store_short v[2:3], v14, off offset:1024
	s_or_b64 exec, exec, s[0:1]
	v_cmp_gt_u32_e32 vcc, s2, v6
	s_and_saveexec_b64 s[0:1], vcc
	s_cbranch_execz .LBB509_38
.LBB509_51:
	s_waitcnt lgkmcnt(2)
	global_store_short v[2:3], v13, off offset:1280
	s_or_b64 exec, exec, s[0:1]
	v_cmp_gt_u32_e32 vcc, s2, v5
	s_and_saveexec_b64 s[0:1], vcc
	s_cbranch_execnz .LBB509_39
	s_branch .LBB509_40
	.section	.rodata,"a",@progbits
	.p2align	6, 0x0
	.amdhsa_kernel _ZN7rocprim17ROCPRIM_400000_NS6detail17trampoline_kernelINS0_14default_configENS1_38merge_sort_block_merge_config_selectorItNS0_10empty_typeEEEZZNS1_27merge_sort_block_merge_implIS3_PtPS5_jNS1_19radix_merge_compareILb0ELb1EtNS0_19identity_decomposerEEEEE10hipError_tT0_T1_T2_jT3_P12ihipStream_tbPNSt15iterator_traitsISE_E10value_typeEPNSK_ISF_E10value_typeEPSG_NS1_7vsmem_tEENKUlT_SE_SF_SG_E_clIS8_S8_S9_S9_EESD_ST_SE_SF_SG_EUlST_E0_NS1_11comp_targetILNS1_3genE4ELNS1_11target_archE910ELNS1_3gpuE8ELNS1_3repE0EEENS1_38merge_mergepath_config_static_selectorELNS0_4arch9wavefront6targetE1EEEvSF_
		.amdhsa_group_segment_fixed_size 2112
		.amdhsa_private_segment_fixed_size 0
		.amdhsa_kernarg_size 320
		.amdhsa_user_sgpr_count 6
		.amdhsa_user_sgpr_private_segment_buffer 1
		.amdhsa_user_sgpr_dispatch_ptr 0
		.amdhsa_user_sgpr_queue_ptr 0
		.amdhsa_user_sgpr_kernarg_segment_ptr 1
		.amdhsa_user_sgpr_dispatch_id 0
		.amdhsa_user_sgpr_flat_scratch_init 0
		.amdhsa_user_sgpr_kernarg_preload_length 0
		.amdhsa_user_sgpr_kernarg_preload_offset 0
		.amdhsa_user_sgpr_private_segment_size 0
		.amdhsa_uses_dynamic_stack 0
		.amdhsa_system_sgpr_private_segment_wavefront_offset 0
		.amdhsa_system_sgpr_workgroup_id_x 1
		.amdhsa_system_sgpr_workgroup_id_y 1
		.amdhsa_system_sgpr_workgroup_id_z 1
		.amdhsa_system_sgpr_workgroup_info 0
		.amdhsa_system_vgpr_workitem_id 0
		.amdhsa_next_free_vgpr 26
		.amdhsa_next_free_sgpr 25
		.amdhsa_accum_offset 28
		.amdhsa_reserve_vcc 1
		.amdhsa_reserve_flat_scratch 0
		.amdhsa_float_round_mode_32 0
		.amdhsa_float_round_mode_16_64 0
		.amdhsa_float_denorm_mode_32 3
		.amdhsa_float_denorm_mode_16_64 3
		.amdhsa_dx10_clamp 1
		.amdhsa_ieee_mode 1
		.amdhsa_fp16_overflow 0
		.amdhsa_tg_split 0
		.amdhsa_exception_fp_ieee_invalid_op 0
		.amdhsa_exception_fp_denorm_src 0
		.amdhsa_exception_fp_ieee_div_zero 0
		.amdhsa_exception_fp_ieee_overflow 0
		.amdhsa_exception_fp_ieee_underflow 0
		.amdhsa_exception_fp_ieee_inexact 0
		.amdhsa_exception_int_div_zero 0
	.end_amdhsa_kernel
	.section	.text._ZN7rocprim17ROCPRIM_400000_NS6detail17trampoline_kernelINS0_14default_configENS1_38merge_sort_block_merge_config_selectorItNS0_10empty_typeEEEZZNS1_27merge_sort_block_merge_implIS3_PtPS5_jNS1_19radix_merge_compareILb0ELb1EtNS0_19identity_decomposerEEEEE10hipError_tT0_T1_T2_jT3_P12ihipStream_tbPNSt15iterator_traitsISE_E10value_typeEPNSK_ISF_E10value_typeEPSG_NS1_7vsmem_tEENKUlT_SE_SF_SG_E_clIS8_S8_S9_S9_EESD_ST_SE_SF_SG_EUlST_E0_NS1_11comp_targetILNS1_3genE4ELNS1_11target_archE910ELNS1_3gpuE8ELNS1_3repE0EEENS1_38merge_mergepath_config_static_selectorELNS0_4arch9wavefront6targetE1EEEvSF_,"axG",@progbits,_ZN7rocprim17ROCPRIM_400000_NS6detail17trampoline_kernelINS0_14default_configENS1_38merge_sort_block_merge_config_selectorItNS0_10empty_typeEEEZZNS1_27merge_sort_block_merge_implIS3_PtPS5_jNS1_19radix_merge_compareILb0ELb1EtNS0_19identity_decomposerEEEEE10hipError_tT0_T1_T2_jT3_P12ihipStream_tbPNSt15iterator_traitsISE_E10value_typeEPNSK_ISF_E10value_typeEPSG_NS1_7vsmem_tEENKUlT_SE_SF_SG_E_clIS8_S8_S9_S9_EESD_ST_SE_SF_SG_EUlST_E0_NS1_11comp_targetILNS1_3genE4ELNS1_11target_archE910ELNS1_3gpuE8ELNS1_3repE0EEENS1_38merge_mergepath_config_static_selectorELNS0_4arch9wavefront6targetE1EEEvSF_,comdat
.Lfunc_end509:
	.size	_ZN7rocprim17ROCPRIM_400000_NS6detail17trampoline_kernelINS0_14default_configENS1_38merge_sort_block_merge_config_selectorItNS0_10empty_typeEEEZZNS1_27merge_sort_block_merge_implIS3_PtPS5_jNS1_19radix_merge_compareILb0ELb1EtNS0_19identity_decomposerEEEEE10hipError_tT0_T1_T2_jT3_P12ihipStream_tbPNSt15iterator_traitsISE_E10value_typeEPNSK_ISF_E10value_typeEPSG_NS1_7vsmem_tEENKUlT_SE_SF_SG_E_clIS8_S8_S9_S9_EESD_ST_SE_SF_SG_EUlST_E0_NS1_11comp_targetILNS1_3genE4ELNS1_11target_archE910ELNS1_3gpuE8ELNS1_3repE0EEENS1_38merge_mergepath_config_static_selectorELNS0_4arch9wavefront6targetE1EEEvSF_, .Lfunc_end509-_ZN7rocprim17ROCPRIM_400000_NS6detail17trampoline_kernelINS0_14default_configENS1_38merge_sort_block_merge_config_selectorItNS0_10empty_typeEEEZZNS1_27merge_sort_block_merge_implIS3_PtPS5_jNS1_19radix_merge_compareILb0ELb1EtNS0_19identity_decomposerEEEEE10hipError_tT0_T1_T2_jT3_P12ihipStream_tbPNSt15iterator_traitsISE_E10value_typeEPNSK_ISF_E10value_typeEPSG_NS1_7vsmem_tEENKUlT_SE_SF_SG_E_clIS8_S8_S9_S9_EESD_ST_SE_SF_SG_EUlST_E0_NS1_11comp_targetILNS1_3genE4ELNS1_11target_archE910ELNS1_3gpuE8ELNS1_3repE0EEENS1_38merge_mergepath_config_static_selectorELNS0_4arch9wavefront6targetE1EEEvSF_
                                        ; -- End function
	.section	.AMDGPU.csdata,"",@progbits
; Kernel info:
; codeLenInByte = 3920
; NumSgprs: 29
; NumVgprs: 26
; NumAgprs: 0
; TotalNumVgprs: 26
; ScratchSize: 0
; MemoryBound: 0
; FloatMode: 240
; IeeeMode: 1
; LDSByteSize: 2112 bytes/workgroup (compile time only)
; SGPRBlocks: 3
; VGPRBlocks: 3
; NumSGPRsForWavesPerEU: 29
; NumVGPRsForWavesPerEU: 26
; AccumOffset: 28
; Occupancy: 8
; WaveLimiterHint : 1
; COMPUTE_PGM_RSRC2:SCRATCH_EN: 0
; COMPUTE_PGM_RSRC2:USER_SGPR: 6
; COMPUTE_PGM_RSRC2:TRAP_HANDLER: 0
; COMPUTE_PGM_RSRC2:TGID_X_EN: 1
; COMPUTE_PGM_RSRC2:TGID_Y_EN: 1
; COMPUTE_PGM_RSRC2:TGID_Z_EN: 1
; COMPUTE_PGM_RSRC2:TIDIG_COMP_CNT: 0
; COMPUTE_PGM_RSRC3_GFX90A:ACCUM_OFFSET: 6
; COMPUTE_PGM_RSRC3_GFX90A:TG_SPLIT: 0
	.section	.text._ZN7rocprim17ROCPRIM_400000_NS6detail17trampoline_kernelINS0_14default_configENS1_38merge_sort_block_merge_config_selectorItNS0_10empty_typeEEEZZNS1_27merge_sort_block_merge_implIS3_PtPS5_jNS1_19radix_merge_compareILb0ELb1EtNS0_19identity_decomposerEEEEE10hipError_tT0_T1_T2_jT3_P12ihipStream_tbPNSt15iterator_traitsISE_E10value_typeEPNSK_ISF_E10value_typeEPSG_NS1_7vsmem_tEENKUlT_SE_SF_SG_E_clIS8_S8_S9_S9_EESD_ST_SE_SF_SG_EUlST_E0_NS1_11comp_targetILNS1_3genE3ELNS1_11target_archE908ELNS1_3gpuE7ELNS1_3repE0EEENS1_38merge_mergepath_config_static_selectorELNS0_4arch9wavefront6targetE1EEEvSF_,"axG",@progbits,_ZN7rocprim17ROCPRIM_400000_NS6detail17trampoline_kernelINS0_14default_configENS1_38merge_sort_block_merge_config_selectorItNS0_10empty_typeEEEZZNS1_27merge_sort_block_merge_implIS3_PtPS5_jNS1_19radix_merge_compareILb0ELb1EtNS0_19identity_decomposerEEEEE10hipError_tT0_T1_T2_jT3_P12ihipStream_tbPNSt15iterator_traitsISE_E10value_typeEPNSK_ISF_E10value_typeEPSG_NS1_7vsmem_tEENKUlT_SE_SF_SG_E_clIS8_S8_S9_S9_EESD_ST_SE_SF_SG_EUlST_E0_NS1_11comp_targetILNS1_3genE3ELNS1_11target_archE908ELNS1_3gpuE7ELNS1_3repE0EEENS1_38merge_mergepath_config_static_selectorELNS0_4arch9wavefront6targetE1EEEvSF_,comdat
	.protected	_ZN7rocprim17ROCPRIM_400000_NS6detail17trampoline_kernelINS0_14default_configENS1_38merge_sort_block_merge_config_selectorItNS0_10empty_typeEEEZZNS1_27merge_sort_block_merge_implIS3_PtPS5_jNS1_19radix_merge_compareILb0ELb1EtNS0_19identity_decomposerEEEEE10hipError_tT0_T1_T2_jT3_P12ihipStream_tbPNSt15iterator_traitsISE_E10value_typeEPNSK_ISF_E10value_typeEPSG_NS1_7vsmem_tEENKUlT_SE_SF_SG_E_clIS8_S8_S9_S9_EESD_ST_SE_SF_SG_EUlST_E0_NS1_11comp_targetILNS1_3genE3ELNS1_11target_archE908ELNS1_3gpuE7ELNS1_3repE0EEENS1_38merge_mergepath_config_static_selectorELNS0_4arch9wavefront6targetE1EEEvSF_ ; -- Begin function _ZN7rocprim17ROCPRIM_400000_NS6detail17trampoline_kernelINS0_14default_configENS1_38merge_sort_block_merge_config_selectorItNS0_10empty_typeEEEZZNS1_27merge_sort_block_merge_implIS3_PtPS5_jNS1_19radix_merge_compareILb0ELb1EtNS0_19identity_decomposerEEEEE10hipError_tT0_T1_T2_jT3_P12ihipStream_tbPNSt15iterator_traitsISE_E10value_typeEPNSK_ISF_E10value_typeEPSG_NS1_7vsmem_tEENKUlT_SE_SF_SG_E_clIS8_S8_S9_S9_EESD_ST_SE_SF_SG_EUlST_E0_NS1_11comp_targetILNS1_3genE3ELNS1_11target_archE908ELNS1_3gpuE7ELNS1_3repE0EEENS1_38merge_mergepath_config_static_selectorELNS0_4arch9wavefront6targetE1EEEvSF_
	.globl	_ZN7rocprim17ROCPRIM_400000_NS6detail17trampoline_kernelINS0_14default_configENS1_38merge_sort_block_merge_config_selectorItNS0_10empty_typeEEEZZNS1_27merge_sort_block_merge_implIS3_PtPS5_jNS1_19radix_merge_compareILb0ELb1EtNS0_19identity_decomposerEEEEE10hipError_tT0_T1_T2_jT3_P12ihipStream_tbPNSt15iterator_traitsISE_E10value_typeEPNSK_ISF_E10value_typeEPSG_NS1_7vsmem_tEENKUlT_SE_SF_SG_E_clIS8_S8_S9_S9_EESD_ST_SE_SF_SG_EUlST_E0_NS1_11comp_targetILNS1_3genE3ELNS1_11target_archE908ELNS1_3gpuE7ELNS1_3repE0EEENS1_38merge_mergepath_config_static_selectorELNS0_4arch9wavefront6targetE1EEEvSF_
	.p2align	8
	.type	_ZN7rocprim17ROCPRIM_400000_NS6detail17trampoline_kernelINS0_14default_configENS1_38merge_sort_block_merge_config_selectorItNS0_10empty_typeEEEZZNS1_27merge_sort_block_merge_implIS3_PtPS5_jNS1_19radix_merge_compareILb0ELb1EtNS0_19identity_decomposerEEEEE10hipError_tT0_T1_T2_jT3_P12ihipStream_tbPNSt15iterator_traitsISE_E10value_typeEPNSK_ISF_E10value_typeEPSG_NS1_7vsmem_tEENKUlT_SE_SF_SG_E_clIS8_S8_S9_S9_EESD_ST_SE_SF_SG_EUlST_E0_NS1_11comp_targetILNS1_3genE3ELNS1_11target_archE908ELNS1_3gpuE7ELNS1_3repE0EEENS1_38merge_mergepath_config_static_selectorELNS0_4arch9wavefront6targetE1EEEvSF_,@function
_ZN7rocprim17ROCPRIM_400000_NS6detail17trampoline_kernelINS0_14default_configENS1_38merge_sort_block_merge_config_selectorItNS0_10empty_typeEEEZZNS1_27merge_sort_block_merge_implIS3_PtPS5_jNS1_19radix_merge_compareILb0ELb1EtNS0_19identity_decomposerEEEEE10hipError_tT0_T1_T2_jT3_P12ihipStream_tbPNSt15iterator_traitsISE_E10value_typeEPNSK_ISF_E10value_typeEPSG_NS1_7vsmem_tEENKUlT_SE_SF_SG_E_clIS8_S8_S9_S9_EESD_ST_SE_SF_SG_EUlST_E0_NS1_11comp_targetILNS1_3genE3ELNS1_11target_archE908ELNS1_3gpuE7ELNS1_3repE0EEENS1_38merge_mergepath_config_static_selectorELNS0_4arch9wavefront6targetE1EEEvSF_: ; @_ZN7rocprim17ROCPRIM_400000_NS6detail17trampoline_kernelINS0_14default_configENS1_38merge_sort_block_merge_config_selectorItNS0_10empty_typeEEEZZNS1_27merge_sort_block_merge_implIS3_PtPS5_jNS1_19radix_merge_compareILb0ELb1EtNS0_19identity_decomposerEEEEE10hipError_tT0_T1_T2_jT3_P12ihipStream_tbPNSt15iterator_traitsISE_E10value_typeEPNSK_ISF_E10value_typeEPSG_NS1_7vsmem_tEENKUlT_SE_SF_SG_E_clIS8_S8_S9_S9_EESD_ST_SE_SF_SG_EUlST_E0_NS1_11comp_targetILNS1_3genE3ELNS1_11target_archE908ELNS1_3gpuE7ELNS1_3repE0EEENS1_38merge_mergepath_config_static_selectorELNS0_4arch9wavefront6targetE1EEEvSF_
; %bb.0:
	.section	.rodata,"a",@progbits
	.p2align	6, 0x0
	.amdhsa_kernel _ZN7rocprim17ROCPRIM_400000_NS6detail17trampoline_kernelINS0_14default_configENS1_38merge_sort_block_merge_config_selectorItNS0_10empty_typeEEEZZNS1_27merge_sort_block_merge_implIS3_PtPS5_jNS1_19radix_merge_compareILb0ELb1EtNS0_19identity_decomposerEEEEE10hipError_tT0_T1_T2_jT3_P12ihipStream_tbPNSt15iterator_traitsISE_E10value_typeEPNSK_ISF_E10value_typeEPSG_NS1_7vsmem_tEENKUlT_SE_SF_SG_E_clIS8_S8_S9_S9_EESD_ST_SE_SF_SG_EUlST_E0_NS1_11comp_targetILNS1_3genE3ELNS1_11target_archE908ELNS1_3gpuE7ELNS1_3repE0EEENS1_38merge_mergepath_config_static_selectorELNS0_4arch9wavefront6targetE1EEEvSF_
		.amdhsa_group_segment_fixed_size 0
		.amdhsa_private_segment_fixed_size 0
		.amdhsa_kernarg_size 64
		.amdhsa_user_sgpr_count 6
		.amdhsa_user_sgpr_private_segment_buffer 1
		.amdhsa_user_sgpr_dispatch_ptr 0
		.amdhsa_user_sgpr_queue_ptr 0
		.amdhsa_user_sgpr_kernarg_segment_ptr 1
		.amdhsa_user_sgpr_dispatch_id 0
		.amdhsa_user_sgpr_flat_scratch_init 0
		.amdhsa_user_sgpr_kernarg_preload_length 0
		.amdhsa_user_sgpr_kernarg_preload_offset 0
		.amdhsa_user_sgpr_private_segment_size 0
		.amdhsa_uses_dynamic_stack 0
		.amdhsa_system_sgpr_private_segment_wavefront_offset 0
		.amdhsa_system_sgpr_workgroup_id_x 1
		.amdhsa_system_sgpr_workgroup_id_y 0
		.amdhsa_system_sgpr_workgroup_id_z 0
		.amdhsa_system_sgpr_workgroup_info 0
		.amdhsa_system_vgpr_workitem_id 0
		.amdhsa_next_free_vgpr 1
		.amdhsa_next_free_sgpr 0
		.amdhsa_accum_offset 4
		.amdhsa_reserve_vcc 0
		.amdhsa_reserve_flat_scratch 0
		.amdhsa_float_round_mode_32 0
		.amdhsa_float_round_mode_16_64 0
		.amdhsa_float_denorm_mode_32 3
		.amdhsa_float_denorm_mode_16_64 3
		.amdhsa_dx10_clamp 1
		.amdhsa_ieee_mode 1
		.amdhsa_fp16_overflow 0
		.amdhsa_tg_split 0
		.amdhsa_exception_fp_ieee_invalid_op 0
		.amdhsa_exception_fp_denorm_src 0
		.amdhsa_exception_fp_ieee_div_zero 0
		.amdhsa_exception_fp_ieee_overflow 0
		.amdhsa_exception_fp_ieee_underflow 0
		.amdhsa_exception_fp_ieee_inexact 0
		.amdhsa_exception_int_div_zero 0
	.end_amdhsa_kernel
	.section	.text._ZN7rocprim17ROCPRIM_400000_NS6detail17trampoline_kernelINS0_14default_configENS1_38merge_sort_block_merge_config_selectorItNS0_10empty_typeEEEZZNS1_27merge_sort_block_merge_implIS3_PtPS5_jNS1_19radix_merge_compareILb0ELb1EtNS0_19identity_decomposerEEEEE10hipError_tT0_T1_T2_jT3_P12ihipStream_tbPNSt15iterator_traitsISE_E10value_typeEPNSK_ISF_E10value_typeEPSG_NS1_7vsmem_tEENKUlT_SE_SF_SG_E_clIS8_S8_S9_S9_EESD_ST_SE_SF_SG_EUlST_E0_NS1_11comp_targetILNS1_3genE3ELNS1_11target_archE908ELNS1_3gpuE7ELNS1_3repE0EEENS1_38merge_mergepath_config_static_selectorELNS0_4arch9wavefront6targetE1EEEvSF_,"axG",@progbits,_ZN7rocprim17ROCPRIM_400000_NS6detail17trampoline_kernelINS0_14default_configENS1_38merge_sort_block_merge_config_selectorItNS0_10empty_typeEEEZZNS1_27merge_sort_block_merge_implIS3_PtPS5_jNS1_19radix_merge_compareILb0ELb1EtNS0_19identity_decomposerEEEEE10hipError_tT0_T1_T2_jT3_P12ihipStream_tbPNSt15iterator_traitsISE_E10value_typeEPNSK_ISF_E10value_typeEPSG_NS1_7vsmem_tEENKUlT_SE_SF_SG_E_clIS8_S8_S9_S9_EESD_ST_SE_SF_SG_EUlST_E0_NS1_11comp_targetILNS1_3genE3ELNS1_11target_archE908ELNS1_3gpuE7ELNS1_3repE0EEENS1_38merge_mergepath_config_static_selectorELNS0_4arch9wavefront6targetE1EEEvSF_,comdat
.Lfunc_end510:
	.size	_ZN7rocprim17ROCPRIM_400000_NS6detail17trampoline_kernelINS0_14default_configENS1_38merge_sort_block_merge_config_selectorItNS0_10empty_typeEEEZZNS1_27merge_sort_block_merge_implIS3_PtPS5_jNS1_19radix_merge_compareILb0ELb1EtNS0_19identity_decomposerEEEEE10hipError_tT0_T1_T2_jT3_P12ihipStream_tbPNSt15iterator_traitsISE_E10value_typeEPNSK_ISF_E10value_typeEPSG_NS1_7vsmem_tEENKUlT_SE_SF_SG_E_clIS8_S8_S9_S9_EESD_ST_SE_SF_SG_EUlST_E0_NS1_11comp_targetILNS1_3genE3ELNS1_11target_archE908ELNS1_3gpuE7ELNS1_3repE0EEENS1_38merge_mergepath_config_static_selectorELNS0_4arch9wavefront6targetE1EEEvSF_, .Lfunc_end510-_ZN7rocprim17ROCPRIM_400000_NS6detail17trampoline_kernelINS0_14default_configENS1_38merge_sort_block_merge_config_selectorItNS0_10empty_typeEEEZZNS1_27merge_sort_block_merge_implIS3_PtPS5_jNS1_19radix_merge_compareILb0ELb1EtNS0_19identity_decomposerEEEEE10hipError_tT0_T1_T2_jT3_P12ihipStream_tbPNSt15iterator_traitsISE_E10value_typeEPNSK_ISF_E10value_typeEPSG_NS1_7vsmem_tEENKUlT_SE_SF_SG_E_clIS8_S8_S9_S9_EESD_ST_SE_SF_SG_EUlST_E0_NS1_11comp_targetILNS1_3genE3ELNS1_11target_archE908ELNS1_3gpuE7ELNS1_3repE0EEENS1_38merge_mergepath_config_static_selectorELNS0_4arch9wavefront6targetE1EEEvSF_
                                        ; -- End function
	.section	.AMDGPU.csdata,"",@progbits
; Kernel info:
; codeLenInByte = 0
; NumSgprs: 4
; NumVgprs: 0
; NumAgprs: 0
; TotalNumVgprs: 0
; ScratchSize: 0
; MemoryBound: 0
; FloatMode: 240
; IeeeMode: 1
; LDSByteSize: 0 bytes/workgroup (compile time only)
; SGPRBlocks: 0
; VGPRBlocks: 0
; NumSGPRsForWavesPerEU: 4
; NumVGPRsForWavesPerEU: 1
; AccumOffset: 4
; Occupancy: 8
; WaveLimiterHint : 0
; COMPUTE_PGM_RSRC2:SCRATCH_EN: 0
; COMPUTE_PGM_RSRC2:USER_SGPR: 6
; COMPUTE_PGM_RSRC2:TRAP_HANDLER: 0
; COMPUTE_PGM_RSRC2:TGID_X_EN: 1
; COMPUTE_PGM_RSRC2:TGID_Y_EN: 0
; COMPUTE_PGM_RSRC2:TGID_Z_EN: 0
; COMPUTE_PGM_RSRC2:TIDIG_COMP_CNT: 0
; COMPUTE_PGM_RSRC3_GFX90A:ACCUM_OFFSET: 0
; COMPUTE_PGM_RSRC3_GFX90A:TG_SPLIT: 0
	.section	.text._ZN7rocprim17ROCPRIM_400000_NS6detail17trampoline_kernelINS0_14default_configENS1_38merge_sort_block_merge_config_selectorItNS0_10empty_typeEEEZZNS1_27merge_sort_block_merge_implIS3_PtPS5_jNS1_19radix_merge_compareILb0ELb1EtNS0_19identity_decomposerEEEEE10hipError_tT0_T1_T2_jT3_P12ihipStream_tbPNSt15iterator_traitsISE_E10value_typeEPNSK_ISF_E10value_typeEPSG_NS1_7vsmem_tEENKUlT_SE_SF_SG_E_clIS8_S8_S9_S9_EESD_ST_SE_SF_SG_EUlST_E0_NS1_11comp_targetILNS1_3genE2ELNS1_11target_archE906ELNS1_3gpuE6ELNS1_3repE0EEENS1_38merge_mergepath_config_static_selectorELNS0_4arch9wavefront6targetE1EEEvSF_,"axG",@progbits,_ZN7rocprim17ROCPRIM_400000_NS6detail17trampoline_kernelINS0_14default_configENS1_38merge_sort_block_merge_config_selectorItNS0_10empty_typeEEEZZNS1_27merge_sort_block_merge_implIS3_PtPS5_jNS1_19radix_merge_compareILb0ELb1EtNS0_19identity_decomposerEEEEE10hipError_tT0_T1_T2_jT3_P12ihipStream_tbPNSt15iterator_traitsISE_E10value_typeEPNSK_ISF_E10value_typeEPSG_NS1_7vsmem_tEENKUlT_SE_SF_SG_E_clIS8_S8_S9_S9_EESD_ST_SE_SF_SG_EUlST_E0_NS1_11comp_targetILNS1_3genE2ELNS1_11target_archE906ELNS1_3gpuE6ELNS1_3repE0EEENS1_38merge_mergepath_config_static_selectorELNS0_4arch9wavefront6targetE1EEEvSF_,comdat
	.protected	_ZN7rocprim17ROCPRIM_400000_NS6detail17trampoline_kernelINS0_14default_configENS1_38merge_sort_block_merge_config_selectorItNS0_10empty_typeEEEZZNS1_27merge_sort_block_merge_implIS3_PtPS5_jNS1_19radix_merge_compareILb0ELb1EtNS0_19identity_decomposerEEEEE10hipError_tT0_T1_T2_jT3_P12ihipStream_tbPNSt15iterator_traitsISE_E10value_typeEPNSK_ISF_E10value_typeEPSG_NS1_7vsmem_tEENKUlT_SE_SF_SG_E_clIS8_S8_S9_S9_EESD_ST_SE_SF_SG_EUlST_E0_NS1_11comp_targetILNS1_3genE2ELNS1_11target_archE906ELNS1_3gpuE6ELNS1_3repE0EEENS1_38merge_mergepath_config_static_selectorELNS0_4arch9wavefront6targetE1EEEvSF_ ; -- Begin function _ZN7rocprim17ROCPRIM_400000_NS6detail17trampoline_kernelINS0_14default_configENS1_38merge_sort_block_merge_config_selectorItNS0_10empty_typeEEEZZNS1_27merge_sort_block_merge_implIS3_PtPS5_jNS1_19radix_merge_compareILb0ELb1EtNS0_19identity_decomposerEEEEE10hipError_tT0_T1_T2_jT3_P12ihipStream_tbPNSt15iterator_traitsISE_E10value_typeEPNSK_ISF_E10value_typeEPSG_NS1_7vsmem_tEENKUlT_SE_SF_SG_E_clIS8_S8_S9_S9_EESD_ST_SE_SF_SG_EUlST_E0_NS1_11comp_targetILNS1_3genE2ELNS1_11target_archE906ELNS1_3gpuE6ELNS1_3repE0EEENS1_38merge_mergepath_config_static_selectorELNS0_4arch9wavefront6targetE1EEEvSF_
	.globl	_ZN7rocprim17ROCPRIM_400000_NS6detail17trampoline_kernelINS0_14default_configENS1_38merge_sort_block_merge_config_selectorItNS0_10empty_typeEEEZZNS1_27merge_sort_block_merge_implIS3_PtPS5_jNS1_19radix_merge_compareILb0ELb1EtNS0_19identity_decomposerEEEEE10hipError_tT0_T1_T2_jT3_P12ihipStream_tbPNSt15iterator_traitsISE_E10value_typeEPNSK_ISF_E10value_typeEPSG_NS1_7vsmem_tEENKUlT_SE_SF_SG_E_clIS8_S8_S9_S9_EESD_ST_SE_SF_SG_EUlST_E0_NS1_11comp_targetILNS1_3genE2ELNS1_11target_archE906ELNS1_3gpuE6ELNS1_3repE0EEENS1_38merge_mergepath_config_static_selectorELNS0_4arch9wavefront6targetE1EEEvSF_
	.p2align	8
	.type	_ZN7rocprim17ROCPRIM_400000_NS6detail17trampoline_kernelINS0_14default_configENS1_38merge_sort_block_merge_config_selectorItNS0_10empty_typeEEEZZNS1_27merge_sort_block_merge_implIS3_PtPS5_jNS1_19radix_merge_compareILb0ELb1EtNS0_19identity_decomposerEEEEE10hipError_tT0_T1_T2_jT3_P12ihipStream_tbPNSt15iterator_traitsISE_E10value_typeEPNSK_ISF_E10value_typeEPSG_NS1_7vsmem_tEENKUlT_SE_SF_SG_E_clIS8_S8_S9_S9_EESD_ST_SE_SF_SG_EUlST_E0_NS1_11comp_targetILNS1_3genE2ELNS1_11target_archE906ELNS1_3gpuE6ELNS1_3repE0EEENS1_38merge_mergepath_config_static_selectorELNS0_4arch9wavefront6targetE1EEEvSF_,@function
_ZN7rocprim17ROCPRIM_400000_NS6detail17trampoline_kernelINS0_14default_configENS1_38merge_sort_block_merge_config_selectorItNS0_10empty_typeEEEZZNS1_27merge_sort_block_merge_implIS3_PtPS5_jNS1_19radix_merge_compareILb0ELb1EtNS0_19identity_decomposerEEEEE10hipError_tT0_T1_T2_jT3_P12ihipStream_tbPNSt15iterator_traitsISE_E10value_typeEPNSK_ISF_E10value_typeEPSG_NS1_7vsmem_tEENKUlT_SE_SF_SG_E_clIS8_S8_S9_S9_EESD_ST_SE_SF_SG_EUlST_E0_NS1_11comp_targetILNS1_3genE2ELNS1_11target_archE906ELNS1_3gpuE6ELNS1_3repE0EEENS1_38merge_mergepath_config_static_selectorELNS0_4arch9wavefront6targetE1EEEvSF_: ; @_ZN7rocprim17ROCPRIM_400000_NS6detail17trampoline_kernelINS0_14default_configENS1_38merge_sort_block_merge_config_selectorItNS0_10empty_typeEEEZZNS1_27merge_sort_block_merge_implIS3_PtPS5_jNS1_19radix_merge_compareILb0ELb1EtNS0_19identity_decomposerEEEEE10hipError_tT0_T1_T2_jT3_P12ihipStream_tbPNSt15iterator_traitsISE_E10value_typeEPNSK_ISF_E10value_typeEPSG_NS1_7vsmem_tEENKUlT_SE_SF_SG_E_clIS8_S8_S9_S9_EESD_ST_SE_SF_SG_EUlST_E0_NS1_11comp_targetILNS1_3genE2ELNS1_11target_archE906ELNS1_3gpuE6ELNS1_3repE0EEENS1_38merge_mergepath_config_static_selectorELNS0_4arch9wavefront6targetE1EEEvSF_
; %bb.0:
	.section	.rodata,"a",@progbits
	.p2align	6, 0x0
	.amdhsa_kernel _ZN7rocprim17ROCPRIM_400000_NS6detail17trampoline_kernelINS0_14default_configENS1_38merge_sort_block_merge_config_selectorItNS0_10empty_typeEEEZZNS1_27merge_sort_block_merge_implIS3_PtPS5_jNS1_19radix_merge_compareILb0ELb1EtNS0_19identity_decomposerEEEEE10hipError_tT0_T1_T2_jT3_P12ihipStream_tbPNSt15iterator_traitsISE_E10value_typeEPNSK_ISF_E10value_typeEPSG_NS1_7vsmem_tEENKUlT_SE_SF_SG_E_clIS8_S8_S9_S9_EESD_ST_SE_SF_SG_EUlST_E0_NS1_11comp_targetILNS1_3genE2ELNS1_11target_archE906ELNS1_3gpuE6ELNS1_3repE0EEENS1_38merge_mergepath_config_static_selectorELNS0_4arch9wavefront6targetE1EEEvSF_
		.amdhsa_group_segment_fixed_size 0
		.amdhsa_private_segment_fixed_size 0
		.amdhsa_kernarg_size 64
		.amdhsa_user_sgpr_count 6
		.amdhsa_user_sgpr_private_segment_buffer 1
		.amdhsa_user_sgpr_dispatch_ptr 0
		.amdhsa_user_sgpr_queue_ptr 0
		.amdhsa_user_sgpr_kernarg_segment_ptr 1
		.amdhsa_user_sgpr_dispatch_id 0
		.amdhsa_user_sgpr_flat_scratch_init 0
		.amdhsa_user_sgpr_kernarg_preload_length 0
		.amdhsa_user_sgpr_kernarg_preload_offset 0
		.amdhsa_user_sgpr_private_segment_size 0
		.amdhsa_uses_dynamic_stack 0
		.amdhsa_system_sgpr_private_segment_wavefront_offset 0
		.amdhsa_system_sgpr_workgroup_id_x 1
		.amdhsa_system_sgpr_workgroup_id_y 0
		.amdhsa_system_sgpr_workgroup_id_z 0
		.amdhsa_system_sgpr_workgroup_info 0
		.amdhsa_system_vgpr_workitem_id 0
		.amdhsa_next_free_vgpr 1
		.amdhsa_next_free_sgpr 0
		.amdhsa_accum_offset 4
		.amdhsa_reserve_vcc 0
		.amdhsa_reserve_flat_scratch 0
		.amdhsa_float_round_mode_32 0
		.amdhsa_float_round_mode_16_64 0
		.amdhsa_float_denorm_mode_32 3
		.amdhsa_float_denorm_mode_16_64 3
		.amdhsa_dx10_clamp 1
		.amdhsa_ieee_mode 1
		.amdhsa_fp16_overflow 0
		.amdhsa_tg_split 0
		.amdhsa_exception_fp_ieee_invalid_op 0
		.amdhsa_exception_fp_denorm_src 0
		.amdhsa_exception_fp_ieee_div_zero 0
		.amdhsa_exception_fp_ieee_overflow 0
		.amdhsa_exception_fp_ieee_underflow 0
		.amdhsa_exception_fp_ieee_inexact 0
		.amdhsa_exception_int_div_zero 0
	.end_amdhsa_kernel
	.section	.text._ZN7rocprim17ROCPRIM_400000_NS6detail17trampoline_kernelINS0_14default_configENS1_38merge_sort_block_merge_config_selectorItNS0_10empty_typeEEEZZNS1_27merge_sort_block_merge_implIS3_PtPS5_jNS1_19radix_merge_compareILb0ELb1EtNS0_19identity_decomposerEEEEE10hipError_tT0_T1_T2_jT3_P12ihipStream_tbPNSt15iterator_traitsISE_E10value_typeEPNSK_ISF_E10value_typeEPSG_NS1_7vsmem_tEENKUlT_SE_SF_SG_E_clIS8_S8_S9_S9_EESD_ST_SE_SF_SG_EUlST_E0_NS1_11comp_targetILNS1_3genE2ELNS1_11target_archE906ELNS1_3gpuE6ELNS1_3repE0EEENS1_38merge_mergepath_config_static_selectorELNS0_4arch9wavefront6targetE1EEEvSF_,"axG",@progbits,_ZN7rocprim17ROCPRIM_400000_NS6detail17trampoline_kernelINS0_14default_configENS1_38merge_sort_block_merge_config_selectorItNS0_10empty_typeEEEZZNS1_27merge_sort_block_merge_implIS3_PtPS5_jNS1_19radix_merge_compareILb0ELb1EtNS0_19identity_decomposerEEEEE10hipError_tT0_T1_T2_jT3_P12ihipStream_tbPNSt15iterator_traitsISE_E10value_typeEPNSK_ISF_E10value_typeEPSG_NS1_7vsmem_tEENKUlT_SE_SF_SG_E_clIS8_S8_S9_S9_EESD_ST_SE_SF_SG_EUlST_E0_NS1_11comp_targetILNS1_3genE2ELNS1_11target_archE906ELNS1_3gpuE6ELNS1_3repE0EEENS1_38merge_mergepath_config_static_selectorELNS0_4arch9wavefront6targetE1EEEvSF_,comdat
.Lfunc_end511:
	.size	_ZN7rocprim17ROCPRIM_400000_NS6detail17trampoline_kernelINS0_14default_configENS1_38merge_sort_block_merge_config_selectorItNS0_10empty_typeEEEZZNS1_27merge_sort_block_merge_implIS3_PtPS5_jNS1_19radix_merge_compareILb0ELb1EtNS0_19identity_decomposerEEEEE10hipError_tT0_T1_T2_jT3_P12ihipStream_tbPNSt15iterator_traitsISE_E10value_typeEPNSK_ISF_E10value_typeEPSG_NS1_7vsmem_tEENKUlT_SE_SF_SG_E_clIS8_S8_S9_S9_EESD_ST_SE_SF_SG_EUlST_E0_NS1_11comp_targetILNS1_3genE2ELNS1_11target_archE906ELNS1_3gpuE6ELNS1_3repE0EEENS1_38merge_mergepath_config_static_selectorELNS0_4arch9wavefront6targetE1EEEvSF_, .Lfunc_end511-_ZN7rocprim17ROCPRIM_400000_NS6detail17trampoline_kernelINS0_14default_configENS1_38merge_sort_block_merge_config_selectorItNS0_10empty_typeEEEZZNS1_27merge_sort_block_merge_implIS3_PtPS5_jNS1_19radix_merge_compareILb0ELb1EtNS0_19identity_decomposerEEEEE10hipError_tT0_T1_T2_jT3_P12ihipStream_tbPNSt15iterator_traitsISE_E10value_typeEPNSK_ISF_E10value_typeEPSG_NS1_7vsmem_tEENKUlT_SE_SF_SG_E_clIS8_S8_S9_S9_EESD_ST_SE_SF_SG_EUlST_E0_NS1_11comp_targetILNS1_3genE2ELNS1_11target_archE906ELNS1_3gpuE6ELNS1_3repE0EEENS1_38merge_mergepath_config_static_selectorELNS0_4arch9wavefront6targetE1EEEvSF_
                                        ; -- End function
	.section	.AMDGPU.csdata,"",@progbits
; Kernel info:
; codeLenInByte = 0
; NumSgprs: 4
; NumVgprs: 0
; NumAgprs: 0
; TotalNumVgprs: 0
; ScratchSize: 0
; MemoryBound: 0
; FloatMode: 240
; IeeeMode: 1
; LDSByteSize: 0 bytes/workgroup (compile time only)
; SGPRBlocks: 0
; VGPRBlocks: 0
; NumSGPRsForWavesPerEU: 4
; NumVGPRsForWavesPerEU: 1
; AccumOffset: 4
; Occupancy: 8
; WaveLimiterHint : 0
; COMPUTE_PGM_RSRC2:SCRATCH_EN: 0
; COMPUTE_PGM_RSRC2:USER_SGPR: 6
; COMPUTE_PGM_RSRC2:TRAP_HANDLER: 0
; COMPUTE_PGM_RSRC2:TGID_X_EN: 1
; COMPUTE_PGM_RSRC2:TGID_Y_EN: 0
; COMPUTE_PGM_RSRC2:TGID_Z_EN: 0
; COMPUTE_PGM_RSRC2:TIDIG_COMP_CNT: 0
; COMPUTE_PGM_RSRC3_GFX90A:ACCUM_OFFSET: 0
; COMPUTE_PGM_RSRC3_GFX90A:TG_SPLIT: 0
	.section	.text._ZN7rocprim17ROCPRIM_400000_NS6detail17trampoline_kernelINS0_14default_configENS1_38merge_sort_block_merge_config_selectorItNS0_10empty_typeEEEZZNS1_27merge_sort_block_merge_implIS3_PtPS5_jNS1_19radix_merge_compareILb0ELb1EtNS0_19identity_decomposerEEEEE10hipError_tT0_T1_T2_jT3_P12ihipStream_tbPNSt15iterator_traitsISE_E10value_typeEPNSK_ISF_E10value_typeEPSG_NS1_7vsmem_tEENKUlT_SE_SF_SG_E_clIS8_S8_S9_S9_EESD_ST_SE_SF_SG_EUlST_E0_NS1_11comp_targetILNS1_3genE9ELNS1_11target_archE1100ELNS1_3gpuE3ELNS1_3repE0EEENS1_38merge_mergepath_config_static_selectorELNS0_4arch9wavefront6targetE1EEEvSF_,"axG",@progbits,_ZN7rocprim17ROCPRIM_400000_NS6detail17trampoline_kernelINS0_14default_configENS1_38merge_sort_block_merge_config_selectorItNS0_10empty_typeEEEZZNS1_27merge_sort_block_merge_implIS3_PtPS5_jNS1_19radix_merge_compareILb0ELb1EtNS0_19identity_decomposerEEEEE10hipError_tT0_T1_T2_jT3_P12ihipStream_tbPNSt15iterator_traitsISE_E10value_typeEPNSK_ISF_E10value_typeEPSG_NS1_7vsmem_tEENKUlT_SE_SF_SG_E_clIS8_S8_S9_S9_EESD_ST_SE_SF_SG_EUlST_E0_NS1_11comp_targetILNS1_3genE9ELNS1_11target_archE1100ELNS1_3gpuE3ELNS1_3repE0EEENS1_38merge_mergepath_config_static_selectorELNS0_4arch9wavefront6targetE1EEEvSF_,comdat
	.protected	_ZN7rocprim17ROCPRIM_400000_NS6detail17trampoline_kernelINS0_14default_configENS1_38merge_sort_block_merge_config_selectorItNS0_10empty_typeEEEZZNS1_27merge_sort_block_merge_implIS3_PtPS5_jNS1_19radix_merge_compareILb0ELb1EtNS0_19identity_decomposerEEEEE10hipError_tT0_T1_T2_jT3_P12ihipStream_tbPNSt15iterator_traitsISE_E10value_typeEPNSK_ISF_E10value_typeEPSG_NS1_7vsmem_tEENKUlT_SE_SF_SG_E_clIS8_S8_S9_S9_EESD_ST_SE_SF_SG_EUlST_E0_NS1_11comp_targetILNS1_3genE9ELNS1_11target_archE1100ELNS1_3gpuE3ELNS1_3repE0EEENS1_38merge_mergepath_config_static_selectorELNS0_4arch9wavefront6targetE1EEEvSF_ ; -- Begin function _ZN7rocprim17ROCPRIM_400000_NS6detail17trampoline_kernelINS0_14default_configENS1_38merge_sort_block_merge_config_selectorItNS0_10empty_typeEEEZZNS1_27merge_sort_block_merge_implIS3_PtPS5_jNS1_19radix_merge_compareILb0ELb1EtNS0_19identity_decomposerEEEEE10hipError_tT0_T1_T2_jT3_P12ihipStream_tbPNSt15iterator_traitsISE_E10value_typeEPNSK_ISF_E10value_typeEPSG_NS1_7vsmem_tEENKUlT_SE_SF_SG_E_clIS8_S8_S9_S9_EESD_ST_SE_SF_SG_EUlST_E0_NS1_11comp_targetILNS1_3genE9ELNS1_11target_archE1100ELNS1_3gpuE3ELNS1_3repE0EEENS1_38merge_mergepath_config_static_selectorELNS0_4arch9wavefront6targetE1EEEvSF_
	.globl	_ZN7rocprim17ROCPRIM_400000_NS6detail17trampoline_kernelINS0_14default_configENS1_38merge_sort_block_merge_config_selectorItNS0_10empty_typeEEEZZNS1_27merge_sort_block_merge_implIS3_PtPS5_jNS1_19radix_merge_compareILb0ELb1EtNS0_19identity_decomposerEEEEE10hipError_tT0_T1_T2_jT3_P12ihipStream_tbPNSt15iterator_traitsISE_E10value_typeEPNSK_ISF_E10value_typeEPSG_NS1_7vsmem_tEENKUlT_SE_SF_SG_E_clIS8_S8_S9_S9_EESD_ST_SE_SF_SG_EUlST_E0_NS1_11comp_targetILNS1_3genE9ELNS1_11target_archE1100ELNS1_3gpuE3ELNS1_3repE0EEENS1_38merge_mergepath_config_static_selectorELNS0_4arch9wavefront6targetE1EEEvSF_
	.p2align	8
	.type	_ZN7rocprim17ROCPRIM_400000_NS6detail17trampoline_kernelINS0_14default_configENS1_38merge_sort_block_merge_config_selectorItNS0_10empty_typeEEEZZNS1_27merge_sort_block_merge_implIS3_PtPS5_jNS1_19radix_merge_compareILb0ELb1EtNS0_19identity_decomposerEEEEE10hipError_tT0_T1_T2_jT3_P12ihipStream_tbPNSt15iterator_traitsISE_E10value_typeEPNSK_ISF_E10value_typeEPSG_NS1_7vsmem_tEENKUlT_SE_SF_SG_E_clIS8_S8_S9_S9_EESD_ST_SE_SF_SG_EUlST_E0_NS1_11comp_targetILNS1_3genE9ELNS1_11target_archE1100ELNS1_3gpuE3ELNS1_3repE0EEENS1_38merge_mergepath_config_static_selectorELNS0_4arch9wavefront6targetE1EEEvSF_,@function
_ZN7rocprim17ROCPRIM_400000_NS6detail17trampoline_kernelINS0_14default_configENS1_38merge_sort_block_merge_config_selectorItNS0_10empty_typeEEEZZNS1_27merge_sort_block_merge_implIS3_PtPS5_jNS1_19radix_merge_compareILb0ELb1EtNS0_19identity_decomposerEEEEE10hipError_tT0_T1_T2_jT3_P12ihipStream_tbPNSt15iterator_traitsISE_E10value_typeEPNSK_ISF_E10value_typeEPSG_NS1_7vsmem_tEENKUlT_SE_SF_SG_E_clIS8_S8_S9_S9_EESD_ST_SE_SF_SG_EUlST_E0_NS1_11comp_targetILNS1_3genE9ELNS1_11target_archE1100ELNS1_3gpuE3ELNS1_3repE0EEENS1_38merge_mergepath_config_static_selectorELNS0_4arch9wavefront6targetE1EEEvSF_: ; @_ZN7rocprim17ROCPRIM_400000_NS6detail17trampoline_kernelINS0_14default_configENS1_38merge_sort_block_merge_config_selectorItNS0_10empty_typeEEEZZNS1_27merge_sort_block_merge_implIS3_PtPS5_jNS1_19radix_merge_compareILb0ELb1EtNS0_19identity_decomposerEEEEE10hipError_tT0_T1_T2_jT3_P12ihipStream_tbPNSt15iterator_traitsISE_E10value_typeEPNSK_ISF_E10value_typeEPSG_NS1_7vsmem_tEENKUlT_SE_SF_SG_E_clIS8_S8_S9_S9_EESD_ST_SE_SF_SG_EUlST_E0_NS1_11comp_targetILNS1_3genE9ELNS1_11target_archE1100ELNS1_3gpuE3ELNS1_3repE0EEENS1_38merge_mergepath_config_static_selectorELNS0_4arch9wavefront6targetE1EEEvSF_
; %bb.0:
	.section	.rodata,"a",@progbits
	.p2align	6, 0x0
	.amdhsa_kernel _ZN7rocprim17ROCPRIM_400000_NS6detail17trampoline_kernelINS0_14default_configENS1_38merge_sort_block_merge_config_selectorItNS0_10empty_typeEEEZZNS1_27merge_sort_block_merge_implIS3_PtPS5_jNS1_19radix_merge_compareILb0ELb1EtNS0_19identity_decomposerEEEEE10hipError_tT0_T1_T2_jT3_P12ihipStream_tbPNSt15iterator_traitsISE_E10value_typeEPNSK_ISF_E10value_typeEPSG_NS1_7vsmem_tEENKUlT_SE_SF_SG_E_clIS8_S8_S9_S9_EESD_ST_SE_SF_SG_EUlST_E0_NS1_11comp_targetILNS1_3genE9ELNS1_11target_archE1100ELNS1_3gpuE3ELNS1_3repE0EEENS1_38merge_mergepath_config_static_selectorELNS0_4arch9wavefront6targetE1EEEvSF_
		.amdhsa_group_segment_fixed_size 0
		.amdhsa_private_segment_fixed_size 0
		.amdhsa_kernarg_size 64
		.amdhsa_user_sgpr_count 6
		.amdhsa_user_sgpr_private_segment_buffer 1
		.amdhsa_user_sgpr_dispatch_ptr 0
		.amdhsa_user_sgpr_queue_ptr 0
		.amdhsa_user_sgpr_kernarg_segment_ptr 1
		.amdhsa_user_sgpr_dispatch_id 0
		.amdhsa_user_sgpr_flat_scratch_init 0
		.amdhsa_user_sgpr_kernarg_preload_length 0
		.amdhsa_user_sgpr_kernarg_preload_offset 0
		.amdhsa_user_sgpr_private_segment_size 0
		.amdhsa_uses_dynamic_stack 0
		.amdhsa_system_sgpr_private_segment_wavefront_offset 0
		.amdhsa_system_sgpr_workgroup_id_x 1
		.amdhsa_system_sgpr_workgroup_id_y 0
		.amdhsa_system_sgpr_workgroup_id_z 0
		.amdhsa_system_sgpr_workgroup_info 0
		.amdhsa_system_vgpr_workitem_id 0
		.amdhsa_next_free_vgpr 1
		.amdhsa_next_free_sgpr 0
		.amdhsa_accum_offset 4
		.amdhsa_reserve_vcc 0
		.amdhsa_reserve_flat_scratch 0
		.amdhsa_float_round_mode_32 0
		.amdhsa_float_round_mode_16_64 0
		.amdhsa_float_denorm_mode_32 3
		.amdhsa_float_denorm_mode_16_64 3
		.amdhsa_dx10_clamp 1
		.amdhsa_ieee_mode 1
		.amdhsa_fp16_overflow 0
		.amdhsa_tg_split 0
		.amdhsa_exception_fp_ieee_invalid_op 0
		.amdhsa_exception_fp_denorm_src 0
		.amdhsa_exception_fp_ieee_div_zero 0
		.amdhsa_exception_fp_ieee_overflow 0
		.amdhsa_exception_fp_ieee_underflow 0
		.amdhsa_exception_fp_ieee_inexact 0
		.amdhsa_exception_int_div_zero 0
	.end_amdhsa_kernel
	.section	.text._ZN7rocprim17ROCPRIM_400000_NS6detail17trampoline_kernelINS0_14default_configENS1_38merge_sort_block_merge_config_selectorItNS0_10empty_typeEEEZZNS1_27merge_sort_block_merge_implIS3_PtPS5_jNS1_19radix_merge_compareILb0ELb1EtNS0_19identity_decomposerEEEEE10hipError_tT0_T1_T2_jT3_P12ihipStream_tbPNSt15iterator_traitsISE_E10value_typeEPNSK_ISF_E10value_typeEPSG_NS1_7vsmem_tEENKUlT_SE_SF_SG_E_clIS8_S8_S9_S9_EESD_ST_SE_SF_SG_EUlST_E0_NS1_11comp_targetILNS1_3genE9ELNS1_11target_archE1100ELNS1_3gpuE3ELNS1_3repE0EEENS1_38merge_mergepath_config_static_selectorELNS0_4arch9wavefront6targetE1EEEvSF_,"axG",@progbits,_ZN7rocprim17ROCPRIM_400000_NS6detail17trampoline_kernelINS0_14default_configENS1_38merge_sort_block_merge_config_selectorItNS0_10empty_typeEEEZZNS1_27merge_sort_block_merge_implIS3_PtPS5_jNS1_19radix_merge_compareILb0ELb1EtNS0_19identity_decomposerEEEEE10hipError_tT0_T1_T2_jT3_P12ihipStream_tbPNSt15iterator_traitsISE_E10value_typeEPNSK_ISF_E10value_typeEPSG_NS1_7vsmem_tEENKUlT_SE_SF_SG_E_clIS8_S8_S9_S9_EESD_ST_SE_SF_SG_EUlST_E0_NS1_11comp_targetILNS1_3genE9ELNS1_11target_archE1100ELNS1_3gpuE3ELNS1_3repE0EEENS1_38merge_mergepath_config_static_selectorELNS0_4arch9wavefront6targetE1EEEvSF_,comdat
.Lfunc_end512:
	.size	_ZN7rocprim17ROCPRIM_400000_NS6detail17trampoline_kernelINS0_14default_configENS1_38merge_sort_block_merge_config_selectorItNS0_10empty_typeEEEZZNS1_27merge_sort_block_merge_implIS3_PtPS5_jNS1_19radix_merge_compareILb0ELb1EtNS0_19identity_decomposerEEEEE10hipError_tT0_T1_T2_jT3_P12ihipStream_tbPNSt15iterator_traitsISE_E10value_typeEPNSK_ISF_E10value_typeEPSG_NS1_7vsmem_tEENKUlT_SE_SF_SG_E_clIS8_S8_S9_S9_EESD_ST_SE_SF_SG_EUlST_E0_NS1_11comp_targetILNS1_3genE9ELNS1_11target_archE1100ELNS1_3gpuE3ELNS1_3repE0EEENS1_38merge_mergepath_config_static_selectorELNS0_4arch9wavefront6targetE1EEEvSF_, .Lfunc_end512-_ZN7rocprim17ROCPRIM_400000_NS6detail17trampoline_kernelINS0_14default_configENS1_38merge_sort_block_merge_config_selectorItNS0_10empty_typeEEEZZNS1_27merge_sort_block_merge_implIS3_PtPS5_jNS1_19radix_merge_compareILb0ELb1EtNS0_19identity_decomposerEEEEE10hipError_tT0_T1_T2_jT3_P12ihipStream_tbPNSt15iterator_traitsISE_E10value_typeEPNSK_ISF_E10value_typeEPSG_NS1_7vsmem_tEENKUlT_SE_SF_SG_E_clIS8_S8_S9_S9_EESD_ST_SE_SF_SG_EUlST_E0_NS1_11comp_targetILNS1_3genE9ELNS1_11target_archE1100ELNS1_3gpuE3ELNS1_3repE0EEENS1_38merge_mergepath_config_static_selectorELNS0_4arch9wavefront6targetE1EEEvSF_
                                        ; -- End function
	.section	.AMDGPU.csdata,"",@progbits
; Kernel info:
; codeLenInByte = 0
; NumSgprs: 4
; NumVgprs: 0
; NumAgprs: 0
; TotalNumVgprs: 0
; ScratchSize: 0
; MemoryBound: 0
; FloatMode: 240
; IeeeMode: 1
; LDSByteSize: 0 bytes/workgroup (compile time only)
; SGPRBlocks: 0
; VGPRBlocks: 0
; NumSGPRsForWavesPerEU: 4
; NumVGPRsForWavesPerEU: 1
; AccumOffset: 4
; Occupancy: 8
; WaveLimiterHint : 0
; COMPUTE_PGM_RSRC2:SCRATCH_EN: 0
; COMPUTE_PGM_RSRC2:USER_SGPR: 6
; COMPUTE_PGM_RSRC2:TRAP_HANDLER: 0
; COMPUTE_PGM_RSRC2:TGID_X_EN: 1
; COMPUTE_PGM_RSRC2:TGID_Y_EN: 0
; COMPUTE_PGM_RSRC2:TGID_Z_EN: 0
; COMPUTE_PGM_RSRC2:TIDIG_COMP_CNT: 0
; COMPUTE_PGM_RSRC3_GFX90A:ACCUM_OFFSET: 0
; COMPUTE_PGM_RSRC3_GFX90A:TG_SPLIT: 0
	.section	.text._ZN7rocprim17ROCPRIM_400000_NS6detail17trampoline_kernelINS0_14default_configENS1_38merge_sort_block_merge_config_selectorItNS0_10empty_typeEEEZZNS1_27merge_sort_block_merge_implIS3_PtPS5_jNS1_19radix_merge_compareILb0ELb1EtNS0_19identity_decomposerEEEEE10hipError_tT0_T1_T2_jT3_P12ihipStream_tbPNSt15iterator_traitsISE_E10value_typeEPNSK_ISF_E10value_typeEPSG_NS1_7vsmem_tEENKUlT_SE_SF_SG_E_clIS8_S8_S9_S9_EESD_ST_SE_SF_SG_EUlST_E0_NS1_11comp_targetILNS1_3genE8ELNS1_11target_archE1030ELNS1_3gpuE2ELNS1_3repE0EEENS1_38merge_mergepath_config_static_selectorELNS0_4arch9wavefront6targetE1EEEvSF_,"axG",@progbits,_ZN7rocprim17ROCPRIM_400000_NS6detail17trampoline_kernelINS0_14default_configENS1_38merge_sort_block_merge_config_selectorItNS0_10empty_typeEEEZZNS1_27merge_sort_block_merge_implIS3_PtPS5_jNS1_19radix_merge_compareILb0ELb1EtNS0_19identity_decomposerEEEEE10hipError_tT0_T1_T2_jT3_P12ihipStream_tbPNSt15iterator_traitsISE_E10value_typeEPNSK_ISF_E10value_typeEPSG_NS1_7vsmem_tEENKUlT_SE_SF_SG_E_clIS8_S8_S9_S9_EESD_ST_SE_SF_SG_EUlST_E0_NS1_11comp_targetILNS1_3genE8ELNS1_11target_archE1030ELNS1_3gpuE2ELNS1_3repE0EEENS1_38merge_mergepath_config_static_selectorELNS0_4arch9wavefront6targetE1EEEvSF_,comdat
	.protected	_ZN7rocprim17ROCPRIM_400000_NS6detail17trampoline_kernelINS0_14default_configENS1_38merge_sort_block_merge_config_selectorItNS0_10empty_typeEEEZZNS1_27merge_sort_block_merge_implIS3_PtPS5_jNS1_19radix_merge_compareILb0ELb1EtNS0_19identity_decomposerEEEEE10hipError_tT0_T1_T2_jT3_P12ihipStream_tbPNSt15iterator_traitsISE_E10value_typeEPNSK_ISF_E10value_typeEPSG_NS1_7vsmem_tEENKUlT_SE_SF_SG_E_clIS8_S8_S9_S9_EESD_ST_SE_SF_SG_EUlST_E0_NS1_11comp_targetILNS1_3genE8ELNS1_11target_archE1030ELNS1_3gpuE2ELNS1_3repE0EEENS1_38merge_mergepath_config_static_selectorELNS0_4arch9wavefront6targetE1EEEvSF_ ; -- Begin function _ZN7rocprim17ROCPRIM_400000_NS6detail17trampoline_kernelINS0_14default_configENS1_38merge_sort_block_merge_config_selectorItNS0_10empty_typeEEEZZNS1_27merge_sort_block_merge_implIS3_PtPS5_jNS1_19radix_merge_compareILb0ELb1EtNS0_19identity_decomposerEEEEE10hipError_tT0_T1_T2_jT3_P12ihipStream_tbPNSt15iterator_traitsISE_E10value_typeEPNSK_ISF_E10value_typeEPSG_NS1_7vsmem_tEENKUlT_SE_SF_SG_E_clIS8_S8_S9_S9_EESD_ST_SE_SF_SG_EUlST_E0_NS1_11comp_targetILNS1_3genE8ELNS1_11target_archE1030ELNS1_3gpuE2ELNS1_3repE0EEENS1_38merge_mergepath_config_static_selectorELNS0_4arch9wavefront6targetE1EEEvSF_
	.globl	_ZN7rocprim17ROCPRIM_400000_NS6detail17trampoline_kernelINS0_14default_configENS1_38merge_sort_block_merge_config_selectorItNS0_10empty_typeEEEZZNS1_27merge_sort_block_merge_implIS3_PtPS5_jNS1_19radix_merge_compareILb0ELb1EtNS0_19identity_decomposerEEEEE10hipError_tT0_T1_T2_jT3_P12ihipStream_tbPNSt15iterator_traitsISE_E10value_typeEPNSK_ISF_E10value_typeEPSG_NS1_7vsmem_tEENKUlT_SE_SF_SG_E_clIS8_S8_S9_S9_EESD_ST_SE_SF_SG_EUlST_E0_NS1_11comp_targetILNS1_3genE8ELNS1_11target_archE1030ELNS1_3gpuE2ELNS1_3repE0EEENS1_38merge_mergepath_config_static_selectorELNS0_4arch9wavefront6targetE1EEEvSF_
	.p2align	8
	.type	_ZN7rocprim17ROCPRIM_400000_NS6detail17trampoline_kernelINS0_14default_configENS1_38merge_sort_block_merge_config_selectorItNS0_10empty_typeEEEZZNS1_27merge_sort_block_merge_implIS3_PtPS5_jNS1_19radix_merge_compareILb0ELb1EtNS0_19identity_decomposerEEEEE10hipError_tT0_T1_T2_jT3_P12ihipStream_tbPNSt15iterator_traitsISE_E10value_typeEPNSK_ISF_E10value_typeEPSG_NS1_7vsmem_tEENKUlT_SE_SF_SG_E_clIS8_S8_S9_S9_EESD_ST_SE_SF_SG_EUlST_E0_NS1_11comp_targetILNS1_3genE8ELNS1_11target_archE1030ELNS1_3gpuE2ELNS1_3repE0EEENS1_38merge_mergepath_config_static_selectorELNS0_4arch9wavefront6targetE1EEEvSF_,@function
_ZN7rocprim17ROCPRIM_400000_NS6detail17trampoline_kernelINS0_14default_configENS1_38merge_sort_block_merge_config_selectorItNS0_10empty_typeEEEZZNS1_27merge_sort_block_merge_implIS3_PtPS5_jNS1_19radix_merge_compareILb0ELb1EtNS0_19identity_decomposerEEEEE10hipError_tT0_T1_T2_jT3_P12ihipStream_tbPNSt15iterator_traitsISE_E10value_typeEPNSK_ISF_E10value_typeEPSG_NS1_7vsmem_tEENKUlT_SE_SF_SG_E_clIS8_S8_S9_S9_EESD_ST_SE_SF_SG_EUlST_E0_NS1_11comp_targetILNS1_3genE8ELNS1_11target_archE1030ELNS1_3gpuE2ELNS1_3repE0EEENS1_38merge_mergepath_config_static_selectorELNS0_4arch9wavefront6targetE1EEEvSF_: ; @_ZN7rocprim17ROCPRIM_400000_NS6detail17trampoline_kernelINS0_14default_configENS1_38merge_sort_block_merge_config_selectorItNS0_10empty_typeEEEZZNS1_27merge_sort_block_merge_implIS3_PtPS5_jNS1_19radix_merge_compareILb0ELb1EtNS0_19identity_decomposerEEEEE10hipError_tT0_T1_T2_jT3_P12ihipStream_tbPNSt15iterator_traitsISE_E10value_typeEPNSK_ISF_E10value_typeEPSG_NS1_7vsmem_tEENKUlT_SE_SF_SG_E_clIS8_S8_S9_S9_EESD_ST_SE_SF_SG_EUlST_E0_NS1_11comp_targetILNS1_3genE8ELNS1_11target_archE1030ELNS1_3gpuE2ELNS1_3repE0EEENS1_38merge_mergepath_config_static_selectorELNS0_4arch9wavefront6targetE1EEEvSF_
; %bb.0:
	.section	.rodata,"a",@progbits
	.p2align	6, 0x0
	.amdhsa_kernel _ZN7rocprim17ROCPRIM_400000_NS6detail17trampoline_kernelINS0_14default_configENS1_38merge_sort_block_merge_config_selectorItNS0_10empty_typeEEEZZNS1_27merge_sort_block_merge_implIS3_PtPS5_jNS1_19radix_merge_compareILb0ELb1EtNS0_19identity_decomposerEEEEE10hipError_tT0_T1_T2_jT3_P12ihipStream_tbPNSt15iterator_traitsISE_E10value_typeEPNSK_ISF_E10value_typeEPSG_NS1_7vsmem_tEENKUlT_SE_SF_SG_E_clIS8_S8_S9_S9_EESD_ST_SE_SF_SG_EUlST_E0_NS1_11comp_targetILNS1_3genE8ELNS1_11target_archE1030ELNS1_3gpuE2ELNS1_3repE0EEENS1_38merge_mergepath_config_static_selectorELNS0_4arch9wavefront6targetE1EEEvSF_
		.amdhsa_group_segment_fixed_size 0
		.amdhsa_private_segment_fixed_size 0
		.amdhsa_kernarg_size 64
		.amdhsa_user_sgpr_count 6
		.amdhsa_user_sgpr_private_segment_buffer 1
		.amdhsa_user_sgpr_dispatch_ptr 0
		.amdhsa_user_sgpr_queue_ptr 0
		.amdhsa_user_sgpr_kernarg_segment_ptr 1
		.amdhsa_user_sgpr_dispatch_id 0
		.amdhsa_user_sgpr_flat_scratch_init 0
		.amdhsa_user_sgpr_kernarg_preload_length 0
		.amdhsa_user_sgpr_kernarg_preload_offset 0
		.amdhsa_user_sgpr_private_segment_size 0
		.amdhsa_uses_dynamic_stack 0
		.amdhsa_system_sgpr_private_segment_wavefront_offset 0
		.amdhsa_system_sgpr_workgroup_id_x 1
		.amdhsa_system_sgpr_workgroup_id_y 0
		.amdhsa_system_sgpr_workgroup_id_z 0
		.amdhsa_system_sgpr_workgroup_info 0
		.amdhsa_system_vgpr_workitem_id 0
		.amdhsa_next_free_vgpr 1
		.amdhsa_next_free_sgpr 0
		.amdhsa_accum_offset 4
		.amdhsa_reserve_vcc 0
		.amdhsa_reserve_flat_scratch 0
		.amdhsa_float_round_mode_32 0
		.amdhsa_float_round_mode_16_64 0
		.amdhsa_float_denorm_mode_32 3
		.amdhsa_float_denorm_mode_16_64 3
		.amdhsa_dx10_clamp 1
		.amdhsa_ieee_mode 1
		.amdhsa_fp16_overflow 0
		.amdhsa_tg_split 0
		.amdhsa_exception_fp_ieee_invalid_op 0
		.amdhsa_exception_fp_denorm_src 0
		.amdhsa_exception_fp_ieee_div_zero 0
		.amdhsa_exception_fp_ieee_overflow 0
		.amdhsa_exception_fp_ieee_underflow 0
		.amdhsa_exception_fp_ieee_inexact 0
		.amdhsa_exception_int_div_zero 0
	.end_amdhsa_kernel
	.section	.text._ZN7rocprim17ROCPRIM_400000_NS6detail17trampoline_kernelINS0_14default_configENS1_38merge_sort_block_merge_config_selectorItNS0_10empty_typeEEEZZNS1_27merge_sort_block_merge_implIS3_PtPS5_jNS1_19radix_merge_compareILb0ELb1EtNS0_19identity_decomposerEEEEE10hipError_tT0_T1_T2_jT3_P12ihipStream_tbPNSt15iterator_traitsISE_E10value_typeEPNSK_ISF_E10value_typeEPSG_NS1_7vsmem_tEENKUlT_SE_SF_SG_E_clIS8_S8_S9_S9_EESD_ST_SE_SF_SG_EUlST_E0_NS1_11comp_targetILNS1_3genE8ELNS1_11target_archE1030ELNS1_3gpuE2ELNS1_3repE0EEENS1_38merge_mergepath_config_static_selectorELNS0_4arch9wavefront6targetE1EEEvSF_,"axG",@progbits,_ZN7rocprim17ROCPRIM_400000_NS6detail17trampoline_kernelINS0_14default_configENS1_38merge_sort_block_merge_config_selectorItNS0_10empty_typeEEEZZNS1_27merge_sort_block_merge_implIS3_PtPS5_jNS1_19radix_merge_compareILb0ELb1EtNS0_19identity_decomposerEEEEE10hipError_tT0_T1_T2_jT3_P12ihipStream_tbPNSt15iterator_traitsISE_E10value_typeEPNSK_ISF_E10value_typeEPSG_NS1_7vsmem_tEENKUlT_SE_SF_SG_E_clIS8_S8_S9_S9_EESD_ST_SE_SF_SG_EUlST_E0_NS1_11comp_targetILNS1_3genE8ELNS1_11target_archE1030ELNS1_3gpuE2ELNS1_3repE0EEENS1_38merge_mergepath_config_static_selectorELNS0_4arch9wavefront6targetE1EEEvSF_,comdat
.Lfunc_end513:
	.size	_ZN7rocprim17ROCPRIM_400000_NS6detail17trampoline_kernelINS0_14default_configENS1_38merge_sort_block_merge_config_selectorItNS0_10empty_typeEEEZZNS1_27merge_sort_block_merge_implIS3_PtPS5_jNS1_19radix_merge_compareILb0ELb1EtNS0_19identity_decomposerEEEEE10hipError_tT0_T1_T2_jT3_P12ihipStream_tbPNSt15iterator_traitsISE_E10value_typeEPNSK_ISF_E10value_typeEPSG_NS1_7vsmem_tEENKUlT_SE_SF_SG_E_clIS8_S8_S9_S9_EESD_ST_SE_SF_SG_EUlST_E0_NS1_11comp_targetILNS1_3genE8ELNS1_11target_archE1030ELNS1_3gpuE2ELNS1_3repE0EEENS1_38merge_mergepath_config_static_selectorELNS0_4arch9wavefront6targetE1EEEvSF_, .Lfunc_end513-_ZN7rocprim17ROCPRIM_400000_NS6detail17trampoline_kernelINS0_14default_configENS1_38merge_sort_block_merge_config_selectorItNS0_10empty_typeEEEZZNS1_27merge_sort_block_merge_implIS3_PtPS5_jNS1_19radix_merge_compareILb0ELb1EtNS0_19identity_decomposerEEEEE10hipError_tT0_T1_T2_jT3_P12ihipStream_tbPNSt15iterator_traitsISE_E10value_typeEPNSK_ISF_E10value_typeEPSG_NS1_7vsmem_tEENKUlT_SE_SF_SG_E_clIS8_S8_S9_S9_EESD_ST_SE_SF_SG_EUlST_E0_NS1_11comp_targetILNS1_3genE8ELNS1_11target_archE1030ELNS1_3gpuE2ELNS1_3repE0EEENS1_38merge_mergepath_config_static_selectorELNS0_4arch9wavefront6targetE1EEEvSF_
                                        ; -- End function
	.section	.AMDGPU.csdata,"",@progbits
; Kernel info:
; codeLenInByte = 0
; NumSgprs: 4
; NumVgprs: 0
; NumAgprs: 0
; TotalNumVgprs: 0
; ScratchSize: 0
; MemoryBound: 0
; FloatMode: 240
; IeeeMode: 1
; LDSByteSize: 0 bytes/workgroup (compile time only)
; SGPRBlocks: 0
; VGPRBlocks: 0
; NumSGPRsForWavesPerEU: 4
; NumVGPRsForWavesPerEU: 1
; AccumOffset: 4
; Occupancy: 8
; WaveLimiterHint : 0
; COMPUTE_PGM_RSRC2:SCRATCH_EN: 0
; COMPUTE_PGM_RSRC2:USER_SGPR: 6
; COMPUTE_PGM_RSRC2:TRAP_HANDLER: 0
; COMPUTE_PGM_RSRC2:TGID_X_EN: 1
; COMPUTE_PGM_RSRC2:TGID_Y_EN: 0
; COMPUTE_PGM_RSRC2:TGID_Z_EN: 0
; COMPUTE_PGM_RSRC2:TIDIG_COMP_CNT: 0
; COMPUTE_PGM_RSRC3_GFX90A:ACCUM_OFFSET: 0
; COMPUTE_PGM_RSRC3_GFX90A:TG_SPLIT: 0
	.section	.text._ZN7rocprim17ROCPRIM_400000_NS6detail17trampoline_kernelINS0_14default_configENS1_38merge_sort_block_merge_config_selectorItNS0_10empty_typeEEEZZNS1_27merge_sort_block_merge_implIS3_PtPS5_jNS1_19radix_merge_compareILb0ELb1EtNS0_19identity_decomposerEEEEE10hipError_tT0_T1_T2_jT3_P12ihipStream_tbPNSt15iterator_traitsISE_E10value_typeEPNSK_ISF_E10value_typeEPSG_NS1_7vsmem_tEENKUlT_SE_SF_SG_E_clIS8_S8_S9_S9_EESD_ST_SE_SF_SG_EUlST_E1_NS1_11comp_targetILNS1_3genE0ELNS1_11target_archE4294967295ELNS1_3gpuE0ELNS1_3repE0EEENS1_36merge_oddeven_config_static_selectorELNS0_4arch9wavefront6targetE1EEEvSF_,"axG",@progbits,_ZN7rocprim17ROCPRIM_400000_NS6detail17trampoline_kernelINS0_14default_configENS1_38merge_sort_block_merge_config_selectorItNS0_10empty_typeEEEZZNS1_27merge_sort_block_merge_implIS3_PtPS5_jNS1_19radix_merge_compareILb0ELb1EtNS0_19identity_decomposerEEEEE10hipError_tT0_T1_T2_jT3_P12ihipStream_tbPNSt15iterator_traitsISE_E10value_typeEPNSK_ISF_E10value_typeEPSG_NS1_7vsmem_tEENKUlT_SE_SF_SG_E_clIS8_S8_S9_S9_EESD_ST_SE_SF_SG_EUlST_E1_NS1_11comp_targetILNS1_3genE0ELNS1_11target_archE4294967295ELNS1_3gpuE0ELNS1_3repE0EEENS1_36merge_oddeven_config_static_selectorELNS0_4arch9wavefront6targetE1EEEvSF_,comdat
	.protected	_ZN7rocprim17ROCPRIM_400000_NS6detail17trampoline_kernelINS0_14default_configENS1_38merge_sort_block_merge_config_selectorItNS0_10empty_typeEEEZZNS1_27merge_sort_block_merge_implIS3_PtPS5_jNS1_19radix_merge_compareILb0ELb1EtNS0_19identity_decomposerEEEEE10hipError_tT0_T1_T2_jT3_P12ihipStream_tbPNSt15iterator_traitsISE_E10value_typeEPNSK_ISF_E10value_typeEPSG_NS1_7vsmem_tEENKUlT_SE_SF_SG_E_clIS8_S8_S9_S9_EESD_ST_SE_SF_SG_EUlST_E1_NS1_11comp_targetILNS1_3genE0ELNS1_11target_archE4294967295ELNS1_3gpuE0ELNS1_3repE0EEENS1_36merge_oddeven_config_static_selectorELNS0_4arch9wavefront6targetE1EEEvSF_ ; -- Begin function _ZN7rocprim17ROCPRIM_400000_NS6detail17trampoline_kernelINS0_14default_configENS1_38merge_sort_block_merge_config_selectorItNS0_10empty_typeEEEZZNS1_27merge_sort_block_merge_implIS3_PtPS5_jNS1_19radix_merge_compareILb0ELb1EtNS0_19identity_decomposerEEEEE10hipError_tT0_T1_T2_jT3_P12ihipStream_tbPNSt15iterator_traitsISE_E10value_typeEPNSK_ISF_E10value_typeEPSG_NS1_7vsmem_tEENKUlT_SE_SF_SG_E_clIS8_S8_S9_S9_EESD_ST_SE_SF_SG_EUlST_E1_NS1_11comp_targetILNS1_3genE0ELNS1_11target_archE4294967295ELNS1_3gpuE0ELNS1_3repE0EEENS1_36merge_oddeven_config_static_selectorELNS0_4arch9wavefront6targetE1EEEvSF_
	.globl	_ZN7rocprim17ROCPRIM_400000_NS6detail17trampoline_kernelINS0_14default_configENS1_38merge_sort_block_merge_config_selectorItNS0_10empty_typeEEEZZNS1_27merge_sort_block_merge_implIS3_PtPS5_jNS1_19radix_merge_compareILb0ELb1EtNS0_19identity_decomposerEEEEE10hipError_tT0_T1_T2_jT3_P12ihipStream_tbPNSt15iterator_traitsISE_E10value_typeEPNSK_ISF_E10value_typeEPSG_NS1_7vsmem_tEENKUlT_SE_SF_SG_E_clIS8_S8_S9_S9_EESD_ST_SE_SF_SG_EUlST_E1_NS1_11comp_targetILNS1_3genE0ELNS1_11target_archE4294967295ELNS1_3gpuE0ELNS1_3repE0EEENS1_36merge_oddeven_config_static_selectorELNS0_4arch9wavefront6targetE1EEEvSF_
	.p2align	8
	.type	_ZN7rocprim17ROCPRIM_400000_NS6detail17trampoline_kernelINS0_14default_configENS1_38merge_sort_block_merge_config_selectorItNS0_10empty_typeEEEZZNS1_27merge_sort_block_merge_implIS3_PtPS5_jNS1_19radix_merge_compareILb0ELb1EtNS0_19identity_decomposerEEEEE10hipError_tT0_T1_T2_jT3_P12ihipStream_tbPNSt15iterator_traitsISE_E10value_typeEPNSK_ISF_E10value_typeEPSG_NS1_7vsmem_tEENKUlT_SE_SF_SG_E_clIS8_S8_S9_S9_EESD_ST_SE_SF_SG_EUlST_E1_NS1_11comp_targetILNS1_3genE0ELNS1_11target_archE4294967295ELNS1_3gpuE0ELNS1_3repE0EEENS1_36merge_oddeven_config_static_selectorELNS0_4arch9wavefront6targetE1EEEvSF_,@function
_ZN7rocprim17ROCPRIM_400000_NS6detail17trampoline_kernelINS0_14default_configENS1_38merge_sort_block_merge_config_selectorItNS0_10empty_typeEEEZZNS1_27merge_sort_block_merge_implIS3_PtPS5_jNS1_19radix_merge_compareILb0ELb1EtNS0_19identity_decomposerEEEEE10hipError_tT0_T1_T2_jT3_P12ihipStream_tbPNSt15iterator_traitsISE_E10value_typeEPNSK_ISF_E10value_typeEPSG_NS1_7vsmem_tEENKUlT_SE_SF_SG_E_clIS8_S8_S9_S9_EESD_ST_SE_SF_SG_EUlST_E1_NS1_11comp_targetILNS1_3genE0ELNS1_11target_archE4294967295ELNS1_3gpuE0ELNS1_3repE0EEENS1_36merge_oddeven_config_static_selectorELNS0_4arch9wavefront6targetE1EEEvSF_: ; @_ZN7rocprim17ROCPRIM_400000_NS6detail17trampoline_kernelINS0_14default_configENS1_38merge_sort_block_merge_config_selectorItNS0_10empty_typeEEEZZNS1_27merge_sort_block_merge_implIS3_PtPS5_jNS1_19radix_merge_compareILb0ELb1EtNS0_19identity_decomposerEEEEE10hipError_tT0_T1_T2_jT3_P12ihipStream_tbPNSt15iterator_traitsISE_E10value_typeEPNSK_ISF_E10value_typeEPSG_NS1_7vsmem_tEENKUlT_SE_SF_SG_E_clIS8_S8_S9_S9_EESD_ST_SE_SF_SG_EUlST_E1_NS1_11comp_targetILNS1_3genE0ELNS1_11target_archE4294967295ELNS1_3gpuE0ELNS1_3repE0EEENS1_36merge_oddeven_config_static_selectorELNS0_4arch9wavefront6targetE1EEEvSF_
; %bb.0:
	.section	.rodata,"a",@progbits
	.p2align	6, 0x0
	.amdhsa_kernel _ZN7rocprim17ROCPRIM_400000_NS6detail17trampoline_kernelINS0_14default_configENS1_38merge_sort_block_merge_config_selectorItNS0_10empty_typeEEEZZNS1_27merge_sort_block_merge_implIS3_PtPS5_jNS1_19radix_merge_compareILb0ELb1EtNS0_19identity_decomposerEEEEE10hipError_tT0_T1_T2_jT3_P12ihipStream_tbPNSt15iterator_traitsISE_E10value_typeEPNSK_ISF_E10value_typeEPSG_NS1_7vsmem_tEENKUlT_SE_SF_SG_E_clIS8_S8_S9_S9_EESD_ST_SE_SF_SG_EUlST_E1_NS1_11comp_targetILNS1_3genE0ELNS1_11target_archE4294967295ELNS1_3gpuE0ELNS1_3repE0EEENS1_36merge_oddeven_config_static_selectorELNS0_4arch9wavefront6targetE1EEEvSF_
		.amdhsa_group_segment_fixed_size 0
		.amdhsa_private_segment_fixed_size 0
		.amdhsa_kernarg_size 48
		.amdhsa_user_sgpr_count 6
		.amdhsa_user_sgpr_private_segment_buffer 1
		.amdhsa_user_sgpr_dispatch_ptr 0
		.amdhsa_user_sgpr_queue_ptr 0
		.amdhsa_user_sgpr_kernarg_segment_ptr 1
		.amdhsa_user_sgpr_dispatch_id 0
		.amdhsa_user_sgpr_flat_scratch_init 0
		.amdhsa_user_sgpr_kernarg_preload_length 0
		.amdhsa_user_sgpr_kernarg_preload_offset 0
		.amdhsa_user_sgpr_private_segment_size 0
		.amdhsa_uses_dynamic_stack 0
		.amdhsa_system_sgpr_private_segment_wavefront_offset 0
		.amdhsa_system_sgpr_workgroup_id_x 1
		.amdhsa_system_sgpr_workgroup_id_y 0
		.amdhsa_system_sgpr_workgroup_id_z 0
		.amdhsa_system_sgpr_workgroup_info 0
		.amdhsa_system_vgpr_workitem_id 0
		.amdhsa_next_free_vgpr 1
		.amdhsa_next_free_sgpr 0
		.amdhsa_accum_offset 4
		.amdhsa_reserve_vcc 0
		.amdhsa_reserve_flat_scratch 0
		.amdhsa_float_round_mode_32 0
		.amdhsa_float_round_mode_16_64 0
		.amdhsa_float_denorm_mode_32 3
		.amdhsa_float_denorm_mode_16_64 3
		.amdhsa_dx10_clamp 1
		.amdhsa_ieee_mode 1
		.amdhsa_fp16_overflow 0
		.amdhsa_tg_split 0
		.amdhsa_exception_fp_ieee_invalid_op 0
		.amdhsa_exception_fp_denorm_src 0
		.amdhsa_exception_fp_ieee_div_zero 0
		.amdhsa_exception_fp_ieee_overflow 0
		.amdhsa_exception_fp_ieee_underflow 0
		.amdhsa_exception_fp_ieee_inexact 0
		.amdhsa_exception_int_div_zero 0
	.end_amdhsa_kernel
	.section	.text._ZN7rocprim17ROCPRIM_400000_NS6detail17trampoline_kernelINS0_14default_configENS1_38merge_sort_block_merge_config_selectorItNS0_10empty_typeEEEZZNS1_27merge_sort_block_merge_implIS3_PtPS5_jNS1_19radix_merge_compareILb0ELb1EtNS0_19identity_decomposerEEEEE10hipError_tT0_T1_T2_jT3_P12ihipStream_tbPNSt15iterator_traitsISE_E10value_typeEPNSK_ISF_E10value_typeEPSG_NS1_7vsmem_tEENKUlT_SE_SF_SG_E_clIS8_S8_S9_S9_EESD_ST_SE_SF_SG_EUlST_E1_NS1_11comp_targetILNS1_3genE0ELNS1_11target_archE4294967295ELNS1_3gpuE0ELNS1_3repE0EEENS1_36merge_oddeven_config_static_selectorELNS0_4arch9wavefront6targetE1EEEvSF_,"axG",@progbits,_ZN7rocprim17ROCPRIM_400000_NS6detail17trampoline_kernelINS0_14default_configENS1_38merge_sort_block_merge_config_selectorItNS0_10empty_typeEEEZZNS1_27merge_sort_block_merge_implIS3_PtPS5_jNS1_19radix_merge_compareILb0ELb1EtNS0_19identity_decomposerEEEEE10hipError_tT0_T1_T2_jT3_P12ihipStream_tbPNSt15iterator_traitsISE_E10value_typeEPNSK_ISF_E10value_typeEPSG_NS1_7vsmem_tEENKUlT_SE_SF_SG_E_clIS8_S8_S9_S9_EESD_ST_SE_SF_SG_EUlST_E1_NS1_11comp_targetILNS1_3genE0ELNS1_11target_archE4294967295ELNS1_3gpuE0ELNS1_3repE0EEENS1_36merge_oddeven_config_static_selectorELNS0_4arch9wavefront6targetE1EEEvSF_,comdat
.Lfunc_end514:
	.size	_ZN7rocprim17ROCPRIM_400000_NS6detail17trampoline_kernelINS0_14default_configENS1_38merge_sort_block_merge_config_selectorItNS0_10empty_typeEEEZZNS1_27merge_sort_block_merge_implIS3_PtPS5_jNS1_19radix_merge_compareILb0ELb1EtNS0_19identity_decomposerEEEEE10hipError_tT0_T1_T2_jT3_P12ihipStream_tbPNSt15iterator_traitsISE_E10value_typeEPNSK_ISF_E10value_typeEPSG_NS1_7vsmem_tEENKUlT_SE_SF_SG_E_clIS8_S8_S9_S9_EESD_ST_SE_SF_SG_EUlST_E1_NS1_11comp_targetILNS1_3genE0ELNS1_11target_archE4294967295ELNS1_3gpuE0ELNS1_3repE0EEENS1_36merge_oddeven_config_static_selectorELNS0_4arch9wavefront6targetE1EEEvSF_, .Lfunc_end514-_ZN7rocprim17ROCPRIM_400000_NS6detail17trampoline_kernelINS0_14default_configENS1_38merge_sort_block_merge_config_selectorItNS0_10empty_typeEEEZZNS1_27merge_sort_block_merge_implIS3_PtPS5_jNS1_19radix_merge_compareILb0ELb1EtNS0_19identity_decomposerEEEEE10hipError_tT0_T1_T2_jT3_P12ihipStream_tbPNSt15iterator_traitsISE_E10value_typeEPNSK_ISF_E10value_typeEPSG_NS1_7vsmem_tEENKUlT_SE_SF_SG_E_clIS8_S8_S9_S9_EESD_ST_SE_SF_SG_EUlST_E1_NS1_11comp_targetILNS1_3genE0ELNS1_11target_archE4294967295ELNS1_3gpuE0ELNS1_3repE0EEENS1_36merge_oddeven_config_static_selectorELNS0_4arch9wavefront6targetE1EEEvSF_
                                        ; -- End function
	.section	.AMDGPU.csdata,"",@progbits
; Kernel info:
; codeLenInByte = 0
; NumSgprs: 4
; NumVgprs: 0
; NumAgprs: 0
; TotalNumVgprs: 0
; ScratchSize: 0
; MemoryBound: 0
; FloatMode: 240
; IeeeMode: 1
; LDSByteSize: 0 bytes/workgroup (compile time only)
; SGPRBlocks: 0
; VGPRBlocks: 0
; NumSGPRsForWavesPerEU: 4
; NumVGPRsForWavesPerEU: 1
; AccumOffset: 4
; Occupancy: 8
; WaveLimiterHint : 0
; COMPUTE_PGM_RSRC2:SCRATCH_EN: 0
; COMPUTE_PGM_RSRC2:USER_SGPR: 6
; COMPUTE_PGM_RSRC2:TRAP_HANDLER: 0
; COMPUTE_PGM_RSRC2:TGID_X_EN: 1
; COMPUTE_PGM_RSRC2:TGID_Y_EN: 0
; COMPUTE_PGM_RSRC2:TGID_Z_EN: 0
; COMPUTE_PGM_RSRC2:TIDIG_COMP_CNT: 0
; COMPUTE_PGM_RSRC3_GFX90A:ACCUM_OFFSET: 0
; COMPUTE_PGM_RSRC3_GFX90A:TG_SPLIT: 0
	.section	.text._ZN7rocprim17ROCPRIM_400000_NS6detail17trampoline_kernelINS0_14default_configENS1_38merge_sort_block_merge_config_selectorItNS0_10empty_typeEEEZZNS1_27merge_sort_block_merge_implIS3_PtPS5_jNS1_19radix_merge_compareILb0ELb1EtNS0_19identity_decomposerEEEEE10hipError_tT0_T1_T2_jT3_P12ihipStream_tbPNSt15iterator_traitsISE_E10value_typeEPNSK_ISF_E10value_typeEPSG_NS1_7vsmem_tEENKUlT_SE_SF_SG_E_clIS8_S8_S9_S9_EESD_ST_SE_SF_SG_EUlST_E1_NS1_11comp_targetILNS1_3genE10ELNS1_11target_archE1201ELNS1_3gpuE5ELNS1_3repE0EEENS1_36merge_oddeven_config_static_selectorELNS0_4arch9wavefront6targetE1EEEvSF_,"axG",@progbits,_ZN7rocprim17ROCPRIM_400000_NS6detail17trampoline_kernelINS0_14default_configENS1_38merge_sort_block_merge_config_selectorItNS0_10empty_typeEEEZZNS1_27merge_sort_block_merge_implIS3_PtPS5_jNS1_19radix_merge_compareILb0ELb1EtNS0_19identity_decomposerEEEEE10hipError_tT0_T1_T2_jT3_P12ihipStream_tbPNSt15iterator_traitsISE_E10value_typeEPNSK_ISF_E10value_typeEPSG_NS1_7vsmem_tEENKUlT_SE_SF_SG_E_clIS8_S8_S9_S9_EESD_ST_SE_SF_SG_EUlST_E1_NS1_11comp_targetILNS1_3genE10ELNS1_11target_archE1201ELNS1_3gpuE5ELNS1_3repE0EEENS1_36merge_oddeven_config_static_selectorELNS0_4arch9wavefront6targetE1EEEvSF_,comdat
	.protected	_ZN7rocprim17ROCPRIM_400000_NS6detail17trampoline_kernelINS0_14default_configENS1_38merge_sort_block_merge_config_selectorItNS0_10empty_typeEEEZZNS1_27merge_sort_block_merge_implIS3_PtPS5_jNS1_19radix_merge_compareILb0ELb1EtNS0_19identity_decomposerEEEEE10hipError_tT0_T1_T2_jT3_P12ihipStream_tbPNSt15iterator_traitsISE_E10value_typeEPNSK_ISF_E10value_typeEPSG_NS1_7vsmem_tEENKUlT_SE_SF_SG_E_clIS8_S8_S9_S9_EESD_ST_SE_SF_SG_EUlST_E1_NS1_11comp_targetILNS1_3genE10ELNS1_11target_archE1201ELNS1_3gpuE5ELNS1_3repE0EEENS1_36merge_oddeven_config_static_selectorELNS0_4arch9wavefront6targetE1EEEvSF_ ; -- Begin function _ZN7rocprim17ROCPRIM_400000_NS6detail17trampoline_kernelINS0_14default_configENS1_38merge_sort_block_merge_config_selectorItNS0_10empty_typeEEEZZNS1_27merge_sort_block_merge_implIS3_PtPS5_jNS1_19radix_merge_compareILb0ELb1EtNS0_19identity_decomposerEEEEE10hipError_tT0_T1_T2_jT3_P12ihipStream_tbPNSt15iterator_traitsISE_E10value_typeEPNSK_ISF_E10value_typeEPSG_NS1_7vsmem_tEENKUlT_SE_SF_SG_E_clIS8_S8_S9_S9_EESD_ST_SE_SF_SG_EUlST_E1_NS1_11comp_targetILNS1_3genE10ELNS1_11target_archE1201ELNS1_3gpuE5ELNS1_3repE0EEENS1_36merge_oddeven_config_static_selectorELNS0_4arch9wavefront6targetE1EEEvSF_
	.globl	_ZN7rocprim17ROCPRIM_400000_NS6detail17trampoline_kernelINS0_14default_configENS1_38merge_sort_block_merge_config_selectorItNS0_10empty_typeEEEZZNS1_27merge_sort_block_merge_implIS3_PtPS5_jNS1_19radix_merge_compareILb0ELb1EtNS0_19identity_decomposerEEEEE10hipError_tT0_T1_T2_jT3_P12ihipStream_tbPNSt15iterator_traitsISE_E10value_typeEPNSK_ISF_E10value_typeEPSG_NS1_7vsmem_tEENKUlT_SE_SF_SG_E_clIS8_S8_S9_S9_EESD_ST_SE_SF_SG_EUlST_E1_NS1_11comp_targetILNS1_3genE10ELNS1_11target_archE1201ELNS1_3gpuE5ELNS1_3repE0EEENS1_36merge_oddeven_config_static_selectorELNS0_4arch9wavefront6targetE1EEEvSF_
	.p2align	8
	.type	_ZN7rocprim17ROCPRIM_400000_NS6detail17trampoline_kernelINS0_14default_configENS1_38merge_sort_block_merge_config_selectorItNS0_10empty_typeEEEZZNS1_27merge_sort_block_merge_implIS3_PtPS5_jNS1_19radix_merge_compareILb0ELb1EtNS0_19identity_decomposerEEEEE10hipError_tT0_T1_T2_jT3_P12ihipStream_tbPNSt15iterator_traitsISE_E10value_typeEPNSK_ISF_E10value_typeEPSG_NS1_7vsmem_tEENKUlT_SE_SF_SG_E_clIS8_S8_S9_S9_EESD_ST_SE_SF_SG_EUlST_E1_NS1_11comp_targetILNS1_3genE10ELNS1_11target_archE1201ELNS1_3gpuE5ELNS1_3repE0EEENS1_36merge_oddeven_config_static_selectorELNS0_4arch9wavefront6targetE1EEEvSF_,@function
_ZN7rocprim17ROCPRIM_400000_NS6detail17trampoline_kernelINS0_14default_configENS1_38merge_sort_block_merge_config_selectorItNS0_10empty_typeEEEZZNS1_27merge_sort_block_merge_implIS3_PtPS5_jNS1_19radix_merge_compareILb0ELb1EtNS0_19identity_decomposerEEEEE10hipError_tT0_T1_T2_jT3_P12ihipStream_tbPNSt15iterator_traitsISE_E10value_typeEPNSK_ISF_E10value_typeEPSG_NS1_7vsmem_tEENKUlT_SE_SF_SG_E_clIS8_S8_S9_S9_EESD_ST_SE_SF_SG_EUlST_E1_NS1_11comp_targetILNS1_3genE10ELNS1_11target_archE1201ELNS1_3gpuE5ELNS1_3repE0EEENS1_36merge_oddeven_config_static_selectorELNS0_4arch9wavefront6targetE1EEEvSF_: ; @_ZN7rocprim17ROCPRIM_400000_NS6detail17trampoline_kernelINS0_14default_configENS1_38merge_sort_block_merge_config_selectorItNS0_10empty_typeEEEZZNS1_27merge_sort_block_merge_implIS3_PtPS5_jNS1_19radix_merge_compareILb0ELb1EtNS0_19identity_decomposerEEEEE10hipError_tT0_T1_T2_jT3_P12ihipStream_tbPNSt15iterator_traitsISE_E10value_typeEPNSK_ISF_E10value_typeEPSG_NS1_7vsmem_tEENKUlT_SE_SF_SG_E_clIS8_S8_S9_S9_EESD_ST_SE_SF_SG_EUlST_E1_NS1_11comp_targetILNS1_3genE10ELNS1_11target_archE1201ELNS1_3gpuE5ELNS1_3repE0EEENS1_36merge_oddeven_config_static_selectorELNS0_4arch9wavefront6targetE1EEEvSF_
; %bb.0:
	.section	.rodata,"a",@progbits
	.p2align	6, 0x0
	.amdhsa_kernel _ZN7rocprim17ROCPRIM_400000_NS6detail17trampoline_kernelINS0_14default_configENS1_38merge_sort_block_merge_config_selectorItNS0_10empty_typeEEEZZNS1_27merge_sort_block_merge_implIS3_PtPS5_jNS1_19radix_merge_compareILb0ELb1EtNS0_19identity_decomposerEEEEE10hipError_tT0_T1_T2_jT3_P12ihipStream_tbPNSt15iterator_traitsISE_E10value_typeEPNSK_ISF_E10value_typeEPSG_NS1_7vsmem_tEENKUlT_SE_SF_SG_E_clIS8_S8_S9_S9_EESD_ST_SE_SF_SG_EUlST_E1_NS1_11comp_targetILNS1_3genE10ELNS1_11target_archE1201ELNS1_3gpuE5ELNS1_3repE0EEENS1_36merge_oddeven_config_static_selectorELNS0_4arch9wavefront6targetE1EEEvSF_
		.amdhsa_group_segment_fixed_size 0
		.amdhsa_private_segment_fixed_size 0
		.amdhsa_kernarg_size 48
		.amdhsa_user_sgpr_count 6
		.amdhsa_user_sgpr_private_segment_buffer 1
		.amdhsa_user_sgpr_dispatch_ptr 0
		.amdhsa_user_sgpr_queue_ptr 0
		.amdhsa_user_sgpr_kernarg_segment_ptr 1
		.amdhsa_user_sgpr_dispatch_id 0
		.amdhsa_user_sgpr_flat_scratch_init 0
		.amdhsa_user_sgpr_kernarg_preload_length 0
		.amdhsa_user_sgpr_kernarg_preload_offset 0
		.amdhsa_user_sgpr_private_segment_size 0
		.amdhsa_uses_dynamic_stack 0
		.amdhsa_system_sgpr_private_segment_wavefront_offset 0
		.amdhsa_system_sgpr_workgroup_id_x 1
		.amdhsa_system_sgpr_workgroup_id_y 0
		.amdhsa_system_sgpr_workgroup_id_z 0
		.amdhsa_system_sgpr_workgroup_info 0
		.amdhsa_system_vgpr_workitem_id 0
		.amdhsa_next_free_vgpr 1
		.amdhsa_next_free_sgpr 0
		.amdhsa_accum_offset 4
		.amdhsa_reserve_vcc 0
		.amdhsa_reserve_flat_scratch 0
		.amdhsa_float_round_mode_32 0
		.amdhsa_float_round_mode_16_64 0
		.amdhsa_float_denorm_mode_32 3
		.amdhsa_float_denorm_mode_16_64 3
		.amdhsa_dx10_clamp 1
		.amdhsa_ieee_mode 1
		.amdhsa_fp16_overflow 0
		.amdhsa_tg_split 0
		.amdhsa_exception_fp_ieee_invalid_op 0
		.amdhsa_exception_fp_denorm_src 0
		.amdhsa_exception_fp_ieee_div_zero 0
		.amdhsa_exception_fp_ieee_overflow 0
		.amdhsa_exception_fp_ieee_underflow 0
		.amdhsa_exception_fp_ieee_inexact 0
		.amdhsa_exception_int_div_zero 0
	.end_amdhsa_kernel
	.section	.text._ZN7rocprim17ROCPRIM_400000_NS6detail17trampoline_kernelINS0_14default_configENS1_38merge_sort_block_merge_config_selectorItNS0_10empty_typeEEEZZNS1_27merge_sort_block_merge_implIS3_PtPS5_jNS1_19radix_merge_compareILb0ELb1EtNS0_19identity_decomposerEEEEE10hipError_tT0_T1_T2_jT3_P12ihipStream_tbPNSt15iterator_traitsISE_E10value_typeEPNSK_ISF_E10value_typeEPSG_NS1_7vsmem_tEENKUlT_SE_SF_SG_E_clIS8_S8_S9_S9_EESD_ST_SE_SF_SG_EUlST_E1_NS1_11comp_targetILNS1_3genE10ELNS1_11target_archE1201ELNS1_3gpuE5ELNS1_3repE0EEENS1_36merge_oddeven_config_static_selectorELNS0_4arch9wavefront6targetE1EEEvSF_,"axG",@progbits,_ZN7rocprim17ROCPRIM_400000_NS6detail17trampoline_kernelINS0_14default_configENS1_38merge_sort_block_merge_config_selectorItNS0_10empty_typeEEEZZNS1_27merge_sort_block_merge_implIS3_PtPS5_jNS1_19radix_merge_compareILb0ELb1EtNS0_19identity_decomposerEEEEE10hipError_tT0_T1_T2_jT3_P12ihipStream_tbPNSt15iterator_traitsISE_E10value_typeEPNSK_ISF_E10value_typeEPSG_NS1_7vsmem_tEENKUlT_SE_SF_SG_E_clIS8_S8_S9_S9_EESD_ST_SE_SF_SG_EUlST_E1_NS1_11comp_targetILNS1_3genE10ELNS1_11target_archE1201ELNS1_3gpuE5ELNS1_3repE0EEENS1_36merge_oddeven_config_static_selectorELNS0_4arch9wavefront6targetE1EEEvSF_,comdat
.Lfunc_end515:
	.size	_ZN7rocprim17ROCPRIM_400000_NS6detail17trampoline_kernelINS0_14default_configENS1_38merge_sort_block_merge_config_selectorItNS0_10empty_typeEEEZZNS1_27merge_sort_block_merge_implIS3_PtPS5_jNS1_19radix_merge_compareILb0ELb1EtNS0_19identity_decomposerEEEEE10hipError_tT0_T1_T2_jT3_P12ihipStream_tbPNSt15iterator_traitsISE_E10value_typeEPNSK_ISF_E10value_typeEPSG_NS1_7vsmem_tEENKUlT_SE_SF_SG_E_clIS8_S8_S9_S9_EESD_ST_SE_SF_SG_EUlST_E1_NS1_11comp_targetILNS1_3genE10ELNS1_11target_archE1201ELNS1_3gpuE5ELNS1_3repE0EEENS1_36merge_oddeven_config_static_selectorELNS0_4arch9wavefront6targetE1EEEvSF_, .Lfunc_end515-_ZN7rocprim17ROCPRIM_400000_NS6detail17trampoline_kernelINS0_14default_configENS1_38merge_sort_block_merge_config_selectorItNS0_10empty_typeEEEZZNS1_27merge_sort_block_merge_implIS3_PtPS5_jNS1_19radix_merge_compareILb0ELb1EtNS0_19identity_decomposerEEEEE10hipError_tT0_T1_T2_jT3_P12ihipStream_tbPNSt15iterator_traitsISE_E10value_typeEPNSK_ISF_E10value_typeEPSG_NS1_7vsmem_tEENKUlT_SE_SF_SG_E_clIS8_S8_S9_S9_EESD_ST_SE_SF_SG_EUlST_E1_NS1_11comp_targetILNS1_3genE10ELNS1_11target_archE1201ELNS1_3gpuE5ELNS1_3repE0EEENS1_36merge_oddeven_config_static_selectorELNS0_4arch9wavefront6targetE1EEEvSF_
                                        ; -- End function
	.section	.AMDGPU.csdata,"",@progbits
; Kernel info:
; codeLenInByte = 0
; NumSgprs: 4
; NumVgprs: 0
; NumAgprs: 0
; TotalNumVgprs: 0
; ScratchSize: 0
; MemoryBound: 0
; FloatMode: 240
; IeeeMode: 1
; LDSByteSize: 0 bytes/workgroup (compile time only)
; SGPRBlocks: 0
; VGPRBlocks: 0
; NumSGPRsForWavesPerEU: 4
; NumVGPRsForWavesPerEU: 1
; AccumOffset: 4
; Occupancy: 8
; WaveLimiterHint : 0
; COMPUTE_PGM_RSRC2:SCRATCH_EN: 0
; COMPUTE_PGM_RSRC2:USER_SGPR: 6
; COMPUTE_PGM_RSRC2:TRAP_HANDLER: 0
; COMPUTE_PGM_RSRC2:TGID_X_EN: 1
; COMPUTE_PGM_RSRC2:TGID_Y_EN: 0
; COMPUTE_PGM_RSRC2:TGID_Z_EN: 0
; COMPUTE_PGM_RSRC2:TIDIG_COMP_CNT: 0
; COMPUTE_PGM_RSRC3_GFX90A:ACCUM_OFFSET: 0
; COMPUTE_PGM_RSRC3_GFX90A:TG_SPLIT: 0
	.section	.text._ZN7rocprim17ROCPRIM_400000_NS6detail17trampoline_kernelINS0_14default_configENS1_38merge_sort_block_merge_config_selectorItNS0_10empty_typeEEEZZNS1_27merge_sort_block_merge_implIS3_PtPS5_jNS1_19radix_merge_compareILb0ELb1EtNS0_19identity_decomposerEEEEE10hipError_tT0_T1_T2_jT3_P12ihipStream_tbPNSt15iterator_traitsISE_E10value_typeEPNSK_ISF_E10value_typeEPSG_NS1_7vsmem_tEENKUlT_SE_SF_SG_E_clIS8_S8_S9_S9_EESD_ST_SE_SF_SG_EUlST_E1_NS1_11comp_targetILNS1_3genE5ELNS1_11target_archE942ELNS1_3gpuE9ELNS1_3repE0EEENS1_36merge_oddeven_config_static_selectorELNS0_4arch9wavefront6targetE1EEEvSF_,"axG",@progbits,_ZN7rocprim17ROCPRIM_400000_NS6detail17trampoline_kernelINS0_14default_configENS1_38merge_sort_block_merge_config_selectorItNS0_10empty_typeEEEZZNS1_27merge_sort_block_merge_implIS3_PtPS5_jNS1_19radix_merge_compareILb0ELb1EtNS0_19identity_decomposerEEEEE10hipError_tT0_T1_T2_jT3_P12ihipStream_tbPNSt15iterator_traitsISE_E10value_typeEPNSK_ISF_E10value_typeEPSG_NS1_7vsmem_tEENKUlT_SE_SF_SG_E_clIS8_S8_S9_S9_EESD_ST_SE_SF_SG_EUlST_E1_NS1_11comp_targetILNS1_3genE5ELNS1_11target_archE942ELNS1_3gpuE9ELNS1_3repE0EEENS1_36merge_oddeven_config_static_selectorELNS0_4arch9wavefront6targetE1EEEvSF_,comdat
	.protected	_ZN7rocprim17ROCPRIM_400000_NS6detail17trampoline_kernelINS0_14default_configENS1_38merge_sort_block_merge_config_selectorItNS0_10empty_typeEEEZZNS1_27merge_sort_block_merge_implIS3_PtPS5_jNS1_19radix_merge_compareILb0ELb1EtNS0_19identity_decomposerEEEEE10hipError_tT0_T1_T2_jT3_P12ihipStream_tbPNSt15iterator_traitsISE_E10value_typeEPNSK_ISF_E10value_typeEPSG_NS1_7vsmem_tEENKUlT_SE_SF_SG_E_clIS8_S8_S9_S9_EESD_ST_SE_SF_SG_EUlST_E1_NS1_11comp_targetILNS1_3genE5ELNS1_11target_archE942ELNS1_3gpuE9ELNS1_3repE0EEENS1_36merge_oddeven_config_static_selectorELNS0_4arch9wavefront6targetE1EEEvSF_ ; -- Begin function _ZN7rocprim17ROCPRIM_400000_NS6detail17trampoline_kernelINS0_14default_configENS1_38merge_sort_block_merge_config_selectorItNS0_10empty_typeEEEZZNS1_27merge_sort_block_merge_implIS3_PtPS5_jNS1_19radix_merge_compareILb0ELb1EtNS0_19identity_decomposerEEEEE10hipError_tT0_T1_T2_jT3_P12ihipStream_tbPNSt15iterator_traitsISE_E10value_typeEPNSK_ISF_E10value_typeEPSG_NS1_7vsmem_tEENKUlT_SE_SF_SG_E_clIS8_S8_S9_S9_EESD_ST_SE_SF_SG_EUlST_E1_NS1_11comp_targetILNS1_3genE5ELNS1_11target_archE942ELNS1_3gpuE9ELNS1_3repE0EEENS1_36merge_oddeven_config_static_selectorELNS0_4arch9wavefront6targetE1EEEvSF_
	.globl	_ZN7rocprim17ROCPRIM_400000_NS6detail17trampoline_kernelINS0_14default_configENS1_38merge_sort_block_merge_config_selectorItNS0_10empty_typeEEEZZNS1_27merge_sort_block_merge_implIS3_PtPS5_jNS1_19radix_merge_compareILb0ELb1EtNS0_19identity_decomposerEEEEE10hipError_tT0_T1_T2_jT3_P12ihipStream_tbPNSt15iterator_traitsISE_E10value_typeEPNSK_ISF_E10value_typeEPSG_NS1_7vsmem_tEENKUlT_SE_SF_SG_E_clIS8_S8_S9_S9_EESD_ST_SE_SF_SG_EUlST_E1_NS1_11comp_targetILNS1_3genE5ELNS1_11target_archE942ELNS1_3gpuE9ELNS1_3repE0EEENS1_36merge_oddeven_config_static_selectorELNS0_4arch9wavefront6targetE1EEEvSF_
	.p2align	8
	.type	_ZN7rocprim17ROCPRIM_400000_NS6detail17trampoline_kernelINS0_14default_configENS1_38merge_sort_block_merge_config_selectorItNS0_10empty_typeEEEZZNS1_27merge_sort_block_merge_implIS3_PtPS5_jNS1_19radix_merge_compareILb0ELb1EtNS0_19identity_decomposerEEEEE10hipError_tT0_T1_T2_jT3_P12ihipStream_tbPNSt15iterator_traitsISE_E10value_typeEPNSK_ISF_E10value_typeEPSG_NS1_7vsmem_tEENKUlT_SE_SF_SG_E_clIS8_S8_S9_S9_EESD_ST_SE_SF_SG_EUlST_E1_NS1_11comp_targetILNS1_3genE5ELNS1_11target_archE942ELNS1_3gpuE9ELNS1_3repE0EEENS1_36merge_oddeven_config_static_selectorELNS0_4arch9wavefront6targetE1EEEvSF_,@function
_ZN7rocprim17ROCPRIM_400000_NS6detail17trampoline_kernelINS0_14default_configENS1_38merge_sort_block_merge_config_selectorItNS0_10empty_typeEEEZZNS1_27merge_sort_block_merge_implIS3_PtPS5_jNS1_19radix_merge_compareILb0ELb1EtNS0_19identity_decomposerEEEEE10hipError_tT0_T1_T2_jT3_P12ihipStream_tbPNSt15iterator_traitsISE_E10value_typeEPNSK_ISF_E10value_typeEPSG_NS1_7vsmem_tEENKUlT_SE_SF_SG_E_clIS8_S8_S9_S9_EESD_ST_SE_SF_SG_EUlST_E1_NS1_11comp_targetILNS1_3genE5ELNS1_11target_archE942ELNS1_3gpuE9ELNS1_3repE0EEENS1_36merge_oddeven_config_static_selectorELNS0_4arch9wavefront6targetE1EEEvSF_: ; @_ZN7rocprim17ROCPRIM_400000_NS6detail17trampoline_kernelINS0_14default_configENS1_38merge_sort_block_merge_config_selectorItNS0_10empty_typeEEEZZNS1_27merge_sort_block_merge_implIS3_PtPS5_jNS1_19radix_merge_compareILb0ELb1EtNS0_19identity_decomposerEEEEE10hipError_tT0_T1_T2_jT3_P12ihipStream_tbPNSt15iterator_traitsISE_E10value_typeEPNSK_ISF_E10value_typeEPSG_NS1_7vsmem_tEENKUlT_SE_SF_SG_E_clIS8_S8_S9_S9_EESD_ST_SE_SF_SG_EUlST_E1_NS1_11comp_targetILNS1_3genE5ELNS1_11target_archE942ELNS1_3gpuE9ELNS1_3repE0EEENS1_36merge_oddeven_config_static_selectorELNS0_4arch9wavefront6targetE1EEEvSF_
; %bb.0:
	.section	.rodata,"a",@progbits
	.p2align	6, 0x0
	.amdhsa_kernel _ZN7rocprim17ROCPRIM_400000_NS6detail17trampoline_kernelINS0_14default_configENS1_38merge_sort_block_merge_config_selectorItNS0_10empty_typeEEEZZNS1_27merge_sort_block_merge_implIS3_PtPS5_jNS1_19radix_merge_compareILb0ELb1EtNS0_19identity_decomposerEEEEE10hipError_tT0_T1_T2_jT3_P12ihipStream_tbPNSt15iterator_traitsISE_E10value_typeEPNSK_ISF_E10value_typeEPSG_NS1_7vsmem_tEENKUlT_SE_SF_SG_E_clIS8_S8_S9_S9_EESD_ST_SE_SF_SG_EUlST_E1_NS1_11comp_targetILNS1_3genE5ELNS1_11target_archE942ELNS1_3gpuE9ELNS1_3repE0EEENS1_36merge_oddeven_config_static_selectorELNS0_4arch9wavefront6targetE1EEEvSF_
		.amdhsa_group_segment_fixed_size 0
		.amdhsa_private_segment_fixed_size 0
		.amdhsa_kernarg_size 48
		.amdhsa_user_sgpr_count 6
		.amdhsa_user_sgpr_private_segment_buffer 1
		.amdhsa_user_sgpr_dispatch_ptr 0
		.amdhsa_user_sgpr_queue_ptr 0
		.amdhsa_user_sgpr_kernarg_segment_ptr 1
		.amdhsa_user_sgpr_dispatch_id 0
		.amdhsa_user_sgpr_flat_scratch_init 0
		.amdhsa_user_sgpr_kernarg_preload_length 0
		.amdhsa_user_sgpr_kernarg_preload_offset 0
		.amdhsa_user_sgpr_private_segment_size 0
		.amdhsa_uses_dynamic_stack 0
		.amdhsa_system_sgpr_private_segment_wavefront_offset 0
		.amdhsa_system_sgpr_workgroup_id_x 1
		.amdhsa_system_sgpr_workgroup_id_y 0
		.amdhsa_system_sgpr_workgroup_id_z 0
		.amdhsa_system_sgpr_workgroup_info 0
		.amdhsa_system_vgpr_workitem_id 0
		.amdhsa_next_free_vgpr 1
		.amdhsa_next_free_sgpr 0
		.amdhsa_accum_offset 4
		.amdhsa_reserve_vcc 0
		.amdhsa_reserve_flat_scratch 0
		.amdhsa_float_round_mode_32 0
		.amdhsa_float_round_mode_16_64 0
		.amdhsa_float_denorm_mode_32 3
		.amdhsa_float_denorm_mode_16_64 3
		.amdhsa_dx10_clamp 1
		.amdhsa_ieee_mode 1
		.amdhsa_fp16_overflow 0
		.amdhsa_tg_split 0
		.amdhsa_exception_fp_ieee_invalid_op 0
		.amdhsa_exception_fp_denorm_src 0
		.amdhsa_exception_fp_ieee_div_zero 0
		.amdhsa_exception_fp_ieee_overflow 0
		.amdhsa_exception_fp_ieee_underflow 0
		.amdhsa_exception_fp_ieee_inexact 0
		.amdhsa_exception_int_div_zero 0
	.end_amdhsa_kernel
	.section	.text._ZN7rocprim17ROCPRIM_400000_NS6detail17trampoline_kernelINS0_14default_configENS1_38merge_sort_block_merge_config_selectorItNS0_10empty_typeEEEZZNS1_27merge_sort_block_merge_implIS3_PtPS5_jNS1_19radix_merge_compareILb0ELb1EtNS0_19identity_decomposerEEEEE10hipError_tT0_T1_T2_jT3_P12ihipStream_tbPNSt15iterator_traitsISE_E10value_typeEPNSK_ISF_E10value_typeEPSG_NS1_7vsmem_tEENKUlT_SE_SF_SG_E_clIS8_S8_S9_S9_EESD_ST_SE_SF_SG_EUlST_E1_NS1_11comp_targetILNS1_3genE5ELNS1_11target_archE942ELNS1_3gpuE9ELNS1_3repE0EEENS1_36merge_oddeven_config_static_selectorELNS0_4arch9wavefront6targetE1EEEvSF_,"axG",@progbits,_ZN7rocprim17ROCPRIM_400000_NS6detail17trampoline_kernelINS0_14default_configENS1_38merge_sort_block_merge_config_selectorItNS0_10empty_typeEEEZZNS1_27merge_sort_block_merge_implIS3_PtPS5_jNS1_19radix_merge_compareILb0ELb1EtNS0_19identity_decomposerEEEEE10hipError_tT0_T1_T2_jT3_P12ihipStream_tbPNSt15iterator_traitsISE_E10value_typeEPNSK_ISF_E10value_typeEPSG_NS1_7vsmem_tEENKUlT_SE_SF_SG_E_clIS8_S8_S9_S9_EESD_ST_SE_SF_SG_EUlST_E1_NS1_11comp_targetILNS1_3genE5ELNS1_11target_archE942ELNS1_3gpuE9ELNS1_3repE0EEENS1_36merge_oddeven_config_static_selectorELNS0_4arch9wavefront6targetE1EEEvSF_,comdat
.Lfunc_end516:
	.size	_ZN7rocprim17ROCPRIM_400000_NS6detail17trampoline_kernelINS0_14default_configENS1_38merge_sort_block_merge_config_selectorItNS0_10empty_typeEEEZZNS1_27merge_sort_block_merge_implIS3_PtPS5_jNS1_19radix_merge_compareILb0ELb1EtNS0_19identity_decomposerEEEEE10hipError_tT0_T1_T2_jT3_P12ihipStream_tbPNSt15iterator_traitsISE_E10value_typeEPNSK_ISF_E10value_typeEPSG_NS1_7vsmem_tEENKUlT_SE_SF_SG_E_clIS8_S8_S9_S9_EESD_ST_SE_SF_SG_EUlST_E1_NS1_11comp_targetILNS1_3genE5ELNS1_11target_archE942ELNS1_3gpuE9ELNS1_3repE0EEENS1_36merge_oddeven_config_static_selectorELNS0_4arch9wavefront6targetE1EEEvSF_, .Lfunc_end516-_ZN7rocprim17ROCPRIM_400000_NS6detail17trampoline_kernelINS0_14default_configENS1_38merge_sort_block_merge_config_selectorItNS0_10empty_typeEEEZZNS1_27merge_sort_block_merge_implIS3_PtPS5_jNS1_19radix_merge_compareILb0ELb1EtNS0_19identity_decomposerEEEEE10hipError_tT0_T1_T2_jT3_P12ihipStream_tbPNSt15iterator_traitsISE_E10value_typeEPNSK_ISF_E10value_typeEPSG_NS1_7vsmem_tEENKUlT_SE_SF_SG_E_clIS8_S8_S9_S9_EESD_ST_SE_SF_SG_EUlST_E1_NS1_11comp_targetILNS1_3genE5ELNS1_11target_archE942ELNS1_3gpuE9ELNS1_3repE0EEENS1_36merge_oddeven_config_static_selectorELNS0_4arch9wavefront6targetE1EEEvSF_
                                        ; -- End function
	.section	.AMDGPU.csdata,"",@progbits
; Kernel info:
; codeLenInByte = 0
; NumSgprs: 4
; NumVgprs: 0
; NumAgprs: 0
; TotalNumVgprs: 0
; ScratchSize: 0
; MemoryBound: 0
; FloatMode: 240
; IeeeMode: 1
; LDSByteSize: 0 bytes/workgroup (compile time only)
; SGPRBlocks: 0
; VGPRBlocks: 0
; NumSGPRsForWavesPerEU: 4
; NumVGPRsForWavesPerEU: 1
; AccumOffset: 4
; Occupancy: 8
; WaveLimiterHint : 0
; COMPUTE_PGM_RSRC2:SCRATCH_EN: 0
; COMPUTE_PGM_RSRC2:USER_SGPR: 6
; COMPUTE_PGM_RSRC2:TRAP_HANDLER: 0
; COMPUTE_PGM_RSRC2:TGID_X_EN: 1
; COMPUTE_PGM_RSRC2:TGID_Y_EN: 0
; COMPUTE_PGM_RSRC2:TGID_Z_EN: 0
; COMPUTE_PGM_RSRC2:TIDIG_COMP_CNT: 0
; COMPUTE_PGM_RSRC3_GFX90A:ACCUM_OFFSET: 0
; COMPUTE_PGM_RSRC3_GFX90A:TG_SPLIT: 0
	.section	.text._ZN7rocprim17ROCPRIM_400000_NS6detail17trampoline_kernelINS0_14default_configENS1_38merge_sort_block_merge_config_selectorItNS0_10empty_typeEEEZZNS1_27merge_sort_block_merge_implIS3_PtPS5_jNS1_19radix_merge_compareILb0ELb1EtNS0_19identity_decomposerEEEEE10hipError_tT0_T1_T2_jT3_P12ihipStream_tbPNSt15iterator_traitsISE_E10value_typeEPNSK_ISF_E10value_typeEPSG_NS1_7vsmem_tEENKUlT_SE_SF_SG_E_clIS8_S8_S9_S9_EESD_ST_SE_SF_SG_EUlST_E1_NS1_11comp_targetILNS1_3genE4ELNS1_11target_archE910ELNS1_3gpuE8ELNS1_3repE0EEENS1_36merge_oddeven_config_static_selectorELNS0_4arch9wavefront6targetE1EEEvSF_,"axG",@progbits,_ZN7rocprim17ROCPRIM_400000_NS6detail17trampoline_kernelINS0_14default_configENS1_38merge_sort_block_merge_config_selectorItNS0_10empty_typeEEEZZNS1_27merge_sort_block_merge_implIS3_PtPS5_jNS1_19radix_merge_compareILb0ELb1EtNS0_19identity_decomposerEEEEE10hipError_tT0_T1_T2_jT3_P12ihipStream_tbPNSt15iterator_traitsISE_E10value_typeEPNSK_ISF_E10value_typeEPSG_NS1_7vsmem_tEENKUlT_SE_SF_SG_E_clIS8_S8_S9_S9_EESD_ST_SE_SF_SG_EUlST_E1_NS1_11comp_targetILNS1_3genE4ELNS1_11target_archE910ELNS1_3gpuE8ELNS1_3repE0EEENS1_36merge_oddeven_config_static_selectorELNS0_4arch9wavefront6targetE1EEEvSF_,comdat
	.protected	_ZN7rocprim17ROCPRIM_400000_NS6detail17trampoline_kernelINS0_14default_configENS1_38merge_sort_block_merge_config_selectorItNS0_10empty_typeEEEZZNS1_27merge_sort_block_merge_implIS3_PtPS5_jNS1_19radix_merge_compareILb0ELb1EtNS0_19identity_decomposerEEEEE10hipError_tT0_T1_T2_jT3_P12ihipStream_tbPNSt15iterator_traitsISE_E10value_typeEPNSK_ISF_E10value_typeEPSG_NS1_7vsmem_tEENKUlT_SE_SF_SG_E_clIS8_S8_S9_S9_EESD_ST_SE_SF_SG_EUlST_E1_NS1_11comp_targetILNS1_3genE4ELNS1_11target_archE910ELNS1_3gpuE8ELNS1_3repE0EEENS1_36merge_oddeven_config_static_selectorELNS0_4arch9wavefront6targetE1EEEvSF_ ; -- Begin function _ZN7rocprim17ROCPRIM_400000_NS6detail17trampoline_kernelINS0_14default_configENS1_38merge_sort_block_merge_config_selectorItNS0_10empty_typeEEEZZNS1_27merge_sort_block_merge_implIS3_PtPS5_jNS1_19radix_merge_compareILb0ELb1EtNS0_19identity_decomposerEEEEE10hipError_tT0_T1_T2_jT3_P12ihipStream_tbPNSt15iterator_traitsISE_E10value_typeEPNSK_ISF_E10value_typeEPSG_NS1_7vsmem_tEENKUlT_SE_SF_SG_E_clIS8_S8_S9_S9_EESD_ST_SE_SF_SG_EUlST_E1_NS1_11comp_targetILNS1_3genE4ELNS1_11target_archE910ELNS1_3gpuE8ELNS1_3repE0EEENS1_36merge_oddeven_config_static_selectorELNS0_4arch9wavefront6targetE1EEEvSF_
	.globl	_ZN7rocprim17ROCPRIM_400000_NS6detail17trampoline_kernelINS0_14default_configENS1_38merge_sort_block_merge_config_selectorItNS0_10empty_typeEEEZZNS1_27merge_sort_block_merge_implIS3_PtPS5_jNS1_19radix_merge_compareILb0ELb1EtNS0_19identity_decomposerEEEEE10hipError_tT0_T1_T2_jT3_P12ihipStream_tbPNSt15iterator_traitsISE_E10value_typeEPNSK_ISF_E10value_typeEPSG_NS1_7vsmem_tEENKUlT_SE_SF_SG_E_clIS8_S8_S9_S9_EESD_ST_SE_SF_SG_EUlST_E1_NS1_11comp_targetILNS1_3genE4ELNS1_11target_archE910ELNS1_3gpuE8ELNS1_3repE0EEENS1_36merge_oddeven_config_static_selectorELNS0_4arch9wavefront6targetE1EEEvSF_
	.p2align	8
	.type	_ZN7rocprim17ROCPRIM_400000_NS6detail17trampoline_kernelINS0_14default_configENS1_38merge_sort_block_merge_config_selectorItNS0_10empty_typeEEEZZNS1_27merge_sort_block_merge_implIS3_PtPS5_jNS1_19radix_merge_compareILb0ELb1EtNS0_19identity_decomposerEEEEE10hipError_tT0_T1_T2_jT3_P12ihipStream_tbPNSt15iterator_traitsISE_E10value_typeEPNSK_ISF_E10value_typeEPSG_NS1_7vsmem_tEENKUlT_SE_SF_SG_E_clIS8_S8_S9_S9_EESD_ST_SE_SF_SG_EUlST_E1_NS1_11comp_targetILNS1_3genE4ELNS1_11target_archE910ELNS1_3gpuE8ELNS1_3repE0EEENS1_36merge_oddeven_config_static_selectorELNS0_4arch9wavefront6targetE1EEEvSF_,@function
_ZN7rocprim17ROCPRIM_400000_NS6detail17trampoline_kernelINS0_14default_configENS1_38merge_sort_block_merge_config_selectorItNS0_10empty_typeEEEZZNS1_27merge_sort_block_merge_implIS3_PtPS5_jNS1_19radix_merge_compareILb0ELb1EtNS0_19identity_decomposerEEEEE10hipError_tT0_T1_T2_jT3_P12ihipStream_tbPNSt15iterator_traitsISE_E10value_typeEPNSK_ISF_E10value_typeEPSG_NS1_7vsmem_tEENKUlT_SE_SF_SG_E_clIS8_S8_S9_S9_EESD_ST_SE_SF_SG_EUlST_E1_NS1_11comp_targetILNS1_3genE4ELNS1_11target_archE910ELNS1_3gpuE8ELNS1_3repE0EEENS1_36merge_oddeven_config_static_selectorELNS0_4arch9wavefront6targetE1EEEvSF_: ; @_ZN7rocprim17ROCPRIM_400000_NS6detail17trampoline_kernelINS0_14default_configENS1_38merge_sort_block_merge_config_selectorItNS0_10empty_typeEEEZZNS1_27merge_sort_block_merge_implIS3_PtPS5_jNS1_19radix_merge_compareILb0ELb1EtNS0_19identity_decomposerEEEEE10hipError_tT0_T1_T2_jT3_P12ihipStream_tbPNSt15iterator_traitsISE_E10value_typeEPNSK_ISF_E10value_typeEPSG_NS1_7vsmem_tEENKUlT_SE_SF_SG_E_clIS8_S8_S9_S9_EESD_ST_SE_SF_SG_EUlST_E1_NS1_11comp_targetILNS1_3genE4ELNS1_11target_archE910ELNS1_3gpuE8ELNS1_3repE0EEENS1_36merge_oddeven_config_static_selectorELNS0_4arch9wavefront6targetE1EEEvSF_
; %bb.0:
	s_load_dword s18, s[4:5], 0x20
	s_waitcnt lgkmcnt(0)
	s_lshr_b32 s0, s18, 8
	s_cmp_lg_u32 s6, s0
	s_cselect_b64 s[14:15], -1, 0
	s_cmp_eq_u32 s6, s0
	s_cselect_b64 s[12:13], -1, 0
	s_lshl_b32 s16, s6, 8
	s_sub_i32 s0, s18, s16
	v_cmp_gt_u32_e64 s[2:3], s0, v0
	s_or_b64 s[0:1], s[14:15], s[2:3]
	s_and_saveexec_b64 s[8:9], s[0:1]
	s_cbranch_execz .LBB517_20
; %bb.1:
	s_load_dwordx4 s[8:11], s[4:5], 0x0
	s_load_dword s19, s[4:5], 0x24
	s_mov_b32 s17, 0
	s_lshl_b64 s[0:1], s[16:17], 1
	v_lshlrev_b32_e32 v1, 1, v0
	s_waitcnt lgkmcnt(0)
	s_add_u32 s0, s8, s0
	s_addc_u32 s1, s9, s1
	global_load_ushort v2, v1, s[0:1]
	s_lshr_b32 s0, s19, 8
	s_sub_i32 s1, 0, s0
	s_and_b32 s1, s6, s1
	s_and_b32 s0, s1, s0
	s_lshl_b32 s20, s1, 8
	s_sub_i32 s17, 0, s19
	s_cmp_eq_u32 s0, 0
	s_cselect_b64 s[0:1], -1, 0
	s_and_b64 s[6:7], s[0:1], exec
	s_cselect_b32 s17, s19, s17
	s_add_i32 s17, s17, s20
	s_cmp_lt_u32 s17, s18
	v_add_u32_e32 v0, s16, v0
	s_cbranch_scc1 .LBB517_3
; %bb.2:
	v_cmp_gt_u32_e32 vcc, s18, v0
	s_or_b64 s[6:7], vcc, s[14:15]
	s_and_b64 s[6:7], s[6:7], exec
	s_cbranch_execz .LBB517_4
	s_branch .LBB517_18
.LBB517_3:
	s_mov_b64 s[6:7], 0
.LBB517_4:
	s_load_dword s14, s[4:5], 0x28
	s_min_u32 s15, s17, s18
	s_add_i32 s4, s15, s19
	s_min_u32 s16, s4, s18
	s_min_u32 s4, s20, s15
	s_add_i32 s20, s20, s15
	v_subrev_u32_e32 v0, s20, v0
	v_add_u32_e32 v1, s4, v0
	s_and_b64 vcc, exec, s[12:13]
	s_cbranch_vccz .LBB517_12
; %bb.5:
                                        ; implicit-def: $vgpr0
	s_and_saveexec_b64 s[4:5], s[2:3]
	s_cbranch_execz .LBB517_11
; %bb.6:
	s_cmp_ge_u32 s17, s16
	v_mov_b32_e32 v0, s15
	s_cbranch_scc1 .LBB517_10
; %bb.7:
	s_waitcnt vmcnt(0) lgkmcnt(0)
	v_and_b32_e32 v3, s14, v2
	s_mov_b64 s[2:3], 0
	v_mov_b32_e32 v4, s16
	v_mov_b32_e32 v0, s15
.LBB517_8:                              ; =>This Inner Loop Header: Depth=1
	v_add_u32_e32 v5, v0, v4
	v_and_b32_e32 v6, -2, v5
	global_load_ushort v6, v6, s[8:9]
	v_lshrrev_b32_e32 v5, 1, v5
	v_add_u32_e32 v7, 1, v5
	s_waitcnt vmcnt(0)
	v_and_b32_e32 v6, s14, v6
	v_cmp_gt_u16_e32 vcc, v3, v6
	v_cndmask_b32_e64 v8, 0, 1, vcc
	v_cmp_le_u16_e32 vcc, v6, v3
	v_cndmask_b32_e64 v6, 0, 1, vcc
	v_cndmask_b32_e64 v6, v6, v8, s[0:1]
	v_and_b32_e32 v6, 1, v6
	v_cmp_eq_u32_e32 vcc, 1, v6
	v_cndmask_b32_e32 v4, v5, v4, vcc
	v_cndmask_b32_e32 v0, v0, v7, vcc
	v_cmp_ge_u32_e32 vcc, v0, v4
	s_or_b64 s[2:3], vcc, s[2:3]
	s_andn2_b64 exec, exec, s[2:3]
	s_cbranch_execnz .LBB517_8
; %bb.9:
	s_or_b64 exec, exec, s[2:3]
.LBB517_10:
	v_add_u32_e32 v0, v0, v1
	s_or_b64 s[6:7], s[6:7], exec
.LBB517_11:
	s_or_b64 exec, exec, s[4:5]
	s_branch .LBB517_18
.LBB517_12:
                                        ; implicit-def: $vgpr0
	s_cbranch_execz .LBB517_18
; %bb.13:
	s_cmp_ge_u32 s17, s16
	v_mov_b32_e32 v0, s15
	s_cbranch_scc1 .LBB517_17
; %bb.14:
	s_waitcnt vmcnt(0) lgkmcnt(0)
	v_and_b32_e32 v3, s14, v2
	s_mov_b64 s[2:3], 0
	v_mov_b32_e32 v4, s16
	v_mov_b32_e32 v0, s15
.LBB517_15:                             ; =>This Inner Loop Header: Depth=1
	v_add_u32_e32 v5, v0, v4
	v_and_b32_e32 v6, -2, v5
	global_load_ushort v6, v6, s[8:9]
	v_lshrrev_b32_e32 v5, 1, v5
	v_add_u32_e32 v7, 1, v5
	s_waitcnt vmcnt(0)
	v_and_b32_e32 v6, s14, v6
	v_cmp_gt_u16_e32 vcc, v3, v6
	v_cndmask_b32_e64 v8, 0, 1, vcc
	v_cmp_le_u16_e32 vcc, v6, v3
	v_cndmask_b32_e64 v6, 0, 1, vcc
	v_cndmask_b32_e64 v6, v6, v8, s[0:1]
	v_and_b32_e32 v6, 1, v6
	v_cmp_eq_u32_e32 vcc, 1, v6
	v_cndmask_b32_e32 v4, v5, v4, vcc
	v_cndmask_b32_e32 v0, v0, v7, vcc
	v_cmp_ge_u32_e32 vcc, v0, v4
	s_or_b64 s[2:3], vcc, s[2:3]
	s_andn2_b64 exec, exec, s[2:3]
	s_cbranch_execnz .LBB517_15
; %bb.16:
	s_or_b64 exec, exec, s[2:3]
.LBB517_17:
	v_add_u32_e32 v0, v0, v1
	s_mov_b64 s[6:7], -1
.LBB517_18:
	s_and_b64 exec, exec, s[6:7]
	s_cbranch_execz .LBB517_20
; %bb.19:
	v_mov_b32_e32 v1, 0
	v_lshlrev_b64 v[0:1], 1, v[0:1]
	v_mov_b32_e32 v3, s11
	v_add_co_u32_e32 v0, vcc, s10, v0
	v_addc_co_u32_e32 v1, vcc, v3, v1, vcc
	s_waitcnt vmcnt(0)
	global_store_short v[0:1], v2, off
.LBB517_20:
	s_endpgm
	.section	.rodata,"a",@progbits
	.p2align	6, 0x0
	.amdhsa_kernel _ZN7rocprim17ROCPRIM_400000_NS6detail17trampoline_kernelINS0_14default_configENS1_38merge_sort_block_merge_config_selectorItNS0_10empty_typeEEEZZNS1_27merge_sort_block_merge_implIS3_PtPS5_jNS1_19radix_merge_compareILb0ELb1EtNS0_19identity_decomposerEEEEE10hipError_tT0_T1_T2_jT3_P12ihipStream_tbPNSt15iterator_traitsISE_E10value_typeEPNSK_ISF_E10value_typeEPSG_NS1_7vsmem_tEENKUlT_SE_SF_SG_E_clIS8_S8_S9_S9_EESD_ST_SE_SF_SG_EUlST_E1_NS1_11comp_targetILNS1_3genE4ELNS1_11target_archE910ELNS1_3gpuE8ELNS1_3repE0EEENS1_36merge_oddeven_config_static_selectorELNS0_4arch9wavefront6targetE1EEEvSF_
		.amdhsa_group_segment_fixed_size 0
		.amdhsa_private_segment_fixed_size 0
		.amdhsa_kernarg_size 48
		.amdhsa_user_sgpr_count 6
		.amdhsa_user_sgpr_private_segment_buffer 1
		.amdhsa_user_sgpr_dispatch_ptr 0
		.amdhsa_user_sgpr_queue_ptr 0
		.amdhsa_user_sgpr_kernarg_segment_ptr 1
		.amdhsa_user_sgpr_dispatch_id 0
		.amdhsa_user_sgpr_flat_scratch_init 0
		.amdhsa_user_sgpr_kernarg_preload_length 0
		.amdhsa_user_sgpr_kernarg_preload_offset 0
		.amdhsa_user_sgpr_private_segment_size 0
		.amdhsa_uses_dynamic_stack 0
		.amdhsa_system_sgpr_private_segment_wavefront_offset 0
		.amdhsa_system_sgpr_workgroup_id_x 1
		.amdhsa_system_sgpr_workgroup_id_y 0
		.amdhsa_system_sgpr_workgroup_id_z 0
		.amdhsa_system_sgpr_workgroup_info 0
		.amdhsa_system_vgpr_workitem_id 0
		.amdhsa_next_free_vgpr 9
		.amdhsa_next_free_sgpr 21
		.amdhsa_accum_offset 12
		.amdhsa_reserve_vcc 1
		.amdhsa_reserve_flat_scratch 0
		.amdhsa_float_round_mode_32 0
		.amdhsa_float_round_mode_16_64 0
		.amdhsa_float_denorm_mode_32 3
		.amdhsa_float_denorm_mode_16_64 3
		.amdhsa_dx10_clamp 1
		.amdhsa_ieee_mode 1
		.amdhsa_fp16_overflow 0
		.amdhsa_tg_split 0
		.amdhsa_exception_fp_ieee_invalid_op 0
		.amdhsa_exception_fp_denorm_src 0
		.amdhsa_exception_fp_ieee_div_zero 0
		.amdhsa_exception_fp_ieee_overflow 0
		.amdhsa_exception_fp_ieee_underflow 0
		.amdhsa_exception_fp_ieee_inexact 0
		.amdhsa_exception_int_div_zero 0
	.end_amdhsa_kernel
	.section	.text._ZN7rocprim17ROCPRIM_400000_NS6detail17trampoline_kernelINS0_14default_configENS1_38merge_sort_block_merge_config_selectorItNS0_10empty_typeEEEZZNS1_27merge_sort_block_merge_implIS3_PtPS5_jNS1_19radix_merge_compareILb0ELb1EtNS0_19identity_decomposerEEEEE10hipError_tT0_T1_T2_jT3_P12ihipStream_tbPNSt15iterator_traitsISE_E10value_typeEPNSK_ISF_E10value_typeEPSG_NS1_7vsmem_tEENKUlT_SE_SF_SG_E_clIS8_S8_S9_S9_EESD_ST_SE_SF_SG_EUlST_E1_NS1_11comp_targetILNS1_3genE4ELNS1_11target_archE910ELNS1_3gpuE8ELNS1_3repE0EEENS1_36merge_oddeven_config_static_selectorELNS0_4arch9wavefront6targetE1EEEvSF_,"axG",@progbits,_ZN7rocprim17ROCPRIM_400000_NS6detail17trampoline_kernelINS0_14default_configENS1_38merge_sort_block_merge_config_selectorItNS0_10empty_typeEEEZZNS1_27merge_sort_block_merge_implIS3_PtPS5_jNS1_19radix_merge_compareILb0ELb1EtNS0_19identity_decomposerEEEEE10hipError_tT0_T1_T2_jT3_P12ihipStream_tbPNSt15iterator_traitsISE_E10value_typeEPNSK_ISF_E10value_typeEPSG_NS1_7vsmem_tEENKUlT_SE_SF_SG_E_clIS8_S8_S9_S9_EESD_ST_SE_SF_SG_EUlST_E1_NS1_11comp_targetILNS1_3genE4ELNS1_11target_archE910ELNS1_3gpuE8ELNS1_3repE0EEENS1_36merge_oddeven_config_static_selectorELNS0_4arch9wavefront6targetE1EEEvSF_,comdat
.Lfunc_end517:
	.size	_ZN7rocprim17ROCPRIM_400000_NS6detail17trampoline_kernelINS0_14default_configENS1_38merge_sort_block_merge_config_selectorItNS0_10empty_typeEEEZZNS1_27merge_sort_block_merge_implIS3_PtPS5_jNS1_19radix_merge_compareILb0ELb1EtNS0_19identity_decomposerEEEEE10hipError_tT0_T1_T2_jT3_P12ihipStream_tbPNSt15iterator_traitsISE_E10value_typeEPNSK_ISF_E10value_typeEPSG_NS1_7vsmem_tEENKUlT_SE_SF_SG_E_clIS8_S8_S9_S9_EESD_ST_SE_SF_SG_EUlST_E1_NS1_11comp_targetILNS1_3genE4ELNS1_11target_archE910ELNS1_3gpuE8ELNS1_3repE0EEENS1_36merge_oddeven_config_static_selectorELNS0_4arch9wavefront6targetE1EEEvSF_, .Lfunc_end517-_ZN7rocprim17ROCPRIM_400000_NS6detail17trampoline_kernelINS0_14default_configENS1_38merge_sort_block_merge_config_selectorItNS0_10empty_typeEEEZZNS1_27merge_sort_block_merge_implIS3_PtPS5_jNS1_19radix_merge_compareILb0ELb1EtNS0_19identity_decomposerEEEEE10hipError_tT0_T1_T2_jT3_P12ihipStream_tbPNSt15iterator_traitsISE_E10value_typeEPNSK_ISF_E10value_typeEPSG_NS1_7vsmem_tEENKUlT_SE_SF_SG_E_clIS8_S8_S9_S9_EESD_ST_SE_SF_SG_EUlST_E1_NS1_11comp_targetILNS1_3genE4ELNS1_11target_archE910ELNS1_3gpuE8ELNS1_3repE0EEENS1_36merge_oddeven_config_static_selectorELNS0_4arch9wavefront6targetE1EEEvSF_
                                        ; -- End function
	.section	.AMDGPU.csdata,"",@progbits
; Kernel info:
; codeLenInByte = 580
; NumSgprs: 25
; NumVgprs: 9
; NumAgprs: 0
; TotalNumVgprs: 9
; ScratchSize: 0
; MemoryBound: 0
; FloatMode: 240
; IeeeMode: 1
; LDSByteSize: 0 bytes/workgroup (compile time only)
; SGPRBlocks: 3
; VGPRBlocks: 1
; NumSGPRsForWavesPerEU: 25
; NumVGPRsForWavesPerEU: 9
; AccumOffset: 12
; Occupancy: 8
; WaveLimiterHint : 0
; COMPUTE_PGM_RSRC2:SCRATCH_EN: 0
; COMPUTE_PGM_RSRC2:USER_SGPR: 6
; COMPUTE_PGM_RSRC2:TRAP_HANDLER: 0
; COMPUTE_PGM_RSRC2:TGID_X_EN: 1
; COMPUTE_PGM_RSRC2:TGID_Y_EN: 0
; COMPUTE_PGM_RSRC2:TGID_Z_EN: 0
; COMPUTE_PGM_RSRC2:TIDIG_COMP_CNT: 0
; COMPUTE_PGM_RSRC3_GFX90A:ACCUM_OFFSET: 2
; COMPUTE_PGM_RSRC3_GFX90A:TG_SPLIT: 0
	.section	.text._ZN7rocprim17ROCPRIM_400000_NS6detail17trampoline_kernelINS0_14default_configENS1_38merge_sort_block_merge_config_selectorItNS0_10empty_typeEEEZZNS1_27merge_sort_block_merge_implIS3_PtPS5_jNS1_19radix_merge_compareILb0ELb1EtNS0_19identity_decomposerEEEEE10hipError_tT0_T1_T2_jT3_P12ihipStream_tbPNSt15iterator_traitsISE_E10value_typeEPNSK_ISF_E10value_typeEPSG_NS1_7vsmem_tEENKUlT_SE_SF_SG_E_clIS8_S8_S9_S9_EESD_ST_SE_SF_SG_EUlST_E1_NS1_11comp_targetILNS1_3genE3ELNS1_11target_archE908ELNS1_3gpuE7ELNS1_3repE0EEENS1_36merge_oddeven_config_static_selectorELNS0_4arch9wavefront6targetE1EEEvSF_,"axG",@progbits,_ZN7rocprim17ROCPRIM_400000_NS6detail17trampoline_kernelINS0_14default_configENS1_38merge_sort_block_merge_config_selectorItNS0_10empty_typeEEEZZNS1_27merge_sort_block_merge_implIS3_PtPS5_jNS1_19radix_merge_compareILb0ELb1EtNS0_19identity_decomposerEEEEE10hipError_tT0_T1_T2_jT3_P12ihipStream_tbPNSt15iterator_traitsISE_E10value_typeEPNSK_ISF_E10value_typeEPSG_NS1_7vsmem_tEENKUlT_SE_SF_SG_E_clIS8_S8_S9_S9_EESD_ST_SE_SF_SG_EUlST_E1_NS1_11comp_targetILNS1_3genE3ELNS1_11target_archE908ELNS1_3gpuE7ELNS1_3repE0EEENS1_36merge_oddeven_config_static_selectorELNS0_4arch9wavefront6targetE1EEEvSF_,comdat
	.protected	_ZN7rocprim17ROCPRIM_400000_NS6detail17trampoline_kernelINS0_14default_configENS1_38merge_sort_block_merge_config_selectorItNS0_10empty_typeEEEZZNS1_27merge_sort_block_merge_implIS3_PtPS5_jNS1_19radix_merge_compareILb0ELb1EtNS0_19identity_decomposerEEEEE10hipError_tT0_T1_T2_jT3_P12ihipStream_tbPNSt15iterator_traitsISE_E10value_typeEPNSK_ISF_E10value_typeEPSG_NS1_7vsmem_tEENKUlT_SE_SF_SG_E_clIS8_S8_S9_S9_EESD_ST_SE_SF_SG_EUlST_E1_NS1_11comp_targetILNS1_3genE3ELNS1_11target_archE908ELNS1_3gpuE7ELNS1_3repE0EEENS1_36merge_oddeven_config_static_selectorELNS0_4arch9wavefront6targetE1EEEvSF_ ; -- Begin function _ZN7rocprim17ROCPRIM_400000_NS6detail17trampoline_kernelINS0_14default_configENS1_38merge_sort_block_merge_config_selectorItNS0_10empty_typeEEEZZNS1_27merge_sort_block_merge_implIS3_PtPS5_jNS1_19radix_merge_compareILb0ELb1EtNS0_19identity_decomposerEEEEE10hipError_tT0_T1_T2_jT3_P12ihipStream_tbPNSt15iterator_traitsISE_E10value_typeEPNSK_ISF_E10value_typeEPSG_NS1_7vsmem_tEENKUlT_SE_SF_SG_E_clIS8_S8_S9_S9_EESD_ST_SE_SF_SG_EUlST_E1_NS1_11comp_targetILNS1_3genE3ELNS1_11target_archE908ELNS1_3gpuE7ELNS1_3repE0EEENS1_36merge_oddeven_config_static_selectorELNS0_4arch9wavefront6targetE1EEEvSF_
	.globl	_ZN7rocprim17ROCPRIM_400000_NS6detail17trampoline_kernelINS0_14default_configENS1_38merge_sort_block_merge_config_selectorItNS0_10empty_typeEEEZZNS1_27merge_sort_block_merge_implIS3_PtPS5_jNS1_19radix_merge_compareILb0ELb1EtNS0_19identity_decomposerEEEEE10hipError_tT0_T1_T2_jT3_P12ihipStream_tbPNSt15iterator_traitsISE_E10value_typeEPNSK_ISF_E10value_typeEPSG_NS1_7vsmem_tEENKUlT_SE_SF_SG_E_clIS8_S8_S9_S9_EESD_ST_SE_SF_SG_EUlST_E1_NS1_11comp_targetILNS1_3genE3ELNS1_11target_archE908ELNS1_3gpuE7ELNS1_3repE0EEENS1_36merge_oddeven_config_static_selectorELNS0_4arch9wavefront6targetE1EEEvSF_
	.p2align	8
	.type	_ZN7rocprim17ROCPRIM_400000_NS6detail17trampoline_kernelINS0_14default_configENS1_38merge_sort_block_merge_config_selectorItNS0_10empty_typeEEEZZNS1_27merge_sort_block_merge_implIS3_PtPS5_jNS1_19radix_merge_compareILb0ELb1EtNS0_19identity_decomposerEEEEE10hipError_tT0_T1_T2_jT3_P12ihipStream_tbPNSt15iterator_traitsISE_E10value_typeEPNSK_ISF_E10value_typeEPSG_NS1_7vsmem_tEENKUlT_SE_SF_SG_E_clIS8_S8_S9_S9_EESD_ST_SE_SF_SG_EUlST_E1_NS1_11comp_targetILNS1_3genE3ELNS1_11target_archE908ELNS1_3gpuE7ELNS1_3repE0EEENS1_36merge_oddeven_config_static_selectorELNS0_4arch9wavefront6targetE1EEEvSF_,@function
_ZN7rocprim17ROCPRIM_400000_NS6detail17trampoline_kernelINS0_14default_configENS1_38merge_sort_block_merge_config_selectorItNS0_10empty_typeEEEZZNS1_27merge_sort_block_merge_implIS3_PtPS5_jNS1_19radix_merge_compareILb0ELb1EtNS0_19identity_decomposerEEEEE10hipError_tT0_T1_T2_jT3_P12ihipStream_tbPNSt15iterator_traitsISE_E10value_typeEPNSK_ISF_E10value_typeEPSG_NS1_7vsmem_tEENKUlT_SE_SF_SG_E_clIS8_S8_S9_S9_EESD_ST_SE_SF_SG_EUlST_E1_NS1_11comp_targetILNS1_3genE3ELNS1_11target_archE908ELNS1_3gpuE7ELNS1_3repE0EEENS1_36merge_oddeven_config_static_selectorELNS0_4arch9wavefront6targetE1EEEvSF_: ; @_ZN7rocprim17ROCPRIM_400000_NS6detail17trampoline_kernelINS0_14default_configENS1_38merge_sort_block_merge_config_selectorItNS0_10empty_typeEEEZZNS1_27merge_sort_block_merge_implIS3_PtPS5_jNS1_19radix_merge_compareILb0ELb1EtNS0_19identity_decomposerEEEEE10hipError_tT0_T1_T2_jT3_P12ihipStream_tbPNSt15iterator_traitsISE_E10value_typeEPNSK_ISF_E10value_typeEPSG_NS1_7vsmem_tEENKUlT_SE_SF_SG_E_clIS8_S8_S9_S9_EESD_ST_SE_SF_SG_EUlST_E1_NS1_11comp_targetILNS1_3genE3ELNS1_11target_archE908ELNS1_3gpuE7ELNS1_3repE0EEENS1_36merge_oddeven_config_static_selectorELNS0_4arch9wavefront6targetE1EEEvSF_
; %bb.0:
	.section	.rodata,"a",@progbits
	.p2align	6, 0x0
	.amdhsa_kernel _ZN7rocprim17ROCPRIM_400000_NS6detail17trampoline_kernelINS0_14default_configENS1_38merge_sort_block_merge_config_selectorItNS0_10empty_typeEEEZZNS1_27merge_sort_block_merge_implIS3_PtPS5_jNS1_19radix_merge_compareILb0ELb1EtNS0_19identity_decomposerEEEEE10hipError_tT0_T1_T2_jT3_P12ihipStream_tbPNSt15iterator_traitsISE_E10value_typeEPNSK_ISF_E10value_typeEPSG_NS1_7vsmem_tEENKUlT_SE_SF_SG_E_clIS8_S8_S9_S9_EESD_ST_SE_SF_SG_EUlST_E1_NS1_11comp_targetILNS1_3genE3ELNS1_11target_archE908ELNS1_3gpuE7ELNS1_3repE0EEENS1_36merge_oddeven_config_static_selectorELNS0_4arch9wavefront6targetE1EEEvSF_
		.amdhsa_group_segment_fixed_size 0
		.amdhsa_private_segment_fixed_size 0
		.amdhsa_kernarg_size 48
		.amdhsa_user_sgpr_count 6
		.amdhsa_user_sgpr_private_segment_buffer 1
		.amdhsa_user_sgpr_dispatch_ptr 0
		.amdhsa_user_sgpr_queue_ptr 0
		.amdhsa_user_sgpr_kernarg_segment_ptr 1
		.amdhsa_user_sgpr_dispatch_id 0
		.amdhsa_user_sgpr_flat_scratch_init 0
		.amdhsa_user_sgpr_kernarg_preload_length 0
		.amdhsa_user_sgpr_kernarg_preload_offset 0
		.amdhsa_user_sgpr_private_segment_size 0
		.amdhsa_uses_dynamic_stack 0
		.amdhsa_system_sgpr_private_segment_wavefront_offset 0
		.amdhsa_system_sgpr_workgroup_id_x 1
		.amdhsa_system_sgpr_workgroup_id_y 0
		.amdhsa_system_sgpr_workgroup_id_z 0
		.amdhsa_system_sgpr_workgroup_info 0
		.amdhsa_system_vgpr_workitem_id 0
		.amdhsa_next_free_vgpr 1
		.amdhsa_next_free_sgpr 0
		.amdhsa_accum_offset 4
		.amdhsa_reserve_vcc 0
		.amdhsa_reserve_flat_scratch 0
		.amdhsa_float_round_mode_32 0
		.amdhsa_float_round_mode_16_64 0
		.amdhsa_float_denorm_mode_32 3
		.amdhsa_float_denorm_mode_16_64 3
		.amdhsa_dx10_clamp 1
		.amdhsa_ieee_mode 1
		.amdhsa_fp16_overflow 0
		.amdhsa_tg_split 0
		.amdhsa_exception_fp_ieee_invalid_op 0
		.amdhsa_exception_fp_denorm_src 0
		.amdhsa_exception_fp_ieee_div_zero 0
		.amdhsa_exception_fp_ieee_overflow 0
		.amdhsa_exception_fp_ieee_underflow 0
		.amdhsa_exception_fp_ieee_inexact 0
		.amdhsa_exception_int_div_zero 0
	.end_amdhsa_kernel
	.section	.text._ZN7rocprim17ROCPRIM_400000_NS6detail17trampoline_kernelINS0_14default_configENS1_38merge_sort_block_merge_config_selectorItNS0_10empty_typeEEEZZNS1_27merge_sort_block_merge_implIS3_PtPS5_jNS1_19radix_merge_compareILb0ELb1EtNS0_19identity_decomposerEEEEE10hipError_tT0_T1_T2_jT3_P12ihipStream_tbPNSt15iterator_traitsISE_E10value_typeEPNSK_ISF_E10value_typeEPSG_NS1_7vsmem_tEENKUlT_SE_SF_SG_E_clIS8_S8_S9_S9_EESD_ST_SE_SF_SG_EUlST_E1_NS1_11comp_targetILNS1_3genE3ELNS1_11target_archE908ELNS1_3gpuE7ELNS1_3repE0EEENS1_36merge_oddeven_config_static_selectorELNS0_4arch9wavefront6targetE1EEEvSF_,"axG",@progbits,_ZN7rocprim17ROCPRIM_400000_NS6detail17trampoline_kernelINS0_14default_configENS1_38merge_sort_block_merge_config_selectorItNS0_10empty_typeEEEZZNS1_27merge_sort_block_merge_implIS3_PtPS5_jNS1_19radix_merge_compareILb0ELb1EtNS0_19identity_decomposerEEEEE10hipError_tT0_T1_T2_jT3_P12ihipStream_tbPNSt15iterator_traitsISE_E10value_typeEPNSK_ISF_E10value_typeEPSG_NS1_7vsmem_tEENKUlT_SE_SF_SG_E_clIS8_S8_S9_S9_EESD_ST_SE_SF_SG_EUlST_E1_NS1_11comp_targetILNS1_3genE3ELNS1_11target_archE908ELNS1_3gpuE7ELNS1_3repE0EEENS1_36merge_oddeven_config_static_selectorELNS0_4arch9wavefront6targetE1EEEvSF_,comdat
.Lfunc_end518:
	.size	_ZN7rocprim17ROCPRIM_400000_NS6detail17trampoline_kernelINS0_14default_configENS1_38merge_sort_block_merge_config_selectorItNS0_10empty_typeEEEZZNS1_27merge_sort_block_merge_implIS3_PtPS5_jNS1_19radix_merge_compareILb0ELb1EtNS0_19identity_decomposerEEEEE10hipError_tT0_T1_T2_jT3_P12ihipStream_tbPNSt15iterator_traitsISE_E10value_typeEPNSK_ISF_E10value_typeEPSG_NS1_7vsmem_tEENKUlT_SE_SF_SG_E_clIS8_S8_S9_S9_EESD_ST_SE_SF_SG_EUlST_E1_NS1_11comp_targetILNS1_3genE3ELNS1_11target_archE908ELNS1_3gpuE7ELNS1_3repE0EEENS1_36merge_oddeven_config_static_selectorELNS0_4arch9wavefront6targetE1EEEvSF_, .Lfunc_end518-_ZN7rocprim17ROCPRIM_400000_NS6detail17trampoline_kernelINS0_14default_configENS1_38merge_sort_block_merge_config_selectorItNS0_10empty_typeEEEZZNS1_27merge_sort_block_merge_implIS3_PtPS5_jNS1_19radix_merge_compareILb0ELb1EtNS0_19identity_decomposerEEEEE10hipError_tT0_T1_T2_jT3_P12ihipStream_tbPNSt15iterator_traitsISE_E10value_typeEPNSK_ISF_E10value_typeEPSG_NS1_7vsmem_tEENKUlT_SE_SF_SG_E_clIS8_S8_S9_S9_EESD_ST_SE_SF_SG_EUlST_E1_NS1_11comp_targetILNS1_3genE3ELNS1_11target_archE908ELNS1_3gpuE7ELNS1_3repE0EEENS1_36merge_oddeven_config_static_selectorELNS0_4arch9wavefront6targetE1EEEvSF_
                                        ; -- End function
	.section	.AMDGPU.csdata,"",@progbits
; Kernel info:
; codeLenInByte = 0
; NumSgprs: 4
; NumVgprs: 0
; NumAgprs: 0
; TotalNumVgprs: 0
; ScratchSize: 0
; MemoryBound: 0
; FloatMode: 240
; IeeeMode: 1
; LDSByteSize: 0 bytes/workgroup (compile time only)
; SGPRBlocks: 0
; VGPRBlocks: 0
; NumSGPRsForWavesPerEU: 4
; NumVGPRsForWavesPerEU: 1
; AccumOffset: 4
; Occupancy: 8
; WaveLimiterHint : 0
; COMPUTE_PGM_RSRC2:SCRATCH_EN: 0
; COMPUTE_PGM_RSRC2:USER_SGPR: 6
; COMPUTE_PGM_RSRC2:TRAP_HANDLER: 0
; COMPUTE_PGM_RSRC2:TGID_X_EN: 1
; COMPUTE_PGM_RSRC2:TGID_Y_EN: 0
; COMPUTE_PGM_RSRC2:TGID_Z_EN: 0
; COMPUTE_PGM_RSRC2:TIDIG_COMP_CNT: 0
; COMPUTE_PGM_RSRC3_GFX90A:ACCUM_OFFSET: 0
; COMPUTE_PGM_RSRC3_GFX90A:TG_SPLIT: 0
	.section	.text._ZN7rocprim17ROCPRIM_400000_NS6detail17trampoline_kernelINS0_14default_configENS1_38merge_sort_block_merge_config_selectorItNS0_10empty_typeEEEZZNS1_27merge_sort_block_merge_implIS3_PtPS5_jNS1_19radix_merge_compareILb0ELb1EtNS0_19identity_decomposerEEEEE10hipError_tT0_T1_T2_jT3_P12ihipStream_tbPNSt15iterator_traitsISE_E10value_typeEPNSK_ISF_E10value_typeEPSG_NS1_7vsmem_tEENKUlT_SE_SF_SG_E_clIS8_S8_S9_S9_EESD_ST_SE_SF_SG_EUlST_E1_NS1_11comp_targetILNS1_3genE2ELNS1_11target_archE906ELNS1_3gpuE6ELNS1_3repE0EEENS1_36merge_oddeven_config_static_selectorELNS0_4arch9wavefront6targetE1EEEvSF_,"axG",@progbits,_ZN7rocprim17ROCPRIM_400000_NS6detail17trampoline_kernelINS0_14default_configENS1_38merge_sort_block_merge_config_selectorItNS0_10empty_typeEEEZZNS1_27merge_sort_block_merge_implIS3_PtPS5_jNS1_19radix_merge_compareILb0ELb1EtNS0_19identity_decomposerEEEEE10hipError_tT0_T1_T2_jT3_P12ihipStream_tbPNSt15iterator_traitsISE_E10value_typeEPNSK_ISF_E10value_typeEPSG_NS1_7vsmem_tEENKUlT_SE_SF_SG_E_clIS8_S8_S9_S9_EESD_ST_SE_SF_SG_EUlST_E1_NS1_11comp_targetILNS1_3genE2ELNS1_11target_archE906ELNS1_3gpuE6ELNS1_3repE0EEENS1_36merge_oddeven_config_static_selectorELNS0_4arch9wavefront6targetE1EEEvSF_,comdat
	.protected	_ZN7rocprim17ROCPRIM_400000_NS6detail17trampoline_kernelINS0_14default_configENS1_38merge_sort_block_merge_config_selectorItNS0_10empty_typeEEEZZNS1_27merge_sort_block_merge_implIS3_PtPS5_jNS1_19radix_merge_compareILb0ELb1EtNS0_19identity_decomposerEEEEE10hipError_tT0_T1_T2_jT3_P12ihipStream_tbPNSt15iterator_traitsISE_E10value_typeEPNSK_ISF_E10value_typeEPSG_NS1_7vsmem_tEENKUlT_SE_SF_SG_E_clIS8_S8_S9_S9_EESD_ST_SE_SF_SG_EUlST_E1_NS1_11comp_targetILNS1_3genE2ELNS1_11target_archE906ELNS1_3gpuE6ELNS1_3repE0EEENS1_36merge_oddeven_config_static_selectorELNS0_4arch9wavefront6targetE1EEEvSF_ ; -- Begin function _ZN7rocprim17ROCPRIM_400000_NS6detail17trampoline_kernelINS0_14default_configENS1_38merge_sort_block_merge_config_selectorItNS0_10empty_typeEEEZZNS1_27merge_sort_block_merge_implIS3_PtPS5_jNS1_19radix_merge_compareILb0ELb1EtNS0_19identity_decomposerEEEEE10hipError_tT0_T1_T2_jT3_P12ihipStream_tbPNSt15iterator_traitsISE_E10value_typeEPNSK_ISF_E10value_typeEPSG_NS1_7vsmem_tEENKUlT_SE_SF_SG_E_clIS8_S8_S9_S9_EESD_ST_SE_SF_SG_EUlST_E1_NS1_11comp_targetILNS1_3genE2ELNS1_11target_archE906ELNS1_3gpuE6ELNS1_3repE0EEENS1_36merge_oddeven_config_static_selectorELNS0_4arch9wavefront6targetE1EEEvSF_
	.globl	_ZN7rocprim17ROCPRIM_400000_NS6detail17trampoline_kernelINS0_14default_configENS1_38merge_sort_block_merge_config_selectorItNS0_10empty_typeEEEZZNS1_27merge_sort_block_merge_implIS3_PtPS5_jNS1_19radix_merge_compareILb0ELb1EtNS0_19identity_decomposerEEEEE10hipError_tT0_T1_T2_jT3_P12ihipStream_tbPNSt15iterator_traitsISE_E10value_typeEPNSK_ISF_E10value_typeEPSG_NS1_7vsmem_tEENKUlT_SE_SF_SG_E_clIS8_S8_S9_S9_EESD_ST_SE_SF_SG_EUlST_E1_NS1_11comp_targetILNS1_3genE2ELNS1_11target_archE906ELNS1_3gpuE6ELNS1_3repE0EEENS1_36merge_oddeven_config_static_selectorELNS0_4arch9wavefront6targetE1EEEvSF_
	.p2align	8
	.type	_ZN7rocprim17ROCPRIM_400000_NS6detail17trampoline_kernelINS0_14default_configENS1_38merge_sort_block_merge_config_selectorItNS0_10empty_typeEEEZZNS1_27merge_sort_block_merge_implIS3_PtPS5_jNS1_19radix_merge_compareILb0ELb1EtNS0_19identity_decomposerEEEEE10hipError_tT0_T1_T2_jT3_P12ihipStream_tbPNSt15iterator_traitsISE_E10value_typeEPNSK_ISF_E10value_typeEPSG_NS1_7vsmem_tEENKUlT_SE_SF_SG_E_clIS8_S8_S9_S9_EESD_ST_SE_SF_SG_EUlST_E1_NS1_11comp_targetILNS1_3genE2ELNS1_11target_archE906ELNS1_3gpuE6ELNS1_3repE0EEENS1_36merge_oddeven_config_static_selectorELNS0_4arch9wavefront6targetE1EEEvSF_,@function
_ZN7rocprim17ROCPRIM_400000_NS6detail17trampoline_kernelINS0_14default_configENS1_38merge_sort_block_merge_config_selectorItNS0_10empty_typeEEEZZNS1_27merge_sort_block_merge_implIS3_PtPS5_jNS1_19radix_merge_compareILb0ELb1EtNS0_19identity_decomposerEEEEE10hipError_tT0_T1_T2_jT3_P12ihipStream_tbPNSt15iterator_traitsISE_E10value_typeEPNSK_ISF_E10value_typeEPSG_NS1_7vsmem_tEENKUlT_SE_SF_SG_E_clIS8_S8_S9_S9_EESD_ST_SE_SF_SG_EUlST_E1_NS1_11comp_targetILNS1_3genE2ELNS1_11target_archE906ELNS1_3gpuE6ELNS1_3repE0EEENS1_36merge_oddeven_config_static_selectorELNS0_4arch9wavefront6targetE1EEEvSF_: ; @_ZN7rocprim17ROCPRIM_400000_NS6detail17trampoline_kernelINS0_14default_configENS1_38merge_sort_block_merge_config_selectorItNS0_10empty_typeEEEZZNS1_27merge_sort_block_merge_implIS3_PtPS5_jNS1_19radix_merge_compareILb0ELb1EtNS0_19identity_decomposerEEEEE10hipError_tT0_T1_T2_jT3_P12ihipStream_tbPNSt15iterator_traitsISE_E10value_typeEPNSK_ISF_E10value_typeEPSG_NS1_7vsmem_tEENKUlT_SE_SF_SG_E_clIS8_S8_S9_S9_EESD_ST_SE_SF_SG_EUlST_E1_NS1_11comp_targetILNS1_3genE2ELNS1_11target_archE906ELNS1_3gpuE6ELNS1_3repE0EEENS1_36merge_oddeven_config_static_selectorELNS0_4arch9wavefront6targetE1EEEvSF_
; %bb.0:
	.section	.rodata,"a",@progbits
	.p2align	6, 0x0
	.amdhsa_kernel _ZN7rocprim17ROCPRIM_400000_NS6detail17trampoline_kernelINS0_14default_configENS1_38merge_sort_block_merge_config_selectorItNS0_10empty_typeEEEZZNS1_27merge_sort_block_merge_implIS3_PtPS5_jNS1_19radix_merge_compareILb0ELb1EtNS0_19identity_decomposerEEEEE10hipError_tT0_T1_T2_jT3_P12ihipStream_tbPNSt15iterator_traitsISE_E10value_typeEPNSK_ISF_E10value_typeEPSG_NS1_7vsmem_tEENKUlT_SE_SF_SG_E_clIS8_S8_S9_S9_EESD_ST_SE_SF_SG_EUlST_E1_NS1_11comp_targetILNS1_3genE2ELNS1_11target_archE906ELNS1_3gpuE6ELNS1_3repE0EEENS1_36merge_oddeven_config_static_selectorELNS0_4arch9wavefront6targetE1EEEvSF_
		.amdhsa_group_segment_fixed_size 0
		.amdhsa_private_segment_fixed_size 0
		.amdhsa_kernarg_size 48
		.amdhsa_user_sgpr_count 6
		.amdhsa_user_sgpr_private_segment_buffer 1
		.amdhsa_user_sgpr_dispatch_ptr 0
		.amdhsa_user_sgpr_queue_ptr 0
		.amdhsa_user_sgpr_kernarg_segment_ptr 1
		.amdhsa_user_sgpr_dispatch_id 0
		.amdhsa_user_sgpr_flat_scratch_init 0
		.amdhsa_user_sgpr_kernarg_preload_length 0
		.amdhsa_user_sgpr_kernarg_preload_offset 0
		.amdhsa_user_sgpr_private_segment_size 0
		.amdhsa_uses_dynamic_stack 0
		.amdhsa_system_sgpr_private_segment_wavefront_offset 0
		.amdhsa_system_sgpr_workgroup_id_x 1
		.amdhsa_system_sgpr_workgroup_id_y 0
		.amdhsa_system_sgpr_workgroup_id_z 0
		.amdhsa_system_sgpr_workgroup_info 0
		.amdhsa_system_vgpr_workitem_id 0
		.amdhsa_next_free_vgpr 1
		.amdhsa_next_free_sgpr 0
		.amdhsa_accum_offset 4
		.amdhsa_reserve_vcc 0
		.amdhsa_reserve_flat_scratch 0
		.amdhsa_float_round_mode_32 0
		.amdhsa_float_round_mode_16_64 0
		.amdhsa_float_denorm_mode_32 3
		.amdhsa_float_denorm_mode_16_64 3
		.amdhsa_dx10_clamp 1
		.amdhsa_ieee_mode 1
		.amdhsa_fp16_overflow 0
		.amdhsa_tg_split 0
		.amdhsa_exception_fp_ieee_invalid_op 0
		.amdhsa_exception_fp_denorm_src 0
		.amdhsa_exception_fp_ieee_div_zero 0
		.amdhsa_exception_fp_ieee_overflow 0
		.amdhsa_exception_fp_ieee_underflow 0
		.amdhsa_exception_fp_ieee_inexact 0
		.amdhsa_exception_int_div_zero 0
	.end_amdhsa_kernel
	.section	.text._ZN7rocprim17ROCPRIM_400000_NS6detail17trampoline_kernelINS0_14default_configENS1_38merge_sort_block_merge_config_selectorItNS0_10empty_typeEEEZZNS1_27merge_sort_block_merge_implIS3_PtPS5_jNS1_19radix_merge_compareILb0ELb1EtNS0_19identity_decomposerEEEEE10hipError_tT0_T1_T2_jT3_P12ihipStream_tbPNSt15iterator_traitsISE_E10value_typeEPNSK_ISF_E10value_typeEPSG_NS1_7vsmem_tEENKUlT_SE_SF_SG_E_clIS8_S8_S9_S9_EESD_ST_SE_SF_SG_EUlST_E1_NS1_11comp_targetILNS1_3genE2ELNS1_11target_archE906ELNS1_3gpuE6ELNS1_3repE0EEENS1_36merge_oddeven_config_static_selectorELNS0_4arch9wavefront6targetE1EEEvSF_,"axG",@progbits,_ZN7rocprim17ROCPRIM_400000_NS6detail17trampoline_kernelINS0_14default_configENS1_38merge_sort_block_merge_config_selectorItNS0_10empty_typeEEEZZNS1_27merge_sort_block_merge_implIS3_PtPS5_jNS1_19radix_merge_compareILb0ELb1EtNS0_19identity_decomposerEEEEE10hipError_tT0_T1_T2_jT3_P12ihipStream_tbPNSt15iterator_traitsISE_E10value_typeEPNSK_ISF_E10value_typeEPSG_NS1_7vsmem_tEENKUlT_SE_SF_SG_E_clIS8_S8_S9_S9_EESD_ST_SE_SF_SG_EUlST_E1_NS1_11comp_targetILNS1_3genE2ELNS1_11target_archE906ELNS1_3gpuE6ELNS1_3repE0EEENS1_36merge_oddeven_config_static_selectorELNS0_4arch9wavefront6targetE1EEEvSF_,comdat
.Lfunc_end519:
	.size	_ZN7rocprim17ROCPRIM_400000_NS6detail17trampoline_kernelINS0_14default_configENS1_38merge_sort_block_merge_config_selectorItNS0_10empty_typeEEEZZNS1_27merge_sort_block_merge_implIS3_PtPS5_jNS1_19radix_merge_compareILb0ELb1EtNS0_19identity_decomposerEEEEE10hipError_tT0_T1_T2_jT3_P12ihipStream_tbPNSt15iterator_traitsISE_E10value_typeEPNSK_ISF_E10value_typeEPSG_NS1_7vsmem_tEENKUlT_SE_SF_SG_E_clIS8_S8_S9_S9_EESD_ST_SE_SF_SG_EUlST_E1_NS1_11comp_targetILNS1_3genE2ELNS1_11target_archE906ELNS1_3gpuE6ELNS1_3repE0EEENS1_36merge_oddeven_config_static_selectorELNS0_4arch9wavefront6targetE1EEEvSF_, .Lfunc_end519-_ZN7rocprim17ROCPRIM_400000_NS6detail17trampoline_kernelINS0_14default_configENS1_38merge_sort_block_merge_config_selectorItNS0_10empty_typeEEEZZNS1_27merge_sort_block_merge_implIS3_PtPS5_jNS1_19radix_merge_compareILb0ELb1EtNS0_19identity_decomposerEEEEE10hipError_tT0_T1_T2_jT3_P12ihipStream_tbPNSt15iterator_traitsISE_E10value_typeEPNSK_ISF_E10value_typeEPSG_NS1_7vsmem_tEENKUlT_SE_SF_SG_E_clIS8_S8_S9_S9_EESD_ST_SE_SF_SG_EUlST_E1_NS1_11comp_targetILNS1_3genE2ELNS1_11target_archE906ELNS1_3gpuE6ELNS1_3repE0EEENS1_36merge_oddeven_config_static_selectorELNS0_4arch9wavefront6targetE1EEEvSF_
                                        ; -- End function
	.section	.AMDGPU.csdata,"",@progbits
; Kernel info:
; codeLenInByte = 0
; NumSgprs: 4
; NumVgprs: 0
; NumAgprs: 0
; TotalNumVgprs: 0
; ScratchSize: 0
; MemoryBound: 0
; FloatMode: 240
; IeeeMode: 1
; LDSByteSize: 0 bytes/workgroup (compile time only)
; SGPRBlocks: 0
; VGPRBlocks: 0
; NumSGPRsForWavesPerEU: 4
; NumVGPRsForWavesPerEU: 1
; AccumOffset: 4
; Occupancy: 8
; WaveLimiterHint : 0
; COMPUTE_PGM_RSRC2:SCRATCH_EN: 0
; COMPUTE_PGM_RSRC2:USER_SGPR: 6
; COMPUTE_PGM_RSRC2:TRAP_HANDLER: 0
; COMPUTE_PGM_RSRC2:TGID_X_EN: 1
; COMPUTE_PGM_RSRC2:TGID_Y_EN: 0
; COMPUTE_PGM_RSRC2:TGID_Z_EN: 0
; COMPUTE_PGM_RSRC2:TIDIG_COMP_CNT: 0
; COMPUTE_PGM_RSRC3_GFX90A:ACCUM_OFFSET: 0
; COMPUTE_PGM_RSRC3_GFX90A:TG_SPLIT: 0
	.section	.text._ZN7rocprim17ROCPRIM_400000_NS6detail17trampoline_kernelINS0_14default_configENS1_38merge_sort_block_merge_config_selectorItNS0_10empty_typeEEEZZNS1_27merge_sort_block_merge_implIS3_PtPS5_jNS1_19radix_merge_compareILb0ELb1EtNS0_19identity_decomposerEEEEE10hipError_tT0_T1_T2_jT3_P12ihipStream_tbPNSt15iterator_traitsISE_E10value_typeEPNSK_ISF_E10value_typeEPSG_NS1_7vsmem_tEENKUlT_SE_SF_SG_E_clIS8_S8_S9_S9_EESD_ST_SE_SF_SG_EUlST_E1_NS1_11comp_targetILNS1_3genE9ELNS1_11target_archE1100ELNS1_3gpuE3ELNS1_3repE0EEENS1_36merge_oddeven_config_static_selectorELNS0_4arch9wavefront6targetE1EEEvSF_,"axG",@progbits,_ZN7rocprim17ROCPRIM_400000_NS6detail17trampoline_kernelINS0_14default_configENS1_38merge_sort_block_merge_config_selectorItNS0_10empty_typeEEEZZNS1_27merge_sort_block_merge_implIS3_PtPS5_jNS1_19radix_merge_compareILb0ELb1EtNS0_19identity_decomposerEEEEE10hipError_tT0_T1_T2_jT3_P12ihipStream_tbPNSt15iterator_traitsISE_E10value_typeEPNSK_ISF_E10value_typeEPSG_NS1_7vsmem_tEENKUlT_SE_SF_SG_E_clIS8_S8_S9_S9_EESD_ST_SE_SF_SG_EUlST_E1_NS1_11comp_targetILNS1_3genE9ELNS1_11target_archE1100ELNS1_3gpuE3ELNS1_3repE0EEENS1_36merge_oddeven_config_static_selectorELNS0_4arch9wavefront6targetE1EEEvSF_,comdat
	.protected	_ZN7rocprim17ROCPRIM_400000_NS6detail17trampoline_kernelINS0_14default_configENS1_38merge_sort_block_merge_config_selectorItNS0_10empty_typeEEEZZNS1_27merge_sort_block_merge_implIS3_PtPS5_jNS1_19radix_merge_compareILb0ELb1EtNS0_19identity_decomposerEEEEE10hipError_tT0_T1_T2_jT3_P12ihipStream_tbPNSt15iterator_traitsISE_E10value_typeEPNSK_ISF_E10value_typeEPSG_NS1_7vsmem_tEENKUlT_SE_SF_SG_E_clIS8_S8_S9_S9_EESD_ST_SE_SF_SG_EUlST_E1_NS1_11comp_targetILNS1_3genE9ELNS1_11target_archE1100ELNS1_3gpuE3ELNS1_3repE0EEENS1_36merge_oddeven_config_static_selectorELNS0_4arch9wavefront6targetE1EEEvSF_ ; -- Begin function _ZN7rocprim17ROCPRIM_400000_NS6detail17trampoline_kernelINS0_14default_configENS1_38merge_sort_block_merge_config_selectorItNS0_10empty_typeEEEZZNS1_27merge_sort_block_merge_implIS3_PtPS5_jNS1_19radix_merge_compareILb0ELb1EtNS0_19identity_decomposerEEEEE10hipError_tT0_T1_T2_jT3_P12ihipStream_tbPNSt15iterator_traitsISE_E10value_typeEPNSK_ISF_E10value_typeEPSG_NS1_7vsmem_tEENKUlT_SE_SF_SG_E_clIS8_S8_S9_S9_EESD_ST_SE_SF_SG_EUlST_E1_NS1_11comp_targetILNS1_3genE9ELNS1_11target_archE1100ELNS1_3gpuE3ELNS1_3repE0EEENS1_36merge_oddeven_config_static_selectorELNS0_4arch9wavefront6targetE1EEEvSF_
	.globl	_ZN7rocprim17ROCPRIM_400000_NS6detail17trampoline_kernelINS0_14default_configENS1_38merge_sort_block_merge_config_selectorItNS0_10empty_typeEEEZZNS1_27merge_sort_block_merge_implIS3_PtPS5_jNS1_19radix_merge_compareILb0ELb1EtNS0_19identity_decomposerEEEEE10hipError_tT0_T1_T2_jT3_P12ihipStream_tbPNSt15iterator_traitsISE_E10value_typeEPNSK_ISF_E10value_typeEPSG_NS1_7vsmem_tEENKUlT_SE_SF_SG_E_clIS8_S8_S9_S9_EESD_ST_SE_SF_SG_EUlST_E1_NS1_11comp_targetILNS1_3genE9ELNS1_11target_archE1100ELNS1_3gpuE3ELNS1_3repE0EEENS1_36merge_oddeven_config_static_selectorELNS0_4arch9wavefront6targetE1EEEvSF_
	.p2align	8
	.type	_ZN7rocprim17ROCPRIM_400000_NS6detail17trampoline_kernelINS0_14default_configENS1_38merge_sort_block_merge_config_selectorItNS0_10empty_typeEEEZZNS1_27merge_sort_block_merge_implIS3_PtPS5_jNS1_19radix_merge_compareILb0ELb1EtNS0_19identity_decomposerEEEEE10hipError_tT0_T1_T2_jT3_P12ihipStream_tbPNSt15iterator_traitsISE_E10value_typeEPNSK_ISF_E10value_typeEPSG_NS1_7vsmem_tEENKUlT_SE_SF_SG_E_clIS8_S8_S9_S9_EESD_ST_SE_SF_SG_EUlST_E1_NS1_11comp_targetILNS1_3genE9ELNS1_11target_archE1100ELNS1_3gpuE3ELNS1_3repE0EEENS1_36merge_oddeven_config_static_selectorELNS0_4arch9wavefront6targetE1EEEvSF_,@function
_ZN7rocprim17ROCPRIM_400000_NS6detail17trampoline_kernelINS0_14default_configENS1_38merge_sort_block_merge_config_selectorItNS0_10empty_typeEEEZZNS1_27merge_sort_block_merge_implIS3_PtPS5_jNS1_19radix_merge_compareILb0ELb1EtNS0_19identity_decomposerEEEEE10hipError_tT0_T1_T2_jT3_P12ihipStream_tbPNSt15iterator_traitsISE_E10value_typeEPNSK_ISF_E10value_typeEPSG_NS1_7vsmem_tEENKUlT_SE_SF_SG_E_clIS8_S8_S9_S9_EESD_ST_SE_SF_SG_EUlST_E1_NS1_11comp_targetILNS1_3genE9ELNS1_11target_archE1100ELNS1_3gpuE3ELNS1_3repE0EEENS1_36merge_oddeven_config_static_selectorELNS0_4arch9wavefront6targetE1EEEvSF_: ; @_ZN7rocprim17ROCPRIM_400000_NS6detail17trampoline_kernelINS0_14default_configENS1_38merge_sort_block_merge_config_selectorItNS0_10empty_typeEEEZZNS1_27merge_sort_block_merge_implIS3_PtPS5_jNS1_19radix_merge_compareILb0ELb1EtNS0_19identity_decomposerEEEEE10hipError_tT0_T1_T2_jT3_P12ihipStream_tbPNSt15iterator_traitsISE_E10value_typeEPNSK_ISF_E10value_typeEPSG_NS1_7vsmem_tEENKUlT_SE_SF_SG_E_clIS8_S8_S9_S9_EESD_ST_SE_SF_SG_EUlST_E1_NS1_11comp_targetILNS1_3genE9ELNS1_11target_archE1100ELNS1_3gpuE3ELNS1_3repE0EEENS1_36merge_oddeven_config_static_selectorELNS0_4arch9wavefront6targetE1EEEvSF_
; %bb.0:
	.section	.rodata,"a",@progbits
	.p2align	6, 0x0
	.amdhsa_kernel _ZN7rocprim17ROCPRIM_400000_NS6detail17trampoline_kernelINS0_14default_configENS1_38merge_sort_block_merge_config_selectorItNS0_10empty_typeEEEZZNS1_27merge_sort_block_merge_implIS3_PtPS5_jNS1_19radix_merge_compareILb0ELb1EtNS0_19identity_decomposerEEEEE10hipError_tT0_T1_T2_jT3_P12ihipStream_tbPNSt15iterator_traitsISE_E10value_typeEPNSK_ISF_E10value_typeEPSG_NS1_7vsmem_tEENKUlT_SE_SF_SG_E_clIS8_S8_S9_S9_EESD_ST_SE_SF_SG_EUlST_E1_NS1_11comp_targetILNS1_3genE9ELNS1_11target_archE1100ELNS1_3gpuE3ELNS1_3repE0EEENS1_36merge_oddeven_config_static_selectorELNS0_4arch9wavefront6targetE1EEEvSF_
		.amdhsa_group_segment_fixed_size 0
		.amdhsa_private_segment_fixed_size 0
		.amdhsa_kernarg_size 48
		.amdhsa_user_sgpr_count 6
		.amdhsa_user_sgpr_private_segment_buffer 1
		.amdhsa_user_sgpr_dispatch_ptr 0
		.amdhsa_user_sgpr_queue_ptr 0
		.amdhsa_user_sgpr_kernarg_segment_ptr 1
		.amdhsa_user_sgpr_dispatch_id 0
		.amdhsa_user_sgpr_flat_scratch_init 0
		.amdhsa_user_sgpr_kernarg_preload_length 0
		.amdhsa_user_sgpr_kernarg_preload_offset 0
		.amdhsa_user_sgpr_private_segment_size 0
		.amdhsa_uses_dynamic_stack 0
		.amdhsa_system_sgpr_private_segment_wavefront_offset 0
		.amdhsa_system_sgpr_workgroup_id_x 1
		.amdhsa_system_sgpr_workgroup_id_y 0
		.amdhsa_system_sgpr_workgroup_id_z 0
		.amdhsa_system_sgpr_workgroup_info 0
		.amdhsa_system_vgpr_workitem_id 0
		.amdhsa_next_free_vgpr 1
		.amdhsa_next_free_sgpr 0
		.amdhsa_accum_offset 4
		.amdhsa_reserve_vcc 0
		.amdhsa_reserve_flat_scratch 0
		.amdhsa_float_round_mode_32 0
		.amdhsa_float_round_mode_16_64 0
		.amdhsa_float_denorm_mode_32 3
		.amdhsa_float_denorm_mode_16_64 3
		.amdhsa_dx10_clamp 1
		.amdhsa_ieee_mode 1
		.amdhsa_fp16_overflow 0
		.amdhsa_tg_split 0
		.amdhsa_exception_fp_ieee_invalid_op 0
		.amdhsa_exception_fp_denorm_src 0
		.amdhsa_exception_fp_ieee_div_zero 0
		.amdhsa_exception_fp_ieee_overflow 0
		.amdhsa_exception_fp_ieee_underflow 0
		.amdhsa_exception_fp_ieee_inexact 0
		.amdhsa_exception_int_div_zero 0
	.end_amdhsa_kernel
	.section	.text._ZN7rocprim17ROCPRIM_400000_NS6detail17trampoline_kernelINS0_14default_configENS1_38merge_sort_block_merge_config_selectorItNS0_10empty_typeEEEZZNS1_27merge_sort_block_merge_implIS3_PtPS5_jNS1_19radix_merge_compareILb0ELb1EtNS0_19identity_decomposerEEEEE10hipError_tT0_T1_T2_jT3_P12ihipStream_tbPNSt15iterator_traitsISE_E10value_typeEPNSK_ISF_E10value_typeEPSG_NS1_7vsmem_tEENKUlT_SE_SF_SG_E_clIS8_S8_S9_S9_EESD_ST_SE_SF_SG_EUlST_E1_NS1_11comp_targetILNS1_3genE9ELNS1_11target_archE1100ELNS1_3gpuE3ELNS1_3repE0EEENS1_36merge_oddeven_config_static_selectorELNS0_4arch9wavefront6targetE1EEEvSF_,"axG",@progbits,_ZN7rocprim17ROCPRIM_400000_NS6detail17trampoline_kernelINS0_14default_configENS1_38merge_sort_block_merge_config_selectorItNS0_10empty_typeEEEZZNS1_27merge_sort_block_merge_implIS3_PtPS5_jNS1_19radix_merge_compareILb0ELb1EtNS0_19identity_decomposerEEEEE10hipError_tT0_T1_T2_jT3_P12ihipStream_tbPNSt15iterator_traitsISE_E10value_typeEPNSK_ISF_E10value_typeEPSG_NS1_7vsmem_tEENKUlT_SE_SF_SG_E_clIS8_S8_S9_S9_EESD_ST_SE_SF_SG_EUlST_E1_NS1_11comp_targetILNS1_3genE9ELNS1_11target_archE1100ELNS1_3gpuE3ELNS1_3repE0EEENS1_36merge_oddeven_config_static_selectorELNS0_4arch9wavefront6targetE1EEEvSF_,comdat
.Lfunc_end520:
	.size	_ZN7rocprim17ROCPRIM_400000_NS6detail17trampoline_kernelINS0_14default_configENS1_38merge_sort_block_merge_config_selectorItNS0_10empty_typeEEEZZNS1_27merge_sort_block_merge_implIS3_PtPS5_jNS1_19radix_merge_compareILb0ELb1EtNS0_19identity_decomposerEEEEE10hipError_tT0_T1_T2_jT3_P12ihipStream_tbPNSt15iterator_traitsISE_E10value_typeEPNSK_ISF_E10value_typeEPSG_NS1_7vsmem_tEENKUlT_SE_SF_SG_E_clIS8_S8_S9_S9_EESD_ST_SE_SF_SG_EUlST_E1_NS1_11comp_targetILNS1_3genE9ELNS1_11target_archE1100ELNS1_3gpuE3ELNS1_3repE0EEENS1_36merge_oddeven_config_static_selectorELNS0_4arch9wavefront6targetE1EEEvSF_, .Lfunc_end520-_ZN7rocprim17ROCPRIM_400000_NS6detail17trampoline_kernelINS0_14default_configENS1_38merge_sort_block_merge_config_selectorItNS0_10empty_typeEEEZZNS1_27merge_sort_block_merge_implIS3_PtPS5_jNS1_19radix_merge_compareILb0ELb1EtNS0_19identity_decomposerEEEEE10hipError_tT0_T1_T2_jT3_P12ihipStream_tbPNSt15iterator_traitsISE_E10value_typeEPNSK_ISF_E10value_typeEPSG_NS1_7vsmem_tEENKUlT_SE_SF_SG_E_clIS8_S8_S9_S9_EESD_ST_SE_SF_SG_EUlST_E1_NS1_11comp_targetILNS1_3genE9ELNS1_11target_archE1100ELNS1_3gpuE3ELNS1_3repE0EEENS1_36merge_oddeven_config_static_selectorELNS0_4arch9wavefront6targetE1EEEvSF_
                                        ; -- End function
	.section	.AMDGPU.csdata,"",@progbits
; Kernel info:
; codeLenInByte = 0
; NumSgprs: 4
; NumVgprs: 0
; NumAgprs: 0
; TotalNumVgprs: 0
; ScratchSize: 0
; MemoryBound: 0
; FloatMode: 240
; IeeeMode: 1
; LDSByteSize: 0 bytes/workgroup (compile time only)
; SGPRBlocks: 0
; VGPRBlocks: 0
; NumSGPRsForWavesPerEU: 4
; NumVGPRsForWavesPerEU: 1
; AccumOffset: 4
; Occupancy: 8
; WaveLimiterHint : 0
; COMPUTE_PGM_RSRC2:SCRATCH_EN: 0
; COMPUTE_PGM_RSRC2:USER_SGPR: 6
; COMPUTE_PGM_RSRC2:TRAP_HANDLER: 0
; COMPUTE_PGM_RSRC2:TGID_X_EN: 1
; COMPUTE_PGM_RSRC2:TGID_Y_EN: 0
; COMPUTE_PGM_RSRC2:TGID_Z_EN: 0
; COMPUTE_PGM_RSRC2:TIDIG_COMP_CNT: 0
; COMPUTE_PGM_RSRC3_GFX90A:ACCUM_OFFSET: 0
; COMPUTE_PGM_RSRC3_GFX90A:TG_SPLIT: 0
	.section	.text._ZN7rocprim17ROCPRIM_400000_NS6detail17trampoline_kernelINS0_14default_configENS1_38merge_sort_block_merge_config_selectorItNS0_10empty_typeEEEZZNS1_27merge_sort_block_merge_implIS3_PtPS5_jNS1_19radix_merge_compareILb0ELb1EtNS0_19identity_decomposerEEEEE10hipError_tT0_T1_T2_jT3_P12ihipStream_tbPNSt15iterator_traitsISE_E10value_typeEPNSK_ISF_E10value_typeEPSG_NS1_7vsmem_tEENKUlT_SE_SF_SG_E_clIS8_S8_S9_S9_EESD_ST_SE_SF_SG_EUlST_E1_NS1_11comp_targetILNS1_3genE8ELNS1_11target_archE1030ELNS1_3gpuE2ELNS1_3repE0EEENS1_36merge_oddeven_config_static_selectorELNS0_4arch9wavefront6targetE1EEEvSF_,"axG",@progbits,_ZN7rocprim17ROCPRIM_400000_NS6detail17trampoline_kernelINS0_14default_configENS1_38merge_sort_block_merge_config_selectorItNS0_10empty_typeEEEZZNS1_27merge_sort_block_merge_implIS3_PtPS5_jNS1_19radix_merge_compareILb0ELb1EtNS0_19identity_decomposerEEEEE10hipError_tT0_T1_T2_jT3_P12ihipStream_tbPNSt15iterator_traitsISE_E10value_typeEPNSK_ISF_E10value_typeEPSG_NS1_7vsmem_tEENKUlT_SE_SF_SG_E_clIS8_S8_S9_S9_EESD_ST_SE_SF_SG_EUlST_E1_NS1_11comp_targetILNS1_3genE8ELNS1_11target_archE1030ELNS1_3gpuE2ELNS1_3repE0EEENS1_36merge_oddeven_config_static_selectorELNS0_4arch9wavefront6targetE1EEEvSF_,comdat
	.protected	_ZN7rocprim17ROCPRIM_400000_NS6detail17trampoline_kernelINS0_14default_configENS1_38merge_sort_block_merge_config_selectorItNS0_10empty_typeEEEZZNS1_27merge_sort_block_merge_implIS3_PtPS5_jNS1_19radix_merge_compareILb0ELb1EtNS0_19identity_decomposerEEEEE10hipError_tT0_T1_T2_jT3_P12ihipStream_tbPNSt15iterator_traitsISE_E10value_typeEPNSK_ISF_E10value_typeEPSG_NS1_7vsmem_tEENKUlT_SE_SF_SG_E_clIS8_S8_S9_S9_EESD_ST_SE_SF_SG_EUlST_E1_NS1_11comp_targetILNS1_3genE8ELNS1_11target_archE1030ELNS1_3gpuE2ELNS1_3repE0EEENS1_36merge_oddeven_config_static_selectorELNS0_4arch9wavefront6targetE1EEEvSF_ ; -- Begin function _ZN7rocprim17ROCPRIM_400000_NS6detail17trampoline_kernelINS0_14default_configENS1_38merge_sort_block_merge_config_selectorItNS0_10empty_typeEEEZZNS1_27merge_sort_block_merge_implIS3_PtPS5_jNS1_19radix_merge_compareILb0ELb1EtNS0_19identity_decomposerEEEEE10hipError_tT0_T1_T2_jT3_P12ihipStream_tbPNSt15iterator_traitsISE_E10value_typeEPNSK_ISF_E10value_typeEPSG_NS1_7vsmem_tEENKUlT_SE_SF_SG_E_clIS8_S8_S9_S9_EESD_ST_SE_SF_SG_EUlST_E1_NS1_11comp_targetILNS1_3genE8ELNS1_11target_archE1030ELNS1_3gpuE2ELNS1_3repE0EEENS1_36merge_oddeven_config_static_selectorELNS0_4arch9wavefront6targetE1EEEvSF_
	.globl	_ZN7rocprim17ROCPRIM_400000_NS6detail17trampoline_kernelINS0_14default_configENS1_38merge_sort_block_merge_config_selectorItNS0_10empty_typeEEEZZNS1_27merge_sort_block_merge_implIS3_PtPS5_jNS1_19radix_merge_compareILb0ELb1EtNS0_19identity_decomposerEEEEE10hipError_tT0_T1_T2_jT3_P12ihipStream_tbPNSt15iterator_traitsISE_E10value_typeEPNSK_ISF_E10value_typeEPSG_NS1_7vsmem_tEENKUlT_SE_SF_SG_E_clIS8_S8_S9_S9_EESD_ST_SE_SF_SG_EUlST_E1_NS1_11comp_targetILNS1_3genE8ELNS1_11target_archE1030ELNS1_3gpuE2ELNS1_3repE0EEENS1_36merge_oddeven_config_static_selectorELNS0_4arch9wavefront6targetE1EEEvSF_
	.p2align	8
	.type	_ZN7rocprim17ROCPRIM_400000_NS6detail17trampoline_kernelINS0_14default_configENS1_38merge_sort_block_merge_config_selectorItNS0_10empty_typeEEEZZNS1_27merge_sort_block_merge_implIS3_PtPS5_jNS1_19radix_merge_compareILb0ELb1EtNS0_19identity_decomposerEEEEE10hipError_tT0_T1_T2_jT3_P12ihipStream_tbPNSt15iterator_traitsISE_E10value_typeEPNSK_ISF_E10value_typeEPSG_NS1_7vsmem_tEENKUlT_SE_SF_SG_E_clIS8_S8_S9_S9_EESD_ST_SE_SF_SG_EUlST_E1_NS1_11comp_targetILNS1_3genE8ELNS1_11target_archE1030ELNS1_3gpuE2ELNS1_3repE0EEENS1_36merge_oddeven_config_static_selectorELNS0_4arch9wavefront6targetE1EEEvSF_,@function
_ZN7rocprim17ROCPRIM_400000_NS6detail17trampoline_kernelINS0_14default_configENS1_38merge_sort_block_merge_config_selectorItNS0_10empty_typeEEEZZNS1_27merge_sort_block_merge_implIS3_PtPS5_jNS1_19radix_merge_compareILb0ELb1EtNS0_19identity_decomposerEEEEE10hipError_tT0_T1_T2_jT3_P12ihipStream_tbPNSt15iterator_traitsISE_E10value_typeEPNSK_ISF_E10value_typeEPSG_NS1_7vsmem_tEENKUlT_SE_SF_SG_E_clIS8_S8_S9_S9_EESD_ST_SE_SF_SG_EUlST_E1_NS1_11comp_targetILNS1_3genE8ELNS1_11target_archE1030ELNS1_3gpuE2ELNS1_3repE0EEENS1_36merge_oddeven_config_static_selectorELNS0_4arch9wavefront6targetE1EEEvSF_: ; @_ZN7rocprim17ROCPRIM_400000_NS6detail17trampoline_kernelINS0_14default_configENS1_38merge_sort_block_merge_config_selectorItNS0_10empty_typeEEEZZNS1_27merge_sort_block_merge_implIS3_PtPS5_jNS1_19radix_merge_compareILb0ELb1EtNS0_19identity_decomposerEEEEE10hipError_tT0_T1_T2_jT3_P12ihipStream_tbPNSt15iterator_traitsISE_E10value_typeEPNSK_ISF_E10value_typeEPSG_NS1_7vsmem_tEENKUlT_SE_SF_SG_E_clIS8_S8_S9_S9_EESD_ST_SE_SF_SG_EUlST_E1_NS1_11comp_targetILNS1_3genE8ELNS1_11target_archE1030ELNS1_3gpuE2ELNS1_3repE0EEENS1_36merge_oddeven_config_static_selectorELNS0_4arch9wavefront6targetE1EEEvSF_
; %bb.0:
	.section	.rodata,"a",@progbits
	.p2align	6, 0x0
	.amdhsa_kernel _ZN7rocprim17ROCPRIM_400000_NS6detail17trampoline_kernelINS0_14default_configENS1_38merge_sort_block_merge_config_selectorItNS0_10empty_typeEEEZZNS1_27merge_sort_block_merge_implIS3_PtPS5_jNS1_19radix_merge_compareILb0ELb1EtNS0_19identity_decomposerEEEEE10hipError_tT0_T1_T2_jT3_P12ihipStream_tbPNSt15iterator_traitsISE_E10value_typeEPNSK_ISF_E10value_typeEPSG_NS1_7vsmem_tEENKUlT_SE_SF_SG_E_clIS8_S8_S9_S9_EESD_ST_SE_SF_SG_EUlST_E1_NS1_11comp_targetILNS1_3genE8ELNS1_11target_archE1030ELNS1_3gpuE2ELNS1_3repE0EEENS1_36merge_oddeven_config_static_selectorELNS0_4arch9wavefront6targetE1EEEvSF_
		.amdhsa_group_segment_fixed_size 0
		.amdhsa_private_segment_fixed_size 0
		.amdhsa_kernarg_size 48
		.amdhsa_user_sgpr_count 6
		.amdhsa_user_sgpr_private_segment_buffer 1
		.amdhsa_user_sgpr_dispatch_ptr 0
		.amdhsa_user_sgpr_queue_ptr 0
		.amdhsa_user_sgpr_kernarg_segment_ptr 1
		.amdhsa_user_sgpr_dispatch_id 0
		.amdhsa_user_sgpr_flat_scratch_init 0
		.amdhsa_user_sgpr_kernarg_preload_length 0
		.amdhsa_user_sgpr_kernarg_preload_offset 0
		.amdhsa_user_sgpr_private_segment_size 0
		.amdhsa_uses_dynamic_stack 0
		.amdhsa_system_sgpr_private_segment_wavefront_offset 0
		.amdhsa_system_sgpr_workgroup_id_x 1
		.amdhsa_system_sgpr_workgroup_id_y 0
		.amdhsa_system_sgpr_workgroup_id_z 0
		.amdhsa_system_sgpr_workgroup_info 0
		.amdhsa_system_vgpr_workitem_id 0
		.amdhsa_next_free_vgpr 1
		.amdhsa_next_free_sgpr 0
		.amdhsa_accum_offset 4
		.amdhsa_reserve_vcc 0
		.amdhsa_reserve_flat_scratch 0
		.amdhsa_float_round_mode_32 0
		.amdhsa_float_round_mode_16_64 0
		.amdhsa_float_denorm_mode_32 3
		.amdhsa_float_denorm_mode_16_64 3
		.amdhsa_dx10_clamp 1
		.amdhsa_ieee_mode 1
		.amdhsa_fp16_overflow 0
		.amdhsa_tg_split 0
		.amdhsa_exception_fp_ieee_invalid_op 0
		.amdhsa_exception_fp_denorm_src 0
		.amdhsa_exception_fp_ieee_div_zero 0
		.amdhsa_exception_fp_ieee_overflow 0
		.amdhsa_exception_fp_ieee_underflow 0
		.amdhsa_exception_fp_ieee_inexact 0
		.amdhsa_exception_int_div_zero 0
	.end_amdhsa_kernel
	.section	.text._ZN7rocprim17ROCPRIM_400000_NS6detail17trampoline_kernelINS0_14default_configENS1_38merge_sort_block_merge_config_selectorItNS0_10empty_typeEEEZZNS1_27merge_sort_block_merge_implIS3_PtPS5_jNS1_19radix_merge_compareILb0ELb1EtNS0_19identity_decomposerEEEEE10hipError_tT0_T1_T2_jT3_P12ihipStream_tbPNSt15iterator_traitsISE_E10value_typeEPNSK_ISF_E10value_typeEPSG_NS1_7vsmem_tEENKUlT_SE_SF_SG_E_clIS8_S8_S9_S9_EESD_ST_SE_SF_SG_EUlST_E1_NS1_11comp_targetILNS1_3genE8ELNS1_11target_archE1030ELNS1_3gpuE2ELNS1_3repE0EEENS1_36merge_oddeven_config_static_selectorELNS0_4arch9wavefront6targetE1EEEvSF_,"axG",@progbits,_ZN7rocprim17ROCPRIM_400000_NS6detail17trampoline_kernelINS0_14default_configENS1_38merge_sort_block_merge_config_selectorItNS0_10empty_typeEEEZZNS1_27merge_sort_block_merge_implIS3_PtPS5_jNS1_19radix_merge_compareILb0ELb1EtNS0_19identity_decomposerEEEEE10hipError_tT0_T1_T2_jT3_P12ihipStream_tbPNSt15iterator_traitsISE_E10value_typeEPNSK_ISF_E10value_typeEPSG_NS1_7vsmem_tEENKUlT_SE_SF_SG_E_clIS8_S8_S9_S9_EESD_ST_SE_SF_SG_EUlST_E1_NS1_11comp_targetILNS1_3genE8ELNS1_11target_archE1030ELNS1_3gpuE2ELNS1_3repE0EEENS1_36merge_oddeven_config_static_selectorELNS0_4arch9wavefront6targetE1EEEvSF_,comdat
.Lfunc_end521:
	.size	_ZN7rocprim17ROCPRIM_400000_NS6detail17trampoline_kernelINS0_14default_configENS1_38merge_sort_block_merge_config_selectorItNS0_10empty_typeEEEZZNS1_27merge_sort_block_merge_implIS3_PtPS5_jNS1_19radix_merge_compareILb0ELb1EtNS0_19identity_decomposerEEEEE10hipError_tT0_T1_T2_jT3_P12ihipStream_tbPNSt15iterator_traitsISE_E10value_typeEPNSK_ISF_E10value_typeEPSG_NS1_7vsmem_tEENKUlT_SE_SF_SG_E_clIS8_S8_S9_S9_EESD_ST_SE_SF_SG_EUlST_E1_NS1_11comp_targetILNS1_3genE8ELNS1_11target_archE1030ELNS1_3gpuE2ELNS1_3repE0EEENS1_36merge_oddeven_config_static_selectorELNS0_4arch9wavefront6targetE1EEEvSF_, .Lfunc_end521-_ZN7rocprim17ROCPRIM_400000_NS6detail17trampoline_kernelINS0_14default_configENS1_38merge_sort_block_merge_config_selectorItNS0_10empty_typeEEEZZNS1_27merge_sort_block_merge_implIS3_PtPS5_jNS1_19radix_merge_compareILb0ELb1EtNS0_19identity_decomposerEEEEE10hipError_tT0_T1_T2_jT3_P12ihipStream_tbPNSt15iterator_traitsISE_E10value_typeEPNSK_ISF_E10value_typeEPSG_NS1_7vsmem_tEENKUlT_SE_SF_SG_E_clIS8_S8_S9_S9_EESD_ST_SE_SF_SG_EUlST_E1_NS1_11comp_targetILNS1_3genE8ELNS1_11target_archE1030ELNS1_3gpuE2ELNS1_3repE0EEENS1_36merge_oddeven_config_static_selectorELNS0_4arch9wavefront6targetE1EEEvSF_
                                        ; -- End function
	.section	.AMDGPU.csdata,"",@progbits
; Kernel info:
; codeLenInByte = 0
; NumSgprs: 4
; NumVgprs: 0
; NumAgprs: 0
; TotalNumVgprs: 0
; ScratchSize: 0
; MemoryBound: 0
; FloatMode: 240
; IeeeMode: 1
; LDSByteSize: 0 bytes/workgroup (compile time only)
; SGPRBlocks: 0
; VGPRBlocks: 0
; NumSGPRsForWavesPerEU: 4
; NumVGPRsForWavesPerEU: 1
; AccumOffset: 4
; Occupancy: 8
; WaveLimiterHint : 0
; COMPUTE_PGM_RSRC2:SCRATCH_EN: 0
; COMPUTE_PGM_RSRC2:USER_SGPR: 6
; COMPUTE_PGM_RSRC2:TRAP_HANDLER: 0
; COMPUTE_PGM_RSRC2:TGID_X_EN: 1
; COMPUTE_PGM_RSRC2:TGID_Y_EN: 0
; COMPUTE_PGM_RSRC2:TGID_Z_EN: 0
; COMPUTE_PGM_RSRC2:TIDIG_COMP_CNT: 0
; COMPUTE_PGM_RSRC3_GFX90A:ACCUM_OFFSET: 0
; COMPUTE_PGM_RSRC3_GFX90A:TG_SPLIT: 0
	.section	.text._ZN7rocprim17ROCPRIM_400000_NS6detail17trampoline_kernelINS0_14default_configENS1_35radix_sort_onesweep_config_selectorItNS0_10empty_typeEEEZNS1_34radix_sort_onesweep_global_offsetsIS3_Lb0EPtPS5_mNS0_19identity_decomposerEEE10hipError_tT1_T2_PT3_SE_jT4_jjP12ihipStream_tbEUlT_E_NS1_11comp_targetILNS1_3genE0ELNS1_11target_archE4294967295ELNS1_3gpuE0ELNS1_3repE0EEENS1_52radix_sort_onesweep_histogram_config_static_selectorELNS0_4arch9wavefront6targetE1EEEvSC_,"axG",@progbits,_ZN7rocprim17ROCPRIM_400000_NS6detail17trampoline_kernelINS0_14default_configENS1_35radix_sort_onesweep_config_selectorItNS0_10empty_typeEEEZNS1_34radix_sort_onesweep_global_offsetsIS3_Lb0EPtPS5_mNS0_19identity_decomposerEEE10hipError_tT1_T2_PT3_SE_jT4_jjP12ihipStream_tbEUlT_E_NS1_11comp_targetILNS1_3genE0ELNS1_11target_archE4294967295ELNS1_3gpuE0ELNS1_3repE0EEENS1_52radix_sort_onesweep_histogram_config_static_selectorELNS0_4arch9wavefront6targetE1EEEvSC_,comdat
	.protected	_ZN7rocprim17ROCPRIM_400000_NS6detail17trampoline_kernelINS0_14default_configENS1_35radix_sort_onesweep_config_selectorItNS0_10empty_typeEEEZNS1_34radix_sort_onesweep_global_offsetsIS3_Lb0EPtPS5_mNS0_19identity_decomposerEEE10hipError_tT1_T2_PT3_SE_jT4_jjP12ihipStream_tbEUlT_E_NS1_11comp_targetILNS1_3genE0ELNS1_11target_archE4294967295ELNS1_3gpuE0ELNS1_3repE0EEENS1_52radix_sort_onesweep_histogram_config_static_selectorELNS0_4arch9wavefront6targetE1EEEvSC_ ; -- Begin function _ZN7rocprim17ROCPRIM_400000_NS6detail17trampoline_kernelINS0_14default_configENS1_35radix_sort_onesweep_config_selectorItNS0_10empty_typeEEEZNS1_34radix_sort_onesweep_global_offsetsIS3_Lb0EPtPS5_mNS0_19identity_decomposerEEE10hipError_tT1_T2_PT3_SE_jT4_jjP12ihipStream_tbEUlT_E_NS1_11comp_targetILNS1_3genE0ELNS1_11target_archE4294967295ELNS1_3gpuE0ELNS1_3repE0EEENS1_52radix_sort_onesweep_histogram_config_static_selectorELNS0_4arch9wavefront6targetE1EEEvSC_
	.globl	_ZN7rocprim17ROCPRIM_400000_NS6detail17trampoline_kernelINS0_14default_configENS1_35radix_sort_onesweep_config_selectorItNS0_10empty_typeEEEZNS1_34radix_sort_onesweep_global_offsetsIS3_Lb0EPtPS5_mNS0_19identity_decomposerEEE10hipError_tT1_T2_PT3_SE_jT4_jjP12ihipStream_tbEUlT_E_NS1_11comp_targetILNS1_3genE0ELNS1_11target_archE4294967295ELNS1_3gpuE0ELNS1_3repE0EEENS1_52radix_sort_onesweep_histogram_config_static_selectorELNS0_4arch9wavefront6targetE1EEEvSC_
	.p2align	8
	.type	_ZN7rocprim17ROCPRIM_400000_NS6detail17trampoline_kernelINS0_14default_configENS1_35radix_sort_onesweep_config_selectorItNS0_10empty_typeEEEZNS1_34radix_sort_onesweep_global_offsetsIS3_Lb0EPtPS5_mNS0_19identity_decomposerEEE10hipError_tT1_T2_PT3_SE_jT4_jjP12ihipStream_tbEUlT_E_NS1_11comp_targetILNS1_3genE0ELNS1_11target_archE4294967295ELNS1_3gpuE0ELNS1_3repE0EEENS1_52radix_sort_onesweep_histogram_config_static_selectorELNS0_4arch9wavefront6targetE1EEEvSC_,@function
_ZN7rocprim17ROCPRIM_400000_NS6detail17trampoline_kernelINS0_14default_configENS1_35radix_sort_onesweep_config_selectorItNS0_10empty_typeEEEZNS1_34radix_sort_onesweep_global_offsetsIS3_Lb0EPtPS5_mNS0_19identity_decomposerEEE10hipError_tT1_T2_PT3_SE_jT4_jjP12ihipStream_tbEUlT_E_NS1_11comp_targetILNS1_3genE0ELNS1_11target_archE4294967295ELNS1_3gpuE0ELNS1_3repE0EEENS1_52radix_sort_onesweep_histogram_config_static_selectorELNS0_4arch9wavefront6targetE1EEEvSC_: ; @_ZN7rocprim17ROCPRIM_400000_NS6detail17trampoline_kernelINS0_14default_configENS1_35radix_sort_onesweep_config_selectorItNS0_10empty_typeEEEZNS1_34radix_sort_onesweep_global_offsetsIS3_Lb0EPtPS5_mNS0_19identity_decomposerEEE10hipError_tT1_T2_PT3_SE_jT4_jjP12ihipStream_tbEUlT_E_NS1_11comp_targetILNS1_3genE0ELNS1_11target_archE4294967295ELNS1_3gpuE0ELNS1_3repE0EEENS1_52radix_sort_onesweep_histogram_config_static_selectorELNS0_4arch9wavefront6targetE1EEEvSC_
; %bb.0:
	.section	.rodata,"a",@progbits
	.p2align	6, 0x0
	.amdhsa_kernel _ZN7rocprim17ROCPRIM_400000_NS6detail17trampoline_kernelINS0_14default_configENS1_35radix_sort_onesweep_config_selectorItNS0_10empty_typeEEEZNS1_34radix_sort_onesweep_global_offsetsIS3_Lb0EPtPS5_mNS0_19identity_decomposerEEE10hipError_tT1_T2_PT3_SE_jT4_jjP12ihipStream_tbEUlT_E_NS1_11comp_targetILNS1_3genE0ELNS1_11target_archE4294967295ELNS1_3gpuE0ELNS1_3repE0EEENS1_52radix_sort_onesweep_histogram_config_static_selectorELNS0_4arch9wavefront6targetE1EEEvSC_
		.amdhsa_group_segment_fixed_size 0
		.amdhsa_private_segment_fixed_size 0
		.amdhsa_kernarg_size 48
		.amdhsa_user_sgpr_count 6
		.amdhsa_user_sgpr_private_segment_buffer 1
		.amdhsa_user_sgpr_dispatch_ptr 0
		.amdhsa_user_sgpr_queue_ptr 0
		.amdhsa_user_sgpr_kernarg_segment_ptr 1
		.amdhsa_user_sgpr_dispatch_id 0
		.amdhsa_user_sgpr_flat_scratch_init 0
		.amdhsa_user_sgpr_kernarg_preload_length 0
		.amdhsa_user_sgpr_kernarg_preload_offset 0
		.amdhsa_user_sgpr_private_segment_size 0
		.amdhsa_uses_dynamic_stack 0
		.amdhsa_system_sgpr_private_segment_wavefront_offset 0
		.amdhsa_system_sgpr_workgroup_id_x 1
		.amdhsa_system_sgpr_workgroup_id_y 0
		.amdhsa_system_sgpr_workgroup_id_z 0
		.amdhsa_system_sgpr_workgroup_info 0
		.amdhsa_system_vgpr_workitem_id 0
		.amdhsa_next_free_vgpr 1
		.amdhsa_next_free_sgpr 0
		.amdhsa_accum_offset 4
		.amdhsa_reserve_vcc 0
		.amdhsa_reserve_flat_scratch 0
		.amdhsa_float_round_mode_32 0
		.amdhsa_float_round_mode_16_64 0
		.amdhsa_float_denorm_mode_32 3
		.amdhsa_float_denorm_mode_16_64 3
		.amdhsa_dx10_clamp 1
		.amdhsa_ieee_mode 1
		.amdhsa_fp16_overflow 0
		.amdhsa_tg_split 0
		.amdhsa_exception_fp_ieee_invalid_op 0
		.amdhsa_exception_fp_denorm_src 0
		.amdhsa_exception_fp_ieee_div_zero 0
		.amdhsa_exception_fp_ieee_overflow 0
		.amdhsa_exception_fp_ieee_underflow 0
		.amdhsa_exception_fp_ieee_inexact 0
		.amdhsa_exception_int_div_zero 0
	.end_amdhsa_kernel
	.section	.text._ZN7rocprim17ROCPRIM_400000_NS6detail17trampoline_kernelINS0_14default_configENS1_35radix_sort_onesweep_config_selectorItNS0_10empty_typeEEEZNS1_34radix_sort_onesweep_global_offsetsIS3_Lb0EPtPS5_mNS0_19identity_decomposerEEE10hipError_tT1_T2_PT3_SE_jT4_jjP12ihipStream_tbEUlT_E_NS1_11comp_targetILNS1_3genE0ELNS1_11target_archE4294967295ELNS1_3gpuE0ELNS1_3repE0EEENS1_52radix_sort_onesweep_histogram_config_static_selectorELNS0_4arch9wavefront6targetE1EEEvSC_,"axG",@progbits,_ZN7rocprim17ROCPRIM_400000_NS6detail17trampoline_kernelINS0_14default_configENS1_35radix_sort_onesweep_config_selectorItNS0_10empty_typeEEEZNS1_34radix_sort_onesweep_global_offsetsIS3_Lb0EPtPS5_mNS0_19identity_decomposerEEE10hipError_tT1_T2_PT3_SE_jT4_jjP12ihipStream_tbEUlT_E_NS1_11comp_targetILNS1_3genE0ELNS1_11target_archE4294967295ELNS1_3gpuE0ELNS1_3repE0EEENS1_52radix_sort_onesweep_histogram_config_static_selectorELNS0_4arch9wavefront6targetE1EEEvSC_,comdat
.Lfunc_end522:
	.size	_ZN7rocprim17ROCPRIM_400000_NS6detail17trampoline_kernelINS0_14default_configENS1_35radix_sort_onesweep_config_selectorItNS0_10empty_typeEEEZNS1_34radix_sort_onesweep_global_offsetsIS3_Lb0EPtPS5_mNS0_19identity_decomposerEEE10hipError_tT1_T2_PT3_SE_jT4_jjP12ihipStream_tbEUlT_E_NS1_11comp_targetILNS1_3genE0ELNS1_11target_archE4294967295ELNS1_3gpuE0ELNS1_3repE0EEENS1_52radix_sort_onesweep_histogram_config_static_selectorELNS0_4arch9wavefront6targetE1EEEvSC_, .Lfunc_end522-_ZN7rocprim17ROCPRIM_400000_NS6detail17trampoline_kernelINS0_14default_configENS1_35radix_sort_onesweep_config_selectorItNS0_10empty_typeEEEZNS1_34radix_sort_onesweep_global_offsetsIS3_Lb0EPtPS5_mNS0_19identity_decomposerEEE10hipError_tT1_T2_PT3_SE_jT4_jjP12ihipStream_tbEUlT_E_NS1_11comp_targetILNS1_3genE0ELNS1_11target_archE4294967295ELNS1_3gpuE0ELNS1_3repE0EEENS1_52radix_sort_onesweep_histogram_config_static_selectorELNS0_4arch9wavefront6targetE1EEEvSC_
                                        ; -- End function
	.section	.AMDGPU.csdata,"",@progbits
; Kernel info:
; codeLenInByte = 0
; NumSgprs: 4
; NumVgprs: 0
; NumAgprs: 0
; TotalNumVgprs: 0
; ScratchSize: 0
; MemoryBound: 0
; FloatMode: 240
; IeeeMode: 1
; LDSByteSize: 0 bytes/workgroup (compile time only)
; SGPRBlocks: 0
; VGPRBlocks: 0
; NumSGPRsForWavesPerEU: 4
; NumVGPRsForWavesPerEU: 1
; AccumOffset: 4
; Occupancy: 8
; WaveLimiterHint : 0
; COMPUTE_PGM_RSRC2:SCRATCH_EN: 0
; COMPUTE_PGM_RSRC2:USER_SGPR: 6
; COMPUTE_PGM_RSRC2:TRAP_HANDLER: 0
; COMPUTE_PGM_RSRC2:TGID_X_EN: 1
; COMPUTE_PGM_RSRC2:TGID_Y_EN: 0
; COMPUTE_PGM_RSRC2:TGID_Z_EN: 0
; COMPUTE_PGM_RSRC2:TIDIG_COMP_CNT: 0
; COMPUTE_PGM_RSRC3_GFX90A:ACCUM_OFFSET: 0
; COMPUTE_PGM_RSRC3_GFX90A:TG_SPLIT: 0
	.section	.text._ZN7rocprim17ROCPRIM_400000_NS6detail17trampoline_kernelINS0_14default_configENS1_35radix_sort_onesweep_config_selectorItNS0_10empty_typeEEEZNS1_34radix_sort_onesweep_global_offsetsIS3_Lb0EPtPS5_mNS0_19identity_decomposerEEE10hipError_tT1_T2_PT3_SE_jT4_jjP12ihipStream_tbEUlT_E_NS1_11comp_targetILNS1_3genE6ELNS1_11target_archE950ELNS1_3gpuE13ELNS1_3repE0EEENS1_52radix_sort_onesweep_histogram_config_static_selectorELNS0_4arch9wavefront6targetE1EEEvSC_,"axG",@progbits,_ZN7rocprim17ROCPRIM_400000_NS6detail17trampoline_kernelINS0_14default_configENS1_35radix_sort_onesweep_config_selectorItNS0_10empty_typeEEEZNS1_34radix_sort_onesweep_global_offsetsIS3_Lb0EPtPS5_mNS0_19identity_decomposerEEE10hipError_tT1_T2_PT3_SE_jT4_jjP12ihipStream_tbEUlT_E_NS1_11comp_targetILNS1_3genE6ELNS1_11target_archE950ELNS1_3gpuE13ELNS1_3repE0EEENS1_52radix_sort_onesweep_histogram_config_static_selectorELNS0_4arch9wavefront6targetE1EEEvSC_,comdat
	.protected	_ZN7rocprim17ROCPRIM_400000_NS6detail17trampoline_kernelINS0_14default_configENS1_35radix_sort_onesweep_config_selectorItNS0_10empty_typeEEEZNS1_34radix_sort_onesweep_global_offsetsIS3_Lb0EPtPS5_mNS0_19identity_decomposerEEE10hipError_tT1_T2_PT3_SE_jT4_jjP12ihipStream_tbEUlT_E_NS1_11comp_targetILNS1_3genE6ELNS1_11target_archE950ELNS1_3gpuE13ELNS1_3repE0EEENS1_52radix_sort_onesweep_histogram_config_static_selectorELNS0_4arch9wavefront6targetE1EEEvSC_ ; -- Begin function _ZN7rocprim17ROCPRIM_400000_NS6detail17trampoline_kernelINS0_14default_configENS1_35radix_sort_onesweep_config_selectorItNS0_10empty_typeEEEZNS1_34radix_sort_onesweep_global_offsetsIS3_Lb0EPtPS5_mNS0_19identity_decomposerEEE10hipError_tT1_T2_PT3_SE_jT4_jjP12ihipStream_tbEUlT_E_NS1_11comp_targetILNS1_3genE6ELNS1_11target_archE950ELNS1_3gpuE13ELNS1_3repE0EEENS1_52radix_sort_onesweep_histogram_config_static_selectorELNS0_4arch9wavefront6targetE1EEEvSC_
	.globl	_ZN7rocprim17ROCPRIM_400000_NS6detail17trampoline_kernelINS0_14default_configENS1_35radix_sort_onesweep_config_selectorItNS0_10empty_typeEEEZNS1_34radix_sort_onesweep_global_offsetsIS3_Lb0EPtPS5_mNS0_19identity_decomposerEEE10hipError_tT1_T2_PT3_SE_jT4_jjP12ihipStream_tbEUlT_E_NS1_11comp_targetILNS1_3genE6ELNS1_11target_archE950ELNS1_3gpuE13ELNS1_3repE0EEENS1_52radix_sort_onesweep_histogram_config_static_selectorELNS0_4arch9wavefront6targetE1EEEvSC_
	.p2align	8
	.type	_ZN7rocprim17ROCPRIM_400000_NS6detail17trampoline_kernelINS0_14default_configENS1_35radix_sort_onesweep_config_selectorItNS0_10empty_typeEEEZNS1_34radix_sort_onesweep_global_offsetsIS3_Lb0EPtPS5_mNS0_19identity_decomposerEEE10hipError_tT1_T2_PT3_SE_jT4_jjP12ihipStream_tbEUlT_E_NS1_11comp_targetILNS1_3genE6ELNS1_11target_archE950ELNS1_3gpuE13ELNS1_3repE0EEENS1_52radix_sort_onesweep_histogram_config_static_selectorELNS0_4arch9wavefront6targetE1EEEvSC_,@function
_ZN7rocprim17ROCPRIM_400000_NS6detail17trampoline_kernelINS0_14default_configENS1_35radix_sort_onesweep_config_selectorItNS0_10empty_typeEEEZNS1_34radix_sort_onesweep_global_offsetsIS3_Lb0EPtPS5_mNS0_19identity_decomposerEEE10hipError_tT1_T2_PT3_SE_jT4_jjP12ihipStream_tbEUlT_E_NS1_11comp_targetILNS1_3genE6ELNS1_11target_archE950ELNS1_3gpuE13ELNS1_3repE0EEENS1_52radix_sort_onesweep_histogram_config_static_selectorELNS0_4arch9wavefront6targetE1EEEvSC_: ; @_ZN7rocprim17ROCPRIM_400000_NS6detail17trampoline_kernelINS0_14default_configENS1_35radix_sort_onesweep_config_selectorItNS0_10empty_typeEEEZNS1_34radix_sort_onesweep_global_offsetsIS3_Lb0EPtPS5_mNS0_19identity_decomposerEEE10hipError_tT1_T2_PT3_SE_jT4_jjP12ihipStream_tbEUlT_E_NS1_11comp_targetILNS1_3genE6ELNS1_11target_archE950ELNS1_3gpuE13ELNS1_3repE0EEENS1_52radix_sort_onesweep_histogram_config_static_selectorELNS0_4arch9wavefront6targetE1EEEvSC_
; %bb.0:
	.section	.rodata,"a",@progbits
	.p2align	6, 0x0
	.amdhsa_kernel _ZN7rocprim17ROCPRIM_400000_NS6detail17trampoline_kernelINS0_14default_configENS1_35radix_sort_onesweep_config_selectorItNS0_10empty_typeEEEZNS1_34radix_sort_onesweep_global_offsetsIS3_Lb0EPtPS5_mNS0_19identity_decomposerEEE10hipError_tT1_T2_PT3_SE_jT4_jjP12ihipStream_tbEUlT_E_NS1_11comp_targetILNS1_3genE6ELNS1_11target_archE950ELNS1_3gpuE13ELNS1_3repE0EEENS1_52radix_sort_onesweep_histogram_config_static_selectorELNS0_4arch9wavefront6targetE1EEEvSC_
		.amdhsa_group_segment_fixed_size 0
		.amdhsa_private_segment_fixed_size 0
		.amdhsa_kernarg_size 48
		.amdhsa_user_sgpr_count 6
		.amdhsa_user_sgpr_private_segment_buffer 1
		.amdhsa_user_sgpr_dispatch_ptr 0
		.amdhsa_user_sgpr_queue_ptr 0
		.amdhsa_user_sgpr_kernarg_segment_ptr 1
		.amdhsa_user_sgpr_dispatch_id 0
		.amdhsa_user_sgpr_flat_scratch_init 0
		.amdhsa_user_sgpr_kernarg_preload_length 0
		.amdhsa_user_sgpr_kernarg_preload_offset 0
		.amdhsa_user_sgpr_private_segment_size 0
		.amdhsa_uses_dynamic_stack 0
		.amdhsa_system_sgpr_private_segment_wavefront_offset 0
		.amdhsa_system_sgpr_workgroup_id_x 1
		.amdhsa_system_sgpr_workgroup_id_y 0
		.amdhsa_system_sgpr_workgroup_id_z 0
		.amdhsa_system_sgpr_workgroup_info 0
		.amdhsa_system_vgpr_workitem_id 0
		.amdhsa_next_free_vgpr 1
		.amdhsa_next_free_sgpr 0
		.amdhsa_accum_offset 4
		.amdhsa_reserve_vcc 0
		.amdhsa_reserve_flat_scratch 0
		.amdhsa_float_round_mode_32 0
		.amdhsa_float_round_mode_16_64 0
		.amdhsa_float_denorm_mode_32 3
		.amdhsa_float_denorm_mode_16_64 3
		.amdhsa_dx10_clamp 1
		.amdhsa_ieee_mode 1
		.amdhsa_fp16_overflow 0
		.amdhsa_tg_split 0
		.amdhsa_exception_fp_ieee_invalid_op 0
		.amdhsa_exception_fp_denorm_src 0
		.amdhsa_exception_fp_ieee_div_zero 0
		.amdhsa_exception_fp_ieee_overflow 0
		.amdhsa_exception_fp_ieee_underflow 0
		.amdhsa_exception_fp_ieee_inexact 0
		.amdhsa_exception_int_div_zero 0
	.end_amdhsa_kernel
	.section	.text._ZN7rocprim17ROCPRIM_400000_NS6detail17trampoline_kernelINS0_14default_configENS1_35radix_sort_onesweep_config_selectorItNS0_10empty_typeEEEZNS1_34radix_sort_onesweep_global_offsetsIS3_Lb0EPtPS5_mNS0_19identity_decomposerEEE10hipError_tT1_T2_PT3_SE_jT4_jjP12ihipStream_tbEUlT_E_NS1_11comp_targetILNS1_3genE6ELNS1_11target_archE950ELNS1_3gpuE13ELNS1_3repE0EEENS1_52radix_sort_onesweep_histogram_config_static_selectorELNS0_4arch9wavefront6targetE1EEEvSC_,"axG",@progbits,_ZN7rocprim17ROCPRIM_400000_NS6detail17trampoline_kernelINS0_14default_configENS1_35radix_sort_onesweep_config_selectorItNS0_10empty_typeEEEZNS1_34radix_sort_onesweep_global_offsetsIS3_Lb0EPtPS5_mNS0_19identity_decomposerEEE10hipError_tT1_T2_PT3_SE_jT4_jjP12ihipStream_tbEUlT_E_NS1_11comp_targetILNS1_3genE6ELNS1_11target_archE950ELNS1_3gpuE13ELNS1_3repE0EEENS1_52radix_sort_onesweep_histogram_config_static_selectorELNS0_4arch9wavefront6targetE1EEEvSC_,comdat
.Lfunc_end523:
	.size	_ZN7rocprim17ROCPRIM_400000_NS6detail17trampoline_kernelINS0_14default_configENS1_35radix_sort_onesweep_config_selectorItNS0_10empty_typeEEEZNS1_34radix_sort_onesweep_global_offsetsIS3_Lb0EPtPS5_mNS0_19identity_decomposerEEE10hipError_tT1_T2_PT3_SE_jT4_jjP12ihipStream_tbEUlT_E_NS1_11comp_targetILNS1_3genE6ELNS1_11target_archE950ELNS1_3gpuE13ELNS1_3repE0EEENS1_52radix_sort_onesweep_histogram_config_static_selectorELNS0_4arch9wavefront6targetE1EEEvSC_, .Lfunc_end523-_ZN7rocprim17ROCPRIM_400000_NS6detail17trampoline_kernelINS0_14default_configENS1_35radix_sort_onesweep_config_selectorItNS0_10empty_typeEEEZNS1_34radix_sort_onesweep_global_offsetsIS3_Lb0EPtPS5_mNS0_19identity_decomposerEEE10hipError_tT1_T2_PT3_SE_jT4_jjP12ihipStream_tbEUlT_E_NS1_11comp_targetILNS1_3genE6ELNS1_11target_archE950ELNS1_3gpuE13ELNS1_3repE0EEENS1_52radix_sort_onesweep_histogram_config_static_selectorELNS0_4arch9wavefront6targetE1EEEvSC_
                                        ; -- End function
	.section	.AMDGPU.csdata,"",@progbits
; Kernel info:
; codeLenInByte = 0
; NumSgprs: 4
; NumVgprs: 0
; NumAgprs: 0
; TotalNumVgprs: 0
; ScratchSize: 0
; MemoryBound: 0
; FloatMode: 240
; IeeeMode: 1
; LDSByteSize: 0 bytes/workgroup (compile time only)
; SGPRBlocks: 0
; VGPRBlocks: 0
; NumSGPRsForWavesPerEU: 4
; NumVGPRsForWavesPerEU: 1
; AccumOffset: 4
; Occupancy: 8
; WaveLimiterHint : 0
; COMPUTE_PGM_RSRC2:SCRATCH_EN: 0
; COMPUTE_PGM_RSRC2:USER_SGPR: 6
; COMPUTE_PGM_RSRC2:TRAP_HANDLER: 0
; COMPUTE_PGM_RSRC2:TGID_X_EN: 1
; COMPUTE_PGM_RSRC2:TGID_Y_EN: 0
; COMPUTE_PGM_RSRC2:TGID_Z_EN: 0
; COMPUTE_PGM_RSRC2:TIDIG_COMP_CNT: 0
; COMPUTE_PGM_RSRC3_GFX90A:ACCUM_OFFSET: 0
; COMPUTE_PGM_RSRC3_GFX90A:TG_SPLIT: 0
	.section	.text._ZN7rocprim17ROCPRIM_400000_NS6detail17trampoline_kernelINS0_14default_configENS1_35radix_sort_onesweep_config_selectorItNS0_10empty_typeEEEZNS1_34radix_sort_onesweep_global_offsetsIS3_Lb0EPtPS5_mNS0_19identity_decomposerEEE10hipError_tT1_T2_PT3_SE_jT4_jjP12ihipStream_tbEUlT_E_NS1_11comp_targetILNS1_3genE5ELNS1_11target_archE942ELNS1_3gpuE9ELNS1_3repE0EEENS1_52radix_sort_onesweep_histogram_config_static_selectorELNS0_4arch9wavefront6targetE1EEEvSC_,"axG",@progbits,_ZN7rocprim17ROCPRIM_400000_NS6detail17trampoline_kernelINS0_14default_configENS1_35radix_sort_onesweep_config_selectorItNS0_10empty_typeEEEZNS1_34radix_sort_onesweep_global_offsetsIS3_Lb0EPtPS5_mNS0_19identity_decomposerEEE10hipError_tT1_T2_PT3_SE_jT4_jjP12ihipStream_tbEUlT_E_NS1_11comp_targetILNS1_3genE5ELNS1_11target_archE942ELNS1_3gpuE9ELNS1_3repE0EEENS1_52radix_sort_onesweep_histogram_config_static_selectorELNS0_4arch9wavefront6targetE1EEEvSC_,comdat
	.protected	_ZN7rocprim17ROCPRIM_400000_NS6detail17trampoline_kernelINS0_14default_configENS1_35radix_sort_onesweep_config_selectorItNS0_10empty_typeEEEZNS1_34radix_sort_onesweep_global_offsetsIS3_Lb0EPtPS5_mNS0_19identity_decomposerEEE10hipError_tT1_T2_PT3_SE_jT4_jjP12ihipStream_tbEUlT_E_NS1_11comp_targetILNS1_3genE5ELNS1_11target_archE942ELNS1_3gpuE9ELNS1_3repE0EEENS1_52radix_sort_onesweep_histogram_config_static_selectorELNS0_4arch9wavefront6targetE1EEEvSC_ ; -- Begin function _ZN7rocprim17ROCPRIM_400000_NS6detail17trampoline_kernelINS0_14default_configENS1_35radix_sort_onesweep_config_selectorItNS0_10empty_typeEEEZNS1_34radix_sort_onesweep_global_offsetsIS3_Lb0EPtPS5_mNS0_19identity_decomposerEEE10hipError_tT1_T2_PT3_SE_jT4_jjP12ihipStream_tbEUlT_E_NS1_11comp_targetILNS1_3genE5ELNS1_11target_archE942ELNS1_3gpuE9ELNS1_3repE0EEENS1_52radix_sort_onesweep_histogram_config_static_selectorELNS0_4arch9wavefront6targetE1EEEvSC_
	.globl	_ZN7rocprim17ROCPRIM_400000_NS6detail17trampoline_kernelINS0_14default_configENS1_35radix_sort_onesweep_config_selectorItNS0_10empty_typeEEEZNS1_34radix_sort_onesweep_global_offsetsIS3_Lb0EPtPS5_mNS0_19identity_decomposerEEE10hipError_tT1_T2_PT3_SE_jT4_jjP12ihipStream_tbEUlT_E_NS1_11comp_targetILNS1_3genE5ELNS1_11target_archE942ELNS1_3gpuE9ELNS1_3repE0EEENS1_52radix_sort_onesweep_histogram_config_static_selectorELNS0_4arch9wavefront6targetE1EEEvSC_
	.p2align	8
	.type	_ZN7rocprim17ROCPRIM_400000_NS6detail17trampoline_kernelINS0_14default_configENS1_35radix_sort_onesweep_config_selectorItNS0_10empty_typeEEEZNS1_34radix_sort_onesweep_global_offsetsIS3_Lb0EPtPS5_mNS0_19identity_decomposerEEE10hipError_tT1_T2_PT3_SE_jT4_jjP12ihipStream_tbEUlT_E_NS1_11comp_targetILNS1_3genE5ELNS1_11target_archE942ELNS1_3gpuE9ELNS1_3repE0EEENS1_52radix_sort_onesweep_histogram_config_static_selectorELNS0_4arch9wavefront6targetE1EEEvSC_,@function
_ZN7rocprim17ROCPRIM_400000_NS6detail17trampoline_kernelINS0_14default_configENS1_35radix_sort_onesweep_config_selectorItNS0_10empty_typeEEEZNS1_34radix_sort_onesweep_global_offsetsIS3_Lb0EPtPS5_mNS0_19identity_decomposerEEE10hipError_tT1_T2_PT3_SE_jT4_jjP12ihipStream_tbEUlT_E_NS1_11comp_targetILNS1_3genE5ELNS1_11target_archE942ELNS1_3gpuE9ELNS1_3repE0EEENS1_52radix_sort_onesweep_histogram_config_static_selectorELNS0_4arch9wavefront6targetE1EEEvSC_: ; @_ZN7rocprim17ROCPRIM_400000_NS6detail17trampoline_kernelINS0_14default_configENS1_35radix_sort_onesweep_config_selectorItNS0_10empty_typeEEEZNS1_34radix_sort_onesweep_global_offsetsIS3_Lb0EPtPS5_mNS0_19identity_decomposerEEE10hipError_tT1_T2_PT3_SE_jT4_jjP12ihipStream_tbEUlT_E_NS1_11comp_targetILNS1_3genE5ELNS1_11target_archE942ELNS1_3gpuE9ELNS1_3repE0EEENS1_52radix_sort_onesweep_histogram_config_static_selectorELNS0_4arch9wavefront6targetE1EEEvSC_
; %bb.0:
	.section	.rodata,"a",@progbits
	.p2align	6, 0x0
	.amdhsa_kernel _ZN7rocprim17ROCPRIM_400000_NS6detail17trampoline_kernelINS0_14default_configENS1_35radix_sort_onesweep_config_selectorItNS0_10empty_typeEEEZNS1_34radix_sort_onesweep_global_offsetsIS3_Lb0EPtPS5_mNS0_19identity_decomposerEEE10hipError_tT1_T2_PT3_SE_jT4_jjP12ihipStream_tbEUlT_E_NS1_11comp_targetILNS1_3genE5ELNS1_11target_archE942ELNS1_3gpuE9ELNS1_3repE0EEENS1_52radix_sort_onesweep_histogram_config_static_selectorELNS0_4arch9wavefront6targetE1EEEvSC_
		.amdhsa_group_segment_fixed_size 0
		.amdhsa_private_segment_fixed_size 0
		.amdhsa_kernarg_size 48
		.amdhsa_user_sgpr_count 6
		.amdhsa_user_sgpr_private_segment_buffer 1
		.amdhsa_user_sgpr_dispatch_ptr 0
		.amdhsa_user_sgpr_queue_ptr 0
		.amdhsa_user_sgpr_kernarg_segment_ptr 1
		.amdhsa_user_sgpr_dispatch_id 0
		.amdhsa_user_sgpr_flat_scratch_init 0
		.amdhsa_user_sgpr_kernarg_preload_length 0
		.amdhsa_user_sgpr_kernarg_preload_offset 0
		.amdhsa_user_sgpr_private_segment_size 0
		.amdhsa_uses_dynamic_stack 0
		.amdhsa_system_sgpr_private_segment_wavefront_offset 0
		.amdhsa_system_sgpr_workgroup_id_x 1
		.amdhsa_system_sgpr_workgroup_id_y 0
		.amdhsa_system_sgpr_workgroup_id_z 0
		.amdhsa_system_sgpr_workgroup_info 0
		.amdhsa_system_vgpr_workitem_id 0
		.amdhsa_next_free_vgpr 1
		.amdhsa_next_free_sgpr 0
		.amdhsa_accum_offset 4
		.amdhsa_reserve_vcc 0
		.amdhsa_reserve_flat_scratch 0
		.amdhsa_float_round_mode_32 0
		.amdhsa_float_round_mode_16_64 0
		.amdhsa_float_denorm_mode_32 3
		.amdhsa_float_denorm_mode_16_64 3
		.amdhsa_dx10_clamp 1
		.amdhsa_ieee_mode 1
		.amdhsa_fp16_overflow 0
		.amdhsa_tg_split 0
		.amdhsa_exception_fp_ieee_invalid_op 0
		.amdhsa_exception_fp_denorm_src 0
		.amdhsa_exception_fp_ieee_div_zero 0
		.amdhsa_exception_fp_ieee_overflow 0
		.amdhsa_exception_fp_ieee_underflow 0
		.amdhsa_exception_fp_ieee_inexact 0
		.amdhsa_exception_int_div_zero 0
	.end_amdhsa_kernel
	.section	.text._ZN7rocprim17ROCPRIM_400000_NS6detail17trampoline_kernelINS0_14default_configENS1_35radix_sort_onesweep_config_selectorItNS0_10empty_typeEEEZNS1_34radix_sort_onesweep_global_offsetsIS3_Lb0EPtPS5_mNS0_19identity_decomposerEEE10hipError_tT1_T2_PT3_SE_jT4_jjP12ihipStream_tbEUlT_E_NS1_11comp_targetILNS1_3genE5ELNS1_11target_archE942ELNS1_3gpuE9ELNS1_3repE0EEENS1_52radix_sort_onesweep_histogram_config_static_selectorELNS0_4arch9wavefront6targetE1EEEvSC_,"axG",@progbits,_ZN7rocprim17ROCPRIM_400000_NS6detail17trampoline_kernelINS0_14default_configENS1_35radix_sort_onesweep_config_selectorItNS0_10empty_typeEEEZNS1_34radix_sort_onesweep_global_offsetsIS3_Lb0EPtPS5_mNS0_19identity_decomposerEEE10hipError_tT1_T2_PT3_SE_jT4_jjP12ihipStream_tbEUlT_E_NS1_11comp_targetILNS1_3genE5ELNS1_11target_archE942ELNS1_3gpuE9ELNS1_3repE0EEENS1_52radix_sort_onesweep_histogram_config_static_selectorELNS0_4arch9wavefront6targetE1EEEvSC_,comdat
.Lfunc_end524:
	.size	_ZN7rocprim17ROCPRIM_400000_NS6detail17trampoline_kernelINS0_14default_configENS1_35radix_sort_onesweep_config_selectorItNS0_10empty_typeEEEZNS1_34radix_sort_onesweep_global_offsetsIS3_Lb0EPtPS5_mNS0_19identity_decomposerEEE10hipError_tT1_T2_PT3_SE_jT4_jjP12ihipStream_tbEUlT_E_NS1_11comp_targetILNS1_3genE5ELNS1_11target_archE942ELNS1_3gpuE9ELNS1_3repE0EEENS1_52radix_sort_onesweep_histogram_config_static_selectorELNS0_4arch9wavefront6targetE1EEEvSC_, .Lfunc_end524-_ZN7rocprim17ROCPRIM_400000_NS6detail17trampoline_kernelINS0_14default_configENS1_35radix_sort_onesweep_config_selectorItNS0_10empty_typeEEEZNS1_34radix_sort_onesweep_global_offsetsIS3_Lb0EPtPS5_mNS0_19identity_decomposerEEE10hipError_tT1_T2_PT3_SE_jT4_jjP12ihipStream_tbEUlT_E_NS1_11comp_targetILNS1_3genE5ELNS1_11target_archE942ELNS1_3gpuE9ELNS1_3repE0EEENS1_52radix_sort_onesweep_histogram_config_static_selectorELNS0_4arch9wavefront6targetE1EEEvSC_
                                        ; -- End function
	.section	.AMDGPU.csdata,"",@progbits
; Kernel info:
; codeLenInByte = 0
; NumSgprs: 4
; NumVgprs: 0
; NumAgprs: 0
; TotalNumVgprs: 0
; ScratchSize: 0
; MemoryBound: 0
; FloatMode: 240
; IeeeMode: 1
; LDSByteSize: 0 bytes/workgroup (compile time only)
; SGPRBlocks: 0
; VGPRBlocks: 0
; NumSGPRsForWavesPerEU: 4
; NumVGPRsForWavesPerEU: 1
; AccumOffset: 4
; Occupancy: 8
; WaveLimiterHint : 0
; COMPUTE_PGM_RSRC2:SCRATCH_EN: 0
; COMPUTE_PGM_RSRC2:USER_SGPR: 6
; COMPUTE_PGM_RSRC2:TRAP_HANDLER: 0
; COMPUTE_PGM_RSRC2:TGID_X_EN: 1
; COMPUTE_PGM_RSRC2:TGID_Y_EN: 0
; COMPUTE_PGM_RSRC2:TGID_Z_EN: 0
; COMPUTE_PGM_RSRC2:TIDIG_COMP_CNT: 0
; COMPUTE_PGM_RSRC3_GFX90A:ACCUM_OFFSET: 0
; COMPUTE_PGM_RSRC3_GFX90A:TG_SPLIT: 0
	.section	.text._ZN7rocprim17ROCPRIM_400000_NS6detail17trampoline_kernelINS0_14default_configENS1_35radix_sort_onesweep_config_selectorItNS0_10empty_typeEEEZNS1_34radix_sort_onesweep_global_offsetsIS3_Lb0EPtPS5_mNS0_19identity_decomposerEEE10hipError_tT1_T2_PT3_SE_jT4_jjP12ihipStream_tbEUlT_E_NS1_11comp_targetILNS1_3genE2ELNS1_11target_archE906ELNS1_3gpuE6ELNS1_3repE0EEENS1_52radix_sort_onesweep_histogram_config_static_selectorELNS0_4arch9wavefront6targetE1EEEvSC_,"axG",@progbits,_ZN7rocprim17ROCPRIM_400000_NS6detail17trampoline_kernelINS0_14default_configENS1_35radix_sort_onesweep_config_selectorItNS0_10empty_typeEEEZNS1_34radix_sort_onesweep_global_offsetsIS3_Lb0EPtPS5_mNS0_19identity_decomposerEEE10hipError_tT1_T2_PT3_SE_jT4_jjP12ihipStream_tbEUlT_E_NS1_11comp_targetILNS1_3genE2ELNS1_11target_archE906ELNS1_3gpuE6ELNS1_3repE0EEENS1_52radix_sort_onesweep_histogram_config_static_selectorELNS0_4arch9wavefront6targetE1EEEvSC_,comdat
	.protected	_ZN7rocprim17ROCPRIM_400000_NS6detail17trampoline_kernelINS0_14default_configENS1_35radix_sort_onesweep_config_selectorItNS0_10empty_typeEEEZNS1_34radix_sort_onesweep_global_offsetsIS3_Lb0EPtPS5_mNS0_19identity_decomposerEEE10hipError_tT1_T2_PT3_SE_jT4_jjP12ihipStream_tbEUlT_E_NS1_11comp_targetILNS1_3genE2ELNS1_11target_archE906ELNS1_3gpuE6ELNS1_3repE0EEENS1_52radix_sort_onesweep_histogram_config_static_selectorELNS0_4arch9wavefront6targetE1EEEvSC_ ; -- Begin function _ZN7rocprim17ROCPRIM_400000_NS6detail17trampoline_kernelINS0_14default_configENS1_35radix_sort_onesweep_config_selectorItNS0_10empty_typeEEEZNS1_34radix_sort_onesweep_global_offsetsIS3_Lb0EPtPS5_mNS0_19identity_decomposerEEE10hipError_tT1_T2_PT3_SE_jT4_jjP12ihipStream_tbEUlT_E_NS1_11comp_targetILNS1_3genE2ELNS1_11target_archE906ELNS1_3gpuE6ELNS1_3repE0EEENS1_52radix_sort_onesweep_histogram_config_static_selectorELNS0_4arch9wavefront6targetE1EEEvSC_
	.globl	_ZN7rocprim17ROCPRIM_400000_NS6detail17trampoline_kernelINS0_14default_configENS1_35radix_sort_onesweep_config_selectorItNS0_10empty_typeEEEZNS1_34radix_sort_onesweep_global_offsetsIS3_Lb0EPtPS5_mNS0_19identity_decomposerEEE10hipError_tT1_T2_PT3_SE_jT4_jjP12ihipStream_tbEUlT_E_NS1_11comp_targetILNS1_3genE2ELNS1_11target_archE906ELNS1_3gpuE6ELNS1_3repE0EEENS1_52radix_sort_onesweep_histogram_config_static_selectorELNS0_4arch9wavefront6targetE1EEEvSC_
	.p2align	8
	.type	_ZN7rocprim17ROCPRIM_400000_NS6detail17trampoline_kernelINS0_14default_configENS1_35radix_sort_onesweep_config_selectorItNS0_10empty_typeEEEZNS1_34radix_sort_onesweep_global_offsetsIS3_Lb0EPtPS5_mNS0_19identity_decomposerEEE10hipError_tT1_T2_PT3_SE_jT4_jjP12ihipStream_tbEUlT_E_NS1_11comp_targetILNS1_3genE2ELNS1_11target_archE906ELNS1_3gpuE6ELNS1_3repE0EEENS1_52radix_sort_onesweep_histogram_config_static_selectorELNS0_4arch9wavefront6targetE1EEEvSC_,@function
_ZN7rocprim17ROCPRIM_400000_NS6detail17trampoline_kernelINS0_14default_configENS1_35radix_sort_onesweep_config_selectorItNS0_10empty_typeEEEZNS1_34radix_sort_onesweep_global_offsetsIS3_Lb0EPtPS5_mNS0_19identity_decomposerEEE10hipError_tT1_T2_PT3_SE_jT4_jjP12ihipStream_tbEUlT_E_NS1_11comp_targetILNS1_3genE2ELNS1_11target_archE906ELNS1_3gpuE6ELNS1_3repE0EEENS1_52radix_sort_onesweep_histogram_config_static_selectorELNS0_4arch9wavefront6targetE1EEEvSC_: ; @_ZN7rocprim17ROCPRIM_400000_NS6detail17trampoline_kernelINS0_14default_configENS1_35radix_sort_onesweep_config_selectorItNS0_10empty_typeEEEZNS1_34radix_sort_onesweep_global_offsetsIS3_Lb0EPtPS5_mNS0_19identity_decomposerEEE10hipError_tT1_T2_PT3_SE_jT4_jjP12ihipStream_tbEUlT_E_NS1_11comp_targetILNS1_3genE2ELNS1_11target_archE906ELNS1_3gpuE6ELNS1_3repE0EEENS1_52radix_sort_onesweep_histogram_config_static_selectorELNS0_4arch9wavefront6targetE1EEEvSC_
; %bb.0:
	.section	.rodata,"a",@progbits
	.p2align	6, 0x0
	.amdhsa_kernel _ZN7rocprim17ROCPRIM_400000_NS6detail17trampoline_kernelINS0_14default_configENS1_35radix_sort_onesweep_config_selectorItNS0_10empty_typeEEEZNS1_34radix_sort_onesweep_global_offsetsIS3_Lb0EPtPS5_mNS0_19identity_decomposerEEE10hipError_tT1_T2_PT3_SE_jT4_jjP12ihipStream_tbEUlT_E_NS1_11comp_targetILNS1_3genE2ELNS1_11target_archE906ELNS1_3gpuE6ELNS1_3repE0EEENS1_52radix_sort_onesweep_histogram_config_static_selectorELNS0_4arch9wavefront6targetE1EEEvSC_
		.amdhsa_group_segment_fixed_size 0
		.amdhsa_private_segment_fixed_size 0
		.amdhsa_kernarg_size 48
		.amdhsa_user_sgpr_count 6
		.amdhsa_user_sgpr_private_segment_buffer 1
		.amdhsa_user_sgpr_dispatch_ptr 0
		.amdhsa_user_sgpr_queue_ptr 0
		.amdhsa_user_sgpr_kernarg_segment_ptr 1
		.amdhsa_user_sgpr_dispatch_id 0
		.amdhsa_user_sgpr_flat_scratch_init 0
		.amdhsa_user_sgpr_kernarg_preload_length 0
		.amdhsa_user_sgpr_kernarg_preload_offset 0
		.amdhsa_user_sgpr_private_segment_size 0
		.amdhsa_uses_dynamic_stack 0
		.amdhsa_system_sgpr_private_segment_wavefront_offset 0
		.amdhsa_system_sgpr_workgroup_id_x 1
		.amdhsa_system_sgpr_workgroup_id_y 0
		.amdhsa_system_sgpr_workgroup_id_z 0
		.amdhsa_system_sgpr_workgroup_info 0
		.amdhsa_system_vgpr_workitem_id 0
		.amdhsa_next_free_vgpr 1
		.amdhsa_next_free_sgpr 0
		.amdhsa_accum_offset 4
		.amdhsa_reserve_vcc 0
		.amdhsa_reserve_flat_scratch 0
		.amdhsa_float_round_mode_32 0
		.amdhsa_float_round_mode_16_64 0
		.amdhsa_float_denorm_mode_32 3
		.amdhsa_float_denorm_mode_16_64 3
		.amdhsa_dx10_clamp 1
		.amdhsa_ieee_mode 1
		.amdhsa_fp16_overflow 0
		.amdhsa_tg_split 0
		.amdhsa_exception_fp_ieee_invalid_op 0
		.amdhsa_exception_fp_denorm_src 0
		.amdhsa_exception_fp_ieee_div_zero 0
		.amdhsa_exception_fp_ieee_overflow 0
		.amdhsa_exception_fp_ieee_underflow 0
		.amdhsa_exception_fp_ieee_inexact 0
		.amdhsa_exception_int_div_zero 0
	.end_amdhsa_kernel
	.section	.text._ZN7rocprim17ROCPRIM_400000_NS6detail17trampoline_kernelINS0_14default_configENS1_35radix_sort_onesweep_config_selectorItNS0_10empty_typeEEEZNS1_34radix_sort_onesweep_global_offsetsIS3_Lb0EPtPS5_mNS0_19identity_decomposerEEE10hipError_tT1_T2_PT3_SE_jT4_jjP12ihipStream_tbEUlT_E_NS1_11comp_targetILNS1_3genE2ELNS1_11target_archE906ELNS1_3gpuE6ELNS1_3repE0EEENS1_52radix_sort_onesweep_histogram_config_static_selectorELNS0_4arch9wavefront6targetE1EEEvSC_,"axG",@progbits,_ZN7rocprim17ROCPRIM_400000_NS6detail17trampoline_kernelINS0_14default_configENS1_35radix_sort_onesweep_config_selectorItNS0_10empty_typeEEEZNS1_34radix_sort_onesweep_global_offsetsIS3_Lb0EPtPS5_mNS0_19identity_decomposerEEE10hipError_tT1_T2_PT3_SE_jT4_jjP12ihipStream_tbEUlT_E_NS1_11comp_targetILNS1_3genE2ELNS1_11target_archE906ELNS1_3gpuE6ELNS1_3repE0EEENS1_52radix_sort_onesweep_histogram_config_static_selectorELNS0_4arch9wavefront6targetE1EEEvSC_,comdat
.Lfunc_end525:
	.size	_ZN7rocprim17ROCPRIM_400000_NS6detail17trampoline_kernelINS0_14default_configENS1_35radix_sort_onesweep_config_selectorItNS0_10empty_typeEEEZNS1_34radix_sort_onesweep_global_offsetsIS3_Lb0EPtPS5_mNS0_19identity_decomposerEEE10hipError_tT1_T2_PT3_SE_jT4_jjP12ihipStream_tbEUlT_E_NS1_11comp_targetILNS1_3genE2ELNS1_11target_archE906ELNS1_3gpuE6ELNS1_3repE0EEENS1_52radix_sort_onesweep_histogram_config_static_selectorELNS0_4arch9wavefront6targetE1EEEvSC_, .Lfunc_end525-_ZN7rocprim17ROCPRIM_400000_NS6detail17trampoline_kernelINS0_14default_configENS1_35radix_sort_onesweep_config_selectorItNS0_10empty_typeEEEZNS1_34radix_sort_onesweep_global_offsetsIS3_Lb0EPtPS5_mNS0_19identity_decomposerEEE10hipError_tT1_T2_PT3_SE_jT4_jjP12ihipStream_tbEUlT_E_NS1_11comp_targetILNS1_3genE2ELNS1_11target_archE906ELNS1_3gpuE6ELNS1_3repE0EEENS1_52radix_sort_onesweep_histogram_config_static_selectorELNS0_4arch9wavefront6targetE1EEEvSC_
                                        ; -- End function
	.section	.AMDGPU.csdata,"",@progbits
; Kernel info:
; codeLenInByte = 0
; NumSgprs: 4
; NumVgprs: 0
; NumAgprs: 0
; TotalNumVgprs: 0
; ScratchSize: 0
; MemoryBound: 0
; FloatMode: 240
; IeeeMode: 1
; LDSByteSize: 0 bytes/workgroup (compile time only)
; SGPRBlocks: 0
; VGPRBlocks: 0
; NumSGPRsForWavesPerEU: 4
; NumVGPRsForWavesPerEU: 1
; AccumOffset: 4
; Occupancy: 8
; WaveLimiterHint : 0
; COMPUTE_PGM_RSRC2:SCRATCH_EN: 0
; COMPUTE_PGM_RSRC2:USER_SGPR: 6
; COMPUTE_PGM_RSRC2:TRAP_HANDLER: 0
; COMPUTE_PGM_RSRC2:TGID_X_EN: 1
; COMPUTE_PGM_RSRC2:TGID_Y_EN: 0
; COMPUTE_PGM_RSRC2:TGID_Z_EN: 0
; COMPUTE_PGM_RSRC2:TIDIG_COMP_CNT: 0
; COMPUTE_PGM_RSRC3_GFX90A:ACCUM_OFFSET: 0
; COMPUTE_PGM_RSRC3_GFX90A:TG_SPLIT: 0
	.section	.text._ZN7rocprim17ROCPRIM_400000_NS6detail17trampoline_kernelINS0_14default_configENS1_35radix_sort_onesweep_config_selectorItNS0_10empty_typeEEEZNS1_34radix_sort_onesweep_global_offsetsIS3_Lb0EPtPS5_mNS0_19identity_decomposerEEE10hipError_tT1_T2_PT3_SE_jT4_jjP12ihipStream_tbEUlT_E_NS1_11comp_targetILNS1_3genE4ELNS1_11target_archE910ELNS1_3gpuE8ELNS1_3repE0EEENS1_52radix_sort_onesweep_histogram_config_static_selectorELNS0_4arch9wavefront6targetE1EEEvSC_,"axG",@progbits,_ZN7rocprim17ROCPRIM_400000_NS6detail17trampoline_kernelINS0_14default_configENS1_35radix_sort_onesweep_config_selectorItNS0_10empty_typeEEEZNS1_34radix_sort_onesweep_global_offsetsIS3_Lb0EPtPS5_mNS0_19identity_decomposerEEE10hipError_tT1_T2_PT3_SE_jT4_jjP12ihipStream_tbEUlT_E_NS1_11comp_targetILNS1_3genE4ELNS1_11target_archE910ELNS1_3gpuE8ELNS1_3repE0EEENS1_52radix_sort_onesweep_histogram_config_static_selectorELNS0_4arch9wavefront6targetE1EEEvSC_,comdat
	.protected	_ZN7rocprim17ROCPRIM_400000_NS6detail17trampoline_kernelINS0_14default_configENS1_35radix_sort_onesweep_config_selectorItNS0_10empty_typeEEEZNS1_34radix_sort_onesweep_global_offsetsIS3_Lb0EPtPS5_mNS0_19identity_decomposerEEE10hipError_tT1_T2_PT3_SE_jT4_jjP12ihipStream_tbEUlT_E_NS1_11comp_targetILNS1_3genE4ELNS1_11target_archE910ELNS1_3gpuE8ELNS1_3repE0EEENS1_52radix_sort_onesweep_histogram_config_static_selectorELNS0_4arch9wavefront6targetE1EEEvSC_ ; -- Begin function _ZN7rocprim17ROCPRIM_400000_NS6detail17trampoline_kernelINS0_14default_configENS1_35radix_sort_onesweep_config_selectorItNS0_10empty_typeEEEZNS1_34radix_sort_onesweep_global_offsetsIS3_Lb0EPtPS5_mNS0_19identity_decomposerEEE10hipError_tT1_T2_PT3_SE_jT4_jjP12ihipStream_tbEUlT_E_NS1_11comp_targetILNS1_3genE4ELNS1_11target_archE910ELNS1_3gpuE8ELNS1_3repE0EEENS1_52radix_sort_onesweep_histogram_config_static_selectorELNS0_4arch9wavefront6targetE1EEEvSC_
	.globl	_ZN7rocprim17ROCPRIM_400000_NS6detail17trampoline_kernelINS0_14default_configENS1_35radix_sort_onesweep_config_selectorItNS0_10empty_typeEEEZNS1_34radix_sort_onesweep_global_offsetsIS3_Lb0EPtPS5_mNS0_19identity_decomposerEEE10hipError_tT1_T2_PT3_SE_jT4_jjP12ihipStream_tbEUlT_E_NS1_11comp_targetILNS1_3genE4ELNS1_11target_archE910ELNS1_3gpuE8ELNS1_3repE0EEENS1_52radix_sort_onesweep_histogram_config_static_selectorELNS0_4arch9wavefront6targetE1EEEvSC_
	.p2align	8
	.type	_ZN7rocprim17ROCPRIM_400000_NS6detail17trampoline_kernelINS0_14default_configENS1_35radix_sort_onesweep_config_selectorItNS0_10empty_typeEEEZNS1_34radix_sort_onesweep_global_offsetsIS3_Lb0EPtPS5_mNS0_19identity_decomposerEEE10hipError_tT1_T2_PT3_SE_jT4_jjP12ihipStream_tbEUlT_E_NS1_11comp_targetILNS1_3genE4ELNS1_11target_archE910ELNS1_3gpuE8ELNS1_3repE0EEENS1_52radix_sort_onesweep_histogram_config_static_selectorELNS0_4arch9wavefront6targetE1EEEvSC_,@function
_ZN7rocprim17ROCPRIM_400000_NS6detail17trampoline_kernelINS0_14default_configENS1_35radix_sort_onesweep_config_selectorItNS0_10empty_typeEEEZNS1_34radix_sort_onesweep_global_offsetsIS3_Lb0EPtPS5_mNS0_19identity_decomposerEEE10hipError_tT1_T2_PT3_SE_jT4_jjP12ihipStream_tbEUlT_E_NS1_11comp_targetILNS1_3genE4ELNS1_11target_archE910ELNS1_3gpuE8ELNS1_3repE0EEENS1_52radix_sort_onesweep_histogram_config_static_selectorELNS0_4arch9wavefront6targetE1EEEvSC_: ; @_ZN7rocprim17ROCPRIM_400000_NS6detail17trampoline_kernelINS0_14default_configENS1_35radix_sort_onesweep_config_selectorItNS0_10empty_typeEEEZNS1_34radix_sort_onesweep_global_offsetsIS3_Lb0EPtPS5_mNS0_19identity_decomposerEEE10hipError_tT1_T2_PT3_SE_jT4_jjP12ihipStream_tbEUlT_E_NS1_11comp_targetILNS1_3genE4ELNS1_11target_archE910ELNS1_3gpuE8ELNS1_3repE0EEENS1_52radix_sort_onesweep_histogram_config_static_selectorELNS0_4arch9wavefront6targetE1EEEvSC_
; %bb.0:
	s_load_dwordx2 s[10:11], s[4:5], 0x18
	s_load_dwordx4 s[0:3], s[4:5], 0x0
	s_load_dwordx2 s[8:9], s[4:5], 0x24
	v_mov_b32_e32 v2, s6
	v_mov_b32_e32 v3, 0
	s_mul_hi_u32 s7, s6, 0x6000
	s_mulk_i32 s6, 0x6000
	s_waitcnt lgkmcnt(0)
	v_cmp_le_u64_e32 vcc, s[10:11], v[2:3]
	s_add_u32 s6, s0, s6
	s_addc_u32 s7, s1, s7
	s_mov_b64 s[0:1], -1
	s_cbranch_vccz .LBB526_115
; %bb.1:
	s_load_dword s14, s[4:5], 0x10
	s_mul_i32 s0, s10, 0xffffd000
                                        ; implicit-def: $vgpr23
	s_waitcnt lgkmcnt(0)
	s_add_i32 s14, s14, s0
	v_cmp_gt_u32_e32 vcc, s14, v0
	s_and_saveexec_b64 s[0:1], vcc
	s_cbranch_execz .LBB526_3
; %bb.2:
	v_lshlrev_b32_e32 v1, 1, v0
	global_load_ushort v23, v1, s[6:7]
.LBB526_3:
	s_or_b64 exec, exec, s[0:1]
	v_or_b32_e32 v24, 0x400, v0
	v_cmp_gt_u32_e32 vcc, s14, v24
                                        ; implicit-def: $vgpr21
	s_and_saveexec_b64 s[0:1], vcc
	s_cbranch_execz .LBB526_5
; %bb.4:
	v_lshlrev_b32_e32 v1, 1, v0
	global_load_ushort v21, v1, s[6:7] offset:2048
.LBB526_5:
	s_or_b64 exec, exec, s[0:1]
	v_or_b32_e32 v22, 0x800, v0
	v_cmp_gt_u32_e32 vcc, s14, v22
                                        ; implicit-def: $vgpr19
	s_and_saveexec_b64 s[0:1], vcc
	s_cbranch_execz .LBB526_7
; %bb.6:
	v_lshlrev_b32_e32 v1, 1, v22
	global_load_ushort v19, v1, s[6:7]
.LBB526_7:
	s_or_b64 exec, exec, s[0:1]
	v_or_b32_e32 v20, 0xc00, v0
	v_cmp_gt_u32_e32 vcc, s14, v20
                                        ; implicit-def: $vgpr17
	s_and_saveexec_b64 s[0:1], vcc
	s_cbranch_execz .LBB526_9
; %bb.8:
	v_lshlrev_b32_e32 v1, 1, v20
	global_load_ushort v17, v1, s[6:7]
.LBB526_9:
	s_or_b64 exec, exec, s[0:1]
	v_or_b32_e32 v18, 0x1000, v0
	v_cmp_gt_u32_e32 vcc, s14, v18
                                        ; implicit-def: $vgpr15
	s_and_saveexec_b64 s[0:1], vcc
	s_cbranch_execz .LBB526_11
; %bb.10:
	v_lshlrev_b32_e32 v1, 1, v18
	global_load_ushort v15, v1, s[6:7]
.LBB526_11:
	s_or_b64 exec, exec, s[0:1]
	v_or_b32_e32 v16, 0x1400, v0
	v_cmp_gt_u32_e32 vcc, s14, v16
                                        ; implicit-def: $vgpr13
	s_and_saveexec_b64 s[0:1], vcc
	s_cbranch_execz .LBB526_13
; %bb.12:
	v_lshlrev_b32_e32 v1, 1, v16
	global_load_ushort v13, v1, s[6:7]
.LBB526_13:
	s_or_b64 exec, exec, s[0:1]
	v_or_b32_e32 v14, 0x1800, v0
	v_cmp_gt_u32_e32 vcc, s14, v14
                                        ; implicit-def: $vgpr11
	s_and_saveexec_b64 s[0:1], vcc
	s_cbranch_execz .LBB526_15
; %bb.14:
	v_lshlrev_b32_e32 v1, 1, v14
	global_load_ushort v11, v1, s[6:7]
.LBB526_15:
	s_or_b64 exec, exec, s[0:1]
	v_or_b32_e32 v12, 0x1c00, v0
	v_cmp_gt_u32_e32 vcc, s14, v12
                                        ; implicit-def: $vgpr9
	s_and_saveexec_b64 s[0:1], vcc
	s_cbranch_execz .LBB526_17
; %bb.16:
	v_lshlrev_b32_e32 v1, 1, v12
	global_load_ushort v9, v1, s[6:7]
.LBB526_17:
	s_or_b64 exec, exec, s[0:1]
	v_or_b32_e32 v10, 0x2000, v0
	v_cmp_gt_u32_e32 vcc, s14, v10
                                        ; implicit-def: $vgpr7
	s_and_saveexec_b64 s[0:1], vcc
	s_cbranch_execz .LBB526_19
; %bb.18:
	v_lshlrev_b32_e32 v1, 1, v10
	global_load_ushort v7, v1, s[6:7]
.LBB526_19:
	s_or_b64 exec, exec, s[0:1]
	v_or_b32_e32 v8, 0x2400, v0
	v_cmp_gt_u32_e32 vcc, s14, v8
                                        ; implicit-def: $vgpr5
	s_and_saveexec_b64 s[0:1], vcc
	s_cbranch_execz .LBB526_21
; %bb.20:
	v_lshlrev_b32_e32 v1, 1, v8
	global_load_ushort v5, v1, s[6:7]
.LBB526_21:
	s_or_b64 exec, exec, s[0:1]
	v_or_b32_e32 v6, 0x2800, v0
	v_cmp_gt_u32_e32 vcc, s14, v6
                                        ; implicit-def: $vgpr3
	s_and_saveexec_b64 s[0:1], vcc
	s_cbranch_execz .LBB526_23
; %bb.22:
	v_lshlrev_b32_e32 v1, 1, v6
	global_load_ushort v3, v1, s[6:7]
.LBB526_23:
	s_or_b64 exec, exec, s[0:1]
	v_or_b32_e32 v4, 0x2c00, v0
	v_cmp_gt_u32_e32 vcc, s14, v4
                                        ; implicit-def: $vgpr1
	s_and_saveexec_b64 s[0:1], vcc
	s_cbranch_execz .LBB526_25
; %bb.24:
	v_lshlrev_b32_e32 v1, 1, v4
	global_load_ushort v1, v1, s[6:7]
.LBB526_25:
	s_or_b64 exec, exec, s[0:1]
	s_cmp_le_u32 s9, s8
	s_cselect_b64 s[4:5], -1, 0
	v_cmp_le_u32_e32 vcc, s14, v0
	s_and_b64 s[0:1], s[4:5], exec
	v_lshlrev_b32_e32 v25, 2, v0
	v_mov_b32_e32 v26, 0
	s_cselect_b32 s15, 8, 10
	s_or_b64 s[0:1], s[4:5], vcc
	v_and_b32_e32 v2, 3, v0
	ds_write2st64_b32 v25, v26, v26 offset1:16
	s_xor_b64 s[10:11], s[0:1], -1
	v_mov_b32_e32 v25, s15
	s_waitcnt lgkmcnt(0)
	s_barrier
	s_and_saveexec_b64 s[0:1], s[10:11]
	s_cbranch_execz .LBB526_27
; %bb.26:
	s_sub_i32 s10, s9, s8
	s_min_u32 s10, s10, 8
	s_waitcnt vmcnt(0)
	v_lshrrev_b32_sdwa v25, s8, v23 dst_sel:DWORD dst_unused:UNUSED_PAD src0_sel:DWORD src1_sel:WORD_0
	v_bfe_u32 v25, v25, 0, s10
	v_lshlrev_b32_e32 v26, 2, v2
	v_lshl_or_b32 v25, v25, 4, v26
	v_mov_b32_e32 v26, 1
	ds_add_u32 v25, v26
	v_mov_b32_e32 v25, 0
.LBB526_27:
	s_or_b64 exec, exec, s[0:1]
	v_cmp_gt_i32_e64 s[0:1], 10, v25
	s_mov_b64 s[10:11], -1
	s_and_saveexec_b64 s[12:13], s[0:1]
; %bb.28:
	v_cmp_eq_u32_e64 s[0:1], 0, v25
	s_orn2_b64 s[10:11], s[0:1], exec
; %bb.29:
	s_or_b64 exec, exec, s[12:13]
	s_and_saveexec_b64 s[0:1], s[10:11]
	s_cbranch_execz .LBB526_32
; %bb.30:
	s_add_i32 s10, s8, 8
	s_cmp_gt_u32 s9, s10
	s_cselect_b64 s[12:13], -1, 0
	s_xor_b64 s[16:17], vcc, -1
	s_and_b64 s[12:13], s[12:13], s[16:17]
	s_and_b64 exec, exec, s[12:13]
	s_cbranch_execz .LBB526_32
; %bb.31:
	s_sub_i32 s11, s9, s10
	s_min_u32 s11, s11, 8
	s_waitcnt vmcnt(0)
	v_lshrrev_b32_sdwa v23, s10, v23 dst_sel:DWORD dst_unused:UNUSED_PAD src0_sel:DWORD src1_sel:WORD_0
	v_bfe_u32 v23, v23, 0, s11
	v_lshlrev_b32_e32 v25, 2, v2
	v_lshl_or_b32 v23, v23, 4, v25
	v_mov_b32_e32 v25, 1
	ds_add_u32 v23, v25 offset:4096
.LBB526_32:
	s_or_b64 exec, exec, s[0:1]
	v_cmp_le_u32_e32 vcc, s14, v24
	s_or_b64 s[0:1], s[4:5], vcc
	s_xor_b64 s[10:11], s[0:1], -1
	s_waitcnt vmcnt(0)
	v_mov_b32_e32 v23, s15
	s_and_saveexec_b64 s[0:1], s[10:11]
	s_cbranch_execz .LBB526_34
; %bb.33:
	s_sub_i32 s10, s9, s8
	s_min_u32 s10, s10, 8
	v_lshrrev_b32_sdwa v23, s8, v21 dst_sel:DWORD dst_unused:UNUSED_PAD src0_sel:DWORD src1_sel:WORD_0
	v_bfe_u32 v23, v23, 0, s10
	v_lshlrev_b32_e32 v24, 2, v2
	v_lshl_or_b32 v23, v23, 4, v24
	v_mov_b32_e32 v24, 1
	ds_add_u32 v23, v24
	v_mov_b32_e32 v23, 0
.LBB526_34:
	s_or_b64 exec, exec, s[0:1]
	v_cmp_gt_i32_e64 s[0:1], 10, v23
	s_mov_b64 s[10:11], -1
	s_and_saveexec_b64 s[12:13], s[0:1]
; %bb.35:
	v_cmp_eq_u32_e64 s[0:1], 0, v23
	s_orn2_b64 s[10:11], s[0:1], exec
; %bb.36:
	s_or_b64 exec, exec, s[12:13]
	s_and_saveexec_b64 s[0:1], s[10:11]
	s_cbranch_execz .LBB526_39
; %bb.37:
	s_add_i32 s10, s8, 8
	s_cmp_gt_u32 s9, s10
	s_cselect_b64 s[12:13], -1, 0
	s_xor_b64 s[16:17], vcc, -1
	s_and_b64 s[12:13], s[12:13], s[16:17]
	s_and_b64 exec, exec, s[12:13]
	s_cbranch_execz .LBB526_39
; %bb.38:
	s_sub_i32 s11, s9, s10
	s_min_u32 s11, s11, 8
	v_lshrrev_b32_sdwa v21, s10, v21 dst_sel:DWORD dst_unused:UNUSED_PAD src0_sel:DWORD src1_sel:WORD_0
	v_bfe_u32 v21, v21, 0, s11
	v_lshlrev_b32_e32 v23, 2, v2
	v_lshl_or_b32 v21, v21, 4, v23
	v_mov_b32_e32 v23, 1
	ds_add_u32 v21, v23 offset:4096
.LBB526_39:
	s_or_b64 exec, exec, s[0:1]
	v_cmp_le_u32_e32 vcc, s14, v22
	s_or_b64 s[0:1], s[4:5], vcc
	s_xor_b64 s[10:11], s[0:1], -1
	v_mov_b32_e32 v21, s15
	s_and_saveexec_b64 s[0:1], s[10:11]
	s_cbranch_execz .LBB526_41
; %bb.40:
	s_sub_i32 s10, s9, s8
	s_min_u32 s10, s10, 8
	v_lshrrev_b32_sdwa v21, s8, v19 dst_sel:DWORD dst_unused:UNUSED_PAD src0_sel:DWORD src1_sel:WORD_0
	v_bfe_u32 v21, v21, 0, s10
	v_lshlrev_b32_e32 v22, 2, v2
	v_lshl_or_b32 v21, v21, 4, v22
	v_mov_b32_e32 v22, 1
	ds_add_u32 v21, v22
	v_mov_b32_e32 v21, 0
.LBB526_41:
	s_or_b64 exec, exec, s[0:1]
	v_cmp_gt_i32_e64 s[0:1], 10, v21
	s_mov_b64 s[10:11], -1
	s_and_saveexec_b64 s[12:13], s[0:1]
; %bb.42:
	v_cmp_eq_u32_e64 s[0:1], 0, v21
	s_orn2_b64 s[10:11], s[0:1], exec
; %bb.43:
	s_or_b64 exec, exec, s[12:13]
	s_and_saveexec_b64 s[0:1], s[10:11]
	s_cbranch_execz .LBB526_46
; %bb.44:
	s_add_i32 s10, s8, 8
	s_cmp_gt_u32 s9, s10
	s_cselect_b64 s[12:13], -1, 0
	s_xor_b64 s[16:17], vcc, -1
	s_and_b64 s[12:13], s[12:13], s[16:17]
	s_and_b64 exec, exec, s[12:13]
	s_cbranch_execz .LBB526_46
; %bb.45:
	s_sub_i32 s11, s9, s10
	s_min_u32 s11, s11, 8
	v_lshrrev_b32_sdwa v19, s10, v19 dst_sel:DWORD dst_unused:UNUSED_PAD src0_sel:DWORD src1_sel:WORD_0
	v_bfe_u32 v19, v19, 0, s11
	v_lshlrev_b32_e32 v21, 2, v2
	v_lshl_or_b32 v19, v19, 4, v21
	v_mov_b32_e32 v21, 1
	ds_add_u32 v19, v21 offset:4096
.LBB526_46:
	s_or_b64 exec, exec, s[0:1]
	v_cmp_le_u32_e32 vcc, s14, v20
	s_or_b64 s[0:1], s[4:5], vcc
	s_xor_b64 s[10:11], s[0:1], -1
	;; [unrolled: 47-line block ×10, first 2 shown]
	v_mov_b32_e32 v3, s15
	s_and_saveexec_b64 s[0:1], s[4:5]
	s_cbranch_execz .LBB526_104
; %bb.103:
	s_sub_i32 s4, s9, s8
	s_min_u32 s4, s4, 8
	v_lshrrev_b32_sdwa v3, s8, v1 dst_sel:DWORD dst_unused:UNUSED_PAD src0_sel:DWORD src1_sel:WORD_0
	v_bfe_u32 v3, v3, 0, s4
	v_lshlrev_b32_e32 v4, 2, v2
	v_lshl_or_b32 v3, v3, 4, v4
	v_mov_b32_e32 v4, 1
	ds_add_u32 v3, v4
	v_mov_b32_e32 v3, 0
.LBB526_104:
	s_or_b64 exec, exec, s[0:1]
	v_cmp_gt_i32_e64 s[0:1], 10, v3
	s_mov_b64 s[4:5], -1
	s_and_saveexec_b64 s[10:11], s[0:1]
; %bb.105:
	v_cmp_eq_u32_e64 s[0:1], 0, v3
	s_orn2_b64 s[4:5], s[0:1], exec
; %bb.106:
	s_or_b64 exec, exec, s[10:11]
	s_and_saveexec_b64 s[0:1], s[4:5]
	s_cbranch_execz .LBB526_109
; %bb.107:
	s_add_i32 s4, s8, 8
	s_cmp_gt_u32 s9, s4
	s_cselect_b64 s[10:11], -1, 0
	s_xor_b64 s[12:13], vcc, -1
	s_and_b64 s[10:11], s[10:11], s[12:13]
	s_and_b64 exec, exec, s[10:11]
	s_cbranch_execz .LBB526_109
; %bb.108:
	s_sub_i32 s5, s9, s4
	s_min_u32 s5, s5, 8
	v_lshrrev_b32_sdwa v1, s4, v1 dst_sel:DWORD dst_unused:UNUSED_PAD src0_sel:DWORD src1_sel:WORD_0
	v_bfe_u32 v1, v1, 0, s5
	v_lshlrev_b32_e32 v2, 2, v2
	v_lshl_or_b32 v1, v1, 4, v2
	v_mov_b32_e32 v2, 1
	ds_add_u32 v1, v2 offset:4096
.LBB526_109:
	s_or_b64 exec, exec, s[0:1]
	s_cmp_gt_u32 s9, s8
	s_waitcnt lgkmcnt(0)
	s_barrier
	s_cbranch_scc0 .LBB526_114
; %bb.110:
	s_movk_i32 s0, 0x100
	v_cmp_gt_u32_e32 vcc, s0, v0
	v_lshlrev_b32_e32 v1, 4, v0
	v_mov_b32_e32 v3, 0
	v_mov_b32_e32 v2, v0
	s_mov_b32 s10, s8
	s_branch .LBB526_112
.LBB526_111:                            ;   in Loop: Header=BB526_112 Depth=1
	s_or_b64 exec, exec, s[4:5]
	s_add_i32 s10, s10, 8
	v_add_u32_e32 v2, 0x100, v2
	s_cmp_lt_u32 s10, s9
	v_add_u32_e32 v1, 0x1000, v1
	s_cbranch_scc0 .LBB526_114
.LBB526_112:                            ; =>This Inner Loop Header: Depth=1
	s_and_saveexec_b64 s[4:5], vcc
	s_cbranch_execz .LBB526_111
; %bb.113:                              ;   in Loop: Header=BB526_112 Depth=1
	ds_read2_b32 v[4:5], v1 offset1:1
	ds_read2_b32 v[6:7], v1 offset0:2 offset1:3
	v_lshlrev_b64 v[8:9], 3, v[2:3]
	v_mov_b32_e32 v10, s3
	s_waitcnt lgkmcnt(1)
	v_add_u32_e32 v4, v5, v4
	s_waitcnt lgkmcnt(0)
	v_add3_u32 v4, v4, v6, v7
	v_add_co_u32_e64 v6, s[0:1], s2, v8
	v_addc_co_u32_e64 v7, s[0:1], v10, v9, s[0:1]
	v_mov_b32_e32 v5, v3
	global_atomic_add_x2 v[6:7], v[4:5], off
	s_branch .LBB526_111
.LBB526_114:
	s_mov_b64 s[0:1], 0
.LBB526_115:
	s_and_b64 vcc, exec, s[0:1]
	s_cbranch_vccz .LBB526_151
; %bb.116:
	v_lshlrev_b32_e32 v1, 1, v0
	v_mov_b32_e32 v2, s7
	v_add_co_u32_e32 v4, vcc, s6, v1
	v_addc_co_u32_e32 v9, vcc, 0, v2, vcc
	v_add_co_u32_e32 v2, vcc, 0x1000, v4
	v_addc_co_u32_e32 v3, vcc, 0, v9, vcc
	;; [unrolled: 2-line block ×4, first 2 shown]
	global_load_ushort v15, v1, s[6:7]
	global_load_ushort v14, v1, s[6:7] offset:2048
	global_load_ushort v13, v[2:3], off
	global_load_ushort v12, v[2:3], off offset:2048
	global_load_ushort v11, v[6:7], off
	global_load_ushort v10, v[6:7], off offset:2048
	;; [unrolled: 2-line block ×3, first 2 shown]
	v_add_co_u32_e32 v2, vcc, 0x4000, v4
	v_addc_co_u32_e32 v3, vcc, 0, v9, vcc
	v_add_co_u32_e32 v16, vcc, 0x5000, v4
	v_addc_co_u32_e32 v17, vcc, 0, v9, vcc
	global_load_ushort v9, v[2:3], off
	global_load_ushort v7, v[2:3], off offset:2048
	global_load_ushort v4, v[16:17], off
	global_load_ushort v1, v[16:17], off offset:2048
	s_cmp_eq_u32 s8, 0
	s_cselect_b64 s[0:1], -1, 0
	s_cmp_eq_u32 s9, 16
	s_cselect_b64 s[4:5], -1, 0
	s_and_b64 s[4:5], s[0:1], s[4:5]
	v_mov_b32_e32 v2, 0
	v_lshlrev_b32_e32 v3, 2, v0
	v_and_b32_e32 v6, 3, v0
	s_mov_b64 s[0:1], -1
	s_and_b64 vcc, exec, s[4:5]
	ds_write2st64_b32 v3, v2, v2 offset1:16
	s_waitcnt lgkmcnt(0)
	s_cbranch_vccnz .LBB526_148
; %bb.117:
	s_cmp_gt_u32 s9, s8
	s_cselect_b64 s[4:5], -1, 0
	s_and_b64 vcc, exec, s[4:5]
	s_barrier
	s_cbranch_vccz .LBB526_142
; %bb.118:
	s_sub_i32 s0, s9, s8
	s_min_u32 s0, s0, 8
	s_lshl_b32 s0, -1, s0
	s_not_b32 s11, s0
	s_waitcnt vmcnt(11)
	v_lshrrev_b32_e32 v2, s8, v15
	v_and_b32_e32 v3, s11, v2
	v_lshlrev_b32_e32 v2, 2, v6
	v_lshl_or_b32 v16, v3, 4, v2
	v_mov_b32_e32 v3, 1
	ds_add_u32 v16, v3
	s_add_i32 s10, s8, 8
	s_cmp_gt_u32 s9, s10
	s_cselect_b64 s[6:7], -1, 0
	s_cmp_le_u32 s9, s10
	s_cbranch_scc1 .LBB526_120
; %bb.119:
	s_sub_i32 s0, s9, s10
	s_min_u32 s0, s0, 8
	v_lshrrev_b32_e32 v16, s10, v15
	v_bfe_u32 v16, v16, 0, s0
	v_lshl_or_b32 v16, v16, 4, v2
	ds_add_u32 v16, v3 offset:4096
.LBB526_120:
	s_waitcnt vmcnt(10)
	v_lshrrev_b32_e32 v16, s8, v14
	v_and_b32_e32 v16, s11, v16
	v_lshl_or_b32 v16, v16, 4, v2
	ds_add_u32 v16, v3
	v_cndmask_b32_e64 v3, 0, 1, s[6:7]
	v_cmp_ne_u32_e64 s[0:1], 1, v3
	s_andn2_b64 vcc, exec, s[6:7]
	s_cbranch_vccnz .LBB526_122
; %bb.121:
	s_sub_i32 s6, s9, s10
	s_min_u32 s6, s6, 8
	v_lshrrev_b32_e32 v3, s10, v14
	v_bfe_u32 v3, v3, 0, s6
	v_lshl_or_b32 v3, v3, 4, v2
	v_mov_b32_e32 v16, 1
	ds_add_u32 v3, v16 offset:4096
.LBB526_122:
	s_waitcnt vmcnt(9)
	v_lshrrev_b32_e32 v3, s8, v13
	v_and_b32_e32 v3, s11, v3
	v_lshl_or_b32 v16, v3, 4, v2
	v_mov_b32_e32 v3, 1
	ds_add_u32 v16, v3
	s_and_b64 vcc, exec, s[0:1]
	s_cbranch_vccnz .LBB526_124
; %bb.123:
	s_sub_i32 s6, s9, s10
	s_min_u32 s6, s6, 8
	v_lshrrev_b32_e32 v16, s10, v13
	v_bfe_u32 v16, v16, 0, s6
	v_lshl_or_b32 v16, v16, 4, v2
	ds_add_u32 v16, v3 offset:4096
.LBB526_124:
	s_waitcnt vmcnt(8)
	v_lshrrev_b32_e32 v16, s8, v12
	v_and_b32_e32 v16, s11, v16
	v_lshl_or_b32 v16, v16, 4, v2
	ds_add_u32 v16, v3
	s_and_b64 vcc, exec, s[0:1]
	s_cbranch_vccnz .LBB526_126
; %bb.125:
	s_sub_i32 s6, s9, s10
	s_min_u32 s6, s6, 8
	v_lshrrev_b32_e32 v3, s10, v12
	v_bfe_u32 v3, v3, 0, s6
	v_lshl_or_b32 v3, v3, 4, v2
	v_mov_b32_e32 v16, 1
	ds_add_u32 v3, v16 offset:4096
.LBB526_126:
	s_waitcnt vmcnt(7)
	v_lshrrev_b32_e32 v3, s8, v11
	v_and_b32_e32 v3, s11, v3
	v_lshl_or_b32 v16, v3, 4, v2
	v_mov_b32_e32 v3, 1
	ds_add_u32 v16, v3
	s_and_b64 vcc, exec, s[0:1]
	s_cbranch_vccnz .LBB526_128
; %bb.127:
	s_sub_i32 s6, s9, s10
	s_min_u32 s6, s6, 8
	v_lshrrev_b32_e32 v16, s10, v11
	v_bfe_u32 v16, v16, 0, s6
	v_lshl_or_b32 v16, v16, 4, v2
	ds_add_u32 v16, v3 offset:4096
.LBB526_128:
	s_waitcnt vmcnt(6)
	v_lshrrev_b32_e32 v16, s8, v10
	v_and_b32_e32 v16, s11, v16
	v_lshl_or_b32 v16, v16, 4, v2
	ds_add_u32 v16, v3
	s_and_b64 vcc, exec, s[0:1]
	;; [unrolled: 32-line block ×5, first 2 shown]
	s_cbranch_vccnz .LBB526_142
; %bb.141:
	s_sub_i32 s0, s9, s10
	s_min_u32 s0, s0, 8
	v_lshrrev_b32_e32 v3, s10, v1
	v_bfe_u32 v3, v3, 0, s0
	v_lshl_or_b32 v2, v3, 4, v2
	v_mov_b32_e32 v3, 1
	ds_add_u32 v2, v3 offset:4096
.LBB526_142:
	s_and_b64 vcc, exec, s[4:5]
	s_waitcnt lgkmcnt(0)
	s_barrier
	s_cbranch_vccz .LBB526_147
; %bb.143:
	s_movk_i32 s0, 0x100
	v_cmp_gt_u32_e32 vcc, s0, v0
	v_lshlrev_b32_e32 v16, 4, v0
	v_mov_b32_e32 v3, 0
	v_mov_b32_e32 v2, v0
	s_branch .LBB526_145
.LBB526_144:                            ;   in Loop: Header=BB526_145 Depth=1
	s_or_b64 exec, exec, s[4:5]
	s_add_i32 s8, s8, 8
	v_add_u32_e32 v2, 0x100, v2
	s_cmp_ge_u32 s8, s9
	v_add_u32_e32 v16, 0x1000, v16
	s_cbranch_scc1 .LBB526_147
.LBB526_145:                            ; =>This Inner Loop Header: Depth=1
	s_and_saveexec_b64 s[4:5], vcc
	s_cbranch_execz .LBB526_144
; %bb.146:                              ;   in Loop: Header=BB526_145 Depth=1
	ds_read2_b32 v[18:19], v16 offset1:1
	ds_read2_b32 v[20:21], v16 offset0:2 offset1:3
	v_lshlrev_b64 v[22:23], 3, v[2:3]
	v_mov_b32_e32 v17, s3
	s_waitcnt lgkmcnt(1)
	v_add_u32_e32 v18, v19, v18
	s_waitcnt lgkmcnt(0)
	v_add3_u32 v18, v18, v20, v21
	v_add_co_u32_e64 v20, s[0:1], s2, v22
	v_addc_co_u32_e64 v21, s[0:1], v17, v23, s[0:1]
	v_mov_b32_e32 v19, v3
	global_atomic_add_x2 v[20:21], v[18:19], off
	s_branch .LBB526_144
.LBB526_147:
	s_mov_b64 s[0:1], 0
.LBB526_148:
	s_and_b64 vcc, exec, s[0:1]
	s_cbranch_vccz .LBB526_151
; %bb.149:
	s_waitcnt vmcnt(11)
	v_lshlrev_b32_e32 v2, 2, v15
	s_movk_i32 s0, 0x3fc
	v_and_or_b32 v2, v2, s0, v6
	v_lshlrev_b32_e32 v2, 2, v2
	v_mov_b32_e32 v3, 1
	s_barrier
	ds_add_u32 v2, v3
	v_bfe_u32 v2, v15, 8, 8
	v_lshl_or_b32 v2, v2, 2, v6
	v_lshlrev_b32_e32 v2, 2, v2
	ds_add_u32 v2, v3 offset:4096
	s_waitcnt vmcnt(10)
	v_lshlrev_b32_e32 v2, 2, v14
	v_and_or_b32 v2, v2, s0, v6
	v_lshlrev_b32_e32 v2, 2, v2
	ds_add_u32 v2, v3
	v_bfe_u32 v2, v14, 8, 8
	v_lshl_or_b32 v2, v2, 2, v6
	v_lshlrev_b32_e32 v2, 2, v2
	ds_add_u32 v2, v3 offset:4096
	s_waitcnt vmcnt(9)
	v_lshlrev_b32_e32 v2, 2, v13
	v_and_or_b32 v2, v2, s0, v6
	v_lshlrev_b32_e32 v2, 2, v2
	;; [unrolled: 9-line block ×10, first 2 shown]
	ds_add_u32 v2, v3
	v_bfe_u32 v2, v4, 8, 8
	v_lshl_or_b32 v2, v2, 2, v6
	v_lshlrev_b32_e32 v2, 2, v2
	ds_add_u32 v2, v3 offset:4096
	s_waitcnt vmcnt(0)
	v_lshlrev_b32_e32 v2, 2, v1
	v_and_or_b32 v2, v2, s0, v6
	v_bfe_u32 v1, v1, 8, 8
	v_lshlrev_b32_e32 v2, 2, v2
	v_lshl_or_b32 v1, v1, 2, v6
	ds_add_u32 v2, v3
	v_lshlrev_b32_e32 v1, 2, v1
	ds_add_u32 v1, v3 offset:4096
	s_movk_i32 s0, 0x100
	v_cmp_gt_u32_e32 vcc, s0, v0
	s_waitcnt lgkmcnt(0)
	s_barrier
	s_and_saveexec_b64 s[0:1], vcc
	s_cbranch_execz .LBB526_151
; %bb.150:
	v_lshlrev_b32_e32 v6, 4, v0
	ds_read2_b32 v[2:3], v6 offset1:1
	ds_read2_b32 v[4:5], v6 offset0:2 offset1:3
	v_lshlrev_b32_e32 v7, 3, v0
	v_mov_b32_e32 v1, 0
	v_add_u32_e32 v8, 0x1000, v6
	s_waitcnt lgkmcnt(1)
	v_add_u32_e32 v0, v3, v2
	s_waitcnt lgkmcnt(0)
	v_add3_u32 v0, v0, v4, v5
	global_atomic_add_x2 v7, v[0:1], s[2:3]
	v_add_u32_e32 v0, 0x1008, v6
	ds_read2_b32 v[2:3], v8 offset1:1
	ds_read2_b32 v[4:5], v0 offset1:1
	s_waitcnt lgkmcnt(1)
	v_add_u32_e32 v0, v3, v2
	s_waitcnt lgkmcnt(0)
	v_add3_u32 v0, v0, v4, v5
	global_atomic_add_x2 v7, v[0:1], s[2:3] offset:2048
.LBB526_151:
	s_endpgm
	.section	.rodata,"a",@progbits
	.p2align	6, 0x0
	.amdhsa_kernel _ZN7rocprim17ROCPRIM_400000_NS6detail17trampoline_kernelINS0_14default_configENS1_35radix_sort_onesweep_config_selectorItNS0_10empty_typeEEEZNS1_34radix_sort_onesweep_global_offsetsIS3_Lb0EPtPS5_mNS0_19identity_decomposerEEE10hipError_tT1_T2_PT3_SE_jT4_jjP12ihipStream_tbEUlT_E_NS1_11comp_targetILNS1_3genE4ELNS1_11target_archE910ELNS1_3gpuE8ELNS1_3repE0EEENS1_52radix_sort_onesweep_histogram_config_static_selectorELNS0_4arch9wavefront6targetE1EEEvSC_
		.amdhsa_group_segment_fixed_size 8192
		.amdhsa_private_segment_fixed_size 0
		.amdhsa_kernarg_size 48
		.amdhsa_user_sgpr_count 6
		.amdhsa_user_sgpr_private_segment_buffer 1
		.amdhsa_user_sgpr_dispatch_ptr 0
		.amdhsa_user_sgpr_queue_ptr 0
		.amdhsa_user_sgpr_kernarg_segment_ptr 1
		.amdhsa_user_sgpr_dispatch_id 0
		.amdhsa_user_sgpr_flat_scratch_init 0
		.amdhsa_user_sgpr_kernarg_preload_length 0
		.amdhsa_user_sgpr_kernarg_preload_offset 0
		.amdhsa_user_sgpr_private_segment_size 0
		.amdhsa_uses_dynamic_stack 0
		.amdhsa_system_sgpr_private_segment_wavefront_offset 0
		.amdhsa_system_sgpr_workgroup_id_x 1
		.amdhsa_system_sgpr_workgroup_id_y 0
		.amdhsa_system_sgpr_workgroup_id_z 0
		.amdhsa_system_sgpr_workgroup_info 0
		.amdhsa_system_vgpr_workitem_id 0
		.amdhsa_next_free_vgpr 27
		.amdhsa_next_free_sgpr 18
		.amdhsa_accum_offset 28
		.amdhsa_reserve_vcc 1
		.amdhsa_reserve_flat_scratch 0
		.amdhsa_float_round_mode_32 0
		.amdhsa_float_round_mode_16_64 0
		.amdhsa_float_denorm_mode_32 3
		.amdhsa_float_denorm_mode_16_64 3
		.amdhsa_dx10_clamp 1
		.amdhsa_ieee_mode 1
		.amdhsa_fp16_overflow 0
		.amdhsa_tg_split 0
		.amdhsa_exception_fp_ieee_invalid_op 0
		.amdhsa_exception_fp_denorm_src 0
		.amdhsa_exception_fp_ieee_div_zero 0
		.amdhsa_exception_fp_ieee_overflow 0
		.amdhsa_exception_fp_ieee_underflow 0
		.amdhsa_exception_fp_ieee_inexact 0
		.amdhsa_exception_int_div_zero 0
	.end_amdhsa_kernel
	.section	.text._ZN7rocprim17ROCPRIM_400000_NS6detail17trampoline_kernelINS0_14default_configENS1_35radix_sort_onesweep_config_selectorItNS0_10empty_typeEEEZNS1_34radix_sort_onesweep_global_offsetsIS3_Lb0EPtPS5_mNS0_19identity_decomposerEEE10hipError_tT1_T2_PT3_SE_jT4_jjP12ihipStream_tbEUlT_E_NS1_11comp_targetILNS1_3genE4ELNS1_11target_archE910ELNS1_3gpuE8ELNS1_3repE0EEENS1_52radix_sort_onesweep_histogram_config_static_selectorELNS0_4arch9wavefront6targetE1EEEvSC_,"axG",@progbits,_ZN7rocprim17ROCPRIM_400000_NS6detail17trampoline_kernelINS0_14default_configENS1_35radix_sort_onesweep_config_selectorItNS0_10empty_typeEEEZNS1_34radix_sort_onesweep_global_offsetsIS3_Lb0EPtPS5_mNS0_19identity_decomposerEEE10hipError_tT1_T2_PT3_SE_jT4_jjP12ihipStream_tbEUlT_E_NS1_11comp_targetILNS1_3genE4ELNS1_11target_archE910ELNS1_3gpuE8ELNS1_3repE0EEENS1_52radix_sort_onesweep_histogram_config_static_selectorELNS0_4arch9wavefront6targetE1EEEvSC_,comdat
.Lfunc_end526:
	.size	_ZN7rocprim17ROCPRIM_400000_NS6detail17trampoline_kernelINS0_14default_configENS1_35radix_sort_onesweep_config_selectorItNS0_10empty_typeEEEZNS1_34radix_sort_onesweep_global_offsetsIS3_Lb0EPtPS5_mNS0_19identity_decomposerEEE10hipError_tT1_T2_PT3_SE_jT4_jjP12ihipStream_tbEUlT_E_NS1_11comp_targetILNS1_3genE4ELNS1_11target_archE910ELNS1_3gpuE8ELNS1_3repE0EEENS1_52radix_sort_onesweep_histogram_config_static_selectorELNS0_4arch9wavefront6targetE1EEEvSC_, .Lfunc_end526-_ZN7rocprim17ROCPRIM_400000_NS6detail17trampoline_kernelINS0_14default_configENS1_35radix_sort_onesweep_config_selectorItNS0_10empty_typeEEEZNS1_34radix_sort_onesweep_global_offsetsIS3_Lb0EPtPS5_mNS0_19identity_decomposerEEE10hipError_tT1_T2_PT3_SE_jT4_jjP12ihipStream_tbEUlT_E_NS1_11comp_targetILNS1_3genE4ELNS1_11target_archE910ELNS1_3gpuE8ELNS1_3repE0EEENS1_52radix_sort_onesweep_histogram_config_static_selectorELNS0_4arch9wavefront6targetE1EEEvSC_
                                        ; -- End function
	.section	.AMDGPU.csdata,"",@progbits
; Kernel info:
; codeLenInByte = 5356
; NumSgprs: 22
; NumVgprs: 27
; NumAgprs: 0
; TotalNumVgprs: 27
; ScratchSize: 0
; MemoryBound: 0
; FloatMode: 240
; IeeeMode: 1
; LDSByteSize: 8192 bytes/workgroup (compile time only)
; SGPRBlocks: 2
; VGPRBlocks: 3
; NumSGPRsForWavesPerEU: 22
; NumVGPRsForWavesPerEU: 27
; AccumOffset: 28
; Occupancy: 8
; WaveLimiterHint : 1
; COMPUTE_PGM_RSRC2:SCRATCH_EN: 0
; COMPUTE_PGM_RSRC2:USER_SGPR: 6
; COMPUTE_PGM_RSRC2:TRAP_HANDLER: 0
; COMPUTE_PGM_RSRC2:TGID_X_EN: 1
; COMPUTE_PGM_RSRC2:TGID_Y_EN: 0
; COMPUTE_PGM_RSRC2:TGID_Z_EN: 0
; COMPUTE_PGM_RSRC2:TIDIG_COMP_CNT: 0
; COMPUTE_PGM_RSRC3_GFX90A:ACCUM_OFFSET: 6
; COMPUTE_PGM_RSRC3_GFX90A:TG_SPLIT: 0
	.section	.text._ZN7rocprim17ROCPRIM_400000_NS6detail17trampoline_kernelINS0_14default_configENS1_35radix_sort_onesweep_config_selectorItNS0_10empty_typeEEEZNS1_34radix_sort_onesweep_global_offsetsIS3_Lb0EPtPS5_mNS0_19identity_decomposerEEE10hipError_tT1_T2_PT3_SE_jT4_jjP12ihipStream_tbEUlT_E_NS1_11comp_targetILNS1_3genE3ELNS1_11target_archE908ELNS1_3gpuE7ELNS1_3repE0EEENS1_52radix_sort_onesweep_histogram_config_static_selectorELNS0_4arch9wavefront6targetE1EEEvSC_,"axG",@progbits,_ZN7rocprim17ROCPRIM_400000_NS6detail17trampoline_kernelINS0_14default_configENS1_35radix_sort_onesweep_config_selectorItNS0_10empty_typeEEEZNS1_34radix_sort_onesweep_global_offsetsIS3_Lb0EPtPS5_mNS0_19identity_decomposerEEE10hipError_tT1_T2_PT3_SE_jT4_jjP12ihipStream_tbEUlT_E_NS1_11comp_targetILNS1_3genE3ELNS1_11target_archE908ELNS1_3gpuE7ELNS1_3repE0EEENS1_52radix_sort_onesweep_histogram_config_static_selectorELNS0_4arch9wavefront6targetE1EEEvSC_,comdat
	.protected	_ZN7rocprim17ROCPRIM_400000_NS6detail17trampoline_kernelINS0_14default_configENS1_35radix_sort_onesweep_config_selectorItNS0_10empty_typeEEEZNS1_34radix_sort_onesweep_global_offsetsIS3_Lb0EPtPS5_mNS0_19identity_decomposerEEE10hipError_tT1_T2_PT3_SE_jT4_jjP12ihipStream_tbEUlT_E_NS1_11comp_targetILNS1_3genE3ELNS1_11target_archE908ELNS1_3gpuE7ELNS1_3repE0EEENS1_52radix_sort_onesweep_histogram_config_static_selectorELNS0_4arch9wavefront6targetE1EEEvSC_ ; -- Begin function _ZN7rocprim17ROCPRIM_400000_NS6detail17trampoline_kernelINS0_14default_configENS1_35radix_sort_onesweep_config_selectorItNS0_10empty_typeEEEZNS1_34radix_sort_onesweep_global_offsetsIS3_Lb0EPtPS5_mNS0_19identity_decomposerEEE10hipError_tT1_T2_PT3_SE_jT4_jjP12ihipStream_tbEUlT_E_NS1_11comp_targetILNS1_3genE3ELNS1_11target_archE908ELNS1_3gpuE7ELNS1_3repE0EEENS1_52radix_sort_onesweep_histogram_config_static_selectorELNS0_4arch9wavefront6targetE1EEEvSC_
	.globl	_ZN7rocprim17ROCPRIM_400000_NS6detail17trampoline_kernelINS0_14default_configENS1_35radix_sort_onesweep_config_selectorItNS0_10empty_typeEEEZNS1_34radix_sort_onesweep_global_offsetsIS3_Lb0EPtPS5_mNS0_19identity_decomposerEEE10hipError_tT1_T2_PT3_SE_jT4_jjP12ihipStream_tbEUlT_E_NS1_11comp_targetILNS1_3genE3ELNS1_11target_archE908ELNS1_3gpuE7ELNS1_3repE0EEENS1_52radix_sort_onesweep_histogram_config_static_selectorELNS0_4arch9wavefront6targetE1EEEvSC_
	.p2align	8
	.type	_ZN7rocprim17ROCPRIM_400000_NS6detail17trampoline_kernelINS0_14default_configENS1_35radix_sort_onesweep_config_selectorItNS0_10empty_typeEEEZNS1_34radix_sort_onesweep_global_offsetsIS3_Lb0EPtPS5_mNS0_19identity_decomposerEEE10hipError_tT1_T2_PT3_SE_jT4_jjP12ihipStream_tbEUlT_E_NS1_11comp_targetILNS1_3genE3ELNS1_11target_archE908ELNS1_3gpuE7ELNS1_3repE0EEENS1_52radix_sort_onesweep_histogram_config_static_selectorELNS0_4arch9wavefront6targetE1EEEvSC_,@function
_ZN7rocprim17ROCPRIM_400000_NS6detail17trampoline_kernelINS0_14default_configENS1_35radix_sort_onesweep_config_selectorItNS0_10empty_typeEEEZNS1_34radix_sort_onesweep_global_offsetsIS3_Lb0EPtPS5_mNS0_19identity_decomposerEEE10hipError_tT1_T2_PT3_SE_jT4_jjP12ihipStream_tbEUlT_E_NS1_11comp_targetILNS1_3genE3ELNS1_11target_archE908ELNS1_3gpuE7ELNS1_3repE0EEENS1_52radix_sort_onesweep_histogram_config_static_selectorELNS0_4arch9wavefront6targetE1EEEvSC_: ; @_ZN7rocprim17ROCPRIM_400000_NS6detail17trampoline_kernelINS0_14default_configENS1_35radix_sort_onesweep_config_selectorItNS0_10empty_typeEEEZNS1_34radix_sort_onesweep_global_offsetsIS3_Lb0EPtPS5_mNS0_19identity_decomposerEEE10hipError_tT1_T2_PT3_SE_jT4_jjP12ihipStream_tbEUlT_E_NS1_11comp_targetILNS1_3genE3ELNS1_11target_archE908ELNS1_3gpuE7ELNS1_3repE0EEENS1_52radix_sort_onesweep_histogram_config_static_selectorELNS0_4arch9wavefront6targetE1EEEvSC_
; %bb.0:
	.section	.rodata,"a",@progbits
	.p2align	6, 0x0
	.amdhsa_kernel _ZN7rocprim17ROCPRIM_400000_NS6detail17trampoline_kernelINS0_14default_configENS1_35radix_sort_onesweep_config_selectorItNS0_10empty_typeEEEZNS1_34radix_sort_onesweep_global_offsetsIS3_Lb0EPtPS5_mNS0_19identity_decomposerEEE10hipError_tT1_T2_PT3_SE_jT4_jjP12ihipStream_tbEUlT_E_NS1_11comp_targetILNS1_3genE3ELNS1_11target_archE908ELNS1_3gpuE7ELNS1_3repE0EEENS1_52radix_sort_onesweep_histogram_config_static_selectorELNS0_4arch9wavefront6targetE1EEEvSC_
		.amdhsa_group_segment_fixed_size 0
		.amdhsa_private_segment_fixed_size 0
		.amdhsa_kernarg_size 48
		.amdhsa_user_sgpr_count 6
		.amdhsa_user_sgpr_private_segment_buffer 1
		.amdhsa_user_sgpr_dispatch_ptr 0
		.amdhsa_user_sgpr_queue_ptr 0
		.amdhsa_user_sgpr_kernarg_segment_ptr 1
		.amdhsa_user_sgpr_dispatch_id 0
		.amdhsa_user_sgpr_flat_scratch_init 0
		.amdhsa_user_sgpr_kernarg_preload_length 0
		.amdhsa_user_sgpr_kernarg_preload_offset 0
		.amdhsa_user_sgpr_private_segment_size 0
		.amdhsa_uses_dynamic_stack 0
		.amdhsa_system_sgpr_private_segment_wavefront_offset 0
		.amdhsa_system_sgpr_workgroup_id_x 1
		.amdhsa_system_sgpr_workgroup_id_y 0
		.amdhsa_system_sgpr_workgroup_id_z 0
		.amdhsa_system_sgpr_workgroup_info 0
		.amdhsa_system_vgpr_workitem_id 0
		.amdhsa_next_free_vgpr 1
		.amdhsa_next_free_sgpr 0
		.amdhsa_accum_offset 4
		.amdhsa_reserve_vcc 0
		.amdhsa_reserve_flat_scratch 0
		.amdhsa_float_round_mode_32 0
		.amdhsa_float_round_mode_16_64 0
		.amdhsa_float_denorm_mode_32 3
		.amdhsa_float_denorm_mode_16_64 3
		.amdhsa_dx10_clamp 1
		.amdhsa_ieee_mode 1
		.amdhsa_fp16_overflow 0
		.amdhsa_tg_split 0
		.amdhsa_exception_fp_ieee_invalid_op 0
		.amdhsa_exception_fp_denorm_src 0
		.amdhsa_exception_fp_ieee_div_zero 0
		.amdhsa_exception_fp_ieee_overflow 0
		.amdhsa_exception_fp_ieee_underflow 0
		.amdhsa_exception_fp_ieee_inexact 0
		.amdhsa_exception_int_div_zero 0
	.end_amdhsa_kernel
	.section	.text._ZN7rocprim17ROCPRIM_400000_NS6detail17trampoline_kernelINS0_14default_configENS1_35radix_sort_onesweep_config_selectorItNS0_10empty_typeEEEZNS1_34radix_sort_onesweep_global_offsetsIS3_Lb0EPtPS5_mNS0_19identity_decomposerEEE10hipError_tT1_T2_PT3_SE_jT4_jjP12ihipStream_tbEUlT_E_NS1_11comp_targetILNS1_3genE3ELNS1_11target_archE908ELNS1_3gpuE7ELNS1_3repE0EEENS1_52radix_sort_onesweep_histogram_config_static_selectorELNS0_4arch9wavefront6targetE1EEEvSC_,"axG",@progbits,_ZN7rocprim17ROCPRIM_400000_NS6detail17trampoline_kernelINS0_14default_configENS1_35radix_sort_onesweep_config_selectorItNS0_10empty_typeEEEZNS1_34radix_sort_onesweep_global_offsetsIS3_Lb0EPtPS5_mNS0_19identity_decomposerEEE10hipError_tT1_T2_PT3_SE_jT4_jjP12ihipStream_tbEUlT_E_NS1_11comp_targetILNS1_3genE3ELNS1_11target_archE908ELNS1_3gpuE7ELNS1_3repE0EEENS1_52radix_sort_onesweep_histogram_config_static_selectorELNS0_4arch9wavefront6targetE1EEEvSC_,comdat
.Lfunc_end527:
	.size	_ZN7rocprim17ROCPRIM_400000_NS6detail17trampoline_kernelINS0_14default_configENS1_35radix_sort_onesweep_config_selectorItNS0_10empty_typeEEEZNS1_34radix_sort_onesweep_global_offsetsIS3_Lb0EPtPS5_mNS0_19identity_decomposerEEE10hipError_tT1_T2_PT3_SE_jT4_jjP12ihipStream_tbEUlT_E_NS1_11comp_targetILNS1_3genE3ELNS1_11target_archE908ELNS1_3gpuE7ELNS1_3repE0EEENS1_52radix_sort_onesweep_histogram_config_static_selectorELNS0_4arch9wavefront6targetE1EEEvSC_, .Lfunc_end527-_ZN7rocprim17ROCPRIM_400000_NS6detail17trampoline_kernelINS0_14default_configENS1_35radix_sort_onesweep_config_selectorItNS0_10empty_typeEEEZNS1_34radix_sort_onesweep_global_offsetsIS3_Lb0EPtPS5_mNS0_19identity_decomposerEEE10hipError_tT1_T2_PT3_SE_jT4_jjP12ihipStream_tbEUlT_E_NS1_11comp_targetILNS1_3genE3ELNS1_11target_archE908ELNS1_3gpuE7ELNS1_3repE0EEENS1_52radix_sort_onesweep_histogram_config_static_selectorELNS0_4arch9wavefront6targetE1EEEvSC_
                                        ; -- End function
	.section	.AMDGPU.csdata,"",@progbits
; Kernel info:
; codeLenInByte = 0
; NumSgprs: 4
; NumVgprs: 0
; NumAgprs: 0
; TotalNumVgprs: 0
; ScratchSize: 0
; MemoryBound: 0
; FloatMode: 240
; IeeeMode: 1
; LDSByteSize: 0 bytes/workgroup (compile time only)
; SGPRBlocks: 0
; VGPRBlocks: 0
; NumSGPRsForWavesPerEU: 4
; NumVGPRsForWavesPerEU: 1
; AccumOffset: 4
; Occupancy: 8
; WaveLimiterHint : 0
; COMPUTE_PGM_RSRC2:SCRATCH_EN: 0
; COMPUTE_PGM_RSRC2:USER_SGPR: 6
; COMPUTE_PGM_RSRC2:TRAP_HANDLER: 0
; COMPUTE_PGM_RSRC2:TGID_X_EN: 1
; COMPUTE_PGM_RSRC2:TGID_Y_EN: 0
; COMPUTE_PGM_RSRC2:TGID_Z_EN: 0
; COMPUTE_PGM_RSRC2:TIDIG_COMP_CNT: 0
; COMPUTE_PGM_RSRC3_GFX90A:ACCUM_OFFSET: 0
; COMPUTE_PGM_RSRC3_GFX90A:TG_SPLIT: 0
	.section	.text._ZN7rocprim17ROCPRIM_400000_NS6detail17trampoline_kernelINS0_14default_configENS1_35radix_sort_onesweep_config_selectorItNS0_10empty_typeEEEZNS1_34radix_sort_onesweep_global_offsetsIS3_Lb0EPtPS5_mNS0_19identity_decomposerEEE10hipError_tT1_T2_PT3_SE_jT4_jjP12ihipStream_tbEUlT_E_NS1_11comp_targetILNS1_3genE10ELNS1_11target_archE1201ELNS1_3gpuE5ELNS1_3repE0EEENS1_52radix_sort_onesweep_histogram_config_static_selectorELNS0_4arch9wavefront6targetE1EEEvSC_,"axG",@progbits,_ZN7rocprim17ROCPRIM_400000_NS6detail17trampoline_kernelINS0_14default_configENS1_35radix_sort_onesweep_config_selectorItNS0_10empty_typeEEEZNS1_34radix_sort_onesweep_global_offsetsIS3_Lb0EPtPS5_mNS0_19identity_decomposerEEE10hipError_tT1_T2_PT3_SE_jT4_jjP12ihipStream_tbEUlT_E_NS1_11comp_targetILNS1_3genE10ELNS1_11target_archE1201ELNS1_3gpuE5ELNS1_3repE0EEENS1_52radix_sort_onesweep_histogram_config_static_selectorELNS0_4arch9wavefront6targetE1EEEvSC_,comdat
	.protected	_ZN7rocprim17ROCPRIM_400000_NS6detail17trampoline_kernelINS0_14default_configENS1_35radix_sort_onesweep_config_selectorItNS0_10empty_typeEEEZNS1_34radix_sort_onesweep_global_offsetsIS3_Lb0EPtPS5_mNS0_19identity_decomposerEEE10hipError_tT1_T2_PT3_SE_jT4_jjP12ihipStream_tbEUlT_E_NS1_11comp_targetILNS1_3genE10ELNS1_11target_archE1201ELNS1_3gpuE5ELNS1_3repE0EEENS1_52radix_sort_onesweep_histogram_config_static_selectorELNS0_4arch9wavefront6targetE1EEEvSC_ ; -- Begin function _ZN7rocprim17ROCPRIM_400000_NS6detail17trampoline_kernelINS0_14default_configENS1_35radix_sort_onesweep_config_selectorItNS0_10empty_typeEEEZNS1_34radix_sort_onesweep_global_offsetsIS3_Lb0EPtPS5_mNS0_19identity_decomposerEEE10hipError_tT1_T2_PT3_SE_jT4_jjP12ihipStream_tbEUlT_E_NS1_11comp_targetILNS1_3genE10ELNS1_11target_archE1201ELNS1_3gpuE5ELNS1_3repE0EEENS1_52radix_sort_onesweep_histogram_config_static_selectorELNS0_4arch9wavefront6targetE1EEEvSC_
	.globl	_ZN7rocprim17ROCPRIM_400000_NS6detail17trampoline_kernelINS0_14default_configENS1_35radix_sort_onesweep_config_selectorItNS0_10empty_typeEEEZNS1_34radix_sort_onesweep_global_offsetsIS3_Lb0EPtPS5_mNS0_19identity_decomposerEEE10hipError_tT1_T2_PT3_SE_jT4_jjP12ihipStream_tbEUlT_E_NS1_11comp_targetILNS1_3genE10ELNS1_11target_archE1201ELNS1_3gpuE5ELNS1_3repE0EEENS1_52radix_sort_onesweep_histogram_config_static_selectorELNS0_4arch9wavefront6targetE1EEEvSC_
	.p2align	8
	.type	_ZN7rocprim17ROCPRIM_400000_NS6detail17trampoline_kernelINS0_14default_configENS1_35radix_sort_onesweep_config_selectorItNS0_10empty_typeEEEZNS1_34radix_sort_onesweep_global_offsetsIS3_Lb0EPtPS5_mNS0_19identity_decomposerEEE10hipError_tT1_T2_PT3_SE_jT4_jjP12ihipStream_tbEUlT_E_NS1_11comp_targetILNS1_3genE10ELNS1_11target_archE1201ELNS1_3gpuE5ELNS1_3repE0EEENS1_52radix_sort_onesweep_histogram_config_static_selectorELNS0_4arch9wavefront6targetE1EEEvSC_,@function
_ZN7rocprim17ROCPRIM_400000_NS6detail17trampoline_kernelINS0_14default_configENS1_35radix_sort_onesweep_config_selectorItNS0_10empty_typeEEEZNS1_34radix_sort_onesweep_global_offsetsIS3_Lb0EPtPS5_mNS0_19identity_decomposerEEE10hipError_tT1_T2_PT3_SE_jT4_jjP12ihipStream_tbEUlT_E_NS1_11comp_targetILNS1_3genE10ELNS1_11target_archE1201ELNS1_3gpuE5ELNS1_3repE0EEENS1_52radix_sort_onesweep_histogram_config_static_selectorELNS0_4arch9wavefront6targetE1EEEvSC_: ; @_ZN7rocprim17ROCPRIM_400000_NS6detail17trampoline_kernelINS0_14default_configENS1_35radix_sort_onesweep_config_selectorItNS0_10empty_typeEEEZNS1_34radix_sort_onesweep_global_offsetsIS3_Lb0EPtPS5_mNS0_19identity_decomposerEEE10hipError_tT1_T2_PT3_SE_jT4_jjP12ihipStream_tbEUlT_E_NS1_11comp_targetILNS1_3genE10ELNS1_11target_archE1201ELNS1_3gpuE5ELNS1_3repE0EEENS1_52radix_sort_onesweep_histogram_config_static_selectorELNS0_4arch9wavefront6targetE1EEEvSC_
; %bb.0:
	.section	.rodata,"a",@progbits
	.p2align	6, 0x0
	.amdhsa_kernel _ZN7rocprim17ROCPRIM_400000_NS6detail17trampoline_kernelINS0_14default_configENS1_35radix_sort_onesweep_config_selectorItNS0_10empty_typeEEEZNS1_34radix_sort_onesweep_global_offsetsIS3_Lb0EPtPS5_mNS0_19identity_decomposerEEE10hipError_tT1_T2_PT3_SE_jT4_jjP12ihipStream_tbEUlT_E_NS1_11comp_targetILNS1_3genE10ELNS1_11target_archE1201ELNS1_3gpuE5ELNS1_3repE0EEENS1_52radix_sort_onesweep_histogram_config_static_selectorELNS0_4arch9wavefront6targetE1EEEvSC_
		.amdhsa_group_segment_fixed_size 0
		.amdhsa_private_segment_fixed_size 0
		.amdhsa_kernarg_size 48
		.amdhsa_user_sgpr_count 6
		.amdhsa_user_sgpr_private_segment_buffer 1
		.amdhsa_user_sgpr_dispatch_ptr 0
		.amdhsa_user_sgpr_queue_ptr 0
		.amdhsa_user_sgpr_kernarg_segment_ptr 1
		.amdhsa_user_sgpr_dispatch_id 0
		.amdhsa_user_sgpr_flat_scratch_init 0
		.amdhsa_user_sgpr_kernarg_preload_length 0
		.amdhsa_user_sgpr_kernarg_preload_offset 0
		.amdhsa_user_sgpr_private_segment_size 0
		.amdhsa_uses_dynamic_stack 0
		.amdhsa_system_sgpr_private_segment_wavefront_offset 0
		.amdhsa_system_sgpr_workgroup_id_x 1
		.amdhsa_system_sgpr_workgroup_id_y 0
		.amdhsa_system_sgpr_workgroup_id_z 0
		.amdhsa_system_sgpr_workgroup_info 0
		.amdhsa_system_vgpr_workitem_id 0
		.amdhsa_next_free_vgpr 1
		.amdhsa_next_free_sgpr 0
		.amdhsa_accum_offset 4
		.amdhsa_reserve_vcc 0
		.amdhsa_reserve_flat_scratch 0
		.amdhsa_float_round_mode_32 0
		.amdhsa_float_round_mode_16_64 0
		.amdhsa_float_denorm_mode_32 3
		.amdhsa_float_denorm_mode_16_64 3
		.amdhsa_dx10_clamp 1
		.amdhsa_ieee_mode 1
		.amdhsa_fp16_overflow 0
		.amdhsa_tg_split 0
		.amdhsa_exception_fp_ieee_invalid_op 0
		.amdhsa_exception_fp_denorm_src 0
		.amdhsa_exception_fp_ieee_div_zero 0
		.amdhsa_exception_fp_ieee_overflow 0
		.amdhsa_exception_fp_ieee_underflow 0
		.amdhsa_exception_fp_ieee_inexact 0
		.amdhsa_exception_int_div_zero 0
	.end_amdhsa_kernel
	.section	.text._ZN7rocprim17ROCPRIM_400000_NS6detail17trampoline_kernelINS0_14default_configENS1_35radix_sort_onesweep_config_selectorItNS0_10empty_typeEEEZNS1_34radix_sort_onesweep_global_offsetsIS3_Lb0EPtPS5_mNS0_19identity_decomposerEEE10hipError_tT1_T2_PT3_SE_jT4_jjP12ihipStream_tbEUlT_E_NS1_11comp_targetILNS1_3genE10ELNS1_11target_archE1201ELNS1_3gpuE5ELNS1_3repE0EEENS1_52radix_sort_onesweep_histogram_config_static_selectorELNS0_4arch9wavefront6targetE1EEEvSC_,"axG",@progbits,_ZN7rocprim17ROCPRIM_400000_NS6detail17trampoline_kernelINS0_14default_configENS1_35radix_sort_onesweep_config_selectorItNS0_10empty_typeEEEZNS1_34radix_sort_onesweep_global_offsetsIS3_Lb0EPtPS5_mNS0_19identity_decomposerEEE10hipError_tT1_T2_PT3_SE_jT4_jjP12ihipStream_tbEUlT_E_NS1_11comp_targetILNS1_3genE10ELNS1_11target_archE1201ELNS1_3gpuE5ELNS1_3repE0EEENS1_52radix_sort_onesweep_histogram_config_static_selectorELNS0_4arch9wavefront6targetE1EEEvSC_,comdat
.Lfunc_end528:
	.size	_ZN7rocprim17ROCPRIM_400000_NS6detail17trampoline_kernelINS0_14default_configENS1_35radix_sort_onesweep_config_selectorItNS0_10empty_typeEEEZNS1_34radix_sort_onesweep_global_offsetsIS3_Lb0EPtPS5_mNS0_19identity_decomposerEEE10hipError_tT1_T2_PT3_SE_jT4_jjP12ihipStream_tbEUlT_E_NS1_11comp_targetILNS1_3genE10ELNS1_11target_archE1201ELNS1_3gpuE5ELNS1_3repE0EEENS1_52radix_sort_onesweep_histogram_config_static_selectorELNS0_4arch9wavefront6targetE1EEEvSC_, .Lfunc_end528-_ZN7rocprim17ROCPRIM_400000_NS6detail17trampoline_kernelINS0_14default_configENS1_35radix_sort_onesweep_config_selectorItNS0_10empty_typeEEEZNS1_34radix_sort_onesweep_global_offsetsIS3_Lb0EPtPS5_mNS0_19identity_decomposerEEE10hipError_tT1_T2_PT3_SE_jT4_jjP12ihipStream_tbEUlT_E_NS1_11comp_targetILNS1_3genE10ELNS1_11target_archE1201ELNS1_3gpuE5ELNS1_3repE0EEENS1_52radix_sort_onesweep_histogram_config_static_selectorELNS0_4arch9wavefront6targetE1EEEvSC_
                                        ; -- End function
	.section	.AMDGPU.csdata,"",@progbits
; Kernel info:
; codeLenInByte = 0
; NumSgprs: 4
; NumVgprs: 0
; NumAgprs: 0
; TotalNumVgprs: 0
; ScratchSize: 0
; MemoryBound: 0
; FloatMode: 240
; IeeeMode: 1
; LDSByteSize: 0 bytes/workgroup (compile time only)
; SGPRBlocks: 0
; VGPRBlocks: 0
; NumSGPRsForWavesPerEU: 4
; NumVGPRsForWavesPerEU: 1
; AccumOffset: 4
; Occupancy: 8
; WaveLimiterHint : 0
; COMPUTE_PGM_RSRC2:SCRATCH_EN: 0
; COMPUTE_PGM_RSRC2:USER_SGPR: 6
; COMPUTE_PGM_RSRC2:TRAP_HANDLER: 0
; COMPUTE_PGM_RSRC2:TGID_X_EN: 1
; COMPUTE_PGM_RSRC2:TGID_Y_EN: 0
; COMPUTE_PGM_RSRC2:TGID_Z_EN: 0
; COMPUTE_PGM_RSRC2:TIDIG_COMP_CNT: 0
; COMPUTE_PGM_RSRC3_GFX90A:ACCUM_OFFSET: 0
; COMPUTE_PGM_RSRC3_GFX90A:TG_SPLIT: 0
	.section	.text._ZN7rocprim17ROCPRIM_400000_NS6detail17trampoline_kernelINS0_14default_configENS1_35radix_sort_onesweep_config_selectorItNS0_10empty_typeEEEZNS1_34radix_sort_onesweep_global_offsetsIS3_Lb0EPtPS5_mNS0_19identity_decomposerEEE10hipError_tT1_T2_PT3_SE_jT4_jjP12ihipStream_tbEUlT_E_NS1_11comp_targetILNS1_3genE9ELNS1_11target_archE1100ELNS1_3gpuE3ELNS1_3repE0EEENS1_52radix_sort_onesweep_histogram_config_static_selectorELNS0_4arch9wavefront6targetE1EEEvSC_,"axG",@progbits,_ZN7rocprim17ROCPRIM_400000_NS6detail17trampoline_kernelINS0_14default_configENS1_35radix_sort_onesweep_config_selectorItNS0_10empty_typeEEEZNS1_34radix_sort_onesweep_global_offsetsIS3_Lb0EPtPS5_mNS0_19identity_decomposerEEE10hipError_tT1_T2_PT3_SE_jT4_jjP12ihipStream_tbEUlT_E_NS1_11comp_targetILNS1_3genE9ELNS1_11target_archE1100ELNS1_3gpuE3ELNS1_3repE0EEENS1_52radix_sort_onesweep_histogram_config_static_selectorELNS0_4arch9wavefront6targetE1EEEvSC_,comdat
	.protected	_ZN7rocprim17ROCPRIM_400000_NS6detail17trampoline_kernelINS0_14default_configENS1_35radix_sort_onesweep_config_selectorItNS0_10empty_typeEEEZNS1_34radix_sort_onesweep_global_offsetsIS3_Lb0EPtPS5_mNS0_19identity_decomposerEEE10hipError_tT1_T2_PT3_SE_jT4_jjP12ihipStream_tbEUlT_E_NS1_11comp_targetILNS1_3genE9ELNS1_11target_archE1100ELNS1_3gpuE3ELNS1_3repE0EEENS1_52radix_sort_onesweep_histogram_config_static_selectorELNS0_4arch9wavefront6targetE1EEEvSC_ ; -- Begin function _ZN7rocprim17ROCPRIM_400000_NS6detail17trampoline_kernelINS0_14default_configENS1_35radix_sort_onesweep_config_selectorItNS0_10empty_typeEEEZNS1_34radix_sort_onesweep_global_offsetsIS3_Lb0EPtPS5_mNS0_19identity_decomposerEEE10hipError_tT1_T2_PT3_SE_jT4_jjP12ihipStream_tbEUlT_E_NS1_11comp_targetILNS1_3genE9ELNS1_11target_archE1100ELNS1_3gpuE3ELNS1_3repE0EEENS1_52radix_sort_onesweep_histogram_config_static_selectorELNS0_4arch9wavefront6targetE1EEEvSC_
	.globl	_ZN7rocprim17ROCPRIM_400000_NS6detail17trampoline_kernelINS0_14default_configENS1_35radix_sort_onesweep_config_selectorItNS0_10empty_typeEEEZNS1_34radix_sort_onesweep_global_offsetsIS3_Lb0EPtPS5_mNS0_19identity_decomposerEEE10hipError_tT1_T2_PT3_SE_jT4_jjP12ihipStream_tbEUlT_E_NS1_11comp_targetILNS1_3genE9ELNS1_11target_archE1100ELNS1_3gpuE3ELNS1_3repE0EEENS1_52radix_sort_onesweep_histogram_config_static_selectorELNS0_4arch9wavefront6targetE1EEEvSC_
	.p2align	8
	.type	_ZN7rocprim17ROCPRIM_400000_NS6detail17trampoline_kernelINS0_14default_configENS1_35radix_sort_onesweep_config_selectorItNS0_10empty_typeEEEZNS1_34radix_sort_onesweep_global_offsetsIS3_Lb0EPtPS5_mNS0_19identity_decomposerEEE10hipError_tT1_T2_PT3_SE_jT4_jjP12ihipStream_tbEUlT_E_NS1_11comp_targetILNS1_3genE9ELNS1_11target_archE1100ELNS1_3gpuE3ELNS1_3repE0EEENS1_52radix_sort_onesweep_histogram_config_static_selectorELNS0_4arch9wavefront6targetE1EEEvSC_,@function
_ZN7rocprim17ROCPRIM_400000_NS6detail17trampoline_kernelINS0_14default_configENS1_35radix_sort_onesweep_config_selectorItNS0_10empty_typeEEEZNS1_34radix_sort_onesweep_global_offsetsIS3_Lb0EPtPS5_mNS0_19identity_decomposerEEE10hipError_tT1_T2_PT3_SE_jT4_jjP12ihipStream_tbEUlT_E_NS1_11comp_targetILNS1_3genE9ELNS1_11target_archE1100ELNS1_3gpuE3ELNS1_3repE0EEENS1_52radix_sort_onesweep_histogram_config_static_selectorELNS0_4arch9wavefront6targetE1EEEvSC_: ; @_ZN7rocprim17ROCPRIM_400000_NS6detail17trampoline_kernelINS0_14default_configENS1_35radix_sort_onesweep_config_selectorItNS0_10empty_typeEEEZNS1_34radix_sort_onesweep_global_offsetsIS3_Lb0EPtPS5_mNS0_19identity_decomposerEEE10hipError_tT1_T2_PT3_SE_jT4_jjP12ihipStream_tbEUlT_E_NS1_11comp_targetILNS1_3genE9ELNS1_11target_archE1100ELNS1_3gpuE3ELNS1_3repE0EEENS1_52radix_sort_onesweep_histogram_config_static_selectorELNS0_4arch9wavefront6targetE1EEEvSC_
; %bb.0:
	.section	.rodata,"a",@progbits
	.p2align	6, 0x0
	.amdhsa_kernel _ZN7rocprim17ROCPRIM_400000_NS6detail17trampoline_kernelINS0_14default_configENS1_35radix_sort_onesweep_config_selectorItNS0_10empty_typeEEEZNS1_34radix_sort_onesweep_global_offsetsIS3_Lb0EPtPS5_mNS0_19identity_decomposerEEE10hipError_tT1_T2_PT3_SE_jT4_jjP12ihipStream_tbEUlT_E_NS1_11comp_targetILNS1_3genE9ELNS1_11target_archE1100ELNS1_3gpuE3ELNS1_3repE0EEENS1_52radix_sort_onesweep_histogram_config_static_selectorELNS0_4arch9wavefront6targetE1EEEvSC_
		.amdhsa_group_segment_fixed_size 0
		.amdhsa_private_segment_fixed_size 0
		.amdhsa_kernarg_size 48
		.amdhsa_user_sgpr_count 6
		.amdhsa_user_sgpr_private_segment_buffer 1
		.amdhsa_user_sgpr_dispatch_ptr 0
		.amdhsa_user_sgpr_queue_ptr 0
		.amdhsa_user_sgpr_kernarg_segment_ptr 1
		.amdhsa_user_sgpr_dispatch_id 0
		.amdhsa_user_sgpr_flat_scratch_init 0
		.amdhsa_user_sgpr_kernarg_preload_length 0
		.amdhsa_user_sgpr_kernarg_preload_offset 0
		.amdhsa_user_sgpr_private_segment_size 0
		.amdhsa_uses_dynamic_stack 0
		.amdhsa_system_sgpr_private_segment_wavefront_offset 0
		.amdhsa_system_sgpr_workgroup_id_x 1
		.amdhsa_system_sgpr_workgroup_id_y 0
		.amdhsa_system_sgpr_workgroup_id_z 0
		.amdhsa_system_sgpr_workgroup_info 0
		.amdhsa_system_vgpr_workitem_id 0
		.amdhsa_next_free_vgpr 1
		.amdhsa_next_free_sgpr 0
		.amdhsa_accum_offset 4
		.amdhsa_reserve_vcc 0
		.amdhsa_reserve_flat_scratch 0
		.amdhsa_float_round_mode_32 0
		.amdhsa_float_round_mode_16_64 0
		.amdhsa_float_denorm_mode_32 3
		.amdhsa_float_denorm_mode_16_64 3
		.amdhsa_dx10_clamp 1
		.amdhsa_ieee_mode 1
		.amdhsa_fp16_overflow 0
		.amdhsa_tg_split 0
		.amdhsa_exception_fp_ieee_invalid_op 0
		.amdhsa_exception_fp_denorm_src 0
		.amdhsa_exception_fp_ieee_div_zero 0
		.amdhsa_exception_fp_ieee_overflow 0
		.amdhsa_exception_fp_ieee_underflow 0
		.amdhsa_exception_fp_ieee_inexact 0
		.amdhsa_exception_int_div_zero 0
	.end_amdhsa_kernel
	.section	.text._ZN7rocprim17ROCPRIM_400000_NS6detail17trampoline_kernelINS0_14default_configENS1_35radix_sort_onesweep_config_selectorItNS0_10empty_typeEEEZNS1_34radix_sort_onesweep_global_offsetsIS3_Lb0EPtPS5_mNS0_19identity_decomposerEEE10hipError_tT1_T2_PT3_SE_jT4_jjP12ihipStream_tbEUlT_E_NS1_11comp_targetILNS1_3genE9ELNS1_11target_archE1100ELNS1_3gpuE3ELNS1_3repE0EEENS1_52radix_sort_onesweep_histogram_config_static_selectorELNS0_4arch9wavefront6targetE1EEEvSC_,"axG",@progbits,_ZN7rocprim17ROCPRIM_400000_NS6detail17trampoline_kernelINS0_14default_configENS1_35radix_sort_onesweep_config_selectorItNS0_10empty_typeEEEZNS1_34radix_sort_onesweep_global_offsetsIS3_Lb0EPtPS5_mNS0_19identity_decomposerEEE10hipError_tT1_T2_PT3_SE_jT4_jjP12ihipStream_tbEUlT_E_NS1_11comp_targetILNS1_3genE9ELNS1_11target_archE1100ELNS1_3gpuE3ELNS1_3repE0EEENS1_52radix_sort_onesweep_histogram_config_static_selectorELNS0_4arch9wavefront6targetE1EEEvSC_,comdat
.Lfunc_end529:
	.size	_ZN7rocprim17ROCPRIM_400000_NS6detail17trampoline_kernelINS0_14default_configENS1_35radix_sort_onesweep_config_selectorItNS0_10empty_typeEEEZNS1_34radix_sort_onesweep_global_offsetsIS3_Lb0EPtPS5_mNS0_19identity_decomposerEEE10hipError_tT1_T2_PT3_SE_jT4_jjP12ihipStream_tbEUlT_E_NS1_11comp_targetILNS1_3genE9ELNS1_11target_archE1100ELNS1_3gpuE3ELNS1_3repE0EEENS1_52radix_sort_onesweep_histogram_config_static_selectorELNS0_4arch9wavefront6targetE1EEEvSC_, .Lfunc_end529-_ZN7rocprim17ROCPRIM_400000_NS6detail17trampoline_kernelINS0_14default_configENS1_35radix_sort_onesweep_config_selectorItNS0_10empty_typeEEEZNS1_34radix_sort_onesweep_global_offsetsIS3_Lb0EPtPS5_mNS0_19identity_decomposerEEE10hipError_tT1_T2_PT3_SE_jT4_jjP12ihipStream_tbEUlT_E_NS1_11comp_targetILNS1_3genE9ELNS1_11target_archE1100ELNS1_3gpuE3ELNS1_3repE0EEENS1_52radix_sort_onesweep_histogram_config_static_selectorELNS0_4arch9wavefront6targetE1EEEvSC_
                                        ; -- End function
	.section	.AMDGPU.csdata,"",@progbits
; Kernel info:
; codeLenInByte = 0
; NumSgprs: 4
; NumVgprs: 0
; NumAgprs: 0
; TotalNumVgprs: 0
; ScratchSize: 0
; MemoryBound: 0
; FloatMode: 240
; IeeeMode: 1
; LDSByteSize: 0 bytes/workgroup (compile time only)
; SGPRBlocks: 0
; VGPRBlocks: 0
; NumSGPRsForWavesPerEU: 4
; NumVGPRsForWavesPerEU: 1
; AccumOffset: 4
; Occupancy: 8
; WaveLimiterHint : 0
; COMPUTE_PGM_RSRC2:SCRATCH_EN: 0
; COMPUTE_PGM_RSRC2:USER_SGPR: 6
; COMPUTE_PGM_RSRC2:TRAP_HANDLER: 0
; COMPUTE_PGM_RSRC2:TGID_X_EN: 1
; COMPUTE_PGM_RSRC2:TGID_Y_EN: 0
; COMPUTE_PGM_RSRC2:TGID_Z_EN: 0
; COMPUTE_PGM_RSRC2:TIDIG_COMP_CNT: 0
; COMPUTE_PGM_RSRC3_GFX90A:ACCUM_OFFSET: 0
; COMPUTE_PGM_RSRC3_GFX90A:TG_SPLIT: 0
	.section	.text._ZN7rocprim17ROCPRIM_400000_NS6detail17trampoline_kernelINS0_14default_configENS1_35radix_sort_onesweep_config_selectorItNS0_10empty_typeEEEZNS1_34radix_sort_onesweep_global_offsetsIS3_Lb0EPtPS5_mNS0_19identity_decomposerEEE10hipError_tT1_T2_PT3_SE_jT4_jjP12ihipStream_tbEUlT_E_NS1_11comp_targetILNS1_3genE8ELNS1_11target_archE1030ELNS1_3gpuE2ELNS1_3repE0EEENS1_52radix_sort_onesweep_histogram_config_static_selectorELNS0_4arch9wavefront6targetE1EEEvSC_,"axG",@progbits,_ZN7rocprim17ROCPRIM_400000_NS6detail17trampoline_kernelINS0_14default_configENS1_35radix_sort_onesweep_config_selectorItNS0_10empty_typeEEEZNS1_34radix_sort_onesweep_global_offsetsIS3_Lb0EPtPS5_mNS0_19identity_decomposerEEE10hipError_tT1_T2_PT3_SE_jT4_jjP12ihipStream_tbEUlT_E_NS1_11comp_targetILNS1_3genE8ELNS1_11target_archE1030ELNS1_3gpuE2ELNS1_3repE0EEENS1_52radix_sort_onesweep_histogram_config_static_selectorELNS0_4arch9wavefront6targetE1EEEvSC_,comdat
	.protected	_ZN7rocprim17ROCPRIM_400000_NS6detail17trampoline_kernelINS0_14default_configENS1_35radix_sort_onesweep_config_selectorItNS0_10empty_typeEEEZNS1_34radix_sort_onesweep_global_offsetsIS3_Lb0EPtPS5_mNS0_19identity_decomposerEEE10hipError_tT1_T2_PT3_SE_jT4_jjP12ihipStream_tbEUlT_E_NS1_11comp_targetILNS1_3genE8ELNS1_11target_archE1030ELNS1_3gpuE2ELNS1_3repE0EEENS1_52radix_sort_onesweep_histogram_config_static_selectorELNS0_4arch9wavefront6targetE1EEEvSC_ ; -- Begin function _ZN7rocprim17ROCPRIM_400000_NS6detail17trampoline_kernelINS0_14default_configENS1_35radix_sort_onesweep_config_selectorItNS0_10empty_typeEEEZNS1_34radix_sort_onesweep_global_offsetsIS3_Lb0EPtPS5_mNS0_19identity_decomposerEEE10hipError_tT1_T2_PT3_SE_jT4_jjP12ihipStream_tbEUlT_E_NS1_11comp_targetILNS1_3genE8ELNS1_11target_archE1030ELNS1_3gpuE2ELNS1_3repE0EEENS1_52radix_sort_onesweep_histogram_config_static_selectorELNS0_4arch9wavefront6targetE1EEEvSC_
	.globl	_ZN7rocprim17ROCPRIM_400000_NS6detail17trampoline_kernelINS0_14default_configENS1_35radix_sort_onesweep_config_selectorItNS0_10empty_typeEEEZNS1_34radix_sort_onesweep_global_offsetsIS3_Lb0EPtPS5_mNS0_19identity_decomposerEEE10hipError_tT1_T2_PT3_SE_jT4_jjP12ihipStream_tbEUlT_E_NS1_11comp_targetILNS1_3genE8ELNS1_11target_archE1030ELNS1_3gpuE2ELNS1_3repE0EEENS1_52radix_sort_onesweep_histogram_config_static_selectorELNS0_4arch9wavefront6targetE1EEEvSC_
	.p2align	8
	.type	_ZN7rocprim17ROCPRIM_400000_NS6detail17trampoline_kernelINS0_14default_configENS1_35radix_sort_onesweep_config_selectorItNS0_10empty_typeEEEZNS1_34radix_sort_onesweep_global_offsetsIS3_Lb0EPtPS5_mNS0_19identity_decomposerEEE10hipError_tT1_T2_PT3_SE_jT4_jjP12ihipStream_tbEUlT_E_NS1_11comp_targetILNS1_3genE8ELNS1_11target_archE1030ELNS1_3gpuE2ELNS1_3repE0EEENS1_52radix_sort_onesweep_histogram_config_static_selectorELNS0_4arch9wavefront6targetE1EEEvSC_,@function
_ZN7rocprim17ROCPRIM_400000_NS6detail17trampoline_kernelINS0_14default_configENS1_35radix_sort_onesweep_config_selectorItNS0_10empty_typeEEEZNS1_34radix_sort_onesweep_global_offsetsIS3_Lb0EPtPS5_mNS0_19identity_decomposerEEE10hipError_tT1_T2_PT3_SE_jT4_jjP12ihipStream_tbEUlT_E_NS1_11comp_targetILNS1_3genE8ELNS1_11target_archE1030ELNS1_3gpuE2ELNS1_3repE0EEENS1_52radix_sort_onesweep_histogram_config_static_selectorELNS0_4arch9wavefront6targetE1EEEvSC_: ; @_ZN7rocprim17ROCPRIM_400000_NS6detail17trampoline_kernelINS0_14default_configENS1_35radix_sort_onesweep_config_selectorItNS0_10empty_typeEEEZNS1_34radix_sort_onesweep_global_offsetsIS3_Lb0EPtPS5_mNS0_19identity_decomposerEEE10hipError_tT1_T2_PT3_SE_jT4_jjP12ihipStream_tbEUlT_E_NS1_11comp_targetILNS1_3genE8ELNS1_11target_archE1030ELNS1_3gpuE2ELNS1_3repE0EEENS1_52radix_sort_onesweep_histogram_config_static_selectorELNS0_4arch9wavefront6targetE1EEEvSC_
; %bb.0:
	.section	.rodata,"a",@progbits
	.p2align	6, 0x0
	.amdhsa_kernel _ZN7rocprim17ROCPRIM_400000_NS6detail17trampoline_kernelINS0_14default_configENS1_35radix_sort_onesweep_config_selectorItNS0_10empty_typeEEEZNS1_34radix_sort_onesweep_global_offsetsIS3_Lb0EPtPS5_mNS0_19identity_decomposerEEE10hipError_tT1_T2_PT3_SE_jT4_jjP12ihipStream_tbEUlT_E_NS1_11comp_targetILNS1_3genE8ELNS1_11target_archE1030ELNS1_3gpuE2ELNS1_3repE0EEENS1_52radix_sort_onesweep_histogram_config_static_selectorELNS0_4arch9wavefront6targetE1EEEvSC_
		.amdhsa_group_segment_fixed_size 0
		.amdhsa_private_segment_fixed_size 0
		.amdhsa_kernarg_size 48
		.amdhsa_user_sgpr_count 6
		.amdhsa_user_sgpr_private_segment_buffer 1
		.amdhsa_user_sgpr_dispatch_ptr 0
		.amdhsa_user_sgpr_queue_ptr 0
		.amdhsa_user_sgpr_kernarg_segment_ptr 1
		.amdhsa_user_sgpr_dispatch_id 0
		.amdhsa_user_sgpr_flat_scratch_init 0
		.amdhsa_user_sgpr_kernarg_preload_length 0
		.amdhsa_user_sgpr_kernarg_preload_offset 0
		.amdhsa_user_sgpr_private_segment_size 0
		.amdhsa_uses_dynamic_stack 0
		.amdhsa_system_sgpr_private_segment_wavefront_offset 0
		.amdhsa_system_sgpr_workgroup_id_x 1
		.amdhsa_system_sgpr_workgroup_id_y 0
		.amdhsa_system_sgpr_workgroup_id_z 0
		.amdhsa_system_sgpr_workgroup_info 0
		.amdhsa_system_vgpr_workitem_id 0
		.amdhsa_next_free_vgpr 1
		.amdhsa_next_free_sgpr 0
		.amdhsa_accum_offset 4
		.amdhsa_reserve_vcc 0
		.amdhsa_reserve_flat_scratch 0
		.amdhsa_float_round_mode_32 0
		.amdhsa_float_round_mode_16_64 0
		.amdhsa_float_denorm_mode_32 3
		.amdhsa_float_denorm_mode_16_64 3
		.amdhsa_dx10_clamp 1
		.amdhsa_ieee_mode 1
		.amdhsa_fp16_overflow 0
		.amdhsa_tg_split 0
		.amdhsa_exception_fp_ieee_invalid_op 0
		.amdhsa_exception_fp_denorm_src 0
		.amdhsa_exception_fp_ieee_div_zero 0
		.amdhsa_exception_fp_ieee_overflow 0
		.amdhsa_exception_fp_ieee_underflow 0
		.amdhsa_exception_fp_ieee_inexact 0
		.amdhsa_exception_int_div_zero 0
	.end_amdhsa_kernel
	.section	.text._ZN7rocprim17ROCPRIM_400000_NS6detail17trampoline_kernelINS0_14default_configENS1_35radix_sort_onesweep_config_selectorItNS0_10empty_typeEEEZNS1_34radix_sort_onesweep_global_offsetsIS3_Lb0EPtPS5_mNS0_19identity_decomposerEEE10hipError_tT1_T2_PT3_SE_jT4_jjP12ihipStream_tbEUlT_E_NS1_11comp_targetILNS1_3genE8ELNS1_11target_archE1030ELNS1_3gpuE2ELNS1_3repE0EEENS1_52radix_sort_onesweep_histogram_config_static_selectorELNS0_4arch9wavefront6targetE1EEEvSC_,"axG",@progbits,_ZN7rocprim17ROCPRIM_400000_NS6detail17trampoline_kernelINS0_14default_configENS1_35radix_sort_onesweep_config_selectorItNS0_10empty_typeEEEZNS1_34radix_sort_onesweep_global_offsetsIS3_Lb0EPtPS5_mNS0_19identity_decomposerEEE10hipError_tT1_T2_PT3_SE_jT4_jjP12ihipStream_tbEUlT_E_NS1_11comp_targetILNS1_3genE8ELNS1_11target_archE1030ELNS1_3gpuE2ELNS1_3repE0EEENS1_52radix_sort_onesweep_histogram_config_static_selectorELNS0_4arch9wavefront6targetE1EEEvSC_,comdat
.Lfunc_end530:
	.size	_ZN7rocprim17ROCPRIM_400000_NS6detail17trampoline_kernelINS0_14default_configENS1_35radix_sort_onesweep_config_selectorItNS0_10empty_typeEEEZNS1_34radix_sort_onesweep_global_offsetsIS3_Lb0EPtPS5_mNS0_19identity_decomposerEEE10hipError_tT1_T2_PT3_SE_jT4_jjP12ihipStream_tbEUlT_E_NS1_11comp_targetILNS1_3genE8ELNS1_11target_archE1030ELNS1_3gpuE2ELNS1_3repE0EEENS1_52radix_sort_onesweep_histogram_config_static_selectorELNS0_4arch9wavefront6targetE1EEEvSC_, .Lfunc_end530-_ZN7rocprim17ROCPRIM_400000_NS6detail17trampoline_kernelINS0_14default_configENS1_35radix_sort_onesweep_config_selectorItNS0_10empty_typeEEEZNS1_34radix_sort_onesweep_global_offsetsIS3_Lb0EPtPS5_mNS0_19identity_decomposerEEE10hipError_tT1_T2_PT3_SE_jT4_jjP12ihipStream_tbEUlT_E_NS1_11comp_targetILNS1_3genE8ELNS1_11target_archE1030ELNS1_3gpuE2ELNS1_3repE0EEENS1_52radix_sort_onesweep_histogram_config_static_selectorELNS0_4arch9wavefront6targetE1EEEvSC_
                                        ; -- End function
	.section	.AMDGPU.csdata,"",@progbits
; Kernel info:
; codeLenInByte = 0
; NumSgprs: 4
; NumVgprs: 0
; NumAgprs: 0
; TotalNumVgprs: 0
; ScratchSize: 0
; MemoryBound: 0
; FloatMode: 240
; IeeeMode: 1
; LDSByteSize: 0 bytes/workgroup (compile time only)
; SGPRBlocks: 0
; VGPRBlocks: 0
; NumSGPRsForWavesPerEU: 4
; NumVGPRsForWavesPerEU: 1
; AccumOffset: 4
; Occupancy: 8
; WaveLimiterHint : 0
; COMPUTE_PGM_RSRC2:SCRATCH_EN: 0
; COMPUTE_PGM_RSRC2:USER_SGPR: 6
; COMPUTE_PGM_RSRC2:TRAP_HANDLER: 0
; COMPUTE_PGM_RSRC2:TGID_X_EN: 1
; COMPUTE_PGM_RSRC2:TGID_Y_EN: 0
; COMPUTE_PGM_RSRC2:TGID_Z_EN: 0
; COMPUTE_PGM_RSRC2:TIDIG_COMP_CNT: 0
; COMPUTE_PGM_RSRC3_GFX90A:ACCUM_OFFSET: 0
; COMPUTE_PGM_RSRC3_GFX90A:TG_SPLIT: 0
	.section	.text._ZN7rocprim17ROCPRIM_400000_NS6detail17trampoline_kernelINS0_14default_configENS1_35radix_sort_onesweep_config_selectorItNS0_10empty_typeEEEZNS1_34radix_sort_onesweep_global_offsetsIS3_Lb0EPtPS5_mNS0_19identity_decomposerEEE10hipError_tT1_T2_PT3_SE_jT4_jjP12ihipStream_tbEUlT_E0_NS1_11comp_targetILNS1_3genE0ELNS1_11target_archE4294967295ELNS1_3gpuE0ELNS1_3repE0EEENS1_52radix_sort_onesweep_histogram_config_static_selectorELNS0_4arch9wavefront6targetE1EEEvSC_,"axG",@progbits,_ZN7rocprim17ROCPRIM_400000_NS6detail17trampoline_kernelINS0_14default_configENS1_35radix_sort_onesweep_config_selectorItNS0_10empty_typeEEEZNS1_34radix_sort_onesweep_global_offsetsIS3_Lb0EPtPS5_mNS0_19identity_decomposerEEE10hipError_tT1_T2_PT3_SE_jT4_jjP12ihipStream_tbEUlT_E0_NS1_11comp_targetILNS1_3genE0ELNS1_11target_archE4294967295ELNS1_3gpuE0ELNS1_3repE0EEENS1_52radix_sort_onesweep_histogram_config_static_selectorELNS0_4arch9wavefront6targetE1EEEvSC_,comdat
	.protected	_ZN7rocprim17ROCPRIM_400000_NS6detail17trampoline_kernelINS0_14default_configENS1_35radix_sort_onesweep_config_selectorItNS0_10empty_typeEEEZNS1_34radix_sort_onesweep_global_offsetsIS3_Lb0EPtPS5_mNS0_19identity_decomposerEEE10hipError_tT1_T2_PT3_SE_jT4_jjP12ihipStream_tbEUlT_E0_NS1_11comp_targetILNS1_3genE0ELNS1_11target_archE4294967295ELNS1_3gpuE0ELNS1_3repE0EEENS1_52radix_sort_onesweep_histogram_config_static_selectorELNS0_4arch9wavefront6targetE1EEEvSC_ ; -- Begin function _ZN7rocprim17ROCPRIM_400000_NS6detail17trampoline_kernelINS0_14default_configENS1_35radix_sort_onesweep_config_selectorItNS0_10empty_typeEEEZNS1_34radix_sort_onesweep_global_offsetsIS3_Lb0EPtPS5_mNS0_19identity_decomposerEEE10hipError_tT1_T2_PT3_SE_jT4_jjP12ihipStream_tbEUlT_E0_NS1_11comp_targetILNS1_3genE0ELNS1_11target_archE4294967295ELNS1_3gpuE0ELNS1_3repE0EEENS1_52radix_sort_onesweep_histogram_config_static_selectorELNS0_4arch9wavefront6targetE1EEEvSC_
	.globl	_ZN7rocprim17ROCPRIM_400000_NS6detail17trampoline_kernelINS0_14default_configENS1_35radix_sort_onesweep_config_selectorItNS0_10empty_typeEEEZNS1_34radix_sort_onesweep_global_offsetsIS3_Lb0EPtPS5_mNS0_19identity_decomposerEEE10hipError_tT1_T2_PT3_SE_jT4_jjP12ihipStream_tbEUlT_E0_NS1_11comp_targetILNS1_3genE0ELNS1_11target_archE4294967295ELNS1_3gpuE0ELNS1_3repE0EEENS1_52radix_sort_onesweep_histogram_config_static_selectorELNS0_4arch9wavefront6targetE1EEEvSC_
	.p2align	8
	.type	_ZN7rocprim17ROCPRIM_400000_NS6detail17trampoline_kernelINS0_14default_configENS1_35radix_sort_onesweep_config_selectorItNS0_10empty_typeEEEZNS1_34radix_sort_onesweep_global_offsetsIS3_Lb0EPtPS5_mNS0_19identity_decomposerEEE10hipError_tT1_T2_PT3_SE_jT4_jjP12ihipStream_tbEUlT_E0_NS1_11comp_targetILNS1_3genE0ELNS1_11target_archE4294967295ELNS1_3gpuE0ELNS1_3repE0EEENS1_52radix_sort_onesweep_histogram_config_static_selectorELNS0_4arch9wavefront6targetE1EEEvSC_,@function
_ZN7rocprim17ROCPRIM_400000_NS6detail17trampoline_kernelINS0_14default_configENS1_35radix_sort_onesweep_config_selectorItNS0_10empty_typeEEEZNS1_34radix_sort_onesweep_global_offsetsIS3_Lb0EPtPS5_mNS0_19identity_decomposerEEE10hipError_tT1_T2_PT3_SE_jT4_jjP12ihipStream_tbEUlT_E0_NS1_11comp_targetILNS1_3genE0ELNS1_11target_archE4294967295ELNS1_3gpuE0ELNS1_3repE0EEENS1_52radix_sort_onesweep_histogram_config_static_selectorELNS0_4arch9wavefront6targetE1EEEvSC_: ; @_ZN7rocprim17ROCPRIM_400000_NS6detail17trampoline_kernelINS0_14default_configENS1_35radix_sort_onesweep_config_selectorItNS0_10empty_typeEEEZNS1_34radix_sort_onesweep_global_offsetsIS3_Lb0EPtPS5_mNS0_19identity_decomposerEEE10hipError_tT1_T2_PT3_SE_jT4_jjP12ihipStream_tbEUlT_E0_NS1_11comp_targetILNS1_3genE0ELNS1_11target_archE4294967295ELNS1_3gpuE0ELNS1_3repE0EEENS1_52radix_sort_onesweep_histogram_config_static_selectorELNS0_4arch9wavefront6targetE1EEEvSC_
; %bb.0:
	.section	.rodata,"a",@progbits
	.p2align	6, 0x0
	.amdhsa_kernel _ZN7rocprim17ROCPRIM_400000_NS6detail17trampoline_kernelINS0_14default_configENS1_35radix_sort_onesweep_config_selectorItNS0_10empty_typeEEEZNS1_34radix_sort_onesweep_global_offsetsIS3_Lb0EPtPS5_mNS0_19identity_decomposerEEE10hipError_tT1_T2_PT3_SE_jT4_jjP12ihipStream_tbEUlT_E0_NS1_11comp_targetILNS1_3genE0ELNS1_11target_archE4294967295ELNS1_3gpuE0ELNS1_3repE0EEENS1_52radix_sort_onesweep_histogram_config_static_selectorELNS0_4arch9wavefront6targetE1EEEvSC_
		.amdhsa_group_segment_fixed_size 0
		.amdhsa_private_segment_fixed_size 0
		.amdhsa_kernarg_size 8
		.amdhsa_user_sgpr_count 6
		.amdhsa_user_sgpr_private_segment_buffer 1
		.amdhsa_user_sgpr_dispatch_ptr 0
		.amdhsa_user_sgpr_queue_ptr 0
		.amdhsa_user_sgpr_kernarg_segment_ptr 1
		.amdhsa_user_sgpr_dispatch_id 0
		.amdhsa_user_sgpr_flat_scratch_init 0
		.amdhsa_user_sgpr_kernarg_preload_length 0
		.amdhsa_user_sgpr_kernarg_preload_offset 0
		.amdhsa_user_sgpr_private_segment_size 0
		.amdhsa_uses_dynamic_stack 0
		.amdhsa_system_sgpr_private_segment_wavefront_offset 0
		.amdhsa_system_sgpr_workgroup_id_x 1
		.amdhsa_system_sgpr_workgroup_id_y 0
		.amdhsa_system_sgpr_workgroup_id_z 0
		.amdhsa_system_sgpr_workgroup_info 0
		.amdhsa_system_vgpr_workitem_id 0
		.amdhsa_next_free_vgpr 1
		.amdhsa_next_free_sgpr 0
		.amdhsa_accum_offset 4
		.amdhsa_reserve_vcc 0
		.amdhsa_reserve_flat_scratch 0
		.amdhsa_float_round_mode_32 0
		.amdhsa_float_round_mode_16_64 0
		.amdhsa_float_denorm_mode_32 3
		.amdhsa_float_denorm_mode_16_64 3
		.amdhsa_dx10_clamp 1
		.amdhsa_ieee_mode 1
		.amdhsa_fp16_overflow 0
		.amdhsa_tg_split 0
		.amdhsa_exception_fp_ieee_invalid_op 0
		.amdhsa_exception_fp_denorm_src 0
		.amdhsa_exception_fp_ieee_div_zero 0
		.amdhsa_exception_fp_ieee_overflow 0
		.amdhsa_exception_fp_ieee_underflow 0
		.amdhsa_exception_fp_ieee_inexact 0
		.amdhsa_exception_int_div_zero 0
	.end_amdhsa_kernel
	.section	.text._ZN7rocprim17ROCPRIM_400000_NS6detail17trampoline_kernelINS0_14default_configENS1_35radix_sort_onesweep_config_selectorItNS0_10empty_typeEEEZNS1_34radix_sort_onesweep_global_offsetsIS3_Lb0EPtPS5_mNS0_19identity_decomposerEEE10hipError_tT1_T2_PT3_SE_jT4_jjP12ihipStream_tbEUlT_E0_NS1_11comp_targetILNS1_3genE0ELNS1_11target_archE4294967295ELNS1_3gpuE0ELNS1_3repE0EEENS1_52radix_sort_onesweep_histogram_config_static_selectorELNS0_4arch9wavefront6targetE1EEEvSC_,"axG",@progbits,_ZN7rocprim17ROCPRIM_400000_NS6detail17trampoline_kernelINS0_14default_configENS1_35radix_sort_onesweep_config_selectorItNS0_10empty_typeEEEZNS1_34radix_sort_onesweep_global_offsetsIS3_Lb0EPtPS5_mNS0_19identity_decomposerEEE10hipError_tT1_T2_PT3_SE_jT4_jjP12ihipStream_tbEUlT_E0_NS1_11comp_targetILNS1_3genE0ELNS1_11target_archE4294967295ELNS1_3gpuE0ELNS1_3repE0EEENS1_52radix_sort_onesweep_histogram_config_static_selectorELNS0_4arch9wavefront6targetE1EEEvSC_,comdat
.Lfunc_end531:
	.size	_ZN7rocprim17ROCPRIM_400000_NS6detail17trampoline_kernelINS0_14default_configENS1_35radix_sort_onesweep_config_selectorItNS0_10empty_typeEEEZNS1_34radix_sort_onesweep_global_offsetsIS3_Lb0EPtPS5_mNS0_19identity_decomposerEEE10hipError_tT1_T2_PT3_SE_jT4_jjP12ihipStream_tbEUlT_E0_NS1_11comp_targetILNS1_3genE0ELNS1_11target_archE4294967295ELNS1_3gpuE0ELNS1_3repE0EEENS1_52radix_sort_onesweep_histogram_config_static_selectorELNS0_4arch9wavefront6targetE1EEEvSC_, .Lfunc_end531-_ZN7rocprim17ROCPRIM_400000_NS6detail17trampoline_kernelINS0_14default_configENS1_35radix_sort_onesweep_config_selectorItNS0_10empty_typeEEEZNS1_34radix_sort_onesweep_global_offsetsIS3_Lb0EPtPS5_mNS0_19identity_decomposerEEE10hipError_tT1_T2_PT3_SE_jT4_jjP12ihipStream_tbEUlT_E0_NS1_11comp_targetILNS1_3genE0ELNS1_11target_archE4294967295ELNS1_3gpuE0ELNS1_3repE0EEENS1_52radix_sort_onesweep_histogram_config_static_selectorELNS0_4arch9wavefront6targetE1EEEvSC_
                                        ; -- End function
	.section	.AMDGPU.csdata,"",@progbits
; Kernel info:
; codeLenInByte = 0
; NumSgprs: 4
; NumVgprs: 0
; NumAgprs: 0
; TotalNumVgprs: 0
; ScratchSize: 0
; MemoryBound: 0
; FloatMode: 240
; IeeeMode: 1
; LDSByteSize: 0 bytes/workgroup (compile time only)
; SGPRBlocks: 0
; VGPRBlocks: 0
; NumSGPRsForWavesPerEU: 4
; NumVGPRsForWavesPerEU: 1
; AccumOffset: 4
; Occupancy: 8
; WaveLimiterHint : 0
; COMPUTE_PGM_RSRC2:SCRATCH_EN: 0
; COMPUTE_PGM_RSRC2:USER_SGPR: 6
; COMPUTE_PGM_RSRC2:TRAP_HANDLER: 0
; COMPUTE_PGM_RSRC2:TGID_X_EN: 1
; COMPUTE_PGM_RSRC2:TGID_Y_EN: 0
; COMPUTE_PGM_RSRC2:TGID_Z_EN: 0
; COMPUTE_PGM_RSRC2:TIDIG_COMP_CNT: 0
; COMPUTE_PGM_RSRC3_GFX90A:ACCUM_OFFSET: 0
; COMPUTE_PGM_RSRC3_GFX90A:TG_SPLIT: 0
	.section	.text._ZN7rocprim17ROCPRIM_400000_NS6detail17trampoline_kernelINS0_14default_configENS1_35radix_sort_onesweep_config_selectorItNS0_10empty_typeEEEZNS1_34radix_sort_onesweep_global_offsetsIS3_Lb0EPtPS5_mNS0_19identity_decomposerEEE10hipError_tT1_T2_PT3_SE_jT4_jjP12ihipStream_tbEUlT_E0_NS1_11comp_targetILNS1_3genE6ELNS1_11target_archE950ELNS1_3gpuE13ELNS1_3repE0EEENS1_52radix_sort_onesweep_histogram_config_static_selectorELNS0_4arch9wavefront6targetE1EEEvSC_,"axG",@progbits,_ZN7rocprim17ROCPRIM_400000_NS6detail17trampoline_kernelINS0_14default_configENS1_35radix_sort_onesweep_config_selectorItNS0_10empty_typeEEEZNS1_34radix_sort_onesweep_global_offsetsIS3_Lb0EPtPS5_mNS0_19identity_decomposerEEE10hipError_tT1_T2_PT3_SE_jT4_jjP12ihipStream_tbEUlT_E0_NS1_11comp_targetILNS1_3genE6ELNS1_11target_archE950ELNS1_3gpuE13ELNS1_3repE0EEENS1_52radix_sort_onesweep_histogram_config_static_selectorELNS0_4arch9wavefront6targetE1EEEvSC_,comdat
	.protected	_ZN7rocprim17ROCPRIM_400000_NS6detail17trampoline_kernelINS0_14default_configENS1_35radix_sort_onesweep_config_selectorItNS0_10empty_typeEEEZNS1_34radix_sort_onesweep_global_offsetsIS3_Lb0EPtPS5_mNS0_19identity_decomposerEEE10hipError_tT1_T2_PT3_SE_jT4_jjP12ihipStream_tbEUlT_E0_NS1_11comp_targetILNS1_3genE6ELNS1_11target_archE950ELNS1_3gpuE13ELNS1_3repE0EEENS1_52radix_sort_onesweep_histogram_config_static_selectorELNS0_4arch9wavefront6targetE1EEEvSC_ ; -- Begin function _ZN7rocprim17ROCPRIM_400000_NS6detail17trampoline_kernelINS0_14default_configENS1_35radix_sort_onesweep_config_selectorItNS0_10empty_typeEEEZNS1_34radix_sort_onesweep_global_offsetsIS3_Lb0EPtPS5_mNS0_19identity_decomposerEEE10hipError_tT1_T2_PT3_SE_jT4_jjP12ihipStream_tbEUlT_E0_NS1_11comp_targetILNS1_3genE6ELNS1_11target_archE950ELNS1_3gpuE13ELNS1_3repE0EEENS1_52radix_sort_onesweep_histogram_config_static_selectorELNS0_4arch9wavefront6targetE1EEEvSC_
	.globl	_ZN7rocprim17ROCPRIM_400000_NS6detail17trampoline_kernelINS0_14default_configENS1_35radix_sort_onesweep_config_selectorItNS0_10empty_typeEEEZNS1_34radix_sort_onesweep_global_offsetsIS3_Lb0EPtPS5_mNS0_19identity_decomposerEEE10hipError_tT1_T2_PT3_SE_jT4_jjP12ihipStream_tbEUlT_E0_NS1_11comp_targetILNS1_3genE6ELNS1_11target_archE950ELNS1_3gpuE13ELNS1_3repE0EEENS1_52radix_sort_onesweep_histogram_config_static_selectorELNS0_4arch9wavefront6targetE1EEEvSC_
	.p2align	8
	.type	_ZN7rocprim17ROCPRIM_400000_NS6detail17trampoline_kernelINS0_14default_configENS1_35radix_sort_onesweep_config_selectorItNS0_10empty_typeEEEZNS1_34radix_sort_onesweep_global_offsetsIS3_Lb0EPtPS5_mNS0_19identity_decomposerEEE10hipError_tT1_T2_PT3_SE_jT4_jjP12ihipStream_tbEUlT_E0_NS1_11comp_targetILNS1_3genE6ELNS1_11target_archE950ELNS1_3gpuE13ELNS1_3repE0EEENS1_52radix_sort_onesweep_histogram_config_static_selectorELNS0_4arch9wavefront6targetE1EEEvSC_,@function
_ZN7rocprim17ROCPRIM_400000_NS6detail17trampoline_kernelINS0_14default_configENS1_35radix_sort_onesweep_config_selectorItNS0_10empty_typeEEEZNS1_34radix_sort_onesweep_global_offsetsIS3_Lb0EPtPS5_mNS0_19identity_decomposerEEE10hipError_tT1_T2_PT3_SE_jT4_jjP12ihipStream_tbEUlT_E0_NS1_11comp_targetILNS1_3genE6ELNS1_11target_archE950ELNS1_3gpuE13ELNS1_3repE0EEENS1_52radix_sort_onesweep_histogram_config_static_selectorELNS0_4arch9wavefront6targetE1EEEvSC_: ; @_ZN7rocprim17ROCPRIM_400000_NS6detail17trampoline_kernelINS0_14default_configENS1_35radix_sort_onesweep_config_selectorItNS0_10empty_typeEEEZNS1_34radix_sort_onesweep_global_offsetsIS3_Lb0EPtPS5_mNS0_19identity_decomposerEEE10hipError_tT1_T2_PT3_SE_jT4_jjP12ihipStream_tbEUlT_E0_NS1_11comp_targetILNS1_3genE6ELNS1_11target_archE950ELNS1_3gpuE13ELNS1_3repE0EEENS1_52radix_sort_onesweep_histogram_config_static_selectorELNS0_4arch9wavefront6targetE1EEEvSC_
; %bb.0:
	.section	.rodata,"a",@progbits
	.p2align	6, 0x0
	.amdhsa_kernel _ZN7rocprim17ROCPRIM_400000_NS6detail17trampoline_kernelINS0_14default_configENS1_35radix_sort_onesweep_config_selectorItNS0_10empty_typeEEEZNS1_34radix_sort_onesweep_global_offsetsIS3_Lb0EPtPS5_mNS0_19identity_decomposerEEE10hipError_tT1_T2_PT3_SE_jT4_jjP12ihipStream_tbEUlT_E0_NS1_11comp_targetILNS1_3genE6ELNS1_11target_archE950ELNS1_3gpuE13ELNS1_3repE0EEENS1_52radix_sort_onesweep_histogram_config_static_selectorELNS0_4arch9wavefront6targetE1EEEvSC_
		.amdhsa_group_segment_fixed_size 0
		.amdhsa_private_segment_fixed_size 0
		.amdhsa_kernarg_size 8
		.amdhsa_user_sgpr_count 6
		.amdhsa_user_sgpr_private_segment_buffer 1
		.amdhsa_user_sgpr_dispatch_ptr 0
		.amdhsa_user_sgpr_queue_ptr 0
		.amdhsa_user_sgpr_kernarg_segment_ptr 1
		.amdhsa_user_sgpr_dispatch_id 0
		.amdhsa_user_sgpr_flat_scratch_init 0
		.amdhsa_user_sgpr_kernarg_preload_length 0
		.amdhsa_user_sgpr_kernarg_preload_offset 0
		.amdhsa_user_sgpr_private_segment_size 0
		.amdhsa_uses_dynamic_stack 0
		.amdhsa_system_sgpr_private_segment_wavefront_offset 0
		.amdhsa_system_sgpr_workgroup_id_x 1
		.amdhsa_system_sgpr_workgroup_id_y 0
		.amdhsa_system_sgpr_workgroup_id_z 0
		.amdhsa_system_sgpr_workgroup_info 0
		.amdhsa_system_vgpr_workitem_id 0
		.amdhsa_next_free_vgpr 1
		.amdhsa_next_free_sgpr 0
		.amdhsa_accum_offset 4
		.amdhsa_reserve_vcc 0
		.amdhsa_reserve_flat_scratch 0
		.amdhsa_float_round_mode_32 0
		.amdhsa_float_round_mode_16_64 0
		.amdhsa_float_denorm_mode_32 3
		.amdhsa_float_denorm_mode_16_64 3
		.amdhsa_dx10_clamp 1
		.amdhsa_ieee_mode 1
		.amdhsa_fp16_overflow 0
		.amdhsa_tg_split 0
		.amdhsa_exception_fp_ieee_invalid_op 0
		.amdhsa_exception_fp_denorm_src 0
		.amdhsa_exception_fp_ieee_div_zero 0
		.amdhsa_exception_fp_ieee_overflow 0
		.amdhsa_exception_fp_ieee_underflow 0
		.amdhsa_exception_fp_ieee_inexact 0
		.amdhsa_exception_int_div_zero 0
	.end_amdhsa_kernel
	.section	.text._ZN7rocprim17ROCPRIM_400000_NS6detail17trampoline_kernelINS0_14default_configENS1_35radix_sort_onesweep_config_selectorItNS0_10empty_typeEEEZNS1_34radix_sort_onesweep_global_offsetsIS3_Lb0EPtPS5_mNS0_19identity_decomposerEEE10hipError_tT1_T2_PT3_SE_jT4_jjP12ihipStream_tbEUlT_E0_NS1_11comp_targetILNS1_3genE6ELNS1_11target_archE950ELNS1_3gpuE13ELNS1_3repE0EEENS1_52radix_sort_onesweep_histogram_config_static_selectorELNS0_4arch9wavefront6targetE1EEEvSC_,"axG",@progbits,_ZN7rocprim17ROCPRIM_400000_NS6detail17trampoline_kernelINS0_14default_configENS1_35radix_sort_onesweep_config_selectorItNS0_10empty_typeEEEZNS1_34radix_sort_onesweep_global_offsetsIS3_Lb0EPtPS5_mNS0_19identity_decomposerEEE10hipError_tT1_T2_PT3_SE_jT4_jjP12ihipStream_tbEUlT_E0_NS1_11comp_targetILNS1_3genE6ELNS1_11target_archE950ELNS1_3gpuE13ELNS1_3repE0EEENS1_52radix_sort_onesweep_histogram_config_static_selectorELNS0_4arch9wavefront6targetE1EEEvSC_,comdat
.Lfunc_end532:
	.size	_ZN7rocprim17ROCPRIM_400000_NS6detail17trampoline_kernelINS0_14default_configENS1_35radix_sort_onesweep_config_selectorItNS0_10empty_typeEEEZNS1_34radix_sort_onesweep_global_offsetsIS3_Lb0EPtPS5_mNS0_19identity_decomposerEEE10hipError_tT1_T2_PT3_SE_jT4_jjP12ihipStream_tbEUlT_E0_NS1_11comp_targetILNS1_3genE6ELNS1_11target_archE950ELNS1_3gpuE13ELNS1_3repE0EEENS1_52radix_sort_onesweep_histogram_config_static_selectorELNS0_4arch9wavefront6targetE1EEEvSC_, .Lfunc_end532-_ZN7rocprim17ROCPRIM_400000_NS6detail17trampoline_kernelINS0_14default_configENS1_35radix_sort_onesweep_config_selectorItNS0_10empty_typeEEEZNS1_34radix_sort_onesweep_global_offsetsIS3_Lb0EPtPS5_mNS0_19identity_decomposerEEE10hipError_tT1_T2_PT3_SE_jT4_jjP12ihipStream_tbEUlT_E0_NS1_11comp_targetILNS1_3genE6ELNS1_11target_archE950ELNS1_3gpuE13ELNS1_3repE0EEENS1_52radix_sort_onesweep_histogram_config_static_selectorELNS0_4arch9wavefront6targetE1EEEvSC_
                                        ; -- End function
	.section	.AMDGPU.csdata,"",@progbits
; Kernel info:
; codeLenInByte = 0
; NumSgprs: 4
; NumVgprs: 0
; NumAgprs: 0
; TotalNumVgprs: 0
; ScratchSize: 0
; MemoryBound: 0
; FloatMode: 240
; IeeeMode: 1
; LDSByteSize: 0 bytes/workgroup (compile time only)
; SGPRBlocks: 0
; VGPRBlocks: 0
; NumSGPRsForWavesPerEU: 4
; NumVGPRsForWavesPerEU: 1
; AccumOffset: 4
; Occupancy: 8
; WaveLimiterHint : 0
; COMPUTE_PGM_RSRC2:SCRATCH_EN: 0
; COMPUTE_PGM_RSRC2:USER_SGPR: 6
; COMPUTE_PGM_RSRC2:TRAP_HANDLER: 0
; COMPUTE_PGM_RSRC2:TGID_X_EN: 1
; COMPUTE_PGM_RSRC2:TGID_Y_EN: 0
; COMPUTE_PGM_RSRC2:TGID_Z_EN: 0
; COMPUTE_PGM_RSRC2:TIDIG_COMP_CNT: 0
; COMPUTE_PGM_RSRC3_GFX90A:ACCUM_OFFSET: 0
; COMPUTE_PGM_RSRC3_GFX90A:TG_SPLIT: 0
	.section	.text._ZN7rocprim17ROCPRIM_400000_NS6detail17trampoline_kernelINS0_14default_configENS1_35radix_sort_onesweep_config_selectorItNS0_10empty_typeEEEZNS1_34radix_sort_onesweep_global_offsetsIS3_Lb0EPtPS5_mNS0_19identity_decomposerEEE10hipError_tT1_T2_PT3_SE_jT4_jjP12ihipStream_tbEUlT_E0_NS1_11comp_targetILNS1_3genE5ELNS1_11target_archE942ELNS1_3gpuE9ELNS1_3repE0EEENS1_52radix_sort_onesweep_histogram_config_static_selectorELNS0_4arch9wavefront6targetE1EEEvSC_,"axG",@progbits,_ZN7rocprim17ROCPRIM_400000_NS6detail17trampoline_kernelINS0_14default_configENS1_35radix_sort_onesweep_config_selectorItNS0_10empty_typeEEEZNS1_34radix_sort_onesweep_global_offsetsIS3_Lb0EPtPS5_mNS0_19identity_decomposerEEE10hipError_tT1_T2_PT3_SE_jT4_jjP12ihipStream_tbEUlT_E0_NS1_11comp_targetILNS1_3genE5ELNS1_11target_archE942ELNS1_3gpuE9ELNS1_3repE0EEENS1_52radix_sort_onesweep_histogram_config_static_selectorELNS0_4arch9wavefront6targetE1EEEvSC_,comdat
	.protected	_ZN7rocprim17ROCPRIM_400000_NS6detail17trampoline_kernelINS0_14default_configENS1_35radix_sort_onesweep_config_selectorItNS0_10empty_typeEEEZNS1_34radix_sort_onesweep_global_offsetsIS3_Lb0EPtPS5_mNS0_19identity_decomposerEEE10hipError_tT1_T2_PT3_SE_jT4_jjP12ihipStream_tbEUlT_E0_NS1_11comp_targetILNS1_3genE5ELNS1_11target_archE942ELNS1_3gpuE9ELNS1_3repE0EEENS1_52radix_sort_onesweep_histogram_config_static_selectorELNS0_4arch9wavefront6targetE1EEEvSC_ ; -- Begin function _ZN7rocprim17ROCPRIM_400000_NS6detail17trampoline_kernelINS0_14default_configENS1_35radix_sort_onesweep_config_selectorItNS0_10empty_typeEEEZNS1_34radix_sort_onesweep_global_offsetsIS3_Lb0EPtPS5_mNS0_19identity_decomposerEEE10hipError_tT1_T2_PT3_SE_jT4_jjP12ihipStream_tbEUlT_E0_NS1_11comp_targetILNS1_3genE5ELNS1_11target_archE942ELNS1_3gpuE9ELNS1_3repE0EEENS1_52radix_sort_onesweep_histogram_config_static_selectorELNS0_4arch9wavefront6targetE1EEEvSC_
	.globl	_ZN7rocprim17ROCPRIM_400000_NS6detail17trampoline_kernelINS0_14default_configENS1_35radix_sort_onesweep_config_selectorItNS0_10empty_typeEEEZNS1_34radix_sort_onesweep_global_offsetsIS3_Lb0EPtPS5_mNS0_19identity_decomposerEEE10hipError_tT1_T2_PT3_SE_jT4_jjP12ihipStream_tbEUlT_E0_NS1_11comp_targetILNS1_3genE5ELNS1_11target_archE942ELNS1_3gpuE9ELNS1_3repE0EEENS1_52radix_sort_onesweep_histogram_config_static_selectorELNS0_4arch9wavefront6targetE1EEEvSC_
	.p2align	8
	.type	_ZN7rocprim17ROCPRIM_400000_NS6detail17trampoline_kernelINS0_14default_configENS1_35radix_sort_onesweep_config_selectorItNS0_10empty_typeEEEZNS1_34radix_sort_onesweep_global_offsetsIS3_Lb0EPtPS5_mNS0_19identity_decomposerEEE10hipError_tT1_T2_PT3_SE_jT4_jjP12ihipStream_tbEUlT_E0_NS1_11comp_targetILNS1_3genE5ELNS1_11target_archE942ELNS1_3gpuE9ELNS1_3repE0EEENS1_52radix_sort_onesweep_histogram_config_static_selectorELNS0_4arch9wavefront6targetE1EEEvSC_,@function
_ZN7rocprim17ROCPRIM_400000_NS6detail17trampoline_kernelINS0_14default_configENS1_35radix_sort_onesweep_config_selectorItNS0_10empty_typeEEEZNS1_34radix_sort_onesweep_global_offsetsIS3_Lb0EPtPS5_mNS0_19identity_decomposerEEE10hipError_tT1_T2_PT3_SE_jT4_jjP12ihipStream_tbEUlT_E0_NS1_11comp_targetILNS1_3genE5ELNS1_11target_archE942ELNS1_3gpuE9ELNS1_3repE0EEENS1_52radix_sort_onesweep_histogram_config_static_selectorELNS0_4arch9wavefront6targetE1EEEvSC_: ; @_ZN7rocprim17ROCPRIM_400000_NS6detail17trampoline_kernelINS0_14default_configENS1_35radix_sort_onesweep_config_selectorItNS0_10empty_typeEEEZNS1_34radix_sort_onesweep_global_offsetsIS3_Lb0EPtPS5_mNS0_19identity_decomposerEEE10hipError_tT1_T2_PT3_SE_jT4_jjP12ihipStream_tbEUlT_E0_NS1_11comp_targetILNS1_3genE5ELNS1_11target_archE942ELNS1_3gpuE9ELNS1_3repE0EEENS1_52radix_sort_onesweep_histogram_config_static_selectorELNS0_4arch9wavefront6targetE1EEEvSC_
; %bb.0:
	.section	.rodata,"a",@progbits
	.p2align	6, 0x0
	.amdhsa_kernel _ZN7rocprim17ROCPRIM_400000_NS6detail17trampoline_kernelINS0_14default_configENS1_35radix_sort_onesweep_config_selectorItNS0_10empty_typeEEEZNS1_34radix_sort_onesweep_global_offsetsIS3_Lb0EPtPS5_mNS0_19identity_decomposerEEE10hipError_tT1_T2_PT3_SE_jT4_jjP12ihipStream_tbEUlT_E0_NS1_11comp_targetILNS1_3genE5ELNS1_11target_archE942ELNS1_3gpuE9ELNS1_3repE0EEENS1_52radix_sort_onesweep_histogram_config_static_selectorELNS0_4arch9wavefront6targetE1EEEvSC_
		.amdhsa_group_segment_fixed_size 0
		.amdhsa_private_segment_fixed_size 0
		.amdhsa_kernarg_size 8
		.amdhsa_user_sgpr_count 6
		.amdhsa_user_sgpr_private_segment_buffer 1
		.amdhsa_user_sgpr_dispatch_ptr 0
		.amdhsa_user_sgpr_queue_ptr 0
		.amdhsa_user_sgpr_kernarg_segment_ptr 1
		.amdhsa_user_sgpr_dispatch_id 0
		.amdhsa_user_sgpr_flat_scratch_init 0
		.amdhsa_user_sgpr_kernarg_preload_length 0
		.amdhsa_user_sgpr_kernarg_preload_offset 0
		.amdhsa_user_sgpr_private_segment_size 0
		.amdhsa_uses_dynamic_stack 0
		.amdhsa_system_sgpr_private_segment_wavefront_offset 0
		.amdhsa_system_sgpr_workgroup_id_x 1
		.amdhsa_system_sgpr_workgroup_id_y 0
		.amdhsa_system_sgpr_workgroup_id_z 0
		.amdhsa_system_sgpr_workgroup_info 0
		.amdhsa_system_vgpr_workitem_id 0
		.amdhsa_next_free_vgpr 1
		.amdhsa_next_free_sgpr 0
		.amdhsa_accum_offset 4
		.amdhsa_reserve_vcc 0
		.amdhsa_reserve_flat_scratch 0
		.amdhsa_float_round_mode_32 0
		.amdhsa_float_round_mode_16_64 0
		.amdhsa_float_denorm_mode_32 3
		.amdhsa_float_denorm_mode_16_64 3
		.amdhsa_dx10_clamp 1
		.amdhsa_ieee_mode 1
		.amdhsa_fp16_overflow 0
		.amdhsa_tg_split 0
		.amdhsa_exception_fp_ieee_invalid_op 0
		.amdhsa_exception_fp_denorm_src 0
		.amdhsa_exception_fp_ieee_div_zero 0
		.amdhsa_exception_fp_ieee_overflow 0
		.amdhsa_exception_fp_ieee_underflow 0
		.amdhsa_exception_fp_ieee_inexact 0
		.amdhsa_exception_int_div_zero 0
	.end_amdhsa_kernel
	.section	.text._ZN7rocprim17ROCPRIM_400000_NS6detail17trampoline_kernelINS0_14default_configENS1_35radix_sort_onesweep_config_selectorItNS0_10empty_typeEEEZNS1_34radix_sort_onesweep_global_offsetsIS3_Lb0EPtPS5_mNS0_19identity_decomposerEEE10hipError_tT1_T2_PT3_SE_jT4_jjP12ihipStream_tbEUlT_E0_NS1_11comp_targetILNS1_3genE5ELNS1_11target_archE942ELNS1_3gpuE9ELNS1_3repE0EEENS1_52radix_sort_onesweep_histogram_config_static_selectorELNS0_4arch9wavefront6targetE1EEEvSC_,"axG",@progbits,_ZN7rocprim17ROCPRIM_400000_NS6detail17trampoline_kernelINS0_14default_configENS1_35radix_sort_onesweep_config_selectorItNS0_10empty_typeEEEZNS1_34radix_sort_onesweep_global_offsetsIS3_Lb0EPtPS5_mNS0_19identity_decomposerEEE10hipError_tT1_T2_PT3_SE_jT4_jjP12ihipStream_tbEUlT_E0_NS1_11comp_targetILNS1_3genE5ELNS1_11target_archE942ELNS1_3gpuE9ELNS1_3repE0EEENS1_52radix_sort_onesweep_histogram_config_static_selectorELNS0_4arch9wavefront6targetE1EEEvSC_,comdat
.Lfunc_end533:
	.size	_ZN7rocprim17ROCPRIM_400000_NS6detail17trampoline_kernelINS0_14default_configENS1_35radix_sort_onesweep_config_selectorItNS0_10empty_typeEEEZNS1_34radix_sort_onesweep_global_offsetsIS3_Lb0EPtPS5_mNS0_19identity_decomposerEEE10hipError_tT1_T2_PT3_SE_jT4_jjP12ihipStream_tbEUlT_E0_NS1_11comp_targetILNS1_3genE5ELNS1_11target_archE942ELNS1_3gpuE9ELNS1_3repE0EEENS1_52radix_sort_onesweep_histogram_config_static_selectorELNS0_4arch9wavefront6targetE1EEEvSC_, .Lfunc_end533-_ZN7rocprim17ROCPRIM_400000_NS6detail17trampoline_kernelINS0_14default_configENS1_35radix_sort_onesweep_config_selectorItNS0_10empty_typeEEEZNS1_34radix_sort_onesweep_global_offsetsIS3_Lb0EPtPS5_mNS0_19identity_decomposerEEE10hipError_tT1_T2_PT3_SE_jT4_jjP12ihipStream_tbEUlT_E0_NS1_11comp_targetILNS1_3genE5ELNS1_11target_archE942ELNS1_3gpuE9ELNS1_3repE0EEENS1_52radix_sort_onesweep_histogram_config_static_selectorELNS0_4arch9wavefront6targetE1EEEvSC_
                                        ; -- End function
	.section	.AMDGPU.csdata,"",@progbits
; Kernel info:
; codeLenInByte = 0
; NumSgprs: 4
; NumVgprs: 0
; NumAgprs: 0
; TotalNumVgprs: 0
; ScratchSize: 0
; MemoryBound: 0
; FloatMode: 240
; IeeeMode: 1
; LDSByteSize: 0 bytes/workgroup (compile time only)
; SGPRBlocks: 0
; VGPRBlocks: 0
; NumSGPRsForWavesPerEU: 4
; NumVGPRsForWavesPerEU: 1
; AccumOffset: 4
; Occupancy: 8
; WaveLimiterHint : 0
; COMPUTE_PGM_RSRC2:SCRATCH_EN: 0
; COMPUTE_PGM_RSRC2:USER_SGPR: 6
; COMPUTE_PGM_RSRC2:TRAP_HANDLER: 0
; COMPUTE_PGM_RSRC2:TGID_X_EN: 1
; COMPUTE_PGM_RSRC2:TGID_Y_EN: 0
; COMPUTE_PGM_RSRC2:TGID_Z_EN: 0
; COMPUTE_PGM_RSRC2:TIDIG_COMP_CNT: 0
; COMPUTE_PGM_RSRC3_GFX90A:ACCUM_OFFSET: 0
; COMPUTE_PGM_RSRC3_GFX90A:TG_SPLIT: 0
	.section	.text._ZN7rocprim17ROCPRIM_400000_NS6detail17trampoline_kernelINS0_14default_configENS1_35radix_sort_onesweep_config_selectorItNS0_10empty_typeEEEZNS1_34radix_sort_onesweep_global_offsetsIS3_Lb0EPtPS5_mNS0_19identity_decomposerEEE10hipError_tT1_T2_PT3_SE_jT4_jjP12ihipStream_tbEUlT_E0_NS1_11comp_targetILNS1_3genE2ELNS1_11target_archE906ELNS1_3gpuE6ELNS1_3repE0EEENS1_52radix_sort_onesweep_histogram_config_static_selectorELNS0_4arch9wavefront6targetE1EEEvSC_,"axG",@progbits,_ZN7rocprim17ROCPRIM_400000_NS6detail17trampoline_kernelINS0_14default_configENS1_35radix_sort_onesweep_config_selectorItNS0_10empty_typeEEEZNS1_34radix_sort_onesweep_global_offsetsIS3_Lb0EPtPS5_mNS0_19identity_decomposerEEE10hipError_tT1_T2_PT3_SE_jT4_jjP12ihipStream_tbEUlT_E0_NS1_11comp_targetILNS1_3genE2ELNS1_11target_archE906ELNS1_3gpuE6ELNS1_3repE0EEENS1_52radix_sort_onesweep_histogram_config_static_selectorELNS0_4arch9wavefront6targetE1EEEvSC_,comdat
	.protected	_ZN7rocprim17ROCPRIM_400000_NS6detail17trampoline_kernelINS0_14default_configENS1_35radix_sort_onesweep_config_selectorItNS0_10empty_typeEEEZNS1_34radix_sort_onesweep_global_offsetsIS3_Lb0EPtPS5_mNS0_19identity_decomposerEEE10hipError_tT1_T2_PT3_SE_jT4_jjP12ihipStream_tbEUlT_E0_NS1_11comp_targetILNS1_3genE2ELNS1_11target_archE906ELNS1_3gpuE6ELNS1_3repE0EEENS1_52radix_sort_onesweep_histogram_config_static_selectorELNS0_4arch9wavefront6targetE1EEEvSC_ ; -- Begin function _ZN7rocprim17ROCPRIM_400000_NS6detail17trampoline_kernelINS0_14default_configENS1_35radix_sort_onesweep_config_selectorItNS0_10empty_typeEEEZNS1_34radix_sort_onesweep_global_offsetsIS3_Lb0EPtPS5_mNS0_19identity_decomposerEEE10hipError_tT1_T2_PT3_SE_jT4_jjP12ihipStream_tbEUlT_E0_NS1_11comp_targetILNS1_3genE2ELNS1_11target_archE906ELNS1_3gpuE6ELNS1_3repE0EEENS1_52radix_sort_onesweep_histogram_config_static_selectorELNS0_4arch9wavefront6targetE1EEEvSC_
	.globl	_ZN7rocprim17ROCPRIM_400000_NS6detail17trampoline_kernelINS0_14default_configENS1_35radix_sort_onesweep_config_selectorItNS0_10empty_typeEEEZNS1_34radix_sort_onesweep_global_offsetsIS3_Lb0EPtPS5_mNS0_19identity_decomposerEEE10hipError_tT1_T2_PT3_SE_jT4_jjP12ihipStream_tbEUlT_E0_NS1_11comp_targetILNS1_3genE2ELNS1_11target_archE906ELNS1_3gpuE6ELNS1_3repE0EEENS1_52radix_sort_onesweep_histogram_config_static_selectorELNS0_4arch9wavefront6targetE1EEEvSC_
	.p2align	8
	.type	_ZN7rocprim17ROCPRIM_400000_NS6detail17trampoline_kernelINS0_14default_configENS1_35radix_sort_onesweep_config_selectorItNS0_10empty_typeEEEZNS1_34radix_sort_onesweep_global_offsetsIS3_Lb0EPtPS5_mNS0_19identity_decomposerEEE10hipError_tT1_T2_PT3_SE_jT4_jjP12ihipStream_tbEUlT_E0_NS1_11comp_targetILNS1_3genE2ELNS1_11target_archE906ELNS1_3gpuE6ELNS1_3repE0EEENS1_52radix_sort_onesweep_histogram_config_static_selectorELNS0_4arch9wavefront6targetE1EEEvSC_,@function
_ZN7rocprim17ROCPRIM_400000_NS6detail17trampoline_kernelINS0_14default_configENS1_35radix_sort_onesweep_config_selectorItNS0_10empty_typeEEEZNS1_34radix_sort_onesweep_global_offsetsIS3_Lb0EPtPS5_mNS0_19identity_decomposerEEE10hipError_tT1_T2_PT3_SE_jT4_jjP12ihipStream_tbEUlT_E0_NS1_11comp_targetILNS1_3genE2ELNS1_11target_archE906ELNS1_3gpuE6ELNS1_3repE0EEENS1_52radix_sort_onesweep_histogram_config_static_selectorELNS0_4arch9wavefront6targetE1EEEvSC_: ; @_ZN7rocprim17ROCPRIM_400000_NS6detail17trampoline_kernelINS0_14default_configENS1_35radix_sort_onesweep_config_selectorItNS0_10empty_typeEEEZNS1_34radix_sort_onesweep_global_offsetsIS3_Lb0EPtPS5_mNS0_19identity_decomposerEEE10hipError_tT1_T2_PT3_SE_jT4_jjP12ihipStream_tbEUlT_E0_NS1_11comp_targetILNS1_3genE2ELNS1_11target_archE906ELNS1_3gpuE6ELNS1_3repE0EEENS1_52radix_sort_onesweep_histogram_config_static_selectorELNS0_4arch9wavefront6targetE1EEEvSC_
; %bb.0:
	.section	.rodata,"a",@progbits
	.p2align	6, 0x0
	.amdhsa_kernel _ZN7rocprim17ROCPRIM_400000_NS6detail17trampoline_kernelINS0_14default_configENS1_35radix_sort_onesweep_config_selectorItNS0_10empty_typeEEEZNS1_34radix_sort_onesweep_global_offsetsIS3_Lb0EPtPS5_mNS0_19identity_decomposerEEE10hipError_tT1_T2_PT3_SE_jT4_jjP12ihipStream_tbEUlT_E0_NS1_11comp_targetILNS1_3genE2ELNS1_11target_archE906ELNS1_3gpuE6ELNS1_3repE0EEENS1_52radix_sort_onesweep_histogram_config_static_selectorELNS0_4arch9wavefront6targetE1EEEvSC_
		.amdhsa_group_segment_fixed_size 0
		.amdhsa_private_segment_fixed_size 0
		.amdhsa_kernarg_size 8
		.amdhsa_user_sgpr_count 6
		.amdhsa_user_sgpr_private_segment_buffer 1
		.amdhsa_user_sgpr_dispatch_ptr 0
		.amdhsa_user_sgpr_queue_ptr 0
		.amdhsa_user_sgpr_kernarg_segment_ptr 1
		.amdhsa_user_sgpr_dispatch_id 0
		.amdhsa_user_sgpr_flat_scratch_init 0
		.amdhsa_user_sgpr_kernarg_preload_length 0
		.amdhsa_user_sgpr_kernarg_preload_offset 0
		.amdhsa_user_sgpr_private_segment_size 0
		.amdhsa_uses_dynamic_stack 0
		.amdhsa_system_sgpr_private_segment_wavefront_offset 0
		.amdhsa_system_sgpr_workgroup_id_x 1
		.amdhsa_system_sgpr_workgroup_id_y 0
		.amdhsa_system_sgpr_workgroup_id_z 0
		.amdhsa_system_sgpr_workgroup_info 0
		.amdhsa_system_vgpr_workitem_id 0
		.amdhsa_next_free_vgpr 1
		.amdhsa_next_free_sgpr 0
		.amdhsa_accum_offset 4
		.amdhsa_reserve_vcc 0
		.amdhsa_reserve_flat_scratch 0
		.amdhsa_float_round_mode_32 0
		.amdhsa_float_round_mode_16_64 0
		.amdhsa_float_denorm_mode_32 3
		.amdhsa_float_denorm_mode_16_64 3
		.amdhsa_dx10_clamp 1
		.amdhsa_ieee_mode 1
		.amdhsa_fp16_overflow 0
		.amdhsa_tg_split 0
		.amdhsa_exception_fp_ieee_invalid_op 0
		.amdhsa_exception_fp_denorm_src 0
		.amdhsa_exception_fp_ieee_div_zero 0
		.amdhsa_exception_fp_ieee_overflow 0
		.amdhsa_exception_fp_ieee_underflow 0
		.amdhsa_exception_fp_ieee_inexact 0
		.amdhsa_exception_int_div_zero 0
	.end_amdhsa_kernel
	.section	.text._ZN7rocprim17ROCPRIM_400000_NS6detail17trampoline_kernelINS0_14default_configENS1_35radix_sort_onesweep_config_selectorItNS0_10empty_typeEEEZNS1_34radix_sort_onesweep_global_offsetsIS3_Lb0EPtPS5_mNS0_19identity_decomposerEEE10hipError_tT1_T2_PT3_SE_jT4_jjP12ihipStream_tbEUlT_E0_NS1_11comp_targetILNS1_3genE2ELNS1_11target_archE906ELNS1_3gpuE6ELNS1_3repE0EEENS1_52radix_sort_onesweep_histogram_config_static_selectorELNS0_4arch9wavefront6targetE1EEEvSC_,"axG",@progbits,_ZN7rocprim17ROCPRIM_400000_NS6detail17trampoline_kernelINS0_14default_configENS1_35radix_sort_onesweep_config_selectorItNS0_10empty_typeEEEZNS1_34radix_sort_onesweep_global_offsetsIS3_Lb0EPtPS5_mNS0_19identity_decomposerEEE10hipError_tT1_T2_PT3_SE_jT4_jjP12ihipStream_tbEUlT_E0_NS1_11comp_targetILNS1_3genE2ELNS1_11target_archE906ELNS1_3gpuE6ELNS1_3repE0EEENS1_52radix_sort_onesweep_histogram_config_static_selectorELNS0_4arch9wavefront6targetE1EEEvSC_,comdat
.Lfunc_end534:
	.size	_ZN7rocprim17ROCPRIM_400000_NS6detail17trampoline_kernelINS0_14default_configENS1_35radix_sort_onesweep_config_selectorItNS0_10empty_typeEEEZNS1_34radix_sort_onesweep_global_offsetsIS3_Lb0EPtPS5_mNS0_19identity_decomposerEEE10hipError_tT1_T2_PT3_SE_jT4_jjP12ihipStream_tbEUlT_E0_NS1_11comp_targetILNS1_3genE2ELNS1_11target_archE906ELNS1_3gpuE6ELNS1_3repE0EEENS1_52radix_sort_onesweep_histogram_config_static_selectorELNS0_4arch9wavefront6targetE1EEEvSC_, .Lfunc_end534-_ZN7rocprim17ROCPRIM_400000_NS6detail17trampoline_kernelINS0_14default_configENS1_35radix_sort_onesweep_config_selectorItNS0_10empty_typeEEEZNS1_34radix_sort_onesweep_global_offsetsIS3_Lb0EPtPS5_mNS0_19identity_decomposerEEE10hipError_tT1_T2_PT3_SE_jT4_jjP12ihipStream_tbEUlT_E0_NS1_11comp_targetILNS1_3genE2ELNS1_11target_archE906ELNS1_3gpuE6ELNS1_3repE0EEENS1_52radix_sort_onesweep_histogram_config_static_selectorELNS0_4arch9wavefront6targetE1EEEvSC_
                                        ; -- End function
	.section	.AMDGPU.csdata,"",@progbits
; Kernel info:
; codeLenInByte = 0
; NumSgprs: 4
; NumVgprs: 0
; NumAgprs: 0
; TotalNumVgprs: 0
; ScratchSize: 0
; MemoryBound: 0
; FloatMode: 240
; IeeeMode: 1
; LDSByteSize: 0 bytes/workgroup (compile time only)
; SGPRBlocks: 0
; VGPRBlocks: 0
; NumSGPRsForWavesPerEU: 4
; NumVGPRsForWavesPerEU: 1
; AccumOffset: 4
; Occupancy: 8
; WaveLimiterHint : 0
; COMPUTE_PGM_RSRC2:SCRATCH_EN: 0
; COMPUTE_PGM_RSRC2:USER_SGPR: 6
; COMPUTE_PGM_RSRC2:TRAP_HANDLER: 0
; COMPUTE_PGM_RSRC2:TGID_X_EN: 1
; COMPUTE_PGM_RSRC2:TGID_Y_EN: 0
; COMPUTE_PGM_RSRC2:TGID_Z_EN: 0
; COMPUTE_PGM_RSRC2:TIDIG_COMP_CNT: 0
; COMPUTE_PGM_RSRC3_GFX90A:ACCUM_OFFSET: 0
; COMPUTE_PGM_RSRC3_GFX90A:TG_SPLIT: 0
	.section	.text._ZN7rocprim17ROCPRIM_400000_NS6detail17trampoline_kernelINS0_14default_configENS1_35radix_sort_onesweep_config_selectorItNS0_10empty_typeEEEZNS1_34radix_sort_onesweep_global_offsetsIS3_Lb0EPtPS5_mNS0_19identity_decomposerEEE10hipError_tT1_T2_PT3_SE_jT4_jjP12ihipStream_tbEUlT_E0_NS1_11comp_targetILNS1_3genE4ELNS1_11target_archE910ELNS1_3gpuE8ELNS1_3repE0EEENS1_52radix_sort_onesweep_histogram_config_static_selectorELNS0_4arch9wavefront6targetE1EEEvSC_,"axG",@progbits,_ZN7rocprim17ROCPRIM_400000_NS6detail17trampoline_kernelINS0_14default_configENS1_35radix_sort_onesweep_config_selectorItNS0_10empty_typeEEEZNS1_34radix_sort_onesweep_global_offsetsIS3_Lb0EPtPS5_mNS0_19identity_decomposerEEE10hipError_tT1_T2_PT3_SE_jT4_jjP12ihipStream_tbEUlT_E0_NS1_11comp_targetILNS1_3genE4ELNS1_11target_archE910ELNS1_3gpuE8ELNS1_3repE0EEENS1_52radix_sort_onesweep_histogram_config_static_selectorELNS0_4arch9wavefront6targetE1EEEvSC_,comdat
	.protected	_ZN7rocprim17ROCPRIM_400000_NS6detail17trampoline_kernelINS0_14default_configENS1_35radix_sort_onesweep_config_selectorItNS0_10empty_typeEEEZNS1_34radix_sort_onesweep_global_offsetsIS3_Lb0EPtPS5_mNS0_19identity_decomposerEEE10hipError_tT1_T2_PT3_SE_jT4_jjP12ihipStream_tbEUlT_E0_NS1_11comp_targetILNS1_3genE4ELNS1_11target_archE910ELNS1_3gpuE8ELNS1_3repE0EEENS1_52radix_sort_onesweep_histogram_config_static_selectorELNS0_4arch9wavefront6targetE1EEEvSC_ ; -- Begin function _ZN7rocprim17ROCPRIM_400000_NS6detail17trampoline_kernelINS0_14default_configENS1_35radix_sort_onesweep_config_selectorItNS0_10empty_typeEEEZNS1_34radix_sort_onesweep_global_offsetsIS3_Lb0EPtPS5_mNS0_19identity_decomposerEEE10hipError_tT1_T2_PT3_SE_jT4_jjP12ihipStream_tbEUlT_E0_NS1_11comp_targetILNS1_3genE4ELNS1_11target_archE910ELNS1_3gpuE8ELNS1_3repE0EEENS1_52radix_sort_onesweep_histogram_config_static_selectorELNS0_4arch9wavefront6targetE1EEEvSC_
	.globl	_ZN7rocprim17ROCPRIM_400000_NS6detail17trampoline_kernelINS0_14default_configENS1_35radix_sort_onesweep_config_selectorItNS0_10empty_typeEEEZNS1_34radix_sort_onesweep_global_offsetsIS3_Lb0EPtPS5_mNS0_19identity_decomposerEEE10hipError_tT1_T2_PT3_SE_jT4_jjP12ihipStream_tbEUlT_E0_NS1_11comp_targetILNS1_3genE4ELNS1_11target_archE910ELNS1_3gpuE8ELNS1_3repE0EEENS1_52radix_sort_onesweep_histogram_config_static_selectorELNS0_4arch9wavefront6targetE1EEEvSC_
	.p2align	8
	.type	_ZN7rocprim17ROCPRIM_400000_NS6detail17trampoline_kernelINS0_14default_configENS1_35radix_sort_onesweep_config_selectorItNS0_10empty_typeEEEZNS1_34radix_sort_onesweep_global_offsetsIS3_Lb0EPtPS5_mNS0_19identity_decomposerEEE10hipError_tT1_T2_PT3_SE_jT4_jjP12ihipStream_tbEUlT_E0_NS1_11comp_targetILNS1_3genE4ELNS1_11target_archE910ELNS1_3gpuE8ELNS1_3repE0EEENS1_52radix_sort_onesweep_histogram_config_static_selectorELNS0_4arch9wavefront6targetE1EEEvSC_,@function
_ZN7rocprim17ROCPRIM_400000_NS6detail17trampoline_kernelINS0_14default_configENS1_35radix_sort_onesweep_config_selectorItNS0_10empty_typeEEEZNS1_34radix_sort_onesweep_global_offsetsIS3_Lb0EPtPS5_mNS0_19identity_decomposerEEE10hipError_tT1_T2_PT3_SE_jT4_jjP12ihipStream_tbEUlT_E0_NS1_11comp_targetILNS1_3genE4ELNS1_11target_archE910ELNS1_3gpuE8ELNS1_3repE0EEENS1_52radix_sort_onesweep_histogram_config_static_selectorELNS0_4arch9wavefront6targetE1EEEvSC_: ; @_ZN7rocprim17ROCPRIM_400000_NS6detail17trampoline_kernelINS0_14default_configENS1_35radix_sort_onesweep_config_selectorItNS0_10empty_typeEEEZNS1_34radix_sort_onesweep_global_offsetsIS3_Lb0EPtPS5_mNS0_19identity_decomposerEEE10hipError_tT1_T2_PT3_SE_jT4_jjP12ihipStream_tbEUlT_E0_NS1_11comp_targetILNS1_3genE4ELNS1_11target_archE910ELNS1_3gpuE8ELNS1_3repE0EEENS1_52radix_sort_onesweep_histogram_config_static_selectorELNS0_4arch9wavefront6targetE1EEEvSC_
; %bb.0:
	s_load_dwordx2 s[0:1], s[4:5], 0x0
	s_lshl_b32 s2, s6, 8
	s_mov_b32 s3, 0
	s_lshl_b64 s[2:3], s[2:3], 3
	v_lshlrev_b32_e32 v5, 3, v0
	s_waitcnt lgkmcnt(0)
	s_add_u32 s14, s0, s2
	s_movk_i32 s0, 0x100
	s_addc_u32 s15, s1, s3
	v_cmp_gt_u32_e32 vcc, s0, v0
                                        ; implicit-def: $vgpr2_vgpr3
	s_and_saveexec_b64 s[0:1], vcc
	s_cbranch_execz .LBB535_2
; %bb.1:
	global_load_dwordx2 v[2:3], v5, s[14:15]
.LBB535_2:
	s_or_b64 exec, exec, s[0:1]
	s_waitcnt vmcnt(0)
	v_mov_b32_dpp v4, v2 row_shr:1 row_mask:0xf bank_mask:0xf
	v_add_co_u32_e64 v4, s[0:1], v2, v4
	v_mbcnt_lo_u32_b32 v1, -1, 0
	v_addc_co_u32_e64 v8, s[0:1], 0, v3, s[0:1]
	v_mbcnt_hi_u32_b32 v6, -1, v1
	v_mov_b32_dpp v7, v3 row_shr:1 row_mask:0xf bank_mask:0xf
	v_add_co_u32_e64 v9, s[0:1], 0, v4
	v_and_b32_e32 v1, 15, v6
	v_addc_co_u32_e64 v7, s[0:1], v7, v8, s[0:1]
	v_cmp_eq_u32_e64 s[0:1], 0, v1
	v_cndmask_b32_e64 v4, v4, v2, s[0:1]
	v_cndmask_b32_e64 v7, v7, v3, s[0:1]
	v_cndmask_b32_e64 v8, v9, v2, s[0:1]
	v_mov_b32_dpp v9, v4 row_shr:2 row_mask:0xf bank_mask:0xf
	v_mov_b32_dpp v10, v7 row_shr:2 row_mask:0xf bank_mask:0xf
	v_add_co_u32_e64 v9, s[2:3], v9, v8
	v_cmp_lt_u32_e64 s[4:5], 1, v1
	v_addc_co_u32_e64 v10, s[2:3], v10, v7, s[2:3]
	v_cndmask_b32_e64 v4, v4, v9, s[4:5]
	v_cndmask_b32_e64 v7, v7, v10, s[4:5]
	v_cndmask_b32_e64 v8, v8, v9, s[4:5]
	v_mov_b32_dpp v9, v4 row_shr:4 row_mask:0xf bank_mask:0xf
	v_mov_b32_dpp v10, v7 row_shr:4 row_mask:0xf bank_mask:0xf
	v_add_co_u32_e64 v9, s[2:3], v9, v8
	v_cmp_lt_u32_e64 s[6:7], 3, v1
	v_addc_co_u32_e64 v10, s[2:3], v10, v7, s[2:3]
	;; [unrolled: 8-line block ×3, first 2 shown]
	v_cndmask_b32_e64 v11, v4, v9, s[8:9]
	v_cndmask_b32_e64 v1, v7, v10, s[8:9]
	;; [unrolled: 1-line block ×3, first 2 shown]
	v_mov_b32_dpp v7, v11 row_bcast:15 row_mask:0xf bank_mask:0xf
	v_mov_b32_dpp v8, v1 row_bcast:15 row_mask:0xf bank_mask:0xf
	v_and_b32_e32 v10, 16, v6
	v_add_co_u32_e64 v7, s[2:3], v7, v4
	v_addc_co_u32_e64 v9, s[2:3], v8, v1, s[2:3]
	v_cmp_eq_u32_e64 s[10:11], 0, v10
	v_cndmask_b32_e64 v10, v9, v1, s[10:11]
	v_cndmask_b32_e64 v8, v7, v11, s[10:11]
	v_cmp_eq_u32_e64 s[2:3], 0, v6
	v_mov_b32_dpp v10, v10 row_bcast:31 row_mask:0xf bank_mask:0xf
	v_mov_b32_dpp v8, v8 row_bcast:31 row_mask:0xf bank_mask:0xf
	v_cmp_ne_u32_e64 s[12:13], 0, v6
	s_and_saveexec_b64 s[16:17], s[12:13]
; %bb.3:
	v_cndmask_b32_e64 v1, v9, v1, s[10:11]
	v_cndmask_b32_e64 v2, v7, v4, s[10:11]
	v_cmp_lt_u32_e64 s[10:11], 31, v6
	v_cndmask_b32_e64 v4, 0, v8, s[10:11]
	v_cndmask_b32_e64 v3, 0, v10, s[10:11]
	v_add_co_u32_e64 v2, s[10:11], v4, v2
	v_addc_co_u32_e64 v3, s[10:11], v3, v1, s[10:11]
; %bb.4:
	s_or_b64 exec, exec, s[16:17]
	v_and_b32_e32 v1, 63, v0
	v_lshrrev_b32_e32 v4, 6, v0
	v_cmp_eq_u32_e64 s[10:11], 63, v1
	s_and_saveexec_b64 s[12:13], s[10:11]
	s_cbranch_execz .LBB535_6
; %bb.5:
	v_lshlrev_b32_e32 v1, 3, v4
	ds_write_b64 v1, v[2:3]
.LBB535_6:
	s_or_b64 exec, exec, s[12:13]
	v_cmp_gt_u32_e64 s[10:11], 16, v0
	s_waitcnt lgkmcnt(0)
	s_barrier
	s_and_saveexec_b64 s[12:13], s[10:11]
	s_cbranch_execz .LBB535_8
; %bb.7:
	ds_read_b64 v[8:9], v5
	s_waitcnt lgkmcnt(0)
	s_nop 0
	v_mov_b32_dpp v1, v8 row_shr:1 row_mask:0xf bank_mask:0xf
	v_add_co_u32_e64 v1, s[10:11], v8, v1
	v_addc_co_u32_e64 v10, s[10:11], 0, v9, s[10:11]
	v_mov_b32_dpp v7, v9 row_shr:1 row_mask:0xf bank_mask:0xf
	v_add_co_u32_e64 v11, s[10:11], 0, v1
	v_addc_co_u32_e64 v7, s[10:11], v7, v10, s[10:11]
	v_cndmask_b32_e64 v1, v1, v8, s[0:1]
	v_cndmask_b32_e64 v7, v7, v9, s[0:1]
	v_cndmask_b32_e64 v10, v11, v8, s[0:1]
	v_mov_b32_dpp v11, v1 row_shr:2 row_mask:0xf bank_mask:0xf
	v_mov_b32_dpp v12, v7 row_shr:2 row_mask:0xf bank_mask:0xf
	v_add_co_u32_e64 v11, s[10:11], v11, v10
	v_addc_co_u32_e64 v12, s[10:11], v12, v7, s[10:11]
	v_cndmask_b32_e64 v1, v1, v11, s[4:5]
	v_cndmask_b32_e64 v7, v7, v12, s[4:5]
	v_cndmask_b32_e64 v10, v10, v11, s[4:5]
	v_mov_b32_dpp v11, v1 row_shr:4 row_mask:0xf bank_mask:0xf
	;; [unrolled: 7-line block ×3, first 2 shown]
	v_mov_b32_dpp v12, v7 row_shr:8 row_mask:0xf bank_mask:0xf
	v_cndmask_b32_e64 v1, 0, v1, s[8:9]
	v_cndmask_b32_e64 v11, 0, v12, s[8:9]
	v_add_co_u32_e64 v1, s[4:5], v1, v10
	v_addc_co_u32_e64 v7, s[4:5], v11, v7, s[4:5]
	v_cndmask_b32_e64 v9, v7, v9, s[0:1]
	v_cndmask_b32_e64 v8, v1, v8, s[0:1]
	ds_write_b64 v5, v[8:9]
.LBB535_8:
	s_or_b64 exec, exec, s[12:13]
	v_cmp_lt_u32_e64 s[0:1], 63, v0
	v_pk_mov_b32 v[0:1], 0, 0
	s_waitcnt lgkmcnt(0)
	s_barrier
	s_and_saveexec_b64 s[4:5], s[0:1]
	s_cbranch_execz .LBB535_10
; %bb.9:
	v_lshl_add_u32 v0, v4, 3, -8
	ds_read_b64 v[0:1], v0
.LBB535_10:
	s_or_b64 exec, exec, s[4:5]
	s_waitcnt lgkmcnt(0)
	v_add_co_u32_e64 v2, s[0:1], v0, v2
	v_addc_co_u32_e64 v3, s[0:1], v1, v3, s[0:1]
	v_add_u32_e32 v4, -1, v6
	v_and_b32_e32 v7, 64, v6
	v_cmp_lt_i32_e64 s[0:1], v4, v7
	v_cndmask_b32_e64 v4, v4, v6, s[0:1]
	v_lshlrev_b32_e32 v4, 2, v4
	ds_bpermute_b32 v2, v4, v2
	ds_bpermute_b32 v3, v4, v3
	s_and_saveexec_b64 s[0:1], vcc
	s_cbranch_execz .LBB535_12
; %bb.11:
	s_waitcnt lgkmcnt(0)
	v_cndmask_b32_e64 v1, v3, v1, s[2:3]
	v_cndmask_b32_e64 v0, v2, v0, s[2:3]
	global_store_dwordx2 v5, v[0:1], s[14:15]
.LBB535_12:
	s_endpgm
	.section	.rodata,"a",@progbits
	.p2align	6, 0x0
	.amdhsa_kernel _ZN7rocprim17ROCPRIM_400000_NS6detail17trampoline_kernelINS0_14default_configENS1_35radix_sort_onesweep_config_selectorItNS0_10empty_typeEEEZNS1_34radix_sort_onesweep_global_offsetsIS3_Lb0EPtPS5_mNS0_19identity_decomposerEEE10hipError_tT1_T2_PT3_SE_jT4_jjP12ihipStream_tbEUlT_E0_NS1_11comp_targetILNS1_3genE4ELNS1_11target_archE910ELNS1_3gpuE8ELNS1_3repE0EEENS1_52radix_sort_onesweep_histogram_config_static_selectorELNS0_4arch9wavefront6targetE1EEEvSC_
		.amdhsa_group_segment_fixed_size 128
		.amdhsa_private_segment_fixed_size 0
		.amdhsa_kernarg_size 8
		.amdhsa_user_sgpr_count 6
		.amdhsa_user_sgpr_private_segment_buffer 1
		.amdhsa_user_sgpr_dispatch_ptr 0
		.amdhsa_user_sgpr_queue_ptr 0
		.amdhsa_user_sgpr_kernarg_segment_ptr 1
		.amdhsa_user_sgpr_dispatch_id 0
		.amdhsa_user_sgpr_flat_scratch_init 0
		.amdhsa_user_sgpr_kernarg_preload_length 0
		.amdhsa_user_sgpr_kernarg_preload_offset 0
		.amdhsa_user_sgpr_private_segment_size 0
		.amdhsa_uses_dynamic_stack 0
		.amdhsa_system_sgpr_private_segment_wavefront_offset 0
		.amdhsa_system_sgpr_workgroup_id_x 1
		.amdhsa_system_sgpr_workgroup_id_y 0
		.amdhsa_system_sgpr_workgroup_id_z 0
		.amdhsa_system_sgpr_workgroup_info 0
		.amdhsa_system_vgpr_workitem_id 0
		.amdhsa_next_free_vgpr 13
		.amdhsa_next_free_sgpr 18
		.amdhsa_accum_offset 16
		.amdhsa_reserve_vcc 1
		.amdhsa_reserve_flat_scratch 0
		.amdhsa_float_round_mode_32 0
		.amdhsa_float_round_mode_16_64 0
		.amdhsa_float_denorm_mode_32 3
		.amdhsa_float_denorm_mode_16_64 3
		.amdhsa_dx10_clamp 1
		.amdhsa_ieee_mode 1
		.amdhsa_fp16_overflow 0
		.amdhsa_tg_split 0
		.amdhsa_exception_fp_ieee_invalid_op 0
		.amdhsa_exception_fp_denorm_src 0
		.amdhsa_exception_fp_ieee_div_zero 0
		.amdhsa_exception_fp_ieee_overflow 0
		.amdhsa_exception_fp_ieee_underflow 0
		.amdhsa_exception_fp_ieee_inexact 0
		.amdhsa_exception_int_div_zero 0
	.end_amdhsa_kernel
	.section	.text._ZN7rocprim17ROCPRIM_400000_NS6detail17trampoline_kernelINS0_14default_configENS1_35radix_sort_onesweep_config_selectorItNS0_10empty_typeEEEZNS1_34radix_sort_onesweep_global_offsetsIS3_Lb0EPtPS5_mNS0_19identity_decomposerEEE10hipError_tT1_T2_PT3_SE_jT4_jjP12ihipStream_tbEUlT_E0_NS1_11comp_targetILNS1_3genE4ELNS1_11target_archE910ELNS1_3gpuE8ELNS1_3repE0EEENS1_52radix_sort_onesweep_histogram_config_static_selectorELNS0_4arch9wavefront6targetE1EEEvSC_,"axG",@progbits,_ZN7rocprim17ROCPRIM_400000_NS6detail17trampoline_kernelINS0_14default_configENS1_35radix_sort_onesweep_config_selectorItNS0_10empty_typeEEEZNS1_34radix_sort_onesweep_global_offsetsIS3_Lb0EPtPS5_mNS0_19identity_decomposerEEE10hipError_tT1_T2_PT3_SE_jT4_jjP12ihipStream_tbEUlT_E0_NS1_11comp_targetILNS1_3genE4ELNS1_11target_archE910ELNS1_3gpuE8ELNS1_3repE0EEENS1_52radix_sort_onesweep_histogram_config_static_selectorELNS0_4arch9wavefront6targetE1EEEvSC_,comdat
.Lfunc_end535:
	.size	_ZN7rocprim17ROCPRIM_400000_NS6detail17trampoline_kernelINS0_14default_configENS1_35radix_sort_onesweep_config_selectorItNS0_10empty_typeEEEZNS1_34radix_sort_onesweep_global_offsetsIS3_Lb0EPtPS5_mNS0_19identity_decomposerEEE10hipError_tT1_T2_PT3_SE_jT4_jjP12ihipStream_tbEUlT_E0_NS1_11comp_targetILNS1_3genE4ELNS1_11target_archE910ELNS1_3gpuE8ELNS1_3repE0EEENS1_52radix_sort_onesweep_histogram_config_static_selectorELNS0_4arch9wavefront6targetE1EEEvSC_, .Lfunc_end535-_ZN7rocprim17ROCPRIM_400000_NS6detail17trampoline_kernelINS0_14default_configENS1_35radix_sort_onesweep_config_selectorItNS0_10empty_typeEEEZNS1_34radix_sort_onesweep_global_offsetsIS3_Lb0EPtPS5_mNS0_19identity_decomposerEEE10hipError_tT1_T2_PT3_SE_jT4_jjP12ihipStream_tbEUlT_E0_NS1_11comp_targetILNS1_3genE4ELNS1_11target_archE910ELNS1_3gpuE8ELNS1_3repE0EEENS1_52radix_sort_onesweep_histogram_config_static_selectorELNS0_4arch9wavefront6targetE1EEEvSC_
                                        ; -- End function
	.section	.AMDGPU.csdata,"",@progbits
; Kernel info:
; codeLenInByte = 1012
; NumSgprs: 22
; NumVgprs: 13
; NumAgprs: 0
; TotalNumVgprs: 13
; ScratchSize: 0
; MemoryBound: 0
; FloatMode: 240
; IeeeMode: 1
; LDSByteSize: 128 bytes/workgroup (compile time only)
; SGPRBlocks: 2
; VGPRBlocks: 1
; NumSGPRsForWavesPerEU: 22
; NumVGPRsForWavesPerEU: 13
; AccumOffset: 16
; Occupancy: 8
; WaveLimiterHint : 0
; COMPUTE_PGM_RSRC2:SCRATCH_EN: 0
; COMPUTE_PGM_RSRC2:USER_SGPR: 6
; COMPUTE_PGM_RSRC2:TRAP_HANDLER: 0
; COMPUTE_PGM_RSRC2:TGID_X_EN: 1
; COMPUTE_PGM_RSRC2:TGID_Y_EN: 0
; COMPUTE_PGM_RSRC2:TGID_Z_EN: 0
; COMPUTE_PGM_RSRC2:TIDIG_COMP_CNT: 0
; COMPUTE_PGM_RSRC3_GFX90A:ACCUM_OFFSET: 3
; COMPUTE_PGM_RSRC3_GFX90A:TG_SPLIT: 0
	.section	.text._ZN7rocprim17ROCPRIM_400000_NS6detail17trampoline_kernelINS0_14default_configENS1_35radix_sort_onesweep_config_selectorItNS0_10empty_typeEEEZNS1_34radix_sort_onesweep_global_offsetsIS3_Lb0EPtPS5_mNS0_19identity_decomposerEEE10hipError_tT1_T2_PT3_SE_jT4_jjP12ihipStream_tbEUlT_E0_NS1_11comp_targetILNS1_3genE3ELNS1_11target_archE908ELNS1_3gpuE7ELNS1_3repE0EEENS1_52radix_sort_onesweep_histogram_config_static_selectorELNS0_4arch9wavefront6targetE1EEEvSC_,"axG",@progbits,_ZN7rocprim17ROCPRIM_400000_NS6detail17trampoline_kernelINS0_14default_configENS1_35radix_sort_onesweep_config_selectorItNS0_10empty_typeEEEZNS1_34radix_sort_onesweep_global_offsetsIS3_Lb0EPtPS5_mNS0_19identity_decomposerEEE10hipError_tT1_T2_PT3_SE_jT4_jjP12ihipStream_tbEUlT_E0_NS1_11comp_targetILNS1_3genE3ELNS1_11target_archE908ELNS1_3gpuE7ELNS1_3repE0EEENS1_52radix_sort_onesweep_histogram_config_static_selectorELNS0_4arch9wavefront6targetE1EEEvSC_,comdat
	.protected	_ZN7rocprim17ROCPRIM_400000_NS6detail17trampoline_kernelINS0_14default_configENS1_35radix_sort_onesweep_config_selectorItNS0_10empty_typeEEEZNS1_34radix_sort_onesweep_global_offsetsIS3_Lb0EPtPS5_mNS0_19identity_decomposerEEE10hipError_tT1_T2_PT3_SE_jT4_jjP12ihipStream_tbEUlT_E0_NS1_11comp_targetILNS1_3genE3ELNS1_11target_archE908ELNS1_3gpuE7ELNS1_3repE0EEENS1_52radix_sort_onesweep_histogram_config_static_selectorELNS0_4arch9wavefront6targetE1EEEvSC_ ; -- Begin function _ZN7rocprim17ROCPRIM_400000_NS6detail17trampoline_kernelINS0_14default_configENS1_35radix_sort_onesweep_config_selectorItNS0_10empty_typeEEEZNS1_34radix_sort_onesweep_global_offsetsIS3_Lb0EPtPS5_mNS0_19identity_decomposerEEE10hipError_tT1_T2_PT3_SE_jT4_jjP12ihipStream_tbEUlT_E0_NS1_11comp_targetILNS1_3genE3ELNS1_11target_archE908ELNS1_3gpuE7ELNS1_3repE0EEENS1_52radix_sort_onesweep_histogram_config_static_selectorELNS0_4arch9wavefront6targetE1EEEvSC_
	.globl	_ZN7rocprim17ROCPRIM_400000_NS6detail17trampoline_kernelINS0_14default_configENS1_35radix_sort_onesweep_config_selectorItNS0_10empty_typeEEEZNS1_34radix_sort_onesweep_global_offsetsIS3_Lb0EPtPS5_mNS0_19identity_decomposerEEE10hipError_tT1_T2_PT3_SE_jT4_jjP12ihipStream_tbEUlT_E0_NS1_11comp_targetILNS1_3genE3ELNS1_11target_archE908ELNS1_3gpuE7ELNS1_3repE0EEENS1_52radix_sort_onesweep_histogram_config_static_selectorELNS0_4arch9wavefront6targetE1EEEvSC_
	.p2align	8
	.type	_ZN7rocprim17ROCPRIM_400000_NS6detail17trampoline_kernelINS0_14default_configENS1_35radix_sort_onesweep_config_selectorItNS0_10empty_typeEEEZNS1_34radix_sort_onesweep_global_offsetsIS3_Lb0EPtPS5_mNS0_19identity_decomposerEEE10hipError_tT1_T2_PT3_SE_jT4_jjP12ihipStream_tbEUlT_E0_NS1_11comp_targetILNS1_3genE3ELNS1_11target_archE908ELNS1_3gpuE7ELNS1_3repE0EEENS1_52radix_sort_onesweep_histogram_config_static_selectorELNS0_4arch9wavefront6targetE1EEEvSC_,@function
_ZN7rocprim17ROCPRIM_400000_NS6detail17trampoline_kernelINS0_14default_configENS1_35radix_sort_onesweep_config_selectorItNS0_10empty_typeEEEZNS1_34radix_sort_onesweep_global_offsetsIS3_Lb0EPtPS5_mNS0_19identity_decomposerEEE10hipError_tT1_T2_PT3_SE_jT4_jjP12ihipStream_tbEUlT_E0_NS1_11comp_targetILNS1_3genE3ELNS1_11target_archE908ELNS1_3gpuE7ELNS1_3repE0EEENS1_52radix_sort_onesweep_histogram_config_static_selectorELNS0_4arch9wavefront6targetE1EEEvSC_: ; @_ZN7rocprim17ROCPRIM_400000_NS6detail17trampoline_kernelINS0_14default_configENS1_35radix_sort_onesweep_config_selectorItNS0_10empty_typeEEEZNS1_34radix_sort_onesweep_global_offsetsIS3_Lb0EPtPS5_mNS0_19identity_decomposerEEE10hipError_tT1_T2_PT3_SE_jT4_jjP12ihipStream_tbEUlT_E0_NS1_11comp_targetILNS1_3genE3ELNS1_11target_archE908ELNS1_3gpuE7ELNS1_3repE0EEENS1_52radix_sort_onesweep_histogram_config_static_selectorELNS0_4arch9wavefront6targetE1EEEvSC_
; %bb.0:
	.section	.rodata,"a",@progbits
	.p2align	6, 0x0
	.amdhsa_kernel _ZN7rocprim17ROCPRIM_400000_NS6detail17trampoline_kernelINS0_14default_configENS1_35radix_sort_onesweep_config_selectorItNS0_10empty_typeEEEZNS1_34radix_sort_onesweep_global_offsetsIS3_Lb0EPtPS5_mNS0_19identity_decomposerEEE10hipError_tT1_T2_PT3_SE_jT4_jjP12ihipStream_tbEUlT_E0_NS1_11comp_targetILNS1_3genE3ELNS1_11target_archE908ELNS1_3gpuE7ELNS1_3repE0EEENS1_52radix_sort_onesweep_histogram_config_static_selectorELNS0_4arch9wavefront6targetE1EEEvSC_
		.amdhsa_group_segment_fixed_size 0
		.amdhsa_private_segment_fixed_size 0
		.amdhsa_kernarg_size 8
		.amdhsa_user_sgpr_count 6
		.amdhsa_user_sgpr_private_segment_buffer 1
		.amdhsa_user_sgpr_dispatch_ptr 0
		.amdhsa_user_sgpr_queue_ptr 0
		.amdhsa_user_sgpr_kernarg_segment_ptr 1
		.amdhsa_user_sgpr_dispatch_id 0
		.amdhsa_user_sgpr_flat_scratch_init 0
		.amdhsa_user_sgpr_kernarg_preload_length 0
		.amdhsa_user_sgpr_kernarg_preload_offset 0
		.amdhsa_user_sgpr_private_segment_size 0
		.amdhsa_uses_dynamic_stack 0
		.amdhsa_system_sgpr_private_segment_wavefront_offset 0
		.amdhsa_system_sgpr_workgroup_id_x 1
		.amdhsa_system_sgpr_workgroup_id_y 0
		.amdhsa_system_sgpr_workgroup_id_z 0
		.amdhsa_system_sgpr_workgroup_info 0
		.amdhsa_system_vgpr_workitem_id 0
		.amdhsa_next_free_vgpr 1
		.amdhsa_next_free_sgpr 0
		.amdhsa_accum_offset 4
		.amdhsa_reserve_vcc 0
		.amdhsa_reserve_flat_scratch 0
		.amdhsa_float_round_mode_32 0
		.amdhsa_float_round_mode_16_64 0
		.amdhsa_float_denorm_mode_32 3
		.amdhsa_float_denorm_mode_16_64 3
		.amdhsa_dx10_clamp 1
		.amdhsa_ieee_mode 1
		.amdhsa_fp16_overflow 0
		.amdhsa_tg_split 0
		.amdhsa_exception_fp_ieee_invalid_op 0
		.amdhsa_exception_fp_denorm_src 0
		.amdhsa_exception_fp_ieee_div_zero 0
		.amdhsa_exception_fp_ieee_overflow 0
		.amdhsa_exception_fp_ieee_underflow 0
		.amdhsa_exception_fp_ieee_inexact 0
		.amdhsa_exception_int_div_zero 0
	.end_amdhsa_kernel
	.section	.text._ZN7rocprim17ROCPRIM_400000_NS6detail17trampoline_kernelINS0_14default_configENS1_35radix_sort_onesweep_config_selectorItNS0_10empty_typeEEEZNS1_34radix_sort_onesweep_global_offsetsIS3_Lb0EPtPS5_mNS0_19identity_decomposerEEE10hipError_tT1_T2_PT3_SE_jT4_jjP12ihipStream_tbEUlT_E0_NS1_11comp_targetILNS1_3genE3ELNS1_11target_archE908ELNS1_3gpuE7ELNS1_3repE0EEENS1_52radix_sort_onesweep_histogram_config_static_selectorELNS0_4arch9wavefront6targetE1EEEvSC_,"axG",@progbits,_ZN7rocprim17ROCPRIM_400000_NS6detail17trampoline_kernelINS0_14default_configENS1_35radix_sort_onesweep_config_selectorItNS0_10empty_typeEEEZNS1_34radix_sort_onesweep_global_offsetsIS3_Lb0EPtPS5_mNS0_19identity_decomposerEEE10hipError_tT1_T2_PT3_SE_jT4_jjP12ihipStream_tbEUlT_E0_NS1_11comp_targetILNS1_3genE3ELNS1_11target_archE908ELNS1_3gpuE7ELNS1_3repE0EEENS1_52radix_sort_onesweep_histogram_config_static_selectorELNS0_4arch9wavefront6targetE1EEEvSC_,comdat
.Lfunc_end536:
	.size	_ZN7rocprim17ROCPRIM_400000_NS6detail17trampoline_kernelINS0_14default_configENS1_35radix_sort_onesweep_config_selectorItNS0_10empty_typeEEEZNS1_34radix_sort_onesweep_global_offsetsIS3_Lb0EPtPS5_mNS0_19identity_decomposerEEE10hipError_tT1_T2_PT3_SE_jT4_jjP12ihipStream_tbEUlT_E0_NS1_11comp_targetILNS1_3genE3ELNS1_11target_archE908ELNS1_3gpuE7ELNS1_3repE0EEENS1_52radix_sort_onesweep_histogram_config_static_selectorELNS0_4arch9wavefront6targetE1EEEvSC_, .Lfunc_end536-_ZN7rocprim17ROCPRIM_400000_NS6detail17trampoline_kernelINS0_14default_configENS1_35radix_sort_onesweep_config_selectorItNS0_10empty_typeEEEZNS1_34radix_sort_onesweep_global_offsetsIS3_Lb0EPtPS5_mNS0_19identity_decomposerEEE10hipError_tT1_T2_PT3_SE_jT4_jjP12ihipStream_tbEUlT_E0_NS1_11comp_targetILNS1_3genE3ELNS1_11target_archE908ELNS1_3gpuE7ELNS1_3repE0EEENS1_52radix_sort_onesweep_histogram_config_static_selectorELNS0_4arch9wavefront6targetE1EEEvSC_
                                        ; -- End function
	.section	.AMDGPU.csdata,"",@progbits
; Kernel info:
; codeLenInByte = 0
; NumSgprs: 4
; NumVgprs: 0
; NumAgprs: 0
; TotalNumVgprs: 0
; ScratchSize: 0
; MemoryBound: 0
; FloatMode: 240
; IeeeMode: 1
; LDSByteSize: 0 bytes/workgroup (compile time only)
; SGPRBlocks: 0
; VGPRBlocks: 0
; NumSGPRsForWavesPerEU: 4
; NumVGPRsForWavesPerEU: 1
; AccumOffset: 4
; Occupancy: 8
; WaveLimiterHint : 0
; COMPUTE_PGM_RSRC2:SCRATCH_EN: 0
; COMPUTE_PGM_RSRC2:USER_SGPR: 6
; COMPUTE_PGM_RSRC2:TRAP_HANDLER: 0
; COMPUTE_PGM_RSRC2:TGID_X_EN: 1
; COMPUTE_PGM_RSRC2:TGID_Y_EN: 0
; COMPUTE_PGM_RSRC2:TGID_Z_EN: 0
; COMPUTE_PGM_RSRC2:TIDIG_COMP_CNT: 0
; COMPUTE_PGM_RSRC3_GFX90A:ACCUM_OFFSET: 0
; COMPUTE_PGM_RSRC3_GFX90A:TG_SPLIT: 0
	.section	.text._ZN7rocprim17ROCPRIM_400000_NS6detail17trampoline_kernelINS0_14default_configENS1_35radix_sort_onesweep_config_selectorItNS0_10empty_typeEEEZNS1_34radix_sort_onesweep_global_offsetsIS3_Lb0EPtPS5_mNS0_19identity_decomposerEEE10hipError_tT1_T2_PT3_SE_jT4_jjP12ihipStream_tbEUlT_E0_NS1_11comp_targetILNS1_3genE10ELNS1_11target_archE1201ELNS1_3gpuE5ELNS1_3repE0EEENS1_52radix_sort_onesweep_histogram_config_static_selectorELNS0_4arch9wavefront6targetE1EEEvSC_,"axG",@progbits,_ZN7rocprim17ROCPRIM_400000_NS6detail17trampoline_kernelINS0_14default_configENS1_35radix_sort_onesweep_config_selectorItNS0_10empty_typeEEEZNS1_34radix_sort_onesweep_global_offsetsIS3_Lb0EPtPS5_mNS0_19identity_decomposerEEE10hipError_tT1_T2_PT3_SE_jT4_jjP12ihipStream_tbEUlT_E0_NS1_11comp_targetILNS1_3genE10ELNS1_11target_archE1201ELNS1_3gpuE5ELNS1_3repE0EEENS1_52radix_sort_onesweep_histogram_config_static_selectorELNS0_4arch9wavefront6targetE1EEEvSC_,comdat
	.protected	_ZN7rocprim17ROCPRIM_400000_NS6detail17trampoline_kernelINS0_14default_configENS1_35radix_sort_onesweep_config_selectorItNS0_10empty_typeEEEZNS1_34radix_sort_onesweep_global_offsetsIS3_Lb0EPtPS5_mNS0_19identity_decomposerEEE10hipError_tT1_T2_PT3_SE_jT4_jjP12ihipStream_tbEUlT_E0_NS1_11comp_targetILNS1_3genE10ELNS1_11target_archE1201ELNS1_3gpuE5ELNS1_3repE0EEENS1_52radix_sort_onesweep_histogram_config_static_selectorELNS0_4arch9wavefront6targetE1EEEvSC_ ; -- Begin function _ZN7rocprim17ROCPRIM_400000_NS6detail17trampoline_kernelINS0_14default_configENS1_35radix_sort_onesweep_config_selectorItNS0_10empty_typeEEEZNS1_34radix_sort_onesweep_global_offsetsIS3_Lb0EPtPS5_mNS0_19identity_decomposerEEE10hipError_tT1_T2_PT3_SE_jT4_jjP12ihipStream_tbEUlT_E0_NS1_11comp_targetILNS1_3genE10ELNS1_11target_archE1201ELNS1_3gpuE5ELNS1_3repE0EEENS1_52radix_sort_onesweep_histogram_config_static_selectorELNS0_4arch9wavefront6targetE1EEEvSC_
	.globl	_ZN7rocprim17ROCPRIM_400000_NS6detail17trampoline_kernelINS0_14default_configENS1_35radix_sort_onesweep_config_selectorItNS0_10empty_typeEEEZNS1_34radix_sort_onesweep_global_offsetsIS3_Lb0EPtPS5_mNS0_19identity_decomposerEEE10hipError_tT1_T2_PT3_SE_jT4_jjP12ihipStream_tbEUlT_E0_NS1_11comp_targetILNS1_3genE10ELNS1_11target_archE1201ELNS1_3gpuE5ELNS1_3repE0EEENS1_52radix_sort_onesweep_histogram_config_static_selectorELNS0_4arch9wavefront6targetE1EEEvSC_
	.p2align	8
	.type	_ZN7rocprim17ROCPRIM_400000_NS6detail17trampoline_kernelINS0_14default_configENS1_35radix_sort_onesweep_config_selectorItNS0_10empty_typeEEEZNS1_34radix_sort_onesweep_global_offsetsIS3_Lb0EPtPS5_mNS0_19identity_decomposerEEE10hipError_tT1_T2_PT3_SE_jT4_jjP12ihipStream_tbEUlT_E0_NS1_11comp_targetILNS1_3genE10ELNS1_11target_archE1201ELNS1_3gpuE5ELNS1_3repE0EEENS1_52radix_sort_onesweep_histogram_config_static_selectorELNS0_4arch9wavefront6targetE1EEEvSC_,@function
_ZN7rocprim17ROCPRIM_400000_NS6detail17trampoline_kernelINS0_14default_configENS1_35radix_sort_onesweep_config_selectorItNS0_10empty_typeEEEZNS1_34radix_sort_onesweep_global_offsetsIS3_Lb0EPtPS5_mNS0_19identity_decomposerEEE10hipError_tT1_T2_PT3_SE_jT4_jjP12ihipStream_tbEUlT_E0_NS1_11comp_targetILNS1_3genE10ELNS1_11target_archE1201ELNS1_3gpuE5ELNS1_3repE0EEENS1_52radix_sort_onesweep_histogram_config_static_selectorELNS0_4arch9wavefront6targetE1EEEvSC_: ; @_ZN7rocprim17ROCPRIM_400000_NS6detail17trampoline_kernelINS0_14default_configENS1_35radix_sort_onesweep_config_selectorItNS0_10empty_typeEEEZNS1_34radix_sort_onesweep_global_offsetsIS3_Lb0EPtPS5_mNS0_19identity_decomposerEEE10hipError_tT1_T2_PT3_SE_jT4_jjP12ihipStream_tbEUlT_E0_NS1_11comp_targetILNS1_3genE10ELNS1_11target_archE1201ELNS1_3gpuE5ELNS1_3repE0EEENS1_52radix_sort_onesweep_histogram_config_static_selectorELNS0_4arch9wavefront6targetE1EEEvSC_
; %bb.0:
	.section	.rodata,"a",@progbits
	.p2align	6, 0x0
	.amdhsa_kernel _ZN7rocprim17ROCPRIM_400000_NS6detail17trampoline_kernelINS0_14default_configENS1_35radix_sort_onesweep_config_selectorItNS0_10empty_typeEEEZNS1_34radix_sort_onesweep_global_offsetsIS3_Lb0EPtPS5_mNS0_19identity_decomposerEEE10hipError_tT1_T2_PT3_SE_jT4_jjP12ihipStream_tbEUlT_E0_NS1_11comp_targetILNS1_3genE10ELNS1_11target_archE1201ELNS1_3gpuE5ELNS1_3repE0EEENS1_52radix_sort_onesweep_histogram_config_static_selectorELNS0_4arch9wavefront6targetE1EEEvSC_
		.amdhsa_group_segment_fixed_size 0
		.amdhsa_private_segment_fixed_size 0
		.amdhsa_kernarg_size 8
		.amdhsa_user_sgpr_count 6
		.amdhsa_user_sgpr_private_segment_buffer 1
		.amdhsa_user_sgpr_dispatch_ptr 0
		.amdhsa_user_sgpr_queue_ptr 0
		.amdhsa_user_sgpr_kernarg_segment_ptr 1
		.amdhsa_user_sgpr_dispatch_id 0
		.amdhsa_user_sgpr_flat_scratch_init 0
		.amdhsa_user_sgpr_kernarg_preload_length 0
		.amdhsa_user_sgpr_kernarg_preload_offset 0
		.amdhsa_user_sgpr_private_segment_size 0
		.amdhsa_uses_dynamic_stack 0
		.amdhsa_system_sgpr_private_segment_wavefront_offset 0
		.amdhsa_system_sgpr_workgroup_id_x 1
		.amdhsa_system_sgpr_workgroup_id_y 0
		.amdhsa_system_sgpr_workgroup_id_z 0
		.amdhsa_system_sgpr_workgroup_info 0
		.amdhsa_system_vgpr_workitem_id 0
		.amdhsa_next_free_vgpr 1
		.amdhsa_next_free_sgpr 0
		.amdhsa_accum_offset 4
		.amdhsa_reserve_vcc 0
		.amdhsa_reserve_flat_scratch 0
		.amdhsa_float_round_mode_32 0
		.amdhsa_float_round_mode_16_64 0
		.amdhsa_float_denorm_mode_32 3
		.amdhsa_float_denorm_mode_16_64 3
		.amdhsa_dx10_clamp 1
		.amdhsa_ieee_mode 1
		.amdhsa_fp16_overflow 0
		.amdhsa_tg_split 0
		.amdhsa_exception_fp_ieee_invalid_op 0
		.amdhsa_exception_fp_denorm_src 0
		.amdhsa_exception_fp_ieee_div_zero 0
		.amdhsa_exception_fp_ieee_overflow 0
		.amdhsa_exception_fp_ieee_underflow 0
		.amdhsa_exception_fp_ieee_inexact 0
		.amdhsa_exception_int_div_zero 0
	.end_amdhsa_kernel
	.section	.text._ZN7rocprim17ROCPRIM_400000_NS6detail17trampoline_kernelINS0_14default_configENS1_35radix_sort_onesweep_config_selectorItNS0_10empty_typeEEEZNS1_34radix_sort_onesweep_global_offsetsIS3_Lb0EPtPS5_mNS0_19identity_decomposerEEE10hipError_tT1_T2_PT3_SE_jT4_jjP12ihipStream_tbEUlT_E0_NS1_11comp_targetILNS1_3genE10ELNS1_11target_archE1201ELNS1_3gpuE5ELNS1_3repE0EEENS1_52radix_sort_onesweep_histogram_config_static_selectorELNS0_4arch9wavefront6targetE1EEEvSC_,"axG",@progbits,_ZN7rocprim17ROCPRIM_400000_NS6detail17trampoline_kernelINS0_14default_configENS1_35radix_sort_onesweep_config_selectorItNS0_10empty_typeEEEZNS1_34radix_sort_onesweep_global_offsetsIS3_Lb0EPtPS5_mNS0_19identity_decomposerEEE10hipError_tT1_T2_PT3_SE_jT4_jjP12ihipStream_tbEUlT_E0_NS1_11comp_targetILNS1_3genE10ELNS1_11target_archE1201ELNS1_3gpuE5ELNS1_3repE0EEENS1_52radix_sort_onesweep_histogram_config_static_selectorELNS0_4arch9wavefront6targetE1EEEvSC_,comdat
.Lfunc_end537:
	.size	_ZN7rocprim17ROCPRIM_400000_NS6detail17trampoline_kernelINS0_14default_configENS1_35radix_sort_onesweep_config_selectorItNS0_10empty_typeEEEZNS1_34radix_sort_onesweep_global_offsetsIS3_Lb0EPtPS5_mNS0_19identity_decomposerEEE10hipError_tT1_T2_PT3_SE_jT4_jjP12ihipStream_tbEUlT_E0_NS1_11comp_targetILNS1_3genE10ELNS1_11target_archE1201ELNS1_3gpuE5ELNS1_3repE0EEENS1_52radix_sort_onesweep_histogram_config_static_selectorELNS0_4arch9wavefront6targetE1EEEvSC_, .Lfunc_end537-_ZN7rocprim17ROCPRIM_400000_NS6detail17trampoline_kernelINS0_14default_configENS1_35radix_sort_onesweep_config_selectorItNS0_10empty_typeEEEZNS1_34radix_sort_onesweep_global_offsetsIS3_Lb0EPtPS5_mNS0_19identity_decomposerEEE10hipError_tT1_T2_PT3_SE_jT4_jjP12ihipStream_tbEUlT_E0_NS1_11comp_targetILNS1_3genE10ELNS1_11target_archE1201ELNS1_3gpuE5ELNS1_3repE0EEENS1_52radix_sort_onesweep_histogram_config_static_selectorELNS0_4arch9wavefront6targetE1EEEvSC_
                                        ; -- End function
	.section	.AMDGPU.csdata,"",@progbits
; Kernel info:
; codeLenInByte = 0
; NumSgprs: 4
; NumVgprs: 0
; NumAgprs: 0
; TotalNumVgprs: 0
; ScratchSize: 0
; MemoryBound: 0
; FloatMode: 240
; IeeeMode: 1
; LDSByteSize: 0 bytes/workgroup (compile time only)
; SGPRBlocks: 0
; VGPRBlocks: 0
; NumSGPRsForWavesPerEU: 4
; NumVGPRsForWavesPerEU: 1
; AccumOffset: 4
; Occupancy: 8
; WaveLimiterHint : 0
; COMPUTE_PGM_RSRC2:SCRATCH_EN: 0
; COMPUTE_PGM_RSRC2:USER_SGPR: 6
; COMPUTE_PGM_RSRC2:TRAP_HANDLER: 0
; COMPUTE_PGM_RSRC2:TGID_X_EN: 1
; COMPUTE_PGM_RSRC2:TGID_Y_EN: 0
; COMPUTE_PGM_RSRC2:TGID_Z_EN: 0
; COMPUTE_PGM_RSRC2:TIDIG_COMP_CNT: 0
; COMPUTE_PGM_RSRC3_GFX90A:ACCUM_OFFSET: 0
; COMPUTE_PGM_RSRC3_GFX90A:TG_SPLIT: 0
	.section	.text._ZN7rocprim17ROCPRIM_400000_NS6detail17trampoline_kernelINS0_14default_configENS1_35radix_sort_onesweep_config_selectorItNS0_10empty_typeEEEZNS1_34radix_sort_onesweep_global_offsetsIS3_Lb0EPtPS5_mNS0_19identity_decomposerEEE10hipError_tT1_T2_PT3_SE_jT4_jjP12ihipStream_tbEUlT_E0_NS1_11comp_targetILNS1_3genE9ELNS1_11target_archE1100ELNS1_3gpuE3ELNS1_3repE0EEENS1_52radix_sort_onesweep_histogram_config_static_selectorELNS0_4arch9wavefront6targetE1EEEvSC_,"axG",@progbits,_ZN7rocprim17ROCPRIM_400000_NS6detail17trampoline_kernelINS0_14default_configENS1_35radix_sort_onesweep_config_selectorItNS0_10empty_typeEEEZNS1_34radix_sort_onesweep_global_offsetsIS3_Lb0EPtPS5_mNS0_19identity_decomposerEEE10hipError_tT1_T2_PT3_SE_jT4_jjP12ihipStream_tbEUlT_E0_NS1_11comp_targetILNS1_3genE9ELNS1_11target_archE1100ELNS1_3gpuE3ELNS1_3repE0EEENS1_52radix_sort_onesweep_histogram_config_static_selectorELNS0_4arch9wavefront6targetE1EEEvSC_,comdat
	.protected	_ZN7rocprim17ROCPRIM_400000_NS6detail17trampoline_kernelINS0_14default_configENS1_35radix_sort_onesweep_config_selectorItNS0_10empty_typeEEEZNS1_34radix_sort_onesweep_global_offsetsIS3_Lb0EPtPS5_mNS0_19identity_decomposerEEE10hipError_tT1_T2_PT3_SE_jT4_jjP12ihipStream_tbEUlT_E0_NS1_11comp_targetILNS1_3genE9ELNS1_11target_archE1100ELNS1_3gpuE3ELNS1_3repE0EEENS1_52radix_sort_onesweep_histogram_config_static_selectorELNS0_4arch9wavefront6targetE1EEEvSC_ ; -- Begin function _ZN7rocprim17ROCPRIM_400000_NS6detail17trampoline_kernelINS0_14default_configENS1_35radix_sort_onesweep_config_selectorItNS0_10empty_typeEEEZNS1_34radix_sort_onesweep_global_offsetsIS3_Lb0EPtPS5_mNS0_19identity_decomposerEEE10hipError_tT1_T2_PT3_SE_jT4_jjP12ihipStream_tbEUlT_E0_NS1_11comp_targetILNS1_3genE9ELNS1_11target_archE1100ELNS1_3gpuE3ELNS1_3repE0EEENS1_52radix_sort_onesweep_histogram_config_static_selectorELNS0_4arch9wavefront6targetE1EEEvSC_
	.globl	_ZN7rocprim17ROCPRIM_400000_NS6detail17trampoline_kernelINS0_14default_configENS1_35radix_sort_onesweep_config_selectorItNS0_10empty_typeEEEZNS1_34radix_sort_onesweep_global_offsetsIS3_Lb0EPtPS5_mNS0_19identity_decomposerEEE10hipError_tT1_T2_PT3_SE_jT4_jjP12ihipStream_tbEUlT_E0_NS1_11comp_targetILNS1_3genE9ELNS1_11target_archE1100ELNS1_3gpuE3ELNS1_3repE0EEENS1_52radix_sort_onesweep_histogram_config_static_selectorELNS0_4arch9wavefront6targetE1EEEvSC_
	.p2align	8
	.type	_ZN7rocprim17ROCPRIM_400000_NS6detail17trampoline_kernelINS0_14default_configENS1_35radix_sort_onesweep_config_selectorItNS0_10empty_typeEEEZNS1_34radix_sort_onesweep_global_offsetsIS3_Lb0EPtPS5_mNS0_19identity_decomposerEEE10hipError_tT1_T2_PT3_SE_jT4_jjP12ihipStream_tbEUlT_E0_NS1_11comp_targetILNS1_3genE9ELNS1_11target_archE1100ELNS1_3gpuE3ELNS1_3repE0EEENS1_52radix_sort_onesweep_histogram_config_static_selectorELNS0_4arch9wavefront6targetE1EEEvSC_,@function
_ZN7rocprim17ROCPRIM_400000_NS6detail17trampoline_kernelINS0_14default_configENS1_35radix_sort_onesweep_config_selectorItNS0_10empty_typeEEEZNS1_34radix_sort_onesweep_global_offsetsIS3_Lb0EPtPS5_mNS0_19identity_decomposerEEE10hipError_tT1_T2_PT3_SE_jT4_jjP12ihipStream_tbEUlT_E0_NS1_11comp_targetILNS1_3genE9ELNS1_11target_archE1100ELNS1_3gpuE3ELNS1_3repE0EEENS1_52radix_sort_onesweep_histogram_config_static_selectorELNS0_4arch9wavefront6targetE1EEEvSC_: ; @_ZN7rocprim17ROCPRIM_400000_NS6detail17trampoline_kernelINS0_14default_configENS1_35radix_sort_onesweep_config_selectorItNS0_10empty_typeEEEZNS1_34radix_sort_onesweep_global_offsetsIS3_Lb0EPtPS5_mNS0_19identity_decomposerEEE10hipError_tT1_T2_PT3_SE_jT4_jjP12ihipStream_tbEUlT_E0_NS1_11comp_targetILNS1_3genE9ELNS1_11target_archE1100ELNS1_3gpuE3ELNS1_3repE0EEENS1_52radix_sort_onesweep_histogram_config_static_selectorELNS0_4arch9wavefront6targetE1EEEvSC_
; %bb.0:
	.section	.rodata,"a",@progbits
	.p2align	6, 0x0
	.amdhsa_kernel _ZN7rocprim17ROCPRIM_400000_NS6detail17trampoline_kernelINS0_14default_configENS1_35radix_sort_onesweep_config_selectorItNS0_10empty_typeEEEZNS1_34radix_sort_onesweep_global_offsetsIS3_Lb0EPtPS5_mNS0_19identity_decomposerEEE10hipError_tT1_T2_PT3_SE_jT4_jjP12ihipStream_tbEUlT_E0_NS1_11comp_targetILNS1_3genE9ELNS1_11target_archE1100ELNS1_3gpuE3ELNS1_3repE0EEENS1_52radix_sort_onesweep_histogram_config_static_selectorELNS0_4arch9wavefront6targetE1EEEvSC_
		.amdhsa_group_segment_fixed_size 0
		.amdhsa_private_segment_fixed_size 0
		.amdhsa_kernarg_size 8
		.amdhsa_user_sgpr_count 6
		.amdhsa_user_sgpr_private_segment_buffer 1
		.amdhsa_user_sgpr_dispatch_ptr 0
		.amdhsa_user_sgpr_queue_ptr 0
		.amdhsa_user_sgpr_kernarg_segment_ptr 1
		.amdhsa_user_sgpr_dispatch_id 0
		.amdhsa_user_sgpr_flat_scratch_init 0
		.amdhsa_user_sgpr_kernarg_preload_length 0
		.amdhsa_user_sgpr_kernarg_preload_offset 0
		.amdhsa_user_sgpr_private_segment_size 0
		.amdhsa_uses_dynamic_stack 0
		.amdhsa_system_sgpr_private_segment_wavefront_offset 0
		.amdhsa_system_sgpr_workgroup_id_x 1
		.amdhsa_system_sgpr_workgroup_id_y 0
		.amdhsa_system_sgpr_workgroup_id_z 0
		.amdhsa_system_sgpr_workgroup_info 0
		.amdhsa_system_vgpr_workitem_id 0
		.amdhsa_next_free_vgpr 1
		.amdhsa_next_free_sgpr 0
		.amdhsa_accum_offset 4
		.amdhsa_reserve_vcc 0
		.amdhsa_reserve_flat_scratch 0
		.amdhsa_float_round_mode_32 0
		.amdhsa_float_round_mode_16_64 0
		.amdhsa_float_denorm_mode_32 3
		.amdhsa_float_denorm_mode_16_64 3
		.amdhsa_dx10_clamp 1
		.amdhsa_ieee_mode 1
		.amdhsa_fp16_overflow 0
		.amdhsa_tg_split 0
		.amdhsa_exception_fp_ieee_invalid_op 0
		.amdhsa_exception_fp_denorm_src 0
		.amdhsa_exception_fp_ieee_div_zero 0
		.amdhsa_exception_fp_ieee_overflow 0
		.amdhsa_exception_fp_ieee_underflow 0
		.amdhsa_exception_fp_ieee_inexact 0
		.amdhsa_exception_int_div_zero 0
	.end_amdhsa_kernel
	.section	.text._ZN7rocprim17ROCPRIM_400000_NS6detail17trampoline_kernelINS0_14default_configENS1_35radix_sort_onesweep_config_selectorItNS0_10empty_typeEEEZNS1_34radix_sort_onesweep_global_offsetsIS3_Lb0EPtPS5_mNS0_19identity_decomposerEEE10hipError_tT1_T2_PT3_SE_jT4_jjP12ihipStream_tbEUlT_E0_NS1_11comp_targetILNS1_3genE9ELNS1_11target_archE1100ELNS1_3gpuE3ELNS1_3repE0EEENS1_52radix_sort_onesweep_histogram_config_static_selectorELNS0_4arch9wavefront6targetE1EEEvSC_,"axG",@progbits,_ZN7rocprim17ROCPRIM_400000_NS6detail17trampoline_kernelINS0_14default_configENS1_35radix_sort_onesweep_config_selectorItNS0_10empty_typeEEEZNS1_34radix_sort_onesweep_global_offsetsIS3_Lb0EPtPS5_mNS0_19identity_decomposerEEE10hipError_tT1_T2_PT3_SE_jT4_jjP12ihipStream_tbEUlT_E0_NS1_11comp_targetILNS1_3genE9ELNS1_11target_archE1100ELNS1_3gpuE3ELNS1_3repE0EEENS1_52radix_sort_onesweep_histogram_config_static_selectorELNS0_4arch9wavefront6targetE1EEEvSC_,comdat
.Lfunc_end538:
	.size	_ZN7rocprim17ROCPRIM_400000_NS6detail17trampoline_kernelINS0_14default_configENS1_35radix_sort_onesweep_config_selectorItNS0_10empty_typeEEEZNS1_34radix_sort_onesweep_global_offsetsIS3_Lb0EPtPS5_mNS0_19identity_decomposerEEE10hipError_tT1_T2_PT3_SE_jT4_jjP12ihipStream_tbEUlT_E0_NS1_11comp_targetILNS1_3genE9ELNS1_11target_archE1100ELNS1_3gpuE3ELNS1_3repE0EEENS1_52radix_sort_onesweep_histogram_config_static_selectorELNS0_4arch9wavefront6targetE1EEEvSC_, .Lfunc_end538-_ZN7rocprim17ROCPRIM_400000_NS6detail17trampoline_kernelINS0_14default_configENS1_35radix_sort_onesweep_config_selectorItNS0_10empty_typeEEEZNS1_34radix_sort_onesweep_global_offsetsIS3_Lb0EPtPS5_mNS0_19identity_decomposerEEE10hipError_tT1_T2_PT3_SE_jT4_jjP12ihipStream_tbEUlT_E0_NS1_11comp_targetILNS1_3genE9ELNS1_11target_archE1100ELNS1_3gpuE3ELNS1_3repE0EEENS1_52radix_sort_onesweep_histogram_config_static_selectorELNS0_4arch9wavefront6targetE1EEEvSC_
                                        ; -- End function
	.section	.AMDGPU.csdata,"",@progbits
; Kernel info:
; codeLenInByte = 0
; NumSgprs: 4
; NumVgprs: 0
; NumAgprs: 0
; TotalNumVgprs: 0
; ScratchSize: 0
; MemoryBound: 0
; FloatMode: 240
; IeeeMode: 1
; LDSByteSize: 0 bytes/workgroup (compile time only)
; SGPRBlocks: 0
; VGPRBlocks: 0
; NumSGPRsForWavesPerEU: 4
; NumVGPRsForWavesPerEU: 1
; AccumOffset: 4
; Occupancy: 8
; WaveLimiterHint : 0
; COMPUTE_PGM_RSRC2:SCRATCH_EN: 0
; COMPUTE_PGM_RSRC2:USER_SGPR: 6
; COMPUTE_PGM_RSRC2:TRAP_HANDLER: 0
; COMPUTE_PGM_RSRC2:TGID_X_EN: 1
; COMPUTE_PGM_RSRC2:TGID_Y_EN: 0
; COMPUTE_PGM_RSRC2:TGID_Z_EN: 0
; COMPUTE_PGM_RSRC2:TIDIG_COMP_CNT: 0
; COMPUTE_PGM_RSRC3_GFX90A:ACCUM_OFFSET: 0
; COMPUTE_PGM_RSRC3_GFX90A:TG_SPLIT: 0
	.section	.text._ZN7rocprim17ROCPRIM_400000_NS6detail17trampoline_kernelINS0_14default_configENS1_35radix_sort_onesweep_config_selectorItNS0_10empty_typeEEEZNS1_34radix_sort_onesweep_global_offsetsIS3_Lb0EPtPS5_mNS0_19identity_decomposerEEE10hipError_tT1_T2_PT3_SE_jT4_jjP12ihipStream_tbEUlT_E0_NS1_11comp_targetILNS1_3genE8ELNS1_11target_archE1030ELNS1_3gpuE2ELNS1_3repE0EEENS1_52radix_sort_onesweep_histogram_config_static_selectorELNS0_4arch9wavefront6targetE1EEEvSC_,"axG",@progbits,_ZN7rocprim17ROCPRIM_400000_NS6detail17trampoline_kernelINS0_14default_configENS1_35radix_sort_onesweep_config_selectorItNS0_10empty_typeEEEZNS1_34radix_sort_onesweep_global_offsetsIS3_Lb0EPtPS5_mNS0_19identity_decomposerEEE10hipError_tT1_T2_PT3_SE_jT4_jjP12ihipStream_tbEUlT_E0_NS1_11comp_targetILNS1_3genE8ELNS1_11target_archE1030ELNS1_3gpuE2ELNS1_3repE0EEENS1_52radix_sort_onesweep_histogram_config_static_selectorELNS0_4arch9wavefront6targetE1EEEvSC_,comdat
	.protected	_ZN7rocprim17ROCPRIM_400000_NS6detail17trampoline_kernelINS0_14default_configENS1_35radix_sort_onesweep_config_selectorItNS0_10empty_typeEEEZNS1_34radix_sort_onesweep_global_offsetsIS3_Lb0EPtPS5_mNS0_19identity_decomposerEEE10hipError_tT1_T2_PT3_SE_jT4_jjP12ihipStream_tbEUlT_E0_NS1_11comp_targetILNS1_3genE8ELNS1_11target_archE1030ELNS1_3gpuE2ELNS1_3repE0EEENS1_52radix_sort_onesweep_histogram_config_static_selectorELNS0_4arch9wavefront6targetE1EEEvSC_ ; -- Begin function _ZN7rocprim17ROCPRIM_400000_NS6detail17trampoline_kernelINS0_14default_configENS1_35radix_sort_onesweep_config_selectorItNS0_10empty_typeEEEZNS1_34radix_sort_onesweep_global_offsetsIS3_Lb0EPtPS5_mNS0_19identity_decomposerEEE10hipError_tT1_T2_PT3_SE_jT4_jjP12ihipStream_tbEUlT_E0_NS1_11comp_targetILNS1_3genE8ELNS1_11target_archE1030ELNS1_3gpuE2ELNS1_3repE0EEENS1_52radix_sort_onesweep_histogram_config_static_selectorELNS0_4arch9wavefront6targetE1EEEvSC_
	.globl	_ZN7rocprim17ROCPRIM_400000_NS6detail17trampoline_kernelINS0_14default_configENS1_35radix_sort_onesweep_config_selectorItNS0_10empty_typeEEEZNS1_34radix_sort_onesweep_global_offsetsIS3_Lb0EPtPS5_mNS0_19identity_decomposerEEE10hipError_tT1_T2_PT3_SE_jT4_jjP12ihipStream_tbEUlT_E0_NS1_11comp_targetILNS1_3genE8ELNS1_11target_archE1030ELNS1_3gpuE2ELNS1_3repE0EEENS1_52radix_sort_onesweep_histogram_config_static_selectorELNS0_4arch9wavefront6targetE1EEEvSC_
	.p2align	8
	.type	_ZN7rocprim17ROCPRIM_400000_NS6detail17trampoline_kernelINS0_14default_configENS1_35radix_sort_onesweep_config_selectorItNS0_10empty_typeEEEZNS1_34radix_sort_onesweep_global_offsetsIS3_Lb0EPtPS5_mNS0_19identity_decomposerEEE10hipError_tT1_T2_PT3_SE_jT4_jjP12ihipStream_tbEUlT_E0_NS1_11comp_targetILNS1_3genE8ELNS1_11target_archE1030ELNS1_3gpuE2ELNS1_3repE0EEENS1_52radix_sort_onesweep_histogram_config_static_selectorELNS0_4arch9wavefront6targetE1EEEvSC_,@function
_ZN7rocprim17ROCPRIM_400000_NS6detail17trampoline_kernelINS0_14default_configENS1_35radix_sort_onesweep_config_selectorItNS0_10empty_typeEEEZNS1_34radix_sort_onesweep_global_offsetsIS3_Lb0EPtPS5_mNS0_19identity_decomposerEEE10hipError_tT1_T2_PT3_SE_jT4_jjP12ihipStream_tbEUlT_E0_NS1_11comp_targetILNS1_3genE8ELNS1_11target_archE1030ELNS1_3gpuE2ELNS1_3repE0EEENS1_52radix_sort_onesweep_histogram_config_static_selectorELNS0_4arch9wavefront6targetE1EEEvSC_: ; @_ZN7rocprim17ROCPRIM_400000_NS6detail17trampoline_kernelINS0_14default_configENS1_35radix_sort_onesweep_config_selectorItNS0_10empty_typeEEEZNS1_34radix_sort_onesweep_global_offsetsIS3_Lb0EPtPS5_mNS0_19identity_decomposerEEE10hipError_tT1_T2_PT3_SE_jT4_jjP12ihipStream_tbEUlT_E0_NS1_11comp_targetILNS1_3genE8ELNS1_11target_archE1030ELNS1_3gpuE2ELNS1_3repE0EEENS1_52radix_sort_onesweep_histogram_config_static_selectorELNS0_4arch9wavefront6targetE1EEEvSC_
; %bb.0:
	.section	.rodata,"a",@progbits
	.p2align	6, 0x0
	.amdhsa_kernel _ZN7rocprim17ROCPRIM_400000_NS6detail17trampoline_kernelINS0_14default_configENS1_35radix_sort_onesweep_config_selectorItNS0_10empty_typeEEEZNS1_34radix_sort_onesweep_global_offsetsIS3_Lb0EPtPS5_mNS0_19identity_decomposerEEE10hipError_tT1_T2_PT3_SE_jT4_jjP12ihipStream_tbEUlT_E0_NS1_11comp_targetILNS1_3genE8ELNS1_11target_archE1030ELNS1_3gpuE2ELNS1_3repE0EEENS1_52radix_sort_onesweep_histogram_config_static_selectorELNS0_4arch9wavefront6targetE1EEEvSC_
		.amdhsa_group_segment_fixed_size 0
		.amdhsa_private_segment_fixed_size 0
		.amdhsa_kernarg_size 8
		.amdhsa_user_sgpr_count 6
		.amdhsa_user_sgpr_private_segment_buffer 1
		.amdhsa_user_sgpr_dispatch_ptr 0
		.amdhsa_user_sgpr_queue_ptr 0
		.amdhsa_user_sgpr_kernarg_segment_ptr 1
		.amdhsa_user_sgpr_dispatch_id 0
		.amdhsa_user_sgpr_flat_scratch_init 0
		.amdhsa_user_sgpr_kernarg_preload_length 0
		.amdhsa_user_sgpr_kernarg_preload_offset 0
		.amdhsa_user_sgpr_private_segment_size 0
		.amdhsa_uses_dynamic_stack 0
		.amdhsa_system_sgpr_private_segment_wavefront_offset 0
		.amdhsa_system_sgpr_workgroup_id_x 1
		.amdhsa_system_sgpr_workgroup_id_y 0
		.amdhsa_system_sgpr_workgroup_id_z 0
		.amdhsa_system_sgpr_workgroup_info 0
		.amdhsa_system_vgpr_workitem_id 0
		.amdhsa_next_free_vgpr 1
		.amdhsa_next_free_sgpr 0
		.amdhsa_accum_offset 4
		.amdhsa_reserve_vcc 0
		.amdhsa_reserve_flat_scratch 0
		.amdhsa_float_round_mode_32 0
		.amdhsa_float_round_mode_16_64 0
		.amdhsa_float_denorm_mode_32 3
		.amdhsa_float_denorm_mode_16_64 3
		.amdhsa_dx10_clamp 1
		.amdhsa_ieee_mode 1
		.amdhsa_fp16_overflow 0
		.amdhsa_tg_split 0
		.amdhsa_exception_fp_ieee_invalid_op 0
		.amdhsa_exception_fp_denorm_src 0
		.amdhsa_exception_fp_ieee_div_zero 0
		.amdhsa_exception_fp_ieee_overflow 0
		.amdhsa_exception_fp_ieee_underflow 0
		.amdhsa_exception_fp_ieee_inexact 0
		.amdhsa_exception_int_div_zero 0
	.end_amdhsa_kernel
	.section	.text._ZN7rocprim17ROCPRIM_400000_NS6detail17trampoline_kernelINS0_14default_configENS1_35radix_sort_onesweep_config_selectorItNS0_10empty_typeEEEZNS1_34radix_sort_onesweep_global_offsetsIS3_Lb0EPtPS5_mNS0_19identity_decomposerEEE10hipError_tT1_T2_PT3_SE_jT4_jjP12ihipStream_tbEUlT_E0_NS1_11comp_targetILNS1_3genE8ELNS1_11target_archE1030ELNS1_3gpuE2ELNS1_3repE0EEENS1_52radix_sort_onesweep_histogram_config_static_selectorELNS0_4arch9wavefront6targetE1EEEvSC_,"axG",@progbits,_ZN7rocprim17ROCPRIM_400000_NS6detail17trampoline_kernelINS0_14default_configENS1_35radix_sort_onesweep_config_selectorItNS0_10empty_typeEEEZNS1_34radix_sort_onesweep_global_offsetsIS3_Lb0EPtPS5_mNS0_19identity_decomposerEEE10hipError_tT1_T2_PT3_SE_jT4_jjP12ihipStream_tbEUlT_E0_NS1_11comp_targetILNS1_3genE8ELNS1_11target_archE1030ELNS1_3gpuE2ELNS1_3repE0EEENS1_52radix_sort_onesweep_histogram_config_static_selectorELNS0_4arch9wavefront6targetE1EEEvSC_,comdat
.Lfunc_end539:
	.size	_ZN7rocprim17ROCPRIM_400000_NS6detail17trampoline_kernelINS0_14default_configENS1_35radix_sort_onesweep_config_selectorItNS0_10empty_typeEEEZNS1_34radix_sort_onesweep_global_offsetsIS3_Lb0EPtPS5_mNS0_19identity_decomposerEEE10hipError_tT1_T2_PT3_SE_jT4_jjP12ihipStream_tbEUlT_E0_NS1_11comp_targetILNS1_3genE8ELNS1_11target_archE1030ELNS1_3gpuE2ELNS1_3repE0EEENS1_52radix_sort_onesweep_histogram_config_static_selectorELNS0_4arch9wavefront6targetE1EEEvSC_, .Lfunc_end539-_ZN7rocprim17ROCPRIM_400000_NS6detail17trampoline_kernelINS0_14default_configENS1_35radix_sort_onesweep_config_selectorItNS0_10empty_typeEEEZNS1_34radix_sort_onesweep_global_offsetsIS3_Lb0EPtPS5_mNS0_19identity_decomposerEEE10hipError_tT1_T2_PT3_SE_jT4_jjP12ihipStream_tbEUlT_E0_NS1_11comp_targetILNS1_3genE8ELNS1_11target_archE1030ELNS1_3gpuE2ELNS1_3repE0EEENS1_52radix_sort_onesweep_histogram_config_static_selectorELNS0_4arch9wavefront6targetE1EEEvSC_
                                        ; -- End function
	.section	.AMDGPU.csdata,"",@progbits
; Kernel info:
; codeLenInByte = 0
; NumSgprs: 4
; NumVgprs: 0
; NumAgprs: 0
; TotalNumVgprs: 0
; ScratchSize: 0
; MemoryBound: 0
; FloatMode: 240
; IeeeMode: 1
; LDSByteSize: 0 bytes/workgroup (compile time only)
; SGPRBlocks: 0
; VGPRBlocks: 0
; NumSGPRsForWavesPerEU: 4
; NumVGPRsForWavesPerEU: 1
; AccumOffset: 4
; Occupancy: 8
; WaveLimiterHint : 0
; COMPUTE_PGM_RSRC2:SCRATCH_EN: 0
; COMPUTE_PGM_RSRC2:USER_SGPR: 6
; COMPUTE_PGM_RSRC2:TRAP_HANDLER: 0
; COMPUTE_PGM_RSRC2:TGID_X_EN: 1
; COMPUTE_PGM_RSRC2:TGID_Y_EN: 0
; COMPUTE_PGM_RSRC2:TGID_Z_EN: 0
; COMPUTE_PGM_RSRC2:TIDIG_COMP_CNT: 0
; COMPUTE_PGM_RSRC3_GFX90A:ACCUM_OFFSET: 0
; COMPUTE_PGM_RSRC3_GFX90A:TG_SPLIT: 0
	.section	.text._ZN7rocprim17ROCPRIM_400000_NS6detail17trampoline_kernelINS0_14default_configENS1_35radix_sort_onesweep_config_selectorItNS0_10empty_typeEEEZZNS1_29radix_sort_onesweep_iterationIS3_Lb0EPtS8_PS5_S9_mNS0_19identity_decomposerENS1_16block_id_wrapperIjLb1EEEEE10hipError_tT1_PNSt15iterator_traitsISE_E10value_typeET2_T3_PNSF_ISK_E10value_typeET4_T5_PSP_SQ_PNS1_23onesweep_lookback_stateEbbT6_jjT7_P12ihipStream_tbENKUlT_T0_SE_SJ_E_clIS8_S8_S9_S9_EEDaSX_SY_SE_SJ_EUlSX_E_NS1_11comp_targetILNS1_3genE0ELNS1_11target_archE4294967295ELNS1_3gpuE0ELNS1_3repE0EEENS1_47radix_sort_onesweep_sort_config_static_selectorELNS0_4arch9wavefront6targetE1EEEvSE_,"axG",@progbits,_ZN7rocprim17ROCPRIM_400000_NS6detail17trampoline_kernelINS0_14default_configENS1_35radix_sort_onesweep_config_selectorItNS0_10empty_typeEEEZZNS1_29radix_sort_onesweep_iterationIS3_Lb0EPtS8_PS5_S9_mNS0_19identity_decomposerENS1_16block_id_wrapperIjLb1EEEEE10hipError_tT1_PNSt15iterator_traitsISE_E10value_typeET2_T3_PNSF_ISK_E10value_typeET4_T5_PSP_SQ_PNS1_23onesweep_lookback_stateEbbT6_jjT7_P12ihipStream_tbENKUlT_T0_SE_SJ_E_clIS8_S8_S9_S9_EEDaSX_SY_SE_SJ_EUlSX_E_NS1_11comp_targetILNS1_3genE0ELNS1_11target_archE4294967295ELNS1_3gpuE0ELNS1_3repE0EEENS1_47radix_sort_onesweep_sort_config_static_selectorELNS0_4arch9wavefront6targetE1EEEvSE_,comdat
	.protected	_ZN7rocprim17ROCPRIM_400000_NS6detail17trampoline_kernelINS0_14default_configENS1_35radix_sort_onesweep_config_selectorItNS0_10empty_typeEEEZZNS1_29radix_sort_onesweep_iterationIS3_Lb0EPtS8_PS5_S9_mNS0_19identity_decomposerENS1_16block_id_wrapperIjLb1EEEEE10hipError_tT1_PNSt15iterator_traitsISE_E10value_typeET2_T3_PNSF_ISK_E10value_typeET4_T5_PSP_SQ_PNS1_23onesweep_lookback_stateEbbT6_jjT7_P12ihipStream_tbENKUlT_T0_SE_SJ_E_clIS8_S8_S9_S9_EEDaSX_SY_SE_SJ_EUlSX_E_NS1_11comp_targetILNS1_3genE0ELNS1_11target_archE4294967295ELNS1_3gpuE0ELNS1_3repE0EEENS1_47radix_sort_onesweep_sort_config_static_selectorELNS0_4arch9wavefront6targetE1EEEvSE_ ; -- Begin function _ZN7rocprim17ROCPRIM_400000_NS6detail17trampoline_kernelINS0_14default_configENS1_35radix_sort_onesweep_config_selectorItNS0_10empty_typeEEEZZNS1_29radix_sort_onesweep_iterationIS3_Lb0EPtS8_PS5_S9_mNS0_19identity_decomposerENS1_16block_id_wrapperIjLb1EEEEE10hipError_tT1_PNSt15iterator_traitsISE_E10value_typeET2_T3_PNSF_ISK_E10value_typeET4_T5_PSP_SQ_PNS1_23onesweep_lookback_stateEbbT6_jjT7_P12ihipStream_tbENKUlT_T0_SE_SJ_E_clIS8_S8_S9_S9_EEDaSX_SY_SE_SJ_EUlSX_E_NS1_11comp_targetILNS1_3genE0ELNS1_11target_archE4294967295ELNS1_3gpuE0ELNS1_3repE0EEENS1_47radix_sort_onesweep_sort_config_static_selectorELNS0_4arch9wavefront6targetE1EEEvSE_
	.globl	_ZN7rocprim17ROCPRIM_400000_NS6detail17trampoline_kernelINS0_14default_configENS1_35radix_sort_onesweep_config_selectorItNS0_10empty_typeEEEZZNS1_29radix_sort_onesweep_iterationIS3_Lb0EPtS8_PS5_S9_mNS0_19identity_decomposerENS1_16block_id_wrapperIjLb1EEEEE10hipError_tT1_PNSt15iterator_traitsISE_E10value_typeET2_T3_PNSF_ISK_E10value_typeET4_T5_PSP_SQ_PNS1_23onesweep_lookback_stateEbbT6_jjT7_P12ihipStream_tbENKUlT_T0_SE_SJ_E_clIS8_S8_S9_S9_EEDaSX_SY_SE_SJ_EUlSX_E_NS1_11comp_targetILNS1_3genE0ELNS1_11target_archE4294967295ELNS1_3gpuE0ELNS1_3repE0EEENS1_47radix_sort_onesweep_sort_config_static_selectorELNS0_4arch9wavefront6targetE1EEEvSE_
	.p2align	8
	.type	_ZN7rocprim17ROCPRIM_400000_NS6detail17trampoline_kernelINS0_14default_configENS1_35radix_sort_onesweep_config_selectorItNS0_10empty_typeEEEZZNS1_29radix_sort_onesweep_iterationIS3_Lb0EPtS8_PS5_S9_mNS0_19identity_decomposerENS1_16block_id_wrapperIjLb1EEEEE10hipError_tT1_PNSt15iterator_traitsISE_E10value_typeET2_T3_PNSF_ISK_E10value_typeET4_T5_PSP_SQ_PNS1_23onesweep_lookback_stateEbbT6_jjT7_P12ihipStream_tbENKUlT_T0_SE_SJ_E_clIS8_S8_S9_S9_EEDaSX_SY_SE_SJ_EUlSX_E_NS1_11comp_targetILNS1_3genE0ELNS1_11target_archE4294967295ELNS1_3gpuE0ELNS1_3repE0EEENS1_47radix_sort_onesweep_sort_config_static_selectorELNS0_4arch9wavefront6targetE1EEEvSE_,@function
_ZN7rocprim17ROCPRIM_400000_NS6detail17trampoline_kernelINS0_14default_configENS1_35radix_sort_onesweep_config_selectorItNS0_10empty_typeEEEZZNS1_29radix_sort_onesweep_iterationIS3_Lb0EPtS8_PS5_S9_mNS0_19identity_decomposerENS1_16block_id_wrapperIjLb1EEEEE10hipError_tT1_PNSt15iterator_traitsISE_E10value_typeET2_T3_PNSF_ISK_E10value_typeET4_T5_PSP_SQ_PNS1_23onesweep_lookback_stateEbbT6_jjT7_P12ihipStream_tbENKUlT_T0_SE_SJ_E_clIS8_S8_S9_S9_EEDaSX_SY_SE_SJ_EUlSX_E_NS1_11comp_targetILNS1_3genE0ELNS1_11target_archE4294967295ELNS1_3gpuE0ELNS1_3repE0EEENS1_47radix_sort_onesweep_sort_config_static_selectorELNS0_4arch9wavefront6targetE1EEEvSE_: ; @_ZN7rocprim17ROCPRIM_400000_NS6detail17trampoline_kernelINS0_14default_configENS1_35radix_sort_onesweep_config_selectorItNS0_10empty_typeEEEZZNS1_29radix_sort_onesweep_iterationIS3_Lb0EPtS8_PS5_S9_mNS0_19identity_decomposerENS1_16block_id_wrapperIjLb1EEEEE10hipError_tT1_PNSt15iterator_traitsISE_E10value_typeET2_T3_PNSF_ISK_E10value_typeET4_T5_PSP_SQ_PNS1_23onesweep_lookback_stateEbbT6_jjT7_P12ihipStream_tbENKUlT_T0_SE_SJ_E_clIS8_S8_S9_S9_EEDaSX_SY_SE_SJ_EUlSX_E_NS1_11comp_targetILNS1_3genE0ELNS1_11target_archE4294967295ELNS1_3gpuE0ELNS1_3repE0EEENS1_47radix_sort_onesweep_sort_config_static_selectorELNS0_4arch9wavefront6targetE1EEEvSE_
; %bb.0:
	.section	.rodata,"a",@progbits
	.p2align	6, 0x0
	.amdhsa_kernel _ZN7rocprim17ROCPRIM_400000_NS6detail17trampoline_kernelINS0_14default_configENS1_35radix_sort_onesweep_config_selectorItNS0_10empty_typeEEEZZNS1_29radix_sort_onesweep_iterationIS3_Lb0EPtS8_PS5_S9_mNS0_19identity_decomposerENS1_16block_id_wrapperIjLb1EEEEE10hipError_tT1_PNSt15iterator_traitsISE_E10value_typeET2_T3_PNSF_ISK_E10value_typeET4_T5_PSP_SQ_PNS1_23onesweep_lookback_stateEbbT6_jjT7_P12ihipStream_tbENKUlT_T0_SE_SJ_E_clIS8_S8_S9_S9_EEDaSX_SY_SE_SJ_EUlSX_E_NS1_11comp_targetILNS1_3genE0ELNS1_11target_archE4294967295ELNS1_3gpuE0ELNS1_3repE0EEENS1_47radix_sort_onesweep_sort_config_static_selectorELNS0_4arch9wavefront6targetE1EEEvSE_
		.amdhsa_group_segment_fixed_size 0
		.amdhsa_private_segment_fixed_size 0
		.amdhsa_kernarg_size 88
		.amdhsa_user_sgpr_count 6
		.amdhsa_user_sgpr_private_segment_buffer 1
		.amdhsa_user_sgpr_dispatch_ptr 0
		.amdhsa_user_sgpr_queue_ptr 0
		.amdhsa_user_sgpr_kernarg_segment_ptr 1
		.amdhsa_user_sgpr_dispatch_id 0
		.amdhsa_user_sgpr_flat_scratch_init 0
		.amdhsa_user_sgpr_kernarg_preload_length 0
		.amdhsa_user_sgpr_kernarg_preload_offset 0
		.amdhsa_user_sgpr_private_segment_size 0
		.amdhsa_uses_dynamic_stack 0
		.amdhsa_system_sgpr_private_segment_wavefront_offset 0
		.amdhsa_system_sgpr_workgroup_id_x 1
		.amdhsa_system_sgpr_workgroup_id_y 0
		.amdhsa_system_sgpr_workgroup_id_z 0
		.amdhsa_system_sgpr_workgroup_info 0
		.amdhsa_system_vgpr_workitem_id 0
		.amdhsa_next_free_vgpr 1
		.amdhsa_next_free_sgpr 0
		.amdhsa_accum_offset 4
		.amdhsa_reserve_vcc 0
		.amdhsa_reserve_flat_scratch 0
		.amdhsa_float_round_mode_32 0
		.amdhsa_float_round_mode_16_64 0
		.amdhsa_float_denorm_mode_32 3
		.amdhsa_float_denorm_mode_16_64 3
		.amdhsa_dx10_clamp 1
		.amdhsa_ieee_mode 1
		.amdhsa_fp16_overflow 0
		.amdhsa_tg_split 0
		.amdhsa_exception_fp_ieee_invalid_op 0
		.amdhsa_exception_fp_denorm_src 0
		.amdhsa_exception_fp_ieee_div_zero 0
		.amdhsa_exception_fp_ieee_overflow 0
		.amdhsa_exception_fp_ieee_underflow 0
		.amdhsa_exception_fp_ieee_inexact 0
		.amdhsa_exception_int_div_zero 0
	.end_amdhsa_kernel
	.section	.text._ZN7rocprim17ROCPRIM_400000_NS6detail17trampoline_kernelINS0_14default_configENS1_35radix_sort_onesweep_config_selectorItNS0_10empty_typeEEEZZNS1_29radix_sort_onesweep_iterationIS3_Lb0EPtS8_PS5_S9_mNS0_19identity_decomposerENS1_16block_id_wrapperIjLb1EEEEE10hipError_tT1_PNSt15iterator_traitsISE_E10value_typeET2_T3_PNSF_ISK_E10value_typeET4_T5_PSP_SQ_PNS1_23onesweep_lookback_stateEbbT6_jjT7_P12ihipStream_tbENKUlT_T0_SE_SJ_E_clIS8_S8_S9_S9_EEDaSX_SY_SE_SJ_EUlSX_E_NS1_11comp_targetILNS1_3genE0ELNS1_11target_archE4294967295ELNS1_3gpuE0ELNS1_3repE0EEENS1_47radix_sort_onesweep_sort_config_static_selectorELNS0_4arch9wavefront6targetE1EEEvSE_,"axG",@progbits,_ZN7rocprim17ROCPRIM_400000_NS6detail17trampoline_kernelINS0_14default_configENS1_35radix_sort_onesweep_config_selectorItNS0_10empty_typeEEEZZNS1_29radix_sort_onesweep_iterationIS3_Lb0EPtS8_PS5_S9_mNS0_19identity_decomposerENS1_16block_id_wrapperIjLb1EEEEE10hipError_tT1_PNSt15iterator_traitsISE_E10value_typeET2_T3_PNSF_ISK_E10value_typeET4_T5_PSP_SQ_PNS1_23onesweep_lookback_stateEbbT6_jjT7_P12ihipStream_tbENKUlT_T0_SE_SJ_E_clIS8_S8_S9_S9_EEDaSX_SY_SE_SJ_EUlSX_E_NS1_11comp_targetILNS1_3genE0ELNS1_11target_archE4294967295ELNS1_3gpuE0ELNS1_3repE0EEENS1_47radix_sort_onesweep_sort_config_static_selectorELNS0_4arch9wavefront6targetE1EEEvSE_,comdat
.Lfunc_end540:
	.size	_ZN7rocprim17ROCPRIM_400000_NS6detail17trampoline_kernelINS0_14default_configENS1_35radix_sort_onesweep_config_selectorItNS0_10empty_typeEEEZZNS1_29radix_sort_onesweep_iterationIS3_Lb0EPtS8_PS5_S9_mNS0_19identity_decomposerENS1_16block_id_wrapperIjLb1EEEEE10hipError_tT1_PNSt15iterator_traitsISE_E10value_typeET2_T3_PNSF_ISK_E10value_typeET4_T5_PSP_SQ_PNS1_23onesweep_lookback_stateEbbT6_jjT7_P12ihipStream_tbENKUlT_T0_SE_SJ_E_clIS8_S8_S9_S9_EEDaSX_SY_SE_SJ_EUlSX_E_NS1_11comp_targetILNS1_3genE0ELNS1_11target_archE4294967295ELNS1_3gpuE0ELNS1_3repE0EEENS1_47radix_sort_onesweep_sort_config_static_selectorELNS0_4arch9wavefront6targetE1EEEvSE_, .Lfunc_end540-_ZN7rocprim17ROCPRIM_400000_NS6detail17trampoline_kernelINS0_14default_configENS1_35radix_sort_onesweep_config_selectorItNS0_10empty_typeEEEZZNS1_29radix_sort_onesweep_iterationIS3_Lb0EPtS8_PS5_S9_mNS0_19identity_decomposerENS1_16block_id_wrapperIjLb1EEEEE10hipError_tT1_PNSt15iterator_traitsISE_E10value_typeET2_T3_PNSF_ISK_E10value_typeET4_T5_PSP_SQ_PNS1_23onesweep_lookback_stateEbbT6_jjT7_P12ihipStream_tbENKUlT_T0_SE_SJ_E_clIS8_S8_S9_S9_EEDaSX_SY_SE_SJ_EUlSX_E_NS1_11comp_targetILNS1_3genE0ELNS1_11target_archE4294967295ELNS1_3gpuE0ELNS1_3repE0EEENS1_47radix_sort_onesweep_sort_config_static_selectorELNS0_4arch9wavefront6targetE1EEEvSE_
                                        ; -- End function
	.section	.AMDGPU.csdata,"",@progbits
; Kernel info:
; codeLenInByte = 0
; NumSgprs: 4
; NumVgprs: 0
; NumAgprs: 0
; TotalNumVgprs: 0
; ScratchSize: 0
; MemoryBound: 0
; FloatMode: 240
; IeeeMode: 1
; LDSByteSize: 0 bytes/workgroup (compile time only)
; SGPRBlocks: 0
; VGPRBlocks: 0
; NumSGPRsForWavesPerEU: 4
; NumVGPRsForWavesPerEU: 1
; AccumOffset: 4
; Occupancy: 8
; WaveLimiterHint : 0
; COMPUTE_PGM_RSRC2:SCRATCH_EN: 0
; COMPUTE_PGM_RSRC2:USER_SGPR: 6
; COMPUTE_PGM_RSRC2:TRAP_HANDLER: 0
; COMPUTE_PGM_RSRC2:TGID_X_EN: 1
; COMPUTE_PGM_RSRC2:TGID_Y_EN: 0
; COMPUTE_PGM_RSRC2:TGID_Z_EN: 0
; COMPUTE_PGM_RSRC2:TIDIG_COMP_CNT: 0
; COMPUTE_PGM_RSRC3_GFX90A:ACCUM_OFFSET: 0
; COMPUTE_PGM_RSRC3_GFX90A:TG_SPLIT: 0
	.section	.text._ZN7rocprim17ROCPRIM_400000_NS6detail17trampoline_kernelINS0_14default_configENS1_35radix_sort_onesweep_config_selectorItNS0_10empty_typeEEEZZNS1_29radix_sort_onesweep_iterationIS3_Lb0EPtS8_PS5_S9_mNS0_19identity_decomposerENS1_16block_id_wrapperIjLb1EEEEE10hipError_tT1_PNSt15iterator_traitsISE_E10value_typeET2_T3_PNSF_ISK_E10value_typeET4_T5_PSP_SQ_PNS1_23onesweep_lookback_stateEbbT6_jjT7_P12ihipStream_tbENKUlT_T0_SE_SJ_E_clIS8_S8_S9_S9_EEDaSX_SY_SE_SJ_EUlSX_E_NS1_11comp_targetILNS1_3genE6ELNS1_11target_archE950ELNS1_3gpuE13ELNS1_3repE0EEENS1_47radix_sort_onesweep_sort_config_static_selectorELNS0_4arch9wavefront6targetE1EEEvSE_,"axG",@progbits,_ZN7rocprim17ROCPRIM_400000_NS6detail17trampoline_kernelINS0_14default_configENS1_35radix_sort_onesweep_config_selectorItNS0_10empty_typeEEEZZNS1_29radix_sort_onesweep_iterationIS3_Lb0EPtS8_PS5_S9_mNS0_19identity_decomposerENS1_16block_id_wrapperIjLb1EEEEE10hipError_tT1_PNSt15iterator_traitsISE_E10value_typeET2_T3_PNSF_ISK_E10value_typeET4_T5_PSP_SQ_PNS1_23onesweep_lookback_stateEbbT6_jjT7_P12ihipStream_tbENKUlT_T0_SE_SJ_E_clIS8_S8_S9_S9_EEDaSX_SY_SE_SJ_EUlSX_E_NS1_11comp_targetILNS1_3genE6ELNS1_11target_archE950ELNS1_3gpuE13ELNS1_3repE0EEENS1_47radix_sort_onesweep_sort_config_static_selectorELNS0_4arch9wavefront6targetE1EEEvSE_,comdat
	.protected	_ZN7rocprim17ROCPRIM_400000_NS6detail17trampoline_kernelINS0_14default_configENS1_35radix_sort_onesweep_config_selectorItNS0_10empty_typeEEEZZNS1_29radix_sort_onesweep_iterationIS3_Lb0EPtS8_PS5_S9_mNS0_19identity_decomposerENS1_16block_id_wrapperIjLb1EEEEE10hipError_tT1_PNSt15iterator_traitsISE_E10value_typeET2_T3_PNSF_ISK_E10value_typeET4_T5_PSP_SQ_PNS1_23onesweep_lookback_stateEbbT6_jjT7_P12ihipStream_tbENKUlT_T0_SE_SJ_E_clIS8_S8_S9_S9_EEDaSX_SY_SE_SJ_EUlSX_E_NS1_11comp_targetILNS1_3genE6ELNS1_11target_archE950ELNS1_3gpuE13ELNS1_3repE0EEENS1_47radix_sort_onesweep_sort_config_static_selectorELNS0_4arch9wavefront6targetE1EEEvSE_ ; -- Begin function _ZN7rocprim17ROCPRIM_400000_NS6detail17trampoline_kernelINS0_14default_configENS1_35radix_sort_onesweep_config_selectorItNS0_10empty_typeEEEZZNS1_29radix_sort_onesweep_iterationIS3_Lb0EPtS8_PS5_S9_mNS0_19identity_decomposerENS1_16block_id_wrapperIjLb1EEEEE10hipError_tT1_PNSt15iterator_traitsISE_E10value_typeET2_T3_PNSF_ISK_E10value_typeET4_T5_PSP_SQ_PNS1_23onesweep_lookback_stateEbbT6_jjT7_P12ihipStream_tbENKUlT_T0_SE_SJ_E_clIS8_S8_S9_S9_EEDaSX_SY_SE_SJ_EUlSX_E_NS1_11comp_targetILNS1_3genE6ELNS1_11target_archE950ELNS1_3gpuE13ELNS1_3repE0EEENS1_47radix_sort_onesweep_sort_config_static_selectorELNS0_4arch9wavefront6targetE1EEEvSE_
	.globl	_ZN7rocprim17ROCPRIM_400000_NS6detail17trampoline_kernelINS0_14default_configENS1_35radix_sort_onesweep_config_selectorItNS0_10empty_typeEEEZZNS1_29radix_sort_onesweep_iterationIS3_Lb0EPtS8_PS5_S9_mNS0_19identity_decomposerENS1_16block_id_wrapperIjLb1EEEEE10hipError_tT1_PNSt15iterator_traitsISE_E10value_typeET2_T3_PNSF_ISK_E10value_typeET4_T5_PSP_SQ_PNS1_23onesweep_lookback_stateEbbT6_jjT7_P12ihipStream_tbENKUlT_T0_SE_SJ_E_clIS8_S8_S9_S9_EEDaSX_SY_SE_SJ_EUlSX_E_NS1_11comp_targetILNS1_3genE6ELNS1_11target_archE950ELNS1_3gpuE13ELNS1_3repE0EEENS1_47radix_sort_onesweep_sort_config_static_selectorELNS0_4arch9wavefront6targetE1EEEvSE_
	.p2align	8
	.type	_ZN7rocprim17ROCPRIM_400000_NS6detail17trampoline_kernelINS0_14default_configENS1_35radix_sort_onesweep_config_selectorItNS0_10empty_typeEEEZZNS1_29radix_sort_onesweep_iterationIS3_Lb0EPtS8_PS5_S9_mNS0_19identity_decomposerENS1_16block_id_wrapperIjLb1EEEEE10hipError_tT1_PNSt15iterator_traitsISE_E10value_typeET2_T3_PNSF_ISK_E10value_typeET4_T5_PSP_SQ_PNS1_23onesweep_lookback_stateEbbT6_jjT7_P12ihipStream_tbENKUlT_T0_SE_SJ_E_clIS8_S8_S9_S9_EEDaSX_SY_SE_SJ_EUlSX_E_NS1_11comp_targetILNS1_3genE6ELNS1_11target_archE950ELNS1_3gpuE13ELNS1_3repE0EEENS1_47radix_sort_onesweep_sort_config_static_selectorELNS0_4arch9wavefront6targetE1EEEvSE_,@function
_ZN7rocprim17ROCPRIM_400000_NS6detail17trampoline_kernelINS0_14default_configENS1_35radix_sort_onesweep_config_selectorItNS0_10empty_typeEEEZZNS1_29radix_sort_onesweep_iterationIS3_Lb0EPtS8_PS5_S9_mNS0_19identity_decomposerENS1_16block_id_wrapperIjLb1EEEEE10hipError_tT1_PNSt15iterator_traitsISE_E10value_typeET2_T3_PNSF_ISK_E10value_typeET4_T5_PSP_SQ_PNS1_23onesweep_lookback_stateEbbT6_jjT7_P12ihipStream_tbENKUlT_T0_SE_SJ_E_clIS8_S8_S9_S9_EEDaSX_SY_SE_SJ_EUlSX_E_NS1_11comp_targetILNS1_3genE6ELNS1_11target_archE950ELNS1_3gpuE13ELNS1_3repE0EEENS1_47radix_sort_onesweep_sort_config_static_selectorELNS0_4arch9wavefront6targetE1EEEvSE_: ; @_ZN7rocprim17ROCPRIM_400000_NS6detail17trampoline_kernelINS0_14default_configENS1_35radix_sort_onesweep_config_selectorItNS0_10empty_typeEEEZZNS1_29radix_sort_onesweep_iterationIS3_Lb0EPtS8_PS5_S9_mNS0_19identity_decomposerENS1_16block_id_wrapperIjLb1EEEEE10hipError_tT1_PNSt15iterator_traitsISE_E10value_typeET2_T3_PNSF_ISK_E10value_typeET4_T5_PSP_SQ_PNS1_23onesweep_lookback_stateEbbT6_jjT7_P12ihipStream_tbENKUlT_T0_SE_SJ_E_clIS8_S8_S9_S9_EEDaSX_SY_SE_SJ_EUlSX_E_NS1_11comp_targetILNS1_3genE6ELNS1_11target_archE950ELNS1_3gpuE13ELNS1_3repE0EEENS1_47radix_sort_onesweep_sort_config_static_selectorELNS0_4arch9wavefront6targetE1EEEvSE_
; %bb.0:
	.section	.rodata,"a",@progbits
	.p2align	6, 0x0
	.amdhsa_kernel _ZN7rocprim17ROCPRIM_400000_NS6detail17trampoline_kernelINS0_14default_configENS1_35radix_sort_onesweep_config_selectorItNS0_10empty_typeEEEZZNS1_29radix_sort_onesweep_iterationIS3_Lb0EPtS8_PS5_S9_mNS0_19identity_decomposerENS1_16block_id_wrapperIjLb1EEEEE10hipError_tT1_PNSt15iterator_traitsISE_E10value_typeET2_T3_PNSF_ISK_E10value_typeET4_T5_PSP_SQ_PNS1_23onesweep_lookback_stateEbbT6_jjT7_P12ihipStream_tbENKUlT_T0_SE_SJ_E_clIS8_S8_S9_S9_EEDaSX_SY_SE_SJ_EUlSX_E_NS1_11comp_targetILNS1_3genE6ELNS1_11target_archE950ELNS1_3gpuE13ELNS1_3repE0EEENS1_47radix_sort_onesweep_sort_config_static_selectorELNS0_4arch9wavefront6targetE1EEEvSE_
		.amdhsa_group_segment_fixed_size 0
		.amdhsa_private_segment_fixed_size 0
		.amdhsa_kernarg_size 88
		.amdhsa_user_sgpr_count 6
		.amdhsa_user_sgpr_private_segment_buffer 1
		.amdhsa_user_sgpr_dispatch_ptr 0
		.amdhsa_user_sgpr_queue_ptr 0
		.amdhsa_user_sgpr_kernarg_segment_ptr 1
		.amdhsa_user_sgpr_dispatch_id 0
		.amdhsa_user_sgpr_flat_scratch_init 0
		.amdhsa_user_sgpr_kernarg_preload_length 0
		.amdhsa_user_sgpr_kernarg_preload_offset 0
		.amdhsa_user_sgpr_private_segment_size 0
		.amdhsa_uses_dynamic_stack 0
		.amdhsa_system_sgpr_private_segment_wavefront_offset 0
		.amdhsa_system_sgpr_workgroup_id_x 1
		.amdhsa_system_sgpr_workgroup_id_y 0
		.amdhsa_system_sgpr_workgroup_id_z 0
		.amdhsa_system_sgpr_workgroup_info 0
		.amdhsa_system_vgpr_workitem_id 0
		.amdhsa_next_free_vgpr 1
		.amdhsa_next_free_sgpr 0
		.amdhsa_accum_offset 4
		.amdhsa_reserve_vcc 0
		.amdhsa_reserve_flat_scratch 0
		.amdhsa_float_round_mode_32 0
		.amdhsa_float_round_mode_16_64 0
		.amdhsa_float_denorm_mode_32 3
		.amdhsa_float_denorm_mode_16_64 3
		.amdhsa_dx10_clamp 1
		.amdhsa_ieee_mode 1
		.amdhsa_fp16_overflow 0
		.amdhsa_tg_split 0
		.amdhsa_exception_fp_ieee_invalid_op 0
		.amdhsa_exception_fp_denorm_src 0
		.amdhsa_exception_fp_ieee_div_zero 0
		.amdhsa_exception_fp_ieee_overflow 0
		.amdhsa_exception_fp_ieee_underflow 0
		.amdhsa_exception_fp_ieee_inexact 0
		.amdhsa_exception_int_div_zero 0
	.end_amdhsa_kernel
	.section	.text._ZN7rocprim17ROCPRIM_400000_NS6detail17trampoline_kernelINS0_14default_configENS1_35radix_sort_onesweep_config_selectorItNS0_10empty_typeEEEZZNS1_29radix_sort_onesweep_iterationIS3_Lb0EPtS8_PS5_S9_mNS0_19identity_decomposerENS1_16block_id_wrapperIjLb1EEEEE10hipError_tT1_PNSt15iterator_traitsISE_E10value_typeET2_T3_PNSF_ISK_E10value_typeET4_T5_PSP_SQ_PNS1_23onesweep_lookback_stateEbbT6_jjT7_P12ihipStream_tbENKUlT_T0_SE_SJ_E_clIS8_S8_S9_S9_EEDaSX_SY_SE_SJ_EUlSX_E_NS1_11comp_targetILNS1_3genE6ELNS1_11target_archE950ELNS1_3gpuE13ELNS1_3repE0EEENS1_47radix_sort_onesweep_sort_config_static_selectorELNS0_4arch9wavefront6targetE1EEEvSE_,"axG",@progbits,_ZN7rocprim17ROCPRIM_400000_NS6detail17trampoline_kernelINS0_14default_configENS1_35radix_sort_onesweep_config_selectorItNS0_10empty_typeEEEZZNS1_29radix_sort_onesweep_iterationIS3_Lb0EPtS8_PS5_S9_mNS0_19identity_decomposerENS1_16block_id_wrapperIjLb1EEEEE10hipError_tT1_PNSt15iterator_traitsISE_E10value_typeET2_T3_PNSF_ISK_E10value_typeET4_T5_PSP_SQ_PNS1_23onesweep_lookback_stateEbbT6_jjT7_P12ihipStream_tbENKUlT_T0_SE_SJ_E_clIS8_S8_S9_S9_EEDaSX_SY_SE_SJ_EUlSX_E_NS1_11comp_targetILNS1_3genE6ELNS1_11target_archE950ELNS1_3gpuE13ELNS1_3repE0EEENS1_47radix_sort_onesweep_sort_config_static_selectorELNS0_4arch9wavefront6targetE1EEEvSE_,comdat
.Lfunc_end541:
	.size	_ZN7rocprim17ROCPRIM_400000_NS6detail17trampoline_kernelINS0_14default_configENS1_35radix_sort_onesweep_config_selectorItNS0_10empty_typeEEEZZNS1_29radix_sort_onesweep_iterationIS3_Lb0EPtS8_PS5_S9_mNS0_19identity_decomposerENS1_16block_id_wrapperIjLb1EEEEE10hipError_tT1_PNSt15iterator_traitsISE_E10value_typeET2_T3_PNSF_ISK_E10value_typeET4_T5_PSP_SQ_PNS1_23onesweep_lookback_stateEbbT6_jjT7_P12ihipStream_tbENKUlT_T0_SE_SJ_E_clIS8_S8_S9_S9_EEDaSX_SY_SE_SJ_EUlSX_E_NS1_11comp_targetILNS1_3genE6ELNS1_11target_archE950ELNS1_3gpuE13ELNS1_3repE0EEENS1_47radix_sort_onesweep_sort_config_static_selectorELNS0_4arch9wavefront6targetE1EEEvSE_, .Lfunc_end541-_ZN7rocprim17ROCPRIM_400000_NS6detail17trampoline_kernelINS0_14default_configENS1_35radix_sort_onesweep_config_selectorItNS0_10empty_typeEEEZZNS1_29radix_sort_onesweep_iterationIS3_Lb0EPtS8_PS5_S9_mNS0_19identity_decomposerENS1_16block_id_wrapperIjLb1EEEEE10hipError_tT1_PNSt15iterator_traitsISE_E10value_typeET2_T3_PNSF_ISK_E10value_typeET4_T5_PSP_SQ_PNS1_23onesweep_lookback_stateEbbT6_jjT7_P12ihipStream_tbENKUlT_T0_SE_SJ_E_clIS8_S8_S9_S9_EEDaSX_SY_SE_SJ_EUlSX_E_NS1_11comp_targetILNS1_3genE6ELNS1_11target_archE950ELNS1_3gpuE13ELNS1_3repE0EEENS1_47radix_sort_onesweep_sort_config_static_selectorELNS0_4arch9wavefront6targetE1EEEvSE_
                                        ; -- End function
	.section	.AMDGPU.csdata,"",@progbits
; Kernel info:
; codeLenInByte = 0
; NumSgprs: 4
; NumVgprs: 0
; NumAgprs: 0
; TotalNumVgprs: 0
; ScratchSize: 0
; MemoryBound: 0
; FloatMode: 240
; IeeeMode: 1
; LDSByteSize: 0 bytes/workgroup (compile time only)
; SGPRBlocks: 0
; VGPRBlocks: 0
; NumSGPRsForWavesPerEU: 4
; NumVGPRsForWavesPerEU: 1
; AccumOffset: 4
; Occupancy: 8
; WaveLimiterHint : 0
; COMPUTE_PGM_RSRC2:SCRATCH_EN: 0
; COMPUTE_PGM_RSRC2:USER_SGPR: 6
; COMPUTE_PGM_RSRC2:TRAP_HANDLER: 0
; COMPUTE_PGM_RSRC2:TGID_X_EN: 1
; COMPUTE_PGM_RSRC2:TGID_Y_EN: 0
; COMPUTE_PGM_RSRC2:TGID_Z_EN: 0
; COMPUTE_PGM_RSRC2:TIDIG_COMP_CNT: 0
; COMPUTE_PGM_RSRC3_GFX90A:ACCUM_OFFSET: 0
; COMPUTE_PGM_RSRC3_GFX90A:TG_SPLIT: 0
	.section	.text._ZN7rocprim17ROCPRIM_400000_NS6detail17trampoline_kernelINS0_14default_configENS1_35radix_sort_onesweep_config_selectorItNS0_10empty_typeEEEZZNS1_29radix_sort_onesweep_iterationIS3_Lb0EPtS8_PS5_S9_mNS0_19identity_decomposerENS1_16block_id_wrapperIjLb1EEEEE10hipError_tT1_PNSt15iterator_traitsISE_E10value_typeET2_T3_PNSF_ISK_E10value_typeET4_T5_PSP_SQ_PNS1_23onesweep_lookback_stateEbbT6_jjT7_P12ihipStream_tbENKUlT_T0_SE_SJ_E_clIS8_S8_S9_S9_EEDaSX_SY_SE_SJ_EUlSX_E_NS1_11comp_targetILNS1_3genE5ELNS1_11target_archE942ELNS1_3gpuE9ELNS1_3repE0EEENS1_47radix_sort_onesweep_sort_config_static_selectorELNS0_4arch9wavefront6targetE1EEEvSE_,"axG",@progbits,_ZN7rocprim17ROCPRIM_400000_NS6detail17trampoline_kernelINS0_14default_configENS1_35radix_sort_onesweep_config_selectorItNS0_10empty_typeEEEZZNS1_29radix_sort_onesweep_iterationIS3_Lb0EPtS8_PS5_S9_mNS0_19identity_decomposerENS1_16block_id_wrapperIjLb1EEEEE10hipError_tT1_PNSt15iterator_traitsISE_E10value_typeET2_T3_PNSF_ISK_E10value_typeET4_T5_PSP_SQ_PNS1_23onesweep_lookback_stateEbbT6_jjT7_P12ihipStream_tbENKUlT_T0_SE_SJ_E_clIS8_S8_S9_S9_EEDaSX_SY_SE_SJ_EUlSX_E_NS1_11comp_targetILNS1_3genE5ELNS1_11target_archE942ELNS1_3gpuE9ELNS1_3repE0EEENS1_47radix_sort_onesweep_sort_config_static_selectorELNS0_4arch9wavefront6targetE1EEEvSE_,comdat
	.protected	_ZN7rocprim17ROCPRIM_400000_NS6detail17trampoline_kernelINS0_14default_configENS1_35radix_sort_onesweep_config_selectorItNS0_10empty_typeEEEZZNS1_29radix_sort_onesweep_iterationIS3_Lb0EPtS8_PS5_S9_mNS0_19identity_decomposerENS1_16block_id_wrapperIjLb1EEEEE10hipError_tT1_PNSt15iterator_traitsISE_E10value_typeET2_T3_PNSF_ISK_E10value_typeET4_T5_PSP_SQ_PNS1_23onesweep_lookback_stateEbbT6_jjT7_P12ihipStream_tbENKUlT_T0_SE_SJ_E_clIS8_S8_S9_S9_EEDaSX_SY_SE_SJ_EUlSX_E_NS1_11comp_targetILNS1_3genE5ELNS1_11target_archE942ELNS1_3gpuE9ELNS1_3repE0EEENS1_47radix_sort_onesweep_sort_config_static_selectorELNS0_4arch9wavefront6targetE1EEEvSE_ ; -- Begin function _ZN7rocprim17ROCPRIM_400000_NS6detail17trampoline_kernelINS0_14default_configENS1_35radix_sort_onesweep_config_selectorItNS0_10empty_typeEEEZZNS1_29radix_sort_onesweep_iterationIS3_Lb0EPtS8_PS5_S9_mNS0_19identity_decomposerENS1_16block_id_wrapperIjLb1EEEEE10hipError_tT1_PNSt15iterator_traitsISE_E10value_typeET2_T3_PNSF_ISK_E10value_typeET4_T5_PSP_SQ_PNS1_23onesweep_lookback_stateEbbT6_jjT7_P12ihipStream_tbENKUlT_T0_SE_SJ_E_clIS8_S8_S9_S9_EEDaSX_SY_SE_SJ_EUlSX_E_NS1_11comp_targetILNS1_3genE5ELNS1_11target_archE942ELNS1_3gpuE9ELNS1_3repE0EEENS1_47radix_sort_onesweep_sort_config_static_selectorELNS0_4arch9wavefront6targetE1EEEvSE_
	.globl	_ZN7rocprim17ROCPRIM_400000_NS6detail17trampoline_kernelINS0_14default_configENS1_35radix_sort_onesweep_config_selectorItNS0_10empty_typeEEEZZNS1_29radix_sort_onesweep_iterationIS3_Lb0EPtS8_PS5_S9_mNS0_19identity_decomposerENS1_16block_id_wrapperIjLb1EEEEE10hipError_tT1_PNSt15iterator_traitsISE_E10value_typeET2_T3_PNSF_ISK_E10value_typeET4_T5_PSP_SQ_PNS1_23onesweep_lookback_stateEbbT6_jjT7_P12ihipStream_tbENKUlT_T0_SE_SJ_E_clIS8_S8_S9_S9_EEDaSX_SY_SE_SJ_EUlSX_E_NS1_11comp_targetILNS1_3genE5ELNS1_11target_archE942ELNS1_3gpuE9ELNS1_3repE0EEENS1_47radix_sort_onesweep_sort_config_static_selectorELNS0_4arch9wavefront6targetE1EEEvSE_
	.p2align	8
	.type	_ZN7rocprim17ROCPRIM_400000_NS6detail17trampoline_kernelINS0_14default_configENS1_35radix_sort_onesweep_config_selectorItNS0_10empty_typeEEEZZNS1_29radix_sort_onesweep_iterationIS3_Lb0EPtS8_PS5_S9_mNS0_19identity_decomposerENS1_16block_id_wrapperIjLb1EEEEE10hipError_tT1_PNSt15iterator_traitsISE_E10value_typeET2_T3_PNSF_ISK_E10value_typeET4_T5_PSP_SQ_PNS1_23onesweep_lookback_stateEbbT6_jjT7_P12ihipStream_tbENKUlT_T0_SE_SJ_E_clIS8_S8_S9_S9_EEDaSX_SY_SE_SJ_EUlSX_E_NS1_11comp_targetILNS1_3genE5ELNS1_11target_archE942ELNS1_3gpuE9ELNS1_3repE0EEENS1_47radix_sort_onesweep_sort_config_static_selectorELNS0_4arch9wavefront6targetE1EEEvSE_,@function
_ZN7rocprim17ROCPRIM_400000_NS6detail17trampoline_kernelINS0_14default_configENS1_35radix_sort_onesweep_config_selectorItNS0_10empty_typeEEEZZNS1_29radix_sort_onesweep_iterationIS3_Lb0EPtS8_PS5_S9_mNS0_19identity_decomposerENS1_16block_id_wrapperIjLb1EEEEE10hipError_tT1_PNSt15iterator_traitsISE_E10value_typeET2_T3_PNSF_ISK_E10value_typeET4_T5_PSP_SQ_PNS1_23onesweep_lookback_stateEbbT6_jjT7_P12ihipStream_tbENKUlT_T0_SE_SJ_E_clIS8_S8_S9_S9_EEDaSX_SY_SE_SJ_EUlSX_E_NS1_11comp_targetILNS1_3genE5ELNS1_11target_archE942ELNS1_3gpuE9ELNS1_3repE0EEENS1_47radix_sort_onesweep_sort_config_static_selectorELNS0_4arch9wavefront6targetE1EEEvSE_: ; @_ZN7rocprim17ROCPRIM_400000_NS6detail17trampoline_kernelINS0_14default_configENS1_35radix_sort_onesweep_config_selectorItNS0_10empty_typeEEEZZNS1_29radix_sort_onesweep_iterationIS3_Lb0EPtS8_PS5_S9_mNS0_19identity_decomposerENS1_16block_id_wrapperIjLb1EEEEE10hipError_tT1_PNSt15iterator_traitsISE_E10value_typeET2_T3_PNSF_ISK_E10value_typeET4_T5_PSP_SQ_PNS1_23onesweep_lookback_stateEbbT6_jjT7_P12ihipStream_tbENKUlT_T0_SE_SJ_E_clIS8_S8_S9_S9_EEDaSX_SY_SE_SJ_EUlSX_E_NS1_11comp_targetILNS1_3genE5ELNS1_11target_archE942ELNS1_3gpuE9ELNS1_3repE0EEENS1_47radix_sort_onesweep_sort_config_static_selectorELNS0_4arch9wavefront6targetE1EEEvSE_
; %bb.0:
	.section	.rodata,"a",@progbits
	.p2align	6, 0x0
	.amdhsa_kernel _ZN7rocprim17ROCPRIM_400000_NS6detail17trampoline_kernelINS0_14default_configENS1_35radix_sort_onesweep_config_selectorItNS0_10empty_typeEEEZZNS1_29radix_sort_onesweep_iterationIS3_Lb0EPtS8_PS5_S9_mNS0_19identity_decomposerENS1_16block_id_wrapperIjLb1EEEEE10hipError_tT1_PNSt15iterator_traitsISE_E10value_typeET2_T3_PNSF_ISK_E10value_typeET4_T5_PSP_SQ_PNS1_23onesweep_lookback_stateEbbT6_jjT7_P12ihipStream_tbENKUlT_T0_SE_SJ_E_clIS8_S8_S9_S9_EEDaSX_SY_SE_SJ_EUlSX_E_NS1_11comp_targetILNS1_3genE5ELNS1_11target_archE942ELNS1_3gpuE9ELNS1_3repE0EEENS1_47radix_sort_onesweep_sort_config_static_selectorELNS0_4arch9wavefront6targetE1EEEvSE_
		.amdhsa_group_segment_fixed_size 0
		.amdhsa_private_segment_fixed_size 0
		.amdhsa_kernarg_size 88
		.amdhsa_user_sgpr_count 6
		.amdhsa_user_sgpr_private_segment_buffer 1
		.amdhsa_user_sgpr_dispatch_ptr 0
		.amdhsa_user_sgpr_queue_ptr 0
		.amdhsa_user_sgpr_kernarg_segment_ptr 1
		.amdhsa_user_sgpr_dispatch_id 0
		.amdhsa_user_sgpr_flat_scratch_init 0
		.amdhsa_user_sgpr_kernarg_preload_length 0
		.amdhsa_user_sgpr_kernarg_preload_offset 0
		.amdhsa_user_sgpr_private_segment_size 0
		.amdhsa_uses_dynamic_stack 0
		.amdhsa_system_sgpr_private_segment_wavefront_offset 0
		.amdhsa_system_sgpr_workgroup_id_x 1
		.amdhsa_system_sgpr_workgroup_id_y 0
		.amdhsa_system_sgpr_workgroup_id_z 0
		.amdhsa_system_sgpr_workgroup_info 0
		.amdhsa_system_vgpr_workitem_id 0
		.amdhsa_next_free_vgpr 1
		.amdhsa_next_free_sgpr 0
		.amdhsa_accum_offset 4
		.amdhsa_reserve_vcc 0
		.amdhsa_reserve_flat_scratch 0
		.amdhsa_float_round_mode_32 0
		.amdhsa_float_round_mode_16_64 0
		.amdhsa_float_denorm_mode_32 3
		.amdhsa_float_denorm_mode_16_64 3
		.amdhsa_dx10_clamp 1
		.amdhsa_ieee_mode 1
		.amdhsa_fp16_overflow 0
		.amdhsa_tg_split 0
		.amdhsa_exception_fp_ieee_invalid_op 0
		.amdhsa_exception_fp_denorm_src 0
		.amdhsa_exception_fp_ieee_div_zero 0
		.amdhsa_exception_fp_ieee_overflow 0
		.amdhsa_exception_fp_ieee_underflow 0
		.amdhsa_exception_fp_ieee_inexact 0
		.amdhsa_exception_int_div_zero 0
	.end_amdhsa_kernel
	.section	.text._ZN7rocprim17ROCPRIM_400000_NS6detail17trampoline_kernelINS0_14default_configENS1_35radix_sort_onesweep_config_selectorItNS0_10empty_typeEEEZZNS1_29radix_sort_onesweep_iterationIS3_Lb0EPtS8_PS5_S9_mNS0_19identity_decomposerENS1_16block_id_wrapperIjLb1EEEEE10hipError_tT1_PNSt15iterator_traitsISE_E10value_typeET2_T3_PNSF_ISK_E10value_typeET4_T5_PSP_SQ_PNS1_23onesweep_lookback_stateEbbT6_jjT7_P12ihipStream_tbENKUlT_T0_SE_SJ_E_clIS8_S8_S9_S9_EEDaSX_SY_SE_SJ_EUlSX_E_NS1_11comp_targetILNS1_3genE5ELNS1_11target_archE942ELNS1_3gpuE9ELNS1_3repE0EEENS1_47radix_sort_onesweep_sort_config_static_selectorELNS0_4arch9wavefront6targetE1EEEvSE_,"axG",@progbits,_ZN7rocprim17ROCPRIM_400000_NS6detail17trampoline_kernelINS0_14default_configENS1_35radix_sort_onesweep_config_selectorItNS0_10empty_typeEEEZZNS1_29radix_sort_onesweep_iterationIS3_Lb0EPtS8_PS5_S9_mNS0_19identity_decomposerENS1_16block_id_wrapperIjLb1EEEEE10hipError_tT1_PNSt15iterator_traitsISE_E10value_typeET2_T3_PNSF_ISK_E10value_typeET4_T5_PSP_SQ_PNS1_23onesweep_lookback_stateEbbT6_jjT7_P12ihipStream_tbENKUlT_T0_SE_SJ_E_clIS8_S8_S9_S9_EEDaSX_SY_SE_SJ_EUlSX_E_NS1_11comp_targetILNS1_3genE5ELNS1_11target_archE942ELNS1_3gpuE9ELNS1_3repE0EEENS1_47radix_sort_onesweep_sort_config_static_selectorELNS0_4arch9wavefront6targetE1EEEvSE_,comdat
.Lfunc_end542:
	.size	_ZN7rocprim17ROCPRIM_400000_NS6detail17trampoline_kernelINS0_14default_configENS1_35radix_sort_onesweep_config_selectorItNS0_10empty_typeEEEZZNS1_29radix_sort_onesweep_iterationIS3_Lb0EPtS8_PS5_S9_mNS0_19identity_decomposerENS1_16block_id_wrapperIjLb1EEEEE10hipError_tT1_PNSt15iterator_traitsISE_E10value_typeET2_T3_PNSF_ISK_E10value_typeET4_T5_PSP_SQ_PNS1_23onesweep_lookback_stateEbbT6_jjT7_P12ihipStream_tbENKUlT_T0_SE_SJ_E_clIS8_S8_S9_S9_EEDaSX_SY_SE_SJ_EUlSX_E_NS1_11comp_targetILNS1_3genE5ELNS1_11target_archE942ELNS1_3gpuE9ELNS1_3repE0EEENS1_47radix_sort_onesweep_sort_config_static_selectorELNS0_4arch9wavefront6targetE1EEEvSE_, .Lfunc_end542-_ZN7rocprim17ROCPRIM_400000_NS6detail17trampoline_kernelINS0_14default_configENS1_35radix_sort_onesweep_config_selectorItNS0_10empty_typeEEEZZNS1_29radix_sort_onesweep_iterationIS3_Lb0EPtS8_PS5_S9_mNS0_19identity_decomposerENS1_16block_id_wrapperIjLb1EEEEE10hipError_tT1_PNSt15iterator_traitsISE_E10value_typeET2_T3_PNSF_ISK_E10value_typeET4_T5_PSP_SQ_PNS1_23onesweep_lookback_stateEbbT6_jjT7_P12ihipStream_tbENKUlT_T0_SE_SJ_E_clIS8_S8_S9_S9_EEDaSX_SY_SE_SJ_EUlSX_E_NS1_11comp_targetILNS1_3genE5ELNS1_11target_archE942ELNS1_3gpuE9ELNS1_3repE0EEENS1_47radix_sort_onesweep_sort_config_static_selectorELNS0_4arch9wavefront6targetE1EEEvSE_
                                        ; -- End function
	.section	.AMDGPU.csdata,"",@progbits
; Kernel info:
; codeLenInByte = 0
; NumSgprs: 4
; NumVgprs: 0
; NumAgprs: 0
; TotalNumVgprs: 0
; ScratchSize: 0
; MemoryBound: 0
; FloatMode: 240
; IeeeMode: 1
; LDSByteSize: 0 bytes/workgroup (compile time only)
; SGPRBlocks: 0
; VGPRBlocks: 0
; NumSGPRsForWavesPerEU: 4
; NumVGPRsForWavesPerEU: 1
; AccumOffset: 4
; Occupancy: 8
; WaveLimiterHint : 0
; COMPUTE_PGM_RSRC2:SCRATCH_EN: 0
; COMPUTE_PGM_RSRC2:USER_SGPR: 6
; COMPUTE_PGM_RSRC2:TRAP_HANDLER: 0
; COMPUTE_PGM_RSRC2:TGID_X_EN: 1
; COMPUTE_PGM_RSRC2:TGID_Y_EN: 0
; COMPUTE_PGM_RSRC2:TGID_Z_EN: 0
; COMPUTE_PGM_RSRC2:TIDIG_COMP_CNT: 0
; COMPUTE_PGM_RSRC3_GFX90A:ACCUM_OFFSET: 0
; COMPUTE_PGM_RSRC3_GFX90A:TG_SPLIT: 0
	.section	.text._ZN7rocprim17ROCPRIM_400000_NS6detail17trampoline_kernelINS0_14default_configENS1_35radix_sort_onesweep_config_selectorItNS0_10empty_typeEEEZZNS1_29radix_sort_onesweep_iterationIS3_Lb0EPtS8_PS5_S9_mNS0_19identity_decomposerENS1_16block_id_wrapperIjLb1EEEEE10hipError_tT1_PNSt15iterator_traitsISE_E10value_typeET2_T3_PNSF_ISK_E10value_typeET4_T5_PSP_SQ_PNS1_23onesweep_lookback_stateEbbT6_jjT7_P12ihipStream_tbENKUlT_T0_SE_SJ_E_clIS8_S8_S9_S9_EEDaSX_SY_SE_SJ_EUlSX_E_NS1_11comp_targetILNS1_3genE2ELNS1_11target_archE906ELNS1_3gpuE6ELNS1_3repE0EEENS1_47radix_sort_onesweep_sort_config_static_selectorELNS0_4arch9wavefront6targetE1EEEvSE_,"axG",@progbits,_ZN7rocprim17ROCPRIM_400000_NS6detail17trampoline_kernelINS0_14default_configENS1_35radix_sort_onesweep_config_selectorItNS0_10empty_typeEEEZZNS1_29radix_sort_onesweep_iterationIS3_Lb0EPtS8_PS5_S9_mNS0_19identity_decomposerENS1_16block_id_wrapperIjLb1EEEEE10hipError_tT1_PNSt15iterator_traitsISE_E10value_typeET2_T3_PNSF_ISK_E10value_typeET4_T5_PSP_SQ_PNS1_23onesweep_lookback_stateEbbT6_jjT7_P12ihipStream_tbENKUlT_T0_SE_SJ_E_clIS8_S8_S9_S9_EEDaSX_SY_SE_SJ_EUlSX_E_NS1_11comp_targetILNS1_3genE2ELNS1_11target_archE906ELNS1_3gpuE6ELNS1_3repE0EEENS1_47radix_sort_onesweep_sort_config_static_selectorELNS0_4arch9wavefront6targetE1EEEvSE_,comdat
	.protected	_ZN7rocprim17ROCPRIM_400000_NS6detail17trampoline_kernelINS0_14default_configENS1_35radix_sort_onesweep_config_selectorItNS0_10empty_typeEEEZZNS1_29radix_sort_onesweep_iterationIS3_Lb0EPtS8_PS5_S9_mNS0_19identity_decomposerENS1_16block_id_wrapperIjLb1EEEEE10hipError_tT1_PNSt15iterator_traitsISE_E10value_typeET2_T3_PNSF_ISK_E10value_typeET4_T5_PSP_SQ_PNS1_23onesweep_lookback_stateEbbT6_jjT7_P12ihipStream_tbENKUlT_T0_SE_SJ_E_clIS8_S8_S9_S9_EEDaSX_SY_SE_SJ_EUlSX_E_NS1_11comp_targetILNS1_3genE2ELNS1_11target_archE906ELNS1_3gpuE6ELNS1_3repE0EEENS1_47radix_sort_onesweep_sort_config_static_selectorELNS0_4arch9wavefront6targetE1EEEvSE_ ; -- Begin function _ZN7rocprim17ROCPRIM_400000_NS6detail17trampoline_kernelINS0_14default_configENS1_35radix_sort_onesweep_config_selectorItNS0_10empty_typeEEEZZNS1_29radix_sort_onesweep_iterationIS3_Lb0EPtS8_PS5_S9_mNS0_19identity_decomposerENS1_16block_id_wrapperIjLb1EEEEE10hipError_tT1_PNSt15iterator_traitsISE_E10value_typeET2_T3_PNSF_ISK_E10value_typeET4_T5_PSP_SQ_PNS1_23onesweep_lookback_stateEbbT6_jjT7_P12ihipStream_tbENKUlT_T0_SE_SJ_E_clIS8_S8_S9_S9_EEDaSX_SY_SE_SJ_EUlSX_E_NS1_11comp_targetILNS1_3genE2ELNS1_11target_archE906ELNS1_3gpuE6ELNS1_3repE0EEENS1_47radix_sort_onesweep_sort_config_static_selectorELNS0_4arch9wavefront6targetE1EEEvSE_
	.globl	_ZN7rocprim17ROCPRIM_400000_NS6detail17trampoline_kernelINS0_14default_configENS1_35radix_sort_onesweep_config_selectorItNS0_10empty_typeEEEZZNS1_29radix_sort_onesweep_iterationIS3_Lb0EPtS8_PS5_S9_mNS0_19identity_decomposerENS1_16block_id_wrapperIjLb1EEEEE10hipError_tT1_PNSt15iterator_traitsISE_E10value_typeET2_T3_PNSF_ISK_E10value_typeET4_T5_PSP_SQ_PNS1_23onesweep_lookback_stateEbbT6_jjT7_P12ihipStream_tbENKUlT_T0_SE_SJ_E_clIS8_S8_S9_S9_EEDaSX_SY_SE_SJ_EUlSX_E_NS1_11comp_targetILNS1_3genE2ELNS1_11target_archE906ELNS1_3gpuE6ELNS1_3repE0EEENS1_47radix_sort_onesweep_sort_config_static_selectorELNS0_4arch9wavefront6targetE1EEEvSE_
	.p2align	8
	.type	_ZN7rocprim17ROCPRIM_400000_NS6detail17trampoline_kernelINS0_14default_configENS1_35radix_sort_onesweep_config_selectorItNS0_10empty_typeEEEZZNS1_29radix_sort_onesweep_iterationIS3_Lb0EPtS8_PS5_S9_mNS0_19identity_decomposerENS1_16block_id_wrapperIjLb1EEEEE10hipError_tT1_PNSt15iterator_traitsISE_E10value_typeET2_T3_PNSF_ISK_E10value_typeET4_T5_PSP_SQ_PNS1_23onesweep_lookback_stateEbbT6_jjT7_P12ihipStream_tbENKUlT_T0_SE_SJ_E_clIS8_S8_S9_S9_EEDaSX_SY_SE_SJ_EUlSX_E_NS1_11comp_targetILNS1_3genE2ELNS1_11target_archE906ELNS1_3gpuE6ELNS1_3repE0EEENS1_47radix_sort_onesweep_sort_config_static_selectorELNS0_4arch9wavefront6targetE1EEEvSE_,@function
_ZN7rocprim17ROCPRIM_400000_NS6detail17trampoline_kernelINS0_14default_configENS1_35radix_sort_onesweep_config_selectorItNS0_10empty_typeEEEZZNS1_29radix_sort_onesweep_iterationIS3_Lb0EPtS8_PS5_S9_mNS0_19identity_decomposerENS1_16block_id_wrapperIjLb1EEEEE10hipError_tT1_PNSt15iterator_traitsISE_E10value_typeET2_T3_PNSF_ISK_E10value_typeET4_T5_PSP_SQ_PNS1_23onesweep_lookback_stateEbbT6_jjT7_P12ihipStream_tbENKUlT_T0_SE_SJ_E_clIS8_S8_S9_S9_EEDaSX_SY_SE_SJ_EUlSX_E_NS1_11comp_targetILNS1_3genE2ELNS1_11target_archE906ELNS1_3gpuE6ELNS1_3repE0EEENS1_47radix_sort_onesweep_sort_config_static_selectorELNS0_4arch9wavefront6targetE1EEEvSE_: ; @_ZN7rocprim17ROCPRIM_400000_NS6detail17trampoline_kernelINS0_14default_configENS1_35radix_sort_onesweep_config_selectorItNS0_10empty_typeEEEZZNS1_29radix_sort_onesweep_iterationIS3_Lb0EPtS8_PS5_S9_mNS0_19identity_decomposerENS1_16block_id_wrapperIjLb1EEEEE10hipError_tT1_PNSt15iterator_traitsISE_E10value_typeET2_T3_PNSF_ISK_E10value_typeET4_T5_PSP_SQ_PNS1_23onesweep_lookback_stateEbbT6_jjT7_P12ihipStream_tbENKUlT_T0_SE_SJ_E_clIS8_S8_S9_S9_EEDaSX_SY_SE_SJ_EUlSX_E_NS1_11comp_targetILNS1_3genE2ELNS1_11target_archE906ELNS1_3gpuE6ELNS1_3repE0EEENS1_47radix_sort_onesweep_sort_config_static_selectorELNS0_4arch9wavefront6targetE1EEEvSE_
; %bb.0:
	.section	.rodata,"a",@progbits
	.p2align	6, 0x0
	.amdhsa_kernel _ZN7rocprim17ROCPRIM_400000_NS6detail17trampoline_kernelINS0_14default_configENS1_35radix_sort_onesweep_config_selectorItNS0_10empty_typeEEEZZNS1_29radix_sort_onesweep_iterationIS3_Lb0EPtS8_PS5_S9_mNS0_19identity_decomposerENS1_16block_id_wrapperIjLb1EEEEE10hipError_tT1_PNSt15iterator_traitsISE_E10value_typeET2_T3_PNSF_ISK_E10value_typeET4_T5_PSP_SQ_PNS1_23onesweep_lookback_stateEbbT6_jjT7_P12ihipStream_tbENKUlT_T0_SE_SJ_E_clIS8_S8_S9_S9_EEDaSX_SY_SE_SJ_EUlSX_E_NS1_11comp_targetILNS1_3genE2ELNS1_11target_archE906ELNS1_3gpuE6ELNS1_3repE0EEENS1_47radix_sort_onesweep_sort_config_static_selectorELNS0_4arch9wavefront6targetE1EEEvSE_
		.amdhsa_group_segment_fixed_size 0
		.amdhsa_private_segment_fixed_size 0
		.amdhsa_kernarg_size 88
		.amdhsa_user_sgpr_count 6
		.amdhsa_user_sgpr_private_segment_buffer 1
		.amdhsa_user_sgpr_dispatch_ptr 0
		.amdhsa_user_sgpr_queue_ptr 0
		.amdhsa_user_sgpr_kernarg_segment_ptr 1
		.amdhsa_user_sgpr_dispatch_id 0
		.amdhsa_user_sgpr_flat_scratch_init 0
		.amdhsa_user_sgpr_kernarg_preload_length 0
		.amdhsa_user_sgpr_kernarg_preload_offset 0
		.amdhsa_user_sgpr_private_segment_size 0
		.amdhsa_uses_dynamic_stack 0
		.amdhsa_system_sgpr_private_segment_wavefront_offset 0
		.amdhsa_system_sgpr_workgroup_id_x 1
		.amdhsa_system_sgpr_workgroup_id_y 0
		.amdhsa_system_sgpr_workgroup_id_z 0
		.amdhsa_system_sgpr_workgroup_info 0
		.amdhsa_system_vgpr_workitem_id 0
		.amdhsa_next_free_vgpr 1
		.amdhsa_next_free_sgpr 0
		.amdhsa_accum_offset 4
		.amdhsa_reserve_vcc 0
		.amdhsa_reserve_flat_scratch 0
		.amdhsa_float_round_mode_32 0
		.amdhsa_float_round_mode_16_64 0
		.amdhsa_float_denorm_mode_32 3
		.amdhsa_float_denorm_mode_16_64 3
		.amdhsa_dx10_clamp 1
		.amdhsa_ieee_mode 1
		.amdhsa_fp16_overflow 0
		.amdhsa_tg_split 0
		.amdhsa_exception_fp_ieee_invalid_op 0
		.amdhsa_exception_fp_denorm_src 0
		.amdhsa_exception_fp_ieee_div_zero 0
		.amdhsa_exception_fp_ieee_overflow 0
		.amdhsa_exception_fp_ieee_underflow 0
		.amdhsa_exception_fp_ieee_inexact 0
		.amdhsa_exception_int_div_zero 0
	.end_amdhsa_kernel
	.section	.text._ZN7rocprim17ROCPRIM_400000_NS6detail17trampoline_kernelINS0_14default_configENS1_35radix_sort_onesweep_config_selectorItNS0_10empty_typeEEEZZNS1_29radix_sort_onesweep_iterationIS3_Lb0EPtS8_PS5_S9_mNS0_19identity_decomposerENS1_16block_id_wrapperIjLb1EEEEE10hipError_tT1_PNSt15iterator_traitsISE_E10value_typeET2_T3_PNSF_ISK_E10value_typeET4_T5_PSP_SQ_PNS1_23onesweep_lookback_stateEbbT6_jjT7_P12ihipStream_tbENKUlT_T0_SE_SJ_E_clIS8_S8_S9_S9_EEDaSX_SY_SE_SJ_EUlSX_E_NS1_11comp_targetILNS1_3genE2ELNS1_11target_archE906ELNS1_3gpuE6ELNS1_3repE0EEENS1_47radix_sort_onesweep_sort_config_static_selectorELNS0_4arch9wavefront6targetE1EEEvSE_,"axG",@progbits,_ZN7rocprim17ROCPRIM_400000_NS6detail17trampoline_kernelINS0_14default_configENS1_35radix_sort_onesweep_config_selectorItNS0_10empty_typeEEEZZNS1_29radix_sort_onesweep_iterationIS3_Lb0EPtS8_PS5_S9_mNS0_19identity_decomposerENS1_16block_id_wrapperIjLb1EEEEE10hipError_tT1_PNSt15iterator_traitsISE_E10value_typeET2_T3_PNSF_ISK_E10value_typeET4_T5_PSP_SQ_PNS1_23onesweep_lookback_stateEbbT6_jjT7_P12ihipStream_tbENKUlT_T0_SE_SJ_E_clIS8_S8_S9_S9_EEDaSX_SY_SE_SJ_EUlSX_E_NS1_11comp_targetILNS1_3genE2ELNS1_11target_archE906ELNS1_3gpuE6ELNS1_3repE0EEENS1_47radix_sort_onesweep_sort_config_static_selectorELNS0_4arch9wavefront6targetE1EEEvSE_,comdat
.Lfunc_end543:
	.size	_ZN7rocprim17ROCPRIM_400000_NS6detail17trampoline_kernelINS0_14default_configENS1_35radix_sort_onesweep_config_selectorItNS0_10empty_typeEEEZZNS1_29radix_sort_onesweep_iterationIS3_Lb0EPtS8_PS5_S9_mNS0_19identity_decomposerENS1_16block_id_wrapperIjLb1EEEEE10hipError_tT1_PNSt15iterator_traitsISE_E10value_typeET2_T3_PNSF_ISK_E10value_typeET4_T5_PSP_SQ_PNS1_23onesweep_lookback_stateEbbT6_jjT7_P12ihipStream_tbENKUlT_T0_SE_SJ_E_clIS8_S8_S9_S9_EEDaSX_SY_SE_SJ_EUlSX_E_NS1_11comp_targetILNS1_3genE2ELNS1_11target_archE906ELNS1_3gpuE6ELNS1_3repE0EEENS1_47radix_sort_onesweep_sort_config_static_selectorELNS0_4arch9wavefront6targetE1EEEvSE_, .Lfunc_end543-_ZN7rocprim17ROCPRIM_400000_NS6detail17trampoline_kernelINS0_14default_configENS1_35radix_sort_onesweep_config_selectorItNS0_10empty_typeEEEZZNS1_29radix_sort_onesweep_iterationIS3_Lb0EPtS8_PS5_S9_mNS0_19identity_decomposerENS1_16block_id_wrapperIjLb1EEEEE10hipError_tT1_PNSt15iterator_traitsISE_E10value_typeET2_T3_PNSF_ISK_E10value_typeET4_T5_PSP_SQ_PNS1_23onesweep_lookback_stateEbbT6_jjT7_P12ihipStream_tbENKUlT_T0_SE_SJ_E_clIS8_S8_S9_S9_EEDaSX_SY_SE_SJ_EUlSX_E_NS1_11comp_targetILNS1_3genE2ELNS1_11target_archE906ELNS1_3gpuE6ELNS1_3repE0EEENS1_47radix_sort_onesweep_sort_config_static_selectorELNS0_4arch9wavefront6targetE1EEEvSE_
                                        ; -- End function
	.section	.AMDGPU.csdata,"",@progbits
; Kernel info:
; codeLenInByte = 0
; NumSgprs: 4
; NumVgprs: 0
; NumAgprs: 0
; TotalNumVgprs: 0
; ScratchSize: 0
; MemoryBound: 0
; FloatMode: 240
; IeeeMode: 1
; LDSByteSize: 0 bytes/workgroup (compile time only)
; SGPRBlocks: 0
; VGPRBlocks: 0
; NumSGPRsForWavesPerEU: 4
; NumVGPRsForWavesPerEU: 1
; AccumOffset: 4
; Occupancy: 8
; WaveLimiterHint : 0
; COMPUTE_PGM_RSRC2:SCRATCH_EN: 0
; COMPUTE_PGM_RSRC2:USER_SGPR: 6
; COMPUTE_PGM_RSRC2:TRAP_HANDLER: 0
; COMPUTE_PGM_RSRC2:TGID_X_EN: 1
; COMPUTE_PGM_RSRC2:TGID_Y_EN: 0
; COMPUTE_PGM_RSRC2:TGID_Z_EN: 0
; COMPUTE_PGM_RSRC2:TIDIG_COMP_CNT: 0
; COMPUTE_PGM_RSRC3_GFX90A:ACCUM_OFFSET: 0
; COMPUTE_PGM_RSRC3_GFX90A:TG_SPLIT: 0
	.section	.text._ZN7rocprim17ROCPRIM_400000_NS6detail17trampoline_kernelINS0_14default_configENS1_35radix_sort_onesweep_config_selectorItNS0_10empty_typeEEEZZNS1_29radix_sort_onesweep_iterationIS3_Lb0EPtS8_PS5_S9_mNS0_19identity_decomposerENS1_16block_id_wrapperIjLb1EEEEE10hipError_tT1_PNSt15iterator_traitsISE_E10value_typeET2_T3_PNSF_ISK_E10value_typeET4_T5_PSP_SQ_PNS1_23onesweep_lookback_stateEbbT6_jjT7_P12ihipStream_tbENKUlT_T0_SE_SJ_E_clIS8_S8_S9_S9_EEDaSX_SY_SE_SJ_EUlSX_E_NS1_11comp_targetILNS1_3genE4ELNS1_11target_archE910ELNS1_3gpuE8ELNS1_3repE0EEENS1_47radix_sort_onesweep_sort_config_static_selectorELNS0_4arch9wavefront6targetE1EEEvSE_,"axG",@progbits,_ZN7rocprim17ROCPRIM_400000_NS6detail17trampoline_kernelINS0_14default_configENS1_35radix_sort_onesweep_config_selectorItNS0_10empty_typeEEEZZNS1_29radix_sort_onesweep_iterationIS3_Lb0EPtS8_PS5_S9_mNS0_19identity_decomposerENS1_16block_id_wrapperIjLb1EEEEE10hipError_tT1_PNSt15iterator_traitsISE_E10value_typeET2_T3_PNSF_ISK_E10value_typeET4_T5_PSP_SQ_PNS1_23onesweep_lookback_stateEbbT6_jjT7_P12ihipStream_tbENKUlT_T0_SE_SJ_E_clIS8_S8_S9_S9_EEDaSX_SY_SE_SJ_EUlSX_E_NS1_11comp_targetILNS1_3genE4ELNS1_11target_archE910ELNS1_3gpuE8ELNS1_3repE0EEENS1_47radix_sort_onesweep_sort_config_static_selectorELNS0_4arch9wavefront6targetE1EEEvSE_,comdat
	.protected	_ZN7rocprim17ROCPRIM_400000_NS6detail17trampoline_kernelINS0_14default_configENS1_35radix_sort_onesweep_config_selectorItNS0_10empty_typeEEEZZNS1_29radix_sort_onesweep_iterationIS3_Lb0EPtS8_PS5_S9_mNS0_19identity_decomposerENS1_16block_id_wrapperIjLb1EEEEE10hipError_tT1_PNSt15iterator_traitsISE_E10value_typeET2_T3_PNSF_ISK_E10value_typeET4_T5_PSP_SQ_PNS1_23onesweep_lookback_stateEbbT6_jjT7_P12ihipStream_tbENKUlT_T0_SE_SJ_E_clIS8_S8_S9_S9_EEDaSX_SY_SE_SJ_EUlSX_E_NS1_11comp_targetILNS1_3genE4ELNS1_11target_archE910ELNS1_3gpuE8ELNS1_3repE0EEENS1_47radix_sort_onesweep_sort_config_static_selectorELNS0_4arch9wavefront6targetE1EEEvSE_ ; -- Begin function _ZN7rocprim17ROCPRIM_400000_NS6detail17trampoline_kernelINS0_14default_configENS1_35radix_sort_onesweep_config_selectorItNS0_10empty_typeEEEZZNS1_29radix_sort_onesweep_iterationIS3_Lb0EPtS8_PS5_S9_mNS0_19identity_decomposerENS1_16block_id_wrapperIjLb1EEEEE10hipError_tT1_PNSt15iterator_traitsISE_E10value_typeET2_T3_PNSF_ISK_E10value_typeET4_T5_PSP_SQ_PNS1_23onesweep_lookback_stateEbbT6_jjT7_P12ihipStream_tbENKUlT_T0_SE_SJ_E_clIS8_S8_S9_S9_EEDaSX_SY_SE_SJ_EUlSX_E_NS1_11comp_targetILNS1_3genE4ELNS1_11target_archE910ELNS1_3gpuE8ELNS1_3repE0EEENS1_47radix_sort_onesweep_sort_config_static_selectorELNS0_4arch9wavefront6targetE1EEEvSE_
	.globl	_ZN7rocprim17ROCPRIM_400000_NS6detail17trampoline_kernelINS0_14default_configENS1_35radix_sort_onesweep_config_selectorItNS0_10empty_typeEEEZZNS1_29radix_sort_onesweep_iterationIS3_Lb0EPtS8_PS5_S9_mNS0_19identity_decomposerENS1_16block_id_wrapperIjLb1EEEEE10hipError_tT1_PNSt15iterator_traitsISE_E10value_typeET2_T3_PNSF_ISK_E10value_typeET4_T5_PSP_SQ_PNS1_23onesweep_lookback_stateEbbT6_jjT7_P12ihipStream_tbENKUlT_T0_SE_SJ_E_clIS8_S8_S9_S9_EEDaSX_SY_SE_SJ_EUlSX_E_NS1_11comp_targetILNS1_3genE4ELNS1_11target_archE910ELNS1_3gpuE8ELNS1_3repE0EEENS1_47radix_sort_onesweep_sort_config_static_selectorELNS0_4arch9wavefront6targetE1EEEvSE_
	.p2align	8
	.type	_ZN7rocprim17ROCPRIM_400000_NS6detail17trampoline_kernelINS0_14default_configENS1_35radix_sort_onesweep_config_selectorItNS0_10empty_typeEEEZZNS1_29radix_sort_onesweep_iterationIS3_Lb0EPtS8_PS5_S9_mNS0_19identity_decomposerENS1_16block_id_wrapperIjLb1EEEEE10hipError_tT1_PNSt15iterator_traitsISE_E10value_typeET2_T3_PNSF_ISK_E10value_typeET4_T5_PSP_SQ_PNS1_23onesweep_lookback_stateEbbT6_jjT7_P12ihipStream_tbENKUlT_T0_SE_SJ_E_clIS8_S8_S9_S9_EEDaSX_SY_SE_SJ_EUlSX_E_NS1_11comp_targetILNS1_3genE4ELNS1_11target_archE910ELNS1_3gpuE8ELNS1_3repE0EEENS1_47radix_sort_onesweep_sort_config_static_selectorELNS0_4arch9wavefront6targetE1EEEvSE_,@function
_ZN7rocprim17ROCPRIM_400000_NS6detail17trampoline_kernelINS0_14default_configENS1_35radix_sort_onesweep_config_selectorItNS0_10empty_typeEEEZZNS1_29radix_sort_onesweep_iterationIS3_Lb0EPtS8_PS5_S9_mNS0_19identity_decomposerENS1_16block_id_wrapperIjLb1EEEEE10hipError_tT1_PNSt15iterator_traitsISE_E10value_typeET2_T3_PNSF_ISK_E10value_typeET4_T5_PSP_SQ_PNS1_23onesweep_lookback_stateEbbT6_jjT7_P12ihipStream_tbENKUlT_T0_SE_SJ_E_clIS8_S8_S9_S9_EEDaSX_SY_SE_SJ_EUlSX_E_NS1_11comp_targetILNS1_3genE4ELNS1_11target_archE910ELNS1_3gpuE8ELNS1_3repE0EEENS1_47radix_sort_onesweep_sort_config_static_selectorELNS0_4arch9wavefront6targetE1EEEvSE_: ; @_ZN7rocprim17ROCPRIM_400000_NS6detail17trampoline_kernelINS0_14default_configENS1_35radix_sort_onesweep_config_selectorItNS0_10empty_typeEEEZZNS1_29radix_sort_onesweep_iterationIS3_Lb0EPtS8_PS5_S9_mNS0_19identity_decomposerENS1_16block_id_wrapperIjLb1EEEEE10hipError_tT1_PNSt15iterator_traitsISE_E10value_typeET2_T3_PNSF_ISK_E10value_typeET4_T5_PSP_SQ_PNS1_23onesweep_lookback_stateEbbT6_jjT7_P12ihipStream_tbENKUlT_T0_SE_SJ_E_clIS8_S8_S9_S9_EEDaSX_SY_SE_SJ_EUlSX_E_NS1_11comp_targetILNS1_3genE4ELNS1_11target_archE910ELNS1_3gpuE8ELNS1_3repE0EEENS1_47radix_sort_onesweep_sort_config_static_selectorELNS0_4arch9wavefront6targetE1EEEvSE_
; %bb.0:
	s_load_dwordx4 s[16:19], s[4:5], 0x28
	s_load_dwordx2 s[14:15], s[4:5], 0x38
	s_load_dwordx4 s[20:23], s[4:5], 0x44
	v_and_b32_e32 v2, 0x3ff, v0
	v_cmp_eq_u32_e64 s[0:1], 0, v2
	s_and_saveexec_b64 s[2:3], s[0:1]
	s_cbranch_execz .LBB544_4
; %bb.1:
	s_mov_b64 s[10:11], exec
	v_mbcnt_lo_u32_b32 v1, s10, 0
	v_mbcnt_hi_u32_b32 v1, s11, v1
	v_cmp_eq_u32_e32 vcc, 0, v1
                                        ; implicit-def: $vgpr3
	s_and_saveexec_b64 s[8:9], vcc
	s_cbranch_execz .LBB544_3
; %bb.2:
	s_load_dwordx2 s[12:13], s[4:5], 0x50
	s_bcnt1_i32_b64 s7, s[10:11]
	v_mov_b32_e32 v3, 0
	v_mov_b32_e32 v4, s7
	s_waitcnt lgkmcnt(0)
	global_atomic_add v3, v3, v4, s[12:13] glc
.LBB544_3:
	s_or_b64 exec, exec, s[8:9]
	s_waitcnt vmcnt(0)
	v_readfirstlane_b32 s7, v3
	v_add_u32_e32 v1, s7, v1
	v_mov_b32_e32 v3, 0
	ds_write_b32 v3, v1 offset:26624
.LBB544_4:
	s_or_b64 exec, exec, s[2:3]
	v_mov_b32_e32 v1, 0
	s_load_dwordx4 s[24:27], s[4:5], 0x0
	s_load_dword s2, s[4:5], 0x20
	s_waitcnt lgkmcnt(0)
	s_barrier
	ds_read_b32 v1, v1 offset:26624
	s_waitcnt lgkmcnt(0)
	s_barrier
	v_readfirstlane_b32 s30, v1
	v_cmp_le_u32_e32 vcc, s22, v1
	s_mul_i32 s28, s30, 0x3000
	v_mbcnt_lo_u32_b32 v1, -1, 0
	s_cbranch_vccz .LBB544_100
; %bb.5:
	s_mul_i32 s7, s22, 0xffffd000
	s_mov_b32 s29, 0
	s_add_i32 s7, s7, s2
	s_lshl_b64 s[2:3], s[28:29], 1
	v_mbcnt_hi_u32_b32 v13, -1, v1
	s_add_u32 s2, s24, s2
	v_and_b32_e32 v3, 63, v13
	v_and_b32_e32 v4, 0x3c0, v2
	s_addc_u32 s3, s25, s3
	v_mul_u32_u24_e32 v6, 12, v4
	v_lshlrev_b32_e32 v4, 1, v3
	v_mov_b32_e32 v5, s3
	v_add_co_u32_e32 v4, vcc, s2, v4
	v_addc_co_u32_e32 v5, vcc, 0, v5, vcc
	v_lshlrev_b32_e32 v7, 1, v6
	v_add_co_u32_e32 v4, vcc, v4, v7
	v_addc_co_u32_e32 v5, vcc, 0, v5, vcc
	v_or_b32_e32 v6, v3, v6
	v_cmp_gt_u32_e32 vcc, s7, v6
	v_mov_b32_e32 v3, -1
	v_mov_b32_e32 v8, -1
	s_and_saveexec_b64 s[2:3], vcc
	s_cbranch_execz .LBB544_7
; %bb.6:
	global_load_ushort v8, v[4:5], off
.LBB544_7:
	s_or_b64 exec, exec, s[2:3]
	v_or_b32_e32 v7, 64, v6
	v_cmp_gt_u32_e32 vcc, s7, v7
	s_and_saveexec_b64 s[2:3], vcc
	s_cbranch_execz .LBB544_9
; %bb.8:
	global_load_ushort v3, v[4:5], off offset:128
.LBB544_9:
	s_or_b64 exec, exec, s[2:3]
	v_or_b32_e32 v7, 0x80, v6
	v_cmp_gt_u32_e32 vcc, s7, v7
	v_mov_b32_e32 v9, -1
	v_mov_b32_e32 v10, -1
	s_and_saveexec_b64 s[2:3], vcc
	s_cbranch_execz .LBB544_11
; %bb.10:
	global_load_ushort v10, v[4:5], off offset:256
.LBB544_11:
	s_or_b64 exec, exec, s[2:3]
	v_or_b32_e32 v7, 0xc0, v6
	v_cmp_gt_u32_e32 vcc, s7, v7
	s_and_saveexec_b64 s[2:3], vcc
	s_cbranch_execz .LBB544_13
; %bb.12:
	global_load_ushort v9, v[4:5], off offset:384
.LBB544_13:
	s_or_b64 exec, exec, s[2:3]
	v_add_u32_e32 v7, 0x100, v6
	v_cmp_gt_u32_e32 vcc, s7, v7
	v_mov_b32_e32 v11, -1
	v_mov_b32_e32 v12, -1
	s_and_saveexec_b64 s[2:3], vcc
	s_cbranch_execz .LBB544_15
; %bb.14:
	global_load_ushort v12, v[4:5], off offset:512
.LBB544_15:
	s_or_b64 exec, exec, s[2:3]
	v_add_u32_e32 v7, 0x140, v6
	v_cmp_gt_u32_e32 vcc, s7, v7
	s_and_saveexec_b64 s[2:3], vcc
	s_cbranch_execz .LBB544_17
; %bb.16:
	global_load_ushort v11, v[4:5], off offset:640
.LBB544_17:
	s_or_b64 exec, exec, s[2:3]
	v_add_u32_e32 v7, 0x180, v6
	v_cmp_gt_u32_e32 vcc, s7, v7
	v_mov_b32_e32 v14, -1
	v_mov_b32_e32 v15, -1
	s_and_saveexec_b64 s[2:3], vcc
	s_cbranch_execz .LBB544_19
; %bb.18:
	global_load_ushort v15, v[4:5], off offset:768
.LBB544_19:
	s_or_b64 exec, exec, s[2:3]
	v_add_u32_e32 v7, 0x1c0, v6
	;; [unrolled: 18-line block ×4, first 2 shown]
	v_cmp_gt_u32_e32 vcc, s7, v6
	s_and_saveexec_b64 s[2:3], vcc
	s_cbranch_execz .LBB544_29
; %bb.28:
	global_load_ushort v18, v[4:5], off offset:1408
.LBB544_29:
	s_or_b64 exec, exec, s[2:3]
	s_load_dword s2, s[4:5], 0x64
	s_load_dword s29, s[4:5], 0x58
	s_add_u32 s3, s4, 0x58
	s_addc_u32 s8, s5, 0
	v_mov_b32_e32 v4, 0
	s_waitcnt lgkmcnt(0)
	s_lshr_b32 s9, s2, 16
	s_cmp_lt_u32 s6, s29
	s_cselect_b32 s2, 12, 18
	s_add_u32 s2, s3, s2
	s_addc_u32 s3, s8, 0
	global_load_ushort v6, v4, s[2:3]
	s_lshl_b32 s2, -1, s21
	s_waitcnt vmcnt(1)
	v_lshrrev_b32_sdwa v21, s20, v8 dst_sel:DWORD dst_unused:UNUSED_PAD src0_sel:DWORD src1_sel:WORD_0
	s_not_b32 s31, s2
	v_and_b32_e32 v21, s31, v21
	v_and_b32_e32 v23, 1, v21
	v_bfe_u32 v5, v0, 10, 10
	v_bfe_u32 v7, v0, 20, 10
	v_add_co_u32_e32 v24, vcc, -1, v23
	v_mad_u32_u24 v7, v7, s9, v5
	v_lshlrev_b32_e32 v5, 30, v21
	v_addc_co_u32_e64 v25, s[2:3], 0, -1, vcc
	v_cmp_ne_u32_e32 vcc, 0, v23
	v_cmp_gt_i64_e64 s[2:3], 0, v[4:5]
	v_not_b32_e32 v23, v5
	v_lshlrev_b32_e32 v5, 29, v21
	v_xor_b32_e32 v25, vcc_hi, v25
	v_xor_b32_e32 v24, vcc_lo, v24
	v_ashrrev_i32_e32 v23, 31, v23
	v_cmp_gt_i64_e32 vcc, 0, v[4:5]
	v_not_b32_e32 v26, v5
	v_lshlrev_b32_e32 v5, 28, v21
	v_and_b32_e32 v25, exec_hi, v25
	v_and_b32_e32 v24, exec_lo, v24
	v_xor_b32_e32 v27, s3, v23
	v_xor_b32_e32 v23, s2, v23
	v_ashrrev_i32_e32 v26, 31, v26
	v_cmp_gt_i64_e64 s[2:3], 0, v[4:5]
	v_not_b32_e32 v28, v5
	v_lshlrev_b32_e32 v5, 27, v21
	v_and_b32_e32 v25, v25, v27
	v_and_b32_e32 v23, v24, v23
	v_xor_b32_e32 v24, vcc_hi, v26
	v_xor_b32_e32 v26, vcc_lo, v26
	v_ashrrev_i32_e32 v27, 31, v28
	v_cmp_gt_i64_e32 vcc, 0, v[4:5]
	v_not_b32_e32 v28, v5
	v_lshlrev_b32_e32 v5, 26, v21
	v_and_b32_e32 v24, v25, v24
	v_and_b32_e32 v23, v23, v26
	v_xor_b32_e32 v25, s3, v27
	v_xor_b32_e32 v26, s2, v27
	v_ashrrev_i32_e32 v27, 31, v28
	v_cmp_gt_i64_e64 s[2:3], 0, v[4:5]
	v_not_b32_e32 v28, v5
	v_lshlrev_b32_e32 v5, 25, v21
	v_and_b32_e32 v24, v24, v25
	v_and_b32_e32 v23, v23, v26
	v_xor_b32_e32 v25, vcc_hi, v27
	v_xor_b32_e32 v26, vcc_lo, v27
	v_ashrrev_i32_e32 v27, 31, v28
	v_cmp_gt_i64_e32 vcc, 0, v[4:5]
	v_not_b32_e32 v28, v5
	v_lshlrev_b32_e32 v5, 24, v21
	v_mul_u32_u24_e32 v22, 17, v21
	v_and_b32_e32 v21, v24, v25
	v_and_b32_e32 v23, v23, v26
	v_xor_b32_e32 v24, s3, v27
	v_xor_b32_e32 v25, s2, v27
	v_ashrrev_i32_e32 v26, 31, v28
	v_cmp_gt_i64_e64 s[2:3], 0, v[4:5]
	v_not_b32_e32 v5, v5
	v_and_b32_e32 v21, v21, v24
	v_and_b32_e32 v23, v23, v25
	v_xor_b32_e32 v24, vcc_hi, v26
	v_xor_b32_e32 v25, vcc_lo, v26
	v_ashrrev_i32_e32 v5, 31, v5
	v_and_b32_e32 v21, v21, v24
	v_and_b32_e32 v24, v23, v25
	v_mul_u32_u24_e32 v20, 5, v2
	v_lshlrev_b32_e32 v20, 2, v20
	ds_write2_b32 v20, v4, v4 offset0:16 offset1:17
	ds_write2_b32 v20, v4, v4 offset0:18 offset1:19
	ds_write_b32 v20, v4 offset:80
	s_waitcnt lgkmcnt(0)
	s_barrier
	s_waitcnt lgkmcnt(0)
	; wave barrier
	s_waitcnt vmcnt(0)
	v_mad_u64_u32 v[6:7], s[8:9], v7, v6, v[2:3]
	v_lshrrev_b32_e32 v30, 6, v6
	v_xor_b32_e32 v6, s3, v5
	v_xor_b32_e32 v5, s2, v5
	v_and_b32_e32 v7, v21, v6
	v_and_b32_e32 v6, v24, v5
	v_mbcnt_lo_u32_b32 v5, v6, 0
	v_mbcnt_hi_u32_b32 v21, v7, v5
	v_cmp_eq_u32_e32 vcc, 0, v21
	v_cmp_ne_u64_e64 s[2:3], 0, v[6:7]
	v_add_lshl_u32 v23, v30, v22, 2
	s_and_b64 s[8:9], s[2:3], vcc
	s_and_saveexec_b64 s[2:3], s[8:9]
	s_cbranch_execz .LBB544_31
; %bb.30:
	v_bcnt_u32_b32 v5, v6, 0
	v_bcnt_u32_b32 v5, v7, v5
	ds_write_b32 v23, v5 offset:64
.LBB544_31:
	s_or_b64 exec, exec, s[2:3]
	v_lshrrev_b32_sdwa v5, s20, v3 dst_sel:DWORD dst_unused:UNUSED_PAD src0_sel:DWORD src1_sel:WORD_0
	v_and_b32_e32 v6, s31, v5
	v_mul_u32_u24_e32 v5, 17, v6
	v_add_lshl_u32 v24, v30, v5, 2
	v_and_b32_e32 v5, 1, v6
	v_add_co_u32_e32 v7, vcc, -1, v5
	v_addc_co_u32_e64 v25, s[2:3], 0, -1, vcc
	v_cmp_ne_u32_e32 vcc, 0, v5
	v_xor_b32_e32 v5, vcc_hi, v25
	v_and_b32_e32 v25, exec_hi, v5
	v_lshlrev_b32_e32 v5, 30, v6
	v_xor_b32_e32 v7, vcc_lo, v7
	v_cmp_gt_i64_e32 vcc, 0, v[4:5]
	v_not_b32_e32 v5, v5
	v_ashrrev_i32_e32 v5, 31, v5
	v_and_b32_e32 v7, exec_lo, v7
	v_xor_b32_e32 v26, vcc_hi, v5
	v_xor_b32_e32 v5, vcc_lo, v5
	v_and_b32_e32 v7, v7, v5
	v_lshlrev_b32_e32 v5, 29, v6
	v_cmp_gt_i64_e32 vcc, 0, v[4:5]
	v_not_b32_e32 v5, v5
	v_ashrrev_i32_e32 v5, 31, v5
	v_and_b32_e32 v25, v25, v26
	v_xor_b32_e32 v26, vcc_hi, v5
	v_xor_b32_e32 v5, vcc_lo, v5
	v_and_b32_e32 v7, v7, v5
	v_lshlrev_b32_e32 v5, 28, v6
	v_cmp_gt_i64_e32 vcc, 0, v[4:5]
	v_not_b32_e32 v5, v5
	v_ashrrev_i32_e32 v5, 31, v5
	v_and_b32_e32 v25, v25, v26
	;; [unrolled: 8-line block ×5, first 2 shown]
	v_xor_b32_e32 v26, vcc_hi, v5
	v_xor_b32_e32 v5, vcc_lo, v5
	v_and_b32_e32 v7, v7, v5
	v_lshlrev_b32_e32 v5, 24, v6
	v_cmp_gt_i64_e32 vcc, 0, v[4:5]
	v_not_b32_e32 v4, v5
	v_ashrrev_i32_e32 v4, 31, v4
	v_xor_b32_e32 v5, vcc_hi, v4
	v_xor_b32_e32 v4, vcc_lo, v4
	; wave barrier
	ds_read_b32 v22, v24 offset:64
	v_and_b32_e32 v25, v25, v26
	v_and_b32_e32 v4, v7, v4
	;; [unrolled: 1-line block ×3, first 2 shown]
	v_mbcnt_lo_u32_b32 v6, v4, 0
	v_mbcnt_hi_u32_b32 v25, v5, v6
	v_cmp_eq_u32_e32 vcc, 0, v25
	v_cmp_ne_u64_e64 s[2:3], 0, v[4:5]
	s_and_b64 s[8:9], s[2:3], vcc
	; wave barrier
	s_and_saveexec_b64 s[2:3], s[8:9]
	s_cbranch_execz .LBB544_33
; %bb.32:
	v_bcnt_u32_b32 v4, v4, 0
	v_bcnt_u32_b32 v4, v5, v4
	s_waitcnt lgkmcnt(0)
	v_add_u32_e32 v4, v22, v4
	ds_write_b32 v24, v4 offset:64
.LBB544_33:
	s_or_b64 exec, exec, s[2:3]
	v_lshrrev_b32_sdwa v4, s20, v10 dst_sel:DWORD dst_unused:UNUSED_PAD src0_sel:DWORD src1_sel:WORD_0
	v_and_b32_e32 v6, s31, v4
	v_and_b32_e32 v5, 1, v6
	v_add_co_u32_e32 v7, vcc, -1, v5
	v_addc_co_u32_e64 v28, s[2:3], 0, -1, vcc
	v_cmp_ne_u32_e32 vcc, 0, v5
	v_mul_u32_u24_e32 v4, 17, v6
	v_xor_b32_e32 v5, vcc_hi, v28
	v_add_lshl_u32 v27, v30, v4, 2
	v_mov_b32_e32 v4, 0
	v_and_b32_e32 v28, exec_hi, v5
	v_lshlrev_b32_e32 v5, 30, v6
	v_xor_b32_e32 v7, vcc_lo, v7
	v_cmp_gt_i64_e32 vcc, 0, v[4:5]
	v_not_b32_e32 v5, v5
	v_ashrrev_i32_e32 v5, 31, v5
	v_and_b32_e32 v7, exec_lo, v7
	v_xor_b32_e32 v29, vcc_hi, v5
	v_xor_b32_e32 v5, vcc_lo, v5
	v_and_b32_e32 v7, v7, v5
	v_lshlrev_b32_e32 v5, 29, v6
	v_cmp_gt_i64_e32 vcc, 0, v[4:5]
	v_not_b32_e32 v5, v5
	v_ashrrev_i32_e32 v5, 31, v5
	v_and_b32_e32 v28, v28, v29
	v_xor_b32_e32 v29, vcc_hi, v5
	v_xor_b32_e32 v5, vcc_lo, v5
	v_and_b32_e32 v7, v7, v5
	v_lshlrev_b32_e32 v5, 28, v6
	v_cmp_gt_i64_e32 vcc, 0, v[4:5]
	v_not_b32_e32 v5, v5
	v_ashrrev_i32_e32 v5, 31, v5
	v_and_b32_e32 v28, v28, v29
	;; [unrolled: 8-line block ×5, first 2 shown]
	v_xor_b32_e32 v29, vcc_hi, v5
	v_xor_b32_e32 v5, vcc_lo, v5
	v_and_b32_e32 v28, v28, v29
	v_and_b32_e32 v29, v7, v5
	v_lshlrev_b32_e32 v5, 24, v6
	v_cmp_gt_i64_e32 vcc, 0, v[4:5]
	v_not_b32_e32 v5, v5
	v_ashrrev_i32_e32 v5, 31, v5
	v_xor_b32_e32 v6, vcc_hi, v5
	v_xor_b32_e32 v5, vcc_lo, v5
	; wave barrier
	ds_read_b32 v26, v27 offset:64
	v_and_b32_e32 v7, v28, v6
	v_and_b32_e32 v6, v29, v5
	v_mbcnt_lo_u32_b32 v5, v6, 0
	v_mbcnt_hi_u32_b32 v28, v7, v5
	v_cmp_eq_u32_e32 vcc, 0, v28
	v_cmp_ne_u64_e64 s[2:3], 0, v[6:7]
	s_and_b64 s[8:9], s[2:3], vcc
	; wave barrier
	s_and_saveexec_b64 s[2:3], s[8:9]
	s_cbranch_execz .LBB544_35
; %bb.34:
	v_bcnt_u32_b32 v5, v6, 0
	v_bcnt_u32_b32 v5, v7, v5
	s_waitcnt lgkmcnt(0)
	v_add_u32_e32 v5, v26, v5
	ds_write_b32 v27, v5 offset:64
.LBB544_35:
	s_or_b64 exec, exec, s[2:3]
	v_lshrrev_b32_sdwa v5, s20, v9 dst_sel:DWORD dst_unused:UNUSED_PAD src0_sel:DWORD src1_sel:WORD_0
	v_and_b32_e32 v6, s31, v5
	v_mul_u32_u24_e32 v5, 17, v6
	v_add_lshl_u32 v31, v30, v5, 2
	v_and_b32_e32 v5, 1, v6
	v_add_co_u32_e32 v7, vcc, -1, v5
	v_addc_co_u32_e64 v32, s[2:3], 0, -1, vcc
	v_cmp_ne_u32_e32 vcc, 0, v5
	v_xor_b32_e32 v5, vcc_hi, v32
	v_and_b32_e32 v32, exec_hi, v5
	v_lshlrev_b32_e32 v5, 30, v6
	v_xor_b32_e32 v7, vcc_lo, v7
	v_cmp_gt_i64_e32 vcc, 0, v[4:5]
	v_not_b32_e32 v5, v5
	v_ashrrev_i32_e32 v5, 31, v5
	v_and_b32_e32 v7, exec_lo, v7
	v_xor_b32_e32 v33, vcc_hi, v5
	v_xor_b32_e32 v5, vcc_lo, v5
	v_and_b32_e32 v7, v7, v5
	v_lshlrev_b32_e32 v5, 29, v6
	v_cmp_gt_i64_e32 vcc, 0, v[4:5]
	v_not_b32_e32 v5, v5
	v_ashrrev_i32_e32 v5, 31, v5
	v_and_b32_e32 v32, v32, v33
	v_xor_b32_e32 v33, vcc_hi, v5
	v_xor_b32_e32 v5, vcc_lo, v5
	v_and_b32_e32 v7, v7, v5
	v_lshlrev_b32_e32 v5, 28, v6
	v_cmp_gt_i64_e32 vcc, 0, v[4:5]
	v_not_b32_e32 v5, v5
	v_ashrrev_i32_e32 v5, 31, v5
	v_and_b32_e32 v32, v32, v33
	;; [unrolled: 8-line block ×5, first 2 shown]
	v_xor_b32_e32 v33, vcc_hi, v5
	v_xor_b32_e32 v5, vcc_lo, v5
	v_and_b32_e32 v7, v7, v5
	v_lshlrev_b32_e32 v5, 24, v6
	v_cmp_gt_i64_e32 vcc, 0, v[4:5]
	v_not_b32_e32 v4, v5
	v_ashrrev_i32_e32 v4, 31, v4
	v_xor_b32_e32 v5, vcc_hi, v4
	v_xor_b32_e32 v4, vcc_lo, v4
	; wave barrier
	ds_read_b32 v29, v31 offset:64
	v_and_b32_e32 v32, v32, v33
	v_and_b32_e32 v4, v7, v4
	;; [unrolled: 1-line block ×3, first 2 shown]
	v_mbcnt_lo_u32_b32 v6, v4, 0
	v_mbcnt_hi_u32_b32 v32, v5, v6
	v_cmp_eq_u32_e32 vcc, 0, v32
	v_cmp_ne_u64_e64 s[2:3], 0, v[4:5]
	s_and_b64 s[8:9], s[2:3], vcc
	; wave barrier
	s_and_saveexec_b64 s[2:3], s[8:9]
	s_cbranch_execz .LBB544_37
; %bb.36:
	v_bcnt_u32_b32 v4, v4, 0
	v_bcnt_u32_b32 v4, v5, v4
	s_waitcnt lgkmcnt(0)
	v_add_u32_e32 v4, v29, v4
	ds_write_b32 v31, v4 offset:64
.LBB544_37:
	s_or_b64 exec, exec, s[2:3]
	v_lshrrev_b32_sdwa v4, s20, v12 dst_sel:DWORD dst_unused:UNUSED_PAD src0_sel:DWORD src1_sel:WORD_0
	v_and_b32_e32 v6, s31, v4
	v_and_b32_e32 v5, 1, v6
	v_add_co_u32_e32 v7, vcc, -1, v5
	v_addc_co_u32_e64 v35, s[2:3], 0, -1, vcc
	v_cmp_ne_u32_e32 vcc, 0, v5
	v_mul_u32_u24_e32 v4, 17, v6
	v_xor_b32_e32 v5, vcc_hi, v35
	v_add_lshl_u32 v34, v30, v4, 2
	v_mov_b32_e32 v4, 0
	v_and_b32_e32 v35, exec_hi, v5
	v_lshlrev_b32_e32 v5, 30, v6
	v_xor_b32_e32 v7, vcc_lo, v7
	v_cmp_gt_i64_e32 vcc, 0, v[4:5]
	v_not_b32_e32 v5, v5
	v_ashrrev_i32_e32 v5, 31, v5
	v_and_b32_e32 v7, exec_lo, v7
	v_xor_b32_e32 v36, vcc_hi, v5
	v_xor_b32_e32 v5, vcc_lo, v5
	v_and_b32_e32 v7, v7, v5
	v_lshlrev_b32_e32 v5, 29, v6
	v_cmp_gt_i64_e32 vcc, 0, v[4:5]
	v_not_b32_e32 v5, v5
	v_ashrrev_i32_e32 v5, 31, v5
	v_and_b32_e32 v35, v35, v36
	v_xor_b32_e32 v36, vcc_hi, v5
	v_xor_b32_e32 v5, vcc_lo, v5
	v_and_b32_e32 v7, v7, v5
	v_lshlrev_b32_e32 v5, 28, v6
	v_cmp_gt_i64_e32 vcc, 0, v[4:5]
	v_not_b32_e32 v5, v5
	v_ashrrev_i32_e32 v5, 31, v5
	v_and_b32_e32 v35, v35, v36
	;; [unrolled: 8-line block ×5, first 2 shown]
	v_xor_b32_e32 v36, vcc_hi, v5
	v_xor_b32_e32 v5, vcc_lo, v5
	v_and_b32_e32 v35, v35, v36
	v_and_b32_e32 v36, v7, v5
	v_lshlrev_b32_e32 v5, 24, v6
	v_cmp_gt_i64_e32 vcc, 0, v[4:5]
	v_not_b32_e32 v5, v5
	v_ashrrev_i32_e32 v5, 31, v5
	v_xor_b32_e32 v6, vcc_hi, v5
	v_xor_b32_e32 v5, vcc_lo, v5
	; wave barrier
	ds_read_b32 v33, v34 offset:64
	v_and_b32_e32 v7, v35, v6
	v_and_b32_e32 v6, v36, v5
	v_mbcnt_lo_u32_b32 v5, v6, 0
	v_mbcnt_hi_u32_b32 v35, v7, v5
	v_cmp_eq_u32_e32 vcc, 0, v35
	v_cmp_ne_u64_e64 s[2:3], 0, v[6:7]
	s_and_b64 s[8:9], s[2:3], vcc
	; wave barrier
	s_and_saveexec_b64 s[2:3], s[8:9]
	s_cbranch_execz .LBB544_39
; %bb.38:
	v_bcnt_u32_b32 v5, v6, 0
	v_bcnt_u32_b32 v5, v7, v5
	s_waitcnt lgkmcnt(0)
	v_add_u32_e32 v5, v33, v5
	ds_write_b32 v34, v5 offset:64
.LBB544_39:
	s_or_b64 exec, exec, s[2:3]
	v_lshrrev_b32_sdwa v5, s20, v11 dst_sel:DWORD dst_unused:UNUSED_PAD src0_sel:DWORD src1_sel:WORD_0
	v_and_b32_e32 v6, s31, v5
	v_mul_u32_u24_e32 v5, 17, v6
	v_add_lshl_u32 v37, v30, v5, 2
	v_and_b32_e32 v5, 1, v6
	v_add_co_u32_e32 v7, vcc, -1, v5
	v_addc_co_u32_e64 v38, s[2:3], 0, -1, vcc
	v_cmp_ne_u32_e32 vcc, 0, v5
	v_xor_b32_e32 v5, vcc_hi, v38
	v_and_b32_e32 v38, exec_hi, v5
	v_lshlrev_b32_e32 v5, 30, v6
	v_xor_b32_e32 v7, vcc_lo, v7
	v_cmp_gt_i64_e32 vcc, 0, v[4:5]
	v_not_b32_e32 v5, v5
	v_ashrrev_i32_e32 v5, 31, v5
	v_and_b32_e32 v7, exec_lo, v7
	v_xor_b32_e32 v39, vcc_hi, v5
	v_xor_b32_e32 v5, vcc_lo, v5
	v_and_b32_e32 v7, v7, v5
	v_lshlrev_b32_e32 v5, 29, v6
	v_cmp_gt_i64_e32 vcc, 0, v[4:5]
	v_not_b32_e32 v5, v5
	v_ashrrev_i32_e32 v5, 31, v5
	v_and_b32_e32 v38, v38, v39
	v_xor_b32_e32 v39, vcc_hi, v5
	v_xor_b32_e32 v5, vcc_lo, v5
	v_and_b32_e32 v7, v7, v5
	v_lshlrev_b32_e32 v5, 28, v6
	v_cmp_gt_i64_e32 vcc, 0, v[4:5]
	v_not_b32_e32 v5, v5
	v_ashrrev_i32_e32 v5, 31, v5
	v_and_b32_e32 v38, v38, v39
	;; [unrolled: 8-line block ×5, first 2 shown]
	v_xor_b32_e32 v39, vcc_hi, v5
	v_xor_b32_e32 v5, vcc_lo, v5
	v_and_b32_e32 v7, v7, v5
	v_lshlrev_b32_e32 v5, 24, v6
	v_cmp_gt_i64_e32 vcc, 0, v[4:5]
	v_not_b32_e32 v4, v5
	v_ashrrev_i32_e32 v4, 31, v4
	v_xor_b32_e32 v5, vcc_hi, v4
	v_xor_b32_e32 v4, vcc_lo, v4
	; wave barrier
	ds_read_b32 v36, v37 offset:64
	v_and_b32_e32 v38, v38, v39
	v_and_b32_e32 v4, v7, v4
	;; [unrolled: 1-line block ×3, first 2 shown]
	v_mbcnt_lo_u32_b32 v6, v4, 0
	v_mbcnt_hi_u32_b32 v38, v5, v6
	v_cmp_eq_u32_e32 vcc, 0, v38
	v_cmp_ne_u64_e64 s[2:3], 0, v[4:5]
	s_and_b64 s[8:9], s[2:3], vcc
	; wave barrier
	s_and_saveexec_b64 s[2:3], s[8:9]
	s_cbranch_execz .LBB544_41
; %bb.40:
	v_bcnt_u32_b32 v4, v4, 0
	v_bcnt_u32_b32 v4, v5, v4
	s_waitcnt lgkmcnt(0)
	v_add_u32_e32 v4, v36, v4
	ds_write_b32 v37, v4 offset:64
.LBB544_41:
	s_or_b64 exec, exec, s[2:3]
	v_lshrrev_b32_sdwa v4, s20, v15 dst_sel:DWORD dst_unused:UNUSED_PAD src0_sel:DWORD src1_sel:WORD_0
	v_and_b32_e32 v6, s31, v4
	v_and_b32_e32 v5, 1, v6
	v_add_co_u32_e32 v7, vcc, -1, v5
	v_addc_co_u32_e64 v41, s[2:3], 0, -1, vcc
	v_cmp_ne_u32_e32 vcc, 0, v5
	v_mul_u32_u24_e32 v4, 17, v6
	v_xor_b32_e32 v5, vcc_hi, v41
	v_add_lshl_u32 v40, v30, v4, 2
	v_mov_b32_e32 v4, 0
	v_and_b32_e32 v41, exec_hi, v5
	v_lshlrev_b32_e32 v5, 30, v6
	v_xor_b32_e32 v7, vcc_lo, v7
	v_cmp_gt_i64_e32 vcc, 0, v[4:5]
	v_not_b32_e32 v5, v5
	v_ashrrev_i32_e32 v5, 31, v5
	v_and_b32_e32 v7, exec_lo, v7
	v_xor_b32_e32 v42, vcc_hi, v5
	v_xor_b32_e32 v5, vcc_lo, v5
	v_and_b32_e32 v7, v7, v5
	v_lshlrev_b32_e32 v5, 29, v6
	v_cmp_gt_i64_e32 vcc, 0, v[4:5]
	v_not_b32_e32 v5, v5
	v_ashrrev_i32_e32 v5, 31, v5
	v_and_b32_e32 v41, v41, v42
	v_xor_b32_e32 v42, vcc_hi, v5
	v_xor_b32_e32 v5, vcc_lo, v5
	v_and_b32_e32 v7, v7, v5
	v_lshlrev_b32_e32 v5, 28, v6
	v_cmp_gt_i64_e32 vcc, 0, v[4:5]
	v_not_b32_e32 v5, v5
	v_ashrrev_i32_e32 v5, 31, v5
	v_and_b32_e32 v41, v41, v42
	;; [unrolled: 8-line block ×5, first 2 shown]
	v_xor_b32_e32 v42, vcc_hi, v5
	v_xor_b32_e32 v5, vcc_lo, v5
	v_and_b32_e32 v41, v41, v42
	v_and_b32_e32 v42, v7, v5
	v_lshlrev_b32_e32 v5, 24, v6
	v_cmp_gt_i64_e32 vcc, 0, v[4:5]
	v_not_b32_e32 v5, v5
	v_ashrrev_i32_e32 v5, 31, v5
	v_xor_b32_e32 v6, vcc_hi, v5
	v_xor_b32_e32 v5, vcc_lo, v5
	; wave barrier
	ds_read_b32 v39, v40 offset:64
	v_and_b32_e32 v7, v41, v6
	v_and_b32_e32 v6, v42, v5
	v_mbcnt_lo_u32_b32 v5, v6, 0
	v_mbcnt_hi_u32_b32 v41, v7, v5
	v_cmp_eq_u32_e32 vcc, 0, v41
	v_cmp_ne_u64_e64 s[2:3], 0, v[6:7]
	s_and_b64 s[8:9], s[2:3], vcc
	; wave barrier
	s_and_saveexec_b64 s[2:3], s[8:9]
	s_cbranch_execz .LBB544_43
; %bb.42:
	v_bcnt_u32_b32 v5, v6, 0
	v_bcnt_u32_b32 v5, v7, v5
	s_waitcnt lgkmcnt(0)
	v_add_u32_e32 v5, v39, v5
	ds_write_b32 v40, v5 offset:64
.LBB544_43:
	s_or_b64 exec, exec, s[2:3]
	v_lshrrev_b32_sdwa v5, s20, v14 dst_sel:DWORD dst_unused:UNUSED_PAD src0_sel:DWORD src1_sel:WORD_0
	v_and_b32_e32 v6, s31, v5
	v_mul_u32_u24_e32 v5, 17, v6
	v_add_lshl_u32 v43, v30, v5, 2
	v_and_b32_e32 v5, 1, v6
	v_add_co_u32_e32 v7, vcc, -1, v5
	v_addc_co_u32_e64 v44, s[2:3], 0, -1, vcc
	v_cmp_ne_u32_e32 vcc, 0, v5
	v_xor_b32_e32 v5, vcc_hi, v44
	v_and_b32_e32 v44, exec_hi, v5
	v_lshlrev_b32_e32 v5, 30, v6
	v_xor_b32_e32 v7, vcc_lo, v7
	v_cmp_gt_i64_e32 vcc, 0, v[4:5]
	v_not_b32_e32 v5, v5
	v_ashrrev_i32_e32 v5, 31, v5
	v_and_b32_e32 v7, exec_lo, v7
	v_xor_b32_e32 v45, vcc_hi, v5
	v_xor_b32_e32 v5, vcc_lo, v5
	v_and_b32_e32 v7, v7, v5
	v_lshlrev_b32_e32 v5, 29, v6
	v_cmp_gt_i64_e32 vcc, 0, v[4:5]
	v_not_b32_e32 v5, v5
	v_ashrrev_i32_e32 v5, 31, v5
	v_and_b32_e32 v44, v44, v45
	v_xor_b32_e32 v45, vcc_hi, v5
	v_xor_b32_e32 v5, vcc_lo, v5
	v_and_b32_e32 v7, v7, v5
	v_lshlrev_b32_e32 v5, 28, v6
	v_cmp_gt_i64_e32 vcc, 0, v[4:5]
	v_not_b32_e32 v5, v5
	v_ashrrev_i32_e32 v5, 31, v5
	v_and_b32_e32 v44, v44, v45
	;; [unrolled: 8-line block ×5, first 2 shown]
	v_xor_b32_e32 v45, vcc_hi, v5
	v_xor_b32_e32 v5, vcc_lo, v5
	v_and_b32_e32 v7, v7, v5
	v_lshlrev_b32_e32 v5, 24, v6
	v_cmp_gt_i64_e32 vcc, 0, v[4:5]
	v_not_b32_e32 v4, v5
	v_ashrrev_i32_e32 v4, 31, v4
	v_xor_b32_e32 v5, vcc_hi, v4
	v_xor_b32_e32 v4, vcc_lo, v4
	; wave barrier
	ds_read_b32 v42, v43 offset:64
	v_and_b32_e32 v44, v44, v45
	v_and_b32_e32 v4, v7, v4
	;; [unrolled: 1-line block ×3, first 2 shown]
	v_mbcnt_lo_u32_b32 v6, v4, 0
	v_mbcnt_hi_u32_b32 v44, v5, v6
	v_cmp_eq_u32_e32 vcc, 0, v44
	v_cmp_ne_u64_e64 s[2:3], 0, v[4:5]
	s_and_b64 s[8:9], s[2:3], vcc
	; wave barrier
	s_and_saveexec_b64 s[2:3], s[8:9]
	s_cbranch_execz .LBB544_45
; %bb.44:
	v_bcnt_u32_b32 v4, v4, 0
	v_bcnt_u32_b32 v4, v5, v4
	s_waitcnt lgkmcnt(0)
	v_add_u32_e32 v4, v42, v4
	ds_write_b32 v43, v4 offset:64
.LBB544_45:
	s_or_b64 exec, exec, s[2:3]
	v_lshrrev_b32_sdwa v4, s20, v17 dst_sel:DWORD dst_unused:UNUSED_PAD src0_sel:DWORD src1_sel:WORD_0
	v_and_b32_e32 v6, s31, v4
	v_and_b32_e32 v5, 1, v6
	v_add_co_u32_e32 v7, vcc, -1, v5
	v_addc_co_u32_e64 v47, s[2:3], 0, -1, vcc
	v_cmp_ne_u32_e32 vcc, 0, v5
	v_mul_u32_u24_e32 v4, 17, v6
	v_xor_b32_e32 v5, vcc_hi, v47
	v_add_lshl_u32 v46, v30, v4, 2
	v_mov_b32_e32 v4, 0
	v_and_b32_e32 v47, exec_hi, v5
	v_lshlrev_b32_e32 v5, 30, v6
	v_xor_b32_e32 v7, vcc_lo, v7
	v_cmp_gt_i64_e32 vcc, 0, v[4:5]
	v_not_b32_e32 v5, v5
	v_ashrrev_i32_e32 v5, 31, v5
	v_and_b32_e32 v7, exec_lo, v7
	v_xor_b32_e32 v48, vcc_hi, v5
	v_xor_b32_e32 v5, vcc_lo, v5
	v_and_b32_e32 v7, v7, v5
	v_lshlrev_b32_e32 v5, 29, v6
	v_cmp_gt_i64_e32 vcc, 0, v[4:5]
	v_not_b32_e32 v5, v5
	v_ashrrev_i32_e32 v5, 31, v5
	v_and_b32_e32 v47, v47, v48
	v_xor_b32_e32 v48, vcc_hi, v5
	v_xor_b32_e32 v5, vcc_lo, v5
	v_and_b32_e32 v7, v7, v5
	v_lshlrev_b32_e32 v5, 28, v6
	v_cmp_gt_i64_e32 vcc, 0, v[4:5]
	v_not_b32_e32 v5, v5
	v_ashrrev_i32_e32 v5, 31, v5
	v_and_b32_e32 v47, v47, v48
	;; [unrolled: 8-line block ×5, first 2 shown]
	v_xor_b32_e32 v48, vcc_hi, v5
	v_xor_b32_e32 v5, vcc_lo, v5
	v_and_b32_e32 v47, v47, v48
	v_and_b32_e32 v48, v7, v5
	v_lshlrev_b32_e32 v5, 24, v6
	v_cmp_gt_i64_e32 vcc, 0, v[4:5]
	v_not_b32_e32 v5, v5
	v_ashrrev_i32_e32 v5, 31, v5
	v_xor_b32_e32 v6, vcc_hi, v5
	v_xor_b32_e32 v5, vcc_lo, v5
	; wave barrier
	ds_read_b32 v45, v46 offset:64
	v_and_b32_e32 v7, v47, v6
	v_and_b32_e32 v6, v48, v5
	v_mbcnt_lo_u32_b32 v5, v6, 0
	v_mbcnt_hi_u32_b32 v47, v7, v5
	v_cmp_eq_u32_e32 vcc, 0, v47
	v_cmp_ne_u64_e64 s[2:3], 0, v[6:7]
	s_and_b64 s[8:9], s[2:3], vcc
	; wave barrier
	s_and_saveexec_b64 s[2:3], s[8:9]
	s_cbranch_execz .LBB544_47
; %bb.46:
	v_bcnt_u32_b32 v5, v6, 0
	v_bcnt_u32_b32 v5, v7, v5
	s_waitcnt lgkmcnt(0)
	v_add_u32_e32 v5, v45, v5
	ds_write_b32 v46, v5 offset:64
.LBB544_47:
	s_or_b64 exec, exec, s[2:3]
	v_lshrrev_b32_sdwa v5, s20, v16 dst_sel:DWORD dst_unused:UNUSED_PAD src0_sel:DWORD src1_sel:WORD_0
	v_and_b32_e32 v6, s31, v5
	v_mul_u32_u24_e32 v5, 17, v6
	v_add_lshl_u32 v49, v30, v5, 2
	v_and_b32_e32 v5, 1, v6
	v_add_co_u32_e32 v7, vcc, -1, v5
	v_addc_co_u32_e64 v50, s[2:3], 0, -1, vcc
	v_cmp_ne_u32_e32 vcc, 0, v5
	v_xor_b32_e32 v5, vcc_hi, v50
	v_and_b32_e32 v50, exec_hi, v5
	v_lshlrev_b32_e32 v5, 30, v6
	v_xor_b32_e32 v7, vcc_lo, v7
	v_cmp_gt_i64_e32 vcc, 0, v[4:5]
	v_not_b32_e32 v5, v5
	v_ashrrev_i32_e32 v5, 31, v5
	v_and_b32_e32 v7, exec_lo, v7
	v_xor_b32_e32 v51, vcc_hi, v5
	v_xor_b32_e32 v5, vcc_lo, v5
	v_and_b32_e32 v7, v7, v5
	v_lshlrev_b32_e32 v5, 29, v6
	v_cmp_gt_i64_e32 vcc, 0, v[4:5]
	v_not_b32_e32 v5, v5
	v_ashrrev_i32_e32 v5, 31, v5
	v_and_b32_e32 v50, v50, v51
	v_xor_b32_e32 v51, vcc_hi, v5
	v_xor_b32_e32 v5, vcc_lo, v5
	v_and_b32_e32 v7, v7, v5
	v_lshlrev_b32_e32 v5, 28, v6
	v_cmp_gt_i64_e32 vcc, 0, v[4:5]
	v_not_b32_e32 v5, v5
	v_ashrrev_i32_e32 v5, 31, v5
	v_and_b32_e32 v50, v50, v51
	;; [unrolled: 8-line block ×5, first 2 shown]
	v_xor_b32_e32 v51, vcc_hi, v5
	v_xor_b32_e32 v5, vcc_lo, v5
	v_and_b32_e32 v7, v7, v5
	v_lshlrev_b32_e32 v5, 24, v6
	v_cmp_gt_i64_e32 vcc, 0, v[4:5]
	v_not_b32_e32 v4, v5
	v_ashrrev_i32_e32 v4, 31, v4
	v_xor_b32_e32 v5, vcc_hi, v4
	v_xor_b32_e32 v4, vcc_lo, v4
	; wave barrier
	ds_read_b32 v48, v49 offset:64
	v_and_b32_e32 v50, v50, v51
	v_and_b32_e32 v4, v7, v4
	;; [unrolled: 1-line block ×3, first 2 shown]
	v_mbcnt_lo_u32_b32 v6, v4, 0
	v_mbcnt_hi_u32_b32 v50, v5, v6
	v_cmp_eq_u32_e32 vcc, 0, v50
	v_cmp_ne_u64_e64 s[2:3], 0, v[4:5]
	s_and_b64 s[8:9], s[2:3], vcc
	; wave barrier
	s_and_saveexec_b64 s[2:3], s[8:9]
	s_cbranch_execz .LBB544_49
; %bb.48:
	v_bcnt_u32_b32 v4, v4, 0
	v_bcnt_u32_b32 v4, v5, v4
	s_waitcnt lgkmcnt(0)
	v_add_u32_e32 v4, v48, v4
	ds_write_b32 v49, v4 offset:64
.LBB544_49:
	s_or_b64 exec, exec, s[2:3]
	v_lshrrev_b32_sdwa v4, s20, v19 dst_sel:DWORD dst_unused:UNUSED_PAD src0_sel:DWORD src1_sel:WORD_0
	v_and_b32_e32 v6, s31, v4
	v_and_b32_e32 v5, 1, v6
	v_add_co_u32_e32 v7, vcc, -1, v5
	v_addc_co_u32_e64 v53, s[2:3], 0, -1, vcc
	v_cmp_ne_u32_e32 vcc, 0, v5
	v_mul_u32_u24_e32 v4, 17, v6
	v_xor_b32_e32 v5, vcc_hi, v53
	v_add_lshl_u32 v52, v30, v4, 2
	v_mov_b32_e32 v4, 0
	v_and_b32_e32 v53, exec_hi, v5
	v_lshlrev_b32_e32 v5, 30, v6
	v_xor_b32_e32 v7, vcc_lo, v7
	v_cmp_gt_i64_e32 vcc, 0, v[4:5]
	v_not_b32_e32 v5, v5
	v_ashrrev_i32_e32 v5, 31, v5
	v_and_b32_e32 v7, exec_lo, v7
	v_xor_b32_e32 v54, vcc_hi, v5
	v_xor_b32_e32 v5, vcc_lo, v5
	v_and_b32_e32 v7, v7, v5
	v_lshlrev_b32_e32 v5, 29, v6
	v_cmp_gt_i64_e32 vcc, 0, v[4:5]
	v_not_b32_e32 v5, v5
	v_ashrrev_i32_e32 v5, 31, v5
	v_and_b32_e32 v53, v53, v54
	v_xor_b32_e32 v54, vcc_hi, v5
	v_xor_b32_e32 v5, vcc_lo, v5
	v_and_b32_e32 v7, v7, v5
	v_lshlrev_b32_e32 v5, 28, v6
	v_cmp_gt_i64_e32 vcc, 0, v[4:5]
	v_not_b32_e32 v5, v5
	v_ashrrev_i32_e32 v5, 31, v5
	v_and_b32_e32 v53, v53, v54
	;; [unrolled: 8-line block ×5, first 2 shown]
	v_xor_b32_e32 v54, vcc_hi, v5
	v_xor_b32_e32 v5, vcc_lo, v5
	v_and_b32_e32 v53, v53, v54
	v_and_b32_e32 v54, v7, v5
	v_lshlrev_b32_e32 v5, 24, v6
	v_cmp_gt_i64_e32 vcc, 0, v[4:5]
	v_not_b32_e32 v5, v5
	v_ashrrev_i32_e32 v5, 31, v5
	v_xor_b32_e32 v6, vcc_hi, v5
	v_xor_b32_e32 v5, vcc_lo, v5
	; wave barrier
	ds_read_b32 v51, v52 offset:64
	v_and_b32_e32 v7, v53, v6
	v_and_b32_e32 v6, v54, v5
	v_mbcnt_lo_u32_b32 v5, v6, 0
	v_mbcnt_hi_u32_b32 v53, v7, v5
	v_cmp_eq_u32_e32 vcc, 0, v53
	v_cmp_ne_u64_e64 s[2:3], 0, v[6:7]
	s_and_b64 s[8:9], s[2:3], vcc
	; wave barrier
	s_and_saveexec_b64 s[2:3], s[8:9]
	s_cbranch_execz .LBB544_51
; %bb.50:
	v_bcnt_u32_b32 v5, v6, 0
	v_bcnt_u32_b32 v5, v7, v5
	s_waitcnt lgkmcnt(0)
	v_add_u32_e32 v5, v51, v5
	ds_write_b32 v52, v5 offset:64
.LBB544_51:
	s_or_b64 exec, exec, s[2:3]
	v_lshrrev_b32_sdwa v5, s20, v18 dst_sel:DWORD dst_unused:UNUSED_PAD src0_sel:DWORD src1_sel:WORD_0
	v_and_b32_e32 v6, s31, v5
	v_mul_u32_u24_e32 v5, 17, v6
	v_add_lshl_u32 v54, v30, v5, 2
	v_and_b32_e32 v5, 1, v6
	v_add_co_u32_e32 v7, vcc, -1, v5
	v_addc_co_u32_e64 v56, s[2:3], 0, -1, vcc
	v_cmp_ne_u32_e32 vcc, 0, v5
	v_xor_b32_e32 v5, vcc_hi, v56
	v_and_b32_e32 v56, exec_hi, v5
	v_lshlrev_b32_e32 v5, 30, v6
	v_xor_b32_e32 v7, vcc_lo, v7
	v_cmp_gt_i64_e32 vcc, 0, v[4:5]
	v_not_b32_e32 v5, v5
	v_ashrrev_i32_e32 v5, 31, v5
	v_and_b32_e32 v7, exec_lo, v7
	v_xor_b32_e32 v57, vcc_hi, v5
	v_xor_b32_e32 v5, vcc_lo, v5
	v_and_b32_e32 v7, v7, v5
	v_lshlrev_b32_e32 v5, 29, v6
	v_cmp_gt_i64_e32 vcc, 0, v[4:5]
	v_not_b32_e32 v5, v5
	v_ashrrev_i32_e32 v5, 31, v5
	v_and_b32_e32 v56, v56, v57
	v_xor_b32_e32 v57, vcc_hi, v5
	v_xor_b32_e32 v5, vcc_lo, v5
	v_and_b32_e32 v7, v7, v5
	v_lshlrev_b32_e32 v5, 28, v6
	v_cmp_gt_i64_e32 vcc, 0, v[4:5]
	v_not_b32_e32 v5, v5
	v_ashrrev_i32_e32 v5, 31, v5
	v_and_b32_e32 v56, v56, v57
	v_xor_b32_e32 v57, vcc_hi, v5
	v_xor_b32_e32 v5, vcc_lo, v5
	v_and_b32_e32 v7, v7, v5
	v_lshlrev_b32_e32 v5, 27, v6
	v_cmp_gt_i64_e32 vcc, 0, v[4:5]
	v_not_b32_e32 v5, v5
	v_ashrrev_i32_e32 v5, 31, v5
	v_and_b32_e32 v56, v56, v57
	v_xor_b32_e32 v57, vcc_hi, v5
	v_xor_b32_e32 v5, vcc_lo, v5
	v_and_b32_e32 v7, v7, v5
	v_lshlrev_b32_e32 v5, 26, v6
	v_cmp_gt_i64_e32 vcc, 0, v[4:5]
	v_not_b32_e32 v5, v5
	v_ashrrev_i32_e32 v5, 31, v5
	v_and_b32_e32 v56, v56, v57
	v_xor_b32_e32 v57, vcc_hi, v5
	v_xor_b32_e32 v5, vcc_lo, v5
	v_and_b32_e32 v7, v7, v5
	v_lshlrev_b32_e32 v5, 25, v6
	v_cmp_gt_i64_e32 vcc, 0, v[4:5]
	v_not_b32_e32 v5, v5
	v_ashrrev_i32_e32 v5, 31, v5
	v_and_b32_e32 v56, v56, v57
	v_xor_b32_e32 v57, vcc_hi, v5
	v_xor_b32_e32 v5, vcc_lo, v5
	v_and_b32_e32 v7, v7, v5
	v_lshlrev_b32_e32 v5, 24, v6
	v_cmp_gt_i64_e32 vcc, 0, v[4:5]
	v_not_b32_e32 v4, v5
	v_ashrrev_i32_e32 v4, 31, v4
	v_xor_b32_e32 v5, vcc_hi, v4
	v_xor_b32_e32 v4, vcc_lo, v4
	; wave barrier
	ds_read_b32 v30, v54 offset:64
	v_and_b32_e32 v56, v56, v57
	v_and_b32_e32 v4, v7, v4
	;; [unrolled: 1-line block ×3, first 2 shown]
	v_mbcnt_lo_u32_b32 v6, v4, 0
	v_mbcnt_hi_u32_b32 v56, v5, v6
	v_cmp_eq_u32_e32 vcc, 0, v56
	v_cmp_ne_u64_e64 s[2:3], 0, v[4:5]
	v_add_u32_e32 v55, 64, v20
	s_and_b64 s[8:9], s[2:3], vcc
	; wave barrier
	s_and_saveexec_b64 s[2:3], s[8:9]
	s_cbranch_execz .LBB544_53
; %bb.52:
	v_bcnt_u32_b32 v4, v4, 0
	v_bcnt_u32_b32 v4, v5, v4
	s_waitcnt lgkmcnt(0)
	v_add_u32_e32 v4, v30, v4
	ds_write_b32 v54, v4 offset:64
.LBB544_53:
	s_or_b64 exec, exec, s[2:3]
	; wave barrier
	s_waitcnt lgkmcnt(0)
	s_barrier
	ds_read2_b32 v[6:7], v20 offset0:16 offset1:17
	ds_read2_b32 v[4:5], v55 offset0:2 offset1:3
	ds_read_b32 v57, v55 offset:16
	v_cmp_lt_u32_e64 s[12:13], 31, v13
	s_waitcnt lgkmcnt(1)
	v_add3_u32 v58, v7, v6, v4
	s_waitcnt lgkmcnt(0)
	v_add3_u32 v57, v58, v5, v57
	v_and_b32_e32 v58, 15, v13
	v_cmp_eq_u32_e32 vcc, 0, v58
	v_mov_b32_dpp v59, v57 row_shr:1 row_mask:0xf bank_mask:0xf
	v_cndmask_b32_e64 v59, v59, 0, vcc
	v_add_u32_e32 v57, v59, v57
	v_cmp_lt_u32_e64 s[2:3], 1, v58
	v_cmp_lt_u32_e64 s[10:11], 3, v58
	v_mov_b32_dpp v59, v57 row_shr:2 row_mask:0xf bank_mask:0xf
	v_cndmask_b32_e64 v59, 0, v59, s[2:3]
	v_add_u32_e32 v57, v57, v59
	v_cmp_lt_u32_e64 s[8:9], 7, v58
	s_nop 0
	v_mov_b32_dpp v59, v57 row_shr:4 row_mask:0xf bank_mask:0xf
	v_cndmask_b32_e64 v59, 0, v59, s[10:11]
	v_add_u32_e32 v57, v57, v59
	s_nop 1
	v_mov_b32_dpp v59, v57 row_shr:8 row_mask:0xf bank_mask:0xf
	v_cndmask_b32_e64 v58, 0, v59, s[8:9]
	v_add_u32_e32 v57, v57, v58
	v_bfe_i32 v59, v13, 4, 1
	s_nop 0
	v_mov_b32_dpp v58, v57 row_bcast:15 row_mask:0xf bank_mask:0xf
	v_and_b32_e32 v58, v59, v58
	v_add_u32_e32 v57, v57, v58
	v_and_b32_e32 v59, 63, v2
	s_nop 0
	v_mov_b32_dpp v58, v57 row_bcast:31 row_mask:0xf bank_mask:0xf
	v_cndmask_b32_e64 v58, 0, v58, s[12:13]
	v_add_u32_e32 v57, v57, v58
	v_lshrrev_b32_e32 v58, 6, v2
	v_cmp_eq_u32_e64 s[12:13], 63, v59
	s_and_saveexec_b64 s[22:23], s[12:13]
	s_cbranch_execz .LBB544_55
; %bb.54:
	v_lshlrev_b32_e32 v59, 2, v58
	ds_write_b32 v59, v57
.LBB544_55:
	s_or_b64 exec, exec, s[22:23]
	v_cmp_gt_u32_e64 s[12:13], 16, v2
	s_waitcnt lgkmcnt(0)
	s_barrier
	s_and_saveexec_b64 s[22:23], s[12:13]
	s_cbranch_execz .LBB544_57
; %bb.56:
	v_lshlrev_b32_e32 v59, 2, v2
	ds_read_b32 v60, v59
	s_waitcnt lgkmcnt(0)
	s_nop 0
	v_mov_b32_dpp v61, v60 row_shr:1 row_mask:0xf bank_mask:0xf
	v_cndmask_b32_e64 v61, v61, 0, vcc
	v_add_u32_e32 v60, v61, v60
	s_nop 1
	v_mov_b32_dpp v61, v60 row_shr:2 row_mask:0xf bank_mask:0xf
	v_cndmask_b32_e64 v61, 0, v61, s[2:3]
	v_add_u32_e32 v60, v60, v61
	s_nop 1
	v_mov_b32_dpp v61, v60 row_shr:4 row_mask:0xf bank_mask:0xf
	v_cndmask_b32_e64 v61, 0, v61, s[10:11]
	;; [unrolled: 4-line block ×3, first 2 shown]
	v_add_u32_e32 v60, v60, v61
	ds_write_b32 v59, v60
.LBB544_57:
	s_or_b64 exec, exec, s[22:23]
	v_cmp_lt_u32_e32 vcc, 63, v2
	v_mov_b32_e32 v59, 0
	s_waitcnt lgkmcnt(0)
	s_barrier
	s_and_saveexec_b64 s[2:3], vcc
	s_cbranch_execz .LBB544_59
; %bb.58:
	v_lshl_add_u32 v58, v58, 2, -4
	ds_read_b32 v59, v58
.LBB544_59:
	s_or_b64 exec, exec, s[2:3]
	v_add_u32_e32 v58, -1, v13
	v_and_b32_e32 v60, 64, v13
	v_cmp_lt_i32_e32 vcc, v58, v60
	v_cndmask_b32_e32 v58, v58, v13, vcc
	s_waitcnt lgkmcnt(0)
	v_add_u32_e32 v57, v59, v57
	v_lshlrev_b32_e32 v58, 2, v58
	ds_bpermute_b32 v57, v58, v57
	v_cmp_eq_u32_e32 vcc, 0, v13
	s_movk_i32 s2, 0x100
	s_waitcnt lgkmcnt(0)
	v_cndmask_b32_e32 v13, v57, v59, vcc
	v_cndmask_b32_e64 v13, v13, 0, s[0:1]
	v_add_u32_e32 v6, v13, v6
	v_add_u32_e32 v7, v6, v7
	;; [unrolled: 1-line block ×4, first 2 shown]
	ds_write2_b32 v20, v13, v6 offset0:16 offset1:17
	ds_write2_b32 v55, v7, v4 offset0:2 offset1:3
	ds_write_b32 v55, v5 offset:16
	s_waitcnt lgkmcnt(0)
	s_barrier
	ds_read_b32 v59, v23 offset:64
	ds_read_b32 v58, v24 offset:64
	ds_read_b32 v57, v27 offset:64
	ds_read_b32 v55, v31 offset:64
	ds_read_b32 v34, v34 offset:64
	ds_read_b32 v31, v37 offset:64
	ds_read_b32 v27, v40 offset:64
	ds_read_b32 v24, v43 offset:64
	ds_read_b32 v23, v46 offset:64
	ds_read_b32 v20, v49 offset:64
	ds_read_b32 v7, v52 offset:64
	ds_read_b32 v6, v54 offset:64
	v_cmp_gt_u32_e32 vcc, s2, v2
	v_pk_mov_b32 v[4:5], 0, 0
                                        ; implicit-def: $vgpr13
	s_and_saveexec_b64 s[8:9], vcc
	s_cbranch_execz .LBB544_63
; %bb.60:
	v_mul_u32_u24_e32 v4, 17, v2
	v_lshlrev_b32_e32 v13, 2, v4
	ds_read_b32 v4, v13 offset:64
	s_movk_i32 s2, 0xff
	v_cmp_ne_u32_e64 s[2:3], s2, v2
	v_mov_b32_e32 v5, 0x3000
	s_and_saveexec_b64 s[10:11], s[2:3]
	s_cbranch_execz .LBB544_62
; %bb.61:
	ds_read_b32 v5, v13 offset:132
.LBB544_62:
	s_or_b64 exec, exec, s[10:11]
	s_waitcnt lgkmcnt(0)
	v_sub_u32_e32 v13, v5, v4
	v_mov_b32_e32 v5, 0
.LBB544_63:
	s_or_b64 exec, exec, s[8:9]
	v_add_u32_e32 v22, v25, v22
	s_waitcnt lgkmcnt(11)
	v_add_lshl_u32 v21, v59, v21, 1
	v_add_u32_e32 v26, v28, v26
	s_waitcnt lgkmcnt(0)
	s_barrier
	ds_write_b16 v21, v8 offset:2048
	v_add_lshl_u32 v8, v22, v58, 1
	v_add_u32_e32 v29, v32, v29
	ds_write_b16 v8, v3 offset:2048
	v_add_lshl_u32 v3, v26, v57, 1
	v_add_u32_e32 v33, v35, v33
	ds_write_b16 v3, v10 offset:2048
	v_add_lshl_u32 v3, v29, v55, 1
	v_add_u32_e32 v36, v38, v36
	ds_write_b16 v3, v9 offset:2048
	v_add_lshl_u32 v3, v33, v34, 1
	v_add_u32_e32 v39, v41, v39
	ds_write_b16 v3, v12 offset:2048
	v_add_lshl_u32 v3, v36, v31, 1
	v_add_u32_e32 v42, v44, v42
	ds_write_b16 v3, v11 offset:2048
	v_add_lshl_u32 v3, v39, v27, 1
	v_add_u32_e32 v43, v47, v45
	ds_write_b16 v3, v15 offset:2048
	v_add_lshl_u32 v3, v42, v24, 1
	v_add_u32_e32 v40, v50, v48
	ds_write_b16 v3, v14 offset:2048
	v_add_lshl_u32 v3, v43, v23, 1
	v_add_u32_e32 v37, v53, v51
	ds_write_b16 v3, v17 offset:2048
	v_add_lshl_u32 v3, v40, v20, 1
	v_add_u32_e32 v30, v56, v30
	ds_write_b16 v3, v16 offset:2048
	v_add_lshl_u32 v3, v37, v7, 1
	ds_write_b16 v3, v19 offset:2048
	v_add_lshl_u32 v3, v30, v6, 1
	ds_write_b16 v3, v18 offset:2048
	s_and_saveexec_b64 s[8:9], vcc
	s_cbranch_execz .LBB544_73
; %bb.64:
	v_lshl_or_b32 v6, s30, 8, v2
	v_mov_b32_e32 v7, 0
	v_lshlrev_b64 v[8:9], 2, v[6:7]
	v_mov_b32_e32 v3, s15
	v_add_co_u32_e64 v8, s[2:3], s14, v8
	v_addc_co_u32_e64 v9, s[2:3], v3, v9, s[2:3]
	v_or_b32_e32 v6, 2.0, v13
	s_mov_b64 s[10:11], 0
	s_brev_b32 s33, 1
	s_mov_b32 s34, s30
	v_mov_b32_e32 v12, 0
	global_store_dword v[8:9], v6, off
                                        ; implicit-def: $sgpr2_sgpr3
	s_branch .LBB544_66
.LBB544_65:                             ;   in Loop: Header=BB544_66 Depth=1
	s_or_b64 exec, exec, s[12:13]
	v_and_b32_e32 v10, 0x3fffffff, v14
	v_add_u32_e32 v12, v10, v12
	v_cmp_eq_u32_e64 s[2:3], s33, v6
	s_and_b64 s[12:13], exec, s[2:3]
	s_or_b64 s[10:11], s[12:13], s[10:11]
	s_andn2_b64 exec, exec, s[10:11]
	s_cbranch_execz .LBB544_72
.LBB544_66:                             ; =>This Loop Header: Depth=1
                                        ;     Child Loop BB544_69 Depth 2
	s_or_b64 s[2:3], s[2:3], exec
	s_cmp_eq_u32 s34, 0
	s_cbranch_scc1 .LBB544_71
; %bb.67:                               ;   in Loop: Header=BB544_66 Depth=1
	s_add_i32 s34, s34, -1
	v_lshl_or_b32 v6, s34, 8, v2
	v_lshlrev_b64 v[10:11], 2, v[6:7]
	v_add_co_u32_e64 v10, s[2:3], s14, v10
	v_addc_co_u32_e64 v11, s[2:3], v3, v11, s[2:3]
	global_load_dword v14, v[10:11], off glc
	s_waitcnt vmcnt(0)
	v_and_b32_e32 v6, -2.0, v14
	v_cmp_eq_u32_e64 s[2:3], 0, v6
	s_and_saveexec_b64 s[12:13], s[2:3]
	s_cbranch_execz .LBB544_65
; %bb.68:                               ;   in Loop: Header=BB544_66 Depth=1
	s_mov_b64 s[22:23], 0
.LBB544_69:                             ;   Parent Loop BB544_66 Depth=1
                                        ; =>  This Inner Loop Header: Depth=2
	global_load_dword v14, v[10:11], off glc
	s_waitcnt vmcnt(0)
	v_and_b32_e32 v6, -2.0, v14
	v_cmp_ne_u32_e64 s[2:3], 0, v6
	s_or_b64 s[22:23], s[2:3], s[22:23]
	s_andn2_b64 exec, exec, s[22:23]
	s_cbranch_execnz .LBB544_69
; %bb.70:                               ;   in Loop: Header=BB544_66 Depth=1
	s_or_b64 exec, exec, s[22:23]
	s_branch .LBB544_65
.LBB544_71:                             ;   in Loop: Header=BB544_66 Depth=1
                                        ; implicit-def: $sgpr34
	s_and_b64 s[12:13], exec, s[2:3]
	s_or_b64 s[10:11], s[12:13], s[10:11]
	s_andn2_b64 exec, exec, s[10:11]
	s_cbranch_execnz .LBB544_66
.LBB544_72:
	s_or_b64 exec, exec, s[10:11]
	v_add_u32_e32 v3, v12, v13
	v_or_b32_e32 v3, 0x80000000, v3
	global_store_dword v[8:9], v3, off
	v_lshlrev_b32_e32 v3, 3, v2
	global_load_dwordx2 v[6:7], v3, s[16:17]
	v_sub_co_u32_e64 v8, s[2:3], v12, v4
	v_subb_co_u32_e64 v9, s[2:3], 0, v5, s[2:3]
	s_waitcnt vmcnt(0)
	v_add_co_u32_e64 v6, s[2:3], v8, v6
	v_addc_co_u32_e64 v7, s[2:3], v9, v7, s[2:3]
	ds_write_b64 v3, v[6:7]
.LBB544_73:
	s_or_b64 exec, exec, s[8:9]
	v_cmp_gt_u32_e64 s[2:3], s7, v2
	s_waitcnt lgkmcnt(0)
	s_barrier
	s_and_saveexec_b64 s[8:9], s[2:3]
	s_cbranch_execz .LBB544_75
; %bb.74:
	v_lshlrev_b32_e32 v3, 1, v2
	ds_read_u16 v8, v3 offset:2048
	v_mov_b32_e32 v9, s27
	s_waitcnt lgkmcnt(0)
	v_lshrrev_b32_sdwa v6, s20, v8 dst_sel:DWORD dst_unused:UNUSED_PAD src0_sel:DWORD src1_sel:WORD_0
	v_and_b32_e32 v6, s31, v6
	v_lshlrev_b32_e32 v6, 3, v6
	ds_read_b64 v[6:7], v6
	s_waitcnt lgkmcnt(0)
	v_lshlrev_b64 v[6:7], 1, v[6:7]
	v_add_co_u32_e64 v6, s[2:3], s26, v6
	v_addc_co_u32_e64 v7, s[2:3], v9, v7, s[2:3]
	v_add_co_u32_e64 v6, s[2:3], v6, v3
	v_addc_co_u32_e64 v7, s[2:3], 0, v7, s[2:3]
	global_store_short v[6:7], v8, off
.LBB544_75:
	s_or_b64 exec, exec, s[8:9]
	v_or_b32_e32 v3, 0x400, v2
	v_cmp_gt_u32_e64 s[2:3], s7, v3
	s_and_saveexec_b64 s[8:9], s[2:3]
	s_cbranch_execz .LBB544_77
; %bb.76:
	v_lshlrev_b32_e32 v3, 1, v2
	ds_read_u16 v8, v3 offset:4096
	v_mov_b32_e32 v9, s27
	s_waitcnt lgkmcnt(0)
	v_lshrrev_b32_sdwa v6, s20, v8 dst_sel:DWORD dst_unused:UNUSED_PAD src0_sel:DWORD src1_sel:WORD_0
	v_and_b32_e32 v6, s31, v6
	v_lshlrev_b32_e32 v6, 3, v6
	ds_read_b64 v[6:7], v6
	s_waitcnt lgkmcnt(0)
	v_lshlrev_b64 v[6:7], 1, v[6:7]
	v_add_co_u32_e64 v6, s[2:3], s26, v6
	v_addc_co_u32_e64 v7, s[2:3], v9, v7, s[2:3]
	v_add_co_u32_e64 v6, s[2:3], v6, v3
	v_addc_co_u32_e64 v7, s[2:3], 0, v7, s[2:3]
	global_store_short v[6:7], v8, off offset:2048
.LBB544_77:
	s_or_b64 exec, exec, s[8:9]
	v_or_b32_e32 v3, 0x800, v2
	v_cmp_gt_u32_e64 s[2:3], s7, v3
	s_and_saveexec_b64 s[8:9], s[2:3]
	s_cbranch_execz .LBB544_79
; %bb.78:
	v_lshlrev_b32_e32 v6, 1, v2
	ds_read_u16 v8, v6 offset:6144
	v_mov_b32_e32 v9, s27
	v_lshlrev_b32_e32 v3, 1, v3
	s_waitcnt lgkmcnt(0)
	v_lshrrev_b32_sdwa v6, s20, v8 dst_sel:DWORD dst_unused:UNUSED_PAD src0_sel:DWORD src1_sel:WORD_0
	v_and_b32_e32 v6, s31, v6
	v_lshlrev_b32_e32 v6, 3, v6
	ds_read_b64 v[6:7], v6
	s_waitcnt lgkmcnt(0)
	v_lshlrev_b64 v[6:7], 1, v[6:7]
	v_add_co_u32_e64 v6, s[2:3], s26, v6
	v_addc_co_u32_e64 v7, s[2:3], v9, v7, s[2:3]
	v_add_co_u32_e64 v6, s[2:3], v6, v3
	v_addc_co_u32_e64 v7, s[2:3], 0, v7, s[2:3]
	global_store_short v[6:7], v8, off
.LBB544_79:
	s_or_b64 exec, exec, s[8:9]
	v_or_b32_e32 v3, 0xc00, v2
	v_cmp_gt_u32_e64 s[2:3], s7, v3
	s_and_saveexec_b64 s[8:9], s[2:3]
	s_cbranch_execz .LBB544_81
; %bb.80:
	v_lshlrev_b32_e32 v6, 1, v2
	ds_read_u16 v8, v6 offset:8192
	v_mov_b32_e32 v9, s27
	v_lshlrev_b32_e32 v3, 1, v3
	s_waitcnt lgkmcnt(0)
	v_lshrrev_b32_sdwa v6, s20, v8 dst_sel:DWORD dst_unused:UNUSED_PAD src0_sel:DWORD src1_sel:WORD_0
	v_and_b32_e32 v6, s31, v6
	v_lshlrev_b32_e32 v6, 3, v6
	ds_read_b64 v[6:7], v6
	s_waitcnt lgkmcnt(0)
	v_lshlrev_b64 v[6:7], 1, v[6:7]
	v_add_co_u32_e64 v6, s[2:3], s26, v6
	v_addc_co_u32_e64 v7, s[2:3], v9, v7, s[2:3]
	v_add_co_u32_e64 v6, s[2:3], v6, v3
	v_addc_co_u32_e64 v7, s[2:3], 0, v7, s[2:3]
	global_store_short v[6:7], v8, off
.LBB544_81:
	;; [unrolled: 23-line block ×10, first 2 shown]
	s_or_b64 exec, exec, s[8:9]
	s_add_i32 s29, s29, -1
	s_cmp_eq_u32 s29, s30
	s_cselect_b64 s[2:3], -1, 0
	s_and_b64 s[8:9], vcc, s[2:3]
	s_mov_b64 s[2:3], 0
	s_mov_b64 s[10:11], 0
                                        ; implicit-def: $vgpr6_vgpr7
	s_and_saveexec_b64 s[12:13], s[8:9]
	s_xor_b64 s[8:9], exec, s[12:13]
; %bb.98:
	v_add_co_u32_e32 v6, vcc, v4, v13
	s_mov_b64 s[10:11], exec
	v_mov_b32_e32 v3, 0
	v_addc_co_u32_e32 v7, vcc, 0, v5, vcc
; %bb.99:
	s_or_b64 exec, exec, s[8:9]
	s_and_b64 vcc, exec, s[2:3]
	s_cbranch_vccnz .LBB544_101
	s_branch .LBB544_150
.LBB544_100:
	s_mov_b64 s[10:11], 0
                                        ; implicit-def: $vgpr6_vgpr7
	s_cbranch_execz .LBB544_150
.LBB544_101:
	s_mov_b32 s29, 0
	v_mbcnt_hi_u32_b32 v17, -1, v1
	s_lshl_b64 s[2:3], s[28:29], 1
	v_and_b32_e32 v1, 63, v17
	s_add_u32 s2, s24, s2
	v_lshlrev_b32_e32 v1, 1, v1
	v_add_co_u32_e32 v1, vcc, s2, v1
	s_load_dword s22, s[4:5], 0x58
	s_load_dword s2, s[4:5], 0x64
	s_addc_u32 s3, s25, s3
	v_and_b32_e32 v3, 0x3c0, v2
	v_mul_u32_u24_e32 v3, 12, v3
	v_mov_b32_e32 v5, s3
	s_add_u32 s3, s4, 0x58
	v_addc_co_u32_e32 v5, vcc, 0, v5, vcc
	v_lshlrev_b32_e32 v3, 1, v3
	s_addc_u32 s4, s5, 0
	s_waitcnt lgkmcnt(0)
	s_lshr_b32 s5, s2, 16
	v_add_co_u32_e32 v20, vcc, v1, v3
	s_cmp_lt_u32 s6, s22
	v_addc_co_u32_e32 v21, vcc, 0, v5, vcc
	s_cselect_b32 s2, 12, 18
	global_load_ushort v3, v[20:21], off
	s_add_u32 s2, s3, s2
	v_mov_b32_e32 v4, 0
	s_addc_u32 s3, s4, 0
	global_load_ushort v1, v4, s[2:3]
	v_mul_u32_u24_e32 v6, 5, v2
	v_lshlrev_b32_e32 v18, 2, v6
	ds_write2_b32 v18, v4, v4 offset0:16 offset1:17
	ds_write2_b32 v18, v4, v4 offset0:18 offset1:19
	ds_write_b32 v18, v4 offset:80
	global_load_ushort v16, v[20:21], off offset:128
	global_load_ushort v15, v[20:21], off offset:256
	;; [unrolled: 1-line block ×11, first 2 shown]
	v_bfe_u32 v5, v0, 10, 10
	v_bfe_u32 v0, v0, 20, 10
	s_lshl_b32 s2, -1, s21
	v_mad_u32_u24 v0, v0, s5, v5
	s_not_b32 s21, s2
	s_waitcnt lgkmcnt(0)
	s_barrier
	s_waitcnt lgkmcnt(0)
	; wave barrier
	s_waitcnt vmcnt(12)
	v_lshrrev_b32_sdwa v5, s20, v3 dst_sel:DWORD dst_unused:UNUSED_PAD src0_sel:DWORD src1_sel:WORD_0
	v_and_b32_e32 v19, s21, v5
	v_and_b32_e32 v21, 1, v19
	v_lshlrev_b32_e32 v5, 30, v19
	s_waitcnt vmcnt(11)
	v_mad_u64_u32 v[0:1], s[2:3], v0, v1, v[2:3]
	v_add_co_u32_e32 v1, vcc, -1, v21
	v_addc_co_u32_e64 v22, s[2:3], 0, -1, vcc
	v_cmp_ne_u32_e32 vcc, 0, v21
	v_cmp_gt_i64_e64 s[2:3], 0, v[4:5]
	v_not_b32_e32 v21, v5
	v_lshlrev_b32_e32 v5, 29, v19
	v_lshrrev_b32_e32 v26, 6, v0
	v_xor_b32_e32 v0, vcc_hi, v22
	v_xor_b32_e32 v1, vcc_lo, v1
	v_ashrrev_i32_e32 v21, 31, v21
	v_cmp_gt_i64_e32 vcc, 0, v[4:5]
	v_not_b32_e32 v22, v5
	v_lshlrev_b32_e32 v5, 28, v19
	v_and_b32_e32 v0, exec_hi, v0
	v_and_b32_e32 v1, exec_lo, v1
	v_xor_b32_e32 v23, s3, v21
	v_xor_b32_e32 v21, s2, v21
	v_ashrrev_i32_e32 v22, 31, v22
	v_cmp_gt_i64_e64 s[2:3], 0, v[4:5]
	v_not_b32_e32 v5, v5
	v_and_b32_e32 v0, v0, v23
	v_and_b32_e32 v1, v1, v21
	v_xor_b32_e32 v21, vcc_hi, v22
	v_xor_b32_e32 v22, vcc_lo, v22
	v_ashrrev_i32_e32 v5, 31, v5
	v_and_b32_e32 v0, v0, v21
	v_and_b32_e32 v1, v1, v22
	v_xor_b32_e32 v21, s3, v5
	v_xor_b32_e32 v5, s2, v5
	v_and_b32_e32 v1, v1, v5
	v_lshlrev_b32_e32 v5, 27, v19
	v_cmp_gt_i64_e32 vcc, 0, v[4:5]
	v_not_b32_e32 v5, v5
	v_ashrrev_i32_e32 v5, 31, v5
	v_and_b32_e32 v0, v0, v21
	v_xor_b32_e32 v21, vcc_hi, v5
	v_xor_b32_e32 v5, vcc_lo, v5
	v_and_b32_e32 v1, v1, v5
	v_lshlrev_b32_e32 v5, 26, v19
	v_cmp_gt_i64_e32 vcc, 0, v[4:5]
	v_not_b32_e32 v5, v5
	v_ashrrev_i32_e32 v5, 31, v5
	v_and_b32_e32 v0, v0, v21
	v_xor_b32_e32 v21, vcc_hi, v5
	v_xor_b32_e32 v5, vcc_lo, v5
	;; [unrolled: 8-line block ×3, first 2 shown]
	v_and_b32_e32 v0, v0, v21
	v_and_b32_e32 v21, v1, v5
	v_lshlrev_b32_e32 v5, 24, v19
	v_not_b32_e32 v1, v5
	v_cmp_gt_i64_e32 vcc, 0, v[4:5]
	v_ashrrev_i32_e32 v1, 31, v1
	v_mul_u32_u24_e32 v20, 17, v19
	v_xor_b32_e32 v5, vcc_hi, v1
	v_xor_b32_e32 v19, vcc_lo, v1
	v_and_b32_e32 v1, v0, v5
	v_and_b32_e32 v0, v21, v19
	v_mbcnt_lo_u32_b32 v5, v0, 0
	v_mbcnt_hi_u32_b32 v19, v1, v5
	v_cmp_eq_u32_e32 vcc, 0, v19
	v_cmp_ne_u64_e64 s[2:3], 0, v[0:1]
	v_add_lshl_u32 v20, v26, v20, 2
	s_and_b64 s[4:5], s[2:3], vcc
	s_and_saveexec_b64 s[2:3], s[4:5]
	s_cbranch_execz .LBB544_103
; %bb.102:
	v_bcnt_u32_b32 v0, v0, 0
	v_bcnt_u32_b32 v0, v1, v0
	ds_write_b32 v20, v0 offset:64
.LBB544_103:
	s_or_b64 exec, exec, s[2:3]
	s_waitcnt vmcnt(10)
	v_lshrrev_b32_sdwa v0, s20, v16 dst_sel:DWORD dst_unused:UNUSED_PAD src0_sel:DWORD src1_sel:WORD_0
	v_and_b32_e32 v0, s21, v0
	v_mul_u32_u24_e32 v1, 17, v0
	v_add_lshl_u32 v22, v26, v1, 2
	v_and_b32_e32 v1, 1, v0
	v_add_co_u32_e32 v5, vcc, -1, v1
	v_addc_co_u32_e64 v23, s[2:3], 0, -1, vcc
	v_cmp_ne_u32_e32 vcc, 0, v1
	v_xor_b32_e32 v5, vcc_lo, v5
	v_xor_b32_e32 v1, vcc_hi, v23
	v_and_b32_e32 v23, exec_lo, v5
	v_lshlrev_b32_e32 v5, 30, v0
	v_cmp_gt_i64_e32 vcc, 0, v[4:5]
	v_not_b32_e32 v5, v5
	v_ashrrev_i32_e32 v5, 31, v5
	v_xor_b32_e32 v24, vcc_hi, v5
	v_xor_b32_e32 v5, vcc_lo, v5
	v_and_b32_e32 v23, v23, v5
	v_lshlrev_b32_e32 v5, 29, v0
	v_cmp_gt_i64_e32 vcc, 0, v[4:5]
	v_not_b32_e32 v5, v5
	v_and_b32_e32 v1, exec_hi, v1
	v_ashrrev_i32_e32 v5, 31, v5
	v_and_b32_e32 v1, v1, v24
	v_xor_b32_e32 v24, vcc_hi, v5
	v_xor_b32_e32 v5, vcc_lo, v5
	v_and_b32_e32 v23, v23, v5
	v_lshlrev_b32_e32 v5, 28, v0
	v_cmp_gt_i64_e32 vcc, 0, v[4:5]
	v_not_b32_e32 v5, v5
	v_ashrrev_i32_e32 v5, 31, v5
	v_and_b32_e32 v1, v1, v24
	v_xor_b32_e32 v24, vcc_hi, v5
	v_xor_b32_e32 v5, vcc_lo, v5
	v_and_b32_e32 v23, v23, v5
	v_lshlrev_b32_e32 v5, 27, v0
	v_cmp_gt_i64_e32 vcc, 0, v[4:5]
	v_not_b32_e32 v5, v5
	;; [unrolled: 8-line block ×4, first 2 shown]
	v_ashrrev_i32_e32 v5, 31, v5
	v_and_b32_e32 v1, v1, v24
	v_xor_b32_e32 v24, vcc_hi, v5
	v_xor_b32_e32 v5, vcc_lo, v5
	v_and_b32_e32 v23, v23, v5
	v_lshlrev_b32_e32 v5, 24, v0
	v_not_b32_e32 v0, v5
	v_cmp_gt_i64_e32 vcc, 0, v[4:5]
	v_ashrrev_i32_e32 v0, 31, v0
	v_xor_b32_e32 v4, vcc_hi, v0
	v_xor_b32_e32 v0, vcc_lo, v0
	; wave barrier
	ds_read_b32 v21, v22 offset:64
	v_and_b32_e32 v1, v1, v24
	v_and_b32_e32 v0, v23, v0
	;; [unrolled: 1-line block ×3, first 2 shown]
	v_mbcnt_lo_u32_b32 v4, v0, 0
	v_mbcnt_hi_u32_b32 v23, v1, v4
	v_cmp_eq_u32_e32 vcc, 0, v23
	v_cmp_ne_u64_e64 s[2:3], 0, v[0:1]
	s_and_b64 s[4:5], s[2:3], vcc
	; wave barrier
	s_and_saveexec_b64 s[2:3], s[4:5]
	s_cbranch_execz .LBB544_105
; %bb.104:
	v_bcnt_u32_b32 v0, v0, 0
	v_bcnt_u32_b32 v0, v1, v0
	s_waitcnt lgkmcnt(0)
	v_add_u32_e32 v0, v21, v0
	ds_write_b32 v22, v0 offset:64
.LBB544_105:
	s_or_b64 exec, exec, s[2:3]
	s_waitcnt vmcnt(9)
	v_lshrrev_b32_sdwa v0, s20, v15 dst_sel:DWORD dst_unused:UNUSED_PAD src0_sel:DWORD src1_sel:WORD_0
	v_and_b32_e32 v4, s21, v0
	v_and_b32_e32 v1, 1, v4
	v_add_co_u32_e32 v5, vcc, -1, v1
	v_addc_co_u32_e64 v27, s[2:3], 0, -1, vcc
	v_cmp_ne_u32_e32 vcc, 0, v1
	v_mul_u32_u24_e32 v0, 17, v4
	v_xor_b32_e32 v1, vcc_hi, v27
	v_add_lshl_u32 v25, v26, v0, 2
	v_mov_b32_e32 v0, 0
	v_and_b32_e32 v27, exec_hi, v1
	v_lshlrev_b32_e32 v1, 30, v4
	v_xor_b32_e32 v5, vcc_lo, v5
	v_cmp_gt_i64_e32 vcc, 0, v[0:1]
	v_not_b32_e32 v1, v1
	v_ashrrev_i32_e32 v1, 31, v1
	v_and_b32_e32 v5, exec_lo, v5
	v_xor_b32_e32 v28, vcc_hi, v1
	v_xor_b32_e32 v1, vcc_lo, v1
	v_and_b32_e32 v5, v5, v1
	v_lshlrev_b32_e32 v1, 29, v4
	v_cmp_gt_i64_e32 vcc, 0, v[0:1]
	v_not_b32_e32 v1, v1
	v_ashrrev_i32_e32 v1, 31, v1
	v_and_b32_e32 v27, v27, v28
	v_xor_b32_e32 v28, vcc_hi, v1
	v_xor_b32_e32 v1, vcc_lo, v1
	v_and_b32_e32 v5, v5, v1
	v_lshlrev_b32_e32 v1, 28, v4
	v_cmp_gt_i64_e32 vcc, 0, v[0:1]
	v_not_b32_e32 v1, v1
	v_ashrrev_i32_e32 v1, 31, v1
	v_and_b32_e32 v27, v27, v28
	;; [unrolled: 8-line block ×5, first 2 shown]
	v_xor_b32_e32 v28, vcc_hi, v1
	v_xor_b32_e32 v1, vcc_lo, v1
	v_and_b32_e32 v27, v27, v28
	v_and_b32_e32 v28, v5, v1
	v_lshlrev_b32_e32 v1, 24, v4
	v_cmp_gt_i64_e32 vcc, 0, v[0:1]
	v_not_b32_e32 v1, v1
	v_ashrrev_i32_e32 v1, 31, v1
	v_xor_b32_e32 v4, vcc_hi, v1
	v_xor_b32_e32 v1, vcc_lo, v1
	; wave barrier
	ds_read_b32 v24, v25 offset:64
	v_and_b32_e32 v5, v27, v4
	v_and_b32_e32 v4, v28, v1
	v_mbcnt_lo_u32_b32 v1, v4, 0
	v_mbcnt_hi_u32_b32 v27, v5, v1
	v_cmp_eq_u32_e32 vcc, 0, v27
	v_cmp_ne_u64_e64 s[2:3], 0, v[4:5]
	s_and_b64 s[4:5], s[2:3], vcc
	; wave barrier
	s_and_saveexec_b64 s[2:3], s[4:5]
	s_cbranch_execz .LBB544_107
; %bb.106:
	v_bcnt_u32_b32 v1, v4, 0
	v_bcnt_u32_b32 v1, v5, v1
	s_waitcnt lgkmcnt(0)
	v_add_u32_e32 v1, v24, v1
	ds_write_b32 v25, v1 offset:64
.LBB544_107:
	s_or_b64 exec, exec, s[2:3]
	s_waitcnt vmcnt(8)
	v_lshrrev_b32_sdwa v1, s20, v14 dst_sel:DWORD dst_unused:UNUSED_PAD src0_sel:DWORD src1_sel:WORD_0
	v_and_b32_e32 v4, s21, v1
	v_mul_u32_u24_e32 v1, 17, v4
	v_add_lshl_u32 v29, v26, v1, 2
	v_and_b32_e32 v1, 1, v4
	v_add_co_u32_e32 v5, vcc, -1, v1
	v_addc_co_u32_e64 v30, s[2:3], 0, -1, vcc
	v_cmp_ne_u32_e32 vcc, 0, v1
	v_xor_b32_e32 v1, vcc_hi, v30
	v_and_b32_e32 v30, exec_hi, v1
	v_lshlrev_b32_e32 v1, 30, v4
	v_xor_b32_e32 v5, vcc_lo, v5
	v_cmp_gt_i64_e32 vcc, 0, v[0:1]
	v_not_b32_e32 v1, v1
	v_ashrrev_i32_e32 v1, 31, v1
	v_and_b32_e32 v5, exec_lo, v5
	v_xor_b32_e32 v31, vcc_hi, v1
	v_xor_b32_e32 v1, vcc_lo, v1
	v_and_b32_e32 v5, v5, v1
	v_lshlrev_b32_e32 v1, 29, v4
	v_cmp_gt_i64_e32 vcc, 0, v[0:1]
	v_not_b32_e32 v1, v1
	v_ashrrev_i32_e32 v1, 31, v1
	v_and_b32_e32 v30, v30, v31
	v_xor_b32_e32 v31, vcc_hi, v1
	v_xor_b32_e32 v1, vcc_lo, v1
	v_and_b32_e32 v5, v5, v1
	v_lshlrev_b32_e32 v1, 28, v4
	v_cmp_gt_i64_e32 vcc, 0, v[0:1]
	v_not_b32_e32 v1, v1
	v_ashrrev_i32_e32 v1, 31, v1
	v_and_b32_e32 v30, v30, v31
	;; [unrolled: 8-line block ×5, first 2 shown]
	v_xor_b32_e32 v31, vcc_hi, v1
	v_xor_b32_e32 v1, vcc_lo, v1
	v_and_b32_e32 v5, v5, v1
	v_lshlrev_b32_e32 v1, 24, v4
	v_cmp_gt_i64_e32 vcc, 0, v[0:1]
	v_not_b32_e32 v0, v1
	v_ashrrev_i32_e32 v0, 31, v0
	v_xor_b32_e32 v1, vcc_hi, v0
	v_xor_b32_e32 v0, vcc_lo, v0
	; wave barrier
	ds_read_b32 v28, v29 offset:64
	v_and_b32_e32 v30, v30, v31
	v_and_b32_e32 v0, v5, v0
	;; [unrolled: 1-line block ×3, first 2 shown]
	v_mbcnt_lo_u32_b32 v4, v0, 0
	v_mbcnt_hi_u32_b32 v30, v1, v4
	v_cmp_eq_u32_e32 vcc, 0, v30
	v_cmp_ne_u64_e64 s[2:3], 0, v[0:1]
	s_and_b64 s[4:5], s[2:3], vcc
	; wave barrier
	s_and_saveexec_b64 s[2:3], s[4:5]
	s_cbranch_execz .LBB544_109
; %bb.108:
	v_bcnt_u32_b32 v0, v0, 0
	v_bcnt_u32_b32 v0, v1, v0
	s_waitcnt lgkmcnt(0)
	v_add_u32_e32 v0, v28, v0
	ds_write_b32 v29, v0 offset:64
.LBB544_109:
	s_or_b64 exec, exec, s[2:3]
	s_waitcnt vmcnt(7)
	v_lshrrev_b32_sdwa v0, s20, v13 dst_sel:DWORD dst_unused:UNUSED_PAD src0_sel:DWORD src1_sel:WORD_0
	v_and_b32_e32 v4, s21, v0
	v_and_b32_e32 v1, 1, v4
	v_add_co_u32_e32 v5, vcc, -1, v1
	v_addc_co_u32_e64 v33, s[2:3], 0, -1, vcc
	v_cmp_ne_u32_e32 vcc, 0, v1
	v_mul_u32_u24_e32 v0, 17, v4
	v_xor_b32_e32 v1, vcc_hi, v33
	v_add_lshl_u32 v32, v26, v0, 2
	v_mov_b32_e32 v0, 0
	v_and_b32_e32 v33, exec_hi, v1
	v_lshlrev_b32_e32 v1, 30, v4
	v_xor_b32_e32 v5, vcc_lo, v5
	v_cmp_gt_i64_e32 vcc, 0, v[0:1]
	v_not_b32_e32 v1, v1
	v_ashrrev_i32_e32 v1, 31, v1
	v_and_b32_e32 v5, exec_lo, v5
	v_xor_b32_e32 v34, vcc_hi, v1
	v_xor_b32_e32 v1, vcc_lo, v1
	v_and_b32_e32 v5, v5, v1
	v_lshlrev_b32_e32 v1, 29, v4
	v_cmp_gt_i64_e32 vcc, 0, v[0:1]
	v_not_b32_e32 v1, v1
	v_ashrrev_i32_e32 v1, 31, v1
	v_and_b32_e32 v33, v33, v34
	v_xor_b32_e32 v34, vcc_hi, v1
	v_xor_b32_e32 v1, vcc_lo, v1
	v_and_b32_e32 v5, v5, v1
	v_lshlrev_b32_e32 v1, 28, v4
	v_cmp_gt_i64_e32 vcc, 0, v[0:1]
	v_not_b32_e32 v1, v1
	v_ashrrev_i32_e32 v1, 31, v1
	v_and_b32_e32 v33, v33, v34
	;; [unrolled: 8-line block ×5, first 2 shown]
	v_xor_b32_e32 v34, vcc_hi, v1
	v_xor_b32_e32 v1, vcc_lo, v1
	v_and_b32_e32 v33, v33, v34
	v_and_b32_e32 v34, v5, v1
	v_lshlrev_b32_e32 v1, 24, v4
	v_cmp_gt_i64_e32 vcc, 0, v[0:1]
	v_not_b32_e32 v1, v1
	v_ashrrev_i32_e32 v1, 31, v1
	v_xor_b32_e32 v4, vcc_hi, v1
	v_xor_b32_e32 v1, vcc_lo, v1
	; wave barrier
	ds_read_b32 v31, v32 offset:64
	v_and_b32_e32 v5, v33, v4
	v_and_b32_e32 v4, v34, v1
	v_mbcnt_lo_u32_b32 v1, v4, 0
	v_mbcnt_hi_u32_b32 v33, v5, v1
	v_cmp_eq_u32_e32 vcc, 0, v33
	v_cmp_ne_u64_e64 s[2:3], 0, v[4:5]
	s_and_b64 s[4:5], s[2:3], vcc
	; wave barrier
	s_and_saveexec_b64 s[2:3], s[4:5]
	s_cbranch_execz .LBB544_111
; %bb.110:
	v_bcnt_u32_b32 v1, v4, 0
	v_bcnt_u32_b32 v1, v5, v1
	s_waitcnt lgkmcnt(0)
	v_add_u32_e32 v1, v31, v1
	ds_write_b32 v32, v1 offset:64
.LBB544_111:
	s_or_b64 exec, exec, s[2:3]
	s_waitcnt vmcnt(6)
	v_lshrrev_b32_sdwa v1, s20, v12 dst_sel:DWORD dst_unused:UNUSED_PAD src0_sel:DWORD src1_sel:WORD_0
	v_and_b32_e32 v4, s21, v1
	v_mul_u32_u24_e32 v1, 17, v4
	v_add_lshl_u32 v35, v26, v1, 2
	v_and_b32_e32 v1, 1, v4
	v_add_co_u32_e32 v5, vcc, -1, v1
	v_addc_co_u32_e64 v36, s[2:3], 0, -1, vcc
	v_cmp_ne_u32_e32 vcc, 0, v1
	v_xor_b32_e32 v1, vcc_hi, v36
	v_and_b32_e32 v36, exec_hi, v1
	v_lshlrev_b32_e32 v1, 30, v4
	v_xor_b32_e32 v5, vcc_lo, v5
	v_cmp_gt_i64_e32 vcc, 0, v[0:1]
	v_not_b32_e32 v1, v1
	v_ashrrev_i32_e32 v1, 31, v1
	v_and_b32_e32 v5, exec_lo, v5
	v_xor_b32_e32 v37, vcc_hi, v1
	v_xor_b32_e32 v1, vcc_lo, v1
	v_and_b32_e32 v5, v5, v1
	v_lshlrev_b32_e32 v1, 29, v4
	v_cmp_gt_i64_e32 vcc, 0, v[0:1]
	v_not_b32_e32 v1, v1
	v_ashrrev_i32_e32 v1, 31, v1
	v_and_b32_e32 v36, v36, v37
	v_xor_b32_e32 v37, vcc_hi, v1
	v_xor_b32_e32 v1, vcc_lo, v1
	v_and_b32_e32 v5, v5, v1
	v_lshlrev_b32_e32 v1, 28, v4
	v_cmp_gt_i64_e32 vcc, 0, v[0:1]
	v_not_b32_e32 v1, v1
	v_ashrrev_i32_e32 v1, 31, v1
	v_and_b32_e32 v36, v36, v37
	v_xor_b32_e32 v37, vcc_hi, v1
	v_xor_b32_e32 v1, vcc_lo, v1
	v_and_b32_e32 v5, v5, v1
	v_lshlrev_b32_e32 v1, 27, v4
	v_cmp_gt_i64_e32 vcc, 0, v[0:1]
	v_not_b32_e32 v1, v1
	v_ashrrev_i32_e32 v1, 31, v1
	v_and_b32_e32 v36, v36, v37
	v_xor_b32_e32 v37, vcc_hi, v1
	v_xor_b32_e32 v1, vcc_lo, v1
	v_and_b32_e32 v5, v5, v1
	v_lshlrev_b32_e32 v1, 26, v4
	v_cmp_gt_i64_e32 vcc, 0, v[0:1]
	v_not_b32_e32 v1, v1
	v_ashrrev_i32_e32 v1, 31, v1
	v_and_b32_e32 v36, v36, v37
	v_xor_b32_e32 v37, vcc_hi, v1
	v_xor_b32_e32 v1, vcc_lo, v1
	v_and_b32_e32 v5, v5, v1
	v_lshlrev_b32_e32 v1, 25, v4
	v_cmp_gt_i64_e32 vcc, 0, v[0:1]
	v_not_b32_e32 v1, v1
	v_ashrrev_i32_e32 v1, 31, v1
	v_and_b32_e32 v36, v36, v37
	v_xor_b32_e32 v37, vcc_hi, v1
	v_xor_b32_e32 v1, vcc_lo, v1
	v_and_b32_e32 v5, v5, v1
	v_lshlrev_b32_e32 v1, 24, v4
	v_cmp_gt_i64_e32 vcc, 0, v[0:1]
	v_not_b32_e32 v0, v1
	v_ashrrev_i32_e32 v0, 31, v0
	v_xor_b32_e32 v1, vcc_hi, v0
	v_xor_b32_e32 v0, vcc_lo, v0
	; wave barrier
	ds_read_b32 v34, v35 offset:64
	v_and_b32_e32 v36, v36, v37
	v_and_b32_e32 v0, v5, v0
	;; [unrolled: 1-line block ×3, first 2 shown]
	v_mbcnt_lo_u32_b32 v4, v0, 0
	v_mbcnt_hi_u32_b32 v36, v1, v4
	v_cmp_eq_u32_e32 vcc, 0, v36
	v_cmp_ne_u64_e64 s[2:3], 0, v[0:1]
	s_and_b64 s[4:5], s[2:3], vcc
	; wave barrier
	s_and_saveexec_b64 s[2:3], s[4:5]
	s_cbranch_execz .LBB544_113
; %bb.112:
	v_bcnt_u32_b32 v0, v0, 0
	v_bcnt_u32_b32 v0, v1, v0
	s_waitcnt lgkmcnt(0)
	v_add_u32_e32 v0, v34, v0
	ds_write_b32 v35, v0 offset:64
.LBB544_113:
	s_or_b64 exec, exec, s[2:3]
	s_waitcnt vmcnt(5)
	v_lshrrev_b32_sdwa v0, s20, v11 dst_sel:DWORD dst_unused:UNUSED_PAD src0_sel:DWORD src1_sel:WORD_0
	v_and_b32_e32 v4, s21, v0
	v_and_b32_e32 v1, 1, v4
	v_add_co_u32_e32 v5, vcc, -1, v1
	v_addc_co_u32_e64 v39, s[2:3], 0, -1, vcc
	v_cmp_ne_u32_e32 vcc, 0, v1
	v_mul_u32_u24_e32 v0, 17, v4
	v_xor_b32_e32 v1, vcc_hi, v39
	v_add_lshl_u32 v38, v26, v0, 2
	v_mov_b32_e32 v0, 0
	v_and_b32_e32 v39, exec_hi, v1
	v_lshlrev_b32_e32 v1, 30, v4
	v_xor_b32_e32 v5, vcc_lo, v5
	v_cmp_gt_i64_e32 vcc, 0, v[0:1]
	v_not_b32_e32 v1, v1
	v_ashrrev_i32_e32 v1, 31, v1
	v_and_b32_e32 v5, exec_lo, v5
	v_xor_b32_e32 v40, vcc_hi, v1
	v_xor_b32_e32 v1, vcc_lo, v1
	v_and_b32_e32 v5, v5, v1
	v_lshlrev_b32_e32 v1, 29, v4
	v_cmp_gt_i64_e32 vcc, 0, v[0:1]
	v_not_b32_e32 v1, v1
	v_ashrrev_i32_e32 v1, 31, v1
	v_and_b32_e32 v39, v39, v40
	v_xor_b32_e32 v40, vcc_hi, v1
	v_xor_b32_e32 v1, vcc_lo, v1
	v_and_b32_e32 v5, v5, v1
	v_lshlrev_b32_e32 v1, 28, v4
	v_cmp_gt_i64_e32 vcc, 0, v[0:1]
	v_not_b32_e32 v1, v1
	v_ashrrev_i32_e32 v1, 31, v1
	v_and_b32_e32 v39, v39, v40
	;; [unrolled: 8-line block ×5, first 2 shown]
	v_xor_b32_e32 v40, vcc_hi, v1
	v_xor_b32_e32 v1, vcc_lo, v1
	v_and_b32_e32 v39, v39, v40
	v_and_b32_e32 v40, v5, v1
	v_lshlrev_b32_e32 v1, 24, v4
	v_cmp_gt_i64_e32 vcc, 0, v[0:1]
	v_not_b32_e32 v1, v1
	v_ashrrev_i32_e32 v1, 31, v1
	v_xor_b32_e32 v4, vcc_hi, v1
	v_xor_b32_e32 v1, vcc_lo, v1
	; wave barrier
	ds_read_b32 v37, v38 offset:64
	v_and_b32_e32 v5, v39, v4
	v_and_b32_e32 v4, v40, v1
	v_mbcnt_lo_u32_b32 v1, v4, 0
	v_mbcnt_hi_u32_b32 v39, v5, v1
	v_cmp_eq_u32_e32 vcc, 0, v39
	v_cmp_ne_u64_e64 s[2:3], 0, v[4:5]
	s_and_b64 s[4:5], s[2:3], vcc
	; wave barrier
	s_and_saveexec_b64 s[2:3], s[4:5]
	s_cbranch_execz .LBB544_115
; %bb.114:
	v_bcnt_u32_b32 v1, v4, 0
	v_bcnt_u32_b32 v1, v5, v1
	s_waitcnt lgkmcnt(0)
	v_add_u32_e32 v1, v37, v1
	ds_write_b32 v38, v1 offset:64
.LBB544_115:
	s_or_b64 exec, exec, s[2:3]
	s_waitcnt vmcnt(4)
	v_lshrrev_b32_sdwa v1, s20, v10 dst_sel:DWORD dst_unused:UNUSED_PAD src0_sel:DWORD src1_sel:WORD_0
	v_and_b32_e32 v4, s21, v1
	v_mul_u32_u24_e32 v1, 17, v4
	v_add_lshl_u32 v41, v26, v1, 2
	v_and_b32_e32 v1, 1, v4
	v_add_co_u32_e32 v5, vcc, -1, v1
	v_addc_co_u32_e64 v42, s[2:3], 0, -1, vcc
	v_cmp_ne_u32_e32 vcc, 0, v1
	v_xor_b32_e32 v1, vcc_hi, v42
	v_and_b32_e32 v42, exec_hi, v1
	v_lshlrev_b32_e32 v1, 30, v4
	v_xor_b32_e32 v5, vcc_lo, v5
	v_cmp_gt_i64_e32 vcc, 0, v[0:1]
	v_not_b32_e32 v1, v1
	v_ashrrev_i32_e32 v1, 31, v1
	v_and_b32_e32 v5, exec_lo, v5
	v_xor_b32_e32 v43, vcc_hi, v1
	v_xor_b32_e32 v1, vcc_lo, v1
	v_and_b32_e32 v5, v5, v1
	v_lshlrev_b32_e32 v1, 29, v4
	v_cmp_gt_i64_e32 vcc, 0, v[0:1]
	v_not_b32_e32 v1, v1
	v_ashrrev_i32_e32 v1, 31, v1
	v_and_b32_e32 v42, v42, v43
	v_xor_b32_e32 v43, vcc_hi, v1
	v_xor_b32_e32 v1, vcc_lo, v1
	v_and_b32_e32 v5, v5, v1
	v_lshlrev_b32_e32 v1, 28, v4
	v_cmp_gt_i64_e32 vcc, 0, v[0:1]
	v_not_b32_e32 v1, v1
	v_ashrrev_i32_e32 v1, 31, v1
	v_and_b32_e32 v42, v42, v43
	;; [unrolled: 8-line block ×5, first 2 shown]
	v_xor_b32_e32 v43, vcc_hi, v1
	v_xor_b32_e32 v1, vcc_lo, v1
	v_and_b32_e32 v5, v5, v1
	v_lshlrev_b32_e32 v1, 24, v4
	v_cmp_gt_i64_e32 vcc, 0, v[0:1]
	v_not_b32_e32 v0, v1
	v_ashrrev_i32_e32 v0, 31, v0
	v_xor_b32_e32 v1, vcc_hi, v0
	v_xor_b32_e32 v0, vcc_lo, v0
	; wave barrier
	ds_read_b32 v40, v41 offset:64
	v_and_b32_e32 v42, v42, v43
	v_and_b32_e32 v0, v5, v0
	;; [unrolled: 1-line block ×3, first 2 shown]
	v_mbcnt_lo_u32_b32 v4, v0, 0
	v_mbcnt_hi_u32_b32 v42, v1, v4
	v_cmp_eq_u32_e32 vcc, 0, v42
	v_cmp_ne_u64_e64 s[2:3], 0, v[0:1]
	s_and_b64 s[4:5], s[2:3], vcc
	; wave barrier
	s_and_saveexec_b64 s[2:3], s[4:5]
	s_cbranch_execz .LBB544_117
; %bb.116:
	v_bcnt_u32_b32 v0, v0, 0
	v_bcnt_u32_b32 v0, v1, v0
	s_waitcnt lgkmcnt(0)
	v_add_u32_e32 v0, v40, v0
	ds_write_b32 v41, v0 offset:64
.LBB544_117:
	s_or_b64 exec, exec, s[2:3]
	s_waitcnt vmcnt(3)
	v_lshrrev_b32_sdwa v0, s20, v9 dst_sel:DWORD dst_unused:UNUSED_PAD src0_sel:DWORD src1_sel:WORD_0
	v_and_b32_e32 v4, s21, v0
	v_and_b32_e32 v1, 1, v4
	v_add_co_u32_e32 v5, vcc, -1, v1
	v_addc_co_u32_e64 v45, s[2:3], 0, -1, vcc
	v_cmp_ne_u32_e32 vcc, 0, v1
	v_mul_u32_u24_e32 v0, 17, v4
	v_xor_b32_e32 v1, vcc_hi, v45
	v_add_lshl_u32 v44, v26, v0, 2
	v_mov_b32_e32 v0, 0
	v_and_b32_e32 v45, exec_hi, v1
	v_lshlrev_b32_e32 v1, 30, v4
	v_xor_b32_e32 v5, vcc_lo, v5
	v_cmp_gt_i64_e32 vcc, 0, v[0:1]
	v_not_b32_e32 v1, v1
	v_ashrrev_i32_e32 v1, 31, v1
	v_and_b32_e32 v5, exec_lo, v5
	v_xor_b32_e32 v46, vcc_hi, v1
	v_xor_b32_e32 v1, vcc_lo, v1
	v_and_b32_e32 v5, v5, v1
	v_lshlrev_b32_e32 v1, 29, v4
	v_cmp_gt_i64_e32 vcc, 0, v[0:1]
	v_not_b32_e32 v1, v1
	v_ashrrev_i32_e32 v1, 31, v1
	v_and_b32_e32 v45, v45, v46
	v_xor_b32_e32 v46, vcc_hi, v1
	v_xor_b32_e32 v1, vcc_lo, v1
	v_and_b32_e32 v5, v5, v1
	v_lshlrev_b32_e32 v1, 28, v4
	v_cmp_gt_i64_e32 vcc, 0, v[0:1]
	v_not_b32_e32 v1, v1
	v_ashrrev_i32_e32 v1, 31, v1
	v_and_b32_e32 v45, v45, v46
	v_xor_b32_e32 v46, vcc_hi, v1
	v_xor_b32_e32 v1, vcc_lo, v1
	v_and_b32_e32 v5, v5, v1
	v_lshlrev_b32_e32 v1, 27, v4
	v_cmp_gt_i64_e32 vcc, 0, v[0:1]
	v_not_b32_e32 v1, v1
	v_ashrrev_i32_e32 v1, 31, v1
	v_and_b32_e32 v45, v45, v46
	v_xor_b32_e32 v46, vcc_hi, v1
	v_xor_b32_e32 v1, vcc_lo, v1
	v_and_b32_e32 v5, v5, v1
	v_lshlrev_b32_e32 v1, 26, v4
	v_cmp_gt_i64_e32 vcc, 0, v[0:1]
	v_not_b32_e32 v1, v1
	v_ashrrev_i32_e32 v1, 31, v1
	v_and_b32_e32 v45, v45, v46
	v_xor_b32_e32 v46, vcc_hi, v1
	v_xor_b32_e32 v1, vcc_lo, v1
	v_and_b32_e32 v5, v5, v1
	v_lshlrev_b32_e32 v1, 25, v4
	v_cmp_gt_i64_e32 vcc, 0, v[0:1]
	v_not_b32_e32 v1, v1
	v_ashrrev_i32_e32 v1, 31, v1
	v_and_b32_e32 v45, v45, v46
	v_xor_b32_e32 v46, vcc_hi, v1
	v_xor_b32_e32 v1, vcc_lo, v1
	v_and_b32_e32 v45, v45, v46
	v_and_b32_e32 v46, v5, v1
	v_lshlrev_b32_e32 v1, 24, v4
	v_cmp_gt_i64_e32 vcc, 0, v[0:1]
	v_not_b32_e32 v1, v1
	v_ashrrev_i32_e32 v1, 31, v1
	v_xor_b32_e32 v4, vcc_hi, v1
	v_xor_b32_e32 v1, vcc_lo, v1
	; wave barrier
	ds_read_b32 v43, v44 offset:64
	v_and_b32_e32 v5, v45, v4
	v_and_b32_e32 v4, v46, v1
	v_mbcnt_lo_u32_b32 v1, v4, 0
	v_mbcnt_hi_u32_b32 v45, v5, v1
	v_cmp_eq_u32_e32 vcc, 0, v45
	v_cmp_ne_u64_e64 s[2:3], 0, v[4:5]
	s_and_b64 s[4:5], s[2:3], vcc
	; wave barrier
	s_and_saveexec_b64 s[2:3], s[4:5]
	s_cbranch_execz .LBB544_119
; %bb.118:
	v_bcnt_u32_b32 v1, v4, 0
	v_bcnt_u32_b32 v1, v5, v1
	s_waitcnt lgkmcnt(0)
	v_add_u32_e32 v1, v43, v1
	ds_write_b32 v44, v1 offset:64
.LBB544_119:
	s_or_b64 exec, exec, s[2:3]
	s_waitcnt vmcnt(2)
	v_lshrrev_b32_sdwa v1, s20, v8 dst_sel:DWORD dst_unused:UNUSED_PAD src0_sel:DWORD src1_sel:WORD_0
	v_and_b32_e32 v4, s21, v1
	v_mul_u32_u24_e32 v1, 17, v4
	v_add_lshl_u32 v47, v26, v1, 2
	v_and_b32_e32 v1, 1, v4
	v_add_co_u32_e32 v5, vcc, -1, v1
	v_addc_co_u32_e64 v48, s[2:3], 0, -1, vcc
	v_cmp_ne_u32_e32 vcc, 0, v1
	v_xor_b32_e32 v1, vcc_hi, v48
	v_and_b32_e32 v48, exec_hi, v1
	v_lshlrev_b32_e32 v1, 30, v4
	v_xor_b32_e32 v5, vcc_lo, v5
	v_cmp_gt_i64_e32 vcc, 0, v[0:1]
	v_not_b32_e32 v1, v1
	v_ashrrev_i32_e32 v1, 31, v1
	v_and_b32_e32 v5, exec_lo, v5
	v_xor_b32_e32 v49, vcc_hi, v1
	v_xor_b32_e32 v1, vcc_lo, v1
	v_and_b32_e32 v5, v5, v1
	v_lshlrev_b32_e32 v1, 29, v4
	v_cmp_gt_i64_e32 vcc, 0, v[0:1]
	v_not_b32_e32 v1, v1
	v_ashrrev_i32_e32 v1, 31, v1
	v_and_b32_e32 v48, v48, v49
	v_xor_b32_e32 v49, vcc_hi, v1
	v_xor_b32_e32 v1, vcc_lo, v1
	v_and_b32_e32 v5, v5, v1
	v_lshlrev_b32_e32 v1, 28, v4
	v_cmp_gt_i64_e32 vcc, 0, v[0:1]
	v_not_b32_e32 v1, v1
	v_ashrrev_i32_e32 v1, 31, v1
	v_and_b32_e32 v48, v48, v49
	v_xor_b32_e32 v49, vcc_hi, v1
	v_xor_b32_e32 v1, vcc_lo, v1
	v_and_b32_e32 v5, v5, v1
	v_lshlrev_b32_e32 v1, 27, v4
	v_cmp_gt_i64_e32 vcc, 0, v[0:1]
	v_not_b32_e32 v1, v1
	v_ashrrev_i32_e32 v1, 31, v1
	v_and_b32_e32 v48, v48, v49
	v_xor_b32_e32 v49, vcc_hi, v1
	v_xor_b32_e32 v1, vcc_lo, v1
	v_and_b32_e32 v5, v5, v1
	v_lshlrev_b32_e32 v1, 26, v4
	v_cmp_gt_i64_e32 vcc, 0, v[0:1]
	v_not_b32_e32 v1, v1
	v_ashrrev_i32_e32 v1, 31, v1
	v_and_b32_e32 v48, v48, v49
	v_xor_b32_e32 v49, vcc_hi, v1
	v_xor_b32_e32 v1, vcc_lo, v1
	v_and_b32_e32 v5, v5, v1
	v_lshlrev_b32_e32 v1, 25, v4
	v_cmp_gt_i64_e32 vcc, 0, v[0:1]
	v_not_b32_e32 v1, v1
	v_ashrrev_i32_e32 v1, 31, v1
	v_and_b32_e32 v48, v48, v49
	v_xor_b32_e32 v49, vcc_hi, v1
	v_xor_b32_e32 v1, vcc_lo, v1
	v_and_b32_e32 v5, v5, v1
	v_lshlrev_b32_e32 v1, 24, v4
	v_cmp_gt_i64_e32 vcc, 0, v[0:1]
	v_not_b32_e32 v0, v1
	v_ashrrev_i32_e32 v0, 31, v0
	v_xor_b32_e32 v1, vcc_hi, v0
	v_xor_b32_e32 v0, vcc_lo, v0
	; wave barrier
	ds_read_b32 v46, v47 offset:64
	v_and_b32_e32 v48, v48, v49
	v_and_b32_e32 v0, v5, v0
	;; [unrolled: 1-line block ×3, first 2 shown]
	v_mbcnt_lo_u32_b32 v4, v0, 0
	v_mbcnt_hi_u32_b32 v48, v1, v4
	v_cmp_eq_u32_e32 vcc, 0, v48
	v_cmp_ne_u64_e64 s[2:3], 0, v[0:1]
	s_and_b64 s[4:5], s[2:3], vcc
	; wave barrier
	s_and_saveexec_b64 s[2:3], s[4:5]
	s_cbranch_execz .LBB544_121
; %bb.120:
	v_bcnt_u32_b32 v0, v0, 0
	v_bcnt_u32_b32 v0, v1, v0
	s_waitcnt lgkmcnt(0)
	v_add_u32_e32 v0, v46, v0
	ds_write_b32 v47, v0 offset:64
.LBB544_121:
	s_or_b64 exec, exec, s[2:3]
	s_waitcnt vmcnt(1)
	v_lshrrev_b32_sdwa v0, s20, v7 dst_sel:DWORD dst_unused:UNUSED_PAD src0_sel:DWORD src1_sel:WORD_0
	v_and_b32_e32 v4, s21, v0
	v_and_b32_e32 v1, 1, v4
	v_add_co_u32_e32 v5, vcc, -1, v1
	v_addc_co_u32_e64 v51, s[2:3], 0, -1, vcc
	v_cmp_ne_u32_e32 vcc, 0, v1
	v_mul_u32_u24_e32 v0, 17, v4
	v_xor_b32_e32 v1, vcc_hi, v51
	v_add_lshl_u32 v50, v26, v0, 2
	v_mov_b32_e32 v0, 0
	v_and_b32_e32 v51, exec_hi, v1
	v_lshlrev_b32_e32 v1, 30, v4
	v_xor_b32_e32 v5, vcc_lo, v5
	v_cmp_gt_i64_e32 vcc, 0, v[0:1]
	v_not_b32_e32 v1, v1
	v_ashrrev_i32_e32 v1, 31, v1
	v_and_b32_e32 v5, exec_lo, v5
	v_xor_b32_e32 v52, vcc_hi, v1
	v_xor_b32_e32 v1, vcc_lo, v1
	v_and_b32_e32 v5, v5, v1
	v_lshlrev_b32_e32 v1, 29, v4
	v_cmp_gt_i64_e32 vcc, 0, v[0:1]
	v_not_b32_e32 v1, v1
	v_ashrrev_i32_e32 v1, 31, v1
	v_and_b32_e32 v51, v51, v52
	v_xor_b32_e32 v52, vcc_hi, v1
	v_xor_b32_e32 v1, vcc_lo, v1
	v_and_b32_e32 v5, v5, v1
	v_lshlrev_b32_e32 v1, 28, v4
	v_cmp_gt_i64_e32 vcc, 0, v[0:1]
	v_not_b32_e32 v1, v1
	v_ashrrev_i32_e32 v1, 31, v1
	v_and_b32_e32 v51, v51, v52
	;; [unrolled: 8-line block ×5, first 2 shown]
	v_xor_b32_e32 v52, vcc_hi, v1
	v_xor_b32_e32 v1, vcc_lo, v1
	v_and_b32_e32 v51, v51, v52
	v_and_b32_e32 v52, v5, v1
	v_lshlrev_b32_e32 v1, 24, v4
	v_cmp_gt_i64_e32 vcc, 0, v[0:1]
	v_not_b32_e32 v1, v1
	v_ashrrev_i32_e32 v1, 31, v1
	v_xor_b32_e32 v4, vcc_hi, v1
	v_xor_b32_e32 v1, vcc_lo, v1
	; wave barrier
	ds_read_b32 v49, v50 offset:64
	v_and_b32_e32 v5, v51, v4
	v_and_b32_e32 v4, v52, v1
	v_mbcnt_lo_u32_b32 v1, v4, 0
	v_mbcnt_hi_u32_b32 v51, v5, v1
	v_cmp_eq_u32_e32 vcc, 0, v51
	v_cmp_ne_u64_e64 s[2:3], 0, v[4:5]
	s_and_b64 s[4:5], s[2:3], vcc
	; wave barrier
	s_and_saveexec_b64 s[2:3], s[4:5]
	s_cbranch_execz .LBB544_123
; %bb.122:
	v_bcnt_u32_b32 v1, v4, 0
	v_bcnt_u32_b32 v1, v5, v1
	s_waitcnt lgkmcnt(0)
	v_add_u32_e32 v1, v49, v1
	ds_write_b32 v50, v1 offset:64
.LBB544_123:
	s_or_b64 exec, exec, s[2:3]
	s_waitcnt vmcnt(0)
	v_lshrrev_b32_sdwa v1, s20, v6 dst_sel:DWORD dst_unused:UNUSED_PAD src0_sel:DWORD src1_sel:WORD_0
	v_and_b32_e32 v4, s21, v1
	v_mul_u32_u24_e32 v1, 17, v4
	v_add_lshl_u32 v52, v26, v1, 2
	v_and_b32_e32 v1, 1, v4
	v_add_co_u32_e32 v5, vcc, -1, v1
	v_addc_co_u32_e64 v54, s[2:3], 0, -1, vcc
	v_cmp_ne_u32_e32 vcc, 0, v1
	v_xor_b32_e32 v1, vcc_hi, v54
	v_and_b32_e32 v54, exec_hi, v1
	v_lshlrev_b32_e32 v1, 30, v4
	v_xor_b32_e32 v5, vcc_lo, v5
	v_cmp_gt_i64_e32 vcc, 0, v[0:1]
	v_not_b32_e32 v1, v1
	v_ashrrev_i32_e32 v1, 31, v1
	v_and_b32_e32 v5, exec_lo, v5
	v_xor_b32_e32 v55, vcc_hi, v1
	v_xor_b32_e32 v1, vcc_lo, v1
	v_and_b32_e32 v5, v5, v1
	v_lshlrev_b32_e32 v1, 29, v4
	v_cmp_gt_i64_e32 vcc, 0, v[0:1]
	v_not_b32_e32 v1, v1
	v_ashrrev_i32_e32 v1, 31, v1
	v_and_b32_e32 v54, v54, v55
	v_xor_b32_e32 v55, vcc_hi, v1
	v_xor_b32_e32 v1, vcc_lo, v1
	v_and_b32_e32 v5, v5, v1
	v_lshlrev_b32_e32 v1, 28, v4
	v_cmp_gt_i64_e32 vcc, 0, v[0:1]
	v_not_b32_e32 v1, v1
	v_ashrrev_i32_e32 v1, 31, v1
	v_and_b32_e32 v54, v54, v55
	;; [unrolled: 8-line block ×5, first 2 shown]
	v_xor_b32_e32 v55, vcc_hi, v1
	v_xor_b32_e32 v1, vcc_lo, v1
	v_and_b32_e32 v5, v5, v1
	v_lshlrev_b32_e32 v1, 24, v4
	v_cmp_gt_i64_e32 vcc, 0, v[0:1]
	v_not_b32_e32 v0, v1
	v_ashrrev_i32_e32 v0, 31, v0
	v_xor_b32_e32 v1, vcc_hi, v0
	v_xor_b32_e32 v0, vcc_lo, v0
	; wave barrier
	ds_read_b32 v26, v52 offset:64
	v_and_b32_e32 v54, v54, v55
	v_and_b32_e32 v0, v5, v0
	;; [unrolled: 1-line block ×3, first 2 shown]
	v_mbcnt_lo_u32_b32 v4, v0, 0
	v_mbcnt_hi_u32_b32 v54, v1, v4
	v_cmp_eq_u32_e32 vcc, 0, v54
	v_cmp_ne_u64_e64 s[2:3], 0, v[0:1]
	v_add_u32_e32 v53, 64, v18
	s_and_b64 s[4:5], s[2:3], vcc
	; wave barrier
	s_and_saveexec_b64 s[2:3], s[4:5]
	s_cbranch_execz .LBB544_125
; %bb.124:
	v_bcnt_u32_b32 v0, v0, 0
	v_bcnt_u32_b32 v0, v1, v0
	s_waitcnt lgkmcnt(0)
	v_add_u32_e32 v0, v26, v0
	ds_write_b32 v52, v0 offset:64
.LBB544_125:
	s_or_b64 exec, exec, s[2:3]
	; wave barrier
	s_waitcnt lgkmcnt(0)
	s_barrier
	ds_read2_b32 v[4:5], v18 offset0:16 offset1:17
	ds_read2_b32 v[0:1], v53 offset0:2 offset1:3
	ds_read_b32 v55, v53 offset:16
	v_cmp_lt_u32_e64 s[8:9], 31, v17
	s_waitcnt lgkmcnt(1)
	v_add3_u32 v56, v5, v4, v0
	s_waitcnt lgkmcnt(0)
	v_add3_u32 v55, v56, v1, v55
	v_and_b32_e32 v56, 15, v17
	v_cmp_eq_u32_e32 vcc, 0, v56
	v_mov_b32_dpp v57, v55 row_shr:1 row_mask:0xf bank_mask:0xf
	v_cndmask_b32_e64 v57, v57, 0, vcc
	v_add_u32_e32 v55, v57, v55
	v_cmp_lt_u32_e64 s[2:3], 1, v56
	v_cmp_lt_u32_e64 s[4:5], 3, v56
	v_mov_b32_dpp v57, v55 row_shr:2 row_mask:0xf bank_mask:0xf
	v_cndmask_b32_e64 v57, 0, v57, s[2:3]
	v_add_u32_e32 v55, v55, v57
	v_cmp_lt_u32_e64 s[6:7], 7, v56
	s_nop 0
	v_mov_b32_dpp v57, v55 row_shr:4 row_mask:0xf bank_mask:0xf
	v_cndmask_b32_e64 v57, 0, v57, s[4:5]
	v_add_u32_e32 v55, v55, v57
	s_nop 1
	v_mov_b32_dpp v57, v55 row_shr:8 row_mask:0xf bank_mask:0xf
	v_cndmask_b32_e64 v56, 0, v57, s[6:7]
	v_add_u32_e32 v55, v55, v56
	v_bfe_i32 v57, v17, 4, 1
	s_nop 0
	v_mov_b32_dpp v56, v55 row_bcast:15 row_mask:0xf bank_mask:0xf
	v_and_b32_e32 v56, v57, v56
	v_add_u32_e32 v55, v55, v56
	v_and_b32_e32 v57, 63, v2
	s_nop 0
	v_mov_b32_dpp v56, v55 row_bcast:31 row_mask:0xf bank_mask:0xf
	v_cndmask_b32_e64 v56, 0, v56, s[8:9]
	v_add_u32_e32 v55, v55, v56
	v_lshrrev_b32_e32 v56, 6, v2
	v_cmp_eq_u32_e64 s[8:9], 63, v57
	s_and_saveexec_b64 s[12:13], s[8:9]
	s_cbranch_execz .LBB544_127
; %bb.126:
	v_lshlrev_b32_e32 v57, 2, v56
	ds_write_b32 v57, v55
.LBB544_127:
	s_or_b64 exec, exec, s[12:13]
	v_cmp_gt_u32_e64 s[8:9], 16, v2
	s_waitcnt lgkmcnt(0)
	s_barrier
	s_and_saveexec_b64 s[12:13], s[8:9]
	s_cbranch_execz .LBB544_129
; %bb.128:
	v_lshlrev_b32_e32 v57, 2, v2
	ds_read_b32 v58, v57
	s_waitcnt lgkmcnt(0)
	s_nop 0
	v_mov_b32_dpp v59, v58 row_shr:1 row_mask:0xf bank_mask:0xf
	v_cndmask_b32_e64 v59, v59, 0, vcc
	v_add_u32_e32 v58, v59, v58
	s_nop 1
	v_mov_b32_dpp v59, v58 row_shr:2 row_mask:0xf bank_mask:0xf
	v_cndmask_b32_e64 v59, 0, v59, s[2:3]
	v_add_u32_e32 v58, v58, v59
	s_nop 1
	v_mov_b32_dpp v59, v58 row_shr:4 row_mask:0xf bank_mask:0xf
	v_cndmask_b32_e64 v59, 0, v59, s[4:5]
	;; [unrolled: 4-line block ×3, first 2 shown]
	v_add_u32_e32 v58, v58, v59
	ds_write_b32 v57, v58
.LBB544_129:
	s_or_b64 exec, exec, s[12:13]
	v_cmp_lt_u32_e32 vcc, 63, v2
	v_mov_b32_e32 v57, 0
	s_waitcnt lgkmcnt(0)
	s_barrier
	s_and_saveexec_b64 s[2:3], vcc
	s_cbranch_execz .LBB544_131
; %bb.130:
	v_lshl_add_u32 v56, v56, 2, -4
	ds_read_b32 v57, v56
.LBB544_131:
	s_or_b64 exec, exec, s[2:3]
	v_add_u32_e32 v56, -1, v17
	v_and_b32_e32 v58, 64, v17
	v_cmp_lt_i32_e32 vcc, v56, v58
	v_cndmask_b32_e32 v56, v56, v17, vcc
	s_waitcnt lgkmcnt(0)
	v_add_u32_e32 v55, v57, v55
	v_lshlrev_b32_e32 v56, 2, v56
	ds_bpermute_b32 v55, v56, v55
	v_cmp_eq_u32_e32 vcc, 0, v17
	s_movk_i32 s2, 0xff
	s_movk_i32 s3, 0x100
	s_waitcnt lgkmcnt(0)
	v_cndmask_b32_e32 v17, v55, v57, vcc
	v_cndmask_b32_e64 v17, v17, 0, s[0:1]
	v_add_u32_e32 v4, v17, v4
	v_add_u32_e32 v5, v4, v5
	;; [unrolled: 1-line block ×4, first 2 shown]
	ds_write2_b32 v18, v17, v4 offset0:16 offset1:17
	ds_write2_b32 v53, v5, v0 offset0:2 offset1:3
	ds_write_b32 v53, v1 offset:16
	s_waitcnt lgkmcnt(0)
	s_barrier
	ds_read_b32 v57, v20 offset:64
	ds_read_b32 v56, v22 offset:64
	;; [unrolled: 1-line block ×12, first 2 shown]
	v_cmp_lt_u32_e64 s[0:1], s2, v2
	v_cmp_gt_u32_e32 vcc, s3, v2
	v_pk_mov_b32 v[0:1], 0, 0
                                        ; implicit-def: $vgpr17
	s_and_saveexec_b64 s[4:5], vcc
	s_cbranch_execz .LBB544_135
; %bb.132:
	v_mul_u32_u24_e32 v0, 17, v2
	v_lshlrev_b32_e32 v17, 2, v0
	ds_read_b32 v0, v17 offset:64
	v_cmp_ne_u32_e64 s[2:3], s2, v2
	v_mov_b32_e32 v1, 0x3000
	s_and_saveexec_b64 s[6:7], s[2:3]
	s_cbranch_execz .LBB544_134
; %bb.133:
	ds_read_b32 v1, v17 offset:132
.LBB544_134:
	s_or_b64 exec, exec, s[6:7]
	s_waitcnt lgkmcnt(0)
	v_sub_u32_e32 v17, v1, v0
	v_mov_b32_e32 v1, 0
.LBB544_135:
	s_or_b64 exec, exec, s[4:5]
	v_add_u32_e32 v21, v23, v21
	s_waitcnt lgkmcnt(11)
	v_add_lshl_u32 v19, v57, v19, 1
	v_add_u32_e32 v24, v27, v24
	s_waitcnt lgkmcnt(0)
	s_barrier
	ds_write_b16 v19, v3 offset:2048
	v_add_lshl_u32 v3, v21, v56, 1
	v_add_u32_e32 v28, v30, v28
	ds_write_b16 v3, v16 offset:2048
	v_add_lshl_u32 v3, v24, v55, 1
	v_add_u32_e32 v31, v33, v31
	;; [unrolled: 3-line block ×9, first 2 shown]
	ds_write_b16 v3, v8 offset:2048
	v_add_lshl_u32 v3, v35, v5, 1
	ds_write_b16 v3, v7 offset:2048
	v_add_lshl_u32 v3, v26, v4, 1
	ds_write_b16 v3, v6 offset:2048
	s_and_saveexec_b64 s[2:3], s[0:1]
	s_xor_b64 s[0:1], exec, s[2:3]
; %bb.136:
	v_mov_b32_e32 v3, 0
; %bb.137:
	s_andn2_saveexec_b64 s[2:3], s[0:1]
	s_cbranch_execz .LBB544_147
; %bb.138:
	v_lshl_or_b32 v4, s30, 8, v2
	v_mov_b32_e32 v5, 0
	v_lshlrev_b64 v[6:7], 2, v[4:5]
	v_mov_b32_e32 v3, s15
	v_add_co_u32_e64 v6, s[0:1], s14, v6
	v_addc_co_u32_e64 v7, s[0:1], v3, v7, s[0:1]
	v_or_b32_e32 v4, 2.0, v17
	s_mov_b64 s[4:5], 0
	s_brev_b32 s12, 1
	s_mov_b32 s13, s30
	v_mov_b32_e32 v10, 0
	global_store_dword v[6:7], v4, off
                                        ; implicit-def: $sgpr0_sgpr1
	s_branch .LBB544_141
.LBB544_139:                            ;   in Loop: Header=BB544_141 Depth=1
	s_or_b64 exec, exec, s[8:9]
.LBB544_140:                            ;   in Loop: Header=BB544_141 Depth=1
	s_or_b64 exec, exec, s[6:7]
	v_and_b32_e32 v8, 0x3fffffff, v11
	v_add_u32_e32 v10, v8, v10
	v_cmp_eq_u32_e64 s[0:1], s12, v4
	s_and_b64 s[6:7], exec, s[0:1]
	s_or_b64 s[4:5], s[6:7], s[4:5]
	s_andn2_b64 exec, exec, s[4:5]
	s_cbranch_execz .LBB544_146
.LBB544_141:                            ; =>This Loop Header: Depth=1
                                        ;     Child Loop BB544_144 Depth 2
	s_or_b64 s[0:1], s[0:1], exec
	s_cmp_eq_u32 s13, 0
	s_cbranch_scc1 .LBB544_145
; %bb.142:                              ;   in Loop: Header=BB544_141 Depth=1
	s_add_i32 s13, s13, -1
	v_lshl_or_b32 v4, s13, 8, v2
	v_lshlrev_b64 v[8:9], 2, v[4:5]
	v_add_co_u32_e64 v8, s[0:1], s14, v8
	v_addc_co_u32_e64 v9, s[0:1], v3, v9, s[0:1]
	global_load_dword v11, v[8:9], off glc
	s_waitcnt vmcnt(0)
	v_and_b32_e32 v4, -2.0, v11
	v_cmp_eq_u32_e64 s[0:1], 0, v4
	s_and_saveexec_b64 s[6:7], s[0:1]
	s_cbranch_execz .LBB544_140
; %bb.143:                              ;   in Loop: Header=BB544_141 Depth=1
	s_mov_b64 s[8:9], 0
.LBB544_144:                            ;   Parent Loop BB544_141 Depth=1
                                        ; =>  This Inner Loop Header: Depth=2
	global_load_dword v11, v[8:9], off glc
	s_waitcnt vmcnt(0)
	v_and_b32_e32 v4, -2.0, v11
	v_cmp_ne_u32_e64 s[0:1], 0, v4
	s_or_b64 s[8:9], s[0:1], s[8:9]
	s_andn2_b64 exec, exec, s[8:9]
	s_cbranch_execnz .LBB544_144
	s_branch .LBB544_139
.LBB544_145:                            ;   in Loop: Header=BB544_141 Depth=1
                                        ; implicit-def: $sgpr13
	s_and_b64 s[6:7], exec, s[0:1]
	s_or_b64 s[4:5], s[6:7], s[4:5]
	s_andn2_b64 exec, exec, s[4:5]
	s_cbranch_execnz .LBB544_141
.LBB544_146:
	s_or_b64 exec, exec, s[4:5]
	v_add_u32_e32 v3, v10, v17
	v_or_b32_e32 v3, 0x80000000, v3
	global_store_dword v[6:7], v3, off
	v_lshlrev_b32_e32 v6, 3, v2
	global_load_dwordx2 v[4:5], v6, s[16:17]
	v_sub_co_u32_e64 v7, s[0:1], v10, v0
	v_subb_co_u32_e64 v8, s[0:1], 0, v1, s[0:1]
	v_mov_b32_e32 v3, 0
	s_waitcnt vmcnt(0)
	v_add_co_u32_e64 v4, s[0:1], v7, v4
	v_addc_co_u32_e64 v5, s[0:1], v8, v5, s[0:1]
	ds_write_b64 v6, v[4:5]
.LBB544_147:
	s_or_b64 exec, exec, s[2:3]
	v_lshlrev_b32_e32 v4, 1, v2
	s_waitcnt lgkmcnt(0)
	s_barrier
	ds_read_u16 v5, v4 offset:2048
	ds_read_u16 v16, v4 offset:4096
	;; [unrolled: 1-line block ×8, first 2 shown]
	s_waitcnt lgkmcnt(7)
	v_lshrrev_b32_sdwa v6, s20, v5 dst_sel:DWORD dst_unused:UNUSED_PAD src0_sel:DWORD src1_sel:WORD_0
	v_and_b32_e32 v6, s21, v6
	v_lshlrev_b32_e32 v6, 3, v6
	ds_read_b64 v[6:7], v6
	ds_read_u16 v24, v4 offset:18432
	ds_read_u16 v25, v4 offset:20480
	;; [unrolled: 1-line block ×4, first 2 shown]
	s_waitcnt lgkmcnt(4)
	v_lshlrev_b64 v[6:7], 1, v[6:7]
	v_mov_b32_e32 v8, s27
	v_add_co_u32_e64 v9, s[0:1], s26, v6
	v_addc_co_u32_e64 v10, s[0:1], v8, v7, s[0:1]
	v_lshlrev_b64 v[6:7], 1, v[2:3]
	v_add_co_u32_e64 v8, s[0:1], v9, v6
	v_addc_co_u32_e64 v9, s[0:1], v10, v7, s[0:1]
	global_store_short v[8:9], v5, off
	v_lshrrev_b32_sdwa v8, s20, v18 dst_sel:DWORD dst_unused:UNUSED_PAD src0_sel:DWORD src1_sel:WORD_0
	v_and_b32_e32 v8, s21, v8
	v_lshrrev_b32_sdwa v5, s20, v16 dst_sel:DWORD dst_unused:UNUSED_PAD src0_sel:DWORD src1_sel:WORD_0
	v_lshlrev_b32_e32 v10, 3, v8
	v_lshrrev_b32_sdwa v8, s20, v19 dst_sel:DWORD dst_unused:UNUSED_PAD src0_sel:DWORD src1_sel:WORD_0
	v_and_b32_e32 v5, s21, v5
	v_and_b32_e32 v8, s21, v8
	v_lshlrev_b32_e32 v5, 3, v5
	v_lshlrev_b32_e32 v12, 3, v8
	v_lshrrev_b32_sdwa v8, s20, v20 dst_sel:DWORD dst_unused:UNUSED_PAD src0_sel:DWORD src1_sel:WORD_0
	v_and_b32_e32 v11, s21, v8
	ds_read_b64 v[8:9], v5
	v_lshlrev_b32_e32 v5, 3, v11
	ds_read_b64 v[10:11], v10
	ds_read_b64 v[12:13], v12
	;; [unrolled: 1-line block ×3, first 2 shown]
	v_mov_b32_e32 v5, s27
	s_add_i32 s22, s22, -1
	s_waitcnt lgkmcnt(3)
	v_lshlrev_b64 v[8:9], 1, v[8:9]
	v_add_co_u32_e64 v8, s[0:1], s26, v8
	v_addc_co_u32_e64 v5, s[0:1], v5, v9, s[0:1]
	v_add_co_u32_e64 v6, s[0:1], v8, v6
	v_addc_co_u32_e64 v7, s[0:1], v5, v7, s[0:1]
	global_store_short v[6:7], v16, off offset:2048
	s_waitcnt lgkmcnt(2)
	v_lshlrev_b64 v[6:7], 1, v[10:11]
	v_mov_b32_e32 v5, s27
	v_add_co_u32_e64 v6, s[0:1], s26, v6
	v_addc_co_u32_e64 v5, s[0:1], v5, v7, s[0:1]
	v_or_b32_e32 v7, 0x1000, v4
	v_add_co_u32_e64 v6, s[0:1], v6, v7
	v_addc_co_u32_e64 v7, s[0:1], 0, v5, s[0:1]
	global_store_short v[6:7], v18, off
	s_waitcnt lgkmcnt(1)
	v_lshlrev_b64 v[6:7], 1, v[12:13]
	v_mov_b32_e32 v5, s27
	v_add_co_u32_e64 v6, s[0:1], s26, v6
	v_addc_co_u32_e64 v5, s[0:1], v5, v7, s[0:1]
	v_or_b32_e32 v7, 0x1800, v4
	v_add_co_u32_e64 v6, s[0:1], v6, v7
	v_addc_co_u32_e64 v7, s[0:1], 0, v5, s[0:1]
	global_store_short v[6:7], v19, off
	;; [unrolled: 9-line block ×3, first 2 shown]
	v_lshrrev_b32_sdwa v6, s20, v22 dst_sel:DWORD dst_unused:UNUSED_PAD src0_sel:DWORD src1_sel:WORD_0
	v_and_b32_e32 v6, s21, v6
	v_lshrrev_b32_sdwa v5, s20, v21 dst_sel:DWORD dst_unused:UNUSED_PAD src0_sel:DWORD src1_sel:WORD_0
	v_lshlrev_b32_e32 v8, 3, v6
	v_lshrrev_b32_sdwa v6, s20, v23 dst_sel:DWORD dst_unused:UNUSED_PAD src0_sel:DWORD src1_sel:WORD_0
	v_and_b32_e32 v5, s21, v5
	v_and_b32_e32 v6, s21, v6
	v_lshlrev_b32_e32 v5, 3, v5
	v_lshlrev_b32_e32 v10, 3, v6
	v_lshrrev_b32_sdwa v6, s20, v24 dst_sel:DWORD dst_unused:UNUSED_PAD src0_sel:DWORD src1_sel:WORD_0
	v_and_b32_e32 v9, s21, v6
	ds_read_b64 v[6:7], v5
	v_lshlrev_b32_e32 v5, 3, v9
	ds_read_b64 v[8:9], v8
	ds_read_b64 v[10:11], v10
	;; [unrolled: 1-line block ×3, first 2 shown]
	v_mov_b32_e32 v5, s27
	s_cmp_eq_u32 s22, s30
	s_waitcnt lgkmcnt(3)
	v_lshlrev_b64 v[6:7], 1, v[6:7]
	v_add_co_u32_e64 v6, s[0:1], s26, v6
	v_addc_co_u32_e64 v5, s[0:1], v5, v7, s[0:1]
	v_or_b32_e32 v7, 0x2800, v4
	v_add_co_u32_e64 v6, s[0:1], v6, v7
	v_addc_co_u32_e64 v7, s[0:1], 0, v5, s[0:1]
	global_store_short v[6:7], v21, off
	s_waitcnt lgkmcnt(2)
	v_lshlrev_b64 v[6:7], 1, v[8:9]
	v_mov_b32_e32 v5, s27
	v_add_co_u32_e64 v6, s[0:1], s26, v6
	v_addc_co_u32_e64 v5, s[0:1], v5, v7, s[0:1]
	v_or_b32_e32 v7, 0x3000, v4
	v_add_co_u32_e64 v6, s[0:1], v6, v7
	v_addc_co_u32_e64 v7, s[0:1], 0, v5, s[0:1]
	global_store_short v[6:7], v22, off
	s_waitcnt lgkmcnt(1)
	v_lshlrev_b64 v[6:7], 1, v[10:11]
	v_mov_b32_e32 v5, s27
	;; [unrolled: 9-line block ×3, first 2 shown]
	v_add_co_u32_e64 v6, s[0:1], s26, v6
	v_addc_co_u32_e64 v5, s[0:1], v5, v7, s[0:1]
	v_or_b32_e32 v7, 0x4000, v4
	v_add_co_u32_e64 v6, s[0:1], v6, v7
	v_addc_co_u32_e64 v7, s[0:1], 0, v5, s[0:1]
	v_lshrrev_b32_sdwa v5, s20, v25 dst_sel:DWORD dst_unused:UNUSED_PAD src0_sel:DWORD src1_sel:WORD_0
	global_store_short v[6:7], v24, off
	v_and_b32_e32 v5, s21, v5
	v_lshrrev_b32_sdwa v6, s20, v26 dst_sel:DWORD dst_unused:UNUSED_PAD src0_sel:DWORD src1_sel:WORD_0
	v_lshlrev_b32_e32 v5, 3, v5
	v_and_b32_e32 v6, s21, v6
	v_lshlrev_b32_e32 v8, 3, v6
	ds_read_b64 v[6:7], v5
	v_lshrrev_b32_sdwa v9, s20, v27 dst_sel:DWORD dst_unused:UNUSED_PAD src0_sel:DWORD src1_sel:WORD_0
	v_and_b32_e32 v5, s21, v9
	v_lshlrev_b32_e32 v5, 3, v5
	ds_read_b64 v[8:9], v8
	ds_read_b64 v[10:11], v5
	s_waitcnt lgkmcnt(2)
	v_lshlrev_b64 v[6:7], 1, v[6:7]
	v_mov_b32_e32 v5, s27
	v_add_co_u32_e64 v6, s[0:1], s26, v6
	v_addc_co_u32_e64 v5, s[0:1], v5, v7, s[0:1]
	v_or_b32_e32 v7, 0x4800, v4
	v_add_co_u32_e64 v6, s[0:1], v6, v7
	v_addc_co_u32_e64 v7, s[0:1], 0, v5, s[0:1]
	global_store_short v[6:7], v25, off
	s_waitcnt lgkmcnt(1)
	v_lshlrev_b64 v[6:7], 1, v[8:9]
	v_mov_b32_e32 v5, s27
	v_add_co_u32_e64 v6, s[0:1], s26, v6
	v_addc_co_u32_e64 v5, s[0:1], v5, v7, s[0:1]
	v_or_b32_e32 v7, 0x5000, v4
	v_add_co_u32_e64 v6, s[0:1], v6, v7
	v_addc_co_u32_e64 v7, s[0:1], 0, v5, s[0:1]
	global_store_short v[6:7], v26, off
	s_waitcnt lgkmcnt(0)
	v_lshlrev_b64 v[6:7], 1, v[10:11]
	v_mov_b32_e32 v5, s27
	v_add_co_u32_e64 v6, s[0:1], s26, v6
	v_addc_co_u32_e64 v5, s[0:1], v5, v7, s[0:1]
	v_or_b32_e32 v4, 0x5800, v4
	v_add_co_u32_e64 v4, s[0:1], v6, v4
	v_addc_co_u32_e64 v5, s[0:1], 0, v5, s[0:1]
	s_cselect_b64 s[0:1], -1, 0
	s_and_b64 s[2:3], vcc, s[0:1]
	global_store_short v[4:5], v27, off
                                        ; implicit-def: $vgpr6_vgpr7
	s_and_saveexec_b64 s[0:1], s[2:3]
; %bb.148:
	v_add_co_u32_e32 v6, vcc, v0, v17
	v_addc_co_u32_e32 v7, vcc, 0, v1, vcc
	s_or_b64 s[10:11], s[10:11], exec
; %bb.149:
	s_or_b64 exec, exec, s[0:1]
.LBB544_150:
	s_and_saveexec_b64 s[0:1], s[10:11]
	s_cbranch_execnz .LBB544_152
; %bb.151:
	s_endpgm
.LBB544_152:
	v_lshlrev_b32_e32 v4, 3, v2
	v_lshlrev_b64 v[0:1], 3, v[2:3]
	ds_read_b64 v[2:3], v4
	v_mov_b32_e32 v5, s19
	v_add_co_u32_e32 v0, vcc, s18, v0
	v_addc_co_u32_e32 v1, vcc, v5, v1, vcc
	s_waitcnt lgkmcnt(0)
	v_add_co_u32_e32 v2, vcc, v2, v6
	v_addc_co_u32_e32 v3, vcc, v3, v7, vcc
	global_store_dwordx2 v[0:1], v[2:3], off
	s_endpgm
	.section	.rodata,"a",@progbits
	.p2align	6, 0x0
	.amdhsa_kernel _ZN7rocprim17ROCPRIM_400000_NS6detail17trampoline_kernelINS0_14default_configENS1_35radix_sort_onesweep_config_selectorItNS0_10empty_typeEEEZZNS1_29radix_sort_onesweep_iterationIS3_Lb0EPtS8_PS5_S9_mNS0_19identity_decomposerENS1_16block_id_wrapperIjLb1EEEEE10hipError_tT1_PNSt15iterator_traitsISE_E10value_typeET2_T3_PNSF_ISK_E10value_typeET4_T5_PSP_SQ_PNS1_23onesweep_lookback_stateEbbT6_jjT7_P12ihipStream_tbENKUlT_T0_SE_SJ_E_clIS8_S8_S9_S9_EEDaSX_SY_SE_SJ_EUlSX_E_NS1_11comp_targetILNS1_3genE4ELNS1_11target_archE910ELNS1_3gpuE8ELNS1_3repE0EEENS1_47radix_sort_onesweep_sort_config_static_selectorELNS0_4arch9wavefront6targetE1EEEvSE_
		.amdhsa_group_segment_fixed_size 26632
		.amdhsa_private_segment_fixed_size 0
		.amdhsa_kernarg_size 344
		.amdhsa_user_sgpr_count 6
		.amdhsa_user_sgpr_private_segment_buffer 1
		.amdhsa_user_sgpr_dispatch_ptr 0
		.amdhsa_user_sgpr_queue_ptr 0
		.amdhsa_user_sgpr_kernarg_segment_ptr 1
		.amdhsa_user_sgpr_dispatch_id 0
		.amdhsa_user_sgpr_flat_scratch_init 0
		.amdhsa_user_sgpr_kernarg_preload_length 0
		.amdhsa_user_sgpr_kernarg_preload_offset 0
		.amdhsa_user_sgpr_private_segment_size 0
		.amdhsa_uses_dynamic_stack 0
		.amdhsa_system_sgpr_private_segment_wavefront_offset 0
		.amdhsa_system_sgpr_workgroup_id_x 1
		.amdhsa_system_sgpr_workgroup_id_y 0
		.amdhsa_system_sgpr_workgroup_id_z 0
		.amdhsa_system_sgpr_workgroup_info 0
		.amdhsa_system_vgpr_workitem_id 2
		.amdhsa_next_free_vgpr 62
		.amdhsa_next_free_sgpr 35
		.amdhsa_accum_offset 64
		.amdhsa_reserve_vcc 1
		.amdhsa_reserve_flat_scratch 0
		.amdhsa_float_round_mode_32 0
		.amdhsa_float_round_mode_16_64 0
		.amdhsa_float_denorm_mode_32 3
		.amdhsa_float_denorm_mode_16_64 3
		.amdhsa_dx10_clamp 1
		.amdhsa_ieee_mode 1
		.amdhsa_fp16_overflow 0
		.amdhsa_tg_split 0
		.amdhsa_exception_fp_ieee_invalid_op 0
		.amdhsa_exception_fp_denorm_src 0
		.amdhsa_exception_fp_ieee_div_zero 0
		.amdhsa_exception_fp_ieee_overflow 0
		.amdhsa_exception_fp_ieee_underflow 0
		.amdhsa_exception_fp_ieee_inexact 0
		.amdhsa_exception_int_div_zero 0
	.end_amdhsa_kernel
	.section	.text._ZN7rocprim17ROCPRIM_400000_NS6detail17trampoline_kernelINS0_14default_configENS1_35radix_sort_onesweep_config_selectorItNS0_10empty_typeEEEZZNS1_29radix_sort_onesweep_iterationIS3_Lb0EPtS8_PS5_S9_mNS0_19identity_decomposerENS1_16block_id_wrapperIjLb1EEEEE10hipError_tT1_PNSt15iterator_traitsISE_E10value_typeET2_T3_PNSF_ISK_E10value_typeET4_T5_PSP_SQ_PNS1_23onesweep_lookback_stateEbbT6_jjT7_P12ihipStream_tbENKUlT_T0_SE_SJ_E_clIS8_S8_S9_S9_EEDaSX_SY_SE_SJ_EUlSX_E_NS1_11comp_targetILNS1_3genE4ELNS1_11target_archE910ELNS1_3gpuE8ELNS1_3repE0EEENS1_47radix_sort_onesweep_sort_config_static_selectorELNS0_4arch9wavefront6targetE1EEEvSE_,"axG",@progbits,_ZN7rocprim17ROCPRIM_400000_NS6detail17trampoline_kernelINS0_14default_configENS1_35radix_sort_onesweep_config_selectorItNS0_10empty_typeEEEZZNS1_29radix_sort_onesweep_iterationIS3_Lb0EPtS8_PS5_S9_mNS0_19identity_decomposerENS1_16block_id_wrapperIjLb1EEEEE10hipError_tT1_PNSt15iterator_traitsISE_E10value_typeET2_T3_PNSF_ISK_E10value_typeET4_T5_PSP_SQ_PNS1_23onesweep_lookback_stateEbbT6_jjT7_P12ihipStream_tbENKUlT_T0_SE_SJ_E_clIS8_S8_S9_S9_EEDaSX_SY_SE_SJ_EUlSX_E_NS1_11comp_targetILNS1_3genE4ELNS1_11target_archE910ELNS1_3gpuE8ELNS1_3repE0EEENS1_47radix_sort_onesweep_sort_config_static_selectorELNS0_4arch9wavefront6targetE1EEEvSE_,comdat
.Lfunc_end544:
	.size	_ZN7rocprim17ROCPRIM_400000_NS6detail17trampoline_kernelINS0_14default_configENS1_35radix_sort_onesweep_config_selectorItNS0_10empty_typeEEEZZNS1_29radix_sort_onesweep_iterationIS3_Lb0EPtS8_PS5_S9_mNS0_19identity_decomposerENS1_16block_id_wrapperIjLb1EEEEE10hipError_tT1_PNSt15iterator_traitsISE_E10value_typeET2_T3_PNSF_ISK_E10value_typeET4_T5_PSP_SQ_PNS1_23onesweep_lookback_stateEbbT6_jjT7_P12ihipStream_tbENKUlT_T0_SE_SJ_E_clIS8_S8_S9_S9_EEDaSX_SY_SE_SJ_EUlSX_E_NS1_11comp_targetILNS1_3genE4ELNS1_11target_archE910ELNS1_3gpuE8ELNS1_3repE0EEENS1_47radix_sort_onesweep_sort_config_static_selectorELNS0_4arch9wavefront6targetE1EEEvSE_, .Lfunc_end544-_ZN7rocprim17ROCPRIM_400000_NS6detail17trampoline_kernelINS0_14default_configENS1_35radix_sort_onesweep_config_selectorItNS0_10empty_typeEEEZZNS1_29radix_sort_onesweep_iterationIS3_Lb0EPtS8_PS5_S9_mNS0_19identity_decomposerENS1_16block_id_wrapperIjLb1EEEEE10hipError_tT1_PNSt15iterator_traitsISE_E10value_typeET2_T3_PNSF_ISK_E10value_typeET4_T5_PSP_SQ_PNS1_23onesweep_lookback_stateEbbT6_jjT7_P12ihipStream_tbENKUlT_T0_SE_SJ_E_clIS8_S8_S9_S9_EEDaSX_SY_SE_SJ_EUlSX_E_NS1_11comp_targetILNS1_3genE4ELNS1_11target_archE910ELNS1_3gpuE8ELNS1_3repE0EEENS1_47radix_sort_onesweep_sort_config_static_selectorELNS0_4arch9wavefront6targetE1EEEvSE_
                                        ; -- End function
	.section	.AMDGPU.csdata,"",@progbits
; Kernel info:
; codeLenInByte = 15728
; NumSgprs: 39
; NumVgprs: 62
; NumAgprs: 0
; TotalNumVgprs: 62
; ScratchSize: 0
; MemoryBound: 0
; FloatMode: 240
; IeeeMode: 1
; LDSByteSize: 26632 bytes/workgroup (compile time only)
; SGPRBlocks: 4
; VGPRBlocks: 7
; NumSGPRsForWavesPerEU: 39
; NumVGPRsForWavesPerEU: 62
; AccumOffset: 64
; Occupancy: 8
; WaveLimiterHint : 1
; COMPUTE_PGM_RSRC2:SCRATCH_EN: 0
; COMPUTE_PGM_RSRC2:USER_SGPR: 6
; COMPUTE_PGM_RSRC2:TRAP_HANDLER: 0
; COMPUTE_PGM_RSRC2:TGID_X_EN: 1
; COMPUTE_PGM_RSRC2:TGID_Y_EN: 0
; COMPUTE_PGM_RSRC2:TGID_Z_EN: 0
; COMPUTE_PGM_RSRC2:TIDIG_COMP_CNT: 2
; COMPUTE_PGM_RSRC3_GFX90A:ACCUM_OFFSET: 15
; COMPUTE_PGM_RSRC3_GFX90A:TG_SPLIT: 0
	.section	.text._ZN7rocprim17ROCPRIM_400000_NS6detail17trampoline_kernelINS0_14default_configENS1_35radix_sort_onesweep_config_selectorItNS0_10empty_typeEEEZZNS1_29radix_sort_onesweep_iterationIS3_Lb0EPtS8_PS5_S9_mNS0_19identity_decomposerENS1_16block_id_wrapperIjLb1EEEEE10hipError_tT1_PNSt15iterator_traitsISE_E10value_typeET2_T3_PNSF_ISK_E10value_typeET4_T5_PSP_SQ_PNS1_23onesweep_lookback_stateEbbT6_jjT7_P12ihipStream_tbENKUlT_T0_SE_SJ_E_clIS8_S8_S9_S9_EEDaSX_SY_SE_SJ_EUlSX_E_NS1_11comp_targetILNS1_3genE3ELNS1_11target_archE908ELNS1_3gpuE7ELNS1_3repE0EEENS1_47radix_sort_onesweep_sort_config_static_selectorELNS0_4arch9wavefront6targetE1EEEvSE_,"axG",@progbits,_ZN7rocprim17ROCPRIM_400000_NS6detail17trampoline_kernelINS0_14default_configENS1_35radix_sort_onesweep_config_selectorItNS0_10empty_typeEEEZZNS1_29radix_sort_onesweep_iterationIS3_Lb0EPtS8_PS5_S9_mNS0_19identity_decomposerENS1_16block_id_wrapperIjLb1EEEEE10hipError_tT1_PNSt15iterator_traitsISE_E10value_typeET2_T3_PNSF_ISK_E10value_typeET4_T5_PSP_SQ_PNS1_23onesweep_lookback_stateEbbT6_jjT7_P12ihipStream_tbENKUlT_T0_SE_SJ_E_clIS8_S8_S9_S9_EEDaSX_SY_SE_SJ_EUlSX_E_NS1_11comp_targetILNS1_3genE3ELNS1_11target_archE908ELNS1_3gpuE7ELNS1_3repE0EEENS1_47radix_sort_onesweep_sort_config_static_selectorELNS0_4arch9wavefront6targetE1EEEvSE_,comdat
	.protected	_ZN7rocprim17ROCPRIM_400000_NS6detail17trampoline_kernelINS0_14default_configENS1_35radix_sort_onesweep_config_selectorItNS0_10empty_typeEEEZZNS1_29radix_sort_onesweep_iterationIS3_Lb0EPtS8_PS5_S9_mNS0_19identity_decomposerENS1_16block_id_wrapperIjLb1EEEEE10hipError_tT1_PNSt15iterator_traitsISE_E10value_typeET2_T3_PNSF_ISK_E10value_typeET4_T5_PSP_SQ_PNS1_23onesweep_lookback_stateEbbT6_jjT7_P12ihipStream_tbENKUlT_T0_SE_SJ_E_clIS8_S8_S9_S9_EEDaSX_SY_SE_SJ_EUlSX_E_NS1_11comp_targetILNS1_3genE3ELNS1_11target_archE908ELNS1_3gpuE7ELNS1_3repE0EEENS1_47radix_sort_onesweep_sort_config_static_selectorELNS0_4arch9wavefront6targetE1EEEvSE_ ; -- Begin function _ZN7rocprim17ROCPRIM_400000_NS6detail17trampoline_kernelINS0_14default_configENS1_35radix_sort_onesweep_config_selectorItNS0_10empty_typeEEEZZNS1_29radix_sort_onesweep_iterationIS3_Lb0EPtS8_PS5_S9_mNS0_19identity_decomposerENS1_16block_id_wrapperIjLb1EEEEE10hipError_tT1_PNSt15iterator_traitsISE_E10value_typeET2_T3_PNSF_ISK_E10value_typeET4_T5_PSP_SQ_PNS1_23onesweep_lookback_stateEbbT6_jjT7_P12ihipStream_tbENKUlT_T0_SE_SJ_E_clIS8_S8_S9_S9_EEDaSX_SY_SE_SJ_EUlSX_E_NS1_11comp_targetILNS1_3genE3ELNS1_11target_archE908ELNS1_3gpuE7ELNS1_3repE0EEENS1_47radix_sort_onesweep_sort_config_static_selectorELNS0_4arch9wavefront6targetE1EEEvSE_
	.globl	_ZN7rocprim17ROCPRIM_400000_NS6detail17trampoline_kernelINS0_14default_configENS1_35radix_sort_onesweep_config_selectorItNS0_10empty_typeEEEZZNS1_29radix_sort_onesweep_iterationIS3_Lb0EPtS8_PS5_S9_mNS0_19identity_decomposerENS1_16block_id_wrapperIjLb1EEEEE10hipError_tT1_PNSt15iterator_traitsISE_E10value_typeET2_T3_PNSF_ISK_E10value_typeET4_T5_PSP_SQ_PNS1_23onesweep_lookback_stateEbbT6_jjT7_P12ihipStream_tbENKUlT_T0_SE_SJ_E_clIS8_S8_S9_S9_EEDaSX_SY_SE_SJ_EUlSX_E_NS1_11comp_targetILNS1_3genE3ELNS1_11target_archE908ELNS1_3gpuE7ELNS1_3repE0EEENS1_47radix_sort_onesweep_sort_config_static_selectorELNS0_4arch9wavefront6targetE1EEEvSE_
	.p2align	8
	.type	_ZN7rocprim17ROCPRIM_400000_NS6detail17trampoline_kernelINS0_14default_configENS1_35radix_sort_onesweep_config_selectorItNS0_10empty_typeEEEZZNS1_29radix_sort_onesweep_iterationIS3_Lb0EPtS8_PS5_S9_mNS0_19identity_decomposerENS1_16block_id_wrapperIjLb1EEEEE10hipError_tT1_PNSt15iterator_traitsISE_E10value_typeET2_T3_PNSF_ISK_E10value_typeET4_T5_PSP_SQ_PNS1_23onesweep_lookback_stateEbbT6_jjT7_P12ihipStream_tbENKUlT_T0_SE_SJ_E_clIS8_S8_S9_S9_EEDaSX_SY_SE_SJ_EUlSX_E_NS1_11comp_targetILNS1_3genE3ELNS1_11target_archE908ELNS1_3gpuE7ELNS1_3repE0EEENS1_47radix_sort_onesweep_sort_config_static_selectorELNS0_4arch9wavefront6targetE1EEEvSE_,@function
_ZN7rocprim17ROCPRIM_400000_NS6detail17trampoline_kernelINS0_14default_configENS1_35radix_sort_onesweep_config_selectorItNS0_10empty_typeEEEZZNS1_29radix_sort_onesweep_iterationIS3_Lb0EPtS8_PS5_S9_mNS0_19identity_decomposerENS1_16block_id_wrapperIjLb1EEEEE10hipError_tT1_PNSt15iterator_traitsISE_E10value_typeET2_T3_PNSF_ISK_E10value_typeET4_T5_PSP_SQ_PNS1_23onesweep_lookback_stateEbbT6_jjT7_P12ihipStream_tbENKUlT_T0_SE_SJ_E_clIS8_S8_S9_S9_EEDaSX_SY_SE_SJ_EUlSX_E_NS1_11comp_targetILNS1_3genE3ELNS1_11target_archE908ELNS1_3gpuE7ELNS1_3repE0EEENS1_47radix_sort_onesweep_sort_config_static_selectorELNS0_4arch9wavefront6targetE1EEEvSE_: ; @_ZN7rocprim17ROCPRIM_400000_NS6detail17trampoline_kernelINS0_14default_configENS1_35radix_sort_onesweep_config_selectorItNS0_10empty_typeEEEZZNS1_29radix_sort_onesweep_iterationIS3_Lb0EPtS8_PS5_S9_mNS0_19identity_decomposerENS1_16block_id_wrapperIjLb1EEEEE10hipError_tT1_PNSt15iterator_traitsISE_E10value_typeET2_T3_PNSF_ISK_E10value_typeET4_T5_PSP_SQ_PNS1_23onesweep_lookback_stateEbbT6_jjT7_P12ihipStream_tbENKUlT_T0_SE_SJ_E_clIS8_S8_S9_S9_EEDaSX_SY_SE_SJ_EUlSX_E_NS1_11comp_targetILNS1_3genE3ELNS1_11target_archE908ELNS1_3gpuE7ELNS1_3repE0EEENS1_47radix_sort_onesweep_sort_config_static_selectorELNS0_4arch9wavefront6targetE1EEEvSE_
; %bb.0:
	.section	.rodata,"a",@progbits
	.p2align	6, 0x0
	.amdhsa_kernel _ZN7rocprim17ROCPRIM_400000_NS6detail17trampoline_kernelINS0_14default_configENS1_35radix_sort_onesweep_config_selectorItNS0_10empty_typeEEEZZNS1_29radix_sort_onesweep_iterationIS3_Lb0EPtS8_PS5_S9_mNS0_19identity_decomposerENS1_16block_id_wrapperIjLb1EEEEE10hipError_tT1_PNSt15iterator_traitsISE_E10value_typeET2_T3_PNSF_ISK_E10value_typeET4_T5_PSP_SQ_PNS1_23onesweep_lookback_stateEbbT6_jjT7_P12ihipStream_tbENKUlT_T0_SE_SJ_E_clIS8_S8_S9_S9_EEDaSX_SY_SE_SJ_EUlSX_E_NS1_11comp_targetILNS1_3genE3ELNS1_11target_archE908ELNS1_3gpuE7ELNS1_3repE0EEENS1_47radix_sort_onesweep_sort_config_static_selectorELNS0_4arch9wavefront6targetE1EEEvSE_
		.amdhsa_group_segment_fixed_size 0
		.amdhsa_private_segment_fixed_size 0
		.amdhsa_kernarg_size 88
		.amdhsa_user_sgpr_count 6
		.amdhsa_user_sgpr_private_segment_buffer 1
		.amdhsa_user_sgpr_dispatch_ptr 0
		.amdhsa_user_sgpr_queue_ptr 0
		.amdhsa_user_sgpr_kernarg_segment_ptr 1
		.amdhsa_user_sgpr_dispatch_id 0
		.amdhsa_user_sgpr_flat_scratch_init 0
		.amdhsa_user_sgpr_kernarg_preload_length 0
		.amdhsa_user_sgpr_kernarg_preload_offset 0
		.amdhsa_user_sgpr_private_segment_size 0
		.amdhsa_uses_dynamic_stack 0
		.amdhsa_system_sgpr_private_segment_wavefront_offset 0
		.amdhsa_system_sgpr_workgroup_id_x 1
		.amdhsa_system_sgpr_workgroup_id_y 0
		.amdhsa_system_sgpr_workgroup_id_z 0
		.amdhsa_system_sgpr_workgroup_info 0
		.amdhsa_system_vgpr_workitem_id 0
		.amdhsa_next_free_vgpr 1
		.amdhsa_next_free_sgpr 0
		.amdhsa_accum_offset 4
		.amdhsa_reserve_vcc 0
		.amdhsa_reserve_flat_scratch 0
		.amdhsa_float_round_mode_32 0
		.amdhsa_float_round_mode_16_64 0
		.amdhsa_float_denorm_mode_32 3
		.amdhsa_float_denorm_mode_16_64 3
		.amdhsa_dx10_clamp 1
		.amdhsa_ieee_mode 1
		.amdhsa_fp16_overflow 0
		.amdhsa_tg_split 0
		.amdhsa_exception_fp_ieee_invalid_op 0
		.amdhsa_exception_fp_denorm_src 0
		.amdhsa_exception_fp_ieee_div_zero 0
		.amdhsa_exception_fp_ieee_overflow 0
		.amdhsa_exception_fp_ieee_underflow 0
		.amdhsa_exception_fp_ieee_inexact 0
		.amdhsa_exception_int_div_zero 0
	.end_amdhsa_kernel
	.section	.text._ZN7rocprim17ROCPRIM_400000_NS6detail17trampoline_kernelINS0_14default_configENS1_35radix_sort_onesweep_config_selectorItNS0_10empty_typeEEEZZNS1_29radix_sort_onesweep_iterationIS3_Lb0EPtS8_PS5_S9_mNS0_19identity_decomposerENS1_16block_id_wrapperIjLb1EEEEE10hipError_tT1_PNSt15iterator_traitsISE_E10value_typeET2_T3_PNSF_ISK_E10value_typeET4_T5_PSP_SQ_PNS1_23onesweep_lookback_stateEbbT6_jjT7_P12ihipStream_tbENKUlT_T0_SE_SJ_E_clIS8_S8_S9_S9_EEDaSX_SY_SE_SJ_EUlSX_E_NS1_11comp_targetILNS1_3genE3ELNS1_11target_archE908ELNS1_3gpuE7ELNS1_3repE0EEENS1_47radix_sort_onesweep_sort_config_static_selectorELNS0_4arch9wavefront6targetE1EEEvSE_,"axG",@progbits,_ZN7rocprim17ROCPRIM_400000_NS6detail17trampoline_kernelINS0_14default_configENS1_35radix_sort_onesweep_config_selectorItNS0_10empty_typeEEEZZNS1_29radix_sort_onesweep_iterationIS3_Lb0EPtS8_PS5_S9_mNS0_19identity_decomposerENS1_16block_id_wrapperIjLb1EEEEE10hipError_tT1_PNSt15iterator_traitsISE_E10value_typeET2_T3_PNSF_ISK_E10value_typeET4_T5_PSP_SQ_PNS1_23onesweep_lookback_stateEbbT6_jjT7_P12ihipStream_tbENKUlT_T0_SE_SJ_E_clIS8_S8_S9_S9_EEDaSX_SY_SE_SJ_EUlSX_E_NS1_11comp_targetILNS1_3genE3ELNS1_11target_archE908ELNS1_3gpuE7ELNS1_3repE0EEENS1_47radix_sort_onesweep_sort_config_static_selectorELNS0_4arch9wavefront6targetE1EEEvSE_,comdat
.Lfunc_end545:
	.size	_ZN7rocprim17ROCPRIM_400000_NS6detail17trampoline_kernelINS0_14default_configENS1_35radix_sort_onesweep_config_selectorItNS0_10empty_typeEEEZZNS1_29radix_sort_onesweep_iterationIS3_Lb0EPtS8_PS5_S9_mNS0_19identity_decomposerENS1_16block_id_wrapperIjLb1EEEEE10hipError_tT1_PNSt15iterator_traitsISE_E10value_typeET2_T3_PNSF_ISK_E10value_typeET4_T5_PSP_SQ_PNS1_23onesweep_lookback_stateEbbT6_jjT7_P12ihipStream_tbENKUlT_T0_SE_SJ_E_clIS8_S8_S9_S9_EEDaSX_SY_SE_SJ_EUlSX_E_NS1_11comp_targetILNS1_3genE3ELNS1_11target_archE908ELNS1_3gpuE7ELNS1_3repE0EEENS1_47radix_sort_onesweep_sort_config_static_selectorELNS0_4arch9wavefront6targetE1EEEvSE_, .Lfunc_end545-_ZN7rocprim17ROCPRIM_400000_NS6detail17trampoline_kernelINS0_14default_configENS1_35radix_sort_onesweep_config_selectorItNS0_10empty_typeEEEZZNS1_29radix_sort_onesweep_iterationIS3_Lb0EPtS8_PS5_S9_mNS0_19identity_decomposerENS1_16block_id_wrapperIjLb1EEEEE10hipError_tT1_PNSt15iterator_traitsISE_E10value_typeET2_T3_PNSF_ISK_E10value_typeET4_T5_PSP_SQ_PNS1_23onesweep_lookback_stateEbbT6_jjT7_P12ihipStream_tbENKUlT_T0_SE_SJ_E_clIS8_S8_S9_S9_EEDaSX_SY_SE_SJ_EUlSX_E_NS1_11comp_targetILNS1_3genE3ELNS1_11target_archE908ELNS1_3gpuE7ELNS1_3repE0EEENS1_47radix_sort_onesweep_sort_config_static_selectorELNS0_4arch9wavefront6targetE1EEEvSE_
                                        ; -- End function
	.section	.AMDGPU.csdata,"",@progbits
; Kernel info:
; codeLenInByte = 0
; NumSgprs: 4
; NumVgprs: 0
; NumAgprs: 0
; TotalNumVgprs: 0
; ScratchSize: 0
; MemoryBound: 0
; FloatMode: 240
; IeeeMode: 1
; LDSByteSize: 0 bytes/workgroup (compile time only)
; SGPRBlocks: 0
; VGPRBlocks: 0
; NumSGPRsForWavesPerEU: 4
; NumVGPRsForWavesPerEU: 1
; AccumOffset: 4
; Occupancy: 8
; WaveLimiterHint : 0
; COMPUTE_PGM_RSRC2:SCRATCH_EN: 0
; COMPUTE_PGM_RSRC2:USER_SGPR: 6
; COMPUTE_PGM_RSRC2:TRAP_HANDLER: 0
; COMPUTE_PGM_RSRC2:TGID_X_EN: 1
; COMPUTE_PGM_RSRC2:TGID_Y_EN: 0
; COMPUTE_PGM_RSRC2:TGID_Z_EN: 0
; COMPUTE_PGM_RSRC2:TIDIG_COMP_CNT: 0
; COMPUTE_PGM_RSRC3_GFX90A:ACCUM_OFFSET: 0
; COMPUTE_PGM_RSRC3_GFX90A:TG_SPLIT: 0
	.section	.text._ZN7rocprim17ROCPRIM_400000_NS6detail17trampoline_kernelINS0_14default_configENS1_35radix_sort_onesweep_config_selectorItNS0_10empty_typeEEEZZNS1_29radix_sort_onesweep_iterationIS3_Lb0EPtS8_PS5_S9_mNS0_19identity_decomposerENS1_16block_id_wrapperIjLb1EEEEE10hipError_tT1_PNSt15iterator_traitsISE_E10value_typeET2_T3_PNSF_ISK_E10value_typeET4_T5_PSP_SQ_PNS1_23onesweep_lookback_stateEbbT6_jjT7_P12ihipStream_tbENKUlT_T0_SE_SJ_E_clIS8_S8_S9_S9_EEDaSX_SY_SE_SJ_EUlSX_E_NS1_11comp_targetILNS1_3genE10ELNS1_11target_archE1201ELNS1_3gpuE5ELNS1_3repE0EEENS1_47radix_sort_onesweep_sort_config_static_selectorELNS0_4arch9wavefront6targetE1EEEvSE_,"axG",@progbits,_ZN7rocprim17ROCPRIM_400000_NS6detail17trampoline_kernelINS0_14default_configENS1_35radix_sort_onesweep_config_selectorItNS0_10empty_typeEEEZZNS1_29radix_sort_onesweep_iterationIS3_Lb0EPtS8_PS5_S9_mNS0_19identity_decomposerENS1_16block_id_wrapperIjLb1EEEEE10hipError_tT1_PNSt15iterator_traitsISE_E10value_typeET2_T3_PNSF_ISK_E10value_typeET4_T5_PSP_SQ_PNS1_23onesweep_lookback_stateEbbT6_jjT7_P12ihipStream_tbENKUlT_T0_SE_SJ_E_clIS8_S8_S9_S9_EEDaSX_SY_SE_SJ_EUlSX_E_NS1_11comp_targetILNS1_3genE10ELNS1_11target_archE1201ELNS1_3gpuE5ELNS1_3repE0EEENS1_47radix_sort_onesweep_sort_config_static_selectorELNS0_4arch9wavefront6targetE1EEEvSE_,comdat
	.protected	_ZN7rocprim17ROCPRIM_400000_NS6detail17trampoline_kernelINS0_14default_configENS1_35radix_sort_onesweep_config_selectorItNS0_10empty_typeEEEZZNS1_29radix_sort_onesweep_iterationIS3_Lb0EPtS8_PS5_S9_mNS0_19identity_decomposerENS1_16block_id_wrapperIjLb1EEEEE10hipError_tT1_PNSt15iterator_traitsISE_E10value_typeET2_T3_PNSF_ISK_E10value_typeET4_T5_PSP_SQ_PNS1_23onesweep_lookback_stateEbbT6_jjT7_P12ihipStream_tbENKUlT_T0_SE_SJ_E_clIS8_S8_S9_S9_EEDaSX_SY_SE_SJ_EUlSX_E_NS1_11comp_targetILNS1_3genE10ELNS1_11target_archE1201ELNS1_3gpuE5ELNS1_3repE0EEENS1_47radix_sort_onesweep_sort_config_static_selectorELNS0_4arch9wavefront6targetE1EEEvSE_ ; -- Begin function _ZN7rocprim17ROCPRIM_400000_NS6detail17trampoline_kernelINS0_14default_configENS1_35radix_sort_onesweep_config_selectorItNS0_10empty_typeEEEZZNS1_29radix_sort_onesweep_iterationIS3_Lb0EPtS8_PS5_S9_mNS0_19identity_decomposerENS1_16block_id_wrapperIjLb1EEEEE10hipError_tT1_PNSt15iterator_traitsISE_E10value_typeET2_T3_PNSF_ISK_E10value_typeET4_T5_PSP_SQ_PNS1_23onesweep_lookback_stateEbbT6_jjT7_P12ihipStream_tbENKUlT_T0_SE_SJ_E_clIS8_S8_S9_S9_EEDaSX_SY_SE_SJ_EUlSX_E_NS1_11comp_targetILNS1_3genE10ELNS1_11target_archE1201ELNS1_3gpuE5ELNS1_3repE0EEENS1_47radix_sort_onesweep_sort_config_static_selectorELNS0_4arch9wavefront6targetE1EEEvSE_
	.globl	_ZN7rocprim17ROCPRIM_400000_NS6detail17trampoline_kernelINS0_14default_configENS1_35radix_sort_onesweep_config_selectorItNS0_10empty_typeEEEZZNS1_29radix_sort_onesweep_iterationIS3_Lb0EPtS8_PS5_S9_mNS0_19identity_decomposerENS1_16block_id_wrapperIjLb1EEEEE10hipError_tT1_PNSt15iterator_traitsISE_E10value_typeET2_T3_PNSF_ISK_E10value_typeET4_T5_PSP_SQ_PNS1_23onesweep_lookback_stateEbbT6_jjT7_P12ihipStream_tbENKUlT_T0_SE_SJ_E_clIS8_S8_S9_S9_EEDaSX_SY_SE_SJ_EUlSX_E_NS1_11comp_targetILNS1_3genE10ELNS1_11target_archE1201ELNS1_3gpuE5ELNS1_3repE0EEENS1_47radix_sort_onesweep_sort_config_static_selectorELNS0_4arch9wavefront6targetE1EEEvSE_
	.p2align	8
	.type	_ZN7rocprim17ROCPRIM_400000_NS6detail17trampoline_kernelINS0_14default_configENS1_35radix_sort_onesweep_config_selectorItNS0_10empty_typeEEEZZNS1_29radix_sort_onesweep_iterationIS3_Lb0EPtS8_PS5_S9_mNS0_19identity_decomposerENS1_16block_id_wrapperIjLb1EEEEE10hipError_tT1_PNSt15iterator_traitsISE_E10value_typeET2_T3_PNSF_ISK_E10value_typeET4_T5_PSP_SQ_PNS1_23onesweep_lookback_stateEbbT6_jjT7_P12ihipStream_tbENKUlT_T0_SE_SJ_E_clIS8_S8_S9_S9_EEDaSX_SY_SE_SJ_EUlSX_E_NS1_11comp_targetILNS1_3genE10ELNS1_11target_archE1201ELNS1_3gpuE5ELNS1_3repE0EEENS1_47radix_sort_onesweep_sort_config_static_selectorELNS0_4arch9wavefront6targetE1EEEvSE_,@function
_ZN7rocprim17ROCPRIM_400000_NS6detail17trampoline_kernelINS0_14default_configENS1_35radix_sort_onesweep_config_selectorItNS0_10empty_typeEEEZZNS1_29radix_sort_onesweep_iterationIS3_Lb0EPtS8_PS5_S9_mNS0_19identity_decomposerENS1_16block_id_wrapperIjLb1EEEEE10hipError_tT1_PNSt15iterator_traitsISE_E10value_typeET2_T3_PNSF_ISK_E10value_typeET4_T5_PSP_SQ_PNS1_23onesweep_lookback_stateEbbT6_jjT7_P12ihipStream_tbENKUlT_T0_SE_SJ_E_clIS8_S8_S9_S9_EEDaSX_SY_SE_SJ_EUlSX_E_NS1_11comp_targetILNS1_3genE10ELNS1_11target_archE1201ELNS1_3gpuE5ELNS1_3repE0EEENS1_47radix_sort_onesweep_sort_config_static_selectorELNS0_4arch9wavefront6targetE1EEEvSE_: ; @_ZN7rocprim17ROCPRIM_400000_NS6detail17trampoline_kernelINS0_14default_configENS1_35radix_sort_onesweep_config_selectorItNS0_10empty_typeEEEZZNS1_29radix_sort_onesweep_iterationIS3_Lb0EPtS8_PS5_S9_mNS0_19identity_decomposerENS1_16block_id_wrapperIjLb1EEEEE10hipError_tT1_PNSt15iterator_traitsISE_E10value_typeET2_T3_PNSF_ISK_E10value_typeET4_T5_PSP_SQ_PNS1_23onesweep_lookback_stateEbbT6_jjT7_P12ihipStream_tbENKUlT_T0_SE_SJ_E_clIS8_S8_S9_S9_EEDaSX_SY_SE_SJ_EUlSX_E_NS1_11comp_targetILNS1_3genE10ELNS1_11target_archE1201ELNS1_3gpuE5ELNS1_3repE0EEENS1_47radix_sort_onesweep_sort_config_static_selectorELNS0_4arch9wavefront6targetE1EEEvSE_
; %bb.0:
	.section	.rodata,"a",@progbits
	.p2align	6, 0x0
	.amdhsa_kernel _ZN7rocprim17ROCPRIM_400000_NS6detail17trampoline_kernelINS0_14default_configENS1_35radix_sort_onesweep_config_selectorItNS0_10empty_typeEEEZZNS1_29radix_sort_onesweep_iterationIS3_Lb0EPtS8_PS5_S9_mNS0_19identity_decomposerENS1_16block_id_wrapperIjLb1EEEEE10hipError_tT1_PNSt15iterator_traitsISE_E10value_typeET2_T3_PNSF_ISK_E10value_typeET4_T5_PSP_SQ_PNS1_23onesweep_lookback_stateEbbT6_jjT7_P12ihipStream_tbENKUlT_T0_SE_SJ_E_clIS8_S8_S9_S9_EEDaSX_SY_SE_SJ_EUlSX_E_NS1_11comp_targetILNS1_3genE10ELNS1_11target_archE1201ELNS1_3gpuE5ELNS1_3repE0EEENS1_47radix_sort_onesweep_sort_config_static_selectorELNS0_4arch9wavefront6targetE1EEEvSE_
		.amdhsa_group_segment_fixed_size 0
		.amdhsa_private_segment_fixed_size 0
		.amdhsa_kernarg_size 88
		.amdhsa_user_sgpr_count 6
		.amdhsa_user_sgpr_private_segment_buffer 1
		.amdhsa_user_sgpr_dispatch_ptr 0
		.amdhsa_user_sgpr_queue_ptr 0
		.amdhsa_user_sgpr_kernarg_segment_ptr 1
		.amdhsa_user_sgpr_dispatch_id 0
		.amdhsa_user_sgpr_flat_scratch_init 0
		.amdhsa_user_sgpr_kernarg_preload_length 0
		.amdhsa_user_sgpr_kernarg_preload_offset 0
		.amdhsa_user_sgpr_private_segment_size 0
		.amdhsa_uses_dynamic_stack 0
		.amdhsa_system_sgpr_private_segment_wavefront_offset 0
		.amdhsa_system_sgpr_workgroup_id_x 1
		.amdhsa_system_sgpr_workgroup_id_y 0
		.amdhsa_system_sgpr_workgroup_id_z 0
		.amdhsa_system_sgpr_workgroup_info 0
		.amdhsa_system_vgpr_workitem_id 0
		.amdhsa_next_free_vgpr 1
		.amdhsa_next_free_sgpr 0
		.amdhsa_accum_offset 4
		.amdhsa_reserve_vcc 0
		.amdhsa_reserve_flat_scratch 0
		.amdhsa_float_round_mode_32 0
		.amdhsa_float_round_mode_16_64 0
		.amdhsa_float_denorm_mode_32 3
		.amdhsa_float_denorm_mode_16_64 3
		.amdhsa_dx10_clamp 1
		.amdhsa_ieee_mode 1
		.amdhsa_fp16_overflow 0
		.amdhsa_tg_split 0
		.amdhsa_exception_fp_ieee_invalid_op 0
		.amdhsa_exception_fp_denorm_src 0
		.amdhsa_exception_fp_ieee_div_zero 0
		.amdhsa_exception_fp_ieee_overflow 0
		.amdhsa_exception_fp_ieee_underflow 0
		.amdhsa_exception_fp_ieee_inexact 0
		.amdhsa_exception_int_div_zero 0
	.end_amdhsa_kernel
	.section	.text._ZN7rocprim17ROCPRIM_400000_NS6detail17trampoline_kernelINS0_14default_configENS1_35radix_sort_onesweep_config_selectorItNS0_10empty_typeEEEZZNS1_29radix_sort_onesweep_iterationIS3_Lb0EPtS8_PS5_S9_mNS0_19identity_decomposerENS1_16block_id_wrapperIjLb1EEEEE10hipError_tT1_PNSt15iterator_traitsISE_E10value_typeET2_T3_PNSF_ISK_E10value_typeET4_T5_PSP_SQ_PNS1_23onesweep_lookback_stateEbbT6_jjT7_P12ihipStream_tbENKUlT_T0_SE_SJ_E_clIS8_S8_S9_S9_EEDaSX_SY_SE_SJ_EUlSX_E_NS1_11comp_targetILNS1_3genE10ELNS1_11target_archE1201ELNS1_3gpuE5ELNS1_3repE0EEENS1_47radix_sort_onesweep_sort_config_static_selectorELNS0_4arch9wavefront6targetE1EEEvSE_,"axG",@progbits,_ZN7rocprim17ROCPRIM_400000_NS6detail17trampoline_kernelINS0_14default_configENS1_35radix_sort_onesweep_config_selectorItNS0_10empty_typeEEEZZNS1_29radix_sort_onesweep_iterationIS3_Lb0EPtS8_PS5_S9_mNS0_19identity_decomposerENS1_16block_id_wrapperIjLb1EEEEE10hipError_tT1_PNSt15iterator_traitsISE_E10value_typeET2_T3_PNSF_ISK_E10value_typeET4_T5_PSP_SQ_PNS1_23onesweep_lookback_stateEbbT6_jjT7_P12ihipStream_tbENKUlT_T0_SE_SJ_E_clIS8_S8_S9_S9_EEDaSX_SY_SE_SJ_EUlSX_E_NS1_11comp_targetILNS1_3genE10ELNS1_11target_archE1201ELNS1_3gpuE5ELNS1_3repE0EEENS1_47radix_sort_onesweep_sort_config_static_selectorELNS0_4arch9wavefront6targetE1EEEvSE_,comdat
.Lfunc_end546:
	.size	_ZN7rocprim17ROCPRIM_400000_NS6detail17trampoline_kernelINS0_14default_configENS1_35radix_sort_onesweep_config_selectorItNS0_10empty_typeEEEZZNS1_29radix_sort_onesweep_iterationIS3_Lb0EPtS8_PS5_S9_mNS0_19identity_decomposerENS1_16block_id_wrapperIjLb1EEEEE10hipError_tT1_PNSt15iterator_traitsISE_E10value_typeET2_T3_PNSF_ISK_E10value_typeET4_T5_PSP_SQ_PNS1_23onesweep_lookback_stateEbbT6_jjT7_P12ihipStream_tbENKUlT_T0_SE_SJ_E_clIS8_S8_S9_S9_EEDaSX_SY_SE_SJ_EUlSX_E_NS1_11comp_targetILNS1_3genE10ELNS1_11target_archE1201ELNS1_3gpuE5ELNS1_3repE0EEENS1_47radix_sort_onesweep_sort_config_static_selectorELNS0_4arch9wavefront6targetE1EEEvSE_, .Lfunc_end546-_ZN7rocprim17ROCPRIM_400000_NS6detail17trampoline_kernelINS0_14default_configENS1_35radix_sort_onesweep_config_selectorItNS0_10empty_typeEEEZZNS1_29radix_sort_onesweep_iterationIS3_Lb0EPtS8_PS5_S9_mNS0_19identity_decomposerENS1_16block_id_wrapperIjLb1EEEEE10hipError_tT1_PNSt15iterator_traitsISE_E10value_typeET2_T3_PNSF_ISK_E10value_typeET4_T5_PSP_SQ_PNS1_23onesweep_lookback_stateEbbT6_jjT7_P12ihipStream_tbENKUlT_T0_SE_SJ_E_clIS8_S8_S9_S9_EEDaSX_SY_SE_SJ_EUlSX_E_NS1_11comp_targetILNS1_3genE10ELNS1_11target_archE1201ELNS1_3gpuE5ELNS1_3repE0EEENS1_47radix_sort_onesweep_sort_config_static_selectorELNS0_4arch9wavefront6targetE1EEEvSE_
                                        ; -- End function
	.section	.AMDGPU.csdata,"",@progbits
; Kernel info:
; codeLenInByte = 0
; NumSgprs: 4
; NumVgprs: 0
; NumAgprs: 0
; TotalNumVgprs: 0
; ScratchSize: 0
; MemoryBound: 0
; FloatMode: 240
; IeeeMode: 1
; LDSByteSize: 0 bytes/workgroup (compile time only)
; SGPRBlocks: 0
; VGPRBlocks: 0
; NumSGPRsForWavesPerEU: 4
; NumVGPRsForWavesPerEU: 1
; AccumOffset: 4
; Occupancy: 8
; WaveLimiterHint : 0
; COMPUTE_PGM_RSRC2:SCRATCH_EN: 0
; COMPUTE_PGM_RSRC2:USER_SGPR: 6
; COMPUTE_PGM_RSRC2:TRAP_HANDLER: 0
; COMPUTE_PGM_RSRC2:TGID_X_EN: 1
; COMPUTE_PGM_RSRC2:TGID_Y_EN: 0
; COMPUTE_PGM_RSRC2:TGID_Z_EN: 0
; COMPUTE_PGM_RSRC2:TIDIG_COMP_CNT: 0
; COMPUTE_PGM_RSRC3_GFX90A:ACCUM_OFFSET: 0
; COMPUTE_PGM_RSRC3_GFX90A:TG_SPLIT: 0
	.section	.text._ZN7rocprim17ROCPRIM_400000_NS6detail17trampoline_kernelINS0_14default_configENS1_35radix_sort_onesweep_config_selectorItNS0_10empty_typeEEEZZNS1_29radix_sort_onesweep_iterationIS3_Lb0EPtS8_PS5_S9_mNS0_19identity_decomposerENS1_16block_id_wrapperIjLb1EEEEE10hipError_tT1_PNSt15iterator_traitsISE_E10value_typeET2_T3_PNSF_ISK_E10value_typeET4_T5_PSP_SQ_PNS1_23onesweep_lookback_stateEbbT6_jjT7_P12ihipStream_tbENKUlT_T0_SE_SJ_E_clIS8_S8_S9_S9_EEDaSX_SY_SE_SJ_EUlSX_E_NS1_11comp_targetILNS1_3genE9ELNS1_11target_archE1100ELNS1_3gpuE3ELNS1_3repE0EEENS1_47radix_sort_onesweep_sort_config_static_selectorELNS0_4arch9wavefront6targetE1EEEvSE_,"axG",@progbits,_ZN7rocprim17ROCPRIM_400000_NS6detail17trampoline_kernelINS0_14default_configENS1_35radix_sort_onesweep_config_selectorItNS0_10empty_typeEEEZZNS1_29radix_sort_onesweep_iterationIS3_Lb0EPtS8_PS5_S9_mNS0_19identity_decomposerENS1_16block_id_wrapperIjLb1EEEEE10hipError_tT1_PNSt15iterator_traitsISE_E10value_typeET2_T3_PNSF_ISK_E10value_typeET4_T5_PSP_SQ_PNS1_23onesweep_lookback_stateEbbT6_jjT7_P12ihipStream_tbENKUlT_T0_SE_SJ_E_clIS8_S8_S9_S9_EEDaSX_SY_SE_SJ_EUlSX_E_NS1_11comp_targetILNS1_3genE9ELNS1_11target_archE1100ELNS1_3gpuE3ELNS1_3repE0EEENS1_47radix_sort_onesweep_sort_config_static_selectorELNS0_4arch9wavefront6targetE1EEEvSE_,comdat
	.protected	_ZN7rocprim17ROCPRIM_400000_NS6detail17trampoline_kernelINS0_14default_configENS1_35radix_sort_onesweep_config_selectorItNS0_10empty_typeEEEZZNS1_29radix_sort_onesweep_iterationIS3_Lb0EPtS8_PS5_S9_mNS0_19identity_decomposerENS1_16block_id_wrapperIjLb1EEEEE10hipError_tT1_PNSt15iterator_traitsISE_E10value_typeET2_T3_PNSF_ISK_E10value_typeET4_T5_PSP_SQ_PNS1_23onesweep_lookback_stateEbbT6_jjT7_P12ihipStream_tbENKUlT_T0_SE_SJ_E_clIS8_S8_S9_S9_EEDaSX_SY_SE_SJ_EUlSX_E_NS1_11comp_targetILNS1_3genE9ELNS1_11target_archE1100ELNS1_3gpuE3ELNS1_3repE0EEENS1_47radix_sort_onesweep_sort_config_static_selectorELNS0_4arch9wavefront6targetE1EEEvSE_ ; -- Begin function _ZN7rocprim17ROCPRIM_400000_NS6detail17trampoline_kernelINS0_14default_configENS1_35radix_sort_onesweep_config_selectorItNS0_10empty_typeEEEZZNS1_29radix_sort_onesweep_iterationIS3_Lb0EPtS8_PS5_S9_mNS0_19identity_decomposerENS1_16block_id_wrapperIjLb1EEEEE10hipError_tT1_PNSt15iterator_traitsISE_E10value_typeET2_T3_PNSF_ISK_E10value_typeET4_T5_PSP_SQ_PNS1_23onesweep_lookback_stateEbbT6_jjT7_P12ihipStream_tbENKUlT_T0_SE_SJ_E_clIS8_S8_S9_S9_EEDaSX_SY_SE_SJ_EUlSX_E_NS1_11comp_targetILNS1_3genE9ELNS1_11target_archE1100ELNS1_3gpuE3ELNS1_3repE0EEENS1_47radix_sort_onesweep_sort_config_static_selectorELNS0_4arch9wavefront6targetE1EEEvSE_
	.globl	_ZN7rocprim17ROCPRIM_400000_NS6detail17trampoline_kernelINS0_14default_configENS1_35radix_sort_onesweep_config_selectorItNS0_10empty_typeEEEZZNS1_29radix_sort_onesweep_iterationIS3_Lb0EPtS8_PS5_S9_mNS0_19identity_decomposerENS1_16block_id_wrapperIjLb1EEEEE10hipError_tT1_PNSt15iterator_traitsISE_E10value_typeET2_T3_PNSF_ISK_E10value_typeET4_T5_PSP_SQ_PNS1_23onesweep_lookback_stateEbbT6_jjT7_P12ihipStream_tbENKUlT_T0_SE_SJ_E_clIS8_S8_S9_S9_EEDaSX_SY_SE_SJ_EUlSX_E_NS1_11comp_targetILNS1_3genE9ELNS1_11target_archE1100ELNS1_3gpuE3ELNS1_3repE0EEENS1_47radix_sort_onesweep_sort_config_static_selectorELNS0_4arch9wavefront6targetE1EEEvSE_
	.p2align	8
	.type	_ZN7rocprim17ROCPRIM_400000_NS6detail17trampoline_kernelINS0_14default_configENS1_35radix_sort_onesweep_config_selectorItNS0_10empty_typeEEEZZNS1_29radix_sort_onesweep_iterationIS3_Lb0EPtS8_PS5_S9_mNS0_19identity_decomposerENS1_16block_id_wrapperIjLb1EEEEE10hipError_tT1_PNSt15iterator_traitsISE_E10value_typeET2_T3_PNSF_ISK_E10value_typeET4_T5_PSP_SQ_PNS1_23onesweep_lookback_stateEbbT6_jjT7_P12ihipStream_tbENKUlT_T0_SE_SJ_E_clIS8_S8_S9_S9_EEDaSX_SY_SE_SJ_EUlSX_E_NS1_11comp_targetILNS1_3genE9ELNS1_11target_archE1100ELNS1_3gpuE3ELNS1_3repE0EEENS1_47radix_sort_onesweep_sort_config_static_selectorELNS0_4arch9wavefront6targetE1EEEvSE_,@function
_ZN7rocprim17ROCPRIM_400000_NS6detail17trampoline_kernelINS0_14default_configENS1_35radix_sort_onesweep_config_selectorItNS0_10empty_typeEEEZZNS1_29radix_sort_onesweep_iterationIS3_Lb0EPtS8_PS5_S9_mNS0_19identity_decomposerENS1_16block_id_wrapperIjLb1EEEEE10hipError_tT1_PNSt15iterator_traitsISE_E10value_typeET2_T3_PNSF_ISK_E10value_typeET4_T5_PSP_SQ_PNS1_23onesweep_lookback_stateEbbT6_jjT7_P12ihipStream_tbENKUlT_T0_SE_SJ_E_clIS8_S8_S9_S9_EEDaSX_SY_SE_SJ_EUlSX_E_NS1_11comp_targetILNS1_3genE9ELNS1_11target_archE1100ELNS1_3gpuE3ELNS1_3repE0EEENS1_47radix_sort_onesweep_sort_config_static_selectorELNS0_4arch9wavefront6targetE1EEEvSE_: ; @_ZN7rocprim17ROCPRIM_400000_NS6detail17trampoline_kernelINS0_14default_configENS1_35radix_sort_onesweep_config_selectorItNS0_10empty_typeEEEZZNS1_29radix_sort_onesweep_iterationIS3_Lb0EPtS8_PS5_S9_mNS0_19identity_decomposerENS1_16block_id_wrapperIjLb1EEEEE10hipError_tT1_PNSt15iterator_traitsISE_E10value_typeET2_T3_PNSF_ISK_E10value_typeET4_T5_PSP_SQ_PNS1_23onesweep_lookback_stateEbbT6_jjT7_P12ihipStream_tbENKUlT_T0_SE_SJ_E_clIS8_S8_S9_S9_EEDaSX_SY_SE_SJ_EUlSX_E_NS1_11comp_targetILNS1_3genE9ELNS1_11target_archE1100ELNS1_3gpuE3ELNS1_3repE0EEENS1_47radix_sort_onesweep_sort_config_static_selectorELNS0_4arch9wavefront6targetE1EEEvSE_
; %bb.0:
	.section	.rodata,"a",@progbits
	.p2align	6, 0x0
	.amdhsa_kernel _ZN7rocprim17ROCPRIM_400000_NS6detail17trampoline_kernelINS0_14default_configENS1_35radix_sort_onesweep_config_selectorItNS0_10empty_typeEEEZZNS1_29radix_sort_onesweep_iterationIS3_Lb0EPtS8_PS5_S9_mNS0_19identity_decomposerENS1_16block_id_wrapperIjLb1EEEEE10hipError_tT1_PNSt15iterator_traitsISE_E10value_typeET2_T3_PNSF_ISK_E10value_typeET4_T5_PSP_SQ_PNS1_23onesweep_lookback_stateEbbT6_jjT7_P12ihipStream_tbENKUlT_T0_SE_SJ_E_clIS8_S8_S9_S9_EEDaSX_SY_SE_SJ_EUlSX_E_NS1_11comp_targetILNS1_3genE9ELNS1_11target_archE1100ELNS1_3gpuE3ELNS1_3repE0EEENS1_47radix_sort_onesweep_sort_config_static_selectorELNS0_4arch9wavefront6targetE1EEEvSE_
		.amdhsa_group_segment_fixed_size 0
		.amdhsa_private_segment_fixed_size 0
		.amdhsa_kernarg_size 88
		.amdhsa_user_sgpr_count 6
		.amdhsa_user_sgpr_private_segment_buffer 1
		.amdhsa_user_sgpr_dispatch_ptr 0
		.amdhsa_user_sgpr_queue_ptr 0
		.amdhsa_user_sgpr_kernarg_segment_ptr 1
		.amdhsa_user_sgpr_dispatch_id 0
		.amdhsa_user_sgpr_flat_scratch_init 0
		.amdhsa_user_sgpr_kernarg_preload_length 0
		.amdhsa_user_sgpr_kernarg_preload_offset 0
		.amdhsa_user_sgpr_private_segment_size 0
		.amdhsa_uses_dynamic_stack 0
		.amdhsa_system_sgpr_private_segment_wavefront_offset 0
		.amdhsa_system_sgpr_workgroup_id_x 1
		.amdhsa_system_sgpr_workgroup_id_y 0
		.amdhsa_system_sgpr_workgroup_id_z 0
		.amdhsa_system_sgpr_workgroup_info 0
		.amdhsa_system_vgpr_workitem_id 0
		.amdhsa_next_free_vgpr 1
		.amdhsa_next_free_sgpr 0
		.amdhsa_accum_offset 4
		.amdhsa_reserve_vcc 0
		.amdhsa_reserve_flat_scratch 0
		.amdhsa_float_round_mode_32 0
		.amdhsa_float_round_mode_16_64 0
		.amdhsa_float_denorm_mode_32 3
		.amdhsa_float_denorm_mode_16_64 3
		.amdhsa_dx10_clamp 1
		.amdhsa_ieee_mode 1
		.amdhsa_fp16_overflow 0
		.amdhsa_tg_split 0
		.amdhsa_exception_fp_ieee_invalid_op 0
		.amdhsa_exception_fp_denorm_src 0
		.amdhsa_exception_fp_ieee_div_zero 0
		.amdhsa_exception_fp_ieee_overflow 0
		.amdhsa_exception_fp_ieee_underflow 0
		.amdhsa_exception_fp_ieee_inexact 0
		.amdhsa_exception_int_div_zero 0
	.end_amdhsa_kernel
	.section	.text._ZN7rocprim17ROCPRIM_400000_NS6detail17trampoline_kernelINS0_14default_configENS1_35radix_sort_onesweep_config_selectorItNS0_10empty_typeEEEZZNS1_29radix_sort_onesweep_iterationIS3_Lb0EPtS8_PS5_S9_mNS0_19identity_decomposerENS1_16block_id_wrapperIjLb1EEEEE10hipError_tT1_PNSt15iterator_traitsISE_E10value_typeET2_T3_PNSF_ISK_E10value_typeET4_T5_PSP_SQ_PNS1_23onesweep_lookback_stateEbbT6_jjT7_P12ihipStream_tbENKUlT_T0_SE_SJ_E_clIS8_S8_S9_S9_EEDaSX_SY_SE_SJ_EUlSX_E_NS1_11comp_targetILNS1_3genE9ELNS1_11target_archE1100ELNS1_3gpuE3ELNS1_3repE0EEENS1_47radix_sort_onesweep_sort_config_static_selectorELNS0_4arch9wavefront6targetE1EEEvSE_,"axG",@progbits,_ZN7rocprim17ROCPRIM_400000_NS6detail17trampoline_kernelINS0_14default_configENS1_35radix_sort_onesweep_config_selectorItNS0_10empty_typeEEEZZNS1_29radix_sort_onesweep_iterationIS3_Lb0EPtS8_PS5_S9_mNS0_19identity_decomposerENS1_16block_id_wrapperIjLb1EEEEE10hipError_tT1_PNSt15iterator_traitsISE_E10value_typeET2_T3_PNSF_ISK_E10value_typeET4_T5_PSP_SQ_PNS1_23onesweep_lookback_stateEbbT6_jjT7_P12ihipStream_tbENKUlT_T0_SE_SJ_E_clIS8_S8_S9_S9_EEDaSX_SY_SE_SJ_EUlSX_E_NS1_11comp_targetILNS1_3genE9ELNS1_11target_archE1100ELNS1_3gpuE3ELNS1_3repE0EEENS1_47radix_sort_onesweep_sort_config_static_selectorELNS0_4arch9wavefront6targetE1EEEvSE_,comdat
.Lfunc_end547:
	.size	_ZN7rocprim17ROCPRIM_400000_NS6detail17trampoline_kernelINS0_14default_configENS1_35radix_sort_onesweep_config_selectorItNS0_10empty_typeEEEZZNS1_29radix_sort_onesweep_iterationIS3_Lb0EPtS8_PS5_S9_mNS0_19identity_decomposerENS1_16block_id_wrapperIjLb1EEEEE10hipError_tT1_PNSt15iterator_traitsISE_E10value_typeET2_T3_PNSF_ISK_E10value_typeET4_T5_PSP_SQ_PNS1_23onesweep_lookback_stateEbbT6_jjT7_P12ihipStream_tbENKUlT_T0_SE_SJ_E_clIS8_S8_S9_S9_EEDaSX_SY_SE_SJ_EUlSX_E_NS1_11comp_targetILNS1_3genE9ELNS1_11target_archE1100ELNS1_3gpuE3ELNS1_3repE0EEENS1_47radix_sort_onesweep_sort_config_static_selectorELNS0_4arch9wavefront6targetE1EEEvSE_, .Lfunc_end547-_ZN7rocprim17ROCPRIM_400000_NS6detail17trampoline_kernelINS0_14default_configENS1_35radix_sort_onesweep_config_selectorItNS0_10empty_typeEEEZZNS1_29radix_sort_onesweep_iterationIS3_Lb0EPtS8_PS5_S9_mNS0_19identity_decomposerENS1_16block_id_wrapperIjLb1EEEEE10hipError_tT1_PNSt15iterator_traitsISE_E10value_typeET2_T3_PNSF_ISK_E10value_typeET4_T5_PSP_SQ_PNS1_23onesweep_lookback_stateEbbT6_jjT7_P12ihipStream_tbENKUlT_T0_SE_SJ_E_clIS8_S8_S9_S9_EEDaSX_SY_SE_SJ_EUlSX_E_NS1_11comp_targetILNS1_3genE9ELNS1_11target_archE1100ELNS1_3gpuE3ELNS1_3repE0EEENS1_47radix_sort_onesweep_sort_config_static_selectorELNS0_4arch9wavefront6targetE1EEEvSE_
                                        ; -- End function
	.section	.AMDGPU.csdata,"",@progbits
; Kernel info:
; codeLenInByte = 0
; NumSgprs: 4
; NumVgprs: 0
; NumAgprs: 0
; TotalNumVgprs: 0
; ScratchSize: 0
; MemoryBound: 0
; FloatMode: 240
; IeeeMode: 1
; LDSByteSize: 0 bytes/workgroup (compile time only)
; SGPRBlocks: 0
; VGPRBlocks: 0
; NumSGPRsForWavesPerEU: 4
; NumVGPRsForWavesPerEU: 1
; AccumOffset: 4
; Occupancy: 8
; WaveLimiterHint : 0
; COMPUTE_PGM_RSRC2:SCRATCH_EN: 0
; COMPUTE_PGM_RSRC2:USER_SGPR: 6
; COMPUTE_PGM_RSRC2:TRAP_HANDLER: 0
; COMPUTE_PGM_RSRC2:TGID_X_EN: 1
; COMPUTE_PGM_RSRC2:TGID_Y_EN: 0
; COMPUTE_PGM_RSRC2:TGID_Z_EN: 0
; COMPUTE_PGM_RSRC2:TIDIG_COMP_CNT: 0
; COMPUTE_PGM_RSRC3_GFX90A:ACCUM_OFFSET: 0
; COMPUTE_PGM_RSRC3_GFX90A:TG_SPLIT: 0
	.section	.text._ZN7rocprim17ROCPRIM_400000_NS6detail17trampoline_kernelINS0_14default_configENS1_35radix_sort_onesweep_config_selectorItNS0_10empty_typeEEEZZNS1_29radix_sort_onesweep_iterationIS3_Lb0EPtS8_PS5_S9_mNS0_19identity_decomposerENS1_16block_id_wrapperIjLb1EEEEE10hipError_tT1_PNSt15iterator_traitsISE_E10value_typeET2_T3_PNSF_ISK_E10value_typeET4_T5_PSP_SQ_PNS1_23onesweep_lookback_stateEbbT6_jjT7_P12ihipStream_tbENKUlT_T0_SE_SJ_E_clIS8_S8_S9_S9_EEDaSX_SY_SE_SJ_EUlSX_E_NS1_11comp_targetILNS1_3genE8ELNS1_11target_archE1030ELNS1_3gpuE2ELNS1_3repE0EEENS1_47radix_sort_onesweep_sort_config_static_selectorELNS0_4arch9wavefront6targetE1EEEvSE_,"axG",@progbits,_ZN7rocprim17ROCPRIM_400000_NS6detail17trampoline_kernelINS0_14default_configENS1_35radix_sort_onesweep_config_selectorItNS0_10empty_typeEEEZZNS1_29radix_sort_onesweep_iterationIS3_Lb0EPtS8_PS5_S9_mNS0_19identity_decomposerENS1_16block_id_wrapperIjLb1EEEEE10hipError_tT1_PNSt15iterator_traitsISE_E10value_typeET2_T3_PNSF_ISK_E10value_typeET4_T5_PSP_SQ_PNS1_23onesweep_lookback_stateEbbT6_jjT7_P12ihipStream_tbENKUlT_T0_SE_SJ_E_clIS8_S8_S9_S9_EEDaSX_SY_SE_SJ_EUlSX_E_NS1_11comp_targetILNS1_3genE8ELNS1_11target_archE1030ELNS1_3gpuE2ELNS1_3repE0EEENS1_47radix_sort_onesweep_sort_config_static_selectorELNS0_4arch9wavefront6targetE1EEEvSE_,comdat
	.protected	_ZN7rocprim17ROCPRIM_400000_NS6detail17trampoline_kernelINS0_14default_configENS1_35radix_sort_onesweep_config_selectorItNS0_10empty_typeEEEZZNS1_29radix_sort_onesweep_iterationIS3_Lb0EPtS8_PS5_S9_mNS0_19identity_decomposerENS1_16block_id_wrapperIjLb1EEEEE10hipError_tT1_PNSt15iterator_traitsISE_E10value_typeET2_T3_PNSF_ISK_E10value_typeET4_T5_PSP_SQ_PNS1_23onesweep_lookback_stateEbbT6_jjT7_P12ihipStream_tbENKUlT_T0_SE_SJ_E_clIS8_S8_S9_S9_EEDaSX_SY_SE_SJ_EUlSX_E_NS1_11comp_targetILNS1_3genE8ELNS1_11target_archE1030ELNS1_3gpuE2ELNS1_3repE0EEENS1_47radix_sort_onesweep_sort_config_static_selectorELNS0_4arch9wavefront6targetE1EEEvSE_ ; -- Begin function _ZN7rocprim17ROCPRIM_400000_NS6detail17trampoline_kernelINS0_14default_configENS1_35radix_sort_onesweep_config_selectorItNS0_10empty_typeEEEZZNS1_29radix_sort_onesweep_iterationIS3_Lb0EPtS8_PS5_S9_mNS0_19identity_decomposerENS1_16block_id_wrapperIjLb1EEEEE10hipError_tT1_PNSt15iterator_traitsISE_E10value_typeET2_T3_PNSF_ISK_E10value_typeET4_T5_PSP_SQ_PNS1_23onesweep_lookback_stateEbbT6_jjT7_P12ihipStream_tbENKUlT_T0_SE_SJ_E_clIS8_S8_S9_S9_EEDaSX_SY_SE_SJ_EUlSX_E_NS1_11comp_targetILNS1_3genE8ELNS1_11target_archE1030ELNS1_3gpuE2ELNS1_3repE0EEENS1_47radix_sort_onesweep_sort_config_static_selectorELNS0_4arch9wavefront6targetE1EEEvSE_
	.globl	_ZN7rocprim17ROCPRIM_400000_NS6detail17trampoline_kernelINS0_14default_configENS1_35radix_sort_onesweep_config_selectorItNS0_10empty_typeEEEZZNS1_29radix_sort_onesweep_iterationIS3_Lb0EPtS8_PS5_S9_mNS0_19identity_decomposerENS1_16block_id_wrapperIjLb1EEEEE10hipError_tT1_PNSt15iterator_traitsISE_E10value_typeET2_T3_PNSF_ISK_E10value_typeET4_T5_PSP_SQ_PNS1_23onesweep_lookback_stateEbbT6_jjT7_P12ihipStream_tbENKUlT_T0_SE_SJ_E_clIS8_S8_S9_S9_EEDaSX_SY_SE_SJ_EUlSX_E_NS1_11comp_targetILNS1_3genE8ELNS1_11target_archE1030ELNS1_3gpuE2ELNS1_3repE0EEENS1_47radix_sort_onesweep_sort_config_static_selectorELNS0_4arch9wavefront6targetE1EEEvSE_
	.p2align	8
	.type	_ZN7rocprim17ROCPRIM_400000_NS6detail17trampoline_kernelINS0_14default_configENS1_35radix_sort_onesweep_config_selectorItNS0_10empty_typeEEEZZNS1_29radix_sort_onesweep_iterationIS3_Lb0EPtS8_PS5_S9_mNS0_19identity_decomposerENS1_16block_id_wrapperIjLb1EEEEE10hipError_tT1_PNSt15iterator_traitsISE_E10value_typeET2_T3_PNSF_ISK_E10value_typeET4_T5_PSP_SQ_PNS1_23onesweep_lookback_stateEbbT6_jjT7_P12ihipStream_tbENKUlT_T0_SE_SJ_E_clIS8_S8_S9_S9_EEDaSX_SY_SE_SJ_EUlSX_E_NS1_11comp_targetILNS1_3genE8ELNS1_11target_archE1030ELNS1_3gpuE2ELNS1_3repE0EEENS1_47radix_sort_onesweep_sort_config_static_selectorELNS0_4arch9wavefront6targetE1EEEvSE_,@function
_ZN7rocprim17ROCPRIM_400000_NS6detail17trampoline_kernelINS0_14default_configENS1_35radix_sort_onesweep_config_selectorItNS0_10empty_typeEEEZZNS1_29radix_sort_onesweep_iterationIS3_Lb0EPtS8_PS5_S9_mNS0_19identity_decomposerENS1_16block_id_wrapperIjLb1EEEEE10hipError_tT1_PNSt15iterator_traitsISE_E10value_typeET2_T3_PNSF_ISK_E10value_typeET4_T5_PSP_SQ_PNS1_23onesweep_lookback_stateEbbT6_jjT7_P12ihipStream_tbENKUlT_T0_SE_SJ_E_clIS8_S8_S9_S9_EEDaSX_SY_SE_SJ_EUlSX_E_NS1_11comp_targetILNS1_3genE8ELNS1_11target_archE1030ELNS1_3gpuE2ELNS1_3repE0EEENS1_47radix_sort_onesweep_sort_config_static_selectorELNS0_4arch9wavefront6targetE1EEEvSE_: ; @_ZN7rocprim17ROCPRIM_400000_NS6detail17trampoline_kernelINS0_14default_configENS1_35radix_sort_onesweep_config_selectorItNS0_10empty_typeEEEZZNS1_29radix_sort_onesweep_iterationIS3_Lb0EPtS8_PS5_S9_mNS0_19identity_decomposerENS1_16block_id_wrapperIjLb1EEEEE10hipError_tT1_PNSt15iterator_traitsISE_E10value_typeET2_T3_PNSF_ISK_E10value_typeET4_T5_PSP_SQ_PNS1_23onesweep_lookback_stateEbbT6_jjT7_P12ihipStream_tbENKUlT_T0_SE_SJ_E_clIS8_S8_S9_S9_EEDaSX_SY_SE_SJ_EUlSX_E_NS1_11comp_targetILNS1_3genE8ELNS1_11target_archE1030ELNS1_3gpuE2ELNS1_3repE0EEENS1_47radix_sort_onesweep_sort_config_static_selectorELNS0_4arch9wavefront6targetE1EEEvSE_
; %bb.0:
	.section	.rodata,"a",@progbits
	.p2align	6, 0x0
	.amdhsa_kernel _ZN7rocprim17ROCPRIM_400000_NS6detail17trampoline_kernelINS0_14default_configENS1_35radix_sort_onesweep_config_selectorItNS0_10empty_typeEEEZZNS1_29radix_sort_onesweep_iterationIS3_Lb0EPtS8_PS5_S9_mNS0_19identity_decomposerENS1_16block_id_wrapperIjLb1EEEEE10hipError_tT1_PNSt15iterator_traitsISE_E10value_typeET2_T3_PNSF_ISK_E10value_typeET4_T5_PSP_SQ_PNS1_23onesweep_lookback_stateEbbT6_jjT7_P12ihipStream_tbENKUlT_T0_SE_SJ_E_clIS8_S8_S9_S9_EEDaSX_SY_SE_SJ_EUlSX_E_NS1_11comp_targetILNS1_3genE8ELNS1_11target_archE1030ELNS1_3gpuE2ELNS1_3repE0EEENS1_47radix_sort_onesweep_sort_config_static_selectorELNS0_4arch9wavefront6targetE1EEEvSE_
		.amdhsa_group_segment_fixed_size 0
		.amdhsa_private_segment_fixed_size 0
		.amdhsa_kernarg_size 88
		.amdhsa_user_sgpr_count 6
		.amdhsa_user_sgpr_private_segment_buffer 1
		.amdhsa_user_sgpr_dispatch_ptr 0
		.amdhsa_user_sgpr_queue_ptr 0
		.amdhsa_user_sgpr_kernarg_segment_ptr 1
		.amdhsa_user_sgpr_dispatch_id 0
		.amdhsa_user_sgpr_flat_scratch_init 0
		.amdhsa_user_sgpr_kernarg_preload_length 0
		.amdhsa_user_sgpr_kernarg_preload_offset 0
		.amdhsa_user_sgpr_private_segment_size 0
		.amdhsa_uses_dynamic_stack 0
		.amdhsa_system_sgpr_private_segment_wavefront_offset 0
		.amdhsa_system_sgpr_workgroup_id_x 1
		.amdhsa_system_sgpr_workgroup_id_y 0
		.amdhsa_system_sgpr_workgroup_id_z 0
		.amdhsa_system_sgpr_workgroup_info 0
		.amdhsa_system_vgpr_workitem_id 0
		.amdhsa_next_free_vgpr 1
		.amdhsa_next_free_sgpr 0
		.amdhsa_accum_offset 4
		.amdhsa_reserve_vcc 0
		.amdhsa_reserve_flat_scratch 0
		.amdhsa_float_round_mode_32 0
		.amdhsa_float_round_mode_16_64 0
		.amdhsa_float_denorm_mode_32 3
		.amdhsa_float_denorm_mode_16_64 3
		.amdhsa_dx10_clamp 1
		.amdhsa_ieee_mode 1
		.amdhsa_fp16_overflow 0
		.amdhsa_tg_split 0
		.amdhsa_exception_fp_ieee_invalid_op 0
		.amdhsa_exception_fp_denorm_src 0
		.amdhsa_exception_fp_ieee_div_zero 0
		.amdhsa_exception_fp_ieee_overflow 0
		.amdhsa_exception_fp_ieee_underflow 0
		.amdhsa_exception_fp_ieee_inexact 0
		.amdhsa_exception_int_div_zero 0
	.end_amdhsa_kernel
	.section	.text._ZN7rocprim17ROCPRIM_400000_NS6detail17trampoline_kernelINS0_14default_configENS1_35radix_sort_onesweep_config_selectorItNS0_10empty_typeEEEZZNS1_29radix_sort_onesweep_iterationIS3_Lb0EPtS8_PS5_S9_mNS0_19identity_decomposerENS1_16block_id_wrapperIjLb1EEEEE10hipError_tT1_PNSt15iterator_traitsISE_E10value_typeET2_T3_PNSF_ISK_E10value_typeET4_T5_PSP_SQ_PNS1_23onesweep_lookback_stateEbbT6_jjT7_P12ihipStream_tbENKUlT_T0_SE_SJ_E_clIS8_S8_S9_S9_EEDaSX_SY_SE_SJ_EUlSX_E_NS1_11comp_targetILNS1_3genE8ELNS1_11target_archE1030ELNS1_3gpuE2ELNS1_3repE0EEENS1_47radix_sort_onesweep_sort_config_static_selectorELNS0_4arch9wavefront6targetE1EEEvSE_,"axG",@progbits,_ZN7rocprim17ROCPRIM_400000_NS6detail17trampoline_kernelINS0_14default_configENS1_35radix_sort_onesweep_config_selectorItNS0_10empty_typeEEEZZNS1_29radix_sort_onesweep_iterationIS3_Lb0EPtS8_PS5_S9_mNS0_19identity_decomposerENS1_16block_id_wrapperIjLb1EEEEE10hipError_tT1_PNSt15iterator_traitsISE_E10value_typeET2_T3_PNSF_ISK_E10value_typeET4_T5_PSP_SQ_PNS1_23onesweep_lookback_stateEbbT6_jjT7_P12ihipStream_tbENKUlT_T0_SE_SJ_E_clIS8_S8_S9_S9_EEDaSX_SY_SE_SJ_EUlSX_E_NS1_11comp_targetILNS1_3genE8ELNS1_11target_archE1030ELNS1_3gpuE2ELNS1_3repE0EEENS1_47radix_sort_onesweep_sort_config_static_selectorELNS0_4arch9wavefront6targetE1EEEvSE_,comdat
.Lfunc_end548:
	.size	_ZN7rocprim17ROCPRIM_400000_NS6detail17trampoline_kernelINS0_14default_configENS1_35radix_sort_onesweep_config_selectorItNS0_10empty_typeEEEZZNS1_29radix_sort_onesweep_iterationIS3_Lb0EPtS8_PS5_S9_mNS0_19identity_decomposerENS1_16block_id_wrapperIjLb1EEEEE10hipError_tT1_PNSt15iterator_traitsISE_E10value_typeET2_T3_PNSF_ISK_E10value_typeET4_T5_PSP_SQ_PNS1_23onesweep_lookback_stateEbbT6_jjT7_P12ihipStream_tbENKUlT_T0_SE_SJ_E_clIS8_S8_S9_S9_EEDaSX_SY_SE_SJ_EUlSX_E_NS1_11comp_targetILNS1_3genE8ELNS1_11target_archE1030ELNS1_3gpuE2ELNS1_3repE0EEENS1_47radix_sort_onesweep_sort_config_static_selectorELNS0_4arch9wavefront6targetE1EEEvSE_, .Lfunc_end548-_ZN7rocprim17ROCPRIM_400000_NS6detail17trampoline_kernelINS0_14default_configENS1_35radix_sort_onesweep_config_selectorItNS0_10empty_typeEEEZZNS1_29radix_sort_onesweep_iterationIS3_Lb0EPtS8_PS5_S9_mNS0_19identity_decomposerENS1_16block_id_wrapperIjLb1EEEEE10hipError_tT1_PNSt15iterator_traitsISE_E10value_typeET2_T3_PNSF_ISK_E10value_typeET4_T5_PSP_SQ_PNS1_23onesweep_lookback_stateEbbT6_jjT7_P12ihipStream_tbENKUlT_T0_SE_SJ_E_clIS8_S8_S9_S9_EEDaSX_SY_SE_SJ_EUlSX_E_NS1_11comp_targetILNS1_3genE8ELNS1_11target_archE1030ELNS1_3gpuE2ELNS1_3repE0EEENS1_47radix_sort_onesweep_sort_config_static_selectorELNS0_4arch9wavefront6targetE1EEEvSE_
                                        ; -- End function
	.section	.AMDGPU.csdata,"",@progbits
; Kernel info:
; codeLenInByte = 0
; NumSgprs: 4
; NumVgprs: 0
; NumAgprs: 0
; TotalNumVgprs: 0
; ScratchSize: 0
; MemoryBound: 0
; FloatMode: 240
; IeeeMode: 1
; LDSByteSize: 0 bytes/workgroup (compile time only)
; SGPRBlocks: 0
; VGPRBlocks: 0
; NumSGPRsForWavesPerEU: 4
; NumVGPRsForWavesPerEU: 1
; AccumOffset: 4
; Occupancy: 8
; WaveLimiterHint : 0
; COMPUTE_PGM_RSRC2:SCRATCH_EN: 0
; COMPUTE_PGM_RSRC2:USER_SGPR: 6
; COMPUTE_PGM_RSRC2:TRAP_HANDLER: 0
; COMPUTE_PGM_RSRC2:TGID_X_EN: 1
; COMPUTE_PGM_RSRC2:TGID_Y_EN: 0
; COMPUTE_PGM_RSRC2:TGID_Z_EN: 0
; COMPUTE_PGM_RSRC2:TIDIG_COMP_CNT: 0
; COMPUTE_PGM_RSRC3_GFX90A:ACCUM_OFFSET: 0
; COMPUTE_PGM_RSRC3_GFX90A:TG_SPLIT: 0
	.section	.text._ZN7rocprim17ROCPRIM_400000_NS6detail17trampoline_kernelINS0_14default_configENS1_35radix_sort_onesweep_config_selectorItNS0_10empty_typeEEEZZNS1_29radix_sort_onesweep_iterationIS3_Lb0EPtS8_PS5_S9_mNS0_19identity_decomposerENS1_16block_id_wrapperIjLb0EEEEE10hipError_tT1_PNSt15iterator_traitsISE_E10value_typeET2_T3_PNSF_ISK_E10value_typeET4_T5_PSP_SQ_PNS1_23onesweep_lookback_stateEbbT6_jjT7_P12ihipStream_tbENKUlT_T0_SE_SJ_E_clIS8_S8_S9_S9_EEDaSX_SY_SE_SJ_EUlSX_E_NS1_11comp_targetILNS1_3genE0ELNS1_11target_archE4294967295ELNS1_3gpuE0ELNS1_3repE0EEENS1_47radix_sort_onesweep_sort_config_static_selectorELNS0_4arch9wavefront6targetE1EEEvSE_,"axG",@progbits,_ZN7rocprim17ROCPRIM_400000_NS6detail17trampoline_kernelINS0_14default_configENS1_35radix_sort_onesweep_config_selectorItNS0_10empty_typeEEEZZNS1_29radix_sort_onesweep_iterationIS3_Lb0EPtS8_PS5_S9_mNS0_19identity_decomposerENS1_16block_id_wrapperIjLb0EEEEE10hipError_tT1_PNSt15iterator_traitsISE_E10value_typeET2_T3_PNSF_ISK_E10value_typeET4_T5_PSP_SQ_PNS1_23onesweep_lookback_stateEbbT6_jjT7_P12ihipStream_tbENKUlT_T0_SE_SJ_E_clIS8_S8_S9_S9_EEDaSX_SY_SE_SJ_EUlSX_E_NS1_11comp_targetILNS1_3genE0ELNS1_11target_archE4294967295ELNS1_3gpuE0ELNS1_3repE0EEENS1_47radix_sort_onesweep_sort_config_static_selectorELNS0_4arch9wavefront6targetE1EEEvSE_,comdat
	.protected	_ZN7rocprim17ROCPRIM_400000_NS6detail17trampoline_kernelINS0_14default_configENS1_35radix_sort_onesweep_config_selectorItNS0_10empty_typeEEEZZNS1_29radix_sort_onesweep_iterationIS3_Lb0EPtS8_PS5_S9_mNS0_19identity_decomposerENS1_16block_id_wrapperIjLb0EEEEE10hipError_tT1_PNSt15iterator_traitsISE_E10value_typeET2_T3_PNSF_ISK_E10value_typeET4_T5_PSP_SQ_PNS1_23onesweep_lookback_stateEbbT6_jjT7_P12ihipStream_tbENKUlT_T0_SE_SJ_E_clIS8_S8_S9_S9_EEDaSX_SY_SE_SJ_EUlSX_E_NS1_11comp_targetILNS1_3genE0ELNS1_11target_archE4294967295ELNS1_3gpuE0ELNS1_3repE0EEENS1_47radix_sort_onesweep_sort_config_static_selectorELNS0_4arch9wavefront6targetE1EEEvSE_ ; -- Begin function _ZN7rocprim17ROCPRIM_400000_NS6detail17trampoline_kernelINS0_14default_configENS1_35radix_sort_onesweep_config_selectorItNS0_10empty_typeEEEZZNS1_29radix_sort_onesweep_iterationIS3_Lb0EPtS8_PS5_S9_mNS0_19identity_decomposerENS1_16block_id_wrapperIjLb0EEEEE10hipError_tT1_PNSt15iterator_traitsISE_E10value_typeET2_T3_PNSF_ISK_E10value_typeET4_T5_PSP_SQ_PNS1_23onesweep_lookback_stateEbbT6_jjT7_P12ihipStream_tbENKUlT_T0_SE_SJ_E_clIS8_S8_S9_S9_EEDaSX_SY_SE_SJ_EUlSX_E_NS1_11comp_targetILNS1_3genE0ELNS1_11target_archE4294967295ELNS1_3gpuE0ELNS1_3repE0EEENS1_47radix_sort_onesweep_sort_config_static_selectorELNS0_4arch9wavefront6targetE1EEEvSE_
	.globl	_ZN7rocprim17ROCPRIM_400000_NS6detail17trampoline_kernelINS0_14default_configENS1_35radix_sort_onesweep_config_selectorItNS0_10empty_typeEEEZZNS1_29radix_sort_onesweep_iterationIS3_Lb0EPtS8_PS5_S9_mNS0_19identity_decomposerENS1_16block_id_wrapperIjLb0EEEEE10hipError_tT1_PNSt15iterator_traitsISE_E10value_typeET2_T3_PNSF_ISK_E10value_typeET4_T5_PSP_SQ_PNS1_23onesweep_lookback_stateEbbT6_jjT7_P12ihipStream_tbENKUlT_T0_SE_SJ_E_clIS8_S8_S9_S9_EEDaSX_SY_SE_SJ_EUlSX_E_NS1_11comp_targetILNS1_3genE0ELNS1_11target_archE4294967295ELNS1_3gpuE0ELNS1_3repE0EEENS1_47radix_sort_onesweep_sort_config_static_selectorELNS0_4arch9wavefront6targetE1EEEvSE_
	.p2align	8
	.type	_ZN7rocprim17ROCPRIM_400000_NS6detail17trampoline_kernelINS0_14default_configENS1_35radix_sort_onesweep_config_selectorItNS0_10empty_typeEEEZZNS1_29radix_sort_onesweep_iterationIS3_Lb0EPtS8_PS5_S9_mNS0_19identity_decomposerENS1_16block_id_wrapperIjLb0EEEEE10hipError_tT1_PNSt15iterator_traitsISE_E10value_typeET2_T3_PNSF_ISK_E10value_typeET4_T5_PSP_SQ_PNS1_23onesweep_lookback_stateEbbT6_jjT7_P12ihipStream_tbENKUlT_T0_SE_SJ_E_clIS8_S8_S9_S9_EEDaSX_SY_SE_SJ_EUlSX_E_NS1_11comp_targetILNS1_3genE0ELNS1_11target_archE4294967295ELNS1_3gpuE0ELNS1_3repE0EEENS1_47radix_sort_onesweep_sort_config_static_selectorELNS0_4arch9wavefront6targetE1EEEvSE_,@function
_ZN7rocprim17ROCPRIM_400000_NS6detail17trampoline_kernelINS0_14default_configENS1_35radix_sort_onesweep_config_selectorItNS0_10empty_typeEEEZZNS1_29radix_sort_onesweep_iterationIS3_Lb0EPtS8_PS5_S9_mNS0_19identity_decomposerENS1_16block_id_wrapperIjLb0EEEEE10hipError_tT1_PNSt15iterator_traitsISE_E10value_typeET2_T3_PNSF_ISK_E10value_typeET4_T5_PSP_SQ_PNS1_23onesweep_lookback_stateEbbT6_jjT7_P12ihipStream_tbENKUlT_T0_SE_SJ_E_clIS8_S8_S9_S9_EEDaSX_SY_SE_SJ_EUlSX_E_NS1_11comp_targetILNS1_3genE0ELNS1_11target_archE4294967295ELNS1_3gpuE0ELNS1_3repE0EEENS1_47radix_sort_onesweep_sort_config_static_selectorELNS0_4arch9wavefront6targetE1EEEvSE_: ; @_ZN7rocprim17ROCPRIM_400000_NS6detail17trampoline_kernelINS0_14default_configENS1_35radix_sort_onesweep_config_selectorItNS0_10empty_typeEEEZZNS1_29radix_sort_onesweep_iterationIS3_Lb0EPtS8_PS5_S9_mNS0_19identity_decomposerENS1_16block_id_wrapperIjLb0EEEEE10hipError_tT1_PNSt15iterator_traitsISE_E10value_typeET2_T3_PNSF_ISK_E10value_typeET4_T5_PSP_SQ_PNS1_23onesweep_lookback_stateEbbT6_jjT7_P12ihipStream_tbENKUlT_T0_SE_SJ_E_clIS8_S8_S9_S9_EEDaSX_SY_SE_SJ_EUlSX_E_NS1_11comp_targetILNS1_3genE0ELNS1_11target_archE4294967295ELNS1_3gpuE0ELNS1_3repE0EEENS1_47radix_sort_onesweep_sort_config_static_selectorELNS0_4arch9wavefront6targetE1EEEvSE_
; %bb.0:
	.section	.rodata,"a",@progbits
	.p2align	6, 0x0
	.amdhsa_kernel _ZN7rocprim17ROCPRIM_400000_NS6detail17trampoline_kernelINS0_14default_configENS1_35radix_sort_onesweep_config_selectorItNS0_10empty_typeEEEZZNS1_29radix_sort_onesweep_iterationIS3_Lb0EPtS8_PS5_S9_mNS0_19identity_decomposerENS1_16block_id_wrapperIjLb0EEEEE10hipError_tT1_PNSt15iterator_traitsISE_E10value_typeET2_T3_PNSF_ISK_E10value_typeET4_T5_PSP_SQ_PNS1_23onesweep_lookback_stateEbbT6_jjT7_P12ihipStream_tbENKUlT_T0_SE_SJ_E_clIS8_S8_S9_S9_EEDaSX_SY_SE_SJ_EUlSX_E_NS1_11comp_targetILNS1_3genE0ELNS1_11target_archE4294967295ELNS1_3gpuE0ELNS1_3repE0EEENS1_47radix_sort_onesweep_sort_config_static_selectorELNS0_4arch9wavefront6targetE1EEEvSE_
		.amdhsa_group_segment_fixed_size 0
		.amdhsa_private_segment_fixed_size 0
		.amdhsa_kernarg_size 88
		.amdhsa_user_sgpr_count 6
		.amdhsa_user_sgpr_private_segment_buffer 1
		.amdhsa_user_sgpr_dispatch_ptr 0
		.amdhsa_user_sgpr_queue_ptr 0
		.amdhsa_user_sgpr_kernarg_segment_ptr 1
		.amdhsa_user_sgpr_dispatch_id 0
		.amdhsa_user_sgpr_flat_scratch_init 0
		.amdhsa_user_sgpr_kernarg_preload_length 0
		.amdhsa_user_sgpr_kernarg_preload_offset 0
		.amdhsa_user_sgpr_private_segment_size 0
		.amdhsa_uses_dynamic_stack 0
		.amdhsa_system_sgpr_private_segment_wavefront_offset 0
		.amdhsa_system_sgpr_workgroup_id_x 1
		.amdhsa_system_sgpr_workgroup_id_y 0
		.amdhsa_system_sgpr_workgroup_id_z 0
		.amdhsa_system_sgpr_workgroup_info 0
		.amdhsa_system_vgpr_workitem_id 0
		.amdhsa_next_free_vgpr 1
		.amdhsa_next_free_sgpr 0
		.amdhsa_accum_offset 4
		.amdhsa_reserve_vcc 0
		.amdhsa_reserve_flat_scratch 0
		.amdhsa_float_round_mode_32 0
		.amdhsa_float_round_mode_16_64 0
		.amdhsa_float_denorm_mode_32 3
		.amdhsa_float_denorm_mode_16_64 3
		.amdhsa_dx10_clamp 1
		.amdhsa_ieee_mode 1
		.amdhsa_fp16_overflow 0
		.amdhsa_tg_split 0
		.amdhsa_exception_fp_ieee_invalid_op 0
		.amdhsa_exception_fp_denorm_src 0
		.amdhsa_exception_fp_ieee_div_zero 0
		.amdhsa_exception_fp_ieee_overflow 0
		.amdhsa_exception_fp_ieee_underflow 0
		.amdhsa_exception_fp_ieee_inexact 0
		.amdhsa_exception_int_div_zero 0
	.end_amdhsa_kernel
	.section	.text._ZN7rocprim17ROCPRIM_400000_NS6detail17trampoline_kernelINS0_14default_configENS1_35radix_sort_onesweep_config_selectorItNS0_10empty_typeEEEZZNS1_29radix_sort_onesweep_iterationIS3_Lb0EPtS8_PS5_S9_mNS0_19identity_decomposerENS1_16block_id_wrapperIjLb0EEEEE10hipError_tT1_PNSt15iterator_traitsISE_E10value_typeET2_T3_PNSF_ISK_E10value_typeET4_T5_PSP_SQ_PNS1_23onesweep_lookback_stateEbbT6_jjT7_P12ihipStream_tbENKUlT_T0_SE_SJ_E_clIS8_S8_S9_S9_EEDaSX_SY_SE_SJ_EUlSX_E_NS1_11comp_targetILNS1_3genE0ELNS1_11target_archE4294967295ELNS1_3gpuE0ELNS1_3repE0EEENS1_47radix_sort_onesweep_sort_config_static_selectorELNS0_4arch9wavefront6targetE1EEEvSE_,"axG",@progbits,_ZN7rocprim17ROCPRIM_400000_NS6detail17trampoline_kernelINS0_14default_configENS1_35radix_sort_onesweep_config_selectorItNS0_10empty_typeEEEZZNS1_29radix_sort_onesweep_iterationIS3_Lb0EPtS8_PS5_S9_mNS0_19identity_decomposerENS1_16block_id_wrapperIjLb0EEEEE10hipError_tT1_PNSt15iterator_traitsISE_E10value_typeET2_T3_PNSF_ISK_E10value_typeET4_T5_PSP_SQ_PNS1_23onesweep_lookback_stateEbbT6_jjT7_P12ihipStream_tbENKUlT_T0_SE_SJ_E_clIS8_S8_S9_S9_EEDaSX_SY_SE_SJ_EUlSX_E_NS1_11comp_targetILNS1_3genE0ELNS1_11target_archE4294967295ELNS1_3gpuE0ELNS1_3repE0EEENS1_47radix_sort_onesweep_sort_config_static_selectorELNS0_4arch9wavefront6targetE1EEEvSE_,comdat
.Lfunc_end549:
	.size	_ZN7rocprim17ROCPRIM_400000_NS6detail17trampoline_kernelINS0_14default_configENS1_35radix_sort_onesweep_config_selectorItNS0_10empty_typeEEEZZNS1_29radix_sort_onesweep_iterationIS3_Lb0EPtS8_PS5_S9_mNS0_19identity_decomposerENS1_16block_id_wrapperIjLb0EEEEE10hipError_tT1_PNSt15iterator_traitsISE_E10value_typeET2_T3_PNSF_ISK_E10value_typeET4_T5_PSP_SQ_PNS1_23onesweep_lookback_stateEbbT6_jjT7_P12ihipStream_tbENKUlT_T0_SE_SJ_E_clIS8_S8_S9_S9_EEDaSX_SY_SE_SJ_EUlSX_E_NS1_11comp_targetILNS1_3genE0ELNS1_11target_archE4294967295ELNS1_3gpuE0ELNS1_3repE0EEENS1_47radix_sort_onesweep_sort_config_static_selectorELNS0_4arch9wavefront6targetE1EEEvSE_, .Lfunc_end549-_ZN7rocprim17ROCPRIM_400000_NS6detail17trampoline_kernelINS0_14default_configENS1_35radix_sort_onesweep_config_selectorItNS0_10empty_typeEEEZZNS1_29radix_sort_onesweep_iterationIS3_Lb0EPtS8_PS5_S9_mNS0_19identity_decomposerENS1_16block_id_wrapperIjLb0EEEEE10hipError_tT1_PNSt15iterator_traitsISE_E10value_typeET2_T3_PNSF_ISK_E10value_typeET4_T5_PSP_SQ_PNS1_23onesweep_lookback_stateEbbT6_jjT7_P12ihipStream_tbENKUlT_T0_SE_SJ_E_clIS8_S8_S9_S9_EEDaSX_SY_SE_SJ_EUlSX_E_NS1_11comp_targetILNS1_3genE0ELNS1_11target_archE4294967295ELNS1_3gpuE0ELNS1_3repE0EEENS1_47radix_sort_onesweep_sort_config_static_selectorELNS0_4arch9wavefront6targetE1EEEvSE_
                                        ; -- End function
	.section	.AMDGPU.csdata,"",@progbits
; Kernel info:
; codeLenInByte = 0
; NumSgprs: 4
; NumVgprs: 0
; NumAgprs: 0
; TotalNumVgprs: 0
; ScratchSize: 0
; MemoryBound: 0
; FloatMode: 240
; IeeeMode: 1
; LDSByteSize: 0 bytes/workgroup (compile time only)
; SGPRBlocks: 0
; VGPRBlocks: 0
; NumSGPRsForWavesPerEU: 4
; NumVGPRsForWavesPerEU: 1
; AccumOffset: 4
; Occupancy: 8
; WaveLimiterHint : 0
; COMPUTE_PGM_RSRC2:SCRATCH_EN: 0
; COMPUTE_PGM_RSRC2:USER_SGPR: 6
; COMPUTE_PGM_RSRC2:TRAP_HANDLER: 0
; COMPUTE_PGM_RSRC2:TGID_X_EN: 1
; COMPUTE_PGM_RSRC2:TGID_Y_EN: 0
; COMPUTE_PGM_RSRC2:TGID_Z_EN: 0
; COMPUTE_PGM_RSRC2:TIDIG_COMP_CNT: 0
; COMPUTE_PGM_RSRC3_GFX90A:ACCUM_OFFSET: 0
; COMPUTE_PGM_RSRC3_GFX90A:TG_SPLIT: 0
	.section	.text._ZN7rocprim17ROCPRIM_400000_NS6detail17trampoline_kernelINS0_14default_configENS1_35radix_sort_onesweep_config_selectorItNS0_10empty_typeEEEZZNS1_29radix_sort_onesweep_iterationIS3_Lb0EPtS8_PS5_S9_mNS0_19identity_decomposerENS1_16block_id_wrapperIjLb0EEEEE10hipError_tT1_PNSt15iterator_traitsISE_E10value_typeET2_T3_PNSF_ISK_E10value_typeET4_T5_PSP_SQ_PNS1_23onesweep_lookback_stateEbbT6_jjT7_P12ihipStream_tbENKUlT_T0_SE_SJ_E_clIS8_S8_S9_S9_EEDaSX_SY_SE_SJ_EUlSX_E_NS1_11comp_targetILNS1_3genE6ELNS1_11target_archE950ELNS1_3gpuE13ELNS1_3repE0EEENS1_47radix_sort_onesweep_sort_config_static_selectorELNS0_4arch9wavefront6targetE1EEEvSE_,"axG",@progbits,_ZN7rocprim17ROCPRIM_400000_NS6detail17trampoline_kernelINS0_14default_configENS1_35radix_sort_onesweep_config_selectorItNS0_10empty_typeEEEZZNS1_29radix_sort_onesweep_iterationIS3_Lb0EPtS8_PS5_S9_mNS0_19identity_decomposerENS1_16block_id_wrapperIjLb0EEEEE10hipError_tT1_PNSt15iterator_traitsISE_E10value_typeET2_T3_PNSF_ISK_E10value_typeET4_T5_PSP_SQ_PNS1_23onesweep_lookback_stateEbbT6_jjT7_P12ihipStream_tbENKUlT_T0_SE_SJ_E_clIS8_S8_S9_S9_EEDaSX_SY_SE_SJ_EUlSX_E_NS1_11comp_targetILNS1_3genE6ELNS1_11target_archE950ELNS1_3gpuE13ELNS1_3repE0EEENS1_47radix_sort_onesweep_sort_config_static_selectorELNS0_4arch9wavefront6targetE1EEEvSE_,comdat
	.protected	_ZN7rocprim17ROCPRIM_400000_NS6detail17trampoline_kernelINS0_14default_configENS1_35radix_sort_onesweep_config_selectorItNS0_10empty_typeEEEZZNS1_29radix_sort_onesweep_iterationIS3_Lb0EPtS8_PS5_S9_mNS0_19identity_decomposerENS1_16block_id_wrapperIjLb0EEEEE10hipError_tT1_PNSt15iterator_traitsISE_E10value_typeET2_T3_PNSF_ISK_E10value_typeET4_T5_PSP_SQ_PNS1_23onesweep_lookback_stateEbbT6_jjT7_P12ihipStream_tbENKUlT_T0_SE_SJ_E_clIS8_S8_S9_S9_EEDaSX_SY_SE_SJ_EUlSX_E_NS1_11comp_targetILNS1_3genE6ELNS1_11target_archE950ELNS1_3gpuE13ELNS1_3repE0EEENS1_47radix_sort_onesweep_sort_config_static_selectorELNS0_4arch9wavefront6targetE1EEEvSE_ ; -- Begin function _ZN7rocprim17ROCPRIM_400000_NS6detail17trampoline_kernelINS0_14default_configENS1_35radix_sort_onesweep_config_selectorItNS0_10empty_typeEEEZZNS1_29radix_sort_onesweep_iterationIS3_Lb0EPtS8_PS5_S9_mNS0_19identity_decomposerENS1_16block_id_wrapperIjLb0EEEEE10hipError_tT1_PNSt15iterator_traitsISE_E10value_typeET2_T3_PNSF_ISK_E10value_typeET4_T5_PSP_SQ_PNS1_23onesweep_lookback_stateEbbT6_jjT7_P12ihipStream_tbENKUlT_T0_SE_SJ_E_clIS8_S8_S9_S9_EEDaSX_SY_SE_SJ_EUlSX_E_NS1_11comp_targetILNS1_3genE6ELNS1_11target_archE950ELNS1_3gpuE13ELNS1_3repE0EEENS1_47radix_sort_onesweep_sort_config_static_selectorELNS0_4arch9wavefront6targetE1EEEvSE_
	.globl	_ZN7rocprim17ROCPRIM_400000_NS6detail17trampoline_kernelINS0_14default_configENS1_35radix_sort_onesweep_config_selectorItNS0_10empty_typeEEEZZNS1_29radix_sort_onesweep_iterationIS3_Lb0EPtS8_PS5_S9_mNS0_19identity_decomposerENS1_16block_id_wrapperIjLb0EEEEE10hipError_tT1_PNSt15iterator_traitsISE_E10value_typeET2_T3_PNSF_ISK_E10value_typeET4_T5_PSP_SQ_PNS1_23onesweep_lookback_stateEbbT6_jjT7_P12ihipStream_tbENKUlT_T0_SE_SJ_E_clIS8_S8_S9_S9_EEDaSX_SY_SE_SJ_EUlSX_E_NS1_11comp_targetILNS1_3genE6ELNS1_11target_archE950ELNS1_3gpuE13ELNS1_3repE0EEENS1_47radix_sort_onesweep_sort_config_static_selectorELNS0_4arch9wavefront6targetE1EEEvSE_
	.p2align	8
	.type	_ZN7rocprim17ROCPRIM_400000_NS6detail17trampoline_kernelINS0_14default_configENS1_35radix_sort_onesweep_config_selectorItNS0_10empty_typeEEEZZNS1_29radix_sort_onesweep_iterationIS3_Lb0EPtS8_PS5_S9_mNS0_19identity_decomposerENS1_16block_id_wrapperIjLb0EEEEE10hipError_tT1_PNSt15iterator_traitsISE_E10value_typeET2_T3_PNSF_ISK_E10value_typeET4_T5_PSP_SQ_PNS1_23onesweep_lookback_stateEbbT6_jjT7_P12ihipStream_tbENKUlT_T0_SE_SJ_E_clIS8_S8_S9_S9_EEDaSX_SY_SE_SJ_EUlSX_E_NS1_11comp_targetILNS1_3genE6ELNS1_11target_archE950ELNS1_3gpuE13ELNS1_3repE0EEENS1_47radix_sort_onesweep_sort_config_static_selectorELNS0_4arch9wavefront6targetE1EEEvSE_,@function
_ZN7rocprim17ROCPRIM_400000_NS6detail17trampoline_kernelINS0_14default_configENS1_35radix_sort_onesweep_config_selectorItNS0_10empty_typeEEEZZNS1_29radix_sort_onesweep_iterationIS3_Lb0EPtS8_PS5_S9_mNS0_19identity_decomposerENS1_16block_id_wrapperIjLb0EEEEE10hipError_tT1_PNSt15iterator_traitsISE_E10value_typeET2_T3_PNSF_ISK_E10value_typeET4_T5_PSP_SQ_PNS1_23onesweep_lookback_stateEbbT6_jjT7_P12ihipStream_tbENKUlT_T0_SE_SJ_E_clIS8_S8_S9_S9_EEDaSX_SY_SE_SJ_EUlSX_E_NS1_11comp_targetILNS1_3genE6ELNS1_11target_archE950ELNS1_3gpuE13ELNS1_3repE0EEENS1_47radix_sort_onesweep_sort_config_static_selectorELNS0_4arch9wavefront6targetE1EEEvSE_: ; @_ZN7rocprim17ROCPRIM_400000_NS6detail17trampoline_kernelINS0_14default_configENS1_35radix_sort_onesweep_config_selectorItNS0_10empty_typeEEEZZNS1_29radix_sort_onesweep_iterationIS3_Lb0EPtS8_PS5_S9_mNS0_19identity_decomposerENS1_16block_id_wrapperIjLb0EEEEE10hipError_tT1_PNSt15iterator_traitsISE_E10value_typeET2_T3_PNSF_ISK_E10value_typeET4_T5_PSP_SQ_PNS1_23onesweep_lookback_stateEbbT6_jjT7_P12ihipStream_tbENKUlT_T0_SE_SJ_E_clIS8_S8_S9_S9_EEDaSX_SY_SE_SJ_EUlSX_E_NS1_11comp_targetILNS1_3genE6ELNS1_11target_archE950ELNS1_3gpuE13ELNS1_3repE0EEENS1_47radix_sort_onesweep_sort_config_static_selectorELNS0_4arch9wavefront6targetE1EEEvSE_
; %bb.0:
	.section	.rodata,"a",@progbits
	.p2align	6, 0x0
	.amdhsa_kernel _ZN7rocprim17ROCPRIM_400000_NS6detail17trampoline_kernelINS0_14default_configENS1_35radix_sort_onesweep_config_selectorItNS0_10empty_typeEEEZZNS1_29radix_sort_onesweep_iterationIS3_Lb0EPtS8_PS5_S9_mNS0_19identity_decomposerENS1_16block_id_wrapperIjLb0EEEEE10hipError_tT1_PNSt15iterator_traitsISE_E10value_typeET2_T3_PNSF_ISK_E10value_typeET4_T5_PSP_SQ_PNS1_23onesweep_lookback_stateEbbT6_jjT7_P12ihipStream_tbENKUlT_T0_SE_SJ_E_clIS8_S8_S9_S9_EEDaSX_SY_SE_SJ_EUlSX_E_NS1_11comp_targetILNS1_3genE6ELNS1_11target_archE950ELNS1_3gpuE13ELNS1_3repE0EEENS1_47radix_sort_onesweep_sort_config_static_selectorELNS0_4arch9wavefront6targetE1EEEvSE_
		.amdhsa_group_segment_fixed_size 0
		.amdhsa_private_segment_fixed_size 0
		.amdhsa_kernarg_size 88
		.amdhsa_user_sgpr_count 6
		.amdhsa_user_sgpr_private_segment_buffer 1
		.amdhsa_user_sgpr_dispatch_ptr 0
		.amdhsa_user_sgpr_queue_ptr 0
		.amdhsa_user_sgpr_kernarg_segment_ptr 1
		.amdhsa_user_sgpr_dispatch_id 0
		.amdhsa_user_sgpr_flat_scratch_init 0
		.amdhsa_user_sgpr_kernarg_preload_length 0
		.amdhsa_user_sgpr_kernarg_preload_offset 0
		.amdhsa_user_sgpr_private_segment_size 0
		.amdhsa_uses_dynamic_stack 0
		.amdhsa_system_sgpr_private_segment_wavefront_offset 0
		.amdhsa_system_sgpr_workgroup_id_x 1
		.amdhsa_system_sgpr_workgroup_id_y 0
		.amdhsa_system_sgpr_workgroup_id_z 0
		.amdhsa_system_sgpr_workgroup_info 0
		.amdhsa_system_vgpr_workitem_id 0
		.amdhsa_next_free_vgpr 1
		.amdhsa_next_free_sgpr 0
		.amdhsa_accum_offset 4
		.amdhsa_reserve_vcc 0
		.amdhsa_reserve_flat_scratch 0
		.amdhsa_float_round_mode_32 0
		.amdhsa_float_round_mode_16_64 0
		.amdhsa_float_denorm_mode_32 3
		.amdhsa_float_denorm_mode_16_64 3
		.amdhsa_dx10_clamp 1
		.amdhsa_ieee_mode 1
		.amdhsa_fp16_overflow 0
		.amdhsa_tg_split 0
		.amdhsa_exception_fp_ieee_invalid_op 0
		.amdhsa_exception_fp_denorm_src 0
		.amdhsa_exception_fp_ieee_div_zero 0
		.amdhsa_exception_fp_ieee_overflow 0
		.amdhsa_exception_fp_ieee_underflow 0
		.amdhsa_exception_fp_ieee_inexact 0
		.amdhsa_exception_int_div_zero 0
	.end_amdhsa_kernel
	.section	.text._ZN7rocprim17ROCPRIM_400000_NS6detail17trampoline_kernelINS0_14default_configENS1_35radix_sort_onesweep_config_selectorItNS0_10empty_typeEEEZZNS1_29radix_sort_onesweep_iterationIS3_Lb0EPtS8_PS5_S9_mNS0_19identity_decomposerENS1_16block_id_wrapperIjLb0EEEEE10hipError_tT1_PNSt15iterator_traitsISE_E10value_typeET2_T3_PNSF_ISK_E10value_typeET4_T5_PSP_SQ_PNS1_23onesweep_lookback_stateEbbT6_jjT7_P12ihipStream_tbENKUlT_T0_SE_SJ_E_clIS8_S8_S9_S9_EEDaSX_SY_SE_SJ_EUlSX_E_NS1_11comp_targetILNS1_3genE6ELNS1_11target_archE950ELNS1_3gpuE13ELNS1_3repE0EEENS1_47radix_sort_onesweep_sort_config_static_selectorELNS0_4arch9wavefront6targetE1EEEvSE_,"axG",@progbits,_ZN7rocprim17ROCPRIM_400000_NS6detail17trampoline_kernelINS0_14default_configENS1_35radix_sort_onesweep_config_selectorItNS0_10empty_typeEEEZZNS1_29radix_sort_onesweep_iterationIS3_Lb0EPtS8_PS5_S9_mNS0_19identity_decomposerENS1_16block_id_wrapperIjLb0EEEEE10hipError_tT1_PNSt15iterator_traitsISE_E10value_typeET2_T3_PNSF_ISK_E10value_typeET4_T5_PSP_SQ_PNS1_23onesweep_lookback_stateEbbT6_jjT7_P12ihipStream_tbENKUlT_T0_SE_SJ_E_clIS8_S8_S9_S9_EEDaSX_SY_SE_SJ_EUlSX_E_NS1_11comp_targetILNS1_3genE6ELNS1_11target_archE950ELNS1_3gpuE13ELNS1_3repE0EEENS1_47radix_sort_onesweep_sort_config_static_selectorELNS0_4arch9wavefront6targetE1EEEvSE_,comdat
.Lfunc_end550:
	.size	_ZN7rocprim17ROCPRIM_400000_NS6detail17trampoline_kernelINS0_14default_configENS1_35radix_sort_onesweep_config_selectorItNS0_10empty_typeEEEZZNS1_29radix_sort_onesweep_iterationIS3_Lb0EPtS8_PS5_S9_mNS0_19identity_decomposerENS1_16block_id_wrapperIjLb0EEEEE10hipError_tT1_PNSt15iterator_traitsISE_E10value_typeET2_T3_PNSF_ISK_E10value_typeET4_T5_PSP_SQ_PNS1_23onesweep_lookback_stateEbbT6_jjT7_P12ihipStream_tbENKUlT_T0_SE_SJ_E_clIS8_S8_S9_S9_EEDaSX_SY_SE_SJ_EUlSX_E_NS1_11comp_targetILNS1_3genE6ELNS1_11target_archE950ELNS1_3gpuE13ELNS1_3repE0EEENS1_47radix_sort_onesweep_sort_config_static_selectorELNS0_4arch9wavefront6targetE1EEEvSE_, .Lfunc_end550-_ZN7rocprim17ROCPRIM_400000_NS6detail17trampoline_kernelINS0_14default_configENS1_35radix_sort_onesweep_config_selectorItNS0_10empty_typeEEEZZNS1_29radix_sort_onesweep_iterationIS3_Lb0EPtS8_PS5_S9_mNS0_19identity_decomposerENS1_16block_id_wrapperIjLb0EEEEE10hipError_tT1_PNSt15iterator_traitsISE_E10value_typeET2_T3_PNSF_ISK_E10value_typeET4_T5_PSP_SQ_PNS1_23onesweep_lookback_stateEbbT6_jjT7_P12ihipStream_tbENKUlT_T0_SE_SJ_E_clIS8_S8_S9_S9_EEDaSX_SY_SE_SJ_EUlSX_E_NS1_11comp_targetILNS1_3genE6ELNS1_11target_archE950ELNS1_3gpuE13ELNS1_3repE0EEENS1_47radix_sort_onesweep_sort_config_static_selectorELNS0_4arch9wavefront6targetE1EEEvSE_
                                        ; -- End function
	.section	.AMDGPU.csdata,"",@progbits
; Kernel info:
; codeLenInByte = 0
; NumSgprs: 4
; NumVgprs: 0
; NumAgprs: 0
; TotalNumVgprs: 0
; ScratchSize: 0
; MemoryBound: 0
; FloatMode: 240
; IeeeMode: 1
; LDSByteSize: 0 bytes/workgroup (compile time only)
; SGPRBlocks: 0
; VGPRBlocks: 0
; NumSGPRsForWavesPerEU: 4
; NumVGPRsForWavesPerEU: 1
; AccumOffset: 4
; Occupancy: 8
; WaveLimiterHint : 0
; COMPUTE_PGM_RSRC2:SCRATCH_EN: 0
; COMPUTE_PGM_RSRC2:USER_SGPR: 6
; COMPUTE_PGM_RSRC2:TRAP_HANDLER: 0
; COMPUTE_PGM_RSRC2:TGID_X_EN: 1
; COMPUTE_PGM_RSRC2:TGID_Y_EN: 0
; COMPUTE_PGM_RSRC2:TGID_Z_EN: 0
; COMPUTE_PGM_RSRC2:TIDIG_COMP_CNT: 0
; COMPUTE_PGM_RSRC3_GFX90A:ACCUM_OFFSET: 0
; COMPUTE_PGM_RSRC3_GFX90A:TG_SPLIT: 0
	.section	.text._ZN7rocprim17ROCPRIM_400000_NS6detail17trampoline_kernelINS0_14default_configENS1_35radix_sort_onesweep_config_selectorItNS0_10empty_typeEEEZZNS1_29radix_sort_onesweep_iterationIS3_Lb0EPtS8_PS5_S9_mNS0_19identity_decomposerENS1_16block_id_wrapperIjLb0EEEEE10hipError_tT1_PNSt15iterator_traitsISE_E10value_typeET2_T3_PNSF_ISK_E10value_typeET4_T5_PSP_SQ_PNS1_23onesweep_lookback_stateEbbT6_jjT7_P12ihipStream_tbENKUlT_T0_SE_SJ_E_clIS8_S8_S9_S9_EEDaSX_SY_SE_SJ_EUlSX_E_NS1_11comp_targetILNS1_3genE5ELNS1_11target_archE942ELNS1_3gpuE9ELNS1_3repE0EEENS1_47radix_sort_onesweep_sort_config_static_selectorELNS0_4arch9wavefront6targetE1EEEvSE_,"axG",@progbits,_ZN7rocprim17ROCPRIM_400000_NS6detail17trampoline_kernelINS0_14default_configENS1_35radix_sort_onesweep_config_selectorItNS0_10empty_typeEEEZZNS1_29radix_sort_onesweep_iterationIS3_Lb0EPtS8_PS5_S9_mNS0_19identity_decomposerENS1_16block_id_wrapperIjLb0EEEEE10hipError_tT1_PNSt15iterator_traitsISE_E10value_typeET2_T3_PNSF_ISK_E10value_typeET4_T5_PSP_SQ_PNS1_23onesweep_lookback_stateEbbT6_jjT7_P12ihipStream_tbENKUlT_T0_SE_SJ_E_clIS8_S8_S9_S9_EEDaSX_SY_SE_SJ_EUlSX_E_NS1_11comp_targetILNS1_3genE5ELNS1_11target_archE942ELNS1_3gpuE9ELNS1_3repE0EEENS1_47radix_sort_onesweep_sort_config_static_selectorELNS0_4arch9wavefront6targetE1EEEvSE_,comdat
	.protected	_ZN7rocprim17ROCPRIM_400000_NS6detail17trampoline_kernelINS0_14default_configENS1_35radix_sort_onesweep_config_selectorItNS0_10empty_typeEEEZZNS1_29radix_sort_onesweep_iterationIS3_Lb0EPtS8_PS5_S9_mNS0_19identity_decomposerENS1_16block_id_wrapperIjLb0EEEEE10hipError_tT1_PNSt15iterator_traitsISE_E10value_typeET2_T3_PNSF_ISK_E10value_typeET4_T5_PSP_SQ_PNS1_23onesweep_lookback_stateEbbT6_jjT7_P12ihipStream_tbENKUlT_T0_SE_SJ_E_clIS8_S8_S9_S9_EEDaSX_SY_SE_SJ_EUlSX_E_NS1_11comp_targetILNS1_3genE5ELNS1_11target_archE942ELNS1_3gpuE9ELNS1_3repE0EEENS1_47radix_sort_onesweep_sort_config_static_selectorELNS0_4arch9wavefront6targetE1EEEvSE_ ; -- Begin function _ZN7rocprim17ROCPRIM_400000_NS6detail17trampoline_kernelINS0_14default_configENS1_35radix_sort_onesweep_config_selectorItNS0_10empty_typeEEEZZNS1_29radix_sort_onesweep_iterationIS3_Lb0EPtS8_PS5_S9_mNS0_19identity_decomposerENS1_16block_id_wrapperIjLb0EEEEE10hipError_tT1_PNSt15iterator_traitsISE_E10value_typeET2_T3_PNSF_ISK_E10value_typeET4_T5_PSP_SQ_PNS1_23onesweep_lookback_stateEbbT6_jjT7_P12ihipStream_tbENKUlT_T0_SE_SJ_E_clIS8_S8_S9_S9_EEDaSX_SY_SE_SJ_EUlSX_E_NS1_11comp_targetILNS1_3genE5ELNS1_11target_archE942ELNS1_3gpuE9ELNS1_3repE0EEENS1_47radix_sort_onesweep_sort_config_static_selectorELNS0_4arch9wavefront6targetE1EEEvSE_
	.globl	_ZN7rocprim17ROCPRIM_400000_NS6detail17trampoline_kernelINS0_14default_configENS1_35radix_sort_onesweep_config_selectorItNS0_10empty_typeEEEZZNS1_29radix_sort_onesweep_iterationIS3_Lb0EPtS8_PS5_S9_mNS0_19identity_decomposerENS1_16block_id_wrapperIjLb0EEEEE10hipError_tT1_PNSt15iterator_traitsISE_E10value_typeET2_T3_PNSF_ISK_E10value_typeET4_T5_PSP_SQ_PNS1_23onesweep_lookback_stateEbbT6_jjT7_P12ihipStream_tbENKUlT_T0_SE_SJ_E_clIS8_S8_S9_S9_EEDaSX_SY_SE_SJ_EUlSX_E_NS1_11comp_targetILNS1_3genE5ELNS1_11target_archE942ELNS1_3gpuE9ELNS1_3repE0EEENS1_47radix_sort_onesweep_sort_config_static_selectorELNS0_4arch9wavefront6targetE1EEEvSE_
	.p2align	8
	.type	_ZN7rocprim17ROCPRIM_400000_NS6detail17trampoline_kernelINS0_14default_configENS1_35radix_sort_onesweep_config_selectorItNS0_10empty_typeEEEZZNS1_29radix_sort_onesweep_iterationIS3_Lb0EPtS8_PS5_S9_mNS0_19identity_decomposerENS1_16block_id_wrapperIjLb0EEEEE10hipError_tT1_PNSt15iterator_traitsISE_E10value_typeET2_T3_PNSF_ISK_E10value_typeET4_T5_PSP_SQ_PNS1_23onesweep_lookback_stateEbbT6_jjT7_P12ihipStream_tbENKUlT_T0_SE_SJ_E_clIS8_S8_S9_S9_EEDaSX_SY_SE_SJ_EUlSX_E_NS1_11comp_targetILNS1_3genE5ELNS1_11target_archE942ELNS1_3gpuE9ELNS1_3repE0EEENS1_47radix_sort_onesweep_sort_config_static_selectorELNS0_4arch9wavefront6targetE1EEEvSE_,@function
_ZN7rocprim17ROCPRIM_400000_NS6detail17trampoline_kernelINS0_14default_configENS1_35radix_sort_onesweep_config_selectorItNS0_10empty_typeEEEZZNS1_29radix_sort_onesweep_iterationIS3_Lb0EPtS8_PS5_S9_mNS0_19identity_decomposerENS1_16block_id_wrapperIjLb0EEEEE10hipError_tT1_PNSt15iterator_traitsISE_E10value_typeET2_T3_PNSF_ISK_E10value_typeET4_T5_PSP_SQ_PNS1_23onesweep_lookback_stateEbbT6_jjT7_P12ihipStream_tbENKUlT_T0_SE_SJ_E_clIS8_S8_S9_S9_EEDaSX_SY_SE_SJ_EUlSX_E_NS1_11comp_targetILNS1_3genE5ELNS1_11target_archE942ELNS1_3gpuE9ELNS1_3repE0EEENS1_47radix_sort_onesweep_sort_config_static_selectorELNS0_4arch9wavefront6targetE1EEEvSE_: ; @_ZN7rocprim17ROCPRIM_400000_NS6detail17trampoline_kernelINS0_14default_configENS1_35radix_sort_onesweep_config_selectorItNS0_10empty_typeEEEZZNS1_29radix_sort_onesweep_iterationIS3_Lb0EPtS8_PS5_S9_mNS0_19identity_decomposerENS1_16block_id_wrapperIjLb0EEEEE10hipError_tT1_PNSt15iterator_traitsISE_E10value_typeET2_T3_PNSF_ISK_E10value_typeET4_T5_PSP_SQ_PNS1_23onesweep_lookback_stateEbbT6_jjT7_P12ihipStream_tbENKUlT_T0_SE_SJ_E_clIS8_S8_S9_S9_EEDaSX_SY_SE_SJ_EUlSX_E_NS1_11comp_targetILNS1_3genE5ELNS1_11target_archE942ELNS1_3gpuE9ELNS1_3repE0EEENS1_47radix_sort_onesweep_sort_config_static_selectorELNS0_4arch9wavefront6targetE1EEEvSE_
; %bb.0:
	.section	.rodata,"a",@progbits
	.p2align	6, 0x0
	.amdhsa_kernel _ZN7rocprim17ROCPRIM_400000_NS6detail17trampoline_kernelINS0_14default_configENS1_35radix_sort_onesweep_config_selectorItNS0_10empty_typeEEEZZNS1_29radix_sort_onesweep_iterationIS3_Lb0EPtS8_PS5_S9_mNS0_19identity_decomposerENS1_16block_id_wrapperIjLb0EEEEE10hipError_tT1_PNSt15iterator_traitsISE_E10value_typeET2_T3_PNSF_ISK_E10value_typeET4_T5_PSP_SQ_PNS1_23onesweep_lookback_stateEbbT6_jjT7_P12ihipStream_tbENKUlT_T0_SE_SJ_E_clIS8_S8_S9_S9_EEDaSX_SY_SE_SJ_EUlSX_E_NS1_11comp_targetILNS1_3genE5ELNS1_11target_archE942ELNS1_3gpuE9ELNS1_3repE0EEENS1_47radix_sort_onesweep_sort_config_static_selectorELNS0_4arch9wavefront6targetE1EEEvSE_
		.amdhsa_group_segment_fixed_size 0
		.amdhsa_private_segment_fixed_size 0
		.amdhsa_kernarg_size 88
		.amdhsa_user_sgpr_count 6
		.amdhsa_user_sgpr_private_segment_buffer 1
		.amdhsa_user_sgpr_dispatch_ptr 0
		.amdhsa_user_sgpr_queue_ptr 0
		.amdhsa_user_sgpr_kernarg_segment_ptr 1
		.amdhsa_user_sgpr_dispatch_id 0
		.amdhsa_user_sgpr_flat_scratch_init 0
		.amdhsa_user_sgpr_kernarg_preload_length 0
		.amdhsa_user_sgpr_kernarg_preload_offset 0
		.amdhsa_user_sgpr_private_segment_size 0
		.amdhsa_uses_dynamic_stack 0
		.amdhsa_system_sgpr_private_segment_wavefront_offset 0
		.amdhsa_system_sgpr_workgroup_id_x 1
		.amdhsa_system_sgpr_workgroup_id_y 0
		.amdhsa_system_sgpr_workgroup_id_z 0
		.amdhsa_system_sgpr_workgroup_info 0
		.amdhsa_system_vgpr_workitem_id 0
		.amdhsa_next_free_vgpr 1
		.amdhsa_next_free_sgpr 0
		.amdhsa_accum_offset 4
		.amdhsa_reserve_vcc 0
		.amdhsa_reserve_flat_scratch 0
		.amdhsa_float_round_mode_32 0
		.amdhsa_float_round_mode_16_64 0
		.amdhsa_float_denorm_mode_32 3
		.amdhsa_float_denorm_mode_16_64 3
		.amdhsa_dx10_clamp 1
		.amdhsa_ieee_mode 1
		.amdhsa_fp16_overflow 0
		.amdhsa_tg_split 0
		.amdhsa_exception_fp_ieee_invalid_op 0
		.amdhsa_exception_fp_denorm_src 0
		.amdhsa_exception_fp_ieee_div_zero 0
		.amdhsa_exception_fp_ieee_overflow 0
		.amdhsa_exception_fp_ieee_underflow 0
		.amdhsa_exception_fp_ieee_inexact 0
		.amdhsa_exception_int_div_zero 0
	.end_amdhsa_kernel
	.section	.text._ZN7rocprim17ROCPRIM_400000_NS6detail17trampoline_kernelINS0_14default_configENS1_35radix_sort_onesweep_config_selectorItNS0_10empty_typeEEEZZNS1_29radix_sort_onesweep_iterationIS3_Lb0EPtS8_PS5_S9_mNS0_19identity_decomposerENS1_16block_id_wrapperIjLb0EEEEE10hipError_tT1_PNSt15iterator_traitsISE_E10value_typeET2_T3_PNSF_ISK_E10value_typeET4_T5_PSP_SQ_PNS1_23onesweep_lookback_stateEbbT6_jjT7_P12ihipStream_tbENKUlT_T0_SE_SJ_E_clIS8_S8_S9_S9_EEDaSX_SY_SE_SJ_EUlSX_E_NS1_11comp_targetILNS1_3genE5ELNS1_11target_archE942ELNS1_3gpuE9ELNS1_3repE0EEENS1_47radix_sort_onesweep_sort_config_static_selectorELNS0_4arch9wavefront6targetE1EEEvSE_,"axG",@progbits,_ZN7rocprim17ROCPRIM_400000_NS6detail17trampoline_kernelINS0_14default_configENS1_35radix_sort_onesweep_config_selectorItNS0_10empty_typeEEEZZNS1_29radix_sort_onesweep_iterationIS3_Lb0EPtS8_PS5_S9_mNS0_19identity_decomposerENS1_16block_id_wrapperIjLb0EEEEE10hipError_tT1_PNSt15iterator_traitsISE_E10value_typeET2_T3_PNSF_ISK_E10value_typeET4_T5_PSP_SQ_PNS1_23onesweep_lookback_stateEbbT6_jjT7_P12ihipStream_tbENKUlT_T0_SE_SJ_E_clIS8_S8_S9_S9_EEDaSX_SY_SE_SJ_EUlSX_E_NS1_11comp_targetILNS1_3genE5ELNS1_11target_archE942ELNS1_3gpuE9ELNS1_3repE0EEENS1_47radix_sort_onesweep_sort_config_static_selectorELNS0_4arch9wavefront6targetE1EEEvSE_,comdat
.Lfunc_end551:
	.size	_ZN7rocprim17ROCPRIM_400000_NS6detail17trampoline_kernelINS0_14default_configENS1_35radix_sort_onesweep_config_selectorItNS0_10empty_typeEEEZZNS1_29radix_sort_onesweep_iterationIS3_Lb0EPtS8_PS5_S9_mNS0_19identity_decomposerENS1_16block_id_wrapperIjLb0EEEEE10hipError_tT1_PNSt15iterator_traitsISE_E10value_typeET2_T3_PNSF_ISK_E10value_typeET4_T5_PSP_SQ_PNS1_23onesweep_lookback_stateEbbT6_jjT7_P12ihipStream_tbENKUlT_T0_SE_SJ_E_clIS8_S8_S9_S9_EEDaSX_SY_SE_SJ_EUlSX_E_NS1_11comp_targetILNS1_3genE5ELNS1_11target_archE942ELNS1_3gpuE9ELNS1_3repE0EEENS1_47radix_sort_onesweep_sort_config_static_selectorELNS0_4arch9wavefront6targetE1EEEvSE_, .Lfunc_end551-_ZN7rocprim17ROCPRIM_400000_NS6detail17trampoline_kernelINS0_14default_configENS1_35radix_sort_onesweep_config_selectorItNS0_10empty_typeEEEZZNS1_29radix_sort_onesweep_iterationIS3_Lb0EPtS8_PS5_S9_mNS0_19identity_decomposerENS1_16block_id_wrapperIjLb0EEEEE10hipError_tT1_PNSt15iterator_traitsISE_E10value_typeET2_T3_PNSF_ISK_E10value_typeET4_T5_PSP_SQ_PNS1_23onesweep_lookback_stateEbbT6_jjT7_P12ihipStream_tbENKUlT_T0_SE_SJ_E_clIS8_S8_S9_S9_EEDaSX_SY_SE_SJ_EUlSX_E_NS1_11comp_targetILNS1_3genE5ELNS1_11target_archE942ELNS1_3gpuE9ELNS1_3repE0EEENS1_47radix_sort_onesweep_sort_config_static_selectorELNS0_4arch9wavefront6targetE1EEEvSE_
                                        ; -- End function
	.section	.AMDGPU.csdata,"",@progbits
; Kernel info:
; codeLenInByte = 0
; NumSgprs: 4
; NumVgprs: 0
; NumAgprs: 0
; TotalNumVgprs: 0
; ScratchSize: 0
; MemoryBound: 0
; FloatMode: 240
; IeeeMode: 1
; LDSByteSize: 0 bytes/workgroup (compile time only)
; SGPRBlocks: 0
; VGPRBlocks: 0
; NumSGPRsForWavesPerEU: 4
; NumVGPRsForWavesPerEU: 1
; AccumOffset: 4
; Occupancy: 8
; WaveLimiterHint : 0
; COMPUTE_PGM_RSRC2:SCRATCH_EN: 0
; COMPUTE_PGM_RSRC2:USER_SGPR: 6
; COMPUTE_PGM_RSRC2:TRAP_HANDLER: 0
; COMPUTE_PGM_RSRC2:TGID_X_EN: 1
; COMPUTE_PGM_RSRC2:TGID_Y_EN: 0
; COMPUTE_PGM_RSRC2:TGID_Z_EN: 0
; COMPUTE_PGM_RSRC2:TIDIG_COMP_CNT: 0
; COMPUTE_PGM_RSRC3_GFX90A:ACCUM_OFFSET: 0
; COMPUTE_PGM_RSRC3_GFX90A:TG_SPLIT: 0
	.section	.text._ZN7rocprim17ROCPRIM_400000_NS6detail17trampoline_kernelINS0_14default_configENS1_35radix_sort_onesweep_config_selectorItNS0_10empty_typeEEEZZNS1_29radix_sort_onesweep_iterationIS3_Lb0EPtS8_PS5_S9_mNS0_19identity_decomposerENS1_16block_id_wrapperIjLb0EEEEE10hipError_tT1_PNSt15iterator_traitsISE_E10value_typeET2_T3_PNSF_ISK_E10value_typeET4_T5_PSP_SQ_PNS1_23onesweep_lookback_stateEbbT6_jjT7_P12ihipStream_tbENKUlT_T0_SE_SJ_E_clIS8_S8_S9_S9_EEDaSX_SY_SE_SJ_EUlSX_E_NS1_11comp_targetILNS1_3genE2ELNS1_11target_archE906ELNS1_3gpuE6ELNS1_3repE0EEENS1_47radix_sort_onesweep_sort_config_static_selectorELNS0_4arch9wavefront6targetE1EEEvSE_,"axG",@progbits,_ZN7rocprim17ROCPRIM_400000_NS6detail17trampoline_kernelINS0_14default_configENS1_35radix_sort_onesweep_config_selectorItNS0_10empty_typeEEEZZNS1_29radix_sort_onesweep_iterationIS3_Lb0EPtS8_PS5_S9_mNS0_19identity_decomposerENS1_16block_id_wrapperIjLb0EEEEE10hipError_tT1_PNSt15iterator_traitsISE_E10value_typeET2_T3_PNSF_ISK_E10value_typeET4_T5_PSP_SQ_PNS1_23onesweep_lookback_stateEbbT6_jjT7_P12ihipStream_tbENKUlT_T0_SE_SJ_E_clIS8_S8_S9_S9_EEDaSX_SY_SE_SJ_EUlSX_E_NS1_11comp_targetILNS1_3genE2ELNS1_11target_archE906ELNS1_3gpuE6ELNS1_3repE0EEENS1_47radix_sort_onesweep_sort_config_static_selectorELNS0_4arch9wavefront6targetE1EEEvSE_,comdat
	.protected	_ZN7rocprim17ROCPRIM_400000_NS6detail17trampoline_kernelINS0_14default_configENS1_35radix_sort_onesweep_config_selectorItNS0_10empty_typeEEEZZNS1_29radix_sort_onesweep_iterationIS3_Lb0EPtS8_PS5_S9_mNS0_19identity_decomposerENS1_16block_id_wrapperIjLb0EEEEE10hipError_tT1_PNSt15iterator_traitsISE_E10value_typeET2_T3_PNSF_ISK_E10value_typeET4_T5_PSP_SQ_PNS1_23onesweep_lookback_stateEbbT6_jjT7_P12ihipStream_tbENKUlT_T0_SE_SJ_E_clIS8_S8_S9_S9_EEDaSX_SY_SE_SJ_EUlSX_E_NS1_11comp_targetILNS1_3genE2ELNS1_11target_archE906ELNS1_3gpuE6ELNS1_3repE0EEENS1_47radix_sort_onesweep_sort_config_static_selectorELNS0_4arch9wavefront6targetE1EEEvSE_ ; -- Begin function _ZN7rocprim17ROCPRIM_400000_NS6detail17trampoline_kernelINS0_14default_configENS1_35radix_sort_onesweep_config_selectorItNS0_10empty_typeEEEZZNS1_29radix_sort_onesweep_iterationIS3_Lb0EPtS8_PS5_S9_mNS0_19identity_decomposerENS1_16block_id_wrapperIjLb0EEEEE10hipError_tT1_PNSt15iterator_traitsISE_E10value_typeET2_T3_PNSF_ISK_E10value_typeET4_T5_PSP_SQ_PNS1_23onesweep_lookback_stateEbbT6_jjT7_P12ihipStream_tbENKUlT_T0_SE_SJ_E_clIS8_S8_S9_S9_EEDaSX_SY_SE_SJ_EUlSX_E_NS1_11comp_targetILNS1_3genE2ELNS1_11target_archE906ELNS1_3gpuE6ELNS1_3repE0EEENS1_47radix_sort_onesweep_sort_config_static_selectorELNS0_4arch9wavefront6targetE1EEEvSE_
	.globl	_ZN7rocprim17ROCPRIM_400000_NS6detail17trampoline_kernelINS0_14default_configENS1_35radix_sort_onesweep_config_selectorItNS0_10empty_typeEEEZZNS1_29radix_sort_onesweep_iterationIS3_Lb0EPtS8_PS5_S9_mNS0_19identity_decomposerENS1_16block_id_wrapperIjLb0EEEEE10hipError_tT1_PNSt15iterator_traitsISE_E10value_typeET2_T3_PNSF_ISK_E10value_typeET4_T5_PSP_SQ_PNS1_23onesweep_lookback_stateEbbT6_jjT7_P12ihipStream_tbENKUlT_T0_SE_SJ_E_clIS8_S8_S9_S9_EEDaSX_SY_SE_SJ_EUlSX_E_NS1_11comp_targetILNS1_3genE2ELNS1_11target_archE906ELNS1_3gpuE6ELNS1_3repE0EEENS1_47radix_sort_onesweep_sort_config_static_selectorELNS0_4arch9wavefront6targetE1EEEvSE_
	.p2align	8
	.type	_ZN7rocprim17ROCPRIM_400000_NS6detail17trampoline_kernelINS0_14default_configENS1_35radix_sort_onesweep_config_selectorItNS0_10empty_typeEEEZZNS1_29radix_sort_onesweep_iterationIS3_Lb0EPtS8_PS5_S9_mNS0_19identity_decomposerENS1_16block_id_wrapperIjLb0EEEEE10hipError_tT1_PNSt15iterator_traitsISE_E10value_typeET2_T3_PNSF_ISK_E10value_typeET4_T5_PSP_SQ_PNS1_23onesweep_lookback_stateEbbT6_jjT7_P12ihipStream_tbENKUlT_T0_SE_SJ_E_clIS8_S8_S9_S9_EEDaSX_SY_SE_SJ_EUlSX_E_NS1_11comp_targetILNS1_3genE2ELNS1_11target_archE906ELNS1_3gpuE6ELNS1_3repE0EEENS1_47radix_sort_onesweep_sort_config_static_selectorELNS0_4arch9wavefront6targetE1EEEvSE_,@function
_ZN7rocprim17ROCPRIM_400000_NS6detail17trampoline_kernelINS0_14default_configENS1_35radix_sort_onesweep_config_selectorItNS0_10empty_typeEEEZZNS1_29radix_sort_onesweep_iterationIS3_Lb0EPtS8_PS5_S9_mNS0_19identity_decomposerENS1_16block_id_wrapperIjLb0EEEEE10hipError_tT1_PNSt15iterator_traitsISE_E10value_typeET2_T3_PNSF_ISK_E10value_typeET4_T5_PSP_SQ_PNS1_23onesweep_lookback_stateEbbT6_jjT7_P12ihipStream_tbENKUlT_T0_SE_SJ_E_clIS8_S8_S9_S9_EEDaSX_SY_SE_SJ_EUlSX_E_NS1_11comp_targetILNS1_3genE2ELNS1_11target_archE906ELNS1_3gpuE6ELNS1_3repE0EEENS1_47radix_sort_onesweep_sort_config_static_selectorELNS0_4arch9wavefront6targetE1EEEvSE_: ; @_ZN7rocprim17ROCPRIM_400000_NS6detail17trampoline_kernelINS0_14default_configENS1_35radix_sort_onesweep_config_selectorItNS0_10empty_typeEEEZZNS1_29radix_sort_onesweep_iterationIS3_Lb0EPtS8_PS5_S9_mNS0_19identity_decomposerENS1_16block_id_wrapperIjLb0EEEEE10hipError_tT1_PNSt15iterator_traitsISE_E10value_typeET2_T3_PNSF_ISK_E10value_typeET4_T5_PSP_SQ_PNS1_23onesweep_lookback_stateEbbT6_jjT7_P12ihipStream_tbENKUlT_T0_SE_SJ_E_clIS8_S8_S9_S9_EEDaSX_SY_SE_SJ_EUlSX_E_NS1_11comp_targetILNS1_3genE2ELNS1_11target_archE906ELNS1_3gpuE6ELNS1_3repE0EEENS1_47radix_sort_onesweep_sort_config_static_selectorELNS0_4arch9wavefront6targetE1EEEvSE_
; %bb.0:
	.section	.rodata,"a",@progbits
	.p2align	6, 0x0
	.amdhsa_kernel _ZN7rocprim17ROCPRIM_400000_NS6detail17trampoline_kernelINS0_14default_configENS1_35radix_sort_onesweep_config_selectorItNS0_10empty_typeEEEZZNS1_29radix_sort_onesweep_iterationIS3_Lb0EPtS8_PS5_S9_mNS0_19identity_decomposerENS1_16block_id_wrapperIjLb0EEEEE10hipError_tT1_PNSt15iterator_traitsISE_E10value_typeET2_T3_PNSF_ISK_E10value_typeET4_T5_PSP_SQ_PNS1_23onesweep_lookback_stateEbbT6_jjT7_P12ihipStream_tbENKUlT_T0_SE_SJ_E_clIS8_S8_S9_S9_EEDaSX_SY_SE_SJ_EUlSX_E_NS1_11comp_targetILNS1_3genE2ELNS1_11target_archE906ELNS1_3gpuE6ELNS1_3repE0EEENS1_47radix_sort_onesweep_sort_config_static_selectorELNS0_4arch9wavefront6targetE1EEEvSE_
		.amdhsa_group_segment_fixed_size 0
		.amdhsa_private_segment_fixed_size 0
		.amdhsa_kernarg_size 88
		.amdhsa_user_sgpr_count 6
		.amdhsa_user_sgpr_private_segment_buffer 1
		.amdhsa_user_sgpr_dispatch_ptr 0
		.amdhsa_user_sgpr_queue_ptr 0
		.amdhsa_user_sgpr_kernarg_segment_ptr 1
		.amdhsa_user_sgpr_dispatch_id 0
		.amdhsa_user_sgpr_flat_scratch_init 0
		.amdhsa_user_sgpr_kernarg_preload_length 0
		.amdhsa_user_sgpr_kernarg_preload_offset 0
		.amdhsa_user_sgpr_private_segment_size 0
		.amdhsa_uses_dynamic_stack 0
		.amdhsa_system_sgpr_private_segment_wavefront_offset 0
		.amdhsa_system_sgpr_workgroup_id_x 1
		.amdhsa_system_sgpr_workgroup_id_y 0
		.amdhsa_system_sgpr_workgroup_id_z 0
		.amdhsa_system_sgpr_workgroup_info 0
		.amdhsa_system_vgpr_workitem_id 0
		.amdhsa_next_free_vgpr 1
		.amdhsa_next_free_sgpr 0
		.amdhsa_accum_offset 4
		.amdhsa_reserve_vcc 0
		.amdhsa_reserve_flat_scratch 0
		.amdhsa_float_round_mode_32 0
		.amdhsa_float_round_mode_16_64 0
		.amdhsa_float_denorm_mode_32 3
		.amdhsa_float_denorm_mode_16_64 3
		.amdhsa_dx10_clamp 1
		.amdhsa_ieee_mode 1
		.amdhsa_fp16_overflow 0
		.amdhsa_tg_split 0
		.amdhsa_exception_fp_ieee_invalid_op 0
		.amdhsa_exception_fp_denorm_src 0
		.amdhsa_exception_fp_ieee_div_zero 0
		.amdhsa_exception_fp_ieee_overflow 0
		.amdhsa_exception_fp_ieee_underflow 0
		.amdhsa_exception_fp_ieee_inexact 0
		.amdhsa_exception_int_div_zero 0
	.end_amdhsa_kernel
	.section	.text._ZN7rocprim17ROCPRIM_400000_NS6detail17trampoline_kernelINS0_14default_configENS1_35radix_sort_onesweep_config_selectorItNS0_10empty_typeEEEZZNS1_29radix_sort_onesweep_iterationIS3_Lb0EPtS8_PS5_S9_mNS0_19identity_decomposerENS1_16block_id_wrapperIjLb0EEEEE10hipError_tT1_PNSt15iterator_traitsISE_E10value_typeET2_T3_PNSF_ISK_E10value_typeET4_T5_PSP_SQ_PNS1_23onesweep_lookback_stateEbbT6_jjT7_P12ihipStream_tbENKUlT_T0_SE_SJ_E_clIS8_S8_S9_S9_EEDaSX_SY_SE_SJ_EUlSX_E_NS1_11comp_targetILNS1_3genE2ELNS1_11target_archE906ELNS1_3gpuE6ELNS1_3repE0EEENS1_47radix_sort_onesweep_sort_config_static_selectorELNS0_4arch9wavefront6targetE1EEEvSE_,"axG",@progbits,_ZN7rocprim17ROCPRIM_400000_NS6detail17trampoline_kernelINS0_14default_configENS1_35radix_sort_onesweep_config_selectorItNS0_10empty_typeEEEZZNS1_29radix_sort_onesweep_iterationIS3_Lb0EPtS8_PS5_S9_mNS0_19identity_decomposerENS1_16block_id_wrapperIjLb0EEEEE10hipError_tT1_PNSt15iterator_traitsISE_E10value_typeET2_T3_PNSF_ISK_E10value_typeET4_T5_PSP_SQ_PNS1_23onesweep_lookback_stateEbbT6_jjT7_P12ihipStream_tbENKUlT_T0_SE_SJ_E_clIS8_S8_S9_S9_EEDaSX_SY_SE_SJ_EUlSX_E_NS1_11comp_targetILNS1_3genE2ELNS1_11target_archE906ELNS1_3gpuE6ELNS1_3repE0EEENS1_47radix_sort_onesweep_sort_config_static_selectorELNS0_4arch9wavefront6targetE1EEEvSE_,comdat
.Lfunc_end552:
	.size	_ZN7rocprim17ROCPRIM_400000_NS6detail17trampoline_kernelINS0_14default_configENS1_35radix_sort_onesweep_config_selectorItNS0_10empty_typeEEEZZNS1_29radix_sort_onesweep_iterationIS3_Lb0EPtS8_PS5_S9_mNS0_19identity_decomposerENS1_16block_id_wrapperIjLb0EEEEE10hipError_tT1_PNSt15iterator_traitsISE_E10value_typeET2_T3_PNSF_ISK_E10value_typeET4_T5_PSP_SQ_PNS1_23onesweep_lookback_stateEbbT6_jjT7_P12ihipStream_tbENKUlT_T0_SE_SJ_E_clIS8_S8_S9_S9_EEDaSX_SY_SE_SJ_EUlSX_E_NS1_11comp_targetILNS1_3genE2ELNS1_11target_archE906ELNS1_3gpuE6ELNS1_3repE0EEENS1_47radix_sort_onesweep_sort_config_static_selectorELNS0_4arch9wavefront6targetE1EEEvSE_, .Lfunc_end552-_ZN7rocprim17ROCPRIM_400000_NS6detail17trampoline_kernelINS0_14default_configENS1_35radix_sort_onesweep_config_selectorItNS0_10empty_typeEEEZZNS1_29radix_sort_onesweep_iterationIS3_Lb0EPtS8_PS5_S9_mNS0_19identity_decomposerENS1_16block_id_wrapperIjLb0EEEEE10hipError_tT1_PNSt15iterator_traitsISE_E10value_typeET2_T3_PNSF_ISK_E10value_typeET4_T5_PSP_SQ_PNS1_23onesweep_lookback_stateEbbT6_jjT7_P12ihipStream_tbENKUlT_T0_SE_SJ_E_clIS8_S8_S9_S9_EEDaSX_SY_SE_SJ_EUlSX_E_NS1_11comp_targetILNS1_3genE2ELNS1_11target_archE906ELNS1_3gpuE6ELNS1_3repE0EEENS1_47radix_sort_onesweep_sort_config_static_selectorELNS0_4arch9wavefront6targetE1EEEvSE_
                                        ; -- End function
	.section	.AMDGPU.csdata,"",@progbits
; Kernel info:
; codeLenInByte = 0
; NumSgprs: 4
; NumVgprs: 0
; NumAgprs: 0
; TotalNumVgprs: 0
; ScratchSize: 0
; MemoryBound: 0
; FloatMode: 240
; IeeeMode: 1
; LDSByteSize: 0 bytes/workgroup (compile time only)
; SGPRBlocks: 0
; VGPRBlocks: 0
; NumSGPRsForWavesPerEU: 4
; NumVGPRsForWavesPerEU: 1
; AccumOffset: 4
; Occupancy: 8
; WaveLimiterHint : 0
; COMPUTE_PGM_RSRC2:SCRATCH_EN: 0
; COMPUTE_PGM_RSRC2:USER_SGPR: 6
; COMPUTE_PGM_RSRC2:TRAP_HANDLER: 0
; COMPUTE_PGM_RSRC2:TGID_X_EN: 1
; COMPUTE_PGM_RSRC2:TGID_Y_EN: 0
; COMPUTE_PGM_RSRC2:TGID_Z_EN: 0
; COMPUTE_PGM_RSRC2:TIDIG_COMP_CNT: 0
; COMPUTE_PGM_RSRC3_GFX90A:ACCUM_OFFSET: 0
; COMPUTE_PGM_RSRC3_GFX90A:TG_SPLIT: 0
	.section	.text._ZN7rocprim17ROCPRIM_400000_NS6detail17trampoline_kernelINS0_14default_configENS1_35radix_sort_onesweep_config_selectorItNS0_10empty_typeEEEZZNS1_29radix_sort_onesweep_iterationIS3_Lb0EPtS8_PS5_S9_mNS0_19identity_decomposerENS1_16block_id_wrapperIjLb0EEEEE10hipError_tT1_PNSt15iterator_traitsISE_E10value_typeET2_T3_PNSF_ISK_E10value_typeET4_T5_PSP_SQ_PNS1_23onesweep_lookback_stateEbbT6_jjT7_P12ihipStream_tbENKUlT_T0_SE_SJ_E_clIS8_S8_S9_S9_EEDaSX_SY_SE_SJ_EUlSX_E_NS1_11comp_targetILNS1_3genE4ELNS1_11target_archE910ELNS1_3gpuE8ELNS1_3repE0EEENS1_47radix_sort_onesweep_sort_config_static_selectorELNS0_4arch9wavefront6targetE1EEEvSE_,"axG",@progbits,_ZN7rocprim17ROCPRIM_400000_NS6detail17trampoline_kernelINS0_14default_configENS1_35radix_sort_onesweep_config_selectorItNS0_10empty_typeEEEZZNS1_29radix_sort_onesweep_iterationIS3_Lb0EPtS8_PS5_S9_mNS0_19identity_decomposerENS1_16block_id_wrapperIjLb0EEEEE10hipError_tT1_PNSt15iterator_traitsISE_E10value_typeET2_T3_PNSF_ISK_E10value_typeET4_T5_PSP_SQ_PNS1_23onesweep_lookback_stateEbbT6_jjT7_P12ihipStream_tbENKUlT_T0_SE_SJ_E_clIS8_S8_S9_S9_EEDaSX_SY_SE_SJ_EUlSX_E_NS1_11comp_targetILNS1_3genE4ELNS1_11target_archE910ELNS1_3gpuE8ELNS1_3repE0EEENS1_47radix_sort_onesweep_sort_config_static_selectorELNS0_4arch9wavefront6targetE1EEEvSE_,comdat
	.protected	_ZN7rocprim17ROCPRIM_400000_NS6detail17trampoline_kernelINS0_14default_configENS1_35radix_sort_onesweep_config_selectorItNS0_10empty_typeEEEZZNS1_29radix_sort_onesweep_iterationIS3_Lb0EPtS8_PS5_S9_mNS0_19identity_decomposerENS1_16block_id_wrapperIjLb0EEEEE10hipError_tT1_PNSt15iterator_traitsISE_E10value_typeET2_T3_PNSF_ISK_E10value_typeET4_T5_PSP_SQ_PNS1_23onesweep_lookback_stateEbbT6_jjT7_P12ihipStream_tbENKUlT_T0_SE_SJ_E_clIS8_S8_S9_S9_EEDaSX_SY_SE_SJ_EUlSX_E_NS1_11comp_targetILNS1_3genE4ELNS1_11target_archE910ELNS1_3gpuE8ELNS1_3repE0EEENS1_47radix_sort_onesweep_sort_config_static_selectorELNS0_4arch9wavefront6targetE1EEEvSE_ ; -- Begin function _ZN7rocprim17ROCPRIM_400000_NS6detail17trampoline_kernelINS0_14default_configENS1_35radix_sort_onesweep_config_selectorItNS0_10empty_typeEEEZZNS1_29radix_sort_onesweep_iterationIS3_Lb0EPtS8_PS5_S9_mNS0_19identity_decomposerENS1_16block_id_wrapperIjLb0EEEEE10hipError_tT1_PNSt15iterator_traitsISE_E10value_typeET2_T3_PNSF_ISK_E10value_typeET4_T5_PSP_SQ_PNS1_23onesweep_lookback_stateEbbT6_jjT7_P12ihipStream_tbENKUlT_T0_SE_SJ_E_clIS8_S8_S9_S9_EEDaSX_SY_SE_SJ_EUlSX_E_NS1_11comp_targetILNS1_3genE4ELNS1_11target_archE910ELNS1_3gpuE8ELNS1_3repE0EEENS1_47radix_sort_onesweep_sort_config_static_selectorELNS0_4arch9wavefront6targetE1EEEvSE_
	.globl	_ZN7rocprim17ROCPRIM_400000_NS6detail17trampoline_kernelINS0_14default_configENS1_35radix_sort_onesweep_config_selectorItNS0_10empty_typeEEEZZNS1_29radix_sort_onesweep_iterationIS3_Lb0EPtS8_PS5_S9_mNS0_19identity_decomposerENS1_16block_id_wrapperIjLb0EEEEE10hipError_tT1_PNSt15iterator_traitsISE_E10value_typeET2_T3_PNSF_ISK_E10value_typeET4_T5_PSP_SQ_PNS1_23onesweep_lookback_stateEbbT6_jjT7_P12ihipStream_tbENKUlT_T0_SE_SJ_E_clIS8_S8_S9_S9_EEDaSX_SY_SE_SJ_EUlSX_E_NS1_11comp_targetILNS1_3genE4ELNS1_11target_archE910ELNS1_3gpuE8ELNS1_3repE0EEENS1_47radix_sort_onesweep_sort_config_static_selectorELNS0_4arch9wavefront6targetE1EEEvSE_
	.p2align	8
	.type	_ZN7rocprim17ROCPRIM_400000_NS6detail17trampoline_kernelINS0_14default_configENS1_35radix_sort_onesweep_config_selectorItNS0_10empty_typeEEEZZNS1_29radix_sort_onesweep_iterationIS3_Lb0EPtS8_PS5_S9_mNS0_19identity_decomposerENS1_16block_id_wrapperIjLb0EEEEE10hipError_tT1_PNSt15iterator_traitsISE_E10value_typeET2_T3_PNSF_ISK_E10value_typeET4_T5_PSP_SQ_PNS1_23onesweep_lookback_stateEbbT6_jjT7_P12ihipStream_tbENKUlT_T0_SE_SJ_E_clIS8_S8_S9_S9_EEDaSX_SY_SE_SJ_EUlSX_E_NS1_11comp_targetILNS1_3genE4ELNS1_11target_archE910ELNS1_3gpuE8ELNS1_3repE0EEENS1_47radix_sort_onesweep_sort_config_static_selectorELNS0_4arch9wavefront6targetE1EEEvSE_,@function
_ZN7rocprim17ROCPRIM_400000_NS6detail17trampoline_kernelINS0_14default_configENS1_35radix_sort_onesweep_config_selectorItNS0_10empty_typeEEEZZNS1_29radix_sort_onesweep_iterationIS3_Lb0EPtS8_PS5_S9_mNS0_19identity_decomposerENS1_16block_id_wrapperIjLb0EEEEE10hipError_tT1_PNSt15iterator_traitsISE_E10value_typeET2_T3_PNSF_ISK_E10value_typeET4_T5_PSP_SQ_PNS1_23onesweep_lookback_stateEbbT6_jjT7_P12ihipStream_tbENKUlT_T0_SE_SJ_E_clIS8_S8_S9_S9_EEDaSX_SY_SE_SJ_EUlSX_E_NS1_11comp_targetILNS1_3genE4ELNS1_11target_archE910ELNS1_3gpuE8ELNS1_3repE0EEENS1_47radix_sort_onesweep_sort_config_static_selectorELNS0_4arch9wavefront6targetE1EEEvSE_: ; @_ZN7rocprim17ROCPRIM_400000_NS6detail17trampoline_kernelINS0_14default_configENS1_35radix_sort_onesweep_config_selectorItNS0_10empty_typeEEEZZNS1_29radix_sort_onesweep_iterationIS3_Lb0EPtS8_PS5_S9_mNS0_19identity_decomposerENS1_16block_id_wrapperIjLb0EEEEE10hipError_tT1_PNSt15iterator_traitsISE_E10value_typeET2_T3_PNSF_ISK_E10value_typeET4_T5_PSP_SQ_PNS1_23onesweep_lookback_stateEbbT6_jjT7_P12ihipStream_tbENKUlT_T0_SE_SJ_E_clIS8_S8_S9_S9_EEDaSX_SY_SE_SJ_EUlSX_E_NS1_11comp_targetILNS1_3genE4ELNS1_11target_archE910ELNS1_3gpuE8ELNS1_3repE0EEENS1_47radix_sort_onesweep_sort_config_static_selectorELNS0_4arch9wavefront6targetE1EEEvSE_
; %bb.0:
	s_load_dwordx4 s[20:23], s[4:5], 0x44
	s_load_dwordx2 s[24:25], s[4:5], 0x38
	s_load_dwordx4 s[16:19], s[4:5], 0x0
	s_load_dwordx4 s[12:15], s[4:5], 0x28
	s_mul_i32 s26, s6, 0x3000
	s_waitcnt lgkmcnt(0)
	s_cmp_ge_u32 s6, s22
	v_mbcnt_lo_u32_b32 v1, -1, 0
	s_cbranch_scc0 .LBB553_96
; %bb.1:
	s_load_dword s7, s[4:5], 0x20
	s_mul_i32 s2, s22, 0xffffd000
	s_mov_b32 s27, 0
	v_and_b32_e32 v2, 0x3ff, v0
	s_lshl_b64 s[0:1], s[26:27], 1
	s_waitcnt lgkmcnt(0)
	s_add_i32 s7, s7, s2
	v_mbcnt_hi_u32_b32 v13, -1, v1
	s_add_u32 s0, s16, s0
	v_and_b32_e32 v3, 63, v13
	v_and_b32_e32 v4, 0x3c0, v2
	s_addc_u32 s1, s17, s1
	v_mul_u32_u24_e32 v6, 12, v4
	v_lshlrev_b32_e32 v4, 1, v3
	v_mov_b32_e32 v5, s1
	v_add_co_u32_e32 v4, vcc, s0, v4
	v_addc_co_u32_e32 v5, vcc, 0, v5, vcc
	v_lshlrev_b32_e32 v7, 1, v6
	v_add_co_u32_e32 v4, vcc, v4, v7
	v_addc_co_u32_e32 v5, vcc, 0, v5, vcc
	v_or_b32_e32 v6, v3, v6
	v_cmp_gt_u32_e32 vcc, s7, v6
	v_mov_b32_e32 v3, -1
	v_mov_b32_e32 v8, -1
	s_and_saveexec_b64 s[0:1], vcc
	s_cbranch_execz .LBB553_3
; %bb.2:
	global_load_ushort v8, v[4:5], off
.LBB553_3:
	s_or_b64 exec, exec, s[0:1]
	v_or_b32_e32 v7, 64, v6
	v_cmp_gt_u32_e32 vcc, s7, v7
	s_and_saveexec_b64 s[0:1], vcc
	s_cbranch_execz .LBB553_5
; %bb.4:
	global_load_ushort v3, v[4:5], off offset:128
.LBB553_5:
	s_or_b64 exec, exec, s[0:1]
	v_or_b32_e32 v7, 0x80, v6
	v_cmp_gt_u32_e32 vcc, s7, v7
	v_mov_b32_e32 v9, -1
	v_mov_b32_e32 v10, -1
	s_and_saveexec_b64 s[0:1], vcc
	s_cbranch_execz .LBB553_7
; %bb.6:
	global_load_ushort v10, v[4:5], off offset:256
.LBB553_7:
	s_or_b64 exec, exec, s[0:1]
	v_or_b32_e32 v7, 0xc0, v6
	v_cmp_gt_u32_e32 vcc, s7, v7
	s_and_saveexec_b64 s[0:1], vcc
	s_cbranch_execz .LBB553_9
; %bb.8:
	global_load_ushort v9, v[4:5], off offset:384
.LBB553_9:
	s_or_b64 exec, exec, s[0:1]
	v_add_u32_e32 v7, 0x100, v6
	v_cmp_gt_u32_e32 vcc, s7, v7
	v_mov_b32_e32 v11, -1
	v_mov_b32_e32 v12, -1
	s_and_saveexec_b64 s[0:1], vcc
	s_cbranch_execz .LBB553_11
; %bb.10:
	global_load_ushort v12, v[4:5], off offset:512
.LBB553_11:
	s_or_b64 exec, exec, s[0:1]
	v_add_u32_e32 v7, 0x140, v6
	v_cmp_gt_u32_e32 vcc, s7, v7
	s_and_saveexec_b64 s[0:1], vcc
	s_cbranch_execz .LBB553_13
; %bb.12:
	global_load_ushort v11, v[4:5], off offset:640
.LBB553_13:
	s_or_b64 exec, exec, s[0:1]
	v_add_u32_e32 v7, 0x180, v6
	v_cmp_gt_u32_e32 vcc, s7, v7
	v_mov_b32_e32 v14, -1
	v_mov_b32_e32 v15, -1
	s_and_saveexec_b64 s[0:1], vcc
	s_cbranch_execz .LBB553_15
; %bb.14:
	global_load_ushort v15, v[4:5], off offset:768
.LBB553_15:
	s_or_b64 exec, exec, s[0:1]
	v_add_u32_e32 v7, 0x1c0, v6
	;; [unrolled: 18-line block ×4, first 2 shown]
	v_cmp_gt_u32_e32 vcc, s7, v6
	s_and_saveexec_b64 s[0:1], vcc
	s_cbranch_execz .LBB553_25
; %bb.24:
	global_load_ushort v18, v[4:5], off offset:1408
.LBB553_25:
	s_or_b64 exec, exec, s[0:1]
	s_load_dword s0, s[4:5], 0x64
	s_load_dword s27, s[4:5], 0x58
	s_add_u32 s1, s4, 0x58
	s_addc_u32 s2, s5, 0
	v_mov_b32_e32 v4, 0
	s_waitcnt lgkmcnt(0)
	s_lshr_b32 s3, s0, 16
	s_cmp_lt_u32 s6, s27
	s_cselect_b32 s0, 12, 18
	s_add_u32 s0, s1, s0
	s_addc_u32 s1, s2, 0
	global_load_ushort v6, v4, s[0:1]
	s_lshl_b32 s0, -1, s21
	s_waitcnt vmcnt(1)
	v_lshrrev_b32_sdwa v21, s20, v8 dst_sel:DWORD dst_unused:UNUSED_PAD src0_sel:DWORD src1_sel:WORD_0
	s_not_b32 s28, s0
	v_and_b32_e32 v21, s28, v21
	v_and_b32_e32 v23, 1, v21
	v_bfe_u32 v5, v0, 10, 10
	v_bfe_u32 v7, v0, 20, 10
	v_add_co_u32_e32 v24, vcc, -1, v23
	v_mad_u32_u24 v7, v7, s3, v5
	v_lshlrev_b32_e32 v5, 30, v21
	v_addc_co_u32_e64 v25, s[0:1], 0, -1, vcc
	v_cmp_ne_u32_e32 vcc, 0, v23
	v_cmp_gt_i64_e64 s[0:1], 0, v[4:5]
	v_not_b32_e32 v23, v5
	v_lshlrev_b32_e32 v5, 29, v21
	v_xor_b32_e32 v25, vcc_hi, v25
	v_xor_b32_e32 v24, vcc_lo, v24
	v_ashrrev_i32_e32 v23, 31, v23
	v_cmp_gt_i64_e32 vcc, 0, v[4:5]
	v_not_b32_e32 v26, v5
	v_lshlrev_b32_e32 v5, 28, v21
	v_and_b32_e32 v25, exec_hi, v25
	v_and_b32_e32 v24, exec_lo, v24
	v_xor_b32_e32 v27, s1, v23
	v_xor_b32_e32 v23, s0, v23
	v_ashrrev_i32_e32 v26, 31, v26
	v_cmp_gt_i64_e64 s[0:1], 0, v[4:5]
	v_not_b32_e32 v28, v5
	v_lshlrev_b32_e32 v5, 27, v21
	v_and_b32_e32 v25, v25, v27
	v_and_b32_e32 v23, v24, v23
	v_xor_b32_e32 v24, vcc_hi, v26
	v_xor_b32_e32 v26, vcc_lo, v26
	v_ashrrev_i32_e32 v27, 31, v28
	v_cmp_gt_i64_e32 vcc, 0, v[4:5]
	v_not_b32_e32 v28, v5
	v_lshlrev_b32_e32 v5, 26, v21
	v_and_b32_e32 v24, v25, v24
	v_and_b32_e32 v23, v23, v26
	v_xor_b32_e32 v25, s1, v27
	v_xor_b32_e32 v26, s0, v27
	v_ashrrev_i32_e32 v27, 31, v28
	v_cmp_gt_i64_e64 s[0:1], 0, v[4:5]
	v_not_b32_e32 v28, v5
	v_lshlrev_b32_e32 v5, 25, v21
	v_and_b32_e32 v24, v24, v25
	v_and_b32_e32 v23, v23, v26
	v_xor_b32_e32 v25, vcc_hi, v27
	v_xor_b32_e32 v26, vcc_lo, v27
	v_ashrrev_i32_e32 v27, 31, v28
	v_cmp_gt_i64_e32 vcc, 0, v[4:5]
	v_not_b32_e32 v28, v5
	v_lshlrev_b32_e32 v5, 24, v21
	v_mul_u32_u24_e32 v22, 17, v21
	v_and_b32_e32 v21, v24, v25
	v_and_b32_e32 v23, v23, v26
	v_xor_b32_e32 v24, s1, v27
	v_xor_b32_e32 v25, s0, v27
	v_ashrrev_i32_e32 v26, 31, v28
	v_cmp_gt_i64_e64 s[0:1], 0, v[4:5]
	v_not_b32_e32 v5, v5
	v_and_b32_e32 v21, v21, v24
	v_and_b32_e32 v23, v23, v25
	v_xor_b32_e32 v24, vcc_hi, v26
	v_xor_b32_e32 v25, vcc_lo, v26
	v_ashrrev_i32_e32 v5, 31, v5
	v_and_b32_e32 v21, v21, v24
	v_and_b32_e32 v24, v23, v25
	v_mul_u32_u24_e32 v20, 5, v2
	v_lshlrev_b32_e32 v20, 2, v20
	ds_write2_b32 v20, v4, v4 offset0:16 offset1:17
	ds_write2_b32 v20, v4, v4 offset0:18 offset1:19
	ds_write_b32 v20, v4 offset:80
	s_waitcnt lgkmcnt(0)
	s_barrier
	s_waitcnt lgkmcnt(0)
	; wave barrier
	s_waitcnt vmcnt(0)
	v_mad_u64_u32 v[6:7], s[2:3], v7, v6, v[2:3]
	v_lshrrev_b32_e32 v30, 6, v6
	v_xor_b32_e32 v6, s1, v5
	v_xor_b32_e32 v5, s0, v5
	v_and_b32_e32 v7, v21, v6
	v_and_b32_e32 v6, v24, v5
	v_mbcnt_lo_u32_b32 v5, v6, 0
	v_mbcnt_hi_u32_b32 v21, v7, v5
	v_cmp_eq_u32_e32 vcc, 0, v21
	v_cmp_ne_u64_e64 s[0:1], 0, v[6:7]
	v_add_lshl_u32 v23, v30, v22, 2
	s_and_b64 s[2:3], s[0:1], vcc
	s_and_saveexec_b64 s[0:1], s[2:3]
	s_cbranch_execz .LBB553_27
; %bb.26:
	v_bcnt_u32_b32 v5, v6, 0
	v_bcnt_u32_b32 v5, v7, v5
	ds_write_b32 v23, v5 offset:64
.LBB553_27:
	s_or_b64 exec, exec, s[0:1]
	v_lshrrev_b32_sdwa v5, s20, v3 dst_sel:DWORD dst_unused:UNUSED_PAD src0_sel:DWORD src1_sel:WORD_0
	v_and_b32_e32 v6, s28, v5
	v_mul_u32_u24_e32 v5, 17, v6
	v_add_lshl_u32 v24, v30, v5, 2
	v_and_b32_e32 v5, 1, v6
	v_add_co_u32_e32 v7, vcc, -1, v5
	v_addc_co_u32_e64 v25, s[0:1], 0, -1, vcc
	v_cmp_ne_u32_e32 vcc, 0, v5
	v_xor_b32_e32 v5, vcc_hi, v25
	v_and_b32_e32 v25, exec_hi, v5
	v_lshlrev_b32_e32 v5, 30, v6
	v_xor_b32_e32 v7, vcc_lo, v7
	v_cmp_gt_i64_e32 vcc, 0, v[4:5]
	v_not_b32_e32 v5, v5
	v_ashrrev_i32_e32 v5, 31, v5
	v_and_b32_e32 v7, exec_lo, v7
	v_xor_b32_e32 v26, vcc_hi, v5
	v_xor_b32_e32 v5, vcc_lo, v5
	v_and_b32_e32 v7, v7, v5
	v_lshlrev_b32_e32 v5, 29, v6
	v_cmp_gt_i64_e32 vcc, 0, v[4:5]
	v_not_b32_e32 v5, v5
	v_ashrrev_i32_e32 v5, 31, v5
	v_and_b32_e32 v25, v25, v26
	v_xor_b32_e32 v26, vcc_hi, v5
	v_xor_b32_e32 v5, vcc_lo, v5
	v_and_b32_e32 v7, v7, v5
	v_lshlrev_b32_e32 v5, 28, v6
	v_cmp_gt_i64_e32 vcc, 0, v[4:5]
	v_not_b32_e32 v5, v5
	v_ashrrev_i32_e32 v5, 31, v5
	v_and_b32_e32 v25, v25, v26
	;; [unrolled: 8-line block ×5, first 2 shown]
	v_xor_b32_e32 v26, vcc_hi, v5
	v_xor_b32_e32 v5, vcc_lo, v5
	v_and_b32_e32 v7, v7, v5
	v_lshlrev_b32_e32 v5, 24, v6
	v_cmp_gt_i64_e32 vcc, 0, v[4:5]
	v_not_b32_e32 v4, v5
	v_ashrrev_i32_e32 v4, 31, v4
	v_xor_b32_e32 v5, vcc_hi, v4
	v_xor_b32_e32 v4, vcc_lo, v4
	; wave barrier
	ds_read_b32 v22, v24 offset:64
	v_and_b32_e32 v25, v25, v26
	v_and_b32_e32 v4, v7, v4
	;; [unrolled: 1-line block ×3, first 2 shown]
	v_mbcnt_lo_u32_b32 v6, v4, 0
	v_mbcnt_hi_u32_b32 v25, v5, v6
	v_cmp_eq_u32_e32 vcc, 0, v25
	v_cmp_ne_u64_e64 s[0:1], 0, v[4:5]
	s_and_b64 s[2:3], s[0:1], vcc
	; wave barrier
	s_and_saveexec_b64 s[0:1], s[2:3]
	s_cbranch_execz .LBB553_29
; %bb.28:
	v_bcnt_u32_b32 v4, v4, 0
	v_bcnt_u32_b32 v4, v5, v4
	s_waitcnt lgkmcnt(0)
	v_add_u32_e32 v4, v22, v4
	ds_write_b32 v24, v4 offset:64
.LBB553_29:
	s_or_b64 exec, exec, s[0:1]
	v_lshrrev_b32_sdwa v4, s20, v10 dst_sel:DWORD dst_unused:UNUSED_PAD src0_sel:DWORD src1_sel:WORD_0
	v_and_b32_e32 v6, s28, v4
	v_and_b32_e32 v5, 1, v6
	v_add_co_u32_e32 v7, vcc, -1, v5
	v_addc_co_u32_e64 v28, s[0:1], 0, -1, vcc
	v_cmp_ne_u32_e32 vcc, 0, v5
	v_mul_u32_u24_e32 v4, 17, v6
	v_xor_b32_e32 v5, vcc_hi, v28
	v_add_lshl_u32 v27, v30, v4, 2
	v_mov_b32_e32 v4, 0
	v_and_b32_e32 v28, exec_hi, v5
	v_lshlrev_b32_e32 v5, 30, v6
	v_xor_b32_e32 v7, vcc_lo, v7
	v_cmp_gt_i64_e32 vcc, 0, v[4:5]
	v_not_b32_e32 v5, v5
	v_ashrrev_i32_e32 v5, 31, v5
	v_and_b32_e32 v7, exec_lo, v7
	v_xor_b32_e32 v29, vcc_hi, v5
	v_xor_b32_e32 v5, vcc_lo, v5
	v_and_b32_e32 v7, v7, v5
	v_lshlrev_b32_e32 v5, 29, v6
	v_cmp_gt_i64_e32 vcc, 0, v[4:5]
	v_not_b32_e32 v5, v5
	v_ashrrev_i32_e32 v5, 31, v5
	v_and_b32_e32 v28, v28, v29
	v_xor_b32_e32 v29, vcc_hi, v5
	v_xor_b32_e32 v5, vcc_lo, v5
	v_and_b32_e32 v7, v7, v5
	v_lshlrev_b32_e32 v5, 28, v6
	v_cmp_gt_i64_e32 vcc, 0, v[4:5]
	v_not_b32_e32 v5, v5
	v_ashrrev_i32_e32 v5, 31, v5
	v_and_b32_e32 v28, v28, v29
	v_xor_b32_e32 v29, vcc_hi, v5
	v_xor_b32_e32 v5, vcc_lo, v5
	v_and_b32_e32 v7, v7, v5
	v_lshlrev_b32_e32 v5, 27, v6
	v_cmp_gt_i64_e32 vcc, 0, v[4:5]
	v_not_b32_e32 v5, v5
	v_ashrrev_i32_e32 v5, 31, v5
	v_and_b32_e32 v28, v28, v29
	v_xor_b32_e32 v29, vcc_hi, v5
	v_xor_b32_e32 v5, vcc_lo, v5
	v_and_b32_e32 v7, v7, v5
	v_lshlrev_b32_e32 v5, 26, v6
	v_cmp_gt_i64_e32 vcc, 0, v[4:5]
	v_not_b32_e32 v5, v5
	v_ashrrev_i32_e32 v5, 31, v5
	v_and_b32_e32 v28, v28, v29
	v_xor_b32_e32 v29, vcc_hi, v5
	v_xor_b32_e32 v5, vcc_lo, v5
	v_and_b32_e32 v7, v7, v5
	v_lshlrev_b32_e32 v5, 25, v6
	v_cmp_gt_i64_e32 vcc, 0, v[4:5]
	v_not_b32_e32 v5, v5
	v_ashrrev_i32_e32 v5, 31, v5
	v_and_b32_e32 v28, v28, v29
	v_xor_b32_e32 v29, vcc_hi, v5
	v_xor_b32_e32 v5, vcc_lo, v5
	v_and_b32_e32 v28, v28, v29
	v_and_b32_e32 v29, v7, v5
	v_lshlrev_b32_e32 v5, 24, v6
	v_cmp_gt_i64_e32 vcc, 0, v[4:5]
	v_not_b32_e32 v5, v5
	v_ashrrev_i32_e32 v5, 31, v5
	v_xor_b32_e32 v6, vcc_hi, v5
	v_xor_b32_e32 v5, vcc_lo, v5
	; wave barrier
	ds_read_b32 v26, v27 offset:64
	v_and_b32_e32 v7, v28, v6
	v_and_b32_e32 v6, v29, v5
	v_mbcnt_lo_u32_b32 v5, v6, 0
	v_mbcnt_hi_u32_b32 v28, v7, v5
	v_cmp_eq_u32_e32 vcc, 0, v28
	v_cmp_ne_u64_e64 s[0:1], 0, v[6:7]
	s_and_b64 s[2:3], s[0:1], vcc
	; wave barrier
	s_and_saveexec_b64 s[0:1], s[2:3]
	s_cbranch_execz .LBB553_31
; %bb.30:
	v_bcnt_u32_b32 v5, v6, 0
	v_bcnt_u32_b32 v5, v7, v5
	s_waitcnt lgkmcnt(0)
	v_add_u32_e32 v5, v26, v5
	ds_write_b32 v27, v5 offset:64
.LBB553_31:
	s_or_b64 exec, exec, s[0:1]
	v_lshrrev_b32_sdwa v5, s20, v9 dst_sel:DWORD dst_unused:UNUSED_PAD src0_sel:DWORD src1_sel:WORD_0
	v_and_b32_e32 v6, s28, v5
	v_mul_u32_u24_e32 v5, 17, v6
	v_add_lshl_u32 v31, v30, v5, 2
	v_and_b32_e32 v5, 1, v6
	v_add_co_u32_e32 v7, vcc, -1, v5
	v_addc_co_u32_e64 v32, s[0:1], 0, -1, vcc
	v_cmp_ne_u32_e32 vcc, 0, v5
	v_xor_b32_e32 v5, vcc_hi, v32
	v_and_b32_e32 v32, exec_hi, v5
	v_lshlrev_b32_e32 v5, 30, v6
	v_xor_b32_e32 v7, vcc_lo, v7
	v_cmp_gt_i64_e32 vcc, 0, v[4:5]
	v_not_b32_e32 v5, v5
	v_ashrrev_i32_e32 v5, 31, v5
	v_and_b32_e32 v7, exec_lo, v7
	v_xor_b32_e32 v33, vcc_hi, v5
	v_xor_b32_e32 v5, vcc_lo, v5
	v_and_b32_e32 v7, v7, v5
	v_lshlrev_b32_e32 v5, 29, v6
	v_cmp_gt_i64_e32 vcc, 0, v[4:5]
	v_not_b32_e32 v5, v5
	v_ashrrev_i32_e32 v5, 31, v5
	v_and_b32_e32 v32, v32, v33
	v_xor_b32_e32 v33, vcc_hi, v5
	v_xor_b32_e32 v5, vcc_lo, v5
	v_and_b32_e32 v7, v7, v5
	v_lshlrev_b32_e32 v5, 28, v6
	v_cmp_gt_i64_e32 vcc, 0, v[4:5]
	v_not_b32_e32 v5, v5
	v_ashrrev_i32_e32 v5, 31, v5
	v_and_b32_e32 v32, v32, v33
	;; [unrolled: 8-line block ×5, first 2 shown]
	v_xor_b32_e32 v33, vcc_hi, v5
	v_xor_b32_e32 v5, vcc_lo, v5
	v_and_b32_e32 v7, v7, v5
	v_lshlrev_b32_e32 v5, 24, v6
	v_cmp_gt_i64_e32 vcc, 0, v[4:5]
	v_not_b32_e32 v4, v5
	v_ashrrev_i32_e32 v4, 31, v4
	v_xor_b32_e32 v5, vcc_hi, v4
	v_xor_b32_e32 v4, vcc_lo, v4
	; wave barrier
	ds_read_b32 v29, v31 offset:64
	v_and_b32_e32 v32, v32, v33
	v_and_b32_e32 v4, v7, v4
	v_and_b32_e32 v5, v32, v5
	v_mbcnt_lo_u32_b32 v6, v4, 0
	v_mbcnt_hi_u32_b32 v32, v5, v6
	v_cmp_eq_u32_e32 vcc, 0, v32
	v_cmp_ne_u64_e64 s[0:1], 0, v[4:5]
	s_and_b64 s[2:3], s[0:1], vcc
	; wave barrier
	s_and_saveexec_b64 s[0:1], s[2:3]
	s_cbranch_execz .LBB553_33
; %bb.32:
	v_bcnt_u32_b32 v4, v4, 0
	v_bcnt_u32_b32 v4, v5, v4
	s_waitcnt lgkmcnt(0)
	v_add_u32_e32 v4, v29, v4
	ds_write_b32 v31, v4 offset:64
.LBB553_33:
	s_or_b64 exec, exec, s[0:1]
	v_lshrrev_b32_sdwa v4, s20, v12 dst_sel:DWORD dst_unused:UNUSED_PAD src0_sel:DWORD src1_sel:WORD_0
	v_and_b32_e32 v6, s28, v4
	v_and_b32_e32 v5, 1, v6
	v_add_co_u32_e32 v7, vcc, -1, v5
	v_addc_co_u32_e64 v35, s[0:1], 0, -1, vcc
	v_cmp_ne_u32_e32 vcc, 0, v5
	v_mul_u32_u24_e32 v4, 17, v6
	v_xor_b32_e32 v5, vcc_hi, v35
	v_add_lshl_u32 v34, v30, v4, 2
	v_mov_b32_e32 v4, 0
	v_and_b32_e32 v35, exec_hi, v5
	v_lshlrev_b32_e32 v5, 30, v6
	v_xor_b32_e32 v7, vcc_lo, v7
	v_cmp_gt_i64_e32 vcc, 0, v[4:5]
	v_not_b32_e32 v5, v5
	v_ashrrev_i32_e32 v5, 31, v5
	v_and_b32_e32 v7, exec_lo, v7
	v_xor_b32_e32 v36, vcc_hi, v5
	v_xor_b32_e32 v5, vcc_lo, v5
	v_and_b32_e32 v7, v7, v5
	v_lshlrev_b32_e32 v5, 29, v6
	v_cmp_gt_i64_e32 vcc, 0, v[4:5]
	v_not_b32_e32 v5, v5
	v_ashrrev_i32_e32 v5, 31, v5
	v_and_b32_e32 v35, v35, v36
	v_xor_b32_e32 v36, vcc_hi, v5
	v_xor_b32_e32 v5, vcc_lo, v5
	v_and_b32_e32 v7, v7, v5
	v_lshlrev_b32_e32 v5, 28, v6
	v_cmp_gt_i64_e32 vcc, 0, v[4:5]
	v_not_b32_e32 v5, v5
	v_ashrrev_i32_e32 v5, 31, v5
	v_and_b32_e32 v35, v35, v36
	;; [unrolled: 8-line block ×5, first 2 shown]
	v_xor_b32_e32 v36, vcc_hi, v5
	v_xor_b32_e32 v5, vcc_lo, v5
	v_and_b32_e32 v35, v35, v36
	v_and_b32_e32 v36, v7, v5
	v_lshlrev_b32_e32 v5, 24, v6
	v_cmp_gt_i64_e32 vcc, 0, v[4:5]
	v_not_b32_e32 v5, v5
	v_ashrrev_i32_e32 v5, 31, v5
	v_xor_b32_e32 v6, vcc_hi, v5
	v_xor_b32_e32 v5, vcc_lo, v5
	; wave barrier
	ds_read_b32 v33, v34 offset:64
	v_and_b32_e32 v7, v35, v6
	v_and_b32_e32 v6, v36, v5
	v_mbcnt_lo_u32_b32 v5, v6, 0
	v_mbcnt_hi_u32_b32 v35, v7, v5
	v_cmp_eq_u32_e32 vcc, 0, v35
	v_cmp_ne_u64_e64 s[0:1], 0, v[6:7]
	s_and_b64 s[2:3], s[0:1], vcc
	; wave barrier
	s_and_saveexec_b64 s[0:1], s[2:3]
	s_cbranch_execz .LBB553_35
; %bb.34:
	v_bcnt_u32_b32 v5, v6, 0
	v_bcnt_u32_b32 v5, v7, v5
	s_waitcnt lgkmcnt(0)
	v_add_u32_e32 v5, v33, v5
	ds_write_b32 v34, v5 offset:64
.LBB553_35:
	s_or_b64 exec, exec, s[0:1]
	v_lshrrev_b32_sdwa v5, s20, v11 dst_sel:DWORD dst_unused:UNUSED_PAD src0_sel:DWORD src1_sel:WORD_0
	v_and_b32_e32 v6, s28, v5
	v_mul_u32_u24_e32 v5, 17, v6
	v_add_lshl_u32 v37, v30, v5, 2
	v_and_b32_e32 v5, 1, v6
	v_add_co_u32_e32 v7, vcc, -1, v5
	v_addc_co_u32_e64 v38, s[0:1], 0, -1, vcc
	v_cmp_ne_u32_e32 vcc, 0, v5
	v_xor_b32_e32 v5, vcc_hi, v38
	v_and_b32_e32 v38, exec_hi, v5
	v_lshlrev_b32_e32 v5, 30, v6
	v_xor_b32_e32 v7, vcc_lo, v7
	v_cmp_gt_i64_e32 vcc, 0, v[4:5]
	v_not_b32_e32 v5, v5
	v_ashrrev_i32_e32 v5, 31, v5
	v_and_b32_e32 v7, exec_lo, v7
	v_xor_b32_e32 v39, vcc_hi, v5
	v_xor_b32_e32 v5, vcc_lo, v5
	v_and_b32_e32 v7, v7, v5
	v_lshlrev_b32_e32 v5, 29, v6
	v_cmp_gt_i64_e32 vcc, 0, v[4:5]
	v_not_b32_e32 v5, v5
	v_ashrrev_i32_e32 v5, 31, v5
	v_and_b32_e32 v38, v38, v39
	v_xor_b32_e32 v39, vcc_hi, v5
	v_xor_b32_e32 v5, vcc_lo, v5
	v_and_b32_e32 v7, v7, v5
	v_lshlrev_b32_e32 v5, 28, v6
	v_cmp_gt_i64_e32 vcc, 0, v[4:5]
	v_not_b32_e32 v5, v5
	v_ashrrev_i32_e32 v5, 31, v5
	v_and_b32_e32 v38, v38, v39
	;; [unrolled: 8-line block ×5, first 2 shown]
	v_xor_b32_e32 v39, vcc_hi, v5
	v_xor_b32_e32 v5, vcc_lo, v5
	v_and_b32_e32 v7, v7, v5
	v_lshlrev_b32_e32 v5, 24, v6
	v_cmp_gt_i64_e32 vcc, 0, v[4:5]
	v_not_b32_e32 v4, v5
	v_ashrrev_i32_e32 v4, 31, v4
	v_xor_b32_e32 v5, vcc_hi, v4
	v_xor_b32_e32 v4, vcc_lo, v4
	; wave barrier
	ds_read_b32 v36, v37 offset:64
	v_and_b32_e32 v38, v38, v39
	v_and_b32_e32 v4, v7, v4
	;; [unrolled: 1-line block ×3, first 2 shown]
	v_mbcnt_lo_u32_b32 v6, v4, 0
	v_mbcnt_hi_u32_b32 v38, v5, v6
	v_cmp_eq_u32_e32 vcc, 0, v38
	v_cmp_ne_u64_e64 s[0:1], 0, v[4:5]
	s_and_b64 s[2:3], s[0:1], vcc
	; wave barrier
	s_and_saveexec_b64 s[0:1], s[2:3]
	s_cbranch_execz .LBB553_37
; %bb.36:
	v_bcnt_u32_b32 v4, v4, 0
	v_bcnt_u32_b32 v4, v5, v4
	s_waitcnt lgkmcnt(0)
	v_add_u32_e32 v4, v36, v4
	ds_write_b32 v37, v4 offset:64
.LBB553_37:
	s_or_b64 exec, exec, s[0:1]
	v_lshrrev_b32_sdwa v4, s20, v15 dst_sel:DWORD dst_unused:UNUSED_PAD src0_sel:DWORD src1_sel:WORD_0
	v_and_b32_e32 v6, s28, v4
	v_and_b32_e32 v5, 1, v6
	v_add_co_u32_e32 v7, vcc, -1, v5
	v_addc_co_u32_e64 v41, s[0:1], 0, -1, vcc
	v_cmp_ne_u32_e32 vcc, 0, v5
	v_mul_u32_u24_e32 v4, 17, v6
	v_xor_b32_e32 v5, vcc_hi, v41
	v_add_lshl_u32 v40, v30, v4, 2
	v_mov_b32_e32 v4, 0
	v_and_b32_e32 v41, exec_hi, v5
	v_lshlrev_b32_e32 v5, 30, v6
	v_xor_b32_e32 v7, vcc_lo, v7
	v_cmp_gt_i64_e32 vcc, 0, v[4:5]
	v_not_b32_e32 v5, v5
	v_ashrrev_i32_e32 v5, 31, v5
	v_and_b32_e32 v7, exec_lo, v7
	v_xor_b32_e32 v42, vcc_hi, v5
	v_xor_b32_e32 v5, vcc_lo, v5
	v_and_b32_e32 v7, v7, v5
	v_lshlrev_b32_e32 v5, 29, v6
	v_cmp_gt_i64_e32 vcc, 0, v[4:5]
	v_not_b32_e32 v5, v5
	v_ashrrev_i32_e32 v5, 31, v5
	v_and_b32_e32 v41, v41, v42
	v_xor_b32_e32 v42, vcc_hi, v5
	v_xor_b32_e32 v5, vcc_lo, v5
	v_and_b32_e32 v7, v7, v5
	v_lshlrev_b32_e32 v5, 28, v6
	v_cmp_gt_i64_e32 vcc, 0, v[4:5]
	v_not_b32_e32 v5, v5
	v_ashrrev_i32_e32 v5, 31, v5
	v_and_b32_e32 v41, v41, v42
	;; [unrolled: 8-line block ×5, first 2 shown]
	v_xor_b32_e32 v42, vcc_hi, v5
	v_xor_b32_e32 v5, vcc_lo, v5
	v_and_b32_e32 v41, v41, v42
	v_and_b32_e32 v42, v7, v5
	v_lshlrev_b32_e32 v5, 24, v6
	v_cmp_gt_i64_e32 vcc, 0, v[4:5]
	v_not_b32_e32 v5, v5
	v_ashrrev_i32_e32 v5, 31, v5
	v_xor_b32_e32 v6, vcc_hi, v5
	v_xor_b32_e32 v5, vcc_lo, v5
	; wave barrier
	ds_read_b32 v39, v40 offset:64
	v_and_b32_e32 v7, v41, v6
	v_and_b32_e32 v6, v42, v5
	v_mbcnt_lo_u32_b32 v5, v6, 0
	v_mbcnt_hi_u32_b32 v41, v7, v5
	v_cmp_eq_u32_e32 vcc, 0, v41
	v_cmp_ne_u64_e64 s[0:1], 0, v[6:7]
	s_and_b64 s[2:3], s[0:1], vcc
	; wave barrier
	s_and_saveexec_b64 s[0:1], s[2:3]
	s_cbranch_execz .LBB553_39
; %bb.38:
	v_bcnt_u32_b32 v5, v6, 0
	v_bcnt_u32_b32 v5, v7, v5
	s_waitcnt lgkmcnt(0)
	v_add_u32_e32 v5, v39, v5
	ds_write_b32 v40, v5 offset:64
.LBB553_39:
	s_or_b64 exec, exec, s[0:1]
	v_lshrrev_b32_sdwa v5, s20, v14 dst_sel:DWORD dst_unused:UNUSED_PAD src0_sel:DWORD src1_sel:WORD_0
	v_and_b32_e32 v6, s28, v5
	v_mul_u32_u24_e32 v5, 17, v6
	v_add_lshl_u32 v43, v30, v5, 2
	v_and_b32_e32 v5, 1, v6
	v_add_co_u32_e32 v7, vcc, -1, v5
	v_addc_co_u32_e64 v44, s[0:1], 0, -1, vcc
	v_cmp_ne_u32_e32 vcc, 0, v5
	v_xor_b32_e32 v5, vcc_hi, v44
	v_and_b32_e32 v44, exec_hi, v5
	v_lshlrev_b32_e32 v5, 30, v6
	v_xor_b32_e32 v7, vcc_lo, v7
	v_cmp_gt_i64_e32 vcc, 0, v[4:5]
	v_not_b32_e32 v5, v5
	v_ashrrev_i32_e32 v5, 31, v5
	v_and_b32_e32 v7, exec_lo, v7
	v_xor_b32_e32 v45, vcc_hi, v5
	v_xor_b32_e32 v5, vcc_lo, v5
	v_and_b32_e32 v7, v7, v5
	v_lshlrev_b32_e32 v5, 29, v6
	v_cmp_gt_i64_e32 vcc, 0, v[4:5]
	v_not_b32_e32 v5, v5
	v_ashrrev_i32_e32 v5, 31, v5
	v_and_b32_e32 v44, v44, v45
	v_xor_b32_e32 v45, vcc_hi, v5
	v_xor_b32_e32 v5, vcc_lo, v5
	v_and_b32_e32 v7, v7, v5
	v_lshlrev_b32_e32 v5, 28, v6
	v_cmp_gt_i64_e32 vcc, 0, v[4:5]
	v_not_b32_e32 v5, v5
	v_ashrrev_i32_e32 v5, 31, v5
	v_and_b32_e32 v44, v44, v45
	;; [unrolled: 8-line block ×5, first 2 shown]
	v_xor_b32_e32 v45, vcc_hi, v5
	v_xor_b32_e32 v5, vcc_lo, v5
	v_and_b32_e32 v7, v7, v5
	v_lshlrev_b32_e32 v5, 24, v6
	v_cmp_gt_i64_e32 vcc, 0, v[4:5]
	v_not_b32_e32 v4, v5
	v_ashrrev_i32_e32 v4, 31, v4
	v_xor_b32_e32 v5, vcc_hi, v4
	v_xor_b32_e32 v4, vcc_lo, v4
	; wave barrier
	ds_read_b32 v42, v43 offset:64
	v_and_b32_e32 v44, v44, v45
	v_and_b32_e32 v4, v7, v4
	;; [unrolled: 1-line block ×3, first 2 shown]
	v_mbcnt_lo_u32_b32 v6, v4, 0
	v_mbcnt_hi_u32_b32 v44, v5, v6
	v_cmp_eq_u32_e32 vcc, 0, v44
	v_cmp_ne_u64_e64 s[0:1], 0, v[4:5]
	s_and_b64 s[2:3], s[0:1], vcc
	; wave barrier
	s_and_saveexec_b64 s[0:1], s[2:3]
	s_cbranch_execz .LBB553_41
; %bb.40:
	v_bcnt_u32_b32 v4, v4, 0
	v_bcnt_u32_b32 v4, v5, v4
	s_waitcnt lgkmcnt(0)
	v_add_u32_e32 v4, v42, v4
	ds_write_b32 v43, v4 offset:64
.LBB553_41:
	s_or_b64 exec, exec, s[0:1]
	v_lshrrev_b32_sdwa v4, s20, v17 dst_sel:DWORD dst_unused:UNUSED_PAD src0_sel:DWORD src1_sel:WORD_0
	v_and_b32_e32 v6, s28, v4
	v_and_b32_e32 v5, 1, v6
	v_add_co_u32_e32 v7, vcc, -1, v5
	v_addc_co_u32_e64 v47, s[0:1], 0, -1, vcc
	v_cmp_ne_u32_e32 vcc, 0, v5
	v_mul_u32_u24_e32 v4, 17, v6
	v_xor_b32_e32 v5, vcc_hi, v47
	v_add_lshl_u32 v46, v30, v4, 2
	v_mov_b32_e32 v4, 0
	v_and_b32_e32 v47, exec_hi, v5
	v_lshlrev_b32_e32 v5, 30, v6
	v_xor_b32_e32 v7, vcc_lo, v7
	v_cmp_gt_i64_e32 vcc, 0, v[4:5]
	v_not_b32_e32 v5, v5
	v_ashrrev_i32_e32 v5, 31, v5
	v_and_b32_e32 v7, exec_lo, v7
	v_xor_b32_e32 v48, vcc_hi, v5
	v_xor_b32_e32 v5, vcc_lo, v5
	v_and_b32_e32 v7, v7, v5
	v_lshlrev_b32_e32 v5, 29, v6
	v_cmp_gt_i64_e32 vcc, 0, v[4:5]
	v_not_b32_e32 v5, v5
	v_ashrrev_i32_e32 v5, 31, v5
	v_and_b32_e32 v47, v47, v48
	v_xor_b32_e32 v48, vcc_hi, v5
	v_xor_b32_e32 v5, vcc_lo, v5
	v_and_b32_e32 v7, v7, v5
	v_lshlrev_b32_e32 v5, 28, v6
	v_cmp_gt_i64_e32 vcc, 0, v[4:5]
	v_not_b32_e32 v5, v5
	v_ashrrev_i32_e32 v5, 31, v5
	v_and_b32_e32 v47, v47, v48
	;; [unrolled: 8-line block ×5, first 2 shown]
	v_xor_b32_e32 v48, vcc_hi, v5
	v_xor_b32_e32 v5, vcc_lo, v5
	v_and_b32_e32 v47, v47, v48
	v_and_b32_e32 v48, v7, v5
	v_lshlrev_b32_e32 v5, 24, v6
	v_cmp_gt_i64_e32 vcc, 0, v[4:5]
	v_not_b32_e32 v5, v5
	v_ashrrev_i32_e32 v5, 31, v5
	v_xor_b32_e32 v6, vcc_hi, v5
	v_xor_b32_e32 v5, vcc_lo, v5
	; wave barrier
	ds_read_b32 v45, v46 offset:64
	v_and_b32_e32 v7, v47, v6
	v_and_b32_e32 v6, v48, v5
	v_mbcnt_lo_u32_b32 v5, v6, 0
	v_mbcnt_hi_u32_b32 v47, v7, v5
	v_cmp_eq_u32_e32 vcc, 0, v47
	v_cmp_ne_u64_e64 s[0:1], 0, v[6:7]
	s_and_b64 s[2:3], s[0:1], vcc
	; wave barrier
	s_and_saveexec_b64 s[0:1], s[2:3]
	s_cbranch_execz .LBB553_43
; %bb.42:
	v_bcnt_u32_b32 v5, v6, 0
	v_bcnt_u32_b32 v5, v7, v5
	s_waitcnt lgkmcnt(0)
	v_add_u32_e32 v5, v45, v5
	ds_write_b32 v46, v5 offset:64
.LBB553_43:
	s_or_b64 exec, exec, s[0:1]
	v_lshrrev_b32_sdwa v5, s20, v16 dst_sel:DWORD dst_unused:UNUSED_PAD src0_sel:DWORD src1_sel:WORD_0
	v_and_b32_e32 v6, s28, v5
	v_mul_u32_u24_e32 v5, 17, v6
	v_add_lshl_u32 v49, v30, v5, 2
	v_and_b32_e32 v5, 1, v6
	v_add_co_u32_e32 v7, vcc, -1, v5
	v_addc_co_u32_e64 v50, s[0:1], 0, -1, vcc
	v_cmp_ne_u32_e32 vcc, 0, v5
	v_xor_b32_e32 v5, vcc_hi, v50
	v_and_b32_e32 v50, exec_hi, v5
	v_lshlrev_b32_e32 v5, 30, v6
	v_xor_b32_e32 v7, vcc_lo, v7
	v_cmp_gt_i64_e32 vcc, 0, v[4:5]
	v_not_b32_e32 v5, v5
	v_ashrrev_i32_e32 v5, 31, v5
	v_and_b32_e32 v7, exec_lo, v7
	v_xor_b32_e32 v51, vcc_hi, v5
	v_xor_b32_e32 v5, vcc_lo, v5
	v_and_b32_e32 v7, v7, v5
	v_lshlrev_b32_e32 v5, 29, v6
	v_cmp_gt_i64_e32 vcc, 0, v[4:5]
	v_not_b32_e32 v5, v5
	v_ashrrev_i32_e32 v5, 31, v5
	v_and_b32_e32 v50, v50, v51
	v_xor_b32_e32 v51, vcc_hi, v5
	v_xor_b32_e32 v5, vcc_lo, v5
	v_and_b32_e32 v7, v7, v5
	v_lshlrev_b32_e32 v5, 28, v6
	v_cmp_gt_i64_e32 vcc, 0, v[4:5]
	v_not_b32_e32 v5, v5
	v_ashrrev_i32_e32 v5, 31, v5
	v_and_b32_e32 v50, v50, v51
	;; [unrolled: 8-line block ×5, first 2 shown]
	v_xor_b32_e32 v51, vcc_hi, v5
	v_xor_b32_e32 v5, vcc_lo, v5
	v_and_b32_e32 v7, v7, v5
	v_lshlrev_b32_e32 v5, 24, v6
	v_cmp_gt_i64_e32 vcc, 0, v[4:5]
	v_not_b32_e32 v4, v5
	v_ashrrev_i32_e32 v4, 31, v4
	v_xor_b32_e32 v5, vcc_hi, v4
	v_xor_b32_e32 v4, vcc_lo, v4
	; wave barrier
	ds_read_b32 v48, v49 offset:64
	v_and_b32_e32 v50, v50, v51
	v_and_b32_e32 v4, v7, v4
	;; [unrolled: 1-line block ×3, first 2 shown]
	v_mbcnt_lo_u32_b32 v6, v4, 0
	v_mbcnt_hi_u32_b32 v50, v5, v6
	v_cmp_eq_u32_e32 vcc, 0, v50
	v_cmp_ne_u64_e64 s[0:1], 0, v[4:5]
	s_and_b64 s[2:3], s[0:1], vcc
	; wave barrier
	s_and_saveexec_b64 s[0:1], s[2:3]
	s_cbranch_execz .LBB553_45
; %bb.44:
	v_bcnt_u32_b32 v4, v4, 0
	v_bcnt_u32_b32 v4, v5, v4
	s_waitcnt lgkmcnt(0)
	v_add_u32_e32 v4, v48, v4
	ds_write_b32 v49, v4 offset:64
.LBB553_45:
	s_or_b64 exec, exec, s[0:1]
	v_lshrrev_b32_sdwa v4, s20, v19 dst_sel:DWORD dst_unused:UNUSED_PAD src0_sel:DWORD src1_sel:WORD_0
	v_and_b32_e32 v6, s28, v4
	v_and_b32_e32 v5, 1, v6
	v_add_co_u32_e32 v7, vcc, -1, v5
	v_addc_co_u32_e64 v53, s[0:1], 0, -1, vcc
	v_cmp_ne_u32_e32 vcc, 0, v5
	v_mul_u32_u24_e32 v4, 17, v6
	v_xor_b32_e32 v5, vcc_hi, v53
	v_add_lshl_u32 v52, v30, v4, 2
	v_mov_b32_e32 v4, 0
	v_and_b32_e32 v53, exec_hi, v5
	v_lshlrev_b32_e32 v5, 30, v6
	v_xor_b32_e32 v7, vcc_lo, v7
	v_cmp_gt_i64_e32 vcc, 0, v[4:5]
	v_not_b32_e32 v5, v5
	v_ashrrev_i32_e32 v5, 31, v5
	v_and_b32_e32 v7, exec_lo, v7
	v_xor_b32_e32 v54, vcc_hi, v5
	v_xor_b32_e32 v5, vcc_lo, v5
	v_and_b32_e32 v7, v7, v5
	v_lshlrev_b32_e32 v5, 29, v6
	v_cmp_gt_i64_e32 vcc, 0, v[4:5]
	v_not_b32_e32 v5, v5
	v_ashrrev_i32_e32 v5, 31, v5
	v_and_b32_e32 v53, v53, v54
	v_xor_b32_e32 v54, vcc_hi, v5
	v_xor_b32_e32 v5, vcc_lo, v5
	v_and_b32_e32 v7, v7, v5
	v_lshlrev_b32_e32 v5, 28, v6
	v_cmp_gt_i64_e32 vcc, 0, v[4:5]
	v_not_b32_e32 v5, v5
	v_ashrrev_i32_e32 v5, 31, v5
	v_and_b32_e32 v53, v53, v54
	;; [unrolled: 8-line block ×5, first 2 shown]
	v_xor_b32_e32 v54, vcc_hi, v5
	v_xor_b32_e32 v5, vcc_lo, v5
	v_and_b32_e32 v53, v53, v54
	v_and_b32_e32 v54, v7, v5
	v_lshlrev_b32_e32 v5, 24, v6
	v_cmp_gt_i64_e32 vcc, 0, v[4:5]
	v_not_b32_e32 v5, v5
	v_ashrrev_i32_e32 v5, 31, v5
	v_xor_b32_e32 v6, vcc_hi, v5
	v_xor_b32_e32 v5, vcc_lo, v5
	; wave barrier
	ds_read_b32 v51, v52 offset:64
	v_and_b32_e32 v7, v53, v6
	v_and_b32_e32 v6, v54, v5
	v_mbcnt_lo_u32_b32 v5, v6, 0
	v_mbcnt_hi_u32_b32 v53, v7, v5
	v_cmp_eq_u32_e32 vcc, 0, v53
	v_cmp_ne_u64_e64 s[0:1], 0, v[6:7]
	s_and_b64 s[2:3], s[0:1], vcc
	; wave barrier
	s_and_saveexec_b64 s[0:1], s[2:3]
	s_cbranch_execz .LBB553_47
; %bb.46:
	v_bcnt_u32_b32 v5, v6, 0
	v_bcnt_u32_b32 v5, v7, v5
	s_waitcnt lgkmcnt(0)
	v_add_u32_e32 v5, v51, v5
	ds_write_b32 v52, v5 offset:64
.LBB553_47:
	s_or_b64 exec, exec, s[0:1]
	v_lshrrev_b32_sdwa v5, s20, v18 dst_sel:DWORD dst_unused:UNUSED_PAD src0_sel:DWORD src1_sel:WORD_0
	v_and_b32_e32 v6, s28, v5
	v_mul_u32_u24_e32 v5, 17, v6
	v_add_lshl_u32 v54, v30, v5, 2
	v_and_b32_e32 v5, 1, v6
	v_add_co_u32_e32 v7, vcc, -1, v5
	v_addc_co_u32_e64 v56, s[0:1], 0, -1, vcc
	v_cmp_ne_u32_e32 vcc, 0, v5
	v_xor_b32_e32 v5, vcc_hi, v56
	v_and_b32_e32 v56, exec_hi, v5
	v_lshlrev_b32_e32 v5, 30, v6
	v_xor_b32_e32 v7, vcc_lo, v7
	v_cmp_gt_i64_e32 vcc, 0, v[4:5]
	v_not_b32_e32 v5, v5
	v_ashrrev_i32_e32 v5, 31, v5
	v_and_b32_e32 v7, exec_lo, v7
	v_xor_b32_e32 v57, vcc_hi, v5
	v_xor_b32_e32 v5, vcc_lo, v5
	v_and_b32_e32 v7, v7, v5
	v_lshlrev_b32_e32 v5, 29, v6
	v_cmp_gt_i64_e32 vcc, 0, v[4:5]
	v_not_b32_e32 v5, v5
	v_ashrrev_i32_e32 v5, 31, v5
	v_and_b32_e32 v56, v56, v57
	v_xor_b32_e32 v57, vcc_hi, v5
	v_xor_b32_e32 v5, vcc_lo, v5
	v_and_b32_e32 v7, v7, v5
	v_lshlrev_b32_e32 v5, 28, v6
	v_cmp_gt_i64_e32 vcc, 0, v[4:5]
	v_not_b32_e32 v5, v5
	v_ashrrev_i32_e32 v5, 31, v5
	v_and_b32_e32 v56, v56, v57
	v_xor_b32_e32 v57, vcc_hi, v5
	v_xor_b32_e32 v5, vcc_lo, v5
	v_and_b32_e32 v7, v7, v5
	v_lshlrev_b32_e32 v5, 27, v6
	v_cmp_gt_i64_e32 vcc, 0, v[4:5]
	v_not_b32_e32 v5, v5
	v_ashrrev_i32_e32 v5, 31, v5
	v_and_b32_e32 v56, v56, v57
	v_xor_b32_e32 v57, vcc_hi, v5
	v_xor_b32_e32 v5, vcc_lo, v5
	v_and_b32_e32 v7, v7, v5
	v_lshlrev_b32_e32 v5, 26, v6
	v_cmp_gt_i64_e32 vcc, 0, v[4:5]
	v_not_b32_e32 v5, v5
	v_ashrrev_i32_e32 v5, 31, v5
	v_and_b32_e32 v56, v56, v57
	v_xor_b32_e32 v57, vcc_hi, v5
	v_xor_b32_e32 v5, vcc_lo, v5
	v_and_b32_e32 v7, v7, v5
	v_lshlrev_b32_e32 v5, 25, v6
	v_cmp_gt_i64_e32 vcc, 0, v[4:5]
	v_not_b32_e32 v5, v5
	v_ashrrev_i32_e32 v5, 31, v5
	v_and_b32_e32 v56, v56, v57
	v_xor_b32_e32 v57, vcc_hi, v5
	v_xor_b32_e32 v5, vcc_lo, v5
	v_and_b32_e32 v7, v7, v5
	v_lshlrev_b32_e32 v5, 24, v6
	v_cmp_gt_i64_e32 vcc, 0, v[4:5]
	v_not_b32_e32 v4, v5
	v_ashrrev_i32_e32 v4, 31, v4
	v_xor_b32_e32 v5, vcc_hi, v4
	v_xor_b32_e32 v4, vcc_lo, v4
	; wave barrier
	ds_read_b32 v30, v54 offset:64
	v_and_b32_e32 v56, v56, v57
	v_and_b32_e32 v4, v7, v4
	v_and_b32_e32 v5, v56, v5
	v_mbcnt_lo_u32_b32 v6, v4, 0
	v_mbcnt_hi_u32_b32 v56, v5, v6
	v_cmp_eq_u32_e32 vcc, 0, v56
	v_cmp_ne_u64_e64 s[0:1], 0, v[4:5]
	v_add_u32_e32 v55, 64, v20
	s_and_b64 s[2:3], s[0:1], vcc
	; wave barrier
	s_and_saveexec_b64 s[0:1], s[2:3]
	s_cbranch_execz .LBB553_49
; %bb.48:
	v_bcnt_u32_b32 v4, v4, 0
	v_bcnt_u32_b32 v4, v5, v4
	s_waitcnt lgkmcnt(0)
	v_add_u32_e32 v4, v30, v4
	ds_write_b32 v54, v4 offset:64
.LBB553_49:
	s_or_b64 exec, exec, s[0:1]
	; wave barrier
	s_waitcnt lgkmcnt(0)
	s_barrier
	ds_read2_b32 v[6:7], v20 offset0:16 offset1:17
	ds_read2_b32 v[4:5], v55 offset0:2 offset1:3
	ds_read_b32 v57, v55 offset:16
	v_cmp_lt_u32_e64 s[10:11], 31, v13
	s_waitcnt lgkmcnt(1)
	v_add3_u32 v58, v7, v6, v4
	s_waitcnt lgkmcnt(0)
	v_add3_u32 v57, v58, v5, v57
	v_and_b32_e32 v58, 15, v13
	v_cmp_eq_u32_e32 vcc, 0, v58
	v_mov_b32_dpp v59, v57 row_shr:1 row_mask:0xf bank_mask:0xf
	v_cndmask_b32_e64 v59, v59, 0, vcc
	v_add_u32_e32 v57, v59, v57
	v_cmp_lt_u32_e64 s[0:1], 1, v58
	v_cmp_lt_u32_e64 s[2:3], 3, v58
	v_mov_b32_dpp v59, v57 row_shr:2 row_mask:0xf bank_mask:0xf
	v_cndmask_b32_e64 v59, 0, v59, s[0:1]
	v_add_u32_e32 v57, v57, v59
	v_cmp_lt_u32_e64 s[8:9], 7, v58
	s_nop 0
	v_mov_b32_dpp v59, v57 row_shr:4 row_mask:0xf bank_mask:0xf
	v_cndmask_b32_e64 v59, 0, v59, s[2:3]
	v_add_u32_e32 v57, v57, v59
	s_nop 1
	v_mov_b32_dpp v59, v57 row_shr:8 row_mask:0xf bank_mask:0xf
	v_cndmask_b32_e64 v58, 0, v59, s[8:9]
	v_add_u32_e32 v57, v57, v58
	v_bfe_i32 v59, v13, 4, 1
	s_nop 0
	v_mov_b32_dpp v58, v57 row_bcast:15 row_mask:0xf bank_mask:0xf
	v_and_b32_e32 v58, v59, v58
	v_add_u32_e32 v57, v57, v58
	v_and_b32_e32 v59, 63, v2
	s_nop 0
	v_mov_b32_dpp v58, v57 row_bcast:31 row_mask:0xf bank_mask:0xf
	v_cndmask_b32_e64 v58, 0, v58, s[10:11]
	v_add_u32_e32 v57, v57, v58
	v_lshrrev_b32_e32 v58, 6, v2
	v_cmp_eq_u32_e64 s[10:11], 63, v59
	s_and_saveexec_b64 s[22:23], s[10:11]
	s_cbranch_execz .LBB553_51
; %bb.50:
	v_lshlrev_b32_e32 v59, 2, v58
	ds_write_b32 v59, v57
.LBB553_51:
	s_or_b64 exec, exec, s[22:23]
	v_cmp_gt_u32_e64 s[10:11], 16, v2
	s_waitcnt lgkmcnt(0)
	s_barrier
	s_and_saveexec_b64 s[22:23], s[10:11]
	s_cbranch_execz .LBB553_53
; %bb.52:
	v_lshlrev_b32_e32 v59, 2, v2
	ds_read_b32 v60, v59
	s_waitcnt lgkmcnt(0)
	s_nop 0
	v_mov_b32_dpp v61, v60 row_shr:1 row_mask:0xf bank_mask:0xf
	v_cndmask_b32_e64 v61, v61, 0, vcc
	v_add_u32_e32 v60, v61, v60
	s_nop 1
	v_mov_b32_dpp v61, v60 row_shr:2 row_mask:0xf bank_mask:0xf
	v_cndmask_b32_e64 v61, 0, v61, s[0:1]
	v_add_u32_e32 v60, v60, v61
	s_nop 1
	v_mov_b32_dpp v61, v60 row_shr:4 row_mask:0xf bank_mask:0xf
	v_cndmask_b32_e64 v61, 0, v61, s[2:3]
	;; [unrolled: 4-line block ×3, first 2 shown]
	v_add_u32_e32 v60, v60, v61
	ds_write_b32 v59, v60
.LBB553_53:
	s_or_b64 exec, exec, s[22:23]
	v_cmp_lt_u32_e32 vcc, 63, v2
	v_mov_b32_e32 v59, 0
	s_waitcnt lgkmcnt(0)
	s_barrier
	s_and_saveexec_b64 s[0:1], vcc
	s_cbranch_execz .LBB553_55
; %bb.54:
	v_lshl_add_u32 v58, v58, 2, -4
	ds_read_b32 v59, v58
.LBB553_55:
	s_or_b64 exec, exec, s[0:1]
	v_add_u32_e32 v58, -1, v13
	v_and_b32_e32 v60, 64, v13
	v_cmp_lt_i32_e32 vcc, v58, v60
	v_cndmask_b32_e32 v58, v58, v13, vcc
	s_waitcnt lgkmcnt(0)
	v_add_u32_e32 v57, v59, v57
	v_lshlrev_b32_e32 v58, 2, v58
	ds_bpermute_b32 v57, v58, v57
	v_cmp_eq_u32_e32 vcc, 0, v13
	s_movk_i32 s0, 0x100
	s_waitcnt lgkmcnt(0)
	v_cndmask_b32_e32 v13, v57, v59, vcc
	v_cmp_ne_u32_e32 vcc, 0, v2
	v_cndmask_b32_e32 v13, 0, v13, vcc
	v_add_u32_e32 v6, v13, v6
	v_add_u32_e32 v7, v6, v7
	;; [unrolled: 1-line block ×4, first 2 shown]
	ds_write2_b32 v20, v13, v6 offset0:16 offset1:17
	ds_write2_b32 v55, v7, v4 offset0:2 offset1:3
	ds_write_b32 v55, v5 offset:16
	s_waitcnt lgkmcnt(0)
	s_barrier
	ds_read_b32 v59, v23 offset:64
	ds_read_b32 v58, v24 offset:64
	ds_read_b32 v57, v27 offset:64
	ds_read_b32 v55, v31 offset:64
	ds_read_b32 v34, v34 offset:64
	ds_read_b32 v31, v37 offset:64
	ds_read_b32 v27, v40 offset:64
	ds_read_b32 v24, v43 offset:64
	ds_read_b32 v23, v46 offset:64
	ds_read_b32 v20, v49 offset:64
	ds_read_b32 v7, v52 offset:64
	ds_read_b32 v6, v54 offset:64
	v_cmp_gt_u32_e32 vcc, s0, v2
	v_pk_mov_b32 v[4:5], 0, 0
                                        ; implicit-def: $vgpr13
	s_and_saveexec_b64 s[2:3], vcc
	s_cbranch_execz .LBB553_59
; %bb.56:
	v_mul_u32_u24_e32 v4, 17, v2
	v_lshlrev_b32_e32 v13, 2, v4
	ds_read_b32 v4, v13 offset:64
	s_movk_i32 s0, 0xff
	v_cmp_ne_u32_e64 s[0:1], s0, v2
	v_mov_b32_e32 v5, 0x3000
	s_and_saveexec_b64 s[8:9], s[0:1]
	s_cbranch_execz .LBB553_58
; %bb.57:
	ds_read_b32 v5, v13 offset:132
.LBB553_58:
	s_or_b64 exec, exec, s[8:9]
	s_waitcnt lgkmcnt(0)
	v_sub_u32_e32 v13, v5, v4
	v_mov_b32_e32 v5, 0
.LBB553_59:
	s_or_b64 exec, exec, s[2:3]
	v_add_u32_e32 v22, v25, v22
	s_waitcnt lgkmcnt(11)
	v_add_lshl_u32 v21, v59, v21, 1
	v_add_u32_e32 v26, v28, v26
	s_waitcnt lgkmcnt(0)
	s_barrier
	ds_write_b16 v21, v8 offset:2048
	v_add_lshl_u32 v8, v22, v58, 1
	v_add_u32_e32 v29, v32, v29
	ds_write_b16 v8, v3 offset:2048
	v_add_lshl_u32 v3, v26, v57, 1
	v_add_u32_e32 v33, v35, v33
	ds_write_b16 v3, v10 offset:2048
	v_add_lshl_u32 v3, v29, v55, 1
	v_add_u32_e32 v36, v38, v36
	ds_write_b16 v3, v9 offset:2048
	v_add_lshl_u32 v3, v33, v34, 1
	v_add_u32_e32 v39, v41, v39
	ds_write_b16 v3, v12 offset:2048
	v_add_lshl_u32 v3, v36, v31, 1
	v_add_u32_e32 v42, v44, v42
	ds_write_b16 v3, v11 offset:2048
	v_add_lshl_u32 v3, v39, v27, 1
	v_add_u32_e32 v43, v47, v45
	ds_write_b16 v3, v15 offset:2048
	v_add_lshl_u32 v3, v42, v24, 1
	v_add_u32_e32 v40, v50, v48
	ds_write_b16 v3, v14 offset:2048
	v_add_lshl_u32 v3, v43, v23, 1
	v_add_u32_e32 v37, v53, v51
	ds_write_b16 v3, v17 offset:2048
	v_add_lshl_u32 v3, v40, v20, 1
	v_add_u32_e32 v30, v56, v30
	ds_write_b16 v3, v16 offset:2048
	v_add_lshl_u32 v3, v37, v7, 1
	ds_write_b16 v3, v19 offset:2048
	v_add_lshl_u32 v3, v30, v6, 1
	ds_write_b16 v3, v18 offset:2048
	s_and_saveexec_b64 s[2:3], vcc
	s_cbranch_execz .LBB553_69
; %bb.60:
	v_lshl_or_b32 v6, s6, 8, v2
	v_mov_b32_e32 v7, 0
	v_lshlrev_b64 v[8:9], 2, v[6:7]
	v_mov_b32_e32 v3, s25
	v_add_co_u32_e64 v8, s[0:1], s24, v8
	v_addc_co_u32_e64 v9, s[0:1], v3, v9, s[0:1]
	v_or_b32_e32 v6, 2.0, v13
	s_mov_b64 s[8:9], 0
	s_brev_b32 s29, 1
	s_mov_b32 s30, s6
	v_mov_b32_e32 v12, 0
	global_store_dword v[8:9], v6, off
                                        ; implicit-def: $sgpr0_sgpr1
	s_branch .LBB553_62
.LBB553_61:                             ;   in Loop: Header=BB553_62 Depth=1
	s_or_b64 exec, exec, s[10:11]
	v_and_b32_e32 v10, 0x3fffffff, v14
	v_add_u32_e32 v12, v10, v12
	v_cmp_eq_u32_e64 s[0:1], s29, v6
	s_and_b64 s[10:11], exec, s[0:1]
	s_or_b64 s[8:9], s[10:11], s[8:9]
	s_andn2_b64 exec, exec, s[8:9]
	s_cbranch_execz .LBB553_68
.LBB553_62:                             ; =>This Loop Header: Depth=1
                                        ;     Child Loop BB553_65 Depth 2
	s_or_b64 s[0:1], s[0:1], exec
	s_cmp_eq_u32 s30, 0
	s_cbranch_scc1 .LBB553_67
; %bb.63:                               ;   in Loop: Header=BB553_62 Depth=1
	s_add_i32 s30, s30, -1
	v_lshl_or_b32 v6, s30, 8, v2
	v_lshlrev_b64 v[10:11], 2, v[6:7]
	v_add_co_u32_e64 v10, s[0:1], s24, v10
	v_addc_co_u32_e64 v11, s[0:1], v3, v11, s[0:1]
	global_load_dword v14, v[10:11], off glc
	s_waitcnt vmcnt(0)
	v_and_b32_e32 v6, -2.0, v14
	v_cmp_eq_u32_e64 s[0:1], 0, v6
	s_and_saveexec_b64 s[10:11], s[0:1]
	s_cbranch_execz .LBB553_61
; %bb.64:                               ;   in Loop: Header=BB553_62 Depth=1
	s_mov_b64 s[22:23], 0
.LBB553_65:                             ;   Parent Loop BB553_62 Depth=1
                                        ; =>  This Inner Loop Header: Depth=2
	global_load_dword v14, v[10:11], off glc
	s_waitcnt vmcnt(0)
	v_and_b32_e32 v6, -2.0, v14
	v_cmp_ne_u32_e64 s[0:1], 0, v6
	s_or_b64 s[22:23], s[0:1], s[22:23]
	s_andn2_b64 exec, exec, s[22:23]
	s_cbranch_execnz .LBB553_65
; %bb.66:                               ;   in Loop: Header=BB553_62 Depth=1
	s_or_b64 exec, exec, s[22:23]
	s_branch .LBB553_61
.LBB553_67:                             ;   in Loop: Header=BB553_62 Depth=1
                                        ; implicit-def: $sgpr30
	s_and_b64 s[10:11], exec, s[0:1]
	s_or_b64 s[8:9], s[10:11], s[8:9]
	s_andn2_b64 exec, exec, s[8:9]
	s_cbranch_execnz .LBB553_62
.LBB553_68:
	s_or_b64 exec, exec, s[8:9]
	v_add_u32_e32 v3, v12, v13
	v_or_b32_e32 v3, 0x80000000, v3
	global_store_dword v[8:9], v3, off
	v_lshlrev_b32_e32 v3, 3, v2
	global_load_dwordx2 v[6:7], v3, s[12:13]
	v_sub_co_u32_e64 v8, s[0:1], v12, v4
	v_subb_co_u32_e64 v9, s[0:1], 0, v5, s[0:1]
	s_waitcnt vmcnt(0)
	v_add_co_u32_e64 v6, s[0:1], v8, v6
	v_addc_co_u32_e64 v7, s[0:1], v9, v7, s[0:1]
	ds_write_b64 v3, v[6:7]
.LBB553_69:
	s_or_b64 exec, exec, s[2:3]
	v_cmp_gt_u32_e64 s[0:1], s7, v2
	v_lshlrev_b32_e32 v3, 1, v2
	s_waitcnt lgkmcnt(0)
	s_barrier
	s_and_saveexec_b64 s[2:3], s[0:1]
	s_cbranch_execz .LBB553_71
; %bb.70:
	ds_read_u16 v8, v3 offset:2048
	v_mov_b32_e32 v9, s19
	s_waitcnt lgkmcnt(0)
	v_lshrrev_b32_sdwa v6, s20, v8 dst_sel:DWORD dst_unused:UNUSED_PAD src0_sel:DWORD src1_sel:WORD_0
	v_and_b32_e32 v6, s28, v6
	v_lshlrev_b32_e32 v6, 3, v6
	ds_read_b64 v[6:7], v6
	s_waitcnt lgkmcnt(0)
	v_lshlrev_b64 v[6:7], 1, v[6:7]
	v_add_co_u32_e64 v6, s[0:1], s18, v6
	v_addc_co_u32_e64 v7, s[0:1], v9, v7, s[0:1]
	v_add_co_u32_e64 v6, s[0:1], v6, v3
	v_addc_co_u32_e64 v7, s[0:1], 0, v7, s[0:1]
	global_store_short v[6:7], v8, off
.LBB553_71:
	s_or_b64 exec, exec, s[2:3]
	v_or_b32_e32 v6, 0x400, v2
	v_cmp_gt_u32_e64 s[0:1], s7, v6
	s_and_saveexec_b64 s[2:3], s[0:1]
	s_cbranch_execz .LBB553_73
; %bb.72:
	ds_read_u16 v8, v3 offset:4096
	v_mov_b32_e32 v9, s19
	s_waitcnt lgkmcnt(0)
	v_lshrrev_b32_sdwa v6, s20, v8 dst_sel:DWORD dst_unused:UNUSED_PAD src0_sel:DWORD src1_sel:WORD_0
	v_and_b32_e32 v6, s28, v6
	v_lshlrev_b32_e32 v6, 3, v6
	ds_read_b64 v[6:7], v6
	s_waitcnt lgkmcnt(0)
	v_lshlrev_b64 v[6:7], 1, v[6:7]
	v_add_co_u32_e64 v6, s[0:1], s18, v6
	v_addc_co_u32_e64 v7, s[0:1], v9, v7, s[0:1]
	v_add_co_u32_e64 v6, s[0:1], v6, v3
	v_addc_co_u32_e64 v7, s[0:1], 0, v7, s[0:1]
	global_store_short v[6:7], v8, off offset:2048
.LBB553_73:
	s_or_b64 exec, exec, s[2:3]
	v_or_b32_e32 v6, 0x800, v2
	v_cmp_gt_u32_e64 s[0:1], s7, v6
	s_and_saveexec_b64 s[2:3], s[0:1]
	s_cbranch_execz .LBB553_75
; %bb.74:
	ds_read_u16 v10, v3 offset:6144
	v_lshlrev_b32_e32 v12, 1, v6
	v_mov_b32_e32 v11, s19
	s_waitcnt lgkmcnt(0)
	v_lshrrev_b32_sdwa v7, s20, v10 dst_sel:DWORD dst_unused:UNUSED_PAD src0_sel:DWORD src1_sel:WORD_0
	v_and_b32_e32 v7, s28, v7
	v_lshlrev_b32_e32 v7, 3, v7
	ds_read_b64 v[8:9], v7
	s_waitcnt lgkmcnt(0)
	v_lshlrev_b64 v[6:7], 1, v[8:9]
	v_add_co_u32_e64 v6, s[0:1], s18, v6
	v_addc_co_u32_e64 v7, s[0:1], v11, v7, s[0:1]
	v_add_co_u32_e64 v6, s[0:1], v6, v12
	v_addc_co_u32_e64 v7, s[0:1], 0, v7, s[0:1]
	global_store_short v[6:7], v10, off
.LBB553_75:
	s_or_b64 exec, exec, s[2:3]
	v_or_b32_e32 v6, 0xc00, v2
	v_cmp_gt_u32_e64 s[0:1], s7, v6
	s_and_saveexec_b64 s[2:3], s[0:1]
	s_cbranch_execz .LBB553_77
; %bb.76:
	ds_read_u16 v10, v3 offset:8192
	v_lshlrev_b32_e32 v12, 1, v6
	v_mov_b32_e32 v11, s19
	s_waitcnt lgkmcnt(0)
	v_lshrrev_b32_sdwa v7, s20, v10 dst_sel:DWORD dst_unused:UNUSED_PAD src0_sel:DWORD src1_sel:WORD_0
	v_and_b32_e32 v7, s28, v7
	v_lshlrev_b32_e32 v7, 3, v7
	ds_read_b64 v[8:9], v7
	s_waitcnt lgkmcnt(0)
	v_lshlrev_b64 v[6:7], 1, v[8:9]
	v_add_co_u32_e64 v6, s[0:1], s18, v6
	v_addc_co_u32_e64 v7, s[0:1], v11, v7, s[0:1]
	v_add_co_u32_e64 v6, s[0:1], v6, v12
	v_addc_co_u32_e64 v7, s[0:1], 0, v7, s[0:1]
	global_store_short v[6:7], v10, off
.LBB553_77:
	;; [unrolled: 22-line block ×10, first 2 shown]
	s_or_b64 exec, exec, s[2:3]
	s_add_i32 s27, s27, -1
	s_cmp_eq_u32 s27, s6
	s_cselect_b64 s[0:1], -1, 0
	s_and_b64 s[2:3], vcc, s[0:1]
	s_mov_b64 s[0:1], 0
	s_mov_b64 s[10:11], 0
                                        ; implicit-def: $vgpr6_vgpr7
	s_and_saveexec_b64 s[8:9], s[2:3]
	s_xor_b64 s[2:3], exec, s[8:9]
; %bb.94:
	v_add_co_u32_e32 v6, vcc, v4, v13
	s_mov_b64 s[10:11], exec
	v_mov_b32_e32 v3, 0
	v_addc_co_u32_e32 v7, vcc, 0, v5, vcc
; %bb.95:
	s_or_b64 exec, exec, s[2:3]
	s_and_b64 vcc, exec, s[0:1]
	s_cbranch_vccnz .LBB553_97
	s_branch .LBB553_146
.LBB553_96:
	s_mov_b64 s[10:11], 0
                                        ; implicit-def: $vgpr6_vgpr7
                                        ; implicit-def: $vgpr2
	s_cbranch_execz .LBB553_146
.LBB553_97:
	s_mov_b32 s27, 0
	v_mbcnt_hi_u32_b32 v17, -1, v1
	s_lshl_b64 s[0:1], s[26:27], 1
	v_and_b32_e32 v1, 63, v17
	s_add_u32 s0, s16, s0
	v_lshlrev_b32_e32 v1, 1, v1
	v_add_co_u32_e32 v1, vcc, s0, v1
	s_load_dword s7, s[4:5], 0x58
	s_load_dword s0, s[4:5], 0x64
	v_and_b32_e32 v2, 0x3ff, v0
	s_addc_u32 s1, s17, s1
	v_and_b32_e32 v3, 0x3c0, v2
	v_mul_u32_u24_e32 v3, 12, v3
	v_mov_b32_e32 v5, s1
	s_add_u32 s1, s4, 0x58
	v_addc_co_u32_e32 v5, vcc, 0, v5, vcc
	v_lshlrev_b32_e32 v3, 1, v3
	s_addc_u32 s2, s5, 0
	s_waitcnt lgkmcnt(0)
	s_lshr_b32 s3, s0, 16
	v_add_co_u32_e32 v20, vcc, v1, v3
	s_cmp_lt_u32 s6, s7
	v_addc_co_u32_e32 v21, vcc, 0, v5, vcc
	s_cselect_b32 s0, 12, 18
	global_load_ushort v3, v[20:21], off
	s_add_u32 s0, s1, s0
	v_mov_b32_e32 v4, 0
	s_addc_u32 s1, s2, 0
	global_load_ushort v1, v4, s[0:1]
	v_mul_u32_u24_e32 v6, 5, v2
	v_lshlrev_b32_e32 v18, 2, v6
	ds_write2_b32 v18, v4, v4 offset0:16 offset1:17
	ds_write2_b32 v18, v4, v4 offset0:18 offset1:19
	ds_write_b32 v18, v4 offset:80
	global_load_ushort v16, v[20:21], off offset:128
	global_load_ushort v15, v[20:21], off offset:256
	;; [unrolled: 1-line block ×11, first 2 shown]
	v_bfe_u32 v5, v0, 10, 10
	v_bfe_u32 v0, v0, 20, 10
	s_lshl_b32 s0, -1, s21
	v_mad_u32_u24 v0, v0, s3, v5
	s_not_b32 s21, s0
	s_waitcnt lgkmcnt(0)
	s_barrier
	s_waitcnt lgkmcnt(0)
	; wave barrier
	s_waitcnt vmcnt(12)
	v_lshrrev_b32_sdwa v5, s20, v3 dst_sel:DWORD dst_unused:UNUSED_PAD src0_sel:DWORD src1_sel:WORD_0
	v_and_b32_e32 v19, s21, v5
	v_and_b32_e32 v21, 1, v19
	v_lshlrev_b32_e32 v5, 30, v19
	s_waitcnt vmcnt(11)
	v_mad_u64_u32 v[0:1], s[0:1], v0, v1, v[2:3]
	v_add_co_u32_e32 v1, vcc, -1, v21
	v_addc_co_u32_e64 v22, s[0:1], 0, -1, vcc
	v_cmp_ne_u32_e32 vcc, 0, v21
	v_cmp_gt_i64_e64 s[0:1], 0, v[4:5]
	v_not_b32_e32 v21, v5
	v_lshlrev_b32_e32 v5, 29, v19
	v_lshrrev_b32_e32 v26, 6, v0
	v_xor_b32_e32 v0, vcc_hi, v22
	v_xor_b32_e32 v1, vcc_lo, v1
	v_ashrrev_i32_e32 v21, 31, v21
	v_cmp_gt_i64_e32 vcc, 0, v[4:5]
	v_not_b32_e32 v22, v5
	v_lshlrev_b32_e32 v5, 28, v19
	v_and_b32_e32 v0, exec_hi, v0
	v_and_b32_e32 v1, exec_lo, v1
	v_xor_b32_e32 v23, s1, v21
	v_xor_b32_e32 v21, s0, v21
	v_ashrrev_i32_e32 v22, 31, v22
	v_cmp_gt_i64_e64 s[0:1], 0, v[4:5]
	v_not_b32_e32 v5, v5
	v_and_b32_e32 v0, v0, v23
	v_and_b32_e32 v1, v1, v21
	v_xor_b32_e32 v21, vcc_hi, v22
	v_xor_b32_e32 v22, vcc_lo, v22
	v_ashrrev_i32_e32 v5, 31, v5
	v_and_b32_e32 v0, v0, v21
	v_and_b32_e32 v1, v1, v22
	v_xor_b32_e32 v21, s1, v5
	v_xor_b32_e32 v5, s0, v5
	v_and_b32_e32 v1, v1, v5
	v_lshlrev_b32_e32 v5, 27, v19
	v_cmp_gt_i64_e32 vcc, 0, v[4:5]
	v_not_b32_e32 v5, v5
	v_ashrrev_i32_e32 v5, 31, v5
	v_and_b32_e32 v0, v0, v21
	v_xor_b32_e32 v21, vcc_hi, v5
	v_xor_b32_e32 v5, vcc_lo, v5
	v_and_b32_e32 v1, v1, v5
	v_lshlrev_b32_e32 v5, 26, v19
	v_cmp_gt_i64_e32 vcc, 0, v[4:5]
	v_not_b32_e32 v5, v5
	v_ashrrev_i32_e32 v5, 31, v5
	v_and_b32_e32 v0, v0, v21
	v_xor_b32_e32 v21, vcc_hi, v5
	v_xor_b32_e32 v5, vcc_lo, v5
	;; [unrolled: 8-line block ×3, first 2 shown]
	v_and_b32_e32 v0, v0, v21
	v_and_b32_e32 v21, v1, v5
	v_lshlrev_b32_e32 v5, 24, v19
	v_not_b32_e32 v1, v5
	v_cmp_gt_i64_e32 vcc, 0, v[4:5]
	v_ashrrev_i32_e32 v1, 31, v1
	v_mul_u32_u24_e32 v20, 17, v19
	v_xor_b32_e32 v5, vcc_hi, v1
	v_xor_b32_e32 v19, vcc_lo, v1
	v_and_b32_e32 v1, v0, v5
	v_and_b32_e32 v0, v21, v19
	v_mbcnt_lo_u32_b32 v5, v0, 0
	v_mbcnt_hi_u32_b32 v19, v1, v5
	v_cmp_eq_u32_e32 vcc, 0, v19
	v_cmp_ne_u64_e64 s[0:1], 0, v[0:1]
	v_add_lshl_u32 v20, v26, v20, 2
	s_and_b64 s[2:3], s[0:1], vcc
	s_and_saveexec_b64 s[0:1], s[2:3]
	s_cbranch_execz .LBB553_99
; %bb.98:
	v_bcnt_u32_b32 v0, v0, 0
	v_bcnt_u32_b32 v0, v1, v0
	ds_write_b32 v20, v0 offset:64
.LBB553_99:
	s_or_b64 exec, exec, s[0:1]
	s_waitcnt vmcnt(10)
	v_lshrrev_b32_sdwa v0, s20, v16 dst_sel:DWORD dst_unused:UNUSED_PAD src0_sel:DWORD src1_sel:WORD_0
	v_and_b32_e32 v0, s21, v0
	v_mul_u32_u24_e32 v1, 17, v0
	v_add_lshl_u32 v22, v26, v1, 2
	v_and_b32_e32 v1, 1, v0
	v_add_co_u32_e32 v5, vcc, -1, v1
	v_addc_co_u32_e64 v23, s[0:1], 0, -1, vcc
	v_cmp_ne_u32_e32 vcc, 0, v1
	v_xor_b32_e32 v5, vcc_lo, v5
	v_xor_b32_e32 v1, vcc_hi, v23
	v_and_b32_e32 v23, exec_lo, v5
	v_lshlrev_b32_e32 v5, 30, v0
	v_cmp_gt_i64_e32 vcc, 0, v[4:5]
	v_not_b32_e32 v5, v5
	v_ashrrev_i32_e32 v5, 31, v5
	v_xor_b32_e32 v24, vcc_hi, v5
	v_xor_b32_e32 v5, vcc_lo, v5
	v_and_b32_e32 v23, v23, v5
	v_lshlrev_b32_e32 v5, 29, v0
	v_cmp_gt_i64_e32 vcc, 0, v[4:5]
	v_not_b32_e32 v5, v5
	v_and_b32_e32 v1, exec_hi, v1
	v_ashrrev_i32_e32 v5, 31, v5
	v_and_b32_e32 v1, v1, v24
	v_xor_b32_e32 v24, vcc_hi, v5
	v_xor_b32_e32 v5, vcc_lo, v5
	v_and_b32_e32 v23, v23, v5
	v_lshlrev_b32_e32 v5, 28, v0
	v_cmp_gt_i64_e32 vcc, 0, v[4:5]
	v_not_b32_e32 v5, v5
	v_ashrrev_i32_e32 v5, 31, v5
	v_and_b32_e32 v1, v1, v24
	v_xor_b32_e32 v24, vcc_hi, v5
	v_xor_b32_e32 v5, vcc_lo, v5
	v_and_b32_e32 v23, v23, v5
	v_lshlrev_b32_e32 v5, 27, v0
	v_cmp_gt_i64_e32 vcc, 0, v[4:5]
	v_not_b32_e32 v5, v5
	;; [unrolled: 8-line block ×4, first 2 shown]
	v_ashrrev_i32_e32 v5, 31, v5
	v_and_b32_e32 v1, v1, v24
	v_xor_b32_e32 v24, vcc_hi, v5
	v_xor_b32_e32 v5, vcc_lo, v5
	v_and_b32_e32 v23, v23, v5
	v_lshlrev_b32_e32 v5, 24, v0
	v_not_b32_e32 v0, v5
	v_cmp_gt_i64_e32 vcc, 0, v[4:5]
	v_ashrrev_i32_e32 v0, 31, v0
	v_xor_b32_e32 v4, vcc_hi, v0
	v_xor_b32_e32 v0, vcc_lo, v0
	; wave barrier
	ds_read_b32 v21, v22 offset:64
	v_and_b32_e32 v1, v1, v24
	v_and_b32_e32 v0, v23, v0
	;; [unrolled: 1-line block ×3, first 2 shown]
	v_mbcnt_lo_u32_b32 v4, v0, 0
	v_mbcnt_hi_u32_b32 v23, v1, v4
	v_cmp_eq_u32_e32 vcc, 0, v23
	v_cmp_ne_u64_e64 s[0:1], 0, v[0:1]
	s_and_b64 s[2:3], s[0:1], vcc
	; wave barrier
	s_and_saveexec_b64 s[0:1], s[2:3]
	s_cbranch_execz .LBB553_101
; %bb.100:
	v_bcnt_u32_b32 v0, v0, 0
	v_bcnt_u32_b32 v0, v1, v0
	s_waitcnt lgkmcnt(0)
	v_add_u32_e32 v0, v21, v0
	ds_write_b32 v22, v0 offset:64
.LBB553_101:
	s_or_b64 exec, exec, s[0:1]
	s_waitcnt vmcnt(9)
	v_lshrrev_b32_sdwa v0, s20, v15 dst_sel:DWORD dst_unused:UNUSED_PAD src0_sel:DWORD src1_sel:WORD_0
	v_and_b32_e32 v4, s21, v0
	v_and_b32_e32 v1, 1, v4
	v_add_co_u32_e32 v5, vcc, -1, v1
	v_addc_co_u32_e64 v27, s[0:1], 0, -1, vcc
	v_cmp_ne_u32_e32 vcc, 0, v1
	v_mul_u32_u24_e32 v0, 17, v4
	v_xor_b32_e32 v1, vcc_hi, v27
	v_add_lshl_u32 v25, v26, v0, 2
	v_mov_b32_e32 v0, 0
	v_and_b32_e32 v27, exec_hi, v1
	v_lshlrev_b32_e32 v1, 30, v4
	v_xor_b32_e32 v5, vcc_lo, v5
	v_cmp_gt_i64_e32 vcc, 0, v[0:1]
	v_not_b32_e32 v1, v1
	v_ashrrev_i32_e32 v1, 31, v1
	v_and_b32_e32 v5, exec_lo, v5
	v_xor_b32_e32 v28, vcc_hi, v1
	v_xor_b32_e32 v1, vcc_lo, v1
	v_and_b32_e32 v5, v5, v1
	v_lshlrev_b32_e32 v1, 29, v4
	v_cmp_gt_i64_e32 vcc, 0, v[0:1]
	v_not_b32_e32 v1, v1
	v_ashrrev_i32_e32 v1, 31, v1
	v_and_b32_e32 v27, v27, v28
	v_xor_b32_e32 v28, vcc_hi, v1
	v_xor_b32_e32 v1, vcc_lo, v1
	v_and_b32_e32 v5, v5, v1
	v_lshlrev_b32_e32 v1, 28, v4
	v_cmp_gt_i64_e32 vcc, 0, v[0:1]
	v_not_b32_e32 v1, v1
	v_ashrrev_i32_e32 v1, 31, v1
	v_and_b32_e32 v27, v27, v28
	;; [unrolled: 8-line block ×5, first 2 shown]
	v_xor_b32_e32 v28, vcc_hi, v1
	v_xor_b32_e32 v1, vcc_lo, v1
	v_and_b32_e32 v27, v27, v28
	v_and_b32_e32 v28, v5, v1
	v_lshlrev_b32_e32 v1, 24, v4
	v_cmp_gt_i64_e32 vcc, 0, v[0:1]
	v_not_b32_e32 v1, v1
	v_ashrrev_i32_e32 v1, 31, v1
	v_xor_b32_e32 v4, vcc_hi, v1
	v_xor_b32_e32 v1, vcc_lo, v1
	; wave barrier
	ds_read_b32 v24, v25 offset:64
	v_and_b32_e32 v5, v27, v4
	v_and_b32_e32 v4, v28, v1
	v_mbcnt_lo_u32_b32 v1, v4, 0
	v_mbcnt_hi_u32_b32 v27, v5, v1
	v_cmp_eq_u32_e32 vcc, 0, v27
	v_cmp_ne_u64_e64 s[0:1], 0, v[4:5]
	s_and_b64 s[2:3], s[0:1], vcc
	; wave barrier
	s_and_saveexec_b64 s[0:1], s[2:3]
	s_cbranch_execz .LBB553_103
; %bb.102:
	v_bcnt_u32_b32 v1, v4, 0
	v_bcnt_u32_b32 v1, v5, v1
	s_waitcnt lgkmcnt(0)
	v_add_u32_e32 v1, v24, v1
	ds_write_b32 v25, v1 offset:64
.LBB553_103:
	s_or_b64 exec, exec, s[0:1]
	s_waitcnt vmcnt(8)
	v_lshrrev_b32_sdwa v1, s20, v14 dst_sel:DWORD dst_unused:UNUSED_PAD src0_sel:DWORD src1_sel:WORD_0
	v_and_b32_e32 v4, s21, v1
	v_mul_u32_u24_e32 v1, 17, v4
	v_add_lshl_u32 v29, v26, v1, 2
	v_and_b32_e32 v1, 1, v4
	v_add_co_u32_e32 v5, vcc, -1, v1
	v_addc_co_u32_e64 v30, s[0:1], 0, -1, vcc
	v_cmp_ne_u32_e32 vcc, 0, v1
	v_xor_b32_e32 v1, vcc_hi, v30
	v_and_b32_e32 v30, exec_hi, v1
	v_lshlrev_b32_e32 v1, 30, v4
	v_xor_b32_e32 v5, vcc_lo, v5
	v_cmp_gt_i64_e32 vcc, 0, v[0:1]
	v_not_b32_e32 v1, v1
	v_ashrrev_i32_e32 v1, 31, v1
	v_and_b32_e32 v5, exec_lo, v5
	v_xor_b32_e32 v31, vcc_hi, v1
	v_xor_b32_e32 v1, vcc_lo, v1
	v_and_b32_e32 v5, v5, v1
	v_lshlrev_b32_e32 v1, 29, v4
	v_cmp_gt_i64_e32 vcc, 0, v[0:1]
	v_not_b32_e32 v1, v1
	v_ashrrev_i32_e32 v1, 31, v1
	v_and_b32_e32 v30, v30, v31
	v_xor_b32_e32 v31, vcc_hi, v1
	v_xor_b32_e32 v1, vcc_lo, v1
	v_and_b32_e32 v5, v5, v1
	v_lshlrev_b32_e32 v1, 28, v4
	v_cmp_gt_i64_e32 vcc, 0, v[0:1]
	v_not_b32_e32 v1, v1
	v_ashrrev_i32_e32 v1, 31, v1
	v_and_b32_e32 v30, v30, v31
	;; [unrolled: 8-line block ×5, first 2 shown]
	v_xor_b32_e32 v31, vcc_hi, v1
	v_xor_b32_e32 v1, vcc_lo, v1
	v_and_b32_e32 v5, v5, v1
	v_lshlrev_b32_e32 v1, 24, v4
	v_cmp_gt_i64_e32 vcc, 0, v[0:1]
	v_not_b32_e32 v0, v1
	v_ashrrev_i32_e32 v0, 31, v0
	v_xor_b32_e32 v1, vcc_hi, v0
	v_xor_b32_e32 v0, vcc_lo, v0
	; wave barrier
	ds_read_b32 v28, v29 offset:64
	v_and_b32_e32 v30, v30, v31
	v_and_b32_e32 v0, v5, v0
	;; [unrolled: 1-line block ×3, first 2 shown]
	v_mbcnt_lo_u32_b32 v4, v0, 0
	v_mbcnt_hi_u32_b32 v30, v1, v4
	v_cmp_eq_u32_e32 vcc, 0, v30
	v_cmp_ne_u64_e64 s[0:1], 0, v[0:1]
	s_and_b64 s[2:3], s[0:1], vcc
	; wave barrier
	s_and_saveexec_b64 s[0:1], s[2:3]
	s_cbranch_execz .LBB553_105
; %bb.104:
	v_bcnt_u32_b32 v0, v0, 0
	v_bcnt_u32_b32 v0, v1, v0
	s_waitcnt lgkmcnt(0)
	v_add_u32_e32 v0, v28, v0
	ds_write_b32 v29, v0 offset:64
.LBB553_105:
	s_or_b64 exec, exec, s[0:1]
	s_waitcnt vmcnt(7)
	v_lshrrev_b32_sdwa v0, s20, v13 dst_sel:DWORD dst_unused:UNUSED_PAD src0_sel:DWORD src1_sel:WORD_0
	v_and_b32_e32 v4, s21, v0
	v_and_b32_e32 v1, 1, v4
	v_add_co_u32_e32 v5, vcc, -1, v1
	v_addc_co_u32_e64 v33, s[0:1], 0, -1, vcc
	v_cmp_ne_u32_e32 vcc, 0, v1
	v_mul_u32_u24_e32 v0, 17, v4
	v_xor_b32_e32 v1, vcc_hi, v33
	v_add_lshl_u32 v32, v26, v0, 2
	v_mov_b32_e32 v0, 0
	v_and_b32_e32 v33, exec_hi, v1
	v_lshlrev_b32_e32 v1, 30, v4
	v_xor_b32_e32 v5, vcc_lo, v5
	v_cmp_gt_i64_e32 vcc, 0, v[0:1]
	v_not_b32_e32 v1, v1
	v_ashrrev_i32_e32 v1, 31, v1
	v_and_b32_e32 v5, exec_lo, v5
	v_xor_b32_e32 v34, vcc_hi, v1
	v_xor_b32_e32 v1, vcc_lo, v1
	v_and_b32_e32 v5, v5, v1
	v_lshlrev_b32_e32 v1, 29, v4
	v_cmp_gt_i64_e32 vcc, 0, v[0:1]
	v_not_b32_e32 v1, v1
	v_ashrrev_i32_e32 v1, 31, v1
	v_and_b32_e32 v33, v33, v34
	v_xor_b32_e32 v34, vcc_hi, v1
	v_xor_b32_e32 v1, vcc_lo, v1
	v_and_b32_e32 v5, v5, v1
	v_lshlrev_b32_e32 v1, 28, v4
	v_cmp_gt_i64_e32 vcc, 0, v[0:1]
	v_not_b32_e32 v1, v1
	v_ashrrev_i32_e32 v1, 31, v1
	v_and_b32_e32 v33, v33, v34
	;; [unrolled: 8-line block ×5, first 2 shown]
	v_xor_b32_e32 v34, vcc_hi, v1
	v_xor_b32_e32 v1, vcc_lo, v1
	v_and_b32_e32 v33, v33, v34
	v_and_b32_e32 v34, v5, v1
	v_lshlrev_b32_e32 v1, 24, v4
	v_cmp_gt_i64_e32 vcc, 0, v[0:1]
	v_not_b32_e32 v1, v1
	v_ashrrev_i32_e32 v1, 31, v1
	v_xor_b32_e32 v4, vcc_hi, v1
	v_xor_b32_e32 v1, vcc_lo, v1
	; wave barrier
	ds_read_b32 v31, v32 offset:64
	v_and_b32_e32 v5, v33, v4
	v_and_b32_e32 v4, v34, v1
	v_mbcnt_lo_u32_b32 v1, v4, 0
	v_mbcnt_hi_u32_b32 v33, v5, v1
	v_cmp_eq_u32_e32 vcc, 0, v33
	v_cmp_ne_u64_e64 s[0:1], 0, v[4:5]
	s_and_b64 s[2:3], s[0:1], vcc
	; wave barrier
	s_and_saveexec_b64 s[0:1], s[2:3]
	s_cbranch_execz .LBB553_107
; %bb.106:
	v_bcnt_u32_b32 v1, v4, 0
	v_bcnt_u32_b32 v1, v5, v1
	s_waitcnt lgkmcnt(0)
	v_add_u32_e32 v1, v31, v1
	ds_write_b32 v32, v1 offset:64
.LBB553_107:
	s_or_b64 exec, exec, s[0:1]
	s_waitcnt vmcnt(6)
	v_lshrrev_b32_sdwa v1, s20, v12 dst_sel:DWORD dst_unused:UNUSED_PAD src0_sel:DWORD src1_sel:WORD_0
	v_and_b32_e32 v4, s21, v1
	v_mul_u32_u24_e32 v1, 17, v4
	v_add_lshl_u32 v35, v26, v1, 2
	v_and_b32_e32 v1, 1, v4
	v_add_co_u32_e32 v5, vcc, -1, v1
	v_addc_co_u32_e64 v36, s[0:1], 0, -1, vcc
	v_cmp_ne_u32_e32 vcc, 0, v1
	v_xor_b32_e32 v1, vcc_hi, v36
	v_and_b32_e32 v36, exec_hi, v1
	v_lshlrev_b32_e32 v1, 30, v4
	v_xor_b32_e32 v5, vcc_lo, v5
	v_cmp_gt_i64_e32 vcc, 0, v[0:1]
	v_not_b32_e32 v1, v1
	v_ashrrev_i32_e32 v1, 31, v1
	v_and_b32_e32 v5, exec_lo, v5
	v_xor_b32_e32 v37, vcc_hi, v1
	v_xor_b32_e32 v1, vcc_lo, v1
	v_and_b32_e32 v5, v5, v1
	v_lshlrev_b32_e32 v1, 29, v4
	v_cmp_gt_i64_e32 vcc, 0, v[0:1]
	v_not_b32_e32 v1, v1
	v_ashrrev_i32_e32 v1, 31, v1
	v_and_b32_e32 v36, v36, v37
	v_xor_b32_e32 v37, vcc_hi, v1
	v_xor_b32_e32 v1, vcc_lo, v1
	v_and_b32_e32 v5, v5, v1
	v_lshlrev_b32_e32 v1, 28, v4
	v_cmp_gt_i64_e32 vcc, 0, v[0:1]
	v_not_b32_e32 v1, v1
	v_ashrrev_i32_e32 v1, 31, v1
	v_and_b32_e32 v36, v36, v37
	;; [unrolled: 8-line block ×5, first 2 shown]
	v_xor_b32_e32 v37, vcc_hi, v1
	v_xor_b32_e32 v1, vcc_lo, v1
	v_and_b32_e32 v5, v5, v1
	v_lshlrev_b32_e32 v1, 24, v4
	v_cmp_gt_i64_e32 vcc, 0, v[0:1]
	v_not_b32_e32 v0, v1
	v_ashrrev_i32_e32 v0, 31, v0
	v_xor_b32_e32 v1, vcc_hi, v0
	v_xor_b32_e32 v0, vcc_lo, v0
	; wave barrier
	ds_read_b32 v34, v35 offset:64
	v_and_b32_e32 v36, v36, v37
	v_and_b32_e32 v0, v5, v0
	;; [unrolled: 1-line block ×3, first 2 shown]
	v_mbcnt_lo_u32_b32 v4, v0, 0
	v_mbcnt_hi_u32_b32 v36, v1, v4
	v_cmp_eq_u32_e32 vcc, 0, v36
	v_cmp_ne_u64_e64 s[0:1], 0, v[0:1]
	s_and_b64 s[2:3], s[0:1], vcc
	; wave barrier
	s_and_saveexec_b64 s[0:1], s[2:3]
	s_cbranch_execz .LBB553_109
; %bb.108:
	v_bcnt_u32_b32 v0, v0, 0
	v_bcnt_u32_b32 v0, v1, v0
	s_waitcnt lgkmcnt(0)
	v_add_u32_e32 v0, v34, v0
	ds_write_b32 v35, v0 offset:64
.LBB553_109:
	s_or_b64 exec, exec, s[0:1]
	s_waitcnt vmcnt(5)
	v_lshrrev_b32_sdwa v0, s20, v11 dst_sel:DWORD dst_unused:UNUSED_PAD src0_sel:DWORD src1_sel:WORD_0
	v_and_b32_e32 v4, s21, v0
	v_and_b32_e32 v1, 1, v4
	v_add_co_u32_e32 v5, vcc, -1, v1
	v_addc_co_u32_e64 v39, s[0:1], 0, -1, vcc
	v_cmp_ne_u32_e32 vcc, 0, v1
	v_mul_u32_u24_e32 v0, 17, v4
	v_xor_b32_e32 v1, vcc_hi, v39
	v_add_lshl_u32 v38, v26, v0, 2
	v_mov_b32_e32 v0, 0
	v_and_b32_e32 v39, exec_hi, v1
	v_lshlrev_b32_e32 v1, 30, v4
	v_xor_b32_e32 v5, vcc_lo, v5
	v_cmp_gt_i64_e32 vcc, 0, v[0:1]
	v_not_b32_e32 v1, v1
	v_ashrrev_i32_e32 v1, 31, v1
	v_and_b32_e32 v5, exec_lo, v5
	v_xor_b32_e32 v40, vcc_hi, v1
	v_xor_b32_e32 v1, vcc_lo, v1
	v_and_b32_e32 v5, v5, v1
	v_lshlrev_b32_e32 v1, 29, v4
	v_cmp_gt_i64_e32 vcc, 0, v[0:1]
	v_not_b32_e32 v1, v1
	v_ashrrev_i32_e32 v1, 31, v1
	v_and_b32_e32 v39, v39, v40
	v_xor_b32_e32 v40, vcc_hi, v1
	v_xor_b32_e32 v1, vcc_lo, v1
	v_and_b32_e32 v5, v5, v1
	v_lshlrev_b32_e32 v1, 28, v4
	v_cmp_gt_i64_e32 vcc, 0, v[0:1]
	v_not_b32_e32 v1, v1
	v_ashrrev_i32_e32 v1, 31, v1
	v_and_b32_e32 v39, v39, v40
	;; [unrolled: 8-line block ×5, first 2 shown]
	v_xor_b32_e32 v40, vcc_hi, v1
	v_xor_b32_e32 v1, vcc_lo, v1
	v_and_b32_e32 v39, v39, v40
	v_and_b32_e32 v40, v5, v1
	v_lshlrev_b32_e32 v1, 24, v4
	v_cmp_gt_i64_e32 vcc, 0, v[0:1]
	v_not_b32_e32 v1, v1
	v_ashrrev_i32_e32 v1, 31, v1
	v_xor_b32_e32 v4, vcc_hi, v1
	v_xor_b32_e32 v1, vcc_lo, v1
	; wave barrier
	ds_read_b32 v37, v38 offset:64
	v_and_b32_e32 v5, v39, v4
	v_and_b32_e32 v4, v40, v1
	v_mbcnt_lo_u32_b32 v1, v4, 0
	v_mbcnt_hi_u32_b32 v39, v5, v1
	v_cmp_eq_u32_e32 vcc, 0, v39
	v_cmp_ne_u64_e64 s[0:1], 0, v[4:5]
	s_and_b64 s[2:3], s[0:1], vcc
	; wave barrier
	s_and_saveexec_b64 s[0:1], s[2:3]
	s_cbranch_execz .LBB553_111
; %bb.110:
	v_bcnt_u32_b32 v1, v4, 0
	v_bcnt_u32_b32 v1, v5, v1
	s_waitcnt lgkmcnt(0)
	v_add_u32_e32 v1, v37, v1
	ds_write_b32 v38, v1 offset:64
.LBB553_111:
	s_or_b64 exec, exec, s[0:1]
	s_waitcnt vmcnt(4)
	v_lshrrev_b32_sdwa v1, s20, v10 dst_sel:DWORD dst_unused:UNUSED_PAD src0_sel:DWORD src1_sel:WORD_0
	v_and_b32_e32 v4, s21, v1
	v_mul_u32_u24_e32 v1, 17, v4
	v_add_lshl_u32 v41, v26, v1, 2
	v_and_b32_e32 v1, 1, v4
	v_add_co_u32_e32 v5, vcc, -1, v1
	v_addc_co_u32_e64 v42, s[0:1], 0, -1, vcc
	v_cmp_ne_u32_e32 vcc, 0, v1
	v_xor_b32_e32 v1, vcc_hi, v42
	v_and_b32_e32 v42, exec_hi, v1
	v_lshlrev_b32_e32 v1, 30, v4
	v_xor_b32_e32 v5, vcc_lo, v5
	v_cmp_gt_i64_e32 vcc, 0, v[0:1]
	v_not_b32_e32 v1, v1
	v_ashrrev_i32_e32 v1, 31, v1
	v_and_b32_e32 v5, exec_lo, v5
	v_xor_b32_e32 v43, vcc_hi, v1
	v_xor_b32_e32 v1, vcc_lo, v1
	v_and_b32_e32 v5, v5, v1
	v_lshlrev_b32_e32 v1, 29, v4
	v_cmp_gt_i64_e32 vcc, 0, v[0:1]
	v_not_b32_e32 v1, v1
	v_ashrrev_i32_e32 v1, 31, v1
	v_and_b32_e32 v42, v42, v43
	v_xor_b32_e32 v43, vcc_hi, v1
	v_xor_b32_e32 v1, vcc_lo, v1
	v_and_b32_e32 v5, v5, v1
	v_lshlrev_b32_e32 v1, 28, v4
	v_cmp_gt_i64_e32 vcc, 0, v[0:1]
	v_not_b32_e32 v1, v1
	v_ashrrev_i32_e32 v1, 31, v1
	v_and_b32_e32 v42, v42, v43
	;; [unrolled: 8-line block ×5, first 2 shown]
	v_xor_b32_e32 v43, vcc_hi, v1
	v_xor_b32_e32 v1, vcc_lo, v1
	v_and_b32_e32 v5, v5, v1
	v_lshlrev_b32_e32 v1, 24, v4
	v_cmp_gt_i64_e32 vcc, 0, v[0:1]
	v_not_b32_e32 v0, v1
	v_ashrrev_i32_e32 v0, 31, v0
	v_xor_b32_e32 v1, vcc_hi, v0
	v_xor_b32_e32 v0, vcc_lo, v0
	; wave barrier
	ds_read_b32 v40, v41 offset:64
	v_and_b32_e32 v42, v42, v43
	v_and_b32_e32 v0, v5, v0
	;; [unrolled: 1-line block ×3, first 2 shown]
	v_mbcnt_lo_u32_b32 v4, v0, 0
	v_mbcnt_hi_u32_b32 v42, v1, v4
	v_cmp_eq_u32_e32 vcc, 0, v42
	v_cmp_ne_u64_e64 s[0:1], 0, v[0:1]
	s_and_b64 s[2:3], s[0:1], vcc
	; wave barrier
	s_and_saveexec_b64 s[0:1], s[2:3]
	s_cbranch_execz .LBB553_113
; %bb.112:
	v_bcnt_u32_b32 v0, v0, 0
	v_bcnt_u32_b32 v0, v1, v0
	s_waitcnt lgkmcnt(0)
	v_add_u32_e32 v0, v40, v0
	ds_write_b32 v41, v0 offset:64
.LBB553_113:
	s_or_b64 exec, exec, s[0:1]
	s_waitcnt vmcnt(3)
	v_lshrrev_b32_sdwa v0, s20, v9 dst_sel:DWORD dst_unused:UNUSED_PAD src0_sel:DWORD src1_sel:WORD_0
	v_and_b32_e32 v4, s21, v0
	v_and_b32_e32 v1, 1, v4
	v_add_co_u32_e32 v5, vcc, -1, v1
	v_addc_co_u32_e64 v45, s[0:1], 0, -1, vcc
	v_cmp_ne_u32_e32 vcc, 0, v1
	v_mul_u32_u24_e32 v0, 17, v4
	v_xor_b32_e32 v1, vcc_hi, v45
	v_add_lshl_u32 v44, v26, v0, 2
	v_mov_b32_e32 v0, 0
	v_and_b32_e32 v45, exec_hi, v1
	v_lshlrev_b32_e32 v1, 30, v4
	v_xor_b32_e32 v5, vcc_lo, v5
	v_cmp_gt_i64_e32 vcc, 0, v[0:1]
	v_not_b32_e32 v1, v1
	v_ashrrev_i32_e32 v1, 31, v1
	v_and_b32_e32 v5, exec_lo, v5
	v_xor_b32_e32 v46, vcc_hi, v1
	v_xor_b32_e32 v1, vcc_lo, v1
	v_and_b32_e32 v5, v5, v1
	v_lshlrev_b32_e32 v1, 29, v4
	v_cmp_gt_i64_e32 vcc, 0, v[0:1]
	v_not_b32_e32 v1, v1
	v_ashrrev_i32_e32 v1, 31, v1
	v_and_b32_e32 v45, v45, v46
	v_xor_b32_e32 v46, vcc_hi, v1
	v_xor_b32_e32 v1, vcc_lo, v1
	v_and_b32_e32 v5, v5, v1
	v_lshlrev_b32_e32 v1, 28, v4
	v_cmp_gt_i64_e32 vcc, 0, v[0:1]
	v_not_b32_e32 v1, v1
	v_ashrrev_i32_e32 v1, 31, v1
	v_and_b32_e32 v45, v45, v46
	;; [unrolled: 8-line block ×5, first 2 shown]
	v_xor_b32_e32 v46, vcc_hi, v1
	v_xor_b32_e32 v1, vcc_lo, v1
	v_and_b32_e32 v45, v45, v46
	v_and_b32_e32 v46, v5, v1
	v_lshlrev_b32_e32 v1, 24, v4
	v_cmp_gt_i64_e32 vcc, 0, v[0:1]
	v_not_b32_e32 v1, v1
	v_ashrrev_i32_e32 v1, 31, v1
	v_xor_b32_e32 v4, vcc_hi, v1
	v_xor_b32_e32 v1, vcc_lo, v1
	; wave barrier
	ds_read_b32 v43, v44 offset:64
	v_and_b32_e32 v5, v45, v4
	v_and_b32_e32 v4, v46, v1
	v_mbcnt_lo_u32_b32 v1, v4, 0
	v_mbcnt_hi_u32_b32 v45, v5, v1
	v_cmp_eq_u32_e32 vcc, 0, v45
	v_cmp_ne_u64_e64 s[0:1], 0, v[4:5]
	s_and_b64 s[2:3], s[0:1], vcc
	; wave barrier
	s_and_saveexec_b64 s[0:1], s[2:3]
	s_cbranch_execz .LBB553_115
; %bb.114:
	v_bcnt_u32_b32 v1, v4, 0
	v_bcnt_u32_b32 v1, v5, v1
	s_waitcnt lgkmcnt(0)
	v_add_u32_e32 v1, v43, v1
	ds_write_b32 v44, v1 offset:64
.LBB553_115:
	s_or_b64 exec, exec, s[0:1]
	s_waitcnt vmcnt(2)
	v_lshrrev_b32_sdwa v1, s20, v8 dst_sel:DWORD dst_unused:UNUSED_PAD src0_sel:DWORD src1_sel:WORD_0
	v_and_b32_e32 v4, s21, v1
	v_mul_u32_u24_e32 v1, 17, v4
	v_add_lshl_u32 v47, v26, v1, 2
	v_and_b32_e32 v1, 1, v4
	v_add_co_u32_e32 v5, vcc, -1, v1
	v_addc_co_u32_e64 v48, s[0:1], 0, -1, vcc
	v_cmp_ne_u32_e32 vcc, 0, v1
	v_xor_b32_e32 v1, vcc_hi, v48
	v_and_b32_e32 v48, exec_hi, v1
	v_lshlrev_b32_e32 v1, 30, v4
	v_xor_b32_e32 v5, vcc_lo, v5
	v_cmp_gt_i64_e32 vcc, 0, v[0:1]
	v_not_b32_e32 v1, v1
	v_ashrrev_i32_e32 v1, 31, v1
	v_and_b32_e32 v5, exec_lo, v5
	v_xor_b32_e32 v49, vcc_hi, v1
	v_xor_b32_e32 v1, vcc_lo, v1
	v_and_b32_e32 v5, v5, v1
	v_lshlrev_b32_e32 v1, 29, v4
	v_cmp_gt_i64_e32 vcc, 0, v[0:1]
	v_not_b32_e32 v1, v1
	v_ashrrev_i32_e32 v1, 31, v1
	v_and_b32_e32 v48, v48, v49
	v_xor_b32_e32 v49, vcc_hi, v1
	v_xor_b32_e32 v1, vcc_lo, v1
	v_and_b32_e32 v5, v5, v1
	v_lshlrev_b32_e32 v1, 28, v4
	v_cmp_gt_i64_e32 vcc, 0, v[0:1]
	v_not_b32_e32 v1, v1
	v_ashrrev_i32_e32 v1, 31, v1
	v_and_b32_e32 v48, v48, v49
	;; [unrolled: 8-line block ×5, first 2 shown]
	v_xor_b32_e32 v49, vcc_hi, v1
	v_xor_b32_e32 v1, vcc_lo, v1
	v_and_b32_e32 v5, v5, v1
	v_lshlrev_b32_e32 v1, 24, v4
	v_cmp_gt_i64_e32 vcc, 0, v[0:1]
	v_not_b32_e32 v0, v1
	v_ashrrev_i32_e32 v0, 31, v0
	v_xor_b32_e32 v1, vcc_hi, v0
	v_xor_b32_e32 v0, vcc_lo, v0
	; wave barrier
	ds_read_b32 v46, v47 offset:64
	v_and_b32_e32 v48, v48, v49
	v_and_b32_e32 v0, v5, v0
	;; [unrolled: 1-line block ×3, first 2 shown]
	v_mbcnt_lo_u32_b32 v4, v0, 0
	v_mbcnt_hi_u32_b32 v48, v1, v4
	v_cmp_eq_u32_e32 vcc, 0, v48
	v_cmp_ne_u64_e64 s[0:1], 0, v[0:1]
	s_and_b64 s[2:3], s[0:1], vcc
	; wave barrier
	s_and_saveexec_b64 s[0:1], s[2:3]
	s_cbranch_execz .LBB553_117
; %bb.116:
	v_bcnt_u32_b32 v0, v0, 0
	v_bcnt_u32_b32 v0, v1, v0
	s_waitcnt lgkmcnt(0)
	v_add_u32_e32 v0, v46, v0
	ds_write_b32 v47, v0 offset:64
.LBB553_117:
	s_or_b64 exec, exec, s[0:1]
	s_waitcnt vmcnt(1)
	v_lshrrev_b32_sdwa v0, s20, v7 dst_sel:DWORD dst_unused:UNUSED_PAD src0_sel:DWORD src1_sel:WORD_0
	v_and_b32_e32 v4, s21, v0
	v_and_b32_e32 v1, 1, v4
	v_add_co_u32_e32 v5, vcc, -1, v1
	v_addc_co_u32_e64 v51, s[0:1], 0, -1, vcc
	v_cmp_ne_u32_e32 vcc, 0, v1
	v_mul_u32_u24_e32 v0, 17, v4
	v_xor_b32_e32 v1, vcc_hi, v51
	v_add_lshl_u32 v50, v26, v0, 2
	v_mov_b32_e32 v0, 0
	v_and_b32_e32 v51, exec_hi, v1
	v_lshlrev_b32_e32 v1, 30, v4
	v_xor_b32_e32 v5, vcc_lo, v5
	v_cmp_gt_i64_e32 vcc, 0, v[0:1]
	v_not_b32_e32 v1, v1
	v_ashrrev_i32_e32 v1, 31, v1
	v_and_b32_e32 v5, exec_lo, v5
	v_xor_b32_e32 v52, vcc_hi, v1
	v_xor_b32_e32 v1, vcc_lo, v1
	v_and_b32_e32 v5, v5, v1
	v_lshlrev_b32_e32 v1, 29, v4
	v_cmp_gt_i64_e32 vcc, 0, v[0:1]
	v_not_b32_e32 v1, v1
	v_ashrrev_i32_e32 v1, 31, v1
	v_and_b32_e32 v51, v51, v52
	v_xor_b32_e32 v52, vcc_hi, v1
	v_xor_b32_e32 v1, vcc_lo, v1
	v_and_b32_e32 v5, v5, v1
	v_lshlrev_b32_e32 v1, 28, v4
	v_cmp_gt_i64_e32 vcc, 0, v[0:1]
	v_not_b32_e32 v1, v1
	v_ashrrev_i32_e32 v1, 31, v1
	v_and_b32_e32 v51, v51, v52
	;; [unrolled: 8-line block ×5, first 2 shown]
	v_xor_b32_e32 v52, vcc_hi, v1
	v_xor_b32_e32 v1, vcc_lo, v1
	v_and_b32_e32 v51, v51, v52
	v_and_b32_e32 v52, v5, v1
	v_lshlrev_b32_e32 v1, 24, v4
	v_cmp_gt_i64_e32 vcc, 0, v[0:1]
	v_not_b32_e32 v1, v1
	v_ashrrev_i32_e32 v1, 31, v1
	v_xor_b32_e32 v4, vcc_hi, v1
	v_xor_b32_e32 v1, vcc_lo, v1
	; wave barrier
	ds_read_b32 v49, v50 offset:64
	v_and_b32_e32 v5, v51, v4
	v_and_b32_e32 v4, v52, v1
	v_mbcnt_lo_u32_b32 v1, v4, 0
	v_mbcnt_hi_u32_b32 v51, v5, v1
	v_cmp_eq_u32_e32 vcc, 0, v51
	v_cmp_ne_u64_e64 s[0:1], 0, v[4:5]
	s_and_b64 s[2:3], s[0:1], vcc
	; wave barrier
	s_and_saveexec_b64 s[0:1], s[2:3]
	s_cbranch_execz .LBB553_119
; %bb.118:
	v_bcnt_u32_b32 v1, v4, 0
	v_bcnt_u32_b32 v1, v5, v1
	s_waitcnt lgkmcnt(0)
	v_add_u32_e32 v1, v49, v1
	ds_write_b32 v50, v1 offset:64
.LBB553_119:
	s_or_b64 exec, exec, s[0:1]
	s_waitcnt vmcnt(0)
	v_lshrrev_b32_sdwa v1, s20, v6 dst_sel:DWORD dst_unused:UNUSED_PAD src0_sel:DWORD src1_sel:WORD_0
	v_and_b32_e32 v4, s21, v1
	v_mul_u32_u24_e32 v1, 17, v4
	v_add_lshl_u32 v52, v26, v1, 2
	v_and_b32_e32 v1, 1, v4
	v_add_co_u32_e32 v5, vcc, -1, v1
	v_addc_co_u32_e64 v54, s[0:1], 0, -1, vcc
	v_cmp_ne_u32_e32 vcc, 0, v1
	v_xor_b32_e32 v1, vcc_hi, v54
	v_and_b32_e32 v54, exec_hi, v1
	v_lshlrev_b32_e32 v1, 30, v4
	v_xor_b32_e32 v5, vcc_lo, v5
	v_cmp_gt_i64_e32 vcc, 0, v[0:1]
	v_not_b32_e32 v1, v1
	v_ashrrev_i32_e32 v1, 31, v1
	v_and_b32_e32 v5, exec_lo, v5
	v_xor_b32_e32 v55, vcc_hi, v1
	v_xor_b32_e32 v1, vcc_lo, v1
	v_and_b32_e32 v5, v5, v1
	v_lshlrev_b32_e32 v1, 29, v4
	v_cmp_gt_i64_e32 vcc, 0, v[0:1]
	v_not_b32_e32 v1, v1
	v_ashrrev_i32_e32 v1, 31, v1
	v_and_b32_e32 v54, v54, v55
	v_xor_b32_e32 v55, vcc_hi, v1
	v_xor_b32_e32 v1, vcc_lo, v1
	v_and_b32_e32 v5, v5, v1
	v_lshlrev_b32_e32 v1, 28, v4
	v_cmp_gt_i64_e32 vcc, 0, v[0:1]
	v_not_b32_e32 v1, v1
	v_ashrrev_i32_e32 v1, 31, v1
	v_and_b32_e32 v54, v54, v55
	;; [unrolled: 8-line block ×5, first 2 shown]
	v_xor_b32_e32 v55, vcc_hi, v1
	v_xor_b32_e32 v1, vcc_lo, v1
	v_and_b32_e32 v5, v5, v1
	v_lshlrev_b32_e32 v1, 24, v4
	v_cmp_gt_i64_e32 vcc, 0, v[0:1]
	v_not_b32_e32 v0, v1
	v_ashrrev_i32_e32 v0, 31, v0
	v_xor_b32_e32 v1, vcc_hi, v0
	v_xor_b32_e32 v0, vcc_lo, v0
	; wave barrier
	ds_read_b32 v26, v52 offset:64
	v_and_b32_e32 v54, v54, v55
	v_and_b32_e32 v0, v5, v0
	;; [unrolled: 1-line block ×3, first 2 shown]
	v_mbcnt_lo_u32_b32 v4, v0, 0
	v_mbcnt_hi_u32_b32 v54, v1, v4
	v_cmp_eq_u32_e32 vcc, 0, v54
	v_cmp_ne_u64_e64 s[0:1], 0, v[0:1]
	v_add_u32_e32 v53, 64, v18
	s_and_b64 s[2:3], s[0:1], vcc
	; wave barrier
	s_and_saveexec_b64 s[0:1], s[2:3]
	s_cbranch_execz .LBB553_121
; %bb.120:
	v_bcnt_u32_b32 v0, v0, 0
	v_bcnt_u32_b32 v0, v1, v0
	s_waitcnt lgkmcnt(0)
	v_add_u32_e32 v0, v26, v0
	ds_write_b32 v52, v0 offset:64
.LBB553_121:
	s_or_b64 exec, exec, s[0:1]
	; wave barrier
	s_waitcnt lgkmcnt(0)
	s_barrier
	ds_read2_b32 v[4:5], v18 offset0:16 offset1:17
	ds_read2_b32 v[0:1], v53 offset0:2 offset1:3
	ds_read_b32 v55, v53 offset:16
	v_cmp_lt_u32_e64 s[8:9], 31, v17
	s_waitcnt lgkmcnt(1)
	v_add3_u32 v56, v5, v4, v0
	s_waitcnt lgkmcnt(0)
	v_add3_u32 v55, v56, v1, v55
	v_and_b32_e32 v56, 15, v17
	v_cmp_eq_u32_e32 vcc, 0, v56
	v_mov_b32_dpp v57, v55 row_shr:1 row_mask:0xf bank_mask:0xf
	v_cndmask_b32_e64 v57, v57, 0, vcc
	v_add_u32_e32 v55, v57, v55
	v_cmp_lt_u32_e64 s[0:1], 1, v56
	v_cmp_lt_u32_e64 s[2:3], 3, v56
	v_mov_b32_dpp v57, v55 row_shr:2 row_mask:0xf bank_mask:0xf
	v_cndmask_b32_e64 v57, 0, v57, s[0:1]
	v_add_u32_e32 v55, v55, v57
	v_cmp_lt_u32_e64 s[4:5], 7, v56
	s_nop 0
	v_mov_b32_dpp v57, v55 row_shr:4 row_mask:0xf bank_mask:0xf
	v_cndmask_b32_e64 v57, 0, v57, s[2:3]
	v_add_u32_e32 v55, v55, v57
	s_nop 1
	v_mov_b32_dpp v57, v55 row_shr:8 row_mask:0xf bank_mask:0xf
	v_cndmask_b32_e64 v56, 0, v57, s[4:5]
	v_add_u32_e32 v55, v55, v56
	v_bfe_i32 v57, v17, 4, 1
	s_nop 0
	v_mov_b32_dpp v56, v55 row_bcast:15 row_mask:0xf bank_mask:0xf
	v_and_b32_e32 v56, v57, v56
	v_add_u32_e32 v55, v55, v56
	v_and_b32_e32 v57, 63, v2
	s_nop 0
	v_mov_b32_dpp v56, v55 row_bcast:31 row_mask:0xf bank_mask:0xf
	v_cndmask_b32_e64 v56, 0, v56, s[8:9]
	v_add_u32_e32 v55, v55, v56
	v_lshrrev_b32_e32 v56, 6, v2
	v_cmp_eq_u32_e64 s[8:9], 63, v57
	s_and_saveexec_b64 s[16:17], s[8:9]
	s_cbranch_execz .LBB553_123
; %bb.122:
	v_lshlrev_b32_e32 v57, 2, v56
	ds_write_b32 v57, v55
.LBB553_123:
	s_or_b64 exec, exec, s[16:17]
	v_cmp_gt_u32_e64 s[8:9], 16, v2
	s_waitcnt lgkmcnt(0)
	s_barrier
	s_and_saveexec_b64 s[16:17], s[8:9]
	s_cbranch_execz .LBB553_125
; %bb.124:
	v_lshlrev_b32_e32 v57, 2, v2
	ds_read_b32 v58, v57
	s_waitcnt lgkmcnt(0)
	s_nop 0
	v_mov_b32_dpp v59, v58 row_shr:1 row_mask:0xf bank_mask:0xf
	v_cndmask_b32_e64 v59, v59, 0, vcc
	v_add_u32_e32 v58, v59, v58
	s_nop 1
	v_mov_b32_dpp v59, v58 row_shr:2 row_mask:0xf bank_mask:0xf
	v_cndmask_b32_e64 v59, 0, v59, s[0:1]
	v_add_u32_e32 v58, v58, v59
	s_nop 1
	v_mov_b32_dpp v59, v58 row_shr:4 row_mask:0xf bank_mask:0xf
	v_cndmask_b32_e64 v59, 0, v59, s[2:3]
	;; [unrolled: 4-line block ×3, first 2 shown]
	v_add_u32_e32 v58, v58, v59
	ds_write_b32 v57, v58
.LBB553_125:
	s_or_b64 exec, exec, s[16:17]
	v_cmp_lt_u32_e32 vcc, 63, v2
	v_mov_b32_e32 v57, 0
	s_waitcnt lgkmcnt(0)
	s_barrier
	s_and_saveexec_b64 s[0:1], vcc
	s_cbranch_execz .LBB553_127
; %bb.126:
	v_lshl_add_u32 v56, v56, 2, -4
	ds_read_b32 v57, v56
.LBB553_127:
	s_or_b64 exec, exec, s[0:1]
	v_add_u32_e32 v56, -1, v17
	v_and_b32_e32 v58, 64, v17
	v_cmp_lt_i32_e32 vcc, v56, v58
	v_cndmask_b32_e32 v56, v56, v17, vcc
	s_waitcnt lgkmcnt(0)
	v_add_u32_e32 v55, v57, v55
	v_lshlrev_b32_e32 v56, 2, v56
	ds_bpermute_b32 v55, v56, v55
	v_cmp_eq_u32_e32 vcc, 0, v17
	s_movk_i32 s2, 0xff
	s_movk_i32 s3, 0x100
	v_cmp_lt_u32_e64 s[0:1], s2, v2
	s_waitcnt lgkmcnt(0)
	v_cndmask_b32_e32 v17, v55, v57, vcc
	v_cmp_ne_u32_e32 vcc, 0, v2
	v_cndmask_b32_e32 v17, 0, v17, vcc
	v_add_u32_e32 v4, v17, v4
	v_add_u32_e32 v5, v4, v5
	;; [unrolled: 1-line block ×4, first 2 shown]
	ds_write2_b32 v18, v17, v4 offset0:16 offset1:17
	ds_write2_b32 v53, v5, v0 offset0:2 offset1:3
	ds_write_b32 v53, v1 offset:16
	s_waitcnt lgkmcnt(0)
	s_barrier
	ds_read_b32 v57, v20 offset:64
	ds_read_b32 v56, v22 offset:64
	;; [unrolled: 1-line block ×12, first 2 shown]
	v_cmp_gt_u32_e32 vcc, s3, v2
	v_pk_mov_b32 v[0:1], 0, 0
                                        ; implicit-def: $vgpr17
	s_and_saveexec_b64 s[4:5], vcc
	s_cbranch_execz .LBB553_131
; %bb.128:
	v_mul_u32_u24_e32 v0, 17, v2
	v_lshlrev_b32_e32 v17, 2, v0
	ds_read_b32 v0, v17 offset:64
	v_cmp_ne_u32_e64 s[2:3], s2, v2
	v_mov_b32_e32 v1, 0x3000
	s_and_saveexec_b64 s[8:9], s[2:3]
	s_cbranch_execz .LBB553_130
; %bb.129:
	ds_read_b32 v1, v17 offset:132
.LBB553_130:
	s_or_b64 exec, exec, s[8:9]
	s_waitcnt lgkmcnt(0)
	v_sub_u32_e32 v17, v1, v0
	v_mov_b32_e32 v1, 0
.LBB553_131:
	s_or_b64 exec, exec, s[4:5]
	v_add_u32_e32 v21, v23, v21
	s_waitcnt lgkmcnt(11)
	v_add_lshl_u32 v19, v57, v19, 1
	v_add_u32_e32 v24, v27, v24
	s_waitcnt lgkmcnt(0)
	s_barrier
	ds_write_b16 v19, v3 offset:2048
	v_add_lshl_u32 v3, v21, v56, 1
	v_add_u32_e32 v28, v30, v28
	ds_write_b16 v3, v16 offset:2048
	v_add_lshl_u32 v3, v24, v55, 1
	v_add_u32_e32 v31, v33, v31
	;; [unrolled: 3-line block ×9, first 2 shown]
	ds_write_b16 v3, v8 offset:2048
	v_add_lshl_u32 v3, v35, v5, 1
	ds_write_b16 v3, v7 offset:2048
	v_add_lshl_u32 v3, v26, v4, 1
	ds_write_b16 v3, v6 offset:2048
	s_and_saveexec_b64 s[2:3], s[0:1]
	s_xor_b64 s[0:1], exec, s[2:3]
; %bb.132:
	v_mov_b32_e32 v3, 0
; %bb.133:
	s_andn2_saveexec_b64 s[2:3], s[0:1]
	s_cbranch_execz .LBB553_143
; %bb.134:
	v_lshl_or_b32 v4, s6, 8, v2
	v_mov_b32_e32 v5, 0
	v_lshlrev_b64 v[6:7], 2, v[4:5]
	v_mov_b32_e32 v3, s25
	v_add_co_u32_e64 v6, s[0:1], s24, v6
	v_addc_co_u32_e64 v7, s[0:1], v3, v7, s[0:1]
	v_or_b32_e32 v4, 2.0, v17
	s_mov_b64 s[4:5], 0
	s_brev_b32 s22, 1
	s_mov_b32 s23, s6
	v_mov_b32_e32 v10, 0
	global_store_dword v[6:7], v4, off
                                        ; implicit-def: $sgpr0_sgpr1
	s_branch .LBB553_137
.LBB553_135:                            ;   in Loop: Header=BB553_137 Depth=1
	s_or_b64 exec, exec, s[16:17]
.LBB553_136:                            ;   in Loop: Header=BB553_137 Depth=1
	s_or_b64 exec, exec, s[8:9]
	v_and_b32_e32 v8, 0x3fffffff, v11
	v_add_u32_e32 v10, v8, v10
	v_cmp_eq_u32_e64 s[0:1], s22, v4
	s_and_b64 s[8:9], exec, s[0:1]
	s_or_b64 s[4:5], s[8:9], s[4:5]
	s_andn2_b64 exec, exec, s[4:5]
	s_cbranch_execz .LBB553_142
.LBB553_137:                            ; =>This Loop Header: Depth=1
                                        ;     Child Loop BB553_140 Depth 2
	s_or_b64 s[0:1], s[0:1], exec
	s_cmp_eq_u32 s23, 0
	s_cbranch_scc1 .LBB553_141
; %bb.138:                              ;   in Loop: Header=BB553_137 Depth=1
	s_add_i32 s23, s23, -1
	v_lshl_or_b32 v4, s23, 8, v2
	v_lshlrev_b64 v[8:9], 2, v[4:5]
	v_add_co_u32_e64 v8, s[0:1], s24, v8
	v_addc_co_u32_e64 v9, s[0:1], v3, v9, s[0:1]
	global_load_dword v11, v[8:9], off glc
	s_waitcnt vmcnt(0)
	v_and_b32_e32 v4, -2.0, v11
	v_cmp_eq_u32_e64 s[0:1], 0, v4
	s_and_saveexec_b64 s[8:9], s[0:1]
	s_cbranch_execz .LBB553_136
; %bb.139:                              ;   in Loop: Header=BB553_137 Depth=1
	s_mov_b64 s[16:17], 0
.LBB553_140:                            ;   Parent Loop BB553_137 Depth=1
                                        ; =>  This Inner Loop Header: Depth=2
	global_load_dword v11, v[8:9], off glc
	s_waitcnt vmcnt(0)
	v_and_b32_e32 v4, -2.0, v11
	v_cmp_ne_u32_e64 s[0:1], 0, v4
	s_or_b64 s[16:17], s[0:1], s[16:17]
	s_andn2_b64 exec, exec, s[16:17]
	s_cbranch_execnz .LBB553_140
	s_branch .LBB553_135
.LBB553_141:                            ;   in Loop: Header=BB553_137 Depth=1
                                        ; implicit-def: $sgpr23
	s_and_b64 s[8:9], exec, s[0:1]
	s_or_b64 s[4:5], s[8:9], s[4:5]
	s_andn2_b64 exec, exec, s[4:5]
	s_cbranch_execnz .LBB553_137
.LBB553_142:
	s_or_b64 exec, exec, s[4:5]
	v_add_u32_e32 v3, v10, v17
	v_or_b32_e32 v3, 0x80000000, v3
	global_store_dword v[6:7], v3, off
	v_lshlrev_b32_e32 v6, 3, v2
	global_load_dwordx2 v[4:5], v6, s[12:13]
	v_sub_co_u32_e64 v7, s[0:1], v10, v0
	v_subb_co_u32_e64 v8, s[0:1], 0, v1, s[0:1]
	v_mov_b32_e32 v3, 0
	s_waitcnt vmcnt(0)
	v_add_co_u32_e64 v4, s[0:1], v7, v4
	v_addc_co_u32_e64 v5, s[0:1], v8, v5, s[0:1]
	ds_write_b64 v6, v[4:5]
.LBB553_143:
	s_or_b64 exec, exec, s[2:3]
	v_lshlrev_b32_e32 v4, 1, v2
	s_waitcnt lgkmcnt(0)
	s_barrier
	ds_read_u16 v5, v4 offset:2048
	ds_read_u16 v16, v4 offset:4096
	;; [unrolled: 1-line block ×8, first 2 shown]
	s_waitcnt lgkmcnt(7)
	v_lshrrev_b32_sdwa v6, s20, v5 dst_sel:DWORD dst_unused:UNUSED_PAD src0_sel:DWORD src1_sel:WORD_0
	v_and_b32_e32 v6, s21, v6
	v_lshlrev_b32_e32 v6, 3, v6
	ds_read_b64 v[6:7], v6
	ds_read_u16 v24, v4 offset:18432
	ds_read_u16 v25, v4 offset:20480
	;; [unrolled: 1-line block ×4, first 2 shown]
	s_waitcnt lgkmcnt(4)
	v_lshlrev_b64 v[6:7], 1, v[6:7]
	v_mov_b32_e32 v8, s19
	v_add_co_u32_e64 v9, s[0:1], s18, v6
	v_addc_co_u32_e64 v10, s[0:1], v8, v7, s[0:1]
	v_lshlrev_b64 v[6:7], 1, v[2:3]
	v_add_co_u32_e64 v8, s[0:1], v9, v6
	v_addc_co_u32_e64 v9, s[0:1], v10, v7, s[0:1]
	global_store_short v[8:9], v5, off
	v_lshrrev_b32_sdwa v8, s20, v18 dst_sel:DWORD dst_unused:UNUSED_PAD src0_sel:DWORD src1_sel:WORD_0
	v_and_b32_e32 v8, s21, v8
	v_lshrrev_b32_sdwa v5, s20, v16 dst_sel:DWORD dst_unused:UNUSED_PAD src0_sel:DWORD src1_sel:WORD_0
	v_lshlrev_b32_e32 v10, 3, v8
	v_lshrrev_b32_sdwa v8, s20, v19 dst_sel:DWORD dst_unused:UNUSED_PAD src0_sel:DWORD src1_sel:WORD_0
	v_and_b32_e32 v5, s21, v5
	v_and_b32_e32 v8, s21, v8
	v_lshlrev_b32_e32 v5, 3, v5
	v_lshlrev_b32_e32 v12, 3, v8
	v_lshrrev_b32_sdwa v8, s20, v20 dst_sel:DWORD dst_unused:UNUSED_PAD src0_sel:DWORD src1_sel:WORD_0
	v_and_b32_e32 v11, s21, v8
	ds_read_b64 v[8:9], v5
	v_lshlrev_b32_e32 v5, 3, v11
	ds_read_b64 v[10:11], v10
	ds_read_b64 v[12:13], v12
	;; [unrolled: 1-line block ×3, first 2 shown]
	v_mov_b32_e32 v5, s19
	s_add_i32 s7, s7, -1
	s_waitcnt lgkmcnt(3)
	v_lshlrev_b64 v[8:9], 1, v[8:9]
	v_add_co_u32_e64 v8, s[0:1], s18, v8
	v_addc_co_u32_e64 v5, s[0:1], v5, v9, s[0:1]
	v_add_co_u32_e64 v6, s[0:1], v8, v6
	v_addc_co_u32_e64 v7, s[0:1], v5, v7, s[0:1]
	global_store_short v[6:7], v16, off offset:2048
	s_waitcnt lgkmcnt(2)
	v_lshlrev_b64 v[6:7], 1, v[10:11]
	v_mov_b32_e32 v5, s19
	v_add_co_u32_e64 v6, s[0:1], s18, v6
	v_addc_co_u32_e64 v5, s[0:1], v5, v7, s[0:1]
	v_or_b32_e32 v7, 0x1000, v4
	v_add_co_u32_e64 v6, s[0:1], v6, v7
	v_addc_co_u32_e64 v7, s[0:1], 0, v5, s[0:1]
	global_store_short v[6:7], v18, off
	s_waitcnt lgkmcnt(1)
	v_lshlrev_b64 v[6:7], 1, v[12:13]
	v_mov_b32_e32 v5, s19
	v_add_co_u32_e64 v6, s[0:1], s18, v6
	v_addc_co_u32_e64 v5, s[0:1], v5, v7, s[0:1]
	v_or_b32_e32 v7, 0x1800, v4
	v_add_co_u32_e64 v6, s[0:1], v6, v7
	v_addc_co_u32_e64 v7, s[0:1], 0, v5, s[0:1]
	global_store_short v[6:7], v19, off
	;; [unrolled: 9-line block ×3, first 2 shown]
	v_lshrrev_b32_sdwa v6, s20, v22 dst_sel:DWORD dst_unused:UNUSED_PAD src0_sel:DWORD src1_sel:WORD_0
	v_and_b32_e32 v6, s21, v6
	v_lshrrev_b32_sdwa v5, s20, v21 dst_sel:DWORD dst_unused:UNUSED_PAD src0_sel:DWORD src1_sel:WORD_0
	v_lshlrev_b32_e32 v8, 3, v6
	v_lshrrev_b32_sdwa v6, s20, v23 dst_sel:DWORD dst_unused:UNUSED_PAD src0_sel:DWORD src1_sel:WORD_0
	v_and_b32_e32 v5, s21, v5
	v_and_b32_e32 v6, s21, v6
	v_lshlrev_b32_e32 v5, 3, v5
	v_lshlrev_b32_e32 v10, 3, v6
	v_lshrrev_b32_sdwa v6, s20, v24 dst_sel:DWORD dst_unused:UNUSED_PAD src0_sel:DWORD src1_sel:WORD_0
	v_and_b32_e32 v9, s21, v6
	ds_read_b64 v[6:7], v5
	v_lshlrev_b32_e32 v5, 3, v9
	ds_read_b64 v[8:9], v8
	ds_read_b64 v[10:11], v10
	ds_read_b64 v[12:13], v5
	v_mov_b32_e32 v5, s19
	s_cmp_eq_u32 s7, s6
	s_waitcnt lgkmcnt(3)
	v_lshlrev_b64 v[6:7], 1, v[6:7]
	v_add_co_u32_e64 v6, s[0:1], s18, v6
	v_addc_co_u32_e64 v5, s[0:1], v5, v7, s[0:1]
	v_or_b32_e32 v7, 0x2800, v4
	v_add_co_u32_e64 v6, s[0:1], v6, v7
	v_addc_co_u32_e64 v7, s[0:1], 0, v5, s[0:1]
	global_store_short v[6:7], v21, off
	s_waitcnt lgkmcnt(2)
	v_lshlrev_b64 v[6:7], 1, v[8:9]
	v_mov_b32_e32 v5, s19
	v_add_co_u32_e64 v6, s[0:1], s18, v6
	v_addc_co_u32_e64 v5, s[0:1], v5, v7, s[0:1]
	v_or_b32_e32 v7, 0x3000, v4
	v_add_co_u32_e64 v6, s[0:1], v6, v7
	v_addc_co_u32_e64 v7, s[0:1], 0, v5, s[0:1]
	global_store_short v[6:7], v22, off
	s_waitcnt lgkmcnt(1)
	v_lshlrev_b64 v[6:7], 1, v[10:11]
	v_mov_b32_e32 v5, s19
	v_add_co_u32_e64 v6, s[0:1], s18, v6
	v_addc_co_u32_e64 v5, s[0:1], v5, v7, s[0:1]
	v_or_b32_e32 v7, 0x3800, v4
	v_add_co_u32_e64 v6, s[0:1], v6, v7
	v_addc_co_u32_e64 v7, s[0:1], 0, v5, s[0:1]
	global_store_short v[6:7], v23, off
	s_waitcnt lgkmcnt(0)
	v_lshlrev_b64 v[6:7], 1, v[12:13]
	v_mov_b32_e32 v5, s19
	v_add_co_u32_e64 v6, s[0:1], s18, v6
	v_addc_co_u32_e64 v5, s[0:1], v5, v7, s[0:1]
	v_or_b32_e32 v7, 0x4000, v4
	v_add_co_u32_e64 v6, s[0:1], v6, v7
	v_addc_co_u32_e64 v7, s[0:1], 0, v5, s[0:1]
	v_lshrrev_b32_sdwa v5, s20, v25 dst_sel:DWORD dst_unused:UNUSED_PAD src0_sel:DWORD src1_sel:WORD_0
	global_store_short v[6:7], v24, off
	v_and_b32_e32 v5, s21, v5
	v_lshrrev_b32_sdwa v6, s20, v26 dst_sel:DWORD dst_unused:UNUSED_PAD src0_sel:DWORD src1_sel:WORD_0
	v_lshlrev_b32_e32 v5, 3, v5
	v_and_b32_e32 v6, s21, v6
	v_lshlrev_b32_e32 v8, 3, v6
	ds_read_b64 v[6:7], v5
	v_lshrrev_b32_sdwa v9, s20, v27 dst_sel:DWORD dst_unused:UNUSED_PAD src0_sel:DWORD src1_sel:WORD_0
	v_and_b32_e32 v5, s21, v9
	v_lshlrev_b32_e32 v5, 3, v5
	ds_read_b64 v[8:9], v8
	ds_read_b64 v[10:11], v5
	s_waitcnt lgkmcnt(2)
	v_lshlrev_b64 v[6:7], 1, v[6:7]
	v_mov_b32_e32 v5, s19
	v_add_co_u32_e64 v6, s[0:1], s18, v6
	v_addc_co_u32_e64 v5, s[0:1], v5, v7, s[0:1]
	v_or_b32_e32 v7, 0x4800, v4
	v_add_co_u32_e64 v6, s[0:1], v6, v7
	v_addc_co_u32_e64 v7, s[0:1], 0, v5, s[0:1]
	global_store_short v[6:7], v25, off
	s_waitcnt lgkmcnt(1)
	v_lshlrev_b64 v[6:7], 1, v[8:9]
	v_mov_b32_e32 v5, s19
	v_add_co_u32_e64 v6, s[0:1], s18, v6
	v_addc_co_u32_e64 v5, s[0:1], v5, v7, s[0:1]
	v_or_b32_e32 v7, 0x5000, v4
	v_add_co_u32_e64 v6, s[0:1], v6, v7
	v_addc_co_u32_e64 v7, s[0:1], 0, v5, s[0:1]
	global_store_short v[6:7], v26, off
	s_waitcnt lgkmcnt(0)
	v_lshlrev_b64 v[6:7], 1, v[10:11]
	v_mov_b32_e32 v5, s19
	v_add_co_u32_e64 v6, s[0:1], s18, v6
	v_addc_co_u32_e64 v5, s[0:1], v5, v7, s[0:1]
	v_or_b32_e32 v4, 0x5800, v4
	v_add_co_u32_e64 v4, s[0:1], v6, v4
	v_addc_co_u32_e64 v5, s[0:1], 0, v5, s[0:1]
	s_cselect_b64 s[0:1], -1, 0
	s_and_b64 s[2:3], vcc, s[0:1]
	global_store_short v[4:5], v27, off
                                        ; implicit-def: $vgpr6_vgpr7
	s_and_saveexec_b64 s[0:1], s[2:3]
; %bb.144:
	v_add_co_u32_e32 v6, vcc, v0, v17
	v_addc_co_u32_e32 v7, vcc, 0, v1, vcc
	s_or_b64 s[10:11], s[10:11], exec
; %bb.145:
	s_or_b64 exec, exec, s[0:1]
.LBB553_146:
	s_and_saveexec_b64 s[0:1], s[10:11]
	s_cbranch_execnz .LBB553_148
; %bb.147:
	s_endpgm
.LBB553_148:
	v_lshlrev_b32_e32 v4, 3, v2
	v_lshlrev_b64 v[0:1], 3, v[2:3]
	ds_read_b64 v[2:3], v4
	v_mov_b32_e32 v5, s15
	v_add_co_u32_e32 v0, vcc, s14, v0
	v_addc_co_u32_e32 v1, vcc, v5, v1, vcc
	s_waitcnt lgkmcnt(0)
	v_add_co_u32_e32 v2, vcc, v2, v6
	v_addc_co_u32_e32 v3, vcc, v3, v7, vcc
	global_store_dwordx2 v[0:1], v[2:3], off
	s_endpgm
	.section	.rodata,"a",@progbits
	.p2align	6, 0x0
	.amdhsa_kernel _ZN7rocprim17ROCPRIM_400000_NS6detail17trampoline_kernelINS0_14default_configENS1_35radix_sort_onesweep_config_selectorItNS0_10empty_typeEEEZZNS1_29radix_sort_onesweep_iterationIS3_Lb0EPtS8_PS5_S9_mNS0_19identity_decomposerENS1_16block_id_wrapperIjLb0EEEEE10hipError_tT1_PNSt15iterator_traitsISE_E10value_typeET2_T3_PNSF_ISK_E10value_typeET4_T5_PSP_SQ_PNS1_23onesweep_lookback_stateEbbT6_jjT7_P12ihipStream_tbENKUlT_T0_SE_SJ_E_clIS8_S8_S9_S9_EEDaSX_SY_SE_SJ_EUlSX_E_NS1_11comp_targetILNS1_3genE4ELNS1_11target_archE910ELNS1_3gpuE8ELNS1_3repE0EEENS1_47radix_sort_onesweep_sort_config_static_selectorELNS0_4arch9wavefront6targetE1EEEvSE_
		.amdhsa_group_segment_fixed_size 26632
		.amdhsa_private_segment_fixed_size 0
		.amdhsa_kernarg_size 344
		.amdhsa_user_sgpr_count 6
		.amdhsa_user_sgpr_private_segment_buffer 1
		.amdhsa_user_sgpr_dispatch_ptr 0
		.amdhsa_user_sgpr_queue_ptr 0
		.amdhsa_user_sgpr_kernarg_segment_ptr 1
		.amdhsa_user_sgpr_dispatch_id 0
		.amdhsa_user_sgpr_flat_scratch_init 0
		.amdhsa_user_sgpr_kernarg_preload_length 0
		.amdhsa_user_sgpr_kernarg_preload_offset 0
		.amdhsa_user_sgpr_private_segment_size 0
		.amdhsa_uses_dynamic_stack 0
		.amdhsa_system_sgpr_private_segment_wavefront_offset 0
		.amdhsa_system_sgpr_workgroup_id_x 1
		.amdhsa_system_sgpr_workgroup_id_y 0
		.amdhsa_system_sgpr_workgroup_id_z 0
		.amdhsa_system_sgpr_workgroup_info 0
		.amdhsa_system_vgpr_workitem_id 2
		.amdhsa_next_free_vgpr 62
		.amdhsa_next_free_sgpr 31
		.amdhsa_accum_offset 64
		.amdhsa_reserve_vcc 1
		.amdhsa_reserve_flat_scratch 0
		.amdhsa_float_round_mode_32 0
		.amdhsa_float_round_mode_16_64 0
		.amdhsa_float_denorm_mode_32 3
		.amdhsa_float_denorm_mode_16_64 3
		.amdhsa_dx10_clamp 1
		.amdhsa_ieee_mode 1
		.amdhsa_fp16_overflow 0
		.amdhsa_tg_split 0
		.amdhsa_exception_fp_ieee_invalid_op 0
		.amdhsa_exception_fp_denorm_src 0
		.amdhsa_exception_fp_ieee_div_zero 0
		.amdhsa_exception_fp_ieee_overflow 0
		.amdhsa_exception_fp_ieee_underflow 0
		.amdhsa_exception_fp_ieee_inexact 0
		.amdhsa_exception_int_div_zero 0
	.end_amdhsa_kernel
	.section	.text._ZN7rocprim17ROCPRIM_400000_NS6detail17trampoline_kernelINS0_14default_configENS1_35radix_sort_onesweep_config_selectorItNS0_10empty_typeEEEZZNS1_29radix_sort_onesweep_iterationIS3_Lb0EPtS8_PS5_S9_mNS0_19identity_decomposerENS1_16block_id_wrapperIjLb0EEEEE10hipError_tT1_PNSt15iterator_traitsISE_E10value_typeET2_T3_PNSF_ISK_E10value_typeET4_T5_PSP_SQ_PNS1_23onesweep_lookback_stateEbbT6_jjT7_P12ihipStream_tbENKUlT_T0_SE_SJ_E_clIS8_S8_S9_S9_EEDaSX_SY_SE_SJ_EUlSX_E_NS1_11comp_targetILNS1_3genE4ELNS1_11target_archE910ELNS1_3gpuE8ELNS1_3repE0EEENS1_47radix_sort_onesweep_sort_config_static_selectorELNS0_4arch9wavefront6targetE1EEEvSE_,"axG",@progbits,_ZN7rocprim17ROCPRIM_400000_NS6detail17trampoline_kernelINS0_14default_configENS1_35radix_sort_onesweep_config_selectorItNS0_10empty_typeEEEZZNS1_29radix_sort_onesweep_iterationIS3_Lb0EPtS8_PS5_S9_mNS0_19identity_decomposerENS1_16block_id_wrapperIjLb0EEEEE10hipError_tT1_PNSt15iterator_traitsISE_E10value_typeET2_T3_PNSF_ISK_E10value_typeET4_T5_PSP_SQ_PNS1_23onesweep_lookback_stateEbbT6_jjT7_P12ihipStream_tbENKUlT_T0_SE_SJ_E_clIS8_S8_S9_S9_EEDaSX_SY_SE_SJ_EUlSX_E_NS1_11comp_targetILNS1_3genE4ELNS1_11target_archE910ELNS1_3gpuE8ELNS1_3repE0EEENS1_47radix_sort_onesweep_sort_config_static_selectorELNS0_4arch9wavefront6targetE1EEEvSE_,comdat
.Lfunc_end553:
	.size	_ZN7rocprim17ROCPRIM_400000_NS6detail17trampoline_kernelINS0_14default_configENS1_35radix_sort_onesweep_config_selectorItNS0_10empty_typeEEEZZNS1_29radix_sort_onesweep_iterationIS3_Lb0EPtS8_PS5_S9_mNS0_19identity_decomposerENS1_16block_id_wrapperIjLb0EEEEE10hipError_tT1_PNSt15iterator_traitsISE_E10value_typeET2_T3_PNSF_ISK_E10value_typeET4_T5_PSP_SQ_PNS1_23onesweep_lookback_stateEbbT6_jjT7_P12ihipStream_tbENKUlT_T0_SE_SJ_E_clIS8_S8_S9_S9_EEDaSX_SY_SE_SJ_EUlSX_E_NS1_11comp_targetILNS1_3genE4ELNS1_11target_archE910ELNS1_3gpuE8ELNS1_3repE0EEENS1_47radix_sort_onesweep_sort_config_static_selectorELNS0_4arch9wavefront6targetE1EEEvSE_, .Lfunc_end553-_ZN7rocprim17ROCPRIM_400000_NS6detail17trampoline_kernelINS0_14default_configENS1_35radix_sort_onesweep_config_selectorItNS0_10empty_typeEEEZZNS1_29radix_sort_onesweep_iterationIS3_Lb0EPtS8_PS5_S9_mNS0_19identity_decomposerENS1_16block_id_wrapperIjLb0EEEEE10hipError_tT1_PNSt15iterator_traitsISE_E10value_typeET2_T3_PNSF_ISK_E10value_typeET4_T5_PSP_SQ_PNS1_23onesweep_lookback_stateEbbT6_jjT7_P12ihipStream_tbENKUlT_T0_SE_SJ_E_clIS8_S8_S9_S9_EEDaSX_SY_SE_SJ_EUlSX_E_NS1_11comp_targetILNS1_3genE4ELNS1_11target_archE910ELNS1_3gpuE8ELNS1_3repE0EEENS1_47radix_sort_onesweep_sort_config_static_selectorELNS0_4arch9wavefront6targetE1EEEvSE_
                                        ; -- End function
	.section	.AMDGPU.csdata,"",@progbits
; Kernel info:
; codeLenInByte = 15556
; NumSgprs: 35
; NumVgprs: 62
; NumAgprs: 0
; TotalNumVgprs: 62
; ScratchSize: 0
; MemoryBound: 0
; FloatMode: 240
; IeeeMode: 1
; LDSByteSize: 26632 bytes/workgroup (compile time only)
; SGPRBlocks: 4
; VGPRBlocks: 7
; NumSGPRsForWavesPerEU: 35
; NumVGPRsForWavesPerEU: 62
; AccumOffset: 64
; Occupancy: 8
; WaveLimiterHint : 1
; COMPUTE_PGM_RSRC2:SCRATCH_EN: 0
; COMPUTE_PGM_RSRC2:USER_SGPR: 6
; COMPUTE_PGM_RSRC2:TRAP_HANDLER: 0
; COMPUTE_PGM_RSRC2:TGID_X_EN: 1
; COMPUTE_PGM_RSRC2:TGID_Y_EN: 0
; COMPUTE_PGM_RSRC2:TGID_Z_EN: 0
; COMPUTE_PGM_RSRC2:TIDIG_COMP_CNT: 2
; COMPUTE_PGM_RSRC3_GFX90A:ACCUM_OFFSET: 15
; COMPUTE_PGM_RSRC3_GFX90A:TG_SPLIT: 0
	.section	.text._ZN7rocprim17ROCPRIM_400000_NS6detail17trampoline_kernelINS0_14default_configENS1_35radix_sort_onesweep_config_selectorItNS0_10empty_typeEEEZZNS1_29radix_sort_onesweep_iterationIS3_Lb0EPtS8_PS5_S9_mNS0_19identity_decomposerENS1_16block_id_wrapperIjLb0EEEEE10hipError_tT1_PNSt15iterator_traitsISE_E10value_typeET2_T3_PNSF_ISK_E10value_typeET4_T5_PSP_SQ_PNS1_23onesweep_lookback_stateEbbT6_jjT7_P12ihipStream_tbENKUlT_T0_SE_SJ_E_clIS8_S8_S9_S9_EEDaSX_SY_SE_SJ_EUlSX_E_NS1_11comp_targetILNS1_3genE3ELNS1_11target_archE908ELNS1_3gpuE7ELNS1_3repE0EEENS1_47radix_sort_onesweep_sort_config_static_selectorELNS0_4arch9wavefront6targetE1EEEvSE_,"axG",@progbits,_ZN7rocprim17ROCPRIM_400000_NS6detail17trampoline_kernelINS0_14default_configENS1_35radix_sort_onesweep_config_selectorItNS0_10empty_typeEEEZZNS1_29radix_sort_onesweep_iterationIS3_Lb0EPtS8_PS5_S9_mNS0_19identity_decomposerENS1_16block_id_wrapperIjLb0EEEEE10hipError_tT1_PNSt15iterator_traitsISE_E10value_typeET2_T3_PNSF_ISK_E10value_typeET4_T5_PSP_SQ_PNS1_23onesweep_lookback_stateEbbT6_jjT7_P12ihipStream_tbENKUlT_T0_SE_SJ_E_clIS8_S8_S9_S9_EEDaSX_SY_SE_SJ_EUlSX_E_NS1_11comp_targetILNS1_3genE3ELNS1_11target_archE908ELNS1_3gpuE7ELNS1_3repE0EEENS1_47radix_sort_onesweep_sort_config_static_selectorELNS0_4arch9wavefront6targetE1EEEvSE_,comdat
	.protected	_ZN7rocprim17ROCPRIM_400000_NS6detail17trampoline_kernelINS0_14default_configENS1_35radix_sort_onesweep_config_selectorItNS0_10empty_typeEEEZZNS1_29radix_sort_onesweep_iterationIS3_Lb0EPtS8_PS5_S9_mNS0_19identity_decomposerENS1_16block_id_wrapperIjLb0EEEEE10hipError_tT1_PNSt15iterator_traitsISE_E10value_typeET2_T3_PNSF_ISK_E10value_typeET4_T5_PSP_SQ_PNS1_23onesweep_lookback_stateEbbT6_jjT7_P12ihipStream_tbENKUlT_T0_SE_SJ_E_clIS8_S8_S9_S9_EEDaSX_SY_SE_SJ_EUlSX_E_NS1_11comp_targetILNS1_3genE3ELNS1_11target_archE908ELNS1_3gpuE7ELNS1_3repE0EEENS1_47radix_sort_onesweep_sort_config_static_selectorELNS0_4arch9wavefront6targetE1EEEvSE_ ; -- Begin function _ZN7rocprim17ROCPRIM_400000_NS6detail17trampoline_kernelINS0_14default_configENS1_35radix_sort_onesweep_config_selectorItNS0_10empty_typeEEEZZNS1_29radix_sort_onesweep_iterationIS3_Lb0EPtS8_PS5_S9_mNS0_19identity_decomposerENS1_16block_id_wrapperIjLb0EEEEE10hipError_tT1_PNSt15iterator_traitsISE_E10value_typeET2_T3_PNSF_ISK_E10value_typeET4_T5_PSP_SQ_PNS1_23onesweep_lookback_stateEbbT6_jjT7_P12ihipStream_tbENKUlT_T0_SE_SJ_E_clIS8_S8_S9_S9_EEDaSX_SY_SE_SJ_EUlSX_E_NS1_11comp_targetILNS1_3genE3ELNS1_11target_archE908ELNS1_3gpuE7ELNS1_3repE0EEENS1_47radix_sort_onesweep_sort_config_static_selectorELNS0_4arch9wavefront6targetE1EEEvSE_
	.globl	_ZN7rocprim17ROCPRIM_400000_NS6detail17trampoline_kernelINS0_14default_configENS1_35radix_sort_onesweep_config_selectorItNS0_10empty_typeEEEZZNS1_29radix_sort_onesweep_iterationIS3_Lb0EPtS8_PS5_S9_mNS0_19identity_decomposerENS1_16block_id_wrapperIjLb0EEEEE10hipError_tT1_PNSt15iterator_traitsISE_E10value_typeET2_T3_PNSF_ISK_E10value_typeET4_T5_PSP_SQ_PNS1_23onesweep_lookback_stateEbbT6_jjT7_P12ihipStream_tbENKUlT_T0_SE_SJ_E_clIS8_S8_S9_S9_EEDaSX_SY_SE_SJ_EUlSX_E_NS1_11comp_targetILNS1_3genE3ELNS1_11target_archE908ELNS1_3gpuE7ELNS1_3repE0EEENS1_47radix_sort_onesweep_sort_config_static_selectorELNS0_4arch9wavefront6targetE1EEEvSE_
	.p2align	8
	.type	_ZN7rocprim17ROCPRIM_400000_NS6detail17trampoline_kernelINS0_14default_configENS1_35radix_sort_onesweep_config_selectorItNS0_10empty_typeEEEZZNS1_29radix_sort_onesweep_iterationIS3_Lb0EPtS8_PS5_S9_mNS0_19identity_decomposerENS1_16block_id_wrapperIjLb0EEEEE10hipError_tT1_PNSt15iterator_traitsISE_E10value_typeET2_T3_PNSF_ISK_E10value_typeET4_T5_PSP_SQ_PNS1_23onesweep_lookback_stateEbbT6_jjT7_P12ihipStream_tbENKUlT_T0_SE_SJ_E_clIS8_S8_S9_S9_EEDaSX_SY_SE_SJ_EUlSX_E_NS1_11comp_targetILNS1_3genE3ELNS1_11target_archE908ELNS1_3gpuE7ELNS1_3repE0EEENS1_47radix_sort_onesweep_sort_config_static_selectorELNS0_4arch9wavefront6targetE1EEEvSE_,@function
_ZN7rocprim17ROCPRIM_400000_NS6detail17trampoline_kernelINS0_14default_configENS1_35radix_sort_onesweep_config_selectorItNS0_10empty_typeEEEZZNS1_29radix_sort_onesweep_iterationIS3_Lb0EPtS8_PS5_S9_mNS0_19identity_decomposerENS1_16block_id_wrapperIjLb0EEEEE10hipError_tT1_PNSt15iterator_traitsISE_E10value_typeET2_T3_PNSF_ISK_E10value_typeET4_T5_PSP_SQ_PNS1_23onesweep_lookback_stateEbbT6_jjT7_P12ihipStream_tbENKUlT_T0_SE_SJ_E_clIS8_S8_S9_S9_EEDaSX_SY_SE_SJ_EUlSX_E_NS1_11comp_targetILNS1_3genE3ELNS1_11target_archE908ELNS1_3gpuE7ELNS1_3repE0EEENS1_47radix_sort_onesweep_sort_config_static_selectorELNS0_4arch9wavefront6targetE1EEEvSE_: ; @_ZN7rocprim17ROCPRIM_400000_NS6detail17trampoline_kernelINS0_14default_configENS1_35radix_sort_onesweep_config_selectorItNS0_10empty_typeEEEZZNS1_29radix_sort_onesweep_iterationIS3_Lb0EPtS8_PS5_S9_mNS0_19identity_decomposerENS1_16block_id_wrapperIjLb0EEEEE10hipError_tT1_PNSt15iterator_traitsISE_E10value_typeET2_T3_PNSF_ISK_E10value_typeET4_T5_PSP_SQ_PNS1_23onesweep_lookback_stateEbbT6_jjT7_P12ihipStream_tbENKUlT_T0_SE_SJ_E_clIS8_S8_S9_S9_EEDaSX_SY_SE_SJ_EUlSX_E_NS1_11comp_targetILNS1_3genE3ELNS1_11target_archE908ELNS1_3gpuE7ELNS1_3repE0EEENS1_47radix_sort_onesweep_sort_config_static_selectorELNS0_4arch9wavefront6targetE1EEEvSE_
; %bb.0:
	.section	.rodata,"a",@progbits
	.p2align	6, 0x0
	.amdhsa_kernel _ZN7rocprim17ROCPRIM_400000_NS6detail17trampoline_kernelINS0_14default_configENS1_35radix_sort_onesweep_config_selectorItNS0_10empty_typeEEEZZNS1_29radix_sort_onesweep_iterationIS3_Lb0EPtS8_PS5_S9_mNS0_19identity_decomposerENS1_16block_id_wrapperIjLb0EEEEE10hipError_tT1_PNSt15iterator_traitsISE_E10value_typeET2_T3_PNSF_ISK_E10value_typeET4_T5_PSP_SQ_PNS1_23onesweep_lookback_stateEbbT6_jjT7_P12ihipStream_tbENKUlT_T0_SE_SJ_E_clIS8_S8_S9_S9_EEDaSX_SY_SE_SJ_EUlSX_E_NS1_11comp_targetILNS1_3genE3ELNS1_11target_archE908ELNS1_3gpuE7ELNS1_3repE0EEENS1_47radix_sort_onesweep_sort_config_static_selectorELNS0_4arch9wavefront6targetE1EEEvSE_
		.amdhsa_group_segment_fixed_size 0
		.amdhsa_private_segment_fixed_size 0
		.amdhsa_kernarg_size 88
		.amdhsa_user_sgpr_count 6
		.amdhsa_user_sgpr_private_segment_buffer 1
		.amdhsa_user_sgpr_dispatch_ptr 0
		.amdhsa_user_sgpr_queue_ptr 0
		.amdhsa_user_sgpr_kernarg_segment_ptr 1
		.amdhsa_user_sgpr_dispatch_id 0
		.amdhsa_user_sgpr_flat_scratch_init 0
		.amdhsa_user_sgpr_kernarg_preload_length 0
		.amdhsa_user_sgpr_kernarg_preload_offset 0
		.amdhsa_user_sgpr_private_segment_size 0
		.amdhsa_uses_dynamic_stack 0
		.amdhsa_system_sgpr_private_segment_wavefront_offset 0
		.amdhsa_system_sgpr_workgroup_id_x 1
		.amdhsa_system_sgpr_workgroup_id_y 0
		.amdhsa_system_sgpr_workgroup_id_z 0
		.amdhsa_system_sgpr_workgroup_info 0
		.amdhsa_system_vgpr_workitem_id 0
		.amdhsa_next_free_vgpr 1
		.amdhsa_next_free_sgpr 0
		.amdhsa_accum_offset 4
		.amdhsa_reserve_vcc 0
		.amdhsa_reserve_flat_scratch 0
		.amdhsa_float_round_mode_32 0
		.amdhsa_float_round_mode_16_64 0
		.amdhsa_float_denorm_mode_32 3
		.amdhsa_float_denorm_mode_16_64 3
		.amdhsa_dx10_clamp 1
		.amdhsa_ieee_mode 1
		.amdhsa_fp16_overflow 0
		.amdhsa_tg_split 0
		.amdhsa_exception_fp_ieee_invalid_op 0
		.amdhsa_exception_fp_denorm_src 0
		.amdhsa_exception_fp_ieee_div_zero 0
		.amdhsa_exception_fp_ieee_overflow 0
		.amdhsa_exception_fp_ieee_underflow 0
		.amdhsa_exception_fp_ieee_inexact 0
		.amdhsa_exception_int_div_zero 0
	.end_amdhsa_kernel
	.section	.text._ZN7rocprim17ROCPRIM_400000_NS6detail17trampoline_kernelINS0_14default_configENS1_35radix_sort_onesweep_config_selectorItNS0_10empty_typeEEEZZNS1_29radix_sort_onesweep_iterationIS3_Lb0EPtS8_PS5_S9_mNS0_19identity_decomposerENS1_16block_id_wrapperIjLb0EEEEE10hipError_tT1_PNSt15iterator_traitsISE_E10value_typeET2_T3_PNSF_ISK_E10value_typeET4_T5_PSP_SQ_PNS1_23onesweep_lookback_stateEbbT6_jjT7_P12ihipStream_tbENKUlT_T0_SE_SJ_E_clIS8_S8_S9_S9_EEDaSX_SY_SE_SJ_EUlSX_E_NS1_11comp_targetILNS1_3genE3ELNS1_11target_archE908ELNS1_3gpuE7ELNS1_3repE0EEENS1_47radix_sort_onesweep_sort_config_static_selectorELNS0_4arch9wavefront6targetE1EEEvSE_,"axG",@progbits,_ZN7rocprim17ROCPRIM_400000_NS6detail17trampoline_kernelINS0_14default_configENS1_35radix_sort_onesweep_config_selectorItNS0_10empty_typeEEEZZNS1_29radix_sort_onesweep_iterationIS3_Lb0EPtS8_PS5_S9_mNS0_19identity_decomposerENS1_16block_id_wrapperIjLb0EEEEE10hipError_tT1_PNSt15iterator_traitsISE_E10value_typeET2_T3_PNSF_ISK_E10value_typeET4_T5_PSP_SQ_PNS1_23onesweep_lookback_stateEbbT6_jjT7_P12ihipStream_tbENKUlT_T0_SE_SJ_E_clIS8_S8_S9_S9_EEDaSX_SY_SE_SJ_EUlSX_E_NS1_11comp_targetILNS1_3genE3ELNS1_11target_archE908ELNS1_3gpuE7ELNS1_3repE0EEENS1_47radix_sort_onesweep_sort_config_static_selectorELNS0_4arch9wavefront6targetE1EEEvSE_,comdat
.Lfunc_end554:
	.size	_ZN7rocprim17ROCPRIM_400000_NS6detail17trampoline_kernelINS0_14default_configENS1_35radix_sort_onesweep_config_selectorItNS0_10empty_typeEEEZZNS1_29radix_sort_onesweep_iterationIS3_Lb0EPtS8_PS5_S9_mNS0_19identity_decomposerENS1_16block_id_wrapperIjLb0EEEEE10hipError_tT1_PNSt15iterator_traitsISE_E10value_typeET2_T3_PNSF_ISK_E10value_typeET4_T5_PSP_SQ_PNS1_23onesweep_lookback_stateEbbT6_jjT7_P12ihipStream_tbENKUlT_T0_SE_SJ_E_clIS8_S8_S9_S9_EEDaSX_SY_SE_SJ_EUlSX_E_NS1_11comp_targetILNS1_3genE3ELNS1_11target_archE908ELNS1_3gpuE7ELNS1_3repE0EEENS1_47radix_sort_onesweep_sort_config_static_selectorELNS0_4arch9wavefront6targetE1EEEvSE_, .Lfunc_end554-_ZN7rocprim17ROCPRIM_400000_NS6detail17trampoline_kernelINS0_14default_configENS1_35radix_sort_onesweep_config_selectorItNS0_10empty_typeEEEZZNS1_29radix_sort_onesweep_iterationIS3_Lb0EPtS8_PS5_S9_mNS0_19identity_decomposerENS1_16block_id_wrapperIjLb0EEEEE10hipError_tT1_PNSt15iterator_traitsISE_E10value_typeET2_T3_PNSF_ISK_E10value_typeET4_T5_PSP_SQ_PNS1_23onesweep_lookback_stateEbbT6_jjT7_P12ihipStream_tbENKUlT_T0_SE_SJ_E_clIS8_S8_S9_S9_EEDaSX_SY_SE_SJ_EUlSX_E_NS1_11comp_targetILNS1_3genE3ELNS1_11target_archE908ELNS1_3gpuE7ELNS1_3repE0EEENS1_47radix_sort_onesweep_sort_config_static_selectorELNS0_4arch9wavefront6targetE1EEEvSE_
                                        ; -- End function
	.section	.AMDGPU.csdata,"",@progbits
; Kernel info:
; codeLenInByte = 0
; NumSgprs: 4
; NumVgprs: 0
; NumAgprs: 0
; TotalNumVgprs: 0
; ScratchSize: 0
; MemoryBound: 0
; FloatMode: 240
; IeeeMode: 1
; LDSByteSize: 0 bytes/workgroup (compile time only)
; SGPRBlocks: 0
; VGPRBlocks: 0
; NumSGPRsForWavesPerEU: 4
; NumVGPRsForWavesPerEU: 1
; AccumOffset: 4
; Occupancy: 8
; WaveLimiterHint : 0
; COMPUTE_PGM_RSRC2:SCRATCH_EN: 0
; COMPUTE_PGM_RSRC2:USER_SGPR: 6
; COMPUTE_PGM_RSRC2:TRAP_HANDLER: 0
; COMPUTE_PGM_RSRC2:TGID_X_EN: 1
; COMPUTE_PGM_RSRC2:TGID_Y_EN: 0
; COMPUTE_PGM_RSRC2:TGID_Z_EN: 0
; COMPUTE_PGM_RSRC2:TIDIG_COMP_CNT: 0
; COMPUTE_PGM_RSRC3_GFX90A:ACCUM_OFFSET: 0
; COMPUTE_PGM_RSRC3_GFX90A:TG_SPLIT: 0
	.section	.text._ZN7rocprim17ROCPRIM_400000_NS6detail17trampoline_kernelINS0_14default_configENS1_35radix_sort_onesweep_config_selectorItNS0_10empty_typeEEEZZNS1_29radix_sort_onesweep_iterationIS3_Lb0EPtS8_PS5_S9_mNS0_19identity_decomposerENS1_16block_id_wrapperIjLb0EEEEE10hipError_tT1_PNSt15iterator_traitsISE_E10value_typeET2_T3_PNSF_ISK_E10value_typeET4_T5_PSP_SQ_PNS1_23onesweep_lookback_stateEbbT6_jjT7_P12ihipStream_tbENKUlT_T0_SE_SJ_E_clIS8_S8_S9_S9_EEDaSX_SY_SE_SJ_EUlSX_E_NS1_11comp_targetILNS1_3genE10ELNS1_11target_archE1201ELNS1_3gpuE5ELNS1_3repE0EEENS1_47radix_sort_onesweep_sort_config_static_selectorELNS0_4arch9wavefront6targetE1EEEvSE_,"axG",@progbits,_ZN7rocprim17ROCPRIM_400000_NS6detail17trampoline_kernelINS0_14default_configENS1_35radix_sort_onesweep_config_selectorItNS0_10empty_typeEEEZZNS1_29radix_sort_onesweep_iterationIS3_Lb0EPtS8_PS5_S9_mNS0_19identity_decomposerENS1_16block_id_wrapperIjLb0EEEEE10hipError_tT1_PNSt15iterator_traitsISE_E10value_typeET2_T3_PNSF_ISK_E10value_typeET4_T5_PSP_SQ_PNS1_23onesweep_lookback_stateEbbT6_jjT7_P12ihipStream_tbENKUlT_T0_SE_SJ_E_clIS8_S8_S9_S9_EEDaSX_SY_SE_SJ_EUlSX_E_NS1_11comp_targetILNS1_3genE10ELNS1_11target_archE1201ELNS1_3gpuE5ELNS1_3repE0EEENS1_47radix_sort_onesweep_sort_config_static_selectorELNS0_4arch9wavefront6targetE1EEEvSE_,comdat
	.protected	_ZN7rocprim17ROCPRIM_400000_NS6detail17trampoline_kernelINS0_14default_configENS1_35radix_sort_onesweep_config_selectorItNS0_10empty_typeEEEZZNS1_29radix_sort_onesweep_iterationIS3_Lb0EPtS8_PS5_S9_mNS0_19identity_decomposerENS1_16block_id_wrapperIjLb0EEEEE10hipError_tT1_PNSt15iterator_traitsISE_E10value_typeET2_T3_PNSF_ISK_E10value_typeET4_T5_PSP_SQ_PNS1_23onesweep_lookback_stateEbbT6_jjT7_P12ihipStream_tbENKUlT_T0_SE_SJ_E_clIS8_S8_S9_S9_EEDaSX_SY_SE_SJ_EUlSX_E_NS1_11comp_targetILNS1_3genE10ELNS1_11target_archE1201ELNS1_3gpuE5ELNS1_3repE0EEENS1_47radix_sort_onesweep_sort_config_static_selectorELNS0_4arch9wavefront6targetE1EEEvSE_ ; -- Begin function _ZN7rocprim17ROCPRIM_400000_NS6detail17trampoline_kernelINS0_14default_configENS1_35radix_sort_onesweep_config_selectorItNS0_10empty_typeEEEZZNS1_29radix_sort_onesweep_iterationIS3_Lb0EPtS8_PS5_S9_mNS0_19identity_decomposerENS1_16block_id_wrapperIjLb0EEEEE10hipError_tT1_PNSt15iterator_traitsISE_E10value_typeET2_T3_PNSF_ISK_E10value_typeET4_T5_PSP_SQ_PNS1_23onesweep_lookback_stateEbbT6_jjT7_P12ihipStream_tbENKUlT_T0_SE_SJ_E_clIS8_S8_S9_S9_EEDaSX_SY_SE_SJ_EUlSX_E_NS1_11comp_targetILNS1_3genE10ELNS1_11target_archE1201ELNS1_3gpuE5ELNS1_3repE0EEENS1_47radix_sort_onesweep_sort_config_static_selectorELNS0_4arch9wavefront6targetE1EEEvSE_
	.globl	_ZN7rocprim17ROCPRIM_400000_NS6detail17trampoline_kernelINS0_14default_configENS1_35radix_sort_onesweep_config_selectorItNS0_10empty_typeEEEZZNS1_29radix_sort_onesweep_iterationIS3_Lb0EPtS8_PS5_S9_mNS0_19identity_decomposerENS1_16block_id_wrapperIjLb0EEEEE10hipError_tT1_PNSt15iterator_traitsISE_E10value_typeET2_T3_PNSF_ISK_E10value_typeET4_T5_PSP_SQ_PNS1_23onesweep_lookback_stateEbbT6_jjT7_P12ihipStream_tbENKUlT_T0_SE_SJ_E_clIS8_S8_S9_S9_EEDaSX_SY_SE_SJ_EUlSX_E_NS1_11comp_targetILNS1_3genE10ELNS1_11target_archE1201ELNS1_3gpuE5ELNS1_3repE0EEENS1_47radix_sort_onesweep_sort_config_static_selectorELNS0_4arch9wavefront6targetE1EEEvSE_
	.p2align	8
	.type	_ZN7rocprim17ROCPRIM_400000_NS6detail17trampoline_kernelINS0_14default_configENS1_35radix_sort_onesweep_config_selectorItNS0_10empty_typeEEEZZNS1_29radix_sort_onesweep_iterationIS3_Lb0EPtS8_PS5_S9_mNS0_19identity_decomposerENS1_16block_id_wrapperIjLb0EEEEE10hipError_tT1_PNSt15iterator_traitsISE_E10value_typeET2_T3_PNSF_ISK_E10value_typeET4_T5_PSP_SQ_PNS1_23onesweep_lookback_stateEbbT6_jjT7_P12ihipStream_tbENKUlT_T0_SE_SJ_E_clIS8_S8_S9_S9_EEDaSX_SY_SE_SJ_EUlSX_E_NS1_11comp_targetILNS1_3genE10ELNS1_11target_archE1201ELNS1_3gpuE5ELNS1_3repE0EEENS1_47radix_sort_onesweep_sort_config_static_selectorELNS0_4arch9wavefront6targetE1EEEvSE_,@function
_ZN7rocprim17ROCPRIM_400000_NS6detail17trampoline_kernelINS0_14default_configENS1_35radix_sort_onesweep_config_selectorItNS0_10empty_typeEEEZZNS1_29radix_sort_onesweep_iterationIS3_Lb0EPtS8_PS5_S9_mNS0_19identity_decomposerENS1_16block_id_wrapperIjLb0EEEEE10hipError_tT1_PNSt15iterator_traitsISE_E10value_typeET2_T3_PNSF_ISK_E10value_typeET4_T5_PSP_SQ_PNS1_23onesweep_lookback_stateEbbT6_jjT7_P12ihipStream_tbENKUlT_T0_SE_SJ_E_clIS8_S8_S9_S9_EEDaSX_SY_SE_SJ_EUlSX_E_NS1_11comp_targetILNS1_3genE10ELNS1_11target_archE1201ELNS1_3gpuE5ELNS1_3repE0EEENS1_47radix_sort_onesweep_sort_config_static_selectorELNS0_4arch9wavefront6targetE1EEEvSE_: ; @_ZN7rocprim17ROCPRIM_400000_NS6detail17trampoline_kernelINS0_14default_configENS1_35radix_sort_onesweep_config_selectorItNS0_10empty_typeEEEZZNS1_29radix_sort_onesweep_iterationIS3_Lb0EPtS8_PS5_S9_mNS0_19identity_decomposerENS1_16block_id_wrapperIjLb0EEEEE10hipError_tT1_PNSt15iterator_traitsISE_E10value_typeET2_T3_PNSF_ISK_E10value_typeET4_T5_PSP_SQ_PNS1_23onesweep_lookback_stateEbbT6_jjT7_P12ihipStream_tbENKUlT_T0_SE_SJ_E_clIS8_S8_S9_S9_EEDaSX_SY_SE_SJ_EUlSX_E_NS1_11comp_targetILNS1_3genE10ELNS1_11target_archE1201ELNS1_3gpuE5ELNS1_3repE0EEENS1_47radix_sort_onesweep_sort_config_static_selectorELNS0_4arch9wavefront6targetE1EEEvSE_
; %bb.0:
	.section	.rodata,"a",@progbits
	.p2align	6, 0x0
	.amdhsa_kernel _ZN7rocprim17ROCPRIM_400000_NS6detail17trampoline_kernelINS0_14default_configENS1_35radix_sort_onesweep_config_selectorItNS0_10empty_typeEEEZZNS1_29radix_sort_onesweep_iterationIS3_Lb0EPtS8_PS5_S9_mNS0_19identity_decomposerENS1_16block_id_wrapperIjLb0EEEEE10hipError_tT1_PNSt15iterator_traitsISE_E10value_typeET2_T3_PNSF_ISK_E10value_typeET4_T5_PSP_SQ_PNS1_23onesweep_lookback_stateEbbT6_jjT7_P12ihipStream_tbENKUlT_T0_SE_SJ_E_clIS8_S8_S9_S9_EEDaSX_SY_SE_SJ_EUlSX_E_NS1_11comp_targetILNS1_3genE10ELNS1_11target_archE1201ELNS1_3gpuE5ELNS1_3repE0EEENS1_47radix_sort_onesweep_sort_config_static_selectorELNS0_4arch9wavefront6targetE1EEEvSE_
		.amdhsa_group_segment_fixed_size 0
		.amdhsa_private_segment_fixed_size 0
		.amdhsa_kernarg_size 88
		.amdhsa_user_sgpr_count 6
		.amdhsa_user_sgpr_private_segment_buffer 1
		.amdhsa_user_sgpr_dispatch_ptr 0
		.amdhsa_user_sgpr_queue_ptr 0
		.amdhsa_user_sgpr_kernarg_segment_ptr 1
		.amdhsa_user_sgpr_dispatch_id 0
		.amdhsa_user_sgpr_flat_scratch_init 0
		.amdhsa_user_sgpr_kernarg_preload_length 0
		.amdhsa_user_sgpr_kernarg_preload_offset 0
		.amdhsa_user_sgpr_private_segment_size 0
		.amdhsa_uses_dynamic_stack 0
		.amdhsa_system_sgpr_private_segment_wavefront_offset 0
		.amdhsa_system_sgpr_workgroup_id_x 1
		.amdhsa_system_sgpr_workgroup_id_y 0
		.amdhsa_system_sgpr_workgroup_id_z 0
		.amdhsa_system_sgpr_workgroup_info 0
		.amdhsa_system_vgpr_workitem_id 0
		.amdhsa_next_free_vgpr 1
		.amdhsa_next_free_sgpr 0
		.amdhsa_accum_offset 4
		.amdhsa_reserve_vcc 0
		.amdhsa_reserve_flat_scratch 0
		.amdhsa_float_round_mode_32 0
		.amdhsa_float_round_mode_16_64 0
		.amdhsa_float_denorm_mode_32 3
		.amdhsa_float_denorm_mode_16_64 3
		.amdhsa_dx10_clamp 1
		.amdhsa_ieee_mode 1
		.amdhsa_fp16_overflow 0
		.amdhsa_tg_split 0
		.amdhsa_exception_fp_ieee_invalid_op 0
		.amdhsa_exception_fp_denorm_src 0
		.amdhsa_exception_fp_ieee_div_zero 0
		.amdhsa_exception_fp_ieee_overflow 0
		.amdhsa_exception_fp_ieee_underflow 0
		.amdhsa_exception_fp_ieee_inexact 0
		.amdhsa_exception_int_div_zero 0
	.end_amdhsa_kernel
	.section	.text._ZN7rocprim17ROCPRIM_400000_NS6detail17trampoline_kernelINS0_14default_configENS1_35radix_sort_onesweep_config_selectorItNS0_10empty_typeEEEZZNS1_29radix_sort_onesweep_iterationIS3_Lb0EPtS8_PS5_S9_mNS0_19identity_decomposerENS1_16block_id_wrapperIjLb0EEEEE10hipError_tT1_PNSt15iterator_traitsISE_E10value_typeET2_T3_PNSF_ISK_E10value_typeET4_T5_PSP_SQ_PNS1_23onesweep_lookback_stateEbbT6_jjT7_P12ihipStream_tbENKUlT_T0_SE_SJ_E_clIS8_S8_S9_S9_EEDaSX_SY_SE_SJ_EUlSX_E_NS1_11comp_targetILNS1_3genE10ELNS1_11target_archE1201ELNS1_3gpuE5ELNS1_3repE0EEENS1_47radix_sort_onesweep_sort_config_static_selectorELNS0_4arch9wavefront6targetE1EEEvSE_,"axG",@progbits,_ZN7rocprim17ROCPRIM_400000_NS6detail17trampoline_kernelINS0_14default_configENS1_35radix_sort_onesweep_config_selectorItNS0_10empty_typeEEEZZNS1_29radix_sort_onesweep_iterationIS3_Lb0EPtS8_PS5_S9_mNS0_19identity_decomposerENS1_16block_id_wrapperIjLb0EEEEE10hipError_tT1_PNSt15iterator_traitsISE_E10value_typeET2_T3_PNSF_ISK_E10value_typeET4_T5_PSP_SQ_PNS1_23onesweep_lookback_stateEbbT6_jjT7_P12ihipStream_tbENKUlT_T0_SE_SJ_E_clIS8_S8_S9_S9_EEDaSX_SY_SE_SJ_EUlSX_E_NS1_11comp_targetILNS1_3genE10ELNS1_11target_archE1201ELNS1_3gpuE5ELNS1_3repE0EEENS1_47radix_sort_onesweep_sort_config_static_selectorELNS0_4arch9wavefront6targetE1EEEvSE_,comdat
.Lfunc_end555:
	.size	_ZN7rocprim17ROCPRIM_400000_NS6detail17trampoline_kernelINS0_14default_configENS1_35radix_sort_onesweep_config_selectorItNS0_10empty_typeEEEZZNS1_29radix_sort_onesweep_iterationIS3_Lb0EPtS8_PS5_S9_mNS0_19identity_decomposerENS1_16block_id_wrapperIjLb0EEEEE10hipError_tT1_PNSt15iterator_traitsISE_E10value_typeET2_T3_PNSF_ISK_E10value_typeET4_T5_PSP_SQ_PNS1_23onesweep_lookback_stateEbbT6_jjT7_P12ihipStream_tbENKUlT_T0_SE_SJ_E_clIS8_S8_S9_S9_EEDaSX_SY_SE_SJ_EUlSX_E_NS1_11comp_targetILNS1_3genE10ELNS1_11target_archE1201ELNS1_3gpuE5ELNS1_3repE0EEENS1_47radix_sort_onesweep_sort_config_static_selectorELNS0_4arch9wavefront6targetE1EEEvSE_, .Lfunc_end555-_ZN7rocprim17ROCPRIM_400000_NS6detail17trampoline_kernelINS0_14default_configENS1_35radix_sort_onesweep_config_selectorItNS0_10empty_typeEEEZZNS1_29radix_sort_onesweep_iterationIS3_Lb0EPtS8_PS5_S9_mNS0_19identity_decomposerENS1_16block_id_wrapperIjLb0EEEEE10hipError_tT1_PNSt15iterator_traitsISE_E10value_typeET2_T3_PNSF_ISK_E10value_typeET4_T5_PSP_SQ_PNS1_23onesweep_lookback_stateEbbT6_jjT7_P12ihipStream_tbENKUlT_T0_SE_SJ_E_clIS8_S8_S9_S9_EEDaSX_SY_SE_SJ_EUlSX_E_NS1_11comp_targetILNS1_3genE10ELNS1_11target_archE1201ELNS1_3gpuE5ELNS1_3repE0EEENS1_47radix_sort_onesweep_sort_config_static_selectorELNS0_4arch9wavefront6targetE1EEEvSE_
                                        ; -- End function
	.section	.AMDGPU.csdata,"",@progbits
; Kernel info:
; codeLenInByte = 0
; NumSgprs: 4
; NumVgprs: 0
; NumAgprs: 0
; TotalNumVgprs: 0
; ScratchSize: 0
; MemoryBound: 0
; FloatMode: 240
; IeeeMode: 1
; LDSByteSize: 0 bytes/workgroup (compile time only)
; SGPRBlocks: 0
; VGPRBlocks: 0
; NumSGPRsForWavesPerEU: 4
; NumVGPRsForWavesPerEU: 1
; AccumOffset: 4
; Occupancy: 8
; WaveLimiterHint : 0
; COMPUTE_PGM_RSRC2:SCRATCH_EN: 0
; COMPUTE_PGM_RSRC2:USER_SGPR: 6
; COMPUTE_PGM_RSRC2:TRAP_HANDLER: 0
; COMPUTE_PGM_RSRC2:TGID_X_EN: 1
; COMPUTE_PGM_RSRC2:TGID_Y_EN: 0
; COMPUTE_PGM_RSRC2:TGID_Z_EN: 0
; COMPUTE_PGM_RSRC2:TIDIG_COMP_CNT: 0
; COMPUTE_PGM_RSRC3_GFX90A:ACCUM_OFFSET: 0
; COMPUTE_PGM_RSRC3_GFX90A:TG_SPLIT: 0
	.section	.text._ZN7rocprim17ROCPRIM_400000_NS6detail17trampoline_kernelINS0_14default_configENS1_35radix_sort_onesweep_config_selectorItNS0_10empty_typeEEEZZNS1_29radix_sort_onesweep_iterationIS3_Lb0EPtS8_PS5_S9_mNS0_19identity_decomposerENS1_16block_id_wrapperIjLb0EEEEE10hipError_tT1_PNSt15iterator_traitsISE_E10value_typeET2_T3_PNSF_ISK_E10value_typeET4_T5_PSP_SQ_PNS1_23onesweep_lookback_stateEbbT6_jjT7_P12ihipStream_tbENKUlT_T0_SE_SJ_E_clIS8_S8_S9_S9_EEDaSX_SY_SE_SJ_EUlSX_E_NS1_11comp_targetILNS1_3genE9ELNS1_11target_archE1100ELNS1_3gpuE3ELNS1_3repE0EEENS1_47radix_sort_onesweep_sort_config_static_selectorELNS0_4arch9wavefront6targetE1EEEvSE_,"axG",@progbits,_ZN7rocprim17ROCPRIM_400000_NS6detail17trampoline_kernelINS0_14default_configENS1_35radix_sort_onesweep_config_selectorItNS0_10empty_typeEEEZZNS1_29radix_sort_onesweep_iterationIS3_Lb0EPtS8_PS5_S9_mNS0_19identity_decomposerENS1_16block_id_wrapperIjLb0EEEEE10hipError_tT1_PNSt15iterator_traitsISE_E10value_typeET2_T3_PNSF_ISK_E10value_typeET4_T5_PSP_SQ_PNS1_23onesweep_lookback_stateEbbT6_jjT7_P12ihipStream_tbENKUlT_T0_SE_SJ_E_clIS8_S8_S9_S9_EEDaSX_SY_SE_SJ_EUlSX_E_NS1_11comp_targetILNS1_3genE9ELNS1_11target_archE1100ELNS1_3gpuE3ELNS1_3repE0EEENS1_47radix_sort_onesweep_sort_config_static_selectorELNS0_4arch9wavefront6targetE1EEEvSE_,comdat
	.protected	_ZN7rocprim17ROCPRIM_400000_NS6detail17trampoline_kernelINS0_14default_configENS1_35radix_sort_onesweep_config_selectorItNS0_10empty_typeEEEZZNS1_29radix_sort_onesweep_iterationIS3_Lb0EPtS8_PS5_S9_mNS0_19identity_decomposerENS1_16block_id_wrapperIjLb0EEEEE10hipError_tT1_PNSt15iterator_traitsISE_E10value_typeET2_T3_PNSF_ISK_E10value_typeET4_T5_PSP_SQ_PNS1_23onesweep_lookback_stateEbbT6_jjT7_P12ihipStream_tbENKUlT_T0_SE_SJ_E_clIS8_S8_S9_S9_EEDaSX_SY_SE_SJ_EUlSX_E_NS1_11comp_targetILNS1_3genE9ELNS1_11target_archE1100ELNS1_3gpuE3ELNS1_3repE0EEENS1_47radix_sort_onesweep_sort_config_static_selectorELNS0_4arch9wavefront6targetE1EEEvSE_ ; -- Begin function _ZN7rocprim17ROCPRIM_400000_NS6detail17trampoline_kernelINS0_14default_configENS1_35radix_sort_onesweep_config_selectorItNS0_10empty_typeEEEZZNS1_29radix_sort_onesweep_iterationIS3_Lb0EPtS8_PS5_S9_mNS0_19identity_decomposerENS1_16block_id_wrapperIjLb0EEEEE10hipError_tT1_PNSt15iterator_traitsISE_E10value_typeET2_T3_PNSF_ISK_E10value_typeET4_T5_PSP_SQ_PNS1_23onesweep_lookback_stateEbbT6_jjT7_P12ihipStream_tbENKUlT_T0_SE_SJ_E_clIS8_S8_S9_S9_EEDaSX_SY_SE_SJ_EUlSX_E_NS1_11comp_targetILNS1_3genE9ELNS1_11target_archE1100ELNS1_3gpuE3ELNS1_3repE0EEENS1_47radix_sort_onesweep_sort_config_static_selectorELNS0_4arch9wavefront6targetE1EEEvSE_
	.globl	_ZN7rocprim17ROCPRIM_400000_NS6detail17trampoline_kernelINS0_14default_configENS1_35radix_sort_onesweep_config_selectorItNS0_10empty_typeEEEZZNS1_29radix_sort_onesweep_iterationIS3_Lb0EPtS8_PS5_S9_mNS0_19identity_decomposerENS1_16block_id_wrapperIjLb0EEEEE10hipError_tT1_PNSt15iterator_traitsISE_E10value_typeET2_T3_PNSF_ISK_E10value_typeET4_T5_PSP_SQ_PNS1_23onesweep_lookback_stateEbbT6_jjT7_P12ihipStream_tbENKUlT_T0_SE_SJ_E_clIS8_S8_S9_S9_EEDaSX_SY_SE_SJ_EUlSX_E_NS1_11comp_targetILNS1_3genE9ELNS1_11target_archE1100ELNS1_3gpuE3ELNS1_3repE0EEENS1_47radix_sort_onesweep_sort_config_static_selectorELNS0_4arch9wavefront6targetE1EEEvSE_
	.p2align	8
	.type	_ZN7rocprim17ROCPRIM_400000_NS6detail17trampoline_kernelINS0_14default_configENS1_35radix_sort_onesweep_config_selectorItNS0_10empty_typeEEEZZNS1_29radix_sort_onesweep_iterationIS3_Lb0EPtS8_PS5_S9_mNS0_19identity_decomposerENS1_16block_id_wrapperIjLb0EEEEE10hipError_tT1_PNSt15iterator_traitsISE_E10value_typeET2_T3_PNSF_ISK_E10value_typeET4_T5_PSP_SQ_PNS1_23onesweep_lookback_stateEbbT6_jjT7_P12ihipStream_tbENKUlT_T0_SE_SJ_E_clIS8_S8_S9_S9_EEDaSX_SY_SE_SJ_EUlSX_E_NS1_11comp_targetILNS1_3genE9ELNS1_11target_archE1100ELNS1_3gpuE3ELNS1_3repE0EEENS1_47radix_sort_onesweep_sort_config_static_selectorELNS0_4arch9wavefront6targetE1EEEvSE_,@function
_ZN7rocprim17ROCPRIM_400000_NS6detail17trampoline_kernelINS0_14default_configENS1_35radix_sort_onesweep_config_selectorItNS0_10empty_typeEEEZZNS1_29radix_sort_onesweep_iterationIS3_Lb0EPtS8_PS5_S9_mNS0_19identity_decomposerENS1_16block_id_wrapperIjLb0EEEEE10hipError_tT1_PNSt15iterator_traitsISE_E10value_typeET2_T3_PNSF_ISK_E10value_typeET4_T5_PSP_SQ_PNS1_23onesweep_lookback_stateEbbT6_jjT7_P12ihipStream_tbENKUlT_T0_SE_SJ_E_clIS8_S8_S9_S9_EEDaSX_SY_SE_SJ_EUlSX_E_NS1_11comp_targetILNS1_3genE9ELNS1_11target_archE1100ELNS1_3gpuE3ELNS1_3repE0EEENS1_47radix_sort_onesweep_sort_config_static_selectorELNS0_4arch9wavefront6targetE1EEEvSE_: ; @_ZN7rocprim17ROCPRIM_400000_NS6detail17trampoline_kernelINS0_14default_configENS1_35radix_sort_onesweep_config_selectorItNS0_10empty_typeEEEZZNS1_29radix_sort_onesweep_iterationIS3_Lb0EPtS8_PS5_S9_mNS0_19identity_decomposerENS1_16block_id_wrapperIjLb0EEEEE10hipError_tT1_PNSt15iterator_traitsISE_E10value_typeET2_T3_PNSF_ISK_E10value_typeET4_T5_PSP_SQ_PNS1_23onesweep_lookback_stateEbbT6_jjT7_P12ihipStream_tbENKUlT_T0_SE_SJ_E_clIS8_S8_S9_S9_EEDaSX_SY_SE_SJ_EUlSX_E_NS1_11comp_targetILNS1_3genE9ELNS1_11target_archE1100ELNS1_3gpuE3ELNS1_3repE0EEENS1_47radix_sort_onesweep_sort_config_static_selectorELNS0_4arch9wavefront6targetE1EEEvSE_
; %bb.0:
	.section	.rodata,"a",@progbits
	.p2align	6, 0x0
	.amdhsa_kernel _ZN7rocprim17ROCPRIM_400000_NS6detail17trampoline_kernelINS0_14default_configENS1_35radix_sort_onesweep_config_selectorItNS0_10empty_typeEEEZZNS1_29radix_sort_onesweep_iterationIS3_Lb0EPtS8_PS5_S9_mNS0_19identity_decomposerENS1_16block_id_wrapperIjLb0EEEEE10hipError_tT1_PNSt15iterator_traitsISE_E10value_typeET2_T3_PNSF_ISK_E10value_typeET4_T5_PSP_SQ_PNS1_23onesweep_lookback_stateEbbT6_jjT7_P12ihipStream_tbENKUlT_T0_SE_SJ_E_clIS8_S8_S9_S9_EEDaSX_SY_SE_SJ_EUlSX_E_NS1_11comp_targetILNS1_3genE9ELNS1_11target_archE1100ELNS1_3gpuE3ELNS1_3repE0EEENS1_47radix_sort_onesweep_sort_config_static_selectorELNS0_4arch9wavefront6targetE1EEEvSE_
		.amdhsa_group_segment_fixed_size 0
		.amdhsa_private_segment_fixed_size 0
		.amdhsa_kernarg_size 88
		.amdhsa_user_sgpr_count 6
		.amdhsa_user_sgpr_private_segment_buffer 1
		.amdhsa_user_sgpr_dispatch_ptr 0
		.amdhsa_user_sgpr_queue_ptr 0
		.amdhsa_user_sgpr_kernarg_segment_ptr 1
		.amdhsa_user_sgpr_dispatch_id 0
		.amdhsa_user_sgpr_flat_scratch_init 0
		.amdhsa_user_sgpr_kernarg_preload_length 0
		.amdhsa_user_sgpr_kernarg_preload_offset 0
		.amdhsa_user_sgpr_private_segment_size 0
		.amdhsa_uses_dynamic_stack 0
		.amdhsa_system_sgpr_private_segment_wavefront_offset 0
		.amdhsa_system_sgpr_workgroup_id_x 1
		.amdhsa_system_sgpr_workgroup_id_y 0
		.amdhsa_system_sgpr_workgroup_id_z 0
		.amdhsa_system_sgpr_workgroup_info 0
		.amdhsa_system_vgpr_workitem_id 0
		.amdhsa_next_free_vgpr 1
		.amdhsa_next_free_sgpr 0
		.amdhsa_accum_offset 4
		.amdhsa_reserve_vcc 0
		.amdhsa_reserve_flat_scratch 0
		.amdhsa_float_round_mode_32 0
		.amdhsa_float_round_mode_16_64 0
		.amdhsa_float_denorm_mode_32 3
		.amdhsa_float_denorm_mode_16_64 3
		.amdhsa_dx10_clamp 1
		.amdhsa_ieee_mode 1
		.amdhsa_fp16_overflow 0
		.amdhsa_tg_split 0
		.amdhsa_exception_fp_ieee_invalid_op 0
		.amdhsa_exception_fp_denorm_src 0
		.amdhsa_exception_fp_ieee_div_zero 0
		.amdhsa_exception_fp_ieee_overflow 0
		.amdhsa_exception_fp_ieee_underflow 0
		.amdhsa_exception_fp_ieee_inexact 0
		.amdhsa_exception_int_div_zero 0
	.end_amdhsa_kernel
	.section	.text._ZN7rocprim17ROCPRIM_400000_NS6detail17trampoline_kernelINS0_14default_configENS1_35radix_sort_onesweep_config_selectorItNS0_10empty_typeEEEZZNS1_29radix_sort_onesweep_iterationIS3_Lb0EPtS8_PS5_S9_mNS0_19identity_decomposerENS1_16block_id_wrapperIjLb0EEEEE10hipError_tT1_PNSt15iterator_traitsISE_E10value_typeET2_T3_PNSF_ISK_E10value_typeET4_T5_PSP_SQ_PNS1_23onesweep_lookback_stateEbbT6_jjT7_P12ihipStream_tbENKUlT_T0_SE_SJ_E_clIS8_S8_S9_S9_EEDaSX_SY_SE_SJ_EUlSX_E_NS1_11comp_targetILNS1_3genE9ELNS1_11target_archE1100ELNS1_3gpuE3ELNS1_3repE0EEENS1_47radix_sort_onesweep_sort_config_static_selectorELNS0_4arch9wavefront6targetE1EEEvSE_,"axG",@progbits,_ZN7rocprim17ROCPRIM_400000_NS6detail17trampoline_kernelINS0_14default_configENS1_35radix_sort_onesweep_config_selectorItNS0_10empty_typeEEEZZNS1_29radix_sort_onesweep_iterationIS3_Lb0EPtS8_PS5_S9_mNS0_19identity_decomposerENS1_16block_id_wrapperIjLb0EEEEE10hipError_tT1_PNSt15iterator_traitsISE_E10value_typeET2_T3_PNSF_ISK_E10value_typeET4_T5_PSP_SQ_PNS1_23onesweep_lookback_stateEbbT6_jjT7_P12ihipStream_tbENKUlT_T0_SE_SJ_E_clIS8_S8_S9_S9_EEDaSX_SY_SE_SJ_EUlSX_E_NS1_11comp_targetILNS1_3genE9ELNS1_11target_archE1100ELNS1_3gpuE3ELNS1_3repE0EEENS1_47radix_sort_onesweep_sort_config_static_selectorELNS0_4arch9wavefront6targetE1EEEvSE_,comdat
.Lfunc_end556:
	.size	_ZN7rocprim17ROCPRIM_400000_NS6detail17trampoline_kernelINS0_14default_configENS1_35radix_sort_onesweep_config_selectorItNS0_10empty_typeEEEZZNS1_29radix_sort_onesweep_iterationIS3_Lb0EPtS8_PS5_S9_mNS0_19identity_decomposerENS1_16block_id_wrapperIjLb0EEEEE10hipError_tT1_PNSt15iterator_traitsISE_E10value_typeET2_T3_PNSF_ISK_E10value_typeET4_T5_PSP_SQ_PNS1_23onesweep_lookback_stateEbbT6_jjT7_P12ihipStream_tbENKUlT_T0_SE_SJ_E_clIS8_S8_S9_S9_EEDaSX_SY_SE_SJ_EUlSX_E_NS1_11comp_targetILNS1_3genE9ELNS1_11target_archE1100ELNS1_3gpuE3ELNS1_3repE0EEENS1_47radix_sort_onesweep_sort_config_static_selectorELNS0_4arch9wavefront6targetE1EEEvSE_, .Lfunc_end556-_ZN7rocprim17ROCPRIM_400000_NS6detail17trampoline_kernelINS0_14default_configENS1_35radix_sort_onesweep_config_selectorItNS0_10empty_typeEEEZZNS1_29radix_sort_onesweep_iterationIS3_Lb0EPtS8_PS5_S9_mNS0_19identity_decomposerENS1_16block_id_wrapperIjLb0EEEEE10hipError_tT1_PNSt15iterator_traitsISE_E10value_typeET2_T3_PNSF_ISK_E10value_typeET4_T5_PSP_SQ_PNS1_23onesweep_lookback_stateEbbT6_jjT7_P12ihipStream_tbENKUlT_T0_SE_SJ_E_clIS8_S8_S9_S9_EEDaSX_SY_SE_SJ_EUlSX_E_NS1_11comp_targetILNS1_3genE9ELNS1_11target_archE1100ELNS1_3gpuE3ELNS1_3repE0EEENS1_47radix_sort_onesweep_sort_config_static_selectorELNS0_4arch9wavefront6targetE1EEEvSE_
                                        ; -- End function
	.section	.AMDGPU.csdata,"",@progbits
; Kernel info:
; codeLenInByte = 0
; NumSgprs: 4
; NumVgprs: 0
; NumAgprs: 0
; TotalNumVgprs: 0
; ScratchSize: 0
; MemoryBound: 0
; FloatMode: 240
; IeeeMode: 1
; LDSByteSize: 0 bytes/workgroup (compile time only)
; SGPRBlocks: 0
; VGPRBlocks: 0
; NumSGPRsForWavesPerEU: 4
; NumVGPRsForWavesPerEU: 1
; AccumOffset: 4
; Occupancy: 8
; WaveLimiterHint : 0
; COMPUTE_PGM_RSRC2:SCRATCH_EN: 0
; COMPUTE_PGM_RSRC2:USER_SGPR: 6
; COMPUTE_PGM_RSRC2:TRAP_HANDLER: 0
; COMPUTE_PGM_RSRC2:TGID_X_EN: 1
; COMPUTE_PGM_RSRC2:TGID_Y_EN: 0
; COMPUTE_PGM_RSRC2:TGID_Z_EN: 0
; COMPUTE_PGM_RSRC2:TIDIG_COMP_CNT: 0
; COMPUTE_PGM_RSRC3_GFX90A:ACCUM_OFFSET: 0
; COMPUTE_PGM_RSRC3_GFX90A:TG_SPLIT: 0
	.section	.text._ZN7rocprim17ROCPRIM_400000_NS6detail17trampoline_kernelINS0_14default_configENS1_35radix_sort_onesweep_config_selectorItNS0_10empty_typeEEEZZNS1_29radix_sort_onesweep_iterationIS3_Lb0EPtS8_PS5_S9_mNS0_19identity_decomposerENS1_16block_id_wrapperIjLb0EEEEE10hipError_tT1_PNSt15iterator_traitsISE_E10value_typeET2_T3_PNSF_ISK_E10value_typeET4_T5_PSP_SQ_PNS1_23onesweep_lookback_stateEbbT6_jjT7_P12ihipStream_tbENKUlT_T0_SE_SJ_E_clIS8_S8_S9_S9_EEDaSX_SY_SE_SJ_EUlSX_E_NS1_11comp_targetILNS1_3genE8ELNS1_11target_archE1030ELNS1_3gpuE2ELNS1_3repE0EEENS1_47radix_sort_onesweep_sort_config_static_selectorELNS0_4arch9wavefront6targetE1EEEvSE_,"axG",@progbits,_ZN7rocprim17ROCPRIM_400000_NS6detail17trampoline_kernelINS0_14default_configENS1_35radix_sort_onesweep_config_selectorItNS0_10empty_typeEEEZZNS1_29radix_sort_onesweep_iterationIS3_Lb0EPtS8_PS5_S9_mNS0_19identity_decomposerENS1_16block_id_wrapperIjLb0EEEEE10hipError_tT1_PNSt15iterator_traitsISE_E10value_typeET2_T3_PNSF_ISK_E10value_typeET4_T5_PSP_SQ_PNS1_23onesweep_lookback_stateEbbT6_jjT7_P12ihipStream_tbENKUlT_T0_SE_SJ_E_clIS8_S8_S9_S9_EEDaSX_SY_SE_SJ_EUlSX_E_NS1_11comp_targetILNS1_3genE8ELNS1_11target_archE1030ELNS1_3gpuE2ELNS1_3repE0EEENS1_47radix_sort_onesweep_sort_config_static_selectorELNS0_4arch9wavefront6targetE1EEEvSE_,comdat
	.protected	_ZN7rocprim17ROCPRIM_400000_NS6detail17trampoline_kernelINS0_14default_configENS1_35radix_sort_onesweep_config_selectorItNS0_10empty_typeEEEZZNS1_29radix_sort_onesweep_iterationIS3_Lb0EPtS8_PS5_S9_mNS0_19identity_decomposerENS1_16block_id_wrapperIjLb0EEEEE10hipError_tT1_PNSt15iterator_traitsISE_E10value_typeET2_T3_PNSF_ISK_E10value_typeET4_T5_PSP_SQ_PNS1_23onesweep_lookback_stateEbbT6_jjT7_P12ihipStream_tbENKUlT_T0_SE_SJ_E_clIS8_S8_S9_S9_EEDaSX_SY_SE_SJ_EUlSX_E_NS1_11comp_targetILNS1_3genE8ELNS1_11target_archE1030ELNS1_3gpuE2ELNS1_3repE0EEENS1_47radix_sort_onesweep_sort_config_static_selectorELNS0_4arch9wavefront6targetE1EEEvSE_ ; -- Begin function _ZN7rocprim17ROCPRIM_400000_NS6detail17trampoline_kernelINS0_14default_configENS1_35radix_sort_onesweep_config_selectorItNS0_10empty_typeEEEZZNS1_29radix_sort_onesweep_iterationIS3_Lb0EPtS8_PS5_S9_mNS0_19identity_decomposerENS1_16block_id_wrapperIjLb0EEEEE10hipError_tT1_PNSt15iterator_traitsISE_E10value_typeET2_T3_PNSF_ISK_E10value_typeET4_T5_PSP_SQ_PNS1_23onesweep_lookback_stateEbbT6_jjT7_P12ihipStream_tbENKUlT_T0_SE_SJ_E_clIS8_S8_S9_S9_EEDaSX_SY_SE_SJ_EUlSX_E_NS1_11comp_targetILNS1_3genE8ELNS1_11target_archE1030ELNS1_3gpuE2ELNS1_3repE0EEENS1_47radix_sort_onesweep_sort_config_static_selectorELNS0_4arch9wavefront6targetE1EEEvSE_
	.globl	_ZN7rocprim17ROCPRIM_400000_NS6detail17trampoline_kernelINS0_14default_configENS1_35radix_sort_onesweep_config_selectorItNS0_10empty_typeEEEZZNS1_29radix_sort_onesweep_iterationIS3_Lb0EPtS8_PS5_S9_mNS0_19identity_decomposerENS1_16block_id_wrapperIjLb0EEEEE10hipError_tT1_PNSt15iterator_traitsISE_E10value_typeET2_T3_PNSF_ISK_E10value_typeET4_T5_PSP_SQ_PNS1_23onesweep_lookback_stateEbbT6_jjT7_P12ihipStream_tbENKUlT_T0_SE_SJ_E_clIS8_S8_S9_S9_EEDaSX_SY_SE_SJ_EUlSX_E_NS1_11comp_targetILNS1_3genE8ELNS1_11target_archE1030ELNS1_3gpuE2ELNS1_3repE0EEENS1_47radix_sort_onesweep_sort_config_static_selectorELNS0_4arch9wavefront6targetE1EEEvSE_
	.p2align	8
	.type	_ZN7rocprim17ROCPRIM_400000_NS6detail17trampoline_kernelINS0_14default_configENS1_35radix_sort_onesweep_config_selectorItNS0_10empty_typeEEEZZNS1_29radix_sort_onesweep_iterationIS3_Lb0EPtS8_PS5_S9_mNS0_19identity_decomposerENS1_16block_id_wrapperIjLb0EEEEE10hipError_tT1_PNSt15iterator_traitsISE_E10value_typeET2_T3_PNSF_ISK_E10value_typeET4_T5_PSP_SQ_PNS1_23onesweep_lookback_stateEbbT6_jjT7_P12ihipStream_tbENKUlT_T0_SE_SJ_E_clIS8_S8_S9_S9_EEDaSX_SY_SE_SJ_EUlSX_E_NS1_11comp_targetILNS1_3genE8ELNS1_11target_archE1030ELNS1_3gpuE2ELNS1_3repE0EEENS1_47radix_sort_onesweep_sort_config_static_selectorELNS0_4arch9wavefront6targetE1EEEvSE_,@function
_ZN7rocprim17ROCPRIM_400000_NS6detail17trampoline_kernelINS0_14default_configENS1_35radix_sort_onesweep_config_selectorItNS0_10empty_typeEEEZZNS1_29radix_sort_onesweep_iterationIS3_Lb0EPtS8_PS5_S9_mNS0_19identity_decomposerENS1_16block_id_wrapperIjLb0EEEEE10hipError_tT1_PNSt15iterator_traitsISE_E10value_typeET2_T3_PNSF_ISK_E10value_typeET4_T5_PSP_SQ_PNS1_23onesweep_lookback_stateEbbT6_jjT7_P12ihipStream_tbENKUlT_T0_SE_SJ_E_clIS8_S8_S9_S9_EEDaSX_SY_SE_SJ_EUlSX_E_NS1_11comp_targetILNS1_3genE8ELNS1_11target_archE1030ELNS1_3gpuE2ELNS1_3repE0EEENS1_47radix_sort_onesweep_sort_config_static_selectorELNS0_4arch9wavefront6targetE1EEEvSE_: ; @_ZN7rocprim17ROCPRIM_400000_NS6detail17trampoline_kernelINS0_14default_configENS1_35radix_sort_onesweep_config_selectorItNS0_10empty_typeEEEZZNS1_29radix_sort_onesweep_iterationIS3_Lb0EPtS8_PS5_S9_mNS0_19identity_decomposerENS1_16block_id_wrapperIjLb0EEEEE10hipError_tT1_PNSt15iterator_traitsISE_E10value_typeET2_T3_PNSF_ISK_E10value_typeET4_T5_PSP_SQ_PNS1_23onesweep_lookback_stateEbbT6_jjT7_P12ihipStream_tbENKUlT_T0_SE_SJ_E_clIS8_S8_S9_S9_EEDaSX_SY_SE_SJ_EUlSX_E_NS1_11comp_targetILNS1_3genE8ELNS1_11target_archE1030ELNS1_3gpuE2ELNS1_3repE0EEENS1_47radix_sort_onesweep_sort_config_static_selectorELNS0_4arch9wavefront6targetE1EEEvSE_
; %bb.0:
	.section	.rodata,"a",@progbits
	.p2align	6, 0x0
	.amdhsa_kernel _ZN7rocprim17ROCPRIM_400000_NS6detail17trampoline_kernelINS0_14default_configENS1_35radix_sort_onesweep_config_selectorItNS0_10empty_typeEEEZZNS1_29radix_sort_onesweep_iterationIS3_Lb0EPtS8_PS5_S9_mNS0_19identity_decomposerENS1_16block_id_wrapperIjLb0EEEEE10hipError_tT1_PNSt15iterator_traitsISE_E10value_typeET2_T3_PNSF_ISK_E10value_typeET4_T5_PSP_SQ_PNS1_23onesweep_lookback_stateEbbT6_jjT7_P12ihipStream_tbENKUlT_T0_SE_SJ_E_clIS8_S8_S9_S9_EEDaSX_SY_SE_SJ_EUlSX_E_NS1_11comp_targetILNS1_3genE8ELNS1_11target_archE1030ELNS1_3gpuE2ELNS1_3repE0EEENS1_47radix_sort_onesweep_sort_config_static_selectorELNS0_4arch9wavefront6targetE1EEEvSE_
		.amdhsa_group_segment_fixed_size 0
		.amdhsa_private_segment_fixed_size 0
		.amdhsa_kernarg_size 88
		.amdhsa_user_sgpr_count 6
		.amdhsa_user_sgpr_private_segment_buffer 1
		.amdhsa_user_sgpr_dispatch_ptr 0
		.amdhsa_user_sgpr_queue_ptr 0
		.amdhsa_user_sgpr_kernarg_segment_ptr 1
		.amdhsa_user_sgpr_dispatch_id 0
		.amdhsa_user_sgpr_flat_scratch_init 0
		.amdhsa_user_sgpr_kernarg_preload_length 0
		.amdhsa_user_sgpr_kernarg_preload_offset 0
		.amdhsa_user_sgpr_private_segment_size 0
		.amdhsa_uses_dynamic_stack 0
		.amdhsa_system_sgpr_private_segment_wavefront_offset 0
		.amdhsa_system_sgpr_workgroup_id_x 1
		.amdhsa_system_sgpr_workgroup_id_y 0
		.amdhsa_system_sgpr_workgroup_id_z 0
		.amdhsa_system_sgpr_workgroup_info 0
		.amdhsa_system_vgpr_workitem_id 0
		.amdhsa_next_free_vgpr 1
		.amdhsa_next_free_sgpr 0
		.amdhsa_accum_offset 4
		.amdhsa_reserve_vcc 0
		.amdhsa_reserve_flat_scratch 0
		.amdhsa_float_round_mode_32 0
		.amdhsa_float_round_mode_16_64 0
		.amdhsa_float_denorm_mode_32 3
		.amdhsa_float_denorm_mode_16_64 3
		.amdhsa_dx10_clamp 1
		.amdhsa_ieee_mode 1
		.amdhsa_fp16_overflow 0
		.amdhsa_tg_split 0
		.amdhsa_exception_fp_ieee_invalid_op 0
		.amdhsa_exception_fp_denorm_src 0
		.amdhsa_exception_fp_ieee_div_zero 0
		.amdhsa_exception_fp_ieee_overflow 0
		.amdhsa_exception_fp_ieee_underflow 0
		.amdhsa_exception_fp_ieee_inexact 0
		.amdhsa_exception_int_div_zero 0
	.end_amdhsa_kernel
	.section	.text._ZN7rocprim17ROCPRIM_400000_NS6detail17trampoline_kernelINS0_14default_configENS1_35radix_sort_onesweep_config_selectorItNS0_10empty_typeEEEZZNS1_29radix_sort_onesweep_iterationIS3_Lb0EPtS8_PS5_S9_mNS0_19identity_decomposerENS1_16block_id_wrapperIjLb0EEEEE10hipError_tT1_PNSt15iterator_traitsISE_E10value_typeET2_T3_PNSF_ISK_E10value_typeET4_T5_PSP_SQ_PNS1_23onesweep_lookback_stateEbbT6_jjT7_P12ihipStream_tbENKUlT_T0_SE_SJ_E_clIS8_S8_S9_S9_EEDaSX_SY_SE_SJ_EUlSX_E_NS1_11comp_targetILNS1_3genE8ELNS1_11target_archE1030ELNS1_3gpuE2ELNS1_3repE0EEENS1_47radix_sort_onesweep_sort_config_static_selectorELNS0_4arch9wavefront6targetE1EEEvSE_,"axG",@progbits,_ZN7rocprim17ROCPRIM_400000_NS6detail17trampoline_kernelINS0_14default_configENS1_35radix_sort_onesweep_config_selectorItNS0_10empty_typeEEEZZNS1_29radix_sort_onesweep_iterationIS3_Lb0EPtS8_PS5_S9_mNS0_19identity_decomposerENS1_16block_id_wrapperIjLb0EEEEE10hipError_tT1_PNSt15iterator_traitsISE_E10value_typeET2_T3_PNSF_ISK_E10value_typeET4_T5_PSP_SQ_PNS1_23onesweep_lookback_stateEbbT6_jjT7_P12ihipStream_tbENKUlT_T0_SE_SJ_E_clIS8_S8_S9_S9_EEDaSX_SY_SE_SJ_EUlSX_E_NS1_11comp_targetILNS1_3genE8ELNS1_11target_archE1030ELNS1_3gpuE2ELNS1_3repE0EEENS1_47radix_sort_onesweep_sort_config_static_selectorELNS0_4arch9wavefront6targetE1EEEvSE_,comdat
.Lfunc_end557:
	.size	_ZN7rocprim17ROCPRIM_400000_NS6detail17trampoline_kernelINS0_14default_configENS1_35radix_sort_onesweep_config_selectorItNS0_10empty_typeEEEZZNS1_29radix_sort_onesweep_iterationIS3_Lb0EPtS8_PS5_S9_mNS0_19identity_decomposerENS1_16block_id_wrapperIjLb0EEEEE10hipError_tT1_PNSt15iterator_traitsISE_E10value_typeET2_T3_PNSF_ISK_E10value_typeET4_T5_PSP_SQ_PNS1_23onesweep_lookback_stateEbbT6_jjT7_P12ihipStream_tbENKUlT_T0_SE_SJ_E_clIS8_S8_S9_S9_EEDaSX_SY_SE_SJ_EUlSX_E_NS1_11comp_targetILNS1_3genE8ELNS1_11target_archE1030ELNS1_3gpuE2ELNS1_3repE0EEENS1_47radix_sort_onesweep_sort_config_static_selectorELNS0_4arch9wavefront6targetE1EEEvSE_, .Lfunc_end557-_ZN7rocprim17ROCPRIM_400000_NS6detail17trampoline_kernelINS0_14default_configENS1_35radix_sort_onesweep_config_selectorItNS0_10empty_typeEEEZZNS1_29radix_sort_onesweep_iterationIS3_Lb0EPtS8_PS5_S9_mNS0_19identity_decomposerENS1_16block_id_wrapperIjLb0EEEEE10hipError_tT1_PNSt15iterator_traitsISE_E10value_typeET2_T3_PNSF_ISK_E10value_typeET4_T5_PSP_SQ_PNS1_23onesweep_lookback_stateEbbT6_jjT7_P12ihipStream_tbENKUlT_T0_SE_SJ_E_clIS8_S8_S9_S9_EEDaSX_SY_SE_SJ_EUlSX_E_NS1_11comp_targetILNS1_3genE8ELNS1_11target_archE1030ELNS1_3gpuE2ELNS1_3repE0EEENS1_47radix_sort_onesweep_sort_config_static_selectorELNS0_4arch9wavefront6targetE1EEEvSE_
                                        ; -- End function
	.section	.AMDGPU.csdata,"",@progbits
; Kernel info:
; codeLenInByte = 0
; NumSgprs: 4
; NumVgprs: 0
; NumAgprs: 0
; TotalNumVgprs: 0
; ScratchSize: 0
; MemoryBound: 0
; FloatMode: 240
; IeeeMode: 1
; LDSByteSize: 0 bytes/workgroup (compile time only)
; SGPRBlocks: 0
; VGPRBlocks: 0
; NumSGPRsForWavesPerEU: 4
; NumVGPRsForWavesPerEU: 1
; AccumOffset: 4
; Occupancy: 8
; WaveLimiterHint : 0
; COMPUTE_PGM_RSRC2:SCRATCH_EN: 0
; COMPUTE_PGM_RSRC2:USER_SGPR: 6
; COMPUTE_PGM_RSRC2:TRAP_HANDLER: 0
; COMPUTE_PGM_RSRC2:TGID_X_EN: 1
; COMPUTE_PGM_RSRC2:TGID_Y_EN: 0
; COMPUTE_PGM_RSRC2:TGID_Z_EN: 0
; COMPUTE_PGM_RSRC2:TIDIG_COMP_CNT: 0
; COMPUTE_PGM_RSRC3_GFX90A:ACCUM_OFFSET: 0
; COMPUTE_PGM_RSRC3_GFX90A:TG_SPLIT: 0
	.section	.text._ZN7rocprim17ROCPRIM_400000_NS6detail17trampoline_kernelINS0_13kernel_configILj256ELj4ELj4294967295EEENS1_37radix_sort_block_sort_config_selectorIiNS0_10empty_typeEEEZNS1_21radix_sort_block_sortIS4_Lb0EPiS9_PS6_SA_NS0_19identity_decomposerEEE10hipError_tT1_T2_T3_T4_jRjT5_jjP12ihipStream_tbEUlT_E_NS1_11comp_targetILNS1_3genE0ELNS1_11target_archE4294967295ELNS1_3gpuE0ELNS1_3repE0EEENS1_44radix_sort_block_sort_config_static_selectorELNS0_4arch9wavefront6targetE1EEEvSD_,"axG",@progbits,_ZN7rocprim17ROCPRIM_400000_NS6detail17trampoline_kernelINS0_13kernel_configILj256ELj4ELj4294967295EEENS1_37radix_sort_block_sort_config_selectorIiNS0_10empty_typeEEEZNS1_21radix_sort_block_sortIS4_Lb0EPiS9_PS6_SA_NS0_19identity_decomposerEEE10hipError_tT1_T2_T3_T4_jRjT5_jjP12ihipStream_tbEUlT_E_NS1_11comp_targetILNS1_3genE0ELNS1_11target_archE4294967295ELNS1_3gpuE0ELNS1_3repE0EEENS1_44radix_sort_block_sort_config_static_selectorELNS0_4arch9wavefront6targetE1EEEvSD_,comdat
	.protected	_ZN7rocprim17ROCPRIM_400000_NS6detail17trampoline_kernelINS0_13kernel_configILj256ELj4ELj4294967295EEENS1_37radix_sort_block_sort_config_selectorIiNS0_10empty_typeEEEZNS1_21radix_sort_block_sortIS4_Lb0EPiS9_PS6_SA_NS0_19identity_decomposerEEE10hipError_tT1_T2_T3_T4_jRjT5_jjP12ihipStream_tbEUlT_E_NS1_11comp_targetILNS1_3genE0ELNS1_11target_archE4294967295ELNS1_3gpuE0ELNS1_3repE0EEENS1_44radix_sort_block_sort_config_static_selectorELNS0_4arch9wavefront6targetE1EEEvSD_ ; -- Begin function _ZN7rocprim17ROCPRIM_400000_NS6detail17trampoline_kernelINS0_13kernel_configILj256ELj4ELj4294967295EEENS1_37radix_sort_block_sort_config_selectorIiNS0_10empty_typeEEEZNS1_21radix_sort_block_sortIS4_Lb0EPiS9_PS6_SA_NS0_19identity_decomposerEEE10hipError_tT1_T2_T3_T4_jRjT5_jjP12ihipStream_tbEUlT_E_NS1_11comp_targetILNS1_3genE0ELNS1_11target_archE4294967295ELNS1_3gpuE0ELNS1_3repE0EEENS1_44radix_sort_block_sort_config_static_selectorELNS0_4arch9wavefront6targetE1EEEvSD_
	.globl	_ZN7rocprim17ROCPRIM_400000_NS6detail17trampoline_kernelINS0_13kernel_configILj256ELj4ELj4294967295EEENS1_37radix_sort_block_sort_config_selectorIiNS0_10empty_typeEEEZNS1_21radix_sort_block_sortIS4_Lb0EPiS9_PS6_SA_NS0_19identity_decomposerEEE10hipError_tT1_T2_T3_T4_jRjT5_jjP12ihipStream_tbEUlT_E_NS1_11comp_targetILNS1_3genE0ELNS1_11target_archE4294967295ELNS1_3gpuE0ELNS1_3repE0EEENS1_44radix_sort_block_sort_config_static_selectorELNS0_4arch9wavefront6targetE1EEEvSD_
	.p2align	8
	.type	_ZN7rocprim17ROCPRIM_400000_NS6detail17trampoline_kernelINS0_13kernel_configILj256ELj4ELj4294967295EEENS1_37radix_sort_block_sort_config_selectorIiNS0_10empty_typeEEEZNS1_21radix_sort_block_sortIS4_Lb0EPiS9_PS6_SA_NS0_19identity_decomposerEEE10hipError_tT1_T2_T3_T4_jRjT5_jjP12ihipStream_tbEUlT_E_NS1_11comp_targetILNS1_3genE0ELNS1_11target_archE4294967295ELNS1_3gpuE0ELNS1_3repE0EEENS1_44radix_sort_block_sort_config_static_selectorELNS0_4arch9wavefront6targetE1EEEvSD_,@function
_ZN7rocprim17ROCPRIM_400000_NS6detail17trampoline_kernelINS0_13kernel_configILj256ELj4ELj4294967295EEENS1_37radix_sort_block_sort_config_selectorIiNS0_10empty_typeEEEZNS1_21radix_sort_block_sortIS4_Lb0EPiS9_PS6_SA_NS0_19identity_decomposerEEE10hipError_tT1_T2_T3_T4_jRjT5_jjP12ihipStream_tbEUlT_E_NS1_11comp_targetILNS1_3genE0ELNS1_11target_archE4294967295ELNS1_3gpuE0ELNS1_3repE0EEENS1_44radix_sort_block_sort_config_static_selectorELNS0_4arch9wavefront6targetE1EEEvSD_: ; @_ZN7rocprim17ROCPRIM_400000_NS6detail17trampoline_kernelINS0_13kernel_configILj256ELj4ELj4294967295EEENS1_37radix_sort_block_sort_config_selectorIiNS0_10empty_typeEEEZNS1_21radix_sort_block_sortIS4_Lb0EPiS9_PS6_SA_NS0_19identity_decomposerEEE10hipError_tT1_T2_T3_T4_jRjT5_jjP12ihipStream_tbEUlT_E_NS1_11comp_targetILNS1_3genE0ELNS1_11target_archE4294967295ELNS1_3gpuE0ELNS1_3repE0EEENS1_44radix_sort_block_sort_config_static_selectorELNS0_4arch9wavefront6targetE1EEEvSD_
; %bb.0:
	.section	.rodata,"a",@progbits
	.p2align	6, 0x0
	.amdhsa_kernel _ZN7rocprim17ROCPRIM_400000_NS6detail17trampoline_kernelINS0_13kernel_configILj256ELj4ELj4294967295EEENS1_37radix_sort_block_sort_config_selectorIiNS0_10empty_typeEEEZNS1_21radix_sort_block_sortIS4_Lb0EPiS9_PS6_SA_NS0_19identity_decomposerEEE10hipError_tT1_T2_T3_T4_jRjT5_jjP12ihipStream_tbEUlT_E_NS1_11comp_targetILNS1_3genE0ELNS1_11target_archE4294967295ELNS1_3gpuE0ELNS1_3repE0EEENS1_44radix_sort_block_sort_config_static_selectorELNS0_4arch9wavefront6targetE1EEEvSD_
		.amdhsa_group_segment_fixed_size 0
		.amdhsa_private_segment_fixed_size 0
		.amdhsa_kernarg_size 48
		.amdhsa_user_sgpr_count 6
		.amdhsa_user_sgpr_private_segment_buffer 1
		.amdhsa_user_sgpr_dispatch_ptr 0
		.amdhsa_user_sgpr_queue_ptr 0
		.amdhsa_user_sgpr_kernarg_segment_ptr 1
		.amdhsa_user_sgpr_dispatch_id 0
		.amdhsa_user_sgpr_flat_scratch_init 0
		.amdhsa_user_sgpr_kernarg_preload_length 0
		.amdhsa_user_sgpr_kernarg_preload_offset 0
		.amdhsa_user_sgpr_private_segment_size 0
		.amdhsa_uses_dynamic_stack 0
		.amdhsa_system_sgpr_private_segment_wavefront_offset 0
		.amdhsa_system_sgpr_workgroup_id_x 1
		.amdhsa_system_sgpr_workgroup_id_y 0
		.amdhsa_system_sgpr_workgroup_id_z 0
		.amdhsa_system_sgpr_workgroup_info 0
		.amdhsa_system_vgpr_workitem_id 0
		.amdhsa_next_free_vgpr 1
		.amdhsa_next_free_sgpr 0
		.amdhsa_accum_offset 4
		.amdhsa_reserve_vcc 0
		.amdhsa_reserve_flat_scratch 0
		.amdhsa_float_round_mode_32 0
		.amdhsa_float_round_mode_16_64 0
		.amdhsa_float_denorm_mode_32 3
		.amdhsa_float_denorm_mode_16_64 3
		.amdhsa_dx10_clamp 1
		.amdhsa_ieee_mode 1
		.amdhsa_fp16_overflow 0
		.amdhsa_tg_split 0
		.amdhsa_exception_fp_ieee_invalid_op 0
		.amdhsa_exception_fp_denorm_src 0
		.amdhsa_exception_fp_ieee_div_zero 0
		.amdhsa_exception_fp_ieee_overflow 0
		.amdhsa_exception_fp_ieee_underflow 0
		.amdhsa_exception_fp_ieee_inexact 0
		.amdhsa_exception_int_div_zero 0
	.end_amdhsa_kernel
	.section	.text._ZN7rocprim17ROCPRIM_400000_NS6detail17trampoline_kernelINS0_13kernel_configILj256ELj4ELj4294967295EEENS1_37radix_sort_block_sort_config_selectorIiNS0_10empty_typeEEEZNS1_21radix_sort_block_sortIS4_Lb0EPiS9_PS6_SA_NS0_19identity_decomposerEEE10hipError_tT1_T2_T3_T4_jRjT5_jjP12ihipStream_tbEUlT_E_NS1_11comp_targetILNS1_3genE0ELNS1_11target_archE4294967295ELNS1_3gpuE0ELNS1_3repE0EEENS1_44radix_sort_block_sort_config_static_selectorELNS0_4arch9wavefront6targetE1EEEvSD_,"axG",@progbits,_ZN7rocprim17ROCPRIM_400000_NS6detail17trampoline_kernelINS0_13kernel_configILj256ELj4ELj4294967295EEENS1_37radix_sort_block_sort_config_selectorIiNS0_10empty_typeEEEZNS1_21radix_sort_block_sortIS4_Lb0EPiS9_PS6_SA_NS0_19identity_decomposerEEE10hipError_tT1_T2_T3_T4_jRjT5_jjP12ihipStream_tbEUlT_E_NS1_11comp_targetILNS1_3genE0ELNS1_11target_archE4294967295ELNS1_3gpuE0ELNS1_3repE0EEENS1_44radix_sort_block_sort_config_static_selectorELNS0_4arch9wavefront6targetE1EEEvSD_,comdat
.Lfunc_end558:
	.size	_ZN7rocprim17ROCPRIM_400000_NS6detail17trampoline_kernelINS0_13kernel_configILj256ELj4ELj4294967295EEENS1_37radix_sort_block_sort_config_selectorIiNS0_10empty_typeEEEZNS1_21radix_sort_block_sortIS4_Lb0EPiS9_PS6_SA_NS0_19identity_decomposerEEE10hipError_tT1_T2_T3_T4_jRjT5_jjP12ihipStream_tbEUlT_E_NS1_11comp_targetILNS1_3genE0ELNS1_11target_archE4294967295ELNS1_3gpuE0ELNS1_3repE0EEENS1_44radix_sort_block_sort_config_static_selectorELNS0_4arch9wavefront6targetE1EEEvSD_, .Lfunc_end558-_ZN7rocprim17ROCPRIM_400000_NS6detail17trampoline_kernelINS0_13kernel_configILj256ELj4ELj4294967295EEENS1_37radix_sort_block_sort_config_selectorIiNS0_10empty_typeEEEZNS1_21radix_sort_block_sortIS4_Lb0EPiS9_PS6_SA_NS0_19identity_decomposerEEE10hipError_tT1_T2_T3_T4_jRjT5_jjP12ihipStream_tbEUlT_E_NS1_11comp_targetILNS1_3genE0ELNS1_11target_archE4294967295ELNS1_3gpuE0ELNS1_3repE0EEENS1_44radix_sort_block_sort_config_static_selectorELNS0_4arch9wavefront6targetE1EEEvSD_
                                        ; -- End function
	.section	.AMDGPU.csdata,"",@progbits
; Kernel info:
; codeLenInByte = 0
; NumSgprs: 4
; NumVgprs: 0
; NumAgprs: 0
; TotalNumVgprs: 0
; ScratchSize: 0
; MemoryBound: 0
; FloatMode: 240
; IeeeMode: 1
; LDSByteSize: 0 bytes/workgroup (compile time only)
; SGPRBlocks: 0
; VGPRBlocks: 0
; NumSGPRsForWavesPerEU: 4
; NumVGPRsForWavesPerEU: 1
; AccumOffset: 4
; Occupancy: 8
; WaveLimiterHint : 0
; COMPUTE_PGM_RSRC2:SCRATCH_EN: 0
; COMPUTE_PGM_RSRC2:USER_SGPR: 6
; COMPUTE_PGM_RSRC2:TRAP_HANDLER: 0
; COMPUTE_PGM_RSRC2:TGID_X_EN: 1
; COMPUTE_PGM_RSRC2:TGID_Y_EN: 0
; COMPUTE_PGM_RSRC2:TGID_Z_EN: 0
; COMPUTE_PGM_RSRC2:TIDIG_COMP_CNT: 0
; COMPUTE_PGM_RSRC3_GFX90A:ACCUM_OFFSET: 0
; COMPUTE_PGM_RSRC3_GFX90A:TG_SPLIT: 0
	.section	.text._ZN7rocprim17ROCPRIM_400000_NS6detail17trampoline_kernelINS0_13kernel_configILj256ELj4ELj4294967295EEENS1_37radix_sort_block_sort_config_selectorIiNS0_10empty_typeEEEZNS1_21radix_sort_block_sortIS4_Lb0EPiS9_PS6_SA_NS0_19identity_decomposerEEE10hipError_tT1_T2_T3_T4_jRjT5_jjP12ihipStream_tbEUlT_E_NS1_11comp_targetILNS1_3genE5ELNS1_11target_archE942ELNS1_3gpuE9ELNS1_3repE0EEENS1_44radix_sort_block_sort_config_static_selectorELNS0_4arch9wavefront6targetE1EEEvSD_,"axG",@progbits,_ZN7rocprim17ROCPRIM_400000_NS6detail17trampoline_kernelINS0_13kernel_configILj256ELj4ELj4294967295EEENS1_37radix_sort_block_sort_config_selectorIiNS0_10empty_typeEEEZNS1_21radix_sort_block_sortIS4_Lb0EPiS9_PS6_SA_NS0_19identity_decomposerEEE10hipError_tT1_T2_T3_T4_jRjT5_jjP12ihipStream_tbEUlT_E_NS1_11comp_targetILNS1_3genE5ELNS1_11target_archE942ELNS1_3gpuE9ELNS1_3repE0EEENS1_44radix_sort_block_sort_config_static_selectorELNS0_4arch9wavefront6targetE1EEEvSD_,comdat
	.protected	_ZN7rocprim17ROCPRIM_400000_NS6detail17trampoline_kernelINS0_13kernel_configILj256ELj4ELj4294967295EEENS1_37radix_sort_block_sort_config_selectorIiNS0_10empty_typeEEEZNS1_21radix_sort_block_sortIS4_Lb0EPiS9_PS6_SA_NS0_19identity_decomposerEEE10hipError_tT1_T2_T3_T4_jRjT5_jjP12ihipStream_tbEUlT_E_NS1_11comp_targetILNS1_3genE5ELNS1_11target_archE942ELNS1_3gpuE9ELNS1_3repE0EEENS1_44radix_sort_block_sort_config_static_selectorELNS0_4arch9wavefront6targetE1EEEvSD_ ; -- Begin function _ZN7rocprim17ROCPRIM_400000_NS6detail17trampoline_kernelINS0_13kernel_configILj256ELj4ELj4294967295EEENS1_37radix_sort_block_sort_config_selectorIiNS0_10empty_typeEEEZNS1_21radix_sort_block_sortIS4_Lb0EPiS9_PS6_SA_NS0_19identity_decomposerEEE10hipError_tT1_T2_T3_T4_jRjT5_jjP12ihipStream_tbEUlT_E_NS1_11comp_targetILNS1_3genE5ELNS1_11target_archE942ELNS1_3gpuE9ELNS1_3repE0EEENS1_44radix_sort_block_sort_config_static_selectorELNS0_4arch9wavefront6targetE1EEEvSD_
	.globl	_ZN7rocprim17ROCPRIM_400000_NS6detail17trampoline_kernelINS0_13kernel_configILj256ELj4ELj4294967295EEENS1_37radix_sort_block_sort_config_selectorIiNS0_10empty_typeEEEZNS1_21radix_sort_block_sortIS4_Lb0EPiS9_PS6_SA_NS0_19identity_decomposerEEE10hipError_tT1_T2_T3_T4_jRjT5_jjP12ihipStream_tbEUlT_E_NS1_11comp_targetILNS1_3genE5ELNS1_11target_archE942ELNS1_3gpuE9ELNS1_3repE0EEENS1_44radix_sort_block_sort_config_static_selectorELNS0_4arch9wavefront6targetE1EEEvSD_
	.p2align	8
	.type	_ZN7rocprim17ROCPRIM_400000_NS6detail17trampoline_kernelINS0_13kernel_configILj256ELj4ELj4294967295EEENS1_37radix_sort_block_sort_config_selectorIiNS0_10empty_typeEEEZNS1_21radix_sort_block_sortIS4_Lb0EPiS9_PS6_SA_NS0_19identity_decomposerEEE10hipError_tT1_T2_T3_T4_jRjT5_jjP12ihipStream_tbEUlT_E_NS1_11comp_targetILNS1_3genE5ELNS1_11target_archE942ELNS1_3gpuE9ELNS1_3repE0EEENS1_44radix_sort_block_sort_config_static_selectorELNS0_4arch9wavefront6targetE1EEEvSD_,@function
_ZN7rocprim17ROCPRIM_400000_NS6detail17trampoline_kernelINS0_13kernel_configILj256ELj4ELj4294967295EEENS1_37radix_sort_block_sort_config_selectorIiNS0_10empty_typeEEEZNS1_21radix_sort_block_sortIS4_Lb0EPiS9_PS6_SA_NS0_19identity_decomposerEEE10hipError_tT1_T2_T3_T4_jRjT5_jjP12ihipStream_tbEUlT_E_NS1_11comp_targetILNS1_3genE5ELNS1_11target_archE942ELNS1_3gpuE9ELNS1_3repE0EEENS1_44radix_sort_block_sort_config_static_selectorELNS0_4arch9wavefront6targetE1EEEvSD_: ; @_ZN7rocprim17ROCPRIM_400000_NS6detail17trampoline_kernelINS0_13kernel_configILj256ELj4ELj4294967295EEENS1_37radix_sort_block_sort_config_selectorIiNS0_10empty_typeEEEZNS1_21radix_sort_block_sortIS4_Lb0EPiS9_PS6_SA_NS0_19identity_decomposerEEE10hipError_tT1_T2_T3_T4_jRjT5_jjP12ihipStream_tbEUlT_E_NS1_11comp_targetILNS1_3genE5ELNS1_11target_archE942ELNS1_3gpuE9ELNS1_3repE0EEENS1_44radix_sort_block_sort_config_static_selectorELNS0_4arch9wavefront6targetE1EEEvSD_
; %bb.0:
	.section	.rodata,"a",@progbits
	.p2align	6, 0x0
	.amdhsa_kernel _ZN7rocprim17ROCPRIM_400000_NS6detail17trampoline_kernelINS0_13kernel_configILj256ELj4ELj4294967295EEENS1_37radix_sort_block_sort_config_selectorIiNS0_10empty_typeEEEZNS1_21radix_sort_block_sortIS4_Lb0EPiS9_PS6_SA_NS0_19identity_decomposerEEE10hipError_tT1_T2_T3_T4_jRjT5_jjP12ihipStream_tbEUlT_E_NS1_11comp_targetILNS1_3genE5ELNS1_11target_archE942ELNS1_3gpuE9ELNS1_3repE0EEENS1_44radix_sort_block_sort_config_static_selectorELNS0_4arch9wavefront6targetE1EEEvSD_
		.amdhsa_group_segment_fixed_size 0
		.amdhsa_private_segment_fixed_size 0
		.amdhsa_kernarg_size 48
		.amdhsa_user_sgpr_count 6
		.amdhsa_user_sgpr_private_segment_buffer 1
		.amdhsa_user_sgpr_dispatch_ptr 0
		.amdhsa_user_sgpr_queue_ptr 0
		.amdhsa_user_sgpr_kernarg_segment_ptr 1
		.amdhsa_user_sgpr_dispatch_id 0
		.amdhsa_user_sgpr_flat_scratch_init 0
		.amdhsa_user_sgpr_kernarg_preload_length 0
		.amdhsa_user_sgpr_kernarg_preload_offset 0
		.amdhsa_user_sgpr_private_segment_size 0
		.amdhsa_uses_dynamic_stack 0
		.amdhsa_system_sgpr_private_segment_wavefront_offset 0
		.amdhsa_system_sgpr_workgroup_id_x 1
		.amdhsa_system_sgpr_workgroup_id_y 0
		.amdhsa_system_sgpr_workgroup_id_z 0
		.amdhsa_system_sgpr_workgroup_info 0
		.amdhsa_system_vgpr_workitem_id 0
		.amdhsa_next_free_vgpr 1
		.amdhsa_next_free_sgpr 0
		.amdhsa_accum_offset 4
		.amdhsa_reserve_vcc 0
		.amdhsa_reserve_flat_scratch 0
		.amdhsa_float_round_mode_32 0
		.amdhsa_float_round_mode_16_64 0
		.amdhsa_float_denorm_mode_32 3
		.amdhsa_float_denorm_mode_16_64 3
		.amdhsa_dx10_clamp 1
		.amdhsa_ieee_mode 1
		.amdhsa_fp16_overflow 0
		.amdhsa_tg_split 0
		.amdhsa_exception_fp_ieee_invalid_op 0
		.amdhsa_exception_fp_denorm_src 0
		.amdhsa_exception_fp_ieee_div_zero 0
		.amdhsa_exception_fp_ieee_overflow 0
		.amdhsa_exception_fp_ieee_underflow 0
		.amdhsa_exception_fp_ieee_inexact 0
		.amdhsa_exception_int_div_zero 0
	.end_amdhsa_kernel
	.section	.text._ZN7rocprim17ROCPRIM_400000_NS6detail17trampoline_kernelINS0_13kernel_configILj256ELj4ELj4294967295EEENS1_37radix_sort_block_sort_config_selectorIiNS0_10empty_typeEEEZNS1_21radix_sort_block_sortIS4_Lb0EPiS9_PS6_SA_NS0_19identity_decomposerEEE10hipError_tT1_T2_T3_T4_jRjT5_jjP12ihipStream_tbEUlT_E_NS1_11comp_targetILNS1_3genE5ELNS1_11target_archE942ELNS1_3gpuE9ELNS1_3repE0EEENS1_44radix_sort_block_sort_config_static_selectorELNS0_4arch9wavefront6targetE1EEEvSD_,"axG",@progbits,_ZN7rocprim17ROCPRIM_400000_NS6detail17trampoline_kernelINS0_13kernel_configILj256ELj4ELj4294967295EEENS1_37radix_sort_block_sort_config_selectorIiNS0_10empty_typeEEEZNS1_21radix_sort_block_sortIS4_Lb0EPiS9_PS6_SA_NS0_19identity_decomposerEEE10hipError_tT1_T2_T3_T4_jRjT5_jjP12ihipStream_tbEUlT_E_NS1_11comp_targetILNS1_3genE5ELNS1_11target_archE942ELNS1_3gpuE9ELNS1_3repE0EEENS1_44radix_sort_block_sort_config_static_selectorELNS0_4arch9wavefront6targetE1EEEvSD_,comdat
.Lfunc_end559:
	.size	_ZN7rocprim17ROCPRIM_400000_NS6detail17trampoline_kernelINS0_13kernel_configILj256ELj4ELj4294967295EEENS1_37radix_sort_block_sort_config_selectorIiNS0_10empty_typeEEEZNS1_21radix_sort_block_sortIS4_Lb0EPiS9_PS6_SA_NS0_19identity_decomposerEEE10hipError_tT1_T2_T3_T4_jRjT5_jjP12ihipStream_tbEUlT_E_NS1_11comp_targetILNS1_3genE5ELNS1_11target_archE942ELNS1_3gpuE9ELNS1_3repE0EEENS1_44radix_sort_block_sort_config_static_selectorELNS0_4arch9wavefront6targetE1EEEvSD_, .Lfunc_end559-_ZN7rocprim17ROCPRIM_400000_NS6detail17trampoline_kernelINS0_13kernel_configILj256ELj4ELj4294967295EEENS1_37radix_sort_block_sort_config_selectorIiNS0_10empty_typeEEEZNS1_21radix_sort_block_sortIS4_Lb0EPiS9_PS6_SA_NS0_19identity_decomposerEEE10hipError_tT1_T2_T3_T4_jRjT5_jjP12ihipStream_tbEUlT_E_NS1_11comp_targetILNS1_3genE5ELNS1_11target_archE942ELNS1_3gpuE9ELNS1_3repE0EEENS1_44radix_sort_block_sort_config_static_selectorELNS0_4arch9wavefront6targetE1EEEvSD_
                                        ; -- End function
	.section	.AMDGPU.csdata,"",@progbits
; Kernel info:
; codeLenInByte = 0
; NumSgprs: 4
; NumVgprs: 0
; NumAgprs: 0
; TotalNumVgprs: 0
; ScratchSize: 0
; MemoryBound: 0
; FloatMode: 240
; IeeeMode: 1
; LDSByteSize: 0 bytes/workgroup (compile time only)
; SGPRBlocks: 0
; VGPRBlocks: 0
; NumSGPRsForWavesPerEU: 4
; NumVGPRsForWavesPerEU: 1
; AccumOffset: 4
; Occupancy: 8
; WaveLimiterHint : 0
; COMPUTE_PGM_RSRC2:SCRATCH_EN: 0
; COMPUTE_PGM_RSRC2:USER_SGPR: 6
; COMPUTE_PGM_RSRC2:TRAP_HANDLER: 0
; COMPUTE_PGM_RSRC2:TGID_X_EN: 1
; COMPUTE_PGM_RSRC2:TGID_Y_EN: 0
; COMPUTE_PGM_RSRC2:TGID_Z_EN: 0
; COMPUTE_PGM_RSRC2:TIDIG_COMP_CNT: 0
; COMPUTE_PGM_RSRC3_GFX90A:ACCUM_OFFSET: 0
; COMPUTE_PGM_RSRC3_GFX90A:TG_SPLIT: 0
	.section	.text._ZN7rocprim17ROCPRIM_400000_NS6detail17trampoline_kernelINS0_13kernel_configILj256ELj4ELj4294967295EEENS1_37radix_sort_block_sort_config_selectorIiNS0_10empty_typeEEEZNS1_21radix_sort_block_sortIS4_Lb0EPiS9_PS6_SA_NS0_19identity_decomposerEEE10hipError_tT1_T2_T3_T4_jRjT5_jjP12ihipStream_tbEUlT_E_NS1_11comp_targetILNS1_3genE4ELNS1_11target_archE910ELNS1_3gpuE8ELNS1_3repE0EEENS1_44radix_sort_block_sort_config_static_selectorELNS0_4arch9wavefront6targetE1EEEvSD_,"axG",@progbits,_ZN7rocprim17ROCPRIM_400000_NS6detail17trampoline_kernelINS0_13kernel_configILj256ELj4ELj4294967295EEENS1_37radix_sort_block_sort_config_selectorIiNS0_10empty_typeEEEZNS1_21radix_sort_block_sortIS4_Lb0EPiS9_PS6_SA_NS0_19identity_decomposerEEE10hipError_tT1_T2_T3_T4_jRjT5_jjP12ihipStream_tbEUlT_E_NS1_11comp_targetILNS1_3genE4ELNS1_11target_archE910ELNS1_3gpuE8ELNS1_3repE0EEENS1_44radix_sort_block_sort_config_static_selectorELNS0_4arch9wavefront6targetE1EEEvSD_,comdat
	.protected	_ZN7rocprim17ROCPRIM_400000_NS6detail17trampoline_kernelINS0_13kernel_configILj256ELj4ELj4294967295EEENS1_37radix_sort_block_sort_config_selectorIiNS0_10empty_typeEEEZNS1_21radix_sort_block_sortIS4_Lb0EPiS9_PS6_SA_NS0_19identity_decomposerEEE10hipError_tT1_T2_T3_T4_jRjT5_jjP12ihipStream_tbEUlT_E_NS1_11comp_targetILNS1_3genE4ELNS1_11target_archE910ELNS1_3gpuE8ELNS1_3repE0EEENS1_44radix_sort_block_sort_config_static_selectorELNS0_4arch9wavefront6targetE1EEEvSD_ ; -- Begin function _ZN7rocprim17ROCPRIM_400000_NS6detail17trampoline_kernelINS0_13kernel_configILj256ELj4ELj4294967295EEENS1_37radix_sort_block_sort_config_selectorIiNS0_10empty_typeEEEZNS1_21radix_sort_block_sortIS4_Lb0EPiS9_PS6_SA_NS0_19identity_decomposerEEE10hipError_tT1_T2_T3_T4_jRjT5_jjP12ihipStream_tbEUlT_E_NS1_11comp_targetILNS1_3genE4ELNS1_11target_archE910ELNS1_3gpuE8ELNS1_3repE0EEENS1_44radix_sort_block_sort_config_static_selectorELNS0_4arch9wavefront6targetE1EEEvSD_
	.globl	_ZN7rocprim17ROCPRIM_400000_NS6detail17trampoline_kernelINS0_13kernel_configILj256ELj4ELj4294967295EEENS1_37radix_sort_block_sort_config_selectorIiNS0_10empty_typeEEEZNS1_21radix_sort_block_sortIS4_Lb0EPiS9_PS6_SA_NS0_19identity_decomposerEEE10hipError_tT1_T2_T3_T4_jRjT5_jjP12ihipStream_tbEUlT_E_NS1_11comp_targetILNS1_3genE4ELNS1_11target_archE910ELNS1_3gpuE8ELNS1_3repE0EEENS1_44radix_sort_block_sort_config_static_selectorELNS0_4arch9wavefront6targetE1EEEvSD_
	.p2align	8
	.type	_ZN7rocprim17ROCPRIM_400000_NS6detail17trampoline_kernelINS0_13kernel_configILj256ELj4ELj4294967295EEENS1_37radix_sort_block_sort_config_selectorIiNS0_10empty_typeEEEZNS1_21radix_sort_block_sortIS4_Lb0EPiS9_PS6_SA_NS0_19identity_decomposerEEE10hipError_tT1_T2_T3_T4_jRjT5_jjP12ihipStream_tbEUlT_E_NS1_11comp_targetILNS1_3genE4ELNS1_11target_archE910ELNS1_3gpuE8ELNS1_3repE0EEENS1_44radix_sort_block_sort_config_static_selectorELNS0_4arch9wavefront6targetE1EEEvSD_,@function
_ZN7rocprim17ROCPRIM_400000_NS6detail17trampoline_kernelINS0_13kernel_configILj256ELj4ELj4294967295EEENS1_37radix_sort_block_sort_config_selectorIiNS0_10empty_typeEEEZNS1_21radix_sort_block_sortIS4_Lb0EPiS9_PS6_SA_NS0_19identity_decomposerEEE10hipError_tT1_T2_T3_T4_jRjT5_jjP12ihipStream_tbEUlT_E_NS1_11comp_targetILNS1_3genE4ELNS1_11target_archE910ELNS1_3gpuE8ELNS1_3repE0EEENS1_44radix_sort_block_sort_config_static_selectorELNS0_4arch9wavefront6targetE1EEEvSD_: ; @_ZN7rocprim17ROCPRIM_400000_NS6detail17trampoline_kernelINS0_13kernel_configILj256ELj4ELj4294967295EEENS1_37radix_sort_block_sort_config_selectorIiNS0_10empty_typeEEEZNS1_21radix_sort_block_sortIS4_Lb0EPiS9_PS6_SA_NS0_19identity_decomposerEEE10hipError_tT1_T2_T3_T4_jRjT5_jjP12ihipStream_tbEUlT_E_NS1_11comp_targetILNS1_3genE4ELNS1_11target_archE910ELNS1_3gpuE8ELNS1_3repE0EEENS1_44radix_sort_block_sort_config_static_selectorELNS0_4arch9wavefront6targetE1EEEvSD_
; %bb.0:
	s_load_dword s7, s[4:5], 0x20
	s_load_dwordx4 s[28:31], s[4:5], 0x0
	s_lshl_b32 s0, s6, 10
	s_mov_b32 s1, 0
	v_mbcnt_lo_u32_b32 v1, -1, 0
	s_waitcnt lgkmcnt(0)
	s_lshr_b32 s2, s7, 10
	s_cmp_lg_u32 s6, s2
	s_cselect_b64 s[34:35], -1, 0
	s_lshl_b64 s[36:37], s[0:1], 2
	v_mbcnt_hi_u32_b32 v1, -1, v1
	v_and_b32_e32 v6, 0x3ff, v0
	s_add_u32 s1, s28, s36
	v_and_b32_e32 v10, 63, v1
	s_addc_u32 s3, s29, s37
	v_lshlrev_b32_e32 v7, 2, v6
	v_lshlrev_b32_e32 v2, 2, v10
	v_and_b32_e32 v11, 0x300, v7
	v_mov_b32_e32 v3, s3
	v_add_co_u32_e32 v2, vcc, s1, v2
	v_addc_co_u32_e32 v3, vcc, 0, v3, vcc
	v_lshlrev_b32_e32 v4, 2, v11
	v_add_co_u32_e32 v8, vcc, v2, v4
	s_cmp_eq_u32 s6, s2
	v_addc_co_u32_e32 v9, vcc, 0, v3, vcc
	v_or_b32_e32 v12, v10, v11
	s_cbranch_scc1 .LBB560_2
; %bb.1:
	global_load_dword v2, v[8:9], off
	global_load_dword v3, v[8:9], off offset:256
	global_load_dword v4, v[8:9], off offset:512
	;; [unrolled: 1-line block ×3, first 2 shown]
	v_or_b32_e32 v18, v10, v11
	v_or_b32_e32 v10, 64, v18
	v_or_b32_e32 v11, 0x80, v18
	v_or_b32_e32 v21, 0xc0, v18
	s_load_dwordx2 s[28:29], s[4:5], 0x28
	s_sub_i32 s33, s7, s0
	s_cbranch_execz .LBB560_3
	s_branch .LBB560_12
.LBB560_2:
                                        ; implicit-def: $vgpr2_vgpr3_vgpr4_vgpr5
                                        ; implicit-def: $vgpr18
                                        ; implicit-def: $vgpr10
                                        ; implicit-def: $vgpr11
                                        ; implicit-def: $vgpr21
	s_load_dwordx2 s[28:29], s[4:5], 0x28
	s_sub_i32 s33, s7, s0
.LBB560_3:
	s_brev_b32 s0, -2
	s_mov_b32 s2, s0
	s_mov_b32 s3, s0
	;; [unrolled: 1-line block ×3, first 2 shown]
	s_waitcnt vmcnt(0)
	v_pk_mov_b32 v[4:5], s[2:3], s[2:3] op_sel:[0,1]
	v_cmp_gt_u32_e32 vcc, s33, v12
	v_pk_mov_b32 v[2:3], s[0:1], s[0:1] op_sel:[0,1]
	s_and_saveexec_b64 s[0:1], vcc
	s_cbranch_execz .LBB560_5
; %bb.4:
	global_load_dword v2, v[8:9], off
	v_bfrev_b32_e32 v3, -2
	v_mov_b32_e32 v4, v3
	v_mov_b32_e32 v5, v3
.LBB560_5:
	s_or_b64 exec, exec, s[0:1]
	v_or_b32_e32 v10, 64, v12
	v_cmp_gt_u32_e32 vcc, s33, v10
	s_and_saveexec_b64 s[0:1], vcc
	s_cbranch_execz .LBB560_7
; %bb.6:
	global_load_dword v3, v[8:9], off offset:256
.LBB560_7:
	s_or_b64 exec, exec, s[0:1]
	v_or_b32_e32 v11, 0x80, v12
	v_cmp_gt_u32_e32 vcc, s33, v11
	s_and_saveexec_b64 s[0:1], vcc
	s_cbranch_execz .LBB560_9
; %bb.8:
	global_load_dword v4, v[8:9], off offset:512
.LBB560_9:
	;; [unrolled: 8-line block ×3, first 2 shown]
	s_or_b64 exec, exec, s[0:1]
	v_mov_b32_e32 v18, v12
.LBB560_12:
	s_load_dword s2, s[4:5], 0x3c
	s_waitcnt lgkmcnt(0)
	s_add_i32 s38, s29, s28
	s_getpc_b64 s[0:1]
	s_add_u32 s0, s0, _ZN7rocprim17ROCPRIM_400000_NS16block_radix_sortIiLj256ELj4ENS0_10empty_typeELj1ELj1ELj0ELNS0_26block_radix_rank_algorithmE1ELNS0_18block_padding_hintE2ELNS0_4arch9wavefront6targetE1EE19radix_bits_per_passE@rel32@lo+4
	s_addc_u32 s1, s1, _ZN7rocprim17ROCPRIM_400000_NS16block_radix_sortIiLj256ELj4ENS0_10empty_typeELj1ELj1ELj0ELNS0_26block_radix_rank_algorithmE1ELNS0_18block_padding_hintE2ELNS0_4arch9wavefront6targetE1EE19radix_bits_per_passE@rel32@hi+12
	s_waitcnt vmcnt(0)
	v_xor_b32_e32 v26, 0x80000000, v4
	s_load_dword s39, s[0:1], 0x0
	s_lshr_b32 s0, s2, 16
	v_bfe_u32 v4, v0, 10, 10
	v_bfe_u32 v0, v0, 20, 10
	s_and_b32 s1, s2, 0xffff
	v_mad_u32_u24 v0, v0, s0, v4
	v_xor_b32_e32 v27, 0x80000000, v5
	v_mad_u64_u32 v[4:5], s[0:1], v0, s1, v[6:7]
	v_and_b32_e32 v0, 15, v1
	v_cmp_eq_u32_e64 s[0:1], 0, v0
	v_cmp_lt_u32_e64 s[2:3], 1, v0
	v_cmp_lt_u32_e64 s[4:5], 3, v0
	;; [unrolled: 1-line block ×3, first 2 shown]
	v_and_b32_e32 v0, 16, v1
	v_cmp_eq_u32_e64 s[8:9], 0, v0
	v_and_b32_e32 v0, 0x3c0, v6
	v_min_u32_e32 v0, 0xc0, v0
	v_or_b32_e32 v0, 63, v0
	v_lshrrev_b32_e32 v13, 6, v4
	v_cmp_eq_u32_e64 s[12:13], v0, v6
	v_add_u32_e32 v0, -1, v1
	v_and_b32_e32 v4, 64, v1
	v_cmp_lt_i32_e32 vcc, v0, v4
	v_cndmask_b32_e32 v0, v0, v1, vcc
	s_mov_b32 s26, 0
	v_lshlrev_b32_e32 v15, 2, v0
	v_lshrrev_b32_e32 v0, 4, v6
	v_and_b32_e32 v16, 60, v0
	v_and_b32_e32 v0, 3, v1
	s_mov_b32 s27, s26
	s_mov_b32 s40, s26
	;; [unrolled: 1-line block ×3, first 2 shown]
	v_xor_b32_e32 v2, 0x80000000, v2
	v_xor_b32_e32 v3, 0x80000000, v3
	v_lshlrev_b32_e32 v12, 2, v7
	v_cmp_lt_u32_e64 s[10:11], 31, v1
	v_cmp_gt_u32_e64 s[14:15], 4, v6
	v_cmp_lt_u32_e64 s[16:17], 63, v6
	v_cmp_eq_u32_e64 s[18:19], 0, v1
	v_cmp_eq_u32_e64 s[20:21], 0, v6
	v_mul_i32_i24_e32 v14, -12, v6
	v_cmp_eq_u32_e64 s[22:23], 0, v0
	v_cmp_lt_u32_e64 s[24:25], 1, v0
	v_add_u32_e32 v17, -4, v16
	v_lshlrev_b32_e32 v18, 2, v18
	v_lshlrev_b32_e32 v19, 2, v10
	;; [unrolled: 1-line block ×4, first 2 shown]
	v_pk_mov_b32 v[4:5], s[26:27], s[26:27] op_sel:[0,1]
	v_pk_mov_b32 v[8:9], s[40:41], s[40:41] op_sel:[0,1]
	v_mov_b32_e32 v10, 0
	s_branch .LBB560_14
.LBB560_13:                             ;   in Loop: Header=BB560_14 Depth=1
	s_barrier
	ds_write_b32 v0, v25
	ds_write_b32 v1, v24
	;; [unrolled: 1-line block ×4, first 2 shown]
	s_waitcnt lgkmcnt(0)
	s_barrier
	ds_read_b32 v2, v18
	ds_read_b32 v3, v19
	;; [unrolled: 1-line block ×4, first 2 shown]
	s_add_i32 s29, s29, -8
	s_waitcnt lgkmcnt(0)
	s_barrier
	s_cbranch_execz .LBB560_30
.LBB560_14:                             ; =>This Inner Loop Header: Depth=1
	s_waitcnt lgkmcnt(0)
	s_min_u32 s26, s39, s29
	v_mov_b32_e32 v25, v2
	s_lshl_b32 s26, -1, s26
	s_not_b32 s40, s26
	v_lshrrev_b32_e32 v0, s28, v25
	v_and_b32_e32 v0, s40, v0
	v_lshl_add_u32 v1, v0, 2, v13
	v_mov_b32_e32 v23, v26
	v_lshl_add_u32 v26, v1, 2, 16
	v_and_b32_e32 v1, 1, v0
	v_add_co_u32_e32 v2, vcc, -1, v1
	v_mov_b32_e32 v24, v3
	v_addc_co_u32_e64 v3, s[26:27], 0, -1, vcc
	v_cmp_ne_u32_e32 vcc, 0, v1
	v_lshlrev_b32_e32 v11, 30, v0
	v_xor_b32_e32 v1, vcc_hi, v3
	v_not_b32_e32 v3, v11
	v_xor_b32_e32 v2, vcc_lo, v2
	v_cmp_gt_i64_e32 vcc, 0, v[10:11]
	v_ashrrev_i32_e32 v3, 31, v3
	v_and_b32_e32 v1, exec_hi, v1
	v_xor_b32_e32 v11, vcc_hi, v3
	v_and_b32_e32 v2, exec_lo, v2
	v_xor_b32_e32 v3, vcc_lo, v3
	v_and_b32_e32 v1, v1, v11
	v_lshlrev_b32_e32 v11, 29, v0
	v_and_b32_e32 v2, v2, v3
	v_not_b32_e32 v3, v11
	v_cmp_gt_i64_e32 vcc, 0, v[10:11]
	v_ashrrev_i32_e32 v3, 31, v3
	v_xor_b32_e32 v11, vcc_hi, v3
	v_xor_b32_e32 v3, vcc_lo, v3
	v_and_b32_e32 v1, v1, v11
	v_lshlrev_b32_e32 v11, 28, v0
	v_and_b32_e32 v2, v2, v3
	v_not_b32_e32 v3, v11
	v_cmp_gt_i64_e32 vcc, 0, v[10:11]
	v_ashrrev_i32_e32 v3, 31, v3
	v_xor_b32_e32 v11, vcc_hi, v3
	;; [unrolled: 8-line block ×5, first 2 shown]
	v_and_b32_e32 v1, v1, v11
	v_lshlrev_b32_e32 v11, 24, v0
	v_not_b32_e32 v0, v11
	v_xor_b32_e32 v3, vcc_lo, v3
	v_cmp_gt_i64_e32 vcc, 0, v[10:11]
	v_ashrrev_i32_e32 v0, 31, v0
	v_and_b32_e32 v2, v2, v3
	v_xor_b32_e32 v3, vcc_hi, v0
	v_xor_b32_e32 v0, vcc_lo, v0
	v_and_b32_e32 v0, v2, v0
	v_and_b32_e32 v1, v1, v3
	v_mbcnt_lo_u32_b32 v2, v0, 0
	v_mov_b32_e32 v22, v27
	v_mbcnt_hi_u32_b32 v27, v1, v2
	v_cmp_eq_u32_e32 vcc, 0, v27
	v_cmp_ne_u64_e64 s[26:27], 0, v[0:1]
	s_and_b64 s[42:43], s[26:27], vcc
	ds_write2_b64 v12, v[4:5], v[8:9] offset0:2 offset1:3
	s_waitcnt lgkmcnt(0)
	s_barrier
	s_waitcnt lgkmcnt(0)
	; wave barrier
	s_and_saveexec_b64 s[26:27], s[42:43]
	s_cbranch_execz .LBB560_16
; %bb.15:                               ;   in Loop: Header=BB560_14 Depth=1
	v_bcnt_u32_b32 v0, v0, 0
	v_bcnt_u32_b32 v0, v1, v0
	ds_write_b32 v26, v0
.LBB560_16:                             ;   in Loop: Header=BB560_14 Depth=1
	s_or_b64 exec, exec, s[26:27]
	v_lshrrev_b32_e32 v0, s28, v24
	v_and_b32_e32 v0, s40, v0
	v_lshlrev_b32_e32 v1, 2, v0
	v_add_lshl_u32 v1, v1, v13, 2
	; wave barrier
	v_add_u32_e32 v29, 16, v1
	ds_read_b32 v28, v1 offset:16
	v_and_b32_e32 v1, 1, v0
	v_add_co_u32_e32 v2, vcc, -1, v1
	v_addc_co_u32_e64 v3, s[26:27], 0, -1, vcc
	v_cmp_ne_u32_e32 vcc, 0, v1
	v_lshlrev_b32_e32 v11, 30, v0
	v_xor_b32_e32 v1, vcc_hi, v3
	v_not_b32_e32 v3, v11
	v_xor_b32_e32 v2, vcc_lo, v2
	v_cmp_gt_i64_e32 vcc, 0, v[10:11]
	v_ashrrev_i32_e32 v3, 31, v3
	v_and_b32_e32 v1, exec_hi, v1
	v_xor_b32_e32 v11, vcc_hi, v3
	v_and_b32_e32 v2, exec_lo, v2
	v_xor_b32_e32 v3, vcc_lo, v3
	v_and_b32_e32 v1, v1, v11
	v_lshlrev_b32_e32 v11, 29, v0
	v_and_b32_e32 v2, v2, v3
	v_not_b32_e32 v3, v11
	v_cmp_gt_i64_e32 vcc, 0, v[10:11]
	v_ashrrev_i32_e32 v3, 31, v3
	v_xor_b32_e32 v11, vcc_hi, v3
	v_xor_b32_e32 v3, vcc_lo, v3
	v_and_b32_e32 v1, v1, v11
	v_lshlrev_b32_e32 v11, 28, v0
	v_and_b32_e32 v2, v2, v3
	v_not_b32_e32 v3, v11
	v_cmp_gt_i64_e32 vcc, 0, v[10:11]
	v_ashrrev_i32_e32 v3, 31, v3
	v_xor_b32_e32 v11, vcc_hi, v3
	;; [unrolled: 8-line block ×5, first 2 shown]
	v_and_b32_e32 v1, v1, v11
	v_lshlrev_b32_e32 v11, 24, v0
	v_not_b32_e32 v0, v11
	v_xor_b32_e32 v3, vcc_lo, v3
	v_cmp_gt_i64_e32 vcc, 0, v[10:11]
	v_ashrrev_i32_e32 v0, 31, v0
	v_and_b32_e32 v2, v2, v3
	v_xor_b32_e32 v3, vcc_hi, v0
	v_xor_b32_e32 v0, vcc_lo, v0
	v_and_b32_e32 v0, v2, v0
	v_and_b32_e32 v1, v1, v3
	v_mbcnt_lo_u32_b32 v2, v0, 0
	v_mbcnt_hi_u32_b32 v30, v1, v2
	v_cmp_eq_u32_e32 vcc, 0, v30
	v_cmp_ne_u64_e64 s[26:27], 0, v[0:1]
	s_and_b64 s[42:43], s[26:27], vcc
	; wave barrier
	s_and_saveexec_b64 s[26:27], s[42:43]
	s_cbranch_execz .LBB560_18
; %bb.17:                               ;   in Loop: Header=BB560_14 Depth=1
	v_bcnt_u32_b32 v0, v0, 0
	v_bcnt_u32_b32 v0, v1, v0
	s_waitcnt lgkmcnt(0)
	v_add_u32_e32 v0, v28, v0
	ds_write_b32 v29, v0
.LBB560_18:                             ;   in Loop: Header=BB560_14 Depth=1
	s_or_b64 exec, exec, s[26:27]
	v_lshrrev_b32_e32 v0, s28, v23
	v_and_b32_e32 v0, s40, v0
	v_lshlrev_b32_e32 v1, 2, v0
	v_add_lshl_u32 v1, v1, v13, 2
	; wave barrier
	v_add_u32_e32 v32, 16, v1
	ds_read_b32 v31, v1 offset:16
	v_and_b32_e32 v1, 1, v0
	v_add_co_u32_e32 v2, vcc, -1, v1
	v_addc_co_u32_e64 v3, s[26:27], 0, -1, vcc
	v_cmp_ne_u32_e32 vcc, 0, v1
	v_lshlrev_b32_e32 v11, 30, v0
	v_xor_b32_e32 v1, vcc_hi, v3
	v_not_b32_e32 v3, v11
	v_xor_b32_e32 v2, vcc_lo, v2
	v_cmp_gt_i64_e32 vcc, 0, v[10:11]
	v_ashrrev_i32_e32 v3, 31, v3
	v_and_b32_e32 v1, exec_hi, v1
	v_xor_b32_e32 v11, vcc_hi, v3
	v_and_b32_e32 v2, exec_lo, v2
	v_xor_b32_e32 v3, vcc_lo, v3
	v_and_b32_e32 v1, v1, v11
	v_lshlrev_b32_e32 v11, 29, v0
	v_and_b32_e32 v2, v2, v3
	v_not_b32_e32 v3, v11
	v_cmp_gt_i64_e32 vcc, 0, v[10:11]
	v_ashrrev_i32_e32 v3, 31, v3
	v_xor_b32_e32 v11, vcc_hi, v3
	v_xor_b32_e32 v3, vcc_lo, v3
	v_and_b32_e32 v1, v1, v11
	v_lshlrev_b32_e32 v11, 28, v0
	v_and_b32_e32 v2, v2, v3
	v_not_b32_e32 v3, v11
	v_cmp_gt_i64_e32 vcc, 0, v[10:11]
	v_ashrrev_i32_e32 v3, 31, v3
	v_xor_b32_e32 v11, vcc_hi, v3
	;; [unrolled: 8-line block ×5, first 2 shown]
	v_and_b32_e32 v1, v1, v11
	v_lshlrev_b32_e32 v11, 24, v0
	v_not_b32_e32 v0, v11
	v_xor_b32_e32 v3, vcc_lo, v3
	v_cmp_gt_i64_e32 vcc, 0, v[10:11]
	v_ashrrev_i32_e32 v0, 31, v0
	v_and_b32_e32 v2, v2, v3
	v_xor_b32_e32 v3, vcc_hi, v0
	v_xor_b32_e32 v0, vcc_lo, v0
	v_and_b32_e32 v0, v2, v0
	v_and_b32_e32 v1, v1, v3
	v_mbcnt_lo_u32_b32 v2, v0, 0
	v_mbcnt_hi_u32_b32 v33, v1, v2
	v_cmp_eq_u32_e32 vcc, 0, v33
	v_cmp_ne_u64_e64 s[26:27], 0, v[0:1]
	s_and_b64 s[42:43], s[26:27], vcc
	; wave barrier
	s_and_saveexec_b64 s[26:27], s[42:43]
	s_cbranch_execz .LBB560_20
; %bb.19:                               ;   in Loop: Header=BB560_14 Depth=1
	v_bcnt_u32_b32 v0, v0, 0
	v_bcnt_u32_b32 v0, v1, v0
	s_waitcnt lgkmcnt(0)
	v_add_u32_e32 v0, v31, v0
	ds_write_b32 v32, v0
.LBB560_20:                             ;   in Loop: Header=BB560_14 Depth=1
	s_or_b64 exec, exec, s[26:27]
	v_lshrrev_b32_e32 v0, s28, v22
	v_and_b32_e32 v0, s40, v0
	v_lshlrev_b32_e32 v1, 2, v0
	v_add_lshl_u32 v1, v1, v13, 2
	; wave barrier
	v_add_u32_e32 v35, 16, v1
	ds_read_b32 v34, v1 offset:16
	v_and_b32_e32 v1, 1, v0
	v_add_co_u32_e32 v2, vcc, -1, v1
	v_addc_co_u32_e64 v3, s[26:27], 0, -1, vcc
	v_cmp_ne_u32_e32 vcc, 0, v1
	v_lshlrev_b32_e32 v11, 30, v0
	v_xor_b32_e32 v1, vcc_hi, v3
	v_not_b32_e32 v3, v11
	v_xor_b32_e32 v2, vcc_lo, v2
	v_cmp_gt_i64_e32 vcc, 0, v[10:11]
	v_ashrrev_i32_e32 v3, 31, v3
	v_and_b32_e32 v1, exec_hi, v1
	v_xor_b32_e32 v11, vcc_hi, v3
	v_and_b32_e32 v2, exec_lo, v2
	v_xor_b32_e32 v3, vcc_lo, v3
	v_and_b32_e32 v1, v1, v11
	v_lshlrev_b32_e32 v11, 29, v0
	v_and_b32_e32 v2, v2, v3
	v_not_b32_e32 v3, v11
	v_cmp_gt_i64_e32 vcc, 0, v[10:11]
	v_ashrrev_i32_e32 v3, 31, v3
	v_xor_b32_e32 v11, vcc_hi, v3
	v_xor_b32_e32 v3, vcc_lo, v3
	v_and_b32_e32 v1, v1, v11
	v_lshlrev_b32_e32 v11, 28, v0
	v_and_b32_e32 v2, v2, v3
	v_not_b32_e32 v3, v11
	v_cmp_gt_i64_e32 vcc, 0, v[10:11]
	v_ashrrev_i32_e32 v3, 31, v3
	v_xor_b32_e32 v11, vcc_hi, v3
	;; [unrolled: 8-line block ×5, first 2 shown]
	v_and_b32_e32 v1, v1, v11
	v_lshlrev_b32_e32 v11, 24, v0
	v_not_b32_e32 v0, v11
	v_xor_b32_e32 v3, vcc_lo, v3
	v_cmp_gt_i64_e32 vcc, 0, v[10:11]
	v_ashrrev_i32_e32 v0, 31, v0
	v_and_b32_e32 v2, v2, v3
	v_xor_b32_e32 v3, vcc_hi, v0
	v_xor_b32_e32 v0, vcc_lo, v0
	v_and_b32_e32 v0, v2, v0
	v_and_b32_e32 v1, v1, v3
	v_mbcnt_lo_u32_b32 v2, v0, 0
	v_mbcnt_hi_u32_b32 v11, v1, v2
	v_cmp_eq_u32_e32 vcc, 0, v11
	v_cmp_ne_u64_e64 s[26:27], 0, v[0:1]
	s_and_b64 s[40:41], s[26:27], vcc
	; wave barrier
	s_and_saveexec_b64 s[26:27], s[40:41]
	s_cbranch_execz .LBB560_22
; %bb.21:                               ;   in Loop: Header=BB560_14 Depth=1
	v_bcnt_u32_b32 v0, v0, 0
	v_bcnt_u32_b32 v0, v1, v0
	s_waitcnt lgkmcnt(0)
	v_add_u32_e32 v0, v34, v0
	ds_write_b32 v35, v0
.LBB560_22:                             ;   in Loop: Header=BB560_14 Depth=1
	s_or_b64 exec, exec, s[26:27]
	; wave barrier
	s_waitcnt lgkmcnt(0)
	s_barrier
	ds_read2_b64 v[0:3], v12 offset0:2 offset1:3
	s_waitcnt lgkmcnt(0)
	v_add_u32_e32 v36, v1, v0
	v_add3_u32 v3, v36, v2, v3
	s_nop 1
	v_mov_b32_dpp v36, v3 row_shr:1 row_mask:0xf bank_mask:0xf
	v_cndmask_b32_e64 v36, v36, 0, s[0:1]
	v_add_u32_e32 v3, v36, v3
	s_nop 1
	v_mov_b32_dpp v36, v3 row_shr:2 row_mask:0xf bank_mask:0xf
	v_cndmask_b32_e64 v36, 0, v36, s[2:3]
	v_add_u32_e32 v3, v3, v36
	;; [unrolled: 4-line block ×4, first 2 shown]
	s_nop 1
	v_mov_b32_dpp v36, v3 row_bcast:15 row_mask:0xf bank_mask:0xf
	v_cndmask_b32_e64 v36, v36, 0, s[8:9]
	v_add_u32_e32 v3, v3, v36
	s_nop 1
	v_mov_b32_dpp v36, v3 row_bcast:31 row_mask:0xf bank_mask:0xf
	v_cndmask_b32_e64 v36, 0, v36, s[10:11]
	v_add_u32_e32 v3, v3, v36
	s_and_saveexec_b64 s[26:27], s[12:13]
	s_cbranch_execz .LBB560_24
; %bb.23:                               ;   in Loop: Header=BB560_14 Depth=1
	ds_write_b32 v16, v3
.LBB560_24:                             ;   in Loop: Header=BB560_14 Depth=1
	s_or_b64 exec, exec, s[26:27]
	s_waitcnt lgkmcnt(0)
	s_barrier
	s_and_saveexec_b64 s[26:27], s[14:15]
	s_cbranch_execz .LBB560_26
; %bb.25:                               ;   in Loop: Header=BB560_14 Depth=1
	v_add_u32_e32 v36, v12, v14
	ds_read_b32 v37, v36
	s_waitcnt lgkmcnt(0)
	s_nop 0
	v_mov_b32_dpp v38, v37 row_shr:1 row_mask:0xf bank_mask:0xf
	v_cndmask_b32_e64 v38, v38, 0, s[22:23]
	v_add_u32_e32 v37, v38, v37
	s_nop 1
	v_mov_b32_dpp v38, v37 row_shr:2 row_mask:0xf bank_mask:0xf
	v_cndmask_b32_e64 v38, 0, v38, s[24:25]
	v_add_u32_e32 v37, v37, v38
	ds_write_b32 v36, v37
.LBB560_26:                             ;   in Loop: Header=BB560_14 Depth=1
	s_or_b64 exec, exec, s[26:27]
	v_mov_b32_e32 v36, 0
	s_waitcnt lgkmcnt(0)
	s_barrier
	s_and_saveexec_b64 s[26:27], s[16:17]
	s_cbranch_execz .LBB560_28
; %bb.27:                               ;   in Loop: Header=BB560_14 Depth=1
	ds_read_b32 v36, v17
.LBB560_28:                             ;   in Loop: Header=BB560_14 Depth=1
	s_or_b64 exec, exec, s[26:27]
	s_waitcnt lgkmcnt(0)
	v_add_u32_e32 v3, v36, v3
	ds_bpermute_b32 v3, v15, v3
	s_add_i32 s28, s28, 8
	s_cmp_ge_u32 s28, s38
	s_waitcnt lgkmcnt(0)
	v_cndmask_b32_e64 v3, v3, v36, s[18:19]
	v_cndmask_b32_e64 v36, v3, 0, s[20:21]
	v_add_u32_e32 v37, v36, v0
	v_add_u32_e32 v0, v37, v1
	;; [unrolled: 1-line block ×3, first 2 shown]
	ds_write2_b64 v12, v[36:37], v[0:1] offset0:2 offset1:3
	s_waitcnt lgkmcnt(0)
	s_barrier
	ds_read_b32 v0, v26
	ds_read_b32 v1, v29
	;; [unrolled: 1-line block ×4, first 2 shown]
	v_lshlrev_b32_e32 v26, 2, v27
	s_waitcnt lgkmcnt(3)
	v_lshl_add_u32 v0, v0, 2, v26
	v_lshlrev_b32_e32 v26, 2, v30
	v_lshlrev_b32_e32 v27, 2, v28
	s_waitcnt lgkmcnt(2)
	v_lshlrev_b32_e32 v1, 2, v1
	v_add3_u32 v1, v26, v27, v1
	v_lshlrev_b32_e32 v26, 2, v33
	v_lshlrev_b32_e32 v27, 2, v31
	s_waitcnt lgkmcnt(1)
	v_lshlrev_b32_e32 v2, 2, v2
	v_add3_u32 v28, v26, v27, v2
	v_lshlrev_b32_e32 v2, 2, v11
	v_lshlrev_b32_e32 v11, 2, v34
	s_waitcnt lgkmcnt(0)
	v_lshlrev_b32_e32 v3, 2, v3
	v_add3_u32 v11, v2, v11, v3
	s_cbranch_scc0 .LBB560_13
; %bb.29:
                                        ; implicit-def: $vgpr27
                                        ; implicit-def: $vgpr26
                                        ; implicit-def: $vgpr3
                                        ; implicit-def: $vgpr2
                                        ; implicit-def: $sgpr28
.LBB560_30:
	s_barrier
	ds_write_b32 v0, v25
	ds_write_b32 v1, v24
	;; [unrolled: 1-line block ×4, first 2 shown]
	v_add_u32_e32 v0, v12, v14
	s_waitcnt lgkmcnt(0)
	s_barrier
	ds_read_b32 v3, v0
	ds_read2st64_b32 v[0:1], v7 offset0:4 offset1:8
	ds_read_b32 v2, v7 offset:3072
	s_add_u32 s0, s30, s36
	s_addc_u32 s1, s31, s37
	s_waitcnt lgkmcnt(2)
	v_xor_b32_e32 v5, 0x80000000, v3
	s_waitcnt lgkmcnt(1)
	v_xor_b32_e32 v4, 0x80000000, v0
	v_xor_b32_e32 v3, 0x80000000, v1
	v_mov_b32_e32 v1, s1
	v_add_co_u32_e64 v0, s[0:1], s0, v7
	s_andn2_b64 vcc, exec, s[34:35]
	v_addc_co_u32_e64 v1, s[0:1], 0, v1, s[0:1]
	s_cbranch_vccnz .LBB560_32
; %bb.31:
	s_mov_b64 s[0:1], -1
	global_store_dword v[0:1], v5, off
	global_store_dword v[0:1], v4, off offset:1024
	global_store_dword v[0:1], v3, off offset:2048
	s_cbranch_execz .LBB560_33
	s_branch .LBB560_40
.LBB560_32:
	s_mov_b64 s[0:1], 0
.LBB560_33:
	v_cmp_gt_u32_e32 vcc, s33, v6
	s_and_saveexec_b64 s[0:1], vcc
	s_cbranch_execz .LBB560_35
; %bb.34:
	global_store_dword v[0:1], v5, off
.LBB560_35:
	s_or_b64 exec, exec, s[0:1]
	v_add_u32_e32 v5, 0x100, v6
	v_cmp_gt_u32_e32 vcc, s33, v5
	s_and_saveexec_b64 s[0:1], vcc
	s_cbranch_execz .LBB560_37
; %bb.36:
	global_store_dword v[0:1], v4, off offset:1024
.LBB560_37:
	s_or_b64 exec, exec, s[0:1]
	v_add_u32_e32 v4, 0x200, v6
	v_cmp_gt_u32_e32 vcc, s33, v4
	s_and_saveexec_b64 s[0:1], vcc
	s_cbranch_execz .LBB560_39
; %bb.38:
	global_store_dword v[0:1], v3, off offset:2048
.LBB560_39:
	s_or_b64 exec, exec, s[0:1]
	v_add_u32_e32 v3, 0x300, v6
	v_cmp_gt_u32_e64 s[0:1], s33, v3
.LBB560_40:
	s_and_saveexec_b64 s[2:3], s[0:1]
	s_cbranch_execnz .LBB560_42
; %bb.41:
	s_endpgm
.LBB560_42:
	s_waitcnt lgkmcnt(0)
	v_xor_b32_e32 v2, 0x80000000, v2
	global_store_dword v[0:1], v2, off offset:3072
	s_endpgm
	.section	.rodata,"a",@progbits
	.p2align	6, 0x0
	.amdhsa_kernel _ZN7rocprim17ROCPRIM_400000_NS6detail17trampoline_kernelINS0_13kernel_configILj256ELj4ELj4294967295EEENS1_37radix_sort_block_sort_config_selectorIiNS0_10empty_typeEEEZNS1_21radix_sort_block_sortIS4_Lb0EPiS9_PS6_SA_NS0_19identity_decomposerEEE10hipError_tT1_T2_T3_T4_jRjT5_jjP12ihipStream_tbEUlT_E_NS1_11comp_targetILNS1_3genE4ELNS1_11target_archE910ELNS1_3gpuE8ELNS1_3repE0EEENS1_44radix_sort_block_sort_config_static_selectorELNS0_4arch9wavefront6targetE1EEEvSD_
		.amdhsa_group_segment_fixed_size 4112
		.amdhsa_private_segment_fixed_size 0
		.amdhsa_kernarg_size 304
		.amdhsa_user_sgpr_count 6
		.amdhsa_user_sgpr_private_segment_buffer 1
		.amdhsa_user_sgpr_dispatch_ptr 0
		.amdhsa_user_sgpr_queue_ptr 0
		.amdhsa_user_sgpr_kernarg_segment_ptr 1
		.amdhsa_user_sgpr_dispatch_id 0
		.amdhsa_user_sgpr_flat_scratch_init 0
		.amdhsa_user_sgpr_kernarg_preload_length 0
		.amdhsa_user_sgpr_kernarg_preload_offset 0
		.amdhsa_user_sgpr_private_segment_size 0
		.amdhsa_uses_dynamic_stack 0
		.amdhsa_system_sgpr_private_segment_wavefront_offset 0
		.amdhsa_system_sgpr_workgroup_id_x 1
		.amdhsa_system_sgpr_workgroup_id_y 0
		.amdhsa_system_sgpr_workgroup_id_z 0
		.amdhsa_system_sgpr_workgroup_info 0
		.amdhsa_system_vgpr_workitem_id 2
		.amdhsa_next_free_vgpr 39
		.amdhsa_next_free_sgpr 44
		.amdhsa_accum_offset 40
		.amdhsa_reserve_vcc 1
		.amdhsa_reserve_flat_scratch 0
		.amdhsa_float_round_mode_32 0
		.amdhsa_float_round_mode_16_64 0
		.amdhsa_float_denorm_mode_32 3
		.amdhsa_float_denorm_mode_16_64 3
		.amdhsa_dx10_clamp 1
		.amdhsa_ieee_mode 1
		.amdhsa_fp16_overflow 0
		.amdhsa_tg_split 0
		.amdhsa_exception_fp_ieee_invalid_op 0
		.amdhsa_exception_fp_denorm_src 0
		.amdhsa_exception_fp_ieee_div_zero 0
		.amdhsa_exception_fp_ieee_overflow 0
		.amdhsa_exception_fp_ieee_underflow 0
		.amdhsa_exception_fp_ieee_inexact 0
		.amdhsa_exception_int_div_zero 0
	.end_amdhsa_kernel
	.section	.text._ZN7rocprim17ROCPRIM_400000_NS6detail17trampoline_kernelINS0_13kernel_configILj256ELj4ELj4294967295EEENS1_37radix_sort_block_sort_config_selectorIiNS0_10empty_typeEEEZNS1_21radix_sort_block_sortIS4_Lb0EPiS9_PS6_SA_NS0_19identity_decomposerEEE10hipError_tT1_T2_T3_T4_jRjT5_jjP12ihipStream_tbEUlT_E_NS1_11comp_targetILNS1_3genE4ELNS1_11target_archE910ELNS1_3gpuE8ELNS1_3repE0EEENS1_44radix_sort_block_sort_config_static_selectorELNS0_4arch9wavefront6targetE1EEEvSD_,"axG",@progbits,_ZN7rocprim17ROCPRIM_400000_NS6detail17trampoline_kernelINS0_13kernel_configILj256ELj4ELj4294967295EEENS1_37radix_sort_block_sort_config_selectorIiNS0_10empty_typeEEEZNS1_21radix_sort_block_sortIS4_Lb0EPiS9_PS6_SA_NS0_19identity_decomposerEEE10hipError_tT1_T2_T3_T4_jRjT5_jjP12ihipStream_tbEUlT_E_NS1_11comp_targetILNS1_3genE4ELNS1_11target_archE910ELNS1_3gpuE8ELNS1_3repE0EEENS1_44radix_sort_block_sort_config_static_selectorELNS0_4arch9wavefront6targetE1EEEvSD_,comdat
.Lfunc_end560:
	.size	_ZN7rocprim17ROCPRIM_400000_NS6detail17trampoline_kernelINS0_13kernel_configILj256ELj4ELj4294967295EEENS1_37radix_sort_block_sort_config_selectorIiNS0_10empty_typeEEEZNS1_21radix_sort_block_sortIS4_Lb0EPiS9_PS6_SA_NS0_19identity_decomposerEEE10hipError_tT1_T2_T3_T4_jRjT5_jjP12ihipStream_tbEUlT_E_NS1_11comp_targetILNS1_3genE4ELNS1_11target_archE910ELNS1_3gpuE8ELNS1_3repE0EEENS1_44radix_sort_block_sort_config_static_selectorELNS0_4arch9wavefront6targetE1EEEvSD_, .Lfunc_end560-_ZN7rocprim17ROCPRIM_400000_NS6detail17trampoline_kernelINS0_13kernel_configILj256ELj4ELj4294967295EEENS1_37radix_sort_block_sort_config_selectorIiNS0_10empty_typeEEEZNS1_21radix_sort_block_sortIS4_Lb0EPiS9_PS6_SA_NS0_19identity_decomposerEEE10hipError_tT1_T2_T3_T4_jRjT5_jjP12ihipStream_tbEUlT_E_NS1_11comp_targetILNS1_3genE4ELNS1_11target_archE910ELNS1_3gpuE8ELNS1_3repE0EEENS1_44radix_sort_block_sort_config_static_selectorELNS0_4arch9wavefront6targetE1EEEvSD_
                                        ; -- End function
	.section	.AMDGPU.csdata,"",@progbits
; Kernel info:
; codeLenInByte = 3184
; NumSgprs: 48
; NumVgprs: 39
; NumAgprs: 0
; TotalNumVgprs: 39
; ScratchSize: 0
; MemoryBound: 0
; FloatMode: 240
; IeeeMode: 1
; LDSByteSize: 4112 bytes/workgroup (compile time only)
; SGPRBlocks: 5
; VGPRBlocks: 4
; NumSGPRsForWavesPerEU: 48
; NumVGPRsForWavesPerEU: 39
; AccumOffset: 40
; Occupancy: 8
; WaveLimiterHint : 1
; COMPUTE_PGM_RSRC2:SCRATCH_EN: 0
; COMPUTE_PGM_RSRC2:USER_SGPR: 6
; COMPUTE_PGM_RSRC2:TRAP_HANDLER: 0
; COMPUTE_PGM_RSRC2:TGID_X_EN: 1
; COMPUTE_PGM_RSRC2:TGID_Y_EN: 0
; COMPUTE_PGM_RSRC2:TGID_Z_EN: 0
; COMPUTE_PGM_RSRC2:TIDIG_COMP_CNT: 2
; COMPUTE_PGM_RSRC3_GFX90A:ACCUM_OFFSET: 9
; COMPUTE_PGM_RSRC3_GFX90A:TG_SPLIT: 0
	.section	.text._ZN7rocprim17ROCPRIM_400000_NS6detail17trampoline_kernelINS0_13kernel_configILj256ELj4ELj4294967295EEENS1_37radix_sort_block_sort_config_selectorIiNS0_10empty_typeEEEZNS1_21radix_sort_block_sortIS4_Lb0EPiS9_PS6_SA_NS0_19identity_decomposerEEE10hipError_tT1_T2_T3_T4_jRjT5_jjP12ihipStream_tbEUlT_E_NS1_11comp_targetILNS1_3genE3ELNS1_11target_archE908ELNS1_3gpuE7ELNS1_3repE0EEENS1_44radix_sort_block_sort_config_static_selectorELNS0_4arch9wavefront6targetE1EEEvSD_,"axG",@progbits,_ZN7rocprim17ROCPRIM_400000_NS6detail17trampoline_kernelINS0_13kernel_configILj256ELj4ELj4294967295EEENS1_37radix_sort_block_sort_config_selectorIiNS0_10empty_typeEEEZNS1_21radix_sort_block_sortIS4_Lb0EPiS9_PS6_SA_NS0_19identity_decomposerEEE10hipError_tT1_T2_T3_T4_jRjT5_jjP12ihipStream_tbEUlT_E_NS1_11comp_targetILNS1_3genE3ELNS1_11target_archE908ELNS1_3gpuE7ELNS1_3repE0EEENS1_44radix_sort_block_sort_config_static_selectorELNS0_4arch9wavefront6targetE1EEEvSD_,comdat
	.protected	_ZN7rocprim17ROCPRIM_400000_NS6detail17trampoline_kernelINS0_13kernel_configILj256ELj4ELj4294967295EEENS1_37radix_sort_block_sort_config_selectorIiNS0_10empty_typeEEEZNS1_21radix_sort_block_sortIS4_Lb0EPiS9_PS6_SA_NS0_19identity_decomposerEEE10hipError_tT1_T2_T3_T4_jRjT5_jjP12ihipStream_tbEUlT_E_NS1_11comp_targetILNS1_3genE3ELNS1_11target_archE908ELNS1_3gpuE7ELNS1_3repE0EEENS1_44radix_sort_block_sort_config_static_selectorELNS0_4arch9wavefront6targetE1EEEvSD_ ; -- Begin function _ZN7rocprim17ROCPRIM_400000_NS6detail17trampoline_kernelINS0_13kernel_configILj256ELj4ELj4294967295EEENS1_37radix_sort_block_sort_config_selectorIiNS0_10empty_typeEEEZNS1_21radix_sort_block_sortIS4_Lb0EPiS9_PS6_SA_NS0_19identity_decomposerEEE10hipError_tT1_T2_T3_T4_jRjT5_jjP12ihipStream_tbEUlT_E_NS1_11comp_targetILNS1_3genE3ELNS1_11target_archE908ELNS1_3gpuE7ELNS1_3repE0EEENS1_44radix_sort_block_sort_config_static_selectorELNS0_4arch9wavefront6targetE1EEEvSD_
	.globl	_ZN7rocprim17ROCPRIM_400000_NS6detail17trampoline_kernelINS0_13kernel_configILj256ELj4ELj4294967295EEENS1_37radix_sort_block_sort_config_selectorIiNS0_10empty_typeEEEZNS1_21radix_sort_block_sortIS4_Lb0EPiS9_PS6_SA_NS0_19identity_decomposerEEE10hipError_tT1_T2_T3_T4_jRjT5_jjP12ihipStream_tbEUlT_E_NS1_11comp_targetILNS1_3genE3ELNS1_11target_archE908ELNS1_3gpuE7ELNS1_3repE0EEENS1_44radix_sort_block_sort_config_static_selectorELNS0_4arch9wavefront6targetE1EEEvSD_
	.p2align	8
	.type	_ZN7rocprim17ROCPRIM_400000_NS6detail17trampoline_kernelINS0_13kernel_configILj256ELj4ELj4294967295EEENS1_37radix_sort_block_sort_config_selectorIiNS0_10empty_typeEEEZNS1_21radix_sort_block_sortIS4_Lb0EPiS9_PS6_SA_NS0_19identity_decomposerEEE10hipError_tT1_T2_T3_T4_jRjT5_jjP12ihipStream_tbEUlT_E_NS1_11comp_targetILNS1_3genE3ELNS1_11target_archE908ELNS1_3gpuE7ELNS1_3repE0EEENS1_44radix_sort_block_sort_config_static_selectorELNS0_4arch9wavefront6targetE1EEEvSD_,@function
_ZN7rocprim17ROCPRIM_400000_NS6detail17trampoline_kernelINS0_13kernel_configILj256ELj4ELj4294967295EEENS1_37radix_sort_block_sort_config_selectorIiNS0_10empty_typeEEEZNS1_21radix_sort_block_sortIS4_Lb0EPiS9_PS6_SA_NS0_19identity_decomposerEEE10hipError_tT1_T2_T3_T4_jRjT5_jjP12ihipStream_tbEUlT_E_NS1_11comp_targetILNS1_3genE3ELNS1_11target_archE908ELNS1_3gpuE7ELNS1_3repE0EEENS1_44radix_sort_block_sort_config_static_selectorELNS0_4arch9wavefront6targetE1EEEvSD_: ; @_ZN7rocprim17ROCPRIM_400000_NS6detail17trampoline_kernelINS0_13kernel_configILj256ELj4ELj4294967295EEENS1_37radix_sort_block_sort_config_selectorIiNS0_10empty_typeEEEZNS1_21radix_sort_block_sortIS4_Lb0EPiS9_PS6_SA_NS0_19identity_decomposerEEE10hipError_tT1_T2_T3_T4_jRjT5_jjP12ihipStream_tbEUlT_E_NS1_11comp_targetILNS1_3genE3ELNS1_11target_archE908ELNS1_3gpuE7ELNS1_3repE0EEENS1_44radix_sort_block_sort_config_static_selectorELNS0_4arch9wavefront6targetE1EEEvSD_
; %bb.0:
	.section	.rodata,"a",@progbits
	.p2align	6, 0x0
	.amdhsa_kernel _ZN7rocprim17ROCPRIM_400000_NS6detail17trampoline_kernelINS0_13kernel_configILj256ELj4ELj4294967295EEENS1_37radix_sort_block_sort_config_selectorIiNS0_10empty_typeEEEZNS1_21radix_sort_block_sortIS4_Lb0EPiS9_PS6_SA_NS0_19identity_decomposerEEE10hipError_tT1_T2_T3_T4_jRjT5_jjP12ihipStream_tbEUlT_E_NS1_11comp_targetILNS1_3genE3ELNS1_11target_archE908ELNS1_3gpuE7ELNS1_3repE0EEENS1_44radix_sort_block_sort_config_static_selectorELNS0_4arch9wavefront6targetE1EEEvSD_
		.amdhsa_group_segment_fixed_size 0
		.amdhsa_private_segment_fixed_size 0
		.amdhsa_kernarg_size 48
		.amdhsa_user_sgpr_count 6
		.amdhsa_user_sgpr_private_segment_buffer 1
		.amdhsa_user_sgpr_dispatch_ptr 0
		.amdhsa_user_sgpr_queue_ptr 0
		.amdhsa_user_sgpr_kernarg_segment_ptr 1
		.amdhsa_user_sgpr_dispatch_id 0
		.amdhsa_user_sgpr_flat_scratch_init 0
		.amdhsa_user_sgpr_kernarg_preload_length 0
		.amdhsa_user_sgpr_kernarg_preload_offset 0
		.amdhsa_user_sgpr_private_segment_size 0
		.amdhsa_uses_dynamic_stack 0
		.amdhsa_system_sgpr_private_segment_wavefront_offset 0
		.amdhsa_system_sgpr_workgroup_id_x 1
		.amdhsa_system_sgpr_workgroup_id_y 0
		.amdhsa_system_sgpr_workgroup_id_z 0
		.amdhsa_system_sgpr_workgroup_info 0
		.amdhsa_system_vgpr_workitem_id 0
		.amdhsa_next_free_vgpr 1
		.amdhsa_next_free_sgpr 0
		.amdhsa_accum_offset 4
		.amdhsa_reserve_vcc 0
		.amdhsa_reserve_flat_scratch 0
		.amdhsa_float_round_mode_32 0
		.amdhsa_float_round_mode_16_64 0
		.amdhsa_float_denorm_mode_32 3
		.amdhsa_float_denorm_mode_16_64 3
		.amdhsa_dx10_clamp 1
		.amdhsa_ieee_mode 1
		.amdhsa_fp16_overflow 0
		.amdhsa_tg_split 0
		.amdhsa_exception_fp_ieee_invalid_op 0
		.amdhsa_exception_fp_denorm_src 0
		.amdhsa_exception_fp_ieee_div_zero 0
		.amdhsa_exception_fp_ieee_overflow 0
		.amdhsa_exception_fp_ieee_underflow 0
		.amdhsa_exception_fp_ieee_inexact 0
		.amdhsa_exception_int_div_zero 0
	.end_amdhsa_kernel
	.section	.text._ZN7rocprim17ROCPRIM_400000_NS6detail17trampoline_kernelINS0_13kernel_configILj256ELj4ELj4294967295EEENS1_37radix_sort_block_sort_config_selectorIiNS0_10empty_typeEEEZNS1_21radix_sort_block_sortIS4_Lb0EPiS9_PS6_SA_NS0_19identity_decomposerEEE10hipError_tT1_T2_T3_T4_jRjT5_jjP12ihipStream_tbEUlT_E_NS1_11comp_targetILNS1_3genE3ELNS1_11target_archE908ELNS1_3gpuE7ELNS1_3repE0EEENS1_44radix_sort_block_sort_config_static_selectorELNS0_4arch9wavefront6targetE1EEEvSD_,"axG",@progbits,_ZN7rocprim17ROCPRIM_400000_NS6detail17trampoline_kernelINS0_13kernel_configILj256ELj4ELj4294967295EEENS1_37radix_sort_block_sort_config_selectorIiNS0_10empty_typeEEEZNS1_21radix_sort_block_sortIS4_Lb0EPiS9_PS6_SA_NS0_19identity_decomposerEEE10hipError_tT1_T2_T3_T4_jRjT5_jjP12ihipStream_tbEUlT_E_NS1_11comp_targetILNS1_3genE3ELNS1_11target_archE908ELNS1_3gpuE7ELNS1_3repE0EEENS1_44radix_sort_block_sort_config_static_selectorELNS0_4arch9wavefront6targetE1EEEvSD_,comdat
.Lfunc_end561:
	.size	_ZN7rocprim17ROCPRIM_400000_NS6detail17trampoline_kernelINS0_13kernel_configILj256ELj4ELj4294967295EEENS1_37radix_sort_block_sort_config_selectorIiNS0_10empty_typeEEEZNS1_21radix_sort_block_sortIS4_Lb0EPiS9_PS6_SA_NS0_19identity_decomposerEEE10hipError_tT1_T2_T3_T4_jRjT5_jjP12ihipStream_tbEUlT_E_NS1_11comp_targetILNS1_3genE3ELNS1_11target_archE908ELNS1_3gpuE7ELNS1_3repE0EEENS1_44radix_sort_block_sort_config_static_selectorELNS0_4arch9wavefront6targetE1EEEvSD_, .Lfunc_end561-_ZN7rocprim17ROCPRIM_400000_NS6detail17trampoline_kernelINS0_13kernel_configILj256ELj4ELj4294967295EEENS1_37radix_sort_block_sort_config_selectorIiNS0_10empty_typeEEEZNS1_21radix_sort_block_sortIS4_Lb0EPiS9_PS6_SA_NS0_19identity_decomposerEEE10hipError_tT1_T2_T3_T4_jRjT5_jjP12ihipStream_tbEUlT_E_NS1_11comp_targetILNS1_3genE3ELNS1_11target_archE908ELNS1_3gpuE7ELNS1_3repE0EEENS1_44radix_sort_block_sort_config_static_selectorELNS0_4arch9wavefront6targetE1EEEvSD_
                                        ; -- End function
	.section	.AMDGPU.csdata,"",@progbits
; Kernel info:
; codeLenInByte = 0
; NumSgprs: 4
; NumVgprs: 0
; NumAgprs: 0
; TotalNumVgprs: 0
; ScratchSize: 0
; MemoryBound: 0
; FloatMode: 240
; IeeeMode: 1
; LDSByteSize: 0 bytes/workgroup (compile time only)
; SGPRBlocks: 0
; VGPRBlocks: 0
; NumSGPRsForWavesPerEU: 4
; NumVGPRsForWavesPerEU: 1
; AccumOffset: 4
; Occupancy: 8
; WaveLimiterHint : 0
; COMPUTE_PGM_RSRC2:SCRATCH_EN: 0
; COMPUTE_PGM_RSRC2:USER_SGPR: 6
; COMPUTE_PGM_RSRC2:TRAP_HANDLER: 0
; COMPUTE_PGM_RSRC2:TGID_X_EN: 1
; COMPUTE_PGM_RSRC2:TGID_Y_EN: 0
; COMPUTE_PGM_RSRC2:TGID_Z_EN: 0
; COMPUTE_PGM_RSRC2:TIDIG_COMP_CNT: 0
; COMPUTE_PGM_RSRC3_GFX90A:ACCUM_OFFSET: 0
; COMPUTE_PGM_RSRC3_GFX90A:TG_SPLIT: 0
	.section	.text._ZN7rocprim17ROCPRIM_400000_NS6detail17trampoline_kernelINS0_13kernel_configILj256ELj4ELj4294967295EEENS1_37radix_sort_block_sort_config_selectorIiNS0_10empty_typeEEEZNS1_21radix_sort_block_sortIS4_Lb0EPiS9_PS6_SA_NS0_19identity_decomposerEEE10hipError_tT1_T2_T3_T4_jRjT5_jjP12ihipStream_tbEUlT_E_NS1_11comp_targetILNS1_3genE2ELNS1_11target_archE906ELNS1_3gpuE6ELNS1_3repE0EEENS1_44radix_sort_block_sort_config_static_selectorELNS0_4arch9wavefront6targetE1EEEvSD_,"axG",@progbits,_ZN7rocprim17ROCPRIM_400000_NS6detail17trampoline_kernelINS0_13kernel_configILj256ELj4ELj4294967295EEENS1_37radix_sort_block_sort_config_selectorIiNS0_10empty_typeEEEZNS1_21radix_sort_block_sortIS4_Lb0EPiS9_PS6_SA_NS0_19identity_decomposerEEE10hipError_tT1_T2_T3_T4_jRjT5_jjP12ihipStream_tbEUlT_E_NS1_11comp_targetILNS1_3genE2ELNS1_11target_archE906ELNS1_3gpuE6ELNS1_3repE0EEENS1_44radix_sort_block_sort_config_static_selectorELNS0_4arch9wavefront6targetE1EEEvSD_,comdat
	.protected	_ZN7rocprim17ROCPRIM_400000_NS6detail17trampoline_kernelINS0_13kernel_configILj256ELj4ELj4294967295EEENS1_37radix_sort_block_sort_config_selectorIiNS0_10empty_typeEEEZNS1_21radix_sort_block_sortIS4_Lb0EPiS9_PS6_SA_NS0_19identity_decomposerEEE10hipError_tT1_T2_T3_T4_jRjT5_jjP12ihipStream_tbEUlT_E_NS1_11comp_targetILNS1_3genE2ELNS1_11target_archE906ELNS1_3gpuE6ELNS1_3repE0EEENS1_44radix_sort_block_sort_config_static_selectorELNS0_4arch9wavefront6targetE1EEEvSD_ ; -- Begin function _ZN7rocprim17ROCPRIM_400000_NS6detail17trampoline_kernelINS0_13kernel_configILj256ELj4ELj4294967295EEENS1_37radix_sort_block_sort_config_selectorIiNS0_10empty_typeEEEZNS1_21radix_sort_block_sortIS4_Lb0EPiS9_PS6_SA_NS0_19identity_decomposerEEE10hipError_tT1_T2_T3_T4_jRjT5_jjP12ihipStream_tbEUlT_E_NS1_11comp_targetILNS1_3genE2ELNS1_11target_archE906ELNS1_3gpuE6ELNS1_3repE0EEENS1_44radix_sort_block_sort_config_static_selectorELNS0_4arch9wavefront6targetE1EEEvSD_
	.globl	_ZN7rocprim17ROCPRIM_400000_NS6detail17trampoline_kernelINS0_13kernel_configILj256ELj4ELj4294967295EEENS1_37radix_sort_block_sort_config_selectorIiNS0_10empty_typeEEEZNS1_21radix_sort_block_sortIS4_Lb0EPiS9_PS6_SA_NS0_19identity_decomposerEEE10hipError_tT1_T2_T3_T4_jRjT5_jjP12ihipStream_tbEUlT_E_NS1_11comp_targetILNS1_3genE2ELNS1_11target_archE906ELNS1_3gpuE6ELNS1_3repE0EEENS1_44radix_sort_block_sort_config_static_selectorELNS0_4arch9wavefront6targetE1EEEvSD_
	.p2align	8
	.type	_ZN7rocprim17ROCPRIM_400000_NS6detail17trampoline_kernelINS0_13kernel_configILj256ELj4ELj4294967295EEENS1_37radix_sort_block_sort_config_selectorIiNS0_10empty_typeEEEZNS1_21radix_sort_block_sortIS4_Lb0EPiS9_PS6_SA_NS0_19identity_decomposerEEE10hipError_tT1_T2_T3_T4_jRjT5_jjP12ihipStream_tbEUlT_E_NS1_11comp_targetILNS1_3genE2ELNS1_11target_archE906ELNS1_3gpuE6ELNS1_3repE0EEENS1_44radix_sort_block_sort_config_static_selectorELNS0_4arch9wavefront6targetE1EEEvSD_,@function
_ZN7rocprim17ROCPRIM_400000_NS6detail17trampoline_kernelINS0_13kernel_configILj256ELj4ELj4294967295EEENS1_37radix_sort_block_sort_config_selectorIiNS0_10empty_typeEEEZNS1_21radix_sort_block_sortIS4_Lb0EPiS9_PS6_SA_NS0_19identity_decomposerEEE10hipError_tT1_T2_T3_T4_jRjT5_jjP12ihipStream_tbEUlT_E_NS1_11comp_targetILNS1_3genE2ELNS1_11target_archE906ELNS1_3gpuE6ELNS1_3repE0EEENS1_44radix_sort_block_sort_config_static_selectorELNS0_4arch9wavefront6targetE1EEEvSD_: ; @_ZN7rocprim17ROCPRIM_400000_NS6detail17trampoline_kernelINS0_13kernel_configILj256ELj4ELj4294967295EEENS1_37radix_sort_block_sort_config_selectorIiNS0_10empty_typeEEEZNS1_21radix_sort_block_sortIS4_Lb0EPiS9_PS6_SA_NS0_19identity_decomposerEEE10hipError_tT1_T2_T3_T4_jRjT5_jjP12ihipStream_tbEUlT_E_NS1_11comp_targetILNS1_3genE2ELNS1_11target_archE906ELNS1_3gpuE6ELNS1_3repE0EEENS1_44radix_sort_block_sort_config_static_selectorELNS0_4arch9wavefront6targetE1EEEvSD_
; %bb.0:
	.section	.rodata,"a",@progbits
	.p2align	6, 0x0
	.amdhsa_kernel _ZN7rocprim17ROCPRIM_400000_NS6detail17trampoline_kernelINS0_13kernel_configILj256ELj4ELj4294967295EEENS1_37radix_sort_block_sort_config_selectorIiNS0_10empty_typeEEEZNS1_21radix_sort_block_sortIS4_Lb0EPiS9_PS6_SA_NS0_19identity_decomposerEEE10hipError_tT1_T2_T3_T4_jRjT5_jjP12ihipStream_tbEUlT_E_NS1_11comp_targetILNS1_3genE2ELNS1_11target_archE906ELNS1_3gpuE6ELNS1_3repE0EEENS1_44radix_sort_block_sort_config_static_selectorELNS0_4arch9wavefront6targetE1EEEvSD_
		.amdhsa_group_segment_fixed_size 0
		.amdhsa_private_segment_fixed_size 0
		.amdhsa_kernarg_size 48
		.amdhsa_user_sgpr_count 6
		.amdhsa_user_sgpr_private_segment_buffer 1
		.amdhsa_user_sgpr_dispatch_ptr 0
		.amdhsa_user_sgpr_queue_ptr 0
		.amdhsa_user_sgpr_kernarg_segment_ptr 1
		.amdhsa_user_sgpr_dispatch_id 0
		.amdhsa_user_sgpr_flat_scratch_init 0
		.amdhsa_user_sgpr_kernarg_preload_length 0
		.amdhsa_user_sgpr_kernarg_preload_offset 0
		.amdhsa_user_sgpr_private_segment_size 0
		.amdhsa_uses_dynamic_stack 0
		.amdhsa_system_sgpr_private_segment_wavefront_offset 0
		.amdhsa_system_sgpr_workgroup_id_x 1
		.amdhsa_system_sgpr_workgroup_id_y 0
		.amdhsa_system_sgpr_workgroup_id_z 0
		.amdhsa_system_sgpr_workgroup_info 0
		.amdhsa_system_vgpr_workitem_id 0
		.amdhsa_next_free_vgpr 1
		.amdhsa_next_free_sgpr 0
		.amdhsa_accum_offset 4
		.amdhsa_reserve_vcc 0
		.amdhsa_reserve_flat_scratch 0
		.amdhsa_float_round_mode_32 0
		.amdhsa_float_round_mode_16_64 0
		.amdhsa_float_denorm_mode_32 3
		.amdhsa_float_denorm_mode_16_64 3
		.amdhsa_dx10_clamp 1
		.amdhsa_ieee_mode 1
		.amdhsa_fp16_overflow 0
		.amdhsa_tg_split 0
		.amdhsa_exception_fp_ieee_invalid_op 0
		.amdhsa_exception_fp_denorm_src 0
		.amdhsa_exception_fp_ieee_div_zero 0
		.amdhsa_exception_fp_ieee_overflow 0
		.amdhsa_exception_fp_ieee_underflow 0
		.amdhsa_exception_fp_ieee_inexact 0
		.amdhsa_exception_int_div_zero 0
	.end_amdhsa_kernel
	.section	.text._ZN7rocprim17ROCPRIM_400000_NS6detail17trampoline_kernelINS0_13kernel_configILj256ELj4ELj4294967295EEENS1_37radix_sort_block_sort_config_selectorIiNS0_10empty_typeEEEZNS1_21radix_sort_block_sortIS4_Lb0EPiS9_PS6_SA_NS0_19identity_decomposerEEE10hipError_tT1_T2_T3_T4_jRjT5_jjP12ihipStream_tbEUlT_E_NS1_11comp_targetILNS1_3genE2ELNS1_11target_archE906ELNS1_3gpuE6ELNS1_3repE0EEENS1_44radix_sort_block_sort_config_static_selectorELNS0_4arch9wavefront6targetE1EEEvSD_,"axG",@progbits,_ZN7rocprim17ROCPRIM_400000_NS6detail17trampoline_kernelINS0_13kernel_configILj256ELj4ELj4294967295EEENS1_37radix_sort_block_sort_config_selectorIiNS0_10empty_typeEEEZNS1_21radix_sort_block_sortIS4_Lb0EPiS9_PS6_SA_NS0_19identity_decomposerEEE10hipError_tT1_T2_T3_T4_jRjT5_jjP12ihipStream_tbEUlT_E_NS1_11comp_targetILNS1_3genE2ELNS1_11target_archE906ELNS1_3gpuE6ELNS1_3repE0EEENS1_44radix_sort_block_sort_config_static_selectorELNS0_4arch9wavefront6targetE1EEEvSD_,comdat
.Lfunc_end562:
	.size	_ZN7rocprim17ROCPRIM_400000_NS6detail17trampoline_kernelINS0_13kernel_configILj256ELj4ELj4294967295EEENS1_37radix_sort_block_sort_config_selectorIiNS0_10empty_typeEEEZNS1_21radix_sort_block_sortIS4_Lb0EPiS9_PS6_SA_NS0_19identity_decomposerEEE10hipError_tT1_T2_T3_T4_jRjT5_jjP12ihipStream_tbEUlT_E_NS1_11comp_targetILNS1_3genE2ELNS1_11target_archE906ELNS1_3gpuE6ELNS1_3repE0EEENS1_44radix_sort_block_sort_config_static_selectorELNS0_4arch9wavefront6targetE1EEEvSD_, .Lfunc_end562-_ZN7rocprim17ROCPRIM_400000_NS6detail17trampoline_kernelINS0_13kernel_configILj256ELj4ELj4294967295EEENS1_37radix_sort_block_sort_config_selectorIiNS0_10empty_typeEEEZNS1_21radix_sort_block_sortIS4_Lb0EPiS9_PS6_SA_NS0_19identity_decomposerEEE10hipError_tT1_T2_T3_T4_jRjT5_jjP12ihipStream_tbEUlT_E_NS1_11comp_targetILNS1_3genE2ELNS1_11target_archE906ELNS1_3gpuE6ELNS1_3repE0EEENS1_44radix_sort_block_sort_config_static_selectorELNS0_4arch9wavefront6targetE1EEEvSD_
                                        ; -- End function
	.section	.AMDGPU.csdata,"",@progbits
; Kernel info:
; codeLenInByte = 0
; NumSgprs: 4
; NumVgprs: 0
; NumAgprs: 0
; TotalNumVgprs: 0
; ScratchSize: 0
; MemoryBound: 0
; FloatMode: 240
; IeeeMode: 1
; LDSByteSize: 0 bytes/workgroup (compile time only)
; SGPRBlocks: 0
; VGPRBlocks: 0
; NumSGPRsForWavesPerEU: 4
; NumVGPRsForWavesPerEU: 1
; AccumOffset: 4
; Occupancy: 8
; WaveLimiterHint : 0
; COMPUTE_PGM_RSRC2:SCRATCH_EN: 0
; COMPUTE_PGM_RSRC2:USER_SGPR: 6
; COMPUTE_PGM_RSRC2:TRAP_HANDLER: 0
; COMPUTE_PGM_RSRC2:TGID_X_EN: 1
; COMPUTE_PGM_RSRC2:TGID_Y_EN: 0
; COMPUTE_PGM_RSRC2:TGID_Z_EN: 0
; COMPUTE_PGM_RSRC2:TIDIG_COMP_CNT: 0
; COMPUTE_PGM_RSRC3_GFX90A:ACCUM_OFFSET: 0
; COMPUTE_PGM_RSRC3_GFX90A:TG_SPLIT: 0
	.section	.text._ZN7rocprim17ROCPRIM_400000_NS6detail17trampoline_kernelINS0_13kernel_configILj256ELj4ELj4294967295EEENS1_37radix_sort_block_sort_config_selectorIiNS0_10empty_typeEEEZNS1_21radix_sort_block_sortIS4_Lb0EPiS9_PS6_SA_NS0_19identity_decomposerEEE10hipError_tT1_T2_T3_T4_jRjT5_jjP12ihipStream_tbEUlT_E_NS1_11comp_targetILNS1_3genE10ELNS1_11target_archE1201ELNS1_3gpuE5ELNS1_3repE0EEENS1_44radix_sort_block_sort_config_static_selectorELNS0_4arch9wavefront6targetE1EEEvSD_,"axG",@progbits,_ZN7rocprim17ROCPRIM_400000_NS6detail17trampoline_kernelINS0_13kernel_configILj256ELj4ELj4294967295EEENS1_37radix_sort_block_sort_config_selectorIiNS0_10empty_typeEEEZNS1_21radix_sort_block_sortIS4_Lb0EPiS9_PS6_SA_NS0_19identity_decomposerEEE10hipError_tT1_T2_T3_T4_jRjT5_jjP12ihipStream_tbEUlT_E_NS1_11comp_targetILNS1_3genE10ELNS1_11target_archE1201ELNS1_3gpuE5ELNS1_3repE0EEENS1_44radix_sort_block_sort_config_static_selectorELNS0_4arch9wavefront6targetE1EEEvSD_,comdat
	.protected	_ZN7rocprim17ROCPRIM_400000_NS6detail17trampoline_kernelINS0_13kernel_configILj256ELj4ELj4294967295EEENS1_37radix_sort_block_sort_config_selectorIiNS0_10empty_typeEEEZNS1_21radix_sort_block_sortIS4_Lb0EPiS9_PS6_SA_NS0_19identity_decomposerEEE10hipError_tT1_T2_T3_T4_jRjT5_jjP12ihipStream_tbEUlT_E_NS1_11comp_targetILNS1_3genE10ELNS1_11target_archE1201ELNS1_3gpuE5ELNS1_3repE0EEENS1_44radix_sort_block_sort_config_static_selectorELNS0_4arch9wavefront6targetE1EEEvSD_ ; -- Begin function _ZN7rocprim17ROCPRIM_400000_NS6detail17trampoline_kernelINS0_13kernel_configILj256ELj4ELj4294967295EEENS1_37radix_sort_block_sort_config_selectorIiNS0_10empty_typeEEEZNS1_21radix_sort_block_sortIS4_Lb0EPiS9_PS6_SA_NS0_19identity_decomposerEEE10hipError_tT1_T2_T3_T4_jRjT5_jjP12ihipStream_tbEUlT_E_NS1_11comp_targetILNS1_3genE10ELNS1_11target_archE1201ELNS1_3gpuE5ELNS1_3repE0EEENS1_44radix_sort_block_sort_config_static_selectorELNS0_4arch9wavefront6targetE1EEEvSD_
	.globl	_ZN7rocprim17ROCPRIM_400000_NS6detail17trampoline_kernelINS0_13kernel_configILj256ELj4ELj4294967295EEENS1_37radix_sort_block_sort_config_selectorIiNS0_10empty_typeEEEZNS1_21radix_sort_block_sortIS4_Lb0EPiS9_PS6_SA_NS0_19identity_decomposerEEE10hipError_tT1_T2_T3_T4_jRjT5_jjP12ihipStream_tbEUlT_E_NS1_11comp_targetILNS1_3genE10ELNS1_11target_archE1201ELNS1_3gpuE5ELNS1_3repE0EEENS1_44radix_sort_block_sort_config_static_selectorELNS0_4arch9wavefront6targetE1EEEvSD_
	.p2align	8
	.type	_ZN7rocprim17ROCPRIM_400000_NS6detail17trampoline_kernelINS0_13kernel_configILj256ELj4ELj4294967295EEENS1_37radix_sort_block_sort_config_selectorIiNS0_10empty_typeEEEZNS1_21radix_sort_block_sortIS4_Lb0EPiS9_PS6_SA_NS0_19identity_decomposerEEE10hipError_tT1_T2_T3_T4_jRjT5_jjP12ihipStream_tbEUlT_E_NS1_11comp_targetILNS1_3genE10ELNS1_11target_archE1201ELNS1_3gpuE5ELNS1_3repE0EEENS1_44radix_sort_block_sort_config_static_selectorELNS0_4arch9wavefront6targetE1EEEvSD_,@function
_ZN7rocprim17ROCPRIM_400000_NS6detail17trampoline_kernelINS0_13kernel_configILj256ELj4ELj4294967295EEENS1_37radix_sort_block_sort_config_selectorIiNS0_10empty_typeEEEZNS1_21radix_sort_block_sortIS4_Lb0EPiS9_PS6_SA_NS0_19identity_decomposerEEE10hipError_tT1_T2_T3_T4_jRjT5_jjP12ihipStream_tbEUlT_E_NS1_11comp_targetILNS1_3genE10ELNS1_11target_archE1201ELNS1_3gpuE5ELNS1_3repE0EEENS1_44radix_sort_block_sort_config_static_selectorELNS0_4arch9wavefront6targetE1EEEvSD_: ; @_ZN7rocprim17ROCPRIM_400000_NS6detail17trampoline_kernelINS0_13kernel_configILj256ELj4ELj4294967295EEENS1_37radix_sort_block_sort_config_selectorIiNS0_10empty_typeEEEZNS1_21radix_sort_block_sortIS4_Lb0EPiS9_PS6_SA_NS0_19identity_decomposerEEE10hipError_tT1_T2_T3_T4_jRjT5_jjP12ihipStream_tbEUlT_E_NS1_11comp_targetILNS1_3genE10ELNS1_11target_archE1201ELNS1_3gpuE5ELNS1_3repE0EEENS1_44radix_sort_block_sort_config_static_selectorELNS0_4arch9wavefront6targetE1EEEvSD_
; %bb.0:
	.section	.rodata,"a",@progbits
	.p2align	6, 0x0
	.amdhsa_kernel _ZN7rocprim17ROCPRIM_400000_NS6detail17trampoline_kernelINS0_13kernel_configILj256ELj4ELj4294967295EEENS1_37radix_sort_block_sort_config_selectorIiNS0_10empty_typeEEEZNS1_21radix_sort_block_sortIS4_Lb0EPiS9_PS6_SA_NS0_19identity_decomposerEEE10hipError_tT1_T2_T3_T4_jRjT5_jjP12ihipStream_tbEUlT_E_NS1_11comp_targetILNS1_3genE10ELNS1_11target_archE1201ELNS1_3gpuE5ELNS1_3repE0EEENS1_44radix_sort_block_sort_config_static_selectorELNS0_4arch9wavefront6targetE1EEEvSD_
		.amdhsa_group_segment_fixed_size 0
		.amdhsa_private_segment_fixed_size 0
		.amdhsa_kernarg_size 48
		.amdhsa_user_sgpr_count 6
		.amdhsa_user_sgpr_private_segment_buffer 1
		.amdhsa_user_sgpr_dispatch_ptr 0
		.amdhsa_user_sgpr_queue_ptr 0
		.amdhsa_user_sgpr_kernarg_segment_ptr 1
		.amdhsa_user_sgpr_dispatch_id 0
		.amdhsa_user_sgpr_flat_scratch_init 0
		.amdhsa_user_sgpr_kernarg_preload_length 0
		.amdhsa_user_sgpr_kernarg_preload_offset 0
		.amdhsa_user_sgpr_private_segment_size 0
		.amdhsa_uses_dynamic_stack 0
		.amdhsa_system_sgpr_private_segment_wavefront_offset 0
		.amdhsa_system_sgpr_workgroup_id_x 1
		.amdhsa_system_sgpr_workgroup_id_y 0
		.amdhsa_system_sgpr_workgroup_id_z 0
		.amdhsa_system_sgpr_workgroup_info 0
		.amdhsa_system_vgpr_workitem_id 0
		.amdhsa_next_free_vgpr 1
		.amdhsa_next_free_sgpr 0
		.amdhsa_accum_offset 4
		.amdhsa_reserve_vcc 0
		.amdhsa_reserve_flat_scratch 0
		.amdhsa_float_round_mode_32 0
		.amdhsa_float_round_mode_16_64 0
		.amdhsa_float_denorm_mode_32 3
		.amdhsa_float_denorm_mode_16_64 3
		.amdhsa_dx10_clamp 1
		.amdhsa_ieee_mode 1
		.amdhsa_fp16_overflow 0
		.amdhsa_tg_split 0
		.amdhsa_exception_fp_ieee_invalid_op 0
		.amdhsa_exception_fp_denorm_src 0
		.amdhsa_exception_fp_ieee_div_zero 0
		.amdhsa_exception_fp_ieee_overflow 0
		.amdhsa_exception_fp_ieee_underflow 0
		.amdhsa_exception_fp_ieee_inexact 0
		.amdhsa_exception_int_div_zero 0
	.end_amdhsa_kernel
	.section	.text._ZN7rocprim17ROCPRIM_400000_NS6detail17trampoline_kernelINS0_13kernel_configILj256ELj4ELj4294967295EEENS1_37radix_sort_block_sort_config_selectorIiNS0_10empty_typeEEEZNS1_21radix_sort_block_sortIS4_Lb0EPiS9_PS6_SA_NS0_19identity_decomposerEEE10hipError_tT1_T2_T3_T4_jRjT5_jjP12ihipStream_tbEUlT_E_NS1_11comp_targetILNS1_3genE10ELNS1_11target_archE1201ELNS1_3gpuE5ELNS1_3repE0EEENS1_44radix_sort_block_sort_config_static_selectorELNS0_4arch9wavefront6targetE1EEEvSD_,"axG",@progbits,_ZN7rocprim17ROCPRIM_400000_NS6detail17trampoline_kernelINS0_13kernel_configILj256ELj4ELj4294967295EEENS1_37radix_sort_block_sort_config_selectorIiNS0_10empty_typeEEEZNS1_21radix_sort_block_sortIS4_Lb0EPiS9_PS6_SA_NS0_19identity_decomposerEEE10hipError_tT1_T2_T3_T4_jRjT5_jjP12ihipStream_tbEUlT_E_NS1_11comp_targetILNS1_3genE10ELNS1_11target_archE1201ELNS1_3gpuE5ELNS1_3repE0EEENS1_44radix_sort_block_sort_config_static_selectorELNS0_4arch9wavefront6targetE1EEEvSD_,comdat
.Lfunc_end563:
	.size	_ZN7rocprim17ROCPRIM_400000_NS6detail17trampoline_kernelINS0_13kernel_configILj256ELj4ELj4294967295EEENS1_37radix_sort_block_sort_config_selectorIiNS0_10empty_typeEEEZNS1_21radix_sort_block_sortIS4_Lb0EPiS9_PS6_SA_NS0_19identity_decomposerEEE10hipError_tT1_T2_T3_T4_jRjT5_jjP12ihipStream_tbEUlT_E_NS1_11comp_targetILNS1_3genE10ELNS1_11target_archE1201ELNS1_3gpuE5ELNS1_3repE0EEENS1_44radix_sort_block_sort_config_static_selectorELNS0_4arch9wavefront6targetE1EEEvSD_, .Lfunc_end563-_ZN7rocprim17ROCPRIM_400000_NS6detail17trampoline_kernelINS0_13kernel_configILj256ELj4ELj4294967295EEENS1_37radix_sort_block_sort_config_selectorIiNS0_10empty_typeEEEZNS1_21radix_sort_block_sortIS4_Lb0EPiS9_PS6_SA_NS0_19identity_decomposerEEE10hipError_tT1_T2_T3_T4_jRjT5_jjP12ihipStream_tbEUlT_E_NS1_11comp_targetILNS1_3genE10ELNS1_11target_archE1201ELNS1_3gpuE5ELNS1_3repE0EEENS1_44radix_sort_block_sort_config_static_selectorELNS0_4arch9wavefront6targetE1EEEvSD_
                                        ; -- End function
	.section	.AMDGPU.csdata,"",@progbits
; Kernel info:
; codeLenInByte = 0
; NumSgprs: 4
; NumVgprs: 0
; NumAgprs: 0
; TotalNumVgprs: 0
; ScratchSize: 0
; MemoryBound: 0
; FloatMode: 240
; IeeeMode: 1
; LDSByteSize: 0 bytes/workgroup (compile time only)
; SGPRBlocks: 0
; VGPRBlocks: 0
; NumSGPRsForWavesPerEU: 4
; NumVGPRsForWavesPerEU: 1
; AccumOffset: 4
; Occupancy: 8
; WaveLimiterHint : 0
; COMPUTE_PGM_RSRC2:SCRATCH_EN: 0
; COMPUTE_PGM_RSRC2:USER_SGPR: 6
; COMPUTE_PGM_RSRC2:TRAP_HANDLER: 0
; COMPUTE_PGM_RSRC2:TGID_X_EN: 1
; COMPUTE_PGM_RSRC2:TGID_Y_EN: 0
; COMPUTE_PGM_RSRC2:TGID_Z_EN: 0
; COMPUTE_PGM_RSRC2:TIDIG_COMP_CNT: 0
; COMPUTE_PGM_RSRC3_GFX90A:ACCUM_OFFSET: 0
; COMPUTE_PGM_RSRC3_GFX90A:TG_SPLIT: 0
	.section	.text._ZN7rocprim17ROCPRIM_400000_NS6detail17trampoline_kernelINS0_13kernel_configILj256ELj4ELj4294967295EEENS1_37radix_sort_block_sort_config_selectorIiNS0_10empty_typeEEEZNS1_21radix_sort_block_sortIS4_Lb0EPiS9_PS6_SA_NS0_19identity_decomposerEEE10hipError_tT1_T2_T3_T4_jRjT5_jjP12ihipStream_tbEUlT_E_NS1_11comp_targetILNS1_3genE10ELNS1_11target_archE1200ELNS1_3gpuE4ELNS1_3repE0EEENS1_44radix_sort_block_sort_config_static_selectorELNS0_4arch9wavefront6targetE1EEEvSD_,"axG",@progbits,_ZN7rocprim17ROCPRIM_400000_NS6detail17trampoline_kernelINS0_13kernel_configILj256ELj4ELj4294967295EEENS1_37radix_sort_block_sort_config_selectorIiNS0_10empty_typeEEEZNS1_21radix_sort_block_sortIS4_Lb0EPiS9_PS6_SA_NS0_19identity_decomposerEEE10hipError_tT1_T2_T3_T4_jRjT5_jjP12ihipStream_tbEUlT_E_NS1_11comp_targetILNS1_3genE10ELNS1_11target_archE1200ELNS1_3gpuE4ELNS1_3repE0EEENS1_44radix_sort_block_sort_config_static_selectorELNS0_4arch9wavefront6targetE1EEEvSD_,comdat
	.protected	_ZN7rocprim17ROCPRIM_400000_NS6detail17trampoline_kernelINS0_13kernel_configILj256ELj4ELj4294967295EEENS1_37radix_sort_block_sort_config_selectorIiNS0_10empty_typeEEEZNS1_21radix_sort_block_sortIS4_Lb0EPiS9_PS6_SA_NS0_19identity_decomposerEEE10hipError_tT1_T2_T3_T4_jRjT5_jjP12ihipStream_tbEUlT_E_NS1_11comp_targetILNS1_3genE10ELNS1_11target_archE1200ELNS1_3gpuE4ELNS1_3repE0EEENS1_44radix_sort_block_sort_config_static_selectorELNS0_4arch9wavefront6targetE1EEEvSD_ ; -- Begin function _ZN7rocprim17ROCPRIM_400000_NS6detail17trampoline_kernelINS0_13kernel_configILj256ELj4ELj4294967295EEENS1_37radix_sort_block_sort_config_selectorIiNS0_10empty_typeEEEZNS1_21radix_sort_block_sortIS4_Lb0EPiS9_PS6_SA_NS0_19identity_decomposerEEE10hipError_tT1_T2_T3_T4_jRjT5_jjP12ihipStream_tbEUlT_E_NS1_11comp_targetILNS1_3genE10ELNS1_11target_archE1200ELNS1_3gpuE4ELNS1_3repE0EEENS1_44radix_sort_block_sort_config_static_selectorELNS0_4arch9wavefront6targetE1EEEvSD_
	.globl	_ZN7rocprim17ROCPRIM_400000_NS6detail17trampoline_kernelINS0_13kernel_configILj256ELj4ELj4294967295EEENS1_37radix_sort_block_sort_config_selectorIiNS0_10empty_typeEEEZNS1_21radix_sort_block_sortIS4_Lb0EPiS9_PS6_SA_NS0_19identity_decomposerEEE10hipError_tT1_T2_T3_T4_jRjT5_jjP12ihipStream_tbEUlT_E_NS1_11comp_targetILNS1_3genE10ELNS1_11target_archE1200ELNS1_3gpuE4ELNS1_3repE0EEENS1_44radix_sort_block_sort_config_static_selectorELNS0_4arch9wavefront6targetE1EEEvSD_
	.p2align	8
	.type	_ZN7rocprim17ROCPRIM_400000_NS6detail17trampoline_kernelINS0_13kernel_configILj256ELj4ELj4294967295EEENS1_37radix_sort_block_sort_config_selectorIiNS0_10empty_typeEEEZNS1_21radix_sort_block_sortIS4_Lb0EPiS9_PS6_SA_NS0_19identity_decomposerEEE10hipError_tT1_T2_T3_T4_jRjT5_jjP12ihipStream_tbEUlT_E_NS1_11comp_targetILNS1_3genE10ELNS1_11target_archE1200ELNS1_3gpuE4ELNS1_3repE0EEENS1_44radix_sort_block_sort_config_static_selectorELNS0_4arch9wavefront6targetE1EEEvSD_,@function
_ZN7rocprim17ROCPRIM_400000_NS6detail17trampoline_kernelINS0_13kernel_configILj256ELj4ELj4294967295EEENS1_37radix_sort_block_sort_config_selectorIiNS0_10empty_typeEEEZNS1_21radix_sort_block_sortIS4_Lb0EPiS9_PS6_SA_NS0_19identity_decomposerEEE10hipError_tT1_T2_T3_T4_jRjT5_jjP12ihipStream_tbEUlT_E_NS1_11comp_targetILNS1_3genE10ELNS1_11target_archE1200ELNS1_3gpuE4ELNS1_3repE0EEENS1_44radix_sort_block_sort_config_static_selectorELNS0_4arch9wavefront6targetE1EEEvSD_: ; @_ZN7rocprim17ROCPRIM_400000_NS6detail17trampoline_kernelINS0_13kernel_configILj256ELj4ELj4294967295EEENS1_37radix_sort_block_sort_config_selectorIiNS0_10empty_typeEEEZNS1_21radix_sort_block_sortIS4_Lb0EPiS9_PS6_SA_NS0_19identity_decomposerEEE10hipError_tT1_T2_T3_T4_jRjT5_jjP12ihipStream_tbEUlT_E_NS1_11comp_targetILNS1_3genE10ELNS1_11target_archE1200ELNS1_3gpuE4ELNS1_3repE0EEENS1_44radix_sort_block_sort_config_static_selectorELNS0_4arch9wavefront6targetE1EEEvSD_
; %bb.0:
	.section	.rodata,"a",@progbits
	.p2align	6, 0x0
	.amdhsa_kernel _ZN7rocprim17ROCPRIM_400000_NS6detail17trampoline_kernelINS0_13kernel_configILj256ELj4ELj4294967295EEENS1_37radix_sort_block_sort_config_selectorIiNS0_10empty_typeEEEZNS1_21radix_sort_block_sortIS4_Lb0EPiS9_PS6_SA_NS0_19identity_decomposerEEE10hipError_tT1_T2_T3_T4_jRjT5_jjP12ihipStream_tbEUlT_E_NS1_11comp_targetILNS1_3genE10ELNS1_11target_archE1200ELNS1_3gpuE4ELNS1_3repE0EEENS1_44radix_sort_block_sort_config_static_selectorELNS0_4arch9wavefront6targetE1EEEvSD_
		.amdhsa_group_segment_fixed_size 0
		.amdhsa_private_segment_fixed_size 0
		.amdhsa_kernarg_size 48
		.amdhsa_user_sgpr_count 6
		.amdhsa_user_sgpr_private_segment_buffer 1
		.amdhsa_user_sgpr_dispatch_ptr 0
		.amdhsa_user_sgpr_queue_ptr 0
		.amdhsa_user_sgpr_kernarg_segment_ptr 1
		.amdhsa_user_sgpr_dispatch_id 0
		.amdhsa_user_sgpr_flat_scratch_init 0
		.amdhsa_user_sgpr_kernarg_preload_length 0
		.amdhsa_user_sgpr_kernarg_preload_offset 0
		.amdhsa_user_sgpr_private_segment_size 0
		.amdhsa_uses_dynamic_stack 0
		.amdhsa_system_sgpr_private_segment_wavefront_offset 0
		.amdhsa_system_sgpr_workgroup_id_x 1
		.amdhsa_system_sgpr_workgroup_id_y 0
		.amdhsa_system_sgpr_workgroup_id_z 0
		.amdhsa_system_sgpr_workgroup_info 0
		.amdhsa_system_vgpr_workitem_id 0
		.amdhsa_next_free_vgpr 1
		.amdhsa_next_free_sgpr 0
		.amdhsa_accum_offset 4
		.amdhsa_reserve_vcc 0
		.amdhsa_reserve_flat_scratch 0
		.amdhsa_float_round_mode_32 0
		.amdhsa_float_round_mode_16_64 0
		.amdhsa_float_denorm_mode_32 3
		.amdhsa_float_denorm_mode_16_64 3
		.amdhsa_dx10_clamp 1
		.amdhsa_ieee_mode 1
		.amdhsa_fp16_overflow 0
		.amdhsa_tg_split 0
		.amdhsa_exception_fp_ieee_invalid_op 0
		.amdhsa_exception_fp_denorm_src 0
		.amdhsa_exception_fp_ieee_div_zero 0
		.amdhsa_exception_fp_ieee_overflow 0
		.amdhsa_exception_fp_ieee_underflow 0
		.amdhsa_exception_fp_ieee_inexact 0
		.amdhsa_exception_int_div_zero 0
	.end_amdhsa_kernel
	.section	.text._ZN7rocprim17ROCPRIM_400000_NS6detail17trampoline_kernelINS0_13kernel_configILj256ELj4ELj4294967295EEENS1_37radix_sort_block_sort_config_selectorIiNS0_10empty_typeEEEZNS1_21radix_sort_block_sortIS4_Lb0EPiS9_PS6_SA_NS0_19identity_decomposerEEE10hipError_tT1_T2_T3_T4_jRjT5_jjP12ihipStream_tbEUlT_E_NS1_11comp_targetILNS1_3genE10ELNS1_11target_archE1200ELNS1_3gpuE4ELNS1_3repE0EEENS1_44radix_sort_block_sort_config_static_selectorELNS0_4arch9wavefront6targetE1EEEvSD_,"axG",@progbits,_ZN7rocprim17ROCPRIM_400000_NS6detail17trampoline_kernelINS0_13kernel_configILj256ELj4ELj4294967295EEENS1_37radix_sort_block_sort_config_selectorIiNS0_10empty_typeEEEZNS1_21radix_sort_block_sortIS4_Lb0EPiS9_PS6_SA_NS0_19identity_decomposerEEE10hipError_tT1_T2_T3_T4_jRjT5_jjP12ihipStream_tbEUlT_E_NS1_11comp_targetILNS1_3genE10ELNS1_11target_archE1200ELNS1_3gpuE4ELNS1_3repE0EEENS1_44radix_sort_block_sort_config_static_selectorELNS0_4arch9wavefront6targetE1EEEvSD_,comdat
.Lfunc_end564:
	.size	_ZN7rocprim17ROCPRIM_400000_NS6detail17trampoline_kernelINS0_13kernel_configILj256ELj4ELj4294967295EEENS1_37radix_sort_block_sort_config_selectorIiNS0_10empty_typeEEEZNS1_21radix_sort_block_sortIS4_Lb0EPiS9_PS6_SA_NS0_19identity_decomposerEEE10hipError_tT1_T2_T3_T4_jRjT5_jjP12ihipStream_tbEUlT_E_NS1_11comp_targetILNS1_3genE10ELNS1_11target_archE1200ELNS1_3gpuE4ELNS1_3repE0EEENS1_44radix_sort_block_sort_config_static_selectorELNS0_4arch9wavefront6targetE1EEEvSD_, .Lfunc_end564-_ZN7rocprim17ROCPRIM_400000_NS6detail17trampoline_kernelINS0_13kernel_configILj256ELj4ELj4294967295EEENS1_37radix_sort_block_sort_config_selectorIiNS0_10empty_typeEEEZNS1_21radix_sort_block_sortIS4_Lb0EPiS9_PS6_SA_NS0_19identity_decomposerEEE10hipError_tT1_T2_T3_T4_jRjT5_jjP12ihipStream_tbEUlT_E_NS1_11comp_targetILNS1_3genE10ELNS1_11target_archE1200ELNS1_3gpuE4ELNS1_3repE0EEENS1_44radix_sort_block_sort_config_static_selectorELNS0_4arch9wavefront6targetE1EEEvSD_
                                        ; -- End function
	.section	.AMDGPU.csdata,"",@progbits
; Kernel info:
; codeLenInByte = 0
; NumSgprs: 4
; NumVgprs: 0
; NumAgprs: 0
; TotalNumVgprs: 0
; ScratchSize: 0
; MemoryBound: 0
; FloatMode: 240
; IeeeMode: 1
; LDSByteSize: 0 bytes/workgroup (compile time only)
; SGPRBlocks: 0
; VGPRBlocks: 0
; NumSGPRsForWavesPerEU: 4
; NumVGPRsForWavesPerEU: 1
; AccumOffset: 4
; Occupancy: 8
; WaveLimiterHint : 0
; COMPUTE_PGM_RSRC2:SCRATCH_EN: 0
; COMPUTE_PGM_RSRC2:USER_SGPR: 6
; COMPUTE_PGM_RSRC2:TRAP_HANDLER: 0
; COMPUTE_PGM_RSRC2:TGID_X_EN: 1
; COMPUTE_PGM_RSRC2:TGID_Y_EN: 0
; COMPUTE_PGM_RSRC2:TGID_Z_EN: 0
; COMPUTE_PGM_RSRC2:TIDIG_COMP_CNT: 0
; COMPUTE_PGM_RSRC3_GFX90A:ACCUM_OFFSET: 0
; COMPUTE_PGM_RSRC3_GFX90A:TG_SPLIT: 0
	.section	.text._ZN7rocprim17ROCPRIM_400000_NS6detail17trampoline_kernelINS0_13kernel_configILj256ELj4ELj4294967295EEENS1_37radix_sort_block_sort_config_selectorIiNS0_10empty_typeEEEZNS1_21radix_sort_block_sortIS4_Lb0EPiS9_PS6_SA_NS0_19identity_decomposerEEE10hipError_tT1_T2_T3_T4_jRjT5_jjP12ihipStream_tbEUlT_E_NS1_11comp_targetILNS1_3genE9ELNS1_11target_archE1100ELNS1_3gpuE3ELNS1_3repE0EEENS1_44radix_sort_block_sort_config_static_selectorELNS0_4arch9wavefront6targetE1EEEvSD_,"axG",@progbits,_ZN7rocprim17ROCPRIM_400000_NS6detail17trampoline_kernelINS0_13kernel_configILj256ELj4ELj4294967295EEENS1_37radix_sort_block_sort_config_selectorIiNS0_10empty_typeEEEZNS1_21radix_sort_block_sortIS4_Lb0EPiS9_PS6_SA_NS0_19identity_decomposerEEE10hipError_tT1_T2_T3_T4_jRjT5_jjP12ihipStream_tbEUlT_E_NS1_11comp_targetILNS1_3genE9ELNS1_11target_archE1100ELNS1_3gpuE3ELNS1_3repE0EEENS1_44radix_sort_block_sort_config_static_selectorELNS0_4arch9wavefront6targetE1EEEvSD_,comdat
	.protected	_ZN7rocprim17ROCPRIM_400000_NS6detail17trampoline_kernelINS0_13kernel_configILj256ELj4ELj4294967295EEENS1_37radix_sort_block_sort_config_selectorIiNS0_10empty_typeEEEZNS1_21radix_sort_block_sortIS4_Lb0EPiS9_PS6_SA_NS0_19identity_decomposerEEE10hipError_tT1_T2_T3_T4_jRjT5_jjP12ihipStream_tbEUlT_E_NS1_11comp_targetILNS1_3genE9ELNS1_11target_archE1100ELNS1_3gpuE3ELNS1_3repE0EEENS1_44radix_sort_block_sort_config_static_selectorELNS0_4arch9wavefront6targetE1EEEvSD_ ; -- Begin function _ZN7rocprim17ROCPRIM_400000_NS6detail17trampoline_kernelINS0_13kernel_configILj256ELj4ELj4294967295EEENS1_37radix_sort_block_sort_config_selectorIiNS0_10empty_typeEEEZNS1_21radix_sort_block_sortIS4_Lb0EPiS9_PS6_SA_NS0_19identity_decomposerEEE10hipError_tT1_T2_T3_T4_jRjT5_jjP12ihipStream_tbEUlT_E_NS1_11comp_targetILNS1_3genE9ELNS1_11target_archE1100ELNS1_3gpuE3ELNS1_3repE0EEENS1_44radix_sort_block_sort_config_static_selectorELNS0_4arch9wavefront6targetE1EEEvSD_
	.globl	_ZN7rocprim17ROCPRIM_400000_NS6detail17trampoline_kernelINS0_13kernel_configILj256ELj4ELj4294967295EEENS1_37radix_sort_block_sort_config_selectorIiNS0_10empty_typeEEEZNS1_21radix_sort_block_sortIS4_Lb0EPiS9_PS6_SA_NS0_19identity_decomposerEEE10hipError_tT1_T2_T3_T4_jRjT5_jjP12ihipStream_tbEUlT_E_NS1_11comp_targetILNS1_3genE9ELNS1_11target_archE1100ELNS1_3gpuE3ELNS1_3repE0EEENS1_44radix_sort_block_sort_config_static_selectorELNS0_4arch9wavefront6targetE1EEEvSD_
	.p2align	8
	.type	_ZN7rocprim17ROCPRIM_400000_NS6detail17trampoline_kernelINS0_13kernel_configILj256ELj4ELj4294967295EEENS1_37radix_sort_block_sort_config_selectorIiNS0_10empty_typeEEEZNS1_21radix_sort_block_sortIS4_Lb0EPiS9_PS6_SA_NS0_19identity_decomposerEEE10hipError_tT1_T2_T3_T4_jRjT5_jjP12ihipStream_tbEUlT_E_NS1_11comp_targetILNS1_3genE9ELNS1_11target_archE1100ELNS1_3gpuE3ELNS1_3repE0EEENS1_44radix_sort_block_sort_config_static_selectorELNS0_4arch9wavefront6targetE1EEEvSD_,@function
_ZN7rocprim17ROCPRIM_400000_NS6detail17trampoline_kernelINS0_13kernel_configILj256ELj4ELj4294967295EEENS1_37radix_sort_block_sort_config_selectorIiNS0_10empty_typeEEEZNS1_21radix_sort_block_sortIS4_Lb0EPiS9_PS6_SA_NS0_19identity_decomposerEEE10hipError_tT1_T2_T3_T4_jRjT5_jjP12ihipStream_tbEUlT_E_NS1_11comp_targetILNS1_3genE9ELNS1_11target_archE1100ELNS1_3gpuE3ELNS1_3repE0EEENS1_44radix_sort_block_sort_config_static_selectorELNS0_4arch9wavefront6targetE1EEEvSD_: ; @_ZN7rocprim17ROCPRIM_400000_NS6detail17trampoline_kernelINS0_13kernel_configILj256ELj4ELj4294967295EEENS1_37radix_sort_block_sort_config_selectorIiNS0_10empty_typeEEEZNS1_21radix_sort_block_sortIS4_Lb0EPiS9_PS6_SA_NS0_19identity_decomposerEEE10hipError_tT1_T2_T3_T4_jRjT5_jjP12ihipStream_tbEUlT_E_NS1_11comp_targetILNS1_3genE9ELNS1_11target_archE1100ELNS1_3gpuE3ELNS1_3repE0EEENS1_44radix_sort_block_sort_config_static_selectorELNS0_4arch9wavefront6targetE1EEEvSD_
; %bb.0:
	.section	.rodata,"a",@progbits
	.p2align	6, 0x0
	.amdhsa_kernel _ZN7rocprim17ROCPRIM_400000_NS6detail17trampoline_kernelINS0_13kernel_configILj256ELj4ELj4294967295EEENS1_37radix_sort_block_sort_config_selectorIiNS0_10empty_typeEEEZNS1_21radix_sort_block_sortIS4_Lb0EPiS9_PS6_SA_NS0_19identity_decomposerEEE10hipError_tT1_T2_T3_T4_jRjT5_jjP12ihipStream_tbEUlT_E_NS1_11comp_targetILNS1_3genE9ELNS1_11target_archE1100ELNS1_3gpuE3ELNS1_3repE0EEENS1_44radix_sort_block_sort_config_static_selectorELNS0_4arch9wavefront6targetE1EEEvSD_
		.amdhsa_group_segment_fixed_size 0
		.amdhsa_private_segment_fixed_size 0
		.amdhsa_kernarg_size 48
		.amdhsa_user_sgpr_count 6
		.amdhsa_user_sgpr_private_segment_buffer 1
		.amdhsa_user_sgpr_dispatch_ptr 0
		.amdhsa_user_sgpr_queue_ptr 0
		.amdhsa_user_sgpr_kernarg_segment_ptr 1
		.amdhsa_user_sgpr_dispatch_id 0
		.amdhsa_user_sgpr_flat_scratch_init 0
		.amdhsa_user_sgpr_kernarg_preload_length 0
		.amdhsa_user_sgpr_kernarg_preload_offset 0
		.amdhsa_user_sgpr_private_segment_size 0
		.amdhsa_uses_dynamic_stack 0
		.amdhsa_system_sgpr_private_segment_wavefront_offset 0
		.amdhsa_system_sgpr_workgroup_id_x 1
		.amdhsa_system_sgpr_workgroup_id_y 0
		.amdhsa_system_sgpr_workgroup_id_z 0
		.amdhsa_system_sgpr_workgroup_info 0
		.amdhsa_system_vgpr_workitem_id 0
		.amdhsa_next_free_vgpr 1
		.amdhsa_next_free_sgpr 0
		.amdhsa_accum_offset 4
		.amdhsa_reserve_vcc 0
		.amdhsa_reserve_flat_scratch 0
		.amdhsa_float_round_mode_32 0
		.amdhsa_float_round_mode_16_64 0
		.amdhsa_float_denorm_mode_32 3
		.amdhsa_float_denorm_mode_16_64 3
		.amdhsa_dx10_clamp 1
		.amdhsa_ieee_mode 1
		.amdhsa_fp16_overflow 0
		.amdhsa_tg_split 0
		.amdhsa_exception_fp_ieee_invalid_op 0
		.amdhsa_exception_fp_denorm_src 0
		.amdhsa_exception_fp_ieee_div_zero 0
		.amdhsa_exception_fp_ieee_overflow 0
		.amdhsa_exception_fp_ieee_underflow 0
		.amdhsa_exception_fp_ieee_inexact 0
		.amdhsa_exception_int_div_zero 0
	.end_amdhsa_kernel
	.section	.text._ZN7rocprim17ROCPRIM_400000_NS6detail17trampoline_kernelINS0_13kernel_configILj256ELj4ELj4294967295EEENS1_37radix_sort_block_sort_config_selectorIiNS0_10empty_typeEEEZNS1_21radix_sort_block_sortIS4_Lb0EPiS9_PS6_SA_NS0_19identity_decomposerEEE10hipError_tT1_T2_T3_T4_jRjT5_jjP12ihipStream_tbEUlT_E_NS1_11comp_targetILNS1_3genE9ELNS1_11target_archE1100ELNS1_3gpuE3ELNS1_3repE0EEENS1_44radix_sort_block_sort_config_static_selectorELNS0_4arch9wavefront6targetE1EEEvSD_,"axG",@progbits,_ZN7rocprim17ROCPRIM_400000_NS6detail17trampoline_kernelINS0_13kernel_configILj256ELj4ELj4294967295EEENS1_37radix_sort_block_sort_config_selectorIiNS0_10empty_typeEEEZNS1_21radix_sort_block_sortIS4_Lb0EPiS9_PS6_SA_NS0_19identity_decomposerEEE10hipError_tT1_T2_T3_T4_jRjT5_jjP12ihipStream_tbEUlT_E_NS1_11comp_targetILNS1_3genE9ELNS1_11target_archE1100ELNS1_3gpuE3ELNS1_3repE0EEENS1_44radix_sort_block_sort_config_static_selectorELNS0_4arch9wavefront6targetE1EEEvSD_,comdat
.Lfunc_end565:
	.size	_ZN7rocprim17ROCPRIM_400000_NS6detail17trampoline_kernelINS0_13kernel_configILj256ELj4ELj4294967295EEENS1_37radix_sort_block_sort_config_selectorIiNS0_10empty_typeEEEZNS1_21radix_sort_block_sortIS4_Lb0EPiS9_PS6_SA_NS0_19identity_decomposerEEE10hipError_tT1_T2_T3_T4_jRjT5_jjP12ihipStream_tbEUlT_E_NS1_11comp_targetILNS1_3genE9ELNS1_11target_archE1100ELNS1_3gpuE3ELNS1_3repE0EEENS1_44radix_sort_block_sort_config_static_selectorELNS0_4arch9wavefront6targetE1EEEvSD_, .Lfunc_end565-_ZN7rocprim17ROCPRIM_400000_NS6detail17trampoline_kernelINS0_13kernel_configILj256ELj4ELj4294967295EEENS1_37radix_sort_block_sort_config_selectorIiNS0_10empty_typeEEEZNS1_21radix_sort_block_sortIS4_Lb0EPiS9_PS6_SA_NS0_19identity_decomposerEEE10hipError_tT1_T2_T3_T4_jRjT5_jjP12ihipStream_tbEUlT_E_NS1_11comp_targetILNS1_3genE9ELNS1_11target_archE1100ELNS1_3gpuE3ELNS1_3repE0EEENS1_44radix_sort_block_sort_config_static_selectorELNS0_4arch9wavefront6targetE1EEEvSD_
                                        ; -- End function
	.section	.AMDGPU.csdata,"",@progbits
; Kernel info:
; codeLenInByte = 0
; NumSgprs: 4
; NumVgprs: 0
; NumAgprs: 0
; TotalNumVgprs: 0
; ScratchSize: 0
; MemoryBound: 0
; FloatMode: 240
; IeeeMode: 1
; LDSByteSize: 0 bytes/workgroup (compile time only)
; SGPRBlocks: 0
; VGPRBlocks: 0
; NumSGPRsForWavesPerEU: 4
; NumVGPRsForWavesPerEU: 1
; AccumOffset: 4
; Occupancy: 8
; WaveLimiterHint : 0
; COMPUTE_PGM_RSRC2:SCRATCH_EN: 0
; COMPUTE_PGM_RSRC2:USER_SGPR: 6
; COMPUTE_PGM_RSRC2:TRAP_HANDLER: 0
; COMPUTE_PGM_RSRC2:TGID_X_EN: 1
; COMPUTE_PGM_RSRC2:TGID_Y_EN: 0
; COMPUTE_PGM_RSRC2:TGID_Z_EN: 0
; COMPUTE_PGM_RSRC2:TIDIG_COMP_CNT: 0
; COMPUTE_PGM_RSRC3_GFX90A:ACCUM_OFFSET: 0
; COMPUTE_PGM_RSRC3_GFX90A:TG_SPLIT: 0
	.section	.text._ZN7rocprim17ROCPRIM_400000_NS6detail17trampoline_kernelINS0_13kernel_configILj256ELj4ELj4294967295EEENS1_37radix_sort_block_sort_config_selectorIiNS0_10empty_typeEEEZNS1_21radix_sort_block_sortIS4_Lb0EPiS9_PS6_SA_NS0_19identity_decomposerEEE10hipError_tT1_T2_T3_T4_jRjT5_jjP12ihipStream_tbEUlT_E_NS1_11comp_targetILNS1_3genE8ELNS1_11target_archE1030ELNS1_3gpuE2ELNS1_3repE0EEENS1_44radix_sort_block_sort_config_static_selectorELNS0_4arch9wavefront6targetE1EEEvSD_,"axG",@progbits,_ZN7rocprim17ROCPRIM_400000_NS6detail17trampoline_kernelINS0_13kernel_configILj256ELj4ELj4294967295EEENS1_37radix_sort_block_sort_config_selectorIiNS0_10empty_typeEEEZNS1_21radix_sort_block_sortIS4_Lb0EPiS9_PS6_SA_NS0_19identity_decomposerEEE10hipError_tT1_T2_T3_T4_jRjT5_jjP12ihipStream_tbEUlT_E_NS1_11comp_targetILNS1_3genE8ELNS1_11target_archE1030ELNS1_3gpuE2ELNS1_3repE0EEENS1_44radix_sort_block_sort_config_static_selectorELNS0_4arch9wavefront6targetE1EEEvSD_,comdat
	.protected	_ZN7rocprim17ROCPRIM_400000_NS6detail17trampoline_kernelINS0_13kernel_configILj256ELj4ELj4294967295EEENS1_37radix_sort_block_sort_config_selectorIiNS0_10empty_typeEEEZNS1_21radix_sort_block_sortIS4_Lb0EPiS9_PS6_SA_NS0_19identity_decomposerEEE10hipError_tT1_T2_T3_T4_jRjT5_jjP12ihipStream_tbEUlT_E_NS1_11comp_targetILNS1_3genE8ELNS1_11target_archE1030ELNS1_3gpuE2ELNS1_3repE0EEENS1_44radix_sort_block_sort_config_static_selectorELNS0_4arch9wavefront6targetE1EEEvSD_ ; -- Begin function _ZN7rocprim17ROCPRIM_400000_NS6detail17trampoline_kernelINS0_13kernel_configILj256ELj4ELj4294967295EEENS1_37radix_sort_block_sort_config_selectorIiNS0_10empty_typeEEEZNS1_21radix_sort_block_sortIS4_Lb0EPiS9_PS6_SA_NS0_19identity_decomposerEEE10hipError_tT1_T2_T3_T4_jRjT5_jjP12ihipStream_tbEUlT_E_NS1_11comp_targetILNS1_3genE8ELNS1_11target_archE1030ELNS1_3gpuE2ELNS1_3repE0EEENS1_44radix_sort_block_sort_config_static_selectorELNS0_4arch9wavefront6targetE1EEEvSD_
	.globl	_ZN7rocprim17ROCPRIM_400000_NS6detail17trampoline_kernelINS0_13kernel_configILj256ELj4ELj4294967295EEENS1_37radix_sort_block_sort_config_selectorIiNS0_10empty_typeEEEZNS1_21radix_sort_block_sortIS4_Lb0EPiS9_PS6_SA_NS0_19identity_decomposerEEE10hipError_tT1_T2_T3_T4_jRjT5_jjP12ihipStream_tbEUlT_E_NS1_11comp_targetILNS1_3genE8ELNS1_11target_archE1030ELNS1_3gpuE2ELNS1_3repE0EEENS1_44radix_sort_block_sort_config_static_selectorELNS0_4arch9wavefront6targetE1EEEvSD_
	.p2align	8
	.type	_ZN7rocprim17ROCPRIM_400000_NS6detail17trampoline_kernelINS0_13kernel_configILj256ELj4ELj4294967295EEENS1_37radix_sort_block_sort_config_selectorIiNS0_10empty_typeEEEZNS1_21radix_sort_block_sortIS4_Lb0EPiS9_PS6_SA_NS0_19identity_decomposerEEE10hipError_tT1_T2_T3_T4_jRjT5_jjP12ihipStream_tbEUlT_E_NS1_11comp_targetILNS1_3genE8ELNS1_11target_archE1030ELNS1_3gpuE2ELNS1_3repE0EEENS1_44radix_sort_block_sort_config_static_selectorELNS0_4arch9wavefront6targetE1EEEvSD_,@function
_ZN7rocprim17ROCPRIM_400000_NS6detail17trampoline_kernelINS0_13kernel_configILj256ELj4ELj4294967295EEENS1_37radix_sort_block_sort_config_selectorIiNS0_10empty_typeEEEZNS1_21radix_sort_block_sortIS4_Lb0EPiS9_PS6_SA_NS0_19identity_decomposerEEE10hipError_tT1_T2_T3_T4_jRjT5_jjP12ihipStream_tbEUlT_E_NS1_11comp_targetILNS1_3genE8ELNS1_11target_archE1030ELNS1_3gpuE2ELNS1_3repE0EEENS1_44radix_sort_block_sort_config_static_selectorELNS0_4arch9wavefront6targetE1EEEvSD_: ; @_ZN7rocprim17ROCPRIM_400000_NS6detail17trampoline_kernelINS0_13kernel_configILj256ELj4ELj4294967295EEENS1_37radix_sort_block_sort_config_selectorIiNS0_10empty_typeEEEZNS1_21radix_sort_block_sortIS4_Lb0EPiS9_PS6_SA_NS0_19identity_decomposerEEE10hipError_tT1_T2_T3_T4_jRjT5_jjP12ihipStream_tbEUlT_E_NS1_11comp_targetILNS1_3genE8ELNS1_11target_archE1030ELNS1_3gpuE2ELNS1_3repE0EEENS1_44radix_sort_block_sort_config_static_selectorELNS0_4arch9wavefront6targetE1EEEvSD_
; %bb.0:
	.section	.rodata,"a",@progbits
	.p2align	6, 0x0
	.amdhsa_kernel _ZN7rocprim17ROCPRIM_400000_NS6detail17trampoline_kernelINS0_13kernel_configILj256ELj4ELj4294967295EEENS1_37radix_sort_block_sort_config_selectorIiNS0_10empty_typeEEEZNS1_21radix_sort_block_sortIS4_Lb0EPiS9_PS6_SA_NS0_19identity_decomposerEEE10hipError_tT1_T2_T3_T4_jRjT5_jjP12ihipStream_tbEUlT_E_NS1_11comp_targetILNS1_3genE8ELNS1_11target_archE1030ELNS1_3gpuE2ELNS1_3repE0EEENS1_44radix_sort_block_sort_config_static_selectorELNS0_4arch9wavefront6targetE1EEEvSD_
		.amdhsa_group_segment_fixed_size 0
		.amdhsa_private_segment_fixed_size 0
		.amdhsa_kernarg_size 48
		.amdhsa_user_sgpr_count 6
		.amdhsa_user_sgpr_private_segment_buffer 1
		.amdhsa_user_sgpr_dispatch_ptr 0
		.amdhsa_user_sgpr_queue_ptr 0
		.amdhsa_user_sgpr_kernarg_segment_ptr 1
		.amdhsa_user_sgpr_dispatch_id 0
		.amdhsa_user_sgpr_flat_scratch_init 0
		.amdhsa_user_sgpr_kernarg_preload_length 0
		.amdhsa_user_sgpr_kernarg_preload_offset 0
		.amdhsa_user_sgpr_private_segment_size 0
		.amdhsa_uses_dynamic_stack 0
		.amdhsa_system_sgpr_private_segment_wavefront_offset 0
		.amdhsa_system_sgpr_workgroup_id_x 1
		.amdhsa_system_sgpr_workgroup_id_y 0
		.amdhsa_system_sgpr_workgroup_id_z 0
		.amdhsa_system_sgpr_workgroup_info 0
		.amdhsa_system_vgpr_workitem_id 0
		.amdhsa_next_free_vgpr 1
		.amdhsa_next_free_sgpr 0
		.amdhsa_accum_offset 4
		.amdhsa_reserve_vcc 0
		.amdhsa_reserve_flat_scratch 0
		.amdhsa_float_round_mode_32 0
		.amdhsa_float_round_mode_16_64 0
		.amdhsa_float_denorm_mode_32 3
		.amdhsa_float_denorm_mode_16_64 3
		.amdhsa_dx10_clamp 1
		.amdhsa_ieee_mode 1
		.amdhsa_fp16_overflow 0
		.amdhsa_tg_split 0
		.amdhsa_exception_fp_ieee_invalid_op 0
		.amdhsa_exception_fp_denorm_src 0
		.amdhsa_exception_fp_ieee_div_zero 0
		.amdhsa_exception_fp_ieee_overflow 0
		.amdhsa_exception_fp_ieee_underflow 0
		.amdhsa_exception_fp_ieee_inexact 0
		.amdhsa_exception_int_div_zero 0
	.end_amdhsa_kernel
	.section	.text._ZN7rocprim17ROCPRIM_400000_NS6detail17trampoline_kernelINS0_13kernel_configILj256ELj4ELj4294967295EEENS1_37radix_sort_block_sort_config_selectorIiNS0_10empty_typeEEEZNS1_21radix_sort_block_sortIS4_Lb0EPiS9_PS6_SA_NS0_19identity_decomposerEEE10hipError_tT1_T2_T3_T4_jRjT5_jjP12ihipStream_tbEUlT_E_NS1_11comp_targetILNS1_3genE8ELNS1_11target_archE1030ELNS1_3gpuE2ELNS1_3repE0EEENS1_44radix_sort_block_sort_config_static_selectorELNS0_4arch9wavefront6targetE1EEEvSD_,"axG",@progbits,_ZN7rocprim17ROCPRIM_400000_NS6detail17trampoline_kernelINS0_13kernel_configILj256ELj4ELj4294967295EEENS1_37radix_sort_block_sort_config_selectorIiNS0_10empty_typeEEEZNS1_21radix_sort_block_sortIS4_Lb0EPiS9_PS6_SA_NS0_19identity_decomposerEEE10hipError_tT1_T2_T3_T4_jRjT5_jjP12ihipStream_tbEUlT_E_NS1_11comp_targetILNS1_3genE8ELNS1_11target_archE1030ELNS1_3gpuE2ELNS1_3repE0EEENS1_44radix_sort_block_sort_config_static_selectorELNS0_4arch9wavefront6targetE1EEEvSD_,comdat
.Lfunc_end566:
	.size	_ZN7rocprim17ROCPRIM_400000_NS6detail17trampoline_kernelINS0_13kernel_configILj256ELj4ELj4294967295EEENS1_37radix_sort_block_sort_config_selectorIiNS0_10empty_typeEEEZNS1_21radix_sort_block_sortIS4_Lb0EPiS9_PS6_SA_NS0_19identity_decomposerEEE10hipError_tT1_T2_T3_T4_jRjT5_jjP12ihipStream_tbEUlT_E_NS1_11comp_targetILNS1_3genE8ELNS1_11target_archE1030ELNS1_3gpuE2ELNS1_3repE0EEENS1_44radix_sort_block_sort_config_static_selectorELNS0_4arch9wavefront6targetE1EEEvSD_, .Lfunc_end566-_ZN7rocprim17ROCPRIM_400000_NS6detail17trampoline_kernelINS0_13kernel_configILj256ELj4ELj4294967295EEENS1_37radix_sort_block_sort_config_selectorIiNS0_10empty_typeEEEZNS1_21radix_sort_block_sortIS4_Lb0EPiS9_PS6_SA_NS0_19identity_decomposerEEE10hipError_tT1_T2_T3_T4_jRjT5_jjP12ihipStream_tbEUlT_E_NS1_11comp_targetILNS1_3genE8ELNS1_11target_archE1030ELNS1_3gpuE2ELNS1_3repE0EEENS1_44radix_sort_block_sort_config_static_selectorELNS0_4arch9wavefront6targetE1EEEvSD_
                                        ; -- End function
	.section	.AMDGPU.csdata,"",@progbits
; Kernel info:
; codeLenInByte = 0
; NumSgprs: 4
; NumVgprs: 0
; NumAgprs: 0
; TotalNumVgprs: 0
; ScratchSize: 0
; MemoryBound: 0
; FloatMode: 240
; IeeeMode: 1
; LDSByteSize: 0 bytes/workgroup (compile time only)
; SGPRBlocks: 0
; VGPRBlocks: 0
; NumSGPRsForWavesPerEU: 4
; NumVGPRsForWavesPerEU: 1
; AccumOffset: 4
; Occupancy: 8
; WaveLimiterHint : 0
; COMPUTE_PGM_RSRC2:SCRATCH_EN: 0
; COMPUTE_PGM_RSRC2:USER_SGPR: 6
; COMPUTE_PGM_RSRC2:TRAP_HANDLER: 0
; COMPUTE_PGM_RSRC2:TGID_X_EN: 1
; COMPUTE_PGM_RSRC2:TGID_Y_EN: 0
; COMPUTE_PGM_RSRC2:TGID_Z_EN: 0
; COMPUTE_PGM_RSRC2:TIDIG_COMP_CNT: 0
; COMPUTE_PGM_RSRC3_GFX90A:ACCUM_OFFSET: 0
; COMPUTE_PGM_RSRC3_GFX90A:TG_SPLIT: 0
	.section	.text._ZN7rocprim17ROCPRIM_400000_NS6detail44device_merge_sort_compile_time_verifier_archINS1_11comp_targetILNS1_3genE0ELNS1_11target_archE4294967295ELNS1_3gpuE0ELNS1_3repE0EEES8_NS1_28merge_sort_block_sort_configILj256ELj4ELNS0_20block_sort_algorithmE0EEENS0_14default_configENS1_37merge_sort_block_sort_config_selectorIiNS0_10empty_typeEEENS1_38merge_sort_block_merge_config_selectorIiSE_EEEEvv,"axG",@progbits,_ZN7rocprim17ROCPRIM_400000_NS6detail44device_merge_sort_compile_time_verifier_archINS1_11comp_targetILNS1_3genE0ELNS1_11target_archE4294967295ELNS1_3gpuE0ELNS1_3repE0EEES8_NS1_28merge_sort_block_sort_configILj256ELj4ELNS0_20block_sort_algorithmE0EEENS0_14default_configENS1_37merge_sort_block_sort_config_selectorIiNS0_10empty_typeEEENS1_38merge_sort_block_merge_config_selectorIiSE_EEEEvv,comdat
	.protected	_ZN7rocprim17ROCPRIM_400000_NS6detail44device_merge_sort_compile_time_verifier_archINS1_11comp_targetILNS1_3genE0ELNS1_11target_archE4294967295ELNS1_3gpuE0ELNS1_3repE0EEES8_NS1_28merge_sort_block_sort_configILj256ELj4ELNS0_20block_sort_algorithmE0EEENS0_14default_configENS1_37merge_sort_block_sort_config_selectorIiNS0_10empty_typeEEENS1_38merge_sort_block_merge_config_selectorIiSE_EEEEvv ; -- Begin function _ZN7rocprim17ROCPRIM_400000_NS6detail44device_merge_sort_compile_time_verifier_archINS1_11comp_targetILNS1_3genE0ELNS1_11target_archE4294967295ELNS1_3gpuE0ELNS1_3repE0EEES8_NS1_28merge_sort_block_sort_configILj256ELj4ELNS0_20block_sort_algorithmE0EEENS0_14default_configENS1_37merge_sort_block_sort_config_selectorIiNS0_10empty_typeEEENS1_38merge_sort_block_merge_config_selectorIiSE_EEEEvv
	.globl	_ZN7rocprim17ROCPRIM_400000_NS6detail44device_merge_sort_compile_time_verifier_archINS1_11comp_targetILNS1_3genE0ELNS1_11target_archE4294967295ELNS1_3gpuE0ELNS1_3repE0EEES8_NS1_28merge_sort_block_sort_configILj256ELj4ELNS0_20block_sort_algorithmE0EEENS0_14default_configENS1_37merge_sort_block_sort_config_selectorIiNS0_10empty_typeEEENS1_38merge_sort_block_merge_config_selectorIiSE_EEEEvv
	.p2align	8
	.type	_ZN7rocprim17ROCPRIM_400000_NS6detail44device_merge_sort_compile_time_verifier_archINS1_11comp_targetILNS1_3genE0ELNS1_11target_archE4294967295ELNS1_3gpuE0ELNS1_3repE0EEES8_NS1_28merge_sort_block_sort_configILj256ELj4ELNS0_20block_sort_algorithmE0EEENS0_14default_configENS1_37merge_sort_block_sort_config_selectorIiNS0_10empty_typeEEENS1_38merge_sort_block_merge_config_selectorIiSE_EEEEvv,@function
_ZN7rocprim17ROCPRIM_400000_NS6detail44device_merge_sort_compile_time_verifier_archINS1_11comp_targetILNS1_3genE0ELNS1_11target_archE4294967295ELNS1_3gpuE0ELNS1_3repE0EEES8_NS1_28merge_sort_block_sort_configILj256ELj4ELNS0_20block_sort_algorithmE0EEENS0_14default_configENS1_37merge_sort_block_sort_config_selectorIiNS0_10empty_typeEEENS1_38merge_sort_block_merge_config_selectorIiSE_EEEEvv: ; @_ZN7rocprim17ROCPRIM_400000_NS6detail44device_merge_sort_compile_time_verifier_archINS1_11comp_targetILNS1_3genE0ELNS1_11target_archE4294967295ELNS1_3gpuE0ELNS1_3repE0EEES8_NS1_28merge_sort_block_sort_configILj256ELj4ELNS0_20block_sort_algorithmE0EEENS0_14default_configENS1_37merge_sort_block_sort_config_selectorIiNS0_10empty_typeEEENS1_38merge_sort_block_merge_config_selectorIiSE_EEEEvv
; %bb.0:
	s_endpgm
	.section	.rodata,"a",@progbits
	.p2align	6, 0x0
	.amdhsa_kernel _ZN7rocprim17ROCPRIM_400000_NS6detail44device_merge_sort_compile_time_verifier_archINS1_11comp_targetILNS1_3genE0ELNS1_11target_archE4294967295ELNS1_3gpuE0ELNS1_3repE0EEES8_NS1_28merge_sort_block_sort_configILj256ELj4ELNS0_20block_sort_algorithmE0EEENS0_14default_configENS1_37merge_sort_block_sort_config_selectorIiNS0_10empty_typeEEENS1_38merge_sort_block_merge_config_selectorIiSE_EEEEvv
		.amdhsa_group_segment_fixed_size 0
		.amdhsa_private_segment_fixed_size 0
		.amdhsa_kernarg_size 0
		.amdhsa_user_sgpr_count 4
		.amdhsa_user_sgpr_private_segment_buffer 1
		.amdhsa_user_sgpr_dispatch_ptr 0
		.amdhsa_user_sgpr_queue_ptr 0
		.amdhsa_user_sgpr_kernarg_segment_ptr 0
		.amdhsa_user_sgpr_dispatch_id 0
		.amdhsa_user_sgpr_flat_scratch_init 0
		.amdhsa_user_sgpr_kernarg_preload_length 0
		.amdhsa_user_sgpr_kernarg_preload_offset 0
		.amdhsa_user_sgpr_private_segment_size 0
		.amdhsa_uses_dynamic_stack 0
		.amdhsa_system_sgpr_private_segment_wavefront_offset 0
		.amdhsa_system_sgpr_workgroup_id_x 1
		.amdhsa_system_sgpr_workgroup_id_y 0
		.amdhsa_system_sgpr_workgroup_id_z 0
		.amdhsa_system_sgpr_workgroup_info 0
		.amdhsa_system_vgpr_workitem_id 0
		.amdhsa_next_free_vgpr 1
		.amdhsa_next_free_sgpr 0
		.amdhsa_accum_offset 4
		.amdhsa_reserve_vcc 0
		.amdhsa_reserve_flat_scratch 0
		.amdhsa_float_round_mode_32 0
		.amdhsa_float_round_mode_16_64 0
		.amdhsa_float_denorm_mode_32 3
		.amdhsa_float_denorm_mode_16_64 3
		.amdhsa_dx10_clamp 1
		.amdhsa_ieee_mode 1
		.amdhsa_fp16_overflow 0
		.amdhsa_tg_split 0
		.amdhsa_exception_fp_ieee_invalid_op 0
		.amdhsa_exception_fp_denorm_src 0
		.amdhsa_exception_fp_ieee_div_zero 0
		.amdhsa_exception_fp_ieee_overflow 0
		.amdhsa_exception_fp_ieee_underflow 0
		.amdhsa_exception_fp_ieee_inexact 0
		.amdhsa_exception_int_div_zero 0
	.end_amdhsa_kernel
	.section	.text._ZN7rocprim17ROCPRIM_400000_NS6detail44device_merge_sort_compile_time_verifier_archINS1_11comp_targetILNS1_3genE0ELNS1_11target_archE4294967295ELNS1_3gpuE0ELNS1_3repE0EEES8_NS1_28merge_sort_block_sort_configILj256ELj4ELNS0_20block_sort_algorithmE0EEENS0_14default_configENS1_37merge_sort_block_sort_config_selectorIiNS0_10empty_typeEEENS1_38merge_sort_block_merge_config_selectorIiSE_EEEEvv,"axG",@progbits,_ZN7rocprim17ROCPRIM_400000_NS6detail44device_merge_sort_compile_time_verifier_archINS1_11comp_targetILNS1_3genE0ELNS1_11target_archE4294967295ELNS1_3gpuE0ELNS1_3repE0EEES8_NS1_28merge_sort_block_sort_configILj256ELj4ELNS0_20block_sort_algorithmE0EEENS0_14default_configENS1_37merge_sort_block_sort_config_selectorIiNS0_10empty_typeEEENS1_38merge_sort_block_merge_config_selectorIiSE_EEEEvv,comdat
.Lfunc_end567:
	.size	_ZN7rocprim17ROCPRIM_400000_NS6detail44device_merge_sort_compile_time_verifier_archINS1_11comp_targetILNS1_3genE0ELNS1_11target_archE4294967295ELNS1_3gpuE0ELNS1_3repE0EEES8_NS1_28merge_sort_block_sort_configILj256ELj4ELNS0_20block_sort_algorithmE0EEENS0_14default_configENS1_37merge_sort_block_sort_config_selectorIiNS0_10empty_typeEEENS1_38merge_sort_block_merge_config_selectorIiSE_EEEEvv, .Lfunc_end567-_ZN7rocprim17ROCPRIM_400000_NS6detail44device_merge_sort_compile_time_verifier_archINS1_11comp_targetILNS1_3genE0ELNS1_11target_archE4294967295ELNS1_3gpuE0ELNS1_3repE0EEES8_NS1_28merge_sort_block_sort_configILj256ELj4ELNS0_20block_sort_algorithmE0EEENS0_14default_configENS1_37merge_sort_block_sort_config_selectorIiNS0_10empty_typeEEENS1_38merge_sort_block_merge_config_selectorIiSE_EEEEvv
                                        ; -- End function
	.section	.AMDGPU.csdata,"",@progbits
; Kernel info:
; codeLenInByte = 4
; NumSgprs: 4
; NumVgprs: 0
; NumAgprs: 0
; TotalNumVgprs: 0
; ScratchSize: 0
; MemoryBound: 0
; FloatMode: 240
; IeeeMode: 1
; LDSByteSize: 0 bytes/workgroup (compile time only)
; SGPRBlocks: 0
; VGPRBlocks: 0
; NumSGPRsForWavesPerEU: 4
; NumVGPRsForWavesPerEU: 1
; AccumOffset: 4
; Occupancy: 8
; WaveLimiterHint : 0
; COMPUTE_PGM_RSRC2:SCRATCH_EN: 0
; COMPUTE_PGM_RSRC2:USER_SGPR: 4
; COMPUTE_PGM_RSRC2:TRAP_HANDLER: 0
; COMPUTE_PGM_RSRC2:TGID_X_EN: 1
; COMPUTE_PGM_RSRC2:TGID_Y_EN: 0
; COMPUTE_PGM_RSRC2:TGID_Z_EN: 0
; COMPUTE_PGM_RSRC2:TIDIG_COMP_CNT: 0
; COMPUTE_PGM_RSRC3_GFX90A:ACCUM_OFFSET: 0
; COMPUTE_PGM_RSRC3_GFX90A:TG_SPLIT: 0
	.section	.text._ZN7rocprim17ROCPRIM_400000_NS6detail44device_merge_sort_compile_time_verifier_archINS1_11comp_targetILNS1_3genE5ELNS1_11target_archE942ELNS1_3gpuE9ELNS1_3repE0EEES8_NS1_28merge_sort_block_sort_configILj256ELj4ELNS0_20block_sort_algorithmE0EEENS0_14default_configENS1_37merge_sort_block_sort_config_selectorIiNS0_10empty_typeEEENS1_38merge_sort_block_merge_config_selectorIiSE_EEEEvv,"axG",@progbits,_ZN7rocprim17ROCPRIM_400000_NS6detail44device_merge_sort_compile_time_verifier_archINS1_11comp_targetILNS1_3genE5ELNS1_11target_archE942ELNS1_3gpuE9ELNS1_3repE0EEES8_NS1_28merge_sort_block_sort_configILj256ELj4ELNS0_20block_sort_algorithmE0EEENS0_14default_configENS1_37merge_sort_block_sort_config_selectorIiNS0_10empty_typeEEENS1_38merge_sort_block_merge_config_selectorIiSE_EEEEvv,comdat
	.protected	_ZN7rocprim17ROCPRIM_400000_NS6detail44device_merge_sort_compile_time_verifier_archINS1_11comp_targetILNS1_3genE5ELNS1_11target_archE942ELNS1_3gpuE9ELNS1_3repE0EEES8_NS1_28merge_sort_block_sort_configILj256ELj4ELNS0_20block_sort_algorithmE0EEENS0_14default_configENS1_37merge_sort_block_sort_config_selectorIiNS0_10empty_typeEEENS1_38merge_sort_block_merge_config_selectorIiSE_EEEEvv ; -- Begin function _ZN7rocprim17ROCPRIM_400000_NS6detail44device_merge_sort_compile_time_verifier_archINS1_11comp_targetILNS1_3genE5ELNS1_11target_archE942ELNS1_3gpuE9ELNS1_3repE0EEES8_NS1_28merge_sort_block_sort_configILj256ELj4ELNS0_20block_sort_algorithmE0EEENS0_14default_configENS1_37merge_sort_block_sort_config_selectorIiNS0_10empty_typeEEENS1_38merge_sort_block_merge_config_selectorIiSE_EEEEvv
	.globl	_ZN7rocprim17ROCPRIM_400000_NS6detail44device_merge_sort_compile_time_verifier_archINS1_11comp_targetILNS1_3genE5ELNS1_11target_archE942ELNS1_3gpuE9ELNS1_3repE0EEES8_NS1_28merge_sort_block_sort_configILj256ELj4ELNS0_20block_sort_algorithmE0EEENS0_14default_configENS1_37merge_sort_block_sort_config_selectorIiNS0_10empty_typeEEENS1_38merge_sort_block_merge_config_selectorIiSE_EEEEvv
	.p2align	8
	.type	_ZN7rocprim17ROCPRIM_400000_NS6detail44device_merge_sort_compile_time_verifier_archINS1_11comp_targetILNS1_3genE5ELNS1_11target_archE942ELNS1_3gpuE9ELNS1_3repE0EEES8_NS1_28merge_sort_block_sort_configILj256ELj4ELNS0_20block_sort_algorithmE0EEENS0_14default_configENS1_37merge_sort_block_sort_config_selectorIiNS0_10empty_typeEEENS1_38merge_sort_block_merge_config_selectorIiSE_EEEEvv,@function
_ZN7rocprim17ROCPRIM_400000_NS6detail44device_merge_sort_compile_time_verifier_archINS1_11comp_targetILNS1_3genE5ELNS1_11target_archE942ELNS1_3gpuE9ELNS1_3repE0EEES8_NS1_28merge_sort_block_sort_configILj256ELj4ELNS0_20block_sort_algorithmE0EEENS0_14default_configENS1_37merge_sort_block_sort_config_selectorIiNS0_10empty_typeEEENS1_38merge_sort_block_merge_config_selectorIiSE_EEEEvv: ; @_ZN7rocprim17ROCPRIM_400000_NS6detail44device_merge_sort_compile_time_verifier_archINS1_11comp_targetILNS1_3genE5ELNS1_11target_archE942ELNS1_3gpuE9ELNS1_3repE0EEES8_NS1_28merge_sort_block_sort_configILj256ELj4ELNS0_20block_sort_algorithmE0EEENS0_14default_configENS1_37merge_sort_block_sort_config_selectorIiNS0_10empty_typeEEENS1_38merge_sort_block_merge_config_selectorIiSE_EEEEvv
; %bb.0:
	s_endpgm
	.section	.rodata,"a",@progbits
	.p2align	6, 0x0
	.amdhsa_kernel _ZN7rocprim17ROCPRIM_400000_NS6detail44device_merge_sort_compile_time_verifier_archINS1_11comp_targetILNS1_3genE5ELNS1_11target_archE942ELNS1_3gpuE9ELNS1_3repE0EEES8_NS1_28merge_sort_block_sort_configILj256ELj4ELNS0_20block_sort_algorithmE0EEENS0_14default_configENS1_37merge_sort_block_sort_config_selectorIiNS0_10empty_typeEEENS1_38merge_sort_block_merge_config_selectorIiSE_EEEEvv
		.amdhsa_group_segment_fixed_size 0
		.amdhsa_private_segment_fixed_size 0
		.amdhsa_kernarg_size 0
		.amdhsa_user_sgpr_count 4
		.amdhsa_user_sgpr_private_segment_buffer 1
		.amdhsa_user_sgpr_dispatch_ptr 0
		.amdhsa_user_sgpr_queue_ptr 0
		.amdhsa_user_sgpr_kernarg_segment_ptr 0
		.amdhsa_user_sgpr_dispatch_id 0
		.amdhsa_user_sgpr_flat_scratch_init 0
		.amdhsa_user_sgpr_kernarg_preload_length 0
		.amdhsa_user_sgpr_kernarg_preload_offset 0
		.amdhsa_user_sgpr_private_segment_size 0
		.amdhsa_uses_dynamic_stack 0
		.amdhsa_system_sgpr_private_segment_wavefront_offset 0
		.amdhsa_system_sgpr_workgroup_id_x 1
		.amdhsa_system_sgpr_workgroup_id_y 0
		.amdhsa_system_sgpr_workgroup_id_z 0
		.amdhsa_system_sgpr_workgroup_info 0
		.amdhsa_system_vgpr_workitem_id 0
		.amdhsa_next_free_vgpr 1
		.amdhsa_next_free_sgpr 0
		.amdhsa_accum_offset 4
		.amdhsa_reserve_vcc 0
		.amdhsa_reserve_flat_scratch 0
		.amdhsa_float_round_mode_32 0
		.amdhsa_float_round_mode_16_64 0
		.amdhsa_float_denorm_mode_32 3
		.amdhsa_float_denorm_mode_16_64 3
		.amdhsa_dx10_clamp 1
		.amdhsa_ieee_mode 1
		.amdhsa_fp16_overflow 0
		.amdhsa_tg_split 0
		.amdhsa_exception_fp_ieee_invalid_op 0
		.amdhsa_exception_fp_denorm_src 0
		.amdhsa_exception_fp_ieee_div_zero 0
		.amdhsa_exception_fp_ieee_overflow 0
		.amdhsa_exception_fp_ieee_underflow 0
		.amdhsa_exception_fp_ieee_inexact 0
		.amdhsa_exception_int_div_zero 0
	.end_amdhsa_kernel
	.section	.text._ZN7rocprim17ROCPRIM_400000_NS6detail44device_merge_sort_compile_time_verifier_archINS1_11comp_targetILNS1_3genE5ELNS1_11target_archE942ELNS1_3gpuE9ELNS1_3repE0EEES8_NS1_28merge_sort_block_sort_configILj256ELj4ELNS0_20block_sort_algorithmE0EEENS0_14default_configENS1_37merge_sort_block_sort_config_selectorIiNS0_10empty_typeEEENS1_38merge_sort_block_merge_config_selectorIiSE_EEEEvv,"axG",@progbits,_ZN7rocprim17ROCPRIM_400000_NS6detail44device_merge_sort_compile_time_verifier_archINS1_11comp_targetILNS1_3genE5ELNS1_11target_archE942ELNS1_3gpuE9ELNS1_3repE0EEES8_NS1_28merge_sort_block_sort_configILj256ELj4ELNS0_20block_sort_algorithmE0EEENS0_14default_configENS1_37merge_sort_block_sort_config_selectorIiNS0_10empty_typeEEENS1_38merge_sort_block_merge_config_selectorIiSE_EEEEvv,comdat
.Lfunc_end568:
	.size	_ZN7rocprim17ROCPRIM_400000_NS6detail44device_merge_sort_compile_time_verifier_archINS1_11comp_targetILNS1_3genE5ELNS1_11target_archE942ELNS1_3gpuE9ELNS1_3repE0EEES8_NS1_28merge_sort_block_sort_configILj256ELj4ELNS0_20block_sort_algorithmE0EEENS0_14default_configENS1_37merge_sort_block_sort_config_selectorIiNS0_10empty_typeEEENS1_38merge_sort_block_merge_config_selectorIiSE_EEEEvv, .Lfunc_end568-_ZN7rocprim17ROCPRIM_400000_NS6detail44device_merge_sort_compile_time_verifier_archINS1_11comp_targetILNS1_3genE5ELNS1_11target_archE942ELNS1_3gpuE9ELNS1_3repE0EEES8_NS1_28merge_sort_block_sort_configILj256ELj4ELNS0_20block_sort_algorithmE0EEENS0_14default_configENS1_37merge_sort_block_sort_config_selectorIiNS0_10empty_typeEEENS1_38merge_sort_block_merge_config_selectorIiSE_EEEEvv
                                        ; -- End function
	.section	.AMDGPU.csdata,"",@progbits
; Kernel info:
; codeLenInByte = 4
; NumSgprs: 4
; NumVgprs: 0
; NumAgprs: 0
; TotalNumVgprs: 0
; ScratchSize: 0
; MemoryBound: 0
; FloatMode: 240
; IeeeMode: 1
; LDSByteSize: 0 bytes/workgroup (compile time only)
; SGPRBlocks: 0
; VGPRBlocks: 0
; NumSGPRsForWavesPerEU: 4
; NumVGPRsForWavesPerEU: 1
; AccumOffset: 4
; Occupancy: 8
; WaveLimiterHint : 0
; COMPUTE_PGM_RSRC2:SCRATCH_EN: 0
; COMPUTE_PGM_RSRC2:USER_SGPR: 4
; COMPUTE_PGM_RSRC2:TRAP_HANDLER: 0
; COMPUTE_PGM_RSRC2:TGID_X_EN: 1
; COMPUTE_PGM_RSRC2:TGID_Y_EN: 0
; COMPUTE_PGM_RSRC2:TGID_Z_EN: 0
; COMPUTE_PGM_RSRC2:TIDIG_COMP_CNT: 0
; COMPUTE_PGM_RSRC3_GFX90A:ACCUM_OFFSET: 0
; COMPUTE_PGM_RSRC3_GFX90A:TG_SPLIT: 0
	.section	.text._ZN7rocprim17ROCPRIM_400000_NS6detail44device_merge_sort_compile_time_verifier_archINS1_11comp_targetILNS1_3genE4ELNS1_11target_archE910ELNS1_3gpuE8ELNS1_3repE0EEES8_NS1_28merge_sort_block_sort_configILj256ELj4ELNS0_20block_sort_algorithmE0EEENS0_14default_configENS1_37merge_sort_block_sort_config_selectorIiNS0_10empty_typeEEENS1_38merge_sort_block_merge_config_selectorIiSE_EEEEvv,"axG",@progbits,_ZN7rocprim17ROCPRIM_400000_NS6detail44device_merge_sort_compile_time_verifier_archINS1_11comp_targetILNS1_3genE4ELNS1_11target_archE910ELNS1_3gpuE8ELNS1_3repE0EEES8_NS1_28merge_sort_block_sort_configILj256ELj4ELNS0_20block_sort_algorithmE0EEENS0_14default_configENS1_37merge_sort_block_sort_config_selectorIiNS0_10empty_typeEEENS1_38merge_sort_block_merge_config_selectorIiSE_EEEEvv,comdat
	.protected	_ZN7rocprim17ROCPRIM_400000_NS6detail44device_merge_sort_compile_time_verifier_archINS1_11comp_targetILNS1_3genE4ELNS1_11target_archE910ELNS1_3gpuE8ELNS1_3repE0EEES8_NS1_28merge_sort_block_sort_configILj256ELj4ELNS0_20block_sort_algorithmE0EEENS0_14default_configENS1_37merge_sort_block_sort_config_selectorIiNS0_10empty_typeEEENS1_38merge_sort_block_merge_config_selectorIiSE_EEEEvv ; -- Begin function _ZN7rocprim17ROCPRIM_400000_NS6detail44device_merge_sort_compile_time_verifier_archINS1_11comp_targetILNS1_3genE4ELNS1_11target_archE910ELNS1_3gpuE8ELNS1_3repE0EEES8_NS1_28merge_sort_block_sort_configILj256ELj4ELNS0_20block_sort_algorithmE0EEENS0_14default_configENS1_37merge_sort_block_sort_config_selectorIiNS0_10empty_typeEEENS1_38merge_sort_block_merge_config_selectorIiSE_EEEEvv
	.globl	_ZN7rocprim17ROCPRIM_400000_NS6detail44device_merge_sort_compile_time_verifier_archINS1_11comp_targetILNS1_3genE4ELNS1_11target_archE910ELNS1_3gpuE8ELNS1_3repE0EEES8_NS1_28merge_sort_block_sort_configILj256ELj4ELNS0_20block_sort_algorithmE0EEENS0_14default_configENS1_37merge_sort_block_sort_config_selectorIiNS0_10empty_typeEEENS1_38merge_sort_block_merge_config_selectorIiSE_EEEEvv
	.p2align	8
	.type	_ZN7rocprim17ROCPRIM_400000_NS6detail44device_merge_sort_compile_time_verifier_archINS1_11comp_targetILNS1_3genE4ELNS1_11target_archE910ELNS1_3gpuE8ELNS1_3repE0EEES8_NS1_28merge_sort_block_sort_configILj256ELj4ELNS0_20block_sort_algorithmE0EEENS0_14default_configENS1_37merge_sort_block_sort_config_selectorIiNS0_10empty_typeEEENS1_38merge_sort_block_merge_config_selectorIiSE_EEEEvv,@function
_ZN7rocprim17ROCPRIM_400000_NS6detail44device_merge_sort_compile_time_verifier_archINS1_11comp_targetILNS1_3genE4ELNS1_11target_archE910ELNS1_3gpuE8ELNS1_3repE0EEES8_NS1_28merge_sort_block_sort_configILj256ELj4ELNS0_20block_sort_algorithmE0EEENS0_14default_configENS1_37merge_sort_block_sort_config_selectorIiNS0_10empty_typeEEENS1_38merge_sort_block_merge_config_selectorIiSE_EEEEvv: ; @_ZN7rocprim17ROCPRIM_400000_NS6detail44device_merge_sort_compile_time_verifier_archINS1_11comp_targetILNS1_3genE4ELNS1_11target_archE910ELNS1_3gpuE8ELNS1_3repE0EEES8_NS1_28merge_sort_block_sort_configILj256ELj4ELNS0_20block_sort_algorithmE0EEENS0_14default_configENS1_37merge_sort_block_sort_config_selectorIiNS0_10empty_typeEEENS1_38merge_sort_block_merge_config_selectorIiSE_EEEEvv
; %bb.0:
	s_endpgm
	.section	.rodata,"a",@progbits
	.p2align	6, 0x0
	.amdhsa_kernel _ZN7rocprim17ROCPRIM_400000_NS6detail44device_merge_sort_compile_time_verifier_archINS1_11comp_targetILNS1_3genE4ELNS1_11target_archE910ELNS1_3gpuE8ELNS1_3repE0EEES8_NS1_28merge_sort_block_sort_configILj256ELj4ELNS0_20block_sort_algorithmE0EEENS0_14default_configENS1_37merge_sort_block_sort_config_selectorIiNS0_10empty_typeEEENS1_38merge_sort_block_merge_config_selectorIiSE_EEEEvv
		.amdhsa_group_segment_fixed_size 0
		.amdhsa_private_segment_fixed_size 0
		.amdhsa_kernarg_size 0
		.amdhsa_user_sgpr_count 4
		.amdhsa_user_sgpr_private_segment_buffer 1
		.amdhsa_user_sgpr_dispatch_ptr 0
		.amdhsa_user_sgpr_queue_ptr 0
		.amdhsa_user_sgpr_kernarg_segment_ptr 0
		.amdhsa_user_sgpr_dispatch_id 0
		.amdhsa_user_sgpr_flat_scratch_init 0
		.amdhsa_user_sgpr_kernarg_preload_length 0
		.amdhsa_user_sgpr_kernarg_preload_offset 0
		.amdhsa_user_sgpr_private_segment_size 0
		.amdhsa_uses_dynamic_stack 0
		.amdhsa_system_sgpr_private_segment_wavefront_offset 0
		.amdhsa_system_sgpr_workgroup_id_x 1
		.amdhsa_system_sgpr_workgroup_id_y 0
		.amdhsa_system_sgpr_workgroup_id_z 0
		.amdhsa_system_sgpr_workgroup_info 0
		.amdhsa_system_vgpr_workitem_id 0
		.amdhsa_next_free_vgpr 1
		.amdhsa_next_free_sgpr 0
		.amdhsa_accum_offset 4
		.amdhsa_reserve_vcc 0
		.amdhsa_reserve_flat_scratch 0
		.amdhsa_float_round_mode_32 0
		.amdhsa_float_round_mode_16_64 0
		.amdhsa_float_denorm_mode_32 3
		.amdhsa_float_denorm_mode_16_64 3
		.amdhsa_dx10_clamp 1
		.amdhsa_ieee_mode 1
		.amdhsa_fp16_overflow 0
		.amdhsa_tg_split 0
		.amdhsa_exception_fp_ieee_invalid_op 0
		.amdhsa_exception_fp_denorm_src 0
		.amdhsa_exception_fp_ieee_div_zero 0
		.amdhsa_exception_fp_ieee_overflow 0
		.amdhsa_exception_fp_ieee_underflow 0
		.amdhsa_exception_fp_ieee_inexact 0
		.amdhsa_exception_int_div_zero 0
	.end_amdhsa_kernel
	.section	.text._ZN7rocprim17ROCPRIM_400000_NS6detail44device_merge_sort_compile_time_verifier_archINS1_11comp_targetILNS1_3genE4ELNS1_11target_archE910ELNS1_3gpuE8ELNS1_3repE0EEES8_NS1_28merge_sort_block_sort_configILj256ELj4ELNS0_20block_sort_algorithmE0EEENS0_14default_configENS1_37merge_sort_block_sort_config_selectorIiNS0_10empty_typeEEENS1_38merge_sort_block_merge_config_selectorIiSE_EEEEvv,"axG",@progbits,_ZN7rocprim17ROCPRIM_400000_NS6detail44device_merge_sort_compile_time_verifier_archINS1_11comp_targetILNS1_3genE4ELNS1_11target_archE910ELNS1_3gpuE8ELNS1_3repE0EEES8_NS1_28merge_sort_block_sort_configILj256ELj4ELNS0_20block_sort_algorithmE0EEENS0_14default_configENS1_37merge_sort_block_sort_config_selectorIiNS0_10empty_typeEEENS1_38merge_sort_block_merge_config_selectorIiSE_EEEEvv,comdat
.Lfunc_end569:
	.size	_ZN7rocprim17ROCPRIM_400000_NS6detail44device_merge_sort_compile_time_verifier_archINS1_11comp_targetILNS1_3genE4ELNS1_11target_archE910ELNS1_3gpuE8ELNS1_3repE0EEES8_NS1_28merge_sort_block_sort_configILj256ELj4ELNS0_20block_sort_algorithmE0EEENS0_14default_configENS1_37merge_sort_block_sort_config_selectorIiNS0_10empty_typeEEENS1_38merge_sort_block_merge_config_selectorIiSE_EEEEvv, .Lfunc_end569-_ZN7rocprim17ROCPRIM_400000_NS6detail44device_merge_sort_compile_time_verifier_archINS1_11comp_targetILNS1_3genE4ELNS1_11target_archE910ELNS1_3gpuE8ELNS1_3repE0EEES8_NS1_28merge_sort_block_sort_configILj256ELj4ELNS0_20block_sort_algorithmE0EEENS0_14default_configENS1_37merge_sort_block_sort_config_selectorIiNS0_10empty_typeEEENS1_38merge_sort_block_merge_config_selectorIiSE_EEEEvv
                                        ; -- End function
	.section	.AMDGPU.csdata,"",@progbits
; Kernel info:
; codeLenInByte = 4
; NumSgprs: 4
; NumVgprs: 0
; NumAgprs: 0
; TotalNumVgprs: 0
; ScratchSize: 0
; MemoryBound: 0
; FloatMode: 240
; IeeeMode: 1
; LDSByteSize: 0 bytes/workgroup (compile time only)
; SGPRBlocks: 0
; VGPRBlocks: 0
; NumSGPRsForWavesPerEU: 4
; NumVGPRsForWavesPerEU: 1
; AccumOffset: 4
; Occupancy: 8
; WaveLimiterHint : 0
; COMPUTE_PGM_RSRC2:SCRATCH_EN: 0
; COMPUTE_PGM_RSRC2:USER_SGPR: 4
; COMPUTE_PGM_RSRC2:TRAP_HANDLER: 0
; COMPUTE_PGM_RSRC2:TGID_X_EN: 1
; COMPUTE_PGM_RSRC2:TGID_Y_EN: 0
; COMPUTE_PGM_RSRC2:TGID_Z_EN: 0
; COMPUTE_PGM_RSRC2:TIDIG_COMP_CNT: 0
; COMPUTE_PGM_RSRC3_GFX90A:ACCUM_OFFSET: 0
; COMPUTE_PGM_RSRC3_GFX90A:TG_SPLIT: 0
	.section	.text._ZN7rocprim17ROCPRIM_400000_NS6detail44device_merge_sort_compile_time_verifier_archINS1_11comp_targetILNS1_3genE3ELNS1_11target_archE908ELNS1_3gpuE7ELNS1_3repE0EEES8_NS1_28merge_sort_block_sort_configILj256ELj4ELNS0_20block_sort_algorithmE0EEENS0_14default_configENS1_37merge_sort_block_sort_config_selectorIiNS0_10empty_typeEEENS1_38merge_sort_block_merge_config_selectorIiSE_EEEEvv,"axG",@progbits,_ZN7rocprim17ROCPRIM_400000_NS6detail44device_merge_sort_compile_time_verifier_archINS1_11comp_targetILNS1_3genE3ELNS1_11target_archE908ELNS1_3gpuE7ELNS1_3repE0EEES8_NS1_28merge_sort_block_sort_configILj256ELj4ELNS0_20block_sort_algorithmE0EEENS0_14default_configENS1_37merge_sort_block_sort_config_selectorIiNS0_10empty_typeEEENS1_38merge_sort_block_merge_config_selectorIiSE_EEEEvv,comdat
	.protected	_ZN7rocprim17ROCPRIM_400000_NS6detail44device_merge_sort_compile_time_verifier_archINS1_11comp_targetILNS1_3genE3ELNS1_11target_archE908ELNS1_3gpuE7ELNS1_3repE0EEES8_NS1_28merge_sort_block_sort_configILj256ELj4ELNS0_20block_sort_algorithmE0EEENS0_14default_configENS1_37merge_sort_block_sort_config_selectorIiNS0_10empty_typeEEENS1_38merge_sort_block_merge_config_selectorIiSE_EEEEvv ; -- Begin function _ZN7rocprim17ROCPRIM_400000_NS6detail44device_merge_sort_compile_time_verifier_archINS1_11comp_targetILNS1_3genE3ELNS1_11target_archE908ELNS1_3gpuE7ELNS1_3repE0EEES8_NS1_28merge_sort_block_sort_configILj256ELj4ELNS0_20block_sort_algorithmE0EEENS0_14default_configENS1_37merge_sort_block_sort_config_selectorIiNS0_10empty_typeEEENS1_38merge_sort_block_merge_config_selectorIiSE_EEEEvv
	.globl	_ZN7rocprim17ROCPRIM_400000_NS6detail44device_merge_sort_compile_time_verifier_archINS1_11comp_targetILNS1_3genE3ELNS1_11target_archE908ELNS1_3gpuE7ELNS1_3repE0EEES8_NS1_28merge_sort_block_sort_configILj256ELj4ELNS0_20block_sort_algorithmE0EEENS0_14default_configENS1_37merge_sort_block_sort_config_selectorIiNS0_10empty_typeEEENS1_38merge_sort_block_merge_config_selectorIiSE_EEEEvv
	.p2align	8
	.type	_ZN7rocprim17ROCPRIM_400000_NS6detail44device_merge_sort_compile_time_verifier_archINS1_11comp_targetILNS1_3genE3ELNS1_11target_archE908ELNS1_3gpuE7ELNS1_3repE0EEES8_NS1_28merge_sort_block_sort_configILj256ELj4ELNS0_20block_sort_algorithmE0EEENS0_14default_configENS1_37merge_sort_block_sort_config_selectorIiNS0_10empty_typeEEENS1_38merge_sort_block_merge_config_selectorIiSE_EEEEvv,@function
_ZN7rocprim17ROCPRIM_400000_NS6detail44device_merge_sort_compile_time_verifier_archINS1_11comp_targetILNS1_3genE3ELNS1_11target_archE908ELNS1_3gpuE7ELNS1_3repE0EEES8_NS1_28merge_sort_block_sort_configILj256ELj4ELNS0_20block_sort_algorithmE0EEENS0_14default_configENS1_37merge_sort_block_sort_config_selectorIiNS0_10empty_typeEEENS1_38merge_sort_block_merge_config_selectorIiSE_EEEEvv: ; @_ZN7rocprim17ROCPRIM_400000_NS6detail44device_merge_sort_compile_time_verifier_archINS1_11comp_targetILNS1_3genE3ELNS1_11target_archE908ELNS1_3gpuE7ELNS1_3repE0EEES8_NS1_28merge_sort_block_sort_configILj256ELj4ELNS0_20block_sort_algorithmE0EEENS0_14default_configENS1_37merge_sort_block_sort_config_selectorIiNS0_10empty_typeEEENS1_38merge_sort_block_merge_config_selectorIiSE_EEEEvv
; %bb.0:
	s_endpgm
	.section	.rodata,"a",@progbits
	.p2align	6, 0x0
	.amdhsa_kernel _ZN7rocprim17ROCPRIM_400000_NS6detail44device_merge_sort_compile_time_verifier_archINS1_11comp_targetILNS1_3genE3ELNS1_11target_archE908ELNS1_3gpuE7ELNS1_3repE0EEES8_NS1_28merge_sort_block_sort_configILj256ELj4ELNS0_20block_sort_algorithmE0EEENS0_14default_configENS1_37merge_sort_block_sort_config_selectorIiNS0_10empty_typeEEENS1_38merge_sort_block_merge_config_selectorIiSE_EEEEvv
		.amdhsa_group_segment_fixed_size 0
		.amdhsa_private_segment_fixed_size 0
		.amdhsa_kernarg_size 0
		.amdhsa_user_sgpr_count 4
		.amdhsa_user_sgpr_private_segment_buffer 1
		.amdhsa_user_sgpr_dispatch_ptr 0
		.amdhsa_user_sgpr_queue_ptr 0
		.amdhsa_user_sgpr_kernarg_segment_ptr 0
		.amdhsa_user_sgpr_dispatch_id 0
		.amdhsa_user_sgpr_flat_scratch_init 0
		.amdhsa_user_sgpr_kernarg_preload_length 0
		.amdhsa_user_sgpr_kernarg_preload_offset 0
		.amdhsa_user_sgpr_private_segment_size 0
		.amdhsa_uses_dynamic_stack 0
		.amdhsa_system_sgpr_private_segment_wavefront_offset 0
		.amdhsa_system_sgpr_workgroup_id_x 1
		.amdhsa_system_sgpr_workgroup_id_y 0
		.amdhsa_system_sgpr_workgroup_id_z 0
		.amdhsa_system_sgpr_workgroup_info 0
		.amdhsa_system_vgpr_workitem_id 0
		.amdhsa_next_free_vgpr 1
		.amdhsa_next_free_sgpr 0
		.amdhsa_accum_offset 4
		.amdhsa_reserve_vcc 0
		.amdhsa_reserve_flat_scratch 0
		.amdhsa_float_round_mode_32 0
		.amdhsa_float_round_mode_16_64 0
		.amdhsa_float_denorm_mode_32 3
		.amdhsa_float_denorm_mode_16_64 3
		.amdhsa_dx10_clamp 1
		.amdhsa_ieee_mode 1
		.amdhsa_fp16_overflow 0
		.amdhsa_tg_split 0
		.amdhsa_exception_fp_ieee_invalid_op 0
		.amdhsa_exception_fp_denorm_src 0
		.amdhsa_exception_fp_ieee_div_zero 0
		.amdhsa_exception_fp_ieee_overflow 0
		.amdhsa_exception_fp_ieee_underflow 0
		.amdhsa_exception_fp_ieee_inexact 0
		.amdhsa_exception_int_div_zero 0
	.end_amdhsa_kernel
	.section	.text._ZN7rocprim17ROCPRIM_400000_NS6detail44device_merge_sort_compile_time_verifier_archINS1_11comp_targetILNS1_3genE3ELNS1_11target_archE908ELNS1_3gpuE7ELNS1_3repE0EEES8_NS1_28merge_sort_block_sort_configILj256ELj4ELNS0_20block_sort_algorithmE0EEENS0_14default_configENS1_37merge_sort_block_sort_config_selectorIiNS0_10empty_typeEEENS1_38merge_sort_block_merge_config_selectorIiSE_EEEEvv,"axG",@progbits,_ZN7rocprim17ROCPRIM_400000_NS6detail44device_merge_sort_compile_time_verifier_archINS1_11comp_targetILNS1_3genE3ELNS1_11target_archE908ELNS1_3gpuE7ELNS1_3repE0EEES8_NS1_28merge_sort_block_sort_configILj256ELj4ELNS0_20block_sort_algorithmE0EEENS0_14default_configENS1_37merge_sort_block_sort_config_selectorIiNS0_10empty_typeEEENS1_38merge_sort_block_merge_config_selectorIiSE_EEEEvv,comdat
.Lfunc_end570:
	.size	_ZN7rocprim17ROCPRIM_400000_NS6detail44device_merge_sort_compile_time_verifier_archINS1_11comp_targetILNS1_3genE3ELNS1_11target_archE908ELNS1_3gpuE7ELNS1_3repE0EEES8_NS1_28merge_sort_block_sort_configILj256ELj4ELNS0_20block_sort_algorithmE0EEENS0_14default_configENS1_37merge_sort_block_sort_config_selectorIiNS0_10empty_typeEEENS1_38merge_sort_block_merge_config_selectorIiSE_EEEEvv, .Lfunc_end570-_ZN7rocprim17ROCPRIM_400000_NS6detail44device_merge_sort_compile_time_verifier_archINS1_11comp_targetILNS1_3genE3ELNS1_11target_archE908ELNS1_3gpuE7ELNS1_3repE0EEES8_NS1_28merge_sort_block_sort_configILj256ELj4ELNS0_20block_sort_algorithmE0EEENS0_14default_configENS1_37merge_sort_block_sort_config_selectorIiNS0_10empty_typeEEENS1_38merge_sort_block_merge_config_selectorIiSE_EEEEvv
                                        ; -- End function
	.section	.AMDGPU.csdata,"",@progbits
; Kernel info:
; codeLenInByte = 4
; NumSgprs: 4
; NumVgprs: 0
; NumAgprs: 0
; TotalNumVgprs: 0
; ScratchSize: 0
; MemoryBound: 0
; FloatMode: 240
; IeeeMode: 1
; LDSByteSize: 0 bytes/workgroup (compile time only)
; SGPRBlocks: 0
; VGPRBlocks: 0
; NumSGPRsForWavesPerEU: 4
; NumVGPRsForWavesPerEU: 1
; AccumOffset: 4
; Occupancy: 8
; WaveLimiterHint : 0
; COMPUTE_PGM_RSRC2:SCRATCH_EN: 0
; COMPUTE_PGM_RSRC2:USER_SGPR: 4
; COMPUTE_PGM_RSRC2:TRAP_HANDLER: 0
; COMPUTE_PGM_RSRC2:TGID_X_EN: 1
; COMPUTE_PGM_RSRC2:TGID_Y_EN: 0
; COMPUTE_PGM_RSRC2:TGID_Z_EN: 0
; COMPUTE_PGM_RSRC2:TIDIG_COMP_CNT: 0
; COMPUTE_PGM_RSRC3_GFX90A:ACCUM_OFFSET: 0
; COMPUTE_PGM_RSRC3_GFX90A:TG_SPLIT: 0
	.section	.text._ZN7rocprim17ROCPRIM_400000_NS6detail44device_merge_sort_compile_time_verifier_archINS1_11comp_targetILNS1_3genE2ELNS1_11target_archE906ELNS1_3gpuE6ELNS1_3repE0EEES8_NS1_28merge_sort_block_sort_configILj256ELj4ELNS0_20block_sort_algorithmE0EEENS0_14default_configENS1_37merge_sort_block_sort_config_selectorIiNS0_10empty_typeEEENS1_38merge_sort_block_merge_config_selectorIiSE_EEEEvv,"axG",@progbits,_ZN7rocprim17ROCPRIM_400000_NS6detail44device_merge_sort_compile_time_verifier_archINS1_11comp_targetILNS1_3genE2ELNS1_11target_archE906ELNS1_3gpuE6ELNS1_3repE0EEES8_NS1_28merge_sort_block_sort_configILj256ELj4ELNS0_20block_sort_algorithmE0EEENS0_14default_configENS1_37merge_sort_block_sort_config_selectorIiNS0_10empty_typeEEENS1_38merge_sort_block_merge_config_selectorIiSE_EEEEvv,comdat
	.protected	_ZN7rocprim17ROCPRIM_400000_NS6detail44device_merge_sort_compile_time_verifier_archINS1_11comp_targetILNS1_3genE2ELNS1_11target_archE906ELNS1_3gpuE6ELNS1_3repE0EEES8_NS1_28merge_sort_block_sort_configILj256ELj4ELNS0_20block_sort_algorithmE0EEENS0_14default_configENS1_37merge_sort_block_sort_config_selectorIiNS0_10empty_typeEEENS1_38merge_sort_block_merge_config_selectorIiSE_EEEEvv ; -- Begin function _ZN7rocprim17ROCPRIM_400000_NS6detail44device_merge_sort_compile_time_verifier_archINS1_11comp_targetILNS1_3genE2ELNS1_11target_archE906ELNS1_3gpuE6ELNS1_3repE0EEES8_NS1_28merge_sort_block_sort_configILj256ELj4ELNS0_20block_sort_algorithmE0EEENS0_14default_configENS1_37merge_sort_block_sort_config_selectorIiNS0_10empty_typeEEENS1_38merge_sort_block_merge_config_selectorIiSE_EEEEvv
	.globl	_ZN7rocprim17ROCPRIM_400000_NS6detail44device_merge_sort_compile_time_verifier_archINS1_11comp_targetILNS1_3genE2ELNS1_11target_archE906ELNS1_3gpuE6ELNS1_3repE0EEES8_NS1_28merge_sort_block_sort_configILj256ELj4ELNS0_20block_sort_algorithmE0EEENS0_14default_configENS1_37merge_sort_block_sort_config_selectorIiNS0_10empty_typeEEENS1_38merge_sort_block_merge_config_selectorIiSE_EEEEvv
	.p2align	8
	.type	_ZN7rocprim17ROCPRIM_400000_NS6detail44device_merge_sort_compile_time_verifier_archINS1_11comp_targetILNS1_3genE2ELNS1_11target_archE906ELNS1_3gpuE6ELNS1_3repE0EEES8_NS1_28merge_sort_block_sort_configILj256ELj4ELNS0_20block_sort_algorithmE0EEENS0_14default_configENS1_37merge_sort_block_sort_config_selectorIiNS0_10empty_typeEEENS1_38merge_sort_block_merge_config_selectorIiSE_EEEEvv,@function
_ZN7rocprim17ROCPRIM_400000_NS6detail44device_merge_sort_compile_time_verifier_archINS1_11comp_targetILNS1_3genE2ELNS1_11target_archE906ELNS1_3gpuE6ELNS1_3repE0EEES8_NS1_28merge_sort_block_sort_configILj256ELj4ELNS0_20block_sort_algorithmE0EEENS0_14default_configENS1_37merge_sort_block_sort_config_selectorIiNS0_10empty_typeEEENS1_38merge_sort_block_merge_config_selectorIiSE_EEEEvv: ; @_ZN7rocprim17ROCPRIM_400000_NS6detail44device_merge_sort_compile_time_verifier_archINS1_11comp_targetILNS1_3genE2ELNS1_11target_archE906ELNS1_3gpuE6ELNS1_3repE0EEES8_NS1_28merge_sort_block_sort_configILj256ELj4ELNS0_20block_sort_algorithmE0EEENS0_14default_configENS1_37merge_sort_block_sort_config_selectorIiNS0_10empty_typeEEENS1_38merge_sort_block_merge_config_selectorIiSE_EEEEvv
; %bb.0:
	s_endpgm
	.section	.rodata,"a",@progbits
	.p2align	6, 0x0
	.amdhsa_kernel _ZN7rocprim17ROCPRIM_400000_NS6detail44device_merge_sort_compile_time_verifier_archINS1_11comp_targetILNS1_3genE2ELNS1_11target_archE906ELNS1_3gpuE6ELNS1_3repE0EEES8_NS1_28merge_sort_block_sort_configILj256ELj4ELNS0_20block_sort_algorithmE0EEENS0_14default_configENS1_37merge_sort_block_sort_config_selectorIiNS0_10empty_typeEEENS1_38merge_sort_block_merge_config_selectorIiSE_EEEEvv
		.amdhsa_group_segment_fixed_size 0
		.amdhsa_private_segment_fixed_size 0
		.amdhsa_kernarg_size 0
		.amdhsa_user_sgpr_count 4
		.amdhsa_user_sgpr_private_segment_buffer 1
		.amdhsa_user_sgpr_dispatch_ptr 0
		.amdhsa_user_sgpr_queue_ptr 0
		.amdhsa_user_sgpr_kernarg_segment_ptr 0
		.amdhsa_user_sgpr_dispatch_id 0
		.amdhsa_user_sgpr_flat_scratch_init 0
		.amdhsa_user_sgpr_kernarg_preload_length 0
		.amdhsa_user_sgpr_kernarg_preload_offset 0
		.amdhsa_user_sgpr_private_segment_size 0
		.amdhsa_uses_dynamic_stack 0
		.amdhsa_system_sgpr_private_segment_wavefront_offset 0
		.amdhsa_system_sgpr_workgroup_id_x 1
		.amdhsa_system_sgpr_workgroup_id_y 0
		.amdhsa_system_sgpr_workgroup_id_z 0
		.amdhsa_system_sgpr_workgroup_info 0
		.amdhsa_system_vgpr_workitem_id 0
		.amdhsa_next_free_vgpr 1
		.amdhsa_next_free_sgpr 0
		.amdhsa_accum_offset 4
		.amdhsa_reserve_vcc 0
		.amdhsa_reserve_flat_scratch 0
		.amdhsa_float_round_mode_32 0
		.amdhsa_float_round_mode_16_64 0
		.amdhsa_float_denorm_mode_32 3
		.amdhsa_float_denorm_mode_16_64 3
		.amdhsa_dx10_clamp 1
		.amdhsa_ieee_mode 1
		.amdhsa_fp16_overflow 0
		.amdhsa_tg_split 0
		.amdhsa_exception_fp_ieee_invalid_op 0
		.amdhsa_exception_fp_denorm_src 0
		.amdhsa_exception_fp_ieee_div_zero 0
		.amdhsa_exception_fp_ieee_overflow 0
		.amdhsa_exception_fp_ieee_underflow 0
		.amdhsa_exception_fp_ieee_inexact 0
		.amdhsa_exception_int_div_zero 0
	.end_amdhsa_kernel
	.section	.text._ZN7rocprim17ROCPRIM_400000_NS6detail44device_merge_sort_compile_time_verifier_archINS1_11comp_targetILNS1_3genE2ELNS1_11target_archE906ELNS1_3gpuE6ELNS1_3repE0EEES8_NS1_28merge_sort_block_sort_configILj256ELj4ELNS0_20block_sort_algorithmE0EEENS0_14default_configENS1_37merge_sort_block_sort_config_selectorIiNS0_10empty_typeEEENS1_38merge_sort_block_merge_config_selectorIiSE_EEEEvv,"axG",@progbits,_ZN7rocprim17ROCPRIM_400000_NS6detail44device_merge_sort_compile_time_verifier_archINS1_11comp_targetILNS1_3genE2ELNS1_11target_archE906ELNS1_3gpuE6ELNS1_3repE0EEES8_NS1_28merge_sort_block_sort_configILj256ELj4ELNS0_20block_sort_algorithmE0EEENS0_14default_configENS1_37merge_sort_block_sort_config_selectorIiNS0_10empty_typeEEENS1_38merge_sort_block_merge_config_selectorIiSE_EEEEvv,comdat
.Lfunc_end571:
	.size	_ZN7rocprim17ROCPRIM_400000_NS6detail44device_merge_sort_compile_time_verifier_archINS1_11comp_targetILNS1_3genE2ELNS1_11target_archE906ELNS1_3gpuE6ELNS1_3repE0EEES8_NS1_28merge_sort_block_sort_configILj256ELj4ELNS0_20block_sort_algorithmE0EEENS0_14default_configENS1_37merge_sort_block_sort_config_selectorIiNS0_10empty_typeEEENS1_38merge_sort_block_merge_config_selectorIiSE_EEEEvv, .Lfunc_end571-_ZN7rocprim17ROCPRIM_400000_NS6detail44device_merge_sort_compile_time_verifier_archINS1_11comp_targetILNS1_3genE2ELNS1_11target_archE906ELNS1_3gpuE6ELNS1_3repE0EEES8_NS1_28merge_sort_block_sort_configILj256ELj4ELNS0_20block_sort_algorithmE0EEENS0_14default_configENS1_37merge_sort_block_sort_config_selectorIiNS0_10empty_typeEEENS1_38merge_sort_block_merge_config_selectorIiSE_EEEEvv
                                        ; -- End function
	.section	.AMDGPU.csdata,"",@progbits
; Kernel info:
; codeLenInByte = 4
; NumSgprs: 4
; NumVgprs: 0
; NumAgprs: 0
; TotalNumVgprs: 0
; ScratchSize: 0
; MemoryBound: 0
; FloatMode: 240
; IeeeMode: 1
; LDSByteSize: 0 bytes/workgroup (compile time only)
; SGPRBlocks: 0
; VGPRBlocks: 0
; NumSGPRsForWavesPerEU: 4
; NumVGPRsForWavesPerEU: 1
; AccumOffset: 4
; Occupancy: 8
; WaveLimiterHint : 0
; COMPUTE_PGM_RSRC2:SCRATCH_EN: 0
; COMPUTE_PGM_RSRC2:USER_SGPR: 4
; COMPUTE_PGM_RSRC2:TRAP_HANDLER: 0
; COMPUTE_PGM_RSRC2:TGID_X_EN: 1
; COMPUTE_PGM_RSRC2:TGID_Y_EN: 0
; COMPUTE_PGM_RSRC2:TGID_Z_EN: 0
; COMPUTE_PGM_RSRC2:TIDIG_COMP_CNT: 0
; COMPUTE_PGM_RSRC3_GFX90A:ACCUM_OFFSET: 0
; COMPUTE_PGM_RSRC3_GFX90A:TG_SPLIT: 0
	.section	.text._ZN7rocprim17ROCPRIM_400000_NS6detail44device_merge_sort_compile_time_verifier_archINS1_11comp_targetILNS1_3genE10ELNS1_11target_archE1201ELNS1_3gpuE5ELNS1_3repE0EEES8_NS1_28merge_sort_block_sort_configILj256ELj4ELNS0_20block_sort_algorithmE0EEENS0_14default_configENS1_37merge_sort_block_sort_config_selectorIiNS0_10empty_typeEEENS1_38merge_sort_block_merge_config_selectorIiSE_EEEEvv,"axG",@progbits,_ZN7rocprim17ROCPRIM_400000_NS6detail44device_merge_sort_compile_time_verifier_archINS1_11comp_targetILNS1_3genE10ELNS1_11target_archE1201ELNS1_3gpuE5ELNS1_3repE0EEES8_NS1_28merge_sort_block_sort_configILj256ELj4ELNS0_20block_sort_algorithmE0EEENS0_14default_configENS1_37merge_sort_block_sort_config_selectorIiNS0_10empty_typeEEENS1_38merge_sort_block_merge_config_selectorIiSE_EEEEvv,comdat
	.protected	_ZN7rocprim17ROCPRIM_400000_NS6detail44device_merge_sort_compile_time_verifier_archINS1_11comp_targetILNS1_3genE10ELNS1_11target_archE1201ELNS1_3gpuE5ELNS1_3repE0EEES8_NS1_28merge_sort_block_sort_configILj256ELj4ELNS0_20block_sort_algorithmE0EEENS0_14default_configENS1_37merge_sort_block_sort_config_selectorIiNS0_10empty_typeEEENS1_38merge_sort_block_merge_config_selectorIiSE_EEEEvv ; -- Begin function _ZN7rocprim17ROCPRIM_400000_NS6detail44device_merge_sort_compile_time_verifier_archINS1_11comp_targetILNS1_3genE10ELNS1_11target_archE1201ELNS1_3gpuE5ELNS1_3repE0EEES8_NS1_28merge_sort_block_sort_configILj256ELj4ELNS0_20block_sort_algorithmE0EEENS0_14default_configENS1_37merge_sort_block_sort_config_selectorIiNS0_10empty_typeEEENS1_38merge_sort_block_merge_config_selectorIiSE_EEEEvv
	.globl	_ZN7rocprim17ROCPRIM_400000_NS6detail44device_merge_sort_compile_time_verifier_archINS1_11comp_targetILNS1_3genE10ELNS1_11target_archE1201ELNS1_3gpuE5ELNS1_3repE0EEES8_NS1_28merge_sort_block_sort_configILj256ELj4ELNS0_20block_sort_algorithmE0EEENS0_14default_configENS1_37merge_sort_block_sort_config_selectorIiNS0_10empty_typeEEENS1_38merge_sort_block_merge_config_selectorIiSE_EEEEvv
	.p2align	8
	.type	_ZN7rocprim17ROCPRIM_400000_NS6detail44device_merge_sort_compile_time_verifier_archINS1_11comp_targetILNS1_3genE10ELNS1_11target_archE1201ELNS1_3gpuE5ELNS1_3repE0EEES8_NS1_28merge_sort_block_sort_configILj256ELj4ELNS0_20block_sort_algorithmE0EEENS0_14default_configENS1_37merge_sort_block_sort_config_selectorIiNS0_10empty_typeEEENS1_38merge_sort_block_merge_config_selectorIiSE_EEEEvv,@function
_ZN7rocprim17ROCPRIM_400000_NS6detail44device_merge_sort_compile_time_verifier_archINS1_11comp_targetILNS1_3genE10ELNS1_11target_archE1201ELNS1_3gpuE5ELNS1_3repE0EEES8_NS1_28merge_sort_block_sort_configILj256ELj4ELNS0_20block_sort_algorithmE0EEENS0_14default_configENS1_37merge_sort_block_sort_config_selectorIiNS0_10empty_typeEEENS1_38merge_sort_block_merge_config_selectorIiSE_EEEEvv: ; @_ZN7rocprim17ROCPRIM_400000_NS6detail44device_merge_sort_compile_time_verifier_archINS1_11comp_targetILNS1_3genE10ELNS1_11target_archE1201ELNS1_3gpuE5ELNS1_3repE0EEES8_NS1_28merge_sort_block_sort_configILj256ELj4ELNS0_20block_sort_algorithmE0EEENS0_14default_configENS1_37merge_sort_block_sort_config_selectorIiNS0_10empty_typeEEENS1_38merge_sort_block_merge_config_selectorIiSE_EEEEvv
; %bb.0:
	s_endpgm
	.section	.rodata,"a",@progbits
	.p2align	6, 0x0
	.amdhsa_kernel _ZN7rocprim17ROCPRIM_400000_NS6detail44device_merge_sort_compile_time_verifier_archINS1_11comp_targetILNS1_3genE10ELNS1_11target_archE1201ELNS1_3gpuE5ELNS1_3repE0EEES8_NS1_28merge_sort_block_sort_configILj256ELj4ELNS0_20block_sort_algorithmE0EEENS0_14default_configENS1_37merge_sort_block_sort_config_selectorIiNS0_10empty_typeEEENS1_38merge_sort_block_merge_config_selectorIiSE_EEEEvv
		.amdhsa_group_segment_fixed_size 0
		.amdhsa_private_segment_fixed_size 0
		.amdhsa_kernarg_size 0
		.amdhsa_user_sgpr_count 4
		.amdhsa_user_sgpr_private_segment_buffer 1
		.amdhsa_user_sgpr_dispatch_ptr 0
		.amdhsa_user_sgpr_queue_ptr 0
		.amdhsa_user_sgpr_kernarg_segment_ptr 0
		.amdhsa_user_sgpr_dispatch_id 0
		.amdhsa_user_sgpr_flat_scratch_init 0
		.amdhsa_user_sgpr_kernarg_preload_length 0
		.amdhsa_user_sgpr_kernarg_preload_offset 0
		.amdhsa_user_sgpr_private_segment_size 0
		.amdhsa_uses_dynamic_stack 0
		.amdhsa_system_sgpr_private_segment_wavefront_offset 0
		.amdhsa_system_sgpr_workgroup_id_x 1
		.amdhsa_system_sgpr_workgroup_id_y 0
		.amdhsa_system_sgpr_workgroup_id_z 0
		.amdhsa_system_sgpr_workgroup_info 0
		.amdhsa_system_vgpr_workitem_id 0
		.amdhsa_next_free_vgpr 1
		.amdhsa_next_free_sgpr 0
		.amdhsa_accum_offset 4
		.amdhsa_reserve_vcc 0
		.amdhsa_reserve_flat_scratch 0
		.amdhsa_float_round_mode_32 0
		.amdhsa_float_round_mode_16_64 0
		.amdhsa_float_denorm_mode_32 3
		.amdhsa_float_denorm_mode_16_64 3
		.amdhsa_dx10_clamp 1
		.amdhsa_ieee_mode 1
		.amdhsa_fp16_overflow 0
		.amdhsa_tg_split 0
		.amdhsa_exception_fp_ieee_invalid_op 0
		.amdhsa_exception_fp_denorm_src 0
		.amdhsa_exception_fp_ieee_div_zero 0
		.amdhsa_exception_fp_ieee_overflow 0
		.amdhsa_exception_fp_ieee_underflow 0
		.amdhsa_exception_fp_ieee_inexact 0
		.amdhsa_exception_int_div_zero 0
	.end_amdhsa_kernel
	.section	.text._ZN7rocprim17ROCPRIM_400000_NS6detail44device_merge_sort_compile_time_verifier_archINS1_11comp_targetILNS1_3genE10ELNS1_11target_archE1201ELNS1_3gpuE5ELNS1_3repE0EEES8_NS1_28merge_sort_block_sort_configILj256ELj4ELNS0_20block_sort_algorithmE0EEENS0_14default_configENS1_37merge_sort_block_sort_config_selectorIiNS0_10empty_typeEEENS1_38merge_sort_block_merge_config_selectorIiSE_EEEEvv,"axG",@progbits,_ZN7rocprim17ROCPRIM_400000_NS6detail44device_merge_sort_compile_time_verifier_archINS1_11comp_targetILNS1_3genE10ELNS1_11target_archE1201ELNS1_3gpuE5ELNS1_3repE0EEES8_NS1_28merge_sort_block_sort_configILj256ELj4ELNS0_20block_sort_algorithmE0EEENS0_14default_configENS1_37merge_sort_block_sort_config_selectorIiNS0_10empty_typeEEENS1_38merge_sort_block_merge_config_selectorIiSE_EEEEvv,comdat
.Lfunc_end572:
	.size	_ZN7rocprim17ROCPRIM_400000_NS6detail44device_merge_sort_compile_time_verifier_archINS1_11comp_targetILNS1_3genE10ELNS1_11target_archE1201ELNS1_3gpuE5ELNS1_3repE0EEES8_NS1_28merge_sort_block_sort_configILj256ELj4ELNS0_20block_sort_algorithmE0EEENS0_14default_configENS1_37merge_sort_block_sort_config_selectorIiNS0_10empty_typeEEENS1_38merge_sort_block_merge_config_selectorIiSE_EEEEvv, .Lfunc_end572-_ZN7rocprim17ROCPRIM_400000_NS6detail44device_merge_sort_compile_time_verifier_archINS1_11comp_targetILNS1_3genE10ELNS1_11target_archE1201ELNS1_3gpuE5ELNS1_3repE0EEES8_NS1_28merge_sort_block_sort_configILj256ELj4ELNS0_20block_sort_algorithmE0EEENS0_14default_configENS1_37merge_sort_block_sort_config_selectorIiNS0_10empty_typeEEENS1_38merge_sort_block_merge_config_selectorIiSE_EEEEvv
                                        ; -- End function
	.section	.AMDGPU.csdata,"",@progbits
; Kernel info:
; codeLenInByte = 4
; NumSgprs: 4
; NumVgprs: 0
; NumAgprs: 0
; TotalNumVgprs: 0
; ScratchSize: 0
; MemoryBound: 0
; FloatMode: 240
; IeeeMode: 1
; LDSByteSize: 0 bytes/workgroup (compile time only)
; SGPRBlocks: 0
; VGPRBlocks: 0
; NumSGPRsForWavesPerEU: 4
; NumVGPRsForWavesPerEU: 1
; AccumOffset: 4
; Occupancy: 8
; WaveLimiterHint : 0
; COMPUTE_PGM_RSRC2:SCRATCH_EN: 0
; COMPUTE_PGM_RSRC2:USER_SGPR: 4
; COMPUTE_PGM_RSRC2:TRAP_HANDLER: 0
; COMPUTE_PGM_RSRC2:TGID_X_EN: 1
; COMPUTE_PGM_RSRC2:TGID_Y_EN: 0
; COMPUTE_PGM_RSRC2:TGID_Z_EN: 0
; COMPUTE_PGM_RSRC2:TIDIG_COMP_CNT: 0
; COMPUTE_PGM_RSRC3_GFX90A:ACCUM_OFFSET: 0
; COMPUTE_PGM_RSRC3_GFX90A:TG_SPLIT: 0
	.section	.text._ZN7rocprim17ROCPRIM_400000_NS6detail44device_merge_sort_compile_time_verifier_archINS1_11comp_targetILNS1_3genE10ELNS1_11target_archE1200ELNS1_3gpuE4ELNS1_3repE0EEENS3_ILS4_10ELS5_1201ELS6_5ELS7_0EEENS1_28merge_sort_block_sort_configILj256ELj4ELNS0_20block_sort_algorithmE0EEENS0_14default_configENS1_37merge_sort_block_sort_config_selectorIiNS0_10empty_typeEEENS1_38merge_sort_block_merge_config_selectorIiSF_EEEEvv,"axG",@progbits,_ZN7rocprim17ROCPRIM_400000_NS6detail44device_merge_sort_compile_time_verifier_archINS1_11comp_targetILNS1_3genE10ELNS1_11target_archE1200ELNS1_3gpuE4ELNS1_3repE0EEENS3_ILS4_10ELS5_1201ELS6_5ELS7_0EEENS1_28merge_sort_block_sort_configILj256ELj4ELNS0_20block_sort_algorithmE0EEENS0_14default_configENS1_37merge_sort_block_sort_config_selectorIiNS0_10empty_typeEEENS1_38merge_sort_block_merge_config_selectorIiSF_EEEEvv,comdat
	.protected	_ZN7rocprim17ROCPRIM_400000_NS6detail44device_merge_sort_compile_time_verifier_archINS1_11comp_targetILNS1_3genE10ELNS1_11target_archE1200ELNS1_3gpuE4ELNS1_3repE0EEENS3_ILS4_10ELS5_1201ELS6_5ELS7_0EEENS1_28merge_sort_block_sort_configILj256ELj4ELNS0_20block_sort_algorithmE0EEENS0_14default_configENS1_37merge_sort_block_sort_config_selectorIiNS0_10empty_typeEEENS1_38merge_sort_block_merge_config_selectorIiSF_EEEEvv ; -- Begin function _ZN7rocprim17ROCPRIM_400000_NS6detail44device_merge_sort_compile_time_verifier_archINS1_11comp_targetILNS1_3genE10ELNS1_11target_archE1200ELNS1_3gpuE4ELNS1_3repE0EEENS3_ILS4_10ELS5_1201ELS6_5ELS7_0EEENS1_28merge_sort_block_sort_configILj256ELj4ELNS0_20block_sort_algorithmE0EEENS0_14default_configENS1_37merge_sort_block_sort_config_selectorIiNS0_10empty_typeEEENS1_38merge_sort_block_merge_config_selectorIiSF_EEEEvv
	.globl	_ZN7rocprim17ROCPRIM_400000_NS6detail44device_merge_sort_compile_time_verifier_archINS1_11comp_targetILNS1_3genE10ELNS1_11target_archE1200ELNS1_3gpuE4ELNS1_3repE0EEENS3_ILS4_10ELS5_1201ELS6_5ELS7_0EEENS1_28merge_sort_block_sort_configILj256ELj4ELNS0_20block_sort_algorithmE0EEENS0_14default_configENS1_37merge_sort_block_sort_config_selectorIiNS0_10empty_typeEEENS1_38merge_sort_block_merge_config_selectorIiSF_EEEEvv
	.p2align	8
	.type	_ZN7rocprim17ROCPRIM_400000_NS6detail44device_merge_sort_compile_time_verifier_archINS1_11comp_targetILNS1_3genE10ELNS1_11target_archE1200ELNS1_3gpuE4ELNS1_3repE0EEENS3_ILS4_10ELS5_1201ELS6_5ELS7_0EEENS1_28merge_sort_block_sort_configILj256ELj4ELNS0_20block_sort_algorithmE0EEENS0_14default_configENS1_37merge_sort_block_sort_config_selectorIiNS0_10empty_typeEEENS1_38merge_sort_block_merge_config_selectorIiSF_EEEEvv,@function
_ZN7rocprim17ROCPRIM_400000_NS6detail44device_merge_sort_compile_time_verifier_archINS1_11comp_targetILNS1_3genE10ELNS1_11target_archE1200ELNS1_3gpuE4ELNS1_3repE0EEENS3_ILS4_10ELS5_1201ELS6_5ELS7_0EEENS1_28merge_sort_block_sort_configILj256ELj4ELNS0_20block_sort_algorithmE0EEENS0_14default_configENS1_37merge_sort_block_sort_config_selectorIiNS0_10empty_typeEEENS1_38merge_sort_block_merge_config_selectorIiSF_EEEEvv: ; @_ZN7rocprim17ROCPRIM_400000_NS6detail44device_merge_sort_compile_time_verifier_archINS1_11comp_targetILNS1_3genE10ELNS1_11target_archE1200ELNS1_3gpuE4ELNS1_3repE0EEENS3_ILS4_10ELS5_1201ELS6_5ELS7_0EEENS1_28merge_sort_block_sort_configILj256ELj4ELNS0_20block_sort_algorithmE0EEENS0_14default_configENS1_37merge_sort_block_sort_config_selectorIiNS0_10empty_typeEEENS1_38merge_sort_block_merge_config_selectorIiSF_EEEEvv
; %bb.0:
	s_endpgm
	.section	.rodata,"a",@progbits
	.p2align	6, 0x0
	.amdhsa_kernel _ZN7rocprim17ROCPRIM_400000_NS6detail44device_merge_sort_compile_time_verifier_archINS1_11comp_targetILNS1_3genE10ELNS1_11target_archE1200ELNS1_3gpuE4ELNS1_3repE0EEENS3_ILS4_10ELS5_1201ELS6_5ELS7_0EEENS1_28merge_sort_block_sort_configILj256ELj4ELNS0_20block_sort_algorithmE0EEENS0_14default_configENS1_37merge_sort_block_sort_config_selectorIiNS0_10empty_typeEEENS1_38merge_sort_block_merge_config_selectorIiSF_EEEEvv
		.amdhsa_group_segment_fixed_size 0
		.amdhsa_private_segment_fixed_size 0
		.amdhsa_kernarg_size 0
		.amdhsa_user_sgpr_count 4
		.amdhsa_user_sgpr_private_segment_buffer 1
		.amdhsa_user_sgpr_dispatch_ptr 0
		.amdhsa_user_sgpr_queue_ptr 0
		.amdhsa_user_sgpr_kernarg_segment_ptr 0
		.amdhsa_user_sgpr_dispatch_id 0
		.amdhsa_user_sgpr_flat_scratch_init 0
		.amdhsa_user_sgpr_kernarg_preload_length 0
		.amdhsa_user_sgpr_kernarg_preload_offset 0
		.amdhsa_user_sgpr_private_segment_size 0
		.amdhsa_uses_dynamic_stack 0
		.amdhsa_system_sgpr_private_segment_wavefront_offset 0
		.amdhsa_system_sgpr_workgroup_id_x 1
		.amdhsa_system_sgpr_workgroup_id_y 0
		.amdhsa_system_sgpr_workgroup_id_z 0
		.amdhsa_system_sgpr_workgroup_info 0
		.amdhsa_system_vgpr_workitem_id 0
		.amdhsa_next_free_vgpr 1
		.amdhsa_next_free_sgpr 0
		.amdhsa_accum_offset 4
		.amdhsa_reserve_vcc 0
		.amdhsa_reserve_flat_scratch 0
		.amdhsa_float_round_mode_32 0
		.amdhsa_float_round_mode_16_64 0
		.amdhsa_float_denorm_mode_32 3
		.amdhsa_float_denorm_mode_16_64 3
		.amdhsa_dx10_clamp 1
		.amdhsa_ieee_mode 1
		.amdhsa_fp16_overflow 0
		.amdhsa_tg_split 0
		.amdhsa_exception_fp_ieee_invalid_op 0
		.amdhsa_exception_fp_denorm_src 0
		.amdhsa_exception_fp_ieee_div_zero 0
		.amdhsa_exception_fp_ieee_overflow 0
		.amdhsa_exception_fp_ieee_underflow 0
		.amdhsa_exception_fp_ieee_inexact 0
		.amdhsa_exception_int_div_zero 0
	.end_amdhsa_kernel
	.section	.text._ZN7rocprim17ROCPRIM_400000_NS6detail44device_merge_sort_compile_time_verifier_archINS1_11comp_targetILNS1_3genE10ELNS1_11target_archE1200ELNS1_3gpuE4ELNS1_3repE0EEENS3_ILS4_10ELS5_1201ELS6_5ELS7_0EEENS1_28merge_sort_block_sort_configILj256ELj4ELNS0_20block_sort_algorithmE0EEENS0_14default_configENS1_37merge_sort_block_sort_config_selectorIiNS0_10empty_typeEEENS1_38merge_sort_block_merge_config_selectorIiSF_EEEEvv,"axG",@progbits,_ZN7rocprim17ROCPRIM_400000_NS6detail44device_merge_sort_compile_time_verifier_archINS1_11comp_targetILNS1_3genE10ELNS1_11target_archE1200ELNS1_3gpuE4ELNS1_3repE0EEENS3_ILS4_10ELS5_1201ELS6_5ELS7_0EEENS1_28merge_sort_block_sort_configILj256ELj4ELNS0_20block_sort_algorithmE0EEENS0_14default_configENS1_37merge_sort_block_sort_config_selectorIiNS0_10empty_typeEEENS1_38merge_sort_block_merge_config_selectorIiSF_EEEEvv,comdat
.Lfunc_end573:
	.size	_ZN7rocprim17ROCPRIM_400000_NS6detail44device_merge_sort_compile_time_verifier_archINS1_11comp_targetILNS1_3genE10ELNS1_11target_archE1200ELNS1_3gpuE4ELNS1_3repE0EEENS3_ILS4_10ELS5_1201ELS6_5ELS7_0EEENS1_28merge_sort_block_sort_configILj256ELj4ELNS0_20block_sort_algorithmE0EEENS0_14default_configENS1_37merge_sort_block_sort_config_selectorIiNS0_10empty_typeEEENS1_38merge_sort_block_merge_config_selectorIiSF_EEEEvv, .Lfunc_end573-_ZN7rocprim17ROCPRIM_400000_NS6detail44device_merge_sort_compile_time_verifier_archINS1_11comp_targetILNS1_3genE10ELNS1_11target_archE1200ELNS1_3gpuE4ELNS1_3repE0EEENS3_ILS4_10ELS5_1201ELS6_5ELS7_0EEENS1_28merge_sort_block_sort_configILj256ELj4ELNS0_20block_sort_algorithmE0EEENS0_14default_configENS1_37merge_sort_block_sort_config_selectorIiNS0_10empty_typeEEENS1_38merge_sort_block_merge_config_selectorIiSF_EEEEvv
                                        ; -- End function
	.section	.AMDGPU.csdata,"",@progbits
; Kernel info:
; codeLenInByte = 4
; NumSgprs: 4
; NumVgprs: 0
; NumAgprs: 0
; TotalNumVgprs: 0
; ScratchSize: 0
; MemoryBound: 0
; FloatMode: 240
; IeeeMode: 1
; LDSByteSize: 0 bytes/workgroup (compile time only)
; SGPRBlocks: 0
; VGPRBlocks: 0
; NumSGPRsForWavesPerEU: 4
; NumVGPRsForWavesPerEU: 1
; AccumOffset: 4
; Occupancy: 8
; WaveLimiterHint : 0
; COMPUTE_PGM_RSRC2:SCRATCH_EN: 0
; COMPUTE_PGM_RSRC2:USER_SGPR: 4
; COMPUTE_PGM_RSRC2:TRAP_HANDLER: 0
; COMPUTE_PGM_RSRC2:TGID_X_EN: 1
; COMPUTE_PGM_RSRC2:TGID_Y_EN: 0
; COMPUTE_PGM_RSRC2:TGID_Z_EN: 0
; COMPUTE_PGM_RSRC2:TIDIG_COMP_CNT: 0
; COMPUTE_PGM_RSRC3_GFX90A:ACCUM_OFFSET: 0
; COMPUTE_PGM_RSRC3_GFX90A:TG_SPLIT: 0
	.section	.text._ZN7rocprim17ROCPRIM_400000_NS6detail44device_merge_sort_compile_time_verifier_archINS1_11comp_targetILNS1_3genE9ELNS1_11target_archE1100ELNS1_3gpuE3ELNS1_3repE0EEES8_NS1_28merge_sort_block_sort_configILj256ELj4ELNS0_20block_sort_algorithmE0EEENS0_14default_configENS1_37merge_sort_block_sort_config_selectorIiNS0_10empty_typeEEENS1_38merge_sort_block_merge_config_selectorIiSE_EEEEvv,"axG",@progbits,_ZN7rocprim17ROCPRIM_400000_NS6detail44device_merge_sort_compile_time_verifier_archINS1_11comp_targetILNS1_3genE9ELNS1_11target_archE1100ELNS1_3gpuE3ELNS1_3repE0EEES8_NS1_28merge_sort_block_sort_configILj256ELj4ELNS0_20block_sort_algorithmE0EEENS0_14default_configENS1_37merge_sort_block_sort_config_selectorIiNS0_10empty_typeEEENS1_38merge_sort_block_merge_config_selectorIiSE_EEEEvv,comdat
	.protected	_ZN7rocprim17ROCPRIM_400000_NS6detail44device_merge_sort_compile_time_verifier_archINS1_11comp_targetILNS1_3genE9ELNS1_11target_archE1100ELNS1_3gpuE3ELNS1_3repE0EEES8_NS1_28merge_sort_block_sort_configILj256ELj4ELNS0_20block_sort_algorithmE0EEENS0_14default_configENS1_37merge_sort_block_sort_config_selectorIiNS0_10empty_typeEEENS1_38merge_sort_block_merge_config_selectorIiSE_EEEEvv ; -- Begin function _ZN7rocprim17ROCPRIM_400000_NS6detail44device_merge_sort_compile_time_verifier_archINS1_11comp_targetILNS1_3genE9ELNS1_11target_archE1100ELNS1_3gpuE3ELNS1_3repE0EEES8_NS1_28merge_sort_block_sort_configILj256ELj4ELNS0_20block_sort_algorithmE0EEENS0_14default_configENS1_37merge_sort_block_sort_config_selectorIiNS0_10empty_typeEEENS1_38merge_sort_block_merge_config_selectorIiSE_EEEEvv
	.globl	_ZN7rocprim17ROCPRIM_400000_NS6detail44device_merge_sort_compile_time_verifier_archINS1_11comp_targetILNS1_3genE9ELNS1_11target_archE1100ELNS1_3gpuE3ELNS1_3repE0EEES8_NS1_28merge_sort_block_sort_configILj256ELj4ELNS0_20block_sort_algorithmE0EEENS0_14default_configENS1_37merge_sort_block_sort_config_selectorIiNS0_10empty_typeEEENS1_38merge_sort_block_merge_config_selectorIiSE_EEEEvv
	.p2align	8
	.type	_ZN7rocprim17ROCPRIM_400000_NS6detail44device_merge_sort_compile_time_verifier_archINS1_11comp_targetILNS1_3genE9ELNS1_11target_archE1100ELNS1_3gpuE3ELNS1_3repE0EEES8_NS1_28merge_sort_block_sort_configILj256ELj4ELNS0_20block_sort_algorithmE0EEENS0_14default_configENS1_37merge_sort_block_sort_config_selectorIiNS0_10empty_typeEEENS1_38merge_sort_block_merge_config_selectorIiSE_EEEEvv,@function
_ZN7rocprim17ROCPRIM_400000_NS6detail44device_merge_sort_compile_time_verifier_archINS1_11comp_targetILNS1_3genE9ELNS1_11target_archE1100ELNS1_3gpuE3ELNS1_3repE0EEES8_NS1_28merge_sort_block_sort_configILj256ELj4ELNS0_20block_sort_algorithmE0EEENS0_14default_configENS1_37merge_sort_block_sort_config_selectorIiNS0_10empty_typeEEENS1_38merge_sort_block_merge_config_selectorIiSE_EEEEvv: ; @_ZN7rocprim17ROCPRIM_400000_NS6detail44device_merge_sort_compile_time_verifier_archINS1_11comp_targetILNS1_3genE9ELNS1_11target_archE1100ELNS1_3gpuE3ELNS1_3repE0EEES8_NS1_28merge_sort_block_sort_configILj256ELj4ELNS0_20block_sort_algorithmE0EEENS0_14default_configENS1_37merge_sort_block_sort_config_selectorIiNS0_10empty_typeEEENS1_38merge_sort_block_merge_config_selectorIiSE_EEEEvv
; %bb.0:
	s_endpgm
	.section	.rodata,"a",@progbits
	.p2align	6, 0x0
	.amdhsa_kernel _ZN7rocprim17ROCPRIM_400000_NS6detail44device_merge_sort_compile_time_verifier_archINS1_11comp_targetILNS1_3genE9ELNS1_11target_archE1100ELNS1_3gpuE3ELNS1_3repE0EEES8_NS1_28merge_sort_block_sort_configILj256ELj4ELNS0_20block_sort_algorithmE0EEENS0_14default_configENS1_37merge_sort_block_sort_config_selectorIiNS0_10empty_typeEEENS1_38merge_sort_block_merge_config_selectorIiSE_EEEEvv
		.amdhsa_group_segment_fixed_size 0
		.amdhsa_private_segment_fixed_size 0
		.amdhsa_kernarg_size 0
		.amdhsa_user_sgpr_count 4
		.amdhsa_user_sgpr_private_segment_buffer 1
		.amdhsa_user_sgpr_dispatch_ptr 0
		.amdhsa_user_sgpr_queue_ptr 0
		.amdhsa_user_sgpr_kernarg_segment_ptr 0
		.amdhsa_user_sgpr_dispatch_id 0
		.amdhsa_user_sgpr_flat_scratch_init 0
		.amdhsa_user_sgpr_kernarg_preload_length 0
		.amdhsa_user_sgpr_kernarg_preload_offset 0
		.amdhsa_user_sgpr_private_segment_size 0
		.amdhsa_uses_dynamic_stack 0
		.amdhsa_system_sgpr_private_segment_wavefront_offset 0
		.amdhsa_system_sgpr_workgroup_id_x 1
		.amdhsa_system_sgpr_workgroup_id_y 0
		.amdhsa_system_sgpr_workgroup_id_z 0
		.amdhsa_system_sgpr_workgroup_info 0
		.amdhsa_system_vgpr_workitem_id 0
		.amdhsa_next_free_vgpr 1
		.amdhsa_next_free_sgpr 0
		.amdhsa_accum_offset 4
		.amdhsa_reserve_vcc 0
		.amdhsa_reserve_flat_scratch 0
		.amdhsa_float_round_mode_32 0
		.amdhsa_float_round_mode_16_64 0
		.amdhsa_float_denorm_mode_32 3
		.amdhsa_float_denorm_mode_16_64 3
		.amdhsa_dx10_clamp 1
		.amdhsa_ieee_mode 1
		.amdhsa_fp16_overflow 0
		.amdhsa_tg_split 0
		.amdhsa_exception_fp_ieee_invalid_op 0
		.amdhsa_exception_fp_denorm_src 0
		.amdhsa_exception_fp_ieee_div_zero 0
		.amdhsa_exception_fp_ieee_overflow 0
		.amdhsa_exception_fp_ieee_underflow 0
		.amdhsa_exception_fp_ieee_inexact 0
		.amdhsa_exception_int_div_zero 0
	.end_amdhsa_kernel
	.section	.text._ZN7rocprim17ROCPRIM_400000_NS6detail44device_merge_sort_compile_time_verifier_archINS1_11comp_targetILNS1_3genE9ELNS1_11target_archE1100ELNS1_3gpuE3ELNS1_3repE0EEES8_NS1_28merge_sort_block_sort_configILj256ELj4ELNS0_20block_sort_algorithmE0EEENS0_14default_configENS1_37merge_sort_block_sort_config_selectorIiNS0_10empty_typeEEENS1_38merge_sort_block_merge_config_selectorIiSE_EEEEvv,"axG",@progbits,_ZN7rocprim17ROCPRIM_400000_NS6detail44device_merge_sort_compile_time_verifier_archINS1_11comp_targetILNS1_3genE9ELNS1_11target_archE1100ELNS1_3gpuE3ELNS1_3repE0EEES8_NS1_28merge_sort_block_sort_configILj256ELj4ELNS0_20block_sort_algorithmE0EEENS0_14default_configENS1_37merge_sort_block_sort_config_selectorIiNS0_10empty_typeEEENS1_38merge_sort_block_merge_config_selectorIiSE_EEEEvv,comdat
.Lfunc_end574:
	.size	_ZN7rocprim17ROCPRIM_400000_NS6detail44device_merge_sort_compile_time_verifier_archINS1_11comp_targetILNS1_3genE9ELNS1_11target_archE1100ELNS1_3gpuE3ELNS1_3repE0EEES8_NS1_28merge_sort_block_sort_configILj256ELj4ELNS0_20block_sort_algorithmE0EEENS0_14default_configENS1_37merge_sort_block_sort_config_selectorIiNS0_10empty_typeEEENS1_38merge_sort_block_merge_config_selectorIiSE_EEEEvv, .Lfunc_end574-_ZN7rocprim17ROCPRIM_400000_NS6detail44device_merge_sort_compile_time_verifier_archINS1_11comp_targetILNS1_3genE9ELNS1_11target_archE1100ELNS1_3gpuE3ELNS1_3repE0EEES8_NS1_28merge_sort_block_sort_configILj256ELj4ELNS0_20block_sort_algorithmE0EEENS0_14default_configENS1_37merge_sort_block_sort_config_selectorIiNS0_10empty_typeEEENS1_38merge_sort_block_merge_config_selectorIiSE_EEEEvv
                                        ; -- End function
	.section	.AMDGPU.csdata,"",@progbits
; Kernel info:
; codeLenInByte = 4
; NumSgprs: 4
; NumVgprs: 0
; NumAgprs: 0
; TotalNumVgprs: 0
; ScratchSize: 0
; MemoryBound: 0
; FloatMode: 240
; IeeeMode: 1
; LDSByteSize: 0 bytes/workgroup (compile time only)
; SGPRBlocks: 0
; VGPRBlocks: 0
; NumSGPRsForWavesPerEU: 4
; NumVGPRsForWavesPerEU: 1
; AccumOffset: 4
; Occupancy: 8
; WaveLimiterHint : 0
; COMPUTE_PGM_RSRC2:SCRATCH_EN: 0
; COMPUTE_PGM_RSRC2:USER_SGPR: 4
; COMPUTE_PGM_RSRC2:TRAP_HANDLER: 0
; COMPUTE_PGM_RSRC2:TGID_X_EN: 1
; COMPUTE_PGM_RSRC2:TGID_Y_EN: 0
; COMPUTE_PGM_RSRC2:TGID_Z_EN: 0
; COMPUTE_PGM_RSRC2:TIDIG_COMP_CNT: 0
; COMPUTE_PGM_RSRC3_GFX90A:ACCUM_OFFSET: 0
; COMPUTE_PGM_RSRC3_GFX90A:TG_SPLIT: 0
	.section	.text._ZN7rocprim17ROCPRIM_400000_NS6detail44device_merge_sort_compile_time_verifier_archINS1_11comp_targetILNS1_3genE8ELNS1_11target_archE1030ELNS1_3gpuE2ELNS1_3repE0EEES8_NS1_28merge_sort_block_sort_configILj256ELj4ELNS0_20block_sort_algorithmE0EEENS0_14default_configENS1_37merge_sort_block_sort_config_selectorIiNS0_10empty_typeEEENS1_38merge_sort_block_merge_config_selectorIiSE_EEEEvv,"axG",@progbits,_ZN7rocprim17ROCPRIM_400000_NS6detail44device_merge_sort_compile_time_verifier_archINS1_11comp_targetILNS1_3genE8ELNS1_11target_archE1030ELNS1_3gpuE2ELNS1_3repE0EEES8_NS1_28merge_sort_block_sort_configILj256ELj4ELNS0_20block_sort_algorithmE0EEENS0_14default_configENS1_37merge_sort_block_sort_config_selectorIiNS0_10empty_typeEEENS1_38merge_sort_block_merge_config_selectorIiSE_EEEEvv,comdat
	.protected	_ZN7rocprim17ROCPRIM_400000_NS6detail44device_merge_sort_compile_time_verifier_archINS1_11comp_targetILNS1_3genE8ELNS1_11target_archE1030ELNS1_3gpuE2ELNS1_3repE0EEES8_NS1_28merge_sort_block_sort_configILj256ELj4ELNS0_20block_sort_algorithmE0EEENS0_14default_configENS1_37merge_sort_block_sort_config_selectorIiNS0_10empty_typeEEENS1_38merge_sort_block_merge_config_selectorIiSE_EEEEvv ; -- Begin function _ZN7rocprim17ROCPRIM_400000_NS6detail44device_merge_sort_compile_time_verifier_archINS1_11comp_targetILNS1_3genE8ELNS1_11target_archE1030ELNS1_3gpuE2ELNS1_3repE0EEES8_NS1_28merge_sort_block_sort_configILj256ELj4ELNS0_20block_sort_algorithmE0EEENS0_14default_configENS1_37merge_sort_block_sort_config_selectorIiNS0_10empty_typeEEENS1_38merge_sort_block_merge_config_selectorIiSE_EEEEvv
	.globl	_ZN7rocprim17ROCPRIM_400000_NS6detail44device_merge_sort_compile_time_verifier_archINS1_11comp_targetILNS1_3genE8ELNS1_11target_archE1030ELNS1_3gpuE2ELNS1_3repE0EEES8_NS1_28merge_sort_block_sort_configILj256ELj4ELNS0_20block_sort_algorithmE0EEENS0_14default_configENS1_37merge_sort_block_sort_config_selectorIiNS0_10empty_typeEEENS1_38merge_sort_block_merge_config_selectorIiSE_EEEEvv
	.p2align	8
	.type	_ZN7rocprim17ROCPRIM_400000_NS6detail44device_merge_sort_compile_time_verifier_archINS1_11comp_targetILNS1_3genE8ELNS1_11target_archE1030ELNS1_3gpuE2ELNS1_3repE0EEES8_NS1_28merge_sort_block_sort_configILj256ELj4ELNS0_20block_sort_algorithmE0EEENS0_14default_configENS1_37merge_sort_block_sort_config_selectorIiNS0_10empty_typeEEENS1_38merge_sort_block_merge_config_selectorIiSE_EEEEvv,@function
_ZN7rocprim17ROCPRIM_400000_NS6detail44device_merge_sort_compile_time_verifier_archINS1_11comp_targetILNS1_3genE8ELNS1_11target_archE1030ELNS1_3gpuE2ELNS1_3repE0EEES8_NS1_28merge_sort_block_sort_configILj256ELj4ELNS0_20block_sort_algorithmE0EEENS0_14default_configENS1_37merge_sort_block_sort_config_selectorIiNS0_10empty_typeEEENS1_38merge_sort_block_merge_config_selectorIiSE_EEEEvv: ; @_ZN7rocprim17ROCPRIM_400000_NS6detail44device_merge_sort_compile_time_verifier_archINS1_11comp_targetILNS1_3genE8ELNS1_11target_archE1030ELNS1_3gpuE2ELNS1_3repE0EEES8_NS1_28merge_sort_block_sort_configILj256ELj4ELNS0_20block_sort_algorithmE0EEENS0_14default_configENS1_37merge_sort_block_sort_config_selectorIiNS0_10empty_typeEEENS1_38merge_sort_block_merge_config_selectorIiSE_EEEEvv
; %bb.0:
	s_endpgm
	.section	.rodata,"a",@progbits
	.p2align	6, 0x0
	.amdhsa_kernel _ZN7rocprim17ROCPRIM_400000_NS6detail44device_merge_sort_compile_time_verifier_archINS1_11comp_targetILNS1_3genE8ELNS1_11target_archE1030ELNS1_3gpuE2ELNS1_3repE0EEES8_NS1_28merge_sort_block_sort_configILj256ELj4ELNS0_20block_sort_algorithmE0EEENS0_14default_configENS1_37merge_sort_block_sort_config_selectorIiNS0_10empty_typeEEENS1_38merge_sort_block_merge_config_selectorIiSE_EEEEvv
		.amdhsa_group_segment_fixed_size 0
		.amdhsa_private_segment_fixed_size 0
		.amdhsa_kernarg_size 0
		.amdhsa_user_sgpr_count 4
		.amdhsa_user_sgpr_private_segment_buffer 1
		.amdhsa_user_sgpr_dispatch_ptr 0
		.amdhsa_user_sgpr_queue_ptr 0
		.amdhsa_user_sgpr_kernarg_segment_ptr 0
		.amdhsa_user_sgpr_dispatch_id 0
		.amdhsa_user_sgpr_flat_scratch_init 0
		.amdhsa_user_sgpr_kernarg_preload_length 0
		.amdhsa_user_sgpr_kernarg_preload_offset 0
		.amdhsa_user_sgpr_private_segment_size 0
		.amdhsa_uses_dynamic_stack 0
		.amdhsa_system_sgpr_private_segment_wavefront_offset 0
		.amdhsa_system_sgpr_workgroup_id_x 1
		.amdhsa_system_sgpr_workgroup_id_y 0
		.amdhsa_system_sgpr_workgroup_id_z 0
		.amdhsa_system_sgpr_workgroup_info 0
		.amdhsa_system_vgpr_workitem_id 0
		.amdhsa_next_free_vgpr 1
		.amdhsa_next_free_sgpr 0
		.amdhsa_accum_offset 4
		.amdhsa_reserve_vcc 0
		.amdhsa_reserve_flat_scratch 0
		.amdhsa_float_round_mode_32 0
		.amdhsa_float_round_mode_16_64 0
		.amdhsa_float_denorm_mode_32 3
		.amdhsa_float_denorm_mode_16_64 3
		.amdhsa_dx10_clamp 1
		.amdhsa_ieee_mode 1
		.amdhsa_fp16_overflow 0
		.amdhsa_tg_split 0
		.amdhsa_exception_fp_ieee_invalid_op 0
		.amdhsa_exception_fp_denorm_src 0
		.amdhsa_exception_fp_ieee_div_zero 0
		.amdhsa_exception_fp_ieee_overflow 0
		.amdhsa_exception_fp_ieee_underflow 0
		.amdhsa_exception_fp_ieee_inexact 0
		.amdhsa_exception_int_div_zero 0
	.end_amdhsa_kernel
	.section	.text._ZN7rocprim17ROCPRIM_400000_NS6detail44device_merge_sort_compile_time_verifier_archINS1_11comp_targetILNS1_3genE8ELNS1_11target_archE1030ELNS1_3gpuE2ELNS1_3repE0EEES8_NS1_28merge_sort_block_sort_configILj256ELj4ELNS0_20block_sort_algorithmE0EEENS0_14default_configENS1_37merge_sort_block_sort_config_selectorIiNS0_10empty_typeEEENS1_38merge_sort_block_merge_config_selectorIiSE_EEEEvv,"axG",@progbits,_ZN7rocprim17ROCPRIM_400000_NS6detail44device_merge_sort_compile_time_verifier_archINS1_11comp_targetILNS1_3genE8ELNS1_11target_archE1030ELNS1_3gpuE2ELNS1_3repE0EEES8_NS1_28merge_sort_block_sort_configILj256ELj4ELNS0_20block_sort_algorithmE0EEENS0_14default_configENS1_37merge_sort_block_sort_config_selectorIiNS0_10empty_typeEEENS1_38merge_sort_block_merge_config_selectorIiSE_EEEEvv,comdat
.Lfunc_end575:
	.size	_ZN7rocprim17ROCPRIM_400000_NS6detail44device_merge_sort_compile_time_verifier_archINS1_11comp_targetILNS1_3genE8ELNS1_11target_archE1030ELNS1_3gpuE2ELNS1_3repE0EEES8_NS1_28merge_sort_block_sort_configILj256ELj4ELNS0_20block_sort_algorithmE0EEENS0_14default_configENS1_37merge_sort_block_sort_config_selectorIiNS0_10empty_typeEEENS1_38merge_sort_block_merge_config_selectorIiSE_EEEEvv, .Lfunc_end575-_ZN7rocprim17ROCPRIM_400000_NS6detail44device_merge_sort_compile_time_verifier_archINS1_11comp_targetILNS1_3genE8ELNS1_11target_archE1030ELNS1_3gpuE2ELNS1_3repE0EEES8_NS1_28merge_sort_block_sort_configILj256ELj4ELNS0_20block_sort_algorithmE0EEENS0_14default_configENS1_37merge_sort_block_sort_config_selectorIiNS0_10empty_typeEEENS1_38merge_sort_block_merge_config_selectorIiSE_EEEEvv
                                        ; -- End function
	.section	.AMDGPU.csdata,"",@progbits
; Kernel info:
; codeLenInByte = 4
; NumSgprs: 4
; NumVgprs: 0
; NumAgprs: 0
; TotalNumVgprs: 0
; ScratchSize: 0
; MemoryBound: 0
; FloatMode: 240
; IeeeMode: 1
; LDSByteSize: 0 bytes/workgroup (compile time only)
; SGPRBlocks: 0
; VGPRBlocks: 0
; NumSGPRsForWavesPerEU: 4
; NumVGPRsForWavesPerEU: 1
; AccumOffset: 4
; Occupancy: 8
; WaveLimiterHint : 0
; COMPUTE_PGM_RSRC2:SCRATCH_EN: 0
; COMPUTE_PGM_RSRC2:USER_SGPR: 4
; COMPUTE_PGM_RSRC2:TRAP_HANDLER: 0
; COMPUTE_PGM_RSRC2:TGID_X_EN: 1
; COMPUTE_PGM_RSRC2:TGID_Y_EN: 0
; COMPUTE_PGM_RSRC2:TGID_Z_EN: 0
; COMPUTE_PGM_RSRC2:TIDIG_COMP_CNT: 0
; COMPUTE_PGM_RSRC3_GFX90A:ACCUM_OFFSET: 0
; COMPUTE_PGM_RSRC3_GFX90A:TG_SPLIT: 0
	.section	.text._ZN7rocprim17ROCPRIM_400000_NS6detail17trampoline_kernelINS0_14default_configENS1_38merge_sort_block_merge_config_selectorIiNS0_10empty_typeEEEZZNS1_27merge_sort_block_merge_implIS3_PiPS5_jNS1_19radix_merge_compareILb0ELb0EiNS0_19identity_decomposerEEEEE10hipError_tT0_T1_T2_jT3_P12ihipStream_tbPNSt15iterator_traitsISE_E10value_typeEPNSK_ISF_E10value_typeEPSG_NS1_7vsmem_tEENKUlT_SE_SF_SG_E_clIS8_S8_S9_S9_EESD_ST_SE_SF_SG_EUlST_E_NS1_11comp_targetILNS1_3genE0ELNS1_11target_archE4294967295ELNS1_3gpuE0ELNS1_3repE0EEENS1_48merge_mergepath_partition_config_static_selectorELNS0_4arch9wavefront6targetE1EEEvSF_,"axG",@progbits,_ZN7rocprim17ROCPRIM_400000_NS6detail17trampoline_kernelINS0_14default_configENS1_38merge_sort_block_merge_config_selectorIiNS0_10empty_typeEEEZZNS1_27merge_sort_block_merge_implIS3_PiPS5_jNS1_19radix_merge_compareILb0ELb0EiNS0_19identity_decomposerEEEEE10hipError_tT0_T1_T2_jT3_P12ihipStream_tbPNSt15iterator_traitsISE_E10value_typeEPNSK_ISF_E10value_typeEPSG_NS1_7vsmem_tEENKUlT_SE_SF_SG_E_clIS8_S8_S9_S9_EESD_ST_SE_SF_SG_EUlST_E_NS1_11comp_targetILNS1_3genE0ELNS1_11target_archE4294967295ELNS1_3gpuE0ELNS1_3repE0EEENS1_48merge_mergepath_partition_config_static_selectorELNS0_4arch9wavefront6targetE1EEEvSF_,comdat
	.protected	_ZN7rocprim17ROCPRIM_400000_NS6detail17trampoline_kernelINS0_14default_configENS1_38merge_sort_block_merge_config_selectorIiNS0_10empty_typeEEEZZNS1_27merge_sort_block_merge_implIS3_PiPS5_jNS1_19radix_merge_compareILb0ELb0EiNS0_19identity_decomposerEEEEE10hipError_tT0_T1_T2_jT3_P12ihipStream_tbPNSt15iterator_traitsISE_E10value_typeEPNSK_ISF_E10value_typeEPSG_NS1_7vsmem_tEENKUlT_SE_SF_SG_E_clIS8_S8_S9_S9_EESD_ST_SE_SF_SG_EUlST_E_NS1_11comp_targetILNS1_3genE0ELNS1_11target_archE4294967295ELNS1_3gpuE0ELNS1_3repE0EEENS1_48merge_mergepath_partition_config_static_selectorELNS0_4arch9wavefront6targetE1EEEvSF_ ; -- Begin function _ZN7rocprim17ROCPRIM_400000_NS6detail17trampoline_kernelINS0_14default_configENS1_38merge_sort_block_merge_config_selectorIiNS0_10empty_typeEEEZZNS1_27merge_sort_block_merge_implIS3_PiPS5_jNS1_19radix_merge_compareILb0ELb0EiNS0_19identity_decomposerEEEEE10hipError_tT0_T1_T2_jT3_P12ihipStream_tbPNSt15iterator_traitsISE_E10value_typeEPNSK_ISF_E10value_typeEPSG_NS1_7vsmem_tEENKUlT_SE_SF_SG_E_clIS8_S8_S9_S9_EESD_ST_SE_SF_SG_EUlST_E_NS1_11comp_targetILNS1_3genE0ELNS1_11target_archE4294967295ELNS1_3gpuE0ELNS1_3repE0EEENS1_48merge_mergepath_partition_config_static_selectorELNS0_4arch9wavefront6targetE1EEEvSF_
	.globl	_ZN7rocprim17ROCPRIM_400000_NS6detail17trampoline_kernelINS0_14default_configENS1_38merge_sort_block_merge_config_selectorIiNS0_10empty_typeEEEZZNS1_27merge_sort_block_merge_implIS3_PiPS5_jNS1_19radix_merge_compareILb0ELb0EiNS0_19identity_decomposerEEEEE10hipError_tT0_T1_T2_jT3_P12ihipStream_tbPNSt15iterator_traitsISE_E10value_typeEPNSK_ISF_E10value_typeEPSG_NS1_7vsmem_tEENKUlT_SE_SF_SG_E_clIS8_S8_S9_S9_EESD_ST_SE_SF_SG_EUlST_E_NS1_11comp_targetILNS1_3genE0ELNS1_11target_archE4294967295ELNS1_3gpuE0ELNS1_3repE0EEENS1_48merge_mergepath_partition_config_static_selectorELNS0_4arch9wavefront6targetE1EEEvSF_
	.p2align	8
	.type	_ZN7rocprim17ROCPRIM_400000_NS6detail17trampoline_kernelINS0_14default_configENS1_38merge_sort_block_merge_config_selectorIiNS0_10empty_typeEEEZZNS1_27merge_sort_block_merge_implIS3_PiPS5_jNS1_19radix_merge_compareILb0ELb0EiNS0_19identity_decomposerEEEEE10hipError_tT0_T1_T2_jT3_P12ihipStream_tbPNSt15iterator_traitsISE_E10value_typeEPNSK_ISF_E10value_typeEPSG_NS1_7vsmem_tEENKUlT_SE_SF_SG_E_clIS8_S8_S9_S9_EESD_ST_SE_SF_SG_EUlST_E_NS1_11comp_targetILNS1_3genE0ELNS1_11target_archE4294967295ELNS1_3gpuE0ELNS1_3repE0EEENS1_48merge_mergepath_partition_config_static_selectorELNS0_4arch9wavefront6targetE1EEEvSF_,@function
_ZN7rocprim17ROCPRIM_400000_NS6detail17trampoline_kernelINS0_14default_configENS1_38merge_sort_block_merge_config_selectorIiNS0_10empty_typeEEEZZNS1_27merge_sort_block_merge_implIS3_PiPS5_jNS1_19radix_merge_compareILb0ELb0EiNS0_19identity_decomposerEEEEE10hipError_tT0_T1_T2_jT3_P12ihipStream_tbPNSt15iterator_traitsISE_E10value_typeEPNSK_ISF_E10value_typeEPSG_NS1_7vsmem_tEENKUlT_SE_SF_SG_E_clIS8_S8_S9_S9_EESD_ST_SE_SF_SG_EUlST_E_NS1_11comp_targetILNS1_3genE0ELNS1_11target_archE4294967295ELNS1_3gpuE0ELNS1_3repE0EEENS1_48merge_mergepath_partition_config_static_selectorELNS0_4arch9wavefront6targetE1EEEvSF_: ; @_ZN7rocprim17ROCPRIM_400000_NS6detail17trampoline_kernelINS0_14default_configENS1_38merge_sort_block_merge_config_selectorIiNS0_10empty_typeEEEZZNS1_27merge_sort_block_merge_implIS3_PiPS5_jNS1_19radix_merge_compareILb0ELb0EiNS0_19identity_decomposerEEEEE10hipError_tT0_T1_T2_jT3_P12ihipStream_tbPNSt15iterator_traitsISE_E10value_typeEPNSK_ISF_E10value_typeEPSG_NS1_7vsmem_tEENKUlT_SE_SF_SG_E_clIS8_S8_S9_S9_EESD_ST_SE_SF_SG_EUlST_E_NS1_11comp_targetILNS1_3genE0ELNS1_11target_archE4294967295ELNS1_3gpuE0ELNS1_3repE0EEENS1_48merge_mergepath_partition_config_static_selectorELNS0_4arch9wavefront6targetE1EEEvSF_
; %bb.0:
	.section	.rodata,"a",@progbits
	.p2align	6, 0x0
	.amdhsa_kernel _ZN7rocprim17ROCPRIM_400000_NS6detail17trampoline_kernelINS0_14default_configENS1_38merge_sort_block_merge_config_selectorIiNS0_10empty_typeEEEZZNS1_27merge_sort_block_merge_implIS3_PiPS5_jNS1_19radix_merge_compareILb0ELb0EiNS0_19identity_decomposerEEEEE10hipError_tT0_T1_T2_jT3_P12ihipStream_tbPNSt15iterator_traitsISE_E10value_typeEPNSK_ISF_E10value_typeEPSG_NS1_7vsmem_tEENKUlT_SE_SF_SG_E_clIS8_S8_S9_S9_EESD_ST_SE_SF_SG_EUlST_E_NS1_11comp_targetILNS1_3genE0ELNS1_11target_archE4294967295ELNS1_3gpuE0ELNS1_3repE0EEENS1_48merge_mergepath_partition_config_static_selectorELNS0_4arch9wavefront6targetE1EEEvSF_
		.amdhsa_group_segment_fixed_size 0
		.amdhsa_private_segment_fixed_size 0
		.amdhsa_kernarg_size 40
		.amdhsa_user_sgpr_count 6
		.amdhsa_user_sgpr_private_segment_buffer 1
		.amdhsa_user_sgpr_dispatch_ptr 0
		.amdhsa_user_sgpr_queue_ptr 0
		.amdhsa_user_sgpr_kernarg_segment_ptr 1
		.amdhsa_user_sgpr_dispatch_id 0
		.amdhsa_user_sgpr_flat_scratch_init 0
		.amdhsa_user_sgpr_kernarg_preload_length 0
		.amdhsa_user_sgpr_kernarg_preload_offset 0
		.amdhsa_user_sgpr_private_segment_size 0
		.amdhsa_uses_dynamic_stack 0
		.amdhsa_system_sgpr_private_segment_wavefront_offset 0
		.amdhsa_system_sgpr_workgroup_id_x 1
		.amdhsa_system_sgpr_workgroup_id_y 0
		.amdhsa_system_sgpr_workgroup_id_z 0
		.amdhsa_system_sgpr_workgroup_info 0
		.amdhsa_system_vgpr_workitem_id 0
		.amdhsa_next_free_vgpr 1
		.amdhsa_next_free_sgpr 0
		.amdhsa_accum_offset 4
		.amdhsa_reserve_vcc 0
		.amdhsa_reserve_flat_scratch 0
		.amdhsa_float_round_mode_32 0
		.amdhsa_float_round_mode_16_64 0
		.amdhsa_float_denorm_mode_32 3
		.amdhsa_float_denorm_mode_16_64 3
		.amdhsa_dx10_clamp 1
		.amdhsa_ieee_mode 1
		.amdhsa_fp16_overflow 0
		.amdhsa_tg_split 0
		.amdhsa_exception_fp_ieee_invalid_op 0
		.amdhsa_exception_fp_denorm_src 0
		.amdhsa_exception_fp_ieee_div_zero 0
		.amdhsa_exception_fp_ieee_overflow 0
		.amdhsa_exception_fp_ieee_underflow 0
		.amdhsa_exception_fp_ieee_inexact 0
		.amdhsa_exception_int_div_zero 0
	.end_amdhsa_kernel
	.section	.text._ZN7rocprim17ROCPRIM_400000_NS6detail17trampoline_kernelINS0_14default_configENS1_38merge_sort_block_merge_config_selectorIiNS0_10empty_typeEEEZZNS1_27merge_sort_block_merge_implIS3_PiPS5_jNS1_19radix_merge_compareILb0ELb0EiNS0_19identity_decomposerEEEEE10hipError_tT0_T1_T2_jT3_P12ihipStream_tbPNSt15iterator_traitsISE_E10value_typeEPNSK_ISF_E10value_typeEPSG_NS1_7vsmem_tEENKUlT_SE_SF_SG_E_clIS8_S8_S9_S9_EESD_ST_SE_SF_SG_EUlST_E_NS1_11comp_targetILNS1_3genE0ELNS1_11target_archE4294967295ELNS1_3gpuE0ELNS1_3repE0EEENS1_48merge_mergepath_partition_config_static_selectorELNS0_4arch9wavefront6targetE1EEEvSF_,"axG",@progbits,_ZN7rocprim17ROCPRIM_400000_NS6detail17trampoline_kernelINS0_14default_configENS1_38merge_sort_block_merge_config_selectorIiNS0_10empty_typeEEEZZNS1_27merge_sort_block_merge_implIS3_PiPS5_jNS1_19radix_merge_compareILb0ELb0EiNS0_19identity_decomposerEEEEE10hipError_tT0_T1_T2_jT3_P12ihipStream_tbPNSt15iterator_traitsISE_E10value_typeEPNSK_ISF_E10value_typeEPSG_NS1_7vsmem_tEENKUlT_SE_SF_SG_E_clIS8_S8_S9_S9_EESD_ST_SE_SF_SG_EUlST_E_NS1_11comp_targetILNS1_3genE0ELNS1_11target_archE4294967295ELNS1_3gpuE0ELNS1_3repE0EEENS1_48merge_mergepath_partition_config_static_selectorELNS0_4arch9wavefront6targetE1EEEvSF_,comdat
.Lfunc_end576:
	.size	_ZN7rocprim17ROCPRIM_400000_NS6detail17trampoline_kernelINS0_14default_configENS1_38merge_sort_block_merge_config_selectorIiNS0_10empty_typeEEEZZNS1_27merge_sort_block_merge_implIS3_PiPS5_jNS1_19radix_merge_compareILb0ELb0EiNS0_19identity_decomposerEEEEE10hipError_tT0_T1_T2_jT3_P12ihipStream_tbPNSt15iterator_traitsISE_E10value_typeEPNSK_ISF_E10value_typeEPSG_NS1_7vsmem_tEENKUlT_SE_SF_SG_E_clIS8_S8_S9_S9_EESD_ST_SE_SF_SG_EUlST_E_NS1_11comp_targetILNS1_3genE0ELNS1_11target_archE4294967295ELNS1_3gpuE0ELNS1_3repE0EEENS1_48merge_mergepath_partition_config_static_selectorELNS0_4arch9wavefront6targetE1EEEvSF_, .Lfunc_end576-_ZN7rocprim17ROCPRIM_400000_NS6detail17trampoline_kernelINS0_14default_configENS1_38merge_sort_block_merge_config_selectorIiNS0_10empty_typeEEEZZNS1_27merge_sort_block_merge_implIS3_PiPS5_jNS1_19radix_merge_compareILb0ELb0EiNS0_19identity_decomposerEEEEE10hipError_tT0_T1_T2_jT3_P12ihipStream_tbPNSt15iterator_traitsISE_E10value_typeEPNSK_ISF_E10value_typeEPSG_NS1_7vsmem_tEENKUlT_SE_SF_SG_E_clIS8_S8_S9_S9_EESD_ST_SE_SF_SG_EUlST_E_NS1_11comp_targetILNS1_3genE0ELNS1_11target_archE4294967295ELNS1_3gpuE0ELNS1_3repE0EEENS1_48merge_mergepath_partition_config_static_selectorELNS0_4arch9wavefront6targetE1EEEvSF_
                                        ; -- End function
	.section	.AMDGPU.csdata,"",@progbits
; Kernel info:
; codeLenInByte = 0
; NumSgprs: 4
; NumVgprs: 0
; NumAgprs: 0
; TotalNumVgprs: 0
; ScratchSize: 0
; MemoryBound: 0
; FloatMode: 240
; IeeeMode: 1
; LDSByteSize: 0 bytes/workgroup (compile time only)
; SGPRBlocks: 0
; VGPRBlocks: 0
; NumSGPRsForWavesPerEU: 4
; NumVGPRsForWavesPerEU: 1
; AccumOffset: 4
; Occupancy: 8
; WaveLimiterHint : 0
; COMPUTE_PGM_RSRC2:SCRATCH_EN: 0
; COMPUTE_PGM_RSRC2:USER_SGPR: 6
; COMPUTE_PGM_RSRC2:TRAP_HANDLER: 0
; COMPUTE_PGM_RSRC2:TGID_X_EN: 1
; COMPUTE_PGM_RSRC2:TGID_Y_EN: 0
; COMPUTE_PGM_RSRC2:TGID_Z_EN: 0
; COMPUTE_PGM_RSRC2:TIDIG_COMP_CNT: 0
; COMPUTE_PGM_RSRC3_GFX90A:ACCUM_OFFSET: 0
; COMPUTE_PGM_RSRC3_GFX90A:TG_SPLIT: 0
	.section	.text._ZN7rocprim17ROCPRIM_400000_NS6detail17trampoline_kernelINS0_14default_configENS1_38merge_sort_block_merge_config_selectorIiNS0_10empty_typeEEEZZNS1_27merge_sort_block_merge_implIS3_PiPS5_jNS1_19radix_merge_compareILb0ELb0EiNS0_19identity_decomposerEEEEE10hipError_tT0_T1_T2_jT3_P12ihipStream_tbPNSt15iterator_traitsISE_E10value_typeEPNSK_ISF_E10value_typeEPSG_NS1_7vsmem_tEENKUlT_SE_SF_SG_E_clIS8_S8_S9_S9_EESD_ST_SE_SF_SG_EUlST_E_NS1_11comp_targetILNS1_3genE10ELNS1_11target_archE1201ELNS1_3gpuE5ELNS1_3repE0EEENS1_48merge_mergepath_partition_config_static_selectorELNS0_4arch9wavefront6targetE1EEEvSF_,"axG",@progbits,_ZN7rocprim17ROCPRIM_400000_NS6detail17trampoline_kernelINS0_14default_configENS1_38merge_sort_block_merge_config_selectorIiNS0_10empty_typeEEEZZNS1_27merge_sort_block_merge_implIS3_PiPS5_jNS1_19radix_merge_compareILb0ELb0EiNS0_19identity_decomposerEEEEE10hipError_tT0_T1_T2_jT3_P12ihipStream_tbPNSt15iterator_traitsISE_E10value_typeEPNSK_ISF_E10value_typeEPSG_NS1_7vsmem_tEENKUlT_SE_SF_SG_E_clIS8_S8_S9_S9_EESD_ST_SE_SF_SG_EUlST_E_NS1_11comp_targetILNS1_3genE10ELNS1_11target_archE1201ELNS1_3gpuE5ELNS1_3repE0EEENS1_48merge_mergepath_partition_config_static_selectorELNS0_4arch9wavefront6targetE1EEEvSF_,comdat
	.protected	_ZN7rocprim17ROCPRIM_400000_NS6detail17trampoline_kernelINS0_14default_configENS1_38merge_sort_block_merge_config_selectorIiNS0_10empty_typeEEEZZNS1_27merge_sort_block_merge_implIS3_PiPS5_jNS1_19radix_merge_compareILb0ELb0EiNS0_19identity_decomposerEEEEE10hipError_tT0_T1_T2_jT3_P12ihipStream_tbPNSt15iterator_traitsISE_E10value_typeEPNSK_ISF_E10value_typeEPSG_NS1_7vsmem_tEENKUlT_SE_SF_SG_E_clIS8_S8_S9_S9_EESD_ST_SE_SF_SG_EUlST_E_NS1_11comp_targetILNS1_3genE10ELNS1_11target_archE1201ELNS1_3gpuE5ELNS1_3repE0EEENS1_48merge_mergepath_partition_config_static_selectorELNS0_4arch9wavefront6targetE1EEEvSF_ ; -- Begin function _ZN7rocprim17ROCPRIM_400000_NS6detail17trampoline_kernelINS0_14default_configENS1_38merge_sort_block_merge_config_selectorIiNS0_10empty_typeEEEZZNS1_27merge_sort_block_merge_implIS3_PiPS5_jNS1_19radix_merge_compareILb0ELb0EiNS0_19identity_decomposerEEEEE10hipError_tT0_T1_T2_jT3_P12ihipStream_tbPNSt15iterator_traitsISE_E10value_typeEPNSK_ISF_E10value_typeEPSG_NS1_7vsmem_tEENKUlT_SE_SF_SG_E_clIS8_S8_S9_S9_EESD_ST_SE_SF_SG_EUlST_E_NS1_11comp_targetILNS1_3genE10ELNS1_11target_archE1201ELNS1_3gpuE5ELNS1_3repE0EEENS1_48merge_mergepath_partition_config_static_selectorELNS0_4arch9wavefront6targetE1EEEvSF_
	.globl	_ZN7rocprim17ROCPRIM_400000_NS6detail17trampoline_kernelINS0_14default_configENS1_38merge_sort_block_merge_config_selectorIiNS0_10empty_typeEEEZZNS1_27merge_sort_block_merge_implIS3_PiPS5_jNS1_19radix_merge_compareILb0ELb0EiNS0_19identity_decomposerEEEEE10hipError_tT0_T1_T2_jT3_P12ihipStream_tbPNSt15iterator_traitsISE_E10value_typeEPNSK_ISF_E10value_typeEPSG_NS1_7vsmem_tEENKUlT_SE_SF_SG_E_clIS8_S8_S9_S9_EESD_ST_SE_SF_SG_EUlST_E_NS1_11comp_targetILNS1_3genE10ELNS1_11target_archE1201ELNS1_3gpuE5ELNS1_3repE0EEENS1_48merge_mergepath_partition_config_static_selectorELNS0_4arch9wavefront6targetE1EEEvSF_
	.p2align	8
	.type	_ZN7rocprim17ROCPRIM_400000_NS6detail17trampoline_kernelINS0_14default_configENS1_38merge_sort_block_merge_config_selectorIiNS0_10empty_typeEEEZZNS1_27merge_sort_block_merge_implIS3_PiPS5_jNS1_19radix_merge_compareILb0ELb0EiNS0_19identity_decomposerEEEEE10hipError_tT0_T1_T2_jT3_P12ihipStream_tbPNSt15iterator_traitsISE_E10value_typeEPNSK_ISF_E10value_typeEPSG_NS1_7vsmem_tEENKUlT_SE_SF_SG_E_clIS8_S8_S9_S9_EESD_ST_SE_SF_SG_EUlST_E_NS1_11comp_targetILNS1_3genE10ELNS1_11target_archE1201ELNS1_3gpuE5ELNS1_3repE0EEENS1_48merge_mergepath_partition_config_static_selectorELNS0_4arch9wavefront6targetE1EEEvSF_,@function
_ZN7rocprim17ROCPRIM_400000_NS6detail17trampoline_kernelINS0_14default_configENS1_38merge_sort_block_merge_config_selectorIiNS0_10empty_typeEEEZZNS1_27merge_sort_block_merge_implIS3_PiPS5_jNS1_19radix_merge_compareILb0ELb0EiNS0_19identity_decomposerEEEEE10hipError_tT0_T1_T2_jT3_P12ihipStream_tbPNSt15iterator_traitsISE_E10value_typeEPNSK_ISF_E10value_typeEPSG_NS1_7vsmem_tEENKUlT_SE_SF_SG_E_clIS8_S8_S9_S9_EESD_ST_SE_SF_SG_EUlST_E_NS1_11comp_targetILNS1_3genE10ELNS1_11target_archE1201ELNS1_3gpuE5ELNS1_3repE0EEENS1_48merge_mergepath_partition_config_static_selectorELNS0_4arch9wavefront6targetE1EEEvSF_: ; @_ZN7rocprim17ROCPRIM_400000_NS6detail17trampoline_kernelINS0_14default_configENS1_38merge_sort_block_merge_config_selectorIiNS0_10empty_typeEEEZZNS1_27merge_sort_block_merge_implIS3_PiPS5_jNS1_19radix_merge_compareILb0ELb0EiNS0_19identity_decomposerEEEEE10hipError_tT0_T1_T2_jT3_P12ihipStream_tbPNSt15iterator_traitsISE_E10value_typeEPNSK_ISF_E10value_typeEPSG_NS1_7vsmem_tEENKUlT_SE_SF_SG_E_clIS8_S8_S9_S9_EESD_ST_SE_SF_SG_EUlST_E_NS1_11comp_targetILNS1_3genE10ELNS1_11target_archE1201ELNS1_3gpuE5ELNS1_3repE0EEENS1_48merge_mergepath_partition_config_static_selectorELNS0_4arch9wavefront6targetE1EEEvSF_
; %bb.0:
	.section	.rodata,"a",@progbits
	.p2align	6, 0x0
	.amdhsa_kernel _ZN7rocprim17ROCPRIM_400000_NS6detail17trampoline_kernelINS0_14default_configENS1_38merge_sort_block_merge_config_selectorIiNS0_10empty_typeEEEZZNS1_27merge_sort_block_merge_implIS3_PiPS5_jNS1_19radix_merge_compareILb0ELb0EiNS0_19identity_decomposerEEEEE10hipError_tT0_T1_T2_jT3_P12ihipStream_tbPNSt15iterator_traitsISE_E10value_typeEPNSK_ISF_E10value_typeEPSG_NS1_7vsmem_tEENKUlT_SE_SF_SG_E_clIS8_S8_S9_S9_EESD_ST_SE_SF_SG_EUlST_E_NS1_11comp_targetILNS1_3genE10ELNS1_11target_archE1201ELNS1_3gpuE5ELNS1_3repE0EEENS1_48merge_mergepath_partition_config_static_selectorELNS0_4arch9wavefront6targetE1EEEvSF_
		.amdhsa_group_segment_fixed_size 0
		.amdhsa_private_segment_fixed_size 0
		.amdhsa_kernarg_size 40
		.amdhsa_user_sgpr_count 6
		.amdhsa_user_sgpr_private_segment_buffer 1
		.amdhsa_user_sgpr_dispatch_ptr 0
		.amdhsa_user_sgpr_queue_ptr 0
		.amdhsa_user_sgpr_kernarg_segment_ptr 1
		.amdhsa_user_sgpr_dispatch_id 0
		.amdhsa_user_sgpr_flat_scratch_init 0
		.amdhsa_user_sgpr_kernarg_preload_length 0
		.amdhsa_user_sgpr_kernarg_preload_offset 0
		.amdhsa_user_sgpr_private_segment_size 0
		.amdhsa_uses_dynamic_stack 0
		.amdhsa_system_sgpr_private_segment_wavefront_offset 0
		.amdhsa_system_sgpr_workgroup_id_x 1
		.amdhsa_system_sgpr_workgroup_id_y 0
		.amdhsa_system_sgpr_workgroup_id_z 0
		.amdhsa_system_sgpr_workgroup_info 0
		.amdhsa_system_vgpr_workitem_id 0
		.amdhsa_next_free_vgpr 1
		.amdhsa_next_free_sgpr 0
		.amdhsa_accum_offset 4
		.amdhsa_reserve_vcc 0
		.amdhsa_reserve_flat_scratch 0
		.amdhsa_float_round_mode_32 0
		.amdhsa_float_round_mode_16_64 0
		.amdhsa_float_denorm_mode_32 3
		.amdhsa_float_denorm_mode_16_64 3
		.amdhsa_dx10_clamp 1
		.amdhsa_ieee_mode 1
		.amdhsa_fp16_overflow 0
		.amdhsa_tg_split 0
		.amdhsa_exception_fp_ieee_invalid_op 0
		.amdhsa_exception_fp_denorm_src 0
		.amdhsa_exception_fp_ieee_div_zero 0
		.amdhsa_exception_fp_ieee_overflow 0
		.amdhsa_exception_fp_ieee_underflow 0
		.amdhsa_exception_fp_ieee_inexact 0
		.amdhsa_exception_int_div_zero 0
	.end_amdhsa_kernel
	.section	.text._ZN7rocprim17ROCPRIM_400000_NS6detail17trampoline_kernelINS0_14default_configENS1_38merge_sort_block_merge_config_selectorIiNS0_10empty_typeEEEZZNS1_27merge_sort_block_merge_implIS3_PiPS5_jNS1_19radix_merge_compareILb0ELb0EiNS0_19identity_decomposerEEEEE10hipError_tT0_T1_T2_jT3_P12ihipStream_tbPNSt15iterator_traitsISE_E10value_typeEPNSK_ISF_E10value_typeEPSG_NS1_7vsmem_tEENKUlT_SE_SF_SG_E_clIS8_S8_S9_S9_EESD_ST_SE_SF_SG_EUlST_E_NS1_11comp_targetILNS1_3genE10ELNS1_11target_archE1201ELNS1_3gpuE5ELNS1_3repE0EEENS1_48merge_mergepath_partition_config_static_selectorELNS0_4arch9wavefront6targetE1EEEvSF_,"axG",@progbits,_ZN7rocprim17ROCPRIM_400000_NS6detail17trampoline_kernelINS0_14default_configENS1_38merge_sort_block_merge_config_selectorIiNS0_10empty_typeEEEZZNS1_27merge_sort_block_merge_implIS3_PiPS5_jNS1_19radix_merge_compareILb0ELb0EiNS0_19identity_decomposerEEEEE10hipError_tT0_T1_T2_jT3_P12ihipStream_tbPNSt15iterator_traitsISE_E10value_typeEPNSK_ISF_E10value_typeEPSG_NS1_7vsmem_tEENKUlT_SE_SF_SG_E_clIS8_S8_S9_S9_EESD_ST_SE_SF_SG_EUlST_E_NS1_11comp_targetILNS1_3genE10ELNS1_11target_archE1201ELNS1_3gpuE5ELNS1_3repE0EEENS1_48merge_mergepath_partition_config_static_selectorELNS0_4arch9wavefront6targetE1EEEvSF_,comdat
.Lfunc_end577:
	.size	_ZN7rocprim17ROCPRIM_400000_NS6detail17trampoline_kernelINS0_14default_configENS1_38merge_sort_block_merge_config_selectorIiNS0_10empty_typeEEEZZNS1_27merge_sort_block_merge_implIS3_PiPS5_jNS1_19radix_merge_compareILb0ELb0EiNS0_19identity_decomposerEEEEE10hipError_tT0_T1_T2_jT3_P12ihipStream_tbPNSt15iterator_traitsISE_E10value_typeEPNSK_ISF_E10value_typeEPSG_NS1_7vsmem_tEENKUlT_SE_SF_SG_E_clIS8_S8_S9_S9_EESD_ST_SE_SF_SG_EUlST_E_NS1_11comp_targetILNS1_3genE10ELNS1_11target_archE1201ELNS1_3gpuE5ELNS1_3repE0EEENS1_48merge_mergepath_partition_config_static_selectorELNS0_4arch9wavefront6targetE1EEEvSF_, .Lfunc_end577-_ZN7rocprim17ROCPRIM_400000_NS6detail17trampoline_kernelINS0_14default_configENS1_38merge_sort_block_merge_config_selectorIiNS0_10empty_typeEEEZZNS1_27merge_sort_block_merge_implIS3_PiPS5_jNS1_19radix_merge_compareILb0ELb0EiNS0_19identity_decomposerEEEEE10hipError_tT0_T1_T2_jT3_P12ihipStream_tbPNSt15iterator_traitsISE_E10value_typeEPNSK_ISF_E10value_typeEPSG_NS1_7vsmem_tEENKUlT_SE_SF_SG_E_clIS8_S8_S9_S9_EESD_ST_SE_SF_SG_EUlST_E_NS1_11comp_targetILNS1_3genE10ELNS1_11target_archE1201ELNS1_3gpuE5ELNS1_3repE0EEENS1_48merge_mergepath_partition_config_static_selectorELNS0_4arch9wavefront6targetE1EEEvSF_
                                        ; -- End function
	.section	.AMDGPU.csdata,"",@progbits
; Kernel info:
; codeLenInByte = 0
; NumSgprs: 4
; NumVgprs: 0
; NumAgprs: 0
; TotalNumVgprs: 0
; ScratchSize: 0
; MemoryBound: 0
; FloatMode: 240
; IeeeMode: 1
; LDSByteSize: 0 bytes/workgroup (compile time only)
; SGPRBlocks: 0
; VGPRBlocks: 0
; NumSGPRsForWavesPerEU: 4
; NumVGPRsForWavesPerEU: 1
; AccumOffset: 4
; Occupancy: 8
; WaveLimiterHint : 0
; COMPUTE_PGM_RSRC2:SCRATCH_EN: 0
; COMPUTE_PGM_RSRC2:USER_SGPR: 6
; COMPUTE_PGM_RSRC2:TRAP_HANDLER: 0
; COMPUTE_PGM_RSRC2:TGID_X_EN: 1
; COMPUTE_PGM_RSRC2:TGID_Y_EN: 0
; COMPUTE_PGM_RSRC2:TGID_Z_EN: 0
; COMPUTE_PGM_RSRC2:TIDIG_COMP_CNT: 0
; COMPUTE_PGM_RSRC3_GFX90A:ACCUM_OFFSET: 0
; COMPUTE_PGM_RSRC3_GFX90A:TG_SPLIT: 0
	.section	.text._ZN7rocprim17ROCPRIM_400000_NS6detail17trampoline_kernelINS0_14default_configENS1_38merge_sort_block_merge_config_selectorIiNS0_10empty_typeEEEZZNS1_27merge_sort_block_merge_implIS3_PiPS5_jNS1_19radix_merge_compareILb0ELb0EiNS0_19identity_decomposerEEEEE10hipError_tT0_T1_T2_jT3_P12ihipStream_tbPNSt15iterator_traitsISE_E10value_typeEPNSK_ISF_E10value_typeEPSG_NS1_7vsmem_tEENKUlT_SE_SF_SG_E_clIS8_S8_S9_S9_EESD_ST_SE_SF_SG_EUlST_E_NS1_11comp_targetILNS1_3genE5ELNS1_11target_archE942ELNS1_3gpuE9ELNS1_3repE0EEENS1_48merge_mergepath_partition_config_static_selectorELNS0_4arch9wavefront6targetE1EEEvSF_,"axG",@progbits,_ZN7rocprim17ROCPRIM_400000_NS6detail17trampoline_kernelINS0_14default_configENS1_38merge_sort_block_merge_config_selectorIiNS0_10empty_typeEEEZZNS1_27merge_sort_block_merge_implIS3_PiPS5_jNS1_19radix_merge_compareILb0ELb0EiNS0_19identity_decomposerEEEEE10hipError_tT0_T1_T2_jT3_P12ihipStream_tbPNSt15iterator_traitsISE_E10value_typeEPNSK_ISF_E10value_typeEPSG_NS1_7vsmem_tEENKUlT_SE_SF_SG_E_clIS8_S8_S9_S9_EESD_ST_SE_SF_SG_EUlST_E_NS1_11comp_targetILNS1_3genE5ELNS1_11target_archE942ELNS1_3gpuE9ELNS1_3repE0EEENS1_48merge_mergepath_partition_config_static_selectorELNS0_4arch9wavefront6targetE1EEEvSF_,comdat
	.protected	_ZN7rocprim17ROCPRIM_400000_NS6detail17trampoline_kernelINS0_14default_configENS1_38merge_sort_block_merge_config_selectorIiNS0_10empty_typeEEEZZNS1_27merge_sort_block_merge_implIS3_PiPS5_jNS1_19radix_merge_compareILb0ELb0EiNS0_19identity_decomposerEEEEE10hipError_tT0_T1_T2_jT3_P12ihipStream_tbPNSt15iterator_traitsISE_E10value_typeEPNSK_ISF_E10value_typeEPSG_NS1_7vsmem_tEENKUlT_SE_SF_SG_E_clIS8_S8_S9_S9_EESD_ST_SE_SF_SG_EUlST_E_NS1_11comp_targetILNS1_3genE5ELNS1_11target_archE942ELNS1_3gpuE9ELNS1_3repE0EEENS1_48merge_mergepath_partition_config_static_selectorELNS0_4arch9wavefront6targetE1EEEvSF_ ; -- Begin function _ZN7rocprim17ROCPRIM_400000_NS6detail17trampoline_kernelINS0_14default_configENS1_38merge_sort_block_merge_config_selectorIiNS0_10empty_typeEEEZZNS1_27merge_sort_block_merge_implIS3_PiPS5_jNS1_19radix_merge_compareILb0ELb0EiNS0_19identity_decomposerEEEEE10hipError_tT0_T1_T2_jT3_P12ihipStream_tbPNSt15iterator_traitsISE_E10value_typeEPNSK_ISF_E10value_typeEPSG_NS1_7vsmem_tEENKUlT_SE_SF_SG_E_clIS8_S8_S9_S9_EESD_ST_SE_SF_SG_EUlST_E_NS1_11comp_targetILNS1_3genE5ELNS1_11target_archE942ELNS1_3gpuE9ELNS1_3repE0EEENS1_48merge_mergepath_partition_config_static_selectorELNS0_4arch9wavefront6targetE1EEEvSF_
	.globl	_ZN7rocprim17ROCPRIM_400000_NS6detail17trampoline_kernelINS0_14default_configENS1_38merge_sort_block_merge_config_selectorIiNS0_10empty_typeEEEZZNS1_27merge_sort_block_merge_implIS3_PiPS5_jNS1_19radix_merge_compareILb0ELb0EiNS0_19identity_decomposerEEEEE10hipError_tT0_T1_T2_jT3_P12ihipStream_tbPNSt15iterator_traitsISE_E10value_typeEPNSK_ISF_E10value_typeEPSG_NS1_7vsmem_tEENKUlT_SE_SF_SG_E_clIS8_S8_S9_S9_EESD_ST_SE_SF_SG_EUlST_E_NS1_11comp_targetILNS1_3genE5ELNS1_11target_archE942ELNS1_3gpuE9ELNS1_3repE0EEENS1_48merge_mergepath_partition_config_static_selectorELNS0_4arch9wavefront6targetE1EEEvSF_
	.p2align	8
	.type	_ZN7rocprim17ROCPRIM_400000_NS6detail17trampoline_kernelINS0_14default_configENS1_38merge_sort_block_merge_config_selectorIiNS0_10empty_typeEEEZZNS1_27merge_sort_block_merge_implIS3_PiPS5_jNS1_19radix_merge_compareILb0ELb0EiNS0_19identity_decomposerEEEEE10hipError_tT0_T1_T2_jT3_P12ihipStream_tbPNSt15iterator_traitsISE_E10value_typeEPNSK_ISF_E10value_typeEPSG_NS1_7vsmem_tEENKUlT_SE_SF_SG_E_clIS8_S8_S9_S9_EESD_ST_SE_SF_SG_EUlST_E_NS1_11comp_targetILNS1_3genE5ELNS1_11target_archE942ELNS1_3gpuE9ELNS1_3repE0EEENS1_48merge_mergepath_partition_config_static_selectorELNS0_4arch9wavefront6targetE1EEEvSF_,@function
_ZN7rocprim17ROCPRIM_400000_NS6detail17trampoline_kernelINS0_14default_configENS1_38merge_sort_block_merge_config_selectorIiNS0_10empty_typeEEEZZNS1_27merge_sort_block_merge_implIS3_PiPS5_jNS1_19radix_merge_compareILb0ELb0EiNS0_19identity_decomposerEEEEE10hipError_tT0_T1_T2_jT3_P12ihipStream_tbPNSt15iterator_traitsISE_E10value_typeEPNSK_ISF_E10value_typeEPSG_NS1_7vsmem_tEENKUlT_SE_SF_SG_E_clIS8_S8_S9_S9_EESD_ST_SE_SF_SG_EUlST_E_NS1_11comp_targetILNS1_3genE5ELNS1_11target_archE942ELNS1_3gpuE9ELNS1_3repE0EEENS1_48merge_mergepath_partition_config_static_selectorELNS0_4arch9wavefront6targetE1EEEvSF_: ; @_ZN7rocprim17ROCPRIM_400000_NS6detail17trampoline_kernelINS0_14default_configENS1_38merge_sort_block_merge_config_selectorIiNS0_10empty_typeEEEZZNS1_27merge_sort_block_merge_implIS3_PiPS5_jNS1_19radix_merge_compareILb0ELb0EiNS0_19identity_decomposerEEEEE10hipError_tT0_T1_T2_jT3_P12ihipStream_tbPNSt15iterator_traitsISE_E10value_typeEPNSK_ISF_E10value_typeEPSG_NS1_7vsmem_tEENKUlT_SE_SF_SG_E_clIS8_S8_S9_S9_EESD_ST_SE_SF_SG_EUlST_E_NS1_11comp_targetILNS1_3genE5ELNS1_11target_archE942ELNS1_3gpuE9ELNS1_3repE0EEENS1_48merge_mergepath_partition_config_static_selectorELNS0_4arch9wavefront6targetE1EEEvSF_
; %bb.0:
	.section	.rodata,"a",@progbits
	.p2align	6, 0x0
	.amdhsa_kernel _ZN7rocprim17ROCPRIM_400000_NS6detail17trampoline_kernelINS0_14default_configENS1_38merge_sort_block_merge_config_selectorIiNS0_10empty_typeEEEZZNS1_27merge_sort_block_merge_implIS3_PiPS5_jNS1_19radix_merge_compareILb0ELb0EiNS0_19identity_decomposerEEEEE10hipError_tT0_T1_T2_jT3_P12ihipStream_tbPNSt15iterator_traitsISE_E10value_typeEPNSK_ISF_E10value_typeEPSG_NS1_7vsmem_tEENKUlT_SE_SF_SG_E_clIS8_S8_S9_S9_EESD_ST_SE_SF_SG_EUlST_E_NS1_11comp_targetILNS1_3genE5ELNS1_11target_archE942ELNS1_3gpuE9ELNS1_3repE0EEENS1_48merge_mergepath_partition_config_static_selectorELNS0_4arch9wavefront6targetE1EEEvSF_
		.amdhsa_group_segment_fixed_size 0
		.amdhsa_private_segment_fixed_size 0
		.amdhsa_kernarg_size 40
		.amdhsa_user_sgpr_count 6
		.amdhsa_user_sgpr_private_segment_buffer 1
		.amdhsa_user_sgpr_dispatch_ptr 0
		.amdhsa_user_sgpr_queue_ptr 0
		.amdhsa_user_sgpr_kernarg_segment_ptr 1
		.amdhsa_user_sgpr_dispatch_id 0
		.amdhsa_user_sgpr_flat_scratch_init 0
		.amdhsa_user_sgpr_kernarg_preload_length 0
		.amdhsa_user_sgpr_kernarg_preload_offset 0
		.amdhsa_user_sgpr_private_segment_size 0
		.amdhsa_uses_dynamic_stack 0
		.amdhsa_system_sgpr_private_segment_wavefront_offset 0
		.amdhsa_system_sgpr_workgroup_id_x 1
		.amdhsa_system_sgpr_workgroup_id_y 0
		.amdhsa_system_sgpr_workgroup_id_z 0
		.amdhsa_system_sgpr_workgroup_info 0
		.amdhsa_system_vgpr_workitem_id 0
		.amdhsa_next_free_vgpr 1
		.amdhsa_next_free_sgpr 0
		.amdhsa_accum_offset 4
		.amdhsa_reserve_vcc 0
		.amdhsa_reserve_flat_scratch 0
		.amdhsa_float_round_mode_32 0
		.amdhsa_float_round_mode_16_64 0
		.amdhsa_float_denorm_mode_32 3
		.amdhsa_float_denorm_mode_16_64 3
		.amdhsa_dx10_clamp 1
		.amdhsa_ieee_mode 1
		.amdhsa_fp16_overflow 0
		.amdhsa_tg_split 0
		.amdhsa_exception_fp_ieee_invalid_op 0
		.amdhsa_exception_fp_denorm_src 0
		.amdhsa_exception_fp_ieee_div_zero 0
		.amdhsa_exception_fp_ieee_overflow 0
		.amdhsa_exception_fp_ieee_underflow 0
		.amdhsa_exception_fp_ieee_inexact 0
		.amdhsa_exception_int_div_zero 0
	.end_amdhsa_kernel
	.section	.text._ZN7rocprim17ROCPRIM_400000_NS6detail17trampoline_kernelINS0_14default_configENS1_38merge_sort_block_merge_config_selectorIiNS0_10empty_typeEEEZZNS1_27merge_sort_block_merge_implIS3_PiPS5_jNS1_19radix_merge_compareILb0ELb0EiNS0_19identity_decomposerEEEEE10hipError_tT0_T1_T2_jT3_P12ihipStream_tbPNSt15iterator_traitsISE_E10value_typeEPNSK_ISF_E10value_typeEPSG_NS1_7vsmem_tEENKUlT_SE_SF_SG_E_clIS8_S8_S9_S9_EESD_ST_SE_SF_SG_EUlST_E_NS1_11comp_targetILNS1_3genE5ELNS1_11target_archE942ELNS1_3gpuE9ELNS1_3repE0EEENS1_48merge_mergepath_partition_config_static_selectorELNS0_4arch9wavefront6targetE1EEEvSF_,"axG",@progbits,_ZN7rocprim17ROCPRIM_400000_NS6detail17trampoline_kernelINS0_14default_configENS1_38merge_sort_block_merge_config_selectorIiNS0_10empty_typeEEEZZNS1_27merge_sort_block_merge_implIS3_PiPS5_jNS1_19radix_merge_compareILb0ELb0EiNS0_19identity_decomposerEEEEE10hipError_tT0_T1_T2_jT3_P12ihipStream_tbPNSt15iterator_traitsISE_E10value_typeEPNSK_ISF_E10value_typeEPSG_NS1_7vsmem_tEENKUlT_SE_SF_SG_E_clIS8_S8_S9_S9_EESD_ST_SE_SF_SG_EUlST_E_NS1_11comp_targetILNS1_3genE5ELNS1_11target_archE942ELNS1_3gpuE9ELNS1_3repE0EEENS1_48merge_mergepath_partition_config_static_selectorELNS0_4arch9wavefront6targetE1EEEvSF_,comdat
.Lfunc_end578:
	.size	_ZN7rocprim17ROCPRIM_400000_NS6detail17trampoline_kernelINS0_14default_configENS1_38merge_sort_block_merge_config_selectorIiNS0_10empty_typeEEEZZNS1_27merge_sort_block_merge_implIS3_PiPS5_jNS1_19radix_merge_compareILb0ELb0EiNS0_19identity_decomposerEEEEE10hipError_tT0_T1_T2_jT3_P12ihipStream_tbPNSt15iterator_traitsISE_E10value_typeEPNSK_ISF_E10value_typeEPSG_NS1_7vsmem_tEENKUlT_SE_SF_SG_E_clIS8_S8_S9_S9_EESD_ST_SE_SF_SG_EUlST_E_NS1_11comp_targetILNS1_3genE5ELNS1_11target_archE942ELNS1_3gpuE9ELNS1_3repE0EEENS1_48merge_mergepath_partition_config_static_selectorELNS0_4arch9wavefront6targetE1EEEvSF_, .Lfunc_end578-_ZN7rocprim17ROCPRIM_400000_NS6detail17trampoline_kernelINS0_14default_configENS1_38merge_sort_block_merge_config_selectorIiNS0_10empty_typeEEEZZNS1_27merge_sort_block_merge_implIS3_PiPS5_jNS1_19radix_merge_compareILb0ELb0EiNS0_19identity_decomposerEEEEE10hipError_tT0_T1_T2_jT3_P12ihipStream_tbPNSt15iterator_traitsISE_E10value_typeEPNSK_ISF_E10value_typeEPSG_NS1_7vsmem_tEENKUlT_SE_SF_SG_E_clIS8_S8_S9_S9_EESD_ST_SE_SF_SG_EUlST_E_NS1_11comp_targetILNS1_3genE5ELNS1_11target_archE942ELNS1_3gpuE9ELNS1_3repE0EEENS1_48merge_mergepath_partition_config_static_selectorELNS0_4arch9wavefront6targetE1EEEvSF_
                                        ; -- End function
	.section	.AMDGPU.csdata,"",@progbits
; Kernel info:
; codeLenInByte = 0
; NumSgprs: 4
; NumVgprs: 0
; NumAgprs: 0
; TotalNumVgprs: 0
; ScratchSize: 0
; MemoryBound: 0
; FloatMode: 240
; IeeeMode: 1
; LDSByteSize: 0 bytes/workgroup (compile time only)
; SGPRBlocks: 0
; VGPRBlocks: 0
; NumSGPRsForWavesPerEU: 4
; NumVGPRsForWavesPerEU: 1
; AccumOffset: 4
; Occupancy: 8
; WaveLimiterHint : 0
; COMPUTE_PGM_RSRC2:SCRATCH_EN: 0
; COMPUTE_PGM_RSRC2:USER_SGPR: 6
; COMPUTE_PGM_RSRC2:TRAP_HANDLER: 0
; COMPUTE_PGM_RSRC2:TGID_X_EN: 1
; COMPUTE_PGM_RSRC2:TGID_Y_EN: 0
; COMPUTE_PGM_RSRC2:TGID_Z_EN: 0
; COMPUTE_PGM_RSRC2:TIDIG_COMP_CNT: 0
; COMPUTE_PGM_RSRC3_GFX90A:ACCUM_OFFSET: 0
; COMPUTE_PGM_RSRC3_GFX90A:TG_SPLIT: 0
	.section	.text._ZN7rocprim17ROCPRIM_400000_NS6detail17trampoline_kernelINS0_14default_configENS1_38merge_sort_block_merge_config_selectorIiNS0_10empty_typeEEEZZNS1_27merge_sort_block_merge_implIS3_PiPS5_jNS1_19radix_merge_compareILb0ELb0EiNS0_19identity_decomposerEEEEE10hipError_tT0_T1_T2_jT3_P12ihipStream_tbPNSt15iterator_traitsISE_E10value_typeEPNSK_ISF_E10value_typeEPSG_NS1_7vsmem_tEENKUlT_SE_SF_SG_E_clIS8_S8_S9_S9_EESD_ST_SE_SF_SG_EUlST_E_NS1_11comp_targetILNS1_3genE4ELNS1_11target_archE910ELNS1_3gpuE8ELNS1_3repE0EEENS1_48merge_mergepath_partition_config_static_selectorELNS0_4arch9wavefront6targetE1EEEvSF_,"axG",@progbits,_ZN7rocprim17ROCPRIM_400000_NS6detail17trampoline_kernelINS0_14default_configENS1_38merge_sort_block_merge_config_selectorIiNS0_10empty_typeEEEZZNS1_27merge_sort_block_merge_implIS3_PiPS5_jNS1_19radix_merge_compareILb0ELb0EiNS0_19identity_decomposerEEEEE10hipError_tT0_T1_T2_jT3_P12ihipStream_tbPNSt15iterator_traitsISE_E10value_typeEPNSK_ISF_E10value_typeEPSG_NS1_7vsmem_tEENKUlT_SE_SF_SG_E_clIS8_S8_S9_S9_EESD_ST_SE_SF_SG_EUlST_E_NS1_11comp_targetILNS1_3genE4ELNS1_11target_archE910ELNS1_3gpuE8ELNS1_3repE0EEENS1_48merge_mergepath_partition_config_static_selectorELNS0_4arch9wavefront6targetE1EEEvSF_,comdat
	.protected	_ZN7rocprim17ROCPRIM_400000_NS6detail17trampoline_kernelINS0_14default_configENS1_38merge_sort_block_merge_config_selectorIiNS0_10empty_typeEEEZZNS1_27merge_sort_block_merge_implIS3_PiPS5_jNS1_19radix_merge_compareILb0ELb0EiNS0_19identity_decomposerEEEEE10hipError_tT0_T1_T2_jT3_P12ihipStream_tbPNSt15iterator_traitsISE_E10value_typeEPNSK_ISF_E10value_typeEPSG_NS1_7vsmem_tEENKUlT_SE_SF_SG_E_clIS8_S8_S9_S9_EESD_ST_SE_SF_SG_EUlST_E_NS1_11comp_targetILNS1_3genE4ELNS1_11target_archE910ELNS1_3gpuE8ELNS1_3repE0EEENS1_48merge_mergepath_partition_config_static_selectorELNS0_4arch9wavefront6targetE1EEEvSF_ ; -- Begin function _ZN7rocprim17ROCPRIM_400000_NS6detail17trampoline_kernelINS0_14default_configENS1_38merge_sort_block_merge_config_selectorIiNS0_10empty_typeEEEZZNS1_27merge_sort_block_merge_implIS3_PiPS5_jNS1_19radix_merge_compareILb0ELb0EiNS0_19identity_decomposerEEEEE10hipError_tT0_T1_T2_jT3_P12ihipStream_tbPNSt15iterator_traitsISE_E10value_typeEPNSK_ISF_E10value_typeEPSG_NS1_7vsmem_tEENKUlT_SE_SF_SG_E_clIS8_S8_S9_S9_EESD_ST_SE_SF_SG_EUlST_E_NS1_11comp_targetILNS1_3genE4ELNS1_11target_archE910ELNS1_3gpuE8ELNS1_3repE0EEENS1_48merge_mergepath_partition_config_static_selectorELNS0_4arch9wavefront6targetE1EEEvSF_
	.globl	_ZN7rocprim17ROCPRIM_400000_NS6detail17trampoline_kernelINS0_14default_configENS1_38merge_sort_block_merge_config_selectorIiNS0_10empty_typeEEEZZNS1_27merge_sort_block_merge_implIS3_PiPS5_jNS1_19radix_merge_compareILb0ELb0EiNS0_19identity_decomposerEEEEE10hipError_tT0_T1_T2_jT3_P12ihipStream_tbPNSt15iterator_traitsISE_E10value_typeEPNSK_ISF_E10value_typeEPSG_NS1_7vsmem_tEENKUlT_SE_SF_SG_E_clIS8_S8_S9_S9_EESD_ST_SE_SF_SG_EUlST_E_NS1_11comp_targetILNS1_3genE4ELNS1_11target_archE910ELNS1_3gpuE8ELNS1_3repE0EEENS1_48merge_mergepath_partition_config_static_selectorELNS0_4arch9wavefront6targetE1EEEvSF_
	.p2align	8
	.type	_ZN7rocprim17ROCPRIM_400000_NS6detail17trampoline_kernelINS0_14default_configENS1_38merge_sort_block_merge_config_selectorIiNS0_10empty_typeEEEZZNS1_27merge_sort_block_merge_implIS3_PiPS5_jNS1_19radix_merge_compareILb0ELb0EiNS0_19identity_decomposerEEEEE10hipError_tT0_T1_T2_jT3_P12ihipStream_tbPNSt15iterator_traitsISE_E10value_typeEPNSK_ISF_E10value_typeEPSG_NS1_7vsmem_tEENKUlT_SE_SF_SG_E_clIS8_S8_S9_S9_EESD_ST_SE_SF_SG_EUlST_E_NS1_11comp_targetILNS1_3genE4ELNS1_11target_archE910ELNS1_3gpuE8ELNS1_3repE0EEENS1_48merge_mergepath_partition_config_static_selectorELNS0_4arch9wavefront6targetE1EEEvSF_,@function
_ZN7rocprim17ROCPRIM_400000_NS6detail17trampoline_kernelINS0_14default_configENS1_38merge_sort_block_merge_config_selectorIiNS0_10empty_typeEEEZZNS1_27merge_sort_block_merge_implIS3_PiPS5_jNS1_19radix_merge_compareILb0ELb0EiNS0_19identity_decomposerEEEEE10hipError_tT0_T1_T2_jT3_P12ihipStream_tbPNSt15iterator_traitsISE_E10value_typeEPNSK_ISF_E10value_typeEPSG_NS1_7vsmem_tEENKUlT_SE_SF_SG_E_clIS8_S8_S9_S9_EESD_ST_SE_SF_SG_EUlST_E_NS1_11comp_targetILNS1_3genE4ELNS1_11target_archE910ELNS1_3gpuE8ELNS1_3repE0EEENS1_48merge_mergepath_partition_config_static_selectorELNS0_4arch9wavefront6targetE1EEEvSF_: ; @_ZN7rocprim17ROCPRIM_400000_NS6detail17trampoline_kernelINS0_14default_configENS1_38merge_sort_block_merge_config_selectorIiNS0_10empty_typeEEEZZNS1_27merge_sort_block_merge_implIS3_PiPS5_jNS1_19radix_merge_compareILb0ELb0EiNS0_19identity_decomposerEEEEE10hipError_tT0_T1_T2_jT3_P12ihipStream_tbPNSt15iterator_traitsISE_E10value_typeEPNSK_ISF_E10value_typeEPSG_NS1_7vsmem_tEENKUlT_SE_SF_SG_E_clIS8_S8_S9_S9_EESD_ST_SE_SF_SG_EUlST_E_NS1_11comp_targetILNS1_3genE4ELNS1_11target_archE910ELNS1_3gpuE8ELNS1_3repE0EEENS1_48merge_mergepath_partition_config_static_selectorELNS0_4arch9wavefront6targetE1EEEvSF_
; %bb.0:
	s_load_dword s0, s[4:5], 0x0
	v_lshl_or_b32 v0, s6, 7, v0
	s_waitcnt lgkmcnt(0)
	v_cmp_gt_u32_e32 vcc, s0, v0
	s_and_saveexec_b64 s[0:1], vcc
	s_cbranch_execz .LBB579_6
; %bb.1:
	s_load_dwordx2 s[2:3], s[4:5], 0x4
	s_load_dwordx2 s[0:1], s[4:5], 0x20
	s_waitcnt lgkmcnt(0)
	s_lshr_b32 s6, s2, 9
	s_and_b32 s6, s6, 0x7ffffe
	s_add_i32 s7, s6, -1
	s_sub_i32 s6, 0, s6
	v_and_b32_e32 v1, s6, v0
	v_lshlrev_b32_e32 v1, 10, v1
	v_min_u32_e32 v2, s3, v1
	v_add_u32_e32 v1, s2, v1
	v_min_u32_e32 v4, s3, v1
	v_add_u32_e32 v1, s2, v4
	v_and_b32_e32 v3, s7, v0
	v_min_u32_e32 v1, s3, v1
	v_sub_u32_e32 v5, v1, v2
	v_lshlrev_b32_e32 v3, 10, v3
	v_min_u32_e32 v6, v5, v3
	v_sub_u32_e32 v3, v4, v2
	v_sub_u32_e32 v1, v1, v4
	v_sub_u32_e64 v1, v6, v1 clamp
	v_min_u32_e32 v7, v6, v3
	v_cmp_lt_u32_e32 vcc, v1, v7
	s_and_saveexec_b64 s[2:3], vcc
	s_cbranch_execz .LBB579_5
; %bb.2:
	s_load_dwordx2 s[4:5], s[4:5], 0x10
	v_mov_b32_e32 v5, 0
	v_mov_b32_e32 v3, v5
	v_lshlrev_b64 v[8:9], 2, v[2:3]
	v_lshlrev_b64 v[10:11], 2, v[4:5]
	s_waitcnt lgkmcnt(0)
	v_mov_b32_e32 v12, s5
	v_add_co_u32_e32 v3, vcc, s4, v8
	v_addc_co_u32_e32 v8, vcc, v12, v9, vcc
	v_add_co_u32_e32 v9, vcc, s4, v10
	v_addc_co_u32_e32 v10, vcc, v12, v11, vcc
	s_mov_b64 s[4:5], 0
.LBB579_3:                              ; =>This Inner Loop Header: Depth=1
	v_add_u32_e32 v4, v7, v1
	v_lshrrev_b32_e32 v4, 1, v4
	v_lshlrev_b64 v[14:15], 2, v[4:5]
	v_mov_b32_e32 v13, v5
	v_xad_u32 v12, v4, -1, v6
	v_add_co_u32_e32 v14, vcc, v3, v14
	v_addc_co_u32_e32 v15, vcc, v8, v15, vcc
	v_lshlrev_b64 v[12:13], 2, v[12:13]
	v_add_co_u32_e32 v12, vcc, v9, v12
	v_addc_co_u32_e32 v13, vcc, v10, v13, vcc
	global_load_dword v11, v[14:15], off
	global_load_dword v16, v[12:13], off
	v_add_u32_e32 v12, 1, v4
	s_waitcnt vmcnt(0)
	v_cmp_gt_i32_e32 vcc, v11, v16
	v_cndmask_b32_e32 v7, v7, v4, vcc
	v_cndmask_b32_e32 v1, v12, v1, vcc
	v_cmp_ge_u32_e32 vcc, v1, v7
	s_or_b64 s[4:5], vcc, s[4:5]
	s_andn2_b64 exec, exec, s[4:5]
	s_cbranch_execnz .LBB579_3
; %bb.4:
	s_or_b64 exec, exec, s[4:5]
.LBB579_5:
	s_or_b64 exec, exec, s[2:3]
	v_add_u32_e32 v2, v1, v2
	v_mov_b32_e32 v1, 0
	v_lshlrev_b64 v[0:1], 2, v[0:1]
	v_mov_b32_e32 v3, s1
	v_add_co_u32_e32 v0, vcc, s0, v0
	v_addc_co_u32_e32 v1, vcc, v3, v1, vcc
	global_store_dword v[0:1], v2, off
.LBB579_6:
	s_endpgm
	.section	.rodata,"a",@progbits
	.p2align	6, 0x0
	.amdhsa_kernel _ZN7rocprim17ROCPRIM_400000_NS6detail17trampoline_kernelINS0_14default_configENS1_38merge_sort_block_merge_config_selectorIiNS0_10empty_typeEEEZZNS1_27merge_sort_block_merge_implIS3_PiPS5_jNS1_19radix_merge_compareILb0ELb0EiNS0_19identity_decomposerEEEEE10hipError_tT0_T1_T2_jT3_P12ihipStream_tbPNSt15iterator_traitsISE_E10value_typeEPNSK_ISF_E10value_typeEPSG_NS1_7vsmem_tEENKUlT_SE_SF_SG_E_clIS8_S8_S9_S9_EESD_ST_SE_SF_SG_EUlST_E_NS1_11comp_targetILNS1_3genE4ELNS1_11target_archE910ELNS1_3gpuE8ELNS1_3repE0EEENS1_48merge_mergepath_partition_config_static_selectorELNS0_4arch9wavefront6targetE1EEEvSF_
		.amdhsa_group_segment_fixed_size 0
		.amdhsa_private_segment_fixed_size 0
		.amdhsa_kernarg_size 40
		.amdhsa_user_sgpr_count 6
		.amdhsa_user_sgpr_private_segment_buffer 1
		.amdhsa_user_sgpr_dispatch_ptr 0
		.amdhsa_user_sgpr_queue_ptr 0
		.amdhsa_user_sgpr_kernarg_segment_ptr 1
		.amdhsa_user_sgpr_dispatch_id 0
		.amdhsa_user_sgpr_flat_scratch_init 0
		.amdhsa_user_sgpr_kernarg_preload_length 0
		.amdhsa_user_sgpr_kernarg_preload_offset 0
		.amdhsa_user_sgpr_private_segment_size 0
		.amdhsa_uses_dynamic_stack 0
		.amdhsa_system_sgpr_private_segment_wavefront_offset 0
		.amdhsa_system_sgpr_workgroup_id_x 1
		.amdhsa_system_sgpr_workgroup_id_y 0
		.amdhsa_system_sgpr_workgroup_id_z 0
		.amdhsa_system_sgpr_workgroup_info 0
		.amdhsa_system_vgpr_workitem_id 0
		.amdhsa_next_free_vgpr 17
		.amdhsa_next_free_sgpr 8
		.amdhsa_accum_offset 20
		.amdhsa_reserve_vcc 1
		.amdhsa_reserve_flat_scratch 0
		.amdhsa_float_round_mode_32 0
		.amdhsa_float_round_mode_16_64 0
		.amdhsa_float_denorm_mode_32 3
		.amdhsa_float_denorm_mode_16_64 3
		.amdhsa_dx10_clamp 1
		.amdhsa_ieee_mode 1
		.amdhsa_fp16_overflow 0
		.amdhsa_tg_split 0
		.amdhsa_exception_fp_ieee_invalid_op 0
		.amdhsa_exception_fp_denorm_src 0
		.amdhsa_exception_fp_ieee_div_zero 0
		.amdhsa_exception_fp_ieee_overflow 0
		.amdhsa_exception_fp_ieee_underflow 0
		.amdhsa_exception_fp_ieee_inexact 0
		.amdhsa_exception_int_div_zero 0
	.end_amdhsa_kernel
	.section	.text._ZN7rocprim17ROCPRIM_400000_NS6detail17trampoline_kernelINS0_14default_configENS1_38merge_sort_block_merge_config_selectorIiNS0_10empty_typeEEEZZNS1_27merge_sort_block_merge_implIS3_PiPS5_jNS1_19radix_merge_compareILb0ELb0EiNS0_19identity_decomposerEEEEE10hipError_tT0_T1_T2_jT3_P12ihipStream_tbPNSt15iterator_traitsISE_E10value_typeEPNSK_ISF_E10value_typeEPSG_NS1_7vsmem_tEENKUlT_SE_SF_SG_E_clIS8_S8_S9_S9_EESD_ST_SE_SF_SG_EUlST_E_NS1_11comp_targetILNS1_3genE4ELNS1_11target_archE910ELNS1_3gpuE8ELNS1_3repE0EEENS1_48merge_mergepath_partition_config_static_selectorELNS0_4arch9wavefront6targetE1EEEvSF_,"axG",@progbits,_ZN7rocprim17ROCPRIM_400000_NS6detail17trampoline_kernelINS0_14default_configENS1_38merge_sort_block_merge_config_selectorIiNS0_10empty_typeEEEZZNS1_27merge_sort_block_merge_implIS3_PiPS5_jNS1_19radix_merge_compareILb0ELb0EiNS0_19identity_decomposerEEEEE10hipError_tT0_T1_T2_jT3_P12ihipStream_tbPNSt15iterator_traitsISE_E10value_typeEPNSK_ISF_E10value_typeEPSG_NS1_7vsmem_tEENKUlT_SE_SF_SG_E_clIS8_S8_S9_S9_EESD_ST_SE_SF_SG_EUlST_E_NS1_11comp_targetILNS1_3genE4ELNS1_11target_archE910ELNS1_3gpuE8ELNS1_3repE0EEENS1_48merge_mergepath_partition_config_static_selectorELNS0_4arch9wavefront6targetE1EEEvSF_,comdat
.Lfunc_end579:
	.size	_ZN7rocprim17ROCPRIM_400000_NS6detail17trampoline_kernelINS0_14default_configENS1_38merge_sort_block_merge_config_selectorIiNS0_10empty_typeEEEZZNS1_27merge_sort_block_merge_implIS3_PiPS5_jNS1_19radix_merge_compareILb0ELb0EiNS0_19identity_decomposerEEEEE10hipError_tT0_T1_T2_jT3_P12ihipStream_tbPNSt15iterator_traitsISE_E10value_typeEPNSK_ISF_E10value_typeEPSG_NS1_7vsmem_tEENKUlT_SE_SF_SG_E_clIS8_S8_S9_S9_EESD_ST_SE_SF_SG_EUlST_E_NS1_11comp_targetILNS1_3genE4ELNS1_11target_archE910ELNS1_3gpuE8ELNS1_3repE0EEENS1_48merge_mergepath_partition_config_static_selectorELNS0_4arch9wavefront6targetE1EEEvSF_, .Lfunc_end579-_ZN7rocprim17ROCPRIM_400000_NS6detail17trampoline_kernelINS0_14default_configENS1_38merge_sort_block_merge_config_selectorIiNS0_10empty_typeEEEZZNS1_27merge_sort_block_merge_implIS3_PiPS5_jNS1_19radix_merge_compareILb0ELb0EiNS0_19identity_decomposerEEEEE10hipError_tT0_T1_T2_jT3_P12ihipStream_tbPNSt15iterator_traitsISE_E10value_typeEPNSK_ISF_E10value_typeEPSG_NS1_7vsmem_tEENKUlT_SE_SF_SG_E_clIS8_S8_S9_S9_EESD_ST_SE_SF_SG_EUlST_E_NS1_11comp_targetILNS1_3genE4ELNS1_11target_archE910ELNS1_3gpuE8ELNS1_3repE0EEENS1_48merge_mergepath_partition_config_static_selectorELNS0_4arch9wavefront6targetE1EEEvSF_
                                        ; -- End function
	.section	.AMDGPU.csdata,"",@progbits
; Kernel info:
; codeLenInByte = 360
; NumSgprs: 12
; NumVgprs: 17
; NumAgprs: 0
; TotalNumVgprs: 17
; ScratchSize: 0
; MemoryBound: 0
; FloatMode: 240
; IeeeMode: 1
; LDSByteSize: 0 bytes/workgroup (compile time only)
; SGPRBlocks: 1
; VGPRBlocks: 2
; NumSGPRsForWavesPerEU: 12
; NumVGPRsForWavesPerEU: 17
; AccumOffset: 20
; Occupancy: 8
; WaveLimiterHint : 0
; COMPUTE_PGM_RSRC2:SCRATCH_EN: 0
; COMPUTE_PGM_RSRC2:USER_SGPR: 6
; COMPUTE_PGM_RSRC2:TRAP_HANDLER: 0
; COMPUTE_PGM_RSRC2:TGID_X_EN: 1
; COMPUTE_PGM_RSRC2:TGID_Y_EN: 0
; COMPUTE_PGM_RSRC2:TGID_Z_EN: 0
; COMPUTE_PGM_RSRC2:TIDIG_COMP_CNT: 0
; COMPUTE_PGM_RSRC3_GFX90A:ACCUM_OFFSET: 4
; COMPUTE_PGM_RSRC3_GFX90A:TG_SPLIT: 0
	.section	.text._ZN7rocprim17ROCPRIM_400000_NS6detail17trampoline_kernelINS0_14default_configENS1_38merge_sort_block_merge_config_selectorIiNS0_10empty_typeEEEZZNS1_27merge_sort_block_merge_implIS3_PiPS5_jNS1_19radix_merge_compareILb0ELb0EiNS0_19identity_decomposerEEEEE10hipError_tT0_T1_T2_jT3_P12ihipStream_tbPNSt15iterator_traitsISE_E10value_typeEPNSK_ISF_E10value_typeEPSG_NS1_7vsmem_tEENKUlT_SE_SF_SG_E_clIS8_S8_S9_S9_EESD_ST_SE_SF_SG_EUlST_E_NS1_11comp_targetILNS1_3genE3ELNS1_11target_archE908ELNS1_3gpuE7ELNS1_3repE0EEENS1_48merge_mergepath_partition_config_static_selectorELNS0_4arch9wavefront6targetE1EEEvSF_,"axG",@progbits,_ZN7rocprim17ROCPRIM_400000_NS6detail17trampoline_kernelINS0_14default_configENS1_38merge_sort_block_merge_config_selectorIiNS0_10empty_typeEEEZZNS1_27merge_sort_block_merge_implIS3_PiPS5_jNS1_19radix_merge_compareILb0ELb0EiNS0_19identity_decomposerEEEEE10hipError_tT0_T1_T2_jT3_P12ihipStream_tbPNSt15iterator_traitsISE_E10value_typeEPNSK_ISF_E10value_typeEPSG_NS1_7vsmem_tEENKUlT_SE_SF_SG_E_clIS8_S8_S9_S9_EESD_ST_SE_SF_SG_EUlST_E_NS1_11comp_targetILNS1_3genE3ELNS1_11target_archE908ELNS1_3gpuE7ELNS1_3repE0EEENS1_48merge_mergepath_partition_config_static_selectorELNS0_4arch9wavefront6targetE1EEEvSF_,comdat
	.protected	_ZN7rocprim17ROCPRIM_400000_NS6detail17trampoline_kernelINS0_14default_configENS1_38merge_sort_block_merge_config_selectorIiNS0_10empty_typeEEEZZNS1_27merge_sort_block_merge_implIS3_PiPS5_jNS1_19radix_merge_compareILb0ELb0EiNS0_19identity_decomposerEEEEE10hipError_tT0_T1_T2_jT3_P12ihipStream_tbPNSt15iterator_traitsISE_E10value_typeEPNSK_ISF_E10value_typeEPSG_NS1_7vsmem_tEENKUlT_SE_SF_SG_E_clIS8_S8_S9_S9_EESD_ST_SE_SF_SG_EUlST_E_NS1_11comp_targetILNS1_3genE3ELNS1_11target_archE908ELNS1_3gpuE7ELNS1_3repE0EEENS1_48merge_mergepath_partition_config_static_selectorELNS0_4arch9wavefront6targetE1EEEvSF_ ; -- Begin function _ZN7rocprim17ROCPRIM_400000_NS6detail17trampoline_kernelINS0_14default_configENS1_38merge_sort_block_merge_config_selectorIiNS0_10empty_typeEEEZZNS1_27merge_sort_block_merge_implIS3_PiPS5_jNS1_19radix_merge_compareILb0ELb0EiNS0_19identity_decomposerEEEEE10hipError_tT0_T1_T2_jT3_P12ihipStream_tbPNSt15iterator_traitsISE_E10value_typeEPNSK_ISF_E10value_typeEPSG_NS1_7vsmem_tEENKUlT_SE_SF_SG_E_clIS8_S8_S9_S9_EESD_ST_SE_SF_SG_EUlST_E_NS1_11comp_targetILNS1_3genE3ELNS1_11target_archE908ELNS1_3gpuE7ELNS1_3repE0EEENS1_48merge_mergepath_partition_config_static_selectorELNS0_4arch9wavefront6targetE1EEEvSF_
	.globl	_ZN7rocprim17ROCPRIM_400000_NS6detail17trampoline_kernelINS0_14default_configENS1_38merge_sort_block_merge_config_selectorIiNS0_10empty_typeEEEZZNS1_27merge_sort_block_merge_implIS3_PiPS5_jNS1_19radix_merge_compareILb0ELb0EiNS0_19identity_decomposerEEEEE10hipError_tT0_T1_T2_jT3_P12ihipStream_tbPNSt15iterator_traitsISE_E10value_typeEPNSK_ISF_E10value_typeEPSG_NS1_7vsmem_tEENKUlT_SE_SF_SG_E_clIS8_S8_S9_S9_EESD_ST_SE_SF_SG_EUlST_E_NS1_11comp_targetILNS1_3genE3ELNS1_11target_archE908ELNS1_3gpuE7ELNS1_3repE0EEENS1_48merge_mergepath_partition_config_static_selectorELNS0_4arch9wavefront6targetE1EEEvSF_
	.p2align	8
	.type	_ZN7rocprim17ROCPRIM_400000_NS6detail17trampoline_kernelINS0_14default_configENS1_38merge_sort_block_merge_config_selectorIiNS0_10empty_typeEEEZZNS1_27merge_sort_block_merge_implIS3_PiPS5_jNS1_19radix_merge_compareILb0ELb0EiNS0_19identity_decomposerEEEEE10hipError_tT0_T1_T2_jT3_P12ihipStream_tbPNSt15iterator_traitsISE_E10value_typeEPNSK_ISF_E10value_typeEPSG_NS1_7vsmem_tEENKUlT_SE_SF_SG_E_clIS8_S8_S9_S9_EESD_ST_SE_SF_SG_EUlST_E_NS1_11comp_targetILNS1_3genE3ELNS1_11target_archE908ELNS1_3gpuE7ELNS1_3repE0EEENS1_48merge_mergepath_partition_config_static_selectorELNS0_4arch9wavefront6targetE1EEEvSF_,@function
_ZN7rocprim17ROCPRIM_400000_NS6detail17trampoline_kernelINS0_14default_configENS1_38merge_sort_block_merge_config_selectorIiNS0_10empty_typeEEEZZNS1_27merge_sort_block_merge_implIS3_PiPS5_jNS1_19radix_merge_compareILb0ELb0EiNS0_19identity_decomposerEEEEE10hipError_tT0_T1_T2_jT3_P12ihipStream_tbPNSt15iterator_traitsISE_E10value_typeEPNSK_ISF_E10value_typeEPSG_NS1_7vsmem_tEENKUlT_SE_SF_SG_E_clIS8_S8_S9_S9_EESD_ST_SE_SF_SG_EUlST_E_NS1_11comp_targetILNS1_3genE3ELNS1_11target_archE908ELNS1_3gpuE7ELNS1_3repE0EEENS1_48merge_mergepath_partition_config_static_selectorELNS0_4arch9wavefront6targetE1EEEvSF_: ; @_ZN7rocprim17ROCPRIM_400000_NS6detail17trampoline_kernelINS0_14default_configENS1_38merge_sort_block_merge_config_selectorIiNS0_10empty_typeEEEZZNS1_27merge_sort_block_merge_implIS3_PiPS5_jNS1_19radix_merge_compareILb0ELb0EiNS0_19identity_decomposerEEEEE10hipError_tT0_T1_T2_jT3_P12ihipStream_tbPNSt15iterator_traitsISE_E10value_typeEPNSK_ISF_E10value_typeEPSG_NS1_7vsmem_tEENKUlT_SE_SF_SG_E_clIS8_S8_S9_S9_EESD_ST_SE_SF_SG_EUlST_E_NS1_11comp_targetILNS1_3genE3ELNS1_11target_archE908ELNS1_3gpuE7ELNS1_3repE0EEENS1_48merge_mergepath_partition_config_static_selectorELNS0_4arch9wavefront6targetE1EEEvSF_
; %bb.0:
	.section	.rodata,"a",@progbits
	.p2align	6, 0x0
	.amdhsa_kernel _ZN7rocprim17ROCPRIM_400000_NS6detail17trampoline_kernelINS0_14default_configENS1_38merge_sort_block_merge_config_selectorIiNS0_10empty_typeEEEZZNS1_27merge_sort_block_merge_implIS3_PiPS5_jNS1_19radix_merge_compareILb0ELb0EiNS0_19identity_decomposerEEEEE10hipError_tT0_T1_T2_jT3_P12ihipStream_tbPNSt15iterator_traitsISE_E10value_typeEPNSK_ISF_E10value_typeEPSG_NS1_7vsmem_tEENKUlT_SE_SF_SG_E_clIS8_S8_S9_S9_EESD_ST_SE_SF_SG_EUlST_E_NS1_11comp_targetILNS1_3genE3ELNS1_11target_archE908ELNS1_3gpuE7ELNS1_3repE0EEENS1_48merge_mergepath_partition_config_static_selectorELNS0_4arch9wavefront6targetE1EEEvSF_
		.amdhsa_group_segment_fixed_size 0
		.amdhsa_private_segment_fixed_size 0
		.amdhsa_kernarg_size 40
		.amdhsa_user_sgpr_count 6
		.amdhsa_user_sgpr_private_segment_buffer 1
		.amdhsa_user_sgpr_dispatch_ptr 0
		.amdhsa_user_sgpr_queue_ptr 0
		.amdhsa_user_sgpr_kernarg_segment_ptr 1
		.amdhsa_user_sgpr_dispatch_id 0
		.amdhsa_user_sgpr_flat_scratch_init 0
		.amdhsa_user_sgpr_kernarg_preload_length 0
		.amdhsa_user_sgpr_kernarg_preload_offset 0
		.amdhsa_user_sgpr_private_segment_size 0
		.amdhsa_uses_dynamic_stack 0
		.amdhsa_system_sgpr_private_segment_wavefront_offset 0
		.amdhsa_system_sgpr_workgroup_id_x 1
		.amdhsa_system_sgpr_workgroup_id_y 0
		.amdhsa_system_sgpr_workgroup_id_z 0
		.amdhsa_system_sgpr_workgroup_info 0
		.amdhsa_system_vgpr_workitem_id 0
		.amdhsa_next_free_vgpr 1
		.amdhsa_next_free_sgpr 0
		.amdhsa_accum_offset 4
		.amdhsa_reserve_vcc 0
		.amdhsa_reserve_flat_scratch 0
		.amdhsa_float_round_mode_32 0
		.amdhsa_float_round_mode_16_64 0
		.amdhsa_float_denorm_mode_32 3
		.amdhsa_float_denorm_mode_16_64 3
		.amdhsa_dx10_clamp 1
		.amdhsa_ieee_mode 1
		.amdhsa_fp16_overflow 0
		.amdhsa_tg_split 0
		.amdhsa_exception_fp_ieee_invalid_op 0
		.amdhsa_exception_fp_denorm_src 0
		.amdhsa_exception_fp_ieee_div_zero 0
		.amdhsa_exception_fp_ieee_overflow 0
		.amdhsa_exception_fp_ieee_underflow 0
		.amdhsa_exception_fp_ieee_inexact 0
		.amdhsa_exception_int_div_zero 0
	.end_amdhsa_kernel
	.section	.text._ZN7rocprim17ROCPRIM_400000_NS6detail17trampoline_kernelINS0_14default_configENS1_38merge_sort_block_merge_config_selectorIiNS0_10empty_typeEEEZZNS1_27merge_sort_block_merge_implIS3_PiPS5_jNS1_19radix_merge_compareILb0ELb0EiNS0_19identity_decomposerEEEEE10hipError_tT0_T1_T2_jT3_P12ihipStream_tbPNSt15iterator_traitsISE_E10value_typeEPNSK_ISF_E10value_typeEPSG_NS1_7vsmem_tEENKUlT_SE_SF_SG_E_clIS8_S8_S9_S9_EESD_ST_SE_SF_SG_EUlST_E_NS1_11comp_targetILNS1_3genE3ELNS1_11target_archE908ELNS1_3gpuE7ELNS1_3repE0EEENS1_48merge_mergepath_partition_config_static_selectorELNS0_4arch9wavefront6targetE1EEEvSF_,"axG",@progbits,_ZN7rocprim17ROCPRIM_400000_NS6detail17trampoline_kernelINS0_14default_configENS1_38merge_sort_block_merge_config_selectorIiNS0_10empty_typeEEEZZNS1_27merge_sort_block_merge_implIS3_PiPS5_jNS1_19radix_merge_compareILb0ELb0EiNS0_19identity_decomposerEEEEE10hipError_tT0_T1_T2_jT3_P12ihipStream_tbPNSt15iterator_traitsISE_E10value_typeEPNSK_ISF_E10value_typeEPSG_NS1_7vsmem_tEENKUlT_SE_SF_SG_E_clIS8_S8_S9_S9_EESD_ST_SE_SF_SG_EUlST_E_NS1_11comp_targetILNS1_3genE3ELNS1_11target_archE908ELNS1_3gpuE7ELNS1_3repE0EEENS1_48merge_mergepath_partition_config_static_selectorELNS0_4arch9wavefront6targetE1EEEvSF_,comdat
.Lfunc_end580:
	.size	_ZN7rocprim17ROCPRIM_400000_NS6detail17trampoline_kernelINS0_14default_configENS1_38merge_sort_block_merge_config_selectorIiNS0_10empty_typeEEEZZNS1_27merge_sort_block_merge_implIS3_PiPS5_jNS1_19radix_merge_compareILb0ELb0EiNS0_19identity_decomposerEEEEE10hipError_tT0_T1_T2_jT3_P12ihipStream_tbPNSt15iterator_traitsISE_E10value_typeEPNSK_ISF_E10value_typeEPSG_NS1_7vsmem_tEENKUlT_SE_SF_SG_E_clIS8_S8_S9_S9_EESD_ST_SE_SF_SG_EUlST_E_NS1_11comp_targetILNS1_3genE3ELNS1_11target_archE908ELNS1_3gpuE7ELNS1_3repE0EEENS1_48merge_mergepath_partition_config_static_selectorELNS0_4arch9wavefront6targetE1EEEvSF_, .Lfunc_end580-_ZN7rocprim17ROCPRIM_400000_NS6detail17trampoline_kernelINS0_14default_configENS1_38merge_sort_block_merge_config_selectorIiNS0_10empty_typeEEEZZNS1_27merge_sort_block_merge_implIS3_PiPS5_jNS1_19radix_merge_compareILb0ELb0EiNS0_19identity_decomposerEEEEE10hipError_tT0_T1_T2_jT3_P12ihipStream_tbPNSt15iterator_traitsISE_E10value_typeEPNSK_ISF_E10value_typeEPSG_NS1_7vsmem_tEENKUlT_SE_SF_SG_E_clIS8_S8_S9_S9_EESD_ST_SE_SF_SG_EUlST_E_NS1_11comp_targetILNS1_3genE3ELNS1_11target_archE908ELNS1_3gpuE7ELNS1_3repE0EEENS1_48merge_mergepath_partition_config_static_selectorELNS0_4arch9wavefront6targetE1EEEvSF_
                                        ; -- End function
	.section	.AMDGPU.csdata,"",@progbits
; Kernel info:
; codeLenInByte = 0
; NumSgprs: 4
; NumVgprs: 0
; NumAgprs: 0
; TotalNumVgprs: 0
; ScratchSize: 0
; MemoryBound: 0
; FloatMode: 240
; IeeeMode: 1
; LDSByteSize: 0 bytes/workgroup (compile time only)
; SGPRBlocks: 0
; VGPRBlocks: 0
; NumSGPRsForWavesPerEU: 4
; NumVGPRsForWavesPerEU: 1
; AccumOffset: 4
; Occupancy: 8
; WaveLimiterHint : 0
; COMPUTE_PGM_RSRC2:SCRATCH_EN: 0
; COMPUTE_PGM_RSRC2:USER_SGPR: 6
; COMPUTE_PGM_RSRC2:TRAP_HANDLER: 0
; COMPUTE_PGM_RSRC2:TGID_X_EN: 1
; COMPUTE_PGM_RSRC2:TGID_Y_EN: 0
; COMPUTE_PGM_RSRC2:TGID_Z_EN: 0
; COMPUTE_PGM_RSRC2:TIDIG_COMP_CNT: 0
; COMPUTE_PGM_RSRC3_GFX90A:ACCUM_OFFSET: 0
; COMPUTE_PGM_RSRC3_GFX90A:TG_SPLIT: 0
	.section	.text._ZN7rocprim17ROCPRIM_400000_NS6detail17trampoline_kernelINS0_14default_configENS1_38merge_sort_block_merge_config_selectorIiNS0_10empty_typeEEEZZNS1_27merge_sort_block_merge_implIS3_PiPS5_jNS1_19radix_merge_compareILb0ELb0EiNS0_19identity_decomposerEEEEE10hipError_tT0_T1_T2_jT3_P12ihipStream_tbPNSt15iterator_traitsISE_E10value_typeEPNSK_ISF_E10value_typeEPSG_NS1_7vsmem_tEENKUlT_SE_SF_SG_E_clIS8_S8_S9_S9_EESD_ST_SE_SF_SG_EUlST_E_NS1_11comp_targetILNS1_3genE2ELNS1_11target_archE906ELNS1_3gpuE6ELNS1_3repE0EEENS1_48merge_mergepath_partition_config_static_selectorELNS0_4arch9wavefront6targetE1EEEvSF_,"axG",@progbits,_ZN7rocprim17ROCPRIM_400000_NS6detail17trampoline_kernelINS0_14default_configENS1_38merge_sort_block_merge_config_selectorIiNS0_10empty_typeEEEZZNS1_27merge_sort_block_merge_implIS3_PiPS5_jNS1_19radix_merge_compareILb0ELb0EiNS0_19identity_decomposerEEEEE10hipError_tT0_T1_T2_jT3_P12ihipStream_tbPNSt15iterator_traitsISE_E10value_typeEPNSK_ISF_E10value_typeEPSG_NS1_7vsmem_tEENKUlT_SE_SF_SG_E_clIS8_S8_S9_S9_EESD_ST_SE_SF_SG_EUlST_E_NS1_11comp_targetILNS1_3genE2ELNS1_11target_archE906ELNS1_3gpuE6ELNS1_3repE0EEENS1_48merge_mergepath_partition_config_static_selectorELNS0_4arch9wavefront6targetE1EEEvSF_,comdat
	.protected	_ZN7rocprim17ROCPRIM_400000_NS6detail17trampoline_kernelINS0_14default_configENS1_38merge_sort_block_merge_config_selectorIiNS0_10empty_typeEEEZZNS1_27merge_sort_block_merge_implIS3_PiPS5_jNS1_19radix_merge_compareILb0ELb0EiNS0_19identity_decomposerEEEEE10hipError_tT0_T1_T2_jT3_P12ihipStream_tbPNSt15iterator_traitsISE_E10value_typeEPNSK_ISF_E10value_typeEPSG_NS1_7vsmem_tEENKUlT_SE_SF_SG_E_clIS8_S8_S9_S9_EESD_ST_SE_SF_SG_EUlST_E_NS1_11comp_targetILNS1_3genE2ELNS1_11target_archE906ELNS1_3gpuE6ELNS1_3repE0EEENS1_48merge_mergepath_partition_config_static_selectorELNS0_4arch9wavefront6targetE1EEEvSF_ ; -- Begin function _ZN7rocprim17ROCPRIM_400000_NS6detail17trampoline_kernelINS0_14default_configENS1_38merge_sort_block_merge_config_selectorIiNS0_10empty_typeEEEZZNS1_27merge_sort_block_merge_implIS3_PiPS5_jNS1_19radix_merge_compareILb0ELb0EiNS0_19identity_decomposerEEEEE10hipError_tT0_T1_T2_jT3_P12ihipStream_tbPNSt15iterator_traitsISE_E10value_typeEPNSK_ISF_E10value_typeEPSG_NS1_7vsmem_tEENKUlT_SE_SF_SG_E_clIS8_S8_S9_S9_EESD_ST_SE_SF_SG_EUlST_E_NS1_11comp_targetILNS1_3genE2ELNS1_11target_archE906ELNS1_3gpuE6ELNS1_3repE0EEENS1_48merge_mergepath_partition_config_static_selectorELNS0_4arch9wavefront6targetE1EEEvSF_
	.globl	_ZN7rocprim17ROCPRIM_400000_NS6detail17trampoline_kernelINS0_14default_configENS1_38merge_sort_block_merge_config_selectorIiNS0_10empty_typeEEEZZNS1_27merge_sort_block_merge_implIS3_PiPS5_jNS1_19radix_merge_compareILb0ELb0EiNS0_19identity_decomposerEEEEE10hipError_tT0_T1_T2_jT3_P12ihipStream_tbPNSt15iterator_traitsISE_E10value_typeEPNSK_ISF_E10value_typeEPSG_NS1_7vsmem_tEENKUlT_SE_SF_SG_E_clIS8_S8_S9_S9_EESD_ST_SE_SF_SG_EUlST_E_NS1_11comp_targetILNS1_3genE2ELNS1_11target_archE906ELNS1_3gpuE6ELNS1_3repE0EEENS1_48merge_mergepath_partition_config_static_selectorELNS0_4arch9wavefront6targetE1EEEvSF_
	.p2align	8
	.type	_ZN7rocprim17ROCPRIM_400000_NS6detail17trampoline_kernelINS0_14default_configENS1_38merge_sort_block_merge_config_selectorIiNS0_10empty_typeEEEZZNS1_27merge_sort_block_merge_implIS3_PiPS5_jNS1_19radix_merge_compareILb0ELb0EiNS0_19identity_decomposerEEEEE10hipError_tT0_T1_T2_jT3_P12ihipStream_tbPNSt15iterator_traitsISE_E10value_typeEPNSK_ISF_E10value_typeEPSG_NS1_7vsmem_tEENKUlT_SE_SF_SG_E_clIS8_S8_S9_S9_EESD_ST_SE_SF_SG_EUlST_E_NS1_11comp_targetILNS1_3genE2ELNS1_11target_archE906ELNS1_3gpuE6ELNS1_3repE0EEENS1_48merge_mergepath_partition_config_static_selectorELNS0_4arch9wavefront6targetE1EEEvSF_,@function
_ZN7rocprim17ROCPRIM_400000_NS6detail17trampoline_kernelINS0_14default_configENS1_38merge_sort_block_merge_config_selectorIiNS0_10empty_typeEEEZZNS1_27merge_sort_block_merge_implIS3_PiPS5_jNS1_19radix_merge_compareILb0ELb0EiNS0_19identity_decomposerEEEEE10hipError_tT0_T1_T2_jT3_P12ihipStream_tbPNSt15iterator_traitsISE_E10value_typeEPNSK_ISF_E10value_typeEPSG_NS1_7vsmem_tEENKUlT_SE_SF_SG_E_clIS8_S8_S9_S9_EESD_ST_SE_SF_SG_EUlST_E_NS1_11comp_targetILNS1_3genE2ELNS1_11target_archE906ELNS1_3gpuE6ELNS1_3repE0EEENS1_48merge_mergepath_partition_config_static_selectorELNS0_4arch9wavefront6targetE1EEEvSF_: ; @_ZN7rocprim17ROCPRIM_400000_NS6detail17trampoline_kernelINS0_14default_configENS1_38merge_sort_block_merge_config_selectorIiNS0_10empty_typeEEEZZNS1_27merge_sort_block_merge_implIS3_PiPS5_jNS1_19radix_merge_compareILb0ELb0EiNS0_19identity_decomposerEEEEE10hipError_tT0_T1_T2_jT3_P12ihipStream_tbPNSt15iterator_traitsISE_E10value_typeEPNSK_ISF_E10value_typeEPSG_NS1_7vsmem_tEENKUlT_SE_SF_SG_E_clIS8_S8_S9_S9_EESD_ST_SE_SF_SG_EUlST_E_NS1_11comp_targetILNS1_3genE2ELNS1_11target_archE906ELNS1_3gpuE6ELNS1_3repE0EEENS1_48merge_mergepath_partition_config_static_selectorELNS0_4arch9wavefront6targetE1EEEvSF_
; %bb.0:
	.section	.rodata,"a",@progbits
	.p2align	6, 0x0
	.amdhsa_kernel _ZN7rocprim17ROCPRIM_400000_NS6detail17trampoline_kernelINS0_14default_configENS1_38merge_sort_block_merge_config_selectorIiNS0_10empty_typeEEEZZNS1_27merge_sort_block_merge_implIS3_PiPS5_jNS1_19radix_merge_compareILb0ELb0EiNS0_19identity_decomposerEEEEE10hipError_tT0_T1_T2_jT3_P12ihipStream_tbPNSt15iterator_traitsISE_E10value_typeEPNSK_ISF_E10value_typeEPSG_NS1_7vsmem_tEENKUlT_SE_SF_SG_E_clIS8_S8_S9_S9_EESD_ST_SE_SF_SG_EUlST_E_NS1_11comp_targetILNS1_3genE2ELNS1_11target_archE906ELNS1_3gpuE6ELNS1_3repE0EEENS1_48merge_mergepath_partition_config_static_selectorELNS0_4arch9wavefront6targetE1EEEvSF_
		.amdhsa_group_segment_fixed_size 0
		.amdhsa_private_segment_fixed_size 0
		.amdhsa_kernarg_size 40
		.amdhsa_user_sgpr_count 6
		.amdhsa_user_sgpr_private_segment_buffer 1
		.amdhsa_user_sgpr_dispatch_ptr 0
		.amdhsa_user_sgpr_queue_ptr 0
		.amdhsa_user_sgpr_kernarg_segment_ptr 1
		.amdhsa_user_sgpr_dispatch_id 0
		.amdhsa_user_sgpr_flat_scratch_init 0
		.amdhsa_user_sgpr_kernarg_preload_length 0
		.amdhsa_user_sgpr_kernarg_preload_offset 0
		.amdhsa_user_sgpr_private_segment_size 0
		.amdhsa_uses_dynamic_stack 0
		.amdhsa_system_sgpr_private_segment_wavefront_offset 0
		.amdhsa_system_sgpr_workgroup_id_x 1
		.amdhsa_system_sgpr_workgroup_id_y 0
		.amdhsa_system_sgpr_workgroup_id_z 0
		.amdhsa_system_sgpr_workgroup_info 0
		.amdhsa_system_vgpr_workitem_id 0
		.amdhsa_next_free_vgpr 1
		.amdhsa_next_free_sgpr 0
		.amdhsa_accum_offset 4
		.amdhsa_reserve_vcc 0
		.amdhsa_reserve_flat_scratch 0
		.amdhsa_float_round_mode_32 0
		.amdhsa_float_round_mode_16_64 0
		.amdhsa_float_denorm_mode_32 3
		.amdhsa_float_denorm_mode_16_64 3
		.amdhsa_dx10_clamp 1
		.amdhsa_ieee_mode 1
		.amdhsa_fp16_overflow 0
		.amdhsa_tg_split 0
		.amdhsa_exception_fp_ieee_invalid_op 0
		.amdhsa_exception_fp_denorm_src 0
		.amdhsa_exception_fp_ieee_div_zero 0
		.amdhsa_exception_fp_ieee_overflow 0
		.amdhsa_exception_fp_ieee_underflow 0
		.amdhsa_exception_fp_ieee_inexact 0
		.amdhsa_exception_int_div_zero 0
	.end_amdhsa_kernel
	.section	.text._ZN7rocprim17ROCPRIM_400000_NS6detail17trampoline_kernelINS0_14default_configENS1_38merge_sort_block_merge_config_selectorIiNS0_10empty_typeEEEZZNS1_27merge_sort_block_merge_implIS3_PiPS5_jNS1_19radix_merge_compareILb0ELb0EiNS0_19identity_decomposerEEEEE10hipError_tT0_T1_T2_jT3_P12ihipStream_tbPNSt15iterator_traitsISE_E10value_typeEPNSK_ISF_E10value_typeEPSG_NS1_7vsmem_tEENKUlT_SE_SF_SG_E_clIS8_S8_S9_S9_EESD_ST_SE_SF_SG_EUlST_E_NS1_11comp_targetILNS1_3genE2ELNS1_11target_archE906ELNS1_3gpuE6ELNS1_3repE0EEENS1_48merge_mergepath_partition_config_static_selectorELNS0_4arch9wavefront6targetE1EEEvSF_,"axG",@progbits,_ZN7rocprim17ROCPRIM_400000_NS6detail17trampoline_kernelINS0_14default_configENS1_38merge_sort_block_merge_config_selectorIiNS0_10empty_typeEEEZZNS1_27merge_sort_block_merge_implIS3_PiPS5_jNS1_19radix_merge_compareILb0ELb0EiNS0_19identity_decomposerEEEEE10hipError_tT0_T1_T2_jT3_P12ihipStream_tbPNSt15iterator_traitsISE_E10value_typeEPNSK_ISF_E10value_typeEPSG_NS1_7vsmem_tEENKUlT_SE_SF_SG_E_clIS8_S8_S9_S9_EESD_ST_SE_SF_SG_EUlST_E_NS1_11comp_targetILNS1_3genE2ELNS1_11target_archE906ELNS1_3gpuE6ELNS1_3repE0EEENS1_48merge_mergepath_partition_config_static_selectorELNS0_4arch9wavefront6targetE1EEEvSF_,comdat
.Lfunc_end581:
	.size	_ZN7rocprim17ROCPRIM_400000_NS6detail17trampoline_kernelINS0_14default_configENS1_38merge_sort_block_merge_config_selectorIiNS0_10empty_typeEEEZZNS1_27merge_sort_block_merge_implIS3_PiPS5_jNS1_19radix_merge_compareILb0ELb0EiNS0_19identity_decomposerEEEEE10hipError_tT0_T1_T2_jT3_P12ihipStream_tbPNSt15iterator_traitsISE_E10value_typeEPNSK_ISF_E10value_typeEPSG_NS1_7vsmem_tEENKUlT_SE_SF_SG_E_clIS8_S8_S9_S9_EESD_ST_SE_SF_SG_EUlST_E_NS1_11comp_targetILNS1_3genE2ELNS1_11target_archE906ELNS1_3gpuE6ELNS1_3repE0EEENS1_48merge_mergepath_partition_config_static_selectorELNS0_4arch9wavefront6targetE1EEEvSF_, .Lfunc_end581-_ZN7rocprim17ROCPRIM_400000_NS6detail17trampoline_kernelINS0_14default_configENS1_38merge_sort_block_merge_config_selectorIiNS0_10empty_typeEEEZZNS1_27merge_sort_block_merge_implIS3_PiPS5_jNS1_19radix_merge_compareILb0ELb0EiNS0_19identity_decomposerEEEEE10hipError_tT0_T1_T2_jT3_P12ihipStream_tbPNSt15iterator_traitsISE_E10value_typeEPNSK_ISF_E10value_typeEPSG_NS1_7vsmem_tEENKUlT_SE_SF_SG_E_clIS8_S8_S9_S9_EESD_ST_SE_SF_SG_EUlST_E_NS1_11comp_targetILNS1_3genE2ELNS1_11target_archE906ELNS1_3gpuE6ELNS1_3repE0EEENS1_48merge_mergepath_partition_config_static_selectorELNS0_4arch9wavefront6targetE1EEEvSF_
                                        ; -- End function
	.section	.AMDGPU.csdata,"",@progbits
; Kernel info:
; codeLenInByte = 0
; NumSgprs: 4
; NumVgprs: 0
; NumAgprs: 0
; TotalNumVgprs: 0
; ScratchSize: 0
; MemoryBound: 0
; FloatMode: 240
; IeeeMode: 1
; LDSByteSize: 0 bytes/workgroup (compile time only)
; SGPRBlocks: 0
; VGPRBlocks: 0
; NumSGPRsForWavesPerEU: 4
; NumVGPRsForWavesPerEU: 1
; AccumOffset: 4
; Occupancy: 8
; WaveLimiterHint : 0
; COMPUTE_PGM_RSRC2:SCRATCH_EN: 0
; COMPUTE_PGM_RSRC2:USER_SGPR: 6
; COMPUTE_PGM_RSRC2:TRAP_HANDLER: 0
; COMPUTE_PGM_RSRC2:TGID_X_EN: 1
; COMPUTE_PGM_RSRC2:TGID_Y_EN: 0
; COMPUTE_PGM_RSRC2:TGID_Z_EN: 0
; COMPUTE_PGM_RSRC2:TIDIG_COMP_CNT: 0
; COMPUTE_PGM_RSRC3_GFX90A:ACCUM_OFFSET: 0
; COMPUTE_PGM_RSRC3_GFX90A:TG_SPLIT: 0
	.section	.text._ZN7rocprim17ROCPRIM_400000_NS6detail17trampoline_kernelINS0_14default_configENS1_38merge_sort_block_merge_config_selectorIiNS0_10empty_typeEEEZZNS1_27merge_sort_block_merge_implIS3_PiPS5_jNS1_19radix_merge_compareILb0ELb0EiNS0_19identity_decomposerEEEEE10hipError_tT0_T1_T2_jT3_P12ihipStream_tbPNSt15iterator_traitsISE_E10value_typeEPNSK_ISF_E10value_typeEPSG_NS1_7vsmem_tEENKUlT_SE_SF_SG_E_clIS8_S8_S9_S9_EESD_ST_SE_SF_SG_EUlST_E_NS1_11comp_targetILNS1_3genE9ELNS1_11target_archE1100ELNS1_3gpuE3ELNS1_3repE0EEENS1_48merge_mergepath_partition_config_static_selectorELNS0_4arch9wavefront6targetE1EEEvSF_,"axG",@progbits,_ZN7rocprim17ROCPRIM_400000_NS6detail17trampoline_kernelINS0_14default_configENS1_38merge_sort_block_merge_config_selectorIiNS0_10empty_typeEEEZZNS1_27merge_sort_block_merge_implIS3_PiPS5_jNS1_19radix_merge_compareILb0ELb0EiNS0_19identity_decomposerEEEEE10hipError_tT0_T1_T2_jT3_P12ihipStream_tbPNSt15iterator_traitsISE_E10value_typeEPNSK_ISF_E10value_typeEPSG_NS1_7vsmem_tEENKUlT_SE_SF_SG_E_clIS8_S8_S9_S9_EESD_ST_SE_SF_SG_EUlST_E_NS1_11comp_targetILNS1_3genE9ELNS1_11target_archE1100ELNS1_3gpuE3ELNS1_3repE0EEENS1_48merge_mergepath_partition_config_static_selectorELNS0_4arch9wavefront6targetE1EEEvSF_,comdat
	.protected	_ZN7rocprim17ROCPRIM_400000_NS6detail17trampoline_kernelINS0_14default_configENS1_38merge_sort_block_merge_config_selectorIiNS0_10empty_typeEEEZZNS1_27merge_sort_block_merge_implIS3_PiPS5_jNS1_19radix_merge_compareILb0ELb0EiNS0_19identity_decomposerEEEEE10hipError_tT0_T1_T2_jT3_P12ihipStream_tbPNSt15iterator_traitsISE_E10value_typeEPNSK_ISF_E10value_typeEPSG_NS1_7vsmem_tEENKUlT_SE_SF_SG_E_clIS8_S8_S9_S9_EESD_ST_SE_SF_SG_EUlST_E_NS1_11comp_targetILNS1_3genE9ELNS1_11target_archE1100ELNS1_3gpuE3ELNS1_3repE0EEENS1_48merge_mergepath_partition_config_static_selectorELNS0_4arch9wavefront6targetE1EEEvSF_ ; -- Begin function _ZN7rocprim17ROCPRIM_400000_NS6detail17trampoline_kernelINS0_14default_configENS1_38merge_sort_block_merge_config_selectorIiNS0_10empty_typeEEEZZNS1_27merge_sort_block_merge_implIS3_PiPS5_jNS1_19radix_merge_compareILb0ELb0EiNS0_19identity_decomposerEEEEE10hipError_tT0_T1_T2_jT3_P12ihipStream_tbPNSt15iterator_traitsISE_E10value_typeEPNSK_ISF_E10value_typeEPSG_NS1_7vsmem_tEENKUlT_SE_SF_SG_E_clIS8_S8_S9_S9_EESD_ST_SE_SF_SG_EUlST_E_NS1_11comp_targetILNS1_3genE9ELNS1_11target_archE1100ELNS1_3gpuE3ELNS1_3repE0EEENS1_48merge_mergepath_partition_config_static_selectorELNS0_4arch9wavefront6targetE1EEEvSF_
	.globl	_ZN7rocprim17ROCPRIM_400000_NS6detail17trampoline_kernelINS0_14default_configENS1_38merge_sort_block_merge_config_selectorIiNS0_10empty_typeEEEZZNS1_27merge_sort_block_merge_implIS3_PiPS5_jNS1_19radix_merge_compareILb0ELb0EiNS0_19identity_decomposerEEEEE10hipError_tT0_T1_T2_jT3_P12ihipStream_tbPNSt15iterator_traitsISE_E10value_typeEPNSK_ISF_E10value_typeEPSG_NS1_7vsmem_tEENKUlT_SE_SF_SG_E_clIS8_S8_S9_S9_EESD_ST_SE_SF_SG_EUlST_E_NS1_11comp_targetILNS1_3genE9ELNS1_11target_archE1100ELNS1_3gpuE3ELNS1_3repE0EEENS1_48merge_mergepath_partition_config_static_selectorELNS0_4arch9wavefront6targetE1EEEvSF_
	.p2align	8
	.type	_ZN7rocprim17ROCPRIM_400000_NS6detail17trampoline_kernelINS0_14default_configENS1_38merge_sort_block_merge_config_selectorIiNS0_10empty_typeEEEZZNS1_27merge_sort_block_merge_implIS3_PiPS5_jNS1_19radix_merge_compareILb0ELb0EiNS0_19identity_decomposerEEEEE10hipError_tT0_T1_T2_jT3_P12ihipStream_tbPNSt15iterator_traitsISE_E10value_typeEPNSK_ISF_E10value_typeEPSG_NS1_7vsmem_tEENKUlT_SE_SF_SG_E_clIS8_S8_S9_S9_EESD_ST_SE_SF_SG_EUlST_E_NS1_11comp_targetILNS1_3genE9ELNS1_11target_archE1100ELNS1_3gpuE3ELNS1_3repE0EEENS1_48merge_mergepath_partition_config_static_selectorELNS0_4arch9wavefront6targetE1EEEvSF_,@function
_ZN7rocprim17ROCPRIM_400000_NS6detail17trampoline_kernelINS0_14default_configENS1_38merge_sort_block_merge_config_selectorIiNS0_10empty_typeEEEZZNS1_27merge_sort_block_merge_implIS3_PiPS5_jNS1_19radix_merge_compareILb0ELb0EiNS0_19identity_decomposerEEEEE10hipError_tT0_T1_T2_jT3_P12ihipStream_tbPNSt15iterator_traitsISE_E10value_typeEPNSK_ISF_E10value_typeEPSG_NS1_7vsmem_tEENKUlT_SE_SF_SG_E_clIS8_S8_S9_S9_EESD_ST_SE_SF_SG_EUlST_E_NS1_11comp_targetILNS1_3genE9ELNS1_11target_archE1100ELNS1_3gpuE3ELNS1_3repE0EEENS1_48merge_mergepath_partition_config_static_selectorELNS0_4arch9wavefront6targetE1EEEvSF_: ; @_ZN7rocprim17ROCPRIM_400000_NS6detail17trampoline_kernelINS0_14default_configENS1_38merge_sort_block_merge_config_selectorIiNS0_10empty_typeEEEZZNS1_27merge_sort_block_merge_implIS3_PiPS5_jNS1_19radix_merge_compareILb0ELb0EiNS0_19identity_decomposerEEEEE10hipError_tT0_T1_T2_jT3_P12ihipStream_tbPNSt15iterator_traitsISE_E10value_typeEPNSK_ISF_E10value_typeEPSG_NS1_7vsmem_tEENKUlT_SE_SF_SG_E_clIS8_S8_S9_S9_EESD_ST_SE_SF_SG_EUlST_E_NS1_11comp_targetILNS1_3genE9ELNS1_11target_archE1100ELNS1_3gpuE3ELNS1_3repE0EEENS1_48merge_mergepath_partition_config_static_selectorELNS0_4arch9wavefront6targetE1EEEvSF_
; %bb.0:
	.section	.rodata,"a",@progbits
	.p2align	6, 0x0
	.amdhsa_kernel _ZN7rocprim17ROCPRIM_400000_NS6detail17trampoline_kernelINS0_14default_configENS1_38merge_sort_block_merge_config_selectorIiNS0_10empty_typeEEEZZNS1_27merge_sort_block_merge_implIS3_PiPS5_jNS1_19radix_merge_compareILb0ELb0EiNS0_19identity_decomposerEEEEE10hipError_tT0_T1_T2_jT3_P12ihipStream_tbPNSt15iterator_traitsISE_E10value_typeEPNSK_ISF_E10value_typeEPSG_NS1_7vsmem_tEENKUlT_SE_SF_SG_E_clIS8_S8_S9_S9_EESD_ST_SE_SF_SG_EUlST_E_NS1_11comp_targetILNS1_3genE9ELNS1_11target_archE1100ELNS1_3gpuE3ELNS1_3repE0EEENS1_48merge_mergepath_partition_config_static_selectorELNS0_4arch9wavefront6targetE1EEEvSF_
		.amdhsa_group_segment_fixed_size 0
		.amdhsa_private_segment_fixed_size 0
		.amdhsa_kernarg_size 40
		.amdhsa_user_sgpr_count 6
		.amdhsa_user_sgpr_private_segment_buffer 1
		.amdhsa_user_sgpr_dispatch_ptr 0
		.amdhsa_user_sgpr_queue_ptr 0
		.amdhsa_user_sgpr_kernarg_segment_ptr 1
		.amdhsa_user_sgpr_dispatch_id 0
		.amdhsa_user_sgpr_flat_scratch_init 0
		.amdhsa_user_sgpr_kernarg_preload_length 0
		.amdhsa_user_sgpr_kernarg_preload_offset 0
		.amdhsa_user_sgpr_private_segment_size 0
		.amdhsa_uses_dynamic_stack 0
		.amdhsa_system_sgpr_private_segment_wavefront_offset 0
		.amdhsa_system_sgpr_workgroup_id_x 1
		.amdhsa_system_sgpr_workgroup_id_y 0
		.amdhsa_system_sgpr_workgroup_id_z 0
		.amdhsa_system_sgpr_workgroup_info 0
		.amdhsa_system_vgpr_workitem_id 0
		.amdhsa_next_free_vgpr 1
		.amdhsa_next_free_sgpr 0
		.amdhsa_accum_offset 4
		.amdhsa_reserve_vcc 0
		.amdhsa_reserve_flat_scratch 0
		.amdhsa_float_round_mode_32 0
		.amdhsa_float_round_mode_16_64 0
		.amdhsa_float_denorm_mode_32 3
		.amdhsa_float_denorm_mode_16_64 3
		.amdhsa_dx10_clamp 1
		.amdhsa_ieee_mode 1
		.amdhsa_fp16_overflow 0
		.amdhsa_tg_split 0
		.amdhsa_exception_fp_ieee_invalid_op 0
		.amdhsa_exception_fp_denorm_src 0
		.amdhsa_exception_fp_ieee_div_zero 0
		.amdhsa_exception_fp_ieee_overflow 0
		.amdhsa_exception_fp_ieee_underflow 0
		.amdhsa_exception_fp_ieee_inexact 0
		.amdhsa_exception_int_div_zero 0
	.end_amdhsa_kernel
	.section	.text._ZN7rocprim17ROCPRIM_400000_NS6detail17trampoline_kernelINS0_14default_configENS1_38merge_sort_block_merge_config_selectorIiNS0_10empty_typeEEEZZNS1_27merge_sort_block_merge_implIS3_PiPS5_jNS1_19radix_merge_compareILb0ELb0EiNS0_19identity_decomposerEEEEE10hipError_tT0_T1_T2_jT3_P12ihipStream_tbPNSt15iterator_traitsISE_E10value_typeEPNSK_ISF_E10value_typeEPSG_NS1_7vsmem_tEENKUlT_SE_SF_SG_E_clIS8_S8_S9_S9_EESD_ST_SE_SF_SG_EUlST_E_NS1_11comp_targetILNS1_3genE9ELNS1_11target_archE1100ELNS1_3gpuE3ELNS1_3repE0EEENS1_48merge_mergepath_partition_config_static_selectorELNS0_4arch9wavefront6targetE1EEEvSF_,"axG",@progbits,_ZN7rocprim17ROCPRIM_400000_NS6detail17trampoline_kernelINS0_14default_configENS1_38merge_sort_block_merge_config_selectorIiNS0_10empty_typeEEEZZNS1_27merge_sort_block_merge_implIS3_PiPS5_jNS1_19radix_merge_compareILb0ELb0EiNS0_19identity_decomposerEEEEE10hipError_tT0_T1_T2_jT3_P12ihipStream_tbPNSt15iterator_traitsISE_E10value_typeEPNSK_ISF_E10value_typeEPSG_NS1_7vsmem_tEENKUlT_SE_SF_SG_E_clIS8_S8_S9_S9_EESD_ST_SE_SF_SG_EUlST_E_NS1_11comp_targetILNS1_3genE9ELNS1_11target_archE1100ELNS1_3gpuE3ELNS1_3repE0EEENS1_48merge_mergepath_partition_config_static_selectorELNS0_4arch9wavefront6targetE1EEEvSF_,comdat
.Lfunc_end582:
	.size	_ZN7rocprim17ROCPRIM_400000_NS6detail17trampoline_kernelINS0_14default_configENS1_38merge_sort_block_merge_config_selectorIiNS0_10empty_typeEEEZZNS1_27merge_sort_block_merge_implIS3_PiPS5_jNS1_19radix_merge_compareILb0ELb0EiNS0_19identity_decomposerEEEEE10hipError_tT0_T1_T2_jT3_P12ihipStream_tbPNSt15iterator_traitsISE_E10value_typeEPNSK_ISF_E10value_typeEPSG_NS1_7vsmem_tEENKUlT_SE_SF_SG_E_clIS8_S8_S9_S9_EESD_ST_SE_SF_SG_EUlST_E_NS1_11comp_targetILNS1_3genE9ELNS1_11target_archE1100ELNS1_3gpuE3ELNS1_3repE0EEENS1_48merge_mergepath_partition_config_static_selectorELNS0_4arch9wavefront6targetE1EEEvSF_, .Lfunc_end582-_ZN7rocprim17ROCPRIM_400000_NS6detail17trampoline_kernelINS0_14default_configENS1_38merge_sort_block_merge_config_selectorIiNS0_10empty_typeEEEZZNS1_27merge_sort_block_merge_implIS3_PiPS5_jNS1_19radix_merge_compareILb0ELb0EiNS0_19identity_decomposerEEEEE10hipError_tT0_T1_T2_jT3_P12ihipStream_tbPNSt15iterator_traitsISE_E10value_typeEPNSK_ISF_E10value_typeEPSG_NS1_7vsmem_tEENKUlT_SE_SF_SG_E_clIS8_S8_S9_S9_EESD_ST_SE_SF_SG_EUlST_E_NS1_11comp_targetILNS1_3genE9ELNS1_11target_archE1100ELNS1_3gpuE3ELNS1_3repE0EEENS1_48merge_mergepath_partition_config_static_selectorELNS0_4arch9wavefront6targetE1EEEvSF_
                                        ; -- End function
	.section	.AMDGPU.csdata,"",@progbits
; Kernel info:
; codeLenInByte = 0
; NumSgprs: 4
; NumVgprs: 0
; NumAgprs: 0
; TotalNumVgprs: 0
; ScratchSize: 0
; MemoryBound: 0
; FloatMode: 240
; IeeeMode: 1
; LDSByteSize: 0 bytes/workgroup (compile time only)
; SGPRBlocks: 0
; VGPRBlocks: 0
; NumSGPRsForWavesPerEU: 4
; NumVGPRsForWavesPerEU: 1
; AccumOffset: 4
; Occupancy: 8
; WaveLimiterHint : 0
; COMPUTE_PGM_RSRC2:SCRATCH_EN: 0
; COMPUTE_PGM_RSRC2:USER_SGPR: 6
; COMPUTE_PGM_RSRC2:TRAP_HANDLER: 0
; COMPUTE_PGM_RSRC2:TGID_X_EN: 1
; COMPUTE_PGM_RSRC2:TGID_Y_EN: 0
; COMPUTE_PGM_RSRC2:TGID_Z_EN: 0
; COMPUTE_PGM_RSRC2:TIDIG_COMP_CNT: 0
; COMPUTE_PGM_RSRC3_GFX90A:ACCUM_OFFSET: 0
; COMPUTE_PGM_RSRC3_GFX90A:TG_SPLIT: 0
	.section	.text._ZN7rocprim17ROCPRIM_400000_NS6detail17trampoline_kernelINS0_14default_configENS1_38merge_sort_block_merge_config_selectorIiNS0_10empty_typeEEEZZNS1_27merge_sort_block_merge_implIS3_PiPS5_jNS1_19radix_merge_compareILb0ELb0EiNS0_19identity_decomposerEEEEE10hipError_tT0_T1_T2_jT3_P12ihipStream_tbPNSt15iterator_traitsISE_E10value_typeEPNSK_ISF_E10value_typeEPSG_NS1_7vsmem_tEENKUlT_SE_SF_SG_E_clIS8_S8_S9_S9_EESD_ST_SE_SF_SG_EUlST_E_NS1_11comp_targetILNS1_3genE8ELNS1_11target_archE1030ELNS1_3gpuE2ELNS1_3repE0EEENS1_48merge_mergepath_partition_config_static_selectorELNS0_4arch9wavefront6targetE1EEEvSF_,"axG",@progbits,_ZN7rocprim17ROCPRIM_400000_NS6detail17trampoline_kernelINS0_14default_configENS1_38merge_sort_block_merge_config_selectorIiNS0_10empty_typeEEEZZNS1_27merge_sort_block_merge_implIS3_PiPS5_jNS1_19radix_merge_compareILb0ELb0EiNS0_19identity_decomposerEEEEE10hipError_tT0_T1_T2_jT3_P12ihipStream_tbPNSt15iterator_traitsISE_E10value_typeEPNSK_ISF_E10value_typeEPSG_NS1_7vsmem_tEENKUlT_SE_SF_SG_E_clIS8_S8_S9_S9_EESD_ST_SE_SF_SG_EUlST_E_NS1_11comp_targetILNS1_3genE8ELNS1_11target_archE1030ELNS1_3gpuE2ELNS1_3repE0EEENS1_48merge_mergepath_partition_config_static_selectorELNS0_4arch9wavefront6targetE1EEEvSF_,comdat
	.protected	_ZN7rocprim17ROCPRIM_400000_NS6detail17trampoline_kernelINS0_14default_configENS1_38merge_sort_block_merge_config_selectorIiNS0_10empty_typeEEEZZNS1_27merge_sort_block_merge_implIS3_PiPS5_jNS1_19radix_merge_compareILb0ELb0EiNS0_19identity_decomposerEEEEE10hipError_tT0_T1_T2_jT3_P12ihipStream_tbPNSt15iterator_traitsISE_E10value_typeEPNSK_ISF_E10value_typeEPSG_NS1_7vsmem_tEENKUlT_SE_SF_SG_E_clIS8_S8_S9_S9_EESD_ST_SE_SF_SG_EUlST_E_NS1_11comp_targetILNS1_3genE8ELNS1_11target_archE1030ELNS1_3gpuE2ELNS1_3repE0EEENS1_48merge_mergepath_partition_config_static_selectorELNS0_4arch9wavefront6targetE1EEEvSF_ ; -- Begin function _ZN7rocprim17ROCPRIM_400000_NS6detail17trampoline_kernelINS0_14default_configENS1_38merge_sort_block_merge_config_selectorIiNS0_10empty_typeEEEZZNS1_27merge_sort_block_merge_implIS3_PiPS5_jNS1_19radix_merge_compareILb0ELb0EiNS0_19identity_decomposerEEEEE10hipError_tT0_T1_T2_jT3_P12ihipStream_tbPNSt15iterator_traitsISE_E10value_typeEPNSK_ISF_E10value_typeEPSG_NS1_7vsmem_tEENKUlT_SE_SF_SG_E_clIS8_S8_S9_S9_EESD_ST_SE_SF_SG_EUlST_E_NS1_11comp_targetILNS1_3genE8ELNS1_11target_archE1030ELNS1_3gpuE2ELNS1_3repE0EEENS1_48merge_mergepath_partition_config_static_selectorELNS0_4arch9wavefront6targetE1EEEvSF_
	.globl	_ZN7rocprim17ROCPRIM_400000_NS6detail17trampoline_kernelINS0_14default_configENS1_38merge_sort_block_merge_config_selectorIiNS0_10empty_typeEEEZZNS1_27merge_sort_block_merge_implIS3_PiPS5_jNS1_19radix_merge_compareILb0ELb0EiNS0_19identity_decomposerEEEEE10hipError_tT0_T1_T2_jT3_P12ihipStream_tbPNSt15iterator_traitsISE_E10value_typeEPNSK_ISF_E10value_typeEPSG_NS1_7vsmem_tEENKUlT_SE_SF_SG_E_clIS8_S8_S9_S9_EESD_ST_SE_SF_SG_EUlST_E_NS1_11comp_targetILNS1_3genE8ELNS1_11target_archE1030ELNS1_3gpuE2ELNS1_3repE0EEENS1_48merge_mergepath_partition_config_static_selectorELNS0_4arch9wavefront6targetE1EEEvSF_
	.p2align	8
	.type	_ZN7rocprim17ROCPRIM_400000_NS6detail17trampoline_kernelINS0_14default_configENS1_38merge_sort_block_merge_config_selectorIiNS0_10empty_typeEEEZZNS1_27merge_sort_block_merge_implIS3_PiPS5_jNS1_19radix_merge_compareILb0ELb0EiNS0_19identity_decomposerEEEEE10hipError_tT0_T1_T2_jT3_P12ihipStream_tbPNSt15iterator_traitsISE_E10value_typeEPNSK_ISF_E10value_typeEPSG_NS1_7vsmem_tEENKUlT_SE_SF_SG_E_clIS8_S8_S9_S9_EESD_ST_SE_SF_SG_EUlST_E_NS1_11comp_targetILNS1_3genE8ELNS1_11target_archE1030ELNS1_3gpuE2ELNS1_3repE0EEENS1_48merge_mergepath_partition_config_static_selectorELNS0_4arch9wavefront6targetE1EEEvSF_,@function
_ZN7rocprim17ROCPRIM_400000_NS6detail17trampoline_kernelINS0_14default_configENS1_38merge_sort_block_merge_config_selectorIiNS0_10empty_typeEEEZZNS1_27merge_sort_block_merge_implIS3_PiPS5_jNS1_19radix_merge_compareILb0ELb0EiNS0_19identity_decomposerEEEEE10hipError_tT0_T1_T2_jT3_P12ihipStream_tbPNSt15iterator_traitsISE_E10value_typeEPNSK_ISF_E10value_typeEPSG_NS1_7vsmem_tEENKUlT_SE_SF_SG_E_clIS8_S8_S9_S9_EESD_ST_SE_SF_SG_EUlST_E_NS1_11comp_targetILNS1_3genE8ELNS1_11target_archE1030ELNS1_3gpuE2ELNS1_3repE0EEENS1_48merge_mergepath_partition_config_static_selectorELNS0_4arch9wavefront6targetE1EEEvSF_: ; @_ZN7rocprim17ROCPRIM_400000_NS6detail17trampoline_kernelINS0_14default_configENS1_38merge_sort_block_merge_config_selectorIiNS0_10empty_typeEEEZZNS1_27merge_sort_block_merge_implIS3_PiPS5_jNS1_19radix_merge_compareILb0ELb0EiNS0_19identity_decomposerEEEEE10hipError_tT0_T1_T2_jT3_P12ihipStream_tbPNSt15iterator_traitsISE_E10value_typeEPNSK_ISF_E10value_typeEPSG_NS1_7vsmem_tEENKUlT_SE_SF_SG_E_clIS8_S8_S9_S9_EESD_ST_SE_SF_SG_EUlST_E_NS1_11comp_targetILNS1_3genE8ELNS1_11target_archE1030ELNS1_3gpuE2ELNS1_3repE0EEENS1_48merge_mergepath_partition_config_static_selectorELNS0_4arch9wavefront6targetE1EEEvSF_
; %bb.0:
	.section	.rodata,"a",@progbits
	.p2align	6, 0x0
	.amdhsa_kernel _ZN7rocprim17ROCPRIM_400000_NS6detail17trampoline_kernelINS0_14default_configENS1_38merge_sort_block_merge_config_selectorIiNS0_10empty_typeEEEZZNS1_27merge_sort_block_merge_implIS3_PiPS5_jNS1_19radix_merge_compareILb0ELb0EiNS0_19identity_decomposerEEEEE10hipError_tT0_T1_T2_jT3_P12ihipStream_tbPNSt15iterator_traitsISE_E10value_typeEPNSK_ISF_E10value_typeEPSG_NS1_7vsmem_tEENKUlT_SE_SF_SG_E_clIS8_S8_S9_S9_EESD_ST_SE_SF_SG_EUlST_E_NS1_11comp_targetILNS1_3genE8ELNS1_11target_archE1030ELNS1_3gpuE2ELNS1_3repE0EEENS1_48merge_mergepath_partition_config_static_selectorELNS0_4arch9wavefront6targetE1EEEvSF_
		.amdhsa_group_segment_fixed_size 0
		.amdhsa_private_segment_fixed_size 0
		.amdhsa_kernarg_size 40
		.amdhsa_user_sgpr_count 6
		.amdhsa_user_sgpr_private_segment_buffer 1
		.amdhsa_user_sgpr_dispatch_ptr 0
		.amdhsa_user_sgpr_queue_ptr 0
		.amdhsa_user_sgpr_kernarg_segment_ptr 1
		.amdhsa_user_sgpr_dispatch_id 0
		.amdhsa_user_sgpr_flat_scratch_init 0
		.amdhsa_user_sgpr_kernarg_preload_length 0
		.amdhsa_user_sgpr_kernarg_preload_offset 0
		.amdhsa_user_sgpr_private_segment_size 0
		.amdhsa_uses_dynamic_stack 0
		.amdhsa_system_sgpr_private_segment_wavefront_offset 0
		.amdhsa_system_sgpr_workgroup_id_x 1
		.amdhsa_system_sgpr_workgroup_id_y 0
		.amdhsa_system_sgpr_workgroup_id_z 0
		.amdhsa_system_sgpr_workgroup_info 0
		.amdhsa_system_vgpr_workitem_id 0
		.amdhsa_next_free_vgpr 1
		.amdhsa_next_free_sgpr 0
		.amdhsa_accum_offset 4
		.amdhsa_reserve_vcc 0
		.amdhsa_reserve_flat_scratch 0
		.amdhsa_float_round_mode_32 0
		.amdhsa_float_round_mode_16_64 0
		.amdhsa_float_denorm_mode_32 3
		.amdhsa_float_denorm_mode_16_64 3
		.amdhsa_dx10_clamp 1
		.amdhsa_ieee_mode 1
		.amdhsa_fp16_overflow 0
		.amdhsa_tg_split 0
		.amdhsa_exception_fp_ieee_invalid_op 0
		.amdhsa_exception_fp_denorm_src 0
		.amdhsa_exception_fp_ieee_div_zero 0
		.amdhsa_exception_fp_ieee_overflow 0
		.amdhsa_exception_fp_ieee_underflow 0
		.amdhsa_exception_fp_ieee_inexact 0
		.amdhsa_exception_int_div_zero 0
	.end_amdhsa_kernel
	.section	.text._ZN7rocprim17ROCPRIM_400000_NS6detail17trampoline_kernelINS0_14default_configENS1_38merge_sort_block_merge_config_selectorIiNS0_10empty_typeEEEZZNS1_27merge_sort_block_merge_implIS3_PiPS5_jNS1_19radix_merge_compareILb0ELb0EiNS0_19identity_decomposerEEEEE10hipError_tT0_T1_T2_jT3_P12ihipStream_tbPNSt15iterator_traitsISE_E10value_typeEPNSK_ISF_E10value_typeEPSG_NS1_7vsmem_tEENKUlT_SE_SF_SG_E_clIS8_S8_S9_S9_EESD_ST_SE_SF_SG_EUlST_E_NS1_11comp_targetILNS1_3genE8ELNS1_11target_archE1030ELNS1_3gpuE2ELNS1_3repE0EEENS1_48merge_mergepath_partition_config_static_selectorELNS0_4arch9wavefront6targetE1EEEvSF_,"axG",@progbits,_ZN7rocprim17ROCPRIM_400000_NS6detail17trampoline_kernelINS0_14default_configENS1_38merge_sort_block_merge_config_selectorIiNS0_10empty_typeEEEZZNS1_27merge_sort_block_merge_implIS3_PiPS5_jNS1_19radix_merge_compareILb0ELb0EiNS0_19identity_decomposerEEEEE10hipError_tT0_T1_T2_jT3_P12ihipStream_tbPNSt15iterator_traitsISE_E10value_typeEPNSK_ISF_E10value_typeEPSG_NS1_7vsmem_tEENKUlT_SE_SF_SG_E_clIS8_S8_S9_S9_EESD_ST_SE_SF_SG_EUlST_E_NS1_11comp_targetILNS1_3genE8ELNS1_11target_archE1030ELNS1_3gpuE2ELNS1_3repE0EEENS1_48merge_mergepath_partition_config_static_selectorELNS0_4arch9wavefront6targetE1EEEvSF_,comdat
.Lfunc_end583:
	.size	_ZN7rocprim17ROCPRIM_400000_NS6detail17trampoline_kernelINS0_14default_configENS1_38merge_sort_block_merge_config_selectorIiNS0_10empty_typeEEEZZNS1_27merge_sort_block_merge_implIS3_PiPS5_jNS1_19radix_merge_compareILb0ELb0EiNS0_19identity_decomposerEEEEE10hipError_tT0_T1_T2_jT3_P12ihipStream_tbPNSt15iterator_traitsISE_E10value_typeEPNSK_ISF_E10value_typeEPSG_NS1_7vsmem_tEENKUlT_SE_SF_SG_E_clIS8_S8_S9_S9_EESD_ST_SE_SF_SG_EUlST_E_NS1_11comp_targetILNS1_3genE8ELNS1_11target_archE1030ELNS1_3gpuE2ELNS1_3repE0EEENS1_48merge_mergepath_partition_config_static_selectorELNS0_4arch9wavefront6targetE1EEEvSF_, .Lfunc_end583-_ZN7rocprim17ROCPRIM_400000_NS6detail17trampoline_kernelINS0_14default_configENS1_38merge_sort_block_merge_config_selectorIiNS0_10empty_typeEEEZZNS1_27merge_sort_block_merge_implIS3_PiPS5_jNS1_19radix_merge_compareILb0ELb0EiNS0_19identity_decomposerEEEEE10hipError_tT0_T1_T2_jT3_P12ihipStream_tbPNSt15iterator_traitsISE_E10value_typeEPNSK_ISF_E10value_typeEPSG_NS1_7vsmem_tEENKUlT_SE_SF_SG_E_clIS8_S8_S9_S9_EESD_ST_SE_SF_SG_EUlST_E_NS1_11comp_targetILNS1_3genE8ELNS1_11target_archE1030ELNS1_3gpuE2ELNS1_3repE0EEENS1_48merge_mergepath_partition_config_static_selectorELNS0_4arch9wavefront6targetE1EEEvSF_
                                        ; -- End function
	.section	.AMDGPU.csdata,"",@progbits
; Kernel info:
; codeLenInByte = 0
; NumSgprs: 4
; NumVgprs: 0
; NumAgprs: 0
; TotalNumVgprs: 0
; ScratchSize: 0
; MemoryBound: 0
; FloatMode: 240
; IeeeMode: 1
; LDSByteSize: 0 bytes/workgroup (compile time only)
; SGPRBlocks: 0
; VGPRBlocks: 0
; NumSGPRsForWavesPerEU: 4
; NumVGPRsForWavesPerEU: 1
; AccumOffset: 4
; Occupancy: 8
; WaveLimiterHint : 0
; COMPUTE_PGM_RSRC2:SCRATCH_EN: 0
; COMPUTE_PGM_RSRC2:USER_SGPR: 6
; COMPUTE_PGM_RSRC2:TRAP_HANDLER: 0
; COMPUTE_PGM_RSRC2:TGID_X_EN: 1
; COMPUTE_PGM_RSRC2:TGID_Y_EN: 0
; COMPUTE_PGM_RSRC2:TGID_Z_EN: 0
; COMPUTE_PGM_RSRC2:TIDIG_COMP_CNT: 0
; COMPUTE_PGM_RSRC3_GFX90A:ACCUM_OFFSET: 0
; COMPUTE_PGM_RSRC3_GFX90A:TG_SPLIT: 0
	.section	.text._ZN7rocprim17ROCPRIM_400000_NS6detail17trampoline_kernelINS0_14default_configENS1_38merge_sort_block_merge_config_selectorIiNS0_10empty_typeEEEZZNS1_27merge_sort_block_merge_implIS3_PiPS5_jNS1_19radix_merge_compareILb0ELb0EiNS0_19identity_decomposerEEEEE10hipError_tT0_T1_T2_jT3_P12ihipStream_tbPNSt15iterator_traitsISE_E10value_typeEPNSK_ISF_E10value_typeEPSG_NS1_7vsmem_tEENKUlT_SE_SF_SG_E_clIS8_S8_S9_S9_EESD_ST_SE_SF_SG_EUlST_E0_NS1_11comp_targetILNS1_3genE0ELNS1_11target_archE4294967295ELNS1_3gpuE0ELNS1_3repE0EEENS1_38merge_mergepath_config_static_selectorELNS0_4arch9wavefront6targetE1EEEvSF_,"axG",@progbits,_ZN7rocprim17ROCPRIM_400000_NS6detail17trampoline_kernelINS0_14default_configENS1_38merge_sort_block_merge_config_selectorIiNS0_10empty_typeEEEZZNS1_27merge_sort_block_merge_implIS3_PiPS5_jNS1_19radix_merge_compareILb0ELb0EiNS0_19identity_decomposerEEEEE10hipError_tT0_T1_T2_jT3_P12ihipStream_tbPNSt15iterator_traitsISE_E10value_typeEPNSK_ISF_E10value_typeEPSG_NS1_7vsmem_tEENKUlT_SE_SF_SG_E_clIS8_S8_S9_S9_EESD_ST_SE_SF_SG_EUlST_E0_NS1_11comp_targetILNS1_3genE0ELNS1_11target_archE4294967295ELNS1_3gpuE0ELNS1_3repE0EEENS1_38merge_mergepath_config_static_selectorELNS0_4arch9wavefront6targetE1EEEvSF_,comdat
	.protected	_ZN7rocprim17ROCPRIM_400000_NS6detail17trampoline_kernelINS0_14default_configENS1_38merge_sort_block_merge_config_selectorIiNS0_10empty_typeEEEZZNS1_27merge_sort_block_merge_implIS3_PiPS5_jNS1_19radix_merge_compareILb0ELb0EiNS0_19identity_decomposerEEEEE10hipError_tT0_T1_T2_jT3_P12ihipStream_tbPNSt15iterator_traitsISE_E10value_typeEPNSK_ISF_E10value_typeEPSG_NS1_7vsmem_tEENKUlT_SE_SF_SG_E_clIS8_S8_S9_S9_EESD_ST_SE_SF_SG_EUlST_E0_NS1_11comp_targetILNS1_3genE0ELNS1_11target_archE4294967295ELNS1_3gpuE0ELNS1_3repE0EEENS1_38merge_mergepath_config_static_selectorELNS0_4arch9wavefront6targetE1EEEvSF_ ; -- Begin function _ZN7rocprim17ROCPRIM_400000_NS6detail17trampoline_kernelINS0_14default_configENS1_38merge_sort_block_merge_config_selectorIiNS0_10empty_typeEEEZZNS1_27merge_sort_block_merge_implIS3_PiPS5_jNS1_19radix_merge_compareILb0ELb0EiNS0_19identity_decomposerEEEEE10hipError_tT0_T1_T2_jT3_P12ihipStream_tbPNSt15iterator_traitsISE_E10value_typeEPNSK_ISF_E10value_typeEPSG_NS1_7vsmem_tEENKUlT_SE_SF_SG_E_clIS8_S8_S9_S9_EESD_ST_SE_SF_SG_EUlST_E0_NS1_11comp_targetILNS1_3genE0ELNS1_11target_archE4294967295ELNS1_3gpuE0ELNS1_3repE0EEENS1_38merge_mergepath_config_static_selectorELNS0_4arch9wavefront6targetE1EEEvSF_
	.globl	_ZN7rocprim17ROCPRIM_400000_NS6detail17trampoline_kernelINS0_14default_configENS1_38merge_sort_block_merge_config_selectorIiNS0_10empty_typeEEEZZNS1_27merge_sort_block_merge_implIS3_PiPS5_jNS1_19radix_merge_compareILb0ELb0EiNS0_19identity_decomposerEEEEE10hipError_tT0_T1_T2_jT3_P12ihipStream_tbPNSt15iterator_traitsISE_E10value_typeEPNSK_ISF_E10value_typeEPSG_NS1_7vsmem_tEENKUlT_SE_SF_SG_E_clIS8_S8_S9_S9_EESD_ST_SE_SF_SG_EUlST_E0_NS1_11comp_targetILNS1_3genE0ELNS1_11target_archE4294967295ELNS1_3gpuE0ELNS1_3repE0EEENS1_38merge_mergepath_config_static_selectorELNS0_4arch9wavefront6targetE1EEEvSF_
	.p2align	8
	.type	_ZN7rocprim17ROCPRIM_400000_NS6detail17trampoline_kernelINS0_14default_configENS1_38merge_sort_block_merge_config_selectorIiNS0_10empty_typeEEEZZNS1_27merge_sort_block_merge_implIS3_PiPS5_jNS1_19radix_merge_compareILb0ELb0EiNS0_19identity_decomposerEEEEE10hipError_tT0_T1_T2_jT3_P12ihipStream_tbPNSt15iterator_traitsISE_E10value_typeEPNSK_ISF_E10value_typeEPSG_NS1_7vsmem_tEENKUlT_SE_SF_SG_E_clIS8_S8_S9_S9_EESD_ST_SE_SF_SG_EUlST_E0_NS1_11comp_targetILNS1_3genE0ELNS1_11target_archE4294967295ELNS1_3gpuE0ELNS1_3repE0EEENS1_38merge_mergepath_config_static_selectorELNS0_4arch9wavefront6targetE1EEEvSF_,@function
_ZN7rocprim17ROCPRIM_400000_NS6detail17trampoline_kernelINS0_14default_configENS1_38merge_sort_block_merge_config_selectorIiNS0_10empty_typeEEEZZNS1_27merge_sort_block_merge_implIS3_PiPS5_jNS1_19radix_merge_compareILb0ELb0EiNS0_19identity_decomposerEEEEE10hipError_tT0_T1_T2_jT3_P12ihipStream_tbPNSt15iterator_traitsISE_E10value_typeEPNSK_ISF_E10value_typeEPSG_NS1_7vsmem_tEENKUlT_SE_SF_SG_E_clIS8_S8_S9_S9_EESD_ST_SE_SF_SG_EUlST_E0_NS1_11comp_targetILNS1_3genE0ELNS1_11target_archE4294967295ELNS1_3gpuE0ELNS1_3repE0EEENS1_38merge_mergepath_config_static_selectorELNS0_4arch9wavefront6targetE1EEEvSF_: ; @_ZN7rocprim17ROCPRIM_400000_NS6detail17trampoline_kernelINS0_14default_configENS1_38merge_sort_block_merge_config_selectorIiNS0_10empty_typeEEEZZNS1_27merge_sort_block_merge_implIS3_PiPS5_jNS1_19radix_merge_compareILb0ELb0EiNS0_19identity_decomposerEEEEE10hipError_tT0_T1_T2_jT3_P12ihipStream_tbPNSt15iterator_traitsISE_E10value_typeEPNSK_ISF_E10value_typeEPSG_NS1_7vsmem_tEENKUlT_SE_SF_SG_E_clIS8_S8_S9_S9_EESD_ST_SE_SF_SG_EUlST_E0_NS1_11comp_targetILNS1_3genE0ELNS1_11target_archE4294967295ELNS1_3gpuE0ELNS1_3repE0EEENS1_38merge_mergepath_config_static_selectorELNS0_4arch9wavefront6targetE1EEEvSF_
; %bb.0:
	.section	.rodata,"a",@progbits
	.p2align	6, 0x0
	.amdhsa_kernel _ZN7rocprim17ROCPRIM_400000_NS6detail17trampoline_kernelINS0_14default_configENS1_38merge_sort_block_merge_config_selectorIiNS0_10empty_typeEEEZZNS1_27merge_sort_block_merge_implIS3_PiPS5_jNS1_19radix_merge_compareILb0ELb0EiNS0_19identity_decomposerEEEEE10hipError_tT0_T1_T2_jT3_P12ihipStream_tbPNSt15iterator_traitsISE_E10value_typeEPNSK_ISF_E10value_typeEPSG_NS1_7vsmem_tEENKUlT_SE_SF_SG_E_clIS8_S8_S9_S9_EESD_ST_SE_SF_SG_EUlST_E0_NS1_11comp_targetILNS1_3genE0ELNS1_11target_archE4294967295ELNS1_3gpuE0ELNS1_3repE0EEENS1_38merge_mergepath_config_static_selectorELNS0_4arch9wavefront6targetE1EEEvSF_
		.amdhsa_group_segment_fixed_size 0
		.amdhsa_private_segment_fixed_size 0
		.amdhsa_kernarg_size 64
		.amdhsa_user_sgpr_count 6
		.amdhsa_user_sgpr_private_segment_buffer 1
		.amdhsa_user_sgpr_dispatch_ptr 0
		.amdhsa_user_sgpr_queue_ptr 0
		.amdhsa_user_sgpr_kernarg_segment_ptr 1
		.amdhsa_user_sgpr_dispatch_id 0
		.amdhsa_user_sgpr_flat_scratch_init 0
		.amdhsa_user_sgpr_kernarg_preload_length 0
		.amdhsa_user_sgpr_kernarg_preload_offset 0
		.amdhsa_user_sgpr_private_segment_size 0
		.amdhsa_uses_dynamic_stack 0
		.amdhsa_system_sgpr_private_segment_wavefront_offset 0
		.amdhsa_system_sgpr_workgroup_id_x 1
		.amdhsa_system_sgpr_workgroup_id_y 0
		.amdhsa_system_sgpr_workgroup_id_z 0
		.amdhsa_system_sgpr_workgroup_info 0
		.amdhsa_system_vgpr_workitem_id 0
		.amdhsa_next_free_vgpr 1
		.amdhsa_next_free_sgpr 0
		.amdhsa_accum_offset 4
		.amdhsa_reserve_vcc 0
		.amdhsa_reserve_flat_scratch 0
		.amdhsa_float_round_mode_32 0
		.amdhsa_float_round_mode_16_64 0
		.amdhsa_float_denorm_mode_32 3
		.amdhsa_float_denorm_mode_16_64 3
		.amdhsa_dx10_clamp 1
		.amdhsa_ieee_mode 1
		.amdhsa_fp16_overflow 0
		.amdhsa_tg_split 0
		.amdhsa_exception_fp_ieee_invalid_op 0
		.amdhsa_exception_fp_denorm_src 0
		.amdhsa_exception_fp_ieee_div_zero 0
		.amdhsa_exception_fp_ieee_overflow 0
		.amdhsa_exception_fp_ieee_underflow 0
		.amdhsa_exception_fp_ieee_inexact 0
		.amdhsa_exception_int_div_zero 0
	.end_amdhsa_kernel
	.section	.text._ZN7rocprim17ROCPRIM_400000_NS6detail17trampoline_kernelINS0_14default_configENS1_38merge_sort_block_merge_config_selectorIiNS0_10empty_typeEEEZZNS1_27merge_sort_block_merge_implIS3_PiPS5_jNS1_19radix_merge_compareILb0ELb0EiNS0_19identity_decomposerEEEEE10hipError_tT0_T1_T2_jT3_P12ihipStream_tbPNSt15iterator_traitsISE_E10value_typeEPNSK_ISF_E10value_typeEPSG_NS1_7vsmem_tEENKUlT_SE_SF_SG_E_clIS8_S8_S9_S9_EESD_ST_SE_SF_SG_EUlST_E0_NS1_11comp_targetILNS1_3genE0ELNS1_11target_archE4294967295ELNS1_3gpuE0ELNS1_3repE0EEENS1_38merge_mergepath_config_static_selectorELNS0_4arch9wavefront6targetE1EEEvSF_,"axG",@progbits,_ZN7rocprim17ROCPRIM_400000_NS6detail17trampoline_kernelINS0_14default_configENS1_38merge_sort_block_merge_config_selectorIiNS0_10empty_typeEEEZZNS1_27merge_sort_block_merge_implIS3_PiPS5_jNS1_19radix_merge_compareILb0ELb0EiNS0_19identity_decomposerEEEEE10hipError_tT0_T1_T2_jT3_P12ihipStream_tbPNSt15iterator_traitsISE_E10value_typeEPNSK_ISF_E10value_typeEPSG_NS1_7vsmem_tEENKUlT_SE_SF_SG_E_clIS8_S8_S9_S9_EESD_ST_SE_SF_SG_EUlST_E0_NS1_11comp_targetILNS1_3genE0ELNS1_11target_archE4294967295ELNS1_3gpuE0ELNS1_3repE0EEENS1_38merge_mergepath_config_static_selectorELNS0_4arch9wavefront6targetE1EEEvSF_,comdat
.Lfunc_end584:
	.size	_ZN7rocprim17ROCPRIM_400000_NS6detail17trampoline_kernelINS0_14default_configENS1_38merge_sort_block_merge_config_selectorIiNS0_10empty_typeEEEZZNS1_27merge_sort_block_merge_implIS3_PiPS5_jNS1_19radix_merge_compareILb0ELb0EiNS0_19identity_decomposerEEEEE10hipError_tT0_T1_T2_jT3_P12ihipStream_tbPNSt15iterator_traitsISE_E10value_typeEPNSK_ISF_E10value_typeEPSG_NS1_7vsmem_tEENKUlT_SE_SF_SG_E_clIS8_S8_S9_S9_EESD_ST_SE_SF_SG_EUlST_E0_NS1_11comp_targetILNS1_3genE0ELNS1_11target_archE4294967295ELNS1_3gpuE0ELNS1_3repE0EEENS1_38merge_mergepath_config_static_selectorELNS0_4arch9wavefront6targetE1EEEvSF_, .Lfunc_end584-_ZN7rocprim17ROCPRIM_400000_NS6detail17trampoline_kernelINS0_14default_configENS1_38merge_sort_block_merge_config_selectorIiNS0_10empty_typeEEEZZNS1_27merge_sort_block_merge_implIS3_PiPS5_jNS1_19radix_merge_compareILb0ELb0EiNS0_19identity_decomposerEEEEE10hipError_tT0_T1_T2_jT3_P12ihipStream_tbPNSt15iterator_traitsISE_E10value_typeEPNSK_ISF_E10value_typeEPSG_NS1_7vsmem_tEENKUlT_SE_SF_SG_E_clIS8_S8_S9_S9_EESD_ST_SE_SF_SG_EUlST_E0_NS1_11comp_targetILNS1_3genE0ELNS1_11target_archE4294967295ELNS1_3gpuE0ELNS1_3repE0EEENS1_38merge_mergepath_config_static_selectorELNS0_4arch9wavefront6targetE1EEEvSF_
                                        ; -- End function
	.section	.AMDGPU.csdata,"",@progbits
; Kernel info:
; codeLenInByte = 0
; NumSgprs: 4
; NumVgprs: 0
; NumAgprs: 0
; TotalNumVgprs: 0
; ScratchSize: 0
; MemoryBound: 0
; FloatMode: 240
; IeeeMode: 1
; LDSByteSize: 0 bytes/workgroup (compile time only)
; SGPRBlocks: 0
; VGPRBlocks: 0
; NumSGPRsForWavesPerEU: 4
; NumVGPRsForWavesPerEU: 1
; AccumOffset: 4
; Occupancy: 8
; WaveLimiterHint : 0
; COMPUTE_PGM_RSRC2:SCRATCH_EN: 0
; COMPUTE_PGM_RSRC2:USER_SGPR: 6
; COMPUTE_PGM_RSRC2:TRAP_HANDLER: 0
; COMPUTE_PGM_RSRC2:TGID_X_EN: 1
; COMPUTE_PGM_RSRC2:TGID_Y_EN: 0
; COMPUTE_PGM_RSRC2:TGID_Z_EN: 0
; COMPUTE_PGM_RSRC2:TIDIG_COMP_CNT: 0
; COMPUTE_PGM_RSRC3_GFX90A:ACCUM_OFFSET: 0
; COMPUTE_PGM_RSRC3_GFX90A:TG_SPLIT: 0
	.section	.text._ZN7rocprim17ROCPRIM_400000_NS6detail17trampoline_kernelINS0_14default_configENS1_38merge_sort_block_merge_config_selectorIiNS0_10empty_typeEEEZZNS1_27merge_sort_block_merge_implIS3_PiPS5_jNS1_19radix_merge_compareILb0ELb0EiNS0_19identity_decomposerEEEEE10hipError_tT0_T1_T2_jT3_P12ihipStream_tbPNSt15iterator_traitsISE_E10value_typeEPNSK_ISF_E10value_typeEPSG_NS1_7vsmem_tEENKUlT_SE_SF_SG_E_clIS8_S8_S9_S9_EESD_ST_SE_SF_SG_EUlST_E0_NS1_11comp_targetILNS1_3genE10ELNS1_11target_archE1201ELNS1_3gpuE5ELNS1_3repE0EEENS1_38merge_mergepath_config_static_selectorELNS0_4arch9wavefront6targetE1EEEvSF_,"axG",@progbits,_ZN7rocprim17ROCPRIM_400000_NS6detail17trampoline_kernelINS0_14default_configENS1_38merge_sort_block_merge_config_selectorIiNS0_10empty_typeEEEZZNS1_27merge_sort_block_merge_implIS3_PiPS5_jNS1_19radix_merge_compareILb0ELb0EiNS0_19identity_decomposerEEEEE10hipError_tT0_T1_T2_jT3_P12ihipStream_tbPNSt15iterator_traitsISE_E10value_typeEPNSK_ISF_E10value_typeEPSG_NS1_7vsmem_tEENKUlT_SE_SF_SG_E_clIS8_S8_S9_S9_EESD_ST_SE_SF_SG_EUlST_E0_NS1_11comp_targetILNS1_3genE10ELNS1_11target_archE1201ELNS1_3gpuE5ELNS1_3repE0EEENS1_38merge_mergepath_config_static_selectorELNS0_4arch9wavefront6targetE1EEEvSF_,comdat
	.protected	_ZN7rocprim17ROCPRIM_400000_NS6detail17trampoline_kernelINS0_14default_configENS1_38merge_sort_block_merge_config_selectorIiNS0_10empty_typeEEEZZNS1_27merge_sort_block_merge_implIS3_PiPS5_jNS1_19radix_merge_compareILb0ELb0EiNS0_19identity_decomposerEEEEE10hipError_tT0_T1_T2_jT3_P12ihipStream_tbPNSt15iterator_traitsISE_E10value_typeEPNSK_ISF_E10value_typeEPSG_NS1_7vsmem_tEENKUlT_SE_SF_SG_E_clIS8_S8_S9_S9_EESD_ST_SE_SF_SG_EUlST_E0_NS1_11comp_targetILNS1_3genE10ELNS1_11target_archE1201ELNS1_3gpuE5ELNS1_3repE0EEENS1_38merge_mergepath_config_static_selectorELNS0_4arch9wavefront6targetE1EEEvSF_ ; -- Begin function _ZN7rocprim17ROCPRIM_400000_NS6detail17trampoline_kernelINS0_14default_configENS1_38merge_sort_block_merge_config_selectorIiNS0_10empty_typeEEEZZNS1_27merge_sort_block_merge_implIS3_PiPS5_jNS1_19radix_merge_compareILb0ELb0EiNS0_19identity_decomposerEEEEE10hipError_tT0_T1_T2_jT3_P12ihipStream_tbPNSt15iterator_traitsISE_E10value_typeEPNSK_ISF_E10value_typeEPSG_NS1_7vsmem_tEENKUlT_SE_SF_SG_E_clIS8_S8_S9_S9_EESD_ST_SE_SF_SG_EUlST_E0_NS1_11comp_targetILNS1_3genE10ELNS1_11target_archE1201ELNS1_3gpuE5ELNS1_3repE0EEENS1_38merge_mergepath_config_static_selectorELNS0_4arch9wavefront6targetE1EEEvSF_
	.globl	_ZN7rocprim17ROCPRIM_400000_NS6detail17trampoline_kernelINS0_14default_configENS1_38merge_sort_block_merge_config_selectorIiNS0_10empty_typeEEEZZNS1_27merge_sort_block_merge_implIS3_PiPS5_jNS1_19radix_merge_compareILb0ELb0EiNS0_19identity_decomposerEEEEE10hipError_tT0_T1_T2_jT3_P12ihipStream_tbPNSt15iterator_traitsISE_E10value_typeEPNSK_ISF_E10value_typeEPSG_NS1_7vsmem_tEENKUlT_SE_SF_SG_E_clIS8_S8_S9_S9_EESD_ST_SE_SF_SG_EUlST_E0_NS1_11comp_targetILNS1_3genE10ELNS1_11target_archE1201ELNS1_3gpuE5ELNS1_3repE0EEENS1_38merge_mergepath_config_static_selectorELNS0_4arch9wavefront6targetE1EEEvSF_
	.p2align	8
	.type	_ZN7rocprim17ROCPRIM_400000_NS6detail17trampoline_kernelINS0_14default_configENS1_38merge_sort_block_merge_config_selectorIiNS0_10empty_typeEEEZZNS1_27merge_sort_block_merge_implIS3_PiPS5_jNS1_19radix_merge_compareILb0ELb0EiNS0_19identity_decomposerEEEEE10hipError_tT0_T1_T2_jT3_P12ihipStream_tbPNSt15iterator_traitsISE_E10value_typeEPNSK_ISF_E10value_typeEPSG_NS1_7vsmem_tEENKUlT_SE_SF_SG_E_clIS8_S8_S9_S9_EESD_ST_SE_SF_SG_EUlST_E0_NS1_11comp_targetILNS1_3genE10ELNS1_11target_archE1201ELNS1_3gpuE5ELNS1_3repE0EEENS1_38merge_mergepath_config_static_selectorELNS0_4arch9wavefront6targetE1EEEvSF_,@function
_ZN7rocprim17ROCPRIM_400000_NS6detail17trampoline_kernelINS0_14default_configENS1_38merge_sort_block_merge_config_selectorIiNS0_10empty_typeEEEZZNS1_27merge_sort_block_merge_implIS3_PiPS5_jNS1_19radix_merge_compareILb0ELb0EiNS0_19identity_decomposerEEEEE10hipError_tT0_T1_T2_jT3_P12ihipStream_tbPNSt15iterator_traitsISE_E10value_typeEPNSK_ISF_E10value_typeEPSG_NS1_7vsmem_tEENKUlT_SE_SF_SG_E_clIS8_S8_S9_S9_EESD_ST_SE_SF_SG_EUlST_E0_NS1_11comp_targetILNS1_3genE10ELNS1_11target_archE1201ELNS1_3gpuE5ELNS1_3repE0EEENS1_38merge_mergepath_config_static_selectorELNS0_4arch9wavefront6targetE1EEEvSF_: ; @_ZN7rocprim17ROCPRIM_400000_NS6detail17trampoline_kernelINS0_14default_configENS1_38merge_sort_block_merge_config_selectorIiNS0_10empty_typeEEEZZNS1_27merge_sort_block_merge_implIS3_PiPS5_jNS1_19radix_merge_compareILb0ELb0EiNS0_19identity_decomposerEEEEE10hipError_tT0_T1_T2_jT3_P12ihipStream_tbPNSt15iterator_traitsISE_E10value_typeEPNSK_ISF_E10value_typeEPSG_NS1_7vsmem_tEENKUlT_SE_SF_SG_E_clIS8_S8_S9_S9_EESD_ST_SE_SF_SG_EUlST_E0_NS1_11comp_targetILNS1_3genE10ELNS1_11target_archE1201ELNS1_3gpuE5ELNS1_3repE0EEENS1_38merge_mergepath_config_static_selectorELNS0_4arch9wavefront6targetE1EEEvSF_
; %bb.0:
	.section	.rodata,"a",@progbits
	.p2align	6, 0x0
	.amdhsa_kernel _ZN7rocprim17ROCPRIM_400000_NS6detail17trampoline_kernelINS0_14default_configENS1_38merge_sort_block_merge_config_selectorIiNS0_10empty_typeEEEZZNS1_27merge_sort_block_merge_implIS3_PiPS5_jNS1_19radix_merge_compareILb0ELb0EiNS0_19identity_decomposerEEEEE10hipError_tT0_T1_T2_jT3_P12ihipStream_tbPNSt15iterator_traitsISE_E10value_typeEPNSK_ISF_E10value_typeEPSG_NS1_7vsmem_tEENKUlT_SE_SF_SG_E_clIS8_S8_S9_S9_EESD_ST_SE_SF_SG_EUlST_E0_NS1_11comp_targetILNS1_3genE10ELNS1_11target_archE1201ELNS1_3gpuE5ELNS1_3repE0EEENS1_38merge_mergepath_config_static_selectorELNS0_4arch9wavefront6targetE1EEEvSF_
		.amdhsa_group_segment_fixed_size 0
		.amdhsa_private_segment_fixed_size 0
		.amdhsa_kernarg_size 64
		.amdhsa_user_sgpr_count 6
		.amdhsa_user_sgpr_private_segment_buffer 1
		.amdhsa_user_sgpr_dispatch_ptr 0
		.amdhsa_user_sgpr_queue_ptr 0
		.amdhsa_user_sgpr_kernarg_segment_ptr 1
		.amdhsa_user_sgpr_dispatch_id 0
		.amdhsa_user_sgpr_flat_scratch_init 0
		.amdhsa_user_sgpr_kernarg_preload_length 0
		.amdhsa_user_sgpr_kernarg_preload_offset 0
		.amdhsa_user_sgpr_private_segment_size 0
		.amdhsa_uses_dynamic_stack 0
		.amdhsa_system_sgpr_private_segment_wavefront_offset 0
		.amdhsa_system_sgpr_workgroup_id_x 1
		.amdhsa_system_sgpr_workgroup_id_y 0
		.amdhsa_system_sgpr_workgroup_id_z 0
		.amdhsa_system_sgpr_workgroup_info 0
		.amdhsa_system_vgpr_workitem_id 0
		.amdhsa_next_free_vgpr 1
		.amdhsa_next_free_sgpr 0
		.amdhsa_accum_offset 4
		.amdhsa_reserve_vcc 0
		.amdhsa_reserve_flat_scratch 0
		.amdhsa_float_round_mode_32 0
		.amdhsa_float_round_mode_16_64 0
		.amdhsa_float_denorm_mode_32 3
		.amdhsa_float_denorm_mode_16_64 3
		.amdhsa_dx10_clamp 1
		.amdhsa_ieee_mode 1
		.amdhsa_fp16_overflow 0
		.amdhsa_tg_split 0
		.amdhsa_exception_fp_ieee_invalid_op 0
		.amdhsa_exception_fp_denorm_src 0
		.amdhsa_exception_fp_ieee_div_zero 0
		.amdhsa_exception_fp_ieee_overflow 0
		.amdhsa_exception_fp_ieee_underflow 0
		.amdhsa_exception_fp_ieee_inexact 0
		.amdhsa_exception_int_div_zero 0
	.end_amdhsa_kernel
	.section	.text._ZN7rocprim17ROCPRIM_400000_NS6detail17trampoline_kernelINS0_14default_configENS1_38merge_sort_block_merge_config_selectorIiNS0_10empty_typeEEEZZNS1_27merge_sort_block_merge_implIS3_PiPS5_jNS1_19radix_merge_compareILb0ELb0EiNS0_19identity_decomposerEEEEE10hipError_tT0_T1_T2_jT3_P12ihipStream_tbPNSt15iterator_traitsISE_E10value_typeEPNSK_ISF_E10value_typeEPSG_NS1_7vsmem_tEENKUlT_SE_SF_SG_E_clIS8_S8_S9_S9_EESD_ST_SE_SF_SG_EUlST_E0_NS1_11comp_targetILNS1_3genE10ELNS1_11target_archE1201ELNS1_3gpuE5ELNS1_3repE0EEENS1_38merge_mergepath_config_static_selectorELNS0_4arch9wavefront6targetE1EEEvSF_,"axG",@progbits,_ZN7rocprim17ROCPRIM_400000_NS6detail17trampoline_kernelINS0_14default_configENS1_38merge_sort_block_merge_config_selectorIiNS0_10empty_typeEEEZZNS1_27merge_sort_block_merge_implIS3_PiPS5_jNS1_19radix_merge_compareILb0ELb0EiNS0_19identity_decomposerEEEEE10hipError_tT0_T1_T2_jT3_P12ihipStream_tbPNSt15iterator_traitsISE_E10value_typeEPNSK_ISF_E10value_typeEPSG_NS1_7vsmem_tEENKUlT_SE_SF_SG_E_clIS8_S8_S9_S9_EESD_ST_SE_SF_SG_EUlST_E0_NS1_11comp_targetILNS1_3genE10ELNS1_11target_archE1201ELNS1_3gpuE5ELNS1_3repE0EEENS1_38merge_mergepath_config_static_selectorELNS0_4arch9wavefront6targetE1EEEvSF_,comdat
.Lfunc_end585:
	.size	_ZN7rocprim17ROCPRIM_400000_NS6detail17trampoline_kernelINS0_14default_configENS1_38merge_sort_block_merge_config_selectorIiNS0_10empty_typeEEEZZNS1_27merge_sort_block_merge_implIS3_PiPS5_jNS1_19radix_merge_compareILb0ELb0EiNS0_19identity_decomposerEEEEE10hipError_tT0_T1_T2_jT3_P12ihipStream_tbPNSt15iterator_traitsISE_E10value_typeEPNSK_ISF_E10value_typeEPSG_NS1_7vsmem_tEENKUlT_SE_SF_SG_E_clIS8_S8_S9_S9_EESD_ST_SE_SF_SG_EUlST_E0_NS1_11comp_targetILNS1_3genE10ELNS1_11target_archE1201ELNS1_3gpuE5ELNS1_3repE0EEENS1_38merge_mergepath_config_static_selectorELNS0_4arch9wavefront6targetE1EEEvSF_, .Lfunc_end585-_ZN7rocprim17ROCPRIM_400000_NS6detail17trampoline_kernelINS0_14default_configENS1_38merge_sort_block_merge_config_selectorIiNS0_10empty_typeEEEZZNS1_27merge_sort_block_merge_implIS3_PiPS5_jNS1_19radix_merge_compareILb0ELb0EiNS0_19identity_decomposerEEEEE10hipError_tT0_T1_T2_jT3_P12ihipStream_tbPNSt15iterator_traitsISE_E10value_typeEPNSK_ISF_E10value_typeEPSG_NS1_7vsmem_tEENKUlT_SE_SF_SG_E_clIS8_S8_S9_S9_EESD_ST_SE_SF_SG_EUlST_E0_NS1_11comp_targetILNS1_3genE10ELNS1_11target_archE1201ELNS1_3gpuE5ELNS1_3repE0EEENS1_38merge_mergepath_config_static_selectorELNS0_4arch9wavefront6targetE1EEEvSF_
                                        ; -- End function
	.section	.AMDGPU.csdata,"",@progbits
; Kernel info:
; codeLenInByte = 0
; NumSgprs: 4
; NumVgprs: 0
; NumAgprs: 0
; TotalNumVgprs: 0
; ScratchSize: 0
; MemoryBound: 0
; FloatMode: 240
; IeeeMode: 1
; LDSByteSize: 0 bytes/workgroup (compile time only)
; SGPRBlocks: 0
; VGPRBlocks: 0
; NumSGPRsForWavesPerEU: 4
; NumVGPRsForWavesPerEU: 1
; AccumOffset: 4
; Occupancy: 8
; WaveLimiterHint : 0
; COMPUTE_PGM_RSRC2:SCRATCH_EN: 0
; COMPUTE_PGM_RSRC2:USER_SGPR: 6
; COMPUTE_PGM_RSRC2:TRAP_HANDLER: 0
; COMPUTE_PGM_RSRC2:TGID_X_EN: 1
; COMPUTE_PGM_RSRC2:TGID_Y_EN: 0
; COMPUTE_PGM_RSRC2:TGID_Z_EN: 0
; COMPUTE_PGM_RSRC2:TIDIG_COMP_CNT: 0
; COMPUTE_PGM_RSRC3_GFX90A:ACCUM_OFFSET: 0
; COMPUTE_PGM_RSRC3_GFX90A:TG_SPLIT: 0
	.section	.text._ZN7rocprim17ROCPRIM_400000_NS6detail17trampoline_kernelINS0_14default_configENS1_38merge_sort_block_merge_config_selectorIiNS0_10empty_typeEEEZZNS1_27merge_sort_block_merge_implIS3_PiPS5_jNS1_19radix_merge_compareILb0ELb0EiNS0_19identity_decomposerEEEEE10hipError_tT0_T1_T2_jT3_P12ihipStream_tbPNSt15iterator_traitsISE_E10value_typeEPNSK_ISF_E10value_typeEPSG_NS1_7vsmem_tEENKUlT_SE_SF_SG_E_clIS8_S8_S9_S9_EESD_ST_SE_SF_SG_EUlST_E0_NS1_11comp_targetILNS1_3genE5ELNS1_11target_archE942ELNS1_3gpuE9ELNS1_3repE0EEENS1_38merge_mergepath_config_static_selectorELNS0_4arch9wavefront6targetE1EEEvSF_,"axG",@progbits,_ZN7rocprim17ROCPRIM_400000_NS6detail17trampoline_kernelINS0_14default_configENS1_38merge_sort_block_merge_config_selectorIiNS0_10empty_typeEEEZZNS1_27merge_sort_block_merge_implIS3_PiPS5_jNS1_19radix_merge_compareILb0ELb0EiNS0_19identity_decomposerEEEEE10hipError_tT0_T1_T2_jT3_P12ihipStream_tbPNSt15iterator_traitsISE_E10value_typeEPNSK_ISF_E10value_typeEPSG_NS1_7vsmem_tEENKUlT_SE_SF_SG_E_clIS8_S8_S9_S9_EESD_ST_SE_SF_SG_EUlST_E0_NS1_11comp_targetILNS1_3genE5ELNS1_11target_archE942ELNS1_3gpuE9ELNS1_3repE0EEENS1_38merge_mergepath_config_static_selectorELNS0_4arch9wavefront6targetE1EEEvSF_,comdat
	.protected	_ZN7rocprim17ROCPRIM_400000_NS6detail17trampoline_kernelINS0_14default_configENS1_38merge_sort_block_merge_config_selectorIiNS0_10empty_typeEEEZZNS1_27merge_sort_block_merge_implIS3_PiPS5_jNS1_19radix_merge_compareILb0ELb0EiNS0_19identity_decomposerEEEEE10hipError_tT0_T1_T2_jT3_P12ihipStream_tbPNSt15iterator_traitsISE_E10value_typeEPNSK_ISF_E10value_typeEPSG_NS1_7vsmem_tEENKUlT_SE_SF_SG_E_clIS8_S8_S9_S9_EESD_ST_SE_SF_SG_EUlST_E0_NS1_11comp_targetILNS1_3genE5ELNS1_11target_archE942ELNS1_3gpuE9ELNS1_3repE0EEENS1_38merge_mergepath_config_static_selectorELNS0_4arch9wavefront6targetE1EEEvSF_ ; -- Begin function _ZN7rocprim17ROCPRIM_400000_NS6detail17trampoline_kernelINS0_14default_configENS1_38merge_sort_block_merge_config_selectorIiNS0_10empty_typeEEEZZNS1_27merge_sort_block_merge_implIS3_PiPS5_jNS1_19radix_merge_compareILb0ELb0EiNS0_19identity_decomposerEEEEE10hipError_tT0_T1_T2_jT3_P12ihipStream_tbPNSt15iterator_traitsISE_E10value_typeEPNSK_ISF_E10value_typeEPSG_NS1_7vsmem_tEENKUlT_SE_SF_SG_E_clIS8_S8_S9_S9_EESD_ST_SE_SF_SG_EUlST_E0_NS1_11comp_targetILNS1_3genE5ELNS1_11target_archE942ELNS1_3gpuE9ELNS1_3repE0EEENS1_38merge_mergepath_config_static_selectorELNS0_4arch9wavefront6targetE1EEEvSF_
	.globl	_ZN7rocprim17ROCPRIM_400000_NS6detail17trampoline_kernelINS0_14default_configENS1_38merge_sort_block_merge_config_selectorIiNS0_10empty_typeEEEZZNS1_27merge_sort_block_merge_implIS3_PiPS5_jNS1_19radix_merge_compareILb0ELb0EiNS0_19identity_decomposerEEEEE10hipError_tT0_T1_T2_jT3_P12ihipStream_tbPNSt15iterator_traitsISE_E10value_typeEPNSK_ISF_E10value_typeEPSG_NS1_7vsmem_tEENKUlT_SE_SF_SG_E_clIS8_S8_S9_S9_EESD_ST_SE_SF_SG_EUlST_E0_NS1_11comp_targetILNS1_3genE5ELNS1_11target_archE942ELNS1_3gpuE9ELNS1_3repE0EEENS1_38merge_mergepath_config_static_selectorELNS0_4arch9wavefront6targetE1EEEvSF_
	.p2align	8
	.type	_ZN7rocprim17ROCPRIM_400000_NS6detail17trampoline_kernelINS0_14default_configENS1_38merge_sort_block_merge_config_selectorIiNS0_10empty_typeEEEZZNS1_27merge_sort_block_merge_implIS3_PiPS5_jNS1_19radix_merge_compareILb0ELb0EiNS0_19identity_decomposerEEEEE10hipError_tT0_T1_T2_jT3_P12ihipStream_tbPNSt15iterator_traitsISE_E10value_typeEPNSK_ISF_E10value_typeEPSG_NS1_7vsmem_tEENKUlT_SE_SF_SG_E_clIS8_S8_S9_S9_EESD_ST_SE_SF_SG_EUlST_E0_NS1_11comp_targetILNS1_3genE5ELNS1_11target_archE942ELNS1_3gpuE9ELNS1_3repE0EEENS1_38merge_mergepath_config_static_selectorELNS0_4arch9wavefront6targetE1EEEvSF_,@function
_ZN7rocprim17ROCPRIM_400000_NS6detail17trampoline_kernelINS0_14default_configENS1_38merge_sort_block_merge_config_selectorIiNS0_10empty_typeEEEZZNS1_27merge_sort_block_merge_implIS3_PiPS5_jNS1_19radix_merge_compareILb0ELb0EiNS0_19identity_decomposerEEEEE10hipError_tT0_T1_T2_jT3_P12ihipStream_tbPNSt15iterator_traitsISE_E10value_typeEPNSK_ISF_E10value_typeEPSG_NS1_7vsmem_tEENKUlT_SE_SF_SG_E_clIS8_S8_S9_S9_EESD_ST_SE_SF_SG_EUlST_E0_NS1_11comp_targetILNS1_3genE5ELNS1_11target_archE942ELNS1_3gpuE9ELNS1_3repE0EEENS1_38merge_mergepath_config_static_selectorELNS0_4arch9wavefront6targetE1EEEvSF_: ; @_ZN7rocprim17ROCPRIM_400000_NS6detail17trampoline_kernelINS0_14default_configENS1_38merge_sort_block_merge_config_selectorIiNS0_10empty_typeEEEZZNS1_27merge_sort_block_merge_implIS3_PiPS5_jNS1_19radix_merge_compareILb0ELb0EiNS0_19identity_decomposerEEEEE10hipError_tT0_T1_T2_jT3_P12ihipStream_tbPNSt15iterator_traitsISE_E10value_typeEPNSK_ISF_E10value_typeEPSG_NS1_7vsmem_tEENKUlT_SE_SF_SG_E_clIS8_S8_S9_S9_EESD_ST_SE_SF_SG_EUlST_E0_NS1_11comp_targetILNS1_3genE5ELNS1_11target_archE942ELNS1_3gpuE9ELNS1_3repE0EEENS1_38merge_mergepath_config_static_selectorELNS0_4arch9wavefront6targetE1EEEvSF_
; %bb.0:
	.section	.rodata,"a",@progbits
	.p2align	6, 0x0
	.amdhsa_kernel _ZN7rocprim17ROCPRIM_400000_NS6detail17trampoline_kernelINS0_14default_configENS1_38merge_sort_block_merge_config_selectorIiNS0_10empty_typeEEEZZNS1_27merge_sort_block_merge_implIS3_PiPS5_jNS1_19radix_merge_compareILb0ELb0EiNS0_19identity_decomposerEEEEE10hipError_tT0_T1_T2_jT3_P12ihipStream_tbPNSt15iterator_traitsISE_E10value_typeEPNSK_ISF_E10value_typeEPSG_NS1_7vsmem_tEENKUlT_SE_SF_SG_E_clIS8_S8_S9_S9_EESD_ST_SE_SF_SG_EUlST_E0_NS1_11comp_targetILNS1_3genE5ELNS1_11target_archE942ELNS1_3gpuE9ELNS1_3repE0EEENS1_38merge_mergepath_config_static_selectorELNS0_4arch9wavefront6targetE1EEEvSF_
		.amdhsa_group_segment_fixed_size 0
		.amdhsa_private_segment_fixed_size 0
		.amdhsa_kernarg_size 64
		.amdhsa_user_sgpr_count 6
		.amdhsa_user_sgpr_private_segment_buffer 1
		.amdhsa_user_sgpr_dispatch_ptr 0
		.amdhsa_user_sgpr_queue_ptr 0
		.amdhsa_user_sgpr_kernarg_segment_ptr 1
		.amdhsa_user_sgpr_dispatch_id 0
		.amdhsa_user_sgpr_flat_scratch_init 0
		.amdhsa_user_sgpr_kernarg_preload_length 0
		.amdhsa_user_sgpr_kernarg_preload_offset 0
		.amdhsa_user_sgpr_private_segment_size 0
		.amdhsa_uses_dynamic_stack 0
		.amdhsa_system_sgpr_private_segment_wavefront_offset 0
		.amdhsa_system_sgpr_workgroup_id_x 1
		.amdhsa_system_sgpr_workgroup_id_y 0
		.amdhsa_system_sgpr_workgroup_id_z 0
		.amdhsa_system_sgpr_workgroup_info 0
		.amdhsa_system_vgpr_workitem_id 0
		.amdhsa_next_free_vgpr 1
		.amdhsa_next_free_sgpr 0
		.amdhsa_accum_offset 4
		.amdhsa_reserve_vcc 0
		.amdhsa_reserve_flat_scratch 0
		.amdhsa_float_round_mode_32 0
		.amdhsa_float_round_mode_16_64 0
		.amdhsa_float_denorm_mode_32 3
		.amdhsa_float_denorm_mode_16_64 3
		.amdhsa_dx10_clamp 1
		.amdhsa_ieee_mode 1
		.amdhsa_fp16_overflow 0
		.amdhsa_tg_split 0
		.amdhsa_exception_fp_ieee_invalid_op 0
		.amdhsa_exception_fp_denorm_src 0
		.amdhsa_exception_fp_ieee_div_zero 0
		.amdhsa_exception_fp_ieee_overflow 0
		.amdhsa_exception_fp_ieee_underflow 0
		.amdhsa_exception_fp_ieee_inexact 0
		.amdhsa_exception_int_div_zero 0
	.end_amdhsa_kernel
	.section	.text._ZN7rocprim17ROCPRIM_400000_NS6detail17trampoline_kernelINS0_14default_configENS1_38merge_sort_block_merge_config_selectorIiNS0_10empty_typeEEEZZNS1_27merge_sort_block_merge_implIS3_PiPS5_jNS1_19radix_merge_compareILb0ELb0EiNS0_19identity_decomposerEEEEE10hipError_tT0_T1_T2_jT3_P12ihipStream_tbPNSt15iterator_traitsISE_E10value_typeEPNSK_ISF_E10value_typeEPSG_NS1_7vsmem_tEENKUlT_SE_SF_SG_E_clIS8_S8_S9_S9_EESD_ST_SE_SF_SG_EUlST_E0_NS1_11comp_targetILNS1_3genE5ELNS1_11target_archE942ELNS1_3gpuE9ELNS1_3repE0EEENS1_38merge_mergepath_config_static_selectorELNS0_4arch9wavefront6targetE1EEEvSF_,"axG",@progbits,_ZN7rocprim17ROCPRIM_400000_NS6detail17trampoline_kernelINS0_14default_configENS1_38merge_sort_block_merge_config_selectorIiNS0_10empty_typeEEEZZNS1_27merge_sort_block_merge_implIS3_PiPS5_jNS1_19radix_merge_compareILb0ELb0EiNS0_19identity_decomposerEEEEE10hipError_tT0_T1_T2_jT3_P12ihipStream_tbPNSt15iterator_traitsISE_E10value_typeEPNSK_ISF_E10value_typeEPSG_NS1_7vsmem_tEENKUlT_SE_SF_SG_E_clIS8_S8_S9_S9_EESD_ST_SE_SF_SG_EUlST_E0_NS1_11comp_targetILNS1_3genE5ELNS1_11target_archE942ELNS1_3gpuE9ELNS1_3repE0EEENS1_38merge_mergepath_config_static_selectorELNS0_4arch9wavefront6targetE1EEEvSF_,comdat
.Lfunc_end586:
	.size	_ZN7rocprim17ROCPRIM_400000_NS6detail17trampoline_kernelINS0_14default_configENS1_38merge_sort_block_merge_config_selectorIiNS0_10empty_typeEEEZZNS1_27merge_sort_block_merge_implIS3_PiPS5_jNS1_19radix_merge_compareILb0ELb0EiNS0_19identity_decomposerEEEEE10hipError_tT0_T1_T2_jT3_P12ihipStream_tbPNSt15iterator_traitsISE_E10value_typeEPNSK_ISF_E10value_typeEPSG_NS1_7vsmem_tEENKUlT_SE_SF_SG_E_clIS8_S8_S9_S9_EESD_ST_SE_SF_SG_EUlST_E0_NS1_11comp_targetILNS1_3genE5ELNS1_11target_archE942ELNS1_3gpuE9ELNS1_3repE0EEENS1_38merge_mergepath_config_static_selectorELNS0_4arch9wavefront6targetE1EEEvSF_, .Lfunc_end586-_ZN7rocprim17ROCPRIM_400000_NS6detail17trampoline_kernelINS0_14default_configENS1_38merge_sort_block_merge_config_selectorIiNS0_10empty_typeEEEZZNS1_27merge_sort_block_merge_implIS3_PiPS5_jNS1_19radix_merge_compareILb0ELb0EiNS0_19identity_decomposerEEEEE10hipError_tT0_T1_T2_jT3_P12ihipStream_tbPNSt15iterator_traitsISE_E10value_typeEPNSK_ISF_E10value_typeEPSG_NS1_7vsmem_tEENKUlT_SE_SF_SG_E_clIS8_S8_S9_S9_EESD_ST_SE_SF_SG_EUlST_E0_NS1_11comp_targetILNS1_3genE5ELNS1_11target_archE942ELNS1_3gpuE9ELNS1_3repE0EEENS1_38merge_mergepath_config_static_selectorELNS0_4arch9wavefront6targetE1EEEvSF_
                                        ; -- End function
	.section	.AMDGPU.csdata,"",@progbits
; Kernel info:
; codeLenInByte = 0
; NumSgprs: 4
; NumVgprs: 0
; NumAgprs: 0
; TotalNumVgprs: 0
; ScratchSize: 0
; MemoryBound: 0
; FloatMode: 240
; IeeeMode: 1
; LDSByteSize: 0 bytes/workgroup (compile time only)
; SGPRBlocks: 0
; VGPRBlocks: 0
; NumSGPRsForWavesPerEU: 4
; NumVGPRsForWavesPerEU: 1
; AccumOffset: 4
; Occupancy: 8
; WaveLimiterHint : 0
; COMPUTE_PGM_RSRC2:SCRATCH_EN: 0
; COMPUTE_PGM_RSRC2:USER_SGPR: 6
; COMPUTE_PGM_RSRC2:TRAP_HANDLER: 0
; COMPUTE_PGM_RSRC2:TGID_X_EN: 1
; COMPUTE_PGM_RSRC2:TGID_Y_EN: 0
; COMPUTE_PGM_RSRC2:TGID_Z_EN: 0
; COMPUTE_PGM_RSRC2:TIDIG_COMP_CNT: 0
; COMPUTE_PGM_RSRC3_GFX90A:ACCUM_OFFSET: 0
; COMPUTE_PGM_RSRC3_GFX90A:TG_SPLIT: 0
	.section	.text._ZN7rocprim17ROCPRIM_400000_NS6detail17trampoline_kernelINS0_14default_configENS1_38merge_sort_block_merge_config_selectorIiNS0_10empty_typeEEEZZNS1_27merge_sort_block_merge_implIS3_PiPS5_jNS1_19radix_merge_compareILb0ELb0EiNS0_19identity_decomposerEEEEE10hipError_tT0_T1_T2_jT3_P12ihipStream_tbPNSt15iterator_traitsISE_E10value_typeEPNSK_ISF_E10value_typeEPSG_NS1_7vsmem_tEENKUlT_SE_SF_SG_E_clIS8_S8_S9_S9_EESD_ST_SE_SF_SG_EUlST_E0_NS1_11comp_targetILNS1_3genE4ELNS1_11target_archE910ELNS1_3gpuE8ELNS1_3repE0EEENS1_38merge_mergepath_config_static_selectorELNS0_4arch9wavefront6targetE1EEEvSF_,"axG",@progbits,_ZN7rocprim17ROCPRIM_400000_NS6detail17trampoline_kernelINS0_14default_configENS1_38merge_sort_block_merge_config_selectorIiNS0_10empty_typeEEEZZNS1_27merge_sort_block_merge_implIS3_PiPS5_jNS1_19radix_merge_compareILb0ELb0EiNS0_19identity_decomposerEEEEE10hipError_tT0_T1_T2_jT3_P12ihipStream_tbPNSt15iterator_traitsISE_E10value_typeEPNSK_ISF_E10value_typeEPSG_NS1_7vsmem_tEENKUlT_SE_SF_SG_E_clIS8_S8_S9_S9_EESD_ST_SE_SF_SG_EUlST_E0_NS1_11comp_targetILNS1_3genE4ELNS1_11target_archE910ELNS1_3gpuE8ELNS1_3repE0EEENS1_38merge_mergepath_config_static_selectorELNS0_4arch9wavefront6targetE1EEEvSF_,comdat
	.protected	_ZN7rocprim17ROCPRIM_400000_NS6detail17trampoline_kernelINS0_14default_configENS1_38merge_sort_block_merge_config_selectorIiNS0_10empty_typeEEEZZNS1_27merge_sort_block_merge_implIS3_PiPS5_jNS1_19radix_merge_compareILb0ELb0EiNS0_19identity_decomposerEEEEE10hipError_tT0_T1_T2_jT3_P12ihipStream_tbPNSt15iterator_traitsISE_E10value_typeEPNSK_ISF_E10value_typeEPSG_NS1_7vsmem_tEENKUlT_SE_SF_SG_E_clIS8_S8_S9_S9_EESD_ST_SE_SF_SG_EUlST_E0_NS1_11comp_targetILNS1_3genE4ELNS1_11target_archE910ELNS1_3gpuE8ELNS1_3repE0EEENS1_38merge_mergepath_config_static_selectorELNS0_4arch9wavefront6targetE1EEEvSF_ ; -- Begin function _ZN7rocprim17ROCPRIM_400000_NS6detail17trampoline_kernelINS0_14default_configENS1_38merge_sort_block_merge_config_selectorIiNS0_10empty_typeEEEZZNS1_27merge_sort_block_merge_implIS3_PiPS5_jNS1_19radix_merge_compareILb0ELb0EiNS0_19identity_decomposerEEEEE10hipError_tT0_T1_T2_jT3_P12ihipStream_tbPNSt15iterator_traitsISE_E10value_typeEPNSK_ISF_E10value_typeEPSG_NS1_7vsmem_tEENKUlT_SE_SF_SG_E_clIS8_S8_S9_S9_EESD_ST_SE_SF_SG_EUlST_E0_NS1_11comp_targetILNS1_3genE4ELNS1_11target_archE910ELNS1_3gpuE8ELNS1_3repE0EEENS1_38merge_mergepath_config_static_selectorELNS0_4arch9wavefront6targetE1EEEvSF_
	.globl	_ZN7rocprim17ROCPRIM_400000_NS6detail17trampoline_kernelINS0_14default_configENS1_38merge_sort_block_merge_config_selectorIiNS0_10empty_typeEEEZZNS1_27merge_sort_block_merge_implIS3_PiPS5_jNS1_19radix_merge_compareILb0ELb0EiNS0_19identity_decomposerEEEEE10hipError_tT0_T1_T2_jT3_P12ihipStream_tbPNSt15iterator_traitsISE_E10value_typeEPNSK_ISF_E10value_typeEPSG_NS1_7vsmem_tEENKUlT_SE_SF_SG_E_clIS8_S8_S9_S9_EESD_ST_SE_SF_SG_EUlST_E0_NS1_11comp_targetILNS1_3genE4ELNS1_11target_archE910ELNS1_3gpuE8ELNS1_3repE0EEENS1_38merge_mergepath_config_static_selectorELNS0_4arch9wavefront6targetE1EEEvSF_
	.p2align	8
	.type	_ZN7rocprim17ROCPRIM_400000_NS6detail17trampoline_kernelINS0_14default_configENS1_38merge_sort_block_merge_config_selectorIiNS0_10empty_typeEEEZZNS1_27merge_sort_block_merge_implIS3_PiPS5_jNS1_19radix_merge_compareILb0ELb0EiNS0_19identity_decomposerEEEEE10hipError_tT0_T1_T2_jT3_P12ihipStream_tbPNSt15iterator_traitsISE_E10value_typeEPNSK_ISF_E10value_typeEPSG_NS1_7vsmem_tEENKUlT_SE_SF_SG_E_clIS8_S8_S9_S9_EESD_ST_SE_SF_SG_EUlST_E0_NS1_11comp_targetILNS1_3genE4ELNS1_11target_archE910ELNS1_3gpuE8ELNS1_3repE0EEENS1_38merge_mergepath_config_static_selectorELNS0_4arch9wavefront6targetE1EEEvSF_,@function
_ZN7rocprim17ROCPRIM_400000_NS6detail17trampoline_kernelINS0_14default_configENS1_38merge_sort_block_merge_config_selectorIiNS0_10empty_typeEEEZZNS1_27merge_sort_block_merge_implIS3_PiPS5_jNS1_19radix_merge_compareILb0ELb0EiNS0_19identity_decomposerEEEEE10hipError_tT0_T1_T2_jT3_P12ihipStream_tbPNSt15iterator_traitsISE_E10value_typeEPNSK_ISF_E10value_typeEPSG_NS1_7vsmem_tEENKUlT_SE_SF_SG_E_clIS8_S8_S9_S9_EESD_ST_SE_SF_SG_EUlST_E0_NS1_11comp_targetILNS1_3genE4ELNS1_11target_archE910ELNS1_3gpuE8ELNS1_3repE0EEENS1_38merge_mergepath_config_static_selectorELNS0_4arch9wavefront6targetE1EEEvSF_: ; @_ZN7rocprim17ROCPRIM_400000_NS6detail17trampoline_kernelINS0_14default_configENS1_38merge_sort_block_merge_config_selectorIiNS0_10empty_typeEEEZZNS1_27merge_sort_block_merge_implIS3_PiPS5_jNS1_19radix_merge_compareILb0ELb0EiNS0_19identity_decomposerEEEEE10hipError_tT0_T1_T2_jT3_P12ihipStream_tbPNSt15iterator_traitsISE_E10value_typeEPNSK_ISF_E10value_typeEPSG_NS1_7vsmem_tEENKUlT_SE_SF_SG_E_clIS8_S8_S9_S9_EESD_ST_SE_SF_SG_EUlST_E0_NS1_11comp_targetILNS1_3genE4ELNS1_11target_archE910ELNS1_3gpuE8ELNS1_3repE0EEENS1_38merge_mergepath_config_static_selectorELNS0_4arch9wavefront6targetE1EEEvSF_
; %bb.0:
	s_load_dwordx2 s[10:11], s[4:5], 0x40
	s_load_dword s3, s[4:5], 0x30
	s_add_u32 s0, s4, 64
	s_addc_u32 s1, s5, 0
	s_waitcnt lgkmcnt(0)
	s_mul_i32 s2, s11, s8
	s_add_i32 s2, s2, s7
	s_mul_i32 s2, s2, s10
	s_add_i32 s2, s2, s6
	s_cmp_ge_u32 s2, s3
	s_cbranch_scc1 .LBB587_43
; %bb.1:
	s_load_dwordx2 s[14:15], s[4:5], 0x28
	s_load_dwordx2 s[8:9], s[4:5], 0x38
	;; [unrolled: 1-line block ×3, first 2 shown]
	s_mov_b32 s3, 0
	s_mov_b32 s23, s3
	s_waitcnt lgkmcnt(0)
	s_lshr_b32 s17, s14, 10
	s_cmp_lg_u32 s2, s17
	s_cselect_b64 s[18:19], -1, 0
	s_lshl_b64 s[12:13], s[2:3], 2
	s_add_u32 s8, s8, s12
	s_addc_u32 s9, s9, s13
	s_lshr_b32 s7, s15, 9
	s_and_b32 s7, s7, 0x7ffffe
	s_load_dwordx2 s[8:9], s[8:9], 0x0
	s_sub_i32 s7, 0, s7
	s_and_b32 s11, s2, s7
	s_lshl_b32 s12, s11, 10
	s_lshl_b32 s16, s2, 10
	;; [unrolled: 1-line block ×3, first 2 shown]
	s_sub_i32 s13, s16, s12
	s_add_i32 s11, s11, s15
	s_add_i32 s13, s11, s13
	s_waitcnt lgkmcnt(0)
	s_sub_i32 s22, s13, s8
	s_sub_i32 s13, s13, s9
	;; [unrolled: 1-line block ×3, first 2 shown]
	s_min_u32 s22, s14, s22
	s_addk_i32 s13, 0x400
	s_or_b32 s7, s2, s7
	s_min_u32 s12, s14, s11
	s_add_i32 s11, s11, s15
	s_cmp_eq_u32 s7, -1
	s_cselect_b32 s7, s11, s13
	s_cselect_b32 s9, s12, s9
	s_min_u32 s7, s7, s14
	s_sub_i32 s15, s9, s8
	s_mov_b32 s9, s3
	s_sub_i32 s7, s7, s22
	s_lshl_b64 s[8:9], s[8:9], 2
	s_add_u32 s11, s20, s8
	s_addc_u32 s12, s21, s9
	s_lshl_b64 s[8:9], s[22:23], 2
	s_add_u32 s8, s20, s8
	s_addc_u32 s9, s21, s9
	s_cmp_lt_u32 s6, s10
	v_mov_b32_e32 v15, 0
	s_cselect_b32 s3, 12, 18
	global_load_dword v1, v15, s[0:1] offset:14
	s_add_u32 s0, s0, s3
	s_addc_u32 s1, s1, 0
	global_load_ushort v2, v15, s[0:1]
	s_cmp_eq_u32 s2, s17
	s_waitcnt vmcnt(1)
	v_lshrrev_b32_e32 v3, 16, v1
	v_and_b32_e32 v1, 0xffff, v1
	v_mul_lo_u32 v1, v1, v3
	s_waitcnt vmcnt(0)
	v_mul_lo_u32 v16, v1, v2
	v_add_u32_e32 v12, v16, v0
	v_lshlrev_b32_e32 v1, 2, v0
	v_add_u32_e32 v10, v12, v16
	s_cbranch_scc1 .LBB587_3
; %bb.2:
	v_mov_b32_e32 v2, s12
	v_add_co_u32_e32 v4, vcc, s11, v1
	v_subrev_u32_e32 v14, s15, v0
	v_addc_co_u32_e32 v5, vcc, 0, v2, vcc
	v_lshlrev_b64 v[2:3], 2, v[14:15]
	v_mov_b32_e32 v6, s9
	v_add_co_u32_e32 v2, vcc, s8, v2
	v_addc_co_u32_e32 v3, vcc, v6, v3, vcc
	v_cmp_gt_u32_e32 vcc, s15, v0
	v_mov_b32_e32 v13, v15
	v_cndmask_b32_e32 v3, v3, v5, vcc
	v_cndmask_b32_e32 v2, v2, v4, vcc
	v_lshlrev_b64 v[4:5], 2, v[12:13]
	global_load_dword v2, v[2:3], off
	v_mov_b32_e32 v3, s12
	v_add_co_u32_e32 v6, vcc, s11, v4
	v_subrev_u32_e32 v14, s15, v12
	v_addc_co_u32_e32 v3, vcc, v3, v5, vcc
	v_lshlrev_b64 v[4:5], 2, v[14:15]
	v_mov_b32_e32 v7, s9
	v_add_co_u32_e32 v4, vcc, s8, v4
	v_addc_co_u32_e32 v5, vcc, v7, v5, vcc
	v_cmp_gt_u32_e32 vcc, s15, v12
	v_cndmask_b32_e32 v5, v5, v3, vcc
	v_cndmask_b32_e32 v4, v4, v6, vcc
	v_mov_b32_e32 v11, v15
	global_load_dword v3, v[4:5], off
	v_lshlrev_b64 v[4:5], 2, v[10:11]
	v_mov_b32_e32 v6, s12
	v_add_co_u32_e32 v7, vcc, s11, v4
	v_subrev_u32_e32 v14, s15, v10
	v_addc_co_u32_e32 v6, vcc, v6, v5, vcc
	v_lshlrev_b64 v[4:5], 2, v[14:15]
	v_mov_b32_e32 v8, s9
	v_add_co_u32_e32 v4, vcc, s8, v4
	v_addc_co_u32_e32 v5, vcc, v8, v5, vcc
	v_cmp_gt_u32_e32 vcc, s15, v10
	v_add_u32_e32 v14, v10, v16
	v_cndmask_b32_e32 v5, v5, v6, vcc
	v_cndmask_b32_e32 v4, v4, v7, vcc
	v_lshlrev_b64 v[6:7], 2, v[14:15]
	global_load_dword v4, v[4:5], off
	v_mov_b32_e32 v5, s12
	v_add_co_u32_e32 v8, vcc, s11, v6
	v_addc_co_u32_e32 v5, vcc, v5, v7, vcc
	v_subrev_u32_e32 v6, s15, v14
	v_mov_b32_e32 v7, v15
	v_lshlrev_b64 v[6:7], 2, v[6:7]
	v_mov_b32_e32 v9, s9
	v_add_co_u32_e32 v6, vcc, s8, v6
	v_addc_co_u32_e32 v7, vcc, v9, v7, vcc
	v_cmp_gt_u32_e32 vcc, s15, v14
	v_cndmask_b32_e32 v7, v7, v5, vcc
	v_cndmask_b32_e32 v6, v6, v8, vcc
	v_add_u32_e32 v14, v14, v16
	global_load_dword v5, v[6:7], off
	v_lshlrev_b64 v[6:7], 2, v[14:15]
	v_mov_b32_e32 v8, s12
	v_add_co_u32_e32 v9, vcc, s11, v6
	v_addc_co_u32_e32 v8, vcc, v8, v7, vcc
	v_subrev_u32_e32 v6, s15, v14
	v_mov_b32_e32 v7, v15
	v_lshlrev_b64 v[6:7], 2, v[6:7]
	v_mov_b32_e32 v11, s9
	v_add_co_u32_e32 v6, vcc, s8, v6
	v_addc_co_u32_e32 v7, vcc, v11, v7, vcc
	v_cmp_gt_u32_e32 vcc, s15, v14
	v_add_u32_e32 v14, v14, v16
	v_cndmask_b32_e32 v7, v7, v8, vcc
	v_cndmask_b32_e32 v6, v6, v9, vcc
	v_lshlrev_b64 v[8:9], 2, v[14:15]
	global_load_dword v6, v[6:7], off
	v_mov_b32_e32 v7, s12
	v_add_co_u32_e32 v11, vcc, s11, v8
	v_addc_co_u32_e32 v7, vcc, v7, v9, vcc
	v_subrev_u32_e32 v8, s15, v14
	v_mov_b32_e32 v9, v15
	v_lshlrev_b64 v[8:9], 2, v[8:9]
	v_mov_b32_e32 v13, s9
	v_add_co_u32_e32 v8, vcc, s8, v8
	v_addc_co_u32_e32 v9, vcc, v13, v9, vcc
	v_cmp_gt_u32_e32 vcc, s15, v14
	v_cndmask_b32_e32 v9, v9, v7, vcc
	v_cndmask_b32_e32 v8, v8, v11, vcc
	v_add_u32_e32 v14, v14, v16
	global_load_dword v7, v[8:9], off
	v_lshlrev_b64 v[8:9], 2, v[14:15]
	v_mov_b32_e32 v11, s12
	v_add_co_u32_e32 v13, vcc, s11, v8
	v_addc_co_u32_e32 v11, vcc, v11, v9, vcc
	v_subrev_u32_e32 v8, s15, v14
	v_mov_b32_e32 v9, v15
	v_lshlrev_b64 v[8:9], 2, v[8:9]
	v_mov_b32_e32 v17, s9
	v_add_co_u32_e32 v8, vcc, s8, v8
	v_addc_co_u32_e32 v9, vcc, v17, v9, vcc
	v_cmp_gt_u32_e32 vcc, s15, v14
	v_add_u32_e32 v14, v14, v16
	v_cndmask_b32_e32 v9, v9, v11, vcc
	v_cndmask_b32_e32 v8, v8, v13, vcc
	v_lshlrev_b64 v[18:19], 2, v[14:15]
	global_load_dword v8, v[8:9], off
	v_mov_b32_e32 v9, s12
	v_add_co_u32_e32 v11, vcc, s11, v18
	v_addc_co_u32_e32 v9, vcc, v9, v19, vcc
	v_cmp_gt_u32_e32 vcc, s15, v14
	v_subrev_u32_e32 v14, s15, v14
	v_lshlrev_b64 v[14:15], 2, v[14:15]
	v_mov_b32_e32 v13, s9
	v_add_co_u32_e64 v14, s[0:1], s8, v14
	v_addc_co_u32_e64 v13, s[0:1], v13, v15, s[0:1]
	v_cndmask_b32_e32 v15, v13, v9, vcc
	v_cndmask_b32_e32 v14, v14, v11, vcc
	global_load_dword v9, v[14:15], off
	s_add_i32 s17, s7, s15
	s_load_dwordx2 s[20:21], s[4:5], 0x10
	s_cbranch_execz .LBB587_4
	s_branch .LBB587_19
.LBB587_3:
                                        ; implicit-def: $vgpr2_vgpr3_vgpr4_vgpr5_vgpr6_vgpr7_vgpr8_vgpr9
                                        ; implicit-def: $sgpr17
	s_load_dwordx2 s[20:21], s[4:5], 0x10
.LBB587_4:
	s_add_i32 s17, s7, s15
	v_cmp_gt_u32_e32 vcc, s17, v0
                                        ; implicit-def: $vgpr2_vgpr3_vgpr4_vgpr5_vgpr6_vgpr7_vgpr8_vgpr9
	s_and_saveexec_b64 s[0:1], vcc
	s_cbranch_execnz .LBB587_44
; %bb.5:
	s_or_b64 exec, exec, s[0:1]
	v_cmp_gt_u32_e32 vcc, s17, v12
	s_and_saveexec_b64 s[2:3], vcc
	s_cbranch_execnz .LBB587_45
.LBB587_6:
	s_or_b64 exec, exec, s[2:3]
	v_cmp_gt_u32_e32 vcc, s17, v10
	s_and_saveexec_b64 s[0:1], vcc
	s_cbranch_execz .LBB587_8
.LBB587_7:
	v_mov_b32_e32 v11, 0
	v_lshlrev_b64 v[12:13], 2, v[10:11]
	s_waitcnt vmcnt(5)
	v_mov_b32_e32 v4, s12
	v_add_co_u32_e32 v14, vcc, s11, v12
	v_addc_co_u32_e32 v4, vcc, v4, v13, vcc
	v_subrev_u32_e32 v12, s15, v10
	v_mov_b32_e32 v13, v11
	v_lshlrev_b64 v[12:13], 2, v[12:13]
	v_mov_b32_e32 v11, s9
	v_add_co_u32_e32 v12, vcc, s8, v12
	v_addc_co_u32_e32 v11, vcc, v11, v13, vcc
	v_cmp_gt_u32_e32 vcc, s15, v10
	v_cndmask_b32_e32 v13, v11, v4, vcc
	v_cndmask_b32_e32 v12, v12, v14, vcc
	global_load_dword v4, v[12:13], off
.LBB587_8:
	s_or_b64 exec, exec, s[0:1]
	v_add_u32_e32 v10, v10, v16
	v_cmp_gt_u32_e32 vcc, s17, v10
	s_and_saveexec_b64 s[0:1], vcc
	s_cbranch_execz .LBB587_10
; %bb.9:
	v_mov_b32_e32 v11, 0
	v_lshlrev_b64 v[12:13], 2, v[10:11]
	s_waitcnt vmcnt(4)
	v_mov_b32_e32 v5, s12
	v_add_co_u32_e32 v14, vcc, s11, v12
	v_addc_co_u32_e32 v5, vcc, v5, v13, vcc
	v_subrev_u32_e32 v12, s15, v10
	v_mov_b32_e32 v13, v11
	v_lshlrev_b64 v[12:13], 2, v[12:13]
	v_mov_b32_e32 v11, s9
	v_add_co_u32_e32 v12, vcc, s8, v12
	v_addc_co_u32_e32 v11, vcc, v11, v13, vcc
	v_cmp_gt_u32_e32 vcc, s15, v10
	v_cndmask_b32_e32 v13, v11, v5, vcc
	v_cndmask_b32_e32 v12, v12, v14, vcc
	global_load_dword v5, v[12:13], off
.LBB587_10:
	s_or_b64 exec, exec, s[0:1]
	v_add_u32_e32 v10, v10, v16
	v_cmp_gt_u32_e32 vcc, s17, v10
	s_and_saveexec_b64 s[0:1], vcc
	s_cbranch_execz .LBB587_12
; %bb.11:
	v_mov_b32_e32 v11, 0
	v_lshlrev_b64 v[12:13], 2, v[10:11]
	s_waitcnt vmcnt(3)
	v_mov_b32_e32 v6, s12
	v_add_co_u32_e32 v14, vcc, s11, v12
	v_addc_co_u32_e32 v6, vcc, v6, v13, vcc
	v_subrev_u32_e32 v12, s15, v10
	v_mov_b32_e32 v13, v11
	v_lshlrev_b64 v[12:13], 2, v[12:13]
	v_mov_b32_e32 v11, s9
	v_add_co_u32_e32 v12, vcc, s8, v12
	v_addc_co_u32_e32 v11, vcc, v11, v13, vcc
	v_cmp_gt_u32_e32 vcc, s15, v10
	v_cndmask_b32_e32 v13, v11, v6, vcc
	v_cndmask_b32_e32 v12, v12, v14, vcc
	global_load_dword v6, v[12:13], off
.LBB587_12:
	;; [unrolled: 23-line block ×4, first 2 shown]
	s_or_b64 exec, exec, s[0:1]
	v_add_u32_e32 v10, v10, v16
	v_cmp_gt_u32_e32 vcc, s17, v10
	s_and_saveexec_b64 s[2:3], vcc
	s_cbranch_execz .LBB587_18
; %bb.17:
	v_mov_b32_e32 v11, 0
	v_lshlrev_b64 v[12:13], 2, v[10:11]
	s_waitcnt vmcnt(0)
	v_mov_b32_e32 v9, s12
	v_add_co_u32_e32 v12, vcc, s11, v12
	v_addc_co_u32_e32 v9, vcc, v9, v13, vcc
	v_cmp_gt_u32_e32 vcc, s15, v10
	v_subrev_u32_e32 v10, s15, v10
	v_lshlrev_b64 v[10:11], 2, v[10:11]
	v_mov_b32_e32 v13, s9
	v_add_co_u32_e64 v10, s[0:1], s8, v10
	v_addc_co_u32_e64 v11, s[0:1], v13, v11, s[0:1]
	v_cndmask_b32_e32 v11, v11, v9, vcc
	v_cndmask_b32_e32 v10, v10, v12, vcc
	global_load_dword v9, v[10:11], off
.LBB587_18:
	s_or_b64 exec, exec, s[2:3]
.LBB587_19:
	v_lshlrev_b32_e32 v10, 3, v0
	v_min_u32_e32 v12, s17, v10
	v_sub_u32_e64 v11, v12, s7 clamp
	v_min_u32_e32 v13, s15, v12
	v_cmp_lt_u32_e32 vcc, v11, v13
	s_waitcnt vmcnt(0)
	ds_write2st64_b32 v1, v2, v3 offset1:2
	ds_write2st64_b32 v1, v4, v5 offset0:4 offset1:6
	ds_write2st64_b32 v1, v6, v7 offset0:8 offset1:10
	;; [unrolled: 1-line block ×3, first 2 shown]
	s_waitcnt lgkmcnt(0)
	s_barrier
	s_and_saveexec_b64 s[0:1], vcc
	s_cbranch_execz .LBB587_23
; %bb.20:
	v_lshlrev_b32_e32 v14, 2, v12
	v_lshl_add_u32 v14, s15, 2, v14
	s_mov_b64 s[2:3], 0
.LBB587_21:                             ; =>This Inner Loop Header: Depth=1
	v_add_u32_e32 v15, v13, v11
	v_lshrrev_b32_e32 v15, 1, v15
	v_not_b32_e32 v16, v15
	v_lshlrev_b32_e32 v17, 2, v15
	v_lshl_add_u32 v16, v16, 2, v14
	ds_read_b32 v17, v17
	ds_read_b32 v16, v16
	v_add_u32_e32 v18, 1, v15
	s_waitcnt lgkmcnt(0)
	v_cmp_gt_i32_e32 vcc, v17, v16
	v_cndmask_b32_e32 v13, v13, v15, vcc
	v_cndmask_b32_e32 v11, v18, v11, vcc
	v_cmp_ge_u32_e32 vcc, v11, v13
	s_or_b64 s[2:3], vcc, s[2:3]
	s_andn2_b64 exec, exec, s[2:3]
	s_cbranch_execnz .LBB587_21
; %bb.22:
	s_or_b64 exec, exec, s[2:3]
.LBB587_23:
	s_or_b64 exec, exec, s[0:1]
	v_sub_u32_e32 v12, v12, v11
	v_add_u32_e32 v12, s15, v12
	v_cmp_ge_u32_e32 vcc, s15, v11
	v_cmp_ge_u32_e64 s[0:1], s17, v12
	s_or_b64 s[0:1], vcc, s[0:1]
	s_and_saveexec_b64 s[22:23], s[0:1]
	s_cbranch_execz .LBB587_29
; %bb.24:
	v_cmp_gt_u32_e32 vcc, s15, v11
                                        ; implicit-def: $vgpr2
	s_and_saveexec_b64 s[0:1], vcc
	s_cbranch_execz .LBB587_26
; %bb.25:
	v_lshlrev_b32_e32 v2, 2, v11
	ds_read_b32 v2, v2
.LBB587_26:
	s_or_b64 exec, exec, s[0:1]
	v_cmp_le_u32_e64 s[0:1], s17, v12
	v_cmp_gt_u32_e64 s[2:3], s17, v12
                                        ; implicit-def: $vgpr3
	s_and_saveexec_b64 s[4:5], s[2:3]
	s_cbranch_execz .LBB587_28
; %bb.27:
	v_lshlrev_b32_e32 v3, 2, v12
	ds_read_b32 v3, v3
.LBB587_28:
	s_or_b64 exec, exec, s[4:5]
	s_waitcnt lgkmcnt(0)
	v_cmp_le_i32_e64 s[2:3], v2, v3
	s_and_b64 s[2:3], vcc, s[2:3]
	s_or_b64 vcc, s[0:1], s[2:3]
	v_mov_b32_e32 v5, s17
	v_mov_b32_e32 v6, s15
	v_cndmask_b32_e32 v4, v12, v11, vcc
	v_cndmask_b32_e32 v7, v5, v6, vcc
	v_add_u32_e32 v4, 1, v4
	v_add_u32_e32 v7, -1, v7
	v_min_u32_e32 v7, v4, v7
	v_lshlrev_b32_e32 v7, 2, v7
	ds_read_b32 v7, v7
	v_cndmask_b32_e32 v9, v4, v12, vcc
	v_cndmask_b32_e32 v4, v11, v4, vcc
	v_cmp_gt_u32_e64 s[2:3], s15, v4
	v_cmp_le_u32_e64 s[0:1], s17, v9
	s_waitcnt lgkmcnt(0)
	v_cndmask_b32_e32 v8, v7, v3, vcc
	v_cndmask_b32_e32 v7, v2, v7, vcc
	v_cmp_le_i32_e64 s[4:5], v7, v8
	s_and_b64 s[2:3], s[2:3], s[4:5]
	s_or_b64 s[0:1], s[0:1], s[2:3]
	v_cndmask_b32_e64 v11, v9, v4, s[0:1]
	v_cndmask_b32_e64 v12, v5, v6, s[0:1]
	v_add_u32_e32 v11, 1, v11
	v_add_u32_e32 v12, -1, v12
	v_min_u32_e32 v12, v11, v12
	v_lshlrev_b32_e32 v12, 2, v12
	ds_read_b32 v12, v12
	v_cndmask_b32_e64 v4, v4, v11, s[0:1]
	v_cndmask_b32_e64 v9, v11, v9, s[0:1]
	v_cmp_gt_u32_e64 s[4:5], s15, v4
	v_cmp_le_u32_e64 s[2:3], s17, v9
	s_waitcnt lgkmcnt(0)
	v_cndmask_b32_e64 v13, v12, v8, s[0:1]
	v_cndmask_b32_e64 v12, v7, v12, s[0:1]
	v_cmp_le_i32_e64 s[6:7], v12, v13
	s_and_b64 s[4:5], s[4:5], s[6:7]
	s_or_b64 s[2:3], s[2:3], s[4:5]
	v_cndmask_b32_e64 v11, v9, v4, s[2:3]
	v_cndmask_b32_e64 v14, v5, v6, s[2:3]
	v_add_u32_e32 v11, 1, v11
	v_add_u32_e32 v14, -1, v14
	v_min_u32_e32 v14, v11, v14
	v_lshlrev_b32_e32 v14, 2, v14
	ds_read_b32 v14, v14
	v_cndmask_b32_e64 v4, v4, v11, s[2:3]
	v_cndmask_b32_e64 v9, v11, v9, s[2:3]
	v_cmp_gt_u32_e64 s[6:7], s15, v4
	v_cmp_le_u32_e64 s[4:5], s17, v9
	s_waitcnt lgkmcnt(0)
	v_cndmask_b32_e64 v15, v14, v13, s[2:3]
	v_cndmask_b32_e64 v14, v12, v14, s[2:3]
	;; [unrolled: 17-line block ×4, first 2 shown]
	v_cmp_le_i32_e64 s[12:13], v18, v19
	s_and_b64 s[10:11], s[10:11], s[12:13]
	s_or_b64 s[8:9], s[8:9], s[10:11]
	v_cndmask_b32_e64 v4, v9, v11, s[8:9]
	v_cndmask_b32_e64 v20, v5, v6, s[8:9]
	v_add_u32_e32 v21, 1, v4
	v_add_u32_e32 v4, -1, v20
	v_min_u32_e32 v4, v21, v4
	v_lshlrev_b32_e32 v4, 2, v4
	ds_read_b32 v20, v4
	v_cndmask_b32_e64 v4, v13, v12, s[2:3]
	v_cndmask_b32_e64 v11, v11, v21, s[8:9]
	v_cndmask_b32_e32 v2, v3, v2, vcc
	v_cndmask_b32_e64 v3, v8, v7, s[0:1]
	s_waitcnt lgkmcnt(0)
	v_cndmask_b32_e64 v12, v20, v19, s[8:9]
	v_cndmask_b32_e64 v13, v18, v20, s[8:9]
	;; [unrolled: 1-line block ×3, first 2 shown]
	v_cmp_gt_u32_e64 s[0:1], s15, v11
	v_cmp_le_i32_e64 s[2:3], v13, v12
	v_cmp_le_u32_e32 vcc, s17, v9
	s_and_b64 s[0:1], s[0:1], s[2:3]
	s_or_b64 vcc, vcc, s[0:1]
	v_cndmask_b32_e32 v7, v9, v11, vcc
	v_cndmask_b32_e32 v5, v5, v6, vcc
	v_add_u32_e32 v20, 1, v7
	v_add_u32_e32 v5, -1, v5
	v_min_u32_e32 v5, v20, v5
	v_lshlrev_b32_e32 v5, 2, v5
	ds_read_b32 v21, v5
	v_cndmask_b32_e32 v8, v12, v13, vcc
	v_cndmask_b32_e32 v11, v11, v20, vcc
	;; [unrolled: 1-line block ×3, first 2 shown]
	v_cmp_gt_u32_e64 s[0:1], s15, v11
	s_waitcnt lgkmcnt(0)
	v_cndmask_b32_e32 v12, v21, v12, vcc
	v_cndmask_b32_e32 v13, v13, v21, vcc
	v_cmp_le_i32_e64 s[2:3], v13, v12
	v_cmp_le_u32_e32 vcc, s17, v9
	s_and_b64 s[0:1], s[0:1], s[2:3]
	s_or_b64 vcc, vcc, s[0:1]
	v_cndmask_b32_e64 v5, v15, v14, s[4:5]
	v_cndmask_b32_e64 v6, v17, v16, s[6:7]
	;; [unrolled: 1-line block ×3, first 2 shown]
	v_cndmask_b32_e32 v9, v12, v13, vcc
.LBB587_29:
	s_or_b64 exec, exec, s[22:23]
	v_and_b32_e32 v11, 0x7c, v0
	v_lshl_add_u32 v10, v10, 2, v11
	s_barrier
	s_barrier
	ds_write2_b32 v10, v2, v3 offset1:1
	ds_write2_b32 v10, v4, v5 offset0:2 offset1:3
	ds_write2_b32 v10, v6, v7 offset0:4 offset1:5
	ds_write2_b32 v10, v8, v9 offset0:6 offset1:7
	v_lshrrev_b32_e32 v2, 3, v0
	v_and_b32_e32 v2, 12, v2
	v_or_b32_e32 v10, 0x80, v0
	v_add_u32_e32 v11, v1, v2
	v_lshrrev_b32_e32 v2, 3, v10
	v_and_b32_e32 v2, 28, v2
	v_or_b32_e32 v9, 0x100, v0
	v_add_u32_e32 v12, v1, v2
	;; [unrolled: 4-line block ×5, first 2 shown]
	v_lshrrev_b32_e32 v2, 3, v6
	v_and_b32_e32 v2, 0x5c, v2
	v_or_b32_e32 v5, 0x300, v0
	s_mov_b32 s17, 0
	v_add_u32_e32 v16, v1, v2
	v_lshrrev_b32_e32 v2, 3, v5
	s_lshl_b64 s[0:1], s[16:17], 2
	v_and_b32_e32 v2, 0x6c, v2
	v_or_b32_e32 v4, 0x380, v0
	s_add_u32 s0, s20, s0
	v_add_u32_e32 v17, v1, v2
	v_lshrrev_b32_e32 v2, 3, v4
	s_addc_u32 s1, s21, s1
	v_and_b32_e32 v2, 0x7c, v2
	v_add_u32_e32 v18, v1, v2
	v_mov_b32_e32 v3, s1
	v_add_co_u32_e32 v2, vcc, s0, v1
	v_addc_co_u32_e32 v3, vcc, 0, v3, vcc
	s_and_b64 vcc, exec, s[18:19]
	s_waitcnt lgkmcnt(0)
	s_cbranch_vccz .LBB587_31
; %bb.30:
	s_barrier
	ds_read_b32 v19, v11
	ds_read_b32 v20, v12 offset:512
	ds_read_b32 v21, v13 offset:1024
	;; [unrolled: 1-line block ×7, first 2 shown]
	s_waitcnt lgkmcnt(7)
	global_store_dword v[2:3], v19, off
	s_waitcnt lgkmcnt(6)
	global_store_dword v[2:3], v20, off offset:512
	s_waitcnt lgkmcnt(5)
	global_store_dword v[2:3], v21, off offset:1024
	;; [unrolled: 2-line block ×6, first 2 shown]
	s_mov_b64 s[0:1], -1
	s_cbranch_execz .LBB587_32
	s_branch .LBB587_41
.LBB587_31:
	s_mov_b64 s[0:1], 0
                                        ; implicit-def: $vgpr1
.LBB587_32:
	s_barrier
	s_waitcnt lgkmcnt(0)
	ds_read_b32 v21, v12 offset:512
	ds_read_b32 v20, v13 offset:1024
	;; [unrolled: 1-line block ×7, first 2 shown]
	s_sub_i32 s2, s14, s16
	v_cmp_gt_u32_e32 vcc, s2, v0
	s_and_saveexec_b64 s[0:1], vcc
	s_cbranch_execnz .LBB587_46
; %bb.33:
	s_or_b64 exec, exec, s[0:1]
	v_cmp_gt_u32_e32 vcc, s2, v10
	s_and_saveexec_b64 s[0:1], vcc
	s_cbranch_execnz .LBB587_47
.LBB587_34:
	s_or_b64 exec, exec, s[0:1]
	v_cmp_gt_u32_e32 vcc, s2, v9
	s_and_saveexec_b64 s[0:1], vcc
	s_cbranch_execnz .LBB587_48
.LBB587_35:
	s_or_b64 exec, exec, s[0:1]
	v_cmp_gt_u32_e32 vcc, s2, v8
	s_and_saveexec_b64 s[0:1], vcc
	s_cbranch_execnz .LBB587_49
.LBB587_36:
	s_or_b64 exec, exec, s[0:1]
	v_cmp_gt_u32_e32 vcc, s2, v7
	s_and_saveexec_b64 s[0:1], vcc
	s_cbranch_execnz .LBB587_50
.LBB587_37:
	s_or_b64 exec, exec, s[0:1]
	v_cmp_gt_u32_e32 vcc, s2, v6
	s_and_saveexec_b64 s[0:1], vcc
	s_cbranch_execnz .LBB587_51
.LBB587_38:
	s_or_b64 exec, exec, s[0:1]
	v_cmp_gt_u32_e32 vcc, s2, v5
	s_and_saveexec_b64 s[0:1], vcc
	s_cbranch_execz .LBB587_40
.LBB587_39:
	s_waitcnt lgkmcnt(1)
	global_store_dword v[2:3], v12, off offset:3072
.LBB587_40:
	s_or_b64 exec, exec, s[0:1]
	v_cmp_gt_u32_e64 s[0:1], s2, v4
.LBB587_41:
	s_and_saveexec_b64 s[2:3], s[0:1]
	s_cbranch_execz .LBB587_43
; %bb.42:
	s_waitcnt lgkmcnt(0)
	global_store_dword v[2:3], v1, off offset:3584
.LBB587_43:
	s_endpgm
.LBB587_44:
	s_waitcnt vmcnt(7)
	v_mov_b32_e32 v2, s12
	s_waitcnt vmcnt(5)
	v_add_co_u32_e32 v4, vcc, s11, v1
	v_mov_b32_e32 v3, 0
	s_waitcnt vmcnt(4)
	v_addc_co_u32_e32 v5, vcc, 0, v2, vcc
	v_subrev_u32_e32 v2, s15, v0
	v_lshlrev_b64 v[2:3], 2, v[2:3]
	s_waitcnt vmcnt(3)
	v_mov_b32_e32 v6, s9
	v_add_co_u32_e32 v2, vcc, s8, v2
	v_addc_co_u32_e32 v3, vcc, v6, v3, vcc
	v_cmp_gt_u32_e32 vcc, s15, v0
	v_cndmask_b32_e32 v3, v3, v5, vcc
	v_cndmask_b32_e32 v2, v2, v4, vcc
	global_load_dword v2, v[2:3], off
	s_or_b64 exec, exec, s[0:1]
	v_cmp_gt_u32_e32 vcc, s17, v12
	s_and_saveexec_b64 s[2:3], vcc
	s_cbranch_execz .LBB587_6
.LBB587_45:
	v_mov_b32_e32 v13, 0
	v_lshlrev_b64 v[14:15], 2, v[12:13]
	s_waitcnt vmcnt(6)
	v_mov_b32_e32 v3, s12
	v_add_co_u32_e32 v11, vcc, s11, v14
	v_addc_co_u32_e32 v3, vcc, v3, v15, vcc
	v_cmp_gt_u32_e32 vcc, s15, v12
	v_subrev_u32_e32 v12, s15, v12
	v_lshlrev_b64 v[12:13], 2, v[12:13]
	v_mov_b32_e32 v14, s9
	v_add_co_u32_e64 v12, s[0:1], s8, v12
	v_addc_co_u32_e64 v13, s[0:1], v14, v13, s[0:1]
	v_cndmask_b32_e32 v13, v13, v3, vcc
	v_cndmask_b32_e32 v12, v12, v11, vcc
	global_load_dword v3, v[12:13], off
	s_or_b64 exec, exec, s[2:3]
	v_cmp_gt_u32_e32 vcc, s17, v10
	s_and_saveexec_b64 s[0:1], vcc
	s_cbranch_execnz .LBB587_7
	s_branch .LBB587_8
.LBB587_46:
	ds_read_b32 v0, v11
	s_waitcnt lgkmcnt(0)
	global_store_dword v[2:3], v0, off
	s_or_b64 exec, exec, s[0:1]
	v_cmp_gt_u32_e32 vcc, s2, v10
	s_and_saveexec_b64 s[0:1], vcc
	s_cbranch_execz .LBB587_34
.LBB587_47:
	s_waitcnt lgkmcnt(6)
	global_store_dword v[2:3], v21, off offset:512
	s_or_b64 exec, exec, s[0:1]
	v_cmp_gt_u32_e32 vcc, s2, v9
	s_and_saveexec_b64 s[0:1], vcc
	s_cbranch_execz .LBB587_35
.LBB587_48:
	s_waitcnt lgkmcnt(5)
	global_store_dword v[2:3], v20, off offset:1024
	s_or_b64 exec, exec, s[0:1]
	v_cmp_gt_u32_e32 vcc, s2, v8
	s_and_saveexec_b64 s[0:1], vcc
	s_cbranch_execz .LBB587_36
.LBB587_49:
	s_waitcnt lgkmcnt(4)
	global_store_dword v[2:3], v19, off offset:1536
	s_or_b64 exec, exec, s[0:1]
	v_cmp_gt_u32_e32 vcc, s2, v7
	s_and_saveexec_b64 s[0:1], vcc
	s_cbranch_execz .LBB587_37
.LBB587_50:
	s_waitcnt lgkmcnt(3)
	global_store_dword v[2:3], v14, off offset:2048
	s_or_b64 exec, exec, s[0:1]
	v_cmp_gt_u32_e32 vcc, s2, v6
	s_and_saveexec_b64 s[0:1], vcc
	s_cbranch_execz .LBB587_38
.LBB587_51:
	s_waitcnt lgkmcnt(2)
	global_store_dword v[2:3], v13, off offset:2560
	s_or_b64 exec, exec, s[0:1]
	v_cmp_gt_u32_e32 vcc, s2, v5
	s_and_saveexec_b64 s[0:1], vcc
	s_cbranch_execnz .LBB587_39
	s_branch .LBB587_40
	.section	.rodata,"a",@progbits
	.p2align	6, 0x0
	.amdhsa_kernel _ZN7rocprim17ROCPRIM_400000_NS6detail17trampoline_kernelINS0_14default_configENS1_38merge_sort_block_merge_config_selectorIiNS0_10empty_typeEEEZZNS1_27merge_sort_block_merge_implIS3_PiPS5_jNS1_19radix_merge_compareILb0ELb0EiNS0_19identity_decomposerEEEEE10hipError_tT0_T1_T2_jT3_P12ihipStream_tbPNSt15iterator_traitsISE_E10value_typeEPNSK_ISF_E10value_typeEPSG_NS1_7vsmem_tEENKUlT_SE_SF_SG_E_clIS8_S8_S9_S9_EESD_ST_SE_SF_SG_EUlST_E0_NS1_11comp_targetILNS1_3genE4ELNS1_11target_archE910ELNS1_3gpuE8ELNS1_3repE0EEENS1_38merge_mergepath_config_static_selectorELNS0_4arch9wavefront6targetE1EEEvSF_
		.amdhsa_group_segment_fixed_size 4224
		.amdhsa_private_segment_fixed_size 0
		.amdhsa_kernarg_size 320
		.amdhsa_user_sgpr_count 6
		.amdhsa_user_sgpr_private_segment_buffer 1
		.amdhsa_user_sgpr_dispatch_ptr 0
		.amdhsa_user_sgpr_queue_ptr 0
		.amdhsa_user_sgpr_kernarg_segment_ptr 1
		.amdhsa_user_sgpr_dispatch_id 0
		.amdhsa_user_sgpr_flat_scratch_init 0
		.amdhsa_user_sgpr_kernarg_preload_length 0
		.amdhsa_user_sgpr_kernarg_preload_offset 0
		.amdhsa_user_sgpr_private_segment_size 0
		.amdhsa_uses_dynamic_stack 0
		.amdhsa_system_sgpr_private_segment_wavefront_offset 0
		.amdhsa_system_sgpr_workgroup_id_x 1
		.amdhsa_system_sgpr_workgroup_id_y 1
		.amdhsa_system_sgpr_workgroup_id_z 1
		.amdhsa_system_sgpr_workgroup_info 0
		.amdhsa_system_vgpr_workitem_id 0
		.amdhsa_next_free_vgpr 26
		.amdhsa_next_free_sgpr 24
		.amdhsa_accum_offset 28
		.amdhsa_reserve_vcc 1
		.amdhsa_reserve_flat_scratch 0
		.amdhsa_float_round_mode_32 0
		.amdhsa_float_round_mode_16_64 0
		.amdhsa_float_denorm_mode_32 3
		.amdhsa_float_denorm_mode_16_64 3
		.amdhsa_dx10_clamp 1
		.amdhsa_ieee_mode 1
		.amdhsa_fp16_overflow 0
		.amdhsa_tg_split 0
		.amdhsa_exception_fp_ieee_invalid_op 0
		.amdhsa_exception_fp_denorm_src 0
		.amdhsa_exception_fp_ieee_div_zero 0
		.amdhsa_exception_fp_ieee_overflow 0
		.amdhsa_exception_fp_ieee_underflow 0
		.amdhsa_exception_fp_ieee_inexact 0
		.amdhsa_exception_int_div_zero 0
	.end_amdhsa_kernel
	.section	.text._ZN7rocprim17ROCPRIM_400000_NS6detail17trampoline_kernelINS0_14default_configENS1_38merge_sort_block_merge_config_selectorIiNS0_10empty_typeEEEZZNS1_27merge_sort_block_merge_implIS3_PiPS5_jNS1_19radix_merge_compareILb0ELb0EiNS0_19identity_decomposerEEEEE10hipError_tT0_T1_T2_jT3_P12ihipStream_tbPNSt15iterator_traitsISE_E10value_typeEPNSK_ISF_E10value_typeEPSG_NS1_7vsmem_tEENKUlT_SE_SF_SG_E_clIS8_S8_S9_S9_EESD_ST_SE_SF_SG_EUlST_E0_NS1_11comp_targetILNS1_3genE4ELNS1_11target_archE910ELNS1_3gpuE8ELNS1_3repE0EEENS1_38merge_mergepath_config_static_selectorELNS0_4arch9wavefront6targetE1EEEvSF_,"axG",@progbits,_ZN7rocprim17ROCPRIM_400000_NS6detail17trampoline_kernelINS0_14default_configENS1_38merge_sort_block_merge_config_selectorIiNS0_10empty_typeEEEZZNS1_27merge_sort_block_merge_implIS3_PiPS5_jNS1_19radix_merge_compareILb0ELb0EiNS0_19identity_decomposerEEEEE10hipError_tT0_T1_T2_jT3_P12ihipStream_tbPNSt15iterator_traitsISE_E10value_typeEPNSK_ISF_E10value_typeEPSG_NS1_7vsmem_tEENKUlT_SE_SF_SG_E_clIS8_S8_S9_S9_EESD_ST_SE_SF_SG_EUlST_E0_NS1_11comp_targetILNS1_3genE4ELNS1_11target_archE910ELNS1_3gpuE8ELNS1_3repE0EEENS1_38merge_mergepath_config_static_selectorELNS0_4arch9wavefront6targetE1EEEvSF_,comdat
.Lfunc_end587:
	.size	_ZN7rocprim17ROCPRIM_400000_NS6detail17trampoline_kernelINS0_14default_configENS1_38merge_sort_block_merge_config_selectorIiNS0_10empty_typeEEEZZNS1_27merge_sort_block_merge_implIS3_PiPS5_jNS1_19radix_merge_compareILb0ELb0EiNS0_19identity_decomposerEEEEE10hipError_tT0_T1_T2_jT3_P12ihipStream_tbPNSt15iterator_traitsISE_E10value_typeEPNSK_ISF_E10value_typeEPSG_NS1_7vsmem_tEENKUlT_SE_SF_SG_E_clIS8_S8_S9_S9_EESD_ST_SE_SF_SG_EUlST_E0_NS1_11comp_targetILNS1_3genE4ELNS1_11target_archE910ELNS1_3gpuE8ELNS1_3repE0EEENS1_38merge_mergepath_config_static_selectorELNS0_4arch9wavefront6targetE1EEEvSF_, .Lfunc_end587-_ZN7rocprim17ROCPRIM_400000_NS6detail17trampoline_kernelINS0_14default_configENS1_38merge_sort_block_merge_config_selectorIiNS0_10empty_typeEEEZZNS1_27merge_sort_block_merge_implIS3_PiPS5_jNS1_19radix_merge_compareILb0ELb0EiNS0_19identity_decomposerEEEEE10hipError_tT0_T1_T2_jT3_P12ihipStream_tbPNSt15iterator_traitsISE_E10value_typeEPNSK_ISF_E10value_typeEPSG_NS1_7vsmem_tEENKUlT_SE_SF_SG_E_clIS8_S8_S9_S9_EESD_ST_SE_SF_SG_EUlST_E0_NS1_11comp_targetILNS1_3genE4ELNS1_11target_archE910ELNS1_3gpuE8ELNS1_3repE0EEENS1_38merge_mergepath_config_static_selectorELNS0_4arch9wavefront6targetE1EEEvSF_
                                        ; -- End function
	.section	.AMDGPU.csdata,"",@progbits
; Kernel info:
; codeLenInByte = 3628
; NumSgprs: 28
; NumVgprs: 26
; NumAgprs: 0
; TotalNumVgprs: 26
; ScratchSize: 0
; MemoryBound: 0
; FloatMode: 240
; IeeeMode: 1
; LDSByteSize: 4224 bytes/workgroup (compile time only)
; SGPRBlocks: 3
; VGPRBlocks: 3
; NumSGPRsForWavesPerEU: 28
; NumVGPRsForWavesPerEU: 26
; AccumOffset: 28
; Occupancy: 8
; WaveLimiterHint : 1
; COMPUTE_PGM_RSRC2:SCRATCH_EN: 0
; COMPUTE_PGM_RSRC2:USER_SGPR: 6
; COMPUTE_PGM_RSRC2:TRAP_HANDLER: 0
; COMPUTE_PGM_RSRC2:TGID_X_EN: 1
; COMPUTE_PGM_RSRC2:TGID_Y_EN: 1
; COMPUTE_PGM_RSRC2:TGID_Z_EN: 1
; COMPUTE_PGM_RSRC2:TIDIG_COMP_CNT: 0
; COMPUTE_PGM_RSRC3_GFX90A:ACCUM_OFFSET: 6
; COMPUTE_PGM_RSRC3_GFX90A:TG_SPLIT: 0
	.section	.text._ZN7rocprim17ROCPRIM_400000_NS6detail17trampoline_kernelINS0_14default_configENS1_38merge_sort_block_merge_config_selectorIiNS0_10empty_typeEEEZZNS1_27merge_sort_block_merge_implIS3_PiPS5_jNS1_19radix_merge_compareILb0ELb0EiNS0_19identity_decomposerEEEEE10hipError_tT0_T1_T2_jT3_P12ihipStream_tbPNSt15iterator_traitsISE_E10value_typeEPNSK_ISF_E10value_typeEPSG_NS1_7vsmem_tEENKUlT_SE_SF_SG_E_clIS8_S8_S9_S9_EESD_ST_SE_SF_SG_EUlST_E0_NS1_11comp_targetILNS1_3genE3ELNS1_11target_archE908ELNS1_3gpuE7ELNS1_3repE0EEENS1_38merge_mergepath_config_static_selectorELNS0_4arch9wavefront6targetE1EEEvSF_,"axG",@progbits,_ZN7rocprim17ROCPRIM_400000_NS6detail17trampoline_kernelINS0_14default_configENS1_38merge_sort_block_merge_config_selectorIiNS0_10empty_typeEEEZZNS1_27merge_sort_block_merge_implIS3_PiPS5_jNS1_19radix_merge_compareILb0ELb0EiNS0_19identity_decomposerEEEEE10hipError_tT0_T1_T2_jT3_P12ihipStream_tbPNSt15iterator_traitsISE_E10value_typeEPNSK_ISF_E10value_typeEPSG_NS1_7vsmem_tEENKUlT_SE_SF_SG_E_clIS8_S8_S9_S9_EESD_ST_SE_SF_SG_EUlST_E0_NS1_11comp_targetILNS1_3genE3ELNS1_11target_archE908ELNS1_3gpuE7ELNS1_3repE0EEENS1_38merge_mergepath_config_static_selectorELNS0_4arch9wavefront6targetE1EEEvSF_,comdat
	.protected	_ZN7rocprim17ROCPRIM_400000_NS6detail17trampoline_kernelINS0_14default_configENS1_38merge_sort_block_merge_config_selectorIiNS0_10empty_typeEEEZZNS1_27merge_sort_block_merge_implIS3_PiPS5_jNS1_19radix_merge_compareILb0ELb0EiNS0_19identity_decomposerEEEEE10hipError_tT0_T1_T2_jT3_P12ihipStream_tbPNSt15iterator_traitsISE_E10value_typeEPNSK_ISF_E10value_typeEPSG_NS1_7vsmem_tEENKUlT_SE_SF_SG_E_clIS8_S8_S9_S9_EESD_ST_SE_SF_SG_EUlST_E0_NS1_11comp_targetILNS1_3genE3ELNS1_11target_archE908ELNS1_3gpuE7ELNS1_3repE0EEENS1_38merge_mergepath_config_static_selectorELNS0_4arch9wavefront6targetE1EEEvSF_ ; -- Begin function _ZN7rocprim17ROCPRIM_400000_NS6detail17trampoline_kernelINS0_14default_configENS1_38merge_sort_block_merge_config_selectorIiNS0_10empty_typeEEEZZNS1_27merge_sort_block_merge_implIS3_PiPS5_jNS1_19radix_merge_compareILb0ELb0EiNS0_19identity_decomposerEEEEE10hipError_tT0_T1_T2_jT3_P12ihipStream_tbPNSt15iterator_traitsISE_E10value_typeEPNSK_ISF_E10value_typeEPSG_NS1_7vsmem_tEENKUlT_SE_SF_SG_E_clIS8_S8_S9_S9_EESD_ST_SE_SF_SG_EUlST_E0_NS1_11comp_targetILNS1_3genE3ELNS1_11target_archE908ELNS1_3gpuE7ELNS1_3repE0EEENS1_38merge_mergepath_config_static_selectorELNS0_4arch9wavefront6targetE1EEEvSF_
	.globl	_ZN7rocprim17ROCPRIM_400000_NS6detail17trampoline_kernelINS0_14default_configENS1_38merge_sort_block_merge_config_selectorIiNS0_10empty_typeEEEZZNS1_27merge_sort_block_merge_implIS3_PiPS5_jNS1_19radix_merge_compareILb0ELb0EiNS0_19identity_decomposerEEEEE10hipError_tT0_T1_T2_jT3_P12ihipStream_tbPNSt15iterator_traitsISE_E10value_typeEPNSK_ISF_E10value_typeEPSG_NS1_7vsmem_tEENKUlT_SE_SF_SG_E_clIS8_S8_S9_S9_EESD_ST_SE_SF_SG_EUlST_E0_NS1_11comp_targetILNS1_3genE3ELNS1_11target_archE908ELNS1_3gpuE7ELNS1_3repE0EEENS1_38merge_mergepath_config_static_selectorELNS0_4arch9wavefront6targetE1EEEvSF_
	.p2align	8
	.type	_ZN7rocprim17ROCPRIM_400000_NS6detail17trampoline_kernelINS0_14default_configENS1_38merge_sort_block_merge_config_selectorIiNS0_10empty_typeEEEZZNS1_27merge_sort_block_merge_implIS3_PiPS5_jNS1_19radix_merge_compareILb0ELb0EiNS0_19identity_decomposerEEEEE10hipError_tT0_T1_T2_jT3_P12ihipStream_tbPNSt15iterator_traitsISE_E10value_typeEPNSK_ISF_E10value_typeEPSG_NS1_7vsmem_tEENKUlT_SE_SF_SG_E_clIS8_S8_S9_S9_EESD_ST_SE_SF_SG_EUlST_E0_NS1_11comp_targetILNS1_3genE3ELNS1_11target_archE908ELNS1_3gpuE7ELNS1_3repE0EEENS1_38merge_mergepath_config_static_selectorELNS0_4arch9wavefront6targetE1EEEvSF_,@function
_ZN7rocprim17ROCPRIM_400000_NS6detail17trampoline_kernelINS0_14default_configENS1_38merge_sort_block_merge_config_selectorIiNS0_10empty_typeEEEZZNS1_27merge_sort_block_merge_implIS3_PiPS5_jNS1_19radix_merge_compareILb0ELb0EiNS0_19identity_decomposerEEEEE10hipError_tT0_T1_T2_jT3_P12ihipStream_tbPNSt15iterator_traitsISE_E10value_typeEPNSK_ISF_E10value_typeEPSG_NS1_7vsmem_tEENKUlT_SE_SF_SG_E_clIS8_S8_S9_S9_EESD_ST_SE_SF_SG_EUlST_E0_NS1_11comp_targetILNS1_3genE3ELNS1_11target_archE908ELNS1_3gpuE7ELNS1_3repE0EEENS1_38merge_mergepath_config_static_selectorELNS0_4arch9wavefront6targetE1EEEvSF_: ; @_ZN7rocprim17ROCPRIM_400000_NS6detail17trampoline_kernelINS0_14default_configENS1_38merge_sort_block_merge_config_selectorIiNS0_10empty_typeEEEZZNS1_27merge_sort_block_merge_implIS3_PiPS5_jNS1_19radix_merge_compareILb0ELb0EiNS0_19identity_decomposerEEEEE10hipError_tT0_T1_T2_jT3_P12ihipStream_tbPNSt15iterator_traitsISE_E10value_typeEPNSK_ISF_E10value_typeEPSG_NS1_7vsmem_tEENKUlT_SE_SF_SG_E_clIS8_S8_S9_S9_EESD_ST_SE_SF_SG_EUlST_E0_NS1_11comp_targetILNS1_3genE3ELNS1_11target_archE908ELNS1_3gpuE7ELNS1_3repE0EEENS1_38merge_mergepath_config_static_selectorELNS0_4arch9wavefront6targetE1EEEvSF_
; %bb.0:
	.section	.rodata,"a",@progbits
	.p2align	6, 0x0
	.amdhsa_kernel _ZN7rocprim17ROCPRIM_400000_NS6detail17trampoline_kernelINS0_14default_configENS1_38merge_sort_block_merge_config_selectorIiNS0_10empty_typeEEEZZNS1_27merge_sort_block_merge_implIS3_PiPS5_jNS1_19radix_merge_compareILb0ELb0EiNS0_19identity_decomposerEEEEE10hipError_tT0_T1_T2_jT3_P12ihipStream_tbPNSt15iterator_traitsISE_E10value_typeEPNSK_ISF_E10value_typeEPSG_NS1_7vsmem_tEENKUlT_SE_SF_SG_E_clIS8_S8_S9_S9_EESD_ST_SE_SF_SG_EUlST_E0_NS1_11comp_targetILNS1_3genE3ELNS1_11target_archE908ELNS1_3gpuE7ELNS1_3repE0EEENS1_38merge_mergepath_config_static_selectorELNS0_4arch9wavefront6targetE1EEEvSF_
		.amdhsa_group_segment_fixed_size 0
		.amdhsa_private_segment_fixed_size 0
		.amdhsa_kernarg_size 64
		.amdhsa_user_sgpr_count 6
		.amdhsa_user_sgpr_private_segment_buffer 1
		.amdhsa_user_sgpr_dispatch_ptr 0
		.amdhsa_user_sgpr_queue_ptr 0
		.amdhsa_user_sgpr_kernarg_segment_ptr 1
		.amdhsa_user_sgpr_dispatch_id 0
		.amdhsa_user_sgpr_flat_scratch_init 0
		.amdhsa_user_sgpr_kernarg_preload_length 0
		.amdhsa_user_sgpr_kernarg_preload_offset 0
		.amdhsa_user_sgpr_private_segment_size 0
		.amdhsa_uses_dynamic_stack 0
		.amdhsa_system_sgpr_private_segment_wavefront_offset 0
		.amdhsa_system_sgpr_workgroup_id_x 1
		.amdhsa_system_sgpr_workgroup_id_y 0
		.amdhsa_system_sgpr_workgroup_id_z 0
		.amdhsa_system_sgpr_workgroup_info 0
		.amdhsa_system_vgpr_workitem_id 0
		.amdhsa_next_free_vgpr 1
		.amdhsa_next_free_sgpr 0
		.amdhsa_accum_offset 4
		.amdhsa_reserve_vcc 0
		.amdhsa_reserve_flat_scratch 0
		.amdhsa_float_round_mode_32 0
		.amdhsa_float_round_mode_16_64 0
		.amdhsa_float_denorm_mode_32 3
		.amdhsa_float_denorm_mode_16_64 3
		.amdhsa_dx10_clamp 1
		.amdhsa_ieee_mode 1
		.amdhsa_fp16_overflow 0
		.amdhsa_tg_split 0
		.amdhsa_exception_fp_ieee_invalid_op 0
		.amdhsa_exception_fp_denorm_src 0
		.amdhsa_exception_fp_ieee_div_zero 0
		.amdhsa_exception_fp_ieee_overflow 0
		.amdhsa_exception_fp_ieee_underflow 0
		.amdhsa_exception_fp_ieee_inexact 0
		.amdhsa_exception_int_div_zero 0
	.end_amdhsa_kernel
	.section	.text._ZN7rocprim17ROCPRIM_400000_NS6detail17trampoline_kernelINS0_14default_configENS1_38merge_sort_block_merge_config_selectorIiNS0_10empty_typeEEEZZNS1_27merge_sort_block_merge_implIS3_PiPS5_jNS1_19radix_merge_compareILb0ELb0EiNS0_19identity_decomposerEEEEE10hipError_tT0_T1_T2_jT3_P12ihipStream_tbPNSt15iterator_traitsISE_E10value_typeEPNSK_ISF_E10value_typeEPSG_NS1_7vsmem_tEENKUlT_SE_SF_SG_E_clIS8_S8_S9_S9_EESD_ST_SE_SF_SG_EUlST_E0_NS1_11comp_targetILNS1_3genE3ELNS1_11target_archE908ELNS1_3gpuE7ELNS1_3repE0EEENS1_38merge_mergepath_config_static_selectorELNS0_4arch9wavefront6targetE1EEEvSF_,"axG",@progbits,_ZN7rocprim17ROCPRIM_400000_NS6detail17trampoline_kernelINS0_14default_configENS1_38merge_sort_block_merge_config_selectorIiNS0_10empty_typeEEEZZNS1_27merge_sort_block_merge_implIS3_PiPS5_jNS1_19radix_merge_compareILb0ELb0EiNS0_19identity_decomposerEEEEE10hipError_tT0_T1_T2_jT3_P12ihipStream_tbPNSt15iterator_traitsISE_E10value_typeEPNSK_ISF_E10value_typeEPSG_NS1_7vsmem_tEENKUlT_SE_SF_SG_E_clIS8_S8_S9_S9_EESD_ST_SE_SF_SG_EUlST_E0_NS1_11comp_targetILNS1_3genE3ELNS1_11target_archE908ELNS1_3gpuE7ELNS1_3repE0EEENS1_38merge_mergepath_config_static_selectorELNS0_4arch9wavefront6targetE1EEEvSF_,comdat
.Lfunc_end588:
	.size	_ZN7rocprim17ROCPRIM_400000_NS6detail17trampoline_kernelINS0_14default_configENS1_38merge_sort_block_merge_config_selectorIiNS0_10empty_typeEEEZZNS1_27merge_sort_block_merge_implIS3_PiPS5_jNS1_19radix_merge_compareILb0ELb0EiNS0_19identity_decomposerEEEEE10hipError_tT0_T1_T2_jT3_P12ihipStream_tbPNSt15iterator_traitsISE_E10value_typeEPNSK_ISF_E10value_typeEPSG_NS1_7vsmem_tEENKUlT_SE_SF_SG_E_clIS8_S8_S9_S9_EESD_ST_SE_SF_SG_EUlST_E0_NS1_11comp_targetILNS1_3genE3ELNS1_11target_archE908ELNS1_3gpuE7ELNS1_3repE0EEENS1_38merge_mergepath_config_static_selectorELNS0_4arch9wavefront6targetE1EEEvSF_, .Lfunc_end588-_ZN7rocprim17ROCPRIM_400000_NS6detail17trampoline_kernelINS0_14default_configENS1_38merge_sort_block_merge_config_selectorIiNS0_10empty_typeEEEZZNS1_27merge_sort_block_merge_implIS3_PiPS5_jNS1_19radix_merge_compareILb0ELb0EiNS0_19identity_decomposerEEEEE10hipError_tT0_T1_T2_jT3_P12ihipStream_tbPNSt15iterator_traitsISE_E10value_typeEPNSK_ISF_E10value_typeEPSG_NS1_7vsmem_tEENKUlT_SE_SF_SG_E_clIS8_S8_S9_S9_EESD_ST_SE_SF_SG_EUlST_E0_NS1_11comp_targetILNS1_3genE3ELNS1_11target_archE908ELNS1_3gpuE7ELNS1_3repE0EEENS1_38merge_mergepath_config_static_selectorELNS0_4arch9wavefront6targetE1EEEvSF_
                                        ; -- End function
	.section	.AMDGPU.csdata,"",@progbits
; Kernel info:
; codeLenInByte = 0
; NumSgprs: 4
; NumVgprs: 0
; NumAgprs: 0
; TotalNumVgprs: 0
; ScratchSize: 0
; MemoryBound: 0
; FloatMode: 240
; IeeeMode: 1
; LDSByteSize: 0 bytes/workgroup (compile time only)
; SGPRBlocks: 0
; VGPRBlocks: 0
; NumSGPRsForWavesPerEU: 4
; NumVGPRsForWavesPerEU: 1
; AccumOffset: 4
; Occupancy: 8
; WaveLimiterHint : 0
; COMPUTE_PGM_RSRC2:SCRATCH_EN: 0
; COMPUTE_PGM_RSRC2:USER_SGPR: 6
; COMPUTE_PGM_RSRC2:TRAP_HANDLER: 0
; COMPUTE_PGM_RSRC2:TGID_X_EN: 1
; COMPUTE_PGM_RSRC2:TGID_Y_EN: 0
; COMPUTE_PGM_RSRC2:TGID_Z_EN: 0
; COMPUTE_PGM_RSRC2:TIDIG_COMP_CNT: 0
; COMPUTE_PGM_RSRC3_GFX90A:ACCUM_OFFSET: 0
; COMPUTE_PGM_RSRC3_GFX90A:TG_SPLIT: 0
	.section	.text._ZN7rocprim17ROCPRIM_400000_NS6detail17trampoline_kernelINS0_14default_configENS1_38merge_sort_block_merge_config_selectorIiNS0_10empty_typeEEEZZNS1_27merge_sort_block_merge_implIS3_PiPS5_jNS1_19radix_merge_compareILb0ELb0EiNS0_19identity_decomposerEEEEE10hipError_tT0_T1_T2_jT3_P12ihipStream_tbPNSt15iterator_traitsISE_E10value_typeEPNSK_ISF_E10value_typeEPSG_NS1_7vsmem_tEENKUlT_SE_SF_SG_E_clIS8_S8_S9_S9_EESD_ST_SE_SF_SG_EUlST_E0_NS1_11comp_targetILNS1_3genE2ELNS1_11target_archE906ELNS1_3gpuE6ELNS1_3repE0EEENS1_38merge_mergepath_config_static_selectorELNS0_4arch9wavefront6targetE1EEEvSF_,"axG",@progbits,_ZN7rocprim17ROCPRIM_400000_NS6detail17trampoline_kernelINS0_14default_configENS1_38merge_sort_block_merge_config_selectorIiNS0_10empty_typeEEEZZNS1_27merge_sort_block_merge_implIS3_PiPS5_jNS1_19radix_merge_compareILb0ELb0EiNS0_19identity_decomposerEEEEE10hipError_tT0_T1_T2_jT3_P12ihipStream_tbPNSt15iterator_traitsISE_E10value_typeEPNSK_ISF_E10value_typeEPSG_NS1_7vsmem_tEENKUlT_SE_SF_SG_E_clIS8_S8_S9_S9_EESD_ST_SE_SF_SG_EUlST_E0_NS1_11comp_targetILNS1_3genE2ELNS1_11target_archE906ELNS1_3gpuE6ELNS1_3repE0EEENS1_38merge_mergepath_config_static_selectorELNS0_4arch9wavefront6targetE1EEEvSF_,comdat
	.protected	_ZN7rocprim17ROCPRIM_400000_NS6detail17trampoline_kernelINS0_14default_configENS1_38merge_sort_block_merge_config_selectorIiNS0_10empty_typeEEEZZNS1_27merge_sort_block_merge_implIS3_PiPS5_jNS1_19radix_merge_compareILb0ELb0EiNS0_19identity_decomposerEEEEE10hipError_tT0_T1_T2_jT3_P12ihipStream_tbPNSt15iterator_traitsISE_E10value_typeEPNSK_ISF_E10value_typeEPSG_NS1_7vsmem_tEENKUlT_SE_SF_SG_E_clIS8_S8_S9_S9_EESD_ST_SE_SF_SG_EUlST_E0_NS1_11comp_targetILNS1_3genE2ELNS1_11target_archE906ELNS1_3gpuE6ELNS1_3repE0EEENS1_38merge_mergepath_config_static_selectorELNS0_4arch9wavefront6targetE1EEEvSF_ ; -- Begin function _ZN7rocprim17ROCPRIM_400000_NS6detail17trampoline_kernelINS0_14default_configENS1_38merge_sort_block_merge_config_selectorIiNS0_10empty_typeEEEZZNS1_27merge_sort_block_merge_implIS3_PiPS5_jNS1_19radix_merge_compareILb0ELb0EiNS0_19identity_decomposerEEEEE10hipError_tT0_T1_T2_jT3_P12ihipStream_tbPNSt15iterator_traitsISE_E10value_typeEPNSK_ISF_E10value_typeEPSG_NS1_7vsmem_tEENKUlT_SE_SF_SG_E_clIS8_S8_S9_S9_EESD_ST_SE_SF_SG_EUlST_E0_NS1_11comp_targetILNS1_3genE2ELNS1_11target_archE906ELNS1_3gpuE6ELNS1_3repE0EEENS1_38merge_mergepath_config_static_selectorELNS0_4arch9wavefront6targetE1EEEvSF_
	.globl	_ZN7rocprim17ROCPRIM_400000_NS6detail17trampoline_kernelINS0_14default_configENS1_38merge_sort_block_merge_config_selectorIiNS0_10empty_typeEEEZZNS1_27merge_sort_block_merge_implIS3_PiPS5_jNS1_19radix_merge_compareILb0ELb0EiNS0_19identity_decomposerEEEEE10hipError_tT0_T1_T2_jT3_P12ihipStream_tbPNSt15iterator_traitsISE_E10value_typeEPNSK_ISF_E10value_typeEPSG_NS1_7vsmem_tEENKUlT_SE_SF_SG_E_clIS8_S8_S9_S9_EESD_ST_SE_SF_SG_EUlST_E0_NS1_11comp_targetILNS1_3genE2ELNS1_11target_archE906ELNS1_3gpuE6ELNS1_3repE0EEENS1_38merge_mergepath_config_static_selectorELNS0_4arch9wavefront6targetE1EEEvSF_
	.p2align	8
	.type	_ZN7rocprim17ROCPRIM_400000_NS6detail17trampoline_kernelINS0_14default_configENS1_38merge_sort_block_merge_config_selectorIiNS0_10empty_typeEEEZZNS1_27merge_sort_block_merge_implIS3_PiPS5_jNS1_19radix_merge_compareILb0ELb0EiNS0_19identity_decomposerEEEEE10hipError_tT0_T1_T2_jT3_P12ihipStream_tbPNSt15iterator_traitsISE_E10value_typeEPNSK_ISF_E10value_typeEPSG_NS1_7vsmem_tEENKUlT_SE_SF_SG_E_clIS8_S8_S9_S9_EESD_ST_SE_SF_SG_EUlST_E0_NS1_11comp_targetILNS1_3genE2ELNS1_11target_archE906ELNS1_3gpuE6ELNS1_3repE0EEENS1_38merge_mergepath_config_static_selectorELNS0_4arch9wavefront6targetE1EEEvSF_,@function
_ZN7rocprim17ROCPRIM_400000_NS6detail17trampoline_kernelINS0_14default_configENS1_38merge_sort_block_merge_config_selectorIiNS0_10empty_typeEEEZZNS1_27merge_sort_block_merge_implIS3_PiPS5_jNS1_19radix_merge_compareILb0ELb0EiNS0_19identity_decomposerEEEEE10hipError_tT0_T1_T2_jT3_P12ihipStream_tbPNSt15iterator_traitsISE_E10value_typeEPNSK_ISF_E10value_typeEPSG_NS1_7vsmem_tEENKUlT_SE_SF_SG_E_clIS8_S8_S9_S9_EESD_ST_SE_SF_SG_EUlST_E0_NS1_11comp_targetILNS1_3genE2ELNS1_11target_archE906ELNS1_3gpuE6ELNS1_3repE0EEENS1_38merge_mergepath_config_static_selectorELNS0_4arch9wavefront6targetE1EEEvSF_: ; @_ZN7rocprim17ROCPRIM_400000_NS6detail17trampoline_kernelINS0_14default_configENS1_38merge_sort_block_merge_config_selectorIiNS0_10empty_typeEEEZZNS1_27merge_sort_block_merge_implIS3_PiPS5_jNS1_19radix_merge_compareILb0ELb0EiNS0_19identity_decomposerEEEEE10hipError_tT0_T1_T2_jT3_P12ihipStream_tbPNSt15iterator_traitsISE_E10value_typeEPNSK_ISF_E10value_typeEPSG_NS1_7vsmem_tEENKUlT_SE_SF_SG_E_clIS8_S8_S9_S9_EESD_ST_SE_SF_SG_EUlST_E0_NS1_11comp_targetILNS1_3genE2ELNS1_11target_archE906ELNS1_3gpuE6ELNS1_3repE0EEENS1_38merge_mergepath_config_static_selectorELNS0_4arch9wavefront6targetE1EEEvSF_
; %bb.0:
	.section	.rodata,"a",@progbits
	.p2align	6, 0x0
	.amdhsa_kernel _ZN7rocprim17ROCPRIM_400000_NS6detail17trampoline_kernelINS0_14default_configENS1_38merge_sort_block_merge_config_selectorIiNS0_10empty_typeEEEZZNS1_27merge_sort_block_merge_implIS3_PiPS5_jNS1_19radix_merge_compareILb0ELb0EiNS0_19identity_decomposerEEEEE10hipError_tT0_T1_T2_jT3_P12ihipStream_tbPNSt15iterator_traitsISE_E10value_typeEPNSK_ISF_E10value_typeEPSG_NS1_7vsmem_tEENKUlT_SE_SF_SG_E_clIS8_S8_S9_S9_EESD_ST_SE_SF_SG_EUlST_E0_NS1_11comp_targetILNS1_3genE2ELNS1_11target_archE906ELNS1_3gpuE6ELNS1_3repE0EEENS1_38merge_mergepath_config_static_selectorELNS0_4arch9wavefront6targetE1EEEvSF_
		.amdhsa_group_segment_fixed_size 0
		.amdhsa_private_segment_fixed_size 0
		.amdhsa_kernarg_size 64
		.amdhsa_user_sgpr_count 6
		.amdhsa_user_sgpr_private_segment_buffer 1
		.amdhsa_user_sgpr_dispatch_ptr 0
		.amdhsa_user_sgpr_queue_ptr 0
		.amdhsa_user_sgpr_kernarg_segment_ptr 1
		.amdhsa_user_sgpr_dispatch_id 0
		.amdhsa_user_sgpr_flat_scratch_init 0
		.amdhsa_user_sgpr_kernarg_preload_length 0
		.amdhsa_user_sgpr_kernarg_preload_offset 0
		.amdhsa_user_sgpr_private_segment_size 0
		.amdhsa_uses_dynamic_stack 0
		.amdhsa_system_sgpr_private_segment_wavefront_offset 0
		.amdhsa_system_sgpr_workgroup_id_x 1
		.amdhsa_system_sgpr_workgroup_id_y 0
		.amdhsa_system_sgpr_workgroup_id_z 0
		.amdhsa_system_sgpr_workgroup_info 0
		.amdhsa_system_vgpr_workitem_id 0
		.amdhsa_next_free_vgpr 1
		.amdhsa_next_free_sgpr 0
		.amdhsa_accum_offset 4
		.amdhsa_reserve_vcc 0
		.amdhsa_reserve_flat_scratch 0
		.amdhsa_float_round_mode_32 0
		.amdhsa_float_round_mode_16_64 0
		.amdhsa_float_denorm_mode_32 3
		.amdhsa_float_denorm_mode_16_64 3
		.amdhsa_dx10_clamp 1
		.amdhsa_ieee_mode 1
		.amdhsa_fp16_overflow 0
		.amdhsa_tg_split 0
		.amdhsa_exception_fp_ieee_invalid_op 0
		.amdhsa_exception_fp_denorm_src 0
		.amdhsa_exception_fp_ieee_div_zero 0
		.amdhsa_exception_fp_ieee_overflow 0
		.amdhsa_exception_fp_ieee_underflow 0
		.amdhsa_exception_fp_ieee_inexact 0
		.amdhsa_exception_int_div_zero 0
	.end_amdhsa_kernel
	.section	.text._ZN7rocprim17ROCPRIM_400000_NS6detail17trampoline_kernelINS0_14default_configENS1_38merge_sort_block_merge_config_selectorIiNS0_10empty_typeEEEZZNS1_27merge_sort_block_merge_implIS3_PiPS5_jNS1_19radix_merge_compareILb0ELb0EiNS0_19identity_decomposerEEEEE10hipError_tT0_T1_T2_jT3_P12ihipStream_tbPNSt15iterator_traitsISE_E10value_typeEPNSK_ISF_E10value_typeEPSG_NS1_7vsmem_tEENKUlT_SE_SF_SG_E_clIS8_S8_S9_S9_EESD_ST_SE_SF_SG_EUlST_E0_NS1_11comp_targetILNS1_3genE2ELNS1_11target_archE906ELNS1_3gpuE6ELNS1_3repE0EEENS1_38merge_mergepath_config_static_selectorELNS0_4arch9wavefront6targetE1EEEvSF_,"axG",@progbits,_ZN7rocprim17ROCPRIM_400000_NS6detail17trampoline_kernelINS0_14default_configENS1_38merge_sort_block_merge_config_selectorIiNS0_10empty_typeEEEZZNS1_27merge_sort_block_merge_implIS3_PiPS5_jNS1_19radix_merge_compareILb0ELb0EiNS0_19identity_decomposerEEEEE10hipError_tT0_T1_T2_jT3_P12ihipStream_tbPNSt15iterator_traitsISE_E10value_typeEPNSK_ISF_E10value_typeEPSG_NS1_7vsmem_tEENKUlT_SE_SF_SG_E_clIS8_S8_S9_S9_EESD_ST_SE_SF_SG_EUlST_E0_NS1_11comp_targetILNS1_3genE2ELNS1_11target_archE906ELNS1_3gpuE6ELNS1_3repE0EEENS1_38merge_mergepath_config_static_selectorELNS0_4arch9wavefront6targetE1EEEvSF_,comdat
.Lfunc_end589:
	.size	_ZN7rocprim17ROCPRIM_400000_NS6detail17trampoline_kernelINS0_14default_configENS1_38merge_sort_block_merge_config_selectorIiNS0_10empty_typeEEEZZNS1_27merge_sort_block_merge_implIS3_PiPS5_jNS1_19radix_merge_compareILb0ELb0EiNS0_19identity_decomposerEEEEE10hipError_tT0_T1_T2_jT3_P12ihipStream_tbPNSt15iterator_traitsISE_E10value_typeEPNSK_ISF_E10value_typeEPSG_NS1_7vsmem_tEENKUlT_SE_SF_SG_E_clIS8_S8_S9_S9_EESD_ST_SE_SF_SG_EUlST_E0_NS1_11comp_targetILNS1_3genE2ELNS1_11target_archE906ELNS1_3gpuE6ELNS1_3repE0EEENS1_38merge_mergepath_config_static_selectorELNS0_4arch9wavefront6targetE1EEEvSF_, .Lfunc_end589-_ZN7rocprim17ROCPRIM_400000_NS6detail17trampoline_kernelINS0_14default_configENS1_38merge_sort_block_merge_config_selectorIiNS0_10empty_typeEEEZZNS1_27merge_sort_block_merge_implIS3_PiPS5_jNS1_19radix_merge_compareILb0ELb0EiNS0_19identity_decomposerEEEEE10hipError_tT0_T1_T2_jT3_P12ihipStream_tbPNSt15iterator_traitsISE_E10value_typeEPNSK_ISF_E10value_typeEPSG_NS1_7vsmem_tEENKUlT_SE_SF_SG_E_clIS8_S8_S9_S9_EESD_ST_SE_SF_SG_EUlST_E0_NS1_11comp_targetILNS1_3genE2ELNS1_11target_archE906ELNS1_3gpuE6ELNS1_3repE0EEENS1_38merge_mergepath_config_static_selectorELNS0_4arch9wavefront6targetE1EEEvSF_
                                        ; -- End function
	.section	.AMDGPU.csdata,"",@progbits
; Kernel info:
; codeLenInByte = 0
; NumSgprs: 4
; NumVgprs: 0
; NumAgprs: 0
; TotalNumVgprs: 0
; ScratchSize: 0
; MemoryBound: 0
; FloatMode: 240
; IeeeMode: 1
; LDSByteSize: 0 bytes/workgroup (compile time only)
; SGPRBlocks: 0
; VGPRBlocks: 0
; NumSGPRsForWavesPerEU: 4
; NumVGPRsForWavesPerEU: 1
; AccumOffset: 4
; Occupancy: 8
; WaveLimiterHint : 0
; COMPUTE_PGM_RSRC2:SCRATCH_EN: 0
; COMPUTE_PGM_RSRC2:USER_SGPR: 6
; COMPUTE_PGM_RSRC2:TRAP_HANDLER: 0
; COMPUTE_PGM_RSRC2:TGID_X_EN: 1
; COMPUTE_PGM_RSRC2:TGID_Y_EN: 0
; COMPUTE_PGM_RSRC2:TGID_Z_EN: 0
; COMPUTE_PGM_RSRC2:TIDIG_COMP_CNT: 0
; COMPUTE_PGM_RSRC3_GFX90A:ACCUM_OFFSET: 0
; COMPUTE_PGM_RSRC3_GFX90A:TG_SPLIT: 0
	.section	.text._ZN7rocprim17ROCPRIM_400000_NS6detail17trampoline_kernelINS0_14default_configENS1_38merge_sort_block_merge_config_selectorIiNS0_10empty_typeEEEZZNS1_27merge_sort_block_merge_implIS3_PiPS5_jNS1_19radix_merge_compareILb0ELb0EiNS0_19identity_decomposerEEEEE10hipError_tT0_T1_T2_jT3_P12ihipStream_tbPNSt15iterator_traitsISE_E10value_typeEPNSK_ISF_E10value_typeEPSG_NS1_7vsmem_tEENKUlT_SE_SF_SG_E_clIS8_S8_S9_S9_EESD_ST_SE_SF_SG_EUlST_E0_NS1_11comp_targetILNS1_3genE9ELNS1_11target_archE1100ELNS1_3gpuE3ELNS1_3repE0EEENS1_38merge_mergepath_config_static_selectorELNS0_4arch9wavefront6targetE1EEEvSF_,"axG",@progbits,_ZN7rocprim17ROCPRIM_400000_NS6detail17trampoline_kernelINS0_14default_configENS1_38merge_sort_block_merge_config_selectorIiNS0_10empty_typeEEEZZNS1_27merge_sort_block_merge_implIS3_PiPS5_jNS1_19radix_merge_compareILb0ELb0EiNS0_19identity_decomposerEEEEE10hipError_tT0_T1_T2_jT3_P12ihipStream_tbPNSt15iterator_traitsISE_E10value_typeEPNSK_ISF_E10value_typeEPSG_NS1_7vsmem_tEENKUlT_SE_SF_SG_E_clIS8_S8_S9_S9_EESD_ST_SE_SF_SG_EUlST_E0_NS1_11comp_targetILNS1_3genE9ELNS1_11target_archE1100ELNS1_3gpuE3ELNS1_3repE0EEENS1_38merge_mergepath_config_static_selectorELNS0_4arch9wavefront6targetE1EEEvSF_,comdat
	.protected	_ZN7rocprim17ROCPRIM_400000_NS6detail17trampoline_kernelINS0_14default_configENS1_38merge_sort_block_merge_config_selectorIiNS0_10empty_typeEEEZZNS1_27merge_sort_block_merge_implIS3_PiPS5_jNS1_19radix_merge_compareILb0ELb0EiNS0_19identity_decomposerEEEEE10hipError_tT0_T1_T2_jT3_P12ihipStream_tbPNSt15iterator_traitsISE_E10value_typeEPNSK_ISF_E10value_typeEPSG_NS1_7vsmem_tEENKUlT_SE_SF_SG_E_clIS8_S8_S9_S9_EESD_ST_SE_SF_SG_EUlST_E0_NS1_11comp_targetILNS1_3genE9ELNS1_11target_archE1100ELNS1_3gpuE3ELNS1_3repE0EEENS1_38merge_mergepath_config_static_selectorELNS0_4arch9wavefront6targetE1EEEvSF_ ; -- Begin function _ZN7rocprim17ROCPRIM_400000_NS6detail17trampoline_kernelINS0_14default_configENS1_38merge_sort_block_merge_config_selectorIiNS0_10empty_typeEEEZZNS1_27merge_sort_block_merge_implIS3_PiPS5_jNS1_19radix_merge_compareILb0ELb0EiNS0_19identity_decomposerEEEEE10hipError_tT0_T1_T2_jT3_P12ihipStream_tbPNSt15iterator_traitsISE_E10value_typeEPNSK_ISF_E10value_typeEPSG_NS1_7vsmem_tEENKUlT_SE_SF_SG_E_clIS8_S8_S9_S9_EESD_ST_SE_SF_SG_EUlST_E0_NS1_11comp_targetILNS1_3genE9ELNS1_11target_archE1100ELNS1_3gpuE3ELNS1_3repE0EEENS1_38merge_mergepath_config_static_selectorELNS0_4arch9wavefront6targetE1EEEvSF_
	.globl	_ZN7rocprim17ROCPRIM_400000_NS6detail17trampoline_kernelINS0_14default_configENS1_38merge_sort_block_merge_config_selectorIiNS0_10empty_typeEEEZZNS1_27merge_sort_block_merge_implIS3_PiPS5_jNS1_19radix_merge_compareILb0ELb0EiNS0_19identity_decomposerEEEEE10hipError_tT0_T1_T2_jT3_P12ihipStream_tbPNSt15iterator_traitsISE_E10value_typeEPNSK_ISF_E10value_typeEPSG_NS1_7vsmem_tEENKUlT_SE_SF_SG_E_clIS8_S8_S9_S9_EESD_ST_SE_SF_SG_EUlST_E0_NS1_11comp_targetILNS1_3genE9ELNS1_11target_archE1100ELNS1_3gpuE3ELNS1_3repE0EEENS1_38merge_mergepath_config_static_selectorELNS0_4arch9wavefront6targetE1EEEvSF_
	.p2align	8
	.type	_ZN7rocprim17ROCPRIM_400000_NS6detail17trampoline_kernelINS0_14default_configENS1_38merge_sort_block_merge_config_selectorIiNS0_10empty_typeEEEZZNS1_27merge_sort_block_merge_implIS3_PiPS5_jNS1_19radix_merge_compareILb0ELb0EiNS0_19identity_decomposerEEEEE10hipError_tT0_T1_T2_jT3_P12ihipStream_tbPNSt15iterator_traitsISE_E10value_typeEPNSK_ISF_E10value_typeEPSG_NS1_7vsmem_tEENKUlT_SE_SF_SG_E_clIS8_S8_S9_S9_EESD_ST_SE_SF_SG_EUlST_E0_NS1_11comp_targetILNS1_3genE9ELNS1_11target_archE1100ELNS1_3gpuE3ELNS1_3repE0EEENS1_38merge_mergepath_config_static_selectorELNS0_4arch9wavefront6targetE1EEEvSF_,@function
_ZN7rocprim17ROCPRIM_400000_NS6detail17trampoline_kernelINS0_14default_configENS1_38merge_sort_block_merge_config_selectorIiNS0_10empty_typeEEEZZNS1_27merge_sort_block_merge_implIS3_PiPS5_jNS1_19radix_merge_compareILb0ELb0EiNS0_19identity_decomposerEEEEE10hipError_tT0_T1_T2_jT3_P12ihipStream_tbPNSt15iterator_traitsISE_E10value_typeEPNSK_ISF_E10value_typeEPSG_NS1_7vsmem_tEENKUlT_SE_SF_SG_E_clIS8_S8_S9_S9_EESD_ST_SE_SF_SG_EUlST_E0_NS1_11comp_targetILNS1_3genE9ELNS1_11target_archE1100ELNS1_3gpuE3ELNS1_3repE0EEENS1_38merge_mergepath_config_static_selectorELNS0_4arch9wavefront6targetE1EEEvSF_: ; @_ZN7rocprim17ROCPRIM_400000_NS6detail17trampoline_kernelINS0_14default_configENS1_38merge_sort_block_merge_config_selectorIiNS0_10empty_typeEEEZZNS1_27merge_sort_block_merge_implIS3_PiPS5_jNS1_19radix_merge_compareILb0ELb0EiNS0_19identity_decomposerEEEEE10hipError_tT0_T1_T2_jT3_P12ihipStream_tbPNSt15iterator_traitsISE_E10value_typeEPNSK_ISF_E10value_typeEPSG_NS1_7vsmem_tEENKUlT_SE_SF_SG_E_clIS8_S8_S9_S9_EESD_ST_SE_SF_SG_EUlST_E0_NS1_11comp_targetILNS1_3genE9ELNS1_11target_archE1100ELNS1_3gpuE3ELNS1_3repE0EEENS1_38merge_mergepath_config_static_selectorELNS0_4arch9wavefront6targetE1EEEvSF_
; %bb.0:
	.section	.rodata,"a",@progbits
	.p2align	6, 0x0
	.amdhsa_kernel _ZN7rocprim17ROCPRIM_400000_NS6detail17trampoline_kernelINS0_14default_configENS1_38merge_sort_block_merge_config_selectorIiNS0_10empty_typeEEEZZNS1_27merge_sort_block_merge_implIS3_PiPS5_jNS1_19radix_merge_compareILb0ELb0EiNS0_19identity_decomposerEEEEE10hipError_tT0_T1_T2_jT3_P12ihipStream_tbPNSt15iterator_traitsISE_E10value_typeEPNSK_ISF_E10value_typeEPSG_NS1_7vsmem_tEENKUlT_SE_SF_SG_E_clIS8_S8_S9_S9_EESD_ST_SE_SF_SG_EUlST_E0_NS1_11comp_targetILNS1_3genE9ELNS1_11target_archE1100ELNS1_3gpuE3ELNS1_3repE0EEENS1_38merge_mergepath_config_static_selectorELNS0_4arch9wavefront6targetE1EEEvSF_
		.amdhsa_group_segment_fixed_size 0
		.amdhsa_private_segment_fixed_size 0
		.amdhsa_kernarg_size 64
		.amdhsa_user_sgpr_count 6
		.amdhsa_user_sgpr_private_segment_buffer 1
		.amdhsa_user_sgpr_dispatch_ptr 0
		.amdhsa_user_sgpr_queue_ptr 0
		.amdhsa_user_sgpr_kernarg_segment_ptr 1
		.amdhsa_user_sgpr_dispatch_id 0
		.amdhsa_user_sgpr_flat_scratch_init 0
		.amdhsa_user_sgpr_kernarg_preload_length 0
		.amdhsa_user_sgpr_kernarg_preload_offset 0
		.amdhsa_user_sgpr_private_segment_size 0
		.amdhsa_uses_dynamic_stack 0
		.amdhsa_system_sgpr_private_segment_wavefront_offset 0
		.amdhsa_system_sgpr_workgroup_id_x 1
		.amdhsa_system_sgpr_workgroup_id_y 0
		.amdhsa_system_sgpr_workgroup_id_z 0
		.amdhsa_system_sgpr_workgroup_info 0
		.amdhsa_system_vgpr_workitem_id 0
		.amdhsa_next_free_vgpr 1
		.amdhsa_next_free_sgpr 0
		.amdhsa_accum_offset 4
		.amdhsa_reserve_vcc 0
		.amdhsa_reserve_flat_scratch 0
		.amdhsa_float_round_mode_32 0
		.amdhsa_float_round_mode_16_64 0
		.amdhsa_float_denorm_mode_32 3
		.amdhsa_float_denorm_mode_16_64 3
		.amdhsa_dx10_clamp 1
		.amdhsa_ieee_mode 1
		.amdhsa_fp16_overflow 0
		.amdhsa_tg_split 0
		.amdhsa_exception_fp_ieee_invalid_op 0
		.amdhsa_exception_fp_denorm_src 0
		.amdhsa_exception_fp_ieee_div_zero 0
		.amdhsa_exception_fp_ieee_overflow 0
		.amdhsa_exception_fp_ieee_underflow 0
		.amdhsa_exception_fp_ieee_inexact 0
		.amdhsa_exception_int_div_zero 0
	.end_amdhsa_kernel
	.section	.text._ZN7rocprim17ROCPRIM_400000_NS6detail17trampoline_kernelINS0_14default_configENS1_38merge_sort_block_merge_config_selectorIiNS0_10empty_typeEEEZZNS1_27merge_sort_block_merge_implIS3_PiPS5_jNS1_19radix_merge_compareILb0ELb0EiNS0_19identity_decomposerEEEEE10hipError_tT0_T1_T2_jT3_P12ihipStream_tbPNSt15iterator_traitsISE_E10value_typeEPNSK_ISF_E10value_typeEPSG_NS1_7vsmem_tEENKUlT_SE_SF_SG_E_clIS8_S8_S9_S9_EESD_ST_SE_SF_SG_EUlST_E0_NS1_11comp_targetILNS1_3genE9ELNS1_11target_archE1100ELNS1_3gpuE3ELNS1_3repE0EEENS1_38merge_mergepath_config_static_selectorELNS0_4arch9wavefront6targetE1EEEvSF_,"axG",@progbits,_ZN7rocprim17ROCPRIM_400000_NS6detail17trampoline_kernelINS0_14default_configENS1_38merge_sort_block_merge_config_selectorIiNS0_10empty_typeEEEZZNS1_27merge_sort_block_merge_implIS3_PiPS5_jNS1_19radix_merge_compareILb0ELb0EiNS0_19identity_decomposerEEEEE10hipError_tT0_T1_T2_jT3_P12ihipStream_tbPNSt15iterator_traitsISE_E10value_typeEPNSK_ISF_E10value_typeEPSG_NS1_7vsmem_tEENKUlT_SE_SF_SG_E_clIS8_S8_S9_S9_EESD_ST_SE_SF_SG_EUlST_E0_NS1_11comp_targetILNS1_3genE9ELNS1_11target_archE1100ELNS1_3gpuE3ELNS1_3repE0EEENS1_38merge_mergepath_config_static_selectorELNS0_4arch9wavefront6targetE1EEEvSF_,comdat
.Lfunc_end590:
	.size	_ZN7rocprim17ROCPRIM_400000_NS6detail17trampoline_kernelINS0_14default_configENS1_38merge_sort_block_merge_config_selectorIiNS0_10empty_typeEEEZZNS1_27merge_sort_block_merge_implIS3_PiPS5_jNS1_19radix_merge_compareILb0ELb0EiNS0_19identity_decomposerEEEEE10hipError_tT0_T1_T2_jT3_P12ihipStream_tbPNSt15iterator_traitsISE_E10value_typeEPNSK_ISF_E10value_typeEPSG_NS1_7vsmem_tEENKUlT_SE_SF_SG_E_clIS8_S8_S9_S9_EESD_ST_SE_SF_SG_EUlST_E0_NS1_11comp_targetILNS1_3genE9ELNS1_11target_archE1100ELNS1_3gpuE3ELNS1_3repE0EEENS1_38merge_mergepath_config_static_selectorELNS0_4arch9wavefront6targetE1EEEvSF_, .Lfunc_end590-_ZN7rocprim17ROCPRIM_400000_NS6detail17trampoline_kernelINS0_14default_configENS1_38merge_sort_block_merge_config_selectorIiNS0_10empty_typeEEEZZNS1_27merge_sort_block_merge_implIS3_PiPS5_jNS1_19radix_merge_compareILb0ELb0EiNS0_19identity_decomposerEEEEE10hipError_tT0_T1_T2_jT3_P12ihipStream_tbPNSt15iterator_traitsISE_E10value_typeEPNSK_ISF_E10value_typeEPSG_NS1_7vsmem_tEENKUlT_SE_SF_SG_E_clIS8_S8_S9_S9_EESD_ST_SE_SF_SG_EUlST_E0_NS1_11comp_targetILNS1_3genE9ELNS1_11target_archE1100ELNS1_3gpuE3ELNS1_3repE0EEENS1_38merge_mergepath_config_static_selectorELNS0_4arch9wavefront6targetE1EEEvSF_
                                        ; -- End function
	.section	.AMDGPU.csdata,"",@progbits
; Kernel info:
; codeLenInByte = 0
; NumSgprs: 4
; NumVgprs: 0
; NumAgprs: 0
; TotalNumVgprs: 0
; ScratchSize: 0
; MemoryBound: 0
; FloatMode: 240
; IeeeMode: 1
; LDSByteSize: 0 bytes/workgroup (compile time only)
; SGPRBlocks: 0
; VGPRBlocks: 0
; NumSGPRsForWavesPerEU: 4
; NumVGPRsForWavesPerEU: 1
; AccumOffset: 4
; Occupancy: 8
; WaveLimiterHint : 0
; COMPUTE_PGM_RSRC2:SCRATCH_EN: 0
; COMPUTE_PGM_RSRC2:USER_SGPR: 6
; COMPUTE_PGM_RSRC2:TRAP_HANDLER: 0
; COMPUTE_PGM_RSRC2:TGID_X_EN: 1
; COMPUTE_PGM_RSRC2:TGID_Y_EN: 0
; COMPUTE_PGM_RSRC2:TGID_Z_EN: 0
; COMPUTE_PGM_RSRC2:TIDIG_COMP_CNT: 0
; COMPUTE_PGM_RSRC3_GFX90A:ACCUM_OFFSET: 0
; COMPUTE_PGM_RSRC3_GFX90A:TG_SPLIT: 0
	.section	.text._ZN7rocprim17ROCPRIM_400000_NS6detail17trampoline_kernelINS0_14default_configENS1_38merge_sort_block_merge_config_selectorIiNS0_10empty_typeEEEZZNS1_27merge_sort_block_merge_implIS3_PiPS5_jNS1_19radix_merge_compareILb0ELb0EiNS0_19identity_decomposerEEEEE10hipError_tT0_T1_T2_jT3_P12ihipStream_tbPNSt15iterator_traitsISE_E10value_typeEPNSK_ISF_E10value_typeEPSG_NS1_7vsmem_tEENKUlT_SE_SF_SG_E_clIS8_S8_S9_S9_EESD_ST_SE_SF_SG_EUlST_E0_NS1_11comp_targetILNS1_3genE8ELNS1_11target_archE1030ELNS1_3gpuE2ELNS1_3repE0EEENS1_38merge_mergepath_config_static_selectorELNS0_4arch9wavefront6targetE1EEEvSF_,"axG",@progbits,_ZN7rocprim17ROCPRIM_400000_NS6detail17trampoline_kernelINS0_14default_configENS1_38merge_sort_block_merge_config_selectorIiNS0_10empty_typeEEEZZNS1_27merge_sort_block_merge_implIS3_PiPS5_jNS1_19radix_merge_compareILb0ELb0EiNS0_19identity_decomposerEEEEE10hipError_tT0_T1_T2_jT3_P12ihipStream_tbPNSt15iterator_traitsISE_E10value_typeEPNSK_ISF_E10value_typeEPSG_NS1_7vsmem_tEENKUlT_SE_SF_SG_E_clIS8_S8_S9_S9_EESD_ST_SE_SF_SG_EUlST_E0_NS1_11comp_targetILNS1_3genE8ELNS1_11target_archE1030ELNS1_3gpuE2ELNS1_3repE0EEENS1_38merge_mergepath_config_static_selectorELNS0_4arch9wavefront6targetE1EEEvSF_,comdat
	.protected	_ZN7rocprim17ROCPRIM_400000_NS6detail17trampoline_kernelINS0_14default_configENS1_38merge_sort_block_merge_config_selectorIiNS0_10empty_typeEEEZZNS1_27merge_sort_block_merge_implIS3_PiPS5_jNS1_19radix_merge_compareILb0ELb0EiNS0_19identity_decomposerEEEEE10hipError_tT0_T1_T2_jT3_P12ihipStream_tbPNSt15iterator_traitsISE_E10value_typeEPNSK_ISF_E10value_typeEPSG_NS1_7vsmem_tEENKUlT_SE_SF_SG_E_clIS8_S8_S9_S9_EESD_ST_SE_SF_SG_EUlST_E0_NS1_11comp_targetILNS1_3genE8ELNS1_11target_archE1030ELNS1_3gpuE2ELNS1_3repE0EEENS1_38merge_mergepath_config_static_selectorELNS0_4arch9wavefront6targetE1EEEvSF_ ; -- Begin function _ZN7rocprim17ROCPRIM_400000_NS6detail17trampoline_kernelINS0_14default_configENS1_38merge_sort_block_merge_config_selectorIiNS0_10empty_typeEEEZZNS1_27merge_sort_block_merge_implIS3_PiPS5_jNS1_19radix_merge_compareILb0ELb0EiNS0_19identity_decomposerEEEEE10hipError_tT0_T1_T2_jT3_P12ihipStream_tbPNSt15iterator_traitsISE_E10value_typeEPNSK_ISF_E10value_typeEPSG_NS1_7vsmem_tEENKUlT_SE_SF_SG_E_clIS8_S8_S9_S9_EESD_ST_SE_SF_SG_EUlST_E0_NS1_11comp_targetILNS1_3genE8ELNS1_11target_archE1030ELNS1_3gpuE2ELNS1_3repE0EEENS1_38merge_mergepath_config_static_selectorELNS0_4arch9wavefront6targetE1EEEvSF_
	.globl	_ZN7rocprim17ROCPRIM_400000_NS6detail17trampoline_kernelINS0_14default_configENS1_38merge_sort_block_merge_config_selectorIiNS0_10empty_typeEEEZZNS1_27merge_sort_block_merge_implIS3_PiPS5_jNS1_19radix_merge_compareILb0ELb0EiNS0_19identity_decomposerEEEEE10hipError_tT0_T1_T2_jT3_P12ihipStream_tbPNSt15iterator_traitsISE_E10value_typeEPNSK_ISF_E10value_typeEPSG_NS1_7vsmem_tEENKUlT_SE_SF_SG_E_clIS8_S8_S9_S9_EESD_ST_SE_SF_SG_EUlST_E0_NS1_11comp_targetILNS1_3genE8ELNS1_11target_archE1030ELNS1_3gpuE2ELNS1_3repE0EEENS1_38merge_mergepath_config_static_selectorELNS0_4arch9wavefront6targetE1EEEvSF_
	.p2align	8
	.type	_ZN7rocprim17ROCPRIM_400000_NS6detail17trampoline_kernelINS0_14default_configENS1_38merge_sort_block_merge_config_selectorIiNS0_10empty_typeEEEZZNS1_27merge_sort_block_merge_implIS3_PiPS5_jNS1_19radix_merge_compareILb0ELb0EiNS0_19identity_decomposerEEEEE10hipError_tT0_T1_T2_jT3_P12ihipStream_tbPNSt15iterator_traitsISE_E10value_typeEPNSK_ISF_E10value_typeEPSG_NS1_7vsmem_tEENKUlT_SE_SF_SG_E_clIS8_S8_S9_S9_EESD_ST_SE_SF_SG_EUlST_E0_NS1_11comp_targetILNS1_3genE8ELNS1_11target_archE1030ELNS1_3gpuE2ELNS1_3repE0EEENS1_38merge_mergepath_config_static_selectorELNS0_4arch9wavefront6targetE1EEEvSF_,@function
_ZN7rocprim17ROCPRIM_400000_NS6detail17trampoline_kernelINS0_14default_configENS1_38merge_sort_block_merge_config_selectorIiNS0_10empty_typeEEEZZNS1_27merge_sort_block_merge_implIS3_PiPS5_jNS1_19radix_merge_compareILb0ELb0EiNS0_19identity_decomposerEEEEE10hipError_tT0_T1_T2_jT3_P12ihipStream_tbPNSt15iterator_traitsISE_E10value_typeEPNSK_ISF_E10value_typeEPSG_NS1_7vsmem_tEENKUlT_SE_SF_SG_E_clIS8_S8_S9_S9_EESD_ST_SE_SF_SG_EUlST_E0_NS1_11comp_targetILNS1_3genE8ELNS1_11target_archE1030ELNS1_3gpuE2ELNS1_3repE0EEENS1_38merge_mergepath_config_static_selectorELNS0_4arch9wavefront6targetE1EEEvSF_: ; @_ZN7rocprim17ROCPRIM_400000_NS6detail17trampoline_kernelINS0_14default_configENS1_38merge_sort_block_merge_config_selectorIiNS0_10empty_typeEEEZZNS1_27merge_sort_block_merge_implIS3_PiPS5_jNS1_19radix_merge_compareILb0ELb0EiNS0_19identity_decomposerEEEEE10hipError_tT0_T1_T2_jT3_P12ihipStream_tbPNSt15iterator_traitsISE_E10value_typeEPNSK_ISF_E10value_typeEPSG_NS1_7vsmem_tEENKUlT_SE_SF_SG_E_clIS8_S8_S9_S9_EESD_ST_SE_SF_SG_EUlST_E0_NS1_11comp_targetILNS1_3genE8ELNS1_11target_archE1030ELNS1_3gpuE2ELNS1_3repE0EEENS1_38merge_mergepath_config_static_selectorELNS0_4arch9wavefront6targetE1EEEvSF_
; %bb.0:
	.section	.rodata,"a",@progbits
	.p2align	6, 0x0
	.amdhsa_kernel _ZN7rocprim17ROCPRIM_400000_NS6detail17trampoline_kernelINS0_14default_configENS1_38merge_sort_block_merge_config_selectorIiNS0_10empty_typeEEEZZNS1_27merge_sort_block_merge_implIS3_PiPS5_jNS1_19radix_merge_compareILb0ELb0EiNS0_19identity_decomposerEEEEE10hipError_tT0_T1_T2_jT3_P12ihipStream_tbPNSt15iterator_traitsISE_E10value_typeEPNSK_ISF_E10value_typeEPSG_NS1_7vsmem_tEENKUlT_SE_SF_SG_E_clIS8_S8_S9_S9_EESD_ST_SE_SF_SG_EUlST_E0_NS1_11comp_targetILNS1_3genE8ELNS1_11target_archE1030ELNS1_3gpuE2ELNS1_3repE0EEENS1_38merge_mergepath_config_static_selectorELNS0_4arch9wavefront6targetE1EEEvSF_
		.amdhsa_group_segment_fixed_size 0
		.amdhsa_private_segment_fixed_size 0
		.amdhsa_kernarg_size 64
		.amdhsa_user_sgpr_count 6
		.amdhsa_user_sgpr_private_segment_buffer 1
		.amdhsa_user_sgpr_dispatch_ptr 0
		.amdhsa_user_sgpr_queue_ptr 0
		.amdhsa_user_sgpr_kernarg_segment_ptr 1
		.amdhsa_user_sgpr_dispatch_id 0
		.amdhsa_user_sgpr_flat_scratch_init 0
		.amdhsa_user_sgpr_kernarg_preload_length 0
		.amdhsa_user_sgpr_kernarg_preload_offset 0
		.amdhsa_user_sgpr_private_segment_size 0
		.amdhsa_uses_dynamic_stack 0
		.amdhsa_system_sgpr_private_segment_wavefront_offset 0
		.amdhsa_system_sgpr_workgroup_id_x 1
		.amdhsa_system_sgpr_workgroup_id_y 0
		.amdhsa_system_sgpr_workgroup_id_z 0
		.amdhsa_system_sgpr_workgroup_info 0
		.amdhsa_system_vgpr_workitem_id 0
		.amdhsa_next_free_vgpr 1
		.amdhsa_next_free_sgpr 0
		.amdhsa_accum_offset 4
		.amdhsa_reserve_vcc 0
		.amdhsa_reserve_flat_scratch 0
		.amdhsa_float_round_mode_32 0
		.amdhsa_float_round_mode_16_64 0
		.amdhsa_float_denorm_mode_32 3
		.amdhsa_float_denorm_mode_16_64 3
		.amdhsa_dx10_clamp 1
		.amdhsa_ieee_mode 1
		.amdhsa_fp16_overflow 0
		.amdhsa_tg_split 0
		.amdhsa_exception_fp_ieee_invalid_op 0
		.amdhsa_exception_fp_denorm_src 0
		.amdhsa_exception_fp_ieee_div_zero 0
		.amdhsa_exception_fp_ieee_overflow 0
		.amdhsa_exception_fp_ieee_underflow 0
		.amdhsa_exception_fp_ieee_inexact 0
		.amdhsa_exception_int_div_zero 0
	.end_amdhsa_kernel
	.section	.text._ZN7rocprim17ROCPRIM_400000_NS6detail17trampoline_kernelINS0_14default_configENS1_38merge_sort_block_merge_config_selectorIiNS0_10empty_typeEEEZZNS1_27merge_sort_block_merge_implIS3_PiPS5_jNS1_19radix_merge_compareILb0ELb0EiNS0_19identity_decomposerEEEEE10hipError_tT0_T1_T2_jT3_P12ihipStream_tbPNSt15iterator_traitsISE_E10value_typeEPNSK_ISF_E10value_typeEPSG_NS1_7vsmem_tEENKUlT_SE_SF_SG_E_clIS8_S8_S9_S9_EESD_ST_SE_SF_SG_EUlST_E0_NS1_11comp_targetILNS1_3genE8ELNS1_11target_archE1030ELNS1_3gpuE2ELNS1_3repE0EEENS1_38merge_mergepath_config_static_selectorELNS0_4arch9wavefront6targetE1EEEvSF_,"axG",@progbits,_ZN7rocprim17ROCPRIM_400000_NS6detail17trampoline_kernelINS0_14default_configENS1_38merge_sort_block_merge_config_selectorIiNS0_10empty_typeEEEZZNS1_27merge_sort_block_merge_implIS3_PiPS5_jNS1_19radix_merge_compareILb0ELb0EiNS0_19identity_decomposerEEEEE10hipError_tT0_T1_T2_jT3_P12ihipStream_tbPNSt15iterator_traitsISE_E10value_typeEPNSK_ISF_E10value_typeEPSG_NS1_7vsmem_tEENKUlT_SE_SF_SG_E_clIS8_S8_S9_S9_EESD_ST_SE_SF_SG_EUlST_E0_NS1_11comp_targetILNS1_3genE8ELNS1_11target_archE1030ELNS1_3gpuE2ELNS1_3repE0EEENS1_38merge_mergepath_config_static_selectorELNS0_4arch9wavefront6targetE1EEEvSF_,comdat
.Lfunc_end591:
	.size	_ZN7rocprim17ROCPRIM_400000_NS6detail17trampoline_kernelINS0_14default_configENS1_38merge_sort_block_merge_config_selectorIiNS0_10empty_typeEEEZZNS1_27merge_sort_block_merge_implIS3_PiPS5_jNS1_19radix_merge_compareILb0ELb0EiNS0_19identity_decomposerEEEEE10hipError_tT0_T1_T2_jT3_P12ihipStream_tbPNSt15iterator_traitsISE_E10value_typeEPNSK_ISF_E10value_typeEPSG_NS1_7vsmem_tEENKUlT_SE_SF_SG_E_clIS8_S8_S9_S9_EESD_ST_SE_SF_SG_EUlST_E0_NS1_11comp_targetILNS1_3genE8ELNS1_11target_archE1030ELNS1_3gpuE2ELNS1_3repE0EEENS1_38merge_mergepath_config_static_selectorELNS0_4arch9wavefront6targetE1EEEvSF_, .Lfunc_end591-_ZN7rocprim17ROCPRIM_400000_NS6detail17trampoline_kernelINS0_14default_configENS1_38merge_sort_block_merge_config_selectorIiNS0_10empty_typeEEEZZNS1_27merge_sort_block_merge_implIS3_PiPS5_jNS1_19radix_merge_compareILb0ELb0EiNS0_19identity_decomposerEEEEE10hipError_tT0_T1_T2_jT3_P12ihipStream_tbPNSt15iterator_traitsISE_E10value_typeEPNSK_ISF_E10value_typeEPSG_NS1_7vsmem_tEENKUlT_SE_SF_SG_E_clIS8_S8_S9_S9_EESD_ST_SE_SF_SG_EUlST_E0_NS1_11comp_targetILNS1_3genE8ELNS1_11target_archE1030ELNS1_3gpuE2ELNS1_3repE0EEENS1_38merge_mergepath_config_static_selectorELNS0_4arch9wavefront6targetE1EEEvSF_
                                        ; -- End function
	.section	.AMDGPU.csdata,"",@progbits
; Kernel info:
; codeLenInByte = 0
; NumSgprs: 4
; NumVgprs: 0
; NumAgprs: 0
; TotalNumVgprs: 0
; ScratchSize: 0
; MemoryBound: 0
; FloatMode: 240
; IeeeMode: 1
; LDSByteSize: 0 bytes/workgroup (compile time only)
; SGPRBlocks: 0
; VGPRBlocks: 0
; NumSGPRsForWavesPerEU: 4
; NumVGPRsForWavesPerEU: 1
; AccumOffset: 4
; Occupancy: 8
; WaveLimiterHint : 0
; COMPUTE_PGM_RSRC2:SCRATCH_EN: 0
; COMPUTE_PGM_RSRC2:USER_SGPR: 6
; COMPUTE_PGM_RSRC2:TRAP_HANDLER: 0
; COMPUTE_PGM_RSRC2:TGID_X_EN: 1
; COMPUTE_PGM_RSRC2:TGID_Y_EN: 0
; COMPUTE_PGM_RSRC2:TGID_Z_EN: 0
; COMPUTE_PGM_RSRC2:TIDIG_COMP_CNT: 0
; COMPUTE_PGM_RSRC3_GFX90A:ACCUM_OFFSET: 0
; COMPUTE_PGM_RSRC3_GFX90A:TG_SPLIT: 0
	.section	.text._ZN7rocprim17ROCPRIM_400000_NS6detail17trampoline_kernelINS0_14default_configENS1_38merge_sort_block_merge_config_selectorIiNS0_10empty_typeEEEZZNS1_27merge_sort_block_merge_implIS3_PiPS5_jNS1_19radix_merge_compareILb0ELb0EiNS0_19identity_decomposerEEEEE10hipError_tT0_T1_T2_jT3_P12ihipStream_tbPNSt15iterator_traitsISE_E10value_typeEPNSK_ISF_E10value_typeEPSG_NS1_7vsmem_tEENKUlT_SE_SF_SG_E_clIS8_S8_S9_S9_EESD_ST_SE_SF_SG_EUlST_E1_NS1_11comp_targetILNS1_3genE0ELNS1_11target_archE4294967295ELNS1_3gpuE0ELNS1_3repE0EEENS1_36merge_oddeven_config_static_selectorELNS0_4arch9wavefront6targetE1EEEvSF_,"axG",@progbits,_ZN7rocprim17ROCPRIM_400000_NS6detail17trampoline_kernelINS0_14default_configENS1_38merge_sort_block_merge_config_selectorIiNS0_10empty_typeEEEZZNS1_27merge_sort_block_merge_implIS3_PiPS5_jNS1_19radix_merge_compareILb0ELb0EiNS0_19identity_decomposerEEEEE10hipError_tT0_T1_T2_jT3_P12ihipStream_tbPNSt15iterator_traitsISE_E10value_typeEPNSK_ISF_E10value_typeEPSG_NS1_7vsmem_tEENKUlT_SE_SF_SG_E_clIS8_S8_S9_S9_EESD_ST_SE_SF_SG_EUlST_E1_NS1_11comp_targetILNS1_3genE0ELNS1_11target_archE4294967295ELNS1_3gpuE0ELNS1_3repE0EEENS1_36merge_oddeven_config_static_selectorELNS0_4arch9wavefront6targetE1EEEvSF_,comdat
	.protected	_ZN7rocprim17ROCPRIM_400000_NS6detail17trampoline_kernelINS0_14default_configENS1_38merge_sort_block_merge_config_selectorIiNS0_10empty_typeEEEZZNS1_27merge_sort_block_merge_implIS3_PiPS5_jNS1_19radix_merge_compareILb0ELb0EiNS0_19identity_decomposerEEEEE10hipError_tT0_T1_T2_jT3_P12ihipStream_tbPNSt15iterator_traitsISE_E10value_typeEPNSK_ISF_E10value_typeEPSG_NS1_7vsmem_tEENKUlT_SE_SF_SG_E_clIS8_S8_S9_S9_EESD_ST_SE_SF_SG_EUlST_E1_NS1_11comp_targetILNS1_3genE0ELNS1_11target_archE4294967295ELNS1_3gpuE0ELNS1_3repE0EEENS1_36merge_oddeven_config_static_selectorELNS0_4arch9wavefront6targetE1EEEvSF_ ; -- Begin function _ZN7rocprim17ROCPRIM_400000_NS6detail17trampoline_kernelINS0_14default_configENS1_38merge_sort_block_merge_config_selectorIiNS0_10empty_typeEEEZZNS1_27merge_sort_block_merge_implIS3_PiPS5_jNS1_19radix_merge_compareILb0ELb0EiNS0_19identity_decomposerEEEEE10hipError_tT0_T1_T2_jT3_P12ihipStream_tbPNSt15iterator_traitsISE_E10value_typeEPNSK_ISF_E10value_typeEPSG_NS1_7vsmem_tEENKUlT_SE_SF_SG_E_clIS8_S8_S9_S9_EESD_ST_SE_SF_SG_EUlST_E1_NS1_11comp_targetILNS1_3genE0ELNS1_11target_archE4294967295ELNS1_3gpuE0ELNS1_3repE0EEENS1_36merge_oddeven_config_static_selectorELNS0_4arch9wavefront6targetE1EEEvSF_
	.globl	_ZN7rocprim17ROCPRIM_400000_NS6detail17trampoline_kernelINS0_14default_configENS1_38merge_sort_block_merge_config_selectorIiNS0_10empty_typeEEEZZNS1_27merge_sort_block_merge_implIS3_PiPS5_jNS1_19radix_merge_compareILb0ELb0EiNS0_19identity_decomposerEEEEE10hipError_tT0_T1_T2_jT3_P12ihipStream_tbPNSt15iterator_traitsISE_E10value_typeEPNSK_ISF_E10value_typeEPSG_NS1_7vsmem_tEENKUlT_SE_SF_SG_E_clIS8_S8_S9_S9_EESD_ST_SE_SF_SG_EUlST_E1_NS1_11comp_targetILNS1_3genE0ELNS1_11target_archE4294967295ELNS1_3gpuE0ELNS1_3repE0EEENS1_36merge_oddeven_config_static_selectorELNS0_4arch9wavefront6targetE1EEEvSF_
	.p2align	8
	.type	_ZN7rocprim17ROCPRIM_400000_NS6detail17trampoline_kernelINS0_14default_configENS1_38merge_sort_block_merge_config_selectorIiNS0_10empty_typeEEEZZNS1_27merge_sort_block_merge_implIS3_PiPS5_jNS1_19radix_merge_compareILb0ELb0EiNS0_19identity_decomposerEEEEE10hipError_tT0_T1_T2_jT3_P12ihipStream_tbPNSt15iterator_traitsISE_E10value_typeEPNSK_ISF_E10value_typeEPSG_NS1_7vsmem_tEENKUlT_SE_SF_SG_E_clIS8_S8_S9_S9_EESD_ST_SE_SF_SG_EUlST_E1_NS1_11comp_targetILNS1_3genE0ELNS1_11target_archE4294967295ELNS1_3gpuE0ELNS1_3repE0EEENS1_36merge_oddeven_config_static_selectorELNS0_4arch9wavefront6targetE1EEEvSF_,@function
_ZN7rocprim17ROCPRIM_400000_NS6detail17trampoline_kernelINS0_14default_configENS1_38merge_sort_block_merge_config_selectorIiNS0_10empty_typeEEEZZNS1_27merge_sort_block_merge_implIS3_PiPS5_jNS1_19radix_merge_compareILb0ELb0EiNS0_19identity_decomposerEEEEE10hipError_tT0_T1_T2_jT3_P12ihipStream_tbPNSt15iterator_traitsISE_E10value_typeEPNSK_ISF_E10value_typeEPSG_NS1_7vsmem_tEENKUlT_SE_SF_SG_E_clIS8_S8_S9_S9_EESD_ST_SE_SF_SG_EUlST_E1_NS1_11comp_targetILNS1_3genE0ELNS1_11target_archE4294967295ELNS1_3gpuE0ELNS1_3repE0EEENS1_36merge_oddeven_config_static_selectorELNS0_4arch9wavefront6targetE1EEEvSF_: ; @_ZN7rocprim17ROCPRIM_400000_NS6detail17trampoline_kernelINS0_14default_configENS1_38merge_sort_block_merge_config_selectorIiNS0_10empty_typeEEEZZNS1_27merge_sort_block_merge_implIS3_PiPS5_jNS1_19radix_merge_compareILb0ELb0EiNS0_19identity_decomposerEEEEE10hipError_tT0_T1_T2_jT3_P12ihipStream_tbPNSt15iterator_traitsISE_E10value_typeEPNSK_ISF_E10value_typeEPSG_NS1_7vsmem_tEENKUlT_SE_SF_SG_E_clIS8_S8_S9_S9_EESD_ST_SE_SF_SG_EUlST_E1_NS1_11comp_targetILNS1_3genE0ELNS1_11target_archE4294967295ELNS1_3gpuE0ELNS1_3repE0EEENS1_36merge_oddeven_config_static_selectorELNS0_4arch9wavefront6targetE1EEEvSF_
; %bb.0:
	.section	.rodata,"a",@progbits
	.p2align	6, 0x0
	.amdhsa_kernel _ZN7rocprim17ROCPRIM_400000_NS6detail17trampoline_kernelINS0_14default_configENS1_38merge_sort_block_merge_config_selectorIiNS0_10empty_typeEEEZZNS1_27merge_sort_block_merge_implIS3_PiPS5_jNS1_19radix_merge_compareILb0ELb0EiNS0_19identity_decomposerEEEEE10hipError_tT0_T1_T2_jT3_P12ihipStream_tbPNSt15iterator_traitsISE_E10value_typeEPNSK_ISF_E10value_typeEPSG_NS1_7vsmem_tEENKUlT_SE_SF_SG_E_clIS8_S8_S9_S9_EESD_ST_SE_SF_SG_EUlST_E1_NS1_11comp_targetILNS1_3genE0ELNS1_11target_archE4294967295ELNS1_3gpuE0ELNS1_3repE0EEENS1_36merge_oddeven_config_static_selectorELNS0_4arch9wavefront6targetE1EEEvSF_
		.amdhsa_group_segment_fixed_size 0
		.amdhsa_private_segment_fixed_size 0
		.amdhsa_kernarg_size 48
		.amdhsa_user_sgpr_count 6
		.amdhsa_user_sgpr_private_segment_buffer 1
		.amdhsa_user_sgpr_dispatch_ptr 0
		.amdhsa_user_sgpr_queue_ptr 0
		.amdhsa_user_sgpr_kernarg_segment_ptr 1
		.amdhsa_user_sgpr_dispatch_id 0
		.amdhsa_user_sgpr_flat_scratch_init 0
		.amdhsa_user_sgpr_kernarg_preload_length 0
		.amdhsa_user_sgpr_kernarg_preload_offset 0
		.amdhsa_user_sgpr_private_segment_size 0
		.amdhsa_uses_dynamic_stack 0
		.amdhsa_system_sgpr_private_segment_wavefront_offset 0
		.amdhsa_system_sgpr_workgroup_id_x 1
		.amdhsa_system_sgpr_workgroup_id_y 0
		.amdhsa_system_sgpr_workgroup_id_z 0
		.amdhsa_system_sgpr_workgroup_info 0
		.amdhsa_system_vgpr_workitem_id 0
		.amdhsa_next_free_vgpr 1
		.amdhsa_next_free_sgpr 0
		.amdhsa_accum_offset 4
		.amdhsa_reserve_vcc 0
		.amdhsa_reserve_flat_scratch 0
		.amdhsa_float_round_mode_32 0
		.amdhsa_float_round_mode_16_64 0
		.amdhsa_float_denorm_mode_32 3
		.amdhsa_float_denorm_mode_16_64 3
		.amdhsa_dx10_clamp 1
		.amdhsa_ieee_mode 1
		.amdhsa_fp16_overflow 0
		.amdhsa_tg_split 0
		.amdhsa_exception_fp_ieee_invalid_op 0
		.amdhsa_exception_fp_denorm_src 0
		.amdhsa_exception_fp_ieee_div_zero 0
		.amdhsa_exception_fp_ieee_overflow 0
		.amdhsa_exception_fp_ieee_underflow 0
		.amdhsa_exception_fp_ieee_inexact 0
		.amdhsa_exception_int_div_zero 0
	.end_amdhsa_kernel
	.section	.text._ZN7rocprim17ROCPRIM_400000_NS6detail17trampoline_kernelINS0_14default_configENS1_38merge_sort_block_merge_config_selectorIiNS0_10empty_typeEEEZZNS1_27merge_sort_block_merge_implIS3_PiPS5_jNS1_19radix_merge_compareILb0ELb0EiNS0_19identity_decomposerEEEEE10hipError_tT0_T1_T2_jT3_P12ihipStream_tbPNSt15iterator_traitsISE_E10value_typeEPNSK_ISF_E10value_typeEPSG_NS1_7vsmem_tEENKUlT_SE_SF_SG_E_clIS8_S8_S9_S9_EESD_ST_SE_SF_SG_EUlST_E1_NS1_11comp_targetILNS1_3genE0ELNS1_11target_archE4294967295ELNS1_3gpuE0ELNS1_3repE0EEENS1_36merge_oddeven_config_static_selectorELNS0_4arch9wavefront6targetE1EEEvSF_,"axG",@progbits,_ZN7rocprim17ROCPRIM_400000_NS6detail17trampoline_kernelINS0_14default_configENS1_38merge_sort_block_merge_config_selectorIiNS0_10empty_typeEEEZZNS1_27merge_sort_block_merge_implIS3_PiPS5_jNS1_19radix_merge_compareILb0ELb0EiNS0_19identity_decomposerEEEEE10hipError_tT0_T1_T2_jT3_P12ihipStream_tbPNSt15iterator_traitsISE_E10value_typeEPNSK_ISF_E10value_typeEPSG_NS1_7vsmem_tEENKUlT_SE_SF_SG_E_clIS8_S8_S9_S9_EESD_ST_SE_SF_SG_EUlST_E1_NS1_11comp_targetILNS1_3genE0ELNS1_11target_archE4294967295ELNS1_3gpuE0ELNS1_3repE0EEENS1_36merge_oddeven_config_static_selectorELNS0_4arch9wavefront6targetE1EEEvSF_,comdat
.Lfunc_end592:
	.size	_ZN7rocprim17ROCPRIM_400000_NS6detail17trampoline_kernelINS0_14default_configENS1_38merge_sort_block_merge_config_selectorIiNS0_10empty_typeEEEZZNS1_27merge_sort_block_merge_implIS3_PiPS5_jNS1_19radix_merge_compareILb0ELb0EiNS0_19identity_decomposerEEEEE10hipError_tT0_T1_T2_jT3_P12ihipStream_tbPNSt15iterator_traitsISE_E10value_typeEPNSK_ISF_E10value_typeEPSG_NS1_7vsmem_tEENKUlT_SE_SF_SG_E_clIS8_S8_S9_S9_EESD_ST_SE_SF_SG_EUlST_E1_NS1_11comp_targetILNS1_3genE0ELNS1_11target_archE4294967295ELNS1_3gpuE0ELNS1_3repE0EEENS1_36merge_oddeven_config_static_selectorELNS0_4arch9wavefront6targetE1EEEvSF_, .Lfunc_end592-_ZN7rocprim17ROCPRIM_400000_NS6detail17trampoline_kernelINS0_14default_configENS1_38merge_sort_block_merge_config_selectorIiNS0_10empty_typeEEEZZNS1_27merge_sort_block_merge_implIS3_PiPS5_jNS1_19radix_merge_compareILb0ELb0EiNS0_19identity_decomposerEEEEE10hipError_tT0_T1_T2_jT3_P12ihipStream_tbPNSt15iterator_traitsISE_E10value_typeEPNSK_ISF_E10value_typeEPSG_NS1_7vsmem_tEENKUlT_SE_SF_SG_E_clIS8_S8_S9_S9_EESD_ST_SE_SF_SG_EUlST_E1_NS1_11comp_targetILNS1_3genE0ELNS1_11target_archE4294967295ELNS1_3gpuE0ELNS1_3repE0EEENS1_36merge_oddeven_config_static_selectorELNS0_4arch9wavefront6targetE1EEEvSF_
                                        ; -- End function
	.section	.AMDGPU.csdata,"",@progbits
; Kernel info:
; codeLenInByte = 0
; NumSgprs: 4
; NumVgprs: 0
; NumAgprs: 0
; TotalNumVgprs: 0
; ScratchSize: 0
; MemoryBound: 0
; FloatMode: 240
; IeeeMode: 1
; LDSByteSize: 0 bytes/workgroup (compile time only)
; SGPRBlocks: 0
; VGPRBlocks: 0
; NumSGPRsForWavesPerEU: 4
; NumVGPRsForWavesPerEU: 1
; AccumOffset: 4
; Occupancy: 8
; WaveLimiterHint : 0
; COMPUTE_PGM_RSRC2:SCRATCH_EN: 0
; COMPUTE_PGM_RSRC2:USER_SGPR: 6
; COMPUTE_PGM_RSRC2:TRAP_HANDLER: 0
; COMPUTE_PGM_RSRC2:TGID_X_EN: 1
; COMPUTE_PGM_RSRC2:TGID_Y_EN: 0
; COMPUTE_PGM_RSRC2:TGID_Z_EN: 0
; COMPUTE_PGM_RSRC2:TIDIG_COMP_CNT: 0
; COMPUTE_PGM_RSRC3_GFX90A:ACCUM_OFFSET: 0
; COMPUTE_PGM_RSRC3_GFX90A:TG_SPLIT: 0
	.section	.text._ZN7rocprim17ROCPRIM_400000_NS6detail17trampoline_kernelINS0_14default_configENS1_38merge_sort_block_merge_config_selectorIiNS0_10empty_typeEEEZZNS1_27merge_sort_block_merge_implIS3_PiPS5_jNS1_19radix_merge_compareILb0ELb0EiNS0_19identity_decomposerEEEEE10hipError_tT0_T1_T2_jT3_P12ihipStream_tbPNSt15iterator_traitsISE_E10value_typeEPNSK_ISF_E10value_typeEPSG_NS1_7vsmem_tEENKUlT_SE_SF_SG_E_clIS8_S8_S9_S9_EESD_ST_SE_SF_SG_EUlST_E1_NS1_11comp_targetILNS1_3genE10ELNS1_11target_archE1201ELNS1_3gpuE5ELNS1_3repE0EEENS1_36merge_oddeven_config_static_selectorELNS0_4arch9wavefront6targetE1EEEvSF_,"axG",@progbits,_ZN7rocprim17ROCPRIM_400000_NS6detail17trampoline_kernelINS0_14default_configENS1_38merge_sort_block_merge_config_selectorIiNS0_10empty_typeEEEZZNS1_27merge_sort_block_merge_implIS3_PiPS5_jNS1_19radix_merge_compareILb0ELb0EiNS0_19identity_decomposerEEEEE10hipError_tT0_T1_T2_jT3_P12ihipStream_tbPNSt15iterator_traitsISE_E10value_typeEPNSK_ISF_E10value_typeEPSG_NS1_7vsmem_tEENKUlT_SE_SF_SG_E_clIS8_S8_S9_S9_EESD_ST_SE_SF_SG_EUlST_E1_NS1_11comp_targetILNS1_3genE10ELNS1_11target_archE1201ELNS1_3gpuE5ELNS1_3repE0EEENS1_36merge_oddeven_config_static_selectorELNS0_4arch9wavefront6targetE1EEEvSF_,comdat
	.protected	_ZN7rocprim17ROCPRIM_400000_NS6detail17trampoline_kernelINS0_14default_configENS1_38merge_sort_block_merge_config_selectorIiNS0_10empty_typeEEEZZNS1_27merge_sort_block_merge_implIS3_PiPS5_jNS1_19radix_merge_compareILb0ELb0EiNS0_19identity_decomposerEEEEE10hipError_tT0_T1_T2_jT3_P12ihipStream_tbPNSt15iterator_traitsISE_E10value_typeEPNSK_ISF_E10value_typeEPSG_NS1_7vsmem_tEENKUlT_SE_SF_SG_E_clIS8_S8_S9_S9_EESD_ST_SE_SF_SG_EUlST_E1_NS1_11comp_targetILNS1_3genE10ELNS1_11target_archE1201ELNS1_3gpuE5ELNS1_3repE0EEENS1_36merge_oddeven_config_static_selectorELNS0_4arch9wavefront6targetE1EEEvSF_ ; -- Begin function _ZN7rocprim17ROCPRIM_400000_NS6detail17trampoline_kernelINS0_14default_configENS1_38merge_sort_block_merge_config_selectorIiNS0_10empty_typeEEEZZNS1_27merge_sort_block_merge_implIS3_PiPS5_jNS1_19radix_merge_compareILb0ELb0EiNS0_19identity_decomposerEEEEE10hipError_tT0_T1_T2_jT3_P12ihipStream_tbPNSt15iterator_traitsISE_E10value_typeEPNSK_ISF_E10value_typeEPSG_NS1_7vsmem_tEENKUlT_SE_SF_SG_E_clIS8_S8_S9_S9_EESD_ST_SE_SF_SG_EUlST_E1_NS1_11comp_targetILNS1_3genE10ELNS1_11target_archE1201ELNS1_3gpuE5ELNS1_3repE0EEENS1_36merge_oddeven_config_static_selectorELNS0_4arch9wavefront6targetE1EEEvSF_
	.globl	_ZN7rocprim17ROCPRIM_400000_NS6detail17trampoline_kernelINS0_14default_configENS1_38merge_sort_block_merge_config_selectorIiNS0_10empty_typeEEEZZNS1_27merge_sort_block_merge_implIS3_PiPS5_jNS1_19radix_merge_compareILb0ELb0EiNS0_19identity_decomposerEEEEE10hipError_tT0_T1_T2_jT3_P12ihipStream_tbPNSt15iterator_traitsISE_E10value_typeEPNSK_ISF_E10value_typeEPSG_NS1_7vsmem_tEENKUlT_SE_SF_SG_E_clIS8_S8_S9_S9_EESD_ST_SE_SF_SG_EUlST_E1_NS1_11comp_targetILNS1_3genE10ELNS1_11target_archE1201ELNS1_3gpuE5ELNS1_3repE0EEENS1_36merge_oddeven_config_static_selectorELNS0_4arch9wavefront6targetE1EEEvSF_
	.p2align	8
	.type	_ZN7rocprim17ROCPRIM_400000_NS6detail17trampoline_kernelINS0_14default_configENS1_38merge_sort_block_merge_config_selectorIiNS0_10empty_typeEEEZZNS1_27merge_sort_block_merge_implIS3_PiPS5_jNS1_19radix_merge_compareILb0ELb0EiNS0_19identity_decomposerEEEEE10hipError_tT0_T1_T2_jT3_P12ihipStream_tbPNSt15iterator_traitsISE_E10value_typeEPNSK_ISF_E10value_typeEPSG_NS1_7vsmem_tEENKUlT_SE_SF_SG_E_clIS8_S8_S9_S9_EESD_ST_SE_SF_SG_EUlST_E1_NS1_11comp_targetILNS1_3genE10ELNS1_11target_archE1201ELNS1_3gpuE5ELNS1_3repE0EEENS1_36merge_oddeven_config_static_selectorELNS0_4arch9wavefront6targetE1EEEvSF_,@function
_ZN7rocprim17ROCPRIM_400000_NS6detail17trampoline_kernelINS0_14default_configENS1_38merge_sort_block_merge_config_selectorIiNS0_10empty_typeEEEZZNS1_27merge_sort_block_merge_implIS3_PiPS5_jNS1_19radix_merge_compareILb0ELb0EiNS0_19identity_decomposerEEEEE10hipError_tT0_T1_T2_jT3_P12ihipStream_tbPNSt15iterator_traitsISE_E10value_typeEPNSK_ISF_E10value_typeEPSG_NS1_7vsmem_tEENKUlT_SE_SF_SG_E_clIS8_S8_S9_S9_EESD_ST_SE_SF_SG_EUlST_E1_NS1_11comp_targetILNS1_3genE10ELNS1_11target_archE1201ELNS1_3gpuE5ELNS1_3repE0EEENS1_36merge_oddeven_config_static_selectorELNS0_4arch9wavefront6targetE1EEEvSF_: ; @_ZN7rocprim17ROCPRIM_400000_NS6detail17trampoline_kernelINS0_14default_configENS1_38merge_sort_block_merge_config_selectorIiNS0_10empty_typeEEEZZNS1_27merge_sort_block_merge_implIS3_PiPS5_jNS1_19radix_merge_compareILb0ELb0EiNS0_19identity_decomposerEEEEE10hipError_tT0_T1_T2_jT3_P12ihipStream_tbPNSt15iterator_traitsISE_E10value_typeEPNSK_ISF_E10value_typeEPSG_NS1_7vsmem_tEENKUlT_SE_SF_SG_E_clIS8_S8_S9_S9_EESD_ST_SE_SF_SG_EUlST_E1_NS1_11comp_targetILNS1_3genE10ELNS1_11target_archE1201ELNS1_3gpuE5ELNS1_3repE0EEENS1_36merge_oddeven_config_static_selectorELNS0_4arch9wavefront6targetE1EEEvSF_
; %bb.0:
	.section	.rodata,"a",@progbits
	.p2align	6, 0x0
	.amdhsa_kernel _ZN7rocprim17ROCPRIM_400000_NS6detail17trampoline_kernelINS0_14default_configENS1_38merge_sort_block_merge_config_selectorIiNS0_10empty_typeEEEZZNS1_27merge_sort_block_merge_implIS3_PiPS5_jNS1_19radix_merge_compareILb0ELb0EiNS0_19identity_decomposerEEEEE10hipError_tT0_T1_T2_jT3_P12ihipStream_tbPNSt15iterator_traitsISE_E10value_typeEPNSK_ISF_E10value_typeEPSG_NS1_7vsmem_tEENKUlT_SE_SF_SG_E_clIS8_S8_S9_S9_EESD_ST_SE_SF_SG_EUlST_E1_NS1_11comp_targetILNS1_3genE10ELNS1_11target_archE1201ELNS1_3gpuE5ELNS1_3repE0EEENS1_36merge_oddeven_config_static_selectorELNS0_4arch9wavefront6targetE1EEEvSF_
		.amdhsa_group_segment_fixed_size 0
		.amdhsa_private_segment_fixed_size 0
		.amdhsa_kernarg_size 48
		.amdhsa_user_sgpr_count 6
		.amdhsa_user_sgpr_private_segment_buffer 1
		.amdhsa_user_sgpr_dispatch_ptr 0
		.amdhsa_user_sgpr_queue_ptr 0
		.amdhsa_user_sgpr_kernarg_segment_ptr 1
		.amdhsa_user_sgpr_dispatch_id 0
		.amdhsa_user_sgpr_flat_scratch_init 0
		.amdhsa_user_sgpr_kernarg_preload_length 0
		.amdhsa_user_sgpr_kernarg_preload_offset 0
		.amdhsa_user_sgpr_private_segment_size 0
		.amdhsa_uses_dynamic_stack 0
		.amdhsa_system_sgpr_private_segment_wavefront_offset 0
		.amdhsa_system_sgpr_workgroup_id_x 1
		.amdhsa_system_sgpr_workgroup_id_y 0
		.amdhsa_system_sgpr_workgroup_id_z 0
		.amdhsa_system_sgpr_workgroup_info 0
		.amdhsa_system_vgpr_workitem_id 0
		.amdhsa_next_free_vgpr 1
		.amdhsa_next_free_sgpr 0
		.amdhsa_accum_offset 4
		.amdhsa_reserve_vcc 0
		.amdhsa_reserve_flat_scratch 0
		.amdhsa_float_round_mode_32 0
		.amdhsa_float_round_mode_16_64 0
		.amdhsa_float_denorm_mode_32 3
		.amdhsa_float_denorm_mode_16_64 3
		.amdhsa_dx10_clamp 1
		.amdhsa_ieee_mode 1
		.amdhsa_fp16_overflow 0
		.amdhsa_tg_split 0
		.amdhsa_exception_fp_ieee_invalid_op 0
		.amdhsa_exception_fp_denorm_src 0
		.amdhsa_exception_fp_ieee_div_zero 0
		.amdhsa_exception_fp_ieee_overflow 0
		.amdhsa_exception_fp_ieee_underflow 0
		.amdhsa_exception_fp_ieee_inexact 0
		.amdhsa_exception_int_div_zero 0
	.end_amdhsa_kernel
	.section	.text._ZN7rocprim17ROCPRIM_400000_NS6detail17trampoline_kernelINS0_14default_configENS1_38merge_sort_block_merge_config_selectorIiNS0_10empty_typeEEEZZNS1_27merge_sort_block_merge_implIS3_PiPS5_jNS1_19radix_merge_compareILb0ELb0EiNS0_19identity_decomposerEEEEE10hipError_tT0_T1_T2_jT3_P12ihipStream_tbPNSt15iterator_traitsISE_E10value_typeEPNSK_ISF_E10value_typeEPSG_NS1_7vsmem_tEENKUlT_SE_SF_SG_E_clIS8_S8_S9_S9_EESD_ST_SE_SF_SG_EUlST_E1_NS1_11comp_targetILNS1_3genE10ELNS1_11target_archE1201ELNS1_3gpuE5ELNS1_3repE0EEENS1_36merge_oddeven_config_static_selectorELNS0_4arch9wavefront6targetE1EEEvSF_,"axG",@progbits,_ZN7rocprim17ROCPRIM_400000_NS6detail17trampoline_kernelINS0_14default_configENS1_38merge_sort_block_merge_config_selectorIiNS0_10empty_typeEEEZZNS1_27merge_sort_block_merge_implIS3_PiPS5_jNS1_19radix_merge_compareILb0ELb0EiNS0_19identity_decomposerEEEEE10hipError_tT0_T1_T2_jT3_P12ihipStream_tbPNSt15iterator_traitsISE_E10value_typeEPNSK_ISF_E10value_typeEPSG_NS1_7vsmem_tEENKUlT_SE_SF_SG_E_clIS8_S8_S9_S9_EESD_ST_SE_SF_SG_EUlST_E1_NS1_11comp_targetILNS1_3genE10ELNS1_11target_archE1201ELNS1_3gpuE5ELNS1_3repE0EEENS1_36merge_oddeven_config_static_selectorELNS0_4arch9wavefront6targetE1EEEvSF_,comdat
.Lfunc_end593:
	.size	_ZN7rocprim17ROCPRIM_400000_NS6detail17trampoline_kernelINS0_14default_configENS1_38merge_sort_block_merge_config_selectorIiNS0_10empty_typeEEEZZNS1_27merge_sort_block_merge_implIS3_PiPS5_jNS1_19radix_merge_compareILb0ELb0EiNS0_19identity_decomposerEEEEE10hipError_tT0_T1_T2_jT3_P12ihipStream_tbPNSt15iterator_traitsISE_E10value_typeEPNSK_ISF_E10value_typeEPSG_NS1_7vsmem_tEENKUlT_SE_SF_SG_E_clIS8_S8_S9_S9_EESD_ST_SE_SF_SG_EUlST_E1_NS1_11comp_targetILNS1_3genE10ELNS1_11target_archE1201ELNS1_3gpuE5ELNS1_3repE0EEENS1_36merge_oddeven_config_static_selectorELNS0_4arch9wavefront6targetE1EEEvSF_, .Lfunc_end593-_ZN7rocprim17ROCPRIM_400000_NS6detail17trampoline_kernelINS0_14default_configENS1_38merge_sort_block_merge_config_selectorIiNS0_10empty_typeEEEZZNS1_27merge_sort_block_merge_implIS3_PiPS5_jNS1_19radix_merge_compareILb0ELb0EiNS0_19identity_decomposerEEEEE10hipError_tT0_T1_T2_jT3_P12ihipStream_tbPNSt15iterator_traitsISE_E10value_typeEPNSK_ISF_E10value_typeEPSG_NS1_7vsmem_tEENKUlT_SE_SF_SG_E_clIS8_S8_S9_S9_EESD_ST_SE_SF_SG_EUlST_E1_NS1_11comp_targetILNS1_3genE10ELNS1_11target_archE1201ELNS1_3gpuE5ELNS1_3repE0EEENS1_36merge_oddeven_config_static_selectorELNS0_4arch9wavefront6targetE1EEEvSF_
                                        ; -- End function
	.section	.AMDGPU.csdata,"",@progbits
; Kernel info:
; codeLenInByte = 0
; NumSgprs: 4
; NumVgprs: 0
; NumAgprs: 0
; TotalNumVgprs: 0
; ScratchSize: 0
; MemoryBound: 0
; FloatMode: 240
; IeeeMode: 1
; LDSByteSize: 0 bytes/workgroup (compile time only)
; SGPRBlocks: 0
; VGPRBlocks: 0
; NumSGPRsForWavesPerEU: 4
; NumVGPRsForWavesPerEU: 1
; AccumOffset: 4
; Occupancy: 8
; WaveLimiterHint : 0
; COMPUTE_PGM_RSRC2:SCRATCH_EN: 0
; COMPUTE_PGM_RSRC2:USER_SGPR: 6
; COMPUTE_PGM_RSRC2:TRAP_HANDLER: 0
; COMPUTE_PGM_RSRC2:TGID_X_EN: 1
; COMPUTE_PGM_RSRC2:TGID_Y_EN: 0
; COMPUTE_PGM_RSRC2:TGID_Z_EN: 0
; COMPUTE_PGM_RSRC2:TIDIG_COMP_CNT: 0
; COMPUTE_PGM_RSRC3_GFX90A:ACCUM_OFFSET: 0
; COMPUTE_PGM_RSRC3_GFX90A:TG_SPLIT: 0
	.section	.text._ZN7rocprim17ROCPRIM_400000_NS6detail17trampoline_kernelINS0_14default_configENS1_38merge_sort_block_merge_config_selectorIiNS0_10empty_typeEEEZZNS1_27merge_sort_block_merge_implIS3_PiPS5_jNS1_19radix_merge_compareILb0ELb0EiNS0_19identity_decomposerEEEEE10hipError_tT0_T1_T2_jT3_P12ihipStream_tbPNSt15iterator_traitsISE_E10value_typeEPNSK_ISF_E10value_typeEPSG_NS1_7vsmem_tEENKUlT_SE_SF_SG_E_clIS8_S8_S9_S9_EESD_ST_SE_SF_SG_EUlST_E1_NS1_11comp_targetILNS1_3genE5ELNS1_11target_archE942ELNS1_3gpuE9ELNS1_3repE0EEENS1_36merge_oddeven_config_static_selectorELNS0_4arch9wavefront6targetE1EEEvSF_,"axG",@progbits,_ZN7rocprim17ROCPRIM_400000_NS6detail17trampoline_kernelINS0_14default_configENS1_38merge_sort_block_merge_config_selectorIiNS0_10empty_typeEEEZZNS1_27merge_sort_block_merge_implIS3_PiPS5_jNS1_19radix_merge_compareILb0ELb0EiNS0_19identity_decomposerEEEEE10hipError_tT0_T1_T2_jT3_P12ihipStream_tbPNSt15iterator_traitsISE_E10value_typeEPNSK_ISF_E10value_typeEPSG_NS1_7vsmem_tEENKUlT_SE_SF_SG_E_clIS8_S8_S9_S9_EESD_ST_SE_SF_SG_EUlST_E1_NS1_11comp_targetILNS1_3genE5ELNS1_11target_archE942ELNS1_3gpuE9ELNS1_3repE0EEENS1_36merge_oddeven_config_static_selectorELNS0_4arch9wavefront6targetE1EEEvSF_,comdat
	.protected	_ZN7rocprim17ROCPRIM_400000_NS6detail17trampoline_kernelINS0_14default_configENS1_38merge_sort_block_merge_config_selectorIiNS0_10empty_typeEEEZZNS1_27merge_sort_block_merge_implIS3_PiPS5_jNS1_19radix_merge_compareILb0ELb0EiNS0_19identity_decomposerEEEEE10hipError_tT0_T1_T2_jT3_P12ihipStream_tbPNSt15iterator_traitsISE_E10value_typeEPNSK_ISF_E10value_typeEPSG_NS1_7vsmem_tEENKUlT_SE_SF_SG_E_clIS8_S8_S9_S9_EESD_ST_SE_SF_SG_EUlST_E1_NS1_11comp_targetILNS1_3genE5ELNS1_11target_archE942ELNS1_3gpuE9ELNS1_3repE0EEENS1_36merge_oddeven_config_static_selectorELNS0_4arch9wavefront6targetE1EEEvSF_ ; -- Begin function _ZN7rocprim17ROCPRIM_400000_NS6detail17trampoline_kernelINS0_14default_configENS1_38merge_sort_block_merge_config_selectorIiNS0_10empty_typeEEEZZNS1_27merge_sort_block_merge_implIS3_PiPS5_jNS1_19radix_merge_compareILb0ELb0EiNS0_19identity_decomposerEEEEE10hipError_tT0_T1_T2_jT3_P12ihipStream_tbPNSt15iterator_traitsISE_E10value_typeEPNSK_ISF_E10value_typeEPSG_NS1_7vsmem_tEENKUlT_SE_SF_SG_E_clIS8_S8_S9_S9_EESD_ST_SE_SF_SG_EUlST_E1_NS1_11comp_targetILNS1_3genE5ELNS1_11target_archE942ELNS1_3gpuE9ELNS1_3repE0EEENS1_36merge_oddeven_config_static_selectorELNS0_4arch9wavefront6targetE1EEEvSF_
	.globl	_ZN7rocprim17ROCPRIM_400000_NS6detail17trampoline_kernelINS0_14default_configENS1_38merge_sort_block_merge_config_selectorIiNS0_10empty_typeEEEZZNS1_27merge_sort_block_merge_implIS3_PiPS5_jNS1_19radix_merge_compareILb0ELb0EiNS0_19identity_decomposerEEEEE10hipError_tT0_T1_T2_jT3_P12ihipStream_tbPNSt15iterator_traitsISE_E10value_typeEPNSK_ISF_E10value_typeEPSG_NS1_7vsmem_tEENKUlT_SE_SF_SG_E_clIS8_S8_S9_S9_EESD_ST_SE_SF_SG_EUlST_E1_NS1_11comp_targetILNS1_3genE5ELNS1_11target_archE942ELNS1_3gpuE9ELNS1_3repE0EEENS1_36merge_oddeven_config_static_selectorELNS0_4arch9wavefront6targetE1EEEvSF_
	.p2align	8
	.type	_ZN7rocprim17ROCPRIM_400000_NS6detail17trampoline_kernelINS0_14default_configENS1_38merge_sort_block_merge_config_selectorIiNS0_10empty_typeEEEZZNS1_27merge_sort_block_merge_implIS3_PiPS5_jNS1_19radix_merge_compareILb0ELb0EiNS0_19identity_decomposerEEEEE10hipError_tT0_T1_T2_jT3_P12ihipStream_tbPNSt15iterator_traitsISE_E10value_typeEPNSK_ISF_E10value_typeEPSG_NS1_7vsmem_tEENKUlT_SE_SF_SG_E_clIS8_S8_S9_S9_EESD_ST_SE_SF_SG_EUlST_E1_NS1_11comp_targetILNS1_3genE5ELNS1_11target_archE942ELNS1_3gpuE9ELNS1_3repE0EEENS1_36merge_oddeven_config_static_selectorELNS0_4arch9wavefront6targetE1EEEvSF_,@function
_ZN7rocprim17ROCPRIM_400000_NS6detail17trampoline_kernelINS0_14default_configENS1_38merge_sort_block_merge_config_selectorIiNS0_10empty_typeEEEZZNS1_27merge_sort_block_merge_implIS3_PiPS5_jNS1_19radix_merge_compareILb0ELb0EiNS0_19identity_decomposerEEEEE10hipError_tT0_T1_T2_jT3_P12ihipStream_tbPNSt15iterator_traitsISE_E10value_typeEPNSK_ISF_E10value_typeEPSG_NS1_7vsmem_tEENKUlT_SE_SF_SG_E_clIS8_S8_S9_S9_EESD_ST_SE_SF_SG_EUlST_E1_NS1_11comp_targetILNS1_3genE5ELNS1_11target_archE942ELNS1_3gpuE9ELNS1_3repE0EEENS1_36merge_oddeven_config_static_selectorELNS0_4arch9wavefront6targetE1EEEvSF_: ; @_ZN7rocprim17ROCPRIM_400000_NS6detail17trampoline_kernelINS0_14default_configENS1_38merge_sort_block_merge_config_selectorIiNS0_10empty_typeEEEZZNS1_27merge_sort_block_merge_implIS3_PiPS5_jNS1_19radix_merge_compareILb0ELb0EiNS0_19identity_decomposerEEEEE10hipError_tT0_T1_T2_jT3_P12ihipStream_tbPNSt15iterator_traitsISE_E10value_typeEPNSK_ISF_E10value_typeEPSG_NS1_7vsmem_tEENKUlT_SE_SF_SG_E_clIS8_S8_S9_S9_EESD_ST_SE_SF_SG_EUlST_E1_NS1_11comp_targetILNS1_3genE5ELNS1_11target_archE942ELNS1_3gpuE9ELNS1_3repE0EEENS1_36merge_oddeven_config_static_selectorELNS0_4arch9wavefront6targetE1EEEvSF_
; %bb.0:
	.section	.rodata,"a",@progbits
	.p2align	6, 0x0
	.amdhsa_kernel _ZN7rocprim17ROCPRIM_400000_NS6detail17trampoline_kernelINS0_14default_configENS1_38merge_sort_block_merge_config_selectorIiNS0_10empty_typeEEEZZNS1_27merge_sort_block_merge_implIS3_PiPS5_jNS1_19radix_merge_compareILb0ELb0EiNS0_19identity_decomposerEEEEE10hipError_tT0_T1_T2_jT3_P12ihipStream_tbPNSt15iterator_traitsISE_E10value_typeEPNSK_ISF_E10value_typeEPSG_NS1_7vsmem_tEENKUlT_SE_SF_SG_E_clIS8_S8_S9_S9_EESD_ST_SE_SF_SG_EUlST_E1_NS1_11comp_targetILNS1_3genE5ELNS1_11target_archE942ELNS1_3gpuE9ELNS1_3repE0EEENS1_36merge_oddeven_config_static_selectorELNS0_4arch9wavefront6targetE1EEEvSF_
		.amdhsa_group_segment_fixed_size 0
		.amdhsa_private_segment_fixed_size 0
		.amdhsa_kernarg_size 48
		.amdhsa_user_sgpr_count 6
		.amdhsa_user_sgpr_private_segment_buffer 1
		.amdhsa_user_sgpr_dispatch_ptr 0
		.amdhsa_user_sgpr_queue_ptr 0
		.amdhsa_user_sgpr_kernarg_segment_ptr 1
		.amdhsa_user_sgpr_dispatch_id 0
		.amdhsa_user_sgpr_flat_scratch_init 0
		.amdhsa_user_sgpr_kernarg_preload_length 0
		.amdhsa_user_sgpr_kernarg_preload_offset 0
		.amdhsa_user_sgpr_private_segment_size 0
		.amdhsa_uses_dynamic_stack 0
		.amdhsa_system_sgpr_private_segment_wavefront_offset 0
		.amdhsa_system_sgpr_workgroup_id_x 1
		.amdhsa_system_sgpr_workgroup_id_y 0
		.amdhsa_system_sgpr_workgroup_id_z 0
		.amdhsa_system_sgpr_workgroup_info 0
		.amdhsa_system_vgpr_workitem_id 0
		.amdhsa_next_free_vgpr 1
		.amdhsa_next_free_sgpr 0
		.amdhsa_accum_offset 4
		.amdhsa_reserve_vcc 0
		.amdhsa_reserve_flat_scratch 0
		.amdhsa_float_round_mode_32 0
		.amdhsa_float_round_mode_16_64 0
		.amdhsa_float_denorm_mode_32 3
		.amdhsa_float_denorm_mode_16_64 3
		.amdhsa_dx10_clamp 1
		.amdhsa_ieee_mode 1
		.amdhsa_fp16_overflow 0
		.amdhsa_tg_split 0
		.amdhsa_exception_fp_ieee_invalid_op 0
		.amdhsa_exception_fp_denorm_src 0
		.amdhsa_exception_fp_ieee_div_zero 0
		.amdhsa_exception_fp_ieee_overflow 0
		.amdhsa_exception_fp_ieee_underflow 0
		.amdhsa_exception_fp_ieee_inexact 0
		.amdhsa_exception_int_div_zero 0
	.end_amdhsa_kernel
	.section	.text._ZN7rocprim17ROCPRIM_400000_NS6detail17trampoline_kernelINS0_14default_configENS1_38merge_sort_block_merge_config_selectorIiNS0_10empty_typeEEEZZNS1_27merge_sort_block_merge_implIS3_PiPS5_jNS1_19radix_merge_compareILb0ELb0EiNS0_19identity_decomposerEEEEE10hipError_tT0_T1_T2_jT3_P12ihipStream_tbPNSt15iterator_traitsISE_E10value_typeEPNSK_ISF_E10value_typeEPSG_NS1_7vsmem_tEENKUlT_SE_SF_SG_E_clIS8_S8_S9_S9_EESD_ST_SE_SF_SG_EUlST_E1_NS1_11comp_targetILNS1_3genE5ELNS1_11target_archE942ELNS1_3gpuE9ELNS1_3repE0EEENS1_36merge_oddeven_config_static_selectorELNS0_4arch9wavefront6targetE1EEEvSF_,"axG",@progbits,_ZN7rocprim17ROCPRIM_400000_NS6detail17trampoline_kernelINS0_14default_configENS1_38merge_sort_block_merge_config_selectorIiNS0_10empty_typeEEEZZNS1_27merge_sort_block_merge_implIS3_PiPS5_jNS1_19radix_merge_compareILb0ELb0EiNS0_19identity_decomposerEEEEE10hipError_tT0_T1_T2_jT3_P12ihipStream_tbPNSt15iterator_traitsISE_E10value_typeEPNSK_ISF_E10value_typeEPSG_NS1_7vsmem_tEENKUlT_SE_SF_SG_E_clIS8_S8_S9_S9_EESD_ST_SE_SF_SG_EUlST_E1_NS1_11comp_targetILNS1_3genE5ELNS1_11target_archE942ELNS1_3gpuE9ELNS1_3repE0EEENS1_36merge_oddeven_config_static_selectorELNS0_4arch9wavefront6targetE1EEEvSF_,comdat
.Lfunc_end594:
	.size	_ZN7rocprim17ROCPRIM_400000_NS6detail17trampoline_kernelINS0_14default_configENS1_38merge_sort_block_merge_config_selectorIiNS0_10empty_typeEEEZZNS1_27merge_sort_block_merge_implIS3_PiPS5_jNS1_19radix_merge_compareILb0ELb0EiNS0_19identity_decomposerEEEEE10hipError_tT0_T1_T2_jT3_P12ihipStream_tbPNSt15iterator_traitsISE_E10value_typeEPNSK_ISF_E10value_typeEPSG_NS1_7vsmem_tEENKUlT_SE_SF_SG_E_clIS8_S8_S9_S9_EESD_ST_SE_SF_SG_EUlST_E1_NS1_11comp_targetILNS1_3genE5ELNS1_11target_archE942ELNS1_3gpuE9ELNS1_3repE0EEENS1_36merge_oddeven_config_static_selectorELNS0_4arch9wavefront6targetE1EEEvSF_, .Lfunc_end594-_ZN7rocprim17ROCPRIM_400000_NS6detail17trampoline_kernelINS0_14default_configENS1_38merge_sort_block_merge_config_selectorIiNS0_10empty_typeEEEZZNS1_27merge_sort_block_merge_implIS3_PiPS5_jNS1_19radix_merge_compareILb0ELb0EiNS0_19identity_decomposerEEEEE10hipError_tT0_T1_T2_jT3_P12ihipStream_tbPNSt15iterator_traitsISE_E10value_typeEPNSK_ISF_E10value_typeEPSG_NS1_7vsmem_tEENKUlT_SE_SF_SG_E_clIS8_S8_S9_S9_EESD_ST_SE_SF_SG_EUlST_E1_NS1_11comp_targetILNS1_3genE5ELNS1_11target_archE942ELNS1_3gpuE9ELNS1_3repE0EEENS1_36merge_oddeven_config_static_selectorELNS0_4arch9wavefront6targetE1EEEvSF_
                                        ; -- End function
	.section	.AMDGPU.csdata,"",@progbits
; Kernel info:
; codeLenInByte = 0
; NumSgprs: 4
; NumVgprs: 0
; NumAgprs: 0
; TotalNumVgprs: 0
; ScratchSize: 0
; MemoryBound: 0
; FloatMode: 240
; IeeeMode: 1
; LDSByteSize: 0 bytes/workgroup (compile time only)
; SGPRBlocks: 0
; VGPRBlocks: 0
; NumSGPRsForWavesPerEU: 4
; NumVGPRsForWavesPerEU: 1
; AccumOffset: 4
; Occupancy: 8
; WaveLimiterHint : 0
; COMPUTE_PGM_RSRC2:SCRATCH_EN: 0
; COMPUTE_PGM_RSRC2:USER_SGPR: 6
; COMPUTE_PGM_RSRC2:TRAP_HANDLER: 0
; COMPUTE_PGM_RSRC2:TGID_X_EN: 1
; COMPUTE_PGM_RSRC2:TGID_Y_EN: 0
; COMPUTE_PGM_RSRC2:TGID_Z_EN: 0
; COMPUTE_PGM_RSRC2:TIDIG_COMP_CNT: 0
; COMPUTE_PGM_RSRC3_GFX90A:ACCUM_OFFSET: 0
; COMPUTE_PGM_RSRC3_GFX90A:TG_SPLIT: 0
	.section	.text._ZN7rocprim17ROCPRIM_400000_NS6detail17trampoline_kernelINS0_14default_configENS1_38merge_sort_block_merge_config_selectorIiNS0_10empty_typeEEEZZNS1_27merge_sort_block_merge_implIS3_PiPS5_jNS1_19radix_merge_compareILb0ELb0EiNS0_19identity_decomposerEEEEE10hipError_tT0_T1_T2_jT3_P12ihipStream_tbPNSt15iterator_traitsISE_E10value_typeEPNSK_ISF_E10value_typeEPSG_NS1_7vsmem_tEENKUlT_SE_SF_SG_E_clIS8_S8_S9_S9_EESD_ST_SE_SF_SG_EUlST_E1_NS1_11comp_targetILNS1_3genE4ELNS1_11target_archE910ELNS1_3gpuE8ELNS1_3repE0EEENS1_36merge_oddeven_config_static_selectorELNS0_4arch9wavefront6targetE1EEEvSF_,"axG",@progbits,_ZN7rocprim17ROCPRIM_400000_NS6detail17trampoline_kernelINS0_14default_configENS1_38merge_sort_block_merge_config_selectorIiNS0_10empty_typeEEEZZNS1_27merge_sort_block_merge_implIS3_PiPS5_jNS1_19radix_merge_compareILb0ELb0EiNS0_19identity_decomposerEEEEE10hipError_tT0_T1_T2_jT3_P12ihipStream_tbPNSt15iterator_traitsISE_E10value_typeEPNSK_ISF_E10value_typeEPSG_NS1_7vsmem_tEENKUlT_SE_SF_SG_E_clIS8_S8_S9_S9_EESD_ST_SE_SF_SG_EUlST_E1_NS1_11comp_targetILNS1_3genE4ELNS1_11target_archE910ELNS1_3gpuE8ELNS1_3repE0EEENS1_36merge_oddeven_config_static_selectorELNS0_4arch9wavefront6targetE1EEEvSF_,comdat
	.protected	_ZN7rocprim17ROCPRIM_400000_NS6detail17trampoline_kernelINS0_14default_configENS1_38merge_sort_block_merge_config_selectorIiNS0_10empty_typeEEEZZNS1_27merge_sort_block_merge_implIS3_PiPS5_jNS1_19radix_merge_compareILb0ELb0EiNS0_19identity_decomposerEEEEE10hipError_tT0_T1_T2_jT3_P12ihipStream_tbPNSt15iterator_traitsISE_E10value_typeEPNSK_ISF_E10value_typeEPSG_NS1_7vsmem_tEENKUlT_SE_SF_SG_E_clIS8_S8_S9_S9_EESD_ST_SE_SF_SG_EUlST_E1_NS1_11comp_targetILNS1_3genE4ELNS1_11target_archE910ELNS1_3gpuE8ELNS1_3repE0EEENS1_36merge_oddeven_config_static_selectorELNS0_4arch9wavefront6targetE1EEEvSF_ ; -- Begin function _ZN7rocprim17ROCPRIM_400000_NS6detail17trampoline_kernelINS0_14default_configENS1_38merge_sort_block_merge_config_selectorIiNS0_10empty_typeEEEZZNS1_27merge_sort_block_merge_implIS3_PiPS5_jNS1_19radix_merge_compareILb0ELb0EiNS0_19identity_decomposerEEEEE10hipError_tT0_T1_T2_jT3_P12ihipStream_tbPNSt15iterator_traitsISE_E10value_typeEPNSK_ISF_E10value_typeEPSG_NS1_7vsmem_tEENKUlT_SE_SF_SG_E_clIS8_S8_S9_S9_EESD_ST_SE_SF_SG_EUlST_E1_NS1_11comp_targetILNS1_3genE4ELNS1_11target_archE910ELNS1_3gpuE8ELNS1_3repE0EEENS1_36merge_oddeven_config_static_selectorELNS0_4arch9wavefront6targetE1EEEvSF_
	.globl	_ZN7rocprim17ROCPRIM_400000_NS6detail17trampoline_kernelINS0_14default_configENS1_38merge_sort_block_merge_config_selectorIiNS0_10empty_typeEEEZZNS1_27merge_sort_block_merge_implIS3_PiPS5_jNS1_19radix_merge_compareILb0ELb0EiNS0_19identity_decomposerEEEEE10hipError_tT0_T1_T2_jT3_P12ihipStream_tbPNSt15iterator_traitsISE_E10value_typeEPNSK_ISF_E10value_typeEPSG_NS1_7vsmem_tEENKUlT_SE_SF_SG_E_clIS8_S8_S9_S9_EESD_ST_SE_SF_SG_EUlST_E1_NS1_11comp_targetILNS1_3genE4ELNS1_11target_archE910ELNS1_3gpuE8ELNS1_3repE0EEENS1_36merge_oddeven_config_static_selectorELNS0_4arch9wavefront6targetE1EEEvSF_
	.p2align	8
	.type	_ZN7rocprim17ROCPRIM_400000_NS6detail17trampoline_kernelINS0_14default_configENS1_38merge_sort_block_merge_config_selectorIiNS0_10empty_typeEEEZZNS1_27merge_sort_block_merge_implIS3_PiPS5_jNS1_19radix_merge_compareILb0ELb0EiNS0_19identity_decomposerEEEEE10hipError_tT0_T1_T2_jT3_P12ihipStream_tbPNSt15iterator_traitsISE_E10value_typeEPNSK_ISF_E10value_typeEPSG_NS1_7vsmem_tEENKUlT_SE_SF_SG_E_clIS8_S8_S9_S9_EESD_ST_SE_SF_SG_EUlST_E1_NS1_11comp_targetILNS1_3genE4ELNS1_11target_archE910ELNS1_3gpuE8ELNS1_3repE0EEENS1_36merge_oddeven_config_static_selectorELNS0_4arch9wavefront6targetE1EEEvSF_,@function
_ZN7rocprim17ROCPRIM_400000_NS6detail17trampoline_kernelINS0_14default_configENS1_38merge_sort_block_merge_config_selectorIiNS0_10empty_typeEEEZZNS1_27merge_sort_block_merge_implIS3_PiPS5_jNS1_19radix_merge_compareILb0ELb0EiNS0_19identity_decomposerEEEEE10hipError_tT0_T1_T2_jT3_P12ihipStream_tbPNSt15iterator_traitsISE_E10value_typeEPNSK_ISF_E10value_typeEPSG_NS1_7vsmem_tEENKUlT_SE_SF_SG_E_clIS8_S8_S9_S9_EESD_ST_SE_SF_SG_EUlST_E1_NS1_11comp_targetILNS1_3genE4ELNS1_11target_archE910ELNS1_3gpuE8ELNS1_3repE0EEENS1_36merge_oddeven_config_static_selectorELNS0_4arch9wavefront6targetE1EEEvSF_: ; @_ZN7rocprim17ROCPRIM_400000_NS6detail17trampoline_kernelINS0_14default_configENS1_38merge_sort_block_merge_config_selectorIiNS0_10empty_typeEEEZZNS1_27merge_sort_block_merge_implIS3_PiPS5_jNS1_19radix_merge_compareILb0ELb0EiNS0_19identity_decomposerEEEEE10hipError_tT0_T1_T2_jT3_P12ihipStream_tbPNSt15iterator_traitsISE_E10value_typeEPNSK_ISF_E10value_typeEPSG_NS1_7vsmem_tEENKUlT_SE_SF_SG_E_clIS8_S8_S9_S9_EESD_ST_SE_SF_SG_EUlST_E1_NS1_11comp_targetILNS1_3genE4ELNS1_11target_archE910ELNS1_3gpuE8ELNS1_3repE0EEENS1_36merge_oddeven_config_static_selectorELNS0_4arch9wavefront6targetE1EEEvSF_
; %bb.0:
	s_load_dword s18, s[4:5], 0x20
	s_waitcnt lgkmcnt(0)
	s_lshr_b32 s0, s18, 8
	s_cmp_lg_u32 s6, s0
	s_cselect_b64 s[14:15], -1, 0
	s_cmp_eq_u32 s6, s0
	s_cselect_b64 s[12:13], -1, 0
	s_lshl_b32 s16, s6, 8
	s_sub_i32 s0, s18, s16
	v_cmp_gt_u32_e64 s[2:3], s0, v0
	s_or_b64 s[0:1], s[14:15], s[2:3]
	s_and_saveexec_b64 s[8:9], s[0:1]
	s_cbranch_execz .LBB595_20
; %bb.1:
	s_load_dwordx4 s[8:11], s[4:5], 0x0
	s_load_dword s19, s[4:5], 0x24
	s_mov_b32 s17, 0
	s_lshl_b64 s[0:1], s[16:17], 2
	v_lshlrev_b32_e32 v1, 2, v0
	s_waitcnt lgkmcnt(0)
	s_add_u32 s0, s8, s0
	s_addc_u32 s1, s9, s1
	global_load_dword v2, v1, s[0:1]
	s_lshr_b32 s0, s19, 8
	s_sub_i32 s1, 0, s0
	s_and_b32 s1, s6, s1
	s_and_b32 s0, s1, s0
	s_lshl_b32 s20, s1, 8
	s_sub_i32 s6, 0, s19
	s_cmp_eq_u32 s0, 0
	s_cselect_b64 s[0:1], -1, 0
	s_and_b64 s[4:5], s[0:1], exec
	s_cselect_b32 s17, s19, s6
	s_add_i32 s17, s17, s20
	s_cmp_lt_u32 s17, s18
	v_add_u32_e32 v0, s16, v0
	s_cbranch_scc1 .LBB595_3
; %bb.2:
	v_cmp_gt_u32_e32 vcc, s18, v0
	s_or_b64 s[4:5], vcc, s[14:15]
	s_and_b64 s[4:5], s[4:5], exec
	s_cbranch_execz .LBB595_4
	s_branch .LBB595_18
.LBB595_3:
	s_mov_b64 s[4:5], 0
.LBB595_4:
	s_min_u32 s14, s17, s18
	s_add_i32 s6, s14, s19
	s_min_u32 s15, s6, s18
	s_min_u32 s6, s20, s14
	s_add_i32 s20, s20, s14
	v_subrev_u32_e32 v0, s20, v0
	v_add_u32_e32 v3, s6, v0
	s_and_b64 vcc, exec, s[12:13]
	s_cbranch_vccz .LBB595_12
; %bb.5:
                                        ; implicit-def: $vgpr0
	s_and_saveexec_b64 s[6:7], s[2:3]
	s_cbranch_execz .LBB595_11
; %bb.6:
	s_cmp_ge_u32 s17, s15
	v_mov_b32_e32 v4, s14
	s_cbranch_scc1 .LBB595_10
; %bb.7:
	s_mov_b64 s[2:3], 0
	v_mov_b32_e32 v5, s15
	v_mov_b32_e32 v4, s14
	;; [unrolled: 1-line block ×4, first 2 shown]
.LBB595_8:                              ; =>This Inner Loop Header: Depth=1
	v_add_u32_e32 v0, v4, v5
	v_lshrrev_b32_e32 v0, 1, v0
	v_lshlrev_b64 v[8:9], 2, v[0:1]
	v_add_co_u32_e32 v8, vcc, s8, v8
	v_addc_co_u32_e32 v9, vcc, v6, v9, vcc
	global_load_dword v7, v[8:9], off
	v_add_u32_e32 v8, 1, v0
	s_waitcnt vmcnt(0)
	v_cmp_gt_i32_e32 vcc, v2, v7
	v_cndmask_b32_e64 v9, 0, 1, vcc
	v_cmp_le_i32_e32 vcc, v7, v2
	v_cndmask_b32_e64 v7, 0, 1, vcc
	v_cndmask_b32_e64 v7, v7, v9, s[0:1]
	v_and_b32_e32 v7, 1, v7
	v_cmp_eq_u32_e32 vcc, 1, v7
	v_cndmask_b32_e32 v5, v0, v5, vcc
	v_cndmask_b32_e32 v4, v4, v8, vcc
	v_cmp_ge_u32_e32 vcc, v4, v5
	s_or_b64 s[2:3], vcc, s[2:3]
	s_andn2_b64 exec, exec, s[2:3]
	s_cbranch_execnz .LBB595_8
; %bb.9:
	s_or_b64 exec, exec, s[2:3]
.LBB595_10:
	v_add_u32_e32 v0, v4, v3
	s_or_b64 s[4:5], s[4:5], exec
.LBB595_11:
	s_or_b64 exec, exec, s[6:7]
	s_branch .LBB595_18
.LBB595_12:
                                        ; implicit-def: $vgpr0
	s_cbranch_execz .LBB595_18
; %bb.13:
	s_cmp_ge_u32 s17, s15
	v_mov_b32_e32 v4, s14
	s_cbranch_scc1 .LBB595_17
; %bb.14:
	s_mov_b64 s[2:3], 0
	v_mov_b32_e32 v5, s15
	v_mov_b32_e32 v4, s14
	;; [unrolled: 1-line block ×4, first 2 shown]
.LBB595_15:                             ; =>This Inner Loop Header: Depth=1
	v_add_u32_e32 v0, v4, v5
	v_lshrrev_b32_e32 v0, 1, v0
	v_lshlrev_b64 v[8:9], 2, v[0:1]
	v_add_co_u32_e32 v8, vcc, s8, v8
	v_addc_co_u32_e32 v9, vcc, v6, v9, vcc
	global_load_dword v7, v[8:9], off
	v_add_u32_e32 v8, 1, v0
	s_waitcnt vmcnt(0)
	v_cmp_gt_i32_e32 vcc, v2, v7
	v_cndmask_b32_e64 v9, 0, 1, vcc
	v_cmp_le_i32_e32 vcc, v7, v2
	v_cndmask_b32_e64 v7, 0, 1, vcc
	v_cndmask_b32_e64 v7, v7, v9, s[0:1]
	v_and_b32_e32 v7, 1, v7
	v_cmp_eq_u32_e32 vcc, 1, v7
	v_cndmask_b32_e32 v5, v0, v5, vcc
	v_cndmask_b32_e32 v4, v4, v8, vcc
	v_cmp_ge_u32_e32 vcc, v4, v5
	s_or_b64 s[2:3], vcc, s[2:3]
	s_andn2_b64 exec, exec, s[2:3]
	s_cbranch_execnz .LBB595_15
; %bb.16:
	s_or_b64 exec, exec, s[2:3]
.LBB595_17:
	v_add_u32_e32 v0, v4, v3
	s_mov_b64 s[4:5], -1
.LBB595_18:
	s_and_b64 exec, exec, s[4:5]
	s_cbranch_execz .LBB595_20
; %bb.19:
	v_mov_b32_e32 v1, 0
	v_lshlrev_b64 v[0:1], 2, v[0:1]
	v_mov_b32_e32 v3, s11
	v_add_co_u32_e32 v0, vcc, s10, v0
	v_addc_co_u32_e32 v1, vcc, v3, v1, vcc
	s_waitcnt vmcnt(0)
	global_store_dword v[0:1], v2, off
.LBB595_20:
	s_endpgm
	.section	.rodata,"a",@progbits
	.p2align	6, 0x0
	.amdhsa_kernel _ZN7rocprim17ROCPRIM_400000_NS6detail17trampoline_kernelINS0_14default_configENS1_38merge_sort_block_merge_config_selectorIiNS0_10empty_typeEEEZZNS1_27merge_sort_block_merge_implIS3_PiPS5_jNS1_19radix_merge_compareILb0ELb0EiNS0_19identity_decomposerEEEEE10hipError_tT0_T1_T2_jT3_P12ihipStream_tbPNSt15iterator_traitsISE_E10value_typeEPNSK_ISF_E10value_typeEPSG_NS1_7vsmem_tEENKUlT_SE_SF_SG_E_clIS8_S8_S9_S9_EESD_ST_SE_SF_SG_EUlST_E1_NS1_11comp_targetILNS1_3genE4ELNS1_11target_archE910ELNS1_3gpuE8ELNS1_3repE0EEENS1_36merge_oddeven_config_static_selectorELNS0_4arch9wavefront6targetE1EEEvSF_
		.amdhsa_group_segment_fixed_size 0
		.amdhsa_private_segment_fixed_size 0
		.amdhsa_kernarg_size 48
		.amdhsa_user_sgpr_count 6
		.amdhsa_user_sgpr_private_segment_buffer 1
		.amdhsa_user_sgpr_dispatch_ptr 0
		.amdhsa_user_sgpr_queue_ptr 0
		.amdhsa_user_sgpr_kernarg_segment_ptr 1
		.amdhsa_user_sgpr_dispatch_id 0
		.amdhsa_user_sgpr_flat_scratch_init 0
		.amdhsa_user_sgpr_kernarg_preload_length 0
		.amdhsa_user_sgpr_kernarg_preload_offset 0
		.amdhsa_user_sgpr_private_segment_size 0
		.amdhsa_uses_dynamic_stack 0
		.amdhsa_system_sgpr_private_segment_wavefront_offset 0
		.amdhsa_system_sgpr_workgroup_id_x 1
		.amdhsa_system_sgpr_workgroup_id_y 0
		.amdhsa_system_sgpr_workgroup_id_z 0
		.amdhsa_system_sgpr_workgroup_info 0
		.amdhsa_system_vgpr_workitem_id 0
		.amdhsa_next_free_vgpr 10
		.amdhsa_next_free_sgpr 21
		.amdhsa_accum_offset 12
		.amdhsa_reserve_vcc 1
		.amdhsa_reserve_flat_scratch 0
		.amdhsa_float_round_mode_32 0
		.amdhsa_float_round_mode_16_64 0
		.amdhsa_float_denorm_mode_32 3
		.amdhsa_float_denorm_mode_16_64 3
		.amdhsa_dx10_clamp 1
		.amdhsa_ieee_mode 1
		.amdhsa_fp16_overflow 0
		.amdhsa_tg_split 0
		.amdhsa_exception_fp_ieee_invalid_op 0
		.amdhsa_exception_fp_denorm_src 0
		.amdhsa_exception_fp_ieee_div_zero 0
		.amdhsa_exception_fp_ieee_overflow 0
		.amdhsa_exception_fp_ieee_underflow 0
		.amdhsa_exception_fp_ieee_inexact 0
		.amdhsa_exception_int_div_zero 0
	.end_amdhsa_kernel
	.section	.text._ZN7rocprim17ROCPRIM_400000_NS6detail17trampoline_kernelINS0_14default_configENS1_38merge_sort_block_merge_config_selectorIiNS0_10empty_typeEEEZZNS1_27merge_sort_block_merge_implIS3_PiPS5_jNS1_19radix_merge_compareILb0ELb0EiNS0_19identity_decomposerEEEEE10hipError_tT0_T1_T2_jT3_P12ihipStream_tbPNSt15iterator_traitsISE_E10value_typeEPNSK_ISF_E10value_typeEPSG_NS1_7vsmem_tEENKUlT_SE_SF_SG_E_clIS8_S8_S9_S9_EESD_ST_SE_SF_SG_EUlST_E1_NS1_11comp_targetILNS1_3genE4ELNS1_11target_archE910ELNS1_3gpuE8ELNS1_3repE0EEENS1_36merge_oddeven_config_static_selectorELNS0_4arch9wavefront6targetE1EEEvSF_,"axG",@progbits,_ZN7rocprim17ROCPRIM_400000_NS6detail17trampoline_kernelINS0_14default_configENS1_38merge_sort_block_merge_config_selectorIiNS0_10empty_typeEEEZZNS1_27merge_sort_block_merge_implIS3_PiPS5_jNS1_19radix_merge_compareILb0ELb0EiNS0_19identity_decomposerEEEEE10hipError_tT0_T1_T2_jT3_P12ihipStream_tbPNSt15iterator_traitsISE_E10value_typeEPNSK_ISF_E10value_typeEPSG_NS1_7vsmem_tEENKUlT_SE_SF_SG_E_clIS8_S8_S9_S9_EESD_ST_SE_SF_SG_EUlST_E1_NS1_11comp_targetILNS1_3genE4ELNS1_11target_archE910ELNS1_3gpuE8ELNS1_3repE0EEENS1_36merge_oddeven_config_static_selectorELNS0_4arch9wavefront6targetE1EEEvSF_,comdat
.Lfunc_end595:
	.size	_ZN7rocprim17ROCPRIM_400000_NS6detail17trampoline_kernelINS0_14default_configENS1_38merge_sort_block_merge_config_selectorIiNS0_10empty_typeEEEZZNS1_27merge_sort_block_merge_implIS3_PiPS5_jNS1_19radix_merge_compareILb0ELb0EiNS0_19identity_decomposerEEEEE10hipError_tT0_T1_T2_jT3_P12ihipStream_tbPNSt15iterator_traitsISE_E10value_typeEPNSK_ISF_E10value_typeEPSG_NS1_7vsmem_tEENKUlT_SE_SF_SG_E_clIS8_S8_S9_S9_EESD_ST_SE_SF_SG_EUlST_E1_NS1_11comp_targetILNS1_3genE4ELNS1_11target_archE910ELNS1_3gpuE8ELNS1_3repE0EEENS1_36merge_oddeven_config_static_selectorELNS0_4arch9wavefront6targetE1EEEvSF_, .Lfunc_end595-_ZN7rocprim17ROCPRIM_400000_NS6detail17trampoline_kernelINS0_14default_configENS1_38merge_sort_block_merge_config_selectorIiNS0_10empty_typeEEEZZNS1_27merge_sort_block_merge_implIS3_PiPS5_jNS1_19radix_merge_compareILb0ELb0EiNS0_19identity_decomposerEEEEE10hipError_tT0_T1_T2_jT3_P12ihipStream_tbPNSt15iterator_traitsISE_E10value_typeEPNSK_ISF_E10value_typeEPSG_NS1_7vsmem_tEENKUlT_SE_SF_SG_E_clIS8_S8_S9_S9_EESD_ST_SE_SF_SG_EUlST_E1_NS1_11comp_targetILNS1_3genE4ELNS1_11target_archE910ELNS1_3gpuE8ELNS1_3repE0EEENS1_36merge_oddeven_config_static_selectorELNS0_4arch9wavefront6targetE1EEEvSF_
                                        ; -- End function
	.section	.AMDGPU.csdata,"",@progbits
; Kernel info:
; codeLenInByte = 588
; NumSgprs: 25
; NumVgprs: 10
; NumAgprs: 0
; TotalNumVgprs: 10
; ScratchSize: 0
; MemoryBound: 0
; FloatMode: 240
; IeeeMode: 1
; LDSByteSize: 0 bytes/workgroup (compile time only)
; SGPRBlocks: 3
; VGPRBlocks: 1
; NumSGPRsForWavesPerEU: 25
; NumVGPRsForWavesPerEU: 10
; AccumOffset: 12
; Occupancy: 8
; WaveLimiterHint : 0
; COMPUTE_PGM_RSRC2:SCRATCH_EN: 0
; COMPUTE_PGM_RSRC2:USER_SGPR: 6
; COMPUTE_PGM_RSRC2:TRAP_HANDLER: 0
; COMPUTE_PGM_RSRC2:TGID_X_EN: 1
; COMPUTE_PGM_RSRC2:TGID_Y_EN: 0
; COMPUTE_PGM_RSRC2:TGID_Z_EN: 0
; COMPUTE_PGM_RSRC2:TIDIG_COMP_CNT: 0
; COMPUTE_PGM_RSRC3_GFX90A:ACCUM_OFFSET: 2
; COMPUTE_PGM_RSRC3_GFX90A:TG_SPLIT: 0
	.section	.text._ZN7rocprim17ROCPRIM_400000_NS6detail17trampoline_kernelINS0_14default_configENS1_38merge_sort_block_merge_config_selectorIiNS0_10empty_typeEEEZZNS1_27merge_sort_block_merge_implIS3_PiPS5_jNS1_19radix_merge_compareILb0ELb0EiNS0_19identity_decomposerEEEEE10hipError_tT0_T1_T2_jT3_P12ihipStream_tbPNSt15iterator_traitsISE_E10value_typeEPNSK_ISF_E10value_typeEPSG_NS1_7vsmem_tEENKUlT_SE_SF_SG_E_clIS8_S8_S9_S9_EESD_ST_SE_SF_SG_EUlST_E1_NS1_11comp_targetILNS1_3genE3ELNS1_11target_archE908ELNS1_3gpuE7ELNS1_3repE0EEENS1_36merge_oddeven_config_static_selectorELNS0_4arch9wavefront6targetE1EEEvSF_,"axG",@progbits,_ZN7rocprim17ROCPRIM_400000_NS6detail17trampoline_kernelINS0_14default_configENS1_38merge_sort_block_merge_config_selectorIiNS0_10empty_typeEEEZZNS1_27merge_sort_block_merge_implIS3_PiPS5_jNS1_19radix_merge_compareILb0ELb0EiNS0_19identity_decomposerEEEEE10hipError_tT0_T1_T2_jT3_P12ihipStream_tbPNSt15iterator_traitsISE_E10value_typeEPNSK_ISF_E10value_typeEPSG_NS1_7vsmem_tEENKUlT_SE_SF_SG_E_clIS8_S8_S9_S9_EESD_ST_SE_SF_SG_EUlST_E1_NS1_11comp_targetILNS1_3genE3ELNS1_11target_archE908ELNS1_3gpuE7ELNS1_3repE0EEENS1_36merge_oddeven_config_static_selectorELNS0_4arch9wavefront6targetE1EEEvSF_,comdat
	.protected	_ZN7rocprim17ROCPRIM_400000_NS6detail17trampoline_kernelINS0_14default_configENS1_38merge_sort_block_merge_config_selectorIiNS0_10empty_typeEEEZZNS1_27merge_sort_block_merge_implIS3_PiPS5_jNS1_19radix_merge_compareILb0ELb0EiNS0_19identity_decomposerEEEEE10hipError_tT0_T1_T2_jT3_P12ihipStream_tbPNSt15iterator_traitsISE_E10value_typeEPNSK_ISF_E10value_typeEPSG_NS1_7vsmem_tEENKUlT_SE_SF_SG_E_clIS8_S8_S9_S9_EESD_ST_SE_SF_SG_EUlST_E1_NS1_11comp_targetILNS1_3genE3ELNS1_11target_archE908ELNS1_3gpuE7ELNS1_3repE0EEENS1_36merge_oddeven_config_static_selectorELNS0_4arch9wavefront6targetE1EEEvSF_ ; -- Begin function _ZN7rocprim17ROCPRIM_400000_NS6detail17trampoline_kernelINS0_14default_configENS1_38merge_sort_block_merge_config_selectorIiNS0_10empty_typeEEEZZNS1_27merge_sort_block_merge_implIS3_PiPS5_jNS1_19radix_merge_compareILb0ELb0EiNS0_19identity_decomposerEEEEE10hipError_tT0_T1_T2_jT3_P12ihipStream_tbPNSt15iterator_traitsISE_E10value_typeEPNSK_ISF_E10value_typeEPSG_NS1_7vsmem_tEENKUlT_SE_SF_SG_E_clIS8_S8_S9_S9_EESD_ST_SE_SF_SG_EUlST_E1_NS1_11comp_targetILNS1_3genE3ELNS1_11target_archE908ELNS1_3gpuE7ELNS1_3repE0EEENS1_36merge_oddeven_config_static_selectorELNS0_4arch9wavefront6targetE1EEEvSF_
	.globl	_ZN7rocprim17ROCPRIM_400000_NS6detail17trampoline_kernelINS0_14default_configENS1_38merge_sort_block_merge_config_selectorIiNS0_10empty_typeEEEZZNS1_27merge_sort_block_merge_implIS3_PiPS5_jNS1_19radix_merge_compareILb0ELb0EiNS0_19identity_decomposerEEEEE10hipError_tT0_T1_T2_jT3_P12ihipStream_tbPNSt15iterator_traitsISE_E10value_typeEPNSK_ISF_E10value_typeEPSG_NS1_7vsmem_tEENKUlT_SE_SF_SG_E_clIS8_S8_S9_S9_EESD_ST_SE_SF_SG_EUlST_E1_NS1_11comp_targetILNS1_3genE3ELNS1_11target_archE908ELNS1_3gpuE7ELNS1_3repE0EEENS1_36merge_oddeven_config_static_selectorELNS0_4arch9wavefront6targetE1EEEvSF_
	.p2align	8
	.type	_ZN7rocprim17ROCPRIM_400000_NS6detail17trampoline_kernelINS0_14default_configENS1_38merge_sort_block_merge_config_selectorIiNS0_10empty_typeEEEZZNS1_27merge_sort_block_merge_implIS3_PiPS5_jNS1_19radix_merge_compareILb0ELb0EiNS0_19identity_decomposerEEEEE10hipError_tT0_T1_T2_jT3_P12ihipStream_tbPNSt15iterator_traitsISE_E10value_typeEPNSK_ISF_E10value_typeEPSG_NS1_7vsmem_tEENKUlT_SE_SF_SG_E_clIS8_S8_S9_S9_EESD_ST_SE_SF_SG_EUlST_E1_NS1_11comp_targetILNS1_3genE3ELNS1_11target_archE908ELNS1_3gpuE7ELNS1_3repE0EEENS1_36merge_oddeven_config_static_selectorELNS0_4arch9wavefront6targetE1EEEvSF_,@function
_ZN7rocprim17ROCPRIM_400000_NS6detail17trampoline_kernelINS0_14default_configENS1_38merge_sort_block_merge_config_selectorIiNS0_10empty_typeEEEZZNS1_27merge_sort_block_merge_implIS3_PiPS5_jNS1_19radix_merge_compareILb0ELb0EiNS0_19identity_decomposerEEEEE10hipError_tT0_T1_T2_jT3_P12ihipStream_tbPNSt15iterator_traitsISE_E10value_typeEPNSK_ISF_E10value_typeEPSG_NS1_7vsmem_tEENKUlT_SE_SF_SG_E_clIS8_S8_S9_S9_EESD_ST_SE_SF_SG_EUlST_E1_NS1_11comp_targetILNS1_3genE3ELNS1_11target_archE908ELNS1_3gpuE7ELNS1_3repE0EEENS1_36merge_oddeven_config_static_selectorELNS0_4arch9wavefront6targetE1EEEvSF_: ; @_ZN7rocprim17ROCPRIM_400000_NS6detail17trampoline_kernelINS0_14default_configENS1_38merge_sort_block_merge_config_selectorIiNS0_10empty_typeEEEZZNS1_27merge_sort_block_merge_implIS3_PiPS5_jNS1_19radix_merge_compareILb0ELb0EiNS0_19identity_decomposerEEEEE10hipError_tT0_T1_T2_jT3_P12ihipStream_tbPNSt15iterator_traitsISE_E10value_typeEPNSK_ISF_E10value_typeEPSG_NS1_7vsmem_tEENKUlT_SE_SF_SG_E_clIS8_S8_S9_S9_EESD_ST_SE_SF_SG_EUlST_E1_NS1_11comp_targetILNS1_3genE3ELNS1_11target_archE908ELNS1_3gpuE7ELNS1_3repE0EEENS1_36merge_oddeven_config_static_selectorELNS0_4arch9wavefront6targetE1EEEvSF_
; %bb.0:
	.section	.rodata,"a",@progbits
	.p2align	6, 0x0
	.amdhsa_kernel _ZN7rocprim17ROCPRIM_400000_NS6detail17trampoline_kernelINS0_14default_configENS1_38merge_sort_block_merge_config_selectorIiNS0_10empty_typeEEEZZNS1_27merge_sort_block_merge_implIS3_PiPS5_jNS1_19radix_merge_compareILb0ELb0EiNS0_19identity_decomposerEEEEE10hipError_tT0_T1_T2_jT3_P12ihipStream_tbPNSt15iterator_traitsISE_E10value_typeEPNSK_ISF_E10value_typeEPSG_NS1_7vsmem_tEENKUlT_SE_SF_SG_E_clIS8_S8_S9_S9_EESD_ST_SE_SF_SG_EUlST_E1_NS1_11comp_targetILNS1_3genE3ELNS1_11target_archE908ELNS1_3gpuE7ELNS1_3repE0EEENS1_36merge_oddeven_config_static_selectorELNS0_4arch9wavefront6targetE1EEEvSF_
		.amdhsa_group_segment_fixed_size 0
		.amdhsa_private_segment_fixed_size 0
		.amdhsa_kernarg_size 48
		.amdhsa_user_sgpr_count 6
		.amdhsa_user_sgpr_private_segment_buffer 1
		.amdhsa_user_sgpr_dispatch_ptr 0
		.amdhsa_user_sgpr_queue_ptr 0
		.amdhsa_user_sgpr_kernarg_segment_ptr 1
		.amdhsa_user_sgpr_dispatch_id 0
		.amdhsa_user_sgpr_flat_scratch_init 0
		.amdhsa_user_sgpr_kernarg_preload_length 0
		.amdhsa_user_sgpr_kernarg_preload_offset 0
		.amdhsa_user_sgpr_private_segment_size 0
		.amdhsa_uses_dynamic_stack 0
		.amdhsa_system_sgpr_private_segment_wavefront_offset 0
		.amdhsa_system_sgpr_workgroup_id_x 1
		.amdhsa_system_sgpr_workgroup_id_y 0
		.amdhsa_system_sgpr_workgroup_id_z 0
		.amdhsa_system_sgpr_workgroup_info 0
		.amdhsa_system_vgpr_workitem_id 0
		.amdhsa_next_free_vgpr 1
		.amdhsa_next_free_sgpr 0
		.amdhsa_accum_offset 4
		.amdhsa_reserve_vcc 0
		.amdhsa_reserve_flat_scratch 0
		.amdhsa_float_round_mode_32 0
		.amdhsa_float_round_mode_16_64 0
		.amdhsa_float_denorm_mode_32 3
		.amdhsa_float_denorm_mode_16_64 3
		.amdhsa_dx10_clamp 1
		.amdhsa_ieee_mode 1
		.amdhsa_fp16_overflow 0
		.amdhsa_tg_split 0
		.amdhsa_exception_fp_ieee_invalid_op 0
		.amdhsa_exception_fp_denorm_src 0
		.amdhsa_exception_fp_ieee_div_zero 0
		.amdhsa_exception_fp_ieee_overflow 0
		.amdhsa_exception_fp_ieee_underflow 0
		.amdhsa_exception_fp_ieee_inexact 0
		.amdhsa_exception_int_div_zero 0
	.end_amdhsa_kernel
	.section	.text._ZN7rocprim17ROCPRIM_400000_NS6detail17trampoline_kernelINS0_14default_configENS1_38merge_sort_block_merge_config_selectorIiNS0_10empty_typeEEEZZNS1_27merge_sort_block_merge_implIS3_PiPS5_jNS1_19radix_merge_compareILb0ELb0EiNS0_19identity_decomposerEEEEE10hipError_tT0_T1_T2_jT3_P12ihipStream_tbPNSt15iterator_traitsISE_E10value_typeEPNSK_ISF_E10value_typeEPSG_NS1_7vsmem_tEENKUlT_SE_SF_SG_E_clIS8_S8_S9_S9_EESD_ST_SE_SF_SG_EUlST_E1_NS1_11comp_targetILNS1_3genE3ELNS1_11target_archE908ELNS1_3gpuE7ELNS1_3repE0EEENS1_36merge_oddeven_config_static_selectorELNS0_4arch9wavefront6targetE1EEEvSF_,"axG",@progbits,_ZN7rocprim17ROCPRIM_400000_NS6detail17trampoline_kernelINS0_14default_configENS1_38merge_sort_block_merge_config_selectorIiNS0_10empty_typeEEEZZNS1_27merge_sort_block_merge_implIS3_PiPS5_jNS1_19radix_merge_compareILb0ELb0EiNS0_19identity_decomposerEEEEE10hipError_tT0_T1_T2_jT3_P12ihipStream_tbPNSt15iterator_traitsISE_E10value_typeEPNSK_ISF_E10value_typeEPSG_NS1_7vsmem_tEENKUlT_SE_SF_SG_E_clIS8_S8_S9_S9_EESD_ST_SE_SF_SG_EUlST_E1_NS1_11comp_targetILNS1_3genE3ELNS1_11target_archE908ELNS1_3gpuE7ELNS1_3repE0EEENS1_36merge_oddeven_config_static_selectorELNS0_4arch9wavefront6targetE1EEEvSF_,comdat
.Lfunc_end596:
	.size	_ZN7rocprim17ROCPRIM_400000_NS6detail17trampoline_kernelINS0_14default_configENS1_38merge_sort_block_merge_config_selectorIiNS0_10empty_typeEEEZZNS1_27merge_sort_block_merge_implIS3_PiPS5_jNS1_19radix_merge_compareILb0ELb0EiNS0_19identity_decomposerEEEEE10hipError_tT0_T1_T2_jT3_P12ihipStream_tbPNSt15iterator_traitsISE_E10value_typeEPNSK_ISF_E10value_typeEPSG_NS1_7vsmem_tEENKUlT_SE_SF_SG_E_clIS8_S8_S9_S9_EESD_ST_SE_SF_SG_EUlST_E1_NS1_11comp_targetILNS1_3genE3ELNS1_11target_archE908ELNS1_3gpuE7ELNS1_3repE0EEENS1_36merge_oddeven_config_static_selectorELNS0_4arch9wavefront6targetE1EEEvSF_, .Lfunc_end596-_ZN7rocprim17ROCPRIM_400000_NS6detail17trampoline_kernelINS0_14default_configENS1_38merge_sort_block_merge_config_selectorIiNS0_10empty_typeEEEZZNS1_27merge_sort_block_merge_implIS3_PiPS5_jNS1_19radix_merge_compareILb0ELb0EiNS0_19identity_decomposerEEEEE10hipError_tT0_T1_T2_jT3_P12ihipStream_tbPNSt15iterator_traitsISE_E10value_typeEPNSK_ISF_E10value_typeEPSG_NS1_7vsmem_tEENKUlT_SE_SF_SG_E_clIS8_S8_S9_S9_EESD_ST_SE_SF_SG_EUlST_E1_NS1_11comp_targetILNS1_3genE3ELNS1_11target_archE908ELNS1_3gpuE7ELNS1_3repE0EEENS1_36merge_oddeven_config_static_selectorELNS0_4arch9wavefront6targetE1EEEvSF_
                                        ; -- End function
	.section	.AMDGPU.csdata,"",@progbits
; Kernel info:
; codeLenInByte = 0
; NumSgprs: 4
; NumVgprs: 0
; NumAgprs: 0
; TotalNumVgprs: 0
; ScratchSize: 0
; MemoryBound: 0
; FloatMode: 240
; IeeeMode: 1
; LDSByteSize: 0 bytes/workgroup (compile time only)
; SGPRBlocks: 0
; VGPRBlocks: 0
; NumSGPRsForWavesPerEU: 4
; NumVGPRsForWavesPerEU: 1
; AccumOffset: 4
; Occupancy: 8
; WaveLimiterHint : 0
; COMPUTE_PGM_RSRC2:SCRATCH_EN: 0
; COMPUTE_PGM_RSRC2:USER_SGPR: 6
; COMPUTE_PGM_RSRC2:TRAP_HANDLER: 0
; COMPUTE_PGM_RSRC2:TGID_X_EN: 1
; COMPUTE_PGM_RSRC2:TGID_Y_EN: 0
; COMPUTE_PGM_RSRC2:TGID_Z_EN: 0
; COMPUTE_PGM_RSRC2:TIDIG_COMP_CNT: 0
; COMPUTE_PGM_RSRC3_GFX90A:ACCUM_OFFSET: 0
; COMPUTE_PGM_RSRC3_GFX90A:TG_SPLIT: 0
	.section	.text._ZN7rocprim17ROCPRIM_400000_NS6detail17trampoline_kernelINS0_14default_configENS1_38merge_sort_block_merge_config_selectorIiNS0_10empty_typeEEEZZNS1_27merge_sort_block_merge_implIS3_PiPS5_jNS1_19radix_merge_compareILb0ELb0EiNS0_19identity_decomposerEEEEE10hipError_tT0_T1_T2_jT3_P12ihipStream_tbPNSt15iterator_traitsISE_E10value_typeEPNSK_ISF_E10value_typeEPSG_NS1_7vsmem_tEENKUlT_SE_SF_SG_E_clIS8_S8_S9_S9_EESD_ST_SE_SF_SG_EUlST_E1_NS1_11comp_targetILNS1_3genE2ELNS1_11target_archE906ELNS1_3gpuE6ELNS1_3repE0EEENS1_36merge_oddeven_config_static_selectorELNS0_4arch9wavefront6targetE1EEEvSF_,"axG",@progbits,_ZN7rocprim17ROCPRIM_400000_NS6detail17trampoline_kernelINS0_14default_configENS1_38merge_sort_block_merge_config_selectorIiNS0_10empty_typeEEEZZNS1_27merge_sort_block_merge_implIS3_PiPS5_jNS1_19radix_merge_compareILb0ELb0EiNS0_19identity_decomposerEEEEE10hipError_tT0_T1_T2_jT3_P12ihipStream_tbPNSt15iterator_traitsISE_E10value_typeEPNSK_ISF_E10value_typeEPSG_NS1_7vsmem_tEENKUlT_SE_SF_SG_E_clIS8_S8_S9_S9_EESD_ST_SE_SF_SG_EUlST_E1_NS1_11comp_targetILNS1_3genE2ELNS1_11target_archE906ELNS1_3gpuE6ELNS1_3repE0EEENS1_36merge_oddeven_config_static_selectorELNS0_4arch9wavefront6targetE1EEEvSF_,comdat
	.protected	_ZN7rocprim17ROCPRIM_400000_NS6detail17trampoline_kernelINS0_14default_configENS1_38merge_sort_block_merge_config_selectorIiNS0_10empty_typeEEEZZNS1_27merge_sort_block_merge_implIS3_PiPS5_jNS1_19radix_merge_compareILb0ELb0EiNS0_19identity_decomposerEEEEE10hipError_tT0_T1_T2_jT3_P12ihipStream_tbPNSt15iterator_traitsISE_E10value_typeEPNSK_ISF_E10value_typeEPSG_NS1_7vsmem_tEENKUlT_SE_SF_SG_E_clIS8_S8_S9_S9_EESD_ST_SE_SF_SG_EUlST_E1_NS1_11comp_targetILNS1_3genE2ELNS1_11target_archE906ELNS1_3gpuE6ELNS1_3repE0EEENS1_36merge_oddeven_config_static_selectorELNS0_4arch9wavefront6targetE1EEEvSF_ ; -- Begin function _ZN7rocprim17ROCPRIM_400000_NS6detail17trampoline_kernelINS0_14default_configENS1_38merge_sort_block_merge_config_selectorIiNS0_10empty_typeEEEZZNS1_27merge_sort_block_merge_implIS3_PiPS5_jNS1_19radix_merge_compareILb0ELb0EiNS0_19identity_decomposerEEEEE10hipError_tT0_T1_T2_jT3_P12ihipStream_tbPNSt15iterator_traitsISE_E10value_typeEPNSK_ISF_E10value_typeEPSG_NS1_7vsmem_tEENKUlT_SE_SF_SG_E_clIS8_S8_S9_S9_EESD_ST_SE_SF_SG_EUlST_E1_NS1_11comp_targetILNS1_3genE2ELNS1_11target_archE906ELNS1_3gpuE6ELNS1_3repE0EEENS1_36merge_oddeven_config_static_selectorELNS0_4arch9wavefront6targetE1EEEvSF_
	.globl	_ZN7rocprim17ROCPRIM_400000_NS6detail17trampoline_kernelINS0_14default_configENS1_38merge_sort_block_merge_config_selectorIiNS0_10empty_typeEEEZZNS1_27merge_sort_block_merge_implIS3_PiPS5_jNS1_19radix_merge_compareILb0ELb0EiNS0_19identity_decomposerEEEEE10hipError_tT0_T1_T2_jT3_P12ihipStream_tbPNSt15iterator_traitsISE_E10value_typeEPNSK_ISF_E10value_typeEPSG_NS1_7vsmem_tEENKUlT_SE_SF_SG_E_clIS8_S8_S9_S9_EESD_ST_SE_SF_SG_EUlST_E1_NS1_11comp_targetILNS1_3genE2ELNS1_11target_archE906ELNS1_3gpuE6ELNS1_3repE0EEENS1_36merge_oddeven_config_static_selectorELNS0_4arch9wavefront6targetE1EEEvSF_
	.p2align	8
	.type	_ZN7rocprim17ROCPRIM_400000_NS6detail17trampoline_kernelINS0_14default_configENS1_38merge_sort_block_merge_config_selectorIiNS0_10empty_typeEEEZZNS1_27merge_sort_block_merge_implIS3_PiPS5_jNS1_19radix_merge_compareILb0ELb0EiNS0_19identity_decomposerEEEEE10hipError_tT0_T1_T2_jT3_P12ihipStream_tbPNSt15iterator_traitsISE_E10value_typeEPNSK_ISF_E10value_typeEPSG_NS1_7vsmem_tEENKUlT_SE_SF_SG_E_clIS8_S8_S9_S9_EESD_ST_SE_SF_SG_EUlST_E1_NS1_11comp_targetILNS1_3genE2ELNS1_11target_archE906ELNS1_3gpuE6ELNS1_3repE0EEENS1_36merge_oddeven_config_static_selectorELNS0_4arch9wavefront6targetE1EEEvSF_,@function
_ZN7rocprim17ROCPRIM_400000_NS6detail17trampoline_kernelINS0_14default_configENS1_38merge_sort_block_merge_config_selectorIiNS0_10empty_typeEEEZZNS1_27merge_sort_block_merge_implIS3_PiPS5_jNS1_19radix_merge_compareILb0ELb0EiNS0_19identity_decomposerEEEEE10hipError_tT0_T1_T2_jT3_P12ihipStream_tbPNSt15iterator_traitsISE_E10value_typeEPNSK_ISF_E10value_typeEPSG_NS1_7vsmem_tEENKUlT_SE_SF_SG_E_clIS8_S8_S9_S9_EESD_ST_SE_SF_SG_EUlST_E1_NS1_11comp_targetILNS1_3genE2ELNS1_11target_archE906ELNS1_3gpuE6ELNS1_3repE0EEENS1_36merge_oddeven_config_static_selectorELNS0_4arch9wavefront6targetE1EEEvSF_: ; @_ZN7rocprim17ROCPRIM_400000_NS6detail17trampoline_kernelINS0_14default_configENS1_38merge_sort_block_merge_config_selectorIiNS0_10empty_typeEEEZZNS1_27merge_sort_block_merge_implIS3_PiPS5_jNS1_19radix_merge_compareILb0ELb0EiNS0_19identity_decomposerEEEEE10hipError_tT0_T1_T2_jT3_P12ihipStream_tbPNSt15iterator_traitsISE_E10value_typeEPNSK_ISF_E10value_typeEPSG_NS1_7vsmem_tEENKUlT_SE_SF_SG_E_clIS8_S8_S9_S9_EESD_ST_SE_SF_SG_EUlST_E1_NS1_11comp_targetILNS1_3genE2ELNS1_11target_archE906ELNS1_3gpuE6ELNS1_3repE0EEENS1_36merge_oddeven_config_static_selectorELNS0_4arch9wavefront6targetE1EEEvSF_
; %bb.0:
	.section	.rodata,"a",@progbits
	.p2align	6, 0x0
	.amdhsa_kernel _ZN7rocprim17ROCPRIM_400000_NS6detail17trampoline_kernelINS0_14default_configENS1_38merge_sort_block_merge_config_selectorIiNS0_10empty_typeEEEZZNS1_27merge_sort_block_merge_implIS3_PiPS5_jNS1_19radix_merge_compareILb0ELb0EiNS0_19identity_decomposerEEEEE10hipError_tT0_T1_T2_jT3_P12ihipStream_tbPNSt15iterator_traitsISE_E10value_typeEPNSK_ISF_E10value_typeEPSG_NS1_7vsmem_tEENKUlT_SE_SF_SG_E_clIS8_S8_S9_S9_EESD_ST_SE_SF_SG_EUlST_E1_NS1_11comp_targetILNS1_3genE2ELNS1_11target_archE906ELNS1_3gpuE6ELNS1_3repE0EEENS1_36merge_oddeven_config_static_selectorELNS0_4arch9wavefront6targetE1EEEvSF_
		.amdhsa_group_segment_fixed_size 0
		.amdhsa_private_segment_fixed_size 0
		.amdhsa_kernarg_size 48
		.amdhsa_user_sgpr_count 6
		.amdhsa_user_sgpr_private_segment_buffer 1
		.amdhsa_user_sgpr_dispatch_ptr 0
		.amdhsa_user_sgpr_queue_ptr 0
		.amdhsa_user_sgpr_kernarg_segment_ptr 1
		.amdhsa_user_sgpr_dispatch_id 0
		.amdhsa_user_sgpr_flat_scratch_init 0
		.amdhsa_user_sgpr_kernarg_preload_length 0
		.amdhsa_user_sgpr_kernarg_preload_offset 0
		.amdhsa_user_sgpr_private_segment_size 0
		.amdhsa_uses_dynamic_stack 0
		.amdhsa_system_sgpr_private_segment_wavefront_offset 0
		.amdhsa_system_sgpr_workgroup_id_x 1
		.amdhsa_system_sgpr_workgroup_id_y 0
		.amdhsa_system_sgpr_workgroup_id_z 0
		.amdhsa_system_sgpr_workgroup_info 0
		.amdhsa_system_vgpr_workitem_id 0
		.amdhsa_next_free_vgpr 1
		.amdhsa_next_free_sgpr 0
		.amdhsa_accum_offset 4
		.amdhsa_reserve_vcc 0
		.amdhsa_reserve_flat_scratch 0
		.amdhsa_float_round_mode_32 0
		.amdhsa_float_round_mode_16_64 0
		.amdhsa_float_denorm_mode_32 3
		.amdhsa_float_denorm_mode_16_64 3
		.amdhsa_dx10_clamp 1
		.amdhsa_ieee_mode 1
		.amdhsa_fp16_overflow 0
		.amdhsa_tg_split 0
		.amdhsa_exception_fp_ieee_invalid_op 0
		.amdhsa_exception_fp_denorm_src 0
		.amdhsa_exception_fp_ieee_div_zero 0
		.amdhsa_exception_fp_ieee_overflow 0
		.amdhsa_exception_fp_ieee_underflow 0
		.amdhsa_exception_fp_ieee_inexact 0
		.amdhsa_exception_int_div_zero 0
	.end_amdhsa_kernel
	.section	.text._ZN7rocprim17ROCPRIM_400000_NS6detail17trampoline_kernelINS0_14default_configENS1_38merge_sort_block_merge_config_selectorIiNS0_10empty_typeEEEZZNS1_27merge_sort_block_merge_implIS3_PiPS5_jNS1_19radix_merge_compareILb0ELb0EiNS0_19identity_decomposerEEEEE10hipError_tT0_T1_T2_jT3_P12ihipStream_tbPNSt15iterator_traitsISE_E10value_typeEPNSK_ISF_E10value_typeEPSG_NS1_7vsmem_tEENKUlT_SE_SF_SG_E_clIS8_S8_S9_S9_EESD_ST_SE_SF_SG_EUlST_E1_NS1_11comp_targetILNS1_3genE2ELNS1_11target_archE906ELNS1_3gpuE6ELNS1_3repE0EEENS1_36merge_oddeven_config_static_selectorELNS0_4arch9wavefront6targetE1EEEvSF_,"axG",@progbits,_ZN7rocprim17ROCPRIM_400000_NS6detail17trampoline_kernelINS0_14default_configENS1_38merge_sort_block_merge_config_selectorIiNS0_10empty_typeEEEZZNS1_27merge_sort_block_merge_implIS3_PiPS5_jNS1_19radix_merge_compareILb0ELb0EiNS0_19identity_decomposerEEEEE10hipError_tT0_T1_T2_jT3_P12ihipStream_tbPNSt15iterator_traitsISE_E10value_typeEPNSK_ISF_E10value_typeEPSG_NS1_7vsmem_tEENKUlT_SE_SF_SG_E_clIS8_S8_S9_S9_EESD_ST_SE_SF_SG_EUlST_E1_NS1_11comp_targetILNS1_3genE2ELNS1_11target_archE906ELNS1_3gpuE6ELNS1_3repE0EEENS1_36merge_oddeven_config_static_selectorELNS0_4arch9wavefront6targetE1EEEvSF_,comdat
.Lfunc_end597:
	.size	_ZN7rocprim17ROCPRIM_400000_NS6detail17trampoline_kernelINS0_14default_configENS1_38merge_sort_block_merge_config_selectorIiNS0_10empty_typeEEEZZNS1_27merge_sort_block_merge_implIS3_PiPS5_jNS1_19radix_merge_compareILb0ELb0EiNS0_19identity_decomposerEEEEE10hipError_tT0_T1_T2_jT3_P12ihipStream_tbPNSt15iterator_traitsISE_E10value_typeEPNSK_ISF_E10value_typeEPSG_NS1_7vsmem_tEENKUlT_SE_SF_SG_E_clIS8_S8_S9_S9_EESD_ST_SE_SF_SG_EUlST_E1_NS1_11comp_targetILNS1_3genE2ELNS1_11target_archE906ELNS1_3gpuE6ELNS1_3repE0EEENS1_36merge_oddeven_config_static_selectorELNS0_4arch9wavefront6targetE1EEEvSF_, .Lfunc_end597-_ZN7rocprim17ROCPRIM_400000_NS6detail17trampoline_kernelINS0_14default_configENS1_38merge_sort_block_merge_config_selectorIiNS0_10empty_typeEEEZZNS1_27merge_sort_block_merge_implIS3_PiPS5_jNS1_19radix_merge_compareILb0ELb0EiNS0_19identity_decomposerEEEEE10hipError_tT0_T1_T2_jT3_P12ihipStream_tbPNSt15iterator_traitsISE_E10value_typeEPNSK_ISF_E10value_typeEPSG_NS1_7vsmem_tEENKUlT_SE_SF_SG_E_clIS8_S8_S9_S9_EESD_ST_SE_SF_SG_EUlST_E1_NS1_11comp_targetILNS1_3genE2ELNS1_11target_archE906ELNS1_3gpuE6ELNS1_3repE0EEENS1_36merge_oddeven_config_static_selectorELNS0_4arch9wavefront6targetE1EEEvSF_
                                        ; -- End function
	.section	.AMDGPU.csdata,"",@progbits
; Kernel info:
; codeLenInByte = 0
; NumSgprs: 4
; NumVgprs: 0
; NumAgprs: 0
; TotalNumVgprs: 0
; ScratchSize: 0
; MemoryBound: 0
; FloatMode: 240
; IeeeMode: 1
; LDSByteSize: 0 bytes/workgroup (compile time only)
; SGPRBlocks: 0
; VGPRBlocks: 0
; NumSGPRsForWavesPerEU: 4
; NumVGPRsForWavesPerEU: 1
; AccumOffset: 4
; Occupancy: 8
; WaveLimiterHint : 0
; COMPUTE_PGM_RSRC2:SCRATCH_EN: 0
; COMPUTE_PGM_RSRC2:USER_SGPR: 6
; COMPUTE_PGM_RSRC2:TRAP_HANDLER: 0
; COMPUTE_PGM_RSRC2:TGID_X_EN: 1
; COMPUTE_PGM_RSRC2:TGID_Y_EN: 0
; COMPUTE_PGM_RSRC2:TGID_Z_EN: 0
; COMPUTE_PGM_RSRC2:TIDIG_COMP_CNT: 0
; COMPUTE_PGM_RSRC3_GFX90A:ACCUM_OFFSET: 0
; COMPUTE_PGM_RSRC3_GFX90A:TG_SPLIT: 0
	.section	.text._ZN7rocprim17ROCPRIM_400000_NS6detail17trampoline_kernelINS0_14default_configENS1_38merge_sort_block_merge_config_selectorIiNS0_10empty_typeEEEZZNS1_27merge_sort_block_merge_implIS3_PiPS5_jNS1_19radix_merge_compareILb0ELb0EiNS0_19identity_decomposerEEEEE10hipError_tT0_T1_T2_jT3_P12ihipStream_tbPNSt15iterator_traitsISE_E10value_typeEPNSK_ISF_E10value_typeEPSG_NS1_7vsmem_tEENKUlT_SE_SF_SG_E_clIS8_S8_S9_S9_EESD_ST_SE_SF_SG_EUlST_E1_NS1_11comp_targetILNS1_3genE9ELNS1_11target_archE1100ELNS1_3gpuE3ELNS1_3repE0EEENS1_36merge_oddeven_config_static_selectorELNS0_4arch9wavefront6targetE1EEEvSF_,"axG",@progbits,_ZN7rocprim17ROCPRIM_400000_NS6detail17trampoline_kernelINS0_14default_configENS1_38merge_sort_block_merge_config_selectorIiNS0_10empty_typeEEEZZNS1_27merge_sort_block_merge_implIS3_PiPS5_jNS1_19radix_merge_compareILb0ELb0EiNS0_19identity_decomposerEEEEE10hipError_tT0_T1_T2_jT3_P12ihipStream_tbPNSt15iterator_traitsISE_E10value_typeEPNSK_ISF_E10value_typeEPSG_NS1_7vsmem_tEENKUlT_SE_SF_SG_E_clIS8_S8_S9_S9_EESD_ST_SE_SF_SG_EUlST_E1_NS1_11comp_targetILNS1_3genE9ELNS1_11target_archE1100ELNS1_3gpuE3ELNS1_3repE0EEENS1_36merge_oddeven_config_static_selectorELNS0_4arch9wavefront6targetE1EEEvSF_,comdat
	.protected	_ZN7rocprim17ROCPRIM_400000_NS6detail17trampoline_kernelINS0_14default_configENS1_38merge_sort_block_merge_config_selectorIiNS0_10empty_typeEEEZZNS1_27merge_sort_block_merge_implIS3_PiPS5_jNS1_19radix_merge_compareILb0ELb0EiNS0_19identity_decomposerEEEEE10hipError_tT0_T1_T2_jT3_P12ihipStream_tbPNSt15iterator_traitsISE_E10value_typeEPNSK_ISF_E10value_typeEPSG_NS1_7vsmem_tEENKUlT_SE_SF_SG_E_clIS8_S8_S9_S9_EESD_ST_SE_SF_SG_EUlST_E1_NS1_11comp_targetILNS1_3genE9ELNS1_11target_archE1100ELNS1_3gpuE3ELNS1_3repE0EEENS1_36merge_oddeven_config_static_selectorELNS0_4arch9wavefront6targetE1EEEvSF_ ; -- Begin function _ZN7rocprim17ROCPRIM_400000_NS6detail17trampoline_kernelINS0_14default_configENS1_38merge_sort_block_merge_config_selectorIiNS0_10empty_typeEEEZZNS1_27merge_sort_block_merge_implIS3_PiPS5_jNS1_19radix_merge_compareILb0ELb0EiNS0_19identity_decomposerEEEEE10hipError_tT0_T1_T2_jT3_P12ihipStream_tbPNSt15iterator_traitsISE_E10value_typeEPNSK_ISF_E10value_typeEPSG_NS1_7vsmem_tEENKUlT_SE_SF_SG_E_clIS8_S8_S9_S9_EESD_ST_SE_SF_SG_EUlST_E1_NS1_11comp_targetILNS1_3genE9ELNS1_11target_archE1100ELNS1_3gpuE3ELNS1_3repE0EEENS1_36merge_oddeven_config_static_selectorELNS0_4arch9wavefront6targetE1EEEvSF_
	.globl	_ZN7rocprim17ROCPRIM_400000_NS6detail17trampoline_kernelINS0_14default_configENS1_38merge_sort_block_merge_config_selectorIiNS0_10empty_typeEEEZZNS1_27merge_sort_block_merge_implIS3_PiPS5_jNS1_19radix_merge_compareILb0ELb0EiNS0_19identity_decomposerEEEEE10hipError_tT0_T1_T2_jT3_P12ihipStream_tbPNSt15iterator_traitsISE_E10value_typeEPNSK_ISF_E10value_typeEPSG_NS1_7vsmem_tEENKUlT_SE_SF_SG_E_clIS8_S8_S9_S9_EESD_ST_SE_SF_SG_EUlST_E1_NS1_11comp_targetILNS1_3genE9ELNS1_11target_archE1100ELNS1_3gpuE3ELNS1_3repE0EEENS1_36merge_oddeven_config_static_selectorELNS0_4arch9wavefront6targetE1EEEvSF_
	.p2align	8
	.type	_ZN7rocprim17ROCPRIM_400000_NS6detail17trampoline_kernelINS0_14default_configENS1_38merge_sort_block_merge_config_selectorIiNS0_10empty_typeEEEZZNS1_27merge_sort_block_merge_implIS3_PiPS5_jNS1_19radix_merge_compareILb0ELb0EiNS0_19identity_decomposerEEEEE10hipError_tT0_T1_T2_jT3_P12ihipStream_tbPNSt15iterator_traitsISE_E10value_typeEPNSK_ISF_E10value_typeEPSG_NS1_7vsmem_tEENKUlT_SE_SF_SG_E_clIS8_S8_S9_S9_EESD_ST_SE_SF_SG_EUlST_E1_NS1_11comp_targetILNS1_3genE9ELNS1_11target_archE1100ELNS1_3gpuE3ELNS1_3repE0EEENS1_36merge_oddeven_config_static_selectorELNS0_4arch9wavefront6targetE1EEEvSF_,@function
_ZN7rocprim17ROCPRIM_400000_NS6detail17trampoline_kernelINS0_14default_configENS1_38merge_sort_block_merge_config_selectorIiNS0_10empty_typeEEEZZNS1_27merge_sort_block_merge_implIS3_PiPS5_jNS1_19radix_merge_compareILb0ELb0EiNS0_19identity_decomposerEEEEE10hipError_tT0_T1_T2_jT3_P12ihipStream_tbPNSt15iterator_traitsISE_E10value_typeEPNSK_ISF_E10value_typeEPSG_NS1_7vsmem_tEENKUlT_SE_SF_SG_E_clIS8_S8_S9_S9_EESD_ST_SE_SF_SG_EUlST_E1_NS1_11comp_targetILNS1_3genE9ELNS1_11target_archE1100ELNS1_3gpuE3ELNS1_3repE0EEENS1_36merge_oddeven_config_static_selectorELNS0_4arch9wavefront6targetE1EEEvSF_: ; @_ZN7rocprim17ROCPRIM_400000_NS6detail17trampoline_kernelINS0_14default_configENS1_38merge_sort_block_merge_config_selectorIiNS0_10empty_typeEEEZZNS1_27merge_sort_block_merge_implIS3_PiPS5_jNS1_19radix_merge_compareILb0ELb0EiNS0_19identity_decomposerEEEEE10hipError_tT0_T1_T2_jT3_P12ihipStream_tbPNSt15iterator_traitsISE_E10value_typeEPNSK_ISF_E10value_typeEPSG_NS1_7vsmem_tEENKUlT_SE_SF_SG_E_clIS8_S8_S9_S9_EESD_ST_SE_SF_SG_EUlST_E1_NS1_11comp_targetILNS1_3genE9ELNS1_11target_archE1100ELNS1_3gpuE3ELNS1_3repE0EEENS1_36merge_oddeven_config_static_selectorELNS0_4arch9wavefront6targetE1EEEvSF_
; %bb.0:
	.section	.rodata,"a",@progbits
	.p2align	6, 0x0
	.amdhsa_kernel _ZN7rocprim17ROCPRIM_400000_NS6detail17trampoline_kernelINS0_14default_configENS1_38merge_sort_block_merge_config_selectorIiNS0_10empty_typeEEEZZNS1_27merge_sort_block_merge_implIS3_PiPS5_jNS1_19radix_merge_compareILb0ELb0EiNS0_19identity_decomposerEEEEE10hipError_tT0_T1_T2_jT3_P12ihipStream_tbPNSt15iterator_traitsISE_E10value_typeEPNSK_ISF_E10value_typeEPSG_NS1_7vsmem_tEENKUlT_SE_SF_SG_E_clIS8_S8_S9_S9_EESD_ST_SE_SF_SG_EUlST_E1_NS1_11comp_targetILNS1_3genE9ELNS1_11target_archE1100ELNS1_3gpuE3ELNS1_3repE0EEENS1_36merge_oddeven_config_static_selectorELNS0_4arch9wavefront6targetE1EEEvSF_
		.amdhsa_group_segment_fixed_size 0
		.amdhsa_private_segment_fixed_size 0
		.amdhsa_kernarg_size 48
		.amdhsa_user_sgpr_count 6
		.amdhsa_user_sgpr_private_segment_buffer 1
		.amdhsa_user_sgpr_dispatch_ptr 0
		.amdhsa_user_sgpr_queue_ptr 0
		.amdhsa_user_sgpr_kernarg_segment_ptr 1
		.amdhsa_user_sgpr_dispatch_id 0
		.amdhsa_user_sgpr_flat_scratch_init 0
		.amdhsa_user_sgpr_kernarg_preload_length 0
		.amdhsa_user_sgpr_kernarg_preload_offset 0
		.amdhsa_user_sgpr_private_segment_size 0
		.amdhsa_uses_dynamic_stack 0
		.amdhsa_system_sgpr_private_segment_wavefront_offset 0
		.amdhsa_system_sgpr_workgroup_id_x 1
		.amdhsa_system_sgpr_workgroup_id_y 0
		.amdhsa_system_sgpr_workgroup_id_z 0
		.amdhsa_system_sgpr_workgroup_info 0
		.amdhsa_system_vgpr_workitem_id 0
		.amdhsa_next_free_vgpr 1
		.amdhsa_next_free_sgpr 0
		.amdhsa_accum_offset 4
		.amdhsa_reserve_vcc 0
		.amdhsa_reserve_flat_scratch 0
		.amdhsa_float_round_mode_32 0
		.amdhsa_float_round_mode_16_64 0
		.amdhsa_float_denorm_mode_32 3
		.amdhsa_float_denorm_mode_16_64 3
		.amdhsa_dx10_clamp 1
		.amdhsa_ieee_mode 1
		.amdhsa_fp16_overflow 0
		.amdhsa_tg_split 0
		.amdhsa_exception_fp_ieee_invalid_op 0
		.amdhsa_exception_fp_denorm_src 0
		.amdhsa_exception_fp_ieee_div_zero 0
		.amdhsa_exception_fp_ieee_overflow 0
		.amdhsa_exception_fp_ieee_underflow 0
		.amdhsa_exception_fp_ieee_inexact 0
		.amdhsa_exception_int_div_zero 0
	.end_amdhsa_kernel
	.section	.text._ZN7rocprim17ROCPRIM_400000_NS6detail17trampoline_kernelINS0_14default_configENS1_38merge_sort_block_merge_config_selectorIiNS0_10empty_typeEEEZZNS1_27merge_sort_block_merge_implIS3_PiPS5_jNS1_19radix_merge_compareILb0ELb0EiNS0_19identity_decomposerEEEEE10hipError_tT0_T1_T2_jT3_P12ihipStream_tbPNSt15iterator_traitsISE_E10value_typeEPNSK_ISF_E10value_typeEPSG_NS1_7vsmem_tEENKUlT_SE_SF_SG_E_clIS8_S8_S9_S9_EESD_ST_SE_SF_SG_EUlST_E1_NS1_11comp_targetILNS1_3genE9ELNS1_11target_archE1100ELNS1_3gpuE3ELNS1_3repE0EEENS1_36merge_oddeven_config_static_selectorELNS0_4arch9wavefront6targetE1EEEvSF_,"axG",@progbits,_ZN7rocprim17ROCPRIM_400000_NS6detail17trampoline_kernelINS0_14default_configENS1_38merge_sort_block_merge_config_selectorIiNS0_10empty_typeEEEZZNS1_27merge_sort_block_merge_implIS3_PiPS5_jNS1_19radix_merge_compareILb0ELb0EiNS0_19identity_decomposerEEEEE10hipError_tT0_T1_T2_jT3_P12ihipStream_tbPNSt15iterator_traitsISE_E10value_typeEPNSK_ISF_E10value_typeEPSG_NS1_7vsmem_tEENKUlT_SE_SF_SG_E_clIS8_S8_S9_S9_EESD_ST_SE_SF_SG_EUlST_E1_NS1_11comp_targetILNS1_3genE9ELNS1_11target_archE1100ELNS1_3gpuE3ELNS1_3repE0EEENS1_36merge_oddeven_config_static_selectorELNS0_4arch9wavefront6targetE1EEEvSF_,comdat
.Lfunc_end598:
	.size	_ZN7rocprim17ROCPRIM_400000_NS6detail17trampoline_kernelINS0_14default_configENS1_38merge_sort_block_merge_config_selectorIiNS0_10empty_typeEEEZZNS1_27merge_sort_block_merge_implIS3_PiPS5_jNS1_19radix_merge_compareILb0ELb0EiNS0_19identity_decomposerEEEEE10hipError_tT0_T1_T2_jT3_P12ihipStream_tbPNSt15iterator_traitsISE_E10value_typeEPNSK_ISF_E10value_typeEPSG_NS1_7vsmem_tEENKUlT_SE_SF_SG_E_clIS8_S8_S9_S9_EESD_ST_SE_SF_SG_EUlST_E1_NS1_11comp_targetILNS1_3genE9ELNS1_11target_archE1100ELNS1_3gpuE3ELNS1_3repE0EEENS1_36merge_oddeven_config_static_selectorELNS0_4arch9wavefront6targetE1EEEvSF_, .Lfunc_end598-_ZN7rocprim17ROCPRIM_400000_NS6detail17trampoline_kernelINS0_14default_configENS1_38merge_sort_block_merge_config_selectorIiNS0_10empty_typeEEEZZNS1_27merge_sort_block_merge_implIS3_PiPS5_jNS1_19radix_merge_compareILb0ELb0EiNS0_19identity_decomposerEEEEE10hipError_tT0_T1_T2_jT3_P12ihipStream_tbPNSt15iterator_traitsISE_E10value_typeEPNSK_ISF_E10value_typeEPSG_NS1_7vsmem_tEENKUlT_SE_SF_SG_E_clIS8_S8_S9_S9_EESD_ST_SE_SF_SG_EUlST_E1_NS1_11comp_targetILNS1_3genE9ELNS1_11target_archE1100ELNS1_3gpuE3ELNS1_3repE0EEENS1_36merge_oddeven_config_static_selectorELNS0_4arch9wavefront6targetE1EEEvSF_
                                        ; -- End function
	.section	.AMDGPU.csdata,"",@progbits
; Kernel info:
; codeLenInByte = 0
; NumSgprs: 4
; NumVgprs: 0
; NumAgprs: 0
; TotalNumVgprs: 0
; ScratchSize: 0
; MemoryBound: 0
; FloatMode: 240
; IeeeMode: 1
; LDSByteSize: 0 bytes/workgroup (compile time only)
; SGPRBlocks: 0
; VGPRBlocks: 0
; NumSGPRsForWavesPerEU: 4
; NumVGPRsForWavesPerEU: 1
; AccumOffset: 4
; Occupancy: 8
; WaveLimiterHint : 0
; COMPUTE_PGM_RSRC2:SCRATCH_EN: 0
; COMPUTE_PGM_RSRC2:USER_SGPR: 6
; COMPUTE_PGM_RSRC2:TRAP_HANDLER: 0
; COMPUTE_PGM_RSRC2:TGID_X_EN: 1
; COMPUTE_PGM_RSRC2:TGID_Y_EN: 0
; COMPUTE_PGM_RSRC2:TGID_Z_EN: 0
; COMPUTE_PGM_RSRC2:TIDIG_COMP_CNT: 0
; COMPUTE_PGM_RSRC3_GFX90A:ACCUM_OFFSET: 0
; COMPUTE_PGM_RSRC3_GFX90A:TG_SPLIT: 0
	.section	.text._ZN7rocprim17ROCPRIM_400000_NS6detail17trampoline_kernelINS0_14default_configENS1_38merge_sort_block_merge_config_selectorIiNS0_10empty_typeEEEZZNS1_27merge_sort_block_merge_implIS3_PiPS5_jNS1_19radix_merge_compareILb0ELb0EiNS0_19identity_decomposerEEEEE10hipError_tT0_T1_T2_jT3_P12ihipStream_tbPNSt15iterator_traitsISE_E10value_typeEPNSK_ISF_E10value_typeEPSG_NS1_7vsmem_tEENKUlT_SE_SF_SG_E_clIS8_S8_S9_S9_EESD_ST_SE_SF_SG_EUlST_E1_NS1_11comp_targetILNS1_3genE8ELNS1_11target_archE1030ELNS1_3gpuE2ELNS1_3repE0EEENS1_36merge_oddeven_config_static_selectorELNS0_4arch9wavefront6targetE1EEEvSF_,"axG",@progbits,_ZN7rocprim17ROCPRIM_400000_NS6detail17trampoline_kernelINS0_14default_configENS1_38merge_sort_block_merge_config_selectorIiNS0_10empty_typeEEEZZNS1_27merge_sort_block_merge_implIS3_PiPS5_jNS1_19radix_merge_compareILb0ELb0EiNS0_19identity_decomposerEEEEE10hipError_tT0_T1_T2_jT3_P12ihipStream_tbPNSt15iterator_traitsISE_E10value_typeEPNSK_ISF_E10value_typeEPSG_NS1_7vsmem_tEENKUlT_SE_SF_SG_E_clIS8_S8_S9_S9_EESD_ST_SE_SF_SG_EUlST_E1_NS1_11comp_targetILNS1_3genE8ELNS1_11target_archE1030ELNS1_3gpuE2ELNS1_3repE0EEENS1_36merge_oddeven_config_static_selectorELNS0_4arch9wavefront6targetE1EEEvSF_,comdat
	.protected	_ZN7rocprim17ROCPRIM_400000_NS6detail17trampoline_kernelINS0_14default_configENS1_38merge_sort_block_merge_config_selectorIiNS0_10empty_typeEEEZZNS1_27merge_sort_block_merge_implIS3_PiPS5_jNS1_19radix_merge_compareILb0ELb0EiNS0_19identity_decomposerEEEEE10hipError_tT0_T1_T2_jT3_P12ihipStream_tbPNSt15iterator_traitsISE_E10value_typeEPNSK_ISF_E10value_typeEPSG_NS1_7vsmem_tEENKUlT_SE_SF_SG_E_clIS8_S8_S9_S9_EESD_ST_SE_SF_SG_EUlST_E1_NS1_11comp_targetILNS1_3genE8ELNS1_11target_archE1030ELNS1_3gpuE2ELNS1_3repE0EEENS1_36merge_oddeven_config_static_selectorELNS0_4arch9wavefront6targetE1EEEvSF_ ; -- Begin function _ZN7rocprim17ROCPRIM_400000_NS6detail17trampoline_kernelINS0_14default_configENS1_38merge_sort_block_merge_config_selectorIiNS0_10empty_typeEEEZZNS1_27merge_sort_block_merge_implIS3_PiPS5_jNS1_19radix_merge_compareILb0ELb0EiNS0_19identity_decomposerEEEEE10hipError_tT0_T1_T2_jT3_P12ihipStream_tbPNSt15iterator_traitsISE_E10value_typeEPNSK_ISF_E10value_typeEPSG_NS1_7vsmem_tEENKUlT_SE_SF_SG_E_clIS8_S8_S9_S9_EESD_ST_SE_SF_SG_EUlST_E1_NS1_11comp_targetILNS1_3genE8ELNS1_11target_archE1030ELNS1_3gpuE2ELNS1_3repE0EEENS1_36merge_oddeven_config_static_selectorELNS0_4arch9wavefront6targetE1EEEvSF_
	.globl	_ZN7rocprim17ROCPRIM_400000_NS6detail17trampoline_kernelINS0_14default_configENS1_38merge_sort_block_merge_config_selectorIiNS0_10empty_typeEEEZZNS1_27merge_sort_block_merge_implIS3_PiPS5_jNS1_19radix_merge_compareILb0ELb0EiNS0_19identity_decomposerEEEEE10hipError_tT0_T1_T2_jT3_P12ihipStream_tbPNSt15iterator_traitsISE_E10value_typeEPNSK_ISF_E10value_typeEPSG_NS1_7vsmem_tEENKUlT_SE_SF_SG_E_clIS8_S8_S9_S9_EESD_ST_SE_SF_SG_EUlST_E1_NS1_11comp_targetILNS1_3genE8ELNS1_11target_archE1030ELNS1_3gpuE2ELNS1_3repE0EEENS1_36merge_oddeven_config_static_selectorELNS0_4arch9wavefront6targetE1EEEvSF_
	.p2align	8
	.type	_ZN7rocprim17ROCPRIM_400000_NS6detail17trampoline_kernelINS0_14default_configENS1_38merge_sort_block_merge_config_selectorIiNS0_10empty_typeEEEZZNS1_27merge_sort_block_merge_implIS3_PiPS5_jNS1_19radix_merge_compareILb0ELb0EiNS0_19identity_decomposerEEEEE10hipError_tT0_T1_T2_jT3_P12ihipStream_tbPNSt15iterator_traitsISE_E10value_typeEPNSK_ISF_E10value_typeEPSG_NS1_7vsmem_tEENKUlT_SE_SF_SG_E_clIS8_S8_S9_S9_EESD_ST_SE_SF_SG_EUlST_E1_NS1_11comp_targetILNS1_3genE8ELNS1_11target_archE1030ELNS1_3gpuE2ELNS1_3repE0EEENS1_36merge_oddeven_config_static_selectorELNS0_4arch9wavefront6targetE1EEEvSF_,@function
_ZN7rocprim17ROCPRIM_400000_NS6detail17trampoline_kernelINS0_14default_configENS1_38merge_sort_block_merge_config_selectorIiNS0_10empty_typeEEEZZNS1_27merge_sort_block_merge_implIS3_PiPS5_jNS1_19radix_merge_compareILb0ELb0EiNS0_19identity_decomposerEEEEE10hipError_tT0_T1_T2_jT3_P12ihipStream_tbPNSt15iterator_traitsISE_E10value_typeEPNSK_ISF_E10value_typeEPSG_NS1_7vsmem_tEENKUlT_SE_SF_SG_E_clIS8_S8_S9_S9_EESD_ST_SE_SF_SG_EUlST_E1_NS1_11comp_targetILNS1_3genE8ELNS1_11target_archE1030ELNS1_3gpuE2ELNS1_3repE0EEENS1_36merge_oddeven_config_static_selectorELNS0_4arch9wavefront6targetE1EEEvSF_: ; @_ZN7rocprim17ROCPRIM_400000_NS6detail17trampoline_kernelINS0_14default_configENS1_38merge_sort_block_merge_config_selectorIiNS0_10empty_typeEEEZZNS1_27merge_sort_block_merge_implIS3_PiPS5_jNS1_19radix_merge_compareILb0ELb0EiNS0_19identity_decomposerEEEEE10hipError_tT0_T1_T2_jT3_P12ihipStream_tbPNSt15iterator_traitsISE_E10value_typeEPNSK_ISF_E10value_typeEPSG_NS1_7vsmem_tEENKUlT_SE_SF_SG_E_clIS8_S8_S9_S9_EESD_ST_SE_SF_SG_EUlST_E1_NS1_11comp_targetILNS1_3genE8ELNS1_11target_archE1030ELNS1_3gpuE2ELNS1_3repE0EEENS1_36merge_oddeven_config_static_selectorELNS0_4arch9wavefront6targetE1EEEvSF_
; %bb.0:
	.section	.rodata,"a",@progbits
	.p2align	6, 0x0
	.amdhsa_kernel _ZN7rocprim17ROCPRIM_400000_NS6detail17trampoline_kernelINS0_14default_configENS1_38merge_sort_block_merge_config_selectorIiNS0_10empty_typeEEEZZNS1_27merge_sort_block_merge_implIS3_PiPS5_jNS1_19radix_merge_compareILb0ELb0EiNS0_19identity_decomposerEEEEE10hipError_tT0_T1_T2_jT3_P12ihipStream_tbPNSt15iterator_traitsISE_E10value_typeEPNSK_ISF_E10value_typeEPSG_NS1_7vsmem_tEENKUlT_SE_SF_SG_E_clIS8_S8_S9_S9_EESD_ST_SE_SF_SG_EUlST_E1_NS1_11comp_targetILNS1_3genE8ELNS1_11target_archE1030ELNS1_3gpuE2ELNS1_3repE0EEENS1_36merge_oddeven_config_static_selectorELNS0_4arch9wavefront6targetE1EEEvSF_
		.amdhsa_group_segment_fixed_size 0
		.amdhsa_private_segment_fixed_size 0
		.amdhsa_kernarg_size 48
		.amdhsa_user_sgpr_count 6
		.amdhsa_user_sgpr_private_segment_buffer 1
		.amdhsa_user_sgpr_dispatch_ptr 0
		.amdhsa_user_sgpr_queue_ptr 0
		.amdhsa_user_sgpr_kernarg_segment_ptr 1
		.amdhsa_user_sgpr_dispatch_id 0
		.amdhsa_user_sgpr_flat_scratch_init 0
		.amdhsa_user_sgpr_kernarg_preload_length 0
		.amdhsa_user_sgpr_kernarg_preload_offset 0
		.amdhsa_user_sgpr_private_segment_size 0
		.amdhsa_uses_dynamic_stack 0
		.amdhsa_system_sgpr_private_segment_wavefront_offset 0
		.amdhsa_system_sgpr_workgroup_id_x 1
		.amdhsa_system_sgpr_workgroup_id_y 0
		.amdhsa_system_sgpr_workgroup_id_z 0
		.amdhsa_system_sgpr_workgroup_info 0
		.amdhsa_system_vgpr_workitem_id 0
		.amdhsa_next_free_vgpr 1
		.amdhsa_next_free_sgpr 0
		.amdhsa_accum_offset 4
		.amdhsa_reserve_vcc 0
		.amdhsa_reserve_flat_scratch 0
		.amdhsa_float_round_mode_32 0
		.amdhsa_float_round_mode_16_64 0
		.amdhsa_float_denorm_mode_32 3
		.amdhsa_float_denorm_mode_16_64 3
		.amdhsa_dx10_clamp 1
		.amdhsa_ieee_mode 1
		.amdhsa_fp16_overflow 0
		.amdhsa_tg_split 0
		.amdhsa_exception_fp_ieee_invalid_op 0
		.amdhsa_exception_fp_denorm_src 0
		.amdhsa_exception_fp_ieee_div_zero 0
		.amdhsa_exception_fp_ieee_overflow 0
		.amdhsa_exception_fp_ieee_underflow 0
		.amdhsa_exception_fp_ieee_inexact 0
		.amdhsa_exception_int_div_zero 0
	.end_amdhsa_kernel
	.section	.text._ZN7rocprim17ROCPRIM_400000_NS6detail17trampoline_kernelINS0_14default_configENS1_38merge_sort_block_merge_config_selectorIiNS0_10empty_typeEEEZZNS1_27merge_sort_block_merge_implIS3_PiPS5_jNS1_19radix_merge_compareILb0ELb0EiNS0_19identity_decomposerEEEEE10hipError_tT0_T1_T2_jT3_P12ihipStream_tbPNSt15iterator_traitsISE_E10value_typeEPNSK_ISF_E10value_typeEPSG_NS1_7vsmem_tEENKUlT_SE_SF_SG_E_clIS8_S8_S9_S9_EESD_ST_SE_SF_SG_EUlST_E1_NS1_11comp_targetILNS1_3genE8ELNS1_11target_archE1030ELNS1_3gpuE2ELNS1_3repE0EEENS1_36merge_oddeven_config_static_selectorELNS0_4arch9wavefront6targetE1EEEvSF_,"axG",@progbits,_ZN7rocprim17ROCPRIM_400000_NS6detail17trampoline_kernelINS0_14default_configENS1_38merge_sort_block_merge_config_selectorIiNS0_10empty_typeEEEZZNS1_27merge_sort_block_merge_implIS3_PiPS5_jNS1_19radix_merge_compareILb0ELb0EiNS0_19identity_decomposerEEEEE10hipError_tT0_T1_T2_jT3_P12ihipStream_tbPNSt15iterator_traitsISE_E10value_typeEPNSK_ISF_E10value_typeEPSG_NS1_7vsmem_tEENKUlT_SE_SF_SG_E_clIS8_S8_S9_S9_EESD_ST_SE_SF_SG_EUlST_E1_NS1_11comp_targetILNS1_3genE8ELNS1_11target_archE1030ELNS1_3gpuE2ELNS1_3repE0EEENS1_36merge_oddeven_config_static_selectorELNS0_4arch9wavefront6targetE1EEEvSF_,comdat
.Lfunc_end599:
	.size	_ZN7rocprim17ROCPRIM_400000_NS6detail17trampoline_kernelINS0_14default_configENS1_38merge_sort_block_merge_config_selectorIiNS0_10empty_typeEEEZZNS1_27merge_sort_block_merge_implIS3_PiPS5_jNS1_19radix_merge_compareILb0ELb0EiNS0_19identity_decomposerEEEEE10hipError_tT0_T1_T2_jT3_P12ihipStream_tbPNSt15iterator_traitsISE_E10value_typeEPNSK_ISF_E10value_typeEPSG_NS1_7vsmem_tEENKUlT_SE_SF_SG_E_clIS8_S8_S9_S9_EESD_ST_SE_SF_SG_EUlST_E1_NS1_11comp_targetILNS1_3genE8ELNS1_11target_archE1030ELNS1_3gpuE2ELNS1_3repE0EEENS1_36merge_oddeven_config_static_selectorELNS0_4arch9wavefront6targetE1EEEvSF_, .Lfunc_end599-_ZN7rocprim17ROCPRIM_400000_NS6detail17trampoline_kernelINS0_14default_configENS1_38merge_sort_block_merge_config_selectorIiNS0_10empty_typeEEEZZNS1_27merge_sort_block_merge_implIS3_PiPS5_jNS1_19radix_merge_compareILb0ELb0EiNS0_19identity_decomposerEEEEE10hipError_tT0_T1_T2_jT3_P12ihipStream_tbPNSt15iterator_traitsISE_E10value_typeEPNSK_ISF_E10value_typeEPSG_NS1_7vsmem_tEENKUlT_SE_SF_SG_E_clIS8_S8_S9_S9_EESD_ST_SE_SF_SG_EUlST_E1_NS1_11comp_targetILNS1_3genE8ELNS1_11target_archE1030ELNS1_3gpuE2ELNS1_3repE0EEENS1_36merge_oddeven_config_static_selectorELNS0_4arch9wavefront6targetE1EEEvSF_
                                        ; -- End function
	.section	.AMDGPU.csdata,"",@progbits
; Kernel info:
; codeLenInByte = 0
; NumSgprs: 4
; NumVgprs: 0
; NumAgprs: 0
; TotalNumVgprs: 0
; ScratchSize: 0
; MemoryBound: 0
; FloatMode: 240
; IeeeMode: 1
; LDSByteSize: 0 bytes/workgroup (compile time only)
; SGPRBlocks: 0
; VGPRBlocks: 0
; NumSGPRsForWavesPerEU: 4
; NumVGPRsForWavesPerEU: 1
; AccumOffset: 4
; Occupancy: 8
; WaveLimiterHint : 0
; COMPUTE_PGM_RSRC2:SCRATCH_EN: 0
; COMPUTE_PGM_RSRC2:USER_SGPR: 6
; COMPUTE_PGM_RSRC2:TRAP_HANDLER: 0
; COMPUTE_PGM_RSRC2:TGID_X_EN: 1
; COMPUTE_PGM_RSRC2:TGID_Y_EN: 0
; COMPUTE_PGM_RSRC2:TGID_Z_EN: 0
; COMPUTE_PGM_RSRC2:TIDIG_COMP_CNT: 0
; COMPUTE_PGM_RSRC3_GFX90A:ACCUM_OFFSET: 0
; COMPUTE_PGM_RSRC3_GFX90A:TG_SPLIT: 0
	.section	.text._ZN7rocprim17ROCPRIM_400000_NS6detail17trampoline_kernelINS0_14default_configENS1_25transform_config_selectorIiLb1EEEZNS1_14transform_implILb1ES3_S5_PiS7_NS0_8identityIiEEEE10hipError_tT2_T3_mT4_P12ihipStream_tbEUlT_E_NS1_11comp_targetILNS1_3genE0ELNS1_11target_archE4294967295ELNS1_3gpuE0ELNS1_3repE0EEENS1_30default_config_static_selectorELNS0_4arch9wavefront6targetE1EEEvT1_,"axG",@progbits,_ZN7rocprim17ROCPRIM_400000_NS6detail17trampoline_kernelINS0_14default_configENS1_25transform_config_selectorIiLb1EEEZNS1_14transform_implILb1ES3_S5_PiS7_NS0_8identityIiEEEE10hipError_tT2_T3_mT4_P12ihipStream_tbEUlT_E_NS1_11comp_targetILNS1_3genE0ELNS1_11target_archE4294967295ELNS1_3gpuE0ELNS1_3repE0EEENS1_30default_config_static_selectorELNS0_4arch9wavefront6targetE1EEEvT1_,comdat
	.protected	_ZN7rocprim17ROCPRIM_400000_NS6detail17trampoline_kernelINS0_14default_configENS1_25transform_config_selectorIiLb1EEEZNS1_14transform_implILb1ES3_S5_PiS7_NS0_8identityIiEEEE10hipError_tT2_T3_mT4_P12ihipStream_tbEUlT_E_NS1_11comp_targetILNS1_3genE0ELNS1_11target_archE4294967295ELNS1_3gpuE0ELNS1_3repE0EEENS1_30default_config_static_selectorELNS0_4arch9wavefront6targetE1EEEvT1_ ; -- Begin function _ZN7rocprim17ROCPRIM_400000_NS6detail17trampoline_kernelINS0_14default_configENS1_25transform_config_selectorIiLb1EEEZNS1_14transform_implILb1ES3_S5_PiS7_NS0_8identityIiEEEE10hipError_tT2_T3_mT4_P12ihipStream_tbEUlT_E_NS1_11comp_targetILNS1_3genE0ELNS1_11target_archE4294967295ELNS1_3gpuE0ELNS1_3repE0EEENS1_30default_config_static_selectorELNS0_4arch9wavefront6targetE1EEEvT1_
	.globl	_ZN7rocprim17ROCPRIM_400000_NS6detail17trampoline_kernelINS0_14default_configENS1_25transform_config_selectorIiLb1EEEZNS1_14transform_implILb1ES3_S5_PiS7_NS0_8identityIiEEEE10hipError_tT2_T3_mT4_P12ihipStream_tbEUlT_E_NS1_11comp_targetILNS1_3genE0ELNS1_11target_archE4294967295ELNS1_3gpuE0ELNS1_3repE0EEENS1_30default_config_static_selectorELNS0_4arch9wavefront6targetE1EEEvT1_
	.p2align	8
	.type	_ZN7rocprim17ROCPRIM_400000_NS6detail17trampoline_kernelINS0_14default_configENS1_25transform_config_selectorIiLb1EEEZNS1_14transform_implILb1ES3_S5_PiS7_NS0_8identityIiEEEE10hipError_tT2_T3_mT4_P12ihipStream_tbEUlT_E_NS1_11comp_targetILNS1_3genE0ELNS1_11target_archE4294967295ELNS1_3gpuE0ELNS1_3repE0EEENS1_30default_config_static_selectorELNS0_4arch9wavefront6targetE1EEEvT1_,@function
_ZN7rocprim17ROCPRIM_400000_NS6detail17trampoline_kernelINS0_14default_configENS1_25transform_config_selectorIiLb1EEEZNS1_14transform_implILb1ES3_S5_PiS7_NS0_8identityIiEEEE10hipError_tT2_T3_mT4_P12ihipStream_tbEUlT_E_NS1_11comp_targetILNS1_3genE0ELNS1_11target_archE4294967295ELNS1_3gpuE0ELNS1_3repE0EEENS1_30default_config_static_selectorELNS0_4arch9wavefront6targetE1EEEvT1_: ; @_ZN7rocprim17ROCPRIM_400000_NS6detail17trampoline_kernelINS0_14default_configENS1_25transform_config_selectorIiLb1EEEZNS1_14transform_implILb1ES3_S5_PiS7_NS0_8identityIiEEEE10hipError_tT2_T3_mT4_P12ihipStream_tbEUlT_E_NS1_11comp_targetILNS1_3genE0ELNS1_11target_archE4294967295ELNS1_3gpuE0ELNS1_3repE0EEENS1_30default_config_static_selectorELNS0_4arch9wavefront6targetE1EEEvT1_
; %bb.0:
	.section	.rodata,"a",@progbits
	.p2align	6, 0x0
	.amdhsa_kernel _ZN7rocprim17ROCPRIM_400000_NS6detail17trampoline_kernelINS0_14default_configENS1_25transform_config_selectorIiLb1EEEZNS1_14transform_implILb1ES3_S5_PiS7_NS0_8identityIiEEEE10hipError_tT2_T3_mT4_P12ihipStream_tbEUlT_E_NS1_11comp_targetILNS1_3genE0ELNS1_11target_archE4294967295ELNS1_3gpuE0ELNS1_3repE0EEENS1_30default_config_static_selectorELNS0_4arch9wavefront6targetE1EEEvT1_
		.amdhsa_group_segment_fixed_size 0
		.amdhsa_private_segment_fixed_size 0
		.amdhsa_kernarg_size 40
		.amdhsa_user_sgpr_count 6
		.amdhsa_user_sgpr_private_segment_buffer 1
		.amdhsa_user_sgpr_dispatch_ptr 0
		.amdhsa_user_sgpr_queue_ptr 0
		.amdhsa_user_sgpr_kernarg_segment_ptr 1
		.amdhsa_user_sgpr_dispatch_id 0
		.amdhsa_user_sgpr_flat_scratch_init 0
		.amdhsa_user_sgpr_kernarg_preload_length 0
		.amdhsa_user_sgpr_kernarg_preload_offset 0
		.amdhsa_user_sgpr_private_segment_size 0
		.amdhsa_uses_dynamic_stack 0
		.amdhsa_system_sgpr_private_segment_wavefront_offset 0
		.amdhsa_system_sgpr_workgroup_id_x 1
		.amdhsa_system_sgpr_workgroup_id_y 0
		.amdhsa_system_sgpr_workgroup_id_z 0
		.amdhsa_system_sgpr_workgroup_info 0
		.amdhsa_system_vgpr_workitem_id 0
		.amdhsa_next_free_vgpr 1
		.amdhsa_next_free_sgpr 0
		.amdhsa_accum_offset 4
		.amdhsa_reserve_vcc 0
		.amdhsa_reserve_flat_scratch 0
		.amdhsa_float_round_mode_32 0
		.amdhsa_float_round_mode_16_64 0
		.amdhsa_float_denorm_mode_32 3
		.amdhsa_float_denorm_mode_16_64 3
		.amdhsa_dx10_clamp 1
		.amdhsa_ieee_mode 1
		.amdhsa_fp16_overflow 0
		.amdhsa_tg_split 0
		.amdhsa_exception_fp_ieee_invalid_op 0
		.amdhsa_exception_fp_denorm_src 0
		.amdhsa_exception_fp_ieee_div_zero 0
		.amdhsa_exception_fp_ieee_overflow 0
		.amdhsa_exception_fp_ieee_underflow 0
		.amdhsa_exception_fp_ieee_inexact 0
		.amdhsa_exception_int_div_zero 0
	.end_amdhsa_kernel
	.section	.text._ZN7rocprim17ROCPRIM_400000_NS6detail17trampoline_kernelINS0_14default_configENS1_25transform_config_selectorIiLb1EEEZNS1_14transform_implILb1ES3_S5_PiS7_NS0_8identityIiEEEE10hipError_tT2_T3_mT4_P12ihipStream_tbEUlT_E_NS1_11comp_targetILNS1_3genE0ELNS1_11target_archE4294967295ELNS1_3gpuE0ELNS1_3repE0EEENS1_30default_config_static_selectorELNS0_4arch9wavefront6targetE1EEEvT1_,"axG",@progbits,_ZN7rocprim17ROCPRIM_400000_NS6detail17trampoline_kernelINS0_14default_configENS1_25transform_config_selectorIiLb1EEEZNS1_14transform_implILb1ES3_S5_PiS7_NS0_8identityIiEEEE10hipError_tT2_T3_mT4_P12ihipStream_tbEUlT_E_NS1_11comp_targetILNS1_3genE0ELNS1_11target_archE4294967295ELNS1_3gpuE0ELNS1_3repE0EEENS1_30default_config_static_selectorELNS0_4arch9wavefront6targetE1EEEvT1_,comdat
.Lfunc_end600:
	.size	_ZN7rocprim17ROCPRIM_400000_NS6detail17trampoline_kernelINS0_14default_configENS1_25transform_config_selectorIiLb1EEEZNS1_14transform_implILb1ES3_S5_PiS7_NS0_8identityIiEEEE10hipError_tT2_T3_mT4_P12ihipStream_tbEUlT_E_NS1_11comp_targetILNS1_3genE0ELNS1_11target_archE4294967295ELNS1_3gpuE0ELNS1_3repE0EEENS1_30default_config_static_selectorELNS0_4arch9wavefront6targetE1EEEvT1_, .Lfunc_end600-_ZN7rocprim17ROCPRIM_400000_NS6detail17trampoline_kernelINS0_14default_configENS1_25transform_config_selectorIiLb1EEEZNS1_14transform_implILb1ES3_S5_PiS7_NS0_8identityIiEEEE10hipError_tT2_T3_mT4_P12ihipStream_tbEUlT_E_NS1_11comp_targetILNS1_3genE0ELNS1_11target_archE4294967295ELNS1_3gpuE0ELNS1_3repE0EEENS1_30default_config_static_selectorELNS0_4arch9wavefront6targetE1EEEvT1_
                                        ; -- End function
	.section	.AMDGPU.csdata,"",@progbits
; Kernel info:
; codeLenInByte = 0
; NumSgprs: 4
; NumVgprs: 0
; NumAgprs: 0
; TotalNumVgprs: 0
; ScratchSize: 0
; MemoryBound: 0
; FloatMode: 240
; IeeeMode: 1
; LDSByteSize: 0 bytes/workgroup (compile time only)
; SGPRBlocks: 0
; VGPRBlocks: 0
; NumSGPRsForWavesPerEU: 4
; NumVGPRsForWavesPerEU: 1
; AccumOffset: 4
; Occupancy: 8
; WaveLimiterHint : 0
; COMPUTE_PGM_RSRC2:SCRATCH_EN: 0
; COMPUTE_PGM_RSRC2:USER_SGPR: 6
; COMPUTE_PGM_RSRC2:TRAP_HANDLER: 0
; COMPUTE_PGM_RSRC2:TGID_X_EN: 1
; COMPUTE_PGM_RSRC2:TGID_Y_EN: 0
; COMPUTE_PGM_RSRC2:TGID_Z_EN: 0
; COMPUTE_PGM_RSRC2:TIDIG_COMP_CNT: 0
; COMPUTE_PGM_RSRC3_GFX90A:ACCUM_OFFSET: 0
; COMPUTE_PGM_RSRC3_GFX90A:TG_SPLIT: 0
	.section	.text._ZN7rocprim17ROCPRIM_400000_NS6detail17trampoline_kernelINS0_14default_configENS1_25transform_config_selectorIiLb1EEEZNS1_14transform_implILb1ES3_S5_PiS7_NS0_8identityIiEEEE10hipError_tT2_T3_mT4_P12ihipStream_tbEUlT_E_NS1_11comp_targetILNS1_3genE10ELNS1_11target_archE1201ELNS1_3gpuE5ELNS1_3repE0EEENS1_30default_config_static_selectorELNS0_4arch9wavefront6targetE1EEEvT1_,"axG",@progbits,_ZN7rocprim17ROCPRIM_400000_NS6detail17trampoline_kernelINS0_14default_configENS1_25transform_config_selectorIiLb1EEEZNS1_14transform_implILb1ES3_S5_PiS7_NS0_8identityIiEEEE10hipError_tT2_T3_mT4_P12ihipStream_tbEUlT_E_NS1_11comp_targetILNS1_3genE10ELNS1_11target_archE1201ELNS1_3gpuE5ELNS1_3repE0EEENS1_30default_config_static_selectorELNS0_4arch9wavefront6targetE1EEEvT1_,comdat
	.protected	_ZN7rocprim17ROCPRIM_400000_NS6detail17trampoline_kernelINS0_14default_configENS1_25transform_config_selectorIiLb1EEEZNS1_14transform_implILb1ES3_S5_PiS7_NS0_8identityIiEEEE10hipError_tT2_T3_mT4_P12ihipStream_tbEUlT_E_NS1_11comp_targetILNS1_3genE10ELNS1_11target_archE1201ELNS1_3gpuE5ELNS1_3repE0EEENS1_30default_config_static_selectorELNS0_4arch9wavefront6targetE1EEEvT1_ ; -- Begin function _ZN7rocprim17ROCPRIM_400000_NS6detail17trampoline_kernelINS0_14default_configENS1_25transform_config_selectorIiLb1EEEZNS1_14transform_implILb1ES3_S5_PiS7_NS0_8identityIiEEEE10hipError_tT2_T3_mT4_P12ihipStream_tbEUlT_E_NS1_11comp_targetILNS1_3genE10ELNS1_11target_archE1201ELNS1_3gpuE5ELNS1_3repE0EEENS1_30default_config_static_selectorELNS0_4arch9wavefront6targetE1EEEvT1_
	.globl	_ZN7rocprim17ROCPRIM_400000_NS6detail17trampoline_kernelINS0_14default_configENS1_25transform_config_selectorIiLb1EEEZNS1_14transform_implILb1ES3_S5_PiS7_NS0_8identityIiEEEE10hipError_tT2_T3_mT4_P12ihipStream_tbEUlT_E_NS1_11comp_targetILNS1_3genE10ELNS1_11target_archE1201ELNS1_3gpuE5ELNS1_3repE0EEENS1_30default_config_static_selectorELNS0_4arch9wavefront6targetE1EEEvT1_
	.p2align	8
	.type	_ZN7rocprim17ROCPRIM_400000_NS6detail17trampoline_kernelINS0_14default_configENS1_25transform_config_selectorIiLb1EEEZNS1_14transform_implILb1ES3_S5_PiS7_NS0_8identityIiEEEE10hipError_tT2_T3_mT4_P12ihipStream_tbEUlT_E_NS1_11comp_targetILNS1_3genE10ELNS1_11target_archE1201ELNS1_3gpuE5ELNS1_3repE0EEENS1_30default_config_static_selectorELNS0_4arch9wavefront6targetE1EEEvT1_,@function
_ZN7rocprim17ROCPRIM_400000_NS6detail17trampoline_kernelINS0_14default_configENS1_25transform_config_selectorIiLb1EEEZNS1_14transform_implILb1ES3_S5_PiS7_NS0_8identityIiEEEE10hipError_tT2_T3_mT4_P12ihipStream_tbEUlT_E_NS1_11comp_targetILNS1_3genE10ELNS1_11target_archE1201ELNS1_3gpuE5ELNS1_3repE0EEENS1_30default_config_static_selectorELNS0_4arch9wavefront6targetE1EEEvT1_: ; @_ZN7rocprim17ROCPRIM_400000_NS6detail17trampoline_kernelINS0_14default_configENS1_25transform_config_selectorIiLb1EEEZNS1_14transform_implILb1ES3_S5_PiS7_NS0_8identityIiEEEE10hipError_tT2_T3_mT4_P12ihipStream_tbEUlT_E_NS1_11comp_targetILNS1_3genE10ELNS1_11target_archE1201ELNS1_3gpuE5ELNS1_3repE0EEENS1_30default_config_static_selectorELNS0_4arch9wavefront6targetE1EEEvT1_
; %bb.0:
	.section	.rodata,"a",@progbits
	.p2align	6, 0x0
	.amdhsa_kernel _ZN7rocprim17ROCPRIM_400000_NS6detail17trampoline_kernelINS0_14default_configENS1_25transform_config_selectorIiLb1EEEZNS1_14transform_implILb1ES3_S5_PiS7_NS0_8identityIiEEEE10hipError_tT2_T3_mT4_P12ihipStream_tbEUlT_E_NS1_11comp_targetILNS1_3genE10ELNS1_11target_archE1201ELNS1_3gpuE5ELNS1_3repE0EEENS1_30default_config_static_selectorELNS0_4arch9wavefront6targetE1EEEvT1_
		.amdhsa_group_segment_fixed_size 0
		.amdhsa_private_segment_fixed_size 0
		.amdhsa_kernarg_size 40
		.amdhsa_user_sgpr_count 6
		.amdhsa_user_sgpr_private_segment_buffer 1
		.amdhsa_user_sgpr_dispatch_ptr 0
		.amdhsa_user_sgpr_queue_ptr 0
		.amdhsa_user_sgpr_kernarg_segment_ptr 1
		.amdhsa_user_sgpr_dispatch_id 0
		.amdhsa_user_sgpr_flat_scratch_init 0
		.amdhsa_user_sgpr_kernarg_preload_length 0
		.amdhsa_user_sgpr_kernarg_preload_offset 0
		.amdhsa_user_sgpr_private_segment_size 0
		.amdhsa_uses_dynamic_stack 0
		.amdhsa_system_sgpr_private_segment_wavefront_offset 0
		.amdhsa_system_sgpr_workgroup_id_x 1
		.amdhsa_system_sgpr_workgroup_id_y 0
		.amdhsa_system_sgpr_workgroup_id_z 0
		.amdhsa_system_sgpr_workgroup_info 0
		.amdhsa_system_vgpr_workitem_id 0
		.amdhsa_next_free_vgpr 1
		.amdhsa_next_free_sgpr 0
		.amdhsa_accum_offset 4
		.amdhsa_reserve_vcc 0
		.amdhsa_reserve_flat_scratch 0
		.amdhsa_float_round_mode_32 0
		.amdhsa_float_round_mode_16_64 0
		.amdhsa_float_denorm_mode_32 3
		.amdhsa_float_denorm_mode_16_64 3
		.amdhsa_dx10_clamp 1
		.amdhsa_ieee_mode 1
		.amdhsa_fp16_overflow 0
		.amdhsa_tg_split 0
		.amdhsa_exception_fp_ieee_invalid_op 0
		.amdhsa_exception_fp_denorm_src 0
		.amdhsa_exception_fp_ieee_div_zero 0
		.amdhsa_exception_fp_ieee_overflow 0
		.amdhsa_exception_fp_ieee_underflow 0
		.amdhsa_exception_fp_ieee_inexact 0
		.amdhsa_exception_int_div_zero 0
	.end_amdhsa_kernel
	.section	.text._ZN7rocprim17ROCPRIM_400000_NS6detail17trampoline_kernelINS0_14default_configENS1_25transform_config_selectorIiLb1EEEZNS1_14transform_implILb1ES3_S5_PiS7_NS0_8identityIiEEEE10hipError_tT2_T3_mT4_P12ihipStream_tbEUlT_E_NS1_11comp_targetILNS1_3genE10ELNS1_11target_archE1201ELNS1_3gpuE5ELNS1_3repE0EEENS1_30default_config_static_selectorELNS0_4arch9wavefront6targetE1EEEvT1_,"axG",@progbits,_ZN7rocprim17ROCPRIM_400000_NS6detail17trampoline_kernelINS0_14default_configENS1_25transform_config_selectorIiLb1EEEZNS1_14transform_implILb1ES3_S5_PiS7_NS0_8identityIiEEEE10hipError_tT2_T3_mT4_P12ihipStream_tbEUlT_E_NS1_11comp_targetILNS1_3genE10ELNS1_11target_archE1201ELNS1_3gpuE5ELNS1_3repE0EEENS1_30default_config_static_selectorELNS0_4arch9wavefront6targetE1EEEvT1_,comdat
.Lfunc_end601:
	.size	_ZN7rocprim17ROCPRIM_400000_NS6detail17trampoline_kernelINS0_14default_configENS1_25transform_config_selectorIiLb1EEEZNS1_14transform_implILb1ES3_S5_PiS7_NS0_8identityIiEEEE10hipError_tT2_T3_mT4_P12ihipStream_tbEUlT_E_NS1_11comp_targetILNS1_3genE10ELNS1_11target_archE1201ELNS1_3gpuE5ELNS1_3repE0EEENS1_30default_config_static_selectorELNS0_4arch9wavefront6targetE1EEEvT1_, .Lfunc_end601-_ZN7rocprim17ROCPRIM_400000_NS6detail17trampoline_kernelINS0_14default_configENS1_25transform_config_selectorIiLb1EEEZNS1_14transform_implILb1ES3_S5_PiS7_NS0_8identityIiEEEE10hipError_tT2_T3_mT4_P12ihipStream_tbEUlT_E_NS1_11comp_targetILNS1_3genE10ELNS1_11target_archE1201ELNS1_3gpuE5ELNS1_3repE0EEENS1_30default_config_static_selectorELNS0_4arch9wavefront6targetE1EEEvT1_
                                        ; -- End function
	.section	.AMDGPU.csdata,"",@progbits
; Kernel info:
; codeLenInByte = 0
; NumSgprs: 4
; NumVgprs: 0
; NumAgprs: 0
; TotalNumVgprs: 0
; ScratchSize: 0
; MemoryBound: 0
; FloatMode: 240
; IeeeMode: 1
; LDSByteSize: 0 bytes/workgroup (compile time only)
; SGPRBlocks: 0
; VGPRBlocks: 0
; NumSGPRsForWavesPerEU: 4
; NumVGPRsForWavesPerEU: 1
; AccumOffset: 4
; Occupancy: 8
; WaveLimiterHint : 0
; COMPUTE_PGM_RSRC2:SCRATCH_EN: 0
; COMPUTE_PGM_RSRC2:USER_SGPR: 6
; COMPUTE_PGM_RSRC2:TRAP_HANDLER: 0
; COMPUTE_PGM_RSRC2:TGID_X_EN: 1
; COMPUTE_PGM_RSRC2:TGID_Y_EN: 0
; COMPUTE_PGM_RSRC2:TGID_Z_EN: 0
; COMPUTE_PGM_RSRC2:TIDIG_COMP_CNT: 0
; COMPUTE_PGM_RSRC3_GFX90A:ACCUM_OFFSET: 0
; COMPUTE_PGM_RSRC3_GFX90A:TG_SPLIT: 0
	.section	.text._ZN7rocprim17ROCPRIM_400000_NS6detail17trampoline_kernelINS0_14default_configENS1_25transform_config_selectorIiLb1EEEZNS1_14transform_implILb1ES3_S5_PiS7_NS0_8identityIiEEEE10hipError_tT2_T3_mT4_P12ihipStream_tbEUlT_E_NS1_11comp_targetILNS1_3genE5ELNS1_11target_archE942ELNS1_3gpuE9ELNS1_3repE0EEENS1_30default_config_static_selectorELNS0_4arch9wavefront6targetE1EEEvT1_,"axG",@progbits,_ZN7rocprim17ROCPRIM_400000_NS6detail17trampoline_kernelINS0_14default_configENS1_25transform_config_selectorIiLb1EEEZNS1_14transform_implILb1ES3_S5_PiS7_NS0_8identityIiEEEE10hipError_tT2_T3_mT4_P12ihipStream_tbEUlT_E_NS1_11comp_targetILNS1_3genE5ELNS1_11target_archE942ELNS1_3gpuE9ELNS1_3repE0EEENS1_30default_config_static_selectorELNS0_4arch9wavefront6targetE1EEEvT1_,comdat
	.protected	_ZN7rocprim17ROCPRIM_400000_NS6detail17trampoline_kernelINS0_14default_configENS1_25transform_config_selectorIiLb1EEEZNS1_14transform_implILb1ES3_S5_PiS7_NS0_8identityIiEEEE10hipError_tT2_T3_mT4_P12ihipStream_tbEUlT_E_NS1_11comp_targetILNS1_3genE5ELNS1_11target_archE942ELNS1_3gpuE9ELNS1_3repE0EEENS1_30default_config_static_selectorELNS0_4arch9wavefront6targetE1EEEvT1_ ; -- Begin function _ZN7rocprim17ROCPRIM_400000_NS6detail17trampoline_kernelINS0_14default_configENS1_25transform_config_selectorIiLb1EEEZNS1_14transform_implILb1ES3_S5_PiS7_NS0_8identityIiEEEE10hipError_tT2_T3_mT4_P12ihipStream_tbEUlT_E_NS1_11comp_targetILNS1_3genE5ELNS1_11target_archE942ELNS1_3gpuE9ELNS1_3repE0EEENS1_30default_config_static_selectorELNS0_4arch9wavefront6targetE1EEEvT1_
	.globl	_ZN7rocprim17ROCPRIM_400000_NS6detail17trampoline_kernelINS0_14default_configENS1_25transform_config_selectorIiLb1EEEZNS1_14transform_implILb1ES3_S5_PiS7_NS0_8identityIiEEEE10hipError_tT2_T3_mT4_P12ihipStream_tbEUlT_E_NS1_11comp_targetILNS1_3genE5ELNS1_11target_archE942ELNS1_3gpuE9ELNS1_3repE0EEENS1_30default_config_static_selectorELNS0_4arch9wavefront6targetE1EEEvT1_
	.p2align	8
	.type	_ZN7rocprim17ROCPRIM_400000_NS6detail17trampoline_kernelINS0_14default_configENS1_25transform_config_selectorIiLb1EEEZNS1_14transform_implILb1ES3_S5_PiS7_NS0_8identityIiEEEE10hipError_tT2_T3_mT4_P12ihipStream_tbEUlT_E_NS1_11comp_targetILNS1_3genE5ELNS1_11target_archE942ELNS1_3gpuE9ELNS1_3repE0EEENS1_30default_config_static_selectorELNS0_4arch9wavefront6targetE1EEEvT1_,@function
_ZN7rocprim17ROCPRIM_400000_NS6detail17trampoline_kernelINS0_14default_configENS1_25transform_config_selectorIiLb1EEEZNS1_14transform_implILb1ES3_S5_PiS7_NS0_8identityIiEEEE10hipError_tT2_T3_mT4_P12ihipStream_tbEUlT_E_NS1_11comp_targetILNS1_3genE5ELNS1_11target_archE942ELNS1_3gpuE9ELNS1_3repE0EEENS1_30default_config_static_selectorELNS0_4arch9wavefront6targetE1EEEvT1_: ; @_ZN7rocprim17ROCPRIM_400000_NS6detail17trampoline_kernelINS0_14default_configENS1_25transform_config_selectorIiLb1EEEZNS1_14transform_implILb1ES3_S5_PiS7_NS0_8identityIiEEEE10hipError_tT2_T3_mT4_P12ihipStream_tbEUlT_E_NS1_11comp_targetILNS1_3genE5ELNS1_11target_archE942ELNS1_3gpuE9ELNS1_3repE0EEENS1_30default_config_static_selectorELNS0_4arch9wavefront6targetE1EEEvT1_
; %bb.0:
	.section	.rodata,"a",@progbits
	.p2align	6, 0x0
	.amdhsa_kernel _ZN7rocprim17ROCPRIM_400000_NS6detail17trampoline_kernelINS0_14default_configENS1_25transform_config_selectorIiLb1EEEZNS1_14transform_implILb1ES3_S5_PiS7_NS0_8identityIiEEEE10hipError_tT2_T3_mT4_P12ihipStream_tbEUlT_E_NS1_11comp_targetILNS1_3genE5ELNS1_11target_archE942ELNS1_3gpuE9ELNS1_3repE0EEENS1_30default_config_static_selectorELNS0_4arch9wavefront6targetE1EEEvT1_
		.amdhsa_group_segment_fixed_size 0
		.amdhsa_private_segment_fixed_size 0
		.amdhsa_kernarg_size 40
		.amdhsa_user_sgpr_count 6
		.amdhsa_user_sgpr_private_segment_buffer 1
		.amdhsa_user_sgpr_dispatch_ptr 0
		.amdhsa_user_sgpr_queue_ptr 0
		.amdhsa_user_sgpr_kernarg_segment_ptr 1
		.amdhsa_user_sgpr_dispatch_id 0
		.amdhsa_user_sgpr_flat_scratch_init 0
		.amdhsa_user_sgpr_kernarg_preload_length 0
		.amdhsa_user_sgpr_kernarg_preload_offset 0
		.amdhsa_user_sgpr_private_segment_size 0
		.amdhsa_uses_dynamic_stack 0
		.amdhsa_system_sgpr_private_segment_wavefront_offset 0
		.amdhsa_system_sgpr_workgroup_id_x 1
		.amdhsa_system_sgpr_workgroup_id_y 0
		.amdhsa_system_sgpr_workgroup_id_z 0
		.amdhsa_system_sgpr_workgroup_info 0
		.amdhsa_system_vgpr_workitem_id 0
		.amdhsa_next_free_vgpr 1
		.amdhsa_next_free_sgpr 0
		.amdhsa_accum_offset 4
		.amdhsa_reserve_vcc 0
		.amdhsa_reserve_flat_scratch 0
		.amdhsa_float_round_mode_32 0
		.amdhsa_float_round_mode_16_64 0
		.amdhsa_float_denorm_mode_32 3
		.amdhsa_float_denorm_mode_16_64 3
		.amdhsa_dx10_clamp 1
		.amdhsa_ieee_mode 1
		.amdhsa_fp16_overflow 0
		.amdhsa_tg_split 0
		.amdhsa_exception_fp_ieee_invalid_op 0
		.amdhsa_exception_fp_denorm_src 0
		.amdhsa_exception_fp_ieee_div_zero 0
		.amdhsa_exception_fp_ieee_overflow 0
		.amdhsa_exception_fp_ieee_underflow 0
		.amdhsa_exception_fp_ieee_inexact 0
		.amdhsa_exception_int_div_zero 0
	.end_amdhsa_kernel
	.section	.text._ZN7rocprim17ROCPRIM_400000_NS6detail17trampoline_kernelINS0_14default_configENS1_25transform_config_selectorIiLb1EEEZNS1_14transform_implILb1ES3_S5_PiS7_NS0_8identityIiEEEE10hipError_tT2_T3_mT4_P12ihipStream_tbEUlT_E_NS1_11comp_targetILNS1_3genE5ELNS1_11target_archE942ELNS1_3gpuE9ELNS1_3repE0EEENS1_30default_config_static_selectorELNS0_4arch9wavefront6targetE1EEEvT1_,"axG",@progbits,_ZN7rocprim17ROCPRIM_400000_NS6detail17trampoline_kernelINS0_14default_configENS1_25transform_config_selectorIiLb1EEEZNS1_14transform_implILb1ES3_S5_PiS7_NS0_8identityIiEEEE10hipError_tT2_T3_mT4_P12ihipStream_tbEUlT_E_NS1_11comp_targetILNS1_3genE5ELNS1_11target_archE942ELNS1_3gpuE9ELNS1_3repE0EEENS1_30default_config_static_selectorELNS0_4arch9wavefront6targetE1EEEvT1_,comdat
.Lfunc_end602:
	.size	_ZN7rocprim17ROCPRIM_400000_NS6detail17trampoline_kernelINS0_14default_configENS1_25transform_config_selectorIiLb1EEEZNS1_14transform_implILb1ES3_S5_PiS7_NS0_8identityIiEEEE10hipError_tT2_T3_mT4_P12ihipStream_tbEUlT_E_NS1_11comp_targetILNS1_3genE5ELNS1_11target_archE942ELNS1_3gpuE9ELNS1_3repE0EEENS1_30default_config_static_selectorELNS0_4arch9wavefront6targetE1EEEvT1_, .Lfunc_end602-_ZN7rocprim17ROCPRIM_400000_NS6detail17trampoline_kernelINS0_14default_configENS1_25transform_config_selectorIiLb1EEEZNS1_14transform_implILb1ES3_S5_PiS7_NS0_8identityIiEEEE10hipError_tT2_T3_mT4_P12ihipStream_tbEUlT_E_NS1_11comp_targetILNS1_3genE5ELNS1_11target_archE942ELNS1_3gpuE9ELNS1_3repE0EEENS1_30default_config_static_selectorELNS0_4arch9wavefront6targetE1EEEvT1_
                                        ; -- End function
	.section	.AMDGPU.csdata,"",@progbits
; Kernel info:
; codeLenInByte = 0
; NumSgprs: 4
; NumVgprs: 0
; NumAgprs: 0
; TotalNumVgprs: 0
; ScratchSize: 0
; MemoryBound: 0
; FloatMode: 240
; IeeeMode: 1
; LDSByteSize: 0 bytes/workgroup (compile time only)
; SGPRBlocks: 0
; VGPRBlocks: 0
; NumSGPRsForWavesPerEU: 4
; NumVGPRsForWavesPerEU: 1
; AccumOffset: 4
; Occupancy: 8
; WaveLimiterHint : 0
; COMPUTE_PGM_RSRC2:SCRATCH_EN: 0
; COMPUTE_PGM_RSRC2:USER_SGPR: 6
; COMPUTE_PGM_RSRC2:TRAP_HANDLER: 0
; COMPUTE_PGM_RSRC2:TGID_X_EN: 1
; COMPUTE_PGM_RSRC2:TGID_Y_EN: 0
; COMPUTE_PGM_RSRC2:TGID_Z_EN: 0
; COMPUTE_PGM_RSRC2:TIDIG_COMP_CNT: 0
; COMPUTE_PGM_RSRC3_GFX90A:ACCUM_OFFSET: 0
; COMPUTE_PGM_RSRC3_GFX90A:TG_SPLIT: 0
	.section	.text._ZN7rocprim17ROCPRIM_400000_NS6detail17trampoline_kernelINS0_14default_configENS1_25transform_config_selectorIiLb1EEEZNS1_14transform_implILb1ES3_S5_PiS7_NS0_8identityIiEEEE10hipError_tT2_T3_mT4_P12ihipStream_tbEUlT_E_NS1_11comp_targetILNS1_3genE4ELNS1_11target_archE910ELNS1_3gpuE8ELNS1_3repE0EEENS1_30default_config_static_selectorELNS0_4arch9wavefront6targetE1EEEvT1_,"axG",@progbits,_ZN7rocprim17ROCPRIM_400000_NS6detail17trampoline_kernelINS0_14default_configENS1_25transform_config_selectorIiLb1EEEZNS1_14transform_implILb1ES3_S5_PiS7_NS0_8identityIiEEEE10hipError_tT2_T3_mT4_P12ihipStream_tbEUlT_E_NS1_11comp_targetILNS1_3genE4ELNS1_11target_archE910ELNS1_3gpuE8ELNS1_3repE0EEENS1_30default_config_static_selectorELNS0_4arch9wavefront6targetE1EEEvT1_,comdat
	.protected	_ZN7rocprim17ROCPRIM_400000_NS6detail17trampoline_kernelINS0_14default_configENS1_25transform_config_selectorIiLb1EEEZNS1_14transform_implILb1ES3_S5_PiS7_NS0_8identityIiEEEE10hipError_tT2_T3_mT4_P12ihipStream_tbEUlT_E_NS1_11comp_targetILNS1_3genE4ELNS1_11target_archE910ELNS1_3gpuE8ELNS1_3repE0EEENS1_30default_config_static_selectorELNS0_4arch9wavefront6targetE1EEEvT1_ ; -- Begin function _ZN7rocprim17ROCPRIM_400000_NS6detail17trampoline_kernelINS0_14default_configENS1_25transform_config_selectorIiLb1EEEZNS1_14transform_implILb1ES3_S5_PiS7_NS0_8identityIiEEEE10hipError_tT2_T3_mT4_P12ihipStream_tbEUlT_E_NS1_11comp_targetILNS1_3genE4ELNS1_11target_archE910ELNS1_3gpuE8ELNS1_3repE0EEENS1_30default_config_static_selectorELNS0_4arch9wavefront6targetE1EEEvT1_
	.globl	_ZN7rocprim17ROCPRIM_400000_NS6detail17trampoline_kernelINS0_14default_configENS1_25transform_config_selectorIiLb1EEEZNS1_14transform_implILb1ES3_S5_PiS7_NS0_8identityIiEEEE10hipError_tT2_T3_mT4_P12ihipStream_tbEUlT_E_NS1_11comp_targetILNS1_3genE4ELNS1_11target_archE910ELNS1_3gpuE8ELNS1_3repE0EEENS1_30default_config_static_selectorELNS0_4arch9wavefront6targetE1EEEvT1_
	.p2align	8
	.type	_ZN7rocprim17ROCPRIM_400000_NS6detail17trampoline_kernelINS0_14default_configENS1_25transform_config_selectorIiLb1EEEZNS1_14transform_implILb1ES3_S5_PiS7_NS0_8identityIiEEEE10hipError_tT2_T3_mT4_P12ihipStream_tbEUlT_E_NS1_11comp_targetILNS1_3genE4ELNS1_11target_archE910ELNS1_3gpuE8ELNS1_3repE0EEENS1_30default_config_static_selectorELNS0_4arch9wavefront6targetE1EEEvT1_,@function
_ZN7rocprim17ROCPRIM_400000_NS6detail17trampoline_kernelINS0_14default_configENS1_25transform_config_selectorIiLb1EEEZNS1_14transform_implILb1ES3_S5_PiS7_NS0_8identityIiEEEE10hipError_tT2_T3_mT4_P12ihipStream_tbEUlT_E_NS1_11comp_targetILNS1_3genE4ELNS1_11target_archE910ELNS1_3gpuE8ELNS1_3repE0EEENS1_30default_config_static_selectorELNS0_4arch9wavefront6targetE1EEEvT1_: ; @_ZN7rocprim17ROCPRIM_400000_NS6detail17trampoline_kernelINS0_14default_configENS1_25transform_config_selectorIiLb1EEEZNS1_14transform_implILb1ES3_S5_PiS7_NS0_8identityIiEEEE10hipError_tT2_T3_mT4_P12ihipStream_tbEUlT_E_NS1_11comp_targetILNS1_3genE4ELNS1_11target_archE910ELNS1_3gpuE8ELNS1_3repE0EEENS1_30default_config_static_selectorELNS0_4arch9wavefront6targetE1EEEvT1_
; %bb.0:
	s_load_dwordx8 s[8:15], s[4:5], 0x0
	s_load_dword s2, s[4:5], 0x28
	s_waitcnt lgkmcnt(0)
	s_lshl_b64 s[0:1], s[10:11], 2
	s_add_u32 s3, s8, s0
	s_addc_u32 s4, s9, s1
	s_add_u32 s13, s14, s0
	s_addc_u32 s14, s15, s1
	s_lshl_b32 s0, s6, 12
	s_mov_b32 s1, 0
	s_add_i32 s2, s2, -1
	s_lshl_b64 s[8:9], s[0:1], 2
	s_add_u32 s10, s3, s8
	s_addc_u32 s11, s4, s9
	s_cmp_lg_u32 s6, s2
	s_mov_b64 s[2:3], -1
	s_cbranch_scc0 .LBB603_2
; %bb.1:
	v_lshlrev_b32_e32 v1, 4, v0
	global_load_dwordx4 v[2:5], v1, s[10:11]
	s_add_u32 s2, s13, s8
	s_addc_u32 s3, s14, s9
	s_waitcnt vmcnt(0)
	global_store_dwordx4 v1, v[2:5], s[2:3]
	s_mov_b64 s[2:3], 0
.LBB603_2:
	s_andn2_b64 vcc, exec, s[2:3]
	s_cbranch_vccnz .LBB603_16
; %bb.3:
	s_sub_i32 s6, s12, s0
	v_cmp_gt_u32_e32 vcc, s6, v0
	v_lshlrev_b32_e32 v1, 2, v0
                                        ; implicit-def: $vgpr2_vgpr3_vgpr4_vgpr5
	s_and_saveexec_b64 s[0:1], vcc
	s_cbranch_execz .LBB603_5
; %bb.4:
	global_load_dword v2, v1, s[10:11]
.LBB603_5:
	s_or_b64 exec, exec, s[0:1]
	v_or_b32_e32 v6, 0x400, v0
	v_cmp_gt_u32_e64 s[4:5], s6, v6
	s_and_saveexec_b64 s[0:1], s[4:5]
	s_cbranch_execz .LBB603_7
; %bb.6:
	v_lshlrev_b32_e32 v3, 2, v6
	global_load_dword v3, v3, s[10:11]
.LBB603_7:
	s_or_b64 exec, exec, s[0:1]
	v_or_b32_e32 v6, 0x800, v0
	v_cmp_gt_u32_e64 s[0:1], s6, v6
	s_and_saveexec_b64 s[2:3], s[0:1]
	s_cbranch_execz .LBB603_9
; %bb.8:
	v_lshlrev_b32_e32 v4, 2, v6
	global_load_dword v4, v4, s[10:11]
.LBB603_9:
	;; [unrolled: 9-line block ×3, first 2 shown]
	s_or_b64 exec, exec, s[6:7]
	s_add_u32 s6, s13, s8
	s_addc_u32 s7, s14, s9
	v_mov_b32_e32 v6, s7
	v_add_co_u32_e64 v0, s[6:7], s6, v1
	v_addc_co_u32_e64 v1, s[6:7], 0, v6, s[6:7]
	s_and_saveexec_b64 s[6:7], vcc
	s_cbranch_execnz .LBB603_17
; %bb.12:
	s_or_b64 exec, exec, s[6:7]
	s_and_saveexec_b64 s[6:7], s[4:5]
	s_cbranch_execnz .LBB603_18
.LBB603_13:
	s_or_b64 exec, exec, s[6:7]
	s_and_saveexec_b64 s[4:5], s[0:1]
	s_cbranch_execnz .LBB603_19
.LBB603_14:
	s_or_b64 exec, exec, s[4:5]
	s_and_saveexec_b64 s[0:1], s[2:3]
	s_cbranch_execz .LBB603_16
.LBB603_15:
	v_add_co_u32_e32 v0, vcc, 0x3000, v0
	s_waitcnt vmcnt(0)
	v_cndmask_b32_e64 v2, v5, v5, s[2:3]
	v_addc_co_u32_e32 v1, vcc, 0, v1, vcc
	global_store_dword v[0:1], v2, off
.LBB603_16:
	s_endpgm
.LBB603_17:
	s_waitcnt vmcnt(0)
	global_store_dword v[0:1], v2, off
	s_or_b64 exec, exec, s[6:7]
	s_and_saveexec_b64 s[6:7], s[4:5]
	s_cbranch_execz .LBB603_13
.LBB603_18:
	v_add_co_u32_e32 v6, vcc, 0x1000, v0
	v_addc_co_u32_e32 v7, vcc, 0, v1, vcc
	s_waitcnt vmcnt(0)
	global_store_dword v[6:7], v3, off
	s_or_b64 exec, exec, s[6:7]
	s_and_saveexec_b64 s[4:5], s[0:1]
	s_cbranch_execz .LBB603_14
.LBB603_19:
	s_waitcnt vmcnt(0)
	v_add_co_u32_e32 v2, vcc, 0x2000, v0
	v_cndmask_b32_e64 v4, v4, v4, s[0:1]
	v_addc_co_u32_e32 v3, vcc, 0, v1, vcc
	global_store_dword v[2:3], v4, off
	s_or_b64 exec, exec, s[4:5]
	s_and_saveexec_b64 s[0:1], s[2:3]
	s_cbranch_execnz .LBB603_15
	s_branch .LBB603_16
	.section	.rodata,"a",@progbits
	.p2align	6, 0x0
	.amdhsa_kernel _ZN7rocprim17ROCPRIM_400000_NS6detail17trampoline_kernelINS0_14default_configENS1_25transform_config_selectorIiLb1EEEZNS1_14transform_implILb1ES3_S5_PiS7_NS0_8identityIiEEEE10hipError_tT2_T3_mT4_P12ihipStream_tbEUlT_E_NS1_11comp_targetILNS1_3genE4ELNS1_11target_archE910ELNS1_3gpuE8ELNS1_3repE0EEENS1_30default_config_static_selectorELNS0_4arch9wavefront6targetE1EEEvT1_
		.amdhsa_group_segment_fixed_size 0
		.amdhsa_private_segment_fixed_size 0
		.amdhsa_kernarg_size 296
		.amdhsa_user_sgpr_count 6
		.amdhsa_user_sgpr_private_segment_buffer 1
		.amdhsa_user_sgpr_dispatch_ptr 0
		.amdhsa_user_sgpr_queue_ptr 0
		.amdhsa_user_sgpr_kernarg_segment_ptr 1
		.amdhsa_user_sgpr_dispatch_id 0
		.amdhsa_user_sgpr_flat_scratch_init 0
		.amdhsa_user_sgpr_kernarg_preload_length 0
		.amdhsa_user_sgpr_kernarg_preload_offset 0
		.amdhsa_user_sgpr_private_segment_size 0
		.amdhsa_uses_dynamic_stack 0
		.amdhsa_system_sgpr_private_segment_wavefront_offset 0
		.amdhsa_system_sgpr_workgroup_id_x 1
		.amdhsa_system_sgpr_workgroup_id_y 0
		.amdhsa_system_sgpr_workgroup_id_z 0
		.amdhsa_system_sgpr_workgroup_info 0
		.amdhsa_system_vgpr_workitem_id 0
		.amdhsa_next_free_vgpr 8
		.amdhsa_next_free_sgpr 16
		.amdhsa_accum_offset 8
		.amdhsa_reserve_vcc 1
		.amdhsa_reserve_flat_scratch 0
		.amdhsa_float_round_mode_32 0
		.amdhsa_float_round_mode_16_64 0
		.amdhsa_float_denorm_mode_32 3
		.amdhsa_float_denorm_mode_16_64 3
		.amdhsa_dx10_clamp 1
		.amdhsa_ieee_mode 1
		.amdhsa_fp16_overflow 0
		.amdhsa_tg_split 0
		.amdhsa_exception_fp_ieee_invalid_op 0
		.amdhsa_exception_fp_denorm_src 0
		.amdhsa_exception_fp_ieee_div_zero 0
		.amdhsa_exception_fp_ieee_overflow 0
		.amdhsa_exception_fp_ieee_underflow 0
		.amdhsa_exception_fp_ieee_inexact 0
		.amdhsa_exception_int_div_zero 0
	.end_amdhsa_kernel
	.section	.text._ZN7rocprim17ROCPRIM_400000_NS6detail17trampoline_kernelINS0_14default_configENS1_25transform_config_selectorIiLb1EEEZNS1_14transform_implILb1ES3_S5_PiS7_NS0_8identityIiEEEE10hipError_tT2_T3_mT4_P12ihipStream_tbEUlT_E_NS1_11comp_targetILNS1_3genE4ELNS1_11target_archE910ELNS1_3gpuE8ELNS1_3repE0EEENS1_30default_config_static_selectorELNS0_4arch9wavefront6targetE1EEEvT1_,"axG",@progbits,_ZN7rocprim17ROCPRIM_400000_NS6detail17trampoline_kernelINS0_14default_configENS1_25transform_config_selectorIiLb1EEEZNS1_14transform_implILb1ES3_S5_PiS7_NS0_8identityIiEEEE10hipError_tT2_T3_mT4_P12ihipStream_tbEUlT_E_NS1_11comp_targetILNS1_3genE4ELNS1_11target_archE910ELNS1_3gpuE8ELNS1_3repE0EEENS1_30default_config_static_selectorELNS0_4arch9wavefront6targetE1EEEvT1_,comdat
.Lfunc_end603:
	.size	_ZN7rocprim17ROCPRIM_400000_NS6detail17trampoline_kernelINS0_14default_configENS1_25transform_config_selectorIiLb1EEEZNS1_14transform_implILb1ES3_S5_PiS7_NS0_8identityIiEEEE10hipError_tT2_T3_mT4_P12ihipStream_tbEUlT_E_NS1_11comp_targetILNS1_3genE4ELNS1_11target_archE910ELNS1_3gpuE8ELNS1_3repE0EEENS1_30default_config_static_selectorELNS0_4arch9wavefront6targetE1EEEvT1_, .Lfunc_end603-_ZN7rocprim17ROCPRIM_400000_NS6detail17trampoline_kernelINS0_14default_configENS1_25transform_config_selectorIiLb1EEEZNS1_14transform_implILb1ES3_S5_PiS7_NS0_8identityIiEEEE10hipError_tT2_T3_mT4_P12ihipStream_tbEUlT_E_NS1_11comp_targetILNS1_3genE4ELNS1_11target_archE910ELNS1_3gpuE8ELNS1_3repE0EEENS1_30default_config_static_selectorELNS0_4arch9wavefront6targetE1EEEvT1_
                                        ; -- End function
	.section	.AMDGPU.csdata,"",@progbits
; Kernel info:
; codeLenInByte = 488
; NumSgprs: 20
; NumVgprs: 8
; NumAgprs: 0
; TotalNumVgprs: 8
; ScratchSize: 0
; MemoryBound: 1
; FloatMode: 240
; IeeeMode: 1
; LDSByteSize: 0 bytes/workgroup (compile time only)
; SGPRBlocks: 2
; VGPRBlocks: 0
; NumSGPRsForWavesPerEU: 20
; NumVGPRsForWavesPerEU: 8
; AccumOffset: 8
; Occupancy: 8
; WaveLimiterHint : 0
; COMPUTE_PGM_RSRC2:SCRATCH_EN: 0
; COMPUTE_PGM_RSRC2:USER_SGPR: 6
; COMPUTE_PGM_RSRC2:TRAP_HANDLER: 0
; COMPUTE_PGM_RSRC2:TGID_X_EN: 1
; COMPUTE_PGM_RSRC2:TGID_Y_EN: 0
; COMPUTE_PGM_RSRC2:TGID_Z_EN: 0
; COMPUTE_PGM_RSRC2:TIDIG_COMP_CNT: 0
; COMPUTE_PGM_RSRC3_GFX90A:ACCUM_OFFSET: 1
; COMPUTE_PGM_RSRC3_GFX90A:TG_SPLIT: 0
	.section	.text._ZN7rocprim17ROCPRIM_400000_NS6detail17trampoline_kernelINS0_14default_configENS1_25transform_config_selectorIiLb1EEEZNS1_14transform_implILb1ES3_S5_PiS7_NS0_8identityIiEEEE10hipError_tT2_T3_mT4_P12ihipStream_tbEUlT_E_NS1_11comp_targetILNS1_3genE3ELNS1_11target_archE908ELNS1_3gpuE7ELNS1_3repE0EEENS1_30default_config_static_selectorELNS0_4arch9wavefront6targetE1EEEvT1_,"axG",@progbits,_ZN7rocprim17ROCPRIM_400000_NS6detail17trampoline_kernelINS0_14default_configENS1_25transform_config_selectorIiLb1EEEZNS1_14transform_implILb1ES3_S5_PiS7_NS0_8identityIiEEEE10hipError_tT2_T3_mT4_P12ihipStream_tbEUlT_E_NS1_11comp_targetILNS1_3genE3ELNS1_11target_archE908ELNS1_3gpuE7ELNS1_3repE0EEENS1_30default_config_static_selectorELNS0_4arch9wavefront6targetE1EEEvT1_,comdat
	.protected	_ZN7rocprim17ROCPRIM_400000_NS6detail17trampoline_kernelINS0_14default_configENS1_25transform_config_selectorIiLb1EEEZNS1_14transform_implILb1ES3_S5_PiS7_NS0_8identityIiEEEE10hipError_tT2_T3_mT4_P12ihipStream_tbEUlT_E_NS1_11comp_targetILNS1_3genE3ELNS1_11target_archE908ELNS1_3gpuE7ELNS1_3repE0EEENS1_30default_config_static_selectorELNS0_4arch9wavefront6targetE1EEEvT1_ ; -- Begin function _ZN7rocprim17ROCPRIM_400000_NS6detail17trampoline_kernelINS0_14default_configENS1_25transform_config_selectorIiLb1EEEZNS1_14transform_implILb1ES3_S5_PiS7_NS0_8identityIiEEEE10hipError_tT2_T3_mT4_P12ihipStream_tbEUlT_E_NS1_11comp_targetILNS1_3genE3ELNS1_11target_archE908ELNS1_3gpuE7ELNS1_3repE0EEENS1_30default_config_static_selectorELNS0_4arch9wavefront6targetE1EEEvT1_
	.globl	_ZN7rocprim17ROCPRIM_400000_NS6detail17trampoline_kernelINS0_14default_configENS1_25transform_config_selectorIiLb1EEEZNS1_14transform_implILb1ES3_S5_PiS7_NS0_8identityIiEEEE10hipError_tT2_T3_mT4_P12ihipStream_tbEUlT_E_NS1_11comp_targetILNS1_3genE3ELNS1_11target_archE908ELNS1_3gpuE7ELNS1_3repE0EEENS1_30default_config_static_selectorELNS0_4arch9wavefront6targetE1EEEvT1_
	.p2align	8
	.type	_ZN7rocprim17ROCPRIM_400000_NS6detail17trampoline_kernelINS0_14default_configENS1_25transform_config_selectorIiLb1EEEZNS1_14transform_implILb1ES3_S5_PiS7_NS0_8identityIiEEEE10hipError_tT2_T3_mT4_P12ihipStream_tbEUlT_E_NS1_11comp_targetILNS1_3genE3ELNS1_11target_archE908ELNS1_3gpuE7ELNS1_3repE0EEENS1_30default_config_static_selectorELNS0_4arch9wavefront6targetE1EEEvT1_,@function
_ZN7rocprim17ROCPRIM_400000_NS6detail17trampoline_kernelINS0_14default_configENS1_25transform_config_selectorIiLb1EEEZNS1_14transform_implILb1ES3_S5_PiS7_NS0_8identityIiEEEE10hipError_tT2_T3_mT4_P12ihipStream_tbEUlT_E_NS1_11comp_targetILNS1_3genE3ELNS1_11target_archE908ELNS1_3gpuE7ELNS1_3repE0EEENS1_30default_config_static_selectorELNS0_4arch9wavefront6targetE1EEEvT1_: ; @_ZN7rocprim17ROCPRIM_400000_NS6detail17trampoline_kernelINS0_14default_configENS1_25transform_config_selectorIiLb1EEEZNS1_14transform_implILb1ES3_S5_PiS7_NS0_8identityIiEEEE10hipError_tT2_T3_mT4_P12ihipStream_tbEUlT_E_NS1_11comp_targetILNS1_3genE3ELNS1_11target_archE908ELNS1_3gpuE7ELNS1_3repE0EEENS1_30default_config_static_selectorELNS0_4arch9wavefront6targetE1EEEvT1_
; %bb.0:
	.section	.rodata,"a",@progbits
	.p2align	6, 0x0
	.amdhsa_kernel _ZN7rocprim17ROCPRIM_400000_NS6detail17trampoline_kernelINS0_14default_configENS1_25transform_config_selectorIiLb1EEEZNS1_14transform_implILb1ES3_S5_PiS7_NS0_8identityIiEEEE10hipError_tT2_T3_mT4_P12ihipStream_tbEUlT_E_NS1_11comp_targetILNS1_3genE3ELNS1_11target_archE908ELNS1_3gpuE7ELNS1_3repE0EEENS1_30default_config_static_selectorELNS0_4arch9wavefront6targetE1EEEvT1_
		.amdhsa_group_segment_fixed_size 0
		.amdhsa_private_segment_fixed_size 0
		.amdhsa_kernarg_size 40
		.amdhsa_user_sgpr_count 6
		.amdhsa_user_sgpr_private_segment_buffer 1
		.amdhsa_user_sgpr_dispatch_ptr 0
		.amdhsa_user_sgpr_queue_ptr 0
		.amdhsa_user_sgpr_kernarg_segment_ptr 1
		.amdhsa_user_sgpr_dispatch_id 0
		.amdhsa_user_sgpr_flat_scratch_init 0
		.amdhsa_user_sgpr_kernarg_preload_length 0
		.amdhsa_user_sgpr_kernarg_preload_offset 0
		.amdhsa_user_sgpr_private_segment_size 0
		.amdhsa_uses_dynamic_stack 0
		.amdhsa_system_sgpr_private_segment_wavefront_offset 0
		.amdhsa_system_sgpr_workgroup_id_x 1
		.amdhsa_system_sgpr_workgroup_id_y 0
		.amdhsa_system_sgpr_workgroup_id_z 0
		.amdhsa_system_sgpr_workgroup_info 0
		.amdhsa_system_vgpr_workitem_id 0
		.amdhsa_next_free_vgpr 1
		.amdhsa_next_free_sgpr 0
		.amdhsa_accum_offset 4
		.amdhsa_reserve_vcc 0
		.amdhsa_reserve_flat_scratch 0
		.amdhsa_float_round_mode_32 0
		.amdhsa_float_round_mode_16_64 0
		.amdhsa_float_denorm_mode_32 3
		.amdhsa_float_denorm_mode_16_64 3
		.amdhsa_dx10_clamp 1
		.amdhsa_ieee_mode 1
		.amdhsa_fp16_overflow 0
		.amdhsa_tg_split 0
		.amdhsa_exception_fp_ieee_invalid_op 0
		.amdhsa_exception_fp_denorm_src 0
		.amdhsa_exception_fp_ieee_div_zero 0
		.amdhsa_exception_fp_ieee_overflow 0
		.amdhsa_exception_fp_ieee_underflow 0
		.amdhsa_exception_fp_ieee_inexact 0
		.amdhsa_exception_int_div_zero 0
	.end_amdhsa_kernel
	.section	.text._ZN7rocprim17ROCPRIM_400000_NS6detail17trampoline_kernelINS0_14default_configENS1_25transform_config_selectorIiLb1EEEZNS1_14transform_implILb1ES3_S5_PiS7_NS0_8identityIiEEEE10hipError_tT2_T3_mT4_P12ihipStream_tbEUlT_E_NS1_11comp_targetILNS1_3genE3ELNS1_11target_archE908ELNS1_3gpuE7ELNS1_3repE0EEENS1_30default_config_static_selectorELNS0_4arch9wavefront6targetE1EEEvT1_,"axG",@progbits,_ZN7rocprim17ROCPRIM_400000_NS6detail17trampoline_kernelINS0_14default_configENS1_25transform_config_selectorIiLb1EEEZNS1_14transform_implILb1ES3_S5_PiS7_NS0_8identityIiEEEE10hipError_tT2_T3_mT4_P12ihipStream_tbEUlT_E_NS1_11comp_targetILNS1_3genE3ELNS1_11target_archE908ELNS1_3gpuE7ELNS1_3repE0EEENS1_30default_config_static_selectorELNS0_4arch9wavefront6targetE1EEEvT1_,comdat
.Lfunc_end604:
	.size	_ZN7rocprim17ROCPRIM_400000_NS6detail17trampoline_kernelINS0_14default_configENS1_25transform_config_selectorIiLb1EEEZNS1_14transform_implILb1ES3_S5_PiS7_NS0_8identityIiEEEE10hipError_tT2_T3_mT4_P12ihipStream_tbEUlT_E_NS1_11comp_targetILNS1_3genE3ELNS1_11target_archE908ELNS1_3gpuE7ELNS1_3repE0EEENS1_30default_config_static_selectorELNS0_4arch9wavefront6targetE1EEEvT1_, .Lfunc_end604-_ZN7rocprim17ROCPRIM_400000_NS6detail17trampoline_kernelINS0_14default_configENS1_25transform_config_selectorIiLb1EEEZNS1_14transform_implILb1ES3_S5_PiS7_NS0_8identityIiEEEE10hipError_tT2_T3_mT4_P12ihipStream_tbEUlT_E_NS1_11comp_targetILNS1_3genE3ELNS1_11target_archE908ELNS1_3gpuE7ELNS1_3repE0EEENS1_30default_config_static_selectorELNS0_4arch9wavefront6targetE1EEEvT1_
                                        ; -- End function
	.section	.AMDGPU.csdata,"",@progbits
; Kernel info:
; codeLenInByte = 0
; NumSgprs: 4
; NumVgprs: 0
; NumAgprs: 0
; TotalNumVgprs: 0
; ScratchSize: 0
; MemoryBound: 0
; FloatMode: 240
; IeeeMode: 1
; LDSByteSize: 0 bytes/workgroup (compile time only)
; SGPRBlocks: 0
; VGPRBlocks: 0
; NumSGPRsForWavesPerEU: 4
; NumVGPRsForWavesPerEU: 1
; AccumOffset: 4
; Occupancy: 8
; WaveLimiterHint : 0
; COMPUTE_PGM_RSRC2:SCRATCH_EN: 0
; COMPUTE_PGM_RSRC2:USER_SGPR: 6
; COMPUTE_PGM_RSRC2:TRAP_HANDLER: 0
; COMPUTE_PGM_RSRC2:TGID_X_EN: 1
; COMPUTE_PGM_RSRC2:TGID_Y_EN: 0
; COMPUTE_PGM_RSRC2:TGID_Z_EN: 0
; COMPUTE_PGM_RSRC2:TIDIG_COMP_CNT: 0
; COMPUTE_PGM_RSRC3_GFX90A:ACCUM_OFFSET: 0
; COMPUTE_PGM_RSRC3_GFX90A:TG_SPLIT: 0
	.section	.text._ZN7rocprim17ROCPRIM_400000_NS6detail17trampoline_kernelINS0_14default_configENS1_25transform_config_selectorIiLb1EEEZNS1_14transform_implILb1ES3_S5_PiS7_NS0_8identityIiEEEE10hipError_tT2_T3_mT4_P12ihipStream_tbEUlT_E_NS1_11comp_targetILNS1_3genE2ELNS1_11target_archE906ELNS1_3gpuE6ELNS1_3repE0EEENS1_30default_config_static_selectorELNS0_4arch9wavefront6targetE1EEEvT1_,"axG",@progbits,_ZN7rocprim17ROCPRIM_400000_NS6detail17trampoline_kernelINS0_14default_configENS1_25transform_config_selectorIiLb1EEEZNS1_14transform_implILb1ES3_S5_PiS7_NS0_8identityIiEEEE10hipError_tT2_T3_mT4_P12ihipStream_tbEUlT_E_NS1_11comp_targetILNS1_3genE2ELNS1_11target_archE906ELNS1_3gpuE6ELNS1_3repE0EEENS1_30default_config_static_selectorELNS0_4arch9wavefront6targetE1EEEvT1_,comdat
	.protected	_ZN7rocprim17ROCPRIM_400000_NS6detail17trampoline_kernelINS0_14default_configENS1_25transform_config_selectorIiLb1EEEZNS1_14transform_implILb1ES3_S5_PiS7_NS0_8identityIiEEEE10hipError_tT2_T3_mT4_P12ihipStream_tbEUlT_E_NS1_11comp_targetILNS1_3genE2ELNS1_11target_archE906ELNS1_3gpuE6ELNS1_3repE0EEENS1_30default_config_static_selectorELNS0_4arch9wavefront6targetE1EEEvT1_ ; -- Begin function _ZN7rocprim17ROCPRIM_400000_NS6detail17trampoline_kernelINS0_14default_configENS1_25transform_config_selectorIiLb1EEEZNS1_14transform_implILb1ES3_S5_PiS7_NS0_8identityIiEEEE10hipError_tT2_T3_mT4_P12ihipStream_tbEUlT_E_NS1_11comp_targetILNS1_3genE2ELNS1_11target_archE906ELNS1_3gpuE6ELNS1_3repE0EEENS1_30default_config_static_selectorELNS0_4arch9wavefront6targetE1EEEvT1_
	.globl	_ZN7rocprim17ROCPRIM_400000_NS6detail17trampoline_kernelINS0_14default_configENS1_25transform_config_selectorIiLb1EEEZNS1_14transform_implILb1ES3_S5_PiS7_NS0_8identityIiEEEE10hipError_tT2_T3_mT4_P12ihipStream_tbEUlT_E_NS1_11comp_targetILNS1_3genE2ELNS1_11target_archE906ELNS1_3gpuE6ELNS1_3repE0EEENS1_30default_config_static_selectorELNS0_4arch9wavefront6targetE1EEEvT1_
	.p2align	8
	.type	_ZN7rocprim17ROCPRIM_400000_NS6detail17trampoline_kernelINS0_14default_configENS1_25transform_config_selectorIiLb1EEEZNS1_14transform_implILb1ES3_S5_PiS7_NS0_8identityIiEEEE10hipError_tT2_T3_mT4_P12ihipStream_tbEUlT_E_NS1_11comp_targetILNS1_3genE2ELNS1_11target_archE906ELNS1_3gpuE6ELNS1_3repE0EEENS1_30default_config_static_selectorELNS0_4arch9wavefront6targetE1EEEvT1_,@function
_ZN7rocprim17ROCPRIM_400000_NS6detail17trampoline_kernelINS0_14default_configENS1_25transform_config_selectorIiLb1EEEZNS1_14transform_implILb1ES3_S5_PiS7_NS0_8identityIiEEEE10hipError_tT2_T3_mT4_P12ihipStream_tbEUlT_E_NS1_11comp_targetILNS1_3genE2ELNS1_11target_archE906ELNS1_3gpuE6ELNS1_3repE0EEENS1_30default_config_static_selectorELNS0_4arch9wavefront6targetE1EEEvT1_: ; @_ZN7rocprim17ROCPRIM_400000_NS6detail17trampoline_kernelINS0_14default_configENS1_25transform_config_selectorIiLb1EEEZNS1_14transform_implILb1ES3_S5_PiS7_NS0_8identityIiEEEE10hipError_tT2_T3_mT4_P12ihipStream_tbEUlT_E_NS1_11comp_targetILNS1_3genE2ELNS1_11target_archE906ELNS1_3gpuE6ELNS1_3repE0EEENS1_30default_config_static_selectorELNS0_4arch9wavefront6targetE1EEEvT1_
; %bb.0:
	.section	.rodata,"a",@progbits
	.p2align	6, 0x0
	.amdhsa_kernel _ZN7rocprim17ROCPRIM_400000_NS6detail17trampoline_kernelINS0_14default_configENS1_25transform_config_selectorIiLb1EEEZNS1_14transform_implILb1ES3_S5_PiS7_NS0_8identityIiEEEE10hipError_tT2_T3_mT4_P12ihipStream_tbEUlT_E_NS1_11comp_targetILNS1_3genE2ELNS1_11target_archE906ELNS1_3gpuE6ELNS1_3repE0EEENS1_30default_config_static_selectorELNS0_4arch9wavefront6targetE1EEEvT1_
		.amdhsa_group_segment_fixed_size 0
		.amdhsa_private_segment_fixed_size 0
		.amdhsa_kernarg_size 40
		.amdhsa_user_sgpr_count 6
		.amdhsa_user_sgpr_private_segment_buffer 1
		.amdhsa_user_sgpr_dispatch_ptr 0
		.amdhsa_user_sgpr_queue_ptr 0
		.amdhsa_user_sgpr_kernarg_segment_ptr 1
		.amdhsa_user_sgpr_dispatch_id 0
		.amdhsa_user_sgpr_flat_scratch_init 0
		.amdhsa_user_sgpr_kernarg_preload_length 0
		.amdhsa_user_sgpr_kernarg_preload_offset 0
		.amdhsa_user_sgpr_private_segment_size 0
		.amdhsa_uses_dynamic_stack 0
		.amdhsa_system_sgpr_private_segment_wavefront_offset 0
		.amdhsa_system_sgpr_workgroup_id_x 1
		.amdhsa_system_sgpr_workgroup_id_y 0
		.amdhsa_system_sgpr_workgroup_id_z 0
		.amdhsa_system_sgpr_workgroup_info 0
		.amdhsa_system_vgpr_workitem_id 0
		.amdhsa_next_free_vgpr 1
		.amdhsa_next_free_sgpr 0
		.amdhsa_accum_offset 4
		.amdhsa_reserve_vcc 0
		.amdhsa_reserve_flat_scratch 0
		.amdhsa_float_round_mode_32 0
		.amdhsa_float_round_mode_16_64 0
		.amdhsa_float_denorm_mode_32 3
		.amdhsa_float_denorm_mode_16_64 3
		.amdhsa_dx10_clamp 1
		.amdhsa_ieee_mode 1
		.amdhsa_fp16_overflow 0
		.amdhsa_tg_split 0
		.amdhsa_exception_fp_ieee_invalid_op 0
		.amdhsa_exception_fp_denorm_src 0
		.amdhsa_exception_fp_ieee_div_zero 0
		.amdhsa_exception_fp_ieee_overflow 0
		.amdhsa_exception_fp_ieee_underflow 0
		.amdhsa_exception_fp_ieee_inexact 0
		.amdhsa_exception_int_div_zero 0
	.end_amdhsa_kernel
	.section	.text._ZN7rocprim17ROCPRIM_400000_NS6detail17trampoline_kernelINS0_14default_configENS1_25transform_config_selectorIiLb1EEEZNS1_14transform_implILb1ES3_S5_PiS7_NS0_8identityIiEEEE10hipError_tT2_T3_mT4_P12ihipStream_tbEUlT_E_NS1_11comp_targetILNS1_3genE2ELNS1_11target_archE906ELNS1_3gpuE6ELNS1_3repE0EEENS1_30default_config_static_selectorELNS0_4arch9wavefront6targetE1EEEvT1_,"axG",@progbits,_ZN7rocprim17ROCPRIM_400000_NS6detail17trampoline_kernelINS0_14default_configENS1_25transform_config_selectorIiLb1EEEZNS1_14transform_implILb1ES3_S5_PiS7_NS0_8identityIiEEEE10hipError_tT2_T3_mT4_P12ihipStream_tbEUlT_E_NS1_11comp_targetILNS1_3genE2ELNS1_11target_archE906ELNS1_3gpuE6ELNS1_3repE0EEENS1_30default_config_static_selectorELNS0_4arch9wavefront6targetE1EEEvT1_,comdat
.Lfunc_end605:
	.size	_ZN7rocprim17ROCPRIM_400000_NS6detail17trampoline_kernelINS0_14default_configENS1_25transform_config_selectorIiLb1EEEZNS1_14transform_implILb1ES3_S5_PiS7_NS0_8identityIiEEEE10hipError_tT2_T3_mT4_P12ihipStream_tbEUlT_E_NS1_11comp_targetILNS1_3genE2ELNS1_11target_archE906ELNS1_3gpuE6ELNS1_3repE0EEENS1_30default_config_static_selectorELNS0_4arch9wavefront6targetE1EEEvT1_, .Lfunc_end605-_ZN7rocprim17ROCPRIM_400000_NS6detail17trampoline_kernelINS0_14default_configENS1_25transform_config_selectorIiLb1EEEZNS1_14transform_implILb1ES3_S5_PiS7_NS0_8identityIiEEEE10hipError_tT2_T3_mT4_P12ihipStream_tbEUlT_E_NS1_11comp_targetILNS1_3genE2ELNS1_11target_archE906ELNS1_3gpuE6ELNS1_3repE0EEENS1_30default_config_static_selectorELNS0_4arch9wavefront6targetE1EEEvT1_
                                        ; -- End function
	.section	.AMDGPU.csdata,"",@progbits
; Kernel info:
; codeLenInByte = 0
; NumSgprs: 4
; NumVgprs: 0
; NumAgprs: 0
; TotalNumVgprs: 0
; ScratchSize: 0
; MemoryBound: 0
; FloatMode: 240
; IeeeMode: 1
; LDSByteSize: 0 bytes/workgroup (compile time only)
; SGPRBlocks: 0
; VGPRBlocks: 0
; NumSGPRsForWavesPerEU: 4
; NumVGPRsForWavesPerEU: 1
; AccumOffset: 4
; Occupancy: 8
; WaveLimiterHint : 0
; COMPUTE_PGM_RSRC2:SCRATCH_EN: 0
; COMPUTE_PGM_RSRC2:USER_SGPR: 6
; COMPUTE_PGM_RSRC2:TRAP_HANDLER: 0
; COMPUTE_PGM_RSRC2:TGID_X_EN: 1
; COMPUTE_PGM_RSRC2:TGID_Y_EN: 0
; COMPUTE_PGM_RSRC2:TGID_Z_EN: 0
; COMPUTE_PGM_RSRC2:TIDIG_COMP_CNT: 0
; COMPUTE_PGM_RSRC3_GFX90A:ACCUM_OFFSET: 0
; COMPUTE_PGM_RSRC3_GFX90A:TG_SPLIT: 0
	.section	.text._ZN7rocprim17ROCPRIM_400000_NS6detail17trampoline_kernelINS0_14default_configENS1_25transform_config_selectorIiLb1EEEZNS1_14transform_implILb1ES3_S5_PiS7_NS0_8identityIiEEEE10hipError_tT2_T3_mT4_P12ihipStream_tbEUlT_E_NS1_11comp_targetILNS1_3genE9ELNS1_11target_archE1100ELNS1_3gpuE3ELNS1_3repE0EEENS1_30default_config_static_selectorELNS0_4arch9wavefront6targetE1EEEvT1_,"axG",@progbits,_ZN7rocprim17ROCPRIM_400000_NS6detail17trampoline_kernelINS0_14default_configENS1_25transform_config_selectorIiLb1EEEZNS1_14transform_implILb1ES3_S5_PiS7_NS0_8identityIiEEEE10hipError_tT2_T3_mT4_P12ihipStream_tbEUlT_E_NS1_11comp_targetILNS1_3genE9ELNS1_11target_archE1100ELNS1_3gpuE3ELNS1_3repE0EEENS1_30default_config_static_selectorELNS0_4arch9wavefront6targetE1EEEvT1_,comdat
	.protected	_ZN7rocprim17ROCPRIM_400000_NS6detail17trampoline_kernelINS0_14default_configENS1_25transform_config_selectorIiLb1EEEZNS1_14transform_implILb1ES3_S5_PiS7_NS0_8identityIiEEEE10hipError_tT2_T3_mT4_P12ihipStream_tbEUlT_E_NS1_11comp_targetILNS1_3genE9ELNS1_11target_archE1100ELNS1_3gpuE3ELNS1_3repE0EEENS1_30default_config_static_selectorELNS0_4arch9wavefront6targetE1EEEvT1_ ; -- Begin function _ZN7rocprim17ROCPRIM_400000_NS6detail17trampoline_kernelINS0_14default_configENS1_25transform_config_selectorIiLb1EEEZNS1_14transform_implILb1ES3_S5_PiS7_NS0_8identityIiEEEE10hipError_tT2_T3_mT4_P12ihipStream_tbEUlT_E_NS1_11comp_targetILNS1_3genE9ELNS1_11target_archE1100ELNS1_3gpuE3ELNS1_3repE0EEENS1_30default_config_static_selectorELNS0_4arch9wavefront6targetE1EEEvT1_
	.globl	_ZN7rocprim17ROCPRIM_400000_NS6detail17trampoline_kernelINS0_14default_configENS1_25transform_config_selectorIiLb1EEEZNS1_14transform_implILb1ES3_S5_PiS7_NS0_8identityIiEEEE10hipError_tT2_T3_mT4_P12ihipStream_tbEUlT_E_NS1_11comp_targetILNS1_3genE9ELNS1_11target_archE1100ELNS1_3gpuE3ELNS1_3repE0EEENS1_30default_config_static_selectorELNS0_4arch9wavefront6targetE1EEEvT1_
	.p2align	8
	.type	_ZN7rocprim17ROCPRIM_400000_NS6detail17trampoline_kernelINS0_14default_configENS1_25transform_config_selectorIiLb1EEEZNS1_14transform_implILb1ES3_S5_PiS7_NS0_8identityIiEEEE10hipError_tT2_T3_mT4_P12ihipStream_tbEUlT_E_NS1_11comp_targetILNS1_3genE9ELNS1_11target_archE1100ELNS1_3gpuE3ELNS1_3repE0EEENS1_30default_config_static_selectorELNS0_4arch9wavefront6targetE1EEEvT1_,@function
_ZN7rocprim17ROCPRIM_400000_NS6detail17trampoline_kernelINS0_14default_configENS1_25transform_config_selectorIiLb1EEEZNS1_14transform_implILb1ES3_S5_PiS7_NS0_8identityIiEEEE10hipError_tT2_T3_mT4_P12ihipStream_tbEUlT_E_NS1_11comp_targetILNS1_3genE9ELNS1_11target_archE1100ELNS1_3gpuE3ELNS1_3repE0EEENS1_30default_config_static_selectorELNS0_4arch9wavefront6targetE1EEEvT1_: ; @_ZN7rocprim17ROCPRIM_400000_NS6detail17trampoline_kernelINS0_14default_configENS1_25transform_config_selectorIiLb1EEEZNS1_14transform_implILb1ES3_S5_PiS7_NS0_8identityIiEEEE10hipError_tT2_T3_mT4_P12ihipStream_tbEUlT_E_NS1_11comp_targetILNS1_3genE9ELNS1_11target_archE1100ELNS1_3gpuE3ELNS1_3repE0EEENS1_30default_config_static_selectorELNS0_4arch9wavefront6targetE1EEEvT1_
; %bb.0:
	.section	.rodata,"a",@progbits
	.p2align	6, 0x0
	.amdhsa_kernel _ZN7rocprim17ROCPRIM_400000_NS6detail17trampoline_kernelINS0_14default_configENS1_25transform_config_selectorIiLb1EEEZNS1_14transform_implILb1ES3_S5_PiS7_NS0_8identityIiEEEE10hipError_tT2_T3_mT4_P12ihipStream_tbEUlT_E_NS1_11comp_targetILNS1_3genE9ELNS1_11target_archE1100ELNS1_3gpuE3ELNS1_3repE0EEENS1_30default_config_static_selectorELNS0_4arch9wavefront6targetE1EEEvT1_
		.amdhsa_group_segment_fixed_size 0
		.amdhsa_private_segment_fixed_size 0
		.amdhsa_kernarg_size 40
		.amdhsa_user_sgpr_count 6
		.amdhsa_user_sgpr_private_segment_buffer 1
		.amdhsa_user_sgpr_dispatch_ptr 0
		.amdhsa_user_sgpr_queue_ptr 0
		.amdhsa_user_sgpr_kernarg_segment_ptr 1
		.amdhsa_user_sgpr_dispatch_id 0
		.amdhsa_user_sgpr_flat_scratch_init 0
		.amdhsa_user_sgpr_kernarg_preload_length 0
		.amdhsa_user_sgpr_kernarg_preload_offset 0
		.amdhsa_user_sgpr_private_segment_size 0
		.amdhsa_uses_dynamic_stack 0
		.amdhsa_system_sgpr_private_segment_wavefront_offset 0
		.amdhsa_system_sgpr_workgroup_id_x 1
		.amdhsa_system_sgpr_workgroup_id_y 0
		.amdhsa_system_sgpr_workgroup_id_z 0
		.amdhsa_system_sgpr_workgroup_info 0
		.amdhsa_system_vgpr_workitem_id 0
		.amdhsa_next_free_vgpr 1
		.amdhsa_next_free_sgpr 0
		.amdhsa_accum_offset 4
		.amdhsa_reserve_vcc 0
		.amdhsa_reserve_flat_scratch 0
		.amdhsa_float_round_mode_32 0
		.amdhsa_float_round_mode_16_64 0
		.amdhsa_float_denorm_mode_32 3
		.amdhsa_float_denorm_mode_16_64 3
		.amdhsa_dx10_clamp 1
		.amdhsa_ieee_mode 1
		.amdhsa_fp16_overflow 0
		.amdhsa_tg_split 0
		.amdhsa_exception_fp_ieee_invalid_op 0
		.amdhsa_exception_fp_denorm_src 0
		.amdhsa_exception_fp_ieee_div_zero 0
		.amdhsa_exception_fp_ieee_overflow 0
		.amdhsa_exception_fp_ieee_underflow 0
		.amdhsa_exception_fp_ieee_inexact 0
		.amdhsa_exception_int_div_zero 0
	.end_amdhsa_kernel
	.section	.text._ZN7rocprim17ROCPRIM_400000_NS6detail17trampoline_kernelINS0_14default_configENS1_25transform_config_selectorIiLb1EEEZNS1_14transform_implILb1ES3_S5_PiS7_NS0_8identityIiEEEE10hipError_tT2_T3_mT4_P12ihipStream_tbEUlT_E_NS1_11comp_targetILNS1_3genE9ELNS1_11target_archE1100ELNS1_3gpuE3ELNS1_3repE0EEENS1_30default_config_static_selectorELNS0_4arch9wavefront6targetE1EEEvT1_,"axG",@progbits,_ZN7rocprim17ROCPRIM_400000_NS6detail17trampoline_kernelINS0_14default_configENS1_25transform_config_selectorIiLb1EEEZNS1_14transform_implILb1ES3_S5_PiS7_NS0_8identityIiEEEE10hipError_tT2_T3_mT4_P12ihipStream_tbEUlT_E_NS1_11comp_targetILNS1_3genE9ELNS1_11target_archE1100ELNS1_3gpuE3ELNS1_3repE0EEENS1_30default_config_static_selectorELNS0_4arch9wavefront6targetE1EEEvT1_,comdat
.Lfunc_end606:
	.size	_ZN7rocprim17ROCPRIM_400000_NS6detail17trampoline_kernelINS0_14default_configENS1_25transform_config_selectorIiLb1EEEZNS1_14transform_implILb1ES3_S5_PiS7_NS0_8identityIiEEEE10hipError_tT2_T3_mT4_P12ihipStream_tbEUlT_E_NS1_11comp_targetILNS1_3genE9ELNS1_11target_archE1100ELNS1_3gpuE3ELNS1_3repE0EEENS1_30default_config_static_selectorELNS0_4arch9wavefront6targetE1EEEvT1_, .Lfunc_end606-_ZN7rocprim17ROCPRIM_400000_NS6detail17trampoline_kernelINS0_14default_configENS1_25transform_config_selectorIiLb1EEEZNS1_14transform_implILb1ES3_S5_PiS7_NS0_8identityIiEEEE10hipError_tT2_T3_mT4_P12ihipStream_tbEUlT_E_NS1_11comp_targetILNS1_3genE9ELNS1_11target_archE1100ELNS1_3gpuE3ELNS1_3repE0EEENS1_30default_config_static_selectorELNS0_4arch9wavefront6targetE1EEEvT1_
                                        ; -- End function
	.section	.AMDGPU.csdata,"",@progbits
; Kernel info:
; codeLenInByte = 0
; NumSgprs: 4
; NumVgprs: 0
; NumAgprs: 0
; TotalNumVgprs: 0
; ScratchSize: 0
; MemoryBound: 0
; FloatMode: 240
; IeeeMode: 1
; LDSByteSize: 0 bytes/workgroup (compile time only)
; SGPRBlocks: 0
; VGPRBlocks: 0
; NumSGPRsForWavesPerEU: 4
; NumVGPRsForWavesPerEU: 1
; AccumOffset: 4
; Occupancy: 8
; WaveLimiterHint : 0
; COMPUTE_PGM_RSRC2:SCRATCH_EN: 0
; COMPUTE_PGM_RSRC2:USER_SGPR: 6
; COMPUTE_PGM_RSRC2:TRAP_HANDLER: 0
; COMPUTE_PGM_RSRC2:TGID_X_EN: 1
; COMPUTE_PGM_RSRC2:TGID_Y_EN: 0
; COMPUTE_PGM_RSRC2:TGID_Z_EN: 0
; COMPUTE_PGM_RSRC2:TIDIG_COMP_CNT: 0
; COMPUTE_PGM_RSRC3_GFX90A:ACCUM_OFFSET: 0
; COMPUTE_PGM_RSRC3_GFX90A:TG_SPLIT: 0
	.section	.text._ZN7rocprim17ROCPRIM_400000_NS6detail17trampoline_kernelINS0_14default_configENS1_25transform_config_selectorIiLb1EEEZNS1_14transform_implILb1ES3_S5_PiS7_NS0_8identityIiEEEE10hipError_tT2_T3_mT4_P12ihipStream_tbEUlT_E_NS1_11comp_targetILNS1_3genE8ELNS1_11target_archE1030ELNS1_3gpuE2ELNS1_3repE0EEENS1_30default_config_static_selectorELNS0_4arch9wavefront6targetE1EEEvT1_,"axG",@progbits,_ZN7rocprim17ROCPRIM_400000_NS6detail17trampoline_kernelINS0_14default_configENS1_25transform_config_selectorIiLb1EEEZNS1_14transform_implILb1ES3_S5_PiS7_NS0_8identityIiEEEE10hipError_tT2_T3_mT4_P12ihipStream_tbEUlT_E_NS1_11comp_targetILNS1_3genE8ELNS1_11target_archE1030ELNS1_3gpuE2ELNS1_3repE0EEENS1_30default_config_static_selectorELNS0_4arch9wavefront6targetE1EEEvT1_,comdat
	.protected	_ZN7rocprim17ROCPRIM_400000_NS6detail17trampoline_kernelINS0_14default_configENS1_25transform_config_selectorIiLb1EEEZNS1_14transform_implILb1ES3_S5_PiS7_NS0_8identityIiEEEE10hipError_tT2_T3_mT4_P12ihipStream_tbEUlT_E_NS1_11comp_targetILNS1_3genE8ELNS1_11target_archE1030ELNS1_3gpuE2ELNS1_3repE0EEENS1_30default_config_static_selectorELNS0_4arch9wavefront6targetE1EEEvT1_ ; -- Begin function _ZN7rocprim17ROCPRIM_400000_NS6detail17trampoline_kernelINS0_14default_configENS1_25transform_config_selectorIiLb1EEEZNS1_14transform_implILb1ES3_S5_PiS7_NS0_8identityIiEEEE10hipError_tT2_T3_mT4_P12ihipStream_tbEUlT_E_NS1_11comp_targetILNS1_3genE8ELNS1_11target_archE1030ELNS1_3gpuE2ELNS1_3repE0EEENS1_30default_config_static_selectorELNS0_4arch9wavefront6targetE1EEEvT1_
	.globl	_ZN7rocprim17ROCPRIM_400000_NS6detail17trampoline_kernelINS0_14default_configENS1_25transform_config_selectorIiLb1EEEZNS1_14transform_implILb1ES3_S5_PiS7_NS0_8identityIiEEEE10hipError_tT2_T3_mT4_P12ihipStream_tbEUlT_E_NS1_11comp_targetILNS1_3genE8ELNS1_11target_archE1030ELNS1_3gpuE2ELNS1_3repE0EEENS1_30default_config_static_selectorELNS0_4arch9wavefront6targetE1EEEvT1_
	.p2align	8
	.type	_ZN7rocprim17ROCPRIM_400000_NS6detail17trampoline_kernelINS0_14default_configENS1_25transform_config_selectorIiLb1EEEZNS1_14transform_implILb1ES3_S5_PiS7_NS0_8identityIiEEEE10hipError_tT2_T3_mT4_P12ihipStream_tbEUlT_E_NS1_11comp_targetILNS1_3genE8ELNS1_11target_archE1030ELNS1_3gpuE2ELNS1_3repE0EEENS1_30default_config_static_selectorELNS0_4arch9wavefront6targetE1EEEvT1_,@function
_ZN7rocprim17ROCPRIM_400000_NS6detail17trampoline_kernelINS0_14default_configENS1_25transform_config_selectorIiLb1EEEZNS1_14transform_implILb1ES3_S5_PiS7_NS0_8identityIiEEEE10hipError_tT2_T3_mT4_P12ihipStream_tbEUlT_E_NS1_11comp_targetILNS1_3genE8ELNS1_11target_archE1030ELNS1_3gpuE2ELNS1_3repE0EEENS1_30default_config_static_selectorELNS0_4arch9wavefront6targetE1EEEvT1_: ; @_ZN7rocprim17ROCPRIM_400000_NS6detail17trampoline_kernelINS0_14default_configENS1_25transform_config_selectorIiLb1EEEZNS1_14transform_implILb1ES3_S5_PiS7_NS0_8identityIiEEEE10hipError_tT2_T3_mT4_P12ihipStream_tbEUlT_E_NS1_11comp_targetILNS1_3genE8ELNS1_11target_archE1030ELNS1_3gpuE2ELNS1_3repE0EEENS1_30default_config_static_selectorELNS0_4arch9wavefront6targetE1EEEvT1_
; %bb.0:
	.section	.rodata,"a",@progbits
	.p2align	6, 0x0
	.amdhsa_kernel _ZN7rocprim17ROCPRIM_400000_NS6detail17trampoline_kernelINS0_14default_configENS1_25transform_config_selectorIiLb1EEEZNS1_14transform_implILb1ES3_S5_PiS7_NS0_8identityIiEEEE10hipError_tT2_T3_mT4_P12ihipStream_tbEUlT_E_NS1_11comp_targetILNS1_3genE8ELNS1_11target_archE1030ELNS1_3gpuE2ELNS1_3repE0EEENS1_30default_config_static_selectorELNS0_4arch9wavefront6targetE1EEEvT1_
		.amdhsa_group_segment_fixed_size 0
		.amdhsa_private_segment_fixed_size 0
		.amdhsa_kernarg_size 40
		.amdhsa_user_sgpr_count 6
		.amdhsa_user_sgpr_private_segment_buffer 1
		.amdhsa_user_sgpr_dispatch_ptr 0
		.amdhsa_user_sgpr_queue_ptr 0
		.amdhsa_user_sgpr_kernarg_segment_ptr 1
		.amdhsa_user_sgpr_dispatch_id 0
		.amdhsa_user_sgpr_flat_scratch_init 0
		.amdhsa_user_sgpr_kernarg_preload_length 0
		.amdhsa_user_sgpr_kernarg_preload_offset 0
		.amdhsa_user_sgpr_private_segment_size 0
		.amdhsa_uses_dynamic_stack 0
		.amdhsa_system_sgpr_private_segment_wavefront_offset 0
		.amdhsa_system_sgpr_workgroup_id_x 1
		.amdhsa_system_sgpr_workgroup_id_y 0
		.amdhsa_system_sgpr_workgroup_id_z 0
		.amdhsa_system_sgpr_workgroup_info 0
		.amdhsa_system_vgpr_workitem_id 0
		.amdhsa_next_free_vgpr 1
		.amdhsa_next_free_sgpr 0
		.amdhsa_accum_offset 4
		.amdhsa_reserve_vcc 0
		.amdhsa_reserve_flat_scratch 0
		.amdhsa_float_round_mode_32 0
		.amdhsa_float_round_mode_16_64 0
		.amdhsa_float_denorm_mode_32 3
		.amdhsa_float_denorm_mode_16_64 3
		.amdhsa_dx10_clamp 1
		.amdhsa_ieee_mode 1
		.amdhsa_fp16_overflow 0
		.amdhsa_tg_split 0
		.amdhsa_exception_fp_ieee_invalid_op 0
		.amdhsa_exception_fp_denorm_src 0
		.amdhsa_exception_fp_ieee_div_zero 0
		.amdhsa_exception_fp_ieee_overflow 0
		.amdhsa_exception_fp_ieee_underflow 0
		.amdhsa_exception_fp_ieee_inexact 0
		.amdhsa_exception_int_div_zero 0
	.end_amdhsa_kernel
	.section	.text._ZN7rocprim17ROCPRIM_400000_NS6detail17trampoline_kernelINS0_14default_configENS1_25transform_config_selectorIiLb1EEEZNS1_14transform_implILb1ES3_S5_PiS7_NS0_8identityIiEEEE10hipError_tT2_T3_mT4_P12ihipStream_tbEUlT_E_NS1_11comp_targetILNS1_3genE8ELNS1_11target_archE1030ELNS1_3gpuE2ELNS1_3repE0EEENS1_30default_config_static_selectorELNS0_4arch9wavefront6targetE1EEEvT1_,"axG",@progbits,_ZN7rocprim17ROCPRIM_400000_NS6detail17trampoline_kernelINS0_14default_configENS1_25transform_config_selectorIiLb1EEEZNS1_14transform_implILb1ES3_S5_PiS7_NS0_8identityIiEEEE10hipError_tT2_T3_mT4_P12ihipStream_tbEUlT_E_NS1_11comp_targetILNS1_3genE8ELNS1_11target_archE1030ELNS1_3gpuE2ELNS1_3repE0EEENS1_30default_config_static_selectorELNS0_4arch9wavefront6targetE1EEEvT1_,comdat
.Lfunc_end607:
	.size	_ZN7rocprim17ROCPRIM_400000_NS6detail17trampoline_kernelINS0_14default_configENS1_25transform_config_selectorIiLb1EEEZNS1_14transform_implILb1ES3_S5_PiS7_NS0_8identityIiEEEE10hipError_tT2_T3_mT4_P12ihipStream_tbEUlT_E_NS1_11comp_targetILNS1_3genE8ELNS1_11target_archE1030ELNS1_3gpuE2ELNS1_3repE0EEENS1_30default_config_static_selectorELNS0_4arch9wavefront6targetE1EEEvT1_, .Lfunc_end607-_ZN7rocprim17ROCPRIM_400000_NS6detail17trampoline_kernelINS0_14default_configENS1_25transform_config_selectorIiLb1EEEZNS1_14transform_implILb1ES3_S5_PiS7_NS0_8identityIiEEEE10hipError_tT2_T3_mT4_P12ihipStream_tbEUlT_E_NS1_11comp_targetILNS1_3genE8ELNS1_11target_archE1030ELNS1_3gpuE2ELNS1_3repE0EEENS1_30default_config_static_selectorELNS0_4arch9wavefront6targetE1EEEvT1_
                                        ; -- End function
	.section	.AMDGPU.csdata,"",@progbits
; Kernel info:
; codeLenInByte = 0
; NumSgprs: 4
; NumVgprs: 0
; NumAgprs: 0
; TotalNumVgprs: 0
; ScratchSize: 0
; MemoryBound: 0
; FloatMode: 240
; IeeeMode: 1
; LDSByteSize: 0 bytes/workgroup (compile time only)
; SGPRBlocks: 0
; VGPRBlocks: 0
; NumSGPRsForWavesPerEU: 4
; NumVGPRsForWavesPerEU: 1
; AccumOffset: 4
; Occupancy: 8
; WaveLimiterHint : 0
; COMPUTE_PGM_RSRC2:SCRATCH_EN: 0
; COMPUTE_PGM_RSRC2:USER_SGPR: 6
; COMPUTE_PGM_RSRC2:TRAP_HANDLER: 0
; COMPUTE_PGM_RSRC2:TGID_X_EN: 1
; COMPUTE_PGM_RSRC2:TGID_Y_EN: 0
; COMPUTE_PGM_RSRC2:TGID_Z_EN: 0
; COMPUTE_PGM_RSRC2:TIDIG_COMP_CNT: 0
; COMPUTE_PGM_RSRC3_GFX90A:ACCUM_OFFSET: 0
; COMPUTE_PGM_RSRC3_GFX90A:TG_SPLIT: 0
	.section	.text._ZN7rocprim17ROCPRIM_400000_NS6detail17trampoline_kernelINS0_14default_configENS1_38merge_sort_block_merge_config_selectorIiNS0_10empty_typeEEEZZNS1_27merge_sort_block_merge_implIS3_PiPS5_jNS1_19radix_merge_compareILb0ELb1EiNS0_19identity_decomposerEEEEE10hipError_tT0_T1_T2_jT3_P12ihipStream_tbPNSt15iterator_traitsISE_E10value_typeEPNSK_ISF_E10value_typeEPSG_NS1_7vsmem_tEENKUlT_SE_SF_SG_E_clIS8_S8_S9_S9_EESD_ST_SE_SF_SG_EUlST_E_NS1_11comp_targetILNS1_3genE0ELNS1_11target_archE4294967295ELNS1_3gpuE0ELNS1_3repE0EEENS1_48merge_mergepath_partition_config_static_selectorELNS0_4arch9wavefront6targetE1EEEvSF_,"axG",@progbits,_ZN7rocprim17ROCPRIM_400000_NS6detail17trampoline_kernelINS0_14default_configENS1_38merge_sort_block_merge_config_selectorIiNS0_10empty_typeEEEZZNS1_27merge_sort_block_merge_implIS3_PiPS5_jNS1_19radix_merge_compareILb0ELb1EiNS0_19identity_decomposerEEEEE10hipError_tT0_T1_T2_jT3_P12ihipStream_tbPNSt15iterator_traitsISE_E10value_typeEPNSK_ISF_E10value_typeEPSG_NS1_7vsmem_tEENKUlT_SE_SF_SG_E_clIS8_S8_S9_S9_EESD_ST_SE_SF_SG_EUlST_E_NS1_11comp_targetILNS1_3genE0ELNS1_11target_archE4294967295ELNS1_3gpuE0ELNS1_3repE0EEENS1_48merge_mergepath_partition_config_static_selectorELNS0_4arch9wavefront6targetE1EEEvSF_,comdat
	.protected	_ZN7rocprim17ROCPRIM_400000_NS6detail17trampoline_kernelINS0_14default_configENS1_38merge_sort_block_merge_config_selectorIiNS0_10empty_typeEEEZZNS1_27merge_sort_block_merge_implIS3_PiPS5_jNS1_19radix_merge_compareILb0ELb1EiNS0_19identity_decomposerEEEEE10hipError_tT0_T1_T2_jT3_P12ihipStream_tbPNSt15iterator_traitsISE_E10value_typeEPNSK_ISF_E10value_typeEPSG_NS1_7vsmem_tEENKUlT_SE_SF_SG_E_clIS8_S8_S9_S9_EESD_ST_SE_SF_SG_EUlST_E_NS1_11comp_targetILNS1_3genE0ELNS1_11target_archE4294967295ELNS1_3gpuE0ELNS1_3repE0EEENS1_48merge_mergepath_partition_config_static_selectorELNS0_4arch9wavefront6targetE1EEEvSF_ ; -- Begin function _ZN7rocprim17ROCPRIM_400000_NS6detail17trampoline_kernelINS0_14default_configENS1_38merge_sort_block_merge_config_selectorIiNS0_10empty_typeEEEZZNS1_27merge_sort_block_merge_implIS3_PiPS5_jNS1_19radix_merge_compareILb0ELb1EiNS0_19identity_decomposerEEEEE10hipError_tT0_T1_T2_jT3_P12ihipStream_tbPNSt15iterator_traitsISE_E10value_typeEPNSK_ISF_E10value_typeEPSG_NS1_7vsmem_tEENKUlT_SE_SF_SG_E_clIS8_S8_S9_S9_EESD_ST_SE_SF_SG_EUlST_E_NS1_11comp_targetILNS1_3genE0ELNS1_11target_archE4294967295ELNS1_3gpuE0ELNS1_3repE0EEENS1_48merge_mergepath_partition_config_static_selectorELNS0_4arch9wavefront6targetE1EEEvSF_
	.globl	_ZN7rocprim17ROCPRIM_400000_NS6detail17trampoline_kernelINS0_14default_configENS1_38merge_sort_block_merge_config_selectorIiNS0_10empty_typeEEEZZNS1_27merge_sort_block_merge_implIS3_PiPS5_jNS1_19radix_merge_compareILb0ELb1EiNS0_19identity_decomposerEEEEE10hipError_tT0_T1_T2_jT3_P12ihipStream_tbPNSt15iterator_traitsISE_E10value_typeEPNSK_ISF_E10value_typeEPSG_NS1_7vsmem_tEENKUlT_SE_SF_SG_E_clIS8_S8_S9_S9_EESD_ST_SE_SF_SG_EUlST_E_NS1_11comp_targetILNS1_3genE0ELNS1_11target_archE4294967295ELNS1_3gpuE0ELNS1_3repE0EEENS1_48merge_mergepath_partition_config_static_selectorELNS0_4arch9wavefront6targetE1EEEvSF_
	.p2align	8
	.type	_ZN7rocprim17ROCPRIM_400000_NS6detail17trampoline_kernelINS0_14default_configENS1_38merge_sort_block_merge_config_selectorIiNS0_10empty_typeEEEZZNS1_27merge_sort_block_merge_implIS3_PiPS5_jNS1_19radix_merge_compareILb0ELb1EiNS0_19identity_decomposerEEEEE10hipError_tT0_T1_T2_jT3_P12ihipStream_tbPNSt15iterator_traitsISE_E10value_typeEPNSK_ISF_E10value_typeEPSG_NS1_7vsmem_tEENKUlT_SE_SF_SG_E_clIS8_S8_S9_S9_EESD_ST_SE_SF_SG_EUlST_E_NS1_11comp_targetILNS1_3genE0ELNS1_11target_archE4294967295ELNS1_3gpuE0ELNS1_3repE0EEENS1_48merge_mergepath_partition_config_static_selectorELNS0_4arch9wavefront6targetE1EEEvSF_,@function
_ZN7rocprim17ROCPRIM_400000_NS6detail17trampoline_kernelINS0_14default_configENS1_38merge_sort_block_merge_config_selectorIiNS0_10empty_typeEEEZZNS1_27merge_sort_block_merge_implIS3_PiPS5_jNS1_19radix_merge_compareILb0ELb1EiNS0_19identity_decomposerEEEEE10hipError_tT0_T1_T2_jT3_P12ihipStream_tbPNSt15iterator_traitsISE_E10value_typeEPNSK_ISF_E10value_typeEPSG_NS1_7vsmem_tEENKUlT_SE_SF_SG_E_clIS8_S8_S9_S9_EESD_ST_SE_SF_SG_EUlST_E_NS1_11comp_targetILNS1_3genE0ELNS1_11target_archE4294967295ELNS1_3gpuE0ELNS1_3repE0EEENS1_48merge_mergepath_partition_config_static_selectorELNS0_4arch9wavefront6targetE1EEEvSF_: ; @_ZN7rocprim17ROCPRIM_400000_NS6detail17trampoline_kernelINS0_14default_configENS1_38merge_sort_block_merge_config_selectorIiNS0_10empty_typeEEEZZNS1_27merge_sort_block_merge_implIS3_PiPS5_jNS1_19radix_merge_compareILb0ELb1EiNS0_19identity_decomposerEEEEE10hipError_tT0_T1_T2_jT3_P12ihipStream_tbPNSt15iterator_traitsISE_E10value_typeEPNSK_ISF_E10value_typeEPSG_NS1_7vsmem_tEENKUlT_SE_SF_SG_E_clIS8_S8_S9_S9_EESD_ST_SE_SF_SG_EUlST_E_NS1_11comp_targetILNS1_3genE0ELNS1_11target_archE4294967295ELNS1_3gpuE0ELNS1_3repE0EEENS1_48merge_mergepath_partition_config_static_selectorELNS0_4arch9wavefront6targetE1EEEvSF_
; %bb.0:
	.section	.rodata,"a",@progbits
	.p2align	6, 0x0
	.amdhsa_kernel _ZN7rocprim17ROCPRIM_400000_NS6detail17trampoline_kernelINS0_14default_configENS1_38merge_sort_block_merge_config_selectorIiNS0_10empty_typeEEEZZNS1_27merge_sort_block_merge_implIS3_PiPS5_jNS1_19radix_merge_compareILb0ELb1EiNS0_19identity_decomposerEEEEE10hipError_tT0_T1_T2_jT3_P12ihipStream_tbPNSt15iterator_traitsISE_E10value_typeEPNSK_ISF_E10value_typeEPSG_NS1_7vsmem_tEENKUlT_SE_SF_SG_E_clIS8_S8_S9_S9_EESD_ST_SE_SF_SG_EUlST_E_NS1_11comp_targetILNS1_3genE0ELNS1_11target_archE4294967295ELNS1_3gpuE0ELNS1_3repE0EEENS1_48merge_mergepath_partition_config_static_selectorELNS0_4arch9wavefront6targetE1EEEvSF_
		.amdhsa_group_segment_fixed_size 0
		.amdhsa_private_segment_fixed_size 0
		.amdhsa_kernarg_size 40
		.amdhsa_user_sgpr_count 6
		.amdhsa_user_sgpr_private_segment_buffer 1
		.amdhsa_user_sgpr_dispatch_ptr 0
		.amdhsa_user_sgpr_queue_ptr 0
		.amdhsa_user_sgpr_kernarg_segment_ptr 1
		.amdhsa_user_sgpr_dispatch_id 0
		.amdhsa_user_sgpr_flat_scratch_init 0
		.amdhsa_user_sgpr_kernarg_preload_length 0
		.amdhsa_user_sgpr_kernarg_preload_offset 0
		.amdhsa_user_sgpr_private_segment_size 0
		.amdhsa_uses_dynamic_stack 0
		.amdhsa_system_sgpr_private_segment_wavefront_offset 0
		.amdhsa_system_sgpr_workgroup_id_x 1
		.amdhsa_system_sgpr_workgroup_id_y 0
		.amdhsa_system_sgpr_workgroup_id_z 0
		.amdhsa_system_sgpr_workgroup_info 0
		.amdhsa_system_vgpr_workitem_id 0
		.amdhsa_next_free_vgpr 1
		.amdhsa_next_free_sgpr 0
		.amdhsa_accum_offset 4
		.amdhsa_reserve_vcc 0
		.amdhsa_reserve_flat_scratch 0
		.amdhsa_float_round_mode_32 0
		.amdhsa_float_round_mode_16_64 0
		.amdhsa_float_denorm_mode_32 3
		.amdhsa_float_denorm_mode_16_64 3
		.amdhsa_dx10_clamp 1
		.amdhsa_ieee_mode 1
		.amdhsa_fp16_overflow 0
		.amdhsa_tg_split 0
		.amdhsa_exception_fp_ieee_invalid_op 0
		.amdhsa_exception_fp_denorm_src 0
		.amdhsa_exception_fp_ieee_div_zero 0
		.amdhsa_exception_fp_ieee_overflow 0
		.amdhsa_exception_fp_ieee_underflow 0
		.amdhsa_exception_fp_ieee_inexact 0
		.amdhsa_exception_int_div_zero 0
	.end_amdhsa_kernel
	.section	.text._ZN7rocprim17ROCPRIM_400000_NS6detail17trampoline_kernelINS0_14default_configENS1_38merge_sort_block_merge_config_selectorIiNS0_10empty_typeEEEZZNS1_27merge_sort_block_merge_implIS3_PiPS5_jNS1_19radix_merge_compareILb0ELb1EiNS0_19identity_decomposerEEEEE10hipError_tT0_T1_T2_jT3_P12ihipStream_tbPNSt15iterator_traitsISE_E10value_typeEPNSK_ISF_E10value_typeEPSG_NS1_7vsmem_tEENKUlT_SE_SF_SG_E_clIS8_S8_S9_S9_EESD_ST_SE_SF_SG_EUlST_E_NS1_11comp_targetILNS1_3genE0ELNS1_11target_archE4294967295ELNS1_3gpuE0ELNS1_3repE0EEENS1_48merge_mergepath_partition_config_static_selectorELNS0_4arch9wavefront6targetE1EEEvSF_,"axG",@progbits,_ZN7rocprim17ROCPRIM_400000_NS6detail17trampoline_kernelINS0_14default_configENS1_38merge_sort_block_merge_config_selectorIiNS0_10empty_typeEEEZZNS1_27merge_sort_block_merge_implIS3_PiPS5_jNS1_19radix_merge_compareILb0ELb1EiNS0_19identity_decomposerEEEEE10hipError_tT0_T1_T2_jT3_P12ihipStream_tbPNSt15iterator_traitsISE_E10value_typeEPNSK_ISF_E10value_typeEPSG_NS1_7vsmem_tEENKUlT_SE_SF_SG_E_clIS8_S8_S9_S9_EESD_ST_SE_SF_SG_EUlST_E_NS1_11comp_targetILNS1_3genE0ELNS1_11target_archE4294967295ELNS1_3gpuE0ELNS1_3repE0EEENS1_48merge_mergepath_partition_config_static_selectorELNS0_4arch9wavefront6targetE1EEEvSF_,comdat
.Lfunc_end608:
	.size	_ZN7rocprim17ROCPRIM_400000_NS6detail17trampoline_kernelINS0_14default_configENS1_38merge_sort_block_merge_config_selectorIiNS0_10empty_typeEEEZZNS1_27merge_sort_block_merge_implIS3_PiPS5_jNS1_19radix_merge_compareILb0ELb1EiNS0_19identity_decomposerEEEEE10hipError_tT0_T1_T2_jT3_P12ihipStream_tbPNSt15iterator_traitsISE_E10value_typeEPNSK_ISF_E10value_typeEPSG_NS1_7vsmem_tEENKUlT_SE_SF_SG_E_clIS8_S8_S9_S9_EESD_ST_SE_SF_SG_EUlST_E_NS1_11comp_targetILNS1_3genE0ELNS1_11target_archE4294967295ELNS1_3gpuE0ELNS1_3repE0EEENS1_48merge_mergepath_partition_config_static_selectorELNS0_4arch9wavefront6targetE1EEEvSF_, .Lfunc_end608-_ZN7rocprim17ROCPRIM_400000_NS6detail17trampoline_kernelINS0_14default_configENS1_38merge_sort_block_merge_config_selectorIiNS0_10empty_typeEEEZZNS1_27merge_sort_block_merge_implIS3_PiPS5_jNS1_19radix_merge_compareILb0ELb1EiNS0_19identity_decomposerEEEEE10hipError_tT0_T1_T2_jT3_P12ihipStream_tbPNSt15iterator_traitsISE_E10value_typeEPNSK_ISF_E10value_typeEPSG_NS1_7vsmem_tEENKUlT_SE_SF_SG_E_clIS8_S8_S9_S9_EESD_ST_SE_SF_SG_EUlST_E_NS1_11comp_targetILNS1_3genE0ELNS1_11target_archE4294967295ELNS1_3gpuE0ELNS1_3repE0EEENS1_48merge_mergepath_partition_config_static_selectorELNS0_4arch9wavefront6targetE1EEEvSF_
                                        ; -- End function
	.section	.AMDGPU.csdata,"",@progbits
; Kernel info:
; codeLenInByte = 0
; NumSgprs: 4
; NumVgprs: 0
; NumAgprs: 0
; TotalNumVgprs: 0
; ScratchSize: 0
; MemoryBound: 0
; FloatMode: 240
; IeeeMode: 1
; LDSByteSize: 0 bytes/workgroup (compile time only)
; SGPRBlocks: 0
; VGPRBlocks: 0
; NumSGPRsForWavesPerEU: 4
; NumVGPRsForWavesPerEU: 1
; AccumOffset: 4
; Occupancy: 8
; WaveLimiterHint : 0
; COMPUTE_PGM_RSRC2:SCRATCH_EN: 0
; COMPUTE_PGM_RSRC2:USER_SGPR: 6
; COMPUTE_PGM_RSRC2:TRAP_HANDLER: 0
; COMPUTE_PGM_RSRC2:TGID_X_EN: 1
; COMPUTE_PGM_RSRC2:TGID_Y_EN: 0
; COMPUTE_PGM_RSRC2:TGID_Z_EN: 0
; COMPUTE_PGM_RSRC2:TIDIG_COMP_CNT: 0
; COMPUTE_PGM_RSRC3_GFX90A:ACCUM_OFFSET: 0
; COMPUTE_PGM_RSRC3_GFX90A:TG_SPLIT: 0
	.section	.text._ZN7rocprim17ROCPRIM_400000_NS6detail17trampoline_kernelINS0_14default_configENS1_38merge_sort_block_merge_config_selectorIiNS0_10empty_typeEEEZZNS1_27merge_sort_block_merge_implIS3_PiPS5_jNS1_19radix_merge_compareILb0ELb1EiNS0_19identity_decomposerEEEEE10hipError_tT0_T1_T2_jT3_P12ihipStream_tbPNSt15iterator_traitsISE_E10value_typeEPNSK_ISF_E10value_typeEPSG_NS1_7vsmem_tEENKUlT_SE_SF_SG_E_clIS8_S8_S9_S9_EESD_ST_SE_SF_SG_EUlST_E_NS1_11comp_targetILNS1_3genE10ELNS1_11target_archE1201ELNS1_3gpuE5ELNS1_3repE0EEENS1_48merge_mergepath_partition_config_static_selectorELNS0_4arch9wavefront6targetE1EEEvSF_,"axG",@progbits,_ZN7rocprim17ROCPRIM_400000_NS6detail17trampoline_kernelINS0_14default_configENS1_38merge_sort_block_merge_config_selectorIiNS0_10empty_typeEEEZZNS1_27merge_sort_block_merge_implIS3_PiPS5_jNS1_19radix_merge_compareILb0ELb1EiNS0_19identity_decomposerEEEEE10hipError_tT0_T1_T2_jT3_P12ihipStream_tbPNSt15iterator_traitsISE_E10value_typeEPNSK_ISF_E10value_typeEPSG_NS1_7vsmem_tEENKUlT_SE_SF_SG_E_clIS8_S8_S9_S9_EESD_ST_SE_SF_SG_EUlST_E_NS1_11comp_targetILNS1_3genE10ELNS1_11target_archE1201ELNS1_3gpuE5ELNS1_3repE0EEENS1_48merge_mergepath_partition_config_static_selectorELNS0_4arch9wavefront6targetE1EEEvSF_,comdat
	.protected	_ZN7rocprim17ROCPRIM_400000_NS6detail17trampoline_kernelINS0_14default_configENS1_38merge_sort_block_merge_config_selectorIiNS0_10empty_typeEEEZZNS1_27merge_sort_block_merge_implIS3_PiPS5_jNS1_19radix_merge_compareILb0ELb1EiNS0_19identity_decomposerEEEEE10hipError_tT0_T1_T2_jT3_P12ihipStream_tbPNSt15iterator_traitsISE_E10value_typeEPNSK_ISF_E10value_typeEPSG_NS1_7vsmem_tEENKUlT_SE_SF_SG_E_clIS8_S8_S9_S9_EESD_ST_SE_SF_SG_EUlST_E_NS1_11comp_targetILNS1_3genE10ELNS1_11target_archE1201ELNS1_3gpuE5ELNS1_3repE0EEENS1_48merge_mergepath_partition_config_static_selectorELNS0_4arch9wavefront6targetE1EEEvSF_ ; -- Begin function _ZN7rocprim17ROCPRIM_400000_NS6detail17trampoline_kernelINS0_14default_configENS1_38merge_sort_block_merge_config_selectorIiNS0_10empty_typeEEEZZNS1_27merge_sort_block_merge_implIS3_PiPS5_jNS1_19radix_merge_compareILb0ELb1EiNS0_19identity_decomposerEEEEE10hipError_tT0_T1_T2_jT3_P12ihipStream_tbPNSt15iterator_traitsISE_E10value_typeEPNSK_ISF_E10value_typeEPSG_NS1_7vsmem_tEENKUlT_SE_SF_SG_E_clIS8_S8_S9_S9_EESD_ST_SE_SF_SG_EUlST_E_NS1_11comp_targetILNS1_3genE10ELNS1_11target_archE1201ELNS1_3gpuE5ELNS1_3repE0EEENS1_48merge_mergepath_partition_config_static_selectorELNS0_4arch9wavefront6targetE1EEEvSF_
	.globl	_ZN7rocprim17ROCPRIM_400000_NS6detail17trampoline_kernelINS0_14default_configENS1_38merge_sort_block_merge_config_selectorIiNS0_10empty_typeEEEZZNS1_27merge_sort_block_merge_implIS3_PiPS5_jNS1_19radix_merge_compareILb0ELb1EiNS0_19identity_decomposerEEEEE10hipError_tT0_T1_T2_jT3_P12ihipStream_tbPNSt15iterator_traitsISE_E10value_typeEPNSK_ISF_E10value_typeEPSG_NS1_7vsmem_tEENKUlT_SE_SF_SG_E_clIS8_S8_S9_S9_EESD_ST_SE_SF_SG_EUlST_E_NS1_11comp_targetILNS1_3genE10ELNS1_11target_archE1201ELNS1_3gpuE5ELNS1_3repE0EEENS1_48merge_mergepath_partition_config_static_selectorELNS0_4arch9wavefront6targetE1EEEvSF_
	.p2align	8
	.type	_ZN7rocprim17ROCPRIM_400000_NS6detail17trampoline_kernelINS0_14default_configENS1_38merge_sort_block_merge_config_selectorIiNS0_10empty_typeEEEZZNS1_27merge_sort_block_merge_implIS3_PiPS5_jNS1_19radix_merge_compareILb0ELb1EiNS0_19identity_decomposerEEEEE10hipError_tT0_T1_T2_jT3_P12ihipStream_tbPNSt15iterator_traitsISE_E10value_typeEPNSK_ISF_E10value_typeEPSG_NS1_7vsmem_tEENKUlT_SE_SF_SG_E_clIS8_S8_S9_S9_EESD_ST_SE_SF_SG_EUlST_E_NS1_11comp_targetILNS1_3genE10ELNS1_11target_archE1201ELNS1_3gpuE5ELNS1_3repE0EEENS1_48merge_mergepath_partition_config_static_selectorELNS0_4arch9wavefront6targetE1EEEvSF_,@function
_ZN7rocprim17ROCPRIM_400000_NS6detail17trampoline_kernelINS0_14default_configENS1_38merge_sort_block_merge_config_selectorIiNS0_10empty_typeEEEZZNS1_27merge_sort_block_merge_implIS3_PiPS5_jNS1_19radix_merge_compareILb0ELb1EiNS0_19identity_decomposerEEEEE10hipError_tT0_T1_T2_jT3_P12ihipStream_tbPNSt15iterator_traitsISE_E10value_typeEPNSK_ISF_E10value_typeEPSG_NS1_7vsmem_tEENKUlT_SE_SF_SG_E_clIS8_S8_S9_S9_EESD_ST_SE_SF_SG_EUlST_E_NS1_11comp_targetILNS1_3genE10ELNS1_11target_archE1201ELNS1_3gpuE5ELNS1_3repE0EEENS1_48merge_mergepath_partition_config_static_selectorELNS0_4arch9wavefront6targetE1EEEvSF_: ; @_ZN7rocprim17ROCPRIM_400000_NS6detail17trampoline_kernelINS0_14default_configENS1_38merge_sort_block_merge_config_selectorIiNS0_10empty_typeEEEZZNS1_27merge_sort_block_merge_implIS3_PiPS5_jNS1_19radix_merge_compareILb0ELb1EiNS0_19identity_decomposerEEEEE10hipError_tT0_T1_T2_jT3_P12ihipStream_tbPNSt15iterator_traitsISE_E10value_typeEPNSK_ISF_E10value_typeEPSG_NS1_7vsmem_tEENKUlT_SE_SF_SG_E_clIS8_S8_S9_S9_EESD_ST_SE_SF_SG_EUlST_E_NS1_11comp_targetILNS1_3genE10ELNS1_11target_archE1201ELNS1_3gpuE5ELNS1_3repE0EEENS1_48merge_mergepath_partition_config_static_selectorELNS0_4arch9wavefront6targetE1EEEvSF_
; %bb.0:
	.section	.rodata,"a",@progbits
	.p2align	6, 0x0
	.amdhsa_kernel _ZN7rocprim17ROCPRIM_400000_NS6detail17trampoline_kernelINS0_14default_configENS1_38merge_sort_block_merge_config_selectorIiNS0_10empty_typeEEEZZNS1_27merge_sort_block_merge_implIS3_PiPS5_jNS1_19radix_merge_compareILb0ELb1EiNS0_19identity_decomposerEEEEE10hipError_tT0_T1_T2_jT3_P12ihipStream_tbPNSt15iterator_traitsISE_E10value_typeEPNSK_ISF_E10value_typeEPSG_NS1_7vsmem_tEENKUlT_SE_SF_SG_E_clIS8_S8_S9_S9_EESD_ST_SE_SF_SG_EUlST_E_NS1_11comp_targetILNS1_3genE10ELNS1_11target_archE1201ELNS1_3gpuE5ELNS1_3repE0EEENS1_48merge_mergepath_partition_config_static_selectorELNS0_4arch9wavefront6targetE1EEEvSF_
		.amdhsa_group_segment_fixed_size 0
		.amdhsa_private_segment_fixed_size 0
		.amdhsa_kernarg_size 40
		.amdhsa_user_sgpr_count 6
		.amdhsa_user_sgpr_private_segment_buffer 1
		.amdhsa_user_sgpr_dispatch_ptr 0
		.amdhsa_user_sgpr_queue_ptr 0
		.amdhsa_user_sgpr_kernarg_segment_ptr 1
		.amdhsa_user_sgpr_dispatch_id 0
		.amdhsa_user_sgpr_flat_scratch_init 0
		.amdhsa_user_sgpr_kernarg_preload_length 0
		.amdhsa_user_sgpr_kernarg_preload_offset 0
		.amdhsa_user_sgpr_private_segment_size 0
		.amdhsa_uses_dynamic_stack 0
		.amdhsa_system_sgpr_private_segment_wavefront_offset 0
		.amdhsa_system_sgpr_workgroup_id_x 1
		.amdhsa_system_sgpr_workgroup_id_y 0
		.amdhsa_system_sgpr_workgroup_id_z 0
		.amdhsa_system_sgpr_workgroup_info 0
		.amdhsa_system_vgpr_workitem_id 0
		.amdhsa_next_free_vgpr 1
		.amdhsa_next_free_sgpr 0
		.amdhsa_accum_offset 4
		.amdhsa_reserve_vcc 0
		.amdhsa_reserve_flat_scratch 0
		.amdhsa_float_round_mode_32 0
		.amdhsa_float_round_mode_16_64 0
		.amdhsa_float_denorm_mode_32 3
		.amdhsa_float_denorm_mode_16_64 3
		.amdhsa_dx10_clamp 1
		.amdhsa_ieee_mode 1
		.amdhsa_fp16_overflow 0
		.amdhsa_tg_split 0
		.amdhsa_exception_fp_ieee_invalid_op 0
		.amdhsa_exception_fp_denorm_src 0
		.amdhsa_exception_fp_ieee_div_zero 0
		.amdhsa_exception_fp_ieee_overflow 0
		.amdhsa_exception_fp_ieee_underflow 0
		.amdhsa_exception_fp_ieee_inexact 0
		.amdhsa_exception_int_div_zero 0
	.end_amdhsa_kernel
	.section	.text._ZN7rocprim17ROCPRIM_400000_NS6detail17trampoline_kernelINS0_14default_configENS1_38merge_sort_block_merge_config_selectorIiNS0_10empty_typeEEEZZNS1_27merge_sort_block_merge_implIS3_PiPS5_jNS1_19radix_merge_compareILb0ELb1EiNS0_19identity_decomposerEEEEE10hipError_tT0_T1_T2_jT3_P12ihipStream_tbPNSt15iterator_traitsISE_E10value_typeEPNSK_ISF_E10value_typeEPSG_NS1_7vsmem_tEENKUlT_SE_SF_SG_E_clIS8_S8_S9_S9_EESD_ST_SE_SF_SG_EUlST_E_NS1_11comp_targetILNS1_3genE10ELNS1_11target_archE1201ELNS1_3gpuE5ELNS1_3repE0EEENS1_48merge_mergepath_partition_config_static_selectorELNS0_4arch9wavefront6targetE1EEEvSF_,"axG",@progbits,_ZN7rocprim17ROCPRIM_400000_NS6detail17trampoline_kernelINS0_14default_configENS1_38merge_sort_block_merge_config_selectorIiNS0_10empty_typeEEEZZNS1_27merge_sort_block_merge_implIS3_PiPS5_jNS1_19radix_merge_compareILb0ELb1EiNS0_19identity_decomposerEEEEE10hipError_tT0_T1_T2_jT3_P12ihipStream_tbPNSt15iterator_traitsISE_E10value_typeEPNSK_ISF_E10value_typeEPSG_NS1_7vsmem_tEENKUlT_SE_SF_SG_E_clIS8_S8_S9_S9_EESD_ST_SE_SF_SG_EUlST_E_NS1_11comp_targetILNS1_3genE10ELNS1_11target_archE1201ELNS1_3gpuE5ELNS1_3repE0EEENS1_48merge_mergepath_partition_config_static_selectorELNS0_4arch9wavefront6targetE1EEEvSF_,comdat
.Lfunc_end609:
	.size	_ZN7rocprim17ROCPRIM_400000_NS6detail17trampoline_kernelINS0_14default_configENS1_38merge_sort_block_merge_config_selectorIiNS0_10empty_typeEEEZZNS1_27merge_sort_block_merge_implIS3_PiPS5_jNS1_19radix_merge_compareILb0ELb1EiNS0_19identity_decomposerEEEEE10hipError_tT0_T1_T2_jT3_P12ihipStream_tbPNSt15iterator_traitsISE_E10value_typeEPNSK_ISF_E10value_typeEPSG_NS1_7vsmem_tEENKUlT_SE_SF_SG_E_clIS8_S8_S9_S9_EESD_ST_SE_SF_SG_EUlST_E_NS1_11comp_targetILNS1_3genE10ELNS1_11target_archE1201ELNS1_3gpuE5ELNS1_3repE0EEENS1_48merge_mergepath_partition_config_static_selectorELNS0_4arch9wavefront6targetE1EEEvSF_, .Lfunc_end609-_ZN7rocprim17ROCPRIM_400000_NS6detail17trampoline_kernelINS0_14default_configENS1_38merge_sort_block_merge_config_selectorIiNS0_10empty_typeEEEZZNS1_27merge_sort_block_merge_implIS3_PiPS5_jNS1_19radix_merge_compareILb0ELb1EiNS0_19identity_decomposerEEEEE10hipError_tT0_T1_T2_jT3_P12ihipStream_tbPNSt15iterator_traitsISE_E10value_typeEPNSK_ISF_E10value_typeEPSG_NS1_7vsmem_tEENKUlT_SE_SF_SG_E_clIS8_S8_S9_S9_EESD_ST_SE_SF_SG_EUlST_E_NS1_11comp_targetILNS1_3genE10ELNS1_11target_archE1201ELNS1_3gpuE5ELNS1_3repE0EEENS1_48merge_mergepath_partition_config_static_selectorELNS0_4arch9wavefront6targetE1EEEvSF_
                                        ; -- End function
	.section	.AMDGPU.csdata,"",@progbits
; Kernel info:
; codeLenInByte = 0
; NumSgprs: 4
; NumVgprs: 0
; NumAgprs: 0
; TotalNumVgprs: 0
; ScratchSize: 0
; MemoryBound: 0
; FloatMode: 240
; IeeeMode: 1
; LDSByteSize: 0 bytes/workgroup (compile time only)
; SGPRBlocks: 0
; VGPRBlocks: 0
; NumSGPRsForWavesPerEU: 4
; NumVGPRsForWavesPerEU: 1
; AccumOffset: 4
; Occupancy: 8
; WaveLimiterHint : 0
; COMPUTE_PGM_RSRC2:SCRATCH_EN: 0
; COMPUTE_PGM_RSRC2:USER_SGPR: 6
; COMPUTE_PGM_RSRC2:TRAP_HANDLER: 0
; COMPUTE_PGM_RSRC2:TGID_X_EN: 1
; COMPUTE_PGM_RSRC2:TGID_Y_EN: 0
; COMPUTE_PGM_RSRC2:TGID_Z_EN: 0
; COMPUTE_PGM_RSRC2:TIDIG_COMP_CNT: 0
; COMPUTE_PGM_RSRC3_GFX90A:ACCUM_OFFSET: 0
; COMPUTE_PGM_RSRC3_GFX90A:TG_SPLIT: 0
	.section	.text._ZN7rocprim17ROCPRIM_400000_NS6detail17trampoline_kernelINS0_14default_configENS1_38merge_sort_block_merge_config_selectorIiNS0_10empty_typeEEEZZNS1_27merge_sort_block_merge_implIS3_PiPS5_jNS1_19radix_merge_compareILb0ELb1EiNS0_19identity_decomposerEEEEE10hipError_tT0_T1_T2_jT3_P12ihipStream_tbPNSt15iterator_traitsISE_E10value_typeEPNSK_ISF_E10value_typeEPSG_NS1_7vsmem_tEENKUlT_SE_SF_SG_E_clIS8_S8_S9_S9_EESD_ST_SE_SF_SG_EUlST_E_NS1_11comp_targetILNS1_3genE5ELNS1_11target_archE942ELNS1_3gpuE9ELNS1_3repE0EEENS1_48merge_mergepath_partition_config_static_selectorELNS0_4arch9wavefront6targetE1EEEvSF_,"axG",@progbits,_ZN7rocprim17ROCPRIM_400000_NS6detail17trampoline_kernelINS0_14default_configENS1_38merge_sort_block_merge_config_selectorIiNS0_10empty_typeEEEZZNS1_27merge_sort_block_merge_implIS3_PiPS5_jNS1_19radix_merge_compareILb0ELb1EiNS0_19identity_decomposerEEEEE10hipError_tT0_T1_T2_jT3_P12ihipStream_tbPNSt15iterator_traitsISE_E10value_typeEPNSK_ISF_E10value_typeEPSG_NS1_7vsmem_tEENKUlT_SE_SF_SG_E_clIS8_S8_S9_S9_EESD_ST_SE_SF_SG_EUlST_E_NS1_11comp_targetILNS1_3genE5ELNS1_11target_archE942ELNS1_3gpuE9ELNS1_3repE0EEENS1_48merge_mergepath_partition_config_static_selectorELNS0_4arch9wavefront6targetE1EEEvSF_,comdat
	.protected	_ZN7rocprim17ROCPRIM_400000_NS6detail17trampoline_kernelINS0_14default_configENS1_38merge_sort_block_merge_config_selectorIiNS0_10empty_typeEEEZZNS1_27merge_sort_block_merge_implIS3_PiPS5_jNS1_19radix_merge_compareILb0ELb1EiNS0_19identity_decomposerEEEEE10hipError_tT0_T1_T2_jT3_P12ihipStream_tbPNSt15iterator_traitsISE_E10value_typeEPNSK_ISF_E10value_typeEPSG_NS1_7vsmem_tEENKUlT_SE_SF_SG_E_clIS8_S8_S9_S9_EESD_ST_SE_SF_SG_EUlST_E_NS1_11comp_targetILNS1_3genE5ELNS1_11target_archE942ELNS1_3gpuE9ELNS1_3repE0EEENS1_48merge_mergepath_partition_config_static_selectorELNS0_4arch9wavefront6targetE1EEEvSF_ ; -- Begin function _ZN7rocprim17ROCPRIM_400000_NS6detail17trampoline_kernelINS0_14default_configENS1_38merge_sort_block_merge_config_selectorIiNS0_10empty_typeEEEZZNS1_27merge_sort_block_merge_implIS3_PiPS5_jNS1_19radix_merge_compareILb0ELb1EiNS0_19identity_decomposerEEEEE10hipError_tT0_T1_T2_jT3_P12ihipStream_tbPNSt15iterator_traitsISE_E10value_typeEPNSK_ISF_E10value_typeEPSG_NS1_7vsmem_tEENKUlT_SE_SF_SG_E_clIS8_S8_S9_S9_EESD_ST_SE_SF_SG_EUlST_E_NS1_11comp_targetILNS1_3genE5ELNS1_11target_archE942ELNS1_3gpuE9ELNS1_3repE0EEENS1_48merge_mergepath_partition_config_static_selectorELNS0_4arch9wavefront6targetE1EEEvSF_
	.globl	_ZN7rocprim17ROCPRIM_400000_NS6detail17trampoline_kernelINS0_14default_configENS1_38merge_sort_block_merge_config_selectorIiNS0_10empty_typeEEEZZNS1_27merge_sort_block_merge_implIS3_PiPS5_jNS1_19radix_merge_compareILb0ELb1EiNS0_19identity_decomposerEEEEE10hipError_tT0_T1_T2_jT3_P12ihipStream_tbPNSt15iterator_traitsISE_E10value_typeEPNSK_ISF_E10value_typeEPSG_NS1_7vsmem_tEENKUlT_SE_SF_SG_E_clIS8_S8_S9_S9_EESD_ST_SE_SF_SG_EUlST_E_NS1_11comp_targetILNS1_3genE5ELNS1_11target_archE942ELNS1_3gpuE9ELNS1_3repE0EEENS1_48merge_mergepath_partition_config_static_selectorELNS0_4arch9wavefront6targetE1EEEvSF_
	.p2align	8
	.type	_ZN7rocprim17ROCPRIM_400000_NS6detail17trampoline_kernelINS0_14default_configENS1_38merge_sort_block_merge_config_selectorIiNS0_10empty_typeEEEZZNS1_27merge_sort_block_merge_implIS3_PiPS5_jNS1_19radix_merge_compareILb0ELb1EiNS0_19identity_decomposerEEEEE10hipError_tT0_T1_T2_jT3_P12ihipStream_tbPNSt15iterator_traitsISE_E10value_typeEPNSK_ISF_E10value_typeEPSG_NS1_7vsmem_tEENKUlT_SE_SF_SG_E_clIS8_S8_S9_S9_EESD_ST_SE_SF_SG_EUlST_E_NS1_11comp_targetILNS1_3genE5ELNS1_11target_archE942ELNS1_3gpuE9ELNS1_3repE0EEENS1_48merge_mergepath_partition_config_static_selectorELNS0_4arch9wavefront6targetE1EEEvSF_,@function
_ZN7rocprim17ROCPRIM_400000_NS6detail17trampoline_kernelINS0_14default_configENS1_38merge_sort_block_merge_config_selectorIiNS0_10empty_typeEEEZZNS1_27merge_sort_block_merge_implIS3_PiPS5_jNS1_19radix_merge_compareILb0ELb1EiNS0_19identity_decomposerEEEEE10hipError_tT0_T1_T2_jT3_P12ihipStream_tbPNSt15iterator_traitsISE_E10value_typeEPNSK_ISF_E10value_typeEPSG_NS1_7vsmem_tEENKUlT_SE_SF_SG_E_clIS8_S8_S9_S9_EESD_ST_SE_SF_SG_EUlST_E_NS1_11comp_targetILNS1_3genE5ELNS1_11target_archE942ELNS1_3gpuE9ELNS1_3repE0EEENS1_48merge_mergepath_partition_config_static_selectorELNS0_4arch9wavefront6targetE1EEEvSF_: ; @_ZN7rocprim17ROCPRIM_400000_NS6detail17trampoline_kernelINS0_14default_configENS1_38merge_sort_block_merge_config_selectorIiNS0_10empty_typeEEEZZNS1_27merge_sort_block_merge_implIS3_PiPS5_jNS1_19radix_merge_compareILb0ELb1EiNS0_19identity_decomposerEEEEE10hipError_tT0_T1_T2_jT3_P12ihipStream_tbPNSt15iterator_traitsISE_E10value_typeEPNSK_ISF_E10value_typeEPSG_NS1_7vsmem_tEENKUlT_SE_SF_SG_E_clIS8_S8_S9_S9_EESD_ST_SE_SF_SG_EUlST_E_NS1_11comp_targetILNS1_3genE5ELNS1_11target_archE942ELNS1_3gpuE9ELNS1_3repE0EEENS1_48merge_mergepath_partition_config_static_selectorELNS0_4arch9wavefront6targetE1EEEvSF_
; %bb.0:
	.section	.rodata,"a",@progbits
	.p2align	6, 0x0
	.amdhsa_kernel _ZN7rocprim17ROCPRIM_400000_NS6detail17trampoline_kernelINS0_14default_configENS1_38merge_sort_block_merge_config_selectorIiNS0_10empty_typeEEEZZNS1_27merge_sort_block_merge_implIS3_PiPS5_jNS1_19radix_merge_compareILb0ELb1EiNS0_19identity_decomposerEEEEE10hipError_tT0_T1_T2_jT3_P12ihipStream_tbPNSt15iterator_traitsISE_E10value_typeEPNSK_ISF_E10value_typeEPSG_NS1_7vsmem_tEENKUlT_SE_SF_SG_E_clIS8_S8_S9_S9_EESD_ST_SE_SF_SG_EUlST_E_NS1_11comp_targetILNS1_3genE5ELNS1_11target_archE942ELNS1_3gpuE9ELNS1_3repE0EEENS1_48merge_mergepath_partition_config_static_selectorELNS0_4arch9wavefront6targetE1EEEvSF_
		.amdhsa_group_segment_fixed_size 0
		.amdhsa_private_segment_fixed_size 0
		.amdhsa_kernarg_size 40
		.amdhsa_user_sgpr_count 6
		.amdhsa_user_sgpr_private_segment_buffer 1
		.amdhsa_user_sgpr_dispatch_ptr 0
		.amdhsa_user_sgpr_queue_ptr 0
		.amdhsa_user_sgpr_kernarg_segment_ptr 1
		.amdhsa_user_sgpr_dispatch_id 0
		.amdhsa_user_sgpr_flat_scratch_init 0
		.amdhsa_user_sgpr_kernarg_preload_length 0
		.amdhsa_user_sgpr_kernarg_preload_offset 0
		.amdhsa_user_sgpr_private_segment_size 0
		.amdhsa_uses_dynamic_stack 0
		.amdhsa_system_sgpr_private_segment_wavefront_offset 0
		.amdhsa_system_sgpr_workgroup_id_x 1
		.amdhsa_system_sgpr_workgroup_id_y 0
		.amdhsa_system_sgpr_workgroup_id_z 0
		.amdhsa_system_sgpr_workgroup_info 0
		.amdhsa_system_vgpr_workitem_id 0
		.amdhsa_next_free_vgpr 1
		.amdhsa_next_free_sgpr 0
		.amdhsa_accum_offset 4
		.amdhsa_reserve_vcc 0
		.amdhsa_reserve_flat_scratch 0
		.amdhsa_float_round_mode_32 0
		.amdhsa_float_round_mode_16_64 0
		.amdhsa_float_denorm_mode_32 3
		.amdhsa_float_denorm_mode_16_64 3
		.amdhsa_dx10_clamp 1
		.amdhsa_ieee_mode 1
		.amdhsa_fp16_overflow 0
		.amdhsa_tg_split 0
		.amdhsa_exception_fp_ieee_invalid_op 0
		.amdhsa_exception_fp_denorm_src 0
		.amdhsa_exception_fp_ieee_div_zero 0
		.amdhsa_exception_fp_ieee_overflow 0
		.amdhsa_exception_fp_ieee_underflow 0
		.amdhsa_exception_fp_ieee_inexact 0
		.amdhsa_exception_int_div_zero 0
	.end_amdhsa_kernel
	.section	.text._ZN7rocprim17ROCPRIM_400000_NS6detail17trampoline_kernelINS0_14default_configENS1_38merge_sort_block_merge_config_selectorIiNS0_10empty_typeEEEZZNS1_27merge_sort_block_merge_implIS3_PiPS5_jNS1_19radix_merge_compareILb0ELb1EiNS0_19identity_decomposerEEEEE10hipError_tT0_T1_T2_jT3_P12ihipStream_tbPNSt15iterator_traitsISE_E10value_typeEPNSK_ISF_E10value_typeEPSG_NS1_7vsmem_tEENKUlT_SE_SF_SG_E_clIS8_S8_S9_S9_EESD_ST_SE_SF_SG_EUlST_E_NS1_11comp_targetILNS1_3genE5ELNS1_11target_archE942ELNS1_3gpuE9ELNS1_3repE0EEENS1_48merge_mergepath_partition_config_static_selectorELNS0_4arch9wavefront6targetE1EEEvSF_,"axG",@progbits,_ZN7rocprim17ROCPRIM_400000_NS6detail17trampoline_kernelINS0_14default_configENS1_38merge_sort_block_merge_config_selectorIiNS0_10empty_typeEEEZZNS1_27merge_sort_block_merge_implIS3_PiPS5_jNS1_19radix_merge_compareILb0ELb1EiNS0_19identity_decomposerEEEEE10hipError_tT0_T1_T2_jT3_P12ihipStream_tbPNSt15iterator_traitsISE_E10value_typeEPNSK_ISF_E10value_typeEPSG_NS1_7vsmem_tEENKUlT_SE_SF_SG_E_clIS8_S8_S9_S9_EESD_ST_SE_SF_SG_EUlST_E_NS1_11comp_targetILNS1_3genE5ELNS1_11target_archE942ELNS1_3gpuE9ELNS1_3repE0EEENS1_48merge_mergepath_partition_config_static_selectorELNS0_4arch9wavefront6targetE1EEEvSF_,comdat
.Lfunc_end610:
	.size	_ZN7rocprim17ROCPRIM_400000_NS6detail17trampoline_kernelINS0_14default_configENS1_38merge_sort_block_merge_config_selectorIiNS0_10empty_typeEEEZZNS1_27merge_sort_block_merge_implIS3_PiPS5_jNS1_19radix_merge_compareILb0ELb1EiNS0_19identity_decomposerEEEEE10hipError_tT0_T1_T2_jT3_P12ihipStream_tbPNSt15iterator_traitsISE_E10value_typeEPNSK_ISF_E10value_typeEPSG_NS1_7vsmem_tEENKUlT_SE_SF_SG_E_clIS8_S8_S9_S9_EESD_ST_SE_SF_SG_EUlST_E_NS1_11comp_targetILNS1_3genE5ELNS1_11target_archE942ELNS1_3gpuE9ELNS1_3repE0EEENS1_48merge_mergepath_partition_config_static_selectorELNS0_4arch9wavefront6targetE1EEEvSF_, .Lfunc_end610-_ZN7rocprim17ROCPRIM_400000_NS6detail17trampoline_kernelINS0_14default_configENS1_38merge_sort_block_merge_config_selectorIiNS0_10empty_typeEEEZZNS1_27merge_sort_block_merge_implIS3_PiPS5_jNS1_19radix_merge_compareILb0ELb1EiNS0_19identity_decomposerEEEEE10hipError_tT0_T1_T2_jT3_P12ihipStream_tbPNSt15iterator_traitsISE_E10value_typeEPNSK_ISF_E10value_typeEPSG_NS1_7vsmem_tEENKUlT_SE_SF_SG_E_clIS8_S8_S9_S9_EESD_ST_SE_SF_SG_EUlST_E_NS1_11comp_targetILNS1_3genE5ELNS1_11target_archE942ELNS1_3gpuE9ELNS1_3repE0EEENS1_48merge_mergepath_partition_config_static_selectorELNS0_4arch9wavefront6targetE1EEEvSF_
                                        ; -- End function
	.section	.AMDGPU.csdata,"",@progbits
; Kernel info:
; codeLenInByte = 0
; NumSgprs: 4
; NumVgprs: 0
; NumAgprs: 0
; TotalNumVgprs: 0
; ScratchSize: 0
; MemoryBound: 0
; FloatMode: 240
; IeeeMode: 1
; LDSByteSize: 0 bytes/workgroup (compile time only)
; SGPRBlocks: 0
; VGPRBlocks: 0
; NumSGPRsForWavesPerEU: 4
; NumVGPRsForWavesPerEU: 1
; AccumOffset: 4
; Occupancy: 8
; WaveLimiterHint : 0
; COMPUTE_PGM_RSRC2:SCRATCH_EN: 0
; COMPUTE_PGM_RSRC2:USER_SGPR: 6
; COMPUTE_PGM_RSRC2:TRAP_HANDLER: 0
; COMPUTE_PGM_RSRC2:TGID_X_EN: 1
; COMPUTE_PGM_RSRC2:TGID_Y_EN: 0
; COMPUTE_PGM_RSRC2:TGID_Z_EN: 0
; COMPUTE_PGM_RSRC2:TIDIG_COMP_CNT: 0
; COMPUTE_PGM_RSRC3_GFX90A:ACCUM_OFFSET: 0
; COMPUTE_PGM_RSRC3_GFX90A:TG_SPLIT: 0
	.section	.text._ZN7rocprim17ROCPRIM_400000_NS6detail17trampoline_kernelINS0_14default_configENS1_38merge_sort_block_merge_config_selectorIiNS0_10empty_typeEEEZZNS1_27merge_sort_block_merge_implIS3_PiPS5_jNS1_19radix_merge_compareILb0ELb1EiNS0_19identity_decomposerEEEEE10hipError_tT0_T1_T2_jT3_P12ihipStream_tbPNSt15iterator_traitsISE_E10value_typeEPNSK_ISF_E10value_typeEPSG_NS1_7vsmem_tEENKUlT_SE_SF_SG_E_clIS8_S8_S9_S9_EESD_ST_SE_SF_SG_EUlST_E_NS1_11comp_targetILNS1_3genE4ELNS1_11target_archE910ELNS1_3gpuE8ELNS1_3repE0EEENS1_48merge_mergepath_partition_config_static_selectorELNS0_4arch9wavefront6targetE1EEEvSF_,"axG",@progbits,_ZN7rocprim17ROCPRIM_400000_NS6detail17trampoline_kernelINS0_14default_configENS1_38merge_sort_block_merge_config_selectorIiNS0_10empty_typeEEEZZNS1_27merge_sort_block_merge_implIS3_PiPS5_jNS1_19radix_merge_compareILb0ELb1EiNS0_19identity_decomposerEEEEE10hipError_tT0_T1_T2_jT3_P12ihipStream_tbPNSt15iterator_traitsISE_E10value_typeEPNSK_ISF_E10value_typeEPSG_NS1_7vsmem_tEENKUlT_SE_SF_SG_E_clIS8_S8_S9_S9_EESD_ST_SE_SF_SG_EUlST_E_NS1_11comp_targetILNS1_3genE4ELNS1_11target_archE910ELNS1_3gpuE8ELNS1_3repE0EEENS1_48merge_mergepath_partition_config_static_selectorELNS0_4arch9wavefront6targetE1EEEvSF_,comdat
	.protected	_ZN7rocprim17ROCPRIM_400000_NS6detail17trampoline_kernelINS0_14default_configENS1_38merge_sort_block_merge_config_selectorIiNS0_10empty_typeEEEZZNS1_27merge_sort_block_merge_implIS3_PiPS5_jNS1_19radix_merge_compareILb0ELb1EiNS0_19identity_decomposerEEEEE10hipError_tT0_T1_T2_jT3_P12ihipStream_tbPNSt15iterator_traitsISE_E10value_typeEPNSK_ISF_E10value_typeEPSG_NS1_7vsmem_tEENKUlT_SE_SF_SG_E_clIS8_S8_S9_S9_EESD_ST_SE_SF_SG_EUlST_E_NS1_11comp_targetILNS1_3genE4ELNS1_11target_archE910ELNS1_3gpuE8ELNS1_3repE0EEENS1_48merge_mergepath_partition_config_static_selectorELNS0_4arch9wavefront6targetE1EEEvSF_ ; -- Begin function _ZN7rocprim17ROCPRIM_400000_NS6detail17trampoline_kernelINS0_14default_configENS1_38merge_sort_block_merge_config_selectorIiNS0_10empty_typeEEEZZNS1_27merge_sort_block_merge_implIS3_PiPS5_jNS1_19radix_merge_compareILb0ELb1EiNS0_19identity_decomposerEEEEE10hipError_tT0_T1_T2_jT3_P12ihipStream_tbPNSt15iterator_traitsISE_E10value_typeEPNSK_ISF_E10value_typeEPSG_NS1_7vsmem_tEENKUlT_SE_SF_SG_E_clIS8_S8_S9_S9_EESD_ST_SE_SF_SG_EUlST_E_NS1_11comp_targetILNS1_3genE4ELNS1_11target_archE910ELNS1_3gpuE8ELNS1_3repE0EEENS1_48merge_mergepath_partition_config_static_selectorELNS0_4arch9wavefront6targetE1EEEvSF_
	.globl	_ZN7rocprim17ROCPRIM_400000_NS6detail17trampoline_kernelINS0_14default_configENS1_38merge_sort_block_merge_config_selectorIiNS0_10empty_typeEEEZZNS1_27merge_sort_block_merge_implIS3_PiPS5_jNS1_19radix_merge_compareILb0ELb1EiNS0_19identity_decomposerEEEEE10hipError_tT0_T1_T2_jT3_P12ihipStream_tbPNSt15iterator_traitsISE_E10value_typeEPNSK_ISF_E10value_typeEPSG_NS1_7vsmem_tEENKUlT_SE_SF_SG_E_clIS8_S8_S9_S9_EESD_ST_SE_SF_SG_EUlST_E_NS1_11comp_targetILNS1_3genE4ELNS1_11target_archE910ELNS1_3gpuE8ELNS1_3repE0EEENS1_48merge_mergepath_partition_config_static_selectorELNS0_4arch9wavefront6targetE1EEEvSF_
	.p2align	8
	.type	_ZN7rocprim17ROCPRIM_400000_NS6detail17trampoline_kernelINS0_14default_configENS1_38merge_sort_block_merge_config_selectorIiNS0_10empty_typeEEEZZNS1_27merge_sort_block_merge_implIS3_PiPS5_jNS1_19radix_merge_compareILb0ELb1EiNS0_19identity_decomposerEEEEE10hipError_tT0_T1_T2_jT3_P12ihipStream_tbPNSt15iterator_traitsISE_E10value_typeEPNSK_ISF_E10value_typeEPSG_NS1_7vsmem_tEENKUlT_SE_SF_SG_E_clIS8_S8_S9_S9_EESD_ST_SE_SF_SG_EUlST_E_NS1_11comp_targetILNS1_3genE4ELNS1_11target_archE910ELNS1_3gpuE8ELNS1_3repE0EEENS1_48merge_mergepath_partition_config_static_selectorELNS0_4arch9wavefront6targetE1EEEvSF_,@function
_ZN7rocprim17ROCPRIM_400000_NS6detail17trampoline_kernelINS0_14default_configENS1_38merge_sort_block_merge_config_selectorIiNS0_10empty_typeEEEZZNS1_27merge_sort_block_merge_implIS3_PiPS5_jNS1_19radix_merge_compareILb0ELb1EiNS0_19identity_decomposerEEEEE10hipError_tT0_T1_T2_jT3_P12ihipStream_tbPNSt15iterator_traitsISE_E10value_typeEPNSK_ISF_E10value_typeEPSG_NS1_7vsmem_tEENKUlT_SE_SF_SG_E_clIS8_S8_S9_S9_EESD_ST_SE_SF_SG_EUlST_E_NS1_11comp_targetILNS1_3genE4ELNS1_11target_archE910ELNS1_3gpuE8ELNS1_3repE0EEENS1_48merge_mergepath_partition_config_static_selectorELNS0_4arch9wavefront6targetE1EEEvSF_: ; @_ZN7rocprim17ROCPRIM_400000_NS6detail17trampoline_kernelINS0_14default_configENS1_38merge_sort_block_merge_config_selectorIiNS0_10empty_typeEEEZZNS1_27merge_sort_block_merge_implIS3_PiPS5_jNS1_19radix_merge_compareILb0ELb1EiNS0_19identity_decomposerEEEEE10hipError_tT0_T1_T2_jT3_P12ihipStream_tbPNSt15iterator_traitsISE_E10value_typeEPNSK_ISF_E10value_typeEPSG_NS1_7vsmem_tEENKUlT_SE_SF_SG_E_clIS8_S8_S9_S9_EESD_ST_SE_SF_SG_EUlST_E_NS1_11comp_targetILNS1_3genE4ELNS1_11target_archE910ELNS1_3gpuE8ELNS1_3repE0EEENS1_48merge_mergepath_partition_config_static_selectorELNS0_4arch9wavefront6targetE1EEEvSF_
; %bb.0:
	s_load_dword s0, s[4:5], 0x0
	v_lshl_or_b32 v0, s6, 7, v0
	s_waitcnt lgkmcnt(0)
	v_cmp_gt_u32_e32 vcc, s0, v0
	s_and_saveexec_b64 s[0:1], vcc
	s_cbranch_execz .LBB611_6
; %bb.1:
	s_load_dwordx2 s[2:3], s[4:5], 0x4
	s_load_dwordx2 s[0:1], s[4:5], 0x20
	s_waitcnt lgkmcnt(0)
	s_lshr_b32 s6, s2, 9
	s_and_b32 s6, s6, 0x7ffffe
	s_add_i32 s7, s6, -1
	s_sub_i32 s6, 0, s6
	v_and_b32_e32 v1, s6, v0
	v_lshlrev_b32_e32 v1, 10, v1
	v_min_u32_e32 v2, s3, v1
	v_add_u32_e32 v1, s2, v1
	v_min_u32_e32 v4, s3, v1
	v_add_u32_e32 v1, s2, v4
	v_and_b32_e32 v3, s7, v0
	v_min_u32_e32 v1, s3, v1
	v_sub_u32_e32 v5, v1, v2
	v_lshlrev_b32_e32 v3, 10, v3
	v_min_u32_e32 v6, v5, v3
	v_sub_u32_e32 v3, v4, v2
	v_sub_u32_e32 v1, v1, v4
	v_sub_u32_e64 v1, v6, v1 clamp
	v_min_u32_e32 v7, v6, v3
	v_cmp_lt_u32_e32 vcc, v1, v7
	s_and_saveexec_b64 s[2:3], vcc
	s_cbranch_execz .LBB611_5
; %bb.2:
	s_load_dwordx2 s[8:9], s[4:5], 0x10
	s_load_dword s6, s[4:5], 0x18
	v_mov_b32_e32 v5, 0
	v_mov_b32_e32 v3, v5
	v_lshlrev_b64 v[8:9], 2, v[2:3]
	s_waitcnt lgkmcnt(0)
	v_mov_b32_e32 v12, s9
	v_add_co_u32_e32 v3, vcc, s8, v8
	v_addc_co_u32_e32 v8, vcc, v12, v9, vcc
	v_lshlrev_b64 v[10:11], 2, v[4:5]
	v_add_co_u32_e32 v9, vcc, s8, v10
	v_addc_co_u32_e32 v10, vcc, v12, v11, vcc
	s_mov_b64 s[4:5], 0
.LBB611_3:                              ; =>This Inner Loop Header: Depth=1
	v_add_u32_e32 v4, v7, v1
	v_lshrrev_b32_e32 v4, 1, v4
	v_lshlrev_b64 v[14:15], 2, v[4:5]
	v_mov_b32_e32 v13, v5
	v_xad_u32 v12, v4, -1, v6
	v_add_co_u32_e32 v14, vcc, v3, v14
	v_addc_co_u32_e32 v15, vcc, v8, v15, vcc
	v_lshlrev_b64 v[12:13], 2, v[12:13]
	v_add_co_u32_e32 v12, vcc, v9, v12
	v_addc_co_u32_e32 v13, vcc, v10, v13, vcc
	global_load_dword v11, v[14:15], off
	global_load_dword v16, v[12:13], off
	v_add_u32_e32 v12, 1, v4
	s_waitcnt vmcnt(1)
	v_and_b32_e32 v11, s6, v11
	s_waitcnt vmcnt(0)
	v_and_b32_e32 v13, s6, v16
	v_cmp_gt_i32_e32 vcc, v11, v13
	v_cndmask_b32_e32 v7, v7, v4, vcc
	v_cndmask_b32_e32 v1, v12, v1, vcc
	v_cmp_ge_u32_e32 vcc, v1, v7
	s_or_b64 s[4:5], vcc, s[4:5]
	s_andn2_b64 exec, exec, s[4:5]
	s_cbranch_execnz .LBB611_3
; %bb.4:
	s_or_b64 exec, exec, s[4:5]
.LBB611_5:
	s_or_b64 exec, exec, s[2:3]
	v_add_u32_e32 v2, v1, v2
	v_mov_b32_e32 v1, 0
	v_lshlrev_b64 v[0:1], 2, v[0:1]
	v_mov_b32_e32 v3, s1
	v_add_co_u32_e32 v0, vcc, s0, v0
	v_addc_co_u32_e32 v1, vcc, v3, v1, vcc
	global_store_dword v[0:1], v2, off
.LBB611_6:
	s_endpgm
	.section	.rodata,"a",@progbits
	.p2align	6, 0x0
	.amdhsa_kernel _ZN7rocprim17ROCPRIM_400000_NS6detail17trampoline_kernelINS0_14default_configENS1_38merge_sort_block_merge_config_selectorIiNS0_10empty_typeEEEZZNS1_27merge_sort_block_merge_implIS3_PiPS5_jNS1_19radix_merge_compareILb0ELb1EiNS0_19identity_decomposerEEEEE10hipError_tT0_T1_T2_jT3_P12ihipStream_tbPNSt15iterator_traitsISE_E10value_typeEPNSK_ISF_E10value_typeEPSG_NS1_7vsmem_tEENKUlT_SE_SF_SG_E_clIS8_S8_S9_S9_EESD_ST_SE_SF_SG_EUlST_E_NS1_11comp_targetILNS1_3genE4ELNS1_11target_archE910ELNS1_3gpuE8ELNS1_3repE0EEENS1_48merge_mergepath_partition_config_static_selectorELNS0_4arch9wavefront6targetE1EEEvSF_
		.amdhsa_group_segment_fixed_size 0
		.amdhsa_private_segment_fixed_size 0
		.amdhsa_kernarg_size 40
		.amdhsa_user_sgpr_count 6
		.amdhsa_user_sgpr_private_segment_buffer 1
		.amdhsa_user_sgpr_dispatch_ptr 0
		.amdhsa_user_sgpr_queue_ptr 0
		.amdhsa_user_sgpr_kernarg_segment_ptr 1
		.amdhsa_user_sgpr_dispatch_id 0
		.amdhsa_user_sgpr_flat_scratch_init 0
		.amdhsa_user_sgpr_kernarg_preload_length 0
		.amdhsa_user_sgpr_kernarg_preload_offset 0
		.amdhsa_user_sgpr_private_segment_size 0
		.amdhsa_uses_dynamic_stack 0
		.amdhsa_system_sgpr_private_segment_wavefront_offset 0
		.amdhsa_system_sgpr_workgroup_id_x 1
		.amdhsa_system_sgpr_workgroup_id_y 0
		.amdhsa_system_sgpr_workgroup_id_z 0
		.amdhsa_system_sgpr_workgroup_info 0
		.amdhsa_system_vgpr_workitem_id 0
		.amdhsa_next_free_vgpr 17
		.amdhsa_next_free_sgpr 10
		.amdhsa_accum_offset 20
		.amdhsa_reserve_vcc 1
		.amdhsa_reserve_flat_scratch 0
		.amdhsa_float_round_mode_32 0
		.amdhsa_float_round_mode_16_64 0
		.amdhsa_float_denorm_mode_32 3
		.amdhsa_float_denorm_mode_16_64 3
		.amdhsa_dx10_clamp 1
		.amdhsa_ieee_mode 1
		.amdhsa_fp16_overflow 0
		.amdhsa_tg_split 0
		.amdhsa_exception_fp_ieee_invalid_op 0
		.amdhsa_exception_fp_denorm_src 0
		.amdhsa_exception_fp_ieee_div_zero 0
		.amdhsa_exception_fp_ieee_overflow 0
		.amdhsa_exception_fp_ieee_underflow 0
		.amdhsa_exception_fp_ieee_inexact 0
		.amdhsa_exception_int_div_zero 0
	.end_amdhsa_kernel
	.section	.text._ZN7rocprim17ROCPRIM_400000_NS6detail17trampoline_kernelINS0_14default_configENS1_38merge_sort_block_merge_config_selectorIiNS0_10empty_typeEEEZZNS1_27merge_sort_block_merge_implIS3_PiPS5_jNS1_19radix_merge_compareILb0ELb1EiNS0_19identity_decomposerEEEEE10hipError_tT0_T1_T2_jT3_P12ihipStream_tbPNSt15iterator_traitsISE_E10value_typeEPNSK_ISF_E10value_typeEPSG_NS1_7vsmem_tEENKUlT_SE_SF_SG_E_clIS8_S8_S9_S9_EESD_ST_SE_SF_SG_EUlST_E_NS1_11comp_targetILNS1_3genE4ELNS1_11target_archE910ELNS1_3gpuE8ELNS1_3repE0EEENS1_48merge_mergepath_partition_config_static_selectorELNS0_4arch9wavefront6targetE1EEEvSF_,"axG",@progbits,_ZN7rocprim17ROCPRIM_400000_NS6detail17trampoline_kernelINS0_14default_configENS1_38merge_sort_block_merge_config_selectorIiNS0_10empty_typeEEEZZNS1_27merge_sort_block_merge_implIS3_PiPS5_jNS1_19radix_merge_compareILb0ELb1EiNS0_19identity_decomposerEEEEE10hipError_tT0_T1_T2_jT3_P12ihipStream_tbPNSt15iterator_traitsISE_E10value_typeEPNSK_ISF_E10value_typeEPSG_NS1_7vsmem_tEENKUlT_SE_SF_SG_E_clIS8_S8_S9_S9_EESD_ST_SE_SF_SG_EUlST_E_NS1_11comp_targetILNS1_3genE4ELNS1_11target_archE910ELNS1_3gpuE8ELNS1_3repE0EEENS1_48merge_mergepath_partition_config_static_selectorELNS0_4arch9wavefront6targetE1EEEvSF_,comdat
.Lfunc_end611:
	.size	_ZN7rocprim17ROCPRIM_400000_NS6detail17trampoline_kernelINS0_14default_configENS1_38merge_sort_block_merge_config_selectorIiNS0_10empty_typeEEEZZNS1_27merge_sort_block_merge_implIS3_PiPS5_jNS1_19radix_merge_compareILb0ELb1EiNS0_19identity_decomposerEEEEE10hipError_tT0_T1_T2_jT3_P12ihipStream_tbPNSt15iterator_traitsISE_E10value_typeEPNSK_ISF_E10value_typeEPSG_NS1_7vsmem_tEENKUlT_SE_SF_SG_E_clIS8_S8_S9_S9_EESD_ST_SE_SF_SG_EUlST_E_NS1_11comp_targetILNS1_3genE4ELNS1_11target_archE910ELNS1_3gpuE8ELNS1_3repE0EEENS1_48merge_mergepath_partition_config_static_selectorELNS0_4arch9wavefront6targetE1EEEvSF_, .Lfunc_end611-_ZN7rocprim17ROCPRIM_400000_NS6detail17trampoline_kernelINS0_14default_configENS1_38merge_sort_block_merge_config_selectorIiNS0_10empty_typeEEEZZNS1_27merge_sort_block_merge_implIS3_PiPS5_jNS1_19radix_merge_compareILb0ELb1EiNS0_19identity_decomposerEEEEE10hipError_tT0_T1_T2_jT3_P12ihipStream_tbPNSt15iterator_traitsISE_E10value_typeEPNSK_ISF_E10value_typeEPSG_NS1_7vsmem_tEENKUlT_SE_SF_SG_E_clIS8_S8_S9_S9_EESD_ST_SE_SF_SG_EUlST_E_NS1_11comp_targetILNS1_3genE4ELNS1_11target_archE910ELNS1_3gpuE8ELNS1_3repE0EEENS1_48merge_mergepath_partition_config_static_selectorELNS0_4arch9wavefront6targetE1EEEvSF_
                                        ; -- End function
	.section	.AMDGPU.csdata,"",@progbits
; Kernel info:
; codeLenInByte = 380
; NumSgprs: 14
; NumVgprs: 17
; NumAgprs: 0
; TotalNumVgprs: 17
; ScratchSize: 0
; MemoryBound: 0
; FloatMode: 240
; IeeeMode: 1
; LDSByteSize: 0 bytes/workgroup (compile time only)
; SGPRBlocks: 1
; VGPRBlocks: 2
; NumSGPRsForWavesPerEU: 14
; NumVGPRsForWavesPerEU: 17
; AccumOffset: 20
; Occupancy: 8
; WaveLimiterHint : 0
; COMPUTE_PGM_RSRC2:SCRATCH_EN: 0
; COMPUTE_PGM_RSRC2:USER_SGPR: 6
; COMPUTE_PGM_RSRC2:TRAP_HANDLER: 0
; COMPUTE_PGM_RSRC2:TGID_X_EN: 1
; COMPUTE_PGM_RSRC2:TGID_Y_EN: 0
; COMPUTE_PGM_RSRC2:TGID_Z_EN: 0
; COMPUTE_PGM_RSRC2:TIDIG_COMP_CNT: 0
; COMPUTE_PGM_RSRC3_GFX90A:ACCUM_OFFSET: 4
; COMPUTE_PGM_RSRC3_GFX90A:TG_SPLIT: 0
	.section	.text._ZN7rocprim17ROCPRIM_400000_NS6detail17trampoline_kernelINS0_14default_configENS1_38merge_sort_block_merge_config_selectorIiNS0_10empty_typeEEEZZNS1_27merge_sort_block_merge_implIS3_PiPS5_jNS1_19radix_merge_compareILb0ELb1EiNS0_19identity_decomposerEEEEE10hipError_tT0_T1_T2_jT3_P12ihipStream_tbPNSt15iterator_traitsISE_E10value_typeEPNSK_ISF_E10value_typeEPSG_NS1_7vsmem_tEENKUlT_SE_SF_SG_E_clIS8_S8_S9_S9_EESD_ST_SE_SF_SG_EUlST_E_NS1_11comp_targetILNS1_3genE3ELNS1_11target_archE908ELNS1_3gpuE7ELNS1_3repE0EEENS1_48merge_mergepath_partition_config_static_selectorELNS0_4arch9wavefront6targetE1EEEvSF_,"axG",@progbits,_ZN7rocprim17ROCPRIM_400000_NS6detail17trampoline_kernelINS0_14default_configENS1_38merge_sort_block_merge_config_selectorIiNS0_10empty_typeEEEZZNS1_27merge_sort_block_merge_implIS3_PiPS5_jNS1_19radix_merge_compareILb0ELb1EiNS0_19identity_decomposerEEEEE10hipError_tT0_T1_T2_jT3_P12ihipStream_tbPNSt15iterator_traitsISE_E10value_typeEPNSK_ISF_E10value_typeEPSG_NS1_7vsmem_tEENKUlT_SE_SF_SG_E_clIS8_S8_S9_S9_EESD_ST_SE_SF_SG_EUlST_E_NS1_11comp_targetILNS1_3genE3ELNS1_11target_archE908ELNS1_3gpuE7ELNS1_3repE0EEENS1_48merge_mergepath_partition_config_static_selectorELNS0_4arch9wavefront6targetE1EEEvSF_,comdat
	.protected	_ZN7rocprim17ROCPRIM_400000_NS6detail17trampoline_kernelINS0_14default_configENS1_38merge_sort_block_merge_config_selectorIiNS0_10empty_typeEEEZZNS1_27merge_sort_block_merge_implIS3_PiPS5_jNS1_19radix_merge_compareILb0ELb1EiNS0_19identity_decomposerEEEEE10hipError_tT0_T1_T2_jT3_P12ihipStream_tbPNSt15iterator_traitsISE_E10value_typeEPNSK_ISF_E10value_typeEPSG_NS1_7vsmem_tEENKUlT_SE_SF_SG_E_clIS8_S8_S9_S9_EESD_ST_SE_SF_SG_EUlST_E_NS1_11comp_targetILNS1_3genE3ELNS1_11target_archE908ELNS1_3gpuE7ELNS1_3repE0EEENS1_48merge_mergepath_partition_config_static_selectorELNS0_4arch9wavefront6targetE1EEEvSF_ ; -- Begin function _ZN7rocprim17ROCPRIM_400000_NS6detail17trampoline_kernelINS0_14default_configENS1_38merge_sort_block_merge_config_selectorIiNS0_10empty_typeEEEZZNS1_27merge_sort_block_merge_implIS3_PiPS5_jNS1_19radix_merge_compareILb0ELb1EiNS0_19identity_decomposerEEEEE10hipError_tT0_T1_T2_jT3_P12ihipStream_tbPNSt15iterator_traitsISE_E10value_typeEPNSK_ISF_E10value_typeEPSG_NS1_7vsmem_tEENKUlT_SE_SF_SG_E_clIS8_S8_S9_S9_EESD_ST_SE_SF_SG_EUlST_E_NS1_11comp_targetILNS1_3genE3ELNS1_11target_archE908ELNS1_3gpuE7ELNS1_3repE0EEENS1_48merge_mergepath_partition_config_static_selectorELNS0_4arch9wavefront6targetE1EEEvSF_
	.globl	_ZN7rocprim17ROCPRIM_400000_NS6detail17trampoline_kernelINS0_14default_configENS1_38merge_sort_block_merge_config_selectorIiNS0_10empty_typeEEEZZNS1_27merge_sort_block_merge_implIS3_PiPS5_jNS1_19radix_merge_compareILb0ELb1EiNS0_19identity_decomposerEEEEE10hipError_tT0_T1_T2_jT3_P12ihipStream_tbPNSt15iterator_traitsISE_E10value_typeEPNSK_ISF_E10value_typeEPSG_NS1_7vsmem_tEENKUlT_SE_SF_SG_E_clIS8_S8_S9_S9_EESD_ST_SE_SF_SG_EUlST_E_NS1_11comp_targetILNS1_3genE3ELNS1_11target_archE908ELNS1_3gpuE7ELNS1_3repE0EEENS1_48merge_mergepath_partition_config_static_selectorELNS0_4arch9wavefront6targetE1EEEvSF_
	.p2align	8
	.type	_ZN7rocprim17ROCPRIM_400000_NS6detail17trampoline_kernelINS0_14default_configENS1_38merge_sort_block_merge_config_selectorIiNS0_10empty_typeEEEZZNS1_27merge_sort_block_merge_implIS3_PiPS5_jNS1_19radix_merge_compareILb0ELb1EiNS0_19identity_decomposerEEEEE10hipError_tT0_T1_T2_jT3_P12ihipStream_tbPNSt15iterator_traitsISE_E10value_typeEPNSK_ISF_E10value_typeEPSG_NS1_7vsmem_tEENKUlT_SE_SF_SG_E_clIS8_S8_S9_S9_EESD_ST_SE_SF_SG_EUlST_E_NS1_11comp_targetILNS1_3genE3ELNS1_11target_archE908ELNS1_3gpuE7ELNS1_3repE0EEENS1_48merge_mergepath_partition_config_static_selectorELNS0_4arch9wavefront6targetE1EEEvSF_,@function
_ZN7rocprim17ROCPRIM_400000_NS6detail17trampoline_kernelINS0_14default_configENS1_38merge_sort_block_merge_config_selectorIiNS0_10empty_typeEEEZZNS1_27merge_sort_block_merge_implIS3_PiPS5_jNS1_19radix_merge_compareILb0ELb1EiNS0_19identity_decomposerEEEEE10hipError_tT0_T1_T2_jT3_P12ihipStream_tbPNSt15iterator_traitsISE_E10value_typeEPNSK_ISF_E10value_typeEPSG_NS1_7vsmem_tEENKUlT_SE_SF_SG_E_clIS8_S8_S9_S9_EESD_ST_SE_SF_SG_EUlST_E_NS1_11comp_targetILNS1_3genE3ELNS1_11target_archE908ELNS1_3gpuE7ELNS1_3repE0EEENS1_48merge_mergepath_partition_config_static_selectorELNS0_4arch9wavefront6targetE1EEEvSF_: ; @_ZN7rocprim17ROCPRIM_400000_NS6detail17trampoline_kernelINS0_14default_configENS1_38merge_sort_block_merge_config_selectorIiNS0_10empty_typeEEEZZNS1_27merge_sort_block_merge_implIS3_PiPS5_jNS1_19radix_merge_compareILb0ELb1EiNS0_19identity_decomposerEEEEE10hipError_tT0_T1_T2_jT3_P12ihipStream_tbPNSt15iterator_traitsISE_E10value_typeEPNSK_ISF_E10value_typeEPSG_NS1_7vsmem_tEENKUlT_SE_SF_SG_E_clIS8_S8_S9_S9_EESD_ST_SE_SF_SG_EUlST_E_NS1_11comp_targetILNS1_3genE3ELNS1_11target_archE908ELNS1_3gpuE7ELNS1_3repE0EEENS1_48merge_mergepath_partition_config_static_selectorELNS0_4arch9wavefront6targetE1EEEvSF_
; %bb.0:
	.section	.rodata,"a",@progbits
	.p2align	6, 0x0
	.amdhsa_kernel _ZN7rocprim17ROCPRIM_400000_NS6detail17trampoline_kernelINS0_14default_configENS1_38merge_sort_block_merge_config_selectorIiNS0_10empty_typeEEEZZNS1_27merge_sort_block_merge_implIS3_PiPS5_jNS1_19radix_merge_compareILb0ELb1EiNS0_19identity_decomposerEEEEE10hipError_tT0_T1_T2_jT3_P12ihipStream_tbPNSt15iterator_traitsISE_E10value_typeEPNSK_ISF_E10value_typeEPSG_NS1_7vsmem_tEENKUlT_SE_SF_SG_E_clIS8_S8_S9_S9_EESD_ST_SE_SF_SG_EUlST_E_NS1_11comp_targetILNS1_3genE3ELNS1_11target_archE908ELNS1_3gpuE7ELNS1_3repE0EEENS1_48merge_mergepath_partition_config_static_selectorELNS0_4arch9wavefront6targetE1EEEvSF_
		.amdhsa_group_segment_fixed_size 0
		.amdhsa_private_segment_fixed_size 0
		.amdhsa_kernarg_size 40
		.amdhsa_user_sgpr_count 6
		.amdhsa_user_sgpr_private_segment_buffer 1
		.amdhsa_user_sgpr_dispatch_ptr 0
		.amdhsa_user_sgpr_queue_ptr 0
		.amdhsa_user_sgpr_kernarg_segment_ptr 1
		.amdhsa_user_sgpr_dispatch_id 0
		.amdhsa_user_sgpr_flat_scratch_init 0
		.amdhsa_user_sgpr_kernarg_preload_length 0
		.amdhsa_user_sgpr_kernarg_preload_offset 0
		.amdhsa_user_sgpr_private_segment_size 0
		.amdhsa_uses_dynamic_stack 0
		.amdhsa_system_sgpr_private_segment_wavefront_offset 0
		.amdhsa_system_sgpr_workgroup_id_x 1
		.amdhsa_system_sgpr_workgroup_id_y 0
		.amdhsa_system_sgpr_workgroup_id_z 0
		.amdhsa_system_sgpr_workgroup_info 0
		.amdhsa_system_vgpr_workitem_id 0
		.amdhsa_next_free_vgpr 1
		.amdhsa_next_free_sgpr 0
		.amdhsa_accum_offset 4
		.amdhsa_reserve_vcc 0
		.amdhsa_reserve_flat_scratch 0
		.amdhsa_float_round_mode_32 0
		.amdhsa_float_round_mode_16_64 0
		.amdhsa_float_denorm_mode_32 3
		.amdhsa_float_denorm_mode_16_64 3
		.amdhsa_dx10_clamp 1
		.amdhsa_ieee_mode 1
		.amdhsa_fp16_overflow 0
		.amdhsa_tg_split 0
		.amdhsa_exception_fp_ieee_invalid_op 0
		.amdhsa_exception_fp_denorm_src 0
		.amdhsa_exception_fp_ieee_div_zero 0
		.amdhsa_exception_fp_ieee_overflow 0
		.amdhsa_exception_fp_ieee_underflow 0
		.amdhsa_exception_fp_ieee_inexact 0
		.amdhsa_exception_int_div_zero 0
	.end_amdhsa_kernel
	.section	.text._ZN7rocprim17ROCPRIM_400000_NS6detail17trampoline_kernelINS0_14default_configENS1_38merge_sort_block_merge_config_selectorIiNS0_10empty_typeEEEZZNS1_27merge_sort_block_merge_implIS3_PiPS5_jNS1_19radix_merge_compareILb0ELb1EiNS0_19identity_decomposerEEEEE10hipError_tT0_T1_T2_jT3_P12ihipStream_tbPNSt15iterator_traitsISE_E10value_typeEPNSK_ISF_E10value_typeEPSG_NS1_7vsmem_tEENKUlT_SE_SF_SG_E_clIS8_S8_S9_S9_EESD_ST_SE_SF_SG_EUlST_E_NS1_11comp_targetILNS1_3genE3ELNS1_11target_archE908ELNS1_3gpuE7ELNS1_3repE0EEENS1_48merge_mergepath_partition_config_static_selectorELNS0_4arch9wavefront6targetE1EEEvSF_,"axG",@progbits,_ZN7rocprim17ROCPRIM_400000_NS6detail17trampoline_kernelINS0_14default_configENS1_38merge_sort_block_merge_config_selectorIiNS0_10empty_typeEEEZZNS1_27merge_sort_block_merge_implIS3_PiPS5_jNS1_19radix_merge_compareILb0ELb1EiNS0_19identity_decomposerEEEEE10hipError_tT0_T1_T2_jT3_P12ihipStream_tbPNSt15iterator_traitsISE_E10value_typeEPNSK_ISF_E10value_typeEPSG_NS1_7vsmem_tEENKUlT_SE_SF_SG_E_clIS8_S8_S9_S9_EESD_ST_SE_SF_SG_EUlST_E_NS1_11comp_targetILNS1_3genE3ELNS1_11target_archE908ELNS1_3gpuE7ELNS1_3repE0EEENS1_48merge_mergepath_partition_config_static_selectorELNS0_4arch9wavefront6targetE1EEEvSF_,comdat
.Lfunc_end612:
	.size	_ZN7rocprim17ROCPRIM_400000_NS6detail17trampoline_kernelINS0_14default_configENS1_38merge_sort_block_merge_config_selectorIiNS0_10empty_typeEEEZZNS1_27merge_sort_block_merge_implIS3_PiPS5_jNS1_19radix_merge_compareILb0ELb1EiNS0_19identity_decomposerEEEEE10hipError_tT0_T1_T2_jT3_P12ihipStream_tbPNSt15iterator_traitsISE_E10value_typeEPNSK_ISF_E10value_typeEPSG_NS1_7vsmem_tEENKUlT_SE_SF_SG_E_clIS8_S8_S9_S9_EESD_ST_SE_SF_SG_EUlST_E_NS1_11comp_targetILNS1_3genE3ELNS1_11target_archE908ELNS1_3gpuE7ELNS1_3repE0EEENS1_48merge_mergepath_partition_config_static_selectorELNS0_4arch9wavefront6targetE1EEEvSF_, .Lfunc_end612-_ZN7rocprim17ROCPRIM_400000_NS6detail17trampoline_kernelINS0_14default_configENS1_38merge_sort_block_merge_config_selectorIiNS0_10empty_typeEEEZZNS1_27merge_sort_block_merge_implIS3_PiPS5_jNS1_19radix_merge_compareILb0ELb1EiNS0_19identity_decomposerEEEEE10hipError_tT0_T1_T2_jT3_P12ihipStream_tbPNSt15iterator_traitsISE_E10value_typeEPNSK_ISF_E10value_typeEPSG_NS1_7vsmem_tEENKUlT_SE_SF_SG_E_clIS8_S8_S9_S9_EESD_ST_SE_SF_SG_EUlST_E_NS1_11comp_targetILNS1_3genE3ELNS1_11target_archE908ELNS1_3gpuE7ELNS1_3repE0EEENS1_48merge_mergepath_partition_config_static_selectorELNS0_4arch9wavefront6targetE1EEEvSF_
                                        ; -- End function
	.section	.AMDGPU.csdata,"",@progbits
; Kernel info:
; codeLenInByte = 0
; NumSgprs: 4
; NumVgprs: 0
; NumAgprs: 0
; TotalNumVgprs: 0
; ScratchSize: 0
; MemoryBound: 0
; FloatMode: 240
; IeeeMode: 1
; LDSByteSize: 0 bytes/workgroup (compile time only)
; SGPRBlocks: 0
; VGPRBlocks: 0
; NumSGPRsForWavesPerEU: 4
; NumVGPRsForWavesPerEU: 1
; AccumOffset: 4
; Occupancy: 8
; WaveLimiterHint : 0
; COMPUTE_PGM_RSRC2:SCRATCH_EN: 0
; COMPUTE_PGM_RSRC2:USER_SGPR: 6
; COMPUTE_PGM_RSRC2:TRAP_HANDLER: 0
; COMPUTE_PGM_RSRC2:TGID_X_EN: 1
; COMPUTE_PGM_RSRC2:TGID_Y_EN: 0
; COMPUTE_PGM_RSRC2:TGID_Z_EN: 0
; COMPUTE_PGM_RSRC2:TIDIG_COMP_CNT: 0
; COMPUTE_PGM_RSRC3_GFX90A:ACCUM_OFFSET: 0
; COMPUTE_PGM_RSRC3_GFX90A:TG_SPLIT: 0
	.section	.text._ZN7rocprim17ROCPRIM_400000_NS6detail17trampoline_kernelINS0_14default_configENS1_38merge_sort_block_merge_config_selectorIiNS0_10empty_typeEEEZZNS1_27merge_sort_block_merge_implIS3_PiPS5_jNS1_19radix_merge_compareILb0ELb1EiNS0_19identity_decomposerEEEEE10hipError_tT0_T1_T2_jT3_P12ihipStream_tbPNSt15iterator_traitsISE_E10value_typeEPNSK_ISF_E10value_typeEPSG_NS1_7vsmem_tEENKUlT_SE_SF_SG_E_clIS8_S8_S9_S9_EESD_ST_SE_SF_SG_EUlST_E_NS1_11comp_targetILNS1_3genE2ELNS1_11target_archE906ELNS1_3gpuE6ELNS1_3repE0EEENS1_48merge_mergepath_partition_config_static_selectorELNS0_4arch9wavefront6targetE1EEEvSF_,"axG",@progbits,_ZN7rocprim17ROCPRIM_400000_NS6detail17trampoline_kernelINS0_14default_configENS1_38merge_sort_block_merge_config_selectorIiNS0_10empty_typeEEEZZNS1_27merge_sort_block_merge_implIS3_PiPS5_jNS1_19radix_merge_compareILb0ELb1EiNS0_19identity_decomposerEEEEE10hipError_tT0_T1_T2_jT3_P12ihipStream_tbPNSt15iterator_traitsISE_E10value_typeEPNSK_ISF_E10value_typeEPSG_NS1_7vsmem_tEENKUlT_SE_SF_SG_E_clIS8_S8_S9_S9_EESD_ST_SE_SF_SG_EUlST_E_NS1_11comp_targetILNS1_3genE2ELNS1_11target_archE906ELNS1_3gpuE6ELNS1_3repE0EEENS1_48merge_mergepath_partition_config_static_selectorELNS0_4arch9wavefront6targetE1EEEvSF_,comdat
	.protected	_ZN7rocprim17ROCPRIM_400000_NS6detail17trampoline_kernelINS0_14default_configENS1_38merge_sort_block_merge_config_selectorIiNS0_10empty_typeEEEZZNS1_27merge_sort_block_merge_implIS3_PiPS5_jNS1_19radix_merge_compareILb0ELb1EiNS0_19identity_decomposerEEEEE10hipError_tT0_T1_T2_jT3_P12ihipStream_tbPNSt15iterator_traitsISE_E10value_typeEPNSK_ISF_E10value_typeEPSG_NS1_7vsmem_tEENKUlT_SE_SF_SG_E_clIS8_S8_S9_S9_EESD_ST_SE_SF_SG_EUlST_E_NS1_11comp_targetILNS1_3genE2ELNS1_11target_archE906ELNS1_3gpuE6ELNS1_3repE0EEENS1_48merge_mergepath_partition_config_static_selectorELNS0_4arch9wavefront6targetE1EEEvSF_ ; -- Begin function _ZN7rocprim17ROCPRIM_400000_NS6detail17trampoline_kernelINS0_14default_configENS1_38merge_sort_block_merge_config_selectorIiNS0_10empty_typeEEEZZNS1_27merge_sort_block_merge_implIS3_PiPS5_jNS1_19radix_merge_compareILb0ELb1EiNS0_19identity_decomposerEEEEE10hipError_tT0_T1_T2_jT3_P12ihipStream_tbPNSt15iterator_traitsISE_E10value_typeEPNSK_ISF_E10value_typeEPSG_NS1_7vsmem_tEENKUlT_SE_SF_SG_E_clIS8_S8_S9_S9_EESD_ST_SE_SF_SG_EUlST_E_NS1_11comp_targetILNS1_3genE2ELNS1_11target_archE906ELNS1_3gpuE6ELNS1_3repE0EEENS1_48merge_mergepath_partition_config_static_selectorELNS0_4arch9wavefront6targetE1EEEvSF_
	.globl	_ZN7rocprim17ROCPRIM_400000_NS6detail17trampoline_kernelINS0_14default_configENS1_38merge_sort_block_merge_config_selectorIiNS0_10empty_typeEEEZZNS1_27merge_sort_block_merge_implIS3_PiPS5_jNS1_19radix_merge_compareILb0ELb1EiNS0_19identity_decomposerEEEEE10hipError_tT0_T1_T2_jT3_P12ihipStream_tbPNSt15iterator_traitsISE_E10value_typeEPNSK_ISF_E10value_typeEPSG_NS1_7vsmem_tEENKUlT_SE_SF_SG_E_clIS8_S8_S9_S9_EESD_ST_SE_SF_SG_EUlST_E_NS1_11comp_targetILNS1_3genE2ELNS1_11target_archE906ELNS1_3gpuE6ELNS1_3repE0EEENS1_48merge_mergepath_partition_config_static_selectorELNS0_4arch9wavefront6targetE1EEEvSF_
	.p2align	8
	.type	_ZN7rocprim17ROCPRIM_400000_NS6detail17trampoline_kernelINS0_14default_configENS1_38merge_sort_block_merge_config_selectorIiNS0_10empty_typeEEEZZNS1_27merge_sort_block_merge_implIS3_PiPS5_jNS1_19radix_merge_compareILb0ELb1EiNS0_19identity_decomposerEEEEE10hipError_tT0_T1_T2_jT3_P12ihipStream_tbPNSt15iterator_traitsISE_E10value_typeEPNSK_ISF_E10value_typeEPSG_NS1_7vsmem_tEENKUlT_SE_SF_SG_E_clIS8_S8_S9_S9_EESD_ST_SE_SF_SG_EUlST_E_NS1_11comp_targetILNS1_3genE2ELNS1_11target_archE906ELNS1_3gpuE6ELNS1_3repE0EEENS1_48merge_mergepath_partition_config_static_selectorELNS0_4arch9wavefront6targetE1EEEvSF_,@function
_ZN7rocprim17ROCPRIM_400000_NS6detail17trampoline_kernelINS0_14default_configENS1_38merge_sort_block_merge_config_selectorIiNS0_10empty_typeEEEZZNS1_27merge_sort_block_merge_implIS3_PiPS5_jNS1_19radix_merge_compareILb0ELb1EiNS0_19identity_decomposerEEEEE10hipError_tT0_T1_T2_jT3_P12ihipStream_tbPNSt15iterator_traitsISE_E10value_typeEPNSK_ISF_E10value_typeEPSG_NS1_7vsmem_tEENKUlT_SE_SF_SG_E_clIS8_S8_S9_S9_EESD_ST_SE_SF_SG_EUlST_E_NS1_11comp_targetILNS1_3genE2ELNS1_11target_archE906ELNS1_3gpuE6ELNS1_3repE0EEENS1_48merge_mergepath_partition_config_static_selectorELNS0_4arch9wavefront6targetE1EEEvSF_: ; @_ZN7rocprim17ROCPRIM_400000_NS6detail17trampoline_kernelINS0_14default_configENS1_38merge_sort_block_merge_config_selectorIiNS0_10empty_typeEEEZZNS1_27merge_sort_block_merge_implIS3_PiPS5_jNS1_19radix_merge_compareILb0ELb1EiNS0_19identity_decomposerEEEEE10hipError_tT0_T1_T2_jT3_P12ihipStream_tbPNSt15iterator_traitsISE_E10value_typeEPNSK_ISF_E10value_typeEPSG_NS1_7vsmem_tEENKUlT_SE_SF_SG_E_clIS8_S8_S9_S9_EESD_ST_SE_SF_SG_EUlST_E_NS1_11comp_targetILNS1_3genE2ELNS1_11target_archE906ELNS1_3gpuE6ELNS1_3repE0EEENS1_48merge_mergepath_partition_config_static_selectorELNS0_4arch9wavefront6targetE1EEEvSF_
; %bb.0:
	.section	.rodata,"a",@progbits
	.p2align	6, 0x0
	.amdhsa_kernel _ZN7rocprim17ROCPRIM_400000_NS6detail17trampoline_kernelINS0_14default_configENS1_38merge_sort_block_merge_config_selectorIiNS0_10empty_typeEEEZZNS1_27merge_sort_block_merge_implIS3_PiPS5_jNS1_19radix_merge_compareILb0ELb1EiNS0_19identity_decomposerEEEEE10hipError_tT0_T1_T2_jT3_P12ihipStream_tbPNSt15iterator_traitsISE_E10value_typeEPNSK_ISF_E10value_typeEPSG_NS1_7vsmem_tEENKUlT_SE_SF_SG_E_clIS8_S8_S9_S9_EESD_ST_SE_SF_SG_EUlST_E_NS1_11comp_targetILNS1_3genE2ELNS1_11target_archE906ELNS1_3gpuE6ELNS1_3repE0EEENS1_48merge_mergepath_partition_config_static_selectorELNS0_4arch9wavefront6targetE1EEEvSF_
		.amdhsa_group_segment_fixed_size 0
		.amdhsa_private_segment_fixed_size 0
		.amdhsa_kernarg_size 40
		.amdhsa_user_sgpr_count 6
		.amdhsa_user_sgpr_private_segment_buffer 1
		.amdhsa_user_sgpr_dispatch_ptr 0
		.amdhsa_user_sgpr_queue_ptr 0
		.amdhsa_user_sgpr_kernarg_segment_ptr 1
		.amdhsa_user_sgpr_dispatch_id 0
		.amdhsa_user_sgpr_flat_scratch_init 0
		.amdhsa_user_sgpr_kernarg_preload_length 0
		.amdhsa_user_sgpr_kernarg_preload_offset 0
		.amdhsa_user_sgpr_private_segment_size 0
		.amdhsa_uses_dynamic_stack 0
		.amdhsa_system_sgpr_private_segment_wavefront_offset 0
		.amdhsa_system_sgpr_workgroup_id_x 1
		.amdhsa_system_sgpr_workgroup_id_y 0
		.amdhsa_system_sgpr_workgroup_id_z 0
		.amdhsa_system_sgpr_workgroup_info 0
		.amdhsa_system_vgpr_workitem_id 0
		.amdhsa_next_free_vgpr 1
		.amdhsa_next_free_sgpr 0
		.amdhsa_accum_offset 4
		.amdhsa_reserve_vcc 0
		.amdhsa_reserve_flat_scratch 0
		.amdhsa_float_round_mode_32 0
		.amdhsa_float_round_mode_16_64 0
		.amdhsa_float_denorm_mode_32 3
		.amdhsa_float_denorm_mode_16_64 3
		.amdhsa_dx10_clamp 1
		.amdhsa_ieee_mode 1
		.amdhsa_fp16_overflow 0
		.amdhsa_tg_split 0
		.amdhsa_exception_fp_ieee_invalid_op 0
		.amdhsa_exception_fp_denorm_src 0
		.amdhsa_exception_fp_ieee_div_zero 0
		.amdhsa_exception_fp_ieee_overflow 0
		.amdhsa_exception_fp_ieee_underflow 0
		.amdhsa_exception_fp_ieee_inexact 0
		.amdhsa_exception_int_div_zero 0
	.end_amdhsa_kernel
	.section	.text._ZN7rocprim17ROCPRIM_400000_NS6detail17trampoline_kernelINS0_14default_configENS1_38merge_sort_block_merge_config_selectorIiNS0_10empty_typeEEEZZNS1_27merge_sort_block_merge_implIS3_PiPS5_jNS1_19radix_merge_compareILb0ELb1EiNS0_19identity_decomposerEEEEE10hipError_tT0_T1_T2_jT3_P12ihipStream_tbPNSt15iterator_traitsISE_E10value_typeEPNSK_ISF_E10value_typeEPSG_NS1_7vsmem_tEENKUlT_SE_SF_SG_E_clIS8_S8_S9_S9_EESD_ST_SE_SF_SG_EUlST_E_NS1_11comp_targetILNS1_3genE2ELNS1_11target_archE906ELNS1_3gpuE6ELNS1_3repE0EEENS1_48merge_mergepath_partition_config_static_selectorELNS0_4arch9wavefront6targetE1EEEvSF_,"axG",@progbits,_ZN7rocprim17ROCPRIM_400000_NS6detail17trampoline_kernelINS0_14default_configENS1_38merge_sort_block_merge_config_selectorIiNS0_10empty_typeEEEZZNS1_27merge_sort_block_merge_implIS3_PiPS5_jNS1_19radix_merge_compareILb0ELb1EiNS0_19identity_decomposerEEEEE10hipError_tT0_T1_T2_jT3_P12ihipStream_tbPNSt15iterator_traitsISE_E10value_typeEPNSK_ISF_E10value_typeEPSG_NS1_7vsmem_tEENKUlT_SE_SF_SG_E_clIS8_S8_S9_S9_EESD_ST_SE_SF_SG_EUlST_E_NS1_11comp_targetILNS1_3genE2ELNS1_11target_archE906ELNS1_3gpuE6ELNS1_3repE0EEENS1_48merge_mergepath_partition_config_static_selectorELNS0_4arch9wavefront6targetE1EEEvSF_,comdat
.Lfunc_end613:
	.size	_ZN7rocprim17ROCPRIM_400000_NS6detail17trampoline_kernelINS0_14default_configENS1_38merge_sort_block_merge_config_selectorIiNS0_10empty_typeEEEZZNS1_27merge_sort_block_merge_implIS3_PiPS5_jNS1_19radix_merge_compareILb0ELb1EiNS0_19identity_decomposerEEEEE10hipError_tT0_T1_T2_jT3_P12ihipStream_tbPNSt15iterator_traitsISE_E10value_typeEPNSK_ISF_E10value_typeEPSG_NS1_7vsmem_tEENKUlT_SE_SF_SG_E_clIS8_S8_S9_S9_EESD_ST_SE_SF_SG_EUlST_E_NS1_11comp_targetILNS1_3genE2ELNS1_11target_archE906ELNS1_3gpuE6ELNS1_3repE0EEENS1_48merge_mergepath_partition_config_static_selectorELNS0_4arch9wavefront6targetE1EEEvSF_, .Lfunc_end613-_ZN7rocprim17ROCPRIM_400000_NS6detail17trampoline_kernelINS0_14default_configENS1_38merge_sort_block_merge_config_selectorIiNS0_10empty_typeEEEZZNS1_27merge_sort_block_merge_implIS3_PiPS5_jNS1_19radix_merge_compareILb0ELb1EiNS0_19identity_decomposerEEEEE10hipError_tT0_T1_T2_jT3_P12ihipStream_tbPNSt15iterator_traitsISE_E10value_typeEPNSK_ISF_E10value_typeEPSG_NS1_7vsmem_tEENKUlT_SE_SF_SG_E_clIS8_S8_S9_S9_EESD_ST_SE_SF_SG_EUlST_E_NS1_11comp_targetILNS1_3genE2ELNS1_11target_archE906ELNS1_3gpuE6ELNS1_3repE0EEENS1_48merge_mergepath_partition_config_static_selectorELNS0_4arch9wavefront6targetE1EEEvSF_
                                        ; -- End function
	.section	.AMDGPU.csdata,"",@progbits
; Kernel info:
; codeLenInByte = 0
; NumSgprs: 4
; NumVgprs: 0
; NumAgprs: 0
; TotalNumVgprs: 0
; ScratchSize: 0
; MemoryBound: 0
; FloatMode: 240
; IeeeMode: 1
; LDSByteSize: 0 bytes/workgroup (compile time only)
; SGPRBlocks: 0
; VGPRBlocks: 0
; NumSGPRsForWavesPerEU: 4
; NumVGPRsForWavesPerEU: 1
; AccumOffset: 4
; Occupancy: 8
; WaveLimiterHint : 0
; COMPUTE_PGM_RSRC2:SCRATCH_EN: 0
; COMPUTE_PGM_RSRC2:USER_SGPR: 6
; COMPUTE_PGM_RSRC2:TRAP_HANDLER: 0
; COMPUTE_PGM_RSRC2:TGID_X_EN: 1
; COMPUTE_PGM_RSRC2:TGID_Y_EN: 0
; COMPUTE_PGM_RSRC2:TGID_Z_EN: 0
; COMPUTE_PGM_RSRC2:TIDIG_COMP_CNT: 0
; COMPUTE_PGM_RSRC3_GFX90A:ACCUM_OFFSET: 0
; COMPUTE_PGM_RSRC3_GFX90A:TG_SPLIT: 0
	.section	.text._ZN7rocprim17ROCPRIM_400000_NS6detail17trampoline_kernelINS0_14default_configENS1_38merge_sort_block_merge_config_selectorIiNS0_10empty_typeEEEZZNS1_27merge_sort_block_merge_implIS3_PiPS5_jNS1_19radix_merge_compareILb0ELb1EiNS0_19identity_decomposerEEEEE10hipError_tT0_T1_T2_jT3_P12ihipStream_tbPNSt15iterator_traitsISE_E10value_typeEPNSK_ISF_E10value_typeEPSG_NS1_7vsmem_tEENKUlT_SE_SF_SG_E_clIS8_S8_S9_S9_EESD_ST_SE_SF_SG_EUlST_E_NS1_11comp_targetILNS1_3genE9ELNS1_11target_archE1100ELNS1_3gpuE3ELNS1_3repE0EEENS1_48merge_mergepath_partition_config_static_selectorELNS0_4arch9wavefront6targetE1EEEvSF_,"axG",@progbits,_ZN7rocprim17ROCPRIM_400000_NS6detail17trampoline_kernelINS0_14default_configENS1_38merge_sort_block_merge_config_selectorIiNS0_10empty_typeEEEZZNS1_27merge_sort_block_merge_implIS3_PiPS5_jNS1_19radix_merge_compareILb0ELb1EiNS0_19identity_decomposerEEEEE10hipError_tT0_T1_T2_jT3_P12ihipStream_tbPNSt15iterator_traitsISE_E10value_typeEPNSK_ISF_E10value_typeEPSG_NS1_7vsmem_tEENKUlT_SE_SF_SG_E_clIS8_S8_S9_S9_EESD_ST_SE_SF_SG_EUlST_E_NS1_11comp_targetILNS1_3genE9ELNS1_11target_archE1100ELNS1_3gpuE3ELNS1_3repE0EEENS1_48merge_mergepath_partition_config_static_selectorELNS0_4arch9wavefront6targetE1EEEvSF_,comdat
	.protected	_ZN7rocprim17ROCPRIM_400000_NS6detail17trampoline_kernelINS0_14default_configENS1_38merge_sort_block_merge_config_selectorIiNS0_10empty_typeEEEZZNS1_27merge_sort_block_merge_implIS3_PiPS5_jNS1_19radix_merge_compareILb0ELb1EiNS0_19identity_decomposerEEEEE10hipError_tT0_T1_T2_jT3_P12ihipStream_tbPNSt15iterator_traitsISE_E10value_typeEPNSK_ISF_E10value_typeEPSG_NS1_7vsmem_tEENKUlT_SE_SF_SG_E_clIS8_S8_S9_S9_EESD_ST_SE_SF_SG_EUlST_E_NS1_11comp_targetILNS1_3genE9ELNS1_11target_archE1100ELNS1_3gpuE3ELNS1_3repE0EEENS1_48merge_mergepath_partition_config_static_selectorELNS0_4arch9wavefront6targetE1EEEvSF_ ; -- Begin function _ZN7rocprim17ROCPRIM_400000_NS6detail17trampoline_kernelINS0_14default_configENS1_38merge_sort_block_merge_config_selectorIiNS0_10empty_typeEEEZZNS1_27merge_sort_block_merge_implIS3_PiPS5_jNS1_19radix_merge_compareILb0ELb1EiNS0_19identity_decomposerEEEEE10hipError_tT0_T1_T2_jT3_P12ihipStream_tbPNSt15iterator_traitsISE_E10value_typeEPNSK_ISF_E10value_typeEPSG_NS1_7vsmem_tEENKUlT_SE_SF_SG_E_clIS8_S8_S9_S9_EESD_ST_SE_SF_SG_EUlST_E_NS1_11comp_targetILNS1_3genE9ELNS1_11target_archE1100ELNS1_3gpuE3ELNS1_3repE0EEENS1_48merge_mergepath_partition_config_static_selectorELNS0_4arch9wavefront6targetE1EEEvSF_
	.globl	_ZN7rocprim17ROCPRIM_400000_NS6detail17trampoline_kernelINS0_14default_configENS1_38merge_sort_block_merge_config_selectorIiNS0_10empty_typeEEEZZNS1_27merge_sort_block_merge_implIS3_PiPS5_jNS1_19radix_merge_compareILb0ELb1EiNS0_19identity_decomposerEEEEE10hipError_tT0_T1_T2_jT3_P12ihipStream_tbPNSt15iterator_traitsISE_E10value_typeEPNSK_ISF_E10value_typeEPSG_NS1_7vsmem_tEENKUlT_SE_SF_SG_E_clIS8_S8_S9_S9_EESD_ST_SE_SF_SG_EUlST_E_NS1_11comp_targetILNS1_3genE9ELNS1_11target_archE1100ELNS1_3gpuE3ELNS1_3repE0EEENS1_48merge_mergepath_partition_config_static_selectorELNS0_4arch9wavefront6targetE1EEEvSF_
	.p2align	8
	.type	_ZN7rocprim17ROCPRIM_400000_NS6detail17trampoline_kernelINS0_14default_configENS1_38merge_sort_block_merge_config_selectorIiNS0_10empty_typeEEEZZNS1_27merge_sort_block_merge_implIS3_PiPS5_jNS1_19radix_merge_compareILb0ELb1EiNS0_19identity_decomposerEEEEE10hipError_tT0_T1_T2_jT3_P12ihipStream_tbPNSt15iterator_traitsISE_E10value_typeEPNSK_ISF_E10value_typeEPSG_NS1_7vsmem_tEENKUlT_SE_SF_SG_E_clIS8_S8_S9_S9_EESD_ST_SE_SF_SG_EUlST_E_NS1_11comp_targetILNS1_3genE9ELNS1_11target_archE1100ELNS1_3gpuE3ELNS1_3repE0EEENS1_48merge_mergepath_partition_config_static_selectorELNS0_4arch9wavefront6targetE1EEEvSF_,@function
_ZN7rocprim17ROCPRIM_400000_NS6detail17trampoline_kernelINS0_14default_configENS1_38merge_sort_block_merge_config_selectorIiNS0_10empty_typeEEEZZNS1_27merge_sort_block_merge_implIS3_PiPS5_jNS1_19radix_merge_compareILb0ELb1EiNS0_19identity_decomposerEEEEE10hipError_tT0_T1_T2_jT3_P12ihipStream_tbPNSt15iterator_traitsISE_E10value_typeEPNSK_ISF_E10value_typeEPSG_NS1_7vsmem_tEENKUlT_SE_SF_SG_E_clIS8_S8_S9_S9_EESD_ST_SE_SF_SG_EUlST_E_NS1_11comp_targetILNS1_3genE9ELNS1_11target_archE1100ELNS1_3gpuE3ELNS1_3repE0EEENS1_48merge_mergepath_partition_config_static_selectorELNS0_4arch9wavefront6targetE1EEEvSF_: ; @_ZN7rocprim17ROCPRIM_400000_NS6detail17trampoline_kernelINS0_14default_configENS1_38merge_sort_block_merge_config_selectorIiNS0_10empty_typeEEEZZNS1_27merge_sort_block_merge_implIS3_PiPS5_jNS1_19radix_merge_compareILb0ELb1EiNS0_19identity_decomposerEEEEE10hipError_tT0_T1_T2_jT3_P12ihipStream_tbPNSt15iterator_traitsISE_E10value_typeEPNSK_ISF_E10value_typeEPSG_NS1_7vsmem_tEENKUlT_SE_SF_SG_E_clIS8_S8_S9_S9_EESD_ST_SE_SF_SG_EUlST_E_NS1_11comp_targetILNS1_3genE9ELNS1_11target_archE1100ELNS1_3gpuE3ELNS1_3repE0EEENS1_48merge_mergepath_partition_config_static_selectorELNS0_4arch9wavefront6targetE1EEEvSF_
; %bb.0:
	.section	.rodata,"a",@progbits
	.p2align	6, 0x0
	.amdhsa_kernel _ZN7rocprim17ROCPRIM_400000_NS6detail17trampoline_kernelINS0_14default_configENS1_38merge_sort_block_merge_config_selectorIiNS0_10empty_typeEEEZZNS1_27merge_sort_block_merge_implIS3_PiPS5_jNS1_19radix_merge_compareILb0ELb1EiNS0_19identity_decomposerEEEEE10hipError_tT0_T1_T2_jT3_P12ihipStream_tbPNSt15iterator_traitsISE_E10value_typeEPNSK_ISF_E10value_typeEPSG_NS1_7vsmem_tEENKUlT_SE_SF_SG_E_clIS8_S8_S9_S9_EESD_ST_SE_SF_SG_EUlST_E_NS1_11comp_targetILNS1_3genE9ELNS1_11target_archE1100ELNS1_3gpuE3ELNS1_3repE0EEENS1_48merge_mergepath_partition_config_static_selectorELNS0_4arch9wavefront6targetE1EEEvSF_
		.amdhsa_group_segment_fixed_size 0
		.amdhsa_private_segment_fixed_size 0
		.amdhsa_kernarg_size 40
		.amdhsa_user_sgpr_count 6
		.amdhsa_user_sgpr_private_segment_buffer 1
		.amdhsa_user_sgpr_dispatch_ptr 0
		.amdhsa_user_sgpr_queue_ptr 0
		.amdhsa_user_sgpr_kernarg_segment_ptr 1
		.amdhsa_user_sgpr_dispatch_id 0
		.amdhsa_user_sgpr_flat_scratch_init 0
		.amdhsa_user_sgpr_kernarg_preload_length 0
		.amdhsa_user_sgpr_kernarg_preload_offset 0
		.amdhsa_user_sgpr_private_segment_size 0
		.amdhsa_uses_dynamic_stack 0
		.amdhsa_system_sgpr_private_segment_wavefront_offset 0
		.amdhsa_system_sgpr_workgroup_id_x 1
		.amdhsa_system_sgpr_workgroup_id_y 0
		.amdhsa_system_sgpr_workgroup_id_z 0
		.amdhsa_system_sgpr_workgroup_info 0
		.amdhsa_system_vgpr_workitem_id 0
		.amdhsa_next_free_vgpr 1
		.amdhsa_next_free_sgpr 0
		.amdhsa_accum_offset 4
		.amdhsa_reserve_vcc 0
		.amdhsa_reserve_flat_scratch 0
		.amdhsa_float_round_mode_32 0
		.amdhsa_float_round_mode_16_64 0
		.amdhsa_float_denorm_mode_32 3
		.amdhsa_float_denorm_mode_16_64 3
		.amdhsa_dx10_clamp 1
		.amdhsa_ieee_mode 1
		.amdhsa_fp16_overflow 0
		.amdhsa_tg_split 0
		.amdhsa_exception_fp_ieee_invalid_op 0
		.amdhsa_exception_fp_denorm_src 0
		.amdhsa_exception_fp_ieee_div_zero 0
		.amdhsa_exception_fp_ieee_overflow 0
		.amdhsa_exception_fp_ieee_underflow 0
		.amdhsa_exception_fp_ieee_inexact 0
		.amdhsa_exception_int_div_zero 0
	.end_amdhsa_kernel
	.section	.text._ZN7rocprim17ROCPRIM_400000_NS6detail17trampoline_kernelINS0_14default_configENS1_38merge_sort_block_merge_config_selectorIiNS0_10empty_typeEEEZZNS1_27merge_sort_block_merge_implIS3_PiPS5_jNS1_19radix_merge_compareILb0ELb1EiNS0_19identity_decomposerEEEEE10hipError_tT0_T1_T2_jT3_P12ihipStream_tbPNSt15iterator_traitsISE_E10value_typeEPNSK_ISF_E10value_typeEPSG_NS1_7vsmem_tEENKUlT_SE_SF_SG_E_clIS8_S8_S9_S9_EESD_ST_SE_SF_SG_EUlST_E_NS1_11comp_targetILNS1_3genE9ELNS1_11target_archE1100ELNS1_3gpuE3ELNS1_3repE0EEENS1_48merge_mergepath_partition_config_static_selectorELNS0_4arch9wavefront6targetE1EEEvSF_,"axG",@progbits,_ZN7rocprim17ROCPRIM_400000_NS6detail17trampoline_kernelINS0_14default_configENS1_38merge_sort_block_merge_config_selectorIiNS0_10empty_typeEEEZZNS1_27merge_sort_block_merge_implIS3_PiPS5_jNS1_19radix_merge_compareILb0ELb1EiNS0_19identity_decomposerEEEEE10hipError_tT0_T1_T2_jT3_P12ihipStream_tbPNSt15iterator_traitsISE_E10value_typeEPNSK_ISF_E10value_typeEPSG_NS1_7vsmem_tEENKUlT_SE_SF_SG_E_clIS8_S8_S9_S9_EESD_ST_SE_SF_SG_EUlST_E_NS1_11comp_targetILNS1_3genE9ELNS1_11target_archE1100ELNS1_3gpuE3ELNS1_3repE0EEENS1_48merge_mergepath_partition_config_static_selectorELNS0_4arch9wavefront6targetE1EEEvSF_,comdat
.Lfunc_end614:
	.size	_ZN7rocprim17ROCPRIM_400000_NS6detail17trampoline_kernelINS0_14default_configENS1_38merge_sort_block_merge_config_selectorIiNS0_10empty_typeEEEZZNS1_27merge_sort_block_merge_implIS3_PiPS5_jNS1_19radix_merge_compareILb0ELb1EiNS0_19identity_decomposerEEEEE10hipError_tT0_T1_T2_jT3_P12ihipStream_tbPNSt15iterator_traitsISE_E10value_typeEPNSK_ISF_E10value_typeEPSG_NS1_7vsmem_tEENKUlT_SE_SF_SG_E_clIS8_S8_S9_S9_EESD_ST_SE_SF_SG_EUlST_E_NS1_11comp_targetILNS1_3genE9ELNS1_11target_archE1100ELNS1_3gpuE3ELNS1_3repE0EEENS1_48merge_mergepath_partition_config_static_selectorELNS0_4arch9wavefront6targetE1EEEvSF_, .Lfunc_end614-_ZN7rocprim17ROCPRIM_400000_NS6detail17trampoline_kernelINS0_14default_configENS1_38merge_sort_block_merge_config_selectorIiNS0_10empty_typeEEEZZNS1_27merge_sort_block_merge_implIS3_PiPS5_jNS1_19radix_merge_compareILb0ELb1EiNS0_19identity_decomposerEEEEE10hipError_tT0_T1_T2_jT3_P12ihipStream_tbPNSt15iterator_traitsISE_E10value_typeEPNSK_ISF_E10value_typeEPSG_NS1_7vsmem_tEENKUlT_SE_SF_SG_E_clIS8_S8_S9_S9_EESD_ST_SE_SF_SG_EUlST_E_NS1_11comp_targetILNS1_3genE9ELNS1_11target_archE1100ELNS1_3gpuE3ELNS1_3repE0EEENS1_48merge_mergepath_partition_config_static_selectorELNS0_4arch9wavefront6targetE1EEEvSF_
                                        ; -- End function
	.section	.AMDGPU.csdata,"",@progbits
; Kernel info:
; codeLenInByte = 0
; NumSgprs: 4
; NumVgprs: 0
; NumAgprs: 0
; TotalNumVgprs: 0
; ScratchSize: 0
; MemoryBound: 0
; FloatMode: 240
; IeeeMode: 1
; LDSByteSize: 0 bytes/workgroup (compile time only)
; SGPRBlocks: 0
; VGPRBlocks: 0
; NumSGPRsForWavesPerEU: 4
; NumVGPRsForWavesPerEU: 1
; AccumOffset: 4
; Occupancy: 8
; WaveLimiterHint : 0
; COMPUTE_PGM_RSRC2:SCRATCH_EN: 0
; COMPUTE_PGM_RSRC2:USER_SGPR: 6
; COMPUTE_PGM_RSRC2:TRAP_HANDLER: 0
; COMPUTE_PGM_RSRC2:TGID_X_EN: 1
; COMPUTE_PGM_RSRC2:TGID_Y_EN: 0
; COMPUTE_PGM_RSRC2:TGID_Z_EN: 0
; COMPUTE_PGM_RSRC2:TIDIG_COMP_CNT: 0
; COMPUTE_PGM_RSRC3_GFX90A:ACCUM_OFFSET: 0
; COMPUTE_PGM_RSRC3_GFX90A:TG_SPLIT: 0
	.section	.text._ZN7rocprim17ROCPRIM_400000_NS6detail17trampoline_kernelINS0_14default_configENS1_38merge_sort_block_merge_config_selectorIiNS0_10empty_typeEEEZZNS1_27merge_sort_block_merge_implIS3_PiPS5_jNS1_19radix_merge_compareILb0ELb1EiNS0_19identity_decomposerEEEEE10hipError_tT0_T1_T2_jT3_P12ihipStream_tbPNSt15iterator_traitsISE_E10value_typeEPNSK_ISF_E10value_typeEPSG_NS1_7vsmem_tEENKUlT_SE_SF_SG_E_clIS8_S8_S9_S9_EESD_ST_SE_SF_SG_EUlST_E_NS1_11comp_targetILNS1_3genE8ELNS1_11target_archE1030ELNS1_3gpuE2ELNS1_3repE0EEENS1_48merge_mergepath_partition_config_static_selectorELNS0_4arch9wavefront6targetE1EEEvSF_,"axG",@progbits,_ZN7rocprim17ROCPRIM_400000_NS6detail17trampoline_kernelINS0_14default_configENS1_38merge_sort_block_merge_config_selectorIiNS0_10empty_typeEEEZZNS1_27merge_sort_block_merge_implIS3_PiPS5_jNS1_19radix_merge_compareILb0ELb1EiNS0_19identity_decomposerEEEEE10hipError_tT0_T1_T2_jT3_P12ihipStream_tbPNSt15iterator_traitsISE_E10value_typeEPNSK_ISF_E10value_typeEPSG_NS1_7vsmem_tEENKUlT_SE_SF_SG_E_clIS8_S8_S9_S9_EESD_ST_SE_SF_SG_EUlST_E_NS1_11comp_targetILNS1_3genE8ELNS1_11target_archE1030ELNS1_3gpuE2ELNS1_3repE0EEENS1_48merge_mergepath_partition_config_static_selectorELNS0_4arch9wavefront6targetE1EEEvSF_,comdat
	.protected	_ZN7rocprim17ROCPRIM_400000_NS6detail17trampoline_kernelINS0_14default_configENS1_38merge_sort_block_merge_config_selectorIiNS0_10empty_typeEEEZZNS1_27merge_sort_block_merge_implIS3_PiPS5_jNS1_19radix_merge_compareILb0ELb1EiNS0_19identity_decomposerEEEEE10hipError_tT0_T1_T2_jT3_P12ihipStream_tbPNSt15iterator_traitsISE_E10value_typeEPNSK_ISF_E10value_typeEPSG_NS1_7vsmem_tEENKUlT_SE_SF_SG_E_clIS8_S8_S9_S9_EESD_ST_SE_SF_SG_EUlST_E_NS1_11comp_targetILNS1_3genE8ELNS1_11target_archE1030ELNS1_3gpuE2ELNS1_3repE0EEENS1_48merge_mergepath_partition_config_static_selectorELNS0_4arch9wavefront6targetE1EEEvSF_ ; -- Begin function _ZN7rocprim17ROCPRIM_400000_NS6detail17trampoline_kernelINS0_14default_configENS1_38merge_sort_block_merge_config_selectorIiNS0_10empty_typeEEEZZNS1_27merge_sort_block_merge_implIS3_PiPS5_jNS1_19radix_merge_compareILb0ELb1EiNS0_19identity_decomposerEEEEE10hipError_tT0_T1_T2_jT3_P12ihipStream_tbPNSt15iterator_traitsISE_E10value_typeEPNSK_ISF_E10value_typeEPSG_NS1_7vsmem_tEENKUlT_SE_SF_SG_E_clIS8_S8_S9_S9_EESD_ST_SE_SF_SG_EUlST_E_NS1_11comp_targetILNS1_3genE8ELNS1_11target_archE1030ELNS1_3gpuE2ELNS1_3repE0EEENS1_48merge_mergepath_partition_config_static_selectorELNS0_4arch9wavefront6targetE1EEEvSF_
	.globl	_ZN7rocprim17ROCPRIM_400000_NS6detail17trampoline_kernelINS0_14default_configENS1_38merge_sort_block_merge_config_selectorIiNS0_10empty_typeEEEZZNS1_27merge_sort_block_merge_implIS3_PiPS5_jNS1_19radix_merge_compareILb0ELb1EiNS0_19identity_decomposerEEEEE10hipError_tT0_T1_T2_jT3_P12ihipStream_tbPNSt15iterator_traitsISE_E10value_typeEPNSK_ISF_E10value_typeEPSG_NS1_7vsmem_tEENKUlT_SE_SF_SG_E_clIS8_S8_S9_S9_EESD_ST_SE_SF_SG_EUlST_E_NS1_11comp_targetILNS1_3genE8ELNS1_11target_archE1030ELNS1_3gpuE2ELNS1_3repE0EEENS1_48merge_mergepath_partition_config_static_selectorELNS0_4arch9wavefront6targetE1EEEvSF_
	.p2align	8
	.type	_ZN7rocprim17ROCPRIM_400000_NS6detail17trampoline_kernelINS0_14default_configENS1_38merge_sort_block_merge_config_selectorIiNS0_10empty_typeEEEZZNS1_27merge_sort_block_merge_implIS3_PiPS5_jNS1_19radix_merge_compareILb0ELb1EiNS0_19identity_decomposerEEEEE10hipError_tT0_T1_T2_jT3_P12ihipStream_tbPNSt15iterator_traitsISE_E10value_typeEPNSK_ISF_E10value_typeEPSG_NS1_7vsmem_tEENKUlT_SE_SF_SG_E_clIS8_S8_S9_S9_EESD_ST_SE_SF_SG_EUlST_E_NS1_11comp_targetILNS1_3genE8ELNS1_11target_archE1030ELNS1_3gpuE2ELNS1_3repE0EEENS1_48merge_mergepath_partition_config_static_selectorELNS0_4arch9wavefront6targetE1EEEvSF_,@function
_ZN7rocprim17ROCPRIM_400000_NS6detail17trampoline_kernelINS0_14default_configENS1_38merge_sort_block_merge_config_selectorIiNS0_10empty_typeEEEZZNS1_27merge_sort_block_merge_implIS3_PiPS5_jNS1_19radix_merge_compareILb0ELb1EiNS0_19identity_decomposerEEEEE10hipError_tT0_T1_T2_jT3_P12ihipStream_tbPNSt15iterator_traitsISE_E10value_typeEPNSK_ISF_E10value_typeEPSG_NS1_7vsmem_tEENKUlT_SE_SF_SG_E_clIS8_S8_S9_S9_EESD_ST_SE_SF_SG_EUlST_E_NS1_11comp_targetILNS1_3genE8ELNS1_11target_archE1030ELNS1_3gpuE2ELNS1_3repE0EEENS1_48merge_mergepath_partition_config_static_selectorELNS0_4arch9wavefront6targetE1EEEvSF_: ; @_ZN7rocprim17ROCPRIM_400000_NS6detail17trampoline_kernelINS0_14default_configENS1_38merge_sort_block_merge_config_selectorIiNS0_10empty_typeEEEZZNS1_27merge_sort_block_merge_implIS3_PiPS5_jNS1_19radix_merge_compareILb0ELb1EiNS0_19identity_decomposerEEEEE10hipError_tT0_T1_T2_jT3_P12ihipStream_tbPNSt15iterator_traitsISE_E10value_typeEPNSK_ISF_E10value_typeEPSG_NS1_7vsmem_tEENKUlT_SE_SF_SG_E_clIS8_S8_S9_S9_EESD_ST_SE_SF_SG_EUlST_E_NS1_11comp_targetILNS1_3genE8ELNS1_11target_archE1030ELNS1_3gpuE2ELNS1_3repE0EEENS1_48merge_mergepath_partition_config_static_selectorELNS0_4arch9wavefront6targetE1EEEvSF_
; %bb.0:
	.section	.rodata,"a",@progbits
	.p2align	6, 0x0
	.amdhsa_kernel _ZN7rocprim17ROCPRIM_400000_NS6detail17trampoline_kernelINS0_14default_configENS1_38merge_sort_block_merge_config_selectorIiNS0_10empty_typeEEEZZNS1_27merge_sort_block_merge_implIS3_PiPS5_jNS1_19radix_merge_compareILb0ELb1EiNS0_19identity_decomposerEEEEE10hipError_tT0_T1_T2_jT3_P12ihipStream_tbPNSt15iterator_traitsISE_E10value_typeEPNSK_ISF_E10value_typeEPSG_NS1_7vsmem_tEENKUlT_SE_SF_SG_E_clIS8_S8_S9_S9_EESD_ST_SE_SF_SG_EUlST_E_NS1_11comp_targetILNS1_3genE8ELNS1_11target_archE1030ELNS1_3gpuE2ELNS1_3repE0EEENS1_48merge_mergepath_partition_config_static_selectorELNS0_4arch9wavefront6targetE1EEEvSF_
		.amdhsa_group_segment_fixed_size 0
		.amdhsa_private_segment_fixed_size 0
		.amdhsa_kernarg_size 40
		.amdhsa_user_sgpr_count 6
		.amdhsa_user_sgpr_private_segment_buffer 1
		.amdhsa_user_sgpr_dispatch_ptr 0
		.amdhsa_user_sgpr_queue_ptr 0
		.amdhsa_user_sgpr_kernarg_segment_ptr 1
		.amdhsa_user_sgpr_dispatch_id 0
		.amdhsa_user_sgpr_flat_scratch_init 0
		.amdhsa_user_sgpr_kernarg_preload_length 0
		.amdhsa_user_sgpr_kernarg_preload_offset 0
		.amdhsa_user_sgpr_private_segment_size 0
		.amdhsa_uses_dynamic_stack 0
		.amdhsa_system_sgpr_private_segment_wavefront_offset 0
		.amdhsa_system_sgpr_workgroup_id_x 1
		.amdhsa_system_sgpr_workgroup_id_y 0
		.amdhsa_system_sgpr_workgroup_id_z 0
		.amdhsa_system_sgpr_workgroup_info 0
		.amdhsa_system_vgpr_workitem_id 0
		.amdhsa_next_free_vgpr 1
		.amdhsa_next_free_sgpr 0
		.amdhsa_accum_offset 4
		.amdhsa_reserve_vcc 0
		.amdhsa_reserve_flat_scratch 0
		.amdhsa_float_round_mode_32 0
		.amdhsa_float_round_mode_16_64 0
		.amdhsa_float_denorm_mode_32 3
		.amdhsa_float_denorm_mode_16_64 3
		.amdhsa_dx10_clamp 1
		.amdhsa_ieee_mode 1
		.amdhsa_fp16_overflow 0
		.amdhsa_tg_split 0
		.amdhsa_exception_fp_ieee_invalid_op 0
		.amdhsa_exception_fp_denorm_src 0
		.amdhsa_exception_fp_ieee_div_zero 0
		.amdhsa_exception_fp_ieee_overflow 0
		.amdhsa_exception_fp_ieee_underflow 0
		.amdhsa_exception_fp_ieee_inexact 0
		.amdhsa_exception_int_div_zero 0
	.end_amdhsa_kernel
	.section	.text._ZN7rocprim17ROCPRIM_400000_NS6detail17trampoline_kernelINS0_14default_configENS1_38merge_sort_block_merge_config_selectorIiNS0_10empty_typeEEEZZNS1_27merge_sort_block_merge_implIS3_PiPS5_jNS1_19radix_merge_compareILb0ELb1EiNS0_19identity_decomposerEEEEE10hipError_tT0_T1_T2_jT3_P12ihipStream_tbPNSt15iterator_traitsISE_E10value_typeEPNSK_ISF_E10value_typeEPSG_NS1_7vsmem_tEENKUlT_SE_SF_SG_E_clIS8_S8_S9_S9_EESD_ST_SE_SF_SG_EUlST_E_NS1_11comp_targetILNS1_3genE8ELNS1_11target_archE1030ELNS1_3gpuE2ELNS1_3repE0EEENS1_48merge_mergepath_partition_config_static_selectorELNS0_4arch9wavefront6targetE1EEEvSF_,"axG",@progbits,_ZN7rocprim17ROCPRIM_400000_NS6detail17trampoline_kernelINS0_14default_configENS1_38merge_sort_block_merge_config_selectorIiNS0_10empty_typeEEEZZNS1_27merge_sort_block_merge_implIS3_PiPS5_jNS1_19radix_merge_compareILb0ELb1EiNS0_19identity_decomposerEEEEE10hipError_tT0_T1_T2_jT3_P12ihipStream_tbPNSt15iterator_traitsISE_E10value_typeEPNSK_ISF_E10value_typeEPSG_NS1_7vsmem_tEENKUlT_SE_SF_SG_E_clIS8_S8_S9_S9_EESD_ST_SE_SF_SG_EUlST_E_NS1_11comp_targetILNS1_3genE8ELNS1_11target_archE1030ELNS1_3gpuE2ELNS1_3repE0EEENS1_48merge_mergepath_partition_config_static_selectorELNS0_4arch9wavefront6targetE1EEEvSF_,comdat
.Lfunc_end615:
	.size	_ZN7rocprim17ROCPRIM_400000_NS6detail17trampoline_kernelINS0_14default_configENS1_38merge_sort_block_merge_config_selectorIiNS0_10empty_typeEEEZZNS1_27merge_sort_block_merge_implIS3_PiPS5_jNS1_19radix_merge_compareILb0ELb1EiNS0_19identity_decomposerEEEEE10hipError_tT0_T1_T2_jT3_P12ihipStream_tbPNSt15iterator_traitsISE_E10value_typeEPNSK_ISF_E10value_typeEPSG_NS1_7vsmem_tEENKUlT_SE_SF_SG_E_clIS8_S8_S9_S9_EESD_ST_SE_SF_SG_EUlST_E_NS1_11comp_targetILNS1_3genE8ELNS1_11target_archE1030ELNS1_3gpuE2ELNS1_3repE0EEENS1_48merge_mergepath_partition_config_static_selectorELNS0_4arch9wavefront6targetE1EEEvSF_, .Lfunc_end615-_ZN7rocprim17ROCPRIM_400000_NS6detail17trampoline_kernelINS0_14default_configENS1_38merge_sort_block_merge_config_selectorIiNS0_10empty_typeEEEZZNS1_27merge_sort_block_merge_implIS3_PiPS5_jNS1_19radix_merge_compareILb0ELb1EiNS0_19identity_decomposerEEEEE10hipError_tT0_T1_T2_jT3_P12ihipStream_tbPNSt15iterator_traitsISE_E10value_typeEPNSK_ISF_E10value_typeEPSG_NS1_7vsmem_tEENKUlT_SE_SF_SG_E_clIS8_S8_S9_S9_EESD_ST_SE_SF_SG_EUlST_E_NS1_11comp_targetILNS1_3genE8ELNS1_11target_archE1030ELNS1_3gpuE2ELNS1_3repE0EEENS1_48merge_mergepath_partition_config_static_selectorELNS0_4arch9wavefront6targetE1EEEvSF_
                                        ; -- End function
	.section	.AMDGPU.csdata,"",@progbits
; Kernel info:
; codeLenInByte = 0
; NumSgprs: 4
; NumVgprs: 0
; NumAgprs: 0
; TotalNumVgprs: 0
; ScratchSize: 0
; MemoryBound: 0
; FloatMode: 240
; IeeeMode: 1
; LDSByteSize: 0 bytes/workgroup (compile time only)
; SGPRBlocks: 0
; VGPRBlocks: 0
; NumSGPRsForWavesPerEU: 4
; NumVGPRsForWavesPerEU: 1
; AccumOffset: 4
; Occupancy: 8
; WaveLimiterHint : 0
; COMPUTE_PGM_RSRC2:SCRATCH_EN: 0
; COMPUTE_PGM_RSRC2:USER_SGPR: 6
; COMPUTE_PGM_RSRC2:TRAP_HANDLER: 0
; COMPUTE_PGM_RSRC2:TGID_X_EN: 1
; COMPUTE_PGM_RSRC2:TGID_Y_EN: 0
; COMPUTE_PGM_RSRC2:TGID_Z_EN: 0
; COMPUTE_PGM_RSRC2:TIDIG_COMP_CNT: 0
; COMPUTE_PGM_RSRC3_GFX90A:ACCUM_OFFSET: 0
; COMPUTE_PGM_RSRC3_GFX90A:TG_SPLIT: 0
	.section	.text._ZN7rocprim17ROCPRIM_400000_NS6detail17trampoline_kernelINS0_14default_configENS1_38merge_sort_block_merge_config_selectorIiNS0_10empty_typeEEEZZNS1_27merge_sort_block_merge_implIS3_PiPS5_jNS1_19radix_merge_compareILb0ELb1EiNS0_19identity_decomposerEEEEE10hipError_tT0_T1_T2_jT3_P12ihipStream_tbPNSt15iterator_traitsISE_E10value_typeEPNSK_ISF_E10value_typeEPSG_NS1_7vsmem_tEENKUlT_SE_SF_SG_E_clIS8_S8_S9_S9_EESD_ST_SE_SF_SG_EUlST_E0_NS1_11comp_targetILNS1_3genE0ELNS1_11target_archE4294967295ELNS1_3gpuE0ELNS1_3repE0EEENS1_38merge_mergepath_config_static_selectorELNS0_4arch9wavefront6targetE1EEEvSF_,"axG",@progbits,_ZN7rocprim17ROCPRIM_400000_NS6detail17trampoline_kernelINS0_14default_configENS1_38merge_sort_block_merge_config_selectorIiNS0_10empty_typeEEEZZNS1_27merge_sort_block_merge_implIS3_PiPS5_jNS1_19radix_merge_compareILb0ELb1EiNS0_19identity_decomposerEEEEE10hipError_tT0_T1_T2_jT3_P12ihipStream_tbPNSt15iterator_traitsISE_E10value_typeEPNSK_ISF_E10value_typeEPSG_NS1_7vsmem_tEENKUlT_SE_SF_SG_E_clIS8_S8_S9_S9_EESD_ST_SE_SF_SG_EUlST_E0_NS1_11comp_targetILNS1_3genE0ELNS1_11target_archE4294967295ELNS1_3gpuE0ELNS1_3repE0EEENS1_38merge_mergepath_config_static_selectorELNS0_4arch9wavefront6targetE1EEEvSF_,comdat
	.protected	_ZN7rocprim17ROCPRIM_400000_NS6detail17trampoline_kernelINS0_14default_configENS1_38merge_sort_block_merge_config_selectorIiNS0_10empty_typeEEEZZNS1_27merge_sort_block_merge_implIS3_PiPS5_jNS1_19radix_merge_compareILb0ELb1EiNS0_19identity_decomposerEEEEE10hipError_tT0_T1_T2_jT3_P12ihipStream_tbPNSt15iterator_traitsISE_E10value_typeEPNSK_ISF_E10value_typeEPSG_NS1_7vsmem_tEENKUlT_SE_SF_SG_E_clIS8_S8_S9_S9_EESD_ST_SE_SF_SG_EUlST_E0_NS1_11comp_targetILNS1_3genE0ELNS1_11target_archE4294967295ELNS1_3gpuE0ELNS1_3repE0EEENS1_38merge_mergepath_config_static_selectorELNS0_4arch9wavefront6targetE1EEEvSF_ ; -- Begin function _ZN7rocprim17ROCPRIM_400000_NS6detail17trampoline_kernelINS0_14default_configENS1_38merge_sort_block_merge_config_selectorIiNS0_10empty_typeEEEZZNS1_27merge_sort_block_merge_implIS3_PiPS5_jNS1_19radix_merge_compareILb0ELb1EiNS0_19identity_decomposerEEEEE10hipError_tT0_T1_T2_jT3_P12ihipStream_tbPNSt15iterator_traitsISE_E10value_typeEPNSK_ISF_E10value_typeEPSG_NS1_7vsmem_tEENKUlT_SE_SF_SG_E_clIS8_S8_S9_S9_EESD_ST_SE_SF_SG_EUlST_E0_NS1_11comp_targetILNS1_3genE0ELNS1_11target_archE4294967295ELNS1_3gpuE0ELNS1_3repE0EEENS1_38merge_mergepath_config_static_selectorELNS0_4arch9wavefront6targetE1EEEvSF_
	.globl	_ZN7rocprim17ROCPRIM_400000_NS6detail17trampoline_kernelINS0_14default_configENS1_38merge_sort_block_merge_config_selectorIiNS0_10empty_typeEEEZZNS1_27merge_sort_block_merge_implIS3_PiPS5_jNS1_19radix_merge_compareILb0ELb1EiNS0_19identity_decomposerEEEEE10hipError_tT0_T1_T2_jT3_P12ihipStream_tbPNSt15iterator_traitsISE_E10value_typeEPNSK_ISF_E10value_typeEPSG_NS1_7vsmem_tEENKUlT_SE_SF_SG_E_clIS8_S8_S9_S9_EESD_ST_SE_SF_SG_EUlST_E0_NS1_11comp_targetILNS1_3genE0ELNS1_11target_archE4294967295ELNS1_3gpuE0ELNS1_3repE0EEENS1_38merge_mergepath_config_static_selectorELNS0_4arch9wavefront6targetE1EEEvSF_
	.p2align	8
	.type	_ZN7rocprim17ROCPRIM_400000_NS6detail17trampoline_kernelINS0_14default_configENS1_38merge_sort_block_merge_config_selectorIiNS0_10empty_typeEEEZZNS1_27merge_sort_block_merge_implIS3_PiPS5_jNS1_19radix_merge_compareILb0ELb1EiNS0_19identity_decomposerEEEEE10hipError_tT0_T1_T2_jT3_P12ihipStream_tbPNSt15iterator_traitsISE_E10value_typeEPNSK_ISF_E10value_typeEPSG_NS1_7vsmem_tEENKUlT_SE_SF_SG_E_clIS8_S8_S9_S9_EESD_ST_SE_SF_SG_EUlST_E0_NS1_11comp_targetILNS1_3genE0ELNS1_11target_archE4294967295ELNS1_3gpuE0ELNS1_3repE0EEENS1_38merge_mergepath_config_static_selectorELNS0_4arch9wavefront6targetE1EEEvSF_,@function
_ZN7rocprim17ROCPRIM_400000_NS6detail17trampoline_kernelINS0_14default_configENS1_38merge_sort_block_merge_config_selectorIiNS0_10empty_typeEEEZZNS1_27merge_sort_block_merge_implIS3_PiPS5_jNS1_19radix_merge_compareILb0ELb1EiNS0_19identity_decomposerEEEEE10hipError_tT0_T1_T2_jT3_P12ihipStream_tbPNSt15iterator_traitsISE_E10value_typeEPNSK_ISF_E10value_typeEPSG_NS1_7vsmem_tEENKUlT_SE_SF_SG_E_clIS8_S8_S9_S9_EESD_ST_SE_SF_SG_EUlST_E0_NS1_11comp_targetILNS1_3genE0ELNS1_11target_archE4294967295ELNS1_3gpuE0ELNS1_3repE0EEENS1_38merge_mergepath_config_static_selectorELNS0_4arch9wavefront6targetE1EEEvSF_: ; @_ZN7rocprim17ROCPRIM_400000_NS6detail17trampoline_kernelINS0_14default_configENS1_38merge_sort_block_merge_config_selectorIiNS0_10empty_typeEEEZZNS1_27merge_sort_block_merge_implIS3_PiPS5_jNS1_19radix_merge_compareILb0ELb1EiNS0_19identity_decomposerEEEEE10hipError_tT0_T1_T2_jT3_P12ihipStream_tbPNSt15iterator_traitsISE_E10value_typeEPNSK_ISF_E10value_typeEPSG_NS1_7vsmem_tEENKUlT_SE_SF_SG_E_clIS8_S8_S9_S9_EESD_ST_SE_SF_SG_EUlST_E0_NS1_11comp_targetILNS1_3genE0ELNS1_11target_archE4294967295ELNS1_3gpuE0ELNS1_3repE0EEENS1_38merge_mergepath_config_static_selectorELNS0_4arch9wavefront6targetE1EEEvSF_
; %bb.0:
	.section	.rodata,"a",@progbits
	.p2align	6, 0x0
	.amdhsa_kernel _ZN7rocprim17ROCPRIM_400000_NS6detail17trampoline_kernelINS0_14default_configENS1_38merge_sort_block_merge_config_selectorIiNS0_10empty_typeEEEZZNS1_27merge_sort_block_merge_implIS3_PiPS5_jNS1_19radix_merge_compareILb0ELb1EiNS0_19identity_decomposerEEEEE10hipError_tT0_T1_T2_jT3_P12ihipStream_tbPNSt15iterator_traitsISE_E10value_typeEPNSK_ISF_E10value_typeEPSG_NS1_7vsmem_tEENKUlT_SE_SF_SG_E_clIS8_S8_S9_S9_EESD_ST_SE_SF_SG_EUlST_E0_NS1_11comp_targetILNS1_3genE0ELNS1_11target_archE4294967295ELNS1_3gpuE0ELNS1_3repE0EEENS1_38merge_mergepath_config_static_selectorELNS0_4arch9wavefront6targetE1EEEvSF_
		.amdhsa_group_segment_fixed_size 0
		.amdhsa_private_segment_fixed_size 0
		.amdhsa_kernarg_size 64
		.amdhsa_user_sgpr_count 6
		.amdhsa_user_sgpr_private_segment_buffer 1
		.amdhsa_user_sgpr_dispatch_ptr 0
		.amdhsa_user_sgpr_queue_ptr 0
		.amdhsa_user_sgpr_kernarg_segment_ptr 1
		.amdhsa_user_sgpr_dispatch_id 0
		.amdhsa_user_sgpr_flat_scratch_init 0
		.amdhsa_user_sgpr_kernarg_preload_length 0
		.amdhsa_user_sgpr_kernarg_preload_offset 0
		.amdhsa_user_sgpr_private_segment_size 0
		.amdhsa_uses_dynamic_stack 0
		.amdhsa_system_sgpr_private_segment_wavefront_offset 0
		.amdhsa_system_sgpr_workgroup_id_x 1
		.amdhsa_system_sgpr_workgroup_id_y 0
		.amdhsa_system_sgpr_workgroup_id_z 0
		.amdhsa_system_sgpr_workgroup_info 0
		.amdhsa_system_vgpr_workitem_id 0
		.amdhsa_next_free_vgpr 1
		.amdhsa_next_free_sgpr 0
		.amdhsa_accum_offset 4
		.amdhsa_reserve_vcc 0
		.amdhsa_reserve_flat_scratch 0
		.amdhsa_float_round_mode_32 0
		.amdhsa_float_round_mode_16_64 0
		.amdhsa_float_denorm_mode_32 3
		.amdhsa_float_denorm_mode_16_64 3
		.amdhsa_dx10_clamp 1
		.amdhsa_ieee_mode 1
		.amdhsa_fp16_overflow 0
		.amdhsa_tg_split 0
		.amdhsa_exception_fp_ieee_invalid_op 0
		.amdhsa_exception_fp_denorm_src 0
		.amdhsa_exception_fp_ieee_div_zero 0
		.amdhsa_exception_fp_ieee_overflow 0
		.amdhsa_exception_fp_ieee_underflow 0
		.amdhsa_exception_fp_ieee_inexact 0
		.amdhsa_exception_int_div_zero 0
	.end_amdhsa_kernel
	.section	.text._ZN7rocprim17ROCPRIM_400000_NS6detail17trampoline_kernelINS0_14default_configENS1_38merge_sort_block_merge_config_selectorIiNS0_10empty_typeEEEZZNS1_27merge_sort_block_merge_implIS3_PiPS5_jNS1_19radix_merge_compareILb0ELb1EiNS0_19identity_decomposerEEEEE10hipError_tT0_T1_T2_jT3_P12ihipStream_tbPNSt15iterator_traitsISE_E10value_typeEPNSK_ISF_E10value_typeEPSG_NS1_7vsmem_tEENKUlT_SE_SF_SG_E_clIS8_S8_S9_S9_EESD_ST_SE_SF_SG_EUlST_E0_NS1_11comp_targetILNS1_3genE0ELNS1_11target_archE4294967295ELNS1_3gpuE0ELNS1_3repE0EEENS1_38merge_mergepath_config_static_selectorELNS0_4arch9wavefront6targetE1EEEvSF_,"axG",@progbits,_ZN7rocprim17ROCPRIM_400000_NS6detail17trampoline_kernelINS0_14default_configENS1_38merge_sort_block_merge_config_selectorIiNS0_10empty_typeEEEZZNS1_27merge_sort_block_merge_implIS3_PiPS5_jNS1_19radix_merge_compareILb0ELb1EiNS0_19identity_decomposerEEEEE10hipError_tT0_T1_T2_jT3_P12ihipStream_tbPNSt15iterator_traitsISE_E10value_typeEPNSK_ISF_E10value_typeEPSG_NS1_7vsmem_tEENKUlT_SE_SF_SG_E_clIS8_S8_S9_S9_EESD_ST_SE_SF_SG_EUlST_E0_NS1_11comp_targetILNS1_3genE0ELNS1_11target_archE4294967295ELNS1_3gpuE0ELNS1_3repE0EEENS1_38merge_mergepath_config_static_selectorELNS0_4arch9wavefront6targetE1EEEvSF_,comdat
.Lfunc_end616:
	.size	_ZN7rocprim17ROCPRIM_400000_NS6detail17trampoline_kernelINS0_14default_configENS1_38merge_sort_block_merge_config_selectorIiNS0_10empty_typeEEEZZNS1_27merge_sort_block_merge_implIS3_PiPS5_jNS1_19radix_merge_compareILb0ELb1EiNS0_19identity_decomposerEEEEE10hipError_tT0_T1_T2_jT3_P12ihipStream_tbPNSt15iterator_traitsISE_E10value_typeEPNSK_ISF_E10value_typeEPSG_NS1_7vsmem_tEENKUlT_SE_SF_SG_E_clIS8_S8_S9_S9_EESD_ST_SE_SF_SG_EUlST_E0_NS1_11comp_targetILNS1_3genE0ELNS1_11target_archE4294967295ELNS1_3gpuE0ELNS1_3repE0EEENS1_38merge_mergepath_config_static_selectorELNS0_4arch9wavefront6targetE1EEEvSF_, .Lfunc_end616-_ZN7rocprim17ROCPRIM_400000_NS6detail17trampoline_kernelINS0_14default_configENS1_38merge_sort_block_merge_config_selectorIiNS0_10empty_typeEEEZZNS1_27merge_sort_block_merge_implIS3_PiPS5_jNS1_19radix_merge_compareILb0ELb1EiNS0_19identity_decomposerEEEEE10hipError_tT0_T1_T2_jT3_P12ihipStream_tbPNSt15iterator_traitsISE_E10value_typeEPNSK_ISF_E10value_typeEPSG_NS1_7vsmem_tEENKUlT_SE_SF_SG_E_clIS8_S8_S9_S9_EESD_ST_SE_SF_SG_EUlST_E0_NS1_11comp_targetILNS1_3genE0ELNS1_11target_archE4294967295ELNS1_3gpuE0ELNS1_3repE0EEENS1_38merge_mergepath_config_static_selectorELNS0_4arch9wavefront6targetE1EEEvSF_
                                        ; -- End function
	.section	.AMDGPU.csdata,"",@progbits
; Kernel info:
; codeLenInByte = 0
; NumSgprs: 4
; NumVgprs: 0
; NumAgprs: 0
; TotalNumVgprs: 0
; ScratchSize: 0
; MemoryBound: 0
; FloatMode: 240
; IeeeMode: 1
; LDSByteSize: 0 bytes/workgroup (compile time only)
; SGPRBlocks: 0
; VGPRBlocks: 0
; NumSGPRsForWavesPerEU: 4
; NumVGPRsForWavesPerEU: 1
; AccumOffset: 4
; Occupancy: 8
; WaveLimiterHint : 0
; COMPUTE_PGM_RSRC2:SCRATCH_EN: 0
; COMPUTE_PGM_RSRC2:USER_SGPR: 6
; COMPUTE_PGM_RSRC2:TRAP_HANDLER: 0
; COMPUTE_PGM_RSRC2:TGID_X_EN: 1
; COMPUTE_PGM_RSRC2:TGID_Y_EN: 0
; COMPUTE_PGM_RSRC2:TGID_Z_EN: 0
; COMPUTE_PGM_RSRC2:TIDIG_COMP_CNT: 0
; COMPUTE_PGM_RSRC3_GFX90A:ACCUM_OFFSET: 0
; COMPUTE_PGM_RSRC3_GFX90A:TG_SPLIT: 0
	.section	.text._ZN7rocprim17ROCPRIM_400000_NS6detail17trampoline_kernelINS0_14default_configENS1_38merge_sort_block_merge_config_selectorIiNS0_10empty_typeEEEZZNS1_27merge_sort_block_merge_implIS3_PiPS5_jNS1_19radix_merge_compareILb0ELb1EiNS0_19identity_decomposerEEEEE10hipError_tT0_T1_T2_jT3_P12ihipStream_tbPNSt15iterator_traitsISE_E10value_typeEPNSK_ISF_E10value_typeEPSG_NS1_7vsmem_tEENKUlT_SE_SF_SG_E_clIS8_S8_S9_S9_EESD_ST_SE_SF_SG_EUlST_E0_NS1_11comp_targetILNS1_3genE10ELNS1_11target_archE1201ELNS1_3gpuE5ELNS1_3repE0EEENS1_38merge_mergepath_config_static_selectorELNS0_4arch9wavefront6targetE1EEEvSF_,"axG",@progbits,_ZN7rocprim17ROCPRIM_400000_NS6detail17trampoline_kernelINS0_14default_configENS1_38merge_sort_block_merge_config_selectorIiNS0_10empty_typeEEEZZNS1_27merge_sort_block_merge_implIS3_PiPS5_jNS1_19radix_merge_compareILb0ELb1EiNS0_19identity_decomposerEEEEE10hipError_tT0_T1_T2_jT3_P12ihipStream_tbPNSt15iterator_traitsISE_E10value_typeEPNSK_ISF_E10value_typeEPSG_NS1_7vsmem_tEENKUlT_SE_SF_SG_E_clIS8_S8_S9_S9_EESD_ST_SE_SF_SG_EUlST_E0_NS1_11comp_targetILNS1_3genE10ELNS1_11target_archE1201ELNS1_3gpuE5ELNS1_3repE0EEENS1_38merge_mergepath_config_static_selectorELNS0_4arch9wavefront6targetE1EEEvSF_,comdat
	.protected	_ZN7rocprim17ROCPRIM_400000_NS6detail17trampoline_kernelINS0_14default_configENS1_38merge_sort_block_merge_config_selectorIiNS0_10empty_typeEEEZZNS1_27merge_sort_block_merge_implIS3_PiPS5_jNS1_19radix_merge_compareILb0ELb1EiNS0_19identity_decomposerEEEEE10hipError_tT0_T1_T2_jT3_P12ihipStream_tbPNSt15iterator_traitsISE_E10value_typeEPNSK_ISF_E10value_typeEPSG_NS1_7vsmem_tEENKUlT_SE_SF_SG_E_clIS8_S8_S9_S9_EESD_ST_SE_SF_SG_EUlST_E0_NS1_11comp_targetILNS1_3genE10ELNS1_11target_archE1201ELNS1_3gpuE5ELNS1_3repE0EEENS1_38merge_mergepath_config_static_selectorELNS0_4arch9wavefront6targetE1EEEvSF_ ; -- Begin function _ZN7rocprim17ROCPRIM_400000_NS6detail17trampoline_kernelINS0_14default_configENS1_38merge_sort_block_merge_config_selectorIiNS0_10empty_typeEEEZZNS1_27merge_sort_block_merge_implIS3_PiPS5_jNS1_19radix_merge_compareILb0ELb1EiNS0_19identity_decomposerEEEEE10hipError_tT0_T1_T2_jT3_P12ihipStream_tbPNSt15iterator_traitsISE_E10value_typeEPNSK_ISF_E10value_typeEPSG_NS1_7vsmem_tEENKUlT_SE_SF_SG_E_clIS8_S8_S9_S9_EESD_ST_SE_SF_SG_EUlST_E0_NS1_11comp_targetILNS1_3genE10ELNS1_11target_archE1201ELNS1_3gpuE5ELNS1_3repE0EEENS1_38merge_mergepath_config_static_selectorELNS0_4arch9wavefront6targetE1EEEvSF_
	.globl	_ZN7rocprim17ROCPRIM_400000_NS6detail17trampoline_kernelINS0_14default_configENS1_38merge_sort_block_merge_config_selectorIiNS0_10empty_typeEEEZZNS1_27merge_sort_block_merge_implIS3_PiPS5_jNS1_19radix_merge_compareILb0ELb1EiNS0_19identity_decomposerEEEEE10hipError_tT0_T1_T2_jT3_P12ihipStream_tbPNSt15iterator_traitsISE_E10value_typeEPNSK_ISF_E10value_typeEPSG_NS1_7vsmem_tEENKUlT_SE_SF_SG_E_clIS8_S8_S9_S9_EESD_ST_SE_SF_SG_EUlST_E0_NS1_11comp_targetILNS1_3genE10ELNS1_11target_archE1201ELNS1_3gpuE5ELNS1_3repE0EEENS1_38merge_mergepath_config_static_selectorELNS0_4arch9wavefront6targetE1EEEvSF_
	.p2align	8
	.type	_ZN7rocprim17ROCPRIM_400000_NS6detail17trampoline_kernelINS0_14default_configENS1_38merge_sort_block_merge_config_selectorIiNS0_10empty_typeEEEZZNS1_27merge_sort_block_merge_implIS3_PiPS5_jNS1_19radix_merge_compareILb0ELb1EiNS0_19identity_decomposerEEEEE10hipError_tT0_T1_T2_jT3_P12ihipStream_tbPNSt15iterator_traitsISE_E10value_typeEPNSK_ISF_E10value_typeEPSG_NS1_7vsmem_tEENKUlT_SE_SF_SG_E_clIS8_S8_S9_S9_EESD_ST_SE_SF_SG_EUlST_E0_NS1_11comp_targetILNS1_3genE10ELNS1_11target_archE1201ELNS1_3gpuE5ELNS1_3repE0EEENS1_38merge_mergepath_config_static_selectorELNS0_4arch9wavefront6targetE1EEEvSF_,@function
_ZN7rocprim17ROCPRIM_400000_NS6detail17trampoline_kernelINS0_14default_configENS1_38merge_sort_block_merge_config_selectorIiNS0_10empty_typeEEEZZNS1_27merge_sort_block_merge_implIS3_PiPS5_jNS1_19radix_merge_compareILb0ELb1EiNS0_19identity_decomposerEEEEE10hipError_tT0_T1_T2_jT3_P12ihipStream_tbPNSt15iterator_traitsISE_E10value_typeEPNSK_ISF_E10value_typeEPSG_NS1_7vsmem_tEENKUlT_SE_SF_SG_E_clIS8_S8_S9_S9_EESD_ST_SE_SF_SG_EUlST_E0_NS1_11comp_targetILNS1_3genE10ELNS1_11target_archE1201ELNS1_3gpuE5ELNS1_3repE0EEENS1_38merge_mergepath_config_static_selectorELNS0_4arch9wavefront6targetE1EEEvSF_: ; @_ZN7rocprim17ROCPRIM_400000_NS6detail17trampoline_kernelINS0_14default_configENS1_38merge_sort_block_merge_config_selectorIiNS0_10empty_typeEEEZZNS1_27merge_sort_block_merge_implIS3_PiPS5_jNS1_19radix_merge_compareILb0ELb1EiNS0_19identity_decomposerEEEEE10hipError_tT0_T1_T2_jT3_P12ihipStream_tbPNSt15iterator_traitsISE_E10value_typeEPNSK_ISF_E10value_typeEPSG_NS1_7vsmem_tEENKUlT_SE_SF_SG_E_clIS8_S8_S9_S9_EESD_ST_SE_SF_SG_EUlST_E0_NS1_11comp_targetILNS1_3genE10ELNS1_11target_archE1201ELNS1_3gpuE5ELNS1_3repE0EEENS1_38merge_mergepath_config_static_selectorELNS0_4arch9wavefront6targetE1EEEvSF_
; %bb.0:
	.section	.rodata,"a",@progbits
	.p2align	6, 0x0
	.amdhsa_kernel _ZN7rocprim17ROCPRIM_400000_NS6detail17trampoline_kernelINS0_14default_configENS1_38merge_sort_block_merge_config_selectorIiNS0_10empty_typeEEEZZNS1_27merge_sort_block_merge_implIS3_PiPS5_jNS1_19radix_merge_compareILb0ELb1EiNS0_19identity_decomposerEEEEE10hipError_tT0_T1_T2_jT3_P12ihipStream_tbPNSt15iterator_traitsISE_E10value_typeEPNSK_ISF_E10value_typeEPSG_NS1_7vsmem_tEENKUlT_SE_SF_SG_E_clIS8_S8_S9_S9_EESD_ST_SE_SF_SG_EUlST_E0_NS1_11comp_targetILNS1_3genE10ELNS1_11target_archE1201ELNS1_3gpuE5ELNS1_3repE0EEENS1_38merge_mergepath_config_static_selectorELNS0_4arch9wavefront6targetE1EEEvSF_
		.amdhsa_group_segment_fixed_size 0
		.amdhsa_private_segment_fixed_size 0
		.amdhsa_kernarg_size 64
		.amdhsa_user_sgpr_count 6
		.amdhsa_user_sgpr_private_segment_buffer 1
		.amdhsa_user_sgpr_dispatch_ptr 0
		.amdhsa_user_sgpr_queue_ptr 0
		.amdhsa_user_sgpr_kernarg_segment_ptr 1
		.amdhsa_user_sgpr_dispatch_id 0
		.amdhsa_user_sgpr_flat_scratch_init 0
		.amdhsa_user_sgpr_kernarg_preload_length 0
		.amdhsa_user_sgpr_kernarg_preload_offset 0
		.amdhsa_user_sgpr_private_segment_size 0
		.amdhsa_uses_dynamic_stack 0
		.amdhsa_system_sgpr_private_segment_wavefront_offset 0
		.amdhsa_system_sgpr_workgroup_id_x 1
		.amdhsa_system_sgpr_workgroup_id_y 0
		.amdhsa_system_sgpr_workgroup_id_z 0
		.amdhsa_system_sgpr_workgroup_info 0
		.amdhsa_system_vgpr_workitem_id 0
		.amdhsa_next_free_vgpr 1
		.amdhsa_next_free_sgpr 0
		.amdhsa_accum_offset 4
		.amdhsa_reserve_vcc 0
		.amdhsa_reserve_flat_scratch 0
		.amdhsa_float_round_mode_32 0
		.amdhsa_float_round_mode_16_64 0
		.amdhsa_float_denorm_mode_32 3
		.amdhsa_float_denorm_mode_16_64 3
		.amdhsa_dx10_clamp 1
		.amdhsa_ieee_mode 1
		.amdhsa_fp16_overflow 0
		.amdhsa_tg_split 0
		.amdhsa_exception_fp_ieee_invalid_op 0
		.amdhsa_exception_fp_denorm_src 0
		.amdhsa_exception_fp_ieee_div_zero 0
		.amdhsa_exception_fp_ieee_overflow 0
		.amdhsa_exception_fp_ieee_underflow 0
		.amdhsa_exception_fp_ieee_inexact 0
		.amdhsa_exception_int_div_zero 0
	.end_amdhsa_kernel
	.section	.text._ZN7rocprim17ROCPRIM_400000_NS6detail17trampoline_kernelINS0_14default_configENS1_38merge_sort_block_merge_config_selectorIiNS0_10empty_typeEEEZZNS1_27merge_sort_block_merge_implIS3_PiPS5_jNS1_19radix_merge_compareILb0ELb1EiNS0_19identity_decomposerEEEEE10hipError_tT0_T1_T2_jT3_P12ihipStream_tbPNSt15iterator_traitsISE_E10value_typeEPNSK_ISF_E10value_typeEPSG_NS1_7vsmem_tEENKUlT_SE_SF_SG_E_clIS8_S8_S9_S9_EESD_ST_SE_SF_SG_EUlST_E0_NS1_11comp_targetILNS1_3genE10ELNS1_11target_archE1201ELNS1_3gpuE5ELNS1_3repE0EEENS1_38merge_mergepath_config_static_selectorELNS0_4arch9wavefront6targetE1EEEvSF_,"axG",@progbits,_ZN7rocprim17ROCPRIM_400000_NS6detail17trampoline_kernelINS0_14default_configENS1_38merge_sort_block_merge_config_selectorIiNS0_10empty_typeEEEZZNS1_27merge_sort_block_merge_implIS3_PiPS5_jNS1_19radix_merge_compareILb0ELb1EiNS0_19identity_decomposerEEEEE10hipError_tT0_T1_T2_jT3_P12ihipStream_tbPNSt15iterator_traitsISE_E10value_typeEPNSK_ISF_E10value_typeEPSG_NS1_7vsmem_tEENKUlT_SE_SF_SG_E_clIS8_S8_S9_S9_EESD_ST_SE_SF_SG_EUlST_E0_NS1_11comp_targetILNS1_3genE10ELNS1_11target_archE1201ELNS1_3gpuE5ELNS1_3repE0EEENS1_38merge_mergepath_config_static_selectorELNS0_4arch9wavefront6targetE1EEEvSF_,comdat
.Lfunc_end617:
	.size	_ZN7rocprim17ROCPRIM_400000_NS6detail17trampoline_kernelINS0_14default_configENS1_38merge_sort_block_merge_config_selectorIiNS0_10empty_typeEEEZZNS1_27merge_sort_block_merge_implIS3_PiPS5_jNS1_19radix_merge_compareILb0ELb1EiNS0_19identity_decomposerEEEEE10hipError_tT0_T1_T2_jT3_P12ihipStream_tbPNSt15iterator_traitsISE_E10value_typeEPNSK_ISF_E10value_typeEPSG_NS1_7vsmem_tEENKUlT_SE_SF_SG_E_clIS8_S8_S9_S9_EESD_ST_SE_SF_SG_EUlST_E0_NS1_11comp_targetILNS1_3genE10ELNS1_11target_archE1201ELNS1_3gpuE5ELNS1_3repE0EEENS1_38merge_mergepath_config_static_selectorELNS0_4arch9wavefront6targetE1EEEvSF_, .Lfunc_end617-_ZN7rocprim17ROCPRIM_400000_NS6detail17trampoline_kernelINS0_14default_configENS1_38merge_sort_block_merge_config_selectorIiNS0_10empty_typeEEEZZNS1_27merge_sort_block_merge_implIS3_PiPS5_jNS1_19radix_merge_compareILb0ELb1EiNS0_19identity_decomposerEEEEE10hipError_tT0_T1_T2_jT3_P12ihipStream_tbPNSt15iterator_traitsISE_E10value_typeEPNSK_ISF_E10value_typeEPSG_NS1_7vsmem_tEENKUlT_SE_SF_SG_E_clIS8_S8_S9_S9_EESD_ST_SE_SF_SG_EUlST_E0_NS1_11comp_targetILNS1_3genE10ELNS1_11target_archE1201ELNS1_3gpuE5ELNS1_3repE0EEENS1_38merge_mergepath_config_static_selectorELNS0_4arch9wavefront6targetE1EEEvSF_
                                        ; -- End function
	.section	.AMDGPU.csdata,"",@progbits
; Kernel info:
; codeLenInByte = 0
; NumSgprs: 4
; NumVgprs: 0
; NumAgprs: 0
; TotalNumVgprs: 0
; ScratchSize: 0
; MemoryBound: 0
; FloatMode: 240
; IeeeMode: 1
; LDSByteSize: 0 bytes/workgroup (compile time only)
; SGPRBlocks: 0
; VGPRBlocks: 0
; NumSGPRsForWavesPerEU: 4
; NumVGPRsForWavesPerEU: 1
; AccumOffset: 4
; Occupancy: 8
; WaveLimiterHint : 0
; COMPUTE_PGM_RSRC2:SCRATCH_EN: 0
; COMPUTE_PGM_RSRC2:USER_SGPR: 6
; COMPUTE_PGM_RSRC2:TRAP_HANDLER: 0
; COMPUTE_PGM_RSRC2:TGID_X_EN: 1
; COMPUTE_PGM_RSRC2:TGID_Y_EN: 0
; COMPUTE_PGM_RSRC2:TGID_Z_EN: 0
; COMPUTE_PGM_RSRC2:TIDIG_COMP_CNT: 0
; COMPUTE_PGM_RSRC3_GFX90A:ACCUM_OFFSET: 0
; COMPUTE_PGM_RSRC3_GFX90A:TG_SPLIT: 0
	.section	.text._ZN7rocprim17ROCPRIM_400000_NS6detail17trampoline_kernelINS0_14default_configENS1_38merge_sort_block_merge_config_selectorIiNS0_10empty_typeEEEZZNS1_27merge_sort_block_merge_implIS3_PiPS5_jNS1_19radix_merge_compareILb0ELb1EiNS0_19identity_decomposerEEEEE10hipError_tT0_T1_T2_jT3_P12ihipStream_tbPNSt15iterator_traitsISE_E10value_typeEPNSK_ISF_E10value_typeEPSG_NS1_7vsmem_tEENKUlT_SE_SF_SG_E_clIS8_S8_S9_S9_EESD_ST_SE_SF_SG_EUlST_E0_NS1_11comp_targetILNS1_3genE5ELNS1_11target_archE942ELNS1_3gpuE9ELNS1_3repE0EEENS1_38merge_mergepath_config_static_selectorELNS0_4arch9wavefront6targetE1EEEvSF_,"axG",@progbits,_ZN7rocprim17ROCPRIM_400000_NS6detail17trampoline_kernelINS0_14default_configENS1_38merge_sort_block_merge_config_selectorIiNS0_10empty_typeEEEZZNS1_27merge_sort_block_merge_implIS3_PiPS5_jNS1_19radix_merge_compareILb0ELb1EiNS0_19identity_decomposerEEEEE10hipError_tT0_T1_T2_jT3_P12ihipStream_tbPNSt15iterator_traitsISE_E10value_typeEPNSK_ISF_E10value_typeEPSG_NS1_7vsmem_tEENKUlT_SE_SF_SG_E_clIS8_S8_S9_S9_EESD_ST_SE_SF_SG_EUlST_E0_NS1_11comp_targetILNS1_3genE5ELNS1_11target_archE942ELNS1_3gpuE9ELNS1_3repE0EEENS1_38merge_mergepath_config_static_selectorELNS0_4arch9wavefront6targetE1EEEvSF_,comdat
	.protected	_ZN7rocprim17ROCPRIM_400000_NS6detail17trampoline_kernelINS0_14default_configENS1_38merge_sort_block_merge_config_selectorIiNS0_10empty_typeEEEZZNS1_27merge_sort_block_merge_implIS3_PiPS5_jNS1_19radix_merge_compareILb0ELb1EiNS0_19identity_decomposerEEEEE10hipError_tT0_T1_T2_jT3_P12ihipStream_tbPNSt15iterator_traitsISE_E10value_typeEPNSK_ISF_E10value_typeEPSG_NS1_7vsmem_tEENKUlT_SE_SF_SG_E_clIS8_S8_S9_S9_EESD_ST_SE_SF_SG_EUlST_E0_NS1_11comp_targetILNS1_3genE5ELNS1_11target_archE942ELNS1_3gpuE9ELNS1_3repE0EEENS1_38merge_mergepath_config_static_selectorELNS0_4arch9wavefront6targetE1EEEvSF_ ; -- Begin function _ZN7rocprim17ROCPRIM_400000_NS6detail17trampoline_kernelINS0_14default_configENS1_38merge_sort_block_merge_config_selectorIiNS0_10empty_typeEEEZZNS1_27merge_sort_block_merge_implIS3_PiPS5_jNS1_19radix_merge_compareILb0ELb1EiNS0_19identity_decomposerEEEEE10hipError_tT0_T1_T2_jT3_P12ihipStream_tbPNSt15iterator_traitsISE_E10value_typeEPNSK_ISF_E10value_typeEPSG_NS1_7vsmem_tEENKUlT_SE_SF_SG_E_clIS8_S8_S9_S9_EESD_ST_SE_SF_SG_EUlST_E0_NS1_11comp_targetILNS1_3genE5ELNS1_11target_archE942ELNS1_3gpuE9ELNS1_3repE0EEENS1_38merge_mergepath_config_static_selectorELNS0_4arch9wavefront6targetE1EEEvSF_
	.globl	_ZN7rocprim17ROCPRIM_400000_NS6detail17trampoline_kernelINS0_14default_configENS1_38merge_sort_block_merge_config_selectorIiNS0_10empty_typeEEEZZNS1_27merge_sort_block_merge_implIS3_PiPS5_jNS1_19radix_merge_compareILb0ELb1EiNS0_19identity_decomposerEEEEE10hipError_tT0_T1_T2_jT3_P12ihipStream_tbPNSt15iterator_traitsISE_E10value_typeEPNSK_ISF_E10value_typeEPSG_NS1_7vsmem_tEENKUlT_SE_SF_SG_E_clIS8_S8_S9_S9_EESD_ST_SE_SF_SG_EUlST_E0_NS1_11comp_targetILNS1_3genE5ELNS1_11target_archE942ELNS1_3gpuE9ELNS1_3repE0EEENS1_38merge_mergepath_config_static_selectorELNS0_4arch9wavefront6targetE1EEEvSF_
	.p2align	8
	.type	_ZN7rocprim17ROCPRIM_400000_NS6detail17trampoline_kernelINS0_14default_configENS1_38merge_sort_block_merge_config_selectorIiNS0_10empty_typeEEEZZNS1_27merge_sort_block_merge_implIS3_PiPS5_jNS1_19radix_merge_compareILb0ELb1EiNS0_19identity_decomposerEEEEE10hipError_tT0_T1_T2_jT3_P12ihipStream_tbPNSt15iterator_traitsISE_E10value_typeEPNSK_ISF_E10value_typeEPSG_NS1_7vsmem_tEENKUlT_SE_SF_SG_E_clIS8_S8_S9_S9_EESD_ST_SE_SF_SG_EUlST_E0_NS1_11comp_targetILNS1_3genE5ELNS1_11target_archE942ELNS1_3gpuE9ELNS1_3repE0EEENS1_38merge_mergepath_config_static_selectorELNS0_4arch9wavefront6targetE1EEEvSF_,@function
_ZN7rocprim17ROCPRIM_400000_NS6detail17trampoline_kernelINS0_14default_configENS1_38merge_sort_block_merge_config_selectorIiNS0_10empty_typeEEEZZNS1_27merge_sort_block_merge_implIS3_PiPS5_jNS1_19radix_merge_compareILb0ELb1EiNS0_19identity_decomposerEEEEE10hipError_tT0_T1_T2_jT3_P12ihipStream_tbPNSt15iterator_traitsISE_E10value_typeEPNSK_ISF_E10value_typeEPSG_NS1_7vsmem_tEENKUlT_SE_SF_SG_E_clIS8_S8_S9_S9_EESD_ST_SE_SF_SG_EUlST_E0_NS1_11comp_targetILNS1_3genE5ELNS1_11target_archE942ELNS1_3gpuE9ELNS1_3repE0EEENS1_38merge_mergepath_config_static_selectorELNS0_4arch9wavefront6targetE1EEEvSF_: ; @_ZN7rocprim17ROCPRIM_400000_NS6detail17trampoline_kernelINS0_14default_configENS1_38merge_sort_block_merge_config_selectorIiNS0_10empty_typeEEEZZNS1_27merge_sort_block_merge_implIS3_PiPS5_jNS1_19radix_merge_compareILb0ELb1EiNS0_19identity_decomposerEEEEE10hipError_tT0_T1_T2_jT3_P12ihipStream_tbPNSt15iterator_traitsISE_E10value_typeEPNSK_ISF_E10value_typeEPSG_NS1_7vsmem_tEENKUlT_SE_SF_SG_E_clIS8_S8_S9_S9_EESD_ST_SE_SF_SG_EUlST_E0_NS1_11comp_targetILNS1_3genE5ELNS1_11target_archE942ELNS1_3gpuE9ELNS1_3repE0EEENS1_38merge_mergepath_config_static_selectorELNS0_4arch9wavefront6targetE1EEEvSF_
; %bb.0:
	.section	.rodata,"a",@progbits
	.p2align	6, 0x0
	.amdhsa_kernel _ZN7rocprim17ROCPRIM_400000_NS6detail17trampoline_kernelINS0_14default_configENS1_38merge_sort_block_merge_config_selectorIiNS0_10empty_typeEEEZZNS1_27merge_sort_block_merge_implIS3_PiPS5_jNS1_19radix_merge_compareILb0ELb1EiNS0_19identity_decomposerEEEEE10hipError_tT0_T1_T2_jT3_P12ihipStream_tbPNSt15iterator_traitsISE_E10value_typeEPNSK_ISF_E10value_typeEPSG_NS1_7vsmem_tEENKUlT_SE_SF_SG_E_clIS8_S8_S9_S9_EESD_ST_SE_SF_SG_EUlST_E0_NS1_11comp_targetILNS1_3genE5ELNS1_11target_archE942ELNS1_3gpuE9ELNS1_3repE0EEENS1_38merge_mergepath_config_static_selectorELNS0_4arch9wavefront6targetE1EEEvSF_
		.amdhsa_group_segment_fixed_size 0
		.amdhsa_private_segment_fixed_size 0
		.amdhsa_kernarg_size 64
		.amdhsa_user_sgpr_count 6
		.amdhsa_user_sgpr_private_segment_buffer 1
		.amdhsa_user_sgpr_dispatch_ptr 0
		.amdhsa_user_sgpr_queue_ptr 0
		.amdhsa_user_sgpr_kernarg_segment_ptr 1
		.amdhsa_user_sgpr_dispatch_id 0
		.amdhsa_user_sgpr_flat_scratch_init 0
		.amdhsa_user_sgpr_kernarg_preload_length 0
		.amdhsa_user_sgpr_kernarg_preload_offset 0
		.amdhsa_user_sgpr_private_segment_size 0
		.amdhsa_uses_dynamic_stack 0
		.amdhsa_system_sgpr_private_segment_wavefront_offset 0
		.amdhsa_system_sgpr_workgroup_id_x 1
		.amdhsa_system_sgpr_workgroup_id_y 0
		.amdhsa_system_sgpr_workgroup_id_z 0
		.amdhsa_system_sgpr_workgroup_info 0
		.amdhsa_system_vgpr_workitem_id 0
		.amdhsa_next_free_vgpr 1
		.amdhsa_next_free_sgpr 0
		.amdhsa_accum_offset 4
		.amdhsa_reserve_vcc 0
		.amdhsa_reserve_flat_scratch 0
		.amdhsa_float_round_mode_32 0
		.amdhsa_float_round_mode_16_64 0
		.amdhsa_float_denorm_mode_32 3
		.amdhsa_float_denorm_mode_16_64 3
		.amdhsa_dx10_clamp 1
		.amdhsa_ieee_mode 1
		.amdhsa_fp16_overflow 0
		.amdhsa_tg_split 0
		.amdhsa_exception_fp_ieee_invalid_op 0
		.amdhsa_exception_fp_denorm_src 0
		.amdhsa_exception_fp_ieee_div_zero 0
		.amdhsa_exception_fp_ieee_overflow 0
		.amdhsa_exception_fp_ieee_underflow 0
		.amdhsa_exception_fp_ieee_inexact 0
		.amdhsa_exception_int_div_zero 0
	.end_amdhsa_kernel
	.section	.text._ZN7rocprim17ROCPRIM_400000_NS6detail17trampoline_kernelINS0_14default_configENS1_38merge_sort_block_merge_config_selectorIiNS0_10empty_typeEEEZZNS1_27merge_sort_block_merge_implIS3_PiPS5_jNS1_19radix_merge_compareILb0ELb1EiNS0_19identity_decomposerEEEEE10hipError_tT0_T1_T2_jT3_P12ihipStream_tbPNSt15iterator_traitsISE_E10value_typeEPNSK_ISF_E10value_typeEPSG_NS1_7vsmem_tEENKUlT_SE_SF_SG_E_clIS8_S8_S9_S9_EESD_ST_SE_SF_SG_EUlST_E0_NS1_11comp_targetILNS1_3genE5ELNS1_11target_archE942ELNS1_3gpuE9ELNS1_3repE0EEENS1_38merge_mergepath_config_static_selectorELNS0_4arch9wavefront6targetE1EEEvSF_,"axG",@progbits,_ZN7rocprim17ROCPRIM_400000_NS6detail17trampoline_kernelINS0_14default_configENS1_38merge_sort_block_merge_config_selectorIiNS0_10empty_typeEEEZZNS1_27merge_sort_block_merge_implIS3_PiPS5_jNS1_19radix_merge_compareILb0ELb1EiNS0_19identity_decomposerEEEEE10hipError_tT0_T1_T2_jT3_P12ihipStream_tbPNSt15iterator_traitsISE_E10value_typeEPNSK_ISF_E10value_typeEPSG_NS1_7vsmem_tEENKUlT_SE_SF_SG_E_clIS8_S8_S9_S9_EESD_ST_SE_SF_SG_EUlST_E0_NS1_11comp_targetILNS1_3genE5ELNS1_11target_archE942ELNS1_3gpuE9ELNS1_3repE0EEENS1_38merge_mergepath_config_static_selectorELNS0_4arch9wavefront6targetE1EEEvSF_,comdat
.Lfunc_end618:
	.size	_ZN7rocprim17ROCPRIM_400000_NS6detail17trampoline_kernelINS0_14default_configENS1_38merge_sort_block_merge_config_selectorIiNS0_10empty_typeEEEZZNS1_27merge_sort_block_merge_implIS3_PiPS5_jNS1_19radix_merge_compareILb0ELb1EiNS0_19identity_decomposerEEEEE10hipError_tT0_T1_T2_jT3_P12ihipStream_tbPNSt15iterator_traitsISE_E10value_typeEPNSK_ISF_E10value_typeEPSG_NS1_7vsmem_tEENKUlT_SE_SF_SG_E_clIS8_S8_S9_S9_EESD_ST_SE_SF_SG_EUlST_E0_NS1_11comp_targetILNS1_3genE5ELNS1_11target_archE942ELNS1_3gpuE9ELNS1_3repE0EEENS1_38merge_mergepath_config_static_selectorELNS0_4arch9wavefront6targetE1EEEvSF_, .Lfunc_end618-_ZN7rocprim17ROCPRIM_400000_NS6detail17trampoline_kernelINS0_14default_configENS1_38merge_sort_block_merge_config_selectorIiNS0_10empty_typeEEEZZNS1_27merge_sort_block_merge_implIS3_PiPS5_jNS1_19radix_merge_compareILb0ELb1EiNS0_19identity_decomposerEEEEE10hipError_tT0_T1_T2_jT3_P12ihipStream_tbPNSt15iterator_traitsISE_E10value_typeEPNSK_ISF_E10value_typeEPSG_NS1_7vsmem_tEENKUlT_SE_SF_SG_E_clIS8_S8_S9_S9_EESD_ST_SE_SF_SG_EUlST_E0_NS1_11comp_targetILNS1_3genE5ELNS1_11target_archE942ELNS1_3gpuE9ELNS1_3repE0EEENS1_38merge_mergepath_config_static_selectorELNS0_4arch9wavefront6targetE1EEEvSF_
                                        ; -- End function
	.section	.AMDGPU.csdata,"",@progbits
; Kernel info:
; codeLenInByte = 0
; NumSgprs: 4
; NumVgprs: 0
; NumAgprs: 0
; TotalNumVgprs: 0
; ScratchSize: 0
; MemoryBound: 0
; FloatMode: 240
; IeeeMode: 1
; LDSByteSize: 0 bytes/workgroup (compile time only)
; SGPRBlocks: 0
; VGPRBlocks: 0
; NumSGPRsForWavesPerEU: 4
; NumVGPRsForWavesPerEU: 1
; AccumOffset: 4
; Occupancy: 8
; WaveLimiterHint : 0
; COMPUTE_PGM_RSRC2:SCRATCH_EN: 0
; COMPUTE_PGM_RSRC2:USER_SGPR: 6
; COMPUTE_PGM_RSRC2:TRAP_HANDLER: 0
; COMPUTE_PGM_RSRC2:TGID_X_EN: 1
; COMPUTE_PGM_RSRC2:TGID_Y_EN: 0
; COMPUTE_PGM_RSRC2:TGID_Z_EN: 0
; COMPUTE_PGM_RSRC2:TIDIG_COMP_CNT: 0
; COMPUTE_PGM_RSRC3_GFX90A:ACCUM_OFFSET: 0
; COMPUTE_PGM_RSRC3_GFX90A:TG_SPLIT: 0
	.section	.text._ZN7rocprim17ROCPRIM_400000_NS6detail17trampoline_kernelINS0_14default_configENS1_38merge_sort_block_merge_config_selectorIiNS0_10empty_typeEEEZZNS1_27merge_sort_block_merge_implIS3_PiPS5_jNS1_19radix_merge_compareILb0ELb1EiNS0_19identity_decomposerEEEEE10hipError_tT0_T1_T2_jT3_P12ihipStream_tbPNSt15iterator_traitsISE_E10value_typeEPNSK_ISF_E10value_typeEPSG_NS1_7vsmem_tEENKUlT_SE_SF_SG_E_clIS8_S8_S9_S9_EESD_ST_SE_SF_SG_EUlST_E0_NS1_11comp_targetILNS1_3genE4ELNS1_11target_archE910ELNS1_3gpuE8ELNS1_3repE0EEENS1_38merge_mergepath_config_static_selectorELNS0_4arch9wavefront6targetE1EEEvSF_,"axG",@progbits,_ZN7rocprim17ROCPRIM_400000_NS6detail17trampoline_kernelINS0_14default_configENS1_38merge_sort_block_merge_config_selectorIiNS0_10empty_typeEEEZZNS1_27merge_sort_block_merge_implIS3_PiPS5_jNS1_19radix_merge_compareILb0ELb1EiNS0_19identity_decomposerEEEEE10hipError_tT0_T1_T2_jT3_P12ihipStream_tbPNSt15iterator_traitsISE_E10value_typeEPNSK_ISF_E10value_typeEPSG_NS1_7vsmem_tEENKUlT_SE_SF_SG_E_clIS8_S8_S9_S9_EESD_ST_SE_SF_SG_EUlST_E0_NS1_11comp_targetILNS1_3genE4ELNS1_11target_archE910ELNS1_3gpuE8ELNS1_3repE0EEENS1_38merge_mergepath_config_static_selectorELNS0_4arch9wavefront6targetE1EEEvSF_,comdat
	.protected	_ZN7rocprim17ROCPRIM_400000_NS6detail17trampoline_kernelINS0_14default_configENS1_38merge_sort_block_merge_config_selectorIiNS0_10empty_typeEEEZZNS1_27merge_sort_block_merge_implIS3_PiPS5_jNS1_19radix_merge_compareILb0ELb1EiNS0_19identity_decomposerEEEEE10hipError_tT0_T1_T2_jT3_P12ihipStream_tbPNSt15iterator_traitsISE_E10value_typeEPNSK_ISF_E10value_typeEPSG_NS1_7vsmem_tEENKUlT_SE_SF_SG_E_clIS8_S8_S9_S9_EESD_ST_SE_SF_SG_EUlST_E0_NS1_11comp_targetILNS1_3genE4ELNS1_11target_archE910ELNS1_3gpuE8ELNS1_3repE0EEENS1_38merge_mergepath_config_static_selectorELNS0_4arch9wavefront6targetE1EEEvSF_ ; -- Begin function _ZN7rocprim17ROCPRIM_400000_NS6detail17trampoline_kernelINS0_14default_configENS1_38merge_sort_block_merge_config_selectorIiNS0_10empty_typeEEEZZNS1_27merge_sort_block_merge_implIS3_PiPS5_jNS1_19radix_merge_compareILb0ELb1EiNS0_19identity_decomposerEEEEE10hipError_tT0_T1_T2_jT3_P12ihipStream_tbPNSt15iterator_traitsISE_E10value_typeEPNSK_ISF_E10value_typeEPSG_NS1_7vsmem_tEENKUlT_SE_SF_SG_E_clIS8_S8_S9_S9_EESD_ST_SE_SF_SG_EUlST_E0_NS1_11comp_targetILNS1_3genE4ELNS1_11target_archE910ELNS1_3gpuE8ELNS1_3repE0EEENS1_38merge_mergepath_config_static_selectorELNS0_4arch9wavefront6targetE1EEEvSF_
	.globl	_ZN7rocprim17ROCPRIM_400000_NS6detail17trampoline_kernelINS0_14default_configENS1_38merge_sort_block_merge_config_selectorIiNS0_10empty_typeEEEZZNS1_27merge_sort_block_merge_implIS3_PiPS5_jNS1_19radix_merge_compareILb0ELb1EiNS0_19identity_decomposerEEEEE10hipError_tT0_T1_T2_jT3_P12ihipStream_tbPNSt15iterator_traitsISE_E10value_typeEPNSK_ISF_E10value_typeEPSG_NS1_7vsmem_tEENKUlT_SE_SF_SG_E_clIS8_S8_S9_S9_EESD_ST_SE_SF_SG_EUlST_E0_NS1_11comp_targetILNS1_3genE4ELNS1_11target_archE910ELNS1_3gpuE8ELNS1_3repE0EEENS1_38merge_mergepath_config_static_selectorELNS0_4arch9wavefront6targetE1EEEvSF_
	.p2align	8
	.type	_ZN7rocprim17ROCPRIM_400000_NS6detail17trampoline_kernelINS0_14default_configENS1_38merge_sort_block_merge_config_selectorIiNS0_10empty_typeEEEZZNS1_27merge_sort_block_merge_implIS3_PiPS5_jNS1_19radix_merge_compareILb0ELb1EiNS0_19identity_decomposerEEEEE10hipError_tT0_T1_T2_jT3_P12ihipStream_tbPNSt15iterator_traitsISE_E10value_typeEPNSK_ISF_E10value_typeEPSG_NS1_7vsmem_tEENKUlT_SE_SF_SG_E_clIS8_S8_S9_S9_EESD_ST_SE_SF_SG_EUlST_E0_NS1_11comp_targetILNS1_3genE4ELNS1_11target_archE910ELNS1_3gpuE8ELNS1_3repE0EEENS1_38merge_mergepath_config_static_selectorELNS0_4arch9wavefront6targetE1EEEvSF_,@function
_ZN7rocprim17ROCPRIM_400000_NS6detail17trampoline_kernelINS0_14default_configENS1_38merge_sort_block_merge_config_selectorIiNS0_10empty_typeEEEZZNS1_27merge_sort_block_merge_implIS3_PiPS5_jNS1_19radix_merge_compareILb0ELb1EiNS0_19identity_decomposerEEEEE10hipError_tT0_T1_T2_jT3_P12ihipStream_tbPNSt15iterator_traitsISE_E10value_typeEPNSK_ISF_E10value_typeEPSG_NS1_7vsmem_tEENKUlT_SE_SF_SG_E_clIS8_S8_S9_S9_EESD_ST_SE_SF_SG_EUlST_E0_NS1_11comp_targetILNS1_3genE4ELNS1_11target_archE910ELNS1_3gpuE8ELNS1_3repE0EEENS1_38merge_mergepath_config_static_selectorELNS0_4arch9wavefront6targetE1EEEvSF_: ; @_ZN7rocprim17ROCPRIM_400000_NS6detail17trampoline_kernelINS0_14default_configENS1_38merge_sort_block_merge_config_selectorIiNS0_10empty_typeEEEZZNS1_27merge_sort_block_merge_implIS3_PiPS5_jNS1_19radix_merge_compareILb0ELb1EiNS0_19identity_decomposerEEEEE10hipError_tT0_T1_T2_jT3_P12ihipStream_tbPNSt15iterator_traitsISE_E10value_typeEPNSK_ISF_E10value_typeEPSG_NS1_7vsmem_tEENKUlT_SE_SF_SG_E_clIS8_S8_S9_S9_EESD_ST_SE_SF_SG_EUlST_E0_NS1_11comp_targetILNS1_3genE4ELNS1_11target_archE910ELNS1_3gpuE8ELNS1_3repE0EEENS1_38merge_mergepath_config_static_selectorELNS0_4arch9wavefront6targetE1EEEvSF_
; %bb.0:
	s_load_dwordx2 s[10:11], s[4:5], 0x40
	s_load_dwordx2 s[16:17], s[4:5], 0x30
	s_add_u32 s0, s4, 64
	s_addc_u32 s1, s5, 0
	s_waitcnt lgkmcnt(0)
	s_mul_i32 s2, s11, s8
	s_add_i32 s2, s2, s7
	s_mul_i32 s2, s2, s10
	s_add_i32 s2, s2, s6
	s_cmp_ge_u32 s2, s16
	s_cbranch_scc1 .LBB619_43
; %bb.1:
	s_load_dwordx2 s[14:15], s[4:5], 0x28
	s_load_dwordx2 s[8:9], s[4:5], 0x38
	;; [unrolled: 1-line block ×3, first 2 shown]
	s_mov_b32 s3, 0
	s_mov_b32 s23, s3
	s_waitcnt lgkmcnt(0)
	s_lshr_b32 s24, s14, 10
	s_cmp_lg_u32 s2, s24
	s_cselect_b64 s[18:19], -1, 0
	s_lshl_b64 s[12:13], s[2:3], 2
	s_add_u32 s8, s8, s12
	s_addc_u32 s9, s9, s13
	s_lshr_b32 s7, s15, 9
	s_and_b32 s7, s7, 0x7ffffe
	s_load_dwordx2 s[8:9], s[8:9], 0x0
	s_sub_i32 s7, 0, s7
	s_and_b32 s11, s2, s7
	s_lshl_b32 s12, s11, 10
	s_lshl_b32 s16, s2, 10
	;; [unrolled: 1-line block ×3, first 2 shown]
	s_sub_i32 s13, s16, s12
	s_add_i32 s11, s11, s15
	s_add_i32 s13, s11, s13
	s_waitcnt lgkmcnt(0)
	s_sub_i32 s22, s13, s8
	s_sub_i32 s13, s13, s9
	;; [unrolled: 1-line block ×3, first 2 shown]
	s_min_u32 s22, s14, s22
	s_addk_i32 s13, 0x400
	s_or_b32 s7, s2, s7
	s_min_u32 s12, s14, s11
	s_add_i32 s11, s11, s15
	s_cmp_eq_u32 s7, -1
	s_cselect_b32 s7, s11, s13
	s_cselect_b32 s9, s12, s9
	s_min_u32 s7, s7, s14
	s_sub_i32 s15, s9, s8
	s_mov_b32 s9, s3
	s_sub_i32 s7, s7, s22
	s_lshl_b64 s[8:9], s[8:9], 2
	s_add_u32 s11, s20, s8
	s_addc_u32 s12, s21, s9
	s_lshl_b64 s[8:9], s[22:23], 2
	s_add_u32 s8, s20, s8
	s_addc_u32 s9, s21, s9
	s_cmp_lt_u32 s6, s10
	v_mov_b32_e32 v15, 0
	s_cselect_b32 s3, 12, 18
	global_load_dword v1, v15, s[0:1] offset:14
	s_add_u32 s0, s0, s3
	s_addc_u32 s1, s1, 0
	global_load_ushort v2, v15, s[0:1]
	s_cmp_eq_u32 s2, s24
	s_waitcnt vmcnt(1)
	v_lshrrev_b32_e32 v3, 16, v1
	v_and_b32_e32 v1, 0xffff, v1
	v_mul_lo_u32 v1, v1, v3
	s_waitcnt vmcnt(0)
	v_mul_lo_u32 v16, v1, v2
	v_add_u32_e32 v12, v16, v0
	v_lshlrev_b32_e32 v1, 2, v0
	v_add_u32_e32 v10, v12, v16
	s_cbranch_scc1 .LBB619_3
; %bb.2:
	v_mov_b32_e32 v2, s12
	v_add_co_u32_e32 v4, vcc, s11, v1
	v_subrev_u32_e32 v14, s15, v0
	v_addc_co_u32_e32 v5, vcc, 0, v2, vcc
	v_lshlrev_b64 v[2:3], 2, v[14:15]
	v_mov_b32_e32 v6, s9
	v_add_co_u32_e32 v2, vcc, s8, v2
	v_addc_co_u32_e32 v3, vcc, v6, v3, vcc
	v_cmp_gt_u32_e32 vcc, s15, v0
	v_mov_b32_e32 v13, v15
	v_cndmask_b32_e32 v3, v3, v5, vcc
	v_cndmask_b32_e32 v2, v2, v4, vcc
	v_lshlrev_b64 v[4:5], 2, v[12:13]
	global_load_dword v2, v[2:3], off
	v_mov_b32_e32 v3, s12
	v_add_co_u32_e32 v6, vcc, s11, v4
	v_subrev_u32_e32 v14, s15, v12
	v_addc_co_u32_e32 v3, vcc, v3, v5, vcc
	v_lshlrev_b64 v[4:5], 2, v[14:15]
	v_mov_b32_e32 v7, s9
	v_add_co_u32_e32 v4, vcc, s8, v4
	v_addc_co_u32_e32 v5, vcc, v7, v5, vcc
	v_cmp_gt_u32_e32 vcc, s15, v12
	v_cndmask_b32_e32 v5, v5, v3, vcc
	v_cndmask_b32_e32 v4, v4, v6, vcc
	v_mov_b32_e32 v11, v15
	global_load_dword v3, v[4:5], off
	v_lshlrev_b64 v[4:5], 2, v[10:11]
	v_mov_b32_e32 v6, s12
	v_add_co_u32_e32 v7, vcc, s11, v4
	v_subrev_u32_e32 v14, s15, v10
	v_addc_co_u32_e32 v6, vcc, v6, v5, vcc
	v_lshlrev_b64 v[4:5], 2, v[14:15]
	v_mov_b32_e32 v8, s9
	v_add_co_u32_e32 v4, vcc, s8, v4
	v_addc_co_u32_e32 v5, vcc, v8, v5, vcc
	v_cmp_gt_u32_e32 vcc, s15, v10
	v_add_u32_e32 v14, v10, v16
	v_cndmask_b32_e32 v5, v5, v6, vcc
	v_cndmask_b32_e32 v4, v4, v7, vcc
	v_lshlrev_b64 v[6:7], 2, v[14:15]
	global_load_dword v4, v[4:5], off
	v_mov_b32_e32 v5, s12
	v_add_co_u32_e32 v8, vcc, s11, v6
	v_addc_co_u32_e32 v5, vcc, v5, v7, vcc
	v_subrev_u32_e32 v6, s15, v14
	v_mov_b32_e32 v7, v15
	v_lshlrev_b64 v[6:7], 2, v[6:7]
	v_mov_b32_e32 v9, s9
	v_add_co_u32_e32 v6, vcc, s8, v6
	v_addc_co_u32_e32 v7, vcc, v9, v7, vcc
	v_cmp_gt_u32_e32 vcc, s15, v14
	v_cndmask_b32_e32 v7, v7, v5, vcc
	v_cndmask_b32_e32 v6, v6, v8, vcc
	v_add_u32_e32 v14, v14, v16
	global_load_dword v5, v[6:7], off
	v_lshlrev_b64 v[6:7], 2, v[14:15]
	v_mov_b32_e32 v8, s12
	v_add_co_u32_e32 v9, vcc, s11, v6
	v_addc_co_u32_e32 v8, vcc, v8, v7, vcc
	v_subrev_u32_e32 v6, s15, v14
	v_mov_b32_e32 v7, v15
	v_lshlrev_b64 v[6:7], 2, v[6:7]
	v_mov_b32_e32 v11, s9
	v_add_co_u32_e32 v6, vcc, s8, v6
	v_addc_co_u32_e32 v7, vcc, v11, v7, vcc
	v_cmp_gt_u32_e32 vcc, s15, v14
	v_add_u32_e32 v14, v14, v16
	v_cndmask_b32_e32 v7, v7, v8, vcc
	v_cndmask_b32_e32 v6, v6, v9, vcc
	v_lshlrev_b64 v[8:9], 2, v[14:15]
	global_load_dword v6, v[6:7], off
	v_mov_b32_e32 v7, s12
	v_add_co_u32_e32 v11, vcc, s11, v8
	v_addc_co_u32_e32 v7, vcc, v7, v9, vcc
	v_subrev_u32_e32 v8, s15, v14
	v_mov_b32_e32 v9, v15
	v_lshlrev_b64 v[8:9], 2, v[8:9]
	v_mov_b32_e32 v13, s9
	v_add_co_u32_e32 v8, vcc, s8, v8
	v_addc_co_u32_e32 v9, vcc, v13, v9, vcc
	v_cmp_gt_u32_e32 vcc, s15, v14
	v_cndmask_b32_e32 v9, v9, v7, vcc
	v_cndmask_b32_e32 v8, v8, v11, vcc
	v_add_u32_e32 v14, v14, v16
	global_load_dword v7, v[8:9], off
	v_lshlrev_b64 v[8:9], 2, v[14:15]
	v_mov_b32_e32 v11, s12
	v_add_co_u32_e32 v13, vcc, s11, v8
	v_addc_co_u32_e32 v11, vcc, v11, v9, vcc
	v_subrev_u32_e32 v8, s15, v14
	v_mov_b32_e32 v9, v15
	v_lshlrev_b64 v[8:9], 2, v[8:9]
	v_mov_b32_e32 v17, s9
	v_add_co_u32_e32 v8, vcc, s8, v8
	v_addc_co_u32_e32 v9, vcc, v17, v9, vcc
	v_cmp_gt_u32_e32 vcc, s15, v14
	v_add_u32_e32 v14, v14, v16
	v_cndmask_b32_e32 v9, v9, v11, vcc
	v_cndmask_b32_e32 v8, v8, v13, vcc
	v_lshlrev_b64 v[18:19], 2, v[14:15]
	global_load_dword v8, v[8:9], off
	v_mov_b32_e32 v9, s12
	v_add_co_u32_e32 v11, vcc, s11, v18
	v_addc_co_u32_e32 v9, vcc, v9, v19, vcc
	v_cmp_gt_u32_e32 vcc, s15, v14
	v_subrev_u32_e32 v14, s15, v14
	v_lshlrev_b64 v[14:15], 2, v[14:15]
	v_mov_b32_e32 v13, s9
	v_add_co_u32_e64 v14, s[0:1], s8, v14
	v_addc_co_u32_e64 v13, s[0:1], v13, v15, s[0:1]
	v_cndmask_b32_e32 v15, v13, v9, vcc
	v_cndmask_b32_e32 v14, v14, v11, vcc
	global_load_dword v9, v[14:15], off
	s_add_i32 s24, s7, s15
	s_load_dwordx2 s[20:21], s[4:5], 0x10
	s_cbranch_execz .LBB619_4
	s_branch .LBB619_19
.LBB619_3:
                                        ; implicit-def: $vgpr2_vgpr3_vgpr4_vgpr5_vgpr6_vgpr7_vgpr8_vgpr9
                                        ; implicit-def: $sgpr24
	s_load_dwordx2 s[20:21], s[4:5], 0x10
.LBB619_4:
	s_add_i32 s24, s7, s15
	v_cmp_gt_u32_e32 vcc, s24, v0
                                        ; implicit-def: $vgpr2_vgpr3_vgpr4_vgpr5_vgpr6_vgpr7_vgpr8_vgpr9
	s_and_saveexec_b64 s[0:1], vcc
	s_cbranch_execnz .LBB619_44
; %bb.5:
	s_or_b64 exec, exec, s[0:1]
	v_cmp_gt_u32_e32 vcc, s24, v12
	s_and_saveexec_b64 s[2:3], vcc
	s_cbranch_execnz .LBB619_45
.LBB619_6:
	s_or_b64 exec, exec, s[2:3]
	v_cmp_gt_u32_e32 vcc, s24, v10
	s_and_saveexec_b64 s[0:1], vcc
	s_cbranch_execz .LBB619_8
.LBB619_7:
	v_mov_b32_e32 v11, 0
	v_lshlrev_b64 v[12:13], 2, v[10:11]
	s_waitcnt vmcnt(5)
	v_mov_b32_e32 v4, s12
	v_add_co_u32_e32 v14, vcc, s11, v12
	v_addc_co_u32_e32 v4, vcc, v4, v13, vcc
	v_subrev_u32_e32 v12, s15, v10
	v_mov_b32_e32 v13, v11
	v_lshlrev_b64 v[12:13], 2, v[12:13]
	v_mov_b32_e32 v11, s9
	v_add_co_u32_e32 v12, vcc, s8, v12
	v_addc_co_u32_e32 v11, vcc, v11, v13, vcc
	v_cmp_gt_u32_e32 vcc, s15, v10
	v_cndmask_b32_e32 v13, v11, v4, vcc
	v_cndmask_b32_e32 v12, v12, v14, vcc
	global_load_dword v4, v[12:13], off
.LBB619_8:
	s_or_b64 exec, exec, s[0:1]
	v_add_u32_e32 v10, v10, v16
	v_cmp_gt_u32_e32 vcc, s24, v10
	s_and_saveexec_b64 s[0:1], vcc
	s_cbranch_execz .LBB619_10
; %bb.9:
	v_mov_b32_e32 v11, 0
	v_lshlrev_b64 v[12:13], 2, v[10:11]
	s_waitcnt vmcnt(4)
	v_mov_b32_e32 v5, s12
	v_add_co_u32_e32 v14, vcc, s11, v12
	v_addc_co_u32_e32 v5, vcc, v5, v13, vcc
	v_subrev_u32_e32 v12, s15, v10
	v_mov_b32_e32 v13, v11
	v_lshlrev_b64 v[12:13], 2, v[12:13]
	v_mov_b32_e32 v11, s9
	v_add_co_u32_e32 v12, vcc, s8, v12
	v_addc_co_u32_e32 v11, vcc, v11, v13, vcc
	v_cmp_gt_u32_e32 vcc, s15, v10
	v_cndmask_b32_e32 v13, v11, v5, vcc
	v_cndmask_b32_e32 v12, v12, v14, vcc
	global_load_dword v5, v[12:13], off
.LBB619_10:
	s_or_b64 exec, exec, s[0:1]
	v_add_u32_e32 v10, v10, v16
	v_cmp_gt_u32_e32 vcc, s24, v10
	s_and_saveexec_b64 s[0:1], vcc
	s_cbranch_execz .LBB619_12
; %bb.11:
	v_mov_b32_e32 v11, 0
	v_lshlrev_b64 v[12:13], 2, v[10:11]
	s_waitcnt vmcnt(3)
	v_mov_b32_e32 v6, s12
	v_add_co_u32_e32 v14, vcc, s11, v12
	v_addc_co_u32_e32 v6, vcc, v6, v13, vcc
	v_subrev_u32_e32 v12, s15, v10
	v_mov_b32_e32 v13, v11
	v_lshlrev_b64 v[12:13], 2, v[12:13]
	v_mov_b32_e32 v11, s9
	v_add_co_u32_e32 v12, vcc, s8, v12
	v_addc_co_u32_e32 v11, vcc, v11, v13, vcc
	v_cmp_gt_u32_e32 vcc, s15, v10
	v_cndmask_b32_e32 v13, v11, v6, vcc
	v_cndmask_b32_e32 v12, v12, v14, vcc
	global_load_dword v6, v[12:13], off
.LBB619_12:
	;; [unrolled: 23-line block ×4, first 2 shown]
	s_or_b64 exec, exec, s[0:1]
	v_add_u32_e32 v10, v10, v16
	v_cmp_gt_u32_e32 vcc, s24, v10
	s_and_saveexec_b64 s[2:3], vcc
	s_cbranch_execz .LBB619_18
; %bb.17:
	v_mov_b32_e32 v11, 0
	v_lshlrev_b64 v[12:13], 2, v[10:11]
	s_waitcnt vmcnt(0)
	v_mov_b32_e32 v9, s12
	v_add_co_u32_e32 v12, vcc, s11, v12
	v_addc_co_u32_e32 v9, vcc, v9, v13, vcc
	v_cmp_gt_u32_e32 vcc, s15, v10
	v_subrev_u32_e32 v10, s15, v10
	v_lshlrev_b64 v[10:11], 2, v[10:11]
	v_mov_b32_e32 v13, s9
	v_add_co_u32_e64 v10, s[0:1], s8, v10
	v_addc_co_u32_e64 v11, s[0:1], v13, v11, s[0:1]
	v_cndmask_b32_e32 v11, v11, v9, vcc
	v_cndmask_b32_e32 v10, v10, v12, vcc
	global_load_dword v9, v[10:11], off
.LBB619_18:
	s_or_b64 exec, exec, s[2:3]
.LBB619_19:
	v_lshlrev_b32_e32 v10, 3, v0
	v_min_u32_e32 v12, s24, v10
	v_sub_u32_e64 v11, v12, s7 clamp
	v_min_u32_e32 v13, s15, v12
	v_cmp_lt_u32_e32 vcc, v11, v13
	s_waitcnt vmcnt(0)
	ds_write2st64_b32 v1, v2, v3 offset1:2
	ds_write2st64_b32 v1, v4, v5 offset0:4 offset1:6
	ds_write2st64_b32 v1, v6, v7 offset0:8 offset1:10
	;; [unrolled: 1-line block ×3, first 2 shown]
	s_waitcnt lgkmcnt(0)
	s_barrier
	s_and_saveexec_b64 s[0:1], vcc
	s_cbranch_execz .LBB619_23
; %bb.20:
	v_lshlrev_b32_e32 v14, 2, v12
	v_lshl_add_u32 v14, s15, 2, v14
	s_mov_b64 s[2:3], 0
.LBB619_21:                             ; =>This Inner Loop Header: Depth=1
	v_add_u32_e32 v15, v13, v11
	v_lshrrev_b32_e32 v15, 1, v15
	v_not_b32_e32 v16, v15
	v_lshlrev_b32_e32 v17, 2, v15
	v_lshl_add_u32 v16, v16, 2, v14
	ds_read_b32 v17, v17
	ds_read_b32 v16, v16
	v_add_u32_e32 v18, 1, v15
	s_waitcnt lgkmcnt(1)
	v_and_b32_e32 v17, s17, v17
	s_waitcnt lgkmcnt(0)
	v_and_b32_e32 v16, s17, v16
	v_cmp_gt_i32_e32 vcc, v17, v16
	v_cndmask_b32_e32 v13, v13, v15, vcc
	v_cndmask_b32_e32 v11, v18, v11, vcc
	v_cmp_ge_u32_e32 vcc, v11, v13
	s_or_b64 s[2:3], vcc, s[2:3]
	s_andn2_b64 exec, exec, s[2:3]
	s_cbranch_execnz .LBB619_21
; %bb.22:
	s_or_b64 exec, exec, s[2:3]
.LBB619_23:
	s_or_b64 exec, exec, s[0:1]
	v_sub_u32_e32 v12, v12, v11
	v_add_u32_e32 v12, s15, v12
	v_cmp_ge_u32_e32 vcc, s15, v11
	v_cmp_ge_u32_e64 s[0:1], s24, v12
	s_or_b64 s[0:1], vcc, s[0:1]
	s_and_saveexec_b64 s[22:23], s[0:1]
	s_cbranch_execz .LBB619_29
; %bb.24:
	v_cmp_gt_u32_e32 vcc, s15, v11
                                        ; implicit-def: $vgpr2
	s_and_saveexec_b64 s[0:1], vcc
	s_cbranch_execz .LBB619_26
; %bb.25:
	v_lshlrev_b32_e32 v2, 2, v11
	ds_read_b32 v2, v2
.LBB619_26:
	s_or_b64 exec, exec, s[0:1]
	v_cmp_le_u32_e64 s[0:1], s24, v12
	v_cmp_gt_u32_e64 s[2:3], s24, v12
                                        ; implicit-def: $vgpr3
	s_and_saveexec_b64 s[4:5], s[2:3]
	s_cbranch_execz .LBB619_28
; %bb.27:
	v_lshlrev_b32_e32 v3, 2, v12
	ds_read_b32 v3, v3
.LBB619_28:
	s_or_b64 exec, exec, s[4:5]
	s_waitcnt lgkmcnt(0)
	v_and_b32_e32 v4, s17, v3
	v_and_b32_e32 v5, s17, v2
	v_cmp_le_i32_e64 s[2:3], v5, v4
	s_and_b64 s[2:3], vcc, s[2:3]
	s_or_b64 vcc, s[0:1], s[2:3]
	v_mov_b32_e32 v5, s24
	v_mov_b32_e32 v6, s15
	v_cndmask_b32_e32 v4, v12, v11, vcc
	v_cndmask_b32_e32 v7, v5, v6, vcc
	v_add_u32_e32 v4, 1, v4
	v_add_u32_e32 v7, -1, v7
	v_min_u32_e32 v7, v4, v7
	v_lshlrev_b32_e32 v7, 2, v7
	ds_read_b32 v7, v7
	v_cndmask_b32_e32 v9, v4, v12, vcc
	v_cndmask_b32_e32 v4, v11, v4, vcc
	v_cmp_gt_u32_e64 s[2:3], s15, v4
	v_cmp_le_u32_e64 s[0:1], s24, v9
	s_waitcnt lgkmcnt(0)
	v_cndmask_b32_e32 v8, v7, v3, vcc
	v_cndmask_b32_e32 v7, v2, v7, vcc
	v_and_b32_e32 v11, s17, v8
	v_and_b32_e32 v12, s17, v7
	v_cmp_le_i32_e64 s[4:5], v12, v11
	s_and_b64 s[2:3], s[2:3], s[4:5]
	s_or_b64 s[0:1], s[0:1], s[2:3]
	v_cndmask_b32_e64 v11, v9, v4, s[0:1]
	v_cndmask_b32_e64 v12, v5, v6, s[0:1]
	v_add_u32_e32 v11, 1, v11
	v_add_u32_e32 v12, -1, v12
	v_min_u32_e32 v12, v11, v12
	v_lshlrev_b32_e32 v12, 2, v12
	ds_read_b32 v12, v12
	v_cndmask_b32_e64 v9, v11, v9, s[0:1]
	v_cndmask_b32_e64 v4, v4, v11, s[0:1]
	v_cmp_gt_u32_e64 s[4:5], s15, v4
	v_cmp_le_u32_e64 s[2:3], s24, v9
	s_waitcnt lgkmcnt(0)
	v_cndmask_b32_e64 v13, v12, v8, s[0:1]
	v_cndmask_b32_e64 v12, v7, v12, s[0:1]
	v_and_b32_e32 v11, s17, v13
	v_and_b32_e32 v14, s17, v12
	v_cmp_le_i32_e64 s[6:7], v14, v11
	s_and_b64 s[4:5], s[4:5], s[6:7]
	s_or_b64 s[2:3], s[2:3], s[4:5]
	v_cndmask_b32_e64 v11, v9, v4, s[2:3]
	v_cndmask_b32_e64 v14, v5, v6, s[2:3]
	v_add_u32_e32 v11, 1, v11
	v_add_u32_e32 v14, -1, v14
	v_min_u32_e32 v14, v11, v14
	v_lshlrev_b32_e32 v14, 2, v14
	ds_read_b32 v14, v14
	v_cndmask_b32_e64 v9, v11, v9, s[2:3]
	v_cndmask_b32_e64 v4, v4, v11, s[2:3]
	v_cmp_gt_u32_e64 s[6:7], s15, v4
	v_cmp_le_u32_e64 s[4:5], s24, v9
	s_waitcnt lgkmcnt(0)
	v_cndmask_b32_e64 v15, v14, v13, s[2:3]
	v_cndmask_b32_e64 v14, v12, v14, s[2:3]
	;; [unrolled: 19-line block ×4, first 2 shown]
	v_and_b32_e32 v4, s17, v19
	v_and_b32_e32 v20, s17, v18
	v_cmp_le_i32_e64 s[12:13], v20, v4
	s_and_b64 s[10:11], s[10:11], s[12:13]
	s_or_b64 s[8:9], s[8:9], s[10:11]
	v_cndmask_b32_e64 v4, v9, v11, s[8:9]
	v_cndmask_b32_e64 v20, v5, v6, s[8:9]
	v_add_u32_e32 v21, 1, v4
	v_add_u32_e32 v4, -1, v20
	v_min_u32_e32 v4, v21, v4
	v_lshlrev_b32_e32 v4, 2, v4
	ds_read_b32 v20, v4
	v_cndmask_b32_e64 v4, v13, v12, s[2:3]
	v_cndmask_b32_e32 v2, v3, v2, vcc
	v_cndmask_b32_e64 v3, v8, v7, s[0:1]
	v_cndmask_b32_e64 v11, v11, v21, s[8:9]
	s_waitcnt lgkmcnt(0)
	v_cndmask_b32_e64 v12, v20, v19, s[8:9]
	v_cndmask_b32_e64 v13, v18, v20, s[8:9]
	v_and_b32_e32 v7, s17, v12
	v_and_b32_e32 v8, s17, v13
	v_cndmask_b32_e64 v9, v21, v9, s[8:9]
	v_cmp_gt_u32_e64 s[0:1], s15, v11
	v_cmp_le_i32_e64 s[2:3], v8, v7
	v_cmp_le_u32_e32 vcc, s24, v9
	s_and_b64 s[0:1], s[0:1], s[2:3]
	s_or_b64 vcc, vcc, s[0:1]
	v_cndmask_b32_e32 v7, v9, v11, vcc
	v_cndmask_b32_e32 v5, v5, v6, vcc
	v_add_u32_e32 v20, 1, v7
	v_add_u32_e32 v5, -1, v5
	v_min_u32_e32 v5, v20, v5
	v_lshlrev_b32_e32 v5, 2, v5
	ds_read_b32 v21, v5
	v_cndmask_b32_e32 v8, v12, v13, vcc
	v_cndmask_b32_e32 v9, v20, v9, vcc
	;; [unrolled: 1-line block ×3, first 2 shown]
	v_cmp_gt_u32_e64 s[0:1], s15, v11
	s_waitcnt lgkmcnt(0)
	v_cndmask_b32_e32 v12, v21, v12, vcc
	v_cndmask_b32_e32 v13, v13, v21, vcc
	v_cmp_le_u32_e32 vcc, s24, v9
	v_and_b32_e32 v9, s17, v12
	v_and_b32_e32 v11, s17, v13
	v_cmp_le_i32_e64 s[2:3], v11, v9
	s_and_b64 s[0:1], s[0:1], s[2:3]
	s_or_b64 vcc, vcc, s[0:1]
	v_cndmask_b32_e64 v5, v15, v14, s[4:5]
	v_cndmask_b32_e64 v6, v17, v16, s[6:7]
	v_cndmask_b32_e64 v7, v19, v18, s[8:9]
	v_cndmask_b32_e32 v9, v12, v13, vcc
.LBB619_29:
	s_or_b64 exec, exec, s[22:23]
	v_and_b32_e32 v11, 0x7c, v0
	v_lshl_add_u32 v10, v10, 2, v11
	s_barrier
	s_barrier
	ds_write2_b32 v10, v2, v3 offset1:1
	ds_write2_b32 v10, v4, v5 offset0:2 offset1:3
	ds_write2_b32 v10, v6, v7 offset0:4 offset1:5
	;; [unrolled: 1-line block ×3, first 2 shown]
	v_lshrrev_b32_e32 v2, 3, v0
	v_and_b32_e32 v2, 12, v2
	v_or_b32_e32 v10, 0x80, v0
	v_add_u32_e32 v11, v1, v2
	v_lshrrev_b32_e32 v2, 3, v10
	v_and_b32_e32 v2, 28, v2
	v_or_b32_e32 v9, 0x100, v0
	v_add_u32_e32 v12, v1, v2
	;; [unrolled: 4-line block ×5, first 2 shown]
	v_lshrrev_b32_e32 v2, 3, v6
	v_and_b32_e32 v2, 0x5c, v2
	v_or_b32_e32 v5, 0x300, v0
	s_mov_b32 s17, 0
	v_add_u32_e32 v16, v1, v2
	v_lshrrev_b32_e32 v2, 3, v5
	s_lshl_b64 s[0:1], s[16:17], 2
	v_and_b32_e32 v2, 0x6c, v2
	v_or_b32_e32 v4, 0x380, v0
	s_add_u32 s0, s20, s0
	v_add_u32_e32 v17, v1, v2
	v_lshrrev_b32_e32 v2, 3, v4
	s_addc_u32 s1, s21, s1
	v_and_b32_e32 v2, 0x7c, v2
	v_add_u32_e32 v18, v1, v2
	v_mov_b32_e32 v3, s1
	v_add_co_u32_e32 v2, vcc, s0, v1
	v_addc_co_u32_e32 v3, vcc, 0, v3, vcc
	s_and_b64 vcc, exec, s[18:19]
	s_waitcnt lgkmcnt(0)
	s_cbranch_vccz .LBB619_31
; %bb.30:
	s_barrier
	ds_read_b32 v19, v11
	ds_read_b32 v20, v12 offset:512
	ds_read_b32 v21, v13 offset:1024
	;; [unrolled: 1-line block ×7, first 2 shown]
	s_waitcnt lgkmcnt(7)
	global_store_dword v[2:3], v19, off
	s_waitcnt lgkmcnt(6)
	global_store_dword v[2:3], v20, off offset:512
	s_waitcnt lgkmcnt(5)
	global_store_dword v[2:3], v21, off offset:1024
	;; [unrolled: 2-line block ×6, first 2 shown]
	s_mov_b64 s[0:1], -1
	s_cbranch_execz .LBB619_32
	s_branch .LBB619_41
.LBB619_31:
	s_mov_b64 s[0:1], 0
                                        ; implicit-def: $vgpr1
.LBB619_32:
	s_barrier
	s_waitcnt lgkmcnt(0)
	ds_read_b32 v21, v12 offset:512
	ds_read_b32 v20, v13 offset:1024
	;; [unrolled: 1-line block ×7, first 2 shown]
	s_sub_i32 s2, s14, s16
	v_cmp_gt_u32_e32 vcc, s2, v0
	s_and_saveexec_b64 s[0:1], vcc
	s_cbranch_execnz .LBB619_46
; %bb.33:
	s_or_b64 exec, exec, s[0:1]
	v_cmp_gt_u32_e32 vcc, s2, v10
	s_and_saveexec_b64 s[0:1], vcc
	s_cbranch_execnz .LBB619_47
.LBB619_34:
	s_or_b64 exec, exec, s[0:1]
	v_cmp_gt_u32_e32 vcc, s2, v9
	s_and_saveexec_b64 s[0:1], vcc
	s_cbranch_execnz .LBB619_48
.LBB619_35:
	s_or_b64 exec, exec, s[0:1]
	v_cmp_gt_u32_e32 vcc, s2, v8
	s_and_saveexec_b64 s[0:1], vcc
	s_cbranch_execnz .LBB619_49
.LBB619_36:
	s_or_b64 exec, exec, s[0:1]
	v_cmp_gt_u32_e32 vcc, s2, v7
	s_and_saveexec_b64 s[0:1], vcc
	s_cbranch_execnz .LBB619_50
.LBB619_37:
	s_or_b64 exec, exec, s[0:1]
	v_cmp_gt_u32_e32 vcc, s2, v6
	s_and_saveexec_b64 s[0:1], vcc
	s_cbranch_execnz .LBB619_51
.LBB619_38:
	s_or_b64 exec, exec, s[0:1]
	v_cmp_gt_u32_e32 vcc, s2, v5
	s_and_saveexec_b64 s[0:1], vcc
	s_cbranch_execz .LBB619_40
.LBB619_39:
	s_waitcnt lgkmcnt(1)
	global_store_dword v[2:3], v12, off offset:3072
.LBB619_40:
	s_or_b64 exec, exec, s[0:1]
	v_cmp_gt_u32_e64 s[0:1], s2, v4
.LBB619_41:
	s_and_saveexec_b64 s[2:3], s[0:1]
	s_cbranch_execz .LBB619_43
; %bb.42:
	s_waitcnt lgkmcnt(0)
	global_store_dword v[2:3], v1, off offset:3584
.LBB619_43:
	s_endpgm
.LBB619_44:
	s_waitcnt vmcnt(7)
	v_mov_b32_e32 v2, s12
	s_waitcnt vmcnt(5)
	v_add_co_u32_e32 v4, vcc, s11, v1
	v_mov_b32_e32 v3, 0
	s_waitcnt vmcnt(4)
	v_addc_co_u32_e32 v5, vcc, 0, v2, vcc
	v_subrev_u32_e32 v2, s15, v0
	v_lshlrev_b64 v[2:3], 2, v[2:3]
	s_waitcnt vmcnt(3)
	v_mov_b32_e32 v6, s9
	v_add_co_u32_e32 v2, vcc, s8, v2
	v_addc_co_u32_e32 v3, vcc, v6, v3, vcc
	v_cmp_gt_u32_e32 vcc, s15, v0
	v_cndmask_b32_e32 v3, v3, v5, vcc
	v_cndmask_b32_e32 v2, v2, v4, vcc
	global_load_dword v2, v[2:3], off
	s_or_b64 exec, exec, s[0:1]
	v_cmp_gt_u32_e32 vcc, s24, v12
	s_and_saveexec_b64 s[2:3], vcc
	s_cbranch_execz .LBB619_6
.LBB619_45:
	v_mov_b32_e32 v13, 0
	v_lshlrev_b64 v[14:15], 2, v[12:13]
	s_waitcnt vmcnt(6)
	v_mov_b32_e32 v3, s12
	v_add_co_u32_e32 v11, vcc, s11, v14
	v_addc_co_u32_e32 v3, vcc, v3, v15, vcc
	v_cmp_gt_u32_e32 vcc, s15, v12
	v_subrev_u32_e32 v12, s15, v12
	v_lshlrev_b64 v[12:13], 2, v[12:13]
	v_mov_b32_e32 v14, s9
	v_add_co_u32_e64 v12, s[0:1], s8, v12
	v_addc_co_u32_e64 v13, s[0:1], v14, v13, s[0:1]
	v_cndmask_b32_e32 v13, v13, v3, vcc
	v_cndmask_b32_e32 v12, v12, v11, vcc
	global_load_dword v3, v[12:13], off
	s_or_b64 exec, exec, s[2:3]
	v_cmp_gt_u32_e32 vcc, s24, v10
	s_and_saveexec_b64 s[0:1], vcc
	s_cbranch_execnz .LBB619_7
	s_branch .LBB619_8
.LBB619_46:
	ds_read_b32 v0, v11
	s_waitcnt lgkmcnt(0)
	global_store_dword v[2:3], v0, off
	s_or_b64 exec, exec, s[0:1]
	v_cmp_gt_u32_e32 vcc, s2, v10
	s_and_saveexec_b64 s[0:1], vcc
	s_cbranch_execz .LBB619_34
.LBB619_47:
	s_waitcnt lgkmcnt(6)
	global_store_dword v[2:3], v21, off offset:512
	s_or_b64 exec, exec, s[0:1]
	v_cmp_gt_u32_e32 vcc, s2, v9
	s_and_saveexec_b64 s[0:1], vcc
	s_cbranch_execz .LBB619_35
.LBB619_48:
	s_waitcnt lgkmcnt(5)
	global_store_dword v[2:3], v20, off offset:1024
	s_or_b64 exec, exec, s[0:1]
	v_cmp_gt_u32_e32 vcc, s2, v8
	s_and_saveexec_b64 s[0:1], vcc
	s_cbranch_execz .LBB619_36
.LBB619_49:
	s_waitcnt lgkmcnt(4)
	global_store_dword v[2:3], v19, off offset:1536
	s_or_b64 exec, exec, s[0:1]
	v_cmp_gt_u32_e32 vcc, s2, v7
	s_and_saveexec_b64 s[0:1], vcc
	s_cbranch_execz .LBB619_37
.LBB619_50:
	s_waitcnt lgkmcnt(3)
	global_store_dword v[2:3], v14, off offset:2048
	s_or_b64 exec, exec, s[0:1]
	v_cmp_gt_u32_e32 vcc, s2, v6
	s_and_saveexec_b64 s[0:1], vcc
	s_cbranch_execz .LBB619_38
.LBB619_51:
	s_waitcnt lgkmcnt(2)
	global_store_dword v[2:3], v13, off offset:2560
	s_or_b64 exec, exec, s[0:1]
	v_cmp_gt_u32_e32 vcc, s2, v5
	s_and_saveexec_b64 s[0:1], vcc
	s_cbranch_execnz .LBB619_39
	s_branch .LBB619_40
	.section	.rodata,"a",@progbits
	.p2align	6, 0x0
	.amdhsa_kernel _ZN7rocprim17ROCPRIM_400000_NS6detail17trampoline_kernelINS0_14default_configENS1_38merge_sort_block_merge_config_selectorIiNS0_10empty_typeEEEZZNS1_27merge_sort_block_merge_implIS3_PiPS5_jNS1_19radix_merge_compareILb0ELb1EiNS0_19identity_decomposerEEEEE10hipError_tT0_T1_T2_jT3_P12ihipStream_tbPNSt15iterator_traitsISE_E10value_typeEPNSK_ISF_E10value_typeEPSG_NS1_7vsmem_tEENKUlT_SE_SF_SG_E_clIS8_S8_S9_S9_EESD_ST_SE_SF_SG_EUlST_E0_NS1_11comp_targetILNS1_3genE4ELNS1_11target_archE910ELNS1_3gpuE8ELNS1_3repE0EEENS1_38merge_mergepath_config_static_selectorELNS0_4arch9wavefront6targetE1EEEvSF_
		.amdhsa_group_segment_fixed_size 4224
		.amdhsa_private_segment_fixed_size 0
		.amdhsa_kernarg_size 320
		.amdhsa_user_sgpr_count 6
		.amdhsa_user_sgpr_private_segment_buffer 1
		.amdhsa_user_sgpr_dispatch_ptr 0
		.amdhsa_user_sgpr_queue_ptr 0
		.amdhsa_user_sgpr_kernarg_segment_ptr 1
		.amdhsa_user_sgpr_dispatch_id 0
		.amdhsa_user_sgpr_flat_scratch_init 0
		.amdhsa_user_sgpr_kernarg_preload_length 0
		.amdhsa_user_sgpr_kernarg_preload_offset 0
		.amdhsa_user_sgpr_private_segment_size 0
		.amdhsa_uses_dynamic_stack 0
		.amdhsa_system_sgpr_private_segment_wavefront_offset 0
		.amdhsa_system_sgpr_workgroup_id_x 1
		.amdhsa_system_sgpr_workgroup_id_y 1
		.amdhsa_system_sgpr_workgroup_id_z 1
		.amdhsa_system_sgpr_workgroup_info 0
		.amdhsa_system_vgpr_workitem_id 0
		.amdhsa_next_free_vgpr 26
		.amdhsa_next_free_sgpr 25
		.amdhsa_accum_offset 28
		.amdhsa_reserve_vcc 1
		.amdhsa_reserve_flat_scratch 0
		.amdhsa_float_round_mode_32 0
		.amdhsa_float_round_mode_16_64 0
		.amdhsa_float_denorm_mode_32 3
		.amdhsa_float_denorm_mode_16_64 3
		.amdhsa_dx10_clamp 1
		.amdhsa_ieee_mode 1
		.amdhsa_fp16_overflow 0
		.amdhsa_tg_split 0
		.amdhsa_exception_fp_ieee_invalid_op 0
		.amdhsa_exception_fp_denorm_src 0
		.amdhsa_exception_fp_ieee_div_zero 0
		.amdhsa_exception_fp_ieee_overflow 0
		.amdhsa_exception_fp_ieee_underflow 0
		.amdhsa_exception_fp_ieee_inexact 0
		.amdhsa_exception_int_div_zero 0
	.end_amdhsa_kernel
	.section	.text._ZN7rocprim17ROCPRIM_400000_NS6detail17trampoline_kernelINS0_14default_configENS1_38merge_sort_block_merge_config_selectorIiNS0_10empty_typeEEEZZNS1_27merge_sort_block_merge_implIS3_PiPS5_jNS1_19radix_merge_compareILb0ELb1EiNS0_19identity_decomposerEEEEE10hipError_tT0_T1_T2_jT3_P12ihipStream_tbPNSt15iterator_traitsISE_E10value_typeEPNSK_ISF_E10value_typeEPSG_NS1_7vsmem_tEENKUlT_SE_SF_SG_E_clIS8_S8_S9_S9_EESD_ST_SE_SF_SG_EUlST_E0_NS1_11comp_targetILNS1_3genE4ELNS1_11target_archE910ELNS1_3gpuE8ELNS1_3repE0EEENS1_38merge_mergepath_config_static_selectorELNS0_4arch9wavefront6targetE1EEEvSF_,"axG",@progbits,_ZN7rocprim17ROCPRIM_400000_NS6detail17trampoline_kernelINS0_14default_configENS1_38merge_sort_block_merge_config_selectorIiNS0_10empty_typeEEEZZNS1_27merge_sort_block_merge_implIS3_PiPS5_jNS1_19radix_merge_compareILb0ELb1EiNS0_19identity_decomposerEEEEE10hipError_tT0_T1_T2_jT3_P12ihipStream_tbPNSt15iterator_traitsISE_E10value_typeEPNSK_ISF_E10value_typeEPSG_NS1_7vsmem_tEENKUlT_SE_SF_SG_E_clIS8_S8_S9_S9_EESD_ST_SE_SF_SG_EUlST_E0_NS1_11comp_targetILNS1_3genE4ELNS1_11target_archE910ELNS1_3gpuE8ELNS1_3repE0EEENS1_38merge_mergepath_config_static_selectorELNS0_4arch9wavefront6targetE1EEEvSF_,comdat
.Lfunc_end619:
	.size	_ZN7rocprim17ROCPRIM_400000_NS6detail17trampoline_kernelINS0_14default_configENS1_38merge_sort_block_merge_config_selectorIiNS0_10empty_typeEEEZZNS1_27merge_sort_block_merge_implIS3_PiPS5_jNS1_19radix_merge_compareILb0ELb1EiNS0_19identity_decomposerEEEEE10hipError_tT0_T1_T2_jT3_P12ihipStream_tbPNSt15iterator_traitsISE_E10value_typeEPNSK_ISF_E10value_typeEPSG_NS1_7vsmem_tEENKUlT_SE_SF_SG_E_clIS8_S8_S9_S9_EESD_ST_SE_SF_SG_EUlST_E0_NS1_11comp_targetILNS1_3genE4ELNS1_11target_archE910ELNS1_3gpuE8ELNS1_3repE0EEENS1_38merge_mergepath_config_static_selectorELNS0_4arch9wavefront6targetE1EEEvSF_, .Lfunc_end619-_ZN7rocprim17ROCPRIM_400000_NS6detail17trampoline_kernelINS0_14default_configENS1_38merge_sort_block_merge_config_selectorIiNS0_10empty_typeEEEZZNS1_27merge_sort_block_merge_implIS3_PiPS5_jNS1_19radix_merge_compareILb0ELb1EiNS0_19identity_decomposerEEEEE10hipError_tT0_T1_T2_jT3_P12ihipStream_tbPNSt15iterator_traitsISE_E10value_typeEPNSK_ISF_E10value_typeEPSG_NS1_7vsmem_tEENKUlT_SE_SF_SG_E_clIS8_S8_S9_S9_EESD_ST_SE_SF_SG_EUlST_E0_NS1_11comp_targetILNS1_3genE4ELNS1_11target_archE910ELNS1_3gpuE8ELNS1_3repE0EEENS1_38merge_mergepath_config_static_selectorELNS0_4arch9wavefront6targetE1EEEvSF_
                                        ; -- End function
	.section	.AMDGPU.csdata,"",@progbits
; Kernel info:
; codeLenInByte = 3704
; NumSgprs: 29
; NumVgprs: 26
; NumAgprs: 0
; TotalNumVgprs: 26
; ScratchSize: 0
; MemoryBound: 0
; FloatMode: 240
; IeeeMode: 1
; LDSByteSize: 4224 bytes/workgroup (compile time only)
; SGPRBlocks: 3
; VGPRBlocks: 3
; NumSGPRsForWavesPerEU: 29
; NumVGPRsForWavesPerEU: 26
; AccumOffset: 28
; Occupancy: 8
; WaveLimiterHint : 1
; COMPUTE_PGM_RSRC2:SCRATCH_EN: 0
; COMPUTE_PGM_RSRC2:USER_SGPR: 6
; COMPUTE_PGM_RSRC2:TRAP_HANDLER: 0
; COMPUTE_PGM_RSRC2:TGID_X_EN: 1
; COMPUTE_PGM_RSRC2:TGID_Y_EN: 1
; COMPUTE_PGM_RSRC2:TGID_Z_EN: 1
; COMPUTE_PGM_RSRC2:TIDIG_COMP_CNT: 0
; COMPUTE_PGM_RSRC3_GFX90A:ACCUM_OFFSET: 6
; COMPUTE_PGM_RSRC3_GFX90A:TG_SPLIT: 0
	.section	.text._ZN7rocprim17ROCPRIM_400000_NS6detail17trampoline_kernelINS0_14default_configENS1_38merge_sort_block_merge_config_selectorIiNS0_10empty_typeEEEZZNS1_27merge_sort_block_merge_implIS3_PiPS5_jNS1_19radix_merge_compareILb0ELb1EiNS0_19identity_decomposerEEEEE10hipError_tT0_T1_T2_jT3_P12ihipStream_tbPNSt15iterator_traitsISE_E10value_typeEPNSK_ISF_E10value_typeEPSG_NS1_7vsmem_tEENKUlT_SE_SF_SG_E_clIS8_S8_S9_S9_EESD_ST_SE_SF_SG_EUlST_E0_NS1_11comp_targetILNS1_3genE3ELNS1_11target_archE908ELNS1_3gpuE7ELNS1_3repE0EEENS1_38merge_mergepath_config_static_selectorELNS0_4arch9wavefront6targetE1EEEvSF_,"axG",@progbits,_ZN7rocprim17ROCPRIM_400000_NS6detail17trampoline_kernelINS0_14default_configENS1_38merge_sort_block_merge_config_selectorIiNS0_10empty_typeEEEZZNS1_27merge_sort_block_merge_implIS3_PiPS5_jNS1_19radix_merge_compareILb0ELb1EiNS0_19identity_decomposerEEEEE10hipError_tT0_T1_T2_jT3_P12ihipStream_tbPNSt15iterator_traitsISE_E10value_typeEPNSK_ISF_E10value_typeEPSG_NS1_7vsmem_tEENKUlT_SE_SF_SG_E_clIS8_S8_S9_S9_EESD_ST_SE_SF_SG_EUlST_E0_NS1_11comp_targetILNS1_3genE3ELNS1_11target_archE908ELNS1_3gpuE7ELNS1_3repE0EEENS1_38merge_mergepath_config_static_selectorELNS0_4arch9wavefront6targetE1EEEvSF_,comdat
	.protected	_ZN7rocprim17ROCPRIM_400000_NS6detail17trampoline_kernelINS0_14default_configENS1_38merge_sort_block_merge_config_selectorIiNS0_10empty_typeEEEZZNS1_27merge_sort_block_merge_implIS3_PiPS5_jNS1_19radix_merge_compareILb0ELb1EiNS0_19identity_decomposerEEEEE10hipError_tT0_T1_T2_jT3_P12ihipStream_tbPNSt15iterator_traitsISE_E10value_typeEPNSK_ISF_E10value_typeEPSG_NS1_7vsmem_tEENKUlT_SE_SF_SG_E_clIS8_S8_S9_S9_EESD_ST_SE_SF_SG_EUlST_E0_NS1_11comp_targetILNS1_3genE3ELNS1_11target_archE908ELNS1_3gpuE7ELNS1_3repE0EEENS1_38merge_mergepath_config_static_selectorELNS0_4arch9wavefront6targetE1EEEvSF_ ; -- Begin function _ZN7rocprim17ROCPRIM_400000_NS6detail17trampoline_kernelINS0_14default_configENS1_38merge_sort_block_merge_config_selectorIiNS0_10empty_typeEEEZZNS1_27merge_sort_block_merge_implIS3_PiPS5_jNS1_19radix_merge_compareILb0ELb1EiNS0_19identity_decomposerEEEEE10hipError_tT0_T1_T2_jT3_P12ihipStream_tbPNSt15iterator_traitsISE_E10value_typeEPNSK_ISF_E10value_typeEPSG_NS1_7vsmem_tEENKUlT_SE_SF_SG_E_clIS8_S8_S9_S9_EESD_ST_SE_SF_SG_EUlST_E0_NS1_11comp_targetILNS1_3genE3ELNS1_11target_archE908ELNS1_3gpuE7ELNS1_3repE0EEENS1_38merge_mergepath_config_static_selectorELNS0_4arch9wavefront6targetE1EEEvSF_
	.globl	_ZN7rocprim17ROCPRIM_400000_NS6detail17trampoline_kernelINS0_14default_configENS1_38merge_sort_block_merge_config_selectorIiNS0_10empty_typeEEEZZNS1_27merge_sort_block_merge_implIS3_PiPS5_jNS1_19radix_merge_compareILb0ELb1EiNS0_19identity_decomposerEEEEE10hipError_tT0_T1_T2_jT3_P12ihipStream_tbPNSt15iterator_traitsISE_E10value_typeEPNSK_ISF_E10value_typeEPSG_NS1_7vsmem_tEENKUlT_SE_SF_SG_E_clIS8_S8_S9_S9_EESD_ST_SE_SF_SG_EUlST_E0_NS1_11comp_targetILNS1_3genE3ELNS1_11target_archE908ELNS1_3gpuE7ELNS1_3repE0EEENS1_38merge_mergepath_config_static_selectorELNS0_4arch9wavefront6targetE1EEEvSF_
	.p2align	8
	.type	_ZN7rocprim17ROCPRIM_400000_NS6detail17trampoline_kernelINS0_14default_configENS1_38merge_sort_block_merge_config_selectorIiNS0_10empty_typeEEEZZNS1_27merge_sort_block_merge_implIS3_PiPS5_jNS1_19radix_merge_compareILb0ELb1EiNS0_19identity_decomposerEEEEE10hipError_tT0_T1_T2_jT3_P12ihipStream_tbPNSt15iterator_traitsISE_E10value_typeEPNSK_ISF_E10value_typeEPSG_NS1_7vsmem_tEENKUlT_SE_SF_SG_E_clIS8_S8_S9_S9_EESD_ST_SE_SF_SG_EUlST_E0_NS1_11comp_targetILNS1_3genE3ELNS1_11target_archE908ELNS1_3gpuE7ELNS1_3repE0EEENS1_38merge_mergepath_config_static_selectorELNS0_4arch9wavefront6targetE1EEEvSF_,@function
_ZN7rocprim17ROCPRIM_400000_NS6detail17trampoline_kernelINS0_14default_configENS1_38merge_sort_block_merge_config_selectorIiNS0_10empty_typeEEEZZNS1_27merge_sort_block_merge_implIS3_PiPS5_jNS1_19radix_merge_compareILb0ELb1EiNS0_19identity_decomposerEEEEE10hipError_tT0_T1_T2_jT3_P12ihipStream_tbPNSt15iterator_traitsISE_E10value_typeEPNSK_ISF_E10value_typeEPSG_NS1_7vsmem_tEENKUlT_SE_SF_SG_E_clIS8_S8_S9_S9_EESD_ST_SE_SF_SG_EUlST_E0_NS1_11comp_targetILNS1_3genE3ELNS1_11target_archE908ELNS1_3gpuE7ELNS1_3repE0EEENS1_38merge_mergepath_config_static_selectorELNS0_4arch9wavefront6targetE1EEEvSF_: ; @_ZN7rocprim17ROCPRIM_400000_NS6detail17trampoline_kernelINS0_14default_configENS1_38merge_sort_block_merge_config_selectorIiNS0_10empty_typeEEEZZNS1_27merge_sort_block_merge_implIS3_PiPS5_jNS1_19radix_merge_compareILb0ELb1EiNS0_19identity_decomposerEEEEE10hipError_tT0_T1_T2_jT3_P12ihipStream_tbPNSt15iterator_traitsISE_E10value_typeEPNSK_ISF_E10value_typeEPSG_NS1_7vsmem_tEENKUlT_SE_SF_SG_E_clIS8_S8_S9_S9_EESD_ST_SE_SF_SG_EUlST_E0_NS1_11comp_targetILNS1_3genE3ELNS1_11target_archE908ELNS1_3gpuE7ELNS1_3repE0EEENS1_38merge_mergepath_config_static_selectorELNS0_4arch9wavefront6targetE1EEEvSF_
; %bb.0:
	.section	.rodata,"a",@progbits
	.p2align	6, 0x0
	.amdhsa_kernel _ZN7rocprim17ROCPRIM_400000_NS6detail17trampoline_kernelINS0_14default_configENS1_38merge_sort_block_merge_config_selectorIiNS0_10empty_typeEEEZZNS1_27merge_sort_block_merge_implIS3_PiPS5_jNS1_19radix_merge_compareILb0ELb1EiNS0_19identity_decomposerEEEEE10hipError_tT0_T1_T2_jT3_P12ihipStream_tbPNSt15iterator_traitsISE_E10value_typeEPNSK_ISF_E10value_typeEPSG_NS1_7vsmem_tEENKUlT_SE_SF_SG_E_clIS8_S8_S9_S9_EESD_ST_SE_SF_SG_EUlST_E0_NS1_11comp_targetILNS1_3genE3ELNS1_11target_archE908ELNS1_3gpuE7ELNS1_3repE0EEENS1_38merge_mergepath_config_static_selectorELNS0_4arch9wavefront6targetE1EEEvSF_
		.amdhsa_group_segment_fixed_size 0
		.amdhsa_private_segment_fixed_size 0
		.amdhsa_kernarg_size 64
		.amdhsa_user_sgpr_count 6
		.amdhsa_user_sgpr_private_segment_buffer 1
		.amdhsa_user_sgpr_dispatch_ptr 0
		.amdhsa_user_sgpr_queue_ptr 0
		.amdhsa_user_sgpr_kernarg_segment_ptr 1
		.amdhsa_user_sgpr_dispatch_id 0
		.amdhsa_user_sgpr_flat_scratch_init 0
		.amdhsa_user_sgpr_kernarg_preload_length 0
		.amdhsa_user_sgpr_kernarg_preload_offset 0
		.amdhsa_user_sgpr_private_segment_size 0
		.amdhsa_uses_dynamic_stack 0
		.amdhsa_system_sgpr_private_segment_wavefront_offset 0
		.amdhsa_system_sgpr_workgroup_id_x 1
		.amdhsa_system_sgpr_workgroup_id_y 0
		.amdhsa_system_sgpr_workgroup_id_z 0
		.amdhsa_system_sgpr_workgroup_info 0
		.amdhsa_system_vgpr_workitem_id 0
		.amdhsa_next_free_vgpr 1
		.amdhsa_next_free_sgpr 0
		.amdhsa_accum_offset 4
		.amdhsa_reserve_vcc 0
		.amdhsa_reserve_flat_scratch 0
		.amdhsa_float_round_mode_32 0
		.amdhsa_float_round_mode_16_64 0
		.amdhsa_float_denorm_mode_32 3
		.amdhsa_float_denorm_mode_16_64 3
		.amdhsa_dx10_clamp 1
		.amdhsa_ieee_mode 1
		.amdhsa_fp16_overflow 0
		.amdhsa_tg_split 0
		.amdhsa_exception_fp_ieee_invalid_op 0
		.amdhsa_exception_fp_denorm_src 0
		.amdhsa_exception_fp_ieee_div_zero 0
		.amdhsa_exception_fp_ieee_overflow 0
		.amdhsa_exception_fp_ieee_underflow 0
		.amdhsa_exception_fp_ieee_inexact 0
		.amdhsa_exception_int_div_zero 0
	.end_amdhsa_kernel
	.section	.text._ZN7rocprim17ROCPRIM_400000_NS6detail17trampoline_kernelINS0_14default_configENS1_38merge_sort_block_merge_config_selectorIiNS0_10empty_typeEEEZZNS1_27merge_sort_block_merge_implIS3_PiPS5_jNS1_19radix_merge_compareILb0ELb1EiNS0_19identity_decomposerEEEEE10hipError_tT0_T1_T2_jT3_P12ihipStream_tbPNSt15iterator_traitsISE_E10value_typeEPNSK_ISF_E10value_typeEPSG_NS1_7vsmem_tEENKUlT_SE_SF_SG_E_clIS8_S8_S9_S9_EESD_ST_SE_SF_SG_EUlST_E0_NS1_11comp_targetILNS1_3genE3ELNS1_11target_archE908ELNS1_3gpuE7ELNS1_3repE0EEENS1_38merge_mergepath_config_static_selectorELNS0_4arch9wavefront6targetE1EEEvSF_,"axG",@progbits,_ZN7rocprim17ROCPRIM_400000_NS6detail17trampoline_kernelINS0_14default_configENS1_38merge_sort_block_merge_config_selectorIiNS0_10empty_typeEEEZZNS1_27merge_sort_block_merge_implIS3_PiPS5_jNS1_19radix_merge_compareILb0ELb1EiNS0_19identity_decomposerEEEEE10hipError_tT0_T1_T2_jT3_P12ihipStream_tbPNSt15iterator_traitsISE_E10value_typeEPNSK_ISF_E10value_typeEPSG_NS1_7vsmem_tEENKUlT_SE_SF_SG_E_clIS8_S8_S9_S9_EESD_ST_SE_SF_SG_EUlST_E0_NS1_11comp_targetILNS1_3genE3ELNS1_11target_archE908ELNS1_3gpuE7ELNS1_3repE0EEENS1_38merge_mergepath_config_static_selectorELNS0_4arch9wavefront6targetE1EEEvSF_,comdat
.Lfunc_end620:
	.size	_ZN7rocprim17ROCPRIM_400000_NS6detail17trampoline_kernelINS0_14default_configENS1_38merge_sort_block_merge_config_selectorIiNS0_10empty_typeEEEZZNS1_27merge_sort_block_merge_implIS3_PiPS5_jNS1_19radix_merge_compareILb0ELb1EiNS0_19identity_decomposerEEEEE10hipError_tT0_T1_T2_jT3_P12ihipStream_tbPNSt15iterator_traitsISE_E10value_typeEPNSK_ISF_E10value_typeEPSG_NS1_7vsmem_tEENKUlT_SE_SF_SG_E_clIS8_S8_S9_S9_EESD_ST_SE_SF_SG_EUlST_E0_NS1_11comp_targetILNS1_3genE3ELNS1_11target_archE908ELNS1_3gpuE7ELNS1_3repE0EEENS1_38merge_mergepath_config_static_selectorELNS0_4arch9wavefront6targetE1EEEvSF_, .Lfunc_end620-_ZN7rocprim17ROCPRIM_400000_NS6detail17trampoline_kernelINS0_14default_configENS1_38merge_sort_block_merge_config_selectorIiNS0_10empty_typeEEEZZNS1_27merge_sort_block_merge_implIS3_PiPS5_jNS1_19radix_merge_compareILb0ELb1EiNS0_19identity_decomposerEEEEE10hipError_tT0_T1_T2_jT3_P12ihipStream_tbPNSt15iterator_traitsISE_E10value_typeEPNSK_ISF_E10value_typeEPSG_NS1_7vsmem_tEENKUlT_SE_SF_SG_E_clIS8_S8_S9_S9_EESD_ST_SE_SF_SG_EUlST_E0_NS1_11comp_targetILNS1_3genE3ELNS1_11target_archE908ELNS1_3gpuE7ELNS1_3repE0EEENS1_38merge_mergepath_config_static_selectorELNS0_4arch9wavefront6targetE1EEEvSF_
                                        ; -- End function
	.section	.AMDGPU.csdata,"",@progbits
; Kernel info:
; codeLenInByte = 0
; NumSgprs: 4
; NumVgprs: 0
; NumAgprs: 0
; TotalNumVgprs: 0
; ScratchSize: 0
; MemoryBound: 0
; FloatMode: 240
; IeeeMode: 1
; LDSByteSize: 0 bytes/workgroup (compile time only)
; SGPRBlocks: 0
; VGPRBlocks: 0
; NumSGPRsForWavesPerEU: 4
; NumVGPRsForWavesPerEU: 1
; AccumOffset: 4
; Occupancy: 8
; WaveLimiterHint : 0
; COMPUTE_PGM_RSRC2:SCRATCH_EN: 0
; COMPUTE_PGM_RSRC2:USER_SGPR: 6
; COMPUTE_PGM_RSRC2:TRAP_HANDLER: 0
; COMPUTE_PGM_RSRC2:TGID_X_EN: 1
; COMPUTE_PGM_RSRC2:TGID_Y_EN: 0
; COMPUTE_PGM_RSRC2:TGID_Z_EN: 0
; COMPUTE_PGM_RSRC2:TIDIG_COMP_CNT: 0
; COMPUTE_PGM_RSRC3_GFX90A:ACCUM_OFFSET: 0
; COMPUTE_PGM_RSRC3_GFX90A:TG_SPLIT: 0
	.section	.text._ZN7rocprim17ROCPRIM_400000_NS6detail17trampoline_kernelINS0_14default_configENS1_38merge_sort_block_merge_config_selectorIiNS0_10empty_typeEEEZZNS1_27merge_sort_block_merge_implIS3_PiPS5_jNS1_19radix_merge_compareILb0ELb1EiNS0_19identity_decomposerEEEEE10hipError_tT0_T1_T2_jT3_P12ihipStream_tbPNSt15iterator_traitsISE_E10value_typeEPNSK_ISF_E10value_typeEPSG_NS1_7vsmem_tEENKUlT_SE_SF_SG_E_clIS8_S8_S9_S9_EESD_ST_SE_SF_SG_EUlST_E0_NS1_11comp_targetILNS1_3genE2ELNS1_11target_archE906ELNS1_3gpuE6ELNS1_3repE0EEENS1_38merge_mergepath_config_static_selectorELNS0_4arch9wavefront6targetE1EEEvSF_,"axG",@progbits,_ZN7rocprim17ROCPRIM_400000_NS6detail17trampoline_kernelINS0_14default_configENS1_38merge_sort_block_merge_config_selectorIiNS0_10empty_typeEEEZZNS1_27merge_sort_block_merge_implIS3_PiPS5_jNS1_19radix_merge_compareILb0ELb1EiNS0_19identity_decomposerEEEEE10hipError_tT0_T1_T2_jT3_P12ihipStream_tbPNSt15iterator_traitsISE_E10value_typeEPNSK_ISF_E10value_typeEPSG_NS1_7vsmem_tEENKUlT_SE_SF_SG_E_clIS8_S8_S9_S9_EESD_ST_SE_SF_SG_EUlST_E0_NS1_11comp_targetILNS1_3genE2ELNS1_11target_archE906ELNS1_3gpuE6ELNS1_3repE0EEENS1_38merge_mergepath_config_static_selectorELNS0_4arch9wavefront6targetE1EEEvSF_,comdat
	.protected	_ZN7rocprim17ROCPRIM_400000_NS6detail17trampoline_kernelINS0_14default_configENS1_38merge_sort_block_merge_config_selectorIiNS0_10empty_typeEEEZZNS1_27merge_sort_block_merge_implIS3_PiPS5_jNS1_19radix_merge_compareILb0ELb1EiNS0_19identity_decomposerEEEEE10hipError_tT0_T1_T2_jT3_P12ihipStream_tbPNSt15iterator_traitsISE_E10value_typeEPNSK_ISF_E10value_typeEPSG_NS1_7vsmem_tEENKUlT_SE_SF_SG_E_clIS8_S8_S9_S9_EESD_ST_SE_SF_SG_EUlST_E0_NS1_11comp_targetILNS1_3genE2ELNS1_11target_archE906ELNS1_3gpuE6ELNS1_3repE0EEENS1_38merge_mergepath_config_static_selectorELNS0_4arch9wavefront6targetE1EEEvSF_ ; -- Begin function _ZN7rocprim17ROCPRIM_400000_NS6detail17trampoline_kernelINS0_14default_configENS1_38merge_sort_block_merge_config_selectorIiNS0_10empty_typeEEEZZNS1_27merge_sort_block_merge_implIS3_PiPS5_jNS1_19radix_merge_compareILb0ELb1EiNS0_19identity_decomposerEEEEE10hipError_tT0_T1_T2_jT3_P12ihipStream_tbPNSt15iterator_traitsISE_E10value_typeEPNSK_ISF_E10value_typeEPSG_NS1_7vsmem_tEENKUlT_SE_SF_SG_E_clIS8_S8_S9_S9_EESD_ST_SE_SF_SG_EUlST_E0_NS1_11comp_targetILNS1_3genE2ELNS1_11target_archE906ELNS1_3gpuE6ELNS1_3repE0EEENS1_38merge_mergepath_config_static_selectorELNS0_4arch9wavefront6targetE1EEEvSF_
	.globl	_ZN7rocprim17ROCPRIM_400000_NS6detail17trampoline_kernelINS0_14default_configENS1_38merge_sort_block_merge_config_selectorIiNS0_10empty_typeEEEZZNS1_27merge_sort_block_merge_implIS3_PiPS5_jNS1_19radix_merge_compareILb0ELb1EiNS0_19identity_decomposerEEEEE10hipError_tT0_T1_T2_jT3_P12ihipStream_tbPNSt15iterator_traitsISE_E10value_typeEPNSK_ISF_E10value_typeEPSG_NS1_7vsmem_tEENKUlT_SE_SF_SG_E_clIS8_S8_S9_S9_EESD_ST_SE_SF_SG_EUlST_E0_NS1_11comp_targetILNS1_3genE2ELNS1_11target_archE906ELNS1_3gpuE6ELNS1_3repE0EEENS1_38merge_mergepath_config_static_selectorELNS0_4arch9wavefront6targetE1EEEvSF_
	.p2align	8
	.type	_ZN7rocprim17ROCPRIM_400000_NS6detail17trampoline_kernelINS0_14default_configENS1_38merge_sort_block_merge_config_selectorIiNS0_10empty_typeEEEZZNS1_27merge_sort_block_merge_implIS3_PiPS5_jNS1_19radix_merge_compareILb0ELb1EiNS0_19identity_decomposerEEEEE10hipError_tT0_T1_T2_jT3_P12ihipStream_tbPNSt15iterator_traitsISE_E10value_typeEPNSK_ISF_E10value_typeEPSG_NS1_7vsmem_tEENKUlT_SE_SF_SG_E_clIS8_S8_S9_S9_EESD_ST_SE_SF_SG_EUlST_E0_NS1_11comp_targetILNS1_3genE2ELNS1_11target_archE906ELNS1_3gpuE6ELNS1_3repE0EEENS1_38merge_mergepath_config_static_selectorELNS0_4arch9wavefront6targetE1EEEvSF_,@function
_ZN7rocprim17ROCPRIM_400000_NS6detail17trampoline_kernelINS0_14default_configENS1_38merge_sort_block_merge_config_selectorIiNS0_10empty_typeEEEZZNS1_27merge_sort_block_merge_implIS3_PiPS5_jNS1_19radix_merge_compareILb0ELb1EiNS0_19identity_decomposerEEEEE10hipError_tT0_T1_T2_jT3_P12ihipStream_tbPNSt15iterator_traitsISE_E10value_typeEPNSK_ISF_E10value_typeEPSG_NS1_7vsmem_tEENKUlT_SE_SF_SG_E_clIS8_S8_S9_S9_EESD_ST_SE_SF_SG_EUlST_E0_NS1_11comp_targetILNS1_3genE2ELNS1_11target_archE906ELNS1_3gpuE6ELNS1_3repE0EEENS1_38merge_mergepath_config_static_selectorELNS0_4arch9wavefront6targetE1EEEvSF_: ; @_ZN7rocprim17ROCPRIM_400000_NS6detail17trampoline_kernelINS0_14default_configENS1_38merge_sort_block_merge_config_selectorIiNS0_10empty_typeEEEZZNS1_27merge_sort_block_merge_implIS3_PiPS5_jNS1_19radix_merge_compareILb0ELb1EiNS0_19identity_decomposerEEEEE10hipError_tT0_T1_T2_jT3_P12ihipStream_tbPNSt15iterator_traitsISE_E10value_typeEPNSK_ISF_E10value_typeEPSG_NS1_7vsmem_tEENKUlT_SE_SF_SG_E_clIS8_S8_S9_S9_EESD_ST_SE_SF_SG_EUlST_E0_NS1_11comp_targetILNS1_3genE2ELNS1_11target_archE906ELNS1_3gpuE6ELNS1_3repE0EEENS1_38merge_mergepath_config_static_selectorELNS0_4arch9wavefront6targetE1EEEvSF_
; %bb.0:
	.section	.rodata,"a",@progbits
	.p2align	6, 0x0
	.amdhsa_kernel _ZN7rocprim17ROCPRIM_400000_NS6detail17trampoline_kernelINS0_14default_configENS1_38merge_sort_block_merge_config_selectorIiNS0_10empty_typeEEEZZNS1_27merge_sort_block_merge_implIS3_PiPS5_jNS1_19radix_merge_compareILb0ELb1EiNS0_19identity_decomposerEEEEE10hipError_tT0_T1_T2_jT3_P12ihipStream_tbPNSt15iterator_traitsISE_E10value_typeEPNSK_ISF_E10value_typeEPSG_NS1_7vsmem_tEENKUlT_SE_SF_SG_E_clIS8_S8_S9_S9_EESD_ST_SE_SF_SG_EUlST_E0_NS1_11comp_targetILNS1_3genE2ELNS1_11target_archE906ELNS1_3gpuE6ELNS1_3repE0EEENS1_38merge_mergepath_config_static_selectorELNS0_4arch9wavefront6targetE1EEEvSF_
		.amdhsa_group_segment_fixed_size 0
		.amdhsa_private_segment_fixed_size 0
		.amdhsa_kernarg_size 64
		.amdhsa_user_sgpr_count 6
		.amdhsa_user_sgpr_private_segment_buffer 1
		.amdhsa_user_sgpr_dispatch_ptr 0
		.amdhsa_user_sgpr_queue_ptr 0
		.amdhsa_user_sgpr_kernarg_segment_ptr 1
		.amdhsa_user_sgpr_dispatch_id 0
		.amdhsa_user_sgpr_flat_scratch_init 0
		.amdhsa_user_sgpr_kernarg_preload_length 0
		.amdhsa_user_sgpr_kernarg_preload_offset 0
		.amdhsa_user_sgpr_private_segment_size 0
		.amdhsa_uses_dynamic_stack 0
		.amdhsa_system_sgpr_private_segment_wavefront_offset 0
		.amdhsa_system_sgpr_workgroup_id_x 1
		.amdhsa_system_sgpr_workgroup_id_y 0
		.amdhsa_system_sgpr_workgroup_id_z 0
		.amdhsa_system_sgpr_workgroup_info 0
		.amdhsa_system_vgpr_workitem_id 0
		.amdhsa_next_free_vgpr 1
		.amdhsa_next_free_sgpr 0
		.amdhsa_accum_offset 4
		.amdhsa_reserve_vcc 0
		.amdhsa_reserve_flat_scratch 0
		.amdhsa_float_round_mode_32 0
		.amdhsa_float_round_mode_16_64 0
		.amdhsa_float_denorm_mode_32 3
		.amdhsa_float_denorm_mode_16_64 3
		.amdhsa_dx10_clamp 1
		.amdhsa_ieee_mode 1
		.amdhsa_fp16_overflow 0
		.amdhsa_tg_split 0
		.amdhsa_exception_fp_ieee_invalid_op 0
		.amdhsa_exception_fp_denorm_src 0
		.amdhsa_exception_fp_ieee_div_zero 0
		.amdhsa_exception_fp_ieee_overflow 0
		.amdhsa_exception_fp_ieee_underflow 0
		.amdhsa_exception_fp_ieee_inexact 0
		.amdhsa_exception_int_div_zero 0
	.end_amdhsa_kernel
	.section	.text._ZN7rocprim17ROCPRIM_400000_NS6detail17trampoline_kernelINS0_14default_configENS1_38merge_sort_block_merge_config_selectorIiNS0_10empty_typeEEEZZNS1_27merge_sort_block_merge_implIS3_PiPS5_jNS1_19radix_merge_compareILb0ELb1EiNS0_19identity_decomposerEEEEE10hipError_tT0_T1_T2_jT3_P12ihipStream_tbPNSt15iterator_traitsISE_E10value_typeEPNSK_ISF_E10value_typeEPSG_NS1_7vsmem_tEENKUlT_SE_SF_SG_E_clIS8_S8_S9_S9_EESD_ST_SE_SF_SG_EUlST_E0_NS1_11comp_targetILNS1_3genE2ELNS1_11target_archE906ELNS1_3gpuE6ELNS1_3repE0EEENS1_38merge_mergepath_config_static_selectorELNS0_4arch9wavefront6targetE1EEEvSF_,"axG",@progbits,_ZN7rocprim17ROCPRIM_400000_NS6detail17trampoline_kernelINS0_14default_configENS1_38merge_sort_block_merge_config_selectorIiNS0_10empty_typeEEEZZNS1_27merge_sort_block_merge_implIS3_PiPS5_jNS1_19radix_merge_compareILb0ELb1EiNS0_19identity_decomposerEEEEE10hipError_tT0_T1_T2_jT3_P12ihipStream_tbPNSt15iterator_traitsISE_E10value_typeEPNSK_ISF_E10value_typeEPSG_NS1_7vsmem_tEENKUlT_SE_SF_SG_E_clIS8_S8_S9_S9_EESD_ST_SE_SF_SG_EUlST_E0_NS1_11comp_targetILNS1_3genE2ELNS1_11target_archE906ELNS1_3gpuE6ELNS1_3repE0EEENS1_38merge_mergepath_config_static_selectorELNS0_4arch9wavefront6targetE1EEEvSF_,comdat
.Lfunc_end621:
	.size	_ZN7rocprim17ROCPRIM_400000_NS6detail17trampoline_kernelINS0_14default_configENS1_38merge_sort_block_merge_config_selectorIiNS0_10empty_typeEEEZZNS1_27merge_sort_block_merge_implIS3_PiPS5_jNS1_19radix_merge_compareILb0ELb1EiNS0_19identity_decomposerEEEEE10hipError_tT0_T1_T2_jT3_P12ihipStream_tbPNSt15iterator_traitsISE_E10value_typeEPNSK_ISF_E10value_typeEPSG_NS1_7vsmem_tEENKUlT_SE_SF_SG_E_clIS8_S8_S9_S9_EESD_ST_SE_SF_SG_EUlST_E0_NS1_11comp_targetILNS1_3genE2ELNS1_11target_archE906ELNS1_3gpuE6ELNS1_3repE0EEENS1_38merge_mergepath_config_static_selectorELNS0_4arch9wavefront6targetE1EEEvSF_, .Lfunc_end621-_ZN7rocprim17ROCPRIM_400000_NS6detail17trampoline_kernelINS0_14default_configENS1_38merge_sort_block_merge_config_selectorIiNS0_10empty_typeEEEZZNS1_27merge_sort_block_merge_implIS3_PiPS5_jNS1_19radix_merge_compareILb0ELb1EiNS0_19identity_decomposerEEEEE10hipError_tT0_T1_T2_jT3_P12ihipStream_tbPNSt15iterator_traitsISE_E10value_typeEPNSK_ISF_E10value_typeEPSG_NS1_7vsmem_tEENKUlT_SE_SF_SG_E_clIS8_S8_S9_S9_EESD_ST_SE_SF_SG_EUlST_E0_NS1_11comp_targetILNS1_3genE2ELNS1_11target_archE906ELNS1_3gpuE6ELNS1_3repE0EEENS1_38merge_mergepath_config_static_selectorELNS0_4arch9wavefront6targetE1EEEvSF_
                                        ; -- End function
	.section	.AMDGPU.csdata,"",@progbits
; Kernel info:
; codeLenInByte = 0
; NumSgprs: 4
; NumVgprs: 0
; NumAgprs: 0
; TotalNumVgprs: 0
; ScratchSize: 0
; MemoryBound: 0
; FloatMode: 240
; IeeeMode: 1
; LDSByteSize: 0 bytes/workgroup (compile time only)
; SGPRBlocks: 0
; VGPRBlocks: 0
; NumSGPRsForWavesPerEU: 4
; NumVGPRsForWavesPerEU: 1
; AccumOffset: 4
; Occupancy: 8
; WaveLimiterHint : 0
; COMPUTE_PGM_RSRC2:SCRATCH_EN: 0
; COMPUTE_PGM_RSRC2:USER_SGPR: 6
; COMPUTE_PGM_RSRC2:TRAP_HANDLER: 0
; COMPUTE_PGM_RSRC2:TGID_X_EN: 1
; COMPUTE_PGM_RSRC2:TGID_Y_EN: 0
; COMPUTE_PGM_RSRC2:TGID_Z_EN: 0
; COMPUTE_PGM_RSRC2:TIDIG_COMP_CNT: 0
; COMPUTE_PGM_RSRC3_GFX90A:ACCUM_OFFSET: 0
; COMPUTE_PGM_RSRC3_GFX90A:TG_SPLIT: 0
	.section	.text._ZN7rocprim17ROCPRIM_400000_NS6detail17trampoline_kernelINS0_14default_configENS1_38merge_sort_block_merge_config_selectorIiNS0_10empty_typeEEEZZNS1_27merge_sort_block_merge_implIS3_PiPS5_jNS1_19radix_merge_compareILb0ELb1EiNS0_19identity_decomposerEEEEE10hipError_tT0_T1_T2_jT3_P12ihipStream_tbPNSt15iterator_traitsISE_E10value_typeEPNSK_ISF_E10value_typeEPSG_NS1_7vsmem_tEENKUlT_SE_SF_SG_E_clIS8_S8_S9_S9_EESD_ST_SE_SF_SG_EUlST_E0_NS1_11comp_targetILNS1_3genE9ELNS1_11target_archE1100ELNS1_3gpuE3ELNS1_3repE0EEENS1_38merge_mergepath_config_static_selectorELNS0_4arch9wavefront6targetE1EEEvSF_,"axG",@progbits,_ZN7rocprim17ROCPRIM_400000_NS6detail17trampoline_kernelINS0_14default_configENS1_38merge_sort_block_merge_config_selectorIiNS0_10empty_typeEEEZZNS1_27merge_sort_block_merge_implIS3_PiPS5_jNS1_19radix_merge_compareILb0ELb1EiNS0_19identity_decomposerEEEEE10hipError_tT0_T1_T2_jT3_P12ihipStream_tbPNSt15iterator_traitsISE_E10value_typeEPNSK_ISF_E10value_typeEPSG_NS1_7vsmem_tEENKUlT_SE_SF_SG_E_clIS8_S8_S9_S9_EESD_ST_SE_SF_SG_EUlST_E0_NS1_11comp_targetILNS1_3genE9ELNS1_11target_archE1100ELNS1_3gpuE3ELNS1_3repE0EEENS1_38merge_mergepath_config_static_selectorELNS0_4arch9wavefront6targetE1EEEvSF_,comdat
	.protected	_ZN7rocprim17ROCPRIM_400000_NS6detail17trampoline_kernelINS0_14default_configENS1_38merge_sort_block_merge_config_selectorIiNS0_10empty_typeEEEZZNS1_27merge_sort_block_merge_implIS3_PiPS5_jNS1_19radix_merge_compareILb0ELb1EiNS0_19identity_decomposerEEEEE10hipError_tT0_T1_T2_jT3_P12ihipStream_tbPNSt15iterator_traitsISE_E10value_typeEPNSK_ISF_E10value_typeEPSG_NS1_7vsmem_tEENKUlT_SE_SF_SG_E_clIS8_S8_S9_S9_EESD_ST_SE_SF_SG_EUlST_E0_NS1_11comp_targetILNS1_3genE9ELNS1_11target_archE1100ELNS1_3gpuE3ELNS1_3repE0EEENS1_38merge_mergepath_config_static_selectorELNS0_4arch9wavefront6targetE1EEEvSF_ ; -- Begin function _ZN7rocprim17ROCPRIM_400000_NS6detail17trampoline_kernelINS0_14default_configENS1_38merge_sort_block_merge_config_selectorIiNS0_10empty_typeEEEZZNS1_27merge_sort_block_merge_implIS3_PiPS5_jNS1_19radix_merge_compareILb0ELb1EiNS0_19identity_decomposerEEEEE10hipError_tT0_T1_T2_jT3_P12ihipStream_tbPNSt15iterator_traitsISE_E10value_typeEPNSK_ISF_E10value_typeEPSG_NS1_7vsmem_tEENKUlT_SE_SF_SG_E_clIS8_S8_S9_S9_EESD_ST_SE_SF_SG_EUlST_E0_NS1_11comp_targetILNS1_3genE9ELNS1_11target_archE1100ELNS1_3gpuE3ELNS1_3repE0EEENS1_38merge_mergepath_config_static_selectorELNS0_4arch9wavefront6targetE1EEEvSF_
	.globl	_ZN7rocprim17ROCPRIM_400000_NS6detail17trampoline_kernelINS0_14default_configENS1_38merge_sort_block_merge_config_selectorIiNS0_10empty_typeEEEZZNS1_27merge_sort_block_merge_implIS3_PiPS5_jNS1_19radix_merge_compareILb0ELb1EiNS0_19identity_decomposerEEEEE10hipError_tT0_T1_T2_jT3_P12ihipStream_tbPNSt15iterator_traitsISE_E10value_typeEPNSK_ISF_E10value_typeEPSG_NS1_7vsmem_tEENKUlT_SE_SF_SG_E_clIS8_S8_S9_S9_EESD_ST_SE_SF_SG_EUlST_E0_NS1_11comp_targetILNS1_3genE9ELNS1_11target_archE1100ELNS1_3gpuE3ELNS1_3repE0EEENS1_38merge_mergepath_config_static_selectorELNS0_4arch9wavefront6targetE1EEEvSF_
	.p2align	8
	.type	_ZN7rocprim17ROCPRIM_400000_NS6detail17trampoline_kernelINS0_14default_configENS1_38merge_sort_block_merge_config_selectorIiNS0_10empty_typeEEEZZNS1_27merge_sort_block_merge_implIS3_PiPS5_jNS1_19radix_merge_compareILb0ELb1EiNS0_19identity_decomposerEEEEE10hipError_tT0_T1_T2_jT3_P12ihipStream_tbPNSt15iterator_traitsISE_E10value_typeEPNSK_ISF_E10value_typeEPSG_NS1_7vsmem_tEENKUlT_SE_SF_SG_E_clIS8_S8_S9_S9_EESD_ST_SE_SF_SG_EUlST_E0_NS1_11comp_targetILNS1_3genE9ELNS1_11target_archE1100ELNS1_3gpuE3ELNS1_3repE0EEENS1_38merge_mergepath_config_static_selectorELNS0_4arch9wavefront6targetE1EEEvSF_,@function
_ZN7rocprim17ROCPRIM_400000_NS6detail17trampoline_kernelINS0_14default_configENS1_38merge_sort_block_merge_config_selectorIiNS0_10empty_typeEEEZZNS1_27merge_sort_block_merge_implIS3_PiPS5_jNS1_19radix_merge_compareILb0ELb1EiNS0_19identity_decomposerEEEEE10hipError_tT0_T1_T2_jT3_P12ihipStream_tbPNSt15iterator_traitsISE_E10value_typeEPNSK_ISF_E10value_typeEPSG_NS1_7vsmem_tEENKUlT_SE_SF_SG_E_clIS8_S8_S9_S9_EESD_ST_SE_SF_SG_EUlST_E0_NS1_11comp_targetILNS1_3genE9ELNS1_11target_archE1100ELNS1_3gpuE3ELNS1_3repE0EEENS1_38merge_mergepath_config_static_selectorELNS0_4arch9wavefront6targetE1EEEvSF_: ; @_ZN7rocprim17ROCPRIM_400000_NS6detail17trampoline_kernelINS0_14default_configENS1_38merge_sort_block_merge_config_selectorIiNS0_10empty_typeEEEZZNS1_27merge_sort_block_merge_implIS3_PiPS5_jNS1_19radix_merge_compareILb0ELb1EiNS0_19identity_decomposerEEEEE10hipError_tT0_T1_T2_jT3_P12ihipStream_tbPNSt15iterator_traitsISE_E10value_typeEPNSK_ISF_E10value_typeEPSG_NS1_7vsmem_tEENKUlT_SE_SF_SG_E_clIS8_S8_S9_S9_EESD_ST_SE_SF_SG_EUlST_E0_NS1_11comp_targetILNS1_3genE9ELNS1_11target_archE1100ELNS1_3gpuE3ELNS1_3repE0EEENS1_38merge_mergepath_config_static_selectorELNS0_4arch9wavefront6targetE1EEEvSF_
; %bb.0:
	.section	.rodata,"a",@progbits
	.p2align	6, 0x0
	.amdhsa_kernel _ZN7rocprim17ROCPRIM_400000_NS6detail17trampoline_kernelINS0_14default_configENS1_38merge_sort_block_merge_config_selectorIiNS0_10empty_typeEEEZZNS1_27merge_sort_block_merge_implIS3_PiPS5_jNS1_19radix_merge_compareILb0ELb1EiNS0_19identity_decomposerEEEEE10hipError_tT0_T1_T2_jT3_P12ihipStream_tbPNSt15iterator_traitsISE_E10value_typeEPNSK_ISF_E10value_typeEPSG_NS1_7vsmem_tEENKUlT_SE_SF_SG_E_clIS8_S8_S9_S9_EESD_ST_SE_SF_SG_EUlST_E0_NS1_11comp_targetILNS1_3genE9ELNS1_11target_archE1100ELNS1_3gpuE3ELNS1_3repE0EEENS1_38merge_mergepath_config_static_selectorELNS0_4arch9wavefront6targetE1EEEvSF_
		.amdhsa_group_segment_fixed_size 0
		.amdhsa_private_segment_fixed_size 0
		.amdhsa_kernarg_size 64
		.amdhsa_user_sgpr_count 6
		.amdhsa_user_sgpr_private_segment_buffer 1
		.amdhsa_user_sgpr_dispatch_ptr 0
		.amdhsa_user_sgpr_queue_ptr 0
		.amdhsa_user_sgpr_kernarg_segment_ptr 1
		.amdhsa_user_sgpr_dispatch_id 0
		.amdhsa_user_sgpr_flat_scratch_init 0
		.amdhsa_user_sgpr_kernarg_preload_length 0
		.amdhsa_user_sgpr_kernarg_preload_offset 0
		.amdhsa_user_sgpr_private_segment_size 0
		.amdhsa_uses_dynamic_stack 0
		.amdhsa_system_sgpr_private_segment_wavefront_offset 0
		.amdhsa_system_sgpr_workgroup_id_x 1
		.amdhsa_system_sgpr_workgroup_id_y 0
		.amdhsa_system_sgpr_workgroup_id_z 0
		.amdhsa_system_sgpr_workgroup_info 0
		.amdhsa_system_vgpr_workitem_id 0
		.amdhsa_next_free_vgpr 1
		.amdhsa_next_free_sgpr 0
		.amdhsa_accum_offset 4
		.amdhsa_reserve_vcc 0
		.amdhsa_reserve_flat_scratch 0
		.amdhsa_float_round_mode_32 0
		.amdhsa_float_round_mode_16_64 0
		.amdhsa_float_denorm_mode_32 3
		.amdhsa_float_denorm_mode_16_64 3
		.amdhsa_dx10_clamp 1
		.amdhsa_ieee_mode 1
		.amdhsa_fp16_overflow 0
		.amdhsa_tg_split 0
		.amdhsa_exception_fp_ieee_invalid_op 0
		.amdhsa_exception_fp_denorm_src 0
		.amdhsa_exception_fp_ieee_div_zero 0
		.amdhsa_exception_fp_ieee_overflow 0
		.amdhsa_exception_fp_ieee_underflow 0
		.amdhsa_exception_fp_ieee_inexact 0
		.amdhsa_exception_int_div_zero 0
	.end_amdhsa_kernel
	.section	.text._ZN7rocprim17ROCPRIM_400000_NS6detail17trampoline_kernelINS0_14default_configENS1_38merge_sort_block_merge_config_selectorIiNS0_10empty_typeEEEZZNS1_27merge_sort_block_merge_implIS3_PiPS5_jNS1_19radix_merge_compareILb0ELb1EiNS0_19identity_decomposerEEEEE10hipError_tT0_T1_T2_jT3_P12ihipStream_tbPNSt15iterator_traitsISE_E10value_typeEPNSK_ISF_E10value_typeEPSG_NS1_7vsmem_tEENKUlT_SE_SF_SG_E_clIS8_S8_S9_S9_EESD_ST_SE_SF_SG_EUlST_E0_NS1_11comp_targetILNS1_3genE9ELNS1_11target_archE1100ELNS1_3gpuE3ELNS1_3repE0EEENS1_38merge_mergepath_config_static_selectorELNS0_4arch9wavefront6targetE1EEEvSF_,"axG",@progbits,_ZN7rocprim17ROCPRIM_400000_NS6detail17trampoline_kernelINS0_14default_configENS1_38merge_sort_block_merge_config_selectorIiNS0_10empty_typeEEEZZNS1_27merge_sort_block_merge_implIS3_PiPS5_jNS1_19radix_merge_compareILb0ELb1EiNS0_19identity_decomposerEEEEE10hipError_tT0_T1_T2_jT3_P12ihipStream_tbPNSt15iterator_traitsISE_E10value_typeEPNSK_ISF_E10value_typeEPSG_NS1_7vsmem_tEENKUlT_SE_SF_SG_E_clIS8_S8_S9_S9_EESD_ST_SE_SF_SG_EUlST_E0_NS1_11comp_targetILNS1_3genE9ELNS1_11target_archE1100ELNS1_3gpuE3ELNS1_3repE0EEENS1_38merge_mergepath_config_static_selectorELNS0_4arch9wavefront6targetE1EEEvSF_,comdat
.Lfunc_end622:
	.size	_ZN7rocprim17ROCPRIM_400000_NS6detail17trampoline_kernelINS0_14default_configENS1_38merge_sort_block_merge_config_selectorIiNS0_10empty_typeEEEZZNS1_27merge_sort_block_merge_implIS3_PiPS5_jNS1_19radix_merge_compareILb0ELb1EiNS0_19identity_decomposerEEEEE10hipError_tT0_T1_T2_jT3_P12ihipStream_tbPNSt15iterator_traitsISE_E10value_typeEPNSK_ISF_E10value_typeEPSG_NS1_7vsmem_tEENKUlT_SE_SF_SG_E_clIS8_S8_S9_S9_EESD_ST_SE_SF_SG_EUlST_E0_NS1_11comp_targetILNS1_3genE9ELNS1_11target_archE1100ELNS1_3gpuE3ELNS1_3repE0EEENS1_38merge_mergepath_config_static_selectorELNS0_4arch9wavefront6targetE1EEEvSF_, .Lfunc_end622-_ZN7rocprim17ROCPRIM_400000_NS6detail17trampoline_kernelINS0_14default_configENS1_38merge_sort_block_merge_config_selectorIiNS0_10empty_typeEEEZZNS1_27merge_sort_block_merge_implIS3_PiPS5_jNS1_19radix_merge_compareILb0ELb1EiNS0_19identity_decomposerEEEEE10hipError_tT0_T1_T2_jT3_P12ihipStream_tbPNSt15iterator_traitsISE_E10value_typeEPNSK_ISF_E10value_typeEPSG_NS1_7vsmem_tEENKUlT_SE_SF_SG_E_clIS8_S8_S9_S9_EESD_ST_SE_SF_SG_EUlST_E0_NS1_11comp_targetILNS1_3genE9ELNS1_11target_archE1100ELNS1_3gpuE3ELNS1_3repE0EEENS1_38merge_mergepath_config_static_selectorELNS0_4arch9wavefront6targetE1EEEvSF_
                                        ; -- End function
	.section	.AMDGPU.csdata,"",@progbits
; Kernel info:
; codeLenInByte = 0
; NumSgprs: 4
; NumVgprs: 0
; NumAgprs: 0
; TotalNumVgprs: 0
; ScratchSize: 0
; MemoryBound: 0
; FloatMode: 240
; IeeeMode: 1
; LDSByteSize: 0 bytes/workgroup (compile time only)
; SGPRBlocks: 0
; VGPRBlocks: 0
; NumSGPRsForWavesPerEU: 4
; NumVGPRsForWavesPerEU: 1
; AccumOffset: 4
; Occupancy: 8
; WaveLimiterHint : 0
; COMPUTE_PGM_RSRC2:SCRATCH_EN: 0
; COMPUTE_PGM_RSRC2:USER_SGPR: 6
; COMPUTE_PGM_RSRC2:TRAP_HANDLER: 0
; COMPUTE_PGM_RSRC2:TGID_X_EN: 1
; COMPUTE_PGM_RSRC2:TGID_Y_EN: 0
; COMPUTE_PGM_RSRC2:TGID_Z_EN: 0
; COMPUTE_PGM_RSRC2:TIDIG_COMP_CNT: 0
; COMPUTE_PGM_RSRC3_GFX90A:ACCUM_OFFSET: 0
; COMPUTE_PGM_RSRC3_GFX90A:TG_SPLIT: 0
	.section	.text._ZN7rocprim17ROCPRIM_400000_NS6detail17trampoline_kernelINS0_14default_configENS1_38merge_sort_block_merge_config_selectorIiNS0_10empty_typeEEEZZNS1_27merge_sort_block_merge_implIS3_PiPS5_jNS1_19radix_merge_compareILb0ELb1EiNS0_19identity_decomposerEEEEE10hipError_tT0_T1_T2_jT3_P12ihipStream_tbPNSt15iterator_traitsISE_E10value_typeEPNSK_ISF_E10value_typeEPSG_NS1_7vsmem_tEENKUlT_SE_SF_SG_E_clIS8_S8_S9_S9_EESD_ST_SE_SF_SG_EUlST_E0_NS1_11comp_targetILNS1_3genE8ELNS1_11target_archE1030ELNS1_3gpuE2ELNS1_3repE0EEENS1_38merge_mergepath_config_static_selectorELNS0_4arch9wavefront6targetE1EEEvSF_,"axG",@progbits,_ZN7rocprim17ROCPRIM_400000_NS6detail17trampoline_kernelINS0_14default_configENS1_38merge_sort_block_merge_config_selectorIiNS0_10empty_typeEEEZZNS1_27merge_sort_block_merge_implIS3_PiPS5_jNS1_19radix_merge_compareILb0ELb1EiNS0_19identity_decomposerEEEEE10hipError_tT0_T1_T2_jT3_P12ihipStream_tbPNSt15iterator_traitsISE_E10value_typeEPNSK_ISF_E10value_typeEPSG_NS1_7vsmem_tEENKUlT_SE_SF_SG_E_clIS8_S8_S9_S9_EESD_ST_SE_SF_SG_EUlST_E0_NS1_11comp_targetILNS1_3genE8ELNS1_11target_archE1030ELNS1_3gpuE2ELNS1_3repE0EEENS1_38merge_mergepath_config_static_selectorELNS0_4arch9wavefront6targetE1EEEvSF_,comdat
	.protected	_ZN7rocprim17ROCPRIM_400000_NS6detail17trampoline_kernelINS0_14default_configENS1_38merge_sort_block_merge_config_selectorIiNS0_10empty_typeEEEZZNS1_27merge_sort_block_merge_implIS3_PiPS5_jNS1_19radix_merge_compareILb0ELb1EiNS0_19identity_decomposerEEEEE10hipError_tT0_T1_T2_jT3_P12ihipStream_tbPNSt15iterator_traitsISE_E10value_typeEPNSK_ISF_E10value_typeEPSG_NS1_7vsmem_tEENKUlT_SE_SF_SG_E_clIS8_S8_S9_S9_EESD_ST_SE_SF_SG_EUlST_E0_NS1_11comp_targetILNS1_3genE8ELNS1_11target_archE1030ELNS1_3gpuE2ELNS1_3repE0EEENS1_38merge_mergepath_config_static_selectorELNS0_4arch9wavefront6targetE1EEEvSF_ ; -- Begin function _ZN7rocprim17ROCPRIM_400000_NS6detail17trampoline_kernelINS0_14default_configENS1_38merge_sort_block_merge_config_selectorIiNS0_10empty_typeEEEZZNS1_27merge_sort_block_merge_implIS3_PiPS5_jNS1_19radix_merge_compareILb0ELb1EiNS0_19identity_decomposerEEEEE10hipError_tT0_T1_T2_jT3_P12ihipStream_tbPNSt15iterator_traitsISE_E10value_typeEPNSK_ISF_E10value_typeEPSG_NS1_7vsmem_tEENKUlT_SE_SF_SG_E_clIS8_S8_S9_S9_EESD_ST_SE_SF_SG_EUlST_E0_NS1_11comp_targetILNS1_3genE8ELNS1_11target_archE1030ELNS1_3gpuE2ELNS1_3repE0EEENS1_38merge_mergepath_config_static_selectorELNS0_4arch9wavefront6targetE1EEEvSF_
	.globl	_ZN7rocprim17ROCPRIM_400000_NS6detail17trampoline_kernelINS0_14default_configENS1_38merge_sort_block_merge_config_selectorIiNS0_10empty_typeEEEZZNS1_27merge_sort_block_merge_implIS3_PiPS5_jNS1_19radix_merge_compareILb0ELb1EiNS0_19identity_decomposerEEEEE10hipError_tT0_T1_T2_jT3_P12ihipStream_tbPNSt15iterator_traitsISE_E10value_typeEPNSK_ISF_E10value_typeEPSG_NS1_7vsmem_tEENKUlT_SE_SF_SG_E_clIS8_S8_S9_S9_EESD_ST_SE_SF_SG_EUlST_E0_NS1_11comp_targetILNS1_3genE8ELNS1_11target_archE1030ELNS1_3gpuE2ELNS1_3repE0EEENS1_38merge_mergepath_config_static_selectorELNS0_4arch9wavefront6targetE1EEEvSF_
	.p2align	8
	.type	_ZN7rocprim17ROCPRIM_400000_NS6detail17trampoline_kernelINS0_14default_configENS1_38merge_sort_block_merge_config_selectorIiNS0_10empty_typeEEEZZNS1_27merge_sort_block_merge_implIS3_PiPS5_jNS1_19radix_merge_compareILb0ELb1EiNS0_19identity_decomposerEEEEE10hipError_tT0_T1_T2_jT3_P12ihipStream_tbPNSt15iterator_traitsISE_E10value_typeEPNSK_ISF_E10value_typeEPSG_NS1_7vsmem_tEENKUlT_SE_SF_SG_E_clIS8_S8_S9_S9_EESD_ST_SE_SF_SG_EUlST_E0_NS1_11comp_targetILNS1_3genE8ELNS1_11target_archE1030ELNS1_3gpuE2ELNS1_3repE0EEENS1_38merge_mergepath_config_static_selectorELNS0_4arch9wavefront6targetE1EEEvSF_,@function
_ZN7rocprim17ROCPRIM_400000_NS6detail17trampoline_kernelINS0_14default_configENS1_38merge_sort_block_merge_config_selectorIiNS0_10empty_typeEEEZZNS1_27merge_sort_block_merge_implIS3_PiPS5_jNS1_19radix_merge_compareILb0ELb1EiNS0_19identity_decomposerEEEEE10hipError_tT0_T1_T2_jT3_P12ihipStream_tbPNSt15iterator_traitsISE_E10value_typeEPNSK_ISF_E10value_typeEPSG_NS1_7vsmem_tEENKUlT_SE_SF_SG_E_clIS8_S8_S9_S9_EESD_ST_SE_SF_SG_EUlST_E0_NS1_11comp_targetILNS1_3genE8ELNS1_11target_archE1030ELNS1_3gpuE2ELNS1_3repE0EEENS1_38merge_mergepath_config_static_selectorELNS0_4arch9wavefront6targetE1EEEvSF_: ; @_ZN7rocprim17ROCPRIM_400000_NS6detail17trampoline_kernelINS0_14default_configENS1_38merge_sort_block_merge_config_selectorIiNS0_10empty_typeEEEZZNS1_27merge_sort_block_merge_implIS3_PiPS5_jNS1_19radix_merge_compareILb0ELb1EiNS0_19identity_decomposerEEEEE10hipError_tT0_T1_T2_jT3_P12ihipStream_tbPNSt15iterator_traitsISE_E10value_typeEPNSK_ISF_E10value_typeEPSG_NS1_7vsmem_tEENKUlT_SE_SF_SG_E_clIS8_S8_S9_S9_EESD_ST_SE_SF_SG_EUlST_E0_NS1_11comp_targetILNS1_3genE8ELNS1_11target_archE1030ELNS1_3gpuE2ELNS1_3repE0EEENS1_38merge_mergepath_config_static_selectorELNS0_4arch9wavefront6targetE1EEEvSF_
; %bb.0:
	.section	.rodata,"a",@progbits
	.p2align	6, 0x0
	.amdhsa_kernel _ZN7rocprim17ROCPRIM_400000_NS6detail17trampoline_kernelINS0_14default_configENS1_38merge_sort_block_merge_config_selectorIiNS0_10empty_typeEEEZZNS1_27merge_sort_block_merge_implIS3_PiPS5_jNS1_19radix_merge_compareILb0ELb1EiNS0_19identity_decomposerEEEEE10hipError_tT0_T1_T2_jT3_P12ihipStream_tbPNSt15iterator_traitsISE_E10value_typeEPNSK_ISF_E10value_typeEPSG_NS1_7vsmem_tEENKUlT_SE_SF_SG_E_clIS8_S8_S9_S9_EESD_ST_SE_SF_SG_EUlST_E0_NS1_11comp_targetILNS1_3genE8ELNS1_11target_archE1030ELNS1_3gpuE2ELNS1_3repE0EEENS1_38merge_mergepath_config_static_selectorELNS0_4arch9wavefront6targetE1EEEvSF_
		.amdhsa_group_segment_fixed_size 0
		.amdhsa_private_segment_fixed_size 0
		.amdhsa_kernarg_size 64
		.amdhsa_user_sgpr_count 6
		.amdhsa_user_sgpr_private_segment_buffer 1
		.amdhsa_user_sgpr_dispatch_ptr 0
		.amdhsa_user_sgpr_queue_ptr 0
		.amdhsa_user_sgpr_kernarg_segment_ptr 1
		.amdhsa_user_sgpr_dispatch_id 0
		.amdhsa_user_sgpr_flat_scratch_init 0
		.amdhsa_user_sgpr_kernarg_preload_length 0
		.amdhsa_user_sgpr_kernarg_preload_offset 0
		.amdhsa_user_sgpr_private_segment_size 0
		.amdhsa_uses_dynamic_stack 0
		.amdhsa_system_sgpr_private_segment_wavefront_offset 0
		.amdhsa_system_sgpr_workgroup_id_x 1
		.amdhsa_system_sgpr_workgroup_id_y 0
		.amdhsa_system_sgpr_workgroup_id_z 0
		.amdhsa_system_sgpr_workgroup_info 0
		.amdhsa_system_vgpr_workitem_id 0
		.amdhsa_next_free_vgpr 1
		.amdhsa_next_free_sgpr 0
		.amdhsa_accum_offset 4
		.amdhsa_reserve_vcc 0
		.amdhsa_reserve_flat_scratch 0
		.amdhsa_float_round_mode_32 0
		.amdhsa_float_round_mode_16_64 0
		.amdhsa_float_denorm_mode_32 3
		.amdhsa_float_denorm_mode_16_64 3
		.amdhsa_dx10_clamp 1
		.amdhsa_ieee_mode 1
		.amdhsa_fp16_overflow 0
		.amdhsa_tg_split 0
		.amdhsa_exception_fp_ieee_invalid_op 0
		.amdhsa_exception_fp_denorm_src 0
		.amdhsa_exception_fp_ieee_div_zero 0
		.amdhsa_exception_fp_ieee_overflow 0
		.amdhsa_exception_fp_ieee_underflow 0
		.amdhsa_exception_fp_ieee_inexact 0
		.amdhsa_exception_int_div_zero 0
	.end_amdhsa_kernel
	.section	.text._ZN7rocprim17ROCPRIM_400000_NS6detail17trampoline_kernelINS0_14default_configENS1_38merge_sort_block_merge_config_selectorIiNS0_10empty_typeEEEZZNS1_27merge_sort_block_merge_implIS3_PiPS5_jNS1_19radix_merge_compareILb0ELb1EiNS0_19identity_decomposerEEEEE10hipError_tT0_T1_T2_jT3_P12ihipStream_tbPNSt15iterator_traitsISE_E10value_typeEPNSK_ISF_E10value_typeEPSG_NS1_7vsmem_tEENKUlT_SE_SF_SG_E_clIS8_S8_S9_S9_EESD_ST_SE_SF_SG_EUlST_E0_NS1_11comp_targetILNS1_3genE8ELNS1_11target_archE1030ELNS1_3gpuE2ELNS1_3repE0EEENS1_38merge_mergepath_config_static_selectorELNS0_4arch9wavefront6targetE1EEEvSF_,"axG",@progbits,_ZN7rocprim17ROCPRIM_400000_NS6detail17trampoline_kernelINS0_14default_configENS1_38merge_sort_block_merge_config_selectorIiNS0_10empty_typeEEEZZNS1_27merge_sort_block_merge_implIS3_PiPS5_jNS1_19radix_merge_compareILb0ELb1EiNS0_19identity_decomposerEEEEE10hipError_tT0_T1_T2_jT3_P12ihipStream_tbPNSt15iterator_traitsISE_E10value_typeEPNSK_ISF_E10value_typeEPSG_NS1_7vsmem_tEENKUlT_SE_SF_SG_E_clIS8_S8_S9_S9_EESD_ST_SE_SF_SG_EUlST_E0_NS1_11comp_targetILNS1_3genE8ELNS1_11target_archE1030ELNS1_3gpuE2ELNS1_3repE0EEENS1_38merge_mergepath_config_static_selectorELNS0_4arch9wavefront6targetE1EEEvSF_,comdat
.Lfunc_end623:
	.size	_ZN7rocprim17ROCPRIM_400000_NS6detail17trampoline_kernelINS0_14default_configENS1_38merge_sort_block_merge_config_selectorIiNS0_10empty_typeEEEZZNS1_27merge_sort_block_merge_implIS3_PiPS5_jNS1_19radix_merge_compareILb0ELb1EiNS0_19identity_decomposerEEEEE10hipError_tT0_T1_T2_jT3_P12ihipStream_tbPNSt15iterator_traitsISE_E10value_typeEPNSK_ISF_E10value_typeEPSG_NS1_7vsmem_tEENKUlT_SE_SF_SG_E_clIS8_S8_S9_S9_EESD_ST_SE_SF_SG_EUlST_E0_NS1_11comp_targetILNS1_3genE8ELNS1_11target_archE1030ELNS1_3gpuE2ELNS1_3repE0EEENS1_38merge_mergepath_config_static_selectorELNS0_4arch9wavefront6targetE1EEEvSF_, .Lfunc_end623-_ZN7rocprim17ROCPRIM_400000_NS6detail17trampoline_kernelINS0_14default_configENS1_38merge_sort_block_merge_config_selectorIiNS0_10empty_typeEEEZZNS1_27merge_sort_block_merge_implIS3_PiPS5_jNS1_19radix_merge_compareILb0ELb1EiNS0_19identity_decomposerEEEEE10hipError_tT0_T1_T2_jT3_P12ihipStream_tbPNSt15iterator_traitsISE_E10value_typeEPNSK_ISF_E10value_typeEPSG_NS1_7vsmem_tEENKUlT_SE_SF_SG_E_clIS8_S8_S9_S9_EESD_ST_SE_SF_SG_EUlST_E0_NS1_11comp_targetILNS1_3genE8ELNS1_11target_archE1030ELNS1_3gpuE2ELNS1_3repE0EEENS1_38merge_mergepath_config_static_selectorELNS0_4arch9wavefront6targetE1EEEvSF_
                                        ; -- End function
	.section	.AMDGPU.csdata,"",@progbits
; Kernel info:
; codeLenInByte = 0
; NumSgprs: 4
; NumVgprs: 0
; NumAgprs: 0
; TotalNumVgprs: 0
; ScratchSize: 0
; MemoryBound: 0
; FloatMode: 240
; IeeeMode: 1
; LDSByteSize: 0 bytes/workgroup (compile time only)
; SGPRBlocks: 0
; VGPRBlocks: 0
; NumSGPRsForWavesPerEU: 4
; NumVGPRsForWavesPerEU: 1
; AccumOffset: 4
; Occupancy: 8
; WaveLimiterHint : 0
; COMPUTE_PGM_RSRC2:SCRATCH_EN: 0
; COMPUTE_PGM_RSRC2:USER_SGPR: 6
; COMPUTE_PGM_RSRC2:TRAP_HANDLER: 0
; COMPUTE_PGM_RSRC2:TGID_X_EN: 1
; COMPUTE_PGM_RSRC2:TGID_Y_EN: 0
; COMPUTE_PGM_RSRC2:TGID_Z_EN: 0
; COMPUTE_PGM_RSRC2:TIDIG_COMP_CNT: 0
; COMPUTE_PGM_RSRC3_GFX90A:ACCUM_OFFSET: 0
; COMPUTE_PGM_RSRC3_GFX90A:TG_SPLIT: 0
	.section	.text._ZN7rocprim17ROCPRIM_400000_NS6detail17trampoline_kernelINS0_14default_configENS1_38merge_sort_block_merge_config_selectorIiNS0_10empty_typeEEEZZNS1_27merge_sort_block_merge_implIS3_PiPS5_jNS1_19radix_merge_compareILb0ELb1EiNS0_19identity_decomposerEEEEE10hipError_tT0_T1_T2_jT3_P12ihipStream_tbPNSt15iterator_traitsISE_E10value_typeEPNSK_ISF_E10value_typeEPSG_NS1_7vsmem_tEENKUlT_SE_SF_SG_E_clIS8_S8_S9_S9_EESD_ST_SE_SF_SG_EUlST_E1_NS1_11comp_targetILNS1_3genE0ELNS1_11target_archE4294967295ELNS1_3gpuE0ELNS1_3repE0EEENS1_36merge_oddeven_config_static_selectorELNS0_4arch9wavefront6targetE1EEEvSF_,"axG",@progbits,_ZN7rocprim17ROCPRIM_400000_NS6detail17trampoline_kernelINS0_14default_configENS1_38merge_sort_block_merge_config_selectorIiNS0_10empty_typeEEEZZNS1_27merge_sort_block_merge_implIS3_PiPS5_jNS1_19radix_merge_compareILb0ELb1EiNS0_19identity_decomposerEEEEE10hipError_tT0_T1_T2_jT3_P12ihipStream_tbPNSt15iterator_traitsISE_E10value_typeEPNSK_ISF_E10value_typeEPSG_NS1_7vsmem_tEENKUlT_SE_SF_SG_E_clIS8_S8_S9_S9_EESD_ST_SE_SF_SG_EUlST_E1_NS1_11comp_targetILNS1_3genE0ELNS1_11target_archE4294967295ELNS1_3gpuE0ELNS1_3repE0EEENS1_36merge_oddeven_config_static_selectorELNS0_4arch9wavefront6targetE1EEEvSF_,comdat
	.protected	_ZN7rocprim17ROCPRIM_400000_NS6detail17trampoline_kernelINS0_14default_configENS1_38merge_sort_block_merge_config_selectorIiNS0_10empty_typeEEEZZNS1_27merge_sort_block_merge_implIS3_PiPS5_jNS1_19radix_merge_compareILb0ELb1EiNS0_19identity_decomposerEEEEE10hipError_tT0_T1_T2_jT3_P12ihipStream_tbPNSt15iterator_traitsISE_E10value_typeEPNSK_ISF_E10value_typeEPSG_NS1_7vsmem_tEENKUlT_SE_SF_SG_E_clIS8_S8_S9_S9_EESD_ST_SE_SF_SG_EUlST_E1_NS1_11comp_targetILNS1_3genE0ELNS1_11target_archE4294967295ELNS1_3gpuE0ELNS1_3repE0EEENS1_36merge_oddeven_config_static_selectorELNS0_4arch9wavefront6targetE1EEEvSF_ ; -- Begin function _ZN7rocprim17ROCPRIM_400000_NS6detail17trampoline_kernelINS0_14default_configENS1_38merge_sort_block_merge_config_selectorIiNS0_10empty_typeEEEZZNS1_27merge_sort_block_merge_implIS3_PiPS5_jNS1_19radix_merge_compareILb0ELb1EiNS0_19identity_decomposerEEEEE10hipError_tT0_T1_T2_jT3_P12ihipStream_tbPNSt15iterator_traitsISE_E10value_typeEPNSK_ISF_E10value_typeEPSG_NS1_7vsmem_tEENKUlT_SE_SF_SG_E_clIS8_S8_S9_S9_EESD_ST_SE_SF_SG_EUlST_E1_NS1_11comp_targetILNS1_3genE0ELNS1_11target_archE4294967295ELNS1_3gpuE0ELNS1_3repE0EEENS1_36merge_oddeven_config_static_selectorELNS0_4arch9wavefront6targetE1EEEvSF_
	.globl	_ZN7rocprim17ROCPRIM_400000_NS6detail17trampoline_kernelINS0_14default_configENS1_38merge_sort_block_merge_config_selectorIiNS0_10empty_typeEEEZZNS1_27merge_sort_block_merge_implIS3_PiPS5_jNS1_19radix_merge_compareILb0ELb1EiNS0_19identity_decomposerEEEEE10hipError_tT0_T1_T2_jT3_P12ihipStream_tbPNSt15iterator_traitsISE_E10value_typeEPNSK_ISF_E10value_typeEPSG_NS1_7vsmem_tEENKUlT_SE_SF_SG_E_clIS8_S8_S9_S9_EESD_ST_SE_SF_SG_EUlST_E1_NS1_11comp_targetILNS1_3genE0ELNS1_11target_archE4294967295ELNS1_3gpuE0ELNS1_3repE0EEENS1_36merge_oddeven_config_static_selectorELNS0_4arch9wavefront6targetE1EEEvSF_
	.p2align	8
	.type	_ZN7rocprim17ROCPRIM_400000_NS6detail17trampoline_kernelINS0_14default_configENS1_38merge_sort_block_merge_config_selectorIiNS0_10empty_typeEEEZZNS1_27merge_sort_block_merge_implIS3_PiPS5_jNS1_19radix_merge_compareILb0ELb1EiNS0_19identity_decomposerEEEEE10hipError_tT0_T1_T2_jT3_P12ihipStream_tbPNSt15iterator_traitsISE_E10value_typeEPNSK_ISF_E10value_typeEPSG_NS1_7vsmem_tEENKUlT_SE_SF_SG_E_clIS8_S8_S9_S9_EESD_ST_SE_SF_SG_EUlST_E1_NS1_11comp_targetILNS1_3genE0ELNS1_11target_archE4294967295ELNS1_3gpuE0ELNS1_3repE0EEENS1_36merge_oddeven_config_static_selectorELNS0_4arch9wavefront6targetE1EEEvSF_,@function
_ZN7rocprim17ROCPRIM_400000_NS6detail17trampoline_kernelINS0_14default_configENS1_38merge_sort_block_merge_config_selectorIiNS0_10empty_typeEEEZZNS1_27merge_sort_block_merge_implIS3_PiPS5_jNS1_19radix_merge_compareILb0ELb1EiNS0_19identity_decomposerEEEEE10hipError_tT0_T1_T2_jT3_P12ihipStream_tbPNSt15iterator_traitsISE_E10value_typeEPNSK_ISF_E10value_typeEPSG_NS1_7vsmem_tEENKUlT_SE_SF_SG_E_clIS8_S8_S9_S9_EESD_ST_SE_SF_SG_EUlST_E1_NS1_11comp_targetILNS1_3genE0ELNS1_11target_archE4294967295ELNS1_3gpuE0ELNS1_3repE0EEENS1_36merge_oddeven_config_static_selectorELNS0_4arch9wavefront6targetE1EEEvSF_: ; @_ZN7rocprim17ROCPRIM_400000_NS6detail17trampoline_kernelINS0_14default_configENS1_38merge_sort_block_merge_config_selectorIiNS0_10empty_typeEEEZZNS1_27merge_sort_block_merge_implIS3_PiPS5_jNS1_19radix_merge_compareILb0ELb1EiNS0_19identity_decomposerEEEEE10hipError_tT0_T1_T2_jT3_P12ihipStream_tbPNSt15iterator_traitsISE_E10value_typeEPNSK_ISF_E10value_typeEPSG_NS1_7vsmem_tEENKUlT_SE_SF_SG_E_clIS8_S8_S9_S9_EESD_ST_SE_SF_SG_EUlST_E1_NS1_11comp_targetILNS1_3genE0ELNS1_11target_archE4294967295ELNS1_3gpuE0ELNS1_3repE0EEENS1_36merge_oddeven_config_static_selectorELNS0_4arch9wavefront6targetE1EEEvSF_
; %bb.0:
	.section	.rodata,"a",@progbits
	.p2align	6, 0x0
	.amdhsa_kernel _ZN7rocprim17ROCPRIM_400000_NS6detail17trampoline_kernelINS0_14default_configENS1_38merge_sort_block_merge_config_selectorIiNS0_10empty_typeEEEZZNS1_27merge_sort_block_merge_implIS3_PiPS5_jNS1_19radix_merge_compareILb0ELb1EiNS0_19identity_decomposerEEEEE10hipError_tT0_T1_T2_jT3_P12ihipStream_tbPNSt15iterator_traitsISE_E10value_typeEPNSK_ISF_E10value_typeEPSG_NS1_7vsmem_tEENKUlT_SE_SF_SG_E_clIS8_S8_S9_S9_EESD_ST_SE_SF_SG_EUlST_E1_NS1_11comp_targetILNS1_3genE0ELNS1_11target_archE4294967295ELNS1_3gpuE0ELNS1_3repE0EEENS1_36merge_oddeven_config_static_selectorELNS0_4arch9wavefront6targetE1EEEvSF_
		.amdhsa_group_segment_fixed_size 0
		.amdhsa_private_segment_fixed_size 0
		.amdhsa_kernarg_size 48
		.amdhsa_user_sgpr_count 6
		.amdhsa_user_sgpr_private_segment_buffer 1
		.amdhsa_user_sgpr_dispatch_ptr 0
		.amdhsa_user_sgpr_queue_ptr 0
		.amdhsa_user_sgpr_kernarg_segment_ptr 1
		.amdhsa_user_sgpr_dispatch_id 0
		.amdhsa_user_sgpr_flat_scratch_init 0
		.amdhsa_user_sgpr_kernarg_preload_length 0
		.amdhsa_user_sgpr_kernarg_preload_offset 0
		.amdhsa_user_sgpr_private_segment_size 0
		.amdhsa_uses_dynamic_stack 0
		.amdhsa_system_sgpr_private_segment_wavefront_offset 0
		.amdhsa_system_sgpr_workgroup_id_x 1
		.amdhsa_system_sgpr_workgroup_id_y 0
		.amdhsa_system_sgpr_workgroup_id_z 0
		.amdhsa_system_sgpr_workgroup_info 0
		.amdhsa_system_vgpr_workitem_id 0
		.amdhsa_next_free_vgpr 1
		.amdhsa_next_free_sgpr 0
		.amdhsa_accum_offset 4
		.amdhsa_reserve_vcc 0
		.amdhsa_reserve_flat_scratch 0
		.amdhsa_float_round_mode_32 0
		.amdhsa_float_round_mode_16_64 0
		.amdhsa_float_denorm_mode_32 3
		.amdhsa_float_denorm_mode_16_64 3
		.amdhsa_dx10_clamp 1
		.amdhsa_ieee_mode 1
		.amdhsa_fp16_overflow 0
		.amdhsa_tg_split 0
		.amdhsa_exception_fp_ieee_invalid_op 0
		.amdhsa_exception_fp_denorm_src 0
		.amdhsa_exception_fp_ieee_div_zero 0
		.amdhsa_exception_fp_ieee_overflow 0
		.amdhsa_exception_fp_ieee_underflow 0
		.amdhsa_exception_fp_ieee_inexact 0
		.amdhsa_exception_int_div_zero 0
	.end_amdhsa_kernel
	.section	.text._ZN7rocprim17ROCPRIM_400000_NS6detail17trampoline_kernelINS0_14default_configENS1_38merge_sort_block_merge_config_selectorIiNS0_10empty_typeEEEZZNS1_27merge_sort_block_merge_implIS3_PiPS5_jNS1_19radix_merge_compareILb0ELb1EiNS0_19identity_decomposerEEEEE10hipError_tT0_T1_T2_jT3_P12ihipStream_tbPNSt15iterator_traitsISE_E10value_typeEPNSK_ISF_E10value_typeEPSG_NS1_7vsmem_tEENKUlT_SE_SF_SG_E_clIS8_S8_S9_S9_EESD_ST_SE_SF_SG_EUlST_E1_NS1_11comp_targetILNS1_3genE0ELNS1_11target_archE4294967295ELNS1_3gpuE0ELNS1_3repE0EEENS1_36merge_oddeven_config_static_selectorELNS0_4arch9wavefront6targetE1EEEvSF_,"axG",@progbits,_ZN7rocprim17ROCPRIM_400000_NS6detail17trampoline_kernelINS0_14default_configENS1_38merge_sort_block_merge_config_selectorIiNS0_10empty_typeEEEZZNS1_27merge_sort_block_merge_implIS3_PiPS5_jNS1_19radix_merge_compareILb0ELb1EiNS0_19identity_decomposerEEEEE10hipError_tT0_T1_T2_jT3_P12ihipStream_tbPNSt15iterator_traitsISE_E10value_typeEPNSK_ISF_E10value_typeEPSG_NS1_7vsmem_tEENKUlT_SE_SF_SG_E_clIS8_S8_S9_S9_EESD_ST_SE_SF_SG_EUlST_E1_NS1_11comp_targetILNS1_3genE0ELNS1_11target_archE4294967295ELNS1_3gpuE0ELNS1_3repE0EEENS1_36merge_oddeven_config_static_selectorELNS0_4arch9wavefront6targetE1EEEvSF_,comdat
.Lfunc_end624:
	.size	_ZN7rocprim17ROCPRIM_400000_NS6detail17trampoline_kernelINS0_14default_configENS1_38merge_sort_block_merge_config_selectorIiNS0_10empty_typeEEEZZNS1_27merge_sort_block_merge_implIS3_PiPS5_jNS1_19radix_merge_compareILb0ELb1EiNS0_19identity_decomposerEEEEE10hipError_tT0_T1_T2_jT3_P12ihipStream_tbPNSt15iterator_traitsISE_E10value_typeEPNSK_ISF_E10value_typeEPSG_NS1_7vsmem_tEENKUlT_SE_SF_SG_E_clIS8_S8_S9_S9_EESD_ST_SE_SF_SG_EUlST_E1_NS1_11comp_targetILNS1_3genE0ELNS1_11target_archE4294967295ELNS1_3gpuE0ELNS1_3repE0EEENS1_36merge_oddeven_config_static_selectorELNS0_4arch9wavefront6targetE1EEEvSF_, .Lfunc_end624-_ZN7rocprim17ROCPRIM_400000_NS6detail17trampoline_kernelINS0_14default_configENS1_38merge_sort_block_merge_config_selectorIiNS0_10empty_typeEEEZZNS1_27merge_sort_block_merge_implIS3_PiPS5_jNS1_19radix_merge_compareILb0ELb1EiNS0_19identity_decomposerEEEEE10hipError_tT0_T1_T2_jT3_P12ihipStream_tbPNSt15iterator_traitsISE_E10value_typeEPNSK_ISF_E10value_typeEPSG_NS1_7vsmem_tEENKUlT_SE_SF_SG_E_clIS8_S8_S9_S9_EESD_ST_SE_SF_SG_EUlST_E1_NS1_11comp_targetILNS1_3genE0ELNS1_11target_archE4294967295ELNS1_3gpuE0ELNS1_3repE0EEENS1_36merge_oddeven_config_static_selectorELNS0_4arch9wavefront6targetE1EEEvSF_
                                        ; -- End function
	.section	.AMDGPU.csdata,"",@progbits
; Kernel info:
; codeLenInByte = 0
; NumSgprs: 4
; NumVgprs: 0
; NumAgprs: 0
; TotalNumVgprs: 0
; ScratchSize: 0
; MemoryBound: 0
; FloatMode: 240
; IeeeMode: 1
; LDSByteSize: 0 bytes/workgroup (compile time only)
; SGPRBlocks: 0
; VGPRBlocks: 0
; NumSGPRsForWavesPerEU: 4
; NumVGPRsForWavesPerEU: 1
; AccumOffset: 4
; Occupancy: 8
; WaveLimiterHint : 0
; COMPUTE_PGM_RSRC2:SCRATCH_EN: 0
; COMPUTE_PGM_RSRC2:USER_SGPR: 6
; COMPUTE_PGM_RSRC2:TRAP_HANDLER: 0
; COMPUTE_PGM_RSRC2:TGID_X_EN: 1
; COMPUTE_PGM_RSRC2:TGID_Y_EN: 0
; COMPUTE_PGM_RSRC2:TGID_Z_EN: 0
; COMPUTE_PGM_RSRC2:TIDIG_COMP_CNT: 0
; COMPUTE_PGM_RSRC3_GFX90A:ACCUM_OFFSET: 0
; COMPUTE_PGM_RSRC3_GFX90A:TG_SPLIT: 0
	.section	.text._ZN7rocprim17ROCPRIM_400000_NS6detail17trampoline_kernelINS0_14default_configENS1_38merge_sort_block_merge_config_selectorIiNS0_10empty_typeEEEZZNS1_27merge_sort_block_merge_implIS3_PiPS5_jNS1_19radix_merge_compareILb0ELb1EiNS0_19identity_decomposerEEEEE10hipError_tT0_T1_T2_jT3_P12ihipStream_tbPNSt15iterator_traitsISE_E10value_typeEPNSK_ISF_E10value_typeEPSG_NS1_7vsmem_tEENKUlT_SE_SF_SG_E_clIS8_S8_S9_S9_EESD_ST_SE_SF_SG_EUlST_E1_NS1_11comp_targetILNS1_3genE10ELNS1_11target_archE1201ELNS1_3gpuE5ELNS1_3repE0EEENS1_36merge_oddeven_config_static_selectorELNS0_4arch9wavefront6targetE1EEEvSF_,"axG",@progbits,_ZN7rocprim17ROCPRIM_400000_NS6detail17trampoline_kernelINS0_14default_configENS1_38merge_sort_block_merge_config_selectorIiNS0_10empty_typeEEEZZNS1_27merge_sort_block_merge_implIS3_PiPS5_jNS1_19radix_merge_compareILb0ELb1EiNS0_19identity_decomposerEEEEE10hipError_tT0_T1_T2_jT3_P12ihipStream_tbPNSt15iterator_traitsISE_E10value_typeEPNSK_ISF_E10value_typeEPSG_NS1_7vsmem_tEENKUlT_SE_SF_SG_E_clIS8_S8_S9_S9_EESD_ST_SE_SF_SG_EUlST_E1_NS1_11comp_targetILNS1_3genE10ELNS1_11target_archE1201ELNS1_3gpuE5ELNS1_3repE0EEENS1_36merge_oddeven_config_static_selectorELNS0_4arch9wavefront6targetE1EEEvSF_,comdat
	.protected	_ZN7rocprim17ROCPRIM_400000_NS6detail17trampoline_kernelINS0_14default_configENS1_38merge_sort_block_merge_config_selectorIiNS0_10empty_typeEEEZZNS1_27merge_sort_block_merge_implIS3_PiPS5_jNS1_19radix_merge_compareILb0ELb1EiNS0_19identity_decomposerEEEEE10hipError_tT0_T1_T2_jT3_P12ihipStream_tbPNSt15iterator_traitsISE_E10value_typeEPNSK_ISF_E10value_typeEPSG_NS1_7vsmem_tEENKUlT_SE_SF_SG_E_clIS8_S8_S9_S9_EESD_ST_SE_SF_SG_EUlST_E1_NS1_11comp_targetILNS1_3genE10ELNS1_11target_archE1201ELNS1_3gpuE5ELNS1_3repE0EEENS1_36merge_oddeven_config_static_selectorELNS0_4arch9wavefront6targetE1EEEvSF_ ; -- Begin function _ZN7rocprim17ROCPRIM_400000_NS6detail17trampoline_kernelINS0_14default_configENS1_38merge_sort_block_merge_config_selectorIiNS0_10empty_typeEEEZZNS1_27merge_sort_block_merge_implIS3_PiPS5_jNS1_19radix_merge_compareILb0ELb1EiNS0_19identity_decomposerEEEEE10hipError_tT0_T1_T2_jT3_P12ihipStream_tbPNSt15iterator_traitsISE_E10value_typeEPNSK_ISF_E10value_typeEPSG_NS1_7vsmem_tEENKUlT_SE_SF_SG_E_clIS8_S8_S9_S9_EESD_ST_SE_SF_SG_EUlST_E1_NS1_11comp_targetILNS1_3genE10ELNS1_11target_archE1201ELNS1_3gpuE5ELNS1_3repE0EEENS1_36merge_oddeven_config_static_selectorELNS0_4arch9wavefront6targetE1EEEvSF_
	.globl	_ZN7rocprim17ROCPRIM_400000_NS6detail17trampoline_kernelINS0_14default_configENS1_38merge_sort_block_merge_config_selectorIiNS0_10empty_typeEEEZZNS1_27merge_sort_block_merge_implIS3_PiPS5_jNS1_19radix_merge_compareILb0ELb1EiNS0_19identity_decomposerEEEEE10hipError_tT0_T1_T2_jT3_P12ihipStream_tbPNSt15iterator_traitsISE_E10value_typeEPNSK_ISF_E10value_typeEPSG_NS1_7vsmem_tEENKUlT_SE_SF_SG_E_clIS8_S8_S9_S9_EESD_ST_SE_SF_SG_EUlST_E1_NS1_11comp_targetILNS1_3genE10ELNS1_11target_archE1201ELNS1_3gpuE5ELNS1_3repE0EEENS1_36merge_oddeven_config_static_selectorELNS0_4arch9wavefront6targetE1EEEvSF_
	.p2align	8
	.type	_ZN7rocprim17ROCPRIM_400000_NS6detail17trampoline_kernelINS0_14default_configENS1_38merge_sort_block_merge_config_selectorIiNS0_10empty_typeEEEZZNS1_27merge_sort_block_merge_implIS3_PiPS5_jNS1_19radix_merge_compareILb0ELb1EiNS0_19identity_decomposerEEEEE10hipError_tT0_T1_T2_jT3_P12ihipStream_tbPNSt15iterator_traitsISE_E10value_typeEPNSK_ISF_E10value_typeEPSG_NS1_7vsmem_tEENKUlT_SE_SF_SG_E_clIS8_S8_S9_S9_EESD_ST_SE_SF_SG_EUlST_E1_NS1_11comp_targetILNS1_3genE10ELNS1_11target_archE1201ELNS1_3gpuE5ELNS1_3repE0EEENS1_36merge_oddeven_config_static_selectorELNS0_4arch9wavefront6targetE1EEEvSF_,@function
_ZN7rocprim17ROCPRIM_400000_NS6detail17trampoline_kernelINS0_14default_configENS1_38merge_sort_block_merge_config_selectorIiNS0_10empty_typeEEEZZNS1_27merge_sort_block_merge_implIS3_PiPS5_jNS1_19radix_merge_compareILb0ELb1EiNS0_19identity_decomposerEEEEE10hipError_tT0_T1_T2_jT3_P12ihipStream_tbPNSt15iterator_traitsISE_E10value_typeEPNSK_ISF_E10value_typeEPSG_NS1_7vsmem_tEENKUlT_SE_SF_SG_E_clIS8_S8_S9_S9_EESD_ST_SE_SF_SG_EUlST_E1_NS1_11comp_targetILNS1_3genE10ELNS1_11target_archE1201ELNS1_3gpuE5ELNS1_3repE0EEENS1_36merge_oddeven_config_static_selectorELNS0_4arch9wavefront6targetE1EEEvSF_: ; @_ZN7rocprim17ROCPRIM_400000_NS6detail17trampoline_kernelINS0_14default_configENS1_38merge_sort_block_merge_config_selectorIiNS0_10empty_typeEEEZZNS1_27merge_sort_block_merge_implIS3_PiPS5_jNS1_19radix_merge_compareILb0ELb1EiNS0_19identity_decomposerEEEEE10hipError_tT0_T1_T2_jT3_P12ihipStream_tbPNSt15iterator_traitsISE_E10value_typeEPNSK_ISF_E10value_typeEPSG_NS1_7vsmem_tEENKUlT_SE_SF_SG_E_clIS8_S8_S9_S9_EESD_ST_SE_SF_SG_EUlST_E1_NS1_11comp_targetILNS1_3genE10ELNS1_11target_archE1201ELNS1_3gpuE5ELNS1_3repE0EEENS1_36merge_oddeven_config_static_selectorELNS0_4arch9wavefront6targetE1EEEvSF_
; %bb.0:
	.section	.rodata,"a",@progbits
	.p2align	6, 0x0
	.amdhsa_kernel _ZN7rocprim17ROCPRIM_400000_NS6detail17trampoline_kernelINS0_14default_configENS1_38merge_sort_block_merge_config_selectorIiNS0_10empty_typeEEEZZNS1_27merge_sort_block_merge_implIS3_PiPS5_jNS1_19radix_merge_compareILb0ELb1EiNS0_19identity_decomposerEEEEE10hipError_tT0_T1_T2_jT3_P12ihipStream_tbPNSt15iterator_traitsISE_E10value_typeEPNSK_ISF_E10value_typeEPSG_NS1_7vsmem_tEENKUlT_SE_SF_SG_E_clIS8_S8_S9_S9_EESD_ST_SE_SF_SG_EUlST_E1_NS1_11comp_targetILNS1_3genE10ELNS1_11target_archE1201ELNS1_3gpuE5ELNS1_3repE0EEENS1_36merge_oddeven_config_static_selectorELNS0_4arch9wavefront6targetE1EEEvSF_
		.amdhsa_group_segment_fixed_size 0
		.amdhsa_private_segment_fixed_size 0
		.amdhsa_kernarg_size 48
		.amdhsa_user_sgpr_count 6
		.amdhsa_user_sgpr_private_segment_buffer 1
		.amdhsa_user_sgpr_dispatch_ptr 0
		.amdhsa_user_sgpr_queue_ptr 0
		.amdhsa_user_sgpr_kernarg_segment_ptr 1
		.amdhsa_user_sgpr_dispatch_id 0
		.amdhsa_user_sgpr_flat_scratch_init 0
		.amdhsa_user_sgpr_kernarg_preload_length 0
		.amdhsa_user_sgpr_kernarg_preload_offset 0
		.amdhsa_user_sgpr_private_segment_size 0
		.amdhsa_uses_dynamic_stack 0
		.amdhsa_system_sgpr_private_segment_wavefront_offset 0
		.amdhsa_system_sgpr_workgroup_id_x 1
		.amdhsa_system_sgpr_workgroup_id_y 0
		.amdhsa_system_sgpr_workgroup_id_z 0
		.amdhsa_system_sgpr_workgroup_info 0
		.amdhsa_system_vgpr_workitem_id 0
		.amdhsa_next_free_vgpr 1
		.amdhsa_next_free_sgpr 0
		.amdhsa_accum_offset 4
		.amdhsa_reserve_vcc 0
		.amdhsa_reserve_flat_scratch 0
		.amdhsa_float_round_mode_32 0
		.amdhsa_float_round_mode_16_64 0
		.amdhsa_float_denorm_mode_32 3
		.amdhsa_float_denorm_mode_16_64 3
		.amdhsa_dx10_clamp 1
		.amdhsa_ieee_mode 1
		.amdhsa_fp16_overflow 0
		.amdhsa_tg_split 0
		.amdhsa_exception_fp_ieee_invalid_op 0
		.amdhsa_exception_fp_denorm_src 0
		.amdhsa_exception_fp_ieee_div_zero 0
		.amdhsa_exception_fp_ieee_overflow 0
		.amdhsa_exception_fp_ieee_underflow 0
		.amdhsa_exception_fp_ieee_inexact 0
		.amdhsa_exception_int_div_zero 0
	.end_amdhsa_kernel
	.section	.text._ZN7rocprim17ROCPRIM_400000_NS6detail17trampoline_kernelINS0_14default_configENS1_38merge_sort_block_merge_config_selectorIiNS0_10empty_typeEEEZZNS1_27merge_sort_block_merge_implIS3_PiPS5_jNS1_19radix_merge_compareILb0ELb1EiNS0_19identity_decomposerEEEEE10hipError_tT0_T1_T2_jT3_P12ihipStream_tbPNSt15iterator_traitsISE_E10value_typeEPNSK_ISF_E10value_typeEPSG_NS1_7vsmem_tEENKUlT_SE_SF_SG_E_clIS8_S8_S9_S9_EESD_ST_SE_SF_SG_EUlST_E1_NS1_11comp_targetILNS1_3genE10ELNS1_11target_archE1201ELNS1_3gpuE5ELNS1_3repE0EEENS1_36merge_oddeven_config_static_selectorELNS0_4arch9wavefront6targetE1EEEvSF_,"axG",@progbits,_ZN7rocprim17ROCPRIM_400000_NS6detail17trampoline_kernelINS0_14default_configENS1_38merge_sort_block_merge_config_selectorIiNS0_10empty_typeEEEZZNS1_27merge_sort_block_merge_implIS3_PiPS5_jNS1_19radix_merge_compareILb0ELb1EiNS0_19identity_decomposerEEEEE10hipError_tT0_T1_T2_jT3_P12ihipStream_tbPNSt15iterator_traitsISE_E10value_typeEPNSK_ISF_E10value_typeEPSG_NS1_7vsmem_tEENKUlT_SE_SF_SG_E_clIS8_S8_S9_S9_EESD_ST_SE_SF_SG_EUlST_E1_NS1_11comp_targetILNS1_3genE10ELNS1_11target_archE1201ELNS1_3gpuE5ELNS1_3repE0EEENS1_36merge_oddeven_config_static_selectorELNS0_4arch9wavefront6targetE1EEEvSF_,comdat
.Lfunc_end625:
	.size	_ZN7rocprim17ROCPRIM_400000_NS6detail17trampoline_kernelINS0_14default_configENS1_38merge_sort_block_merge_config_selectorIiNS0_10empty_typeEEEZZNS1_27merge_sort_block_merge_implIS3_PiPS5_jNS1_19radix_merge_compareILb0ELb1EiNS0_19identity_decomposerEEEEE10hipError_tT0_T1_T2_jT3_P12ihipStream_tbPNSt15iterator_traitsISE_E10value_typeEPNSK_ISF_E10value_typeEPSG_NS1_7vsmem_tEENKUlT_SE_SF_SG_E_clIS8_S8_S9_S9_EESD_ST_SE_SF_SG_EUlST_E1_NS1_11comp_targetILNS1_3genE10ELNS1_11target_archE1201ELNS1_3gpuE5ELNS1_3repE0EEENS1_36merge_oddeven_config_static_selectorELNS0_4arch9wavefront6targetE1EEEvSF_, .Lfunc_end625-_ZN7rocprim17ROCPRIM_400000_NS6detail17trampoline_kernelINS0_14default_configENS1_38merge_sort_block_merge_config_selectorIiNS0_10empty_typeEEEZZNS1_27merge_sort_block_merge_implIS3_PiPS5_jNS1_19radix_merge_compareILb0ELb1EiNS0_19identity_decomposerEEEEE10hipError_tT0_T1_T2_jT3_P12ihipStream_tbPNSt15iterator_traitsISE_E10value_typeEPNSK_ISF_E10value_typeEPSG_NS1_7vsmem_tEENKUlT_SE_SF_SG_E_clIS8_S8_S9_S9_EESD_ST_SE_SF_SG_EUlST_E1_NS1_11comp_targetILNS1_3genE10ELNS1_11target_archE1201ELNS1_3gpuE5ELNS1_3repE0EEENS1_36merge_oddeven_config_static_selectorELNS0_4arch9wavefront6targetE1EEEvSF_
                                        ; -- End function
	.section	.AMDGPU.csdata,"",@progbits
; Kernel info:
; codeLenInByte = 0
; NumSgprs: 4
; NumVgprs: 0
; NumAgprs: 0
; TotalNumVgprs: 0
; ScratchSize: 0
; MemoryBound: 0
; FloatMode: 240
; IeeeMode: 1
; LDSByteSize: 0 bytes/workgroup (compile time only)
; SGPRBlocks: 0
; VGPRBlocks: 0
; NumSGPRsForWavesPerEU: 4
; NumVGPRsForWavesPerEU: 1
; AccumOffset: 4
; Occupancy: 8
; WaveLimiterHint : 0
; COMPUTE_PGM_RSRC2:SCRATCH_EN: 0
; COMPUTE_PGM_RSRC2:USER_SGPR: 6
; COMPUTE_PGM_RSRC2:TRAP_HANDLER: 0
; COMPUTE_PGM_RSRC2:TGID_X_EN: 1
; COMPUTE_PGM_RSRC2:TGID_Y_EN: 0
; COMPUTE_PGM_RSRC2:TGID_Z_EN: 0
; COMPUTE_PGM_RSRC2:TIDIG_COMP_CNT: 0
; COMPUTE_PGM_RSRC3_GFX90A:ACCUM_OFFSET: 0
; COMPUTE_PGM_RSRC3_GFX90A:TG_SPLIT: 0
	.section	.text._ZN7rocprim17ROCPRIM_400000_NS6detail17trampoline_kernelINS0_14default_configENS1_38merge_sort_block_merge_config_selectorIiNS0_10empty_typeEEEZZNS1_27merge_sort_block_merge_implIS3_PiPS5_jNS1_19radix_merge_compareILb0ELb1EiNS0_19identity_decomposerEEEEE10hipError_tT0_T1_T2_jT3_P12ihipStream_tbPNSt15iterator_traitsISE_E10value_typeEPNSK_ISF_E10value_typeEPSG_NS1_7vsmem_tEENKUlT_SE_SF_SG_E_clIS8_S8_S9_S9_EESD_ST_SE_SF_SG_EUlST_E1_NS1_11comp_targetILNS1_3genE5ELNS1_11target_archE942ELNS1_3gpuE9ELNS1_3repE0EEENS1_36merge_oddeven_config_static_selectorELNS0_4arch9wavefront6targetE1EEEvSF_,"axG",@progbits,_ZN7rocprim17ROCPRIM_400000_NS6detail17trampoline_kernelINS0_14default_configENS1_38merge_sort_block_merge_config_selectorIiNS0_10empty_typeEEEZZNS1_27merge_sort_block_merge_implIS3_PiPS5_jNS1_19radix_merge_compareILb0ELb1EiNS0_19identity_decomposerEEEEE10hipError_tT0_T1_T2_jT3_P12ihipStream_tbPNSt15iterator_traitsISE_E10value_typeEPNSK_ISF_E10value_typeEPSG_NS1_7vsmem_tEENKUlT_SE_SF_SG_E_clIS8_S8_S9_S9_EESD_ST_SE_SF_SG_EUlST_E1_NS1_11comp_targetILNS1_3genE5ELNS1_11target_archE942ELNS1_3gpuE9ELNS1_3repE0EEENS1_36merge_oddeven_config_static_selectorELNS0_4arch9wavefront6targetE1EEEvSF_,comdat
	.protected	_ZN7rocprim17ROCPRIM_400000_NS6detail17trampoline_kernelINS0_14default_configENS1_38merge_sort_block_merge_config_selectorIiNS0_10empty_typeEEEZZNS1_27merge_sort_block_merge_implIS3_PiPS5_jNS1_19radix_merge_compareILb0ELb1EiNS0_19identity_decomposerEEEEE10hipError_tT0_T1_T2_jT3_P12ihipStream_tbPNSt15iterator_traitsISE_E10value_typeEPNSK_ISF_E10value_typeEPSG_NS1_7vsmem_tEENKUlT_SE_SF_SG_E_clIS8_S8_S9_S9_EESD_ST_SE_SF_SG_EUlST_E1_NS1_11comp_targetILNS1_3genE5ELNS1_11target_archE942ELNS1_3gpuE9ELNS1_3repE0EEENS1_36merge_oddeven_config_static_selectorELNS0_4arch9wavefront6targetE1EEEvSF_ ; -- Begin function _ZN7rocprim17ROCPRIM_400000_NS6detail17trampoline_kernelINS0_14default_configENS1_38merge_sort_block_merge_config_selectorIiNS0_10empty_typeEEEZZNS1_27merge_sort_block_merge_implIS3_PiPS5_jNS1_19radix_merge_compareILb0ELb1EiNS0_19identity_decomposerEEEEE10hipError_tT0_T1_T2_jT3_P12ihipStream_tbPNSt15iterator_traitsISE_E10value_typeEPNSK_ISF_E10value_typeEPSG_NS1_7vsmem_tEENKUlT_SE_SF_SG_E_clIS8_S8_S9_S9_EESD_ST_SE_SF_SG_EUlST_E1_NS1_11comp_targetILNS1_3genE5ELNS1_11target_archE942ELNS1_3gpuE9ELNS1_3repE0EEENS1_36merge_oddeven_config_static_selectorELNS0_4arch9wavefront6targetE1EEEvSF_
	.globl	_ZN7rocprim17ROCPRIM_400000_NS6detail17trampoline_kernelINS0_14default_configENS1_38merge_sort_block_merge_config_selectorIiNS0_10empty_typeEEEZZNS1_27merge_sort_block_merge_implIS3_PiPS5_jNS1_19radix_merge_compareILb0ELb1EiNS0_19identity_decomposerEEEEE10hipError_tT0_T1_T2_jT3_P12ihipStream_tbPNSt15iterator_traitsISE_E10value_typeEPNSK_ISF_E10value_typeEPSG_NS1_7vsmem_tEENKUlT_SE_SF_SG_E_clIS8_S8_S9_S9_EESD_ST_SE_SF_SG_EUlST_E1_NS1_11comp_targetILNS1_3genE5ELNS1_11target_archE942ELNS1_3gpuE9ELNS1_3repE0EEENS1_36merge_oddeven_config_static_selectorELNS0_4arch9wavefront6targetE1EEEvSF_
	.p2align	8
	.type	_ZN7rocprim17ROCPRIM_400000_NS6detail17trampoline_kernelINS0_14default_configENS1_38merge_sort_block_merge_config_selectorIiNS0_10empty_typeEEEZZNS1_27merge_sort_block_merge_implIS3_PiPS5_jNS1_19radix_merge_compareILb0ELb1EiNS0_19identity_decomposerEEEEE10hipError_tT0_T1_T2_jT3_P12ihipStream_tbPNSt15iterator_traitsISE_E10value_typeEPNSK_ISF_E10value_typeEPSG_NS1_7vsmem_tEENKUlT_SE_SF_SG_E_clIS8_S8_S9_S9_EESD_ST_SE_SF_SG_EUlST_E1_NS1_11comp_targetILNS1_3genE5ELNS1_11target_archE942ELNS1_3gpuE9ELNS1_3repE0EEENS1_36merge_oddeven_config_static_selectorELNS0_4arch9wavefront6targetE1EEEvSF_,@function
_ZN7rocprim17ROCPRIM_400000_NS6detail17trampoline_kernelINS0_14default_configENS1_38merge_sort_block_merge_config_selectorIiNS0_10empty_typeEEEZZNS1_27merge_sort_block_merge_implIS3_PiPS5_jNS1_19radix_merge_compareILb0ELb1EiNS0_19identity_decomposerEEEEE10hipError_tT0_T1_T2_jT3_P12ihipStream_tbPNSt15iterator_traitsISE_E10value_typeEPNSK_ISF_E10value_typeEPSG_NS1_7vsmem_tEENKUlT_SE_SF_SG_E_clIS8_S8_S9_S9_EESD_ST_SE_SF_SG_EUlST_E1_NS1_11comp_targetILNS1_3genE5ELNS1_11target_archE942ELNS1_3gpuE9ELNS1_3repE0EEENS1_36merge_oddeven_config_static_selectorELNS0_4arch9wavefront6targetE1EEEvSF_: ; @_ZN7rocprim17ROCPRIM_400000_NS6detail17trampoline_kernelINS0_14default_configENS1_38merge_sort_block_merge_config_selectorIiNS0_10empty_typeEEEZZNS1_27merge_sort_block_merge_implIS3_PiPS5_jNS1_19radix_merge_compareILb0ELb1EiNS0_19identity_decomposerEEEEE10hipError_tT0_T1_T2_jT3_P12ihipStream_tbPNSt15iterator_traitsISE_E10value_typeEPNSK_ISF_E10value_typeEPSG_NS1_7vsmem_tEENKUlT_SE_SF_SG_E_clIS8_S8_S9_S9_EESD_ST_SE_SF_SG_EUlST_E1_NS1_11comp_targetILNS1_3genE5ELNS1_11target_archE942ELNS1_3gpuE9ELNS1_3repE0EEENS1_36merge_oddeven_config_static_selectorELNS0_4arch9wavefront6targetE1EEEvSF_
; %bb.0:
	.section	.rodata,"a",@progbits
	.p2align	6, 0x0
	.amdhsa_kernel _ZN7rocprim17ROCPRIM_400000_NS6detail17trampoline_kernelINS0_14default_configENS1_38merge_sort_block_merge_config_selectorIiNS0_10empty_typeEEEZZNS1_27merge_sort_block_merge_implIS3_PiPS5_jNS1_19radix_merge_compareILb0ELb1EiNS0_19identity_decomposerEEEEE10hipError_tT0_T1_T2_jT3_P12ihipStream_tbPNSt15iterator_traitsISE_E10value_typeEPNSK_ISF_E10value_typeEPSG_NS1_7vsmem_tEENKUlT_SE_SF_SG_E_clIS8_S8_S9_S9_EESD_ST_SE_SF_SG_EUlST_E1_NS1_11comp_targetILNS1_3genE5ELNS1_11target_archE942ELNS1_3gpuE9ELNS1_3repE0EEENS1_36merge_oddeven_config_static_selectorELNS0_4arch9wavefront6targetE1EEEvSF_
		.amdhsa_group_segment_fixed_size 0
		.amdhsa_private_segment_fixed_size 0
		.amdhsa_kernarg_size 48
		.amdhsa_user_sgpr_count 6
		.amdhsa_user_sgpr_private_segment_buffer 1
		.amdhsa_user_sgpr_dispatch_ptr 0
		.amdhsa_user_sgpr_queue_ptr 0
		.amdhsa_user_sgpr_kernarg_segment_ptr 1
		.amdhsa_user_sgpr_dispatch_id 0
		.amdhsa_user_sgpr_flat_scratch_init 0
		.amdhsa_user_sgpr_kernarg_preload_length 0
		.amdhsa_user_sgpr_kernarg_preload_offset 0
		.amdhsa_user_sgpr_private_segment_size 0
		.amdhsa_uses_dynamic_stack 0
		.amdhsa_system_sgpr_private_segment_wavefront_offset 0
		.amdhsa_system_sgpr_workgroup_id_x 1
		.amdhsa_system_sgpr_workgroup_id_y 0
		.amdhsa_system_sgpr_workgroup_id_z 0
		.amdhsa_system_sgpr_workgroup_info 0
		.amdhsa_system_vgpr_workitem_id 0
		.amdhsa_next_free_vgpr 1
		.amdhsa_next_free_sgpr 0
		.amdhsa_accum_offset 4
		.amdhsa_reserve_vcc 0
		.amdhsa_reserve_flat_scratch 0
		.amdhsa_float_round_mode_32 0
		.amdhsa_float_round_mode_16_64 0
		.amdhsa_float_denorm_mode_32 3
		.amdhsa_float_denorm_mode_16_64 3
		.amdhsa_dx10_clamp 1
		.amdhsa_ieee_mode 1
		.amdhsa_fp16_overflow 0
		.amdhsa_tg_split 0
		.amdhsa_exception_fp_ieee_invalid_op 0
		.amdhsa_exception_fp_denorm_src 0
		.amdhsa_exception_fp_ieee_div_zero 0
		.amdhsa_exception_fp_ieee_overflow 0
		.amdhsa_exception_fp_ieee_underflow 0
		.amdhsa_exception_fp_ieee_inexact 0
		.amdhsa_exception_int_div_zero 0
	.end_amdhsa_kernel
	.section	.text._ZN7rocprim17ROCPRIM_400000_NS6detail17trampoline_kernelINS0_14default_configENS1_38merge_sort_block_merge_config_selectorIiNS0_10empty_typeEEEZZNS1_27merge_sort_block_merge_implIS3_PiPS5_jNS1_19radix_merge_compareILb0ELb1EiNS0_19identity_decomposerEEEEE10hipError_tT0_T1_T2_jT3_P12ihipStream_tbPNSt15iterator_traitsISE_E10value_typeEPNSK_ISF_E10value_typeEPSG_NS1_7vsmem_tEENKUlT_SE_SF_SG_E_clIS8_S8_S9_S9_EESD_ST_SE_SF_SG_EUlST_E1_NS1_11comp_targetILNS1_3genE5ELNS1_11target_archE942ELNS1_3gpuE9ELNS1_3repE0EEENS1_36merge_oddeven_config_static_selectorELNS0_4arch9wavefront6targetE1EEEvSF_,"axG",@progbits,_ZN7rocprim17ROCPRIM_400000_NS6detail17trampoline_kernelINS0_14default_configENS1_38merge_sort_block_merge_config_selectorIiNS0_10empty_typeEEEZZNS1_27merge_sort_block_merge_implIS3_PiPS5_jNS1_19radix_merge_compareILb0ELb1EiNS0_19identity_decomposerEEEEE10hipError_tT0_T1_T2_jT3_P12ihipStream_tbPNSt15iterator_traitsISE_E10value_typeEPNSK_ISF_E10value_typeEPSG_NS1_7vsmem_tEENKUlT_SE_SF_SG_E_clIS8_S8_S9_S9_EESD_ST_SE_SF_SG_EUlST_E1_NS1_11comp_targetILNS1_3genE5ELNS1_11target_archE942ELNS1_3gpuE9ELNS1_3repE0EEENS1_36merge_oddeven_config_static_selectorELNS0_4arch9wavefront6targetE1EEEvSF_,comdat
.Lfunc_end626:
	.size	_ZN7rocprim17ROCPRIM_400000_NS6detail17trampoline_kernelINS0_14default_configENS1_38merge_sort_block_merge_config_selectorIiNS0_10empty_typeEEEZZNS1_27merge_sort_block_merge_implIS3_PiPS5_jNS1_19radix_merge_compareILb0ELb1EiNS0_19identity_decomposerEEEEE10hipError_tT0_T1_T2_jT3_P12ihipStream_tbPNSt15iterator_traitsISE_E10value_typeEPNSK_ISF_E10value_typeEPSG_NS1_7vsmem_tEENKUlT_SE_SF_SG_E_clIS8_S8_S9_S9_EESD_ST_SE_SF_SG_EUlST_E1_NS1_11comp_targetILNS1_3genE5ELNS1_11target_archE942ELNS1_3gpuE9ELNS1_3repE0EEENS1_36merge_oddeven_config_static_selectorELNS0_4arch9wavefront6targetE1EEEvSF_, .Lfunc_end626-_ZN7rocprim17ROCPRIM_400000_NS6detail17trampoline_kernelINS0_14default_configENS1_38merge_sort_block_merge_config_selectorIiNS0_10empty_typeEEEZZNS1_27merge_sort_block_merge_implIS3_PiPS5_jNS1_19radix_merge_compareILb0ELb1EiNS0_19identity_decomposerEEEEE10hipError_tT0_T1_T2_jT3_P12ihipStream_tbPNSt15iterator_traitsISE_E10value_typeEPNSK_ISF_E10value_typeEPSG_NS1_7vsmem_tEENKUlT_SE_SF_SG_E_clIS8_S8_S9_S9_EESD_ST_SE_SF_SG_EUlST_E1_NS1_11comp_targetILNS1_3genE5ELNS1_11target_archE942ELNS1_3gpuE9ELNS1_3repE0EEENS1_36merge_oddeven_config_static_selectorELNS0_4arch9wavefront6targetE1EEEvSF_
                                        ; -- End function
	.section	.AMDGPU.csdata,"",@progbits
; Kernel info:
; codeLenInByte = 0
; NumSgprs: 4
; NumVgprs: 0
; NumAgprs: 0
; TotalNumVgprs: 0
; ScratchSize: 0
; MemoryBound: 0
; FloatMode: 240
; IeeeMode: 1
; LDSByteSize: 0 bytes/workgroup (compile time only)
; SGPRBlocks: 0
; VGPRBlocks: 0
; NumSGPRsForWavesPerEU: 4
; NumVGPRsForWavesPerEU: 1
; AccumOffset: 4
; Occupancy: 8
; WaveLimiterHint : 0
; COMPUTE_PGM_RSRC2:SCRATCH_EN: 0
; COMPUTE_PGM_RSRC2:USER_SGPR: 6
; COMPUTE_PGM_RSRC2:TRAP_HANDLER: 0
; COMPUTE_PGM_RSRC2:TGID_X_EN: 1
; COMPUTE_PGM_RSRC2:TGID_Y_EN: 0
; COMPUTE_PGM_RSRC2:TGID_Z_EN: 0
; COMPUTE_PGM_RSRC2:TIDIG_COMP_CNT: 0
; COMPUTE_PGM_RSRC3_GFX90A:ACCUM_OFFSET: 0
; COMPUTE_PGM_RSRC3_GFX90A:TG_SPLIT: 0
	.section	.text._ZN7rocprim17ROCPRIM_400000_NS6detail17trampoline_kernelINS0_14default_configENS1_38merge_sort_block_merge_config_selectorIiNS0_10empty_typeEEEZZNS1_27merge_sort_block_merge_implIS3_PiPS5_jNS1_19radix_merge_compareILb0ELb1EiNS0_19identity_decomposerEEEEE10hipError_tT0_T1_T2_jT3_P12ihipStream_tbPNSt15iterator_traitsISE_E10value_typeEPNSK_ISF_E10value_typeEPSG_NS1_7vsmem_tEENKUlT_SE_SF_SG_E_clIS8_S8_S9_S9_EESD_ST_SE_SF_SG_EUlST_E1_NS1_11comp_targetILNS1_3genE4ELNS1_11target_archE910ELNS1_3gpuE8ELNS1_3repE0EEENS1_36merge_oddeven_config_static_selectorELNS0_4arch9wavefront6targetE1EEEvSF_,"axG",@progbits,_ZN7rocprim17ROCPRIM_400000_NS6detail17trampoline_kernelINS0_14default_configENS1_38merge_sort_block_merge_config_selectorIiNS0_10empty_typeEEEZZNS1_27merge_sort_block_merge_implIS3_PiPS5_jNS1_19radix_merge_compareILb0ELb1EiNS0_19identity_decomposerEEEEE10hipError_tT0_T1_T2_jT3_P12ihipStream_tbPNSt15iterator_traitsISE_E10value_typeEPNSK_ISF_E10value_typeEPSG_NS1_7vsmem_tEENKUlT_SE_SF_SG_E_clIS8_S8_S9_S9_EESD_ST_SE_SF_SG_EUlST_E1_NS1_11comp_targetILNS1_3genE4ELNS1_11target_archE910ELNS1_3gpuE8ELNS1_3repE0EEENS1_36merge_oddeven_config_static_selectorELNS0_4arch9wavefront6targetE1EEEvSF_,comdat
	.protected	_ZN7rocprim17ROCPRIM_400000_NS6detail17trampoline_kernelINS0_14default_configENS1_38merge_sort_block_merge_config_selectorIiNS0_10empty_typeEEEZZNS1_27merge_sort_block_merge_implIS3_PiPS5_jNS1_19radix_merge_compareILb0ELb1EiNS0_19identity_decomposerEEEEE10hipError_tT0_T1_T2_jT3_P12ihipStream_tbPNSt15iterator_traitsISE_E10value_typeEPNSK_ISF_E10value_typeEPSG_NS1_7vsmem_tEENKUlT_SE_SF_SG_E_clIS8_S8_S9_S9_EESD_ST_SE_SF_SG_EUlST_E1_NS1_11comp_targetILNS1_3genE4ELNS1_11target_archE910ELNS1_3gpuE8ELNS1_3repE0EEENS1_36merge_oddeven_config_static_selectorELNS0_4arch9wavefront6targetE1EEEvSF_ ; -- Begin function _ZN7rocprim17ROCPRIM_400000_NS6detail17trampoline_kernelINS0_14default_configENS1_38merge_sort_block_merge_config_selectorIiNS0_10empty_typeEEEZZNS1_27merge_sort_block_merge_implIS3_PiPS5_jNS1_19radix_merge_compareILb0ELb1EiNS0_19identity_decomposerEEEEE10hipError_tT0_T1_T2_jT3_P12ihipStream_tbPNSt15iterator_traitsISE_E10value_typeEPNSK_ISF_E10value_typeEPSG_NS1_7vsmem_tEENKUlT_SE_SF_SG_E_clIS8_S8_S9_S9_EESD_ST_SE_SF_SG_EUlST_E1_NS1_11comp_targetILNS1_3genE4ELNS1_11target_archE910ELNS1_3gpuE8ELNS1_3repE0EEENS1_36merge_oddeven_config_static_selectorELNS0_4arch9wavefront6targetE1EEEvSF_
	.globl	_ZN7rocprim17ROCPRIM_400000_NS6detail17trampoline_kernelINS0_14default_configENS1_38merge_sort_block_merge_config_selectorIiNS0_10empty_typeEEEZZNS1_27merge_sort_block_merge_implIS3_PiPS5_jNS1_19radix_merge_compareILb0ELb1EiNS0_19identity_decomposerEEEEE10hipError_tT0_T1_T2_jT3_P12ihipStream_tbPNSt15iterator_traitsISE_E10value_typeEPNSK_ISF_E10value_typeEPSG_NS1_7vsmem_tEENKUlT_SE_SF_SG_E_clIS8_S8_S9_S9_EESD_ST_SE_SF_SG_EUlST_E1_NS1_11comp_targetILNS1_3genE4ELNS1_11target_archE910ELNS1_3gpuE8ELNS1_3repE0EEENS1_36merge_oddeven_config_static_selectorELNS0_4arch9wavefront6targetE1EEEvSF_
	.p2align	8
	.type	_ZN7rocprim17ROCPRIM_400000_NS6detail17trampoline_kernelINS0_14default_configENS1_38merge_sort_block_merge_config_selectorIiNS0_10empty_typeEEEZZNS1_27merge_sort_block_merge_implIS3_PiPS5_jNS1_19radix_merge_compareILb0ELb1EiNS0_19identity_decomposerEEEEE10hipError_tT0_T1_T2_jT3_P12ihipStream_tbPNSt15iterator_traitsISE_E10value_typeEPNSK_ISF_E10value_typeEPSG_NS1_7vsmem_tEENKUlT_SE_SF_SG_E_clIS8_S8_S9_S9_EESD_ST_SE_SF_SG_EUlST_E1_NS1_11comp_targetILNS1_3genE4ELNS1_11target_archE910ELNS1_3gpuE8ELNS1_3repE0EEENS1_36merge_oddeven_config_static_selectorELNS0_4arch9wavefront6targetE1EEEvSF_,@function
_ZN7rocprim17ROCPRIM_400000_NS6detail17trampoline_kernelINS0_14default_configENS1_38merge_sort_block_merge_config_selectorIiNS0_10empty_typeEEEZZNS1_27merge_sort_block_merge_implIS3_PiPS5_jNS1_19radix_merge_compareILb0ELb1EiNS0_19identity_decomposerEEEEE10hipError_tT0_T1_T2_jT3_P12ihipStream_tbPNSt15iterator_traitsISE_E10value_typeEPNSK_ISF_E10value_typeEPSG_NS1_7vsmem_tEENKUlT_SE_SF_SG_E_clIS8_S8_S9_S9_EESD_ST_SE_SF_SG_EUlST_E1_NS1_11comp_targetILNS1_3genE4ELNS1_11target_archE910ELNS1_3gpuE8ELNS1_3repE0EEENS1_36merge_oddeven_config_static_selectorELNS0_4arch9wavefront6targetE1EEEvSF_: ; @_ZN7rocprim17ROCPRIM_400000_NS6detail17trampoline_kernelINS0_14default_configENS1_38merge_sort_block_merge_config_selectorIiNS0_10empty_typeEEEZZNS1_27merge_sort_block_merge_implIS3_PiPS5_jNS1_19radix_merge_compareILb0ELb1EiNS0_19identity_decomposerEEEEE10hipError_tT0_T1_T2_jT3_P12ihipStream_tbPNSt15iterator_traitsISE_E10value_typeEPNSK_ISF_E10value_typeEPSG_NS1_7vsmem_tEENKUlT_SE_SF_SG_E_clIS8_S8_S9_S9_EESD_ST_SE_SF_SG_EUlST_E1_NS1_11comp_targetILNS1_3genE4ELNS1_11target_archE910ELNS1_3gpuE8ELNS1_3repE0EEENS1_36merge_oddeven_config_static_selectorELNS0_4arch9wavefront6targetE1EEEvSF_
; %bb.0:
	s_load_dword s18, s[4:5], 0x20
	s_waitcnt lgkmcnt(0)
	s_lshr_b32 s0, s18, 8
	s_cmp_lg_u32 s6, s0
	s_cselect_b64 s[14:15], -1, 0
	s_cmp_eq_u32 s6, s0
	s_cselect_b64 s[12:13], -1, 0
	s_lshl_b32 s16, s6, 8
	s_sub_i32 s0, s18, s16
	v_cmp_gt_u32_e64 s[2:3], s0, v0
	s_or_b64 s[0:1], s[14:15], s[2:3]
	s_and_saveexec_b64 s[8:9], s[0:1]
	s_cbranch_execz .LBB627_20
; %bb.1:
	s_load_dwordx4 s[8:11], s[4:5], 0x0
	s_load_dword s19, s[4:5], 0x24
	s_mov_b32 s17, 0
	s_lshl_b64 s[0:1], s[16:17], 2
	v_lshlrev_b32_e32 v1, 2, v0
	s_waitcnt lgkmcnt(0)
	s_add_u32 s0, s8, s0
	s_addc_u32 s1, s9, s1
	global_load_dword v2, v1, s[0:1]
	s_lshr_b32 s0, s19, 8
	s_sub_i32 s1, 0, s0
	s_and_b32 s1, s6, s1
	s_and_b32 s0, s1, s0
	s_lshl_b32 s20, s1, 8
	s_sub_i32 s17, 0, s19
	s_cmp_eq_u32 s0, 0
	s_cselect_b64 s[0:1], -1, 0
	s_and_b64 s[6:7], s[0:1], exec
	s_cselect_b32 s17, s19, s17
	s_add_i32 s17, s17, s20
	s_cmp_lt_u32 s17, s18
	v_add_u32_e32 v0, s16, v0
	s_cbranch_scc1 .LBB627_3
; %bb.2:
	v_cmp_gt_u32_e32 vcc, s18, v0
	s_or_b64 s[6:7], vcc, s[14:15]
	s_and_b64 s[6:7], s[6:7], exec
	s_cbranch_execz .LBB627_4
	s_branch .LBB627_18
.LBB627_3:
	s_mov_b64 s[6:7], 0
.LBB627_4:
	s_load_dword s14, s[4:5], 0x28
	s_min_u32 s15, s17, s18
	s_add_i32 s4, s15, s19
	s_min_u32 s16, s4, s18
	s_min_u32 s4, s20, s15
	s_add_i32 s20, s20, s15
	v_subrev_u32_e32 v0, s20, v0
	v_add_u32_e32 v3, s4, v0
	s_and_b64 vcc, exec, s[12:13]
	s_cbranch_vccz .LBB627_12
; %bb.5:
                                        ; implicit-def: $vgpr0
	s_and_saveexec_b64 s[4:5], s[2:3]
	s_cbranch_execz .LBB627_11
; %bb.6:
	s_cmp_ge_u32 s17, s16
	v_mov_b32_e32 v4, s15
	s_cbranch_scc1 .LBB627_10
; %bb.7:
	s_waitcnt vmcnt(0) lgkmcnt(0)
	v_and_b32_e32 v5, s14, v2
	s_mov_b64 s[2:3], 0
	v_mov_b32_e32 v6, s16
	v_mov_b32_e32 v4, s15
	;; [unrolled: 1-line block ×4, first 2 shown]
.LBB627_8:                              ; =>This Inner Loop Header: Depth=1
	v_add_u32_e32 v0, v4, v6
	v_lshrrev_b32_e32 v0, 1, v0
	v_lshlrev_b64 v[8:9], 2, v[0:1]
	v_add_co_u32_e32 v8, vcc, s8, v8
	v_addc_co_u32_e32 v9, vcc, v7, v9, vcc
	global_load_dword v8, v[8:9], off
	v_add_u32_e32 v9, 1, v0
	s_waitcnt vmcnt(0)
	v_and_b32_e32 v8, s14, v8
	v_cmp_gt_i32_e32 vcc, v5, v8
	v_cndmask_b32_e64 v10, 0, 1, vcc
	v_cmp_le_i32_e32 vcc, v8, v5
	v_cndmask_b32_e64 v8, 0, 1, vcc
	v_cndmask_b32_e64 v8, v8, v10, s[0:1]
	v_and_b32_e32 v8, 1, v8
	v_cmp_eq_u32_e32 vcc, 1, v8
	v_cndmask_b32_e32 v6, v0, v6, vcc
	v_cndmask_b32_e32 v4, v4, v9, vcc
	v_cmp_ge_u32_e32 vcc, v4, v6
	s_or_b64 s[2:3], vcc, s[2:3]
	s_andn2_b64 exec, exec, s[2:3]
	s_cbranch_execnz .LBB627_8
; %bb.9:
	s_or_b64 exec, exec, s[2:3]
.LBB627_10:
	v_add_u32_e32 v0, v4, v3
	s_or_b64 s[6:7], s[6:7], exec
.LBB627_11:
	s_or_b64 exec, exec, s[4:5]
	s_branch .LBB627_18
.LBB627_12:
                                        ; implicit-def: $vgpr0
	s_cbranch_execz .LBB627_18
; %bb.13:
	s_cmp_ge_u32 s17, s16
	v_mov_b32_e32 v4, s15
	s_cbranch_scc1 .LBB627_17
; %bb.14:
	s_waitcnt vmcnt(0) lgkmcnt(0)
	v_and_b32_e32 v5, s14, v2
	s_mov_b64 s[2:3], 0
	v_mov_b32_e32 v6, s16
	v_mov_b32_e32 v4, s15
	;; [unrolled: 1-line block ×4, first 2 shown]
.LBB627_15:                             ; =>This Inner Loop Header: Depth=1
	v_add_u32_e32 v0, v4, v6
	v_lshrrev_b32_e32 v0, 1, v0
	v_lshlrev_b64 v[8:9], 2, v[0:1]
	v_add_co_u32_e32 v8, vcc, s8, v8
	v_addc_co_u32_e32 v9, vcc, v7, v9, vcc
	global_load_dword v8, v[8:9], off
	v_add_u32_e32 v9, 1, v0
	s_waitcnt vmcnt(0)
	v_and_b32_e32 v8, s14, v8
	v_cmp_gt_i32_e32 vcc, v5, v8
	v_cndmask_b32_e64 v10, 0, 1, vcc
	v_cmp_le_i32_e32 vcc, v8, v5
	v_cndmask_b32_e64 v8, 0, 1, vcc
	v_cndmask_b32_e64 v8, v8, v10, s[0:1]
	v_and_b32_e32 v8, 1, v8
	v_cmp_eq_u32_e32 vcc, 1, v8
	v_cndmask_b32_e32 v6, v0, v6, vcc
	v_cndmask_b32_e32 v4, v4, v9, vcc
	v_cmp_ge_u32_e32 vcc, v4, v6
	s_or_b64 s[2:3], vcc, s[2:3]
	s_andn2_b64 exec, exec, s[2:3]
	s_cbranch_execnz .LBB627_15
; %bb.16:
	s_or_b64 exec, exec, s[2:3]
.LBB627_17:
	v_add_u32_e32 v0, v4, v3
	s_mov_b64 s[6:7], -1
.LBB627_18:
	s_and_b64 exec, exec, s[6:7]
	s_cbranch_execz .LBB627_20
; %bb.19:
	v_mov_b32_e32 v1, 0
	v_lshlrev_b64 v[0:1], 2, v[0:1]
	v_mov_b32_e32 v3, s11
	v_add_co_u32_e32 v0, vcc, s10, v0
	v_addc_co_u32_e32 v1, vcc, v3, v1, vcc
	s_waitcnt vmcnt(0)
	global_store_dword v[0:1], v2, off
.LBB627_20:
	s_endpgm
	.section	.rodata,"a",@progbits
	.p2align	6, 0x0
	.amdhsa_kernel _ZN7rocprim17ROCPRIM_400000_NS6detail17trampoline_kernelINS0_14default_configENS1_38merge_sort_block_merge_config_selectorIiNS0_10empty_typeEEEZZNS1_27merge_sort_block_merge_implIS3_PiPS5_jNS1_19radix_merge_compareILb0ELb1EiNS0_19identity_decomposerEEEEE10hipError_tT0_T1_T2_jT3_P12ihipStream_tbPNSt15iterator_traitsISE_E10value_typeEPNSK_ISF_E10value_typeEPSG_NS1_7vsmem_tEENKUlT_SE_SF_SG_E_clIS8_S8_S9_S9_EESD_ST_SE_SF_SG_EUlST_E1_NS1_11comp_targetILNS1_3genE4ELNS1_11target_archE910ELNS1_3gpuE8ELNS1_3repE0EEENS1_36merge_oddeven_config_static_selectorELNS0_4arch9wavefront6targetE1EEEvSF_
		.amdhsa_group_segment_fixed_size 0
		.amdhsa_private_segment_fixed_size 0
		.amdhsa_kernarg_size 48
		.amdhsa_user_sgpr_count 6
		.amdhsa_user_sgpr_private_segment_buffer 1
		.amdhsa_user_sgpr_dispatch_ptr 0
		.amdhsa_user_sgpr_queue_ptr 0
		.amdhsa_user_sgpr_kernarg_segment_ptr 1
		.amdhsa_user_sgpr_dispatch_id 0
		.amdhsa_user_sgpr_flat_scratch_init 0
		.amdhsa_user_sgpr_kernarg_preload_length 0
		.amdhsa_user_sgpr_kernarg_preload_offset 0
		.amdhsa_user_sgpr_private_segment_size 0
		.amdhsa_uses_dynamic_stack 0
		.amdhsa_system_sgpr_private_segment_wavefront_offset 0
		.amdhsa_system_sgpr_workgroup_id_x 1
		.amdhsa_system_sgpr_workgroup_id_y 0
		.amdhsa_system_sgpr_workgroup_id_z 0
		.amdhsa_system_sgpr_workgroup_info 0
		.amdhsa_system_vgpr_workitem_id 0
		.amdhsa_next_free_vgpr 11
		.amdhsa_next_free_sgpr 21
		.amdhsa_accum_offset 12
		.amdhsa_reserve_vcc 1
		.amdhsa_reserve_flat_scratch 0
		.amdhsa_float_round_mode_32 0
		.amdhsa_float_round_mode_16_64 0
		.amdhsa_float_denorm_mode_32 3
		.amdhsa_float_denorm_mode_16_64 3
		.amdhsa_dx10_clamp 1
		.amdhsa_ieee_mode 1
		.amdhsa_fp16_overflow 0
		.amdhsa_tg_split 0
		.amdhsa_exception_fp_ieee_invalid_op 0
		.amdhsa_exception_fp_denorm_src 0
		.amdhsa_exception_fp_ieee_div_zero 0
		.amdhsa_exception_fp_ieee_overflow 0
		.amdhsa_exception_fp_ieee_underflow 0
		.amdhsa_exception_fp_ieee_inexact 0
		.amdhsa_exception_int_div_zero 0
	.end_amdhsa_kernel
	.section	.text._ZN7rocprim17ROCPRIM_400000_NS6detail17trampoline_kernelINS0_14default_configENS1_38merge_sort_block_merge_config_selectorIiNS0_10empty_typeEEEZZNS1_27merge_sort_block_merge_implIS3_PiPS5_jNS1_19radix_merge_compareILb0ELb1EiNS0_19identity_decomposerEEEEE10hipError_tT0_T1_T2_jT3_P12ihipStream_tbPNSt15iterator_traitsISE_E10value_typeEPNSK_ISF_E10value_typeEPSG_NS1_7vsmem_tEENKUlT_SE_SF_SG_E_clIS8_S8_S9_S9_EESD_ST_SE_SF_SG_EUlST_E1_NS1_11comp_targetILNS1_3genE4ELNS1_11target_archE910ELNS1_3gpuE8ELNS1_3repE0EEENS1_36merge_oddeven_config_static_selectorELNS0_4arch9wavefront6targetE1EEEvSF_,"axG",@progbits,_ZN7rocprim17ROCPRIM_400000_NS6detail17trampoline_kernelINS0_14default_configENS1_38merge_sort_block_merge_config_selectorIiNS0_10empty_typeEEEZZNS1_27merge_sort_block_merge_implIS3_PiPS5_jNS1_19radix_merge_compareILb0ELb1EiNS0_19identity_decomposerEEEEE10hipError_tT0_T1_T2_jT3_P12ihipStream_tbPNSt15iterator_traitsISE_E10value_typeEPNSK_ISF_E10value_typeEPSG_NS1_7vsmem_tEENKUlT_SE_SF_SG_E_clIS8_S8_S9_S9_EESD_ST_SE_SF_SG_EUlST_E1_NS1_11comp_targetILNS1_3genE4ELNS1_11target_archE910ELNS1_3gpuE8ELNS1_3repE0EEENS1_36merge_oddeven_config_static_selectorELNS0_4arch9wavefront6targetE1EEEvSF_,comdat
.Lfunc_end627:
	.size	_ZN7rocprim17ROCPRIM_400000_NS6detail17trampoline_kernelINS0_14default_configENS1_38merge_sort_block_merge_config_selectorIiNS0_10empty_typeEEEZZNS1_27merge_sort_block_merge_implIS3_PiPS5_jNS1_19radix_merge_compareILb0ELb1EiNS0_19identity_decomposerEEEEE10hipError_tT0_T1_T2_jT3_P12ihipStream_tbPNSt15iterator_traitsISE_E10value_typeEPNSK_ISF_E10value_typeEPSG_NS1_7vsmem_tEENKUlT_SE_SF_SG_E_clIS8_S8_S9_S9_EESD_ST_SE_SF_SG_EUlST_E1_NS1_11comp_targetILNS1_3genE4ELNS1_11target_archE910ELNS1_3gpuE8ELNS1_3repE0EEENS1_36merge_oddeven_config_static_selectorELNS0_4arch9wavefront6targetE1EEEvSF_, .Lfunc_end627-_ZN7rocprim17ROCPRIM_400000_NS6detail17trampoline_kernelINS0_14default_configENS1_38merge_sort_block_merge_config_selectorIiNS0_10empty_typeEEEZZNS1_27merge_sort_block_merge_implIS3_PiPS5_jNS1_19radix_merge_compareILb0ELb1EiNS0_19identity_decomposerEEEEE10hipError_tT0_T1_T2_jT3_P12ihipStream_tbPNSt15iterator_traitsISE_E10value_typeEPNSK_ISF_E10value_typeEPSG_NS1_7vsmem_tEENKUlT_SE_SF_SG_E_clIS8_S8_S9_S9_EESD_ST_SE_SF_SG_EUlST_E1_NS1_11comp_targetILNS1_3genE4ELNS1_11target_archE910ELNS1_3gpuE8ELNS1_3repE0EEENS1_36merge_oddeven_config_static_selectorELNS0_4arch9wavefront6targetE1EEEvSF_
                                        ; -- End function
	.section	.AMDGPU.csdata,"",@progbits
; Kernel info:
; codeLenInByte = 620
; NumSgprs: 25
; NumVgprs: 11
; NumAgprs: 0
; TotalNumVgprs: 11
; ScratchSize: 0
; MemoryBound: 0
; FloatMode: 240
; IeeeMode: 1
; LDSByteSize: 0 bytes/workgroup (compile time only)
; SGPRBlocks: 3
; VGPRBlocks: 1
; NumSGPRsForWavesPerEU: 25
; NumVGPRsForWavesPerEU: 11
; AccumOffset: 12
; Occupancy: 8
; WaveLimiterHint : 0
; COMPUTE_PGM_RSRC2:SCRATCH_EN: 0
; COMPUTE_PGM_RSRC2:USER_SGPR: 6
; COMPUTE_PGM_RSRC2:TRAP_HANDLER: 0
; COMPUTE_PGM_RSRC2:TGID_X_EN: 1
; COMPUTE_PGM_RSRC2:TGID_Y_EN: 0
; COMPUTE_PGM_RSRC2:TGID_Z_EN: 0
; COMPUTE_PGM_RSRC2:TIDIG_COMP_CNT: 0
; COMPUTE_PGM_RSRC3_GFX90A:ACCUM_OFFSET: 2
; COMPUTE_PGM_RSRC3_GFX90A:TG_SPLIT: 0
	.section	.text._ZN7rocprim17ROCPRIM_400000_NS6detail17trampoline_kernelINS0_14default_configENS1_38merge_sort_block_merge_config_selectorIiNS0_10empty_typeEEEZZNS1_27merge_sort_block_merge_implIS3_PiPS5_jNS1_19radix_merge_compareILb0ELb1EiNS0_19identity_decomposerEEEEE10hipError_tT0_T1_T2_jT3_P12ihipStream_tbPNSt15iterator_traitsISE_E10value_typeEPNSK_ISF_E10value_typeEPSG_NS1_7vsmem_tEENKUlT_SE_SF_SG_E_clIS8_S8_S9_S9_EESD_ST_SE_SF_SG_EUlST_E1_NS1_11comp_targetILNS1_3genE3ELNS1_11target_archE908ELNS1_3gpuE7ELNS1_3repE0EEENS1_36merge_oddeven_config_static_selectorELNS0_4arch9wavefront6targetE1EEEvSF_,"axG",@progbits,_ZN7rocprim17ROCPRIM_400000_NS6detail17trampoline_kernelINS0_14default_configENS1_38merge_sort_block_merge_config_selectorIiNS0_10empty_typeEEEZZNS1_27merge_sort_block_merge_implIS3_PiPS5_jNS1_19radix_merge_compareILb0ELb1EiNS0_19identity_decomposerEEEEE10hipError_tT0_T1_T2_jT3_P12ihipStream_tbPNSt15iterator_traitsISE_E10value_typeEPNSK_ISF_E10value_typeEPSG_NS1_7vsmem_tEENKUlT_SE_SF_SG_E_clIS8_S8_S9_S9_EESD_ST_SE_SF_SG_EUlST_E1_NS1_11comp_targetILNS1_3genE3ELNS1_11target_archE908ELNS1_3gpuE7ELNS1_3repE0EEENS1_36merge_oddeven_config_static_selectorELNS0_4arch9wavefront6targetE1EEEvSF_,comdat
	.protected	_ZN7rocprim17ROCPRIM_400000_NS6detail17trampoline_kernelINS0_14default_configENS1_38merge_sort_block_merge_config_selectorIiNS0_10empty_typeEEEZZNS1_27merge_sort_block_merge_implIS3_PiPS5_jNS1_19radix_merge_compareILb0ELb1EiNS0_19identity_decomposerEEEEE10hipError_tT0_T1_T2_jT3_P12ihipStream_tbPNSt15iterator_traitsISE_E10value_typeEPNSK_ISF_E10value_typeEPSG_NS1_7vsmem_tEENKUlT_SE_SF_SG_E_clIS8_S8_S9_S9_EESD_ST_SE_SF_SG_EUlST_E1_NS1_11comp_targetILNS1_3genE3ELNS1_11target_archE908ELNS1_3gpuE7ELNS1_3repE0EEENS1_36merge_oddeven_config_static_selectorELNS0_4arch9wavefront6targetE1EEEvSF_ ; -- Begin function _ZN7rocprim17ROCPRIM_400000_NS6detail17trampoline_kernelINS0_14default_configENS1_38merge_sort_block_merge_config_selectorIiNS0_10empty_typeEEEZZNS1_27merge_sort_block_merge_implIS3_PiPS5_jNS1_19radix_merge_compareILb0ELb1EiNS0_19identity_decomposerEEEEE10hipError_tT0_T1_T2_jT3_P12ihipStream_tbPNSt15iterator_traitsISE_E10value_typeEPNSK_ISF_E10value_typeEPSG_NS1_7vsmem_tEENKUlT_SE_SF_SG_E_clIS8_S8_S9_S9_EESD_ST_SE_SF_SG_EUlST_E1_NS1_11comp_targetILNS1_3genE3ELNS1_11target_archE908ELNS1_3gpuE7ELNS1_3repE0EEENS1_36merge_oddeven_config_static_selectorELNS0_4arch9wavefront6targetE1EEEvSF_
	.globl	_ZN7rocprim17ROCPRIM_400000_NS6detail17trampoline_kernelINS0_14default_configENS1_38merge_sort_block_merge_config_selectorIiNS0_10empty_typeEEEZZNS1_27merge_sort_block_merge_implIS3_PiPS5_jNS1_19radix_merge_compareILb0ELb1EiNS0_19identity_decomposerEEEEE10hipError_tT0_T1_T2_jT3_P12ihipStream_tbPNSt15iterator_traitsISE_E10value_typeEPNSK_ISF_E10value_typeEPSG_NS1_7vsmem_tEENKUlT_SE_SF_SG_E_clIS8_S8_S9_S9_EESD_ST_SE_SF_SG_EUlST_E1_NS1_11comp_targetILNS1_3genE3ELNS1_11target_archE908ELNS1_3gpuE7ELNS1_3repE0EEENS1_36merge_oddeven_config_static_selectorELNS0_4arch9wavefront6targetE1EEEvSF_
	.p2align	8
	.type	_ZN7rocprim17ROCPRIM_400000_NS6detail17trampoline_kernelINS0_14default_configENS1_38merge_sort_block_merge_config_selectorIiNS0_10empty_typeEEEZZNS1_27merge_sort_block_merge_implIS3_PiPS5_jNS1_19radix_merge_compareILb0ELb1EiNS0_19identity_decomposerEEEEE10hipError_tT0_T1_T2_jT3_P12ihipStream_tbPNSt15iterator_traitsISE_E10value_typeEPNSK_ISF_E10value_typeEPSG_NS1_7vsmem_tEENKUlT_SE_SF_SG_E_clIS8_S8_S9_S9_EESD_ST_SE_SF_SG_EUlST_E1_NS1_11comp_targetILNS1_3genE3ELNS1_11target_archE908ELNS1_3gpuE7ELNS1_3repE0EEENS1_36merge_oddeven_config_static_selectorELNS0_4arch9wavefront6targetE1EEEvSF_,@function
_ZN7rocprim17ROCPRIM_400000_NS6detail17trampoline_kernelINS0_14default_configENS1_38merge_sort_block_merge_config_selectorIiNS0_10empty_typeEEEZZNS1_27merge_sort_block_merge_implIS3_PiPS5_jNS1_19radix_merge_compareILb0ELb1EiNS0_19identity_decomposerEEEEE10hipError_tT0_T1_T2_jT3_P12ihipStream_tbPNSt15iterator_traitsISE_E10value_typeEPNSK_ISF_E10value_typeEPSG_NS1_7vsmem_tEENKUlT_SE_SF_SG_E_clIS8_S8_S9_S9_EESD_ST_SE_SF_SG_EUlST_E1_NS1_11comp_targetILNS1_3genE3ELNS1_11target_archE908ELNS1_3gpuE7ELNS1_3repE0EEENS1_36merge_oddeven_config_static_selectorELNS0_4arch9wavefront6targetE1EEEvSF_: ; @_ZN7rocprim17ROCPRIM_400000_NS6detail17trampoline_kernelINS0_14default_configENS1_38merge_sort_block_merge_config_selectorIiNS0_10empty_typeEEEZZNS1_27merge_sort_block_merge_implIS3_PiPS5_jNS1_19radix_merge_compareILb0ELb1EiNS0_19identity_decomposerEEEEE10hipError_tT0_T1_T2_jT3_P12ihipStream_tbPNSt15iterator_traitsISE_E10value_typeEPNSK_ISF_E10value_typeEPSG_NS1_7vsmem_tEENKUlT_SE_SF_SG_E_clIS8_S8_S9_S9_EESD_ST_SE_SF_SG_EUlST_E1_NS1_11comp_targetILNS1_3genE3ELNS1_11target_archE908ELNS1_3gpuE7ELNS1_3repE0EEENS1_36merge_oddeven_config_static_selectorELNS0_4arch9wavefront6targetE1EEEvSF_
; %bb.0:
	.section	.rodata,"a",@progbits
	.p2align	6, 0x0
	.amdhsa_kernel _ZN7rocprim17ROCPRIM_400000_NS6detail17trampoline_kernelINS0_14default_configENS1_38merge_sort_block_merge_config_selectorIiNS0_10empty_typeEEEZZNS1_27merge_sort_block_merge_implIS3_PiPS5_jNS1_19radix_merge_compareILb0ELb1EiNS0_19identity_decomposerEEEEE10hipError_tT0_T1_T2_jT3_P12ihipStream_tbPNSt15iterator_traitsISE_E10value_typeEPNSK_ISF_E10value_typeEPSG_NS1_7vsmem_tEENKUlT_SE_SF_SG_E_clIS8_S8_S9_S9_EESD_ST_SE_SF_SG_EUlST_E1_NS1_11comp_targetILNS1_3genE3ELNS1_11target_archE908ELNS1_3gpuE7ELNS1_3repE0EEENS1_36merge_oddeven_config_static_selectorELNS0_4arch9wavefront6targetE1EEEvSF_
		.amdhsa_group_segment_fixed_size 0
		.amdhsa_private_segment_fixed_size 0
		.amdhsa_kernarg_size 48
		.amdhsa_user_sgpr_count 6
		.amdhsa_user_sgpr_private_segment_buffer 1
		.amdhsa_user_sgpr_dispatch_ptr 0
		.amdhsa_user_sgpr_queue_ptr 0
		.amdhsa_user_sgpr_kernarg_segment_ptr 1
		.amdhsa_user_sgpr_dispatch_id 0
		.amdhsa_user_sgpr_flat_scratch_init 0
		.amdhsa_user_sgpr_kernarg_preload_length 0
		.amdhsa_user_sgpr_kernarg_preload_offset 0
		.amdhsa_user_sgpr_private_segment_size 0
		.amdhsa_uses_dynamic_stack 0
		.amdhsa_system_sgpr_private_segment_wavefront_offset 0
		.amdhsa_system_sgpr_workgroup_id_x 1
		.amdhsa_system_sgpr_workgroup_id_y 0
		.amdhsa_system_sgpr_workgroup_id_z 0
		.amdhsa_system_sgpr_workgroup_info 0
		.amdhsa_system_vgpr_workitem_id 0
		.amdhsa_next_free_vgpr 1
		.amdhsa_next_free_sgpr 0
		.amdhsa_accum_offset 4
		.amdhsa_reserve_vcc 0
		.amdhsa_reserve_flat_scratch 0
		.amdhsa_float_round_mode_32 0
		.amdhsa_float_round_mode_16_64 0
		.amdhsa_float_denorm_mode_32 3
		.amdhsa_float_denorm_mode_16_64 3
		.amdhsa_dx10_clamp 1
		.amdhsa_ieee_mode 1
		.amdhsa_fp16_overflow 0
		.amdhsa_tg_split 0
		.amdhsa_exception_fp_ieee_invalid_op 0
		.amdhsa_exception_fp_denorm_src 0
		.amdhsa_exception_fp_ieee_div_zero 0
		.amdhsa_exception_fp_ieee_overflow 0
		.amdhsa_exception_fp_ieee_underflow 0
		.amdhsa_exception_fp_ieee_inexact 0
		.amdhsa_exception_int_div_zero 0
	.end_amdhsa_kernel
	.section	.text._ZN7rocprim17ROCPRIM_400000_NS6detail17trampoline_kernelINS0_14default_configENS1_38merge_sort_block_merge_config_selectorIiNS0_10empty_typeEEEZZNS1_27merge_sort_block_merge_implIS3_PiPS5_jNS1_19radix_merge_compareILb0ELb1EiNS0_19identity_decomposerEEEEE10hipError_tT0_T1_T2_jT3_P12ihipStream_tbPNSt15iterator_traitsISE_E10value_typeEPNSK_ISF_E10value_typeEPSG_NS1_7vsmem_tEENKUlT_SE_SF_SG_E_clIS8_S8_S9_S9_EESD_ST_SE_SF_SG_EUlST_E1_NS1_11comp_targetILNS1_3genE3ELNS1_11target_archE908ELNS1_3gpuE7ELNS1_3repE0EEENS1_36merge_oddeven_config_static_selectorELNS0_4arch9wavefront6targetE1EEEvSF_,"axG",@progbits,_ZN7rocprim17ROCPRIM_400000_NS6detail17trampoline_kernelINS0_14default_configENS1_38merge_sort_block_merge_config_selectorIiNS0_10empty_typeEEEZZNS1_27merge_sort_block_merge_implIS3_PiPS5_jNS1_19radix_merge_compareILb0ELb1EiNS0_19identity_decomposerEEEEE10hipError_tT0_T1_T2_jT3_P12ihipStream_tbPNSt15iterator_traitsISE_E10value_typeEPNSK_ISF_E10value_typeEPSG_NS1_7vsmem_tEENKUlT_SE_SF_SG_E_clIS8_S8_S9_S9_EESD_ST_SE_SF_SG_EUlST_E1_NS1_11comp_targetILNS1_3genE3ELNS1_11target_archE908ELNS1_3gpuE7ELNS1_3repE0EEENS1_36merge_oddeven_config_static_selectorELNS0_4arch9wavefront6targetE1EEEvSF_,comdat
.Lfunc_end628:
	.size	_ZN7rocprim17ROCPRIM_400000_NS6detail17trampoline_kernelINS0_14default_configENS1_38merge_sort_block_merge_config_selectorIiNS0_10empty_typeEEEZZNS1_27merge_sort_block_merge_implIS3_PiPS5_jNS1_19radix_merge_compareILb0ELb1EiNS0_19identity_decomposerEEEEE10hipError_tT0_T1_T2_jT3_P12ihipStream_tbPNSt15iterator_traitsISE_E10value_typeEPNSK_ISF_E10value_typeEPSG_NS1_7vsmem_tEENKUlT_SE_SF_SG_E_clIS8_S8_S9_S9_EESD_ST_SE_SF_SG_EUlST_E1_NS1_11comp_targetILNS1_3genE3ELNS1_11target_archE908ELNS1_3gpuE7ELNS1_3repE0EEENS1_36merge_oddeven_config_static_selectorELNS0_4arch9wavefront6targetE1EEEvSF_, .Lfunc_end628-_ZN7rocprim17ROCPRIM_400000_NS6detail17trampoline_kernelINS0_14default_configENS1_38merge_sort_block_merge_config_selectorIiNS0_10empty_typeEEEZZNS1_27merge_sort_block_merge_implIS3_PiPS5_jNS1_19radix_merge_compareILb0ELb1EiNS0_19identity_decomposerEEEEE10hipError_tT0_T1_T2_jT3_P12ihipStream_tbPNSt15iterator_traitsISE_E10value_typeEPNSK_ISF_E10value_typeEPSG_NS1_7vsmem_tEENKUlT_SE_SF_SG_E_clIS8_S8_S9_S9_EESD_ST_SE_SF_SG_EUlST_E1_NS1_11comp_targetILNS1_3genE3ELNS1_11target_archE908ELNS1_3gpuE7ELNS1_3repE0EEENS1_36merge_oddeven_config_static_selectorELNS0_4arch9wavefront6targetE1EEEvSF_
                                        ; -- End function
	.section	.AMDGPU.csdata,"",@progbits
; Kernel info:
; codeLenInByte = 0
; NumSgprs: 4
; NumVgprs: 0
; NumAgprs: 0
; TotalNumVgprs: 0
; ScratchSize: 0
; MemoryBound: 0
; FloatMode: 240
; IeeeMode: 1
; LDSByteSize: 0 bytes/workgroup (compile time only)
; SGPRBlocks: 0
; VGPRBlocks: 0
; NumSGPRsForWavesPerEU: 4
; NumVGPRsForWavesPerEU: 1
; AccumOffset: 4
; Occupancy: 8
; WaveLimiterHint : 0
; COMPUTE_PGM_RSRC2:SCRATCH_EN: 0
; COMPUTE_PGM_RSRC2:USER_SGPR: 6
; COMPUTE_PGM_RSRC2:TRAP_HANDLER: 0
; COMPUTE_PGM_RSRC2:TGID_X_EN: 1
; COMPUTE_PGM_RSRC2:TGID_Y_EN: 0
; COMPUTE_PGM_RSRC2:TGID_Z_EN: 0
; COMPUTE_PGM_RSRC2:TIDIG_COMP_CNT: 0
; COMPUTE_PGM_RSRC3_GFX90A:ACCUM_OFFSET: 0
; COMPUTE_PGM_RSRC3_GFX90A:TG_SPLIT: 0
	.section	.text._ZN7rocprim17ROCPRIM_400000_NS6detail17trampoline_kernelINS0_14default_configENS1_38merge_sort_block_merge_config_selectorIiNS0_10empty_typeEEEZZNS1_27merge_sort_block_merge_implIS3_PiPS5_jNS1_19radix_merge_compareILb0ELb1EiNS0_19identity_decomposerEEEEE10hipError_tT0_T1_T2_jT3_P12ihipStream_tbPNSt15iterator_traitsISE_E10value_typeEPNSK_ISF_E10value_typeEPSG_NS1_7vsmem_tEENKUlT_SE_SF_SG_E_clIS8_S8_S9_S9_EESD_ST_SE_SF_SG_EUlST_E1_NS1_11comp_targetILNS1_3genE2ELNS1_11target_archE906ELNS1_3gpuE6ELNS1_3repE0EEENS1_36merge_oddeven_config_static_selectorELNS0_4arch9wavefront6targetE1EEEvSF_,"axG",@progbits,_ZN7rocprim17ROCPRIM_400000_NS6detail17trampoline_kernelINS0_14default_configENS1_38merge_sort_block_merge_config_selectorIiNS0_10empty_typeEEEZZNS1_27merge_sort_block_merge_implIS3_PiPS5_jNS1_19radix_merge_compareILb0ELb1EiNS0_19identity_decomposerEEEEE10hipError_tT0_T1_T2_jT3_P12ihipStream_tbPNSt15iterator_traitsISE_E10value_typeEPNSK_ISF_E10value_typeEPSG_NS1_7vsmem_tEENKUlT_SE_SF_SG_E_clIS8_S8_S9_S9_EESD_ST_SE_SF_SG_EUlST_E1_NS1_11comp_targetILNS1_3genE2ELNS1_11target_archE906ELNS1_3gpuE6ELNS1_3repE0EEENS1_36merge_oddeven_config_static_selectorELNS0_4arch9wavefront6targetE1EEEvSF_,comdat
	.protected	_ZN7rocprim17ROCPRIM_400000_NS6detail17trampoline_kernelINS0_14default_configENS1_38merge_sort_block_merge_config_selectorIiNS0_10empty_typeEEEZZNS1_27merge_sort_block_merge_implIS3_PiPS5_jNS1_19radix_merge_compareILb0ELb1EiNS0_19identity_decomposerEEEEE10hipError_tT0_T1_T2_jT3_P12ihipStream_tbPNSt15iterator_traitsISE_E10value_typeEPNSK_ISF_E10value_typeEPSG_NS1_7vsmem_tEENKUlT_SE_SF_SG_E_clIS8_S8_S9_S9_EESD_ST_SE_SF_SG_EUlST_E1_NS1_11comp_targetILNS1_3genE2ELNS1_11target_archE906ELNS1_3gpuE6ELNS1_3repE0EEENS1_36merge_oddeven_config_static_selectorELNS0_4arch9wavefront6targetE1EEEvSF_ ; -- Begin function _ZN7rocprim17ROCPRIM_400000_NS6detail17trampoline_kernelINS0_14default_configENS1_38merge_sort_block_merge_config_selectorIiNS0_10empty_typeEEEZZNS1_27merge_sort_block_merge_implIS3_PiPS5_jNS1_19radix_merge_compareILb0ELb1EiNS0_19identity_decomposerEEEEE10hipError_tT0_T1_T2_jT3_P12ihipStream_tbPNSt15iterator_traitsISE_E10value_typeEPNSK_ISF_E10value_typeEPSG_NS1_7vsmem_tEENKUlT_SE_SF_SG_E_clIS8_S8_S9_S9_EESD_ST_SE_SF_SG_EUlST_E1_NS1_11comp_targetILNS1_3genE2ELNS1_11target_archE906ELNS1_3gpuE6ELNS1_3repE0EEENS1_36merge_oddeven_config_static_selectorELNS0_4arch9wavefront6targetE1EEEvSF_
	.globl	_ZN7rocprim17ROCPRIM_400000_NS6detail17trampoline_kernelINS0_14default_configENS1_38merge_sort_block_merge_config_selectorIiNS0_10empty_typeEEEZZNS1_27merge_sort_block_merge_implIS3_PiPS5_jNS1_19radix_merge_compareILb0ELb1EiNS0_19identity_decomposerEEEEE10hipError_tT0_T1_T2_jT3_P12ihipStream_tbPNSt15iterator_traitsISE_E10value_typeEPNSK_ISF_E10value_typeEPSG_NS1_7vsmem_tEENKUlT_SE_SF_SG_E_clIS8_S8_S9_S9_EESD_ST_SE_SF_SG_EUlST_E1_NS1_11comp_targetILNS1_3genE2ELNS1_11target_archE906ELNS1_3gpuE6ELNS1_3repE0EEENS1_36merge_oddeven_config_static_selectorELNS0_4arch9wavefront6targetE1EEEvSF_
	.p2align	8
	.type	_ZN7rocprim17ROCPRIM_400000_NS6detail17trampoline_kernelINS0_14default_configENS1_38merge_sort_block_merge_config_selectorIiNS0_10empty_typeEEEZZNS1_27merge_sort_block_merge_implIS3_PiPS5_jNS1_19radix_merge_compareILb0ELb1EiNS0_19identity_decomposerEEEEE10hipError_tT0_T1_T2_jT3_P12ihipStream_tbPNSt15iterator_traitsISE_E10value_typeEPNSK_ISF_E10value_typeEPSG_NS1_7vsmem_tEENKUlT_SE_SF_SG_E_clIS8_S8_S9_S9_EESD_ST_SE_SF_SG_EUlST_E1_NS1_11comp_targetILNS1_3genE2ELNS1_11target_archE906ELNS1_3gpuE6ELNS1_3repE0EEENS1_36merge_oddeven_config_static_selectorELNS0_4arch9wavefront6targetE1EEEvSF_,@function
_ZN7rocprim17ROCPRIM_400000_NS6detail17trampoline_kernelINS0_14default_configENS1_38merge_sort_block_merge_config_selectorIiNS0_10empty_typeEEEZZNS1_27merge_sort_block_merge_implIS3_PiPS5_jNS1_19radix_merge_compareILb0ELb1EiNS0_19identity_decomposerEEEEE10hipError_tT0_T1_T2_jT3_P12ihipStream_tbPNSt15iterator_traitsISE_E10value_typeEPNSK_ISF_E10value_typeEPSG_NS1_7vsmem_tEENKUlT_SE_SF_SG_E_clIS8_S8_S9_S9_EESD_ST_SE_SF_SG_EUlST_E1_NS1_11comp_targetILNS1_3genE2ELNS1_11target_archE906ELNS1_3gpuE6ELNS1_3repE0EEENS1_36merge_oddeven_config_static_selectorELNS0_4arch9wavefront6targetE1EEEvSF_: ; @_ZN7rocprim17ROCPRIM_400000_NS6detail17trampoline_kernelINS0_14default_configENS1_38merge_sort_block_merge_config_selectorIiNS0_10empty_typeEEEZZNS1_27merge_sort_block_merge_implIS3_PiPS5_jNS1_19radix_merge_compareILb0ELb1EiNS0_19identity_decomposerEEEEE10hipError_tT0_T1_T2_jT3_P12ihipStream_tbPNSt15iterator_traitsISE_E10value_typeEPNSK_ISF_E10value_typeEPSG_NS1_7vsmem_tEENKUlT_SE_SF_SG_E_clIS8_S8_S9_S9_EESD_ST_SE_SF_SG_EUlST_E1_NS1_11comp_targetILNS1_3genE2ELNS1_11target_archE906ELNS1_3gpuE6ELNS1_3repE0EEENS1_36merge_oddeven_config_static_selectorELNS0_4arch9wavefront6targetE1EEEvSF_
; %bb.0:
	.section	.rodata,"a",@progbits
	.p2align	6, 0x0
	.amdhsa_kernel _ZN7rocprim17ROCPRIM_400000_NS6detail17trampoline_kernelINS0_14default_configENS1_38merge_sort_block_merge_config_selectorIiNS0_10empty_typeEEEZZNS1_27merge_sort_block_merge_implIS3_PiPS5_jNS1_19radix_merge_compareILb0ELb1EiNS0_19identity_decomposerEEEEE10hipError_tT0_T1_T2_jT3_P12ihipStream_tbPNSt15iterator_traitsISE_E10value_typeEPNSK_ISF_E10value_typeEPSG_NS1_7vsmem_tEENKUlT_SE_SF_SG_E_clIS8_S8_S9_S9_EESD_ST_SE_SF_SG_EUlST_E1_NS1_11comp_targetILNS1_3genE2ELNS1_11target_archE906ELNS1_3gpuE6ELNS1_3repE0EEENS1_36merge_oddeven_config_static_selectorELNS0_4arch9wavefront6targetE1EEEvSF_
		.amdhsa_group_segment_fixed_size 0
		.amdhsa_private_segment_fixed_size 0
		.amdhsa_kernarg_size 48
		.amdhsa_user_sgpr_count 6
		.amdhsa_user_sgpr_private_segment_buffer 1
		.amdhsa_user_sgpr_dispatch_ptr 0
		.amdhsa_user_sgpr_queue_ptr 0
		.amdhsa_user_sgpr_kernarg_segment_ptr 1
		.amdhsa_user_sgpr_dispatch_id 0
		.amdhsa_user_sgpr_flat_scratch_init 0
		.amdhsa_user_sgpr_kernarg_preload_length 0
		.amdhsa_user_sgpr_kernarg_preload_offset 0
		.amdhsa_user_sgpr_private_segment_size 0
		.amdhsa_uses_dynamic_stack 0
		.amdhsa_system_sgpr_private_segment_wavefront_offset 0
		.amdhsa_system_sgpr_workgroup_id_x 1
		.amdhsa_system_sgpr_workgroup_id_y 0
		.amdhsa_system_sgpr_workgroup_id_z 0
		.amdhsa_system_sgpr_workgroup_info 0
		.amdhsa_system_vgpr_workitem_id 0
		.amdhsa_next_free_vgpr 1
		.amdhsa_next_free_sgpr 0
		.amdhsa_accum_offset 4
		.amdhsa_reserve_vcc 0
		.amdhsa_reserve_flat_scratch 0
		.amdhsa_float_round_mode_32 0
		.amdhsa_float_round_mode_16_64 0
		.amdhsa_float_denorm_mode_32 3
		.amdhsa_float_denorm_mode_16_64 3
		.amdhsa_dx10_clamp 1
		.amdhsa_ieee_mode 1
		.amdhsa_fp16_overflow 0
		.amdhsa_tg_split 0
		.amdhsa_exception_fp_ieee_invalid_op 0
		.amdhsa_exception_fp_denorm_src 0
		.amdhsa_exception_fp_ieee_div_zero 0
		.amdhsa_exception_fp_ieee_overflow 0
		.amdhsa_exception_fp_ieee_underflow 0
		.amdhsa_exception_fp_ieee_inexact 0
		.amdhsa_exception_int_div_zero 0
	.end_amdhsa_kernel
	.section	.text._ZN7rocprim17ROCPRIM_400000_NS6detail17trampoline_kernelINS0_14default_configENS1_38merge_sort_block_merge_config_selectorIiNS0_10empty_typeEEEZZNS1_27merge_sort_block_merge_implIS3_PiPS5_jNS1_19radix_merge_compareILb0ELb1EiNS0_19identity_decomposerEEEEE10hipError_tT0_T1_T2_jT3_P12ihipStream_tbPNSt15iterator_traitsISE_E10value_typeEPNSK_ISF_E10value_typeEPSG_NS1_7vsmem_tEENKUlT_SE_SF_SG_E_clIS8_S8_S9_S9_EESD_ST_SE_SF_SG_EUlST_E1_NS1_11comp_targetILNS1_3genE2ELNS1_11target_archE906ELNS1_3gpuE6ELNS1_3repE0EEENS1_36merge_oddeven_config_static_selectorELNS0_4arch9wavefront6targetE1EEEvSF_,"axG",@progbits,_ZN7rocprim17ROCPRIM_400000_NS6detail17trampoline_kernelINS0_14default_configENS1_38merge_sort_block_merge_config_selectorIiNS0_10empty_typeEEEZZNS1_27merge_sort_block_merge_implIS3_PiPS5_jNS1_19radix_merge_compareILb0ELb1EiNS0_19identity_decomposerEEEEE10hipError_tT0_T1_T2_jT3_P12ihipStream_tbPNSt15iterator_traitsISE_E10value_typeEPNSK_ISF_E10value_typeEPSG_NS1_7vsmem_tEENKUlT_SE_SF_SG_E_clIS8_S8_S9_S9_EESD_ST_SE_SF_SG_EUlST_E1_NS1_11comp_targetILNS1_3genE2ELNS1_11target_archE906ELNS1_3gpuE6ELNS1_3repE0EEENS1_36merge_oddeven_config_static_selectorELNS0_4arch9wavefront6targetE1EEEvSF_,comdat
.Lfunc_end629:
	.size	_ZN7rocprim17ROCPRIM_400000_NS6detail17trampoline_kernelINS0_14default_configENS1_38merge_sort_block_merge_config_selectorIiNS0_10empty_typeEEEZZNS1_27merge_sort_block_merge_implIS3_PiPS5_jNS1_19radix_merge_compareILb0ELb1EiNS0_19identity_decomposerEEEEE10hipError_tT0_T1_T2_jT3_P12ihipStream_tbPNSt15iterator_traitsISE_E10value_typeEPNSK_ISF_E10value_typeEPSG_NS1_7vsmem_tEENKUlT_SE_SF_SG_E_clIS8_S8_S9_S9_EESD_ST_SE_SF_SG_EUlST_E1_NS1_11comp_targetILNS1_3genE2ELNS1_11target_archE906ELNS1_3gpuE6ELNS1_3repE0EEENS1_36merge_oddeven_config_static_selectorELNS0_4arch9wavefront6targetE1EEEvSF_, .Lfunc_end629-_ZN7rocprim17ROCPRIM_400000_NS6detail17trampoline_kernelINS0_14default_configENS1_38merge_sort_block_merge_config_selectorIiNS0_10empty_typeEEEZZNS1_27merge_sort_block_merge_implIS3_PiPS5_jNS1_19radix_merge_compareILb0ELb1EiNS0_19identity_decomposerEEEEE10hipError_tT0_T1_T2_jT3_P12ihipStream_tbPNSt15iterator_traitsISE_E10value_typeEPNSK_ISF_E10value_typeEPSG_NS1_7vsmem_tEENKUlT_SE_SF_SG_E_clIS8_S8_S9_S9_EESD_ST_SE_SF_SG_EUlST_E1_NS1_11comp_targetILNS1_3genE2ELNS1_11target_archE906ELNS1_3gpuE6ELNS1_3repE0EEENS1_36merge_oddeven_config_static_selectorELNS0_4arch9wavefront6targetE1EEEvSF_
                                        ; -- End function
	.section	.AMDGPU.csdata,"",@progbits
; Kernel info:
; codeLenInByte = 0
; NumSgprs: 4
; NumVgprs: 0
; NumAgprs: 0
; TotalNumVgprs: 0
; ScratchSize: 0
; MemoryBound: 0
; FloatMode: 240
; IeeeMode: 1
; LDSByteSize: 0 bytes/workgroup (compile time only)
; SGPRBlocks: 0
; VGPRBlocks: 0
; NumSGPRsForWavesPerEU: 4
; NumVGPRsForWavesPerEU: 1
; AccumOffset: 4
; Occupancy: 8
; WaveLimiterHint : 0
; COMPUTE_PGM_RSRC2:SCRATCH_EN: 0
; COMPUTE_PGM_RSRC2:USER_SGPR: 6
; COMPUTE_PGM_RSRC2:TRAP_HANDLER: 0
; COMPUTE_PGM_RSRC2:TGID_X_EN: 1
; COMPUTE_PGM_RSRC2:TGID_Y_EN: 0
; COMPUTE_PGM_RSRC2:TGID_Z_EN: 0
; COMPUTE_PGM_RSRC2:TIDIG_COMP_CNT: 0
; COMPUTE_PGM_RSRC3_GFX90A:ACCUM_OFFSET: 0
; COMPUTE_PGM_RSRC3_GFX90A:TG_SPLIT: 0
	.section	.text._ZN7rocprim17ROCPRIM_400000_NS6detail17trampoline_kernelINS0_14default_configENS1_38merge_sort_block_merge_config_selectorIiNS0_10empty_typeEEEZZNS1_27merge_sort_block_merge_implIS3_PiPS5_jNS1_19radix_merge_compareILb0ELb1EiNS0_19identity_decomposerEEEEE10hipError_tT0_T1_T2_jT3_P12ihipStream_tbPNSt15iterator_traitsISE_E10value_typeEPNSK_ISF_E10value_typeEPSG_NS1_7vsmem_tEENKUlT_SE_SF_SG_E_clIS8_S8_S9_S9_EESD_ST_SE_SF_SG_EUlST_E1_NS1_11comp_targetILNS1_3genE9ELNS1_11target_archE1100ELNS1_3gpuE3ELNS1_3repE0EEENS1_36merge_oddeven_config_static_selectorELNS0_4arch9wavefront6targetE1EEEvSF_,"axG",@progbits,_ZN7rocprim17ROCPRIM_400000_NS6detail17trampoline_kernelINS0_14default_configENS1_38merge_sort_block_merge_config_selectorIiNS0_10empty_typeEEEZZNS1_27merge_sort_block_merge_implIS3_PiPS5_jNS1_19radix_merge_compareILb0ELb1EiNS0_19identity_decomposerEEEEE10hipError_tT0_T1_T2_jT3_P12ihipStream_tbPNSt15iterator_traitsISE_E10value_typeEPNSK_ISF_E10value_typeEPSG_NS1_7vsmem_tEENKUlT_SE_SF_SG_E_clIS8_S8_S9_S9_EESD_ST_SE_SF_SG_EUlST_E1_NS1_11comp_targetILNS1_3genE9ELNS1_11target_archE1100ELNS1_3gpuE3ELNS1_3repE0EEENS1_36merge_oddeven_config_static_selectorELNS0_4arch9wavefront6targetE1EEEvSF_,comdat
	.protected	_ZN7rocprim17ROCPRIM_400000_NS6detail17trampoline_kernelINS0_14default_configENS1_38merge_sort_block_merge_config_selectorIiNS0_10empty_typeEEEZZNS1_27merge_sort_block_merge_implIS3_PiPS5_jNS1_19radix_merge_compareILb0ELb1EiNS0_19identity_decomposerEEEEE10hipError_tT0_T1_T2_jT3_P12ihipStream_tbPNSt15iterator_traitsISE_E10value_typeEPNSK_ISF_E10value_typeEPSG_NS1_7vsmem_tEENKUlT_SE_SF_SG_E_clIS8_S8_S9_S9_EESD_ST_SE_SF_SG_EUlST_E1_NS1_11comp_targetILNS1_3genE9ELNS1_11target_archE1100ELNS1_3gpuE3ELNS1_3repE0EEENS1_36merge_oddeven_config_static_selectorELNS0_4arch9wavefront6targetE1EEEvSF_ ; -- Begin function _ZN7rocprim17ROCPRIM_400000_NS6detail17trampoline_kernelINS0_14default_configENS1_38merge_sort_block_merge_config_selectorIiNS0_10empty_typeEEEZZNS1_27merge_sort_block_merge_implIS3_PiPS5_jNS1_19radix_merge_compareILb0ELb1EiNS0_19identity_decomposerEEEEE10hipError_tT0_T1_T2_jT3_P12ihipStream_tbPNSt15iterator_traitsISE_E10value_typeEPNSK_ISF_E10value_typeEPSG_NS1_7vsmem_tEENKUlT_SE_SF_SG_E_clIS8_S8_S9_S9_EESD_ST_SE_SF_SG_EUlST_E1_NS1_11comp_targetILNS1_3genE9ELNS1_11target_archE1100ELNS1_3gpuE3ELNS1_3repE0EEENS1_36merge_oddeven_config_static_selectorELNS0_4arch9wavefront6targetE1EEEvSF_
	.globl	_ZN7rocprim17ROCPRIM_400000_NS6detail17trampoline_kernelINS0_14default_configENS1_38merge_sort_block_merge_config_selectorIiNS0_10empty_typeEEEZZNS1_27merge_sort_block_merge_implIS3_PiPS5_jNS1_19radix_merge_compareILb0ELb1EiNS0_19identity_decomposerEEEEE10hipError_tT0_T1_T2_jT3_P12ihipStream_tbPNSt15iterator_traitsISE_E10value_typeEPNSK_ISF_E10value_typeEPSG_NS1_7vsmem_tEENKUlT_SE_SF_SG_E_clIS8_S8_S9_S9_EESD_ST_SE_SF_SG_EUlST_E1_NS1_11comp_targetILNS1_3genE9ELNS1_11target_archE1100ELNS1_3gpuE3ELNS1_3repE0EEENS1_36merge_oddeven_config_static_selectorELNS0_4arch9wavefront6targetE1EEEvSF_
	.p2align	8
	.type	_ZN7rocprim17ROCPRIM_400000_NS6detail17trampoline_kernelINS0_14default_configENS1_38merge_sort_block_merge_config_selectorIiNS0_10empty_typeEEEZZNS1_27merge_sort_block_merge_implIS3_PiPS5_jNS1_19radix_merge_compareILb0ELb1EiNS0_19identity_decomposerEEEEE10hipError_tT0_T1_T2_jT3_P12ihipStream_tbPNSt15iterator_traitsISE_E10value_typeEPNSK_ISF_E10value_typeEPSG_NS1_7vsmem_tEENKUlT_SE_SF_SG_E_clIS8_S8_S9_S9_EESD_ST_SE_SF_SG_EUlST_E1_NS1_11comp_targetILNS1_3genE9ELNS1_11target_archE1100ELNS1_3gpuE3ELNS1_3repE0EEENS1_36merge_oddeven_config_static_selectorELNS0_4arch9wavefront6targetE1EEEvSF_,@function
_ZN7rocprim17ROCPRIM_400000_NS6detail17trampoline_kernelINS0_14default_configENS1_38merge_sort_block_merge_config_selectorIiNS0_10empty_typeEEEZZNS1_27merge_sort_block_merge_implIS3_PiPS5_jNS1_19radix_merge_compareILb0ELb1EiNS0_19identity_decomposerEEEEE10hipError_tT0_T1_T2_jT3_P12ihipStream_tbPNSt15iterator_traitsISE_E10value_typeEPNSK_ISF_E10value_typeEPSG_NS1_7vsmem_tEENKUlT_SE_SF_SG_E_clIS8_S8_S9_S9_EESD_ST_SE_SF_SG_EUlST_E1_NS1_11comp_targetILNS1_3genE9ELNS1_11target_archE1100ELNS1_3gpuE3ELNS1_3repE0EEENS1_36merge_oddeven_config_static_selectorELNS0_4arch9wavefront6targetE1EEEvSF_: ; @_ZN7rocprim17ROCPRIM_400000_NS6detail17trampoline_kernelINS0_14default_configENS1_38merge_sort_block_merge_config_selectorIiNS0_10empty_typeEEEZZNS1_27merge_sort_block_merge_implIS3_PiPS5_jNS1_19radix_merge_compareILb0ELb1EiNS0_19identity_decomposerEEEEE10hipError_tT0_T1_T2_jT3_P12ihipStream_tbPNSt15iterator_traitsISE_E10value_typeEPNSK_ISF_E10value_typeEPSG_NS1_7vsmem_tEENKUlT_SE_SF_SG_E_clIS8_S8_S9_S9_EESD_ST_SE_SF_SG_EUlST_E1_NS1_11comp_targetILNS1_3genE9ELNS1_11target_archE1100ELNS1_3gpuE3ELNS1_3repE0EEENS1_36merge_oddeven_config_static_selectorELNS0_4arch9wavefront6targetE1EEEvSF_
; %bb.0:
	.section	.rodata,"a",@progbits
	.p2align	6, 0x0
	.amdhsa_kernel _ZN7rocprim17ROCPRIM_400000_NS6detail17trampoline_kernelINS0_14default_configENS1_38merge_sort_block_merge_config_selectorIiNS0_10empty_typeEEEZZNS1_27merge_sort_block_merge_implIS3_PiPS5_jNS1_19radix_merge_compareILb0ELb1EiNS0_19identity_decomposerEEEEE10hipError_tT0_T1_T2_jT3_P12ihipStream_tbPNSt15iterator_traitsISE_E10value_typeEPNSK_ISF_E10value_typeEPSG_NS1_7vsmem_tEENKUlT_SE_SF_SG_E_clIS8_S8_S9_S9_EESD_ST_SE_SF_SG_EUlST_E1_NS1_11comp_targetILNS1_3genE9ELNS1_11target_archE1100ELNS1_3gpuE3ELNS1_3repE0EEENS1_36merge_oddeven_config_static_selectorELNS0_4arch9wavefront6targetE1EEEvSF_
		.amdhsa_group_segment_fixed_size 0
		.amdhsa_private_segment_fixed_size 0
		.amdhsa_kernarg_size 48
		.amdhsa_user_sgpr_count 6
		.amdhsa_user_sgpr_private_segment_buffer 1
		.amdhsa_user_sgpr_dispatch_ptr 0
		.amdhsa_user_sgpr_queue_ptr 0
		.amdhsa_user_sgpr_kernarg_segment_ptr 1
		.amdhsa_user_sgpr_dispatch_id 0
		.amdhsa_user_sgpr_flat_scratch_init 0
		.amdhsa_user_sgpr_kernarg_preload_length 0
		.amdhsa_user_sgpr_kernarg_preload_offset 0
		.amdhsa_user_sgpr_private_segment_size 0
		.amdhsa_uses_dynamic_stack 0
		.amdhsa_system_sgpr_private_segment_wavefront_offset 0
		.amdhsa_system_sgpr_workgroup_id_x 1
		.amdhsa_system_sgpr_workgroup_id_y 0
		.amdhsa_system_sgpr_workgroup_id_z 0
		.amdhsa_system_sgpr_workgroup_info 0
		.amdhsa_system_vgpr_workitem_id 0
		.amdhsa_next_free_vgpr 1
		.amdhsa_next_free_sgpr 0
		.amdhsa_accum_offset 4
		.amdhsa_reserve_vcc 0
		.amdhsa_reserve_flat_scratch 0
		.amdhsa_float_round_mode_32 0
		.amdhsa_float_round_mode_16_64 0
		.amdhsa_float_denorm_mode_32 3
		.amdhsa_float_denorm_mode_16_64 3
		.amdhsa_dx10_clamp 1
		.amdhsa_ieee_mode 1
		.amdhsa_fp16_overflow 0
		.amdhsa_tg_split 0
		.amdhsa_exception_fp_ieee_invalid_op 0
		.amdhsa_exception_fp_denorm_src 0
		.amdhsa_exception_fp_ieee_div_zero 0
		.amdhsa_exception_fp_ieee_overflow 0
		.amdhsa_exception_fp_ieee_underflow 0
		.amdhsa_exception_fp_ieee_inexact 0
		.amdhsa_exception_int_div_zero 0
	.end_amdhsa_kernel
	.section	.text._ZN7rocprim17ROCPRIM_400000_NS6detail17trampoline_kernelINS0_14default_configENS1_38merge_sort_block_merge_config_selectorIiNS0_10empty_typeEEEZZNS1_27merge_sort_block_merge_implIS3_PiPS5_jNS1_19radix_merge_compareILb0ELb1EiNS0_19identity_decomposerEEEEE10hipError_tT0_T1_T2_jT3_P12ihipStream_tbPNSt15iterator_traitsISE_E10value_typeEPNSK_ISF_E10value_typeEPSG_NS1_7vsmem_tEENKUlT_SE_SF_SG_E_clIS8_S8_S9_S9_EESD_ST_SE_SF_SG_EUlST_E1_NS1_11comp_targetILNS1_3genE9ELNS1_11target_archE1100ELNS1_3gpuE3ELNS1_3repE0EEENS1_36merge_oddeven_config_static_selectorELNS0_4arch9wavefront6targetE1EEEvSF_,"axG",@progbits,_ZN7rocprim17ROCPRIM_400000_NS6detail17trampoline_kernelINS0_14default_configENS1_38merge_sort_block_merge_config_selectorIiNS0_10empty_typeEEEZZNS1_27merge_sort_block_merge_implIS3_PiPS5_jNS1_19radix_merge_compareILb0ELb1EiNS0_19identity_decomposerEEEEE10hipError_tT0_T1_T2_jT3_P12ihipStream_tbPNSt15iterator_traitsISE_E10value_typeEPNSK_ISF_E10value_typeEPSG_NS1_7vsmem_tEENKUlT_SE_SF_SG_E_clIS8_S8_S9_S9_EESD_ST_SE_SF_SG_EUlST_E1_NS1_11comp_targetILNS1_3genE9ELNS1_11target_archE1100ELNS1_3gpuE3ELNS1_3repE0EEENS1_36merge_oddeven_config_static_selectorELNS0_4arch9wavefront6targetE1EEEvSF_,comdat
.Lfunc_end630:
	.size	_ZN7rocprim17ROCPRIM_400000_NS6detail17trampoline_kernelINS0_14default_configENS1_38merge_sort_block_merge_config_selectorIiNS0_10empty_typeEEEZZNS1_27merge_sort_block_merge_implIS3_PiPS5_jNS1_19radix_merge_compareILb0ELb1EiNS0_19identity_decomposerEEEEE10hipError_tT0_T1_T2_jT3_P12ihipStream_tbPNSt15iterator_traitsISE_E10value_typeEPNSK_ISF_E10value_typeEPSG_NS1_7vsmem_tEENKUlT_SE_SF_SG_E_clIS8_S8_S9_S9_EESD_ST_SE_SF_SG_EUlST_E1_NS1_11comp_targetILNS1_3genE9ELNS1_11target_archE1100ELNS1_3gpuE3ELNS1_3repE0EEENS1_36merge_oddeven_config_static_selectorELNS0_4arch9wavefront6targetE1EEEvSF_, .Lfunc_end630-_ZN7rocprim17ROCPRIM_400000_NS6detail17trampoline_kernelINS0_14default_configENS1_38merge_sort_block_merge_config_selectorIiNS0_10empty_typeEEEZZNS1_27merge_sort_block_merge_implIS3_PiPS5_jNS1_19radix_merge_compareILb0ELb1EiNS0_19identity_decomposerEEEEE10hipError_tT0_T1_T2_jT3_P12ihipStream_tbPNSt15iterator_traitsISE_E10value_typeEPNSK_ISF_E10value_typeEPSG_NS1_7vsmem_tEENKUlT_SE_SF_SG_E_clIS8_S8_S9_S9_EESD_ST_SE_SF_SG_EUlST_E1_NS1_11comp_targetILNS1_3genE9ELNS1_11target_archE1100ELNS1_3gpuE3ELNS1_3repE0EEENS1_36merge_oddeven_config_static_selectorELNS0_4arch9wavefront6targetE1EEEvSF_
                                        ; -- End function
	.section	.AMDGPU.csdata,"",@progbits
; Kernel info:
; codeLenInByte = 0
; NumSgprs: 4
; NumVgprs: 0
; NumAgprs: 0
; TotalNumVgprs: 0
; ScratchSize: 0
; MemoryBound: 0
; FloatMode: 240
; IeeeMode: 1
; LDSByteSize: 0 bytes/workgroup (compile time only)
; SGPRBlocks: 0
; VGPRBlocks: 0
; NumSGPRsForWavesPerEU: 4
; NumVGPRsForWavesPerEU: 1
; AccumOffset: 4
; Occupancy: 8
; WaveLimiterHint : 0
; COMPUTE_PGM_RSRC2:SCRATCH_EN: 0
; COMPUTE_PGM_RSRC2:USER_SGPR: 6
; COMPUTE_PGM_RSRC2:TRAP_HANDLER: 0
; COMPUTE_PGM_RSRC2:TGID_X_EN: 1
; COMPUTE_PGM_RSRC2:TGID_Y_EN: 0
; COMPUTE_PGM_RSRC2:TGID_Z_EN: 0
; COMPUTE_PGM_RSRC2:TIDIG_COMP_CNT: 0
; COMPUTE_PGM_RSRC3_GFX90A:ACCUM_OFFSET: 0
; COMPUTE_PGM_RSRC3_GFX90A:TG_SPLIT: 0
	.section	.text._ZN7rocprim17ROCPRIM_400000_NS6detail17trampoline_kernelINS0_14default_configENS1_38merge_sort_block_merge_config_selectorIiNS0_10empty_typeEEEZZNS1_27merge_sort_block_merge_implIS3_PiPS5_jNS1_19radix_merge_compareILb0ELb1EiNS0_19identity_decomposerEEEEE10hipError_tT0_T1_T2_jT3_P12ihipStream_tbPNSt15iterator_traitsISE_E10value_typeEPNSK_ISF_E10value_typeEPSG_NS1_7vsmem_tEENKUlT_SE_SF_SG_E_clIS8_S8_S9_S9_EESD_ST_SE_SF_SG_EUlST_E1_NS1_11comp_targetILNS1_3genE8ELNS1_11target_archE1030ELNS1_3gpuE2ELNS1_3repE0EEENS1_36merge_oddeven_config_static_selectorELNS0_4arch9wavefront6targetE1EEEvSF_,"axG",@progbits,_ZN7rocprim17ROCPRIM_400000_NS6detail17trampoline_kernelINS0_14default_configENS1_38merge_sort_block_merge_config_selectorIiNS0_10empty_typeEEEZZNS1_27merge_sort_block_merge_implIS3_PiPS5_jNS1_19radix_merge_compareILb0ELb1EiNS0_19identity_decomposerEEEEE10hipError_tT0_T1_T2_jT3_P12ihipStream_tbPNSt15iterator_traitsISE_E10value_typeEPNSK_ISF_E10value_typeEPSG_NS1_7vsmem_tEENKUlT_SE_SF_SG_E_clIS8_S8_S9_S9_EESD_ST_SE_SF_SG_EUlST_E1_NS1_11comp_targetILNS1_3genE8ELNS1_11target_archE1030ELNS1_3gpuE2ELNS1_3repE0EEENS1_36merge_oddeven_config_static_selectorELNS0_4arch9wavefront6targetE1EEEvSF_,comdat
	.protected	_ZN7rocprim17ROCPRIM_400000_NS6detail17trampoline_kernelINS0_14default_configENS1_38merge_sort_block_merge_config_selectorIiNS0_10empty_typeEEEZZNS1_27merge_sort_block_merge_implIS3_PiPS5_jNS1_19radix_merge_compareILb0ELb1EiNS0_19identity_decomposerEEEEE10hipError_tT0_T1_T2_jT3_P12ihipStream_tbPNSt15iterator_traitsISE_E10value_typeEPNSK_ISF_E10value_typeEPSG_NS1_7vsmem_tEENKUlT_SE_SF_SG_E_clIS8_S8_S9_S9_EESD_ST_SE_SF_SG_EUlST_E1_NS1_11comp_targetILNS1_3genE8ELNS1_11target_archE1030ELNS1_3gpuE2ELNS1_3repE0EEENS1_36merge_oddeven_config_static_selectorELNS0_4arch9wavefront6targetE1EEEvSF_ ; -- Begin function _ZN7rocprim17ROCPRIM_400000_NS6detail17trampoline_kernelINS0_14default_configENS1_38merge_sort_block_merge_config_selectorIiNS0_10empty_typeEEEZZNS1_27merge_sort_block_merge_implIS3_PiPS5_jNS1_19radix_merge_compareILb0ELb1EiNS0_19identity_decomposerEEEEE10hipError_tT0_T1_T2_jT3_P12ihipStream_tbPNSt15iterator_traitsISE_E10value_typeEPNSK_ISF_E10value_typeEPSG_NS1_7vsmem_tEENKUlT_SE_SF_SG_E_clIS8_S8_S9_S9_EESD_ST_SE_SF_SG_EUlST_E1_NS1_11comp_targetILNS1_3genE8ELNS1_11target_archE1030ELNS1_3gpuE2ELNS1_3repE0EEENS1_36merge_oddeven_config_static_selectorELNS0_4arch9wavefront6targetE1EEEvSF_
	.globl	_ZN7rocprim17ROCPRIM_400000_NS6detail17trampoline_kernelINS0_14default_configENS1_38merge_sort_block_merge_config_selectorIiNS0_10empty_typeEEEZZNS1_27merge_sort_block_merge_implIS3_PiPS5_jNS1_19radix_merge_compareILb0ELb1EiNS0_19identity_decomposerEEEEE10hipError_tT0_T1_T2_jT3_P12ihipStream_tbPNSt15iterator_traitsISE_E10value_typeEPNSK_ISF_E10value_typeEPSG_NS1_7vsmem_tEENKUlT_SE_SF_SG_E_clIS8_S8_S9_S9_EESD_ST_SE_SF_SG_EUlST_E1_NS1_11comp_targetILNS1_3genE8ELNS1_11target_archE1030ELNS1_3gpuE2ELNS1_3repE0EEENS1_36merge_oddeven_config_static_selectorELNS0_4arch9wavefront6targetE1EEEvSF_
	.p2align	8
	.type	_ZN7rocprim17ROCPRIM_400000_NS6detail17trampoline_kernelINS0_14default_configENS1_38merge_sort_block_merge_config_selectorIiNS0_10empty_typeEEEZZNS1_27merge_sort_block_merge_implIS3_PiPS5_jNS1_19radix_merge_compareILb0ELb1EiNS0_19identity_decomposerEEEEE10hipError_tT0_T1_T2_jT3_P12ihipStream_tbPNSt15iterator_traitsISE_E10value_typeEPNSK_ISF_E10value_typeEPSG_NS1_7vsmem_tEENKUlT_SE_SF_SG_E_clIS8_S8_S9_S9_EESD_ST_SE_SF_SG_EUlST_E1_NS1_11comp_targetILNS1_3genE8ELNS1_11target_archE1030ELNS1_3gpuE2ELNS1_3repE0EEENS1_36merge_oddeven_config_static_selectorELNS0_4arch9wavefront6targetE1EEEvSF_,@function
_ZN7rocprim17ROCPRIM_400000_NS6detail17trampoline_kernelINS0_14default_configENS1_38merge_sort_block_merge_config_selectorIiNS0_10empty_typeEEEZZNS1_27merge_sort_block_merge_implIS3_PiPS5_jNS1_19radix_merge_compareILb0ELb1EiNS0_19identity_decomposerEEEEE10hipError_tT0_T1_T2_jT3_P12ihipStream_tbPNSt15iterator_traitsISE_E10value_typeEPNSK_ISF_E10value_typeEPSG_NS1_7vsmem_tEENKUlT_SE_SF_SG_E_clIS8_S8_S9_S9_EESD_ST_SE_SF_SG_EUlST_E1_NS1_11comp_targetILNS1_3genE8ELNS1_11target_archE1030ELNS1_3gpuE2ELNS1_3repE0EEENS1_36merge_oddeven_config_static_selectorELNS0_4arch9wavefront6targetE1EEEvSF_: ; @_ZN7rocprim17ROCPRIM_400000_NS6detail17trampoline_kernelINS0_14default_configENS1_38merge_sort_block_merge_config_selectorIiNS0_10empty_typeEEEZZNS1_27merge_sort_block_merge_implIS3_PiPS5_jNS1_19radix_merge_compareILb0ELb1EiNS0_19identity_decomposerEEEEE10hipError_tT0_T1_T2_jT3_P12ihipStream_tbPNSt15iterator_traitsISE_E10value_typeEPNSK_ISF_E10value_typeEPSG_NS1_7vsmem_tEENKUlT_SE_SF_SG_E_clIS8_S8_S9_S9_EESD_ST_SE_SF_SG_EUlST_E1_NS1_11comp_targetILNS1_3genE8ELNS1_11target_archE1030ELNS1_3gpuE2ELNS1_3repE0EEENS1_36merge_oddeven_config_static_selectorELNS0_4arch9wavefront6targetE1EEEvSF_
; %bb.0:
	.section	.rodata,"a",@progbits
	.p2align	6, 0x0
	.amdhsa_kernel _ZN7rocprim17ROCPRIM_400000_NS6detail17trampoline_kernelINS0_14default_configENS1_38merge_sort_block_merge_config_selectorIiNS0_10empty_typeEEEZZNS1_27merge_sort_block_merge_implIS3_PiPS5_jNS1_19radix_merge_compareILb0ELb1EiNS0_19identity_decomposerEEEEE10hipError_tT0_T1_T2_jT3_P12ihipStream_tbPNSt15iterator_traitsISE_E10value_typeEPNSK_ISF_E10value_typeEPSG_NS1_7vsmem_tEENKUlT_SE_SF_SG_E_clIS8_S8_S9_S9_EESD_ST_SE_SF_SG_EUlST_E1_NS1_11comp_targetILNS1_3genE8ELNS1_11target_archE1030ELNS1_3gpuE2ELNS1_3repE0EEENS1_36merge_oddeven_config_static_selectorELNS0_4arch9wavefront6targetE1EEEvSF_
		.amdhsa_group_segment_fixed_size 0
		.amdhsa_private_segment_fixed_size 0
		.amdhsa_kernarg_size 48
		.amdhsa_user_sgpr_count 6
		.amdhsa_user_sgpr_private_segment_buffer 1
		.amdhsa_user_sgpr_dispatch_ptr 0
		.amdhsa_user_sgpr_queue_ptr 0
		.amdhsa_user_sgpr_kernarg_segment_ptr 1
		.amdhsa_user_sgpr_dispatch_id 0
		.amdhsa_user_sgpr_flat_scratch_init 0
		.amdhsa_user_sgpr_kernarg_preload_length 0
		.amdhsa_user_sgpr_kernarg_preload_offset 0
		.amdhsa_user_sgpr_private_segment_size 0
		.amdhsa_uses_dynamic_stack 0
		.amdhsa_system_sgpr_private_segment_wavefront_offset 0
		.amdhsa_system_sgpr_workgroup_id_x 1
		.amdhsa_system_sgpr_workgroup_id_y 0
		.amdhsa_system_sgpr_workgroup_id_z 0
		.amdhsa_system_sgpr_workgroup_info 0
		.amdhsa_system_vgpr_workitem_id 0
		.amdhsa_next_free_vgpr 1
		.amdhsa_next_free_sgpr 0
		.amdhsa_accum_offset 4
		.amdhsa_reserve_vcc 0
		.amdhsa_reserve_flat_scratch 0
		.amdhsa_float_round_mode_32 0
		.amdhsa_float_round_mode_16_64 0
		.amdhsa_float_denorm_mode_32 3
		.amdhsa_float_denorm_mode_16_64 3
		.amdhsa_dx10_clamp 1
		.amdhsa_ieee_mode 1
		.amdhsa_fp16_overflow 0
		.amdhsa_tg_split 0
		.amdhsa_exception_fp_ieee_invalid_op 0
		.amdhsa_exception_fp_denorm_src 0
		.amdhsa_exception_fp_ieee_div_zero 0
		.amdhsa_exception_fp_ieee_overflow 0
		.amdhsa_exception_fp_ieee_underflow 0
		.amdhsa_exception_fp_ieee_inexact 0
		.amdhsa_exception_int_div_zero 0
	.end_amdhsa_kernel
	.section	.text._ZN7rocprim17ROCPRIM_400000_NS6detail17trampoline_kernelINS0_14default_configENS1_38merge_sort_block_merge_config_selectorIiNS0_10empty_typeEEEZZNS1_27merge_sort_block_merge_implIS3_PiPS5_jNS1_19radix_merge_compareILb0ELb1EiNS0_19identity_decomposerEEEEE10hipError_tT0_T1_T2_jT3_P12ihipStream_tbPNSt15iterator_traitsISE_E10value_typeEPNSK_ISF_E10value_typeEPSG_NS1_7vsmem_tEENKUlT_SE_SF_SG_E_clIS8_S8_S9_S9_EESD_ST_SE_SF_SG_EUlST_E1_NS1_11comp_targetILNS1_3genE8ELNS1_11target_archE1030ELNS1_3gpuE2ELNS1_3repE0EEENS1_36merge_oddeven_config_static_selectorELNS0_4arch9wavefront6targetE1EEEvSF_,"axG",@progbits,_ZN7rocprim17ROCPRIM_400000_NS6detail17trampoline_kernelINS0_14default_configENS1_38merge_sort_block_merge_config_selectorIiNS0_10empty_typeEEEZZNS1_27merge_sort_block_merge_implIS3_PiPS5_jNS1_19radix_merge_compareILb0ELb1EiNS0_19identity_decomposerEEEEE10hipError_tT0_T1_T2_jT3_P12ihipStream_tbPNSt15iterator_traitsISE_E10value_typeEPNSK_ISF_E10value_typeEPSG_NS1_7vsmem_tEENKUlT_SE_SF_SG_E_clIS8_S8_S9_S9_EESD_ST_SE_SF_SG_EUlST_E1_NS1_11comp_targetILNS1_3genE8ELNS1_11target_archE1030ELNS1_3gpuE2ELNS1_3repE0EEENS1_36merge_oddeven_config_static_selectorELNS0_4arch9wavefront6targetE1EEEvSF_,comdat
.Lfunc_end631:
	.size	_ZN7rocprim17ROCPRIM_400000_NS6detail17trampoline_kernelINS0_14default_configENS1_38merge_sort_block_merge_config_selectorIiNS0_10empty_typeEEEZZNS1_27merge_sort_block_merge_implIS3_PiPS5_jNS1_19radix_merge_compareILb0ELb1EiNS0_19identity_decomposerEEEEE10hipError_tT0_T1_T2_jT3_P12ihipStream_tbPNSt15iterator_traitsISE_E10value_typeEPNSK_ISF_E10value_typeEPSG_NS1_7vsmem_tEENKUlT_SE_SF_SG_E_clIS8_S8_S9_S9_EESD_ST_SE_SF_SG_EUlST_E1_NS1_11comp_targetILNS1_3genE8ELNS1_11target_archE1030ELNS1_3gpuE2ELNS1_3repE0EEENS1_36merge_oddeven_config_static_selectorELNS0_4arch9wavefront6targetE1EEEvSF_, .Lfunc_end631-_ZN7rocprim17ROCPRIM_400000_NS6detail17trampoline_kernelINS0_14default_configENS1_38merge_sort_block_merge_config_selectorIiNS0_10empty_typeEEEZZNS1_27merge_sort_block_merge_implIS3_PiPS5_jNS1_19radix_merge_compareILb0ELb1EiNS0_19identity_decomposerEEEEE10hipError_tT0_T1_T2_jT3_P12ihipStream_tbPNSt15iterator_traitsISE_E10value_typeEPNSK_ISF_E10value_typeEPSG_NS1_7vsmem_tEENKUlT_SE_SF_SG_E_clIS8_S8_S9_S9_EESD_ST_SE_SF_SG_EUlST_E1_NS1_11comp_targetILNS1_3genE8ELNS1_11target_archE1030ELNS1_3gpuE2ELNS1_3repE0EEENS1_36merge_oddeven_config_static_selectorELNS0_4arch9wavefront6targetE1EEEvSF_
                                        ; -- End function
	.section	.AMDGPU.csdata,"",@progbits
; Kernel info:
; codeLenInByte = 0
; NumSgprs: 4
; NumVgprs: 0
; NumAgprs: 0
; TotalNumVgprs: 0
; ScratchSize: 0
; MemoryBound: 0
; FloatMode: 240
; IeeeMode: 1
; LDSByteSize: 0 bytes/workgroup (compile time only)
; SGPRBlocks: 0
; VGPRBlocks: 0
; NumSGPRsForWavesPerEU: 4
; NumVGPRsForWavesPerEU: 1
; AccumOffset: 4
; Occupancy: 8
; WaveLimiterHint : 0
; COMPUTE_PGM_RSRC2:SCRATCH_EN: 0
; COMPUTE_PGM_RSRC2:USER_SGPR: 6
; COMPUTE_PGM_RSRC2:TRAP_HANDLER: 0
; COMPUTE_PGM_RSRC2:TGID_X_EN: 1
; COMPUTE_PGM_RSRC2:TGID_Y_EN: 0
; COMPUTE_PGM_RSRC2:TGID_Z_EN: 0
; COMPUTE_PGM_RSRC2:TIDIG_COMP_CNT: 0
; COMPUTE_PGM_RSRC3_GFX90A:ACCUM_OFFSET: 0
; COMPUTE_PGM_RSRC3_GFX90A:TG_SPLIT: 0
	.section	.text._ZN7rocprim17ROCPRIM_400000_NS6detail17trampoline_kernelINS0_14default_configENS1_35radix_sort_onesweep_config_selectorIiNS0_10empty_typeEEEZNS1_34radix_sort_onesweep_global_offsetsIS3_Lb0EPiPS5_mNS0_19identity_decomposerEEE10hipError_tT1_T2_PT3_SE_jT4_jjP12ihipStream_tbEUlT_E_NS1_11comp_targetILNS1_3genE0ELNS1_11target_archE4294967295ELNS1_3gpuE0ELNS1_3repE0EEENS1_52radix_sort_onesweep_histogram_config_static_selectorELNS0_4arch9wavefront6targetE1EEEvSC_,"axG",@progbits,_ZN7rocprim17ROCPRIM_400000_NS6detail17trampoline_kernelINS0_14default_configENS1_35radix_sort_onesweep_config_selectorIiNS0_10empty_typeEEEZNS1_34radix_sort_onesweep_global_offsetsIS3_Lb0EPiPS5_mNS0_19identity_decomposerEEE10hipError_tT1_T2_PT3_SE_jT4_jjP12ihipStream_tbEUlT_E_NS1_11comp_targetILNS1_3genE0ELNS1_11target_archE4294967295ELNS1_3gpuE0ELNS1_3repE0EEENS1_52radix_sort_onesweep_histogram_config_static_selectorELNS0_4arch9wavefront6targetE1EEEvSC_,comdat
	.protected	_ZN7rocprim17ROCPRIM_400000_NS6detail17trampoline_kernelINS0_14default_configENS1_35radix_sort_onesweep_config_selectorIiNS0_10empty_typeEEEZNS1_34radix_sort_onesweep_global_offsetsIS3_Lb0EPiPS5_mNS0_19identity_decomposerEEE10hipError_tT1_T2_PT3_SE_jT4_jjP12ihipStream_tbEUlT_E_NS1_11comp_targetILNS1_3genE0ELNS1_11target_archE4294967295ELNS1_3gpuE0ELNS1_3repE0EEENS1_52radix_sort_onesweep_histogram_config_static_selectorELNS0_4arch9wavefront6targetE1EEEvSC_ ; -- Begin function _ZN7rocprim17ROCPRIM_400000_NS6detail17trampoline_kernelINS0_14default_configENS1_35radix_sort_onesweep_config_selectorIiNS0_10empty_typeEEEZNS1_34radix_sort_onesweep_global_offsetsIS3_Lb0EPiPS5_mNS0_19identity_decomposerEEE10hipError_tT1_T2_PT3_SE_jT4_jjP12ihipStream_tbEUlT_E_NS1_11comp_targetILNS1_3genE0ELNS1_11target_archE4294967295ELNS1_3gpuE0ELNS1_3repE0EEENS1_52radix_sort_onesweep_histogram_config_static_selectorELNS0_4arch9wavefront6targetE1EEEvSC_
	.globl	_ZN7rocprim17ROCPRIM_400000_NS6detail17trampoline_kernelINS0_14default_configENS1_35radix_sort_onesweep_config_selectorIiNS0_10empty_typeEEEZNS1_34radix_sort_onesweep_global_offsetsIS3_Lb0EPiPS5_mNS0_19identity_decomposerEEE10hipError_tT1_T2_PT3_SE_jT4_jjP12ihipStream_tbEUlT_E_NS1_11comp_targetILNS1_3genE0ELNS1_11target_archE4294967295ELNS1_3gpuE0ELNS1_3repE0EEENS1_52radix_sort_onesweep_histogram_config_static_selectorELNS0_4arch9wavefront6targetE1EEEvSC_
	.p2align	8
	.type	_ZN7rocprim17ROCPRIM_400000_NS6detail17trampoline_kernelINS0_14default_configENS1_35radix_sort_onesweep_config_selectorIiNS0_10empty_typeEEEZNS1_34radix_sort_onesweep_global_offsetsIS3_Lb0EPiPS5_mNS0_19identity_decomposerEEE10hipError_tT1_T2_PT3_SE_jT4_jjP12ihipStream_tbEUlT_E_NS1_11comp_targetILNS1_3genE0ELNS1_11target_archE4294967295ELNS1_3gpuE0ELNS1_3repE0EEENS1_52radix_sort_onesweep_histogram_config_static_selectorELNS0_4arch9wavefront6targetE1EEEvSC_,@function
_ZN7rocprim17ROCPRIM_400000_NS6detail17trampoline_kernelINS0_14default_configENS1_35radix_sort_onesweep_config_selectorIiNS0_10empty_typeEEEZNS1_34radix_sort_onesweep_global_offsetsIS3_Lb0EPiPS5_mNS0_19identity_decomposerEEE10hipError_tT1_T2_PT3_SE_jT4_jjP12ihipStream_tbEUlT_E_NS1_11comp_targetILNS1_3genE0ELNS1_11target_archE4294967295ELNS1_3gpuE0ELNS1_3repE0EEENS1_52radix_sort_onesweep_histogram_config_static_selectorELNS0_4arch9wavefront6targetE1EEEvSC_: ; @_ZN7rocprim17ROCPRIM_400000_NS6detail17trampoline_kernelINS0_14default_configENS1_35radix_sort_onesweep_config_selectorIiNS0_10empty_typeEEEZNS1_34radix_sort_onesweep_global_offsetsIS3_Lb0EPiPS5_mNS0_19identity_decomposerEEE10hipError_tT1_T2_PT3_SE_jT4_jjP12ihipStream_tbEUlT_E_NS1_11comp_targetILNS1_3genE0ELNS1_11target_archE4294967295ELNS1_3gpuE0ELNS1_3repE0EEENS1_52radix_sort_onesweep_histogram_config_static_selectorELNS0_4arch9wavefront6targetE1EEEvSC_
; %bb.0:
	.section	.rodata,"a",@progbits
	.p2align	6, 0x0
	.amdhsa_kernel _ZN7rocprim17ROCPRIM_400000_NS6detail17trampoline_kernelINS0_14default_configENS1_35radix_sort_onesweep_config_selectorIiNS0_10empty_typeEEEZNS1_34radix_sort_onesweep_global_offsetsIS3_Lb0EPiPS5_mNS0_19identity_decomposerEEE10hipError_tT1_T2_PT3_SE_jT4_jjP12ihipStream_tbEUlT_E_NS1_11comp_targetILNS1_3genE0ELNS1_11target_archE4294967295ELNS1_3gpuE0ELNS1_3repE0EEENS1_52radix_sort_onesweep_histogram_config_static_selectorELNS0_4arch9wavefront6targetE1EEEvSC_
		.amdhsa_group_segment_fixed_size 0
		.amdhsa_private_segment_fixed_size 0
		.amdhsa_kernarg_size 48
		.amdhsa_user_sgpr_count 6
		.amdhsa_user_sgpr_private_segment_buffer 1
		.amdhsa_user_sgpr_dispatch_ptr 0
		.amdhsa_user_sgpr_queue_ptr 0
		.amdhsa_user_sgpr_kernarg_segment_ptr 1
		.amdhsa_user_sgpr_dispatch_id 0
		.amdhsa_user_sgpr_flat_scratch_init 0
		.amdhsa_user_sgpr_kernarg_preload_length 0
		.amdhsa_user_sgpr_kernarg_preload_offset 0
		.amdhsa_user_sgpr_private_segment_size 0
		.amdhsa_uses_dynamic_stack 0
		.amdhsa_system_sgpr_private_segment_wavefront_offset 0
		.amdhsa_system_sgpr_workgroup_id_x 1
		.amdhsa_system_sgpr_workgroup_id_y 0
		.amdhsa_system_sgpr_workgroup_id_z 0
		.amdhsa_system_sgpr_workgroup_info 0
		.amdhsa_system_vgpr_workitem_id 0
		.amdhsa_next_free_vgpr 1
		.amdhsa_next_free_sgpr 0
		.amdhsa_accum_offset 4
		.amdhsa_reserve_vcc 0
		.amdhsa_reserve_flat_scratch 0
		.amdhsa_float_round_mode_32 0
		.amdhsa_float_round_mode_16_64 0
		.amdhsa_float_denorm_mode_32 3
		.amdhsa_float_denorm_mode_16_64 3
		.amdhsa_dx10_clamp 1
		.amdhsa_ieee_mode 1
		.amdhsa_fp16_overflow 0
		.amdhsa_tg_split 0
		.amdhsa_exception_fp_ieee_invalid_op 0
		.amdhsa_exception_fp_denorm_src 0
		.amdhsa_exception_fp_ieee_div_zero 0
		.amdhsa_exception_fp_ieee_overflow 0
		.amdhsa_exception_fp_ieee_underflow 0
		.amdhsa_exception_fp_ieee_inexact 0
		.amdhsa_exception_int_div_zero 0
	.end_amdhsa_kernel
	.section	.text._ZN7rocprim17ROCPRIM_400000_NS6detail17trampoline_kernelINS0_14default_configENS1_35radix_sort_onesweep_config_selectorIiNS0_10empty_typeEEEZNS1_34radix_sort_onesweep_global_offsetsIS3_Lb0EPiPS5_mNS0_19identity_decomposerEEE10hipError_tT1_T2_PT3_SE_jT4_jjP12ihipStream_tbEUlT_E_NS1_11comp_targetILNS1_3genE0ELNS1_11target_archE4294967295ELNS1_3gpuE0ELNS1_3repE0EEENS1_52radix_sort_onesweep_histogram_config_static_selectorELNS0_4arch9wavefront6targetE1EEEvSC_,"axG",@progbits,_ZN7rocprim17ROCPRIM_400000_NS6detail17trampoline_kernelINS0_14default_configENS1_35radix_sort_onesweep_config_selectorIiNS0_10empty_typeEEEZNS1_34radix_sort_onesweep_global_offsetsIS3_Lb0EPiPS5_mNS0_19identity_decomposerEEE10hipError_tT1_T2_PT3_SE_jT4_jjP12ihipStream_tbEUlT_E_NS1_11comp_targetILNS1_3genE0ELNS1_11target_archE4294967295ELNS1_3gpuE0ELNS1_3repE0EEENS1_52radix_sort_onesweep_histogram_config_static_selectorELNS0_4arch9wavefront6targetE1EEEvSC_,comdat
.Lfunc_end632:
	.size	_ZN7rocprim17ROCPRIM_400000_NS6detail17trampoline_kernelINS0_14default_configENS1_35radix_sort_onesweep_config_selectorIiNS0_10empty_typeEEEZNS1_34radix_sort_onesweep_global_offsetsIS3_Lb0EPiPS5_mNS0_19identity_decomposerEEE10hipError_tT1_T2_PT3_SE_jT4_jjP12ihipStream_tbEUlT_E_NS1_11comp_targetILNS1_3genE0ELNS1_11target_archE4294967295ELNS1_3gpuE0ELNS1_3repE0EEENS1_52radix_sort_onesweep_histogram_config_static_selectorELNS0_4arch9wavefront6targetE1EEEvSC_, .Lfunc_end632-_ZN7rocprim17ROCPRIM_400000_NS6detail17trampoline_kernelINS0_14default_configENS1_35radix_sort_onesweep_config_selectorIiNS0_10empty_typeEEEZNS1_34radix_sort_onesweep_global_offsetsIS3_Lb0EPiPS5_mNS0_19identity_decomposerEEE10hipError_tT1_T2_PT3_SE_jT4_jjP12ihipStream_tbEUlT_E_NS1_11comp_targetILNS1_3genE0ELNS1_11target_archE4294967295ELNS1_3gpuE0ELNS1_3repE0EEENS1_52radix_sort_onesweep_histogram_config_static_selectorELNS0_4arch9wavefront6targetE1EEEvSC_
                                        ; -- End function
	.section	.AMDGPU.csdata,"",@progbits
; Kernel info:
; codeLenInByte = 0
; NumSgprs: 4
; NumVgprs: 0
; NumAgprs: 0
; TotalNumVgprs: 0
; ScratchSize: 0
; MemoryBound: 0
; FloatMode: 240
; IeeeMode: 1
; LDSByteSize: 0 bytes/workgroup (compile time only)
; SGPRBlocks: 0
; VGPRBlocks: 0
; NumSGPRsForWavesPerEU: 4
; NumVGPRsForWavesPerEU: 1
; AccumOffset: 4
; Occupancy: 8
; WaveLimiterHint : 0
; COMPUTE_PGM_RSRC2:SCRATCH_EN: 0
; COMPUTE_PGM_RSRC2:USER_SGPR: 6
; COMPUTE_PGM_RSRC2:TRAP_HANDLER: 0
; COMPUTE_PGM_RSRC2:TGID_X_EN: 1
; COMPUTE_PGM_RSRC2:TGID_Y_EN: 0
; COMPUTE_PGM_RSRC2:TGID_Z_EN: 0
; COMPUTE_PGM_RSRC2:TIDIG_COMP_CNT: 0
; COMPUTE_PGM_RSRC3_GFX90A:ACCUM_OFFSET: 0
; COMPUTE_PGM_RSRC3_GFX90A:TG_SPLIT: 0
	.section	.text._ZN7rocprim17ROCPRIM_400000_NS6detail17trampoline_kernelINS0_14default_configENS1_35radix_sort_onesweep_config_selectorIiNS0_10empty_typeEEEZNS1_34radix_sort_onesweep_global_offsetsIS3_Lb0EPiPS5_mNS0_19identity_decomposerEEE10hipError_tT1_T2_PT3_SE_jT4_jjP12ihipStream_tbEUlT_E_NS1_11comp_targetILNS1_3genE6ELNS1_11target_archE950ELNS1_3gpuE13ELNS1_3repE0EEENS1_52radix_sort_onesweep_histogram_config_static_selectorELNS0_4arch9wavefront6targetE1EEEvSC_,"axG",@progbits,_ZN7rocprim17ROCPRIM_400000_NS6detail17trampoline_kernelINS0_14default_configENS1_35radix_sort_onesweep_config_selectorIiNS0_10empty_typeEEEZNS1_34radix_sort_onesweep_global_offsetsIS3_Lb0EPiPS5_mNS0_19identity_decomposerEEE10hipError_tT1_T2_PT3_SE_jT4_jjP12ihipStream_tbEUlT_E_NS1_11comp_targetILNS1_3genE6ELNS1_11target_archE950ELNS1_3gpuE13ELNS1_3repE0EEENS1_52radix_sort_onesweep_histogram_config_static_selectorELNS0_4arch9wavefront6targetE1EEEvSC_,comdat
	.protected	_ZN7rocprim17ROCPRIM_400000_NS6detail17trampoline_kernelINS0_14default_configENS1_35radix_sort_onesweep_config_selectorIiNS0_10empty_typeEEEZNS1_34radix_sort_onesweep_global_offsetsIS3_Lb0EPiPS5_mNS0_19identity_decomposerEEE10hipError_tT1_T2_PT3_SE_jT4_jjP12ihipStream_tbEUlT_E_NS1_11comp_targetILNS1_3genE6ELNS1_11target_archE950ELNS1_3gpuE13ELNS1_3repE0EEENS1_52radix_sort_onesweep_histogram_config_static_selectorELNS0_4arch9wavefront6targetE1EEEvSC_ ; -- Begin function _ZN7rocprim17ROCPRIM_400000_NS6detail17trampoline_kernelINS0_14default_configENS1_35radix_sort_onesweep_config_selectorIiNS0_10empty_typeEEEZNS1_34radix_sort_onesweep_global_offsetsIS3_Lb0EPiPS5_mNS0_19identity_decomposerEEE10hipError_tT1_T2_PT3_SE_jT4_jjP12ihipStream_tbEUlT_E_NS1_11comp_targetILNS1_3genE6ELNS1_11target_archE950ELNS1_3gpuE13ELNS1_3repE0EEENS1_52radix_sort_onesweep_histogram_config_static_selectorELNS0_4arch9wavefront6targetE1EEEvSC_
	.globl	_ZN7rocprim17ROCPRIM_400000_NS6detail17trampoline_kernelINS0_14default_configENS1_35radix_sort_onesweep_config_selectorIiNS0_10empty_typeEEEZNS1_34radix_sort_onesweep_global_offsetsIS3_Lb0EPiPS5_mNS0_19identity_decomposerEEE10hipError_tT1_T2_PT3_SE_jT4_jjP12ihipStream_tbEUlT_E_NS1_11comp_targetILNS1_3genE6ELNS1_11target_archE950ELNS1_3gpuE13ELNS1_3repE0EEENS1_52radix_sort_onesweep_histogram_config_static_selectorELNS0_4arch9wavefront6targetE1EEEvSC_
	.p2align	8
	.type	_ZN7rocprim17ROCPRIM_400000_NS6detail17trampoline_kernelINS0_14default_configENS1_35radix_sort_onesweep_config_selectorIiNS0_10empty_typeEEEZNS1_34radix_sort_onesweep_global_offsetsIS3_Lb0EPiPS5_mNS0_19identity_decomposerEEE10hipError_tT1_T2_PT3_SE_jT4_jjP12ihipStream_tbEUlT_E_NS1_11comp_targetILNS1_3genE6ELNS1_11target_archE950ELNS1_3gpuE13ELNS1_3repE0EEENS1_52radix_sort_onesweep_histogram_config_static_selectorELNS0_4arch9wavefront6targetE1EEEvSC_,@function
_ZN7rocprim17ROCPRIM_400000_NS6detail17trampoline_kernelINS0_14default_configENS1_35radix_sort_onesweep_config_selectorIiNS0_10empty_typeEEEZNS1_34radix_sort_onesweep_global_offsetsIS3_Lb0EPiPS5_mNS0_19identity_decomposerEEE10hipError_tT1_T2_PT3_SE_jT4_jjP12ihipStream_tbEUlT_E_NS1_11comp_targetILNS1_3genE6ELNS1_11target_archE950ELNS1_3gpuE13ELNS1_3repE0EEENS1_52radix_sort_onesweep_histogram_config_static_selectorELNS0_4arch9wavefront6targetE1EEEvSC_: ; @_ZN7rocprim17ROCPRIM_400000_NS6detail17trampoline_kernelINS0_14default_configENS1_35radix_sort_onesweep_config_selectorIiNS0_10empty_typeEEEZNS1_34radix_sort_onesweep_global_offsetsIS3_Lb0EPiPS5_mNS0_19identity_decomposerEEE10hipError_tT1_T2_PT3_SE_jT4_jjP12ihipStream_tbEUlT_E_NS1_11comp_targetILNS1_3genE6ELNS1_11target_archE950ELNS1_3gpuE13ELNS1_3repE0EEENS1_52radix_sort_onesweep_histogram_config_static_selectorELNS0_4arch9wavefront6targetE1EEEvSC_
; %bb.0:
	.section	.rodata,"a",@progbits
	.p2align	6, 0x0
	.amdhsa_kernel _ZN7rocprim17ROCPRIM_400000_NS6detail17trampoline_kernelINS0_14default_configENS1_35radix_sort_onesweep_config_selectorIiNS0_10empty_typeEEEZNS1_34radix_sort_onesweep_global_offsetsIS3_Lb0EPiPS5_mNS0_19identity_decomposerEEE10hipError_tT1_T2_PT3_SE_jT4_jjP12ihipStream_tbEUlT_E_NS1_11comp_targetILNS1_3genE6ELNS1_11target_archE950ELNS1_3gpuE13ELNS1_3repE0EEENS1_52radix_sort_onesweep_histogram_config_static_selectorELNS0_4arch9wavefront6targetE1EEEvSC_
		.amdhsa_group_segment_fixed_size 0
		.amdhsa_private_segment_fixed_size 0
		.amdhsa_kernarg_size 48
		.amdhsa_user_sgpr_count 6
		.amdhsa_user_sgpr_private_segment_buffer 1
		.amdhsa_user_sgpr_dispatch_ptr 0
		.amdhsa_user_sgpr_queue_ptr 0
		.amdhsa_user_sgpr_kernarg_segment_ptr 1
		.amdhsa_user_sgpr_dispatch_id 0
		.amdhsa_user_sgpr_flat_scratch_init 0
		.amdhsa_user_sgpr_kernarg_preload_length 0
		.amdhsa_user_sgpr_kernarg_preload_offset 0
		.amdhsa_user_sgpr_private_segment_size 0
		.amdhsa_uses_dynamic_stack 0
		.amdhsa_system_sgpr_private_segment_wavefront_offset 0
		.amdhsa_system_sgpr_workgroup_id_x 1
		.amdhsa_system_sgpr_workgroup_id_y 0
		.amdhsa_system_sgpr_workgroup_id_z 0
		.amdhsa_system_sgpr_workgroup_info 0
		.amdhsa_system_vgpr_workitem_id 0
		.amdhsa_next_free_vgpr 1
		.amdhsa_next_free_sgpr 0
		.amdhsa_accum_offset 4
		.amdhsa_reserve_vcc 0
		.amdhsa_reserve_flat_scratch 0
		.amdhsa_float_round_mode_32 0
		.amdhsa_float_round_mode_16_64 0
		.amdhsa_float_denorm_mode_32 3
		.amdhsa_float_denorm_mode_16_64 3
		.amdhsa_dx10_clamp 1
		.amdhsa_ieee_mode 1
		.amdhsa_fp16_overflow 0
		.amdhsa_tg_split 0
		.amdhsa_exception_fp_ieee_invalid_op 0
		.amdhsa_exception_fp_denorm_src 0
		.amdhsa_exception_fp_ieee_div_zero 0
		.amdhsa_exception_fp_ieee_overflow 0
		.amdhsa_exception_fp_ieee_underflow 0
		.amdhsa_exception_fp_ieee_inexact 0
		.amdhsa_exception_int_div_zero 0
	.end_amdhsa_kernel
	.section	.text._ZN7rocprim17ROCPRIM_400000_NS6detail17trampoline_kernelINS0_14default_configENS1_35radix_sort_onesweep_config_selectorIiNS0_10empty_typeEEEZNS1_34radix_sort_onesweep_global_offsetsIS3_Lb0EPiPS5_mNS0_19identity_decomposerEEE10hipError_tT1_T2_PT3_SE_jT4_jjP12ihipStream_tbEUlT_E_NS1_11comp_targetILNS1_3genE6ELNS1_11target_archE950ELNS1_3gpuE13ELNS1_3repE0EEENS1_52radix_sort_onesweep_histogram_config_static_selectorELNS0_4arch9wavefront6targetE1EEEvSC_,"axG",@progbits,_ZN7rocprim17ROCPRIM_400000_NS6detail17trampoline_kernelINS0_14default_configENS1_35radix_sort_onesweep_config_selectorIiNS0_10empty_typeEEEZNS1_34radix_sort_onesweep_global_offsetsIS3_Lb0EPiPS5_mNS0_19identity_decomposerEEE10hipError_tT1_T2_PT3_SE_jT4_jjP12ihipStream_tbEUlT_E_NS1_11comp_targetILNS1_3genE6ELNS1_11target_archE950ELNS1_3gpuE13ELNS1_3repE0EEENS1_52radix_sort_onesweep_histogram_config_static_selectorELNS0_4arch9wavefront6targetE1EEEvSC_,comdat
.Lfunc_end633:
	.size	_ZN7rocprim17ROCPRIM_400000_NS6detail17trampoline_kernelINS0_14default_configENS1_35radix_sort_onesweep_config_selectorIiNS0_10empty_typeEEEZNS1_34radix_sort_onesweep_global_offsetsIS3_Lb0EPiPS5_mNS0_19identity_decomposerEEE10hipError_tT1_T2_PT3_SE_jT4_jjP12ihipStream_tbEUlT_E_NS1_11comp_targetILNS1_3genE6ELNS1_11target_archE950ELNS1_3gpuE13ELNS1_3repE0EEENS1_52radix_sort_onesweep_histogram_config_static_selectorELNS0_4arch9wavefront6targetE1EEEvSC_, .Lfunc_end633-_ZN7rocprim17ROCPRIM_400000_NS6detail17trampoline_kernelINS0_14default_configENS1_35radix_sort_onesweep_config_selectorIiNS0_10empty_typeEEEZNS1_34radix_sort_onesweep_global_offsetsIS3_Lb0EPiPS5_mNS0_19identity_decomposerEEE10hipError_tT1_T2_PT3_SE_jT4_jjP12ihipStream_tbEUlT_E_NS1_11comp_targetILNS1_3genE6ELNS1_11target_archE950ELNS1_3gpuE13ELNS1_3repE0EEENS1_52radix_sort_onesweep_histogram_config_static_selectorELNS0_4arch9wavefront6targetE1EEEvSC_
                                        ; -- End function
	.section	.AMDGPU.csdata,"",@progbits
; Kernel info:
; codeLenInByte = 0
; NumSgprs: 4
; NumVgprs: 0
; NumAgprs: 0
; TotalNumVgprs: 0
; ScratchSize: 0
; MemoryBound: 0
; FloatMode: 240
; IeeeMode: 1
; LDSByteSize: 0 bytes/workgroup (compile time only)
; SGPRBlocks: 0
; VGPRBlocks: 0
; NumSGPRsForWavesPerEU: 4
; NumVGPRsForWavesPerEU: 1
; AccumOffset: 4
; Occupancy: 8
; WaveLimiterHint : 0
; COMPUTE_PGM_RSRC2:SCRATCH_EN: 0
; COMPUTE_PGM_RSRC2:USER_SGPR: 6
; COMPUTE_PGM_RSRC2:TRAP_HANDLER: 0
; COMPUTE_PGM_RSRC2:TGID_X_EN: 1
; COMPUTE_PGM_RSRC2:TGID_Y_EN: 0
; COMPUTE_PGM_RSRC2:TGID_Z_EN: 0
; COMPUTE_PGM_RSRC2:TIDIG_COMP_CNT: 0
; COMPUTE_PGM_RSRC3_GFX90A:ACCUM_OFFSET: 0
; COMPUTE_PGM_RSRC3_GFX90A:TG_SPLIT: 0
	.section	.text._ZN7rocprim17ROCPRIM_400000_NS6detail17trampoline_kernelINS0_14default_configENS1_35radix_sort_onesweep_config_selectorIiNS0_10empty_typeEEEZNS1_34radix_sort_onesweep_global_offsetsIS3_Lb0EPiPS5_mNS0_19identity_decomposerEEE10hipError_tT1_T2_PT3_SE_jT4_jjP12ihipStream_tbEUlT_E_NS1_11comp_targetILNS1_3genE5ELNS1_11target_archE942ELNS1_3gpuE9ELNS1_3repE0EEENS1_52radix_sort_onesweep_histogram_config_static_selectorELNS0_4arch9wavefront6targetE1EEEvSC_,"axG",@progbits,_ZN7rocprim17ROCPRIM_400000_NS6detail17trampoline_kernelINS0_14default_configENS1_35radix_sort_onesweep_config_selectorIiNS0_10empty_typeEEEZNS1_34radix_sort_onesweep_global_offsetsIS3_Lb0EPiPS5_mNS0_19identity_decomposerEEE10hipError_tT1_T2_PT3_SE_jT4_jjP12ihipStream_tbEUlT_E_NS1_11comp_targetILNS1_3genE5ELNS1_11target_archE942ELNS1_3gpuE9ELNS1_3repE0EEENS1_52radix_sort_onesweep_histogram_config_static_selectorELNS0_4arch9wavefront6targetE1EEEvSC_,comdat
	.protected	_ZN7rocprim17ROCPRIM_400000_NS6detail17trampoline_kernelINS0_14default_configENS1_35radix_sort_onesweep_config_selectorIiNS0_10empty_typeEEEZNS1_34radix_sort_onesweep_global_offsetsIS3_Lb0EPiPS5_mNS0_19identity_decomposerEEE10hipError_tT1_T2_PT3_SE_jT4_jjP12ihipStream_tbEUlT_E_NS1_11comp_targetILNS1_3genE5ELNS1_11target_archE942ELNS1_3gpuE9ELNS1_3repE0EEENS1_52radix_sort_onesweep_histogram_config_static_selectorELNS0_4arch9wavefront6targetE1EEEvSC_ ; -- Begin function _ZN7rocprim17ROCPRIM_400000_NS6detail17trampoline_kernelINS0_14default_configENS1_35radix_sort_onesweep_config_selectorIiNS0_10empty_typeEEEZNS1_34radix_sort_onesweep_global_offsetsIS3_Lb0EPiPS5_mNS0_19identity_decomposerEEE10hipError_tT1_T2_PT3_SE_jT4_jjP12ihipStream_tbEUlT_E_NS1_11comp_targetILNS1_3genE5ELNS1_11target_archE942ELNS1_3gpuE9ELNS1_3repE0EEENS1_52radix_sort_onesweep_histogram_config_static_selectorELNS0_4arch9wavefront6targetE1EEEvSC_
	.globl	_ZN7rocprim17ROCPRIM_400000_NS6detail17trampoline_kernelINS0_14default_configENS1_35radix_sort_onesweep_config_selectorIiNS0_10empty_typeEEEZNS1_34radix_sort_onesweep_global_offsetsIS3_Lb0EPiPS5_mNS0_19identity_decomposerEEE10hipError_tT1_T2_PT3_SE_jT4_jjP12ihipStream_tbEUlT_E_NS1_11comp_targetILNS1_3genE5ELNS1_11target_archE942ELNS1_3gpuE9ELNS1_3repE0EEENS1_52radix_sort_onesweep_histogram_config_static_selectorELNS0_4arch9wavefront6targetE1EEEvSC_
	.p2align	8
	.type	_ZN7rocprim17ROCPRIM_400000_NS6detail17trampoline_kernelINS0_14default_configENS1_35radix_sort_onesweep_config_selectorIiNS0_10empty_typeEEEZNS1_34radix_sort_onesweep_global_offsetsIS3_Lb0EPiPS5_mNS0_19identity_decomposerEEE10hipError_tT1_T2_PT3_SE_jT4_jjP12ihipStream_tbEUlT_E_NS1_11comp_targetILNS1_3genE5ELNS1_11target_archE942ELNS1_3gpuE9ELNS1_3repE0EEENS1_52radix_sort_onesweep_histogram_config_static_selectorELNS0_4arch9wavefront6targetE1EEEvSC_,@function
_ZN7rocprim17ROCPRIM_400000_NS6detail17trampoline_kernelINS0_14default_configENS1_35radix_sort_onesweep_config_selectorIiNS0_10empty_typeEEEZNS1_34radix_sort_onesweep_global_offsetsIS3_Lb0EPiPS5_mNS0_19identity_decomposerEEE10hipError_tT1_T2_PT3_SE_jT4_jjP12ihipStream_tbEUlT_E_NS1_11comp_targetILNS1_3genE5ELNS1_11target_archE942ELNS1_3gpuE9ELNS1_3repE0EEENS1_52radix_sort_onesweep_histogram_config_static_selectorELNS0_4arch9wavefront6targetE1EEEvSC_: ; @_ZN7rocprim17ROCPRIM_400000_NS6detail17trampoline_kernelINS0_14default_configENS1_35radix_sort_onesweep_config_selectorIiNS0_10empty_typeEEEZNS1_34radix_sort_onesweep_global_offsetsIS3_Lb0EPiPS5_mNS0_19identity_decomposerEEE10hipError_tT1_T2_PT3_SE_jT4_jjP12ihipStream_tbEUlT_E_NS1_11comp_targetILNS1_3genE5ELNS1_11target_archE942ELNS1_3gpuE9ELNS1_3repE0EEENS1_52radix_sort_onesweep_histogram_config_static_selectorELNS0_4arch9wavefront6targetE1EEEvSC_
; %bb.0:
	.section	.rodata,"a",@progbits
	.p2align	6, 0x0
	.amdhsa_kernel _ZN7rocprim17ROCPRIM_400000_NS6detail17trampoline_kernelINS0_14default_configENS1_35radix_sort_onesweep_config_selectorIiNS0_10empty_typeEEEZNS1_34radix_sort_onesweep_global_offsetsIS3_Lb0EPiPS5_mNS0_19identity_decomposerEEE10hipError_tT1_T2_PT3_SE_jT4_jjP12ihipStream_tbEUlT_E_NS1_11comp_targetILNS1_3genE5ELNS1_11target_archE942ELNS1_3gpuE9ELNS1_3repE0EEENS1_52radix_sort_onesweep_histogram_config_static_selectorELNS0_4arch9wavefront6targetE1EEEvSC_
		.amdhsa_group_segment_fixed_size 0
		.amdhsa_private_segment_fixed_size 0
		.amdhsa_kernarg_size 48
		.amdhsa_user_sgpr_count 6
		.amdhsa_user_sgpr_private_segment_buffer 1
		.amdhsa_user_sgpr_dispatch_ptr 0
		.amdhsa_user_sgpr_queue_ptr 0
		.amdhsa_user_sgpr_kernarg_segment_ptr 1
		.amdhsa_user_sgpr_dispatch_id 0
		.amdhsa_user_sgpr_flat_scratch_init 0
		.amdhsa_user_sgpr_kernarg_preload_length 0
		.amdhsa_user_sgpr_kernarg_preload_offset 0
		.amdhsa_user_sgpr_private_segment_size 0
		.amdhsa_uses_dynamic_stack 0
		.amdhsa_system_sgpr_private_segment_wavefront_offset 0
		.amdhsa_system_sgpr_workgroup_id_x 1
		.amdhsa_system_sgpr_workgroup_id_y 0
		.amdhsa_system_sgpr_workgroup_id_z 0
		.amdhsa_system_sgpr_workgroup_info 0
		.amdhsa_system_vgpr_workitem_id 0
		.amdhsa_next_free_vgpr 1
		.amdhsa_next_free_sgpr 0
		.amdhsa_accum_offset 4
		.amdhsa_reserve_vcc 0
		.amdhsa_reserve_flat_scratch 0
		.amdhsa_float_round_mode_32 0
		.amdhsa_float_round_mode_16_64 0
		.amdhsa_float_denorm_mode_32 3
		.amdhsa_float_denorm_mode_16_64 3
		.amdhsa_dx10_clamp 1
		.amdhsa_ieee_mode 1
		.amdhsa_fp16_overflow 0
		.amdhsa_tg_split 0
		.amdhsa_exception_fp_ieee_invalid_op 0
		.amdhsa_exception_fp_denorm_src 0
		.amdhsa_exception_fp_ieee_div_zero 0
		.amdhsa_exception_fp_ieee_overflow 0
		.amdhsa_exception_fp_ieee_underflow 0
		.amdhsa_exception_fp_ieee_inexact 0
		.amdhsa_exception_int_div_zero 0
	.end_amdhsa_kernel
	.section	.text._ZN7rocprim17ROCPRIM_400000_NS6detail17trampoline_kernelINS0_14default_configENS1_35radix_sort_onesweep_config_selectorIiNS0_10empty_typeEEEZNS1_34radix_sort_onesweep_global_offsetsIS3_Lb0EPiPS5_mNS0_19identity_decomposerEEE10hipError_tT1_T2_PT3_SE_jT4_jjP12ihipStream_tbEUlT_E_NS1_11comp_targetILNS1_3genE5ELNS1_11target_archE942ELNS1_3gpuE9ELNS1_3repE0EEENS1_52radix_sort_onesweep_histogram_config_static_selectorELNS0_4arch9wavefront6targetE1EEEvSC_,"axG",@progbits,_ZN7rocprim17ROCPRIM_400000_NS6detail17trampoline_kernelINS0_14default_configENS1_35radix_sort_onesweep_config_selectorIiNS0_10empty_typeEEEZNS1_34radix_sort_onesweep_global_offsetsIS3_Lb0EPiPS5_mNS0_19identity_decomposerEEE10hipError_tT1_T2_PT3_SE_jT4_jjP12ihipStream_tbEUlT_E_NS1_11comp_targetILNS1_3genE5ELNS1_11target_archE942ELNS1_3gpuE9ELNS1_3repE0EEENS1_52radix_sort_onesweep_histogram_config_static_selectorELNS0_4arch9wavefront6targetE1EEEvSC_,comdat
.Lfunc_end634:
	.size	_ZN7rocprim17ROCPRIM_400000_NS6detail17trampoline_kernelINS0_14default_configENS1_35radix_sort_onesweep_config_selectorIiNS0_10empty_typeEEEZNS1_34radix_sort_onesweep_global_offsetsIS3_Lb0EPiPS5_mNS0_19identity_decomposerEEE10hipError_tT1_T2_PT3_SE_jT4_jjP12ihipStream_tbEUlT_E_NS1_11comp_targetILNS1_3genE5ELNS1_11target_archE942ELNS1_3gpuE9ELNS1_3repE0EEENS1_52radix_sort_onesweep_histogram_config_static_selectorELNS0_4arch9wavefront6targetE1EEEvSC_, .Lfunc_end634-_ZN7rocprim17ROCPRIM_400000_NS6detail17trampoline_kernelINS0_14default_configENS1_35radix_sort_onesweep_config_selectorIiNS0_10empty_typeEEEZNS1_34radix_sort_onesweep_global_offsetsIS3_Lb0EPiPS5_mNS0_19identity_decomposerEEE10hipError_tT1_T2_PT3_SE_jT4_jjP12ihipStream_tbEUlT_E_NS1_11comp_targetILNS1_3genE5ELNS1_11target_archE942ELNS1_3gpuE9ELNS1_3repE0EEENS1_52radix_sort_onesweep_histogram_config_static_selectorELNS0_4arch9wavefront6targetE1EEEvSC_
                                        ; -- End function
	.section	.AMDGPU.csdata,"",@progbits
; Kernel info:
; codeLenInByte = 0
; NumSgprs: 4
; NumVgprs: 0
; NumAgprs: 0
; TotalNumVgprs: 0
; ScratchSize: 0
; MemoryBound: 0
; FloatMode: 240
; IeeeMode: 1
; LDSByteSize: 0 bytes/workgroup (compile time only)
; SGPRBlocks: 0
; VGPRBlocks: 0
; NumSGPRsForWavesPerEU: 4
; NumVGPRsForWavesPerEU: 1
; AccumOffset: 4
; Occupancy: 8
; WaveLimiterHint : 0
; COMPUTE_PGM_RSRC2:SCRATCH_EN: 0
; COMPUTE_PGM_RSRC2:USER_SGPR: 6
; COMPUTE_PGM_RSRC2:TRAP_HANDLER: 0
; COMPUTE_PGM_RSRC2:TGID_X_EN: 1
; COMPUTE_PGM_RSRC2:TGID_Y_EN: 0
; COMPUTE_PGM_RSRC2:TGID_Z_EN: 0
; COMPUTE_PGM_RSRC2:TIDIG_COMP_CNT: 0
; COMPUTE_PGM_RSRC3_GFX90A:ACCUM_OFFSET: 0
; COMPUTE_PGM_RSRC3_GFX90A:TG_SPLIT: 0
	.section	.text._ZN7rocprim17ROCPRIM_400000_NS6detail17trampoline_kernelINS0_14default_configENS1_35radix_sort_onesweep_config_selectorIiNS0_10empty_typeEEEZNS1_34radix_sort_onesweep_global_offsetsIS3_Lb0EPiPS5_mNS0_19identity_decomposerEEE10hipError_tT1_T2_PT3_SE_jT4_jjP12ihipStream_tbEUlT_E_NS1_11comp_targetILNS1_3genE2ELNS1_11target_archE906ELNS1_3gpuE6ELNS1_3repE0EEENS1_52radix_sort_onesweep_histogram_config_static_selectorELNS0_4arch9wavefront6targetE1EEEvSC_,"axG",@progbits,_ZN7rocprim17ROCPRIM_400000_NS6detail17trampoline_kernelINS0_14default_configENS1_35radix_sort_onesweep_config_selectorIiNS0_10empty_typeEEEZNS1_34radix_sort_onesweep_global_offsetsIS3_Lb0EPiPS5_mNS0_19identity_decomposerEEE10hipError_tT1_T2_PT3_SE_jT4_jjP12ihipStream_tbEUlT_E_NS1_11comp_targetILNS1_3genE2ELNS1_11target_archE906ELNS1_3gpuE6ELNS1_3repE0EEENS1_52radix_sort_onesweep_histogram_config_static_selectorELNS0_4arch9wavefront6targetE1EEEvSC_,comdat
	.protected	_ZN7rocprim17ROCPRIM_400000_NS6detail17trampoline_kernelINS0_14default_configENS1_35radix_sort_onesweep_config_selectorIiNS0_10empty_typeEEEZNS1_34radix_sort_onesweep_global_offsetsIS3_Lb0EPiPS5_mNS0_19identity_decomposerEEE10hipError_tT1_T2_PT3_SE_jT4_jjP12ihipStream_tbEUlT_E_NS1_11comp_targetILNS1_3genE2ELNS1_11target_archE906ELNS1_3gpuE6ELNS1_3repE0EEENS1_52radix_sort_onesweep_histogram_config_static_selectorELNS0_4arch9wavefront6targetE1EEEvSC_ ; -- Begin function _ZN7rocprim17ROCPRIM_400000_NS6detail17trampoline_kernelINS0_14default_configENS1_35radix_sort_onesweep_config_selectorIiNS0_10empty_typeEEEZNS1_34radix_sort_onesweep_global_offsetsIS3_Lb0EPiPS5_mNS0_19identity_decomposerEEE10hipError_tT1_T2_PT3_SE_jT4_jjP12ihipStream_tbEUlT_E_NS1_11comp_targetILNS1_3genE2ELNS1_11target_archE906ELNS1_3gpuE6ELNS1_3repE0EEENS1_52radix_sort_onesweep_histogram_config_static_selectorELNS0_4arch9wavefront6targetE1EEEvSC_
	.globl	_ZN7rocprim17ROCPRIM_400000_NS6detail17trampoline_kernelINS0_14default_configENS1_35radix_sort_onesweep_config_selectorIiNS0_10empty_typeEEEZNS1_34radix_sort_onesweep_global_offsetsIS3_Lb0EPiPS5_mNS0_19identity_decomposerEEE10hipError_tT1_T2_PT3_SE_jT4_jjP12ihipStream_tbEUlT_E_NS1_11comp_targetILNS1_3genE2ELNS1_11target_archE906ELNS1_3gpuE6ELNS1_3repE0EEENS1_52radix_sort_onesweep_histogram_config_static_selectorELNS0_4arch9wavefront6targetE1EEEvSC_
	.p2align	8
	.type	_ZN7rocprim17ROCPRIM_400000_NS6detail17trampoline_kernelINS0_14default_configENS1_35radix_sort_onesweep_config_selectorIiNS0_10empty_typeEEEZNS1_34radix_sort_onesweep_global_offsetsIS3_Lb0EPiPS5_mNS0_19identity_decomposerEEE10hipError_tT1_T2_PT3_SE_jT4_jjP12ihipStream_tbEUlT_E_NS1_11comp_targetILNS1_3genE2ELNS1_11target_archE906ELNS1_3gpuE6ELNS1_3repE0EEENS1_52radix_sort_onesweep_histogram_config_static_selectorELNS0_4arch9wavefront6targetE1EEEvSC_,@function
_ZN7rocprim17ROCPRIM_400000_NS6detail17trampoline_kernelINS0_14default_configENS1_35radix_sort_onesweep_config_selectorIiNS0_10empty_typeEEEZNS1_34radix_sort_onesweep_global_offsetsIS3_Lb0EPiPS5_mNS0_19identity_decomposerEEE10hipError_tT1_T2_PT3_SE_jT4_jjP12ihipStream_tbEUlT_E_NS1_11comp_targetILNS1_3genE2ELNS1_11target_archE906ELNS1_3gpuE6ELNS1_3repE0EEENS1_52radix_sort_onesweep_histogram_config_static_selectorELNS0_4arch9wavefront6targetE1EEEvSC_: ; @_ZN7rocprim17ROCPRIM_400000_NS6detail17trampoline_kernelINS0_14default_configENS1_35radix_sort_onesweep_config_selectorIiNS0_10empty_typeEEEZNS1_34radix_sort_onesweep_global_offsetsIS3_Lb0EPiPS5_mNS0_19identity_decomposerEEE10hipError_tT1_T2_PT3_SE_jT4_jjP12ihipStream_tbEUlT_E_NS1_11comp_targetILNS1_3genE2ELNS1_11target_archE906ELNS1_3gpuE6ELNS1_3repE0EEENS1_52radix_sort_onesweep_histogram_config_static_selectorELNS0_4arch9wavefront6targetE1EEEvSC_
; %bb.0:
	.section	.rodata,"a",@progbits
	.p2align	6, 0x0
	.amdhsa_kernel _ZN7rocprim17ROCPRIM_400000_NS6detail17trampoline_kernelINS0_14default_configENS1_35radix_sort_onesweep_config_selectorIiNS0_10empty_typeEEEZNS1_34radix_sort_onesweep_global_offsetsIS3_Lb0EPiPS5_mNS0_19identity_decomposerEEE10hipError_tT1_T2_PT3_SE_jT4_jjP12ihipStream_tbEUlT_E_NS1_11comp_targetILNS1_3genE2ELNS1_11target_archE906ELNS1_3gpuE6ELNS1_3repE0EEENS1_52radix_sort_onesweep_histogram_config_static_selectorELNS0_4arch9wavefront6targetE1EEEvSC_
		.amdhsa_group_segment_fixed_size 0
		.amdhsa_private_segment_fixed_size 0
		.amdhsa_kernarg_size 48
		.amdhsa_user_sgpr_count 6
		.amdhsa_user_sgpr_private_segment_buffer 1
		.amdhsa_user_sgpr_dispatch_ptr 0
		.amdhsa_user_sgpr_queue_ptr 0
		.amdhsa_user_sgpr_kernarg_segment_ptr 1
		.amdhsa_user_sgpr_dispatch_id 0
		.amdhsa_user_sgpr_flat_scratch_init 0
		.amdhsa_user_sgpr_kernarg_preload_length 0
		.amdhsa_user_sgpr_kernarg_preload_offset 0
		.amdhsa_user_sgpr_private_segment_size 0
		.amdhsa_uses_dynamic_stack 0
		.amdhsa_system_sgpr_private_segment_wavefront_offset 0
		.amdhsa_system_sgpr_workgroup_id_x 1
		.amdhsa_system_sgpr_workgroup_id_y 0
		.amdhsa_system_sgpr_workgroup_id_z 0
		.amdhsa_system_sgpr_workgroup_info 0
		.amdhsa_system_vgpr_workitem_id 0
		.amdhsa_next_free_vgpr 1
		.amdhsa_next_free_sgpr 0
		.amdhsa_accum_offset 4
		.amdhsa_reserve_vcc 0
		.amdhsa_reserve_flat_scratch 0
		.amdhsa_float_round_mode_32 0
		.amdhsa_float_round_mode_16_64 0
		.amdhsa_float_denorm_mode_32 3
		.amdhsa_float_denorm_mode_16_64 3
		.amdhsa_dx10_clamp 1
		.amdhsa_ieee_mode 1
		.amdhsa_fp16_overflow 0
		.amdhsa_tg_split 0
		.amdhsa_exception_fp_ieee_invalid_op 0
		.amdhsa_exception_fp_denorm_src 0
		.amdhsa_exception_fp_ieee_div_zero 0
		.amdhsa_exception_fp_ieee_overflow 0
		.amdhsa_exception_fp_ieee_underflow 0
		.amdhsa_exception_fp_ieee_inexact 0
		.amdhsa_exception_int_div_zero 0
	.end_amdhsa_kernel
	.section	.text._ZN7rocprim17ROCPRIM_400000_NS6detail17trampoline_kernelINS0_14default_configENS1_35radix_sort_onesweep_config_selectorIiNS0_10empty_typeEEEZNS1_34radix_sort_onesweep_global_offsetsIS3_Lb0EPiPS5_mNS0_19identity_decomposerEEE10hipError_tT1_T2_PT3_SE_jT4_jjP12ihipStream_tbEUlT_E_NS1_11comp_targetILNS1_3genE2ELNS1_11target_archE906ELNS1_3gpuE6ELNS1_3repE0EEENS1_52radix_sort_onesweep_histogram_config_static_selectorELNS0_4arch9wavefront6targetE1EEEvSC_,"axG",@progbits,_ZN7rocprim17ROCPRIM_400000_NS6detail17trampoline_kernelINS0_14default_configENS1_35radix_sort_onesweep_config_selectorIiNS0_10empty_typeEEEZNS1_34radix_sort_onesweep_global_offsetsIS3_Lb0EPiPS5_mNS0_19identity_decomposerEEE10hipError_tT1_T2_PT3_SE_jT4_jjP12ihipStream_tbEUlT_E_NS1_11comp_targetILNS1_3genE2ELNS1_11target_archE906ELNS1_3gpuE6ELNS1_3repE0EEENS1_52radix_sort_onesweep_histogram_config_static_selectorELNS0_4arch9wavefront6targetE1EEEvSC_,comdat
.Lfunc_end635:
	.size	_ZN7rocprim17ROCPRIM_400000_NS6detail17trampoline_kernelINS0_14default_configENS1_35radix_sort_onesweep_config_selectorIiNS0_10empty_typeEEEZNS1_34radix_sort_onesweep_global_offsetsIS3_Lb0EPiPS5_mNS0_19identity_decomposerEEE10hipError_tT1_T2_PT3_SE_jT4_jjP12ihipStream_tbEUlT_E_NS1_11comp_targetILNS1_3genE2ELNS1_11target_archE906ELNS1_3gpuE6ELNS1_3repE0EEENS1_52radix_sort_onesweep_histogram_config_static_selectorELNS0_4arch9wavefront6targetE1EEEvSC_, .Lfunc_end635-_ZN7rocprim17ROCPRIM_400000_NS6detail17trampoline_kernelINS0_14default_configENS1_35radix_sort_onesweep_config_selectorIiNS0_10empty_typeEEEZNS1_34radix_sort_onesweep_global_offsetsIS3_Lb0EPiPS5_mNS0_19identity_decomposerEEE10hipError_tT1_T2_PT3_SE_jT4_jjP12ihipStream_tbEUlT_E_NS1_11comp_targetILNS1_3genE2ELNS1_11target_archE906ELNS1_3gpuE6ELNS1_3repE0EEENS1_52radix_sort_onesweep_histogram_config_static_selectorELNS0_4arch9wavefront6targetE1EEEvSC_
                                        ; -- End function
	.section	.AMDGPU.csdata,"",@progbits
; Kernel info:
; codeLenInByte = 0
; NumSgprs: 4
; NumVgprs: 0
; NumAgprs: 0
; TotalNumVgprs: 0
; ScratchSize: 0
; MemoryBound: 0
; FloatMode: 240
; IeeeMode: 1
; LDSByteSize: 0 bytes/workgroup (compile time only)
; SGPRBlocks: 0
; VGPRBlocks: 0
; NumSGPRsForWavesPerEU: 4
; NumVGPRsForWavesPerEU: 1
; AccumOffset: 4
; Occupancy: 8
; WaveLimiterHint : 0
; COMPUTE_PGM_RSRC2:SCRATCH_EN: 0
; COMPUTE_PGM_RSRC2:USER_SGPR: 6
; COMPUTE_PGM_RSRC2:TRAP_HANDLER: 0
; COMPUTE_PGM_RSRC2:TGID_X_EN: 1
; COMPUTE_PGM_RSRC2:TGID_Y_EN: 0
; COMPUTE_PGM_RSRC2:TGID_Z_EN: 0
; COMPUTE_PGM_RSRC2:TIDIG_COMP_CNT: 0
; COMPUTE_PGM_RSRC3_GFX90A:ACCUM_OFFSET: 0
; COMPUTE_PGM_RSRC3_GFX90A:TG_SPLIT: 0
	.section	.text._ZN7rocprim17ROCPRIM_400000_NS6detail17trampoline_kernelINS0_14default_configENS1_35radix_sort_onesweep_config_selectorIiNS0_10empty_typeEEEZNS1_34radix_sort_onesweep_global_offsetsIS3_Lb0EPiPS5_mNS0_19identity_decomposerEEE10hipError_tT1_T2_PT3_SE_jT4_jjP12ihipStream_tbEUlT_E_NS1_11comp_targetILNS1_3genE4ELNS1_11target_archE910ELNS1_3gpuE8ELNS1_3repE0EEENS1_52radix_sort_onesweep_histogram_config_static_selectorELNS0_4arch9wavefront6targetE1EEEvSC_,"axG",@progbits,_ZN7rocprim17ROCPRIM_400000_NS6detail17trampoline_kernelINS0_14default_configENS1_35radix_sort_onesweep_config_selectorIiNS0_10empty_typeEEEZNS1_34radix_sort_onesweep_global_offsetsIS3_Lb0EPiPS5_mNS0_19identity_decomposerEEE10hipError_tT1_T2_PT3_SE_jT4_jjP12ihipStream_tbEUlT_E_NS1_11comp_targetILNS1_3genE4ELNS1_11target_archE910ELNS1_3gpuE8ELNS1_3repE0EEENS1_52radix_sort_onesweep_histogram_config_static_selectorELNS0_4arch9wavefront6targetE1EEEvSC_,comdat
	.protected	_ZN7rocprim17ROCPRIM_400000_NS6detail17trampoline_kernelINS0_14default_configENS1_35radix_sort_onesweep_config_selectorIiNS0_10empty_typeEEEZNS1_34radix_sort_onesweep_global_offsetsIS3_Lb0EPiPS5_mNS0_19identity_decomposerEEE10hipError_tT1_T2_PT3_SE_jT4_jjP12ihipStream_tbEUlT_E_NS1_11comp_targetILNS1_3genE4ELNS1_11target_archE910ELNS1_3gpuE8ELNS1_3repE0EEENS1_52radix_sort_onesweep_histogram_config_static_selectorELNS0_4arch9wavefront6targetE1EEEvSC_ ; -- Begin function _ZN7rocprim17ROCPRIM_400000_NS6detail17trampoline_kernelINS0_14default_configENS1_35radix_sort_onesweep_config_selectorIiNS0_10empty_typeEEEZNS1_34radix_sort_onesweep_global_offsetsIS3_Lb0EPiPS5_mNS0_19identity_decomposerEEE10hipError_tT1_T2_PT3_SE_jT4_jjP12ihipStream_tbEUlT_E_NS1_11comp_targetILNS1_3genE4ELNS1_11target_archE910ELNS1_3gpuE8ELNS1_3repE0EEENS1_52radix_sort_onesweep_histogram_config_static_selectorELNS0_4arch9wavefront6targetE1EEEvSC_
	.globl	_ZN7rocprim17ROCPRIM_400000_NS6detail17trampoline_kernelINS0_14default_configENS1_35radix_sort_onesweep_config_selectorIiNS0_10empty_typeEEEZNS1_34radix_sort_onesweep_global_offsetsIS3_Lb0EPiPS5_mNS0_19identity_decomposerEEE10hipError_tT1_T2_PT3_SE_jT4_jjP12ihipStream_tbEUlT_E_NS1_11comp_targetILNS1_3genE4ELNS1_11target_archE910ELNS1_3gpuE8ELNS1_3repE0EEENS1_52radix_sort_onesweep_histogram_config_static_selectorELNS0_4arch9wavefront6targetE1EEEvSC_
	.p2align	8
	.type	_ZN7rocprim17ROCPRIM_400000_NS6detail17trampoline_kernelINS0_14default_configENS1_35radix_sort_onesweep_config_selectorIiNS0_10empty_typeEEEZNS1_34radix_sort_onesweep_global_offsetsIS3_Lb0EPiPS5_mNS0_19identity_decomposerEEE10hipError_tT1_T2_PT3_SE_jT4_jjP12ihipStream_tbEUlT_E_NS1_11comp_targetILNS1_3genE4ELNS1_11target_archE910ELNS1_3gpuE8ELNS1_3repE0EEENS1_52radix_sort_onesweep_histogram_config_static_selectorELNS0_4arch9wavefront6targetE1EEEvSC_,@function
_ZN7rocprim17ROCPRIM_400000_NS6detail17trampoline_kernelINS0_14default_configENS1_35radix_sort_onesweep_config_selectorIiNS0_10empty_typeEEEZNS1_34radix_sort_onesweep_global_offsetsIS3_Lb0EPiPS5_mNS0_19identity_decomposerEEE10hipError_tT1_T2_PT3_SE_jT4_jjP12ihipStream_tbEUlT_E_NS1_11comp_targetILNS1_3genE4ELNS1_11target_archE910ELNS1_3gpuE8ELNS1_3repE0EEENS1_52radix_sort_onesweep_histogram_config_static_selectorELNS0_4arch9wavefront6targetE1EEEvSC_: ; @_ZN7rocprim17ROCPRIM_400000_NS6detail17trampoline_kernelINS0_14default_configENS1_35radix_sort_onesweep_config_selectorIiNS0_10empty_typeEEEZNS1_34radix_sort_onesweep_global_offsetsIS3_Lb0EPiPS5_mNS0_19identity_decomposerEEE10hipError_tT1_T2_PT3_SE_jT4_jjP12ihipStream_tbEUlT_E_NS1_11comp_targetILNS1_3genE4ELNS1_11target_archE910ELNS1_3gpuE8ELNS1_3repE0EEENS1_52radix_sort_onesweep_histogram_config_static_selectorELNS0_4arch9wavefront6targetE1EEEvSC_
; %bb.0:
	s_load_dwordx2 s[10:11], s[4:5], 0x18
	s_load_dwordx4 s[0:3], s[4:5], 0x0
	s_load_dwordx2 s[8:9], s[4:5], 0x24
	v_mov_b32_e32 v2, s6
	v_mov_b32_e32 v3, 0
	s_mul_hi_u32 s7, s6, 0xc000
	s_mul_i32 s6, s6, 0xc000
	s_waitcnt lgkmcnt(0)
	v_cmp_le_u64_e32 vcc, s[10:11], v[2:3]
	s_add_u32 s6, s0, s6
	s_addc_u32 s7, s1, s7
	s_mov_b64 s[0:1], -1
	s_cbranch_vccz .LBB636_235
; %bb.1:
	s_load_dword s16, s[4:5], 0x10
	s_mul_i32 s0, s10, 0xffffd000
                                        ; implicit-def: $vgpr24
	s_waitcnt lgkmcnt(0)
	s_add_i32 s16, s16, s0
	v_cmp_gt_u32_e32 vcc, s16, v0
	s_and_saveexec_b64 s[0:1], vcc
	s_cbranch_execz .LBB636_3
; %bb.2:
	v_lshlrev_b32_e32 v1, 2, v0
	global_load_dword v24, v1, s[6:7]
.LBB636_3:
	s_or_b64 exec, exec, s[0:1]
	v_or_b32_e32 v22, 0x400, v0
	v_cmp_gt_u32_e32 vcc, s16, v22
                                        ; implicit-def: $vgpr23
	s_and_saveexec_b64 s[0:1], vcc
	s_cbranch_execz .LBB636_5
; %bb.4:
	v_lshlrev_b32_e32 v1, 2, v22
	global_load_dword v23, v1, s[6:7]
.LBB636_5:
	s_or_b64 exec, exec, s[0:1]
	v_or_b32_e32 v20, 0x800, v0
	v_cmp_gt_u32_e32 vcc, s16, v20
                                        ; implicit-def: $vgpr21
	s_and_saveexec_b64 s[0:1], vcc
	s_cbranch_execz .LBB636_7
; %bb.6:
	v_lshlrev_b32_e32 v1, 2, v20
	global_load_dword v21, v1, s[6:7]
.LBB636_7:
	s_or_b64 exec, exec, s[0:1]
	v_or_b32_e32 v18, 0xc00, v0
	v_cmp_gt_u32_e32 vcc, s16, v18
                                        ; implicit-def: $vgpr19
	s_and_saveexec_b64 s[0:1], vcc
	s_cbranch_execz .LBB636_9
; %bb.8:
	v_lshlrev_b32_e32 v1, 2, v18
	global_load_dword v19, v1, s[6:7]
.LBB636_9:
	s_or_b64 exec, exec, s[0:1]
	v_or_b32_e32 v16, 0x1000, v0
	v_cmp_gt_u32_e32 vcc, s16, v16
                                        ; implicit-def: $vgpr17
	s_and_saveexec_b64 s[0:1], vcc
	s_cbranch_execz .LBB636_11
; %bb.10:
	v_lshlrev_b32_e32 v1, 2, v16
	global_load_dword v17, v1, s[6:7]
.LBB636_11:
	s_or_b64 exec, exec, s[0:1]
	v_or_b32_e32 v14, 0x1400, v0
	v_cmp_gt_u32_e32 vcc, s16, v14
                                        ; implicit-def: $vgpr15
	s_and_saveexec_b64 s[0:1], vcc
	s_cbranch_execz .LBB636_13
; %bb.12:
	v_lshlrev_b32_e32 v1, 2, v14
	global_load_dword v15, v1, s[6:7]
.LBB636_13:
	s_or_b64 exec, exec, s[0:1]
	v_or_b32_e32 v12, 0x1800, v0
	v_cmp_gt_u32_e32 vcc, s16, v12
                                        ; implicit-def: $vgpr13
	s_and_saveexec_b64 s[0:1], vcc
	s_cbranch_execz .LBB636_15
; %bb.14:
	v_lshlrev_b32_e32 v1, 2, v12
	global_load_dword v13, v1, s[6:7]
.LBB636_15:
	s_or_b64 exec, exec, s[0:1]
	v_or_b32_e32 v10, 0x1c00, v0
	v_cmp_gt_u32_e32 vcc, s16, v10
                                        ; implicit-def: $vgpr11
	s_and_saveexec_b64 s[0:1], vcc
	s_cbranch_execz .LBB636_17
; %bb.16:
	v_lshlrev_b32_e32 v1, 2, v10
	global_load_dword v11, v1, s[6:7]
.LBB636_17:
	s_or_b64 exec, exec, s[0:1]
	v_or_b32_e32 v8, 0x2000, v0
	v_cmp_gt_u32_e32 vcc, s16, v8
                                        ; implicit-def: $vgpr9
	s_and_saveexec_b64 s[0:1], vcc
	s_cbranch_execz .LBB636_19
; %bb.18:
	v_lshlrev_b32_e32 v1, 2, v8
	global_load_dword v9, v1, s[6:7]
.LBB636_19:
	s_or_b64 exec, exec, s[0:1]
	v_or_b32_e32 v6, 0x2400, v0
	v_cmp_gt_u32_e32 vcc, s16, v6
                                        ; implicit-def: $vgpr7
	s_and_saveexec_b64 s[0:1], vcc
	s_cbranch_execz .LBB636_21
; %bb.20:
	v_lshlrev_b32_e32 v1, 2, v6
	global_load_dword v7, v1, s[6:7]
.LBB636_21:
	s_or_b64 exec, exec, s[0:1]
	v_or_b32_e32 v4, 0x2800, v0
	v_cmp_gt_u32_e32 vcc, s16, v4
                                        ; implicit-def: $vgpr5
	s_and_saveexec_b64 s[0:1], vcc
	s_cbranch_execz .LBB636_23
; %bb.22:
	v_lshlrev_b32_e32 v1, 2, v4
	global_load_dword v5, v1, s[6:7]
.LBB636_23:
	s_or_b64 exec, exec, s[0:1]
	v_or_b32_e32 v2, 0x2c00, v0
	v_cmp_gt_u32_e32 vcc, s16, v2
                                        ; implicit-def: $vgpr3
	s_and_saveexec_b64 s[0:1], vcc
	s_cbranch_execz .LBB636_25
; %bb.24:
	v_lshlrev_b32_e32 v1, 2, v2
	global_load_dword v3, v1, s[6:7]
.LBB636_25:
	s_or_b64 exec, exec, s[0:1]
	s_cmp_le_u32 s9, s8
	s_cselect_b64 s[4:5], -1, 0
	v_cmp_le_u32_e32 vcc, s16, v0
	s_and_b64 s[0:1], s[4:5], exec
	v_lshlrev_b32_e32 v25, 2, v0
	v_mov_b32_e32 v26, 0
	s_cselect_b32 s17, 8, 10
	s_or_b64 s[0:1], s[4:5], vcc
	v_and_b32_e32 v1, 3, v0
	ds_write2st64_b32 v25, v26, v26 offset1:16
	ds_write2st64_b32 v25, v26, v26 offset0:32 offset1:48
	s_waitcnt vmcnt(0)
	v_xor_b32_e32 v24, 0x80000000, v24
	s_xor_b64 s[10:11], s[0:1], -1
	v_mov_b32_e32 v25, s17
	s_waitcnt lgkmcnt(0)
	s_barrier
	s_and_saveexec_b64 s[0:1], s[10:11]
	s_cbranch_execz .LBB636_27
; %bb.26:
	s_sub_i32 s10, s9, s8
	s_min_u32 s10, s10, 8
	v_lshrrev_b32_e32 v25, s8, v24
	v_bfe_u32 v25, v25, 0, s10
	v_lshlrev_b32_e32 v26, 2, v1
	v_lshl_or_b32 v25, v25, 4, v26
	v_mov_b32_e32 v26, 1
	ds_add_u32 v25, v26
	v_mov_b32_e32 v25, 0
.LBB636_27:
	s_or_b64 exec, exec, s[0:1]
	v_cmp_gt_i32_e64 s[0:1], 10, v25
	s_mov_b64 s[12:13], -1
	s_and_saveexec_b64 s[10:11], s[0:1]
; %bb.28:
	v_cmp_eq_u32_e64 s[0:1], 0, v25
	s_orn2_b64 s[12:13], s[0:1], exec
; %bb.29:
	s_or_b64 exec, exec, s[10:11]
	s_and_saveexec_b64 s[10:11], s[12:13]
	s_cbranch_execz .LBB636_42
; %bb.30:
	s_add_i32 s12, s8, 8
	s_cmp_le_u32 s9, s12
	s_cselect_b64 s[0:1], -1, 0
	s_and_b64 s[14:15], s[0:1], exec
	s_cselect_b32 s13, 8, 10
	s_or_b64 s[0:1], s[0:1], vcc
	s_xor_b64 s[14:15], s[0:1], -1
	v_mov_b32_e32 v25, s13
	s_and_saveexec_b64 s[0:1], s[14:15]
	s_cbranch_execz .LBB636_32
; %bb.31:
	s_sub_i32 s13, s9, s12
	s_min_u32 s13, s13, 8
	v_lshrrev_b32_e32 v25, s12, v24
	v_bfe_u32 v25, v25, 0, s13
	v_lshlrev_b32_e32 v26, 2, v1
	v_lshl_or_b32 v25, v25, 4, v26
	v_mov_b32_e32 v26, 1
	ds_add_u32 v25, v26 offset:4096
	v_mov_b32_e32 v25, 0
.LBB636_32:
	s_or_b64 exec, exec, s[0:1]
	v_cmp_gt_i32_e64 s[0:1], 10, v25
	s_mov_b64 s[12:13], -1
	s_and_saveexec_b64 s[14:15], s[0:1]
; %bb.33:
	v_cmp_eq_u32_e64 s[0:1], 0, v25
	s_orn2_b64 s[12:13], s[0:1], exec
; %bb.34:
	s_or_b64 exec, exec, s[14:15]
	s_and_b64 exec, exec, s[12:13]
	s_cbranch_execz .LBB636_42
; %bb.35:
	s_add_i32 s12, s8, 16
	s_cmp_le_u32 s9, s12
	s_cselect_b64 s[0:1], -1, 0
	s_and_b64 s[14:15], s[0:1], exec
	s_cselect_b32 s13, 8, 10
	s_or_b64 s[0:1], s[0:1], vcc
	s_xor_b64 s[14:15], s[0:1], -1
	v_mov_b32_e32 v25, s13
	s_and_saveexec_b64 s[0:1], s[14:15]
	s_cbranch_execz .LBB636_37
; %bb.36:
	s_sub_i32 s13, s9, s12
	s_min_u32 s13, s13, 8
	v_lshrrev_b32_e32 v25, s12, v24
	v_bfe_u32 v25, v25, 0, s13
	v_lshlrev_b32_e32 v26, 2, v1
	v_lshl_or_b32 v25, v25, 4, v26
	v_mov_b32_e32 v26, 1
	ds_add_u32 v25, v26 offset:8192
	v_mov_b32_e32 v25, 0
.LBB636_37:
	s_or_b64 exec, exec, s[0:1]
	v_cmp_gt_i32_e64 s[0:1], 10, v25
	s_mov_b64 s[12:13], -1
	s_and_saveexec_b64 s[14:15], s[0:1]
; %bb.38:
	v_cmp_eq_u32_e64 s[0:1], 0, v25
	s_orn2_b64 s[12:13], s[0:1], exec
; %bb.39:
	s_or_b64 exec, exec, s[14:15]
	s_and_b64 exec, exec, s[12:13]
	s_cbranch_execz .LBB636_42
; %bb.40:
	s_add_i32 s0, s8, 24
	s_cmp_gt_u32 s9, s0
	s_cselect_b64 s[12:13], -1, 0
	s_xor_b64 s[14:15], vcc, -1
	s_and_b64 s[12:13], s[12:13], s[14:15]
	s_and_b64 exec, exec, s[12:13]
	s_cbranch_execz .LBB636_42
; %bb.41:
	s_sub_i32 s1, s9, s0
	s_min_u32 s1, s1, 8
	v_lshrrev_b32_e32 v24, s0, v24
	v_bfe_u32 v24, v24, 0, s1
	v_lshlrev_b32_e32 v25, 2, v1
	v_lshl_or_b32 v24, v24, 4, v25
	v_mov_b32_e32 v25, 1
	ds_add_u32 v24, v25 offset:12288
.LBB636_42:
	s_or_b64 exec, exec, s[10:11]
	v_cmp_le_u32_e32 vcc, s16, v22
	s_or_b64 s[0:1], s[4:5], vcc
	v_xor_b32_e32 v23, 0x80000000, v23
	s_xor_b64 s[10:11], s[0:1], -1
	v_mov_b32_e32 v22, s17
	s_and_saveexec_b64 s[0:1], s[10:11]
	s_cbranch_execz .LBB636_44
; %bb.43:
	s_sub_i32 s10, s9, s8
	s_min_u32 s10, s10, 8
	v_lshrrev_b32_e32 v22, s8, v23
	v_bfe_u32 v22, v22, 0, s10
	v_lshlrev_b32_e32 v24, 2, v1
	v_lshl_or_b32 v22, v22, 4, v24
	v_mov_b32_e32 v24, 1
	ds_add_u32 v22, v24
	v_mov_b32_e32 v22, 0
.LBB636_44:
	s_or_b64 exec, exec, s[0:1]
	v_cmp_gt_i32_e64 s[0:1], 10, v22
	s_mov_b64 s[12:13], -1
	s_and_saveexec_b64 s[10:11], s[0:1]
; %bb.45:
	v_cmp_eq_u32_e64 s[0:1], 0, v22
	s_orn2_b64 s[12:13], s[0:1], exec
; %bb.46:
	s_or_b64 exec, exec, s[10:11]
	s_and_saveexec_b64 s[10:11], s[12:13]
	s_cbranch_execz .LBB636_59
; %bb.47:
	s_add_i32 s12, s8, 8
	s_cmp_le_u32 s9, s12
	s_cselect_b64 s[0:1], -1, 0
	s_and_b64 s[14:15], s[0:1], exec
	s_cselect_b32 s13, 8, 10
	s_or_b64 s[0:1], s[0:1], vcc
	s_xor_b64 s[14:15], s[0:1], -1
	v_mov_b32_e32 v22, s13
	s_and_saveexec_b64 s[0:1], s[14:15]
	s_cbranch_execz .LBB636_49
; %bb.48:
	s_sub_i32 s13, s9, s12
	s_min_u32 s13, s13, 8
	v_lshrrev_b32_e32 v22, s12, v23
	v_bfe_u32 v22, v22, 0, s13
	v_lshlrev_b32_e32 v24, 2, v1
	v_lshl_or_b32 v22, v22, 4, v24
	v_mov_b32_e32 v24, 1
	ds_add_u32 v22, v24 offset:4096
	v_mov_b32_e32 v22, 0
.LBB636_49:
	s_or_b64 exec, exec, s[0:1]
	v_cmp_gt_i32_e64 s[0:1], 10, v22
	s_mov_b64 s[12:13], -1
	s_and_saveexec_b64 s[14:15], s[0:1]
; %bb.50:
	v_cmp_eq_u32_e64 s[0:1], 0, v22
	s_orn2_b64 s[12:13], s[0:1], exec
; %bb.51:
	s_or_b64 exec, exec, s[14:15]
	s_and_b64 exec, exec, s[12:13]
	s_cbranch_execz .LBB636_59
; %bb.52:
	s_add_i32 s12, s8, 16
	s_cmp_le_u32 s9, s12
	s_cselect_b64 s[0:1], -1, 0
	s_and_b64 s[14:15], s[0:1], exec
	s_cselect_b32 s13, 8, 10
	s_or_b64 s[0:1], s[0:1], vcc
	s_xor_b64 s[14:15], s[0:1], -1
	v_mov_b32_e32 v22, s13
	s_and_saveexec_b64 s[0:1], s[14:15]
	s_cbranch_execz .LBB636_54
; %bb.53:
	s_sub_i32 s13, s9, s12
	s_min_u32 s13, s13, 8
	v_lshrrev_b32_e32 v22, s12, v23
	v_bfe_u32 v22, v22, 0, s13
	v_lshlrev_b32_e32 v24, 2, v1
	v_lshl_or_b32 v22, v22, 4, v24
	v_mov_b32_e32 v24, 1
	ds_add_u32 v22, v24 offset:8192
	v_mov_b32_e32 v22, 0
.LBB636_54:
	s_or_b64 exec, exec, s[0:1]
	v_cmp_gt_i32_e64 s[0:1], 10, v22
	s_mov_b64 s[12:13], -1
	s_and_saveexec_b64 s[14:15], s[0:1]
; %bb.55:
	v_cmp_eq_u32_e64 s[0:1], 0, v22
	s_orn2_b64 s[12:13], s[0:1], exec
; %bb.56:
	s_or_b64 exec, exec, s[14:15]
	s_and_b64 exec, exec, s[12:13]
	s_cbranch_execz .LBB636_59
; %bb.57:
	s_add_i32 s0, s8, 24
	s_cmp_gt_u32 s9, s0
	s_cselect_b64 s[12:13], -1, 0
	s_xor_b64 s[14:15], vcc, -1
	s_and_b64 s[12:13], s[12:13], s[14:15]
	s_and_b64 exec, exec, s[12:13]
	s_cbranch_execz .LBB636_59
; %bb.58:
	s_sub_i32 s1, s9, s0
	s_min_u32 s1, s1, 8
	v_lshrrev_b32_e32 v22, s0, v23
	v_bfe_u32 v22, v22, 0, s1
	v_lshlrev_b32_e32 v23, 2, v1
	v_lshl_or_b32 v22, v22, 4, v23
	v_mov_b32_e32 v23, 1
	ds_add_u32 v22, v23 offset:12288
.LBB636_59:
	s_or_b64 exec, exec, s[10:11]
	v_cmp_le_u32_e32 vcc, s16, v20
	s_or_b64 s[0:1], s[4:5], vcc
	v_xor_b32_e32 v21, 0x80000000, v21
	s_xor_b64 s[10:11], s[0:1], -1
	v_mov_b32_e32 v20, s17
	s_and_saveexec_b64 s[0:1], s[10:11]
	s_cbranch_execz .LBB636_61
; %bb.60:
	s_sub_i32 s10, s9, s8
	s_min_u32 s10, s10, 8
	v_lshrrev_b32_e32 v20, s8, v21
	v_bfe_u32 v20, v20, 0, s10
	v_lshlrev_b32_e32 v22, 2, v1
	v_lshl_or_b32 v20, v20, 4, v22
	v_mov_b32_e32 v22, 1
	ds_add_u32 v20, v22
	v_mov_b32_e32 v20, 0
.LBB636_61:
	s_or_b64 exec, exec, s[0:1]
	v_cmp_gt_i32_e64 s[0:1], 10, v20
	s_mov_b64 s[12:13], -1
	s_and_saveexec_b64 s[10:11], s[0:1]
; %bb.62:
	v_cmp_eq_u32_e64 s[0:1], 0, v20
	s_orn2_b64 s[12:13], s[0:1], exec
; %bb.63:
	s_or_b64 exec, exec, s[10:11]
	s_and_saveexec_b64 s[10:11], s[12:13]
	s_cbranch_execz .LBB636_76
; %bb.64:
	s_add_i32 s12, s8, 8
	s_cmp_le_u32 s9, s12
	s_cselect_b64 s[0:1], -1, 0
	s_and_b64 s[14:15], s[0:1], exec
	s_cselect_b32 s13, 8, 10
	s_or_b64 s[0:1], s[0:1], vcc
	s_xor_b64 s[14:15], s[0:1], -1
	v_mov_b32_e32 v20, s13
	s_and_saveexec_b64 s[0:1], s[14:15]
	s_cbranch_execz .LBB636_66
; %bb.65:
	s_sub_i32 s13, s9, s12
	s_min_u32 s13, s13, 8
	v_lshrrev_b32_e32 v20, s12, v21
	v_bfe_u32 v20, v20, 0, s13
	v_lshlrev_b32_e32 v22, 2, v1
	v_lshl_or_b32 v20, v20, 4, v22
	v_mov_b32_e32 v22, 1
	ds_add_u32 v20, v22 offset:4096
	v_mov_b32_e32 v20, 0
.LBB636_66:
	s_or_b64 exec, exec, s[0:1]
	v_cmp_gt_i32_e64 s[0:1], 10, v20
	s_mov_b64 s[12:13], -1
	s_and_saveexec_b64 s[14:15], s[0:1]
; %bb.67:
	v_cmp_eq_u32_e64 s[0:1], 0, v20
	s_orn2_b64 s[12:13], s[0:1], exec
; %bb.68:
	s_or_b64 exec, exec, s[14:15]
	s_and_b64 exec, exec, s[12:13]
	s_cbranch_execz .LBB636_76
; %bb.69:
	s_add_i32 s12, s8, 16
	s_cmp_le_u32 s9, s12
	s_cselect_b64 s[0:1], -1, 0
	s_and_b64 s[14:15], s[0:1], exec
	s_cselect_b32 s13, 8, 10
	s_or_b64 s[0:1], s[0:1], vcc
	s_xor_b64 s[14:15], s[0:1], -1
	v_mov_b32_e32 v20, s13
	s_and_saveexec_b64 s[0:1], s[14:15]
	s_cbranch_execz .LBB636_71
; %bb.70:
	s_sub_i32 s13, s9, s12
	s_min_u32 s13, s13, 8
	v_lshrrev_b32_e32 v20, s12, v21
	v_bfe_u32 v20, v20, 0, s13
	v_lshlrev_b32_e32 v22, 2, v1
	v_lshl_or_b32 v20, v20, 4, v22
	v_mov_b32_e32 v22, 1
	ds_add_u32 v20, v22 offset:8192
	v_mov_b32_e32 v20, 0
.LBB636_71:
	s_or_b64 exec, exec, s[0:1]
	v_cmp_gt_i32_e64 s[0:1], 10, v20
	s_mov_b64 s[12:13], -1
	s_and_saveexec_b64 s[14:15], s[0:1]
; %bb.72:
	v_cmp_eq_u32_e64 s[0:1], 0, v20
	s_orn2_b64 s[12:13], s[0:1], exec
; %bb.73:
	s_or_b64 exec, exec, s[14:15]
	s_and_b64 exec, exec, s[12:13]
	s_cbranch_execz .LBB636_76
; %bb.74:
	s_add_i32 s0, s8, 24
	s_cmp_gt_u32 s9, s0
	s_cselect_b64 s[12:13], -1, 0
	s_xor_b64 s[14:15], vcc, -1
	s_and_b64 s[12:13], s[12:13], s[14:15]
	s_and_b64 exec, exec, s[12:13]
	s_cbranch_execz .LBB636_76
; %bb.75:
	s_sub_i32 s1, s9, s0
	s_min_u32 s1, s1, 8
	v_lshrrev_b32_e32 v20, s0, v21
	v_bfe_u32 v20, v20, 0, s1
	v_lshlrev_b32_e32 v21, 2, v1
	v_lshl_or_b32 v20, v20, 4, v21
	v_mov_b32_e32 v21, 1
	ds_add_u32 v20, v21 offset:12288
.LBB636_76:
	s_or_b64 exec, exec, s[10:11]
	v_cmp_le_u32_e32 vcc, s16, v18
	s_or_b64 s[0:1], s[4:5], vcc
	v_xor_b32_e32 v19, 0x80000000, v19
	s_xor_b64 s[10:11], s[0:1], -1
	v_mov_b32_e32 v18, s17
	s_and_saveexec_b64 s[0:1], s[10:11]
	s_cbranch_execz .LBB636_78
; %bb.77:
	s_sub_i32 s10, s9, s8
	s_min_u32 s10, s10, 8
	v_lshrrev_b32_e32 v18, s8, v19
	v_bfe_u32 v18, v18, 0, s10
	v_lshlrev_b32_e32 v20, 2, v1
	v_lshl_or_b32 v18, v18, 4, v20
	v_mov_b32_e32 v20, 1
	ds_add_u32 v18, v20
	v_mov_b32_e32 v18, 0
.LBB636_78:
	s_or_b64 exec, exec, s[0:1]
	v_cmp_gt_i32_e64 s[0:1], 10, v18
	s_mov_b64 s[12:13], -1
	s_and_saveexec_b64 s[10:11], s[0:1]
; %bb.79:
	v_cmp_eq_u32_e64 s[0:1], 0, v18
	s_orn2_b64 s[12:13], s[0:1], exec
; %bb.80:
	s_or_b64 exec, exec, s[10:11]
	s_and_saveexec_b64 s[10:11], s[12:13]
	s_cbranch_execz .LBB636_93
; %bb.81:
	s_add_i32 s12, s8, 8
	s_cmp_le_u32 s9, s12
	s_cselect_b64 s[0:1], -1, 0
	s_and_b64 s[14:15], s[0:1], exec
	s_cselect_b32 s13, 8, 10
	s_or_b64 s[0:1], s[0:1], vcc
	s_xor_b64 s[14:15], s[0:1], -1
	v_mov_b32_e32 v18, s13
	s_and_saveexec_b64 s[0:1], s[14:15]
	s_cbranch_execz .LBB636_83
; %bb.82:
	s_sub_i32 s13, s9, s12
	s_min_u32 s13, s13, 8
	v_lshrrev_b32_e32 v18, s12, v19
	v_bfe_u32 v18, v18, 0, s13
	v_lshlrev_b32_e32 v20, 2, v1
	v_lshl_or_b32 v18, v18, 4, v20
	v_mov_b32_e32 v20, 1
	ds_add_u32 v18, v20 offset:4096
	v_mov_b32_e32 v18, 0
.LBB636_83:
	s_or_b64 exec, exec, s[0:1]
	v_cmp_gt_i32_e64 s[0:1], 10, v18
	s_mov_b64 s[12:13], -1
	s_and_saveexec_b64 s[14:15], s[0:1]
; %bb.84:
	v_cmp_eq_u32_e64 s[0:1], 0, v18
	s_orn2_b64 s[12:13], s[0:1], exec
; %bb.85:
	s_or_b64 exec, exec, s[14:15]
	s_and_b64 exec, exec, s[12:13]
	s_cbranch_execz .LBB636_93
; %bb.86:
	s_add_i32 s12, s8, 16
	s_cmp_le_u32 s9, s12
	s_cselect_b64 s[0:1], -1, 0
	s_and_b64 s[14:15], s[0:1], exec
	s_cselect_b32 s13, 8, 10
	s_or_b64 s[0:1], s[0:1], vcc
	s_xor_b64 s[14:15], s[0:1], -1
	v_mov_b32_e32 v18, s13
	s_and_saveexec_b64 s[0:1], s[14:15]
	s_cbranch_execz .LBB636_88
; %bb.87:
	s_sub_i32 s13, s9, s12
	s_min_u32 s13, s13, 8
	v_lshrrev_b32_e32 v18, s12, v19
	v_bfe_u32 v18, v18, 0, s13
	v_lshlrev_b32_e32 v20, 2, v1
	v_lshl_or_b32 v18, v18, 4, v20
	v_mov_b32_e32 v20, 1
	ds_add_u32 v18, v20 offset:8192
	v_mov_b32_e32 v18, 0
.LBB636_88:
	s_or_b64 exec, exec, s[0:1]
	v_cmp_gt_i32_e64 s[0:1], 10, v18
	s_mov_b64 s[12:13], -1
	s_and_saveexec_b64 s[14:15], s[0:1]
; %bb.89:
	v_cmp_eq_u32_e64 s[0:1], 0, v18
	s_orn2_b64 s[12:13], s[0:1], exec
; %bb.90:
	s_or_b64 exec, exec, s[14:15]
	s_and_b64 exec, exec, s[12:13]
	s_cbranch_execz .LBB636_93
; %bb.91:
	s_add_i32 s0, s8, 24
	s_cmp_gt_u32 s9, s0
	s_cselect_b64 s[12:13], -1, 0
	s_xor_b64 s[14:15], vcc, -1
	s_and_b64 s[12:13], s[12:13], s[14:15]
	s_and_b64 exec, exec, s[12:13]
	s_cbranch_execz .LBB636_93
; %bb.92:
	s_sub_i32 s1, s9, s0
	s_min_u32 s1, s1, 8
	v_lshrrev_b32_e32 v18, s0, v19
	v_bfe_u32 v18, v18, 0, s1
	v_lshlrev_b32_e32 v19, 2, v1
	v_lshl_or_b32 v18, v18, 4, v19
	v_mov_b32_e32 v19, 1
	ds_add_u32 v18, v19 offset:12288
.LBB636_93:
	s_or_b64 exec, exec, s[10:11]
	v_cmp_le_u32_e32 vcc, s16, v16
	s_or_b64 s[0:1], s[4:5], vcc
	v_xor_b32_e32 v17, 0x80000000, v17
	s_xor_b64 s[10:11], s[0:1], -1
	v_mov_b32_e32 v16, s17
	s_and_saveexec_b64 s[0:1], s[10:11]
	s_cbranch_execz .LBB636_95
; %bb.94:
	s_sub_i32 s10, s9, s8
	s_min_u32 s10, s10, 8
	v_lshrrev_b32_e32 v16, s8, v17
	v_bfe_u32 v16, v16, 0, s10
	v_lshlrev_b32_e32 v18, 2, v1
	v_lshl_or_b32 v16, v16, 4, v18
	v_mov_b32_e32 v18, 1
	ds_add_u32 v16, v18
	v_mov_b32_e32 v16, 0
.LBB636_95:
	s_or_b64 exec, exec, s[0:1]
	v_cmp_gt_i32_e64 s[0:1], 10, v16
	s_mov_b64 s[12:13], -1
	s_and_saveexec_b64 s[10:11], s[0:1]
; %bb.96:
	v_cmp_eq_u32_e64 s[0:1], 0, v16
	s_orn2_b64 s[12:13], s[0:1], exec
; %bb.97:
	s_or_b64 exec, exec, s[10:11]
	s_and_saveexec_b64 s[10:11], s[12:13]
	s_cbranch_execz .LBB636_110
; %bb.98:
	s_add_i32 s12, s8, 8
	s_cmp_le_u32 s9, s12
	s_cselect_b64 s[0:1], -1, 0
	s_and_b64 s[14:15], s[0:1], exec
	s_cselect_b32 s13, 8, 10
	s_or_b64 s[0:1], s[0:1], vcc
	s_xor_b64 s[14:15], s[0:1], -1
	v_mov_b32_e32 v16, s13
	s_and_saveexec_b64 s[0:1], s[14:15]
	s_cbranch_execz .LBB636_100
; %bb.99:
	s_sub_i32 s13, s9, s12
	s_min_u32 s13, s13, 8
	v_lshrrev_b32_e32 v16, s12, v17
	v_bfe_u32 v16, v16, 0, s13
	v_lshlrev_b32_e32 v18, 2, v1
	v_lshl_or_b32 v16, v16, 4, v18
	v_mov_b32_e32 v18, 1
	ds_add_u32 v16, v18 offset:4096
	v_mov_b32_e32 v16, 0
.LBB636_100:
	s_or_b64 exec, exec, s[0:1]
	v_cmp_gt_i32_e64 s[0:1], 10, v16
	s_mov_b64 s[12:13], -1
	s_and_saveexec_b64 s[14:15], s[0:1]
; %bb.101:
	v_cmp_eq_u32_e64 s[0:1], 0, v16
	s_orn2_b64 s[12:13], s[0:1], exec
; %bb.102:
	s_or_b64 exec, exec, s[14:15]
	s_and_b64 exec, exec, s[12:13]
	s_cbranch_execz .LBB636_110
; %bb.103:
	s_add_i32 s12, s8, 16
	s_cmp_le_u32 s9, s12
	s_cselect_b64 s[0:1], -1, 0
	s_and_b64 s[14:15], s[0:1], exec
	s_cselect_b32 s13, 8, 10
	s_or_b64 s[0:1], s[0:1], vcc
	s_xor_b64 s[14:15], s[0:1], -1
	v_mov_b32_e32 v16, s13
	s_and_saveexec_b64 s[0:1], s[14:15]
	s_cbranch_execz .LBB636_105
; %bb.104:
	s_sub_i32 s13, s9, s12
	s_min_u32 s13, s13, 8
	v_lshrrev_b32_e32 v16, s12, v17
	v_bfe_u32 v16, v16, 0, s13
	v_lshlrev_b32_e32 v18, 2, v1
	v_lshl_or_b32 v16, v16, 4, v18
	v_mov_b32_e32 v18, 1
	ds_add_u32 v16, v18 offset:8192
	v_mov_b32_e32 v16, 0
.LBB636_105:
	s_or_b64 exec, exec, s[0:1]
	v_cmp_gt_i32_e64 s[0:1], 10, v16
	s_mov_b64 s[12:13], -1
	s_and_saveexec_b64 s[14:15], s[0:1]
; %bb.106:
	v_cmp_eq_u32_e64 s[0:1], 0, v16
	s_orn2_b64 s[12:13], s[0:1], exec
; %bb.107:
	s_or_b64 exec, exec, s[14:15]
	s_and_b64 exec, exec, s[12:13]
	s_cbranch_execz .LBB636_110
; %bb.108:
	s_add_i32 s0, s8, 24
	s_cmp_gt_u32 s9, s0
	s_cselect_b64 s[12:13], -1, 0
	s_xor_b64 s[14:15], vcc, -1
	s_and_b64 s[12:13], s[12:13], s[14:15]
	s_and_b64 exec, exec, s[12:13]
	s_cbranch_execz .LBB636_110
; %bb.109:
	s_sub_i32 s1, s9, s0
	s_min_u32 s1, s1, 8
	v_lshrrev_b32_e32 v16, s0, v17
	v_bfe_u32 v16, v16, 0, s1
	v_lshlrev_b32_e32 v17, 2, v1
	v_lshl_or_b32 v16, v16, 4, v17
	v_mov_b32_e32 v17, 1
	ds_add_u32 v16, v17 offset:12288
.LBB636_110:
	s_or_b64 exec, exec, s[10:11]
	v_cmp_le_u32_e32 vcc, s16, v14
	s_or_b64 s[0:1], s[4:5], vcc
	v_xor_b32_e32 v15, 0x80000000, v15
	s_xor_b64 s[10:11], s[0:1], -1
	v_mov_b32_e32 v14, s17
	s_and_saveexec_b64 s[0:1], s[10:11]
	s_cbranch_execz .LBB636_112
; %bb.111:
	s_sub_i32 s10, s9, s8
	s_min_u32 s10, s10, 8
	v_lshrrev_b32_e32 v14, s8, v15
	v_bfe_u32 v14, v14, 0, s10
	v_lshlrev_b32_e32 v16, 2, v1
	v_lshl_or_b32 v14, v14, 4, v16
	v_mov_b32_e32 v16, 1
	ds_add_u32 v14, v16
	v_mov_b32_e32 v14, 0
.LBB636_112:
	s_or_b64 exec, exec, s[0:1]
	v_cmp_gt_i32_e64 s[0:1], 10, v14
	s_mov_b64 s[12:13], -1
	s_and_saveexec_b64 s[10:11], s[0:1]
; %bb.113:
	v_cmp_eq_u32_e64 s[0:1], 0, v14
	s_orn2_b64 s[12:13], s[0:1], exec
; %bb.114:
	s_or_b64 exec, exec, s[10:11]
	s_and_saveexec_b64 s[10:11], s[12:13]
	s_cbranch_execz .LBB636_127
; %bb.115:
	s_add_i32 s12, s8, 8
	s_cmp_le_u32 s9, s12
	s_cselect_b64 s[0:1], -1, 0
	s_and_b64 s[14:15], s[0:1], exec
	s_cselect_b32 s13, 8, 10
	s_or_b64 s[0:1], s[0:1], vcc
	s_xor_b64 s[14:15], s[0:1], -1
	v_mov_b32_e32 v14, s13
	s_and_saveexec_b64 s[0:1], s[14:15]
	s_cbranch_execz .LBB636_117
; %bb.116:
	s_sub_i32 s13, s9, s12
	s_min_u32 s13, s13, 8
	v_lshrrev_b32_e32 v14, s12, v15
	v_bfe_u32 v14, v14, 0, s13
	v_lshlrev_b32_e32 v16, 2, v1
	v_lshl_or_b32 v14, v14, 4, v16
	v_mov_b32_e32 v16, 1
	ds_add_u32 v14, v16 offset:4096
	v_mov_b32_e32 v14, 0
.LBB636_117:
	s_or_b64 exec, exec, s[0:1]
	v_cmp_gt_i32_e64 s[0:1], 10, v14
	s_mov_b64 s[12:13], -1
	s_and_saveexec_b64 s[14:15], s[0:1]
; %bb.118:
	v_cmp_eq_u32_e64 s[0:1], 0, v14
	s_orn2_b64 s[12:13], s[0:1], exec
; %bb.119:
	s_or_b64 exec, exec, s[14:15]
	s_and_b64 exec, exec, s[12:13]
	s_cbranch_execz .LBB636_127
; %bb.120:
	s_add_i32 s12, s8, 16
	s_cmp_le_u32 s9, s12
	s_cselect_b64 s[0:1], -1, 0
	s_and_b64 s[14:15], s[0:1], exec
	s_cselect_b32 s13, 8, 10
	s_or_b64 s[0:1], s[0:1], vcc
	s_xor_b64 s[14:15], s[0:1], -1
	v_mov_b32_e32 v14, s13
	s_and_saveexec_b64 s[0:1], s[14:15]
	s_cbranch_execz .LBB636_122
; %bb.121:
	s_sub_i32 s13, s9, s12
	s_min_u32 s13, s13, 8
	v_lshrrev_b32_e32 v14, s12, v15
	v_bfe_u32 v14, v14, 0, s13
	v_lshlrev_b32_e32 v16, 2, v1
	v_lshl_or_b32 v14, v14, 4, v16
	v_mov_b32_e32 v16, 1
	ds_add_u32 v14, v16 offset:8192
	v_mov_b32_e32 v14, 0
.LBB636_122:
	s_or_b64 exec, exec, s[0:1]
	v_cmp_gt_i32_e64 s[0:1], 10, v14
	s_mov_b64 s[12:13], -1
	s_and_saveexec_b64 s[14:15], s[0:1]
; %bb.123:
	v_cmp_eq_u32_e64 s[0:1], 0, v14
	s_orn2_b64 s[12:13], s[0:1], exec
; %bb.124:
	s_or_b64 exec, exec, s[14:15]
	s_and_b64 exec, exec, s[12:13]
	s_cbranch_execz .LBB636_127
; %bb.125:
	s_add_i32 s0, s8, 24
	s_cmp_gt_u32 s9, s0
	s_cselect_b64 s[12:13], -1, 0
	s_xor_b64 s[14:15], vcc, -1
	s_and_b64 s[12:13], s[12:13], s[14:15]
	s_and_b64 exec, exec, s[12:13]
	s_cbranch_execz .LBB636_127
; %bb.126:
	s_sub_i32 s1, s9, s0
	s_min_u32 s1, s1, 8
	v_lshrrev_b32_e32 v14, s0, v15
	v_bfe_u32 v14, v14, 0, s1
	v_lshlrev_b32_e32 v15, 2, v1
	v_lshl_or_b32 v14, v14, 4, v15
	v_mov_b32_e32 v15, 1
	ds_add_u32 v14, v15 offset:12288
.LBB636_127:
	s_or_b64 exec, exec, s[10:11]
	v_cmp_le_u32_e32 vcc, s16, v12
	s_or_b64 s[0:1], s[4:5], vcc
	v_xor_b32_e32 v13, 0x80000000, v13
	s_xor_b64 s[10:11], s[0:1], -1
	v_mov_b32_e32 v12, s17
	s_and_saveexec_b64 s[0:1], s[10:11]
	s_cbranch_execz .LBB636_129
; %bb.128:
	s_sub_i32 s10, s9, s8
	s_min_u32 s10, s10, 8
	v_lshrrev_b32_e32 v12, s8, v13
	v_bfe_u32 v12, v12, 0, s10
	v_lshlrev_b32_e32 v14, 2, v1
	v_lshl_or_b32 v12, v12, 4, v14
	v_mov_b32_e32 v14, 1
	ds_add_u32 v12, v14
	v_mov_b32_e32 v12, 0
.LBB636_129:
	s_or_b64 exec, exec, s[0:1]
	v_cmp_gt_i32_e64 s[0:1], 10, v12
	s_mov_b64 s[12:13], -1
	s_and_saveexec_b64 s[10:11], s[0:1]
; %bb.130:
	v_cmp_eq_u32_e64 s[0:1], 0, v12
	s_orn2_b64 s[12:13], s[0:1], exec
; %bb.131:
	s_or_b64 exec, exec, s[10:11]
	s_and_saveexec_b64 s[10:11], s[12:13]
	s_cbranch_execz .LBB636_144
; %bb.132:
	s_add_i32 s12, s8, 8
	s_cmp_le_u32 s9, s12
	s_cselect_b64 s[0:1], -1, 0
	s_and_b64 s[14:15], s[0:1], exec
	s_cselect_b32 s13, 8, 10
	s_or_b64 s[0:1], s[0:1], vcc
	s_xor_b64 s[14:15], s[0:1], -1
	v_mov_b32_e32 v12, s13
	s_and_saveexec_b64 s[0:1], s[14:15]
	s_cbranch_execz .LBB636_134
; %bb.133:
	s_sub_i32 s13, s9, s12
	s_min_u32 s13, s13, 8
	v_lshrrev_b32_e32 v12, s12, v13
	v_bfe_u32 v12, v12, 0, s13
	v_lshlrev_b32_e32 v14, 2, v1
	v_lshl_or_b32 v12, v12, 4, v14
	v_mov_b32_e32 v14, 1
	ds_add_u32 v12, v14 offset:4096
	v_mov_b32_e32 v12, 0
.LBB636_134:
	s_or_b64 exec, exec, s[0:1]
	v_cmp_gt_i32_e64 s[0:1], 10, v12
	s_mov_b64 s[12:13], -1
	s_and_saveexec_b64 s[14:15], s[0:1]
; %bb.135:
	v_cmp_eq_u32_e64 s[0:1], 0, v12
	s_orn2_b64 s[12:13], s[0:1], exec
; %bb.136:
	s_or_b64 exec, exec, s[14:15]
	s_and_b64 exec, exec, s[12:13]
	s_cbranch_execz .LBB636_144
; %bb.137:
	s_add_i32 s12, s8, 16
	s_cmp_le_u32 s9, s12
	s_cselect_b64 s[0:1], -1, 0
	s_and_b64 s[14:15], s[0:1], exec
	s_cselect_b32 s13, 8, 10
	s_or_b64 s[0:1], s[0:1], vcc
	s_xor_b64 s[14:15], s[0:1], -1
	v_mov_b32_e32 v12, s13
	s_and_saveexec_b64 s[0:1], s[14:15]
	s_cbranch_execz .LBB636_139
; %bb.138:
	s_sub_i32 s13, s9, s12
	s_min_u32 s13, s13, 8
	v_lshrrev_b32_e32 v12, s12, v13
	v_bfe_u32 v12, v12, 0, s13
	v_lshlrev_b32_e32 v14, 2, v1
	v_lshl_or_b32 v12, v12, 4, v14
	v_mov_b32_e32 v14, 1
	ds_add_u32 v12, v14 offset:8192
	v_mov_b32_e32 v12, 0
.LBB636_139:
	s_or_b64 exec, exec, s[0:1]
	v_cmp_gt_i32_e64 s[0:1], 10, v12
	s_mov_b64 s[12:13], -1
	s_and_saveexec_b64 s[14:15], s[0:1]
; %bb.140:
	v_cmp_eq_u32_e64 s[0:1], 0, v12
	s_orn2_b64 s[12:13], s[0:1], exec
; %bb.141:
	s_or_b64 exec, exec, s[14:15]
	s_and_b64 exec, exec, s[12:13]
	s_cbranch_execz .LBB636_144
; %bb.142:
	s_add_i32 s0, s8, 24
	s_cmp_gt_u32 s9, s0
	s_cselect_b64 s[12:13], -1, 0
	s_xor_b64 s[14:15], vcc, -1
	s_and_b64 s[12:13], s[12:13], s[14:15]
	s_and_b64 exec, exec, s[12:13]
	s_cbranch_execz .LBB636_144
; %bb.143:
	s_sub_i32 s1, s9, s0
	s_min_u32 s1, s1, 8
	v_lshrrev_b32_e32 v12, s0, v13
	v_bfe_u32 v12, v12, 0, s1
	v_lshlrev_b32_e32 v13, 2, v1
	v_lshl_or_b32 v12, v12, 4, v13
	v_mov_b32_e32 v13, 1
	ds_add_u32 v12, v13 offset:12288
.LBB636_144:
	s_or_b64 exec, exec, s[10:11]
	v_cmp_le_u32_e32 vcc, s16, v10
	s_or_b64 s[0:1], s[4:5], vcc
	v_xor_b32_e32 v11, 0x80000000, v11
	s_xor_b64 s[10:11], s[0:1], -1
	v_mov_b32_e32 v10, s17
	s_and_saveexec_b64 s[0:1], s[10:11]
	s_cbranch_execz .LBB636_146
; %bb.145:
	s_sub_i32 s10, s9, s8
	s_min_u32 s10, s10, 8
	v_lshrrev_b32_e32 v10, s8, v11
	v_bfe_u32 v10, v10, 0, s10
	v_lshlrev_b32_e32 v12, 2, v1
	v_lshl_or_b32 v10, v10, 4, v12
	v_mov_b32_e32 v12, 1
	ds_add_u32 v10, v12
	v_mov_b32_e32 v10, 0
.LBB636_146:
	s_or_b64 exec, exec, s[0:1]
	v_cmp_gt_i32_e64 s[0:1], 10, v10
	s_mov_b64 s[12:13], -1
	s_and_saveexec_b64 s[10:11], s[0:1]
; %bb.147:
	v_cmp_eq_u32_e64 s[0:1], 0, v10
	s_orn2_b64 s[12:13], s[0:1], exec
; %bb.148:
	s_or_b64 exec, exec, s[10:11]
	s_and_saveexec_b64 s[10:11], s[12:13]
	s_cbranch_execz .LBB636_161
; %bb.149:
	s_add_i32 s12, s8, 8
	s_cmp_le_u32 s9, s12
	s_cselect_b64 s[0:1], -1, 0
	s_and_b64 s[14:15], s[0:1], exec
	s_cselect_b32 s13, 8, 10
	s_or_b64 s[0:1], s[0:1], vcc
	s_xor_b64 s[14:15], s[0:1], -1
	v_mov_b32_e32 v10, s13
	s_and_saveexec_b64 s[0:1], s[14:15]
	s_cbranch_execz .LBB636_151
; %bb.150:
	s_sub_i32 s13, s9, s12
	s_min_u32 s13, s13, 8
	v_lshrrev_b32_e32 v10, s12, v11
	v_bfe_u32 v10, v10, 0, s13
	v_lshlrev_b32_e32 v12, 2, v1
	v_lshl_or_b32 v10, v10, 4, v12
	v_mov_b32_e32 v12, 1
	ds_add_u32 v10, v12 offset:4096
	v_mov_b32_e32 v10, 0
.LBB636_151:
	s_or_b64 exec, exec, s[0:1]
	v_cmp_gt_i32_e64 s[0:1], 10, v10
	s_mov_b64 s[12:13], -1
	s_and_saveexec_b64 s[14:15], s[0:1]
; %bb.152:
	v_cmp_eq_u32_e64 s[0:1], 0, v10
	s_orn2_b64 s[12:13], s[0:1], exec
; %bb.153:
	s_or_b64 exec, exec, s[14:15]
	s_and_b64 exec, exec, s[12:13]
	s_cbranch_execz .LBB636_161
; %bb.154:
	s_add_i32 s12, s8, 16
	s_cmp_le_u32 s9, s12
	s_cselect_b64 s[0:1], -1, 0
	s_and_b64 s[14:15], s[0:1], exec
	s_cselect_b32 s13, 8, 10
	s_or_b64 s[0:1], s[0:1], vcc
	s_xor_b64 s[14:15], s[0:1], -1
	v_mov_b32_e32 v10, s13
	s_and_saveexec_b64 s[0:1], s[14:15]
	s_cbranch_execz .LBB636_156
; %bb.155:
	s_sub_i32 s13, s9, s12
	s_min_u32 s13, s13, 8
	v_lshrrev_b32_e32 v10, s12, v11
	v_bfe_u32 v10, v10, 0, s13
	v_lshlrev_b32_e32 v12, 2, v1
	v_lshl_or_b32 v10, v10, 4, v12
	v_mov_b32_e32 v12, 1
	ds_add_u32 v10, v12 offset:8192
	v_mov_b32_e32 v10, 0
.LBB636_156:
	s_or_b64 exec, exec, s[0:1]
	v_cmp_gt_i32_e64 s[0:1], 10, v10
	s_mov_b64 s[12:13], -1
	s_and_saveexec_b64 s[14:15], s[0:1]
; %bb.157:
	v_cmp_eq_u32_e64 s[0:1], 0, v10
	s_orn2_b64 s[12:13], s[0:1], exec
; %bb.158:
	s_or_b64 exec, exec, s[14:15]
	s_and_b64 exec, exec, s[12:13]
	s_cbranch_execz .LBB636_161
; %bb.159:
	s_add_i32 s0, s8, 24
	s_cmp_gt_u32 s9, s0
	s_cselect_b64 s[12:13], -1, 0
	s_xor_b64 s[14:15], vcc, -1
	s_and_b64 s[12:13], s[12:13], s[14:15]
	s_and_b64 exec, exec, s[12:13]
	s_cbranch_execz .LBB636_161
; %bb.160:
	s_sub_i32 s1, s9, s0
	s_min_u32 s1, s1, 8
	v_lshrrev_b32_e32 v10, s0, v11
	v_bfe_u32 v10, v10, 0, s1
	v_lshlrev_b32_e32 v11, 2, v1
	v_lshl_or_b32 v10, v10, 4, v11
	v_mov_b32_e32 v11, 1
	ds_add_u32 v10, v11 offset:12288
.LBB636_161:
	s_or_b64 exec, exec, s[10:11]
	v_cmp_le_u32_e32 vcc, s16, v8
	s_or_b64 s[0:1], s[4:5], vcc
	v_xor_b32_e32 v9, 0x80000000, v9
	s_xor_b64 s[10:11], s[0:1], -1
	v_mov_b32_e32 v8, s17
	s_and_saveexec_b64 s[0:1], s[10:11]
	s_cbranch_execz .LBB636_163
; %bb.162:
	s_sub_i32 s10, s9, s8
	s_min_u32 s10, s10, 8
	v_lshrrev_b32_e32 v8, s8, v9
	v_bfe_u32 v8, v8, 0, s10
	v_lshlrev_b32_e32 v10, 2, v1
	v_lshl_or_b32 v8, v8, 4, v10
	v_mov_b32_e32 v10, 1
	ds_add_u32 v8, v10
	v_mov_b32_e32 v8, 0
.LBB636_163:
	s_or_b64 exec, exec, s[0:1]
	v_cmp_gt_i32_e64 s[0:1], 10, v8
	s_mov_b64 s[12:13], -1
	s_and_saveexec_b64 s[10:11], s[0:1]
; %bb.164:
	v_cmp_eq_u32_e64 s[0:1], 0, v8
	s_orn2_b64 s[12:13], s[0:1], exec
; %bb.165:
	s_or_b64 exec, exec, s[10:11]
	s_and_saveexec_b64 s[10:11], s[12:13]
	s_cbranch_execz .LBB636_178
; %bb.166:
	s_add_i32 s12, s8, 8
	s_cmp_le_u32 s9, s12
	s_cselect_b64 s[0:1], -1, 0
	s_and_b64 s[14:15], s[0:1], exec
	s_cselect_b32 s13, 8, 10
	s_or_b64 s[0:1], s[0:1], vcc
	s_xor_b64 s[14:15], s[0:1], -1
	v_mov_b32_e32 v8, s13
	s_and_saveexec_b64 s[0:1], s[14:15]
	s_cbranch_execz .LBB636_168
; %bb.167:
	s_sub_i32 s13, s9, s12
	s_min_u32 s13, s13, 8
	v_lshrrev_b32_e32 v8, s12, v9
	v_bfe_u32 v8, v8, 0, s13
	v_lshlrev_b32_e32 v10, 2, v1
	v_lshl_or_b32 v8, v8, 4, v10
	v_mov_b32_e32 v10, 1
	ds_add_u32 v8, v10 offset:4096
	v_mov_b32_e32 v8, 0
.LBB636_168:
	s_or_b64 exec, exec, s[0:1]
	v_cmp_gt_i32_e64 s[0:1], 10, v8
	s_mov_b64 s[12:13], -1
	s_and_saveexec_b64 s[14:15], s[0:1]
; %bb.169:
	v_cmp_eq_u32_e64 s[0:1], 0, v8
	s_orn2_b64 s[12:13], s[0:1], exec
; %bb.170:
	s_or_b64 exec, exec, s[14:15]
	s_and_b64 exec, exec, s[12:13]
	s_cbranch_execz .LBB636_178
; %bb.171:
	s_add_i32 s12, s8, 16
	s_cmp_le_u32 s9, s12
	s_cselect_b64 s[0:1], -1, 0
	s_and_b64 s[14:15], s[0:1], exec
	s_cselect_b32 s13, 8, 10
	s_or_b64 s[0:1], s[0:1], vcc
	s_xor_b64 s[14:15], s[0:1], -1
	v_mov_b32_e32 v8, s13
	s_and_saveexec_b64 s[0:1], s[14:15]
	s_cbranch_execz .LBB636_173
; %bb.172:
	s_sub_i32 s13, s9, s12
	s_min_u32 s13, s13, 8
	v_lshrrev_b32_e32 v8, s12, v9
	v_bfe_u32 v8, v8, 0, s13
	v_lshlrev_b32_e32 v10, 2, v1
	v_lshl_or_b32 v8, v8, 4, v10
	v_mov_b32_e32 v10, 1
	ds_add_u32 v8, v10 offset:8192
	v_mov_b32_e32 v8, 0
.LBB636_173:
	s_or_b64 exec, exec, s[0:1]
	v_cmp_gt_i32_e64 s[0:1], 10, v8
	s_mov_b64 s[12:13], -1
	s_and_saveexec_b64 s[14:15], s[0:1]
; %bb.174:
	v_cmp_eq_u32_e64 s[0:1], 0, v8
	s_orn2_b64 s[12:13], s[0:1], exec
; %bb.175:
	s_or_b64 exec, exec, s[14:15]
	s_and_b64 exec, exec, s[12:13]
	s_cbranch_execz .LBB636_178
; %bb.176:
	s_add_i32 s0, s8, 24
	s_cmp_gt_u32 s9, s0
	s_cselect_b64 s[12:13], -1, 0
	s_xor_b64 s[14:15], vcc, -1
	s_and_b64 s[12:13], s[12:13], s[14:15]
	s_and_b64 exec, exec, s[12:13]
	s_cbranch_execz .LBB636_178
; %bb.177:
	s_sub_i32 s1, s9, s0
	s_min_u32 s1, s1, 8
	v_lshrrev_b32_e32 v8, s0, v9
	v_bfe_u32 v8, v8, 0, s1
	v_lshlrev_b32_e32 v9, 2, v1
	v_lshl_or_b32 v8, v8, 4, v9
	v_mov_b32_e32 v9, 1
	ds_add_u32 v8, v9 offset:12288
.LBB636_178:
	s_or_b64 exec, exec, s[10:11]
	v_cmp_le_u32_e32 vcc, s16, v6
	s_or_b64 s[0:1], s[4:5], vcc
	v_xor_b32_e32 v7, 0x80000000, v7
	s_xor_b64 s[10:11], s[0:1], -1
	v_mov_b32_e32 v6, s17
	s_and_saveexec_b64 s[0:1], s[10:11]
	s_cbranch_execz .LBB636_180
; %bb.179:
	s_sub_i32 s10, s9, s8
	s_min_u32 s10, s10, 8
	v_lshrrev_b32_e32 v6, s8, v7
	v_bfe_u32 v6, v6, 0, s10
	v_lshlrev_b32_e32 v8, 2, v1
	v_lshl_or_b32 v6, v6, 4, v8
	v_mov_b32_e32 v8, 1
	ds_add_u32 v6, v8
	v_mov_b32_e32 v6, 0
.LBB636_180:
	s_or_b64 exec, exec, s[0:1]
	v_cmp_gt_i32_e64 s[0:1], 10, v6
	s_mov_b64 s[12:13], -1
	s_and_saveexec_b64 s[10:11], s[0:1]
; %bb.181:
	v_cmp_eq_u32_e64 s[0:1], 0, v6
	s_orn2_b64 s[12:13], s[0:1], exec
; %bb.182:
	s_or_b64 exec, exec, s[10:11]
	s_and_saveexec_b64 s[10:11], s[12:13]
	s_cbranch_execz .LBB636_195
; %bb.183:
	s_add_i32 s12, s8, 8
	s_cmp_le_u32 s9, s12
	s_cselect_b64 s[0:1], -1, 0
	s_and_b64 s[14:15], s[0:1], exec
	s_cselect_b32 s13, 8, 10
	s_or_b64 s[0:1], s[0:1], vcc
	s_xor_b64 s[14:15], s[0:1], -1
	v_mov_b32_e32 v6, s13
	s_and_saveexec_b64 s[0:1], s[14:15]
	s_cbranch_execz .LBB636_185
; %bb.184:
	s_sub_i32 s13, s9, s12
	s_min_u32 s13, s13, 8
	v_lshrrev_b32_e32 v6, s12, v7
	v_bfe_u32 v6, v6, 0, s13
	v_lshlrev_b32_e32 v8, 2, v1
	v_lshl_or_b32 v6, v6, 4, v8
	v_mov_b32_e32 v8, 1
	ds_add_u32 v6, v8 offset:4096
	v_mov_b32_e32 v6, 0
.LBB636_185:
	s_or_b64 exec, exec, s[0:1]
	v_cmp_gt_i32_e64 s[0:1], 10, v6
	s_mov_b64 s[12:13], -1
	s_and_saveexec_b64 s[14:15], s[0:1]
; %bb.186:
	v_cmp_eq_u32_e64 s[0:1], 0, v6
	s_orn2_b64 s[12:13], s[0:1], exec
; %bb.187:
	s_or_b64 exec, exec, s[14:15]
	s_and_b64 exec, exec, s[12:13]
	s_cbranch_execz .LBB636_195
; %bb.188:
	s_add_i32 s12, s8, 16
	s_cmp_le_u32 s9, s12
	s_cselect_b64 s[0:1], -1, 0
	s_and_b64 s[14:15], s[0:1], exec
	s_cselect_b32 s13, 8, 10
	s_or_b64 s[0:1], s[0:1], vcc
	s_xor_b64 s[14:15], s[0:1], -1
	v_mov_b32_e32 v6, s13
	s_and_saveexec_b64 s[0:1], s[14:15]
	s_cbranch_execz .LBB636_190
; %bb.189:
	s_sub_i32 s13, s9, s12
	s_min_u32 s13, s13, 8
	v_lshrrev_b32_e32 v6, s12, v7
	v_bfe_u32 v6, v6, 0, s13
	v_lshlrev_b32_e32 v8, 2, v1
	v_lshl_or_b32 v6, v6, 4, v8
	v_mov_b32_e32 v8, 1
	ds_add_u32 v6, v8 offset:8192
	v_mov_b32_e32 v6, 0
.LBB636_190:
	s_or_b64 exec, exec, s[0:1]
	v_cmp_gt_i32_e64 s[0:1], 10, v6
	s_mov_b64 s[12:13], -1
	s_and_saveexec_b64 s[14:15], s[0:1]
; %bb.191:
	v_cmp_eq_u32_e64 s[0:1], 0, v6
	s_orn2_b64 s[12:13], s[0:1], exec
; %bb.192:
	s_or_b64 exec, exec, s[14:15]
	s_and_b64 exec, exec, s[12:13]
	s_cbranch_execz .LBB636_195
; %bb.193:
	s_add_i32 s0, s8, 24
	s_cmp_gt_u32 s9, s0
	s_cselect_b64 s[12:13], -1, 0
	s_xor_b64 s[14:15], vcc, -1
	s_and_b64 s[12:13], s[12:13], s[14:15]
	s_and_b64 exec, exec, s[12:13]
	s_cbranch_execz .LBB636_195
; %bb.194:
	s_sub_i32 s1, s9, s0
	s_min_u32 s1, s1, 8
	v_lshrrev_b32_e32 v6, s0, v7
	v_bfe_u32 v6, v6, 0, s1
	v_lshlrev_b32_e32 v7, 2, v1
	v_lshl_or_b32 v6, v6, 4, v7
	v_mov_b32_e32 v7, 1
	ds_add_u32 v6, v7 offset:12288
.LBB636_195:
	s_or_b64 exec, exec, s[10:11]
	v_cmp_le_u32_e32 vcc, s16, v4
	s_or_b64 s[0:1], s[4:5], vcc
	v_xor_b32_e32 v5, 0x80000000, v5
	s_xor_b64 s[10:11], s[0:1], -1
	v_mov_b32_e32 v4, s17
	s_and_saveexec_b64 s[0:1], s[10:11]
	s_cbranch_execz .LBB636_197
; %bb.196:
	s_sub_i32 s10, s9, s8
	s_min_u32 s10, s10, 8
	v_lshrrev_b32_e32 v4, s8, v5
	v_bfe_u32 v4, v4, 0, s10
	v_lshlrev_b32_e32 v6, 2, v1
	v_lshl_or_b32 v4, v4, 4, v6
	v_mov_b32_e32 v6, 1
	ds_add_u32 v4, v6
	v_mov_b32_e32 v4, 0
.LBB636_197:
	s_or_b64 exec, exec, s[0:1]
	v_cmp_gt_i32_e64 s[0:1], 10, v4
	s_mov_b64 s[12:13], -1
	s_and_saveexec_b64 s[10:11], s[0:1]
; %bb.198:
	v_cmp_eq_u32_e64 s[0:1], 0, v4
	s_orn2_b64 s[12:13], s[0:1], exec
; %bb.199:
	s_or_b64 exec, exec, s[10:11]
	s_and_saveexec_b64 s[10:11], s[12:13]
	s_cbranch_execz .LBB636_212
; %bb.200:
	s_add_i32 s12, s8, 8
	s_cmp_le_u32 s9, s12
	s_cselect_b64 s[0:1], -1, 0
	s_and_b64 s[14:15], s[0:1], exec
	s_cselect_b32 s13, 8, 10
	s_or_b64 s[0:1], s[0:1], vcc
	s_xor_b64 s[14:15], s[0:1], -1
	v_mov_b32_e32 v4, s13
	s_and_saveexec_b64 s[0:1], s[14:15]
	s_cbranch_execz .LBB636_202
; %bb.201:
	s_sub_i32 s13, s9, s12
	s_min_u32 s13, s13, 8
	v_lshrrev_b32_e32 v4, s12, v5
	v_bfe_u32 v4, v4, 0, s13
	v_lshlrev_b32_e32 v6, 2, v1
	v_lshl_or_b32 v4, v4, 4, v6
	v_mov_b32_e32 v6, 1
	ds_add_u32 v4, v6 offset:4096
	v_mov_b32_e32 v4, 0
.LBB636_202:
	s_or_b64 exec, exec, s[0:1]
	v_cmp_gt_i32_e64 s[0:1], 10, v4
	s_mov_b64 s[12:13], -1
	s_and_saveexec_b64 s[14:15], s[0:1]
; %bb.203:
	v_cmp_eq_u32_e64 s[0:1], 0, v4
	s_orn2_b64 s[12:13], s[0:1], exec
; %bb.204:
	s_or_b64 exec, exec, s[14:15]
	s_and_b64 exec, exec, s[12:13]
	s_cbranch_execz .LBB636_212
; %bb.205:
	s_add_i32 s12, s8, 16
	s_cmp_le_u32 s9, s12
	s_cselect_b64 s[0:1], -1, 0
	s_and_b64 s[14:15], s[0:1], exec
	s_cselect_b32 s13, 8, 10
	s_or_b64 s[0:1], s[0:1], vcc
	s_xor_b64 s[14:15], s[0:1], -1
	v_mov_b32_e32 v4, s13
	s_and_saveexec_b64 s[0:1], s[14:15]
	s_cbranch_execz .LBB636_207
; %bb.206:
	s_sub_i32 s13, s9, s12
	s_min_u32 s13, s13, 8
	v_lshrrev_b32_e32 v4, s12, v5
	v_bfe_u32 v4, v4, 0, s13
	v_lshlrev_b32_e32 v6, 2, v1
	v_lshl_or_b32 v4, v4, 4, v6
	v_mov_b32_e32 v6, 1
	ds_add_u32 v4, v6 offset:8192
	v_mov_b32_e32 v4, 0
.LBB636_207:
	s_or_b64 exec, exec, s[0:1]
	v_cmp_gt_i32_e64 s[0:1], 10, v4
	s_mov_b64 s[12:13], -1
	s_and_saveexec_b64 s[14:15], s[0:1]
; %bb.208:
	v_cmp_eq_u32_e64 s[0:1], 0, v4
	s_orn2_b64 s[12:13], s[0:1], exec
; %bb.209:
	s_or_b64 exec, exec, s[14:15]
	s_and_b64 exec, exec, s[12:13]
	s_cbranch_execz .LBB636_212
; %bb.210:
	s_add_i32 s0, s8, 24
	s_cmp_gt_u32 s9, s0
	s_cselect_b64 s[12:13], -1, 0
	s_xor_b64 s[14:15], vcc, -1
	s_and_b64 s[12:13], s[12:13], s[14:15]
	s_and_b64 exec, exec, s[12:13]
	s_cbranch_execz .LBB636_212
; %bb.211:
	s_sub_i32 s1, s9, s0
	s_min_u32 s1, s1, 8
	v_lshrrev_b32_e32 v4, s0, v5
	v_bfe_u32 v4, v4, 0, s1
	v_lshlrev_b32_e32 v5, 2, v1
	v_lshl_or_b32 v4, v4, 4, v5
	v_mov_b32_e32 v5, 1
	ds_add_u32 v4, v5 offset:12288
.LBB636_212:
	s_or_b64 exec, exec, s[10:11]
	v_cmp_le_u32_e32 vcc, s16, v2
	s_or_b64 s[0:1], s[4:5], vcc
	v_xor_b32_e32 v3, 0x80000000, v3
	s_xor_b64 s[4:5], s[0:1], -1
	v_mov_b32_e32 v2, s17
	s_and_saveexec_b64 s[0:1], s[4:5]
	s_cbranch_execz .LBB636_214
; %bb.213:
	s_sub_i32 s4, s9, s8
	s_min_u32 s4, s4, 8
	v_lshrrev_b32_e32 v2, s8, v3
	v_bfe_u32 v2, v2, 0, s4
	v_lshlrev_b32_e32 v4, 2, v1
	v_lshl_or_b32 v2, v2, 4, v4
	v_mov_b32_e32 v4, 1
	ds_add_u32 v2, v4
	v_mov_b32_e32 v2, 0
.LBB636_214:
	s_or_b64 exec, exec, s[0:1]
	v_cmp_gt_i32_e64 s[0:1], 10, v2
	s_mov_b64 s[10:11], -1
	s_and_saveexec_b64 s[4:5], s[0:1]
; %bb.215:
	v_cmp_eq_u32_e64 s[0:1], 0, v2
	s_orn2_b64 s[10:11], s[0:1], exec
; %bb.216:
	s_or_b64 exec, exec, s[4:5]
	s_and_saveexec_b64 s[4:5], s[10:11]
	s_cbranch_execz .LBB636_229
; %bb.217:
	s_add_i32 s10, s8, 8
	s_cmp_le_u32 s9, s10
	s_cselect_b64 s[0:1], -1, 0
	s_and_b64 s[12:13], s[0:1], exec
	s_cselect_b32 s11, 8, 10
	s_or_b64 s[0:1], s[0:1], vcc
	s_xor_b64 s[12:13], s[0:1], -1
	v_mov_b32_e32 v2, s11
	s_and_saveexec_b64 s[0:1], s[12:13]
	s_cbranch_execz .LBB636_219
; %bb.218:
	s_sub_i32 s11, s9, s10
	s_min_u32 s11, s11, 8
	v_lshrrev_b32_e32 v2, s10, v3
	v_bfe_u32 v2, v2, 0, s11
	v_lshlrev_b32_e32 v4, 2, v1
	v_lshl_or_b32 v2, v2, 4, v4
	v_mov_b32_e32 v4, 1
	ds_add_u32 v2, v4 offset:4096
	v_mov_b32_e32 v2, 0
.LBB636_219:
	s_or_b64 exec, exec, s[0:1]
	v_cmp_gt_i32_e64 s[0:1], 10, v2
	s_mov_b64 s[10:11], -1
	s_and_saveexec_b64 s[12:13], s[0:1]
; %bb.220:
	v_cmp_eq_u32_e64 s[0:1], 0, v2
	s_orn2_b64 s[10:11], s[0:1], exec
; %bb.221:
	s_or_b64 exec, exec, s[12:13]
	s_and_b64 exec, exec, s[10:11]
	s_cbranch_execz .LBB636_229
; %bb.222:
	s_add_i32 s10, s8, 16
	s_cmp_le_u32 s9, s10
	s_cselect_b64 s[0:1], -1, 0
	s_and_b64 s[12:13], s[0:1], exec
	s_cselect_b32 s11, 8, 10
	s_or_b64 s[0:1], s[0:1], vcc
	s_xor_b64 s[12:13], s[0:1], -1
	v_mov_b32_e32 v2, s11
	s_and_saveexec_b64 s[0:1], s[12:13]
	s_cbranch_execz .LBB636_224
; %bb.223:
	s_sub_i32 s11, s9, s10
	s_min_u32 s11, s11, 8
	v_lshrrev_b32_e32 v2, s10, v3
	v_bfe_u32 v2, v2, 0, s11
	v_lshlrev_b32_e32 v4, 2, v1
	v_lshl_or_b32 v2, v2, 4, v4
	v_mov_b32_e32 v4, 1
	ds_add_u32 v2, v4 offset:8192
	v_mov_b32_e32 v2, 0
.LBB636_224:
	s_or_b64 exec, exec, s[0:1]
	v_cmp_gt_i32_e64 s[0:1], 10, v2
	s_mov_b64 s[10:11], -1
	s_and_saveexec_b64 s[12:13], s[0:1]
; %bb.225:
	v_cmp_eq_u32_e64 s[0:1], 0, v2
	s_orn2_b64 s[10:11], s[0:1], exec
; %bb.226:
	s_or_b64 exec, exec, s[12:13]
	s_and_b64 exec, exec, s[10:11]
	s_cbranch_execz .LBB636_229
; %bb.227:
	s_add_i32 s0, s8, 24
	s_cmp_gt_u32 s9, s0
	s_cselect_b64 s[10:11], -1, 0
	s_xor_b64 s[12:13], vcc, -1
	s_and_b64 s[10:11], s[10:11], s[12:13]
	s_and_b64 exec, exec, s[10:11]
	s_cbranch_execz .LBB636_229
; %bb.228:
	s_sub_i32 s1, s9, s0
	s_min_u32 s1, s1, 8
	v_lshrrev_b32_e32 v2, s0, v3
	v_bfe_u32 v2, v2, 0, s1
	v_lshlrev_b32_e32 v1, 2, v1
	v_lshl_or_b32 v1, v2, 4, v1
	v_mov_b32_e32 v2, 1
	ds_add_u32 v1, v2 offset:12288
.LBB636_229:
	s_or_b64 exec, exec, s[4:5]
	s_cmp_gt_u32 s9, s8
	s_waitcnt lgkmcnt(0)
	s_barrier
	s_cbranch_scc0 .LBB636_234
; %bb.230:
	s_movk_i32 s0, 0x100
	v_cmp_gt_u32_e32 vcc, s0, v0
	v_lshlrev_b32_e32 v1, 4, v0
	v_mov_b32_e32 v3, 0
	v_mov_b32_e32 v2, v0
	s_mov_b32 s10, s8
	s_branch .LBB636_232
.LBB636_231:                            ;   in Loop: Header=BB636_232 Depth=1
	s_or_b64 exec, exec, s[4:5]
	s_add_i32 s10, s10, 8
	v_add_u32_e32 v2, 0x100, v2
	s_cmp_lt_u32 s10, s9
	v_add_u32_e32 v1, 0x1000, v1
	s_cbranch_scc0 .LBB636_234
.LBB636_232:                            ; =>This Inner Loop Header: Depth=1
	s_and_saveexec_b64 s[4:5], vcc
	s_cbranch_execz .LBB636_231
; %bb.233:                              ;   in Loop: Header=BB636_232 Depth=1
	ds_read2_b32 v[4:5], v1 offset1:1
	ds_read2_b32 v[6:7], v1 offset0:2 offset1:3
	v_lshlrev_b64 v[8:9], 3, v[2:3]
	v_mov_b32_e32 v10, s3
	s_waitcnt lgkmcnt(1)
	v_add_u32_e32 v4, v5, v4
	s_waitcnt lgkmcnt(0)
	v_add3_u32 v4, v4, v6, v7
	v_add_co_u32_e64 v6, s[0:1], s2, v8
	v_addc_co_u32_e64 v7, s[0:1], v10, v9, s[0:1]
	v_mov_b32_e32 v5, v3
	global_atomic_add_x2 v[6:7], v[4:5], off
	s_branch .LBB636_231
.LBB636_234:
	s_mov_b64 s[0:1], 0
.LBB636_235:
	s_and_b64 vcc, exec, s[0:1]
	s_cbranch_vccz .LBB636_319
; %bb.236:
	v_lshlrev_b32_e32 v14, 2, v0
	v_mov_b32_e32 v1, s7
	v_add_co_u32_e32 v6, vcc, s6, v14
	v_addc_co_u32_e32 v1, vcc, 0, v1, vcc
	v_add_co_u32_e32 v2, vcc, 0x1000, v6
	v_addc_co_u32_e32 v3, vcc, 0, v1, vcc
	;; [unrolled: 2-line block ×8, first 2 shown]
	global_load_dword v16, v14, s[6:7]
	global_load_dword v15, v[2:3], off
	global_load_dword v13, v[4:5], off
	;; [unrolled: 1-line block ×7, first 2 shown]
	v_add_co_u32_e32 v2, vcc, 0x8000, v6
	v_addc_co_u32_e32 v3, vcc, 0, v1, vcc
	v_add_co_u32_e32 v18, vcc, 0x9000, v6
	v_addc_co_u32_e32 v19, vcc, 0, v1, vcc
	;; [unrolled: 2-line block ×4, first 2 shown]
	global_load_dword v8, v[2:3], off
	global_load_dword v6, v[18:19], off
	;; [unrolled: 1-line block ×4, first 2 shown]
	s_cmp_eq_u32 s8, 0
	s_cselect_b64 s[0:1], -1, 0
	s_cmp_eq_u32 s9, 32
	s_cselect_b64 s[4:5], -1, 0
	s_and_b64 s[4:5], s[0:1], s[4:5]
	s_mov_b64 s[0:1], -1
	s_and_b64 vcc, exec, s[4:5]
	s_cbranch_vccnz .LBB636_316
; %bb.237:
	s_cmp_gt_u32 s9, s8
	s_cselect_b64 s[0:1], -1, 0
	v_mov_b32_e32 v1, 0
	s_and_b64 vcc, exec, s[0:1]
	ds_write2st64_b32 v14, v1, v1 offset1:16
	ds_write2st64_b32 v14, v1, v1 offset0:32 offset1:48
	s_waitcnt lgkmcnt(0)
	s_barrier
	s_cbranch_vccz .LBB636_310
; %bb.238:
	s_sub_i32 s4, s9, s8
	s_min_u32 s4, s4, 8
	s_waitcnt vmcnt(11)
	v_xor_b32_e32 v17, 0x80000000, v16
	s_lshl_b32 s4, -1, s4
	v_and_b32_e32 v1, 3, v0
	s_not_b32 s13, s4
	v_lshrrev_b32_e32 v2, s8, v17
	v_and_b32_e32 v18, s13, v2
	v_lshlrev_b32_e32 v2, 2, v1
	v_lshl_or_b32 v18, v18, 4, v2
	v_mov_b32_e32 v19, 1
	ds_add_u32 v18, v19
	s_add_i32 s12, s8, 8
	s_waitcnt vmcnt(10)
	v_xor_b32_e32 v3, 0x80000000, v15
	s_cmp_le_u32 s9, s12
	s_cselect_b64 s[4:5], -1, 0
	v_lshrrev_b32_e32 v18, s8, v3
	s_and_b64 vcc, exec, s[4:5]
	v_and_b32_e32 v18, s13, v18
	s_cbranch_vccz .LBB636_240
; %bb.239:
	v_lshl_or_b32 v19, v18, 2, v1
	s_mov_b64 s[6:7], -1
	s_cbranch_execz .LBB636_241
	s_branch .LBB636_248
.LBB636_240:
	s_mov_b64 s[6:7], 0
                                        ; implicit-def: $vgpr19
.LBB636_241:
	s_sub_i32 s10, s9, s12
	s_min_u32 s10, s10, 8
	s_lshl_b32 s10, -1, s10
	s_not_b32 s15, s10
	v_lshrrev_b32_e32 v19, s12, v17
	v_and_b32_e32 v19, s15, v19
	v_lshl_or_b32 v20, v19, 4, v2
	v_mov_b32_e32 v19, 1
	ds_add_u32 v20, v19 offset:4096
	s_add_i32 s14, s8, 16
	s_cmp_gt_u32 s9, s14
	s_cselect_b64 s[10:11], -1, 0
	s_cmp_le_u32 s9, s14
	s_cbranch_scc1 .LBB636_244
; %bb.242:
	s_sub_i32 s16, s9, s14
	s_min_u32 s16, s16, 8
	v_lshrrev_b32_e32 v20, s14, v17
	v_bfe_u32 v20, v20, 0, s16
	v_lshl_or_b32 v20, v20, 4, v2
	ds_add_u32 v20, v19 offset:8192
	s_add_i32 s16, s8, 24
	s_cmp_le_u32 s9, s16
	s_cbranch_scc1 .LBB636_244
; %bb.243:
	s_sub_i32 s17, s9, s16
	s_min_u32 s17, s17, 8
	v_lshrrev_b32_e32 v17, s16, v17
	v_bfe_u32 v17, v17, 0, s17
	v_lshl_or_b32 v17, v17, 4, v2
	v_mov_b32_e32 v20, 1
	ds_add_u32 v17, v20 offset:12288
.LBB636_244:
	v_lshl_or_b32 v17, v18, 4, v2
	ds_add_u32 v17, v19
	v_lshrrev_b32_e32 v17, s12, v3
	v_and_b32_e32 v17, s15, v17
	v_lshl_or_b32 v17, v17, 4, v2
	ds_add_u32 v17, v19 offset:4096
	s_andn2_b64 vcc, exec, s[10:11]
	s_cbranch_vccnz .LBB636_247
; %bb.245:
	s_sub_i32 s10, s9, s14
	s_min_u32 s10, s10, 8
	v_lshrrev_b32_e32 v17, s14, v3
	v_bfe_u32 v17, v17, 0, s10
	v_lshl_or_b32 v17, v17, 4, v2
	v_mov_b32_e32 v18, 1
	ds_add_u32 v17, v18 offset:8192
	s_add_i32 s10, s8, 24
	s_cmp_gt_u32 s9, s10
	s_cbranch_scc0 .LBB636_247
; %bb.246:
	s_sub_i32 s6, s9, s10
	s_min_u32 s6, s6, 8
	v_lshrrev_b32_e32 v3, s10, v3
	v_bfe_u32 v3, v3, 0, s6
	v_lshl_or_b32 v3, v3, 2, v1
	v_add_u32_e32 v19, 0xc00, v3
	s_mov_b64 s[6:7], -1
	s_branch .LBB636_248
.LBB636_247:
                                        ; implicit-def: $vgpr19
.LBB636_248:
	s_and_b64 vcc, exec, s[6:7]
	s_cbranch_vccz .LBB636_250
; %bb.249:
	v_lshlrev_b32_e32 v3, 2, v19
	v_mov_b32_e32 v17, 1
	ds_add_u32 v3, v17
.LBB636_250:
	s_waitcnt vmcnt(9)
	v_xor_b32_e32 v17, 0x80000000, v13
	v_lshrrev_b32_e32 v18, s8, v17
	v_and_b32_e32 v18, s13, v18
	v_lshl_or_b32 v18, v18, 4, v2
	v_mov_b32_e32 v19, 1
	ds_add_u32 v18, v19
	s_waitcnt vmcnt(8)
	v_xor_b32_e32 v3, 0x80000000, v12
	v_lshrrev_b32_e32 v18, s8, v3
	s_and_b64 vcc, exec, s[4:5]
	v_and_b32_e32 v18, s13, v18
	s_cbranch_vccz .LBB636_252
; %bb.251:
	v_lshl_or_b32 v19, v18, 2, v1
	s_mov_b64 s[6:7], -1
	s_cbranch_execz .LBB636_253
	s_branch .LBB636_260
.LBB636_252:
	s_mov_b64 s[6:7], 0
                                        ; implicit-def: $vgpr19
.LBB636_253:
	s_sub_i32 s10, s9, s12
	s_min_u32 s10, s10, 8
	s_lshl_b32 s10, -1, s10
	s_not_b32 s15, s10
	v_lshrrev_b32_e32 v19, s12, v17
	v_and_b32_e32 v19, s15, v19
	v_lshl_or_b32 v20, v19, 4, v2
	v_mov_b32_e32 v19, 1
	ds_add_u32 v20, v19 offset:4096
	s_add_i32 s14, s8, 16
	s_cmp_gt_u32 s9, s14
	s_cselect_b64 s[10:11], -1, 0
	s_cmp_le_u32 s9, s14
	s_cbranch_scc1 .LBB636_256
; %bb.254:
	s_sub_i32 s16, s9, s14
	s_min_u32 s16, s16, 8
	v_lshrrev_b32_e32 v20, s14, v17
	v_bfe_u32 v20, v20, 0, s16
	v_lshl_or_b32 v20, v20, 4, v2
	ds_add_u32 v20, v19 offset:8192
	s_add_i32 s16, s8, 24
	s_cmp_le_u32 s9, s16
	s_cbranch_scc1 .LBB636_256
; %bb.255:
	s_sub_i32 s17, s9, s16
	s_min_u32 s17, s17, 8
	v_lshrrev_b32_e32 v17, s16, v17
	v_bfe_u32 v17, v17, 0, s17
	v_lshl_or_b32 v17, v17, 4, v2
	v_mov_b32_e32 v20, 1
	ds_add_u32 v17, v20 offset:12288
.LBB636_256:
	v_lshl_or_b32 v17, v18, 4, v2
	ds_add_u32 v17, v19
	v_lshrrev_b32_e32 v17, s12, v3
	v_and_b32_e32 v17, s15, v17
	v_lshl_or_b32 v17, v17, 4, v2
	ds_add_u32 v17, v19 offset:4096
	s_andn2_b64 vcc, exec, s[10:11]
	s_cbranch_vccnz .LBB636_259
; %bb.257:
	s_sub_i32 s10, s9, s14
	s_min_u32 s10, s10, 8
	v_lshrrev_b32_e32 v17, s14, v3
	v_bfe_u32 v17, v17, 0, s10
	v_lshl_or_b32 v17, v17, 4, v2
	v_mov_b32_e32 v18, 1
	ds_add_u32 v17, v18 offset:8192
	s_add_i32 s10, s8, 24
	s_cmp_gt_u32 s9, s10
	s_cbranch_scc0 .LBB636_259
; %bb.258:
	s_sub_i32 s6, s9, s10
	s_min_u32 s6, s6, 8
	v_lshrrev_b32_e32 v3, s10, v3
	v_bfe_u32 v3, v3, 0, s6
	v_lshl_or_b32 v3, v3, 2, v1
	v_add_u32_e32 v19, 0xc00, v3
	s_mov_b64 s[6:7], -1
	s_branch .LBB636_260
.LBB636_259:
                                        ; implicit-def: $vgpr19
.LBB636_260:
	s_and_b64 vcc, exec, s[6:7]
	s_cbranch_vccz .LBB636_262
; %bb.261:
	v_lshlrev_b32_e32 v3, 2, v19
	v_mov_b32_e32 v17, 1
	ds_add_u32 v3, v17
.LBB636_262:
	s_waitcnt vmcnt(7)
	v_xor_b32_e32 v17, 0x80000000, v11
	v_lshrrev_b32_e32 v18, s8, v17
	v_and_b32_e32 v18, s13, v18
	v_lshl_or_b32 v18, v18, 4, v2
	v_mov_b32_e32 v19, 1
	ds_add_u32 v18, v19
	s_waitcnt vmcnt(6)
	v_xor_b32_e32 v3, 0x80000000, v10
	v_lshrrev_b32_e32 v18, s8, v3
	s_and_b64 vcc, exec, s[4:5]
	v_and_b32_e32 v18, s13, v18
	s_cbranch_vccz .LBB636_264
; %bb.263:
	v_lshl_or_b32 v19, v18, 2, v1
	s_mov_b64 s[6:7], -1
	s_cbranch_execz .LBB636_265
	s_branch .LBB636_272
.LBB636_264:
	s_mov_b64 s[6:7], 0
                                        ; implicit-def: $vgpr19
.LBB636_265:
	s_sub_i32 s10, s9, s12
	s_min_u32 s10, s10, 8
	s_lshl_b32 s10, -1, s10
	s_not_b32 s15, s10
	v_lshrrev_b32_e32 v19, s12, v17
	v_and_b32_e32 v19, s15, v19
	v_lshl_or_b32 v20, v19, 4, v2
	v_mov_b32_e32 v19, 1
	ds_add_u32 v20, v19 offset:4096
	s_add_i32 s14, s8, 16
	s_cmp_gt_u32 s9, s14
	s_cselect_b64 s[10:11], -1, 0
	s_cmp_le_u32 s9, s14
	s_cbranch_scc1 .LBB636_268
; %bb.266:
	s_sub_i32 s16, s9, s14
	s_min_u32 s16, s16, 8
	v_lshrrev_b32_e32 v20, s14, v17
	v_bfe_u32 v20, v20, 0, s16
	v_lshl_or_b32 v20, v20, 4, v2
	ds_add_u32 v20, v19 offset:8192
	s_add_i32 s16, s8, 24
	s_cmp_le_u32 s9, s16
	s_cbranch_scc1 .LBB636_268
; %bb.267:
	s_sub_i32 s17, s9, s16
	s_min_u32 s17, s17, 8
	v_lshrrev_b32_e32 v17, s16, v17
	v_bfe_u32 v17, v17, 0, s17
	v_lshl_or_b32 v17, v17, 4, v2
	v_mov_b32_e32 v20, 1
	ds_add_u32 v17, v20 offset:12288
.LBB636_268:
	v_lshl_or_b32 v17, v18, 4, v2
	ds_add_u32 v17, v19
	v_lshrrev_b32_e32 v17, s12, v3
	v_and_b32_e32 v17, s15, v17
	v_lshl_or_b32 v17, v17, 4, v2
	ds_add_u32 v17, v19 offset:4096
	s_andn2_b64 vcc, exec, s[10:11]
	s_cbranch_vccnz .LBB636_271
; %bb.269:
	s_sub_i32 s10, s9, s14
	s_min_u32 s10, s10, 8
	v_lshrrev_b32_e32 v17, s14, v3
	v_bfe_u32 v17, v17, 0, s10
	v_lshl_or_b32 v17, v17, 4, v2
	v_mov_b32_e32 v18, 1
	ds_add_u32 v17, v18 offset:8192
	s_add_i32 s10, s8, 24
	s_cmp_gt_u32 s9, s10
	s_cbranch_scc0 .LBB636_271
; %bb.270:
	s_sub_i32 s6, s9, s10
	s_min_u32 s6, s6, 8
	v_lshrrev_b32_e32 v3, s10, v3
	v_bfe_u32 v3, v3, 0, s6
	v_lshl_or_b32 v3, v3, 2, v1
	v_add_u32_e32 v19, 0xc00, v3
	s_mov_b64 s[6:7], -1
	s_branch .LBB636_272
.LBB636_271:
                                        ; implicit-def: $vgpr19
.LBB636_272:
	s_and_b64 vcc, exec, s[6:7]
	s_cbranch_vccz .LBB636_274
; %bb.273:
	v_lshlrev_b32_e32 v3, 2, v19
	v_mov_b32_e32 v17, 1
	ds_add_u32 v3, v17
.LBB636_274:
	s_waitcnt vmcnt(5)
	v_xor_b32_e32 v17, 0x80000000, v9
	v_lshrrev_b32_e32 v18, s8, v17
	v_and_b32_e32 v18, s13, v18
	v_lshl_or_b32 v18, v18, 4, v2
	v_mov_b32_e32 v19, 1
	ds_add_u32 v18, v19
	s_waitcnt vmcnt(4)
	v_xor_b32_e32 v3, 0x80000000, v7
	v_lshrrev_b32_e32 v18, s8, v3
	s_and_b64 vcc, exec, s[4:5]
	v_and_b32_e32 v18, s13, v18
	s_cbranch_vccz .LBB636_276
; %bb.275:
	v_lshl_or_b32 v19, v18, 2, v1
	s_mov_b64 s[6:7], -1
	s_cbranch_execz .LBB636_277
	s_branch .LBB636_284
.LBB636_276:
	s_mov_b64 s[6:7], 0
                                        ; implicit-def: $vgpr19
.LBB636_277:
	s_sub_i32 s10, s9, s12
	s_min_u32 s10, s10, 8
	s_lshl_b32 s10, -1, s10
	s_not_b32 s15, s10
	v_lshrrev_b32_e32 v19, s12, v17
	v_and_b32_e32 v19, s15, v19
	v_lshl_or_b32 v20, v19, 4, v2
	v_mov_b32_e32 v19, 1
	ds_add_u32 v20, v19 offset:4096
	s_add_i32 s14, s8, 16
	s_cmp_gt_u32 s9, s14
	s_cselect_b64 s[10:11], -1, 0
	s_cmp_le_u32 s9, s14
	s_cbranch_scc1 .LBB636_280
; %bb.278:
	s_sub_i32 s16, s9, s14
	s_min_u32 s16, s16, 8
	v_lshrrev_b32_e32 v20, s14, v17
	v_bfe_u32 v20, v20, 0, s16
	v_lshl_or_b32 v20, v20, 4, v2
	ds_add_u32 v20, v19 offset:8192
	s_add_i32 s16, s8, 24
	s_cmp_le_u32 s9, s16
	s_cbranch_scc1 .LBB636_280
; %bb.279:
	s_sub_i32 s17, s9, s16
	s_min_u32 s17, s17, 8
	v_lshrrev_b32_e32 v17, s16, v17
	v_bfe_u32 v17, v17, 0, s17
	v_lshl_or_b32 v17, v17, 4, v2
	v_mov_b32_e32 v20, 1
	ds_add_u32 v17, v20 offset:12288
.LBB636_280:
	v_lshl_or_b32 v17, v18, 4, v2
	ds_add_u32 v17, v19
	v_lshrrev_b32_e32 v17, s12, v3
	v_and_b32_e32 v17, s15, v17
	v_lshl_or_b32 v17, v17, 4, v2
	ds_add_u32 v17, v19 offset:4096
	s_andn2_b64 vcc, exec, s[10:11]
	s_cbranch_vccnz .LBB636_283
; %bb.281:
	s_sub_i32 s10, s9, s14
	s_min_u32 s10, s10, 8
	v_lshrrev_b32_e32 v17, s14, v3
	v_bfe_u32 v17, v17, 0, s10
	v_lshl_or_b32 v17, v17, 4, v2
	v_mov_b32_e32 v18, 1
	ds_add_u32 v17, v18 offset:8192
	s_add_i32 s10, s8, 24
	s_cmp_gt_u32 s9, s10
	s_cbranch_scc0 .LBB636_283
; %bb.282:
	s_sub_i32 s6, s9, s10
	s_min_u32 s6, s6, 8
	v_lshrrev_b32_e32 v3, s10, v3
	v_bfe_u32 v3, v3, 0, s6
	v_lshl_or_b32 v3, v3, 2, v1
	v_add_u32_e32 v19, 0xc00, v3
	s_mov_b64 s[6:7], -1
	s_branch .LBB636_284
.LBB636_283:
                                        ; implicit-def: $vgpr19
.LBB636_284:
	s_and_b64 vcc, exec, s[6:7]
	s_cbranch_vccz .LBB636_286
; %bb.285:
	v_lshlrev_b32_e32 v3, 2, v19
	v_mov_b32_e32 v17, 1
	ds_add_u32 v3, v17
.LBB636_286:
	s_waitcnt vmcnt(3)
	v_xor_b32_e32 v17, 0x80000000, v8
	v_lshrrev_b32_e32 v18, s8, v17
	v_and_b32_e32 v18, s13, v18
	v_lshl_or_b32 v18, v18, 4, v2
	v_mov_b32_e32 v19, 1
	ds_add_u32 v18, v19
	s_waitcnt vmcnt(2)
	v_xor_b32_e32 v3, 0x80000000, v6
	v_lshrrev_b32_e32 v18, s8, v3
	s_and_b64 vcc, exec, s[4:5]
	v_and_b32_e32 v18, s13, v18
	s_cbranch_vccz .LBB636_288
; %bb.287:
	v_lshl_or_b32 v19, v18, 2, v1
	s_mov_b64 s[6:7], -1
	s_cbranch_execz .LBB636_289
	s_branch .LBB636_296
.LBB636_288:
	s_mov_b64 s[6:7], 0
                                        ; implicit-def: $vgpr19
.LBB636_289:
	s_sub_i32 s10, s9, s12
	s_min_u32 s10, s10, 8
	s_lshl_b32 s10, -1, s10
	s_not_b32 s15, s10
	v_lshrrev_b32_e32 v19, s12, v17
	v_and_b32_e32 v19, s15, v19
	v_lshl_or_b32 v20, v19, 4, v2
	v_mov_b32_e32 v19, 1
	ds_add_u32 v20, v19 offset:4096
	s_add_i32 s14, s8, 16
	s_cmp_gt_u32 s9, s14
	s_cselect_b64 s[10:11], -1, 0
	s_cmp_le_u32 s9, s14
	s_cbranch_scc1 .LBB636_292
; %bb.290:
	s_sub_i32 s16, s9, s14
	s_min_u32 s16, s16, 8
	v_lshrrev_b32_e32 v20, s14, v17
	v_bfe_u32 v20, v20, 0, s16
	v_lshl_or_b32 v20, v20, 4, v2
	ds_add_u32 v20, v19 offset:8192
	s_add_i32 s16, s8, 24
	s_cmp_le_u32 s9, s16
	s_cbranch_scc1 .LBB636_292
; %bb.291:
	s_sub_i32 s17, s9, s16
	s_min_u32 s17, s17, 8
	v_lshrrev_b32_e32 v17, s16, v17
	v_bfe_u32 v17, v17, 0, s17
	v_lshl_or_b32 v17, v17, 4, v2
	v_mov_b32_e32 v20, 1
	ds_add_u32 v17, v20 offset:12288
.LBB636_292:
	v_lshl_or_b32 v17, v18, 4, v2
	ds_add_u32 v17, v19
	v_lshrrev_b32_e32 v17, s12, v3
	v_and_b32_e32 v17, s15, v17
	v_lshl_or_b32 v17, v17, 4, v2
	ds_add_u32 v17, v19 offset:4096
	s_andn2_b64 vcc, exec, s[10:11]
	s_cbranch_vccnz .LBB636_295
; %bb.293:
	s_sub_i32 s10, s9, s14
	s_min_u32 s10, s10, 8
	v_lshrrev_b32_e32 v17, s14, v3
	v_bfe_u32 v17, v17, 0, s10
	v_lshl_or_b32 v17, v17, 4, v2
	v_mov_b32_e32 v18, 1
	ds_add_u32 v17, v18 offset:8192
	s_add_i32 s10, s8, 24
	s_cmp_gt_u32 s9, s10
	s_cbranch_scc0 .LBB636_295
; %bb.294:
	s_sub_i32 s6, s9, s10
	s_min_u32 s6, s6, 8
	v_lshrrev_b32_e32 v3, s10, v3
	v_bfe_u32 v3, v3, 0, s6
	v_lshl_or_b32 v3, v3, 2, v1
	v_add_u32_e32 v19, 0xc00, v3
	s_mov_b64 s[6:7], -1
	s_branch .LBB636_296
.LBB636_295:
                                        ; implicit-def: $vgpr19
.LBB636_296:
	s_and_b64 vcc, exec, s[6:7]
	s_cbranch_vccz .LBB636_298
; %bb.297:
	v_lshlrev_b32_e32 v3, 2, v19
	v_mov_b32_e32 v17, 1
	ds_add_u32 v3, v17
.LBB636_298:
	s_waitcnt vmcnt(1)
	v_xor_b32_e32 v17, 0x80000000, v5
	v_lshrrev_b32_e32 v18, s8, v17
	v_and_b32_e32 v18, s13, v18
	v_lshl_or_b32 v18, v18, 4, v2
	v_mov_b32_e32 v19, 1
	ds_add_u32 v18, v19
	s_waitcnt vmcnt(0)
	v_xor_b32_e32 v3, 0x80000000, v4
	v_lshrrev_b32_e32 v18, s8, v3
	s_and_b64 vcc, exec, s[4:5]
	v_and_b32_e32 v18, s13, v18
	s_cbranch_vccz .LBB636_300
; %bb.299:
	v_lshl_or_b32 v19, v18, 2, v1
	s_mov_b64 s[4:5], -1
	s_cbranch_execz .LBB636_301
	s_branch .LBB636_308
.LBB636_300:
	s_mov_b64 s[4:5], 0
                                        ; implicit-def: $vgpr19
.LBB636_301:
	s_sub_i32 s6, s9, s12
	s_min_u32 s6, s6, 8
	s_lshl_b32 s6, -1, s6
	s_not_b32 s11, s6
	v_lshrrev_b32_e32 v19, s12, v17
	v_and_b32_e32 v19, s11, v19
	v_lshl_or_b32 v20, v19, 4, v2
	v_mov_b32_e32 v19, 1
	ds_add_u32 v20, v19 offset:4096
	s_add_i32 s10, s8, 16
	s_cmp_gt_u32 s9, s10
	s_cselect_b64 s[6:7], -1, 0
	s_cmp_le_u32 s9, s10
	s_cbranch_scc1 .LBB636_304
; %bb.302:
	s_sub_i32 s13, s9, s10
	s_min_u32 s13, s13, 8
	v_lshrrev_b32_e32 v20, s10, v17
	v_bfe_u32 v20, v20, 0, s13
	v_lshl_or_b32 v20, v20, 4, v2
	ds_add_u32 v20, v19 offset:8192
	s_add_i32 s13, s8, 24
	s_cmp_le_u32 s9, s13
	s_cbranch_scc1 .LBB636_304
; %bb.303:
	v_lshrrev_b32_e32 v17, s13, v17
	s_sub_i32 s13, s9, s13
	s_min_u32 s13, s13, 8
	v_bfe_u32 v17, v17, 0, s13
	v_lshl_or_b32 v17, v17, 4, v2
	v_mov_b32_e32 v20, 1
	ds_add_u32 v17, v20 offset:12288
.LBB636_304:
	v_lshl_or_b32 v17, v18, 4, v2
	ds_add_u32 v17, v19
	v_lshrrev_b32_e32 v17, s12, v3
	v_and_b32_e32 v17, s11, v17
	v_lshl_or_b32 v17, v17, 4, v2
	ds_add_u32 v17, v19 offset:4096
	s_andn2_b64 vcc, exec, s[6:7]
	s_cbranch_vccnz .LBB636_307
; %bb.305:
	s_sub_i32 s6, s9, s10
	s_min_u32 s6, s6, 8
	v_lshrrev_b32_e32 v17, s10, v3
	v_bfe_u32 v17, v17, 0, s6
	v_lshl_or_b32 v2, v17, 4, v2
	v_mov_b32_e32 v17, 1
	ds_add_u32 v2, v17 offset:8192
	s_add_i32 s6, s8, 24
	s_cmp_gt_u32 s9, s6
	s_cbranch_scc0 .LBB636_307
; %bb.306:
	s_sub_i32 s4, s9, s6
	s_min_u32 s4, s4, 8
	v_lshrrev_b32_e32 v2, s6, v3
	v_bfe_u32 v2, v2, 0, s4
	v_lshl_or_b32 v1, v2, 2, v1
	v_add_u32_e32 v19, 0xc00, v1
	s_mov_b64 s[4:5], -1
	s_branch .LBB636_308
.LBB636_307:
                                        ; implicit-def: $vgpr19
.LBB636_308:
	s_and_b64 vcc, exec, s[4:5]
	s_cbranch_vccz .LBB636_310
; %bb.309:
	v_lshlrev_b32_e32 v1, 2, v19
	v_mov_b32_e32 v2, 1
	ds_add_u32 v1, v2
.LBB636_310:
	s_and_b64 vcc, exec, s[0:1]
	s_waitcnt lgkmcnt(0)
	s_barrier
	s_cbranch_vccz .LBB636_315
; %bb.311:
	s_movk_i32 s0, 0x100
	v_cmp_gt_u32_e32 vcc, s0, v0
	v_lshlrev_b32_e32 v1, 4, v0
	v_mov_b32_e32 v3, 0
	v_mov_b32_e32 v2, v0
	s_branch .LBB636_313
.LBB636_312:                            ;   in Loop: Header=BB636_313 Depth=1
	s_or_b64 exec, exec, s[4:5]
	s_add_i32 s8, s8, 8
	v_add_u32_e32 v2, 0x100, v2
	s_cmp_ge_u32 s8, s9
	v_add_u32_e32 v1, 0x1000, v1
	s_cbranch_scc1 .LBB636_315
.LBB636_313:                            ; =>This Inner Loop Header: Depth=1
	s_and_saveexec_b64 s[4:5], vcc
	s_cbranch_execz .LBB636_312
; %bb.314:                              ;   in Loop: Header=BB636_313 Depth=1
	ds_read2_b32 v[18:19], v1 offset1:1
	ds_read2_b32 v[20:21], v1 offset0:2 offset1:3
	v_lshlrev_b64 v[22:23], 3, v[2:3]
	v_mov_b32_e32 v17, s3
	s_waitcnt lgkmcnt(1)
	v_add_u32_e32 v18, v19, v18
	s_waitcnt lgkmcnt(0)
	v_add3_u32 v18, v18, v20, v21
	v_add_co_u32_e64 v20, s[0:1], s2, v22
	v_addc_co_u32_e64 v21, s[0:1], v17, v23, s[0:1]
	v_mov_b32_e32 v19, v3
	global_atomic_add_x2 v[20:21], v[18:19], off
	s_branch .LBB636_312
.LBB636_315:
	s_mov_b64 s[0:1], 0
.LBB636_316:
	s_and_b64 vcc, exec, s[0:1]
	s_cbranch_vccz .LBB636_319
; %bb.317:
	v_and_b32_e32 v2, 3, v0
	s_waitcnt vmcnt(11)
	v_lshlrev_b32_e32 v3, 2, v16
	s_movk_i32 s0, 0x3fc
	v_mov_b32_e32 v1, 0
	v_and_or_b32 v3, v3, s0, v2
	ds_write2st64_b32 v14, v1, v1 offset1:16
	ds_write2st64_b32 v14, v1, v1 offset0:32 offset1:48
	v_lshlrev_b32_e32 v3, 2, v3
	v_mov_b32_e32 v14, 1
	s_waitcnt lgkmcnt(0)
	s_barrier
	ds_add_u32 v3, v14
	v_bfe_u32 v3, v16, 8, 8
	v_lshl_or_b32 v3, v3, 2, v2
	v_lshlrev_b32_e32 v3, 2, v3
	ds_add_u32 v3, v14 offset:4096
	v_bfe_u32 v3, v16, 16, 8
	v_lshl_or_b32 v3, v3, 2, v2
	v_lshlrev_b32_e32 v3, 2, v3
	ds_add_u32 v3, v14 offset:8192
	v_lshrrev_b32_e32 v3, 24, v16
	v_or_b32_e32 v16, 0xc00, v2
	v_lshl_or_b32 v3, v3, 2, v16
	v_xor_b32_e32 v3, 0x200, v3
	v_lshlrev_b32_e32 v3, 2, v3
	ds_add_u32 v3, v14
	s_waitcnt vmcnt(10)
	v_lshlrev_b32_e32 v3, 2, v15
	v_and_or_b32 v3, v3, s0, v2
	v_lshlrev_b32_e32 v3, 2, v3
	ds_add_u32 v3, v14
	v_bfe_u32 v3, v15, 8, 8
	v_lshl_or_b32 v3, v3, 2, v2
	v_lshlrev_b32_e32 v3, 2, v3
	ds_add_u32 v3, v14 offset:4096
	v_bfe_u32 v3, v15, 16, 8
	v_lshl_or_b32 v3, v3, 2, v2
	v_lshlrev_b32_e32 v3, 2, v3
	ds_add_u32 v3, v14 offset:8192
	v_lshrrev_b32_e32 v3, 24, v15
	v_lshl_or_b32 v3, v3, 2, v16
	v_xor_b32_e32 v3, 0x200, v3
	v_lshlrev_b32_e32 v3, 2, v3
	ds_add_u32 v3, v14
	s_waitcnt vmcnt(9)
	v_lshlrev_b32_e32 v3, 2, v13
	v_and_or_b32 v3, v3, s0, v2
	v_lshlrev_b32_e32 v3, 2, v3
	ds_add_u32 v3, v14
	v_bfe_u32 v3, v13, 8, 8
	v_lshl_or_b32 v3, v3, 2, v2
	v_lshlrev_b32_e32 v3, 2, v3
	ds_add_u32 v3, v14 offset:4096
	v_bfe_u32 v3, v13, 16, 8
	v_lshl_or_b32 v3, v3, 2, v2
	v_lshlrev_b32_e32 v3, 2, v3
	ds_add_u32 v3, v14 offset:8192
	v_lshrrev_b32_e32 v3, 24, v13
	v_lshl_or_b32 v3, v3, 2, v16
	v_xor_b32_e32 v3, 0x200, v3
	v_lshlrev_b32_e32 v3, 2, v3
	ds_add_u32 v3, v14
	s_waitcnt vmcnt(8)
	v_lshlrev_b32_e32 v3, 2, v12
	v_and_or_b32 v3, v3, s0, v2
	v_lshlrev_b32_e32 v3, 2, v3
	ds_add_u32 v3, v14
	v_bfe_u32 v3, v12, 8, 8
	v_lshl_or_b32 v3, v3, 2, v2
	v_lshlrev_b32_e32 v3, 2, v3
	ds_add_u32 v3, v14 offset:4096
	v_bfe_u32 v3, v12, 16, 8
	v_lshl_or_b32 v3, v3, 2, v2
	v_lshlrev_b32_e32 v3, 2, v3
	ds_add_u32 v3, v14 offset:8192
	v_lshrrev_b32_e32 v3, 24, v12
	v_lshl_or_b32 v3, v3, 2, v16
	v_xor_b32_e32 v3, 0x200, v3
	v_lshlrev_b32_e32 v3, 2, v3
	ds_add_u32 v3, v14
	s_waitcnt vmcnt(7)
	v_lshlrev_b32_e32 v3, 2, v11
	v_and_or_b32 v3, v3, s0, v2
	v_lshlrev_b32_e32 v3, 2, v3
	ds_add_u32 v3, v14
	v_bfe_u32 v3, v11, 8, 8
	v_lshl_or_b32 v3, v3, 2, v2
	v_lshlrev_b32_e32 v3, 2, v3
	ds_add_u32 v3, v14 offset:4096
	v_bfe_u32 v3, v11, 16, 8
	v_lshl_or_b32 v3, v3, 2, v2
	v_lshlrev_b32_e32 v3, 2, v3
	ds_add_u32 v3, v14 offset:8192
	v_lshrrev_b32_e32 v3, 24, v11
	v_lshl_or_b32 v3, v3, 2, v16
	v_xor_b32_e32 v3, 0x200, v3
	v_lshlrev_b32_e32 v3, 2, v3
	ds_add_u32 v3, v14
	s_waitcnt vmcnt(6)
	v_lshlrev_b32_e32 v3, 2, v10
	v_and_or_b32 v3, v3, s0, v2
	v_lshlrev_b32_e32 v3, 2, v3
	ds_add_u32 v3, v14
	v_bfe_u32 v3, v10, 8, 8
	v_lshl_or_b32 v3, v3, 2, v2
	v_lshlrev_b32_e32 v3, 2, v3
	ds_add_u32 v3, v14 offset:4096
	v_bfe_u32 v3, v10, 16, 8
	v_lshl_or_b32 v3, v3, 2, v2
	v_lshlrev_b32_e32 v3, 2, v3
	ds_add_u32 v3, v14 offset:8192
	v_lshrrev_b32_e32 v3, 24, v10
	v_lshl_or_b32 v3, v3, 2, v16
	v_xor_b32_e32 v3, 0x200, v3
	v_lshlrev_b32_e32 v3, 2, v3
	ds_add_u32 v3, v14
	s_waitcnt vmcnt(5)
	v_lshlrev_b32_e32 v3, 2, v9
	v_and_or_b32 v3, v3, s0, v2
	v_lshlrev_b32_e32 v3, 2, v3
	ds_add_u32 v3, v14
	v_bfe_u32 v3, v9, 8, 8
	v_lshl_or_b32 v3, v3, 2, v2
	v_lshlrev_b32_e32 v3, 2, v3
	ds_add_u32 v3, v14 offset:4096
	v_bfe_u32 v3, v9, 16, 8
	v_lshl_or_b32 v3, v3, 2, v2
	v_lshlrev_b32_e32 v3, 2, v3
	ds_add_u32 v3, v14 offset:8192
	v_lshrrev_b32_e32 v3, 24, v9
	v_lshl_or_b32 v3, v3, 2, v16
	v_xor_b32_e32 v3, 0x200, v3
	v_lshlrev_b32_e32 v3, 2, v3
	ds_add_u32 v3, v14
	s_waitcnt vmcnt(4)
	v_lshlrev_b32_e32 v3, 2, v7
	v_and_or_b32 v3, v3, s0, v2
	v_lshlrev_b32_e32 v3, 2, v3
	ds_add_u32 v3, v14
	v_bfe_u32 v3, v7, 8, 8
	v_lshl_or_b32 v3, v3, 2, v2
	v_lshlrev_b32_e32 v3, 2, v3
	ds_add_u32 v3, v14 offset:4096
	v_bfe_u32 v3, v7, 16, 8
	v_lshl_or_b32 v3, v3, 2, v2
	v_lshlrev_b32_e32 v3, 2, v3
	ds_add_u32 v3, v14 offset:8192
	v_lshrrev_b32_e32 v3, 24, v7
	v_lshl_or_b32 v3, v3, 2, v16
	v_xor_b32_e32 v3, 0x200, v3
	v_lshlrev_b32_e32 v3, 2, v3
	ds_add_u32 v3, v14
	s_waitcnt vmcnt(3)
	v_lshlrev_b32_e32 v3, 2, v8
	v_and_or_b32 v3, v3, s0, v2
	v_lshlrev_b32_e32 v3, 2, v3
	ds_add_u32 v3, v14
	v_bfe_u32 v3, v8, 8, 8
	v_lshl_or_b32 v3, v3, 2, v2
	v_lshlrev_b32_e32 v3, 2, v3
	ds_add_u32 v3, v14 offset:4096
	v_bfe_u32 v3, v8, 16, 8
	v_lshl_or_b32 v3, v3, 2, v2
	v_lshlrev_b32_e32 v3, 2, v3
	ds_add_u32 v3, v14 offset:8192
	v_lshrrev_b32_e32 v3, 24, v8
	v_lshl_or_b32 v3, v3, 2, v16
	v_xor_b32_e32 v3, 0x200, v3
	v_lshlrev_b32_e32 v3, 2, v3
	ds_add_u32 v3, v14
	s_waitcnt vmcnt(2)
	v_lshlrev_b32_e32 v3, 2, v6
	v_and_or_b32 v3, v3, s0, v2
	v_lshlrev_b32_e32 v3, 2, v3
	ds_add_u32 v3, v14
	v_bfe_u32 v3, v6, 8, 8
	v_lshl_or_b32 v3, v3, 2, v2
	v_lshlrev_b32_e32 v3, 2, v3
	ds_add_u32 v3, v14 offset:4096
	v_bfe_u32 v3, v6, 16, 8
	v_lshl_or_b32 v3, v3, 2, v2
	v_lshlrev_b32_e32 v3, 2, v3
	ds_add_u32 v3, v14 offset:8192
	v_lshrrev_b32_e32 v3, 24, v6
	v_lshl_or_b32 v3, v3, 2, v16
	v_xor_b32_e32 v3, 0x200, v3
	v_lshlrev_b32_e32 v3, 2, v3
	ds_add_u32 v3, v14
	s_waitcnt vmcnt(1)
	v_lshlrev_b32_e32 v3, 2, v5
	v_and_or_b32 v3, v3, s0, v2
	v_lshlrev_b32_e32 v3, 2, v3
	ds_add_u32 v3, v14
	v_bfe_u32 v3, v5, 8, 8
	v_lshl_or_b32 v3, v3, 2, v2
	v_lshlrev_b32_e32 v3, 2, v3
	ds_add_u32 v3, v14 offset:4096
	v_bfe_u32 v3, v5, 16, 8
	v_lshl_or_b32 v3, v3, 2, v2
	v_lshlrev_b32_e32 v3, 2, v3
	ds_add_u32 v3, v14 offset:8192
	v_lshrrev_b32_e32 v3, 24, v5
	v_lshl_or_b32 v3, v3, 2, v16
	v_xor_b32_e32 v3, 0x200, v3
	v_lshlrev_b32_e32 v3, 2, v3
	ds_add_u32 v3, v14
	s_waitcnt vmcnt(0)
	v_lshlrev_b32_e32 v3, 2, v4
	v_and_or_b32 v3, v3, s0, v2
	v_lshlrev_b32_e32 v3, 2, v3
	ds_add_u32 v3, v14
	v_bfe_u32 v3, v4, 8, 8
	v_lshl_or_b32 v3, v3, 2, v2
	v_lshlrev_b32_e32 v3, 2, v3
	ds_add_u32 v3, v14 offset:4096
	v_bfe_u32 v3, v4, 16, 8
	v_lshl_or_b32 v2, v3, 2, v2
	v_lshlrev_b32_e32 v2, 2, v2
	ds_add_u32 v2, v14 offset:8192
	v_lshrrev_b32_e32 v2, 24, v4
	v_lshl_or_b32 v2, v2, 2, v16
	v_xor_b32_e32 v2, 0x200, v2
	v_lshlrev_b32_e32 v2, 2, v2
	ds_add_u32 v2, v14
	s_movk_i32 s0, 0x100
	v_cmp_gt_u32_e32 vcc, s0, v0
	s_waitcnt lgkmcnt(0)
	s_barrier
	s_and_saveexec_b64 s[0:1], vcc
	s_cbranch_execz .LBB636_319
; %bb.318:
	v_lshlrev_b32_e32 v6, 4, v0
	ds_read2_b32 v[2:3], v6 offset1:1
	ds_read2_b32 v[4:5], v6 offset0:2 offset1:3
	v_lshlrev_b32_e32 v7, 3, v0
	v_add_u32_e32 v8, 0x1000, v6
	v_add_u32_e32 v9, 0x1008, v6
	s_waitcnt lgkmcnt(1)
	v_add_u32_e32 v0, v3, v2
	s_waitcnt lgkmcnt(0)
	v_add3_u32 v0, v0, v4, v5
	global_atomic_add_x2 v7, v[0:1], s[2:3]
	ds_read2_b32 v[2:3], v8 offset1:1
	ds_read2_b32 v[4:5], v9 offset1:1
	v_add_u32_e32 v8, 0x2000, v6
	v_add_u32_e32 v9, 0x2008, v6
	s_waitcnt lgkmcnt(1)
	v_add_u32_e32 v0, v3, v2
	s_waitcnt lgkmcnt(0)
	v_add3_u32 v0, v0, v4, v5
	global_atomic_add_x2 v7, v[0:1], s[2:3] offset:2048
	ds_read2_b32 v[2:3], v8 offset1:1
	ds_read2_b32 v[4:5], v9 offset1:1
	v_or_b32_e32 v8, 0x1000, v7
	v_add_u32_e32 v9, 0x3000, v6
	v_add_u32_e32 v6, 0x3008, v6
	s_waitcnt lgkmcnt(1)
	v_add_u32_e32 v0, v3, v2
	s_waitcnt lgkmcnt(0)
	v_add3_u32 v0, v0, v4, v5
	global_atomic_add_x2 v8, v[0:1], s[2:3]
	ds_read2_b32 v[2:3], v9 offset1:1
	ds_read2_b32 v[4:5], v6 offset1:1
	s_waitcnt lgkmcnt(1)
	v_add_u32_e32 v0, v3, v2
	s_waitcnt lgkmcnt(0)
	v_add3_u32 v0, v0, v4, v5
	v_or_b32_e32 v2, 0x1800, v7
	global_atomic_add_x2 v2, v[0:1], s[2:3]
.LBB636_319:
	s_endpgm
	.section	.rodata,"a",@progbits
	.p2align	6, 0x0
	.amdhsa_kernel _ZN7rocprim17ROCPRIM_400000_NS6detail17trampoline_kernelINS0_14default_configENS1_35radix_sort_onesweep_config_selectorIiNS0_10empty_typeEEEZNS1_34radix_sort_onesweep_global_offsetsIS3_Lb0EPiPS5_mNS0_19identity_decomposerEEE10hipError_tT1_T2_PT3_SE_jT4_jjP12ihipStream_tbEUlT_E_NS1_11comp_targetILNS1_3genE4ELNS1_11target_archE910ELNS1_3gpuE8ELNS1_3repE0EEENS1_52radix_sort_onesweep_histogram_config_static_selectorELNS0_4arch9wavefront6targetE1EEEvSC_
		.amdhsa_group_segment_fixed_size 16384
		.amdhsa_private_segment_fixed_size 0
		.amdhsa_kernarg_size 48
		.amdhsa_user_sgpr_count 6
		.amdhsa_user_sgpr_private_segment_buffer 1
		.amdhsa_user_sgpr_dispatch_ptr 0
		.amdhsa_user_sgpr_queue_ptr 0
		.amdhsa_user_sgpr_kernarg_segment_ptr 1
		.amdhsa_user_sgpr_dispatch_id 0
		.amdhsa_user_sgpr_flat_scratch_init 0
		.amdhsa_user_sgpr_kernarg_preload_length 0
		.amdhsa_user_sgpr_kernarg_preload_offset 0
		.amdhsa_user_sgpr_private_segment_size 0
		.amdhsa_uses_dynamic_stack 0
		.amdhsa_system_sgpr_private_segment_wavefront_offset 0
		.amdhsa_system_sgpr_workgroup_id_x 1
		.amdhsa_system_sgpr_workgroup_id_y 0
		.amdhsa_system_sgpr_workgroup_id_z 0
		.amdhsa_system_sgpr_workgroup_info 0
		.amdhsa_system_vgpr_workitem_id 0
		.amdhsa_next_free_vgpr 28
		.amdhsa_next_free_sgpr 18
		.amdhsa_accum_offset 28
		.amdhsa_reserve_vcc 1
		.amdhsa_reserve_flat_scratch 0
		.amdhsa_float_round_mode_32 0
		.amdhsa_float_round_mode_16_64 0
		.amdhsa_float_denorm_mode_32 3
		.amdhsa_float_denorm_mode_16_64 3
		.amdhsa_dx10_clamp 1
		.amdhsa_ieee_mode 1
		.amdhsa_fp16_overflow 0
		.amdhsa_tg_split 0
		.amdhsa_exception_fp_ieee_invalid_op 0
		.amdhsa_exception_fp_denorm_src 0
		.amdhsa_exception_fp_ieee_div_zero 0
		.amdhsa_exception_fp_ieee_overflow 0
		.amdhsa_exception_fp_ieee_underflow 0
		.amdhsa_exception_fp_ieee_inexact 0
		.amdhsa_exception_int_div_zero 0
	.end_amdhsa_kernel
	.section	.text._ZN7rocprim17ROCPRIM_400000_NS6detail17trampoline_kernelINS0_14default_configENS1_35radix_sort_onesweep_config_selectorIiNS0_10empty_typeEEEZNS1_34radix_sort_onesweep_global_offsetsIS3_Lb0EPiPS5_mNS0_19identity_decomposerEEE10hipError_tT1_T2_PT3_SE_jT4_jjP12ihipStream_tbEUlT_E_NS1_11comp_targetILNS1_3genE4ELNS1_11target_archE910ELNS1_3gpuE8ELNS1_3repE0EEENS1_52radix_sort_onesweep_histogram_config_static_selectorELNS0_4arch9wavefront6targetE1EEEvSC_,"axG",@progbits,_ZN7rocprim17ROCPRIM_400000_NS6detail17trampoline_kernelINS0_14default_configENS1_35radix_sort_onesweep_config_selectorIiNS0_10empty_typeEEEZNS1_34radix_sort_onesweep_global_offsetsIS3_Lb0EPiPS5_mNS0_19identity_decomposerEEE10hipError_tT1_T2_PT3_SE_jT4_jjP12ihipStream_tbEUlT_E_NS1_11comp_targetILNS1_3genE4ELNS1_11target_archE910ELNS1_3gpuE8ELNS1_3repE0EEENS1_52radix_sort_onesweep_histogram_config_static_selectorELNS0_4arch9wavefront6targetE1EEEvSC_,comdat
.Lfunc_end636:
	.size	_ZN7rocprim17ROCPRIM_400000_NS6detail17trampoline_kernelINS0_14default_configENS1_35radix_sort_onesweep_config_selectorIiNS0_10empty_typeEEEZNS1_34radix_sort_onesweep_global_offsetsIS3_Lb0EPiPS5_mNS0_19identity_decomposerEEE10hipError_tT1_T2_PT3_SE_jT4_jjP12ihipStream_tbEUlT_E_NS1_11comp_targetILNS1_3genE4ELNS1_11target_archE910ELNS1_3gpuE8ELNS1_3repE0EEENS1_52radix_sort_onesweep_histogram_config_static_selectorELNS0_4arch9wavefront6targetE1EEEvSC_, .Lfunc_end636-_ZN7rocprim17ROCPRIM_400000_NS6detail17trampoline_kernelINS0_14default_configENS1_35radix_sort_onesweep_config_selectorIiNS0_10empty_typeEEEZNS1_34radix_sort_onesweep_global_offsetsIS3_Lb0EPiPS5_mNS0_19identity_decomposerEEE10hipError_tT1_T2_PT3_SE_jT4_jjP12ihipStream_tbEUlT_E_NS1_11comp_targetILNS1_3genE4ELNS1_11target_archE910ELNS1_3gpuE8ELNS1_3repE0EEENS1_52radix_sort_onesweep_histogram_config_static_selectorELNS0_4arch9wavefront6targetE1EEEvSC_
                                        ; -- End function
	.section	.AMDGPU.csdata,"",@progbits
; Kernel info:
; codeLenInByte = 11036
; NumSgprs: 22
; NumVgprs: 28
; NumAgprs: 0
; TotalNumVgprs: 28
; ScratchSize: 0
; MemoryBound: 0
; FloatMode: 240
; IeeeMode: 1
; LDSByteSize: 16384 bytes/workgroup (compile time only)
; SGPRBlocks: 2
; VGPRBlocks: 3
; NumSGPRsForWavesPerEU: 22
; NumVGPRsForWavesPerEU: 28
; AccumOffset: 28
; Occupancy: 8
; WaveLimiterHint : 1
; COMPUTE_PGM_RSRC2:SCRATCH_EN: 0
; COMPUTE_PGM_RSRC2:USER_SGPR: 6
; COMPUTE_PGM_RSRC2:TRAP_HANDLER: 0
; COMPUTE_PGM_RSRC2:TGID_X_EN: 1
; COMPUTE_PGM_RSRC2:TGID_Y_EN: 0
; COMPUTE_PGM_RSRC2:TGID_Z_EN: 0
; COMPUTE_PGM_RSRC2:TIDIG_COMP_CNT: 0
; COMPUTE_PGM_RSRC3_GFX90A:ACCUM_OFFSET: 6
; COMPUTE_PGM_RSRC3_GFX90A:TG_SPLIT: 0
	.section	.text._ZN7rocprim17ROCPRIM_400000_NS6detail17trampoline_kernelINS0_14default_configENS1_35radix_sort_onesweep_config_selectorIiNS0_10empty_typeEEEZNS1_34radix_sort_onesweep_global_offsetsIS3_Lb0EPiPS5_mNS0_19identity_decomposerEEE10hipError_tT1_T2_PT3_SE_jT4_jjP12ihipStream_tbEUlT_E_NS1_11comp_targetILNS1_3genE3ELNS1_11target_archE908ELNS1_3gpuE7ELNS1_3repE0EEENS1_52radix_sort_onesweep_histogram_config_static_selectorELNS0_4arch9wavefront6targetE1EEEvSC_,"axG",@progbits,_ZN7rocprim17ROCPRIM_400000_NS6detail17trampoline_kernelINS0_14default_configENS1_35radix_sort_onesweep_config_selectorIiNS0_10empty_typeEEEZNS1_34radix_sort_onesweep_global_offsetsIS3_Lb0EPiPS5_mNS0_19identity_decomposerEEE10hipError_tT1_T2_PT3_SE_jT4_jjP12ihipStream_tbEUlT_E_NS1_11comp_targetILNS1_3genE3ELNS1_11target_archE908ELNS1_3gpuE7ELNS1_3repE0EEENS1_52radix_sort_onesweep_histogram_config_static_selectorELNS0_4arch9wavefront6targetE1EEEvSC_,comdat
	.protected	_ZN7rocprim17ROCPRIM_400000_NS6detail17trampoline_kernelINS0_14default_configENS1_35radix_sort_onesweep_config_selectorIiNS0_10empty_typeEEEZNS1_34radix_sort_onesweep_global_offsetsIS3_Lb0EPiPS5_mNS0_19identity_decomposerEEE10hipError_tT1_T2_PT3_SE_jT4_jjP12ihipStream_tbEUlT_E_NS1_11comp_targetILNS1_3genE3ELNS1_11target_archE908ELNS1_3gpuE7ELNS1_3repE0EEENS1_52radix_sort_onesweep_histogram_config_static_selectorELNS0_4arch9wavefront6targetE1EEEvSC_ ; -- Begin function _ZN7rocprim17ROCPRIM_400000_NS6detail17trampoline_kernelINS0_14default_configENS1_35radix_sort_onesweep_config_selectorIiNS0_10empty_typeEEEZNS1_34radix_sort_onesweep_global_offsetsIS3_Lb0EPiPS5_mNS0_19identity_decomposerEEE10hipError_tT1_T2_PT3_SE_jT4_jjP12ihipStream_tbEUlT_E_NS1_11comp_targetILNS1_3genE3ELNS1_11target_archE908ELNS1_3gpuE7ELNS1_3repE0EEENS1_52radix_sort_onesweep_histogram_config_static_selectorELNS0_4arch9wavefront6targetE1EEEvSC_
	.globl	_ZN7rocprim17ROCPRIM_400000_NS6detail17trampoline_kernelINS0_14default_configENS1_35radix_sort_onesweep_config_selectorIiNS0_10empty_typeEEEZNS1_34radix_sort_onesweep_global_offsetsIS3_Lb0EPiPS5_mNS0_19identity_decomposerEEE10hipError_tT1_T2_PT3_SE_jT4_jjP12ihipStream_tbEUlT_E_NS1_11comp_targetILNS1_3genE3ELNS1_11target_archE908ELNS1_3gpuE7ELNS1_3repE0EEENS1_52radix_sort_onesweep_histogram_config_static_selectorELNS0_4arch9wavefront6targetE1EEEvSC_
	.p2align	8
	.type	_ZN7rocprim17ROCPRIM_400000_NS6detail17trampoline_kernelINS0_14default_configENS1_35radix_sort_onesweep_config_selectorIiNS0_10empty_typeEEEZNS1_34radix_sort_onesweep_global_offsetsIS3_Lb0EPiPS5_mNS0_19identity_decomposerEEE10hipError_tT1_T2_PT3_SE_jT4_jjP12ihipStream_tbEUlT_E_NS1_11comp_targetILNS1_3genE3ELNS1_11target_archE908ELNS1_3gpuE7ELNS1_3repE0EEENS1_52radix_sort_onesweep_histogram_config_static_selectorELNS0_4arch9wavefront6targetE1EEEvSC_,@function
_ZN7rocprim17ROCPRIM_400000_NS6detail17trampoline_kernelINS0_14default_configENS1_35radix_sort_onesweep_config_selectorIiNS0_10empty_typeEEEZNS1_34radix_sort_onesweep_global_offsetsIS3_Lb0EPiPS5_mNS0_19identity_decomposerEEE10hipError_tT1_T2_PT3_SE_jT4_jjP12ihipStream_tbEUlT_E_NS1_11comp_targetILNS1_3genE3ELNS1_11target_archE908ELNS1_3gpuE7ELNS1_3repE0EEENS1_52radix_sort_onesweep_histogram_config_static_selectorELNS0_4arch9wavefront6targetE1EEEvSC_: ; @_ZN7rocprim17ROCPRIM_400000_NS6detail17trampoline_kernelINS0_14default_configENS1_35radix_sort_onesweep_config_selectorIiNS0_10empty_typeEEEZNS1_34radix_sort_onesweep_global_offsetsIS3_Lb0EPiPS5_mNS0_19identity_decomposerEEE10hipError_tT1_T2_PT3_SE_jT4_jjP12ihipStream_tbEUlT_E_NS1_11comp_targetILNS1_3genE3ELNS1_11target_archE908ELNS1_3gpuE7ELNS1_3repE0EEENS1_52radix_sort_onesweep_histogram_config_static_selectorELNS0_4arch9wavefront6targetE1EEEvSC_
; %bb.0:
	.section	.rodata,"a",@progbits
	.p2align	6, 0x0
	.amdhsa_kernel _ZN7rocprim17ROCPRIM_400000_NS6detail17trampoline_kernelINS0_14default_configENS1_35radix_sort_onesweep_config_selectorIiNS0_10empty_typeEEEZNS1_34radix_sort_onesweep_global_offsetsIS3_Lb0EPiPS5_mNS0_19identity_decomposerEEE10hipError_tT1_T2_PT3_SE_jT4_jjP12ihipStream_tbEUlT_E_NS1_11comp_targetILNS1_3genE3ELNS1_11target_archE908ELNS1_3gpuE7ELNS1_3repE0EEENS1_52radix_sort_onesweep_histogram_config_static_selectorELNS0_4arch9wavefront6targetE1EEEvSC_
		.amdhsa_group_segment_fixed_size 0
		.amdhsa_private_segment_fixed_size 0
		.amdhsa_kernarg_size 48
		.amdhsa_user_sgpr_count 6
		.amdhsa_user_sgpr_private_segment_buffer 1
		.amdhsa_user_sgpr_dispatch_ptr 0
		.amdhsa_user_sgpr_queue_ptr 0
		.amdhsa_user_sgpr_kernarg_segment_ptr 1
		.amdhsa_user_sgpr_dispatch_id 0
		.amdhsa_user_sgpr_flat_scratch_init 0
		.amdhsa_user_sgpr_kernarg_preload_length 0
		.amdhsa_user_sgpr_kernarg_preload_offset 0
		.amdhsa_user_sgpr_private_segment_size 0
		.amdhsa_uses_dynamic_stack 0
		.amdhsa_system_sgpr_private_segment_wavefront_offset 0
		.amdhsa_system_sgpr_workgroup_id_x 1
		.amdhsa_system_sgpr_workgroup_id_y 0
		.amdhsa_system_sgpr_workgroup_id_z 0
		.amdhsa_system_sgpr_workgroup_info 0
		.amdhsa_system_vgpr_workitem_id 0
		.amdhsa_next_free_vgpr 1
		.amdhsa_next_free_sgpr 0
		.amdhsa_accum_offset 4
		.amdhsa_reserve_vcc 0
		.amdhsa_reserve_flat_scratch 0
		.amdhsa_float_round_mode_32 0
		.amdhsa_float_round_mode_16_64 0
		.amdhsa_float_denorm_mode_32 3
		.amdhsa_float_denorm_mode_16_64 3
		.amdhsa_dx10_clamp 1
		.amdhsa_ieee_mode 1
		.amdhsa_fp16_overflow 0
		.amdhsa_tg_split 0
		.amdhsa_exception_fp_ieee_invalid_op 0
		.amdhsa_exception_fp_denorm_src 0
		.amdhsa_exception_fp_ieee_div_zero 0
		.amdhsa_exception_fp_ieee_overflow 0
		.amdhsa_exception_fp_ieee_underflow 0
		.amdhsa_exception_fp_ieee_inexact 0
		.amdhsa_exception_int_div_zero 0
	.end_amdhsa_kernel
	.section	.text._ZN7rocprim17ROCPRIM_400000_NS6detail17trampoline_kernelINS0_14default_configENS1_35radix_sort_onesweep_config_selectorIiNS0_10empty_typeEEEZNS1_34radix_sort_onesweep_global_offsetsIS3_Lb0EPiPS5_mNS0_19identity_decomposerEEE10hipError_tT1_T2_PT3_SE_jT4_jjP12ihipStream_tbEUlT_E_NS1_11comp_targetILNS1_3genE3ELNS1_11target_archE908ELNS1_3gpuE7ELNS1_3repE0EEENS1_52radix_sort_onesweep_histogram_config_static_selectorELNS0_4arch9wavefront6targetE1EEEvSC_,"axG",@progbits,_ZN7rocprim17ROCPRIM_400000_NS6detail17trampoline_kernelINS0_14default_configENS1_35radix_sort_onesweep_config_selectorIiNS0_10empty_typeEEEZNS1_34radix_sort_onesweep_global_offsetsIS3_Lb0EPiPS5_mNS0_19identity_decomposerEEE10hipError_tT1_T2_PT3_SE_jT4_jjP12ihipStream_tbEUlT_E_NS1_11comp_targetILNS1_3genE3ELNS1_11target_archE908ELNS1_3gpuE7ELNS1_3repE0EEENS1_52radix_sort_onesweep_histogram_config_static_selectorELNS0_4arch9wavefront6targetE1EEEvSC_,comdat
.Lfunc_end637:
	.size	_ZN7rocprim17ROCPRIM_400000_NS6detail17trampoline_kernelINS0_14default_configENS1_35radix_sort_onesweep_config_selectorIiNS0_10empty_typeEEEZNS1_34radix_sort_onesweep_global_offsetsIS3_Lb0EPiPS5_mNS0_19identity_decomposerEEE10hipError_tT1_T2_PT3_SE_jT4_jjP12ihipStream_tbEUlT_E_NS1_11comp_targetILNS1_3genE3ELNS1_11target_archE908ELNS1_3gpuE7ELNS1_3repE0EEENS1_52radix_sort_onesweep_histogram_config_static_selectorELNS0_4arch9wavefront6targetE1EEEvSC_, .Lfunc_end637-_ZN7rocprim17ROCPRIM_400000_NS6detail17trampoline_kernelINS0_14default_configENS1_35radix_sort_onesweep_config_selectorIiNS0_10empty_typeEEEZNS1_34radix_sort_onesweep_global_offsetsIS3_Lb0EPiPS5_mNS0_19identity_decomposerEEE10hipError_tT1_T2_PT3_SE_jT4_jjP12ihipStream_tbEUlT_E_NS1_11comp_targetILNS1_3genE3ELNS1_11target_archE908ELNS1_3gpuE7ELNS1_3repE0EEENS1_52radix_sort_onesweep_histogram_config_static_selectorELNS0_4arch9wavefront6targetE1EEEvSC_
                                        ; -- End function
	.section	.AMDGPU.csdata,"",@progbits
; Kernel info:
; codeLenInByte = 0
; NumSgprs: 4
; NumVgprs: 0
; NumAgprs: 0
; TotalNumVgprs: 0
; ScratchSize: 0
; MemoryBound: 0
; FloatMode: 240
; IeeeMode: 1
; LDSByteSize: 0 bytes/workgroup (compile time only)
; SGPRBlocks: 0
; VGPRBlocks: 0
; NumSGPRsForWavesPerEU: 4
; NumVGPRsForWavesPerEU: 1
; AccumOffset: 4
; Occupancy: 8
; WaveLimiterHint : 0
; COMPUTE_PGM_RSRC2:SCRATCH_EN: 0
; COMPUTE_PGM_RSRC2:USER_SGPR: 6
; COMPUTE_PGM_RSRC2:TRAP_HANDLER: 0
; COMPUTE_PGM_RSRC2:TGID_X_EN: 1
; COMPUTE_PGM_RSRC2:TGID_Y_EN: 0
; COMPUTE_PGM_RSRC2:TGID_Z_EN: 0
; COMPUTE_PGM_RSRC2:TIDIG_COMP_CNT: 0
; COMPUTE_PGM_RSRC3_GFX90A:ACCUM_OFFSET: 0
; COMPUTE_PGM_RSRC3_GFX90A:TG_SPLIT: 0
	.section	.text._ZN7rocprim17ROCPRIM_400000_NS6detail17trampoline_kernelINS0_14default_configENS1_35radix_sort_onesweep_config_selectorIiNS0_10empty_typeEEEZNS1_34radix_sort_onesweep_global_offsetsIS3_Lb0EPiPS5_mNS0_19identity_decomposerEEE10hipError_tT1_T2_PT3_SE_jT4_jjP12ihipStream_tbEUlT_E_NS1_11comp_targetILNS1_3genE10ELNS1_11target_archE1201ELNS1_3gpuE5ELNS1_3repE0EEENS1_52radix_sort_onesweep_histogram_config_static_selectorELNS0_4arch9wavefront6targetE1EEEvSC_,"axG",@progbits,_ZN7rocprim17ROCPRIM_400000_NS6detail17trampoline_kernelINS0_14default_configENS1_35radix_sort_onesweep_config_selectorIiNS0_10empty_typeEEEZNS1_34radix_sort_onesweep_global_offsetsIS3_Lb0EPiPS5_mNS0_19identity_decomposerEEE10hipError_tT1_T2_PT3_SE_jT4_jjP12ihipStream_tbEUlT_E_NS1_11comp_targetILNS1_3genE10ELNS1_11target_archE1201ELNS1_3gpuE5ELNS1_3repE0EEENS1_52radix_sort_onesweep_histogram_config_static_selectorELNS0_4arch9wavefront6targetE1EEEvSC_,comdat
	.protected	_ZN7rocprim17ROCPRIM_400000_NS6detail17trampoline_kernelINS0_14default_configENS1_35radix_sort_onesweep_config_selectorIiNS0_10empty_typeEEEZNS1_34radix_sort_onesweep_global_offsetsIS3_Lb0EPiPS5_mNS0_19identity_decomposerEEE10hipError_tT1_T2_PT3_SE_jT4_jjP12ihipStream_tbEUlT_E_NS1_11comp_targetILNS1_3genE10ELNS1_11target_archE1201ELNS1_3gpuE5ELNS1_3repE0EEENS1_52radix_sort_onesweep_histogram_config_static_selectorELNS0_4arch9wavefront6targetE1EEEvSC_ ; -- Begin function _ZN7rocprim17ROCPRIM_400000_NS6detail17trampoline_kernelINS0_14default_configENS1_35radix_sort_onesweep_config_selectorIiNS0_10empty_typeEEEZNS1_34radix_sort_onesweep_global_offsetsIS3_Lb0EPiPS5_mNS0_19identity_decomposerEEE10hipError_tT1_T2_PT3_SE_jT4_jjP12ihipStream_tbEUlT_E_NS1_11comp_targetILNS1_3genE10ELNS1_11target_archE1201ELNS1_3gpuE5ELNS1_3repE0EEENS1_52radix_sort_onesweep_histogram_config_static_selectorELNS0_4arch9wavefront6targetE1EEEvSC_
	.globl	_ZN7rocprim17ROCPRIM_400000_NS6detail17trampoline_kernelINS0_14default_configENS1_35radix_sort_onesweep_config_selectorIiNS0_10empty_typeEEEZNS1_34radix_sort_onesweep_global_offsetsIS3_Lb0EPiPS5_mNS0_19identity_decomposerEEE10hipError_tT1_T2_PT3_SE_jT4_jjP12ihipStream_tbEUlT_E_NS1_11comp_targetILNS1_3genE10ELNS1_11target_archE1201ELNS1_3gpuE5ELNS1_3repE0EEENS1_52radix_sort_onesweep_histogram_config_static_selectorELNS0_4arch9wavefront6targetE1EEEvSC_
	.p2align	8
	.type	_ZN7rocprim17ROCPRIM_400000_NS6detail17trampoline_kernelINS0_14default_configENS1_35radix_sort_onesweep_config_selectorIiNS0_10empty_typeEEEZNS1_34radix_sort_onesweep_global_offsetsIS3_Lb0EPiPS5_mNS0_19identity_decomposerEEE10hipError_tT1_T2_PT3_SE_jT4_jjP12ihipStream_tbEUlT_E_NS1_11comp_targetILNS1_3genE10ELNS1_11target_archE1201ELNS1_3gpuE5ELNS1_3repE0EEENS1_52radix_sort_onesweep_histogram_config_static_selectorELNS0_4arch9wavefront6targetE1EEEvSC_,@function
_ZN7rocprim17ROCPRIM_400000_NS6detail17trampoline_kernelINS0_14default_configENS1_35radix_sort_onesweep_config_selectorIiNS0_10empty_typeEEEZNS1_34radix_sort_onesweep_global_offsetsIS3_Lb0EPiPS5_mNS0_19identity_decomposerEEE10hipError_tT1_T2_PT3_SE_jT4_jjP12ihipStream_tbEUlT_E_NS1_11comp_targetILNS1_3genE10ELNS1_11target_archE1201ELNS1_3gpuE5ELNS1_3repE0EEENS1_52radix_sort_onesweep_histogram_config_static_selectorELNS0_4arch9wavefront6targetE1EEEvSC_: ; @_ZN7rocprim17ROCPRIM_400000_NS6detail17trampoline_kernelINS0_14default_configENS1_35radix_sort_onesweep_config_selectorIiNS0_10empty_typeEEEZNS1_34radix_sort_onesweep_global_offsetsIS3_Lb0EPiPS5_mNS0_19identity_decomposerEEE10hipError_tT1_T2_PT3_SE_jT4_jjP12ihipStream_tbEUlT_E_NS1_11comp_targetILNS1_3genE10ELNS1_11target_archE1201ELNS1_3gpuE5ELNS1_3repE0EEENS1_52radix_sort_onesweep_histogram_config_static_selectorELNS0_4arch9wavefront6targetE1EEEvSC_
; %bb.0:
	.section	.rodata,"a",@progbits
	.p2align	6, 0x0
	.amdhsa_kernel _ZN7rocprim17ROCPRIM_400000_NS6detail17trampoline_kernelINS0_14default_configENS1_35radix_sort_onesweep_config_selectorIiNS0_10empty_typeEEEZNS1_34radix_sort_onesweep_global_offsetsIS3_Lb0EPiPS5_mNS0_19identity_decomposerEEE10hipError_tT1_T2_PT3_SE_jT4_jjP12ihipStream_tbEUlT_E_NS1_11comp_targetILNS1_3genE10ELNS1_11target_archE1201ELNS1_3gpuE5ELNS1_3repE0EEENS1_52radix_sort_onesweep_histogram_config_static_selectorELNS0_4arch9wavefront6targetE1EEEvSC_
		.amdhsa_group_segment_fixed_size 0
		.amdhsa_private_segment_fixed_size 0
		.amdhsa_kernarg_size 48
		.amdhsa_user_sgpr_count 6
		.amdhsa_user_sgpr_private_segment_buffer 1
		.amdhsa_user_sgpr_dispatch_ptr 0
		.amdhsa_user_sgpr_queue_ptr 0
		.amdhsa_user_sgpr_kernarg_segment_ptr 1
		.amdhsa_user_sgpr_dispatch_id 0
		.amdhsa_user_sgpr_flat_scratch_init 0
		.amdhsa_user_sgpr_kernarg_preload_length 0
		.amdhsa_user_sgpr_kernarg_preload_offset 0
		.amdhsa_user_sgpr_private_segment_size 0
		.amdhsa_uses_dynamic_stack 0
		.amdhsa_system_sgpr_private_segment_wavefront_offset 0
		.amdhsa_system_sgpr_workgroup_id_x 1
		.amdhsa_system_sgpr_workgroup_id_y 0
		.amdhsa_system_sgpr_workgroup_id_z 0
		.amdhsa_system_sgpr_workgroup_info 0
		.amdhsa_system_vgpr_workitem_id 0
		.amdhsa_next_free_vgpr 1
		.amdhsa_next_free_sgpr 0
		.amdhsa_accum_offset 4
		.amdhsa_reserve_vcc 0
		.amdhsa_reserve_flat_scratch 0
		.amdhsa_float_round_mode_32 0
		.amdhsa_float_round_mode_16_64 0
		.amdhsa_float_denorm_mode_32 3
		.amdhsa_float_denorm_mode_16_64 3
		.amdhsa_dx10_clamp 1
		.amdhsa_ieee_mode 1
		.amdhsa_fp16_overflow 0
		.amdhsa_tg_split 0
		.amdhsa_exception_fp_ieee_invalid_op 0
		.amdhsa_exception_fp_denorm_src 0
		.amdhsa_exception_fp_ieee_div_zero 0
		.amdhsa_exception_fp_ieee_overflow 0
		.amdhsa_exception_fp_ieee_underflow 0
		.amdhsa_exception_fp_ieee_inexact 0
		.amdhsa_exception_int_div_zero 0
	.end_amdhsa_kernel
	.section	.text._ZN7rocprim17ROCPRIM_400000_NS6detail17trampoline_kernelINS0_14default_configENS1_35radix_sort_onesweep_config_selectorIiNS0_10empty_typeEEEZNS1_34radix_sort_onesweep_global_offsetsIS3_Lb0EPiPS5_mNS0_19identity_decomposerEEE10hipError_tT1_T2_PT3_SE_jT4_jjP12ihipStream_tbEUlT_E_NS1_11comp_targetILNS1_3genE10ELNS1_11target_archE1201ELNS1_3gpuE5ELNS1_3repE0EEENS1_52radix_sort_onesweep_histogram_config_static_selectorELNS0_4arch9wavefront6targetE1EEEvSC_,"axG",@progbits,_ZN7rocprim17ROCPRIM_400000_NS6detail17trampoline_kernelINS0_14default_configENS1_35radix_sort_onesweep_config_selectorIiNS0_10empty_typeEEEZNS1_34radix_sort_onesweep_global_offsetsIS3_Lb0EPiPS5_mNS0_19identity_decomposerEEE10hipError_tT1_T2_PT3_SE_jT4_jjP12ihipStream_tbEUlT_E_NS1_11comp_targetILNS1_3genE10ELNS1_11target_archE1201ELNS1_3gpuE5ELNS1_3repE0EEENS1_52radix_sort_onesweep_histogram_config_static_selectorELNS0_4arch9wavefront6targetE1EEEvSC_,comdat
.Lfunc_end638:
	.size	_ZN7rocprim17ROCPRIM_400000_NS6detail17trampoline_kernelINS0_14default_configENS1_35radix_sort_onesweep_config_selectorIiNS0_10empty_typeEEEZNS1_34radix_sort_onesweep_global_offsetsIS3_Lb0EPiPS5_mNS0_19identity_decomposerEEE10hipError_tT1_T2_PT3_SE_jT4_jjP12ihipStream_tbEUlT_E_NS1_11comp_targetILNS1_3genE10ELNS1_11target_archE1201ELNS1_3gpuE5ELNS1_3repE0EEENS1_52radix_sort_onesweep_histogram_config_static_selectorELNS0_4arch9wavefront6targetE1EEEvSC_, .Lfunc_end638-_ZN7rocprim17ROCPRIM_400000_NS6detail17trampoline_kernelINS0_14default_configENS1_35radix_sort_onesweep_config_selectorIiNS0_10empty_typeEEEZNS1_34radix_sort_onesweep_global_offsetsIS3_Lb0EPiPS5_mNS0_19identity_decomposerEEE10hipError_tT1_T2_PT3_SE_jT4_jjP12ihipStream_tbEUlT_E_NS1_11comp_targetILNS1_3genE10ELNS1_11target_archE1201ELNS1_3gpuE5ELNS1_3repE0EEENS1_52radix_sort_onesweep_histogram_config_static_selectorELNS0_4arch9wavefront6targetE1EEEvSC_
                                        ; -- End function
	.section	.AMDGPU.csdata,"",@progbits
; Kernel info:
; codeLenInByte = 0
; NumSgprs: 4
; NumVgprs: 0
; NumAgprs: 0
; TotalNumVgprs: 0
; ScratchSize: 0
; MemoryBound: 0
; FloatMode: 240
; IeeeMode: 1
; LDSByteSize: 0 bytes/workgroup (compile time only)
; SGPRBlocks: 0
; VGPRBlocks: 0
; NumSGPRsForWavesPerEU: 4
; NumVGPRsForWavesPerEU: 1
; AccumOffset: 4
; Occupancy: 8
; WaveLimiterHint : 0
; COMPUTE_PGM_RSRC2:SCRATCH_EN: 0
; COMPUTE_PGM_RSRC2:USER_SGPR: 6
; COMPUTE_PGM_RSRC2:TRAP_HANDLER: 0
; COMPUTE_PGM_RSRC2:TGID_X_EN: 1
; COMPUTE_PGM_RSRC2:TGID_Y_EN: 0
; COMPUTE_PGM_RSRC2:TGID_Z_EN: 0
; COMPUTE_PGM_RSRC2:TIDIG_COMP_CNT: 0
; COMPUTE_PGM_RSRC3_GFX90A:ACCUM_OFFSET: 0
; COMPUTE_PGM_RSRC3_GFX90A:TG_SPLIT: 0
	.section	.text._ZN7rocprim17ROCPRIM_400000_NS6detail17trampoline_kernelINS0_14default_configENS1_35radix_sort_onesweep_config_selectorIiNS0_10empty_typeEEEZNS1_34radix_sort_onesweep_global_offsetsIS3_Lb0EPiPS5_mNS0_19identity_decomposerEEE10hipError_tT1_T2_PT3_SE_jT4_jjP12ihipStream_tbEUlT_E_NS1_11comp_targetILNS1_3genE9ELNS1_11target_archE1100ELNS1_3gpuE3ELNS1_3repE0EEENS1_52radix_sort_onesweep_histogram_config_static_selectorELNS0_4arch9wavefront6targetE1EEEvSC_,"axG",@progbits,_ZN7rocprim17ROCPRIM_400000_NS6detail17trampoline_kernelINS0_14default_configENS1_35radix_sort_onesweep_config_selectorIiNS0_10empty_typeEEEZNS1_34radix_sort_onesweep_global_offsetsIS3_Lb0EPiPS5_mNS0_19identity_decomposerEEE10hipError_tT1_T2_PT3_SE_jT4_jjP12ihipStream_tbEUlT_E_NS1_11comp_targetILNS1_3genE9ELNS1_11target_archE1100ELNS1_3gpuE3ELNS1_3repE0EEENS1_52radix_sort_onesweep_histogram_config_static_selectorELNS0_4arch9wavefront6targetE1EEEvSC_,comdat
	.protected	_ZN7rocprim17ROCPRIM_400000_NS6detail17trampoline_kernelINS0_14default_configENS1_35radix_sort_onesweep_config_selectorIiNS0_10empty_typeEEEZNS1_34radix_sort_onesweep_global_offsetsIS3_Lb0EPiPS5_mNS0_19identity_decomposerEEE10hipError_tT1_T2_PT3_SE_jT4_jjP12ihipStream_tbEUlT_E_NS1_11comp_targetILNS1_3genE9ELNS1_11target_archE1100ELNS1_3gpuE3ELNS1_3repE0EEENS1_52radix_sort_onesweep_histogram_config_static_selectorELNS0_4arch9wavefront6targetE1EEEvSC_ ; -- Begin function _ZN7rocprim17ROCPRIM_400000_NS6detail17trampoline_kernelINS0_14default_configENS1_35radix_sort_onesweep_config_selectorIiNS0_10empty_typeEEEZNS1_34radix_sort_onesweep_global_offsetsIS3_Lb0EPiPS5_mNS0_19identity_decomposerEEE10hipError_tT1_T2_PT3_SE_jT4_jjP12ihipStream_tbEUlT_E_NS1_11comp_targetILNS1_3genE9ELNS1_11target_archE1100ELNS1_3gpuE3ELNS1_3repE0EEENS1_52radix_sort_onesweep_histogram_config_static_selectorELNS0_4arch9wavefront6targetE1EEEvSC_
	.globl	_ZN7rocprim17ROCPRIM_400000_NS6detail17trampoline_kernelINS0_14default_configENS1_35radix_sort_onesweep_config_selectorIiNS0_10empty_typeEEEZNS1_34radix_sort_onesweep_global_offsetsIS3_Lb0EPiPS5_mNS0_19identity_decomposerEEE10hipError_tT1_T2_PT3_SE_jT4_jjP12ihipStream_tbEUlT_E_NS1_11comp_targetILNS1_3genE9ELNS1_11target_archE1100ELNS1_3gpuE3ELNS1_3repE0EEENS1_52radix_sort_onesweep_histogram_config_static_selectorELNS0_4arch9wavefront6targetE1EEEvSC_
	.p2align	8
	.type	_ZN7rocprim17ROCPRIM_400000_NS6detail17trampoline_kernelINS0_14default_configENS1_35radix_sort_onesweep_config_selectorIiNS0_10empty_typeEEEZNS1_34radix_sort_onesweep_global_offsetsIS3_Lb0EPiPS5_mNS0_19identity_decomposerEEE10hipError_tT1_T2_PT3_SE_jT4_jjP12ihipStream_tbEUlT_E_NS1_11comp_targetILNS1_3genE9ELNS1_11target_archE1100ELNS1_3gpuE3ELNS1_3repE0EEENS1_52radix_sort_onesweep_histogram_config_static_selectorELNS0_4arch9wavefront6targetE1EEEvSC_,@function
_ZN7rocprim17ROCPRIM_400000_NS6detail17trampoline_kernelINS0_14default_configENS1_35radix_sort_onesweep_config_selectorIiNS0_10empty_typeEEEZNS1_34radix_sort_onesweep_global_offsetsIS3_Lb0EPiPS5_mNS0_19identity_decomposerEEE10hipError_tT1_T2_PT3_SE_jT4_jjP12ihipStream_tbEUlT_E_NS1_11comp_targetILNS1_3genE9ELNS1_11target_archE1100ELNS1_3gpuE3ELNS1_3repE0EEENS1_52radix_sort_onesweep_histogram_config_static_selectorELNS0_4arch9wavefront6targetE1EEEvSC_: ; @_ZN7rocprim17ROCPRIM_400000_NS6detail17trampoline_kernelINS0_14default_configENS1_35radix_sort_onesweep_config_selectorIiNS0_10empty_typeEEEZNS1_34radix_sort_onesweep_global_offsetsIS3_Lb0EPiPS5_mNS0_19identity_decomposerEEE10hipError_tT1_T2_PT3_SE_jT4_jjP12ihipStream_tbEUlT_E_NS1_11comp_targetILNS1_3genE9ELNS1_11target_archE1100ELNS1_3gpuE3ELNS1_3repE0EEENS1_52radix_sort_onesweep_histogram_config_static_selectorELNS0_4arch9wavefront6targetE1EEEvSC_
; %bb.0:
	.section	.rodata,"a",@progbits
	.p2align	6, 0x0
	.amdhsa_kernel _ZN7rocprim17ROCPRIM_400000_NS6detail17trampoline_kernelINS0_14default_configENS1_35radix_sort_onesweep_config_selectorIiNS0_10empty_typeEEEZNS1_34radix_sort_onesweep_global_offsetsIS3_Lb0EPiPS5_mNS0_19identity_decomposerEEE10hipError_tT1_T2_PT3_SE_jT4_jjP12ihipStream_tbEUlT_E_NS1_11comp_targetILNS1_3genE9ELNS1_11target_archE1100ELNS1_3gpuE3ELNS1_3repE0EEENS1_52radix_sort_onesweep_histogram_config_static_selectorELNS0_4arch9wavefront6targetE1EEEvSC_
		.amdhsa_group_segment_fixed_size 0
		.amdhsa_private_segment_fixed_size 0
		.amdhsa_kernarg_size 48
		.amdhsa_user_sgpr_count 6
		.amdhsa_user_sgpr_private_segment_buffer 1
		.amdhsa_user_sgpr_dispatch_ptr 0
		.amdhsa_user_sgpr_queue_ptr 0
		.amdhsa_user_sgpr_kernarg_segment_ptr 1
		.amdhsa_user_sgpr_dispatch_id 0
		.amdhsa_user_sgpr_flat_scratch_init 0
		.amdhsa_user_sgpr_kernarg_preload_length 0
		.amdhsa_user_sgpr_kernarg_preload_offset 0
		.amdhsa_user_sgpr_private_segment_size 0
		.amdhsa_uses_dynamic_stack 0
		.amdhsa_system_sgpr_private_segment_wavefront_offset 0
		.amdhsa_system_sgpr_workgroup_id_x 1
		.amdhsa_system_sgpr_workgroup_id_y 0
		.amdhsa_system_sgpr_workgroup_id_z 0
		.amdhsa_system_sgpr_workgroup_info 0
		.amdhsa_system_vgpr_workitem_id 0
		.amdhsa_next_free_vgpr 1
		.amdhsa_next_free_sgpr 0
		.amdhsa_accum_offset 4
		.amdhsa_reserve_vcc 0
		.amdhsa_reserve_flat_scratch 0
		.amdhsa_float_round_mode_32 0
		.amdhsa_float_round_mode_16_64 0
		.amdhsa_float_denorm_mode_32 3
		.amdhsa_float_denorm_mode_16_64 3
		.amdhsa_dx10_clamp 1
		.amdhsa_ieee_mode 1
		.amdhsa_fp16_overflow 0
		.amdhsa_tg_split 0
		.amdhsa_exception_fp_ieee_invalid_op 0
		.amdhsa_exception_fp_denorm_src 0
		.amdhsa_exception_fp_ieee_div_zero 0
		.amdhsa_exception_fp_ieee_overflow 0
		.amdhsa_exception_fp_ieee_underflow 0
		.amdhsa_exception_fp_ieee_inexact 0
		.amdhsa_exception_int_div_zero 0
	.end_amdhsa_kernel
	.section	.text._ZN7rocprim17ROCPRIM_400000_NS6detail17trampoline_kernelINS0_14default_configENS1_35radix_sort_onesweep_config_selectorIiNS0_10empty_typeEEEZNS1_34radix_sort_onesweep_global_offsetsIS3_Lb0EPiPS5_mNS0_19identity_decomposerEEE10hipError_tT1_T2_PT3_SE_jT4_jjP12ihipStream_tbEUlT_E_NS1_11comp_targetILNS1_3genE9ELNS1_11target_archE1100ELNS1_3gpuE3ELNS1_3repE0EEENS1_52radix_sort_onesweep_histogram_config_static_selectorELNS0_4arch9wavefront6targetE1EEEvSC_,"axG",@progbits,_ZN7rocprim17ROCPRIM_400000_NS6detail17trampoline_kernelINS0_14default_configENS1_35radix_sort_onesweep_config_selectorIiNS0_10empty_typeEEEZNS1_34radix_sort_onesweep_global_offsetsIS3_Lb0EPiPS5_mNS0_19identity_decomposerEEE10hipError_tT1_T2_PT3_SE_jT4_jjP12ihipStream_tbEUlT_E_NS1_11comp_targetILNS1_3genE9ELNS1_11target_archE1100ELNS1_3gpuE3ELNS1_3repE0EEENS1_52radix_sort_onesweep_histogram_config_static_selectorELNS0_4arch9wavefront6targetE1EEEvSC_,comdat
.Lfunc_end639:
	.size	_ZN7rocprim17ROCPRIM_400000_NS6detail17trampoline_kernelINS0_14default_configENS1_35radix_sort_onesweep_config_selectorIiNS0_10empty_typeEEEZNS1_34radix_sort_onesweep_global_offsetsIS3_Lb0EPiPS5_mNS0_19identity_decomposerEEE10hipError_tT1_T2_PT3_SE_jT4_jjP12ihipStream_tbEUlT_E_NS1_11comp_targetILNS1_3genE9ELNS1_11target_archE1100ELNS1_3gpuE3ELNS1_3repE0EEENS1_52radix_sort_onesweep_histogram_config_static_selectorELNS0_4arch9wavefront6targetE1EEEvSC_, .Lfunc_end639-_ZN7rocprim17ROCPRIM_400000_NS6detail17trampoline_kernelINS0_14default_configENS1_35radix_sort_onesweep_config_selectorIiNS0_10empty_typeEEEZNS1_34radix_sort_onesweep_global_offsetsIS3_Lb0EPiPS5_mNS0_19identity_decomposerEEE10hipError_tT1_T2_PT3_SE_jT4_jjP12ihipStream_tbEUlT_E_NS1_11comp_targetILNS1_3genE9ELNS1_11target_archE1100ELNS1_3gpuE3ELNS1_3repE0EEENS1_52radix_sort_onesweep_histogram_config_static_selectorELNS0_4arch9wavefront6targetE1EEEvSC_
                                        ; -- End function
	.section	.AMDGPU.csdata,"",@progbits
; Kernel info:
; codeLenInByte = 0
; NumSgprs: 4
; NumVgprs: 0
; NumAgprs: 0
; TotalNumVgprs: 0
; ScratchSize: 0
; MemoryBound: 0
; FloatMode: 240
; IeeeMode: 1
; LDSByteSize: 0 bytes/workgroup (compile time only)
; SGPRBlocks: 0
; VGPRBlocks: 0
; NumSGPRsForWavesPerEU: 4
; NumVGPRsForWavesPerEU: 1
; AccumOffset: 4
; Occupancy: 8
; WaveLimiterHint : 0
; COMPUTE_PGM_RSRC2:SCRATCH_EN: 0
; COMPUTE_PGM_RSRC2:USER_SGPR: 6
; COMPUTE_PGM_RSRC2:TRAP_HANDLER: 0
; COMPUTE_PGM_RSRC2:TGID_X_EN: 1
; COMPUTE_PGM_RSRC2:TGID_Y_EN: 0
; COMPUTE_PGM_RSRC2:TGID_Z_EN: 0
; COMPUTE_PGM_RSRC2:TIDIG_COMP_CNT: 0
; COMPUTE_PGM_RSRC3_GFX90A:ACCUM_OFFSET: 0
; COMPUTE_PGM_RSRC3_GFX90A:TG_SPLIT: 0
	.section	.text._ZN7rocprim17ROCPRIM_400000_NS6detail17trampoline_kernelINS0_14default_configENS1_35radix_sort_onesweep_config_selectorIiNS0_10empty_typeEEEZNS1_34radix_sort_onesweep_global_offsetsIS3_Lb0EPiPS5_mNS0_19identity_decomposerEEE10hipError_tT1_T2_PT3_SE_jT4_jjP12ihipStream_tbEUlT_E_NS1_11comp_targetILNS1_3genE8ELNS1_11target_archE1030ELNS1_3gpuE2ELNS1_3repE0EEENS1_52radix_sort_onesweep_histogram_config_static_selectorELNS0_4arch9wavefront6targetE1EEEvSC_,"axG",@progbits,_ZN7rocprim17ROCPRIM_400000_NS6detail17trampoline_kernelINS0_14default_configENS1_35radix_sort_onesweep_config_selectorIiNS0_10empty_typeEEEZNS1_34radix_sort_onesweep_global_offsetsIS3_Lb0EPiPS5_mNS0_19identity_decomposerEEE10hipError_tT1_T2_PT3_SE_jT4_jjP12ihipStream_tbEUlT_E_NS1_11comp_targetILNS1_3genE8ELNS1_11target_archE1030ELNS1_3gpuE2ELNS1_3repE0EEENS1_52radix_sort_onesweep_histogram_config_static_selectorELNS0_4arch9wavefront6targetE1EEEvSC_,comdat
	.protected	_ZN7rocprim17ROCPRIM_400000_NS6detail17trampoline_kernelINS0_14default_configENS1_35radix_sort_onesweep_config_selectorIiNS0_10empty_typeEEEZNS1_34radix_sort_onesweep_global_offsetsIS3_Lb0EPiPS5_mNS0_19identity_decomposerEEE10hipError_tT1_T2_PT3_SE_jT4_jjP12ihipStream_tbEUlT_E_NS1_11comp_targetILNS1_3genE8ELNS1_11target_archE1030ELNS1_3gpuE2ELNS1_3repE0EEENS1_52radix_sort_onesweep_histogram_config_static_selectorELNS0_4arch9wavefront6targetE1EEEvSC_ ; -- Begin function _ZN7rocprim17ROCPRIM_400000_NS6detail17trampoline_kernelINS0_14default_configENS1_35radix_sort_onesweep_config_selectorIiNS0_10empty_typeEEEZNS1_34radix_sort_onesweep_global_offsetsIS3_Lb0EPiPS5_mNS0_19identity_decomposerEEE10hipError_tT1_T2_PT3_SE_jT4_jjP12ihipStream_tbEUlT_E_NS1_11comp_targetILNS1_3genE8ELNS1_11target_archE1030ELNS1_3gpuE2ELNS1_3repE0EEENS1_52radix_sort_onesweep_histogram_config_static_selectorELNS0_4arch9wavefront6targetE1EEEvSC_
	.globl	_ZN7rocprim17ROCPRIM_400000_NS6detail17trampoline_kernelINS0_14default_configENS1_35radix_sort_onesweep_config_selectorIiNS0_10empty_typeEEEZNS1_34radix_sort_onesweep_global_offsetsIS3_Lb0EPiPS5_mNS0_19identity_decomposerEEE10hipError_tT1_T2_PT3_SE_jT4_jjP12ihipStream_tbEUlT_E_NS1_11comp_targetILNS1_3genE8ELNS1_11target_archE1030ELNS1_3gpuE2ELNS1_3repE0EEENS1_52radix_sort_onesweep_histogram_config_static_selectorELNS0_4arch9wavefront6targetE1EEEvSC_
	.p2align	8
	.type	_ZN7rocprim17ROCPRIM_400000_NS6detail17trampoline_kernelINS0_14default_configENS1_35radix_sort_onesweep_config_selectorIiNS0_10empty_typeEEEZNS1_34radix_sort_onesweep_global_offsetsIS3_Lb0EPiPS5_mNS0_19identity_decomposerEEE10hipError_tT1_T2_PT3_SE_jT4_jjP12ihipStream_tbEUlT_E_NS1_11comp_targetILNS1_3genE8ELNS1_11target_archE1030ELNS1_3gpuE2ELNS1_3repE0EEENS1_52radix_sort_onesweep_histogram_config_static_selectorELNS0_4arch9wavefront6targetE1EEEvSC_,@function
_ZN7rocprim17ROCPRIM_400000_NS6detail17trampoline_kernelINS0_14default_configENS1_35radix_sort_onesweep_config_selectorIiNS0_10empty_typeEEEZNS1_34radix_sort_onesweep_global_offsetsIS3_Lb0EPiPS5_mNS0_19identity_decomposerEEE10hipError_tT1_T2_PT3_SE_jT4_jjP12ihipStream_tbEUlT_E_NS1_11comp_targetILNS1_3genE8ELNS1_11target_archE1030ELNS1_3gpuE2ELNS1_3repE0EEENS1_52radix_sort_onesweep_histogram_config_static_selectorELNS0_4arch9wavefront6targetE1EEEvSC_: ; @_ZN7rocprim17ROCPRIM_400000_NS6detail17trampoline_kernelINS0_14default_configENS1_35radix_sort_onesweep_config_selectorIiNS0_10empty_typeEEEZNS1_34radix_sort_onesweep_global_offsetsIS3_Lb0EPiPS5_mNS0_19identity_decomposerEEE10hipError_tT1_T2_PT3_SE_jT4_jjP12ihipStream_tbEUlT_E_NS1_11comp_targetILNS1_3genE8ELNS1_11target_archE1030ELNS1_3gpuE2ELNS1_3repE0EEENS1_52radix_sort_onesweep_histogram_config_static_selectorELNS0_4arch9wavefront6targetE1EEEvSC_
; %bb.0:
	.section	.rodata,"a",@progbits
	.p2align	6, 0x0
	.amdhsa_kernel _ZN7rocprim17ROCPRIM_400000_NS6detail17trampoline_kernelINS0_14default_configENS1_35radix_sort_onesweep_config_selectorIiNS0_10empty_typeEEEZNS1_34radix_sort_onesweep_global_offsetsIS3_Lb0EPiPS5_mNS0_19identity_decomposerEEE10hipError_tT1_T2_PT3_SE_jT4_jjP12ihipStream_tbEUlT_E_NS1_11comp_targetILNS1_3genE8ELNS1_11target_archE1030ELNS1_3gpuE2ELNS1_3repE0EEENS1_52radix_sort_onesweep_histogram_config_static_selectorELNS0_4arch9wavefront6targetE1EEEvSC_
		.amdhsa_group_segment_fixed_size 0
		.amdhsa_private_segment_fixed_size 0
		.amdhsa_kernarg_size 48
		.amdhsa_user_sgpr_count 6
		.amdhsa_user_sgpr_private_segment_buffer 1
		.amdhsa_user_sgpr_dispatch_ptr 0
		.amdhsa_user_sgpr_queue_ptr 0
		.amdhsa_user_sgpr_kernarg_segment_ptr 1
		.amdhsa_user_sgpr_dispatch_id 0
		.amdhsa_user_sgpr_flat_scratch_init 0
		.amdhsa_user_sgpr_kernarg_preload_length 0
		.amdhsa_user_sgpr_kernarg_preload_offset 0
		.amdhsa_user_sgpr_private_segment_size 0
		.amdhsa_uses_dynamic_stack 0
		.amdhsa_system_sgpr_private_segment_wavefront_offset 0
		.amdhsa_system_sgpr_workgroup_id_x 1
		.amdhsa_system_sgpr_workgroup_id_y 0
		.amdhsa_system_sgpr_workgroup_id_z 0
		.amdhsa_system_sgpr_workgroup_info 0
		.amdhsa_system_vgpr_workitem_id 0
		.amdhsa_next_free_vgpr 1
		.amdhsa_next_free_sgpr 0
		.amdhsa_accum_offset 4
		.amdhsa_reserve_vcc 0
		.amdhsa_reserve_flat_scratch 0
		.amdhsa_float_round_mode_32 0
		.amdhsa_float_round_mode_16_64 0
		.amdhsa_float_denorm_mode_32 3
		.amdhsa_float_denorm_mode_16_64 3
		.amdhsa_dx10_clamp 1
		.amdhsa_ieee_mode 1
		.amdhsa_fp16_overflow 0
		.amdhsa_tg_split 0
		.amdhsa_exception_fp_ieee_invalid_op 0
		.amdhsa_exception_fp_denorm_src 0
		.amdhsa_exception_fp_ieee_div_zero 0
		.amdhsa_exception_fp_ieee_overflow 0
		.amdhsa_exception_fp_ieee_underflow 0
		.amdhsa_exception_fp_ieee_inexact 0
		.amdhsa_exception_int_div_zero 0
	.end_amdhsa_kernel
	.section	.text._ZN7rocprim17ROCPRIM_400000_NS6detail17trampoline_kernelINS0_14default_configENS1_35radix_sort_onesweep_config_selectorIiNS0_10empty_typeEEEZNS1_34radix_sort_onesweep_global_offsetsIS3_Lb0EPiPS5_mNS0_19identity_decomposerEEE10hipError_tT1_T2_PT3_SE_jT4_jjP12ihipStream_tbEUlT_E_NS1_11comp_targetILNS1_3genE8ELNS1_11target_archE1030ELNS1_3gpuE2ELNS1_3repE0EEENS1_52radix_sort_onesweep_histogram_config_static_selectorELNS0_4arch9wavefront6targetE1EEEvSC_,"axG",@progbits,_ZN7rocprim17ROCPRIM_400000_NS6detail17trampoline_kernelINS0_14default_configENS1_35radix_sort_onesweep_config_selectorIiNS0_10empty_typeEEEZNS1_34radix_sort_onesweep_global_offsetsIS3_Lb0EPiPS5_mNS0_19identity_decomposerEEE10hipError_tT1_T2_PT3_SE_jT4_jjP12ihipStream_tbEUlT_E_NS1_11comp_targetILNS1_3genE8ELNS1_11target_archE1030ELNS1_3gpuE2ELNS1_3repE0EEENS1_52radix_sort_onesweep_histogram_config_static_selectorELNS0_4arch9wavefront6targetE1EEEvSC_,comdat
.Lfunc_end640:
	.size	_ZN7rocprim17ROCPRIM_400000_NS6detail17trampoline_kernelINS0_14default_configENS1_35radix_sort_onesweep_config_selectorIiNS0_10empty_typeEEEZNS1_34radix_sort_onesweep_global_offsetsIS3_Lb0EPiPS5_mNS0_19identity_decomposerEEE10hipError_tT1_T2_PT3_SE_jT4_jjP12ihipStream_tbEUlT_E_NS1_11comp_targetILNS1_3genE8ELNS1_11target_archE1030ELNS1_3gpuE2ELNS1_3repE0EEENS1_52radix_sort_onesweep_histogram_config_static_selectorELNS0_4arch9wavefront6targetE1EEEvSC_, .Lfunc_end640-_ZN7rocprim17ROCPRIM_400000_NS6detail17trampoline_kernelINS0_14default_configENS1_35radix_sort_onesweep_config_selectorIiNS0_10empty_typeEEEZNS1_34radix_sort_onesweep_global_offsetsIS3_Lb0EPiPS5_mNS0_19identity_decomposerEEE10hipError_tT1_T2_PT3_SE_jT4_jjP12ihipStream_tbEUlT_E_NS1_11comp_targetILNS1_3genE8ELNS1_11target_archE1030ELNS1_3gpuE2ELNS1_3repE0EEENS1_52radix_sort_onesweep_histogram_config_static_selectorELNS0_4arch9wavefront6targetE1EEEvSC_
                                        ; -- End function
	.section	.AMDGPU.csdata,"",@progbits
; Kernel info:
; codeLenInByte = 0
; NumSgprs: 4
; NumVgprs: 0
; NumAgprs: 0
; TotalNumVgprs: 0
; ScratchSize: 0
; MemoryBound: 0
; FloatMode: 240
; IeeeMode: 1
; LDSByteSize: 0 bytes/workgroup (compile time only)
; SGPRBlocks: 0
; VGPRBlocks: 0
; NumSGPRsForWavesPerEU: 4
; NumVGPRsForWavesPerEU: 1
; AccumOffset: 4
; Occupancy: 8
; WaveLimiterHint : 0
; COMPUTE_PGM_RSRC2:SCRATCH_EN: 0
; COMPUTE_PGM_RSRC2:USER_SGPR: 6
; COMPUTE_PGM_RSRC2:TRAP_HANDLER: 0
; COMPUTE_PGM_RSRC2:TGID_X_EN: 1
; COMPUTE_PGM_RSRC2:TGID_Y_EN: 0
; COMPUTE_PGM_RSRC2:TGID_Z_EN: 0
; COMPUTE_PGM_RSRC2:TIDIG_COMP_CNT: 0
; COMPUTE_PGM_RSRC3_GFX90A:ACCUM_OFFSET: 0
; COMPUTE_PGM_RSRC3_GFX90A:TG_SPLIT: 0
	.section	.text._ZN7rocprim17ROCPRIM_400000_NS6detail17trampoline_kernelINS0_14default_configENS1_35radix_sort_onesweep_config_selectorIiNS0_10empty_typeEEEZNS1_34radix_sort_onesweep_global_offsetsIS3_Lb0EPiPS5_mNS0_19identity_decomposerEEE10hipError_tT1_T2_PT3_SE_jT4_jjP12ihipStream_tbEUlT_E0_NS1_11comp_targetILNS1_3genE0ELNS1_11target_archE4294967295ELNS1_3gpuE0ELNS1_3repE0EEENS1_52radix_sort_onesweep_histogram_config_static_selectorELNS0_4arch9wavefront6targetE1EEEvSC_,"axG",@progbits,_ZN7rocprim17ROCPRIM_400000_NS6detail17trampoline_kernelINS0_14default_configENS1_35radix_sort_onesweep_config_selectorIiNS0_10empty_typeEEEZNS1_34radix_sort_onesweep_global_offsetsIS3_Lb0EPiPS5_mNS0_19identity_decomposerEEE10hipError_tT1_T2_PT3_SE_jT4_jjP12ihipStream_tbEUlT_E0_NS1_11comp_targetILNS1_3genE0ELNS1_11target_archE4294967295ELNS1_3gpuE0ELNS1_3repE0EEENS1_52radix_sort_onesweep_histogram_config_static_selectorELNS0_4arch9wavefront6targetE1EEEvSC_,comdat
	.protected	_ZN7rocprim17ROCPRIM_400000_NS6detail17trampoline_kernelINS0_14default_configENS1_35radix_sort_onesweep_config_selectorIiNS0_10empty_typeEEEZNS1_34radix_sort_onesweep_global_offsetsIS3_Lb0EPiPS5_mNS0_19identity_decomposerEEE10hipError_tT1_T2_PT3_SE_jT4_jjP12ihipStream_tbEUlT_E0_NS1_11comp_targetILNS1_3genE0ELNS1_11target_archE4294967295ELNS1_3gpuE0ELNS1_3repE0EEENS1_52radix_sort_onesweep_histogram_config_static_selectorELNS0_4arch9wavefront6targetE1EEEvSC_ ; -- Begin function _ZN7rocprim17ROCPRIM_400000_NS6detail17trampoline_kernelINS0_14default_configENS1_35radix_sort_onesweep_config_selectorIiNS0_10empty_typeEEEZNS1_34radix_sort_onesweep_global_offsetsIS3_Lb0EPiPS5_mNS0_19identity_decomposerEEE10hipError_tT1_T2_PT3_SE_jT4_jjP12ihipStream_tbEUlT_E0_NS1_11comp_targetILNS1_3genE0ELNS1_11target_archE4294967295ELNS1_3gpuE0ELNS1_3repE0EEENS1_52radix_sort_onesweep_histogram_config_static_selectorELNS0_4arch9wavefront6targetE1EEEvSC_
	.globl	_ZN7rocprim17ROCPRIM_400000_NS6detail17trampoline_kernelINS0_14default_configENS1_35radix_sort_onesweep_config_selectorIiNS0_10empty_typeEEEZNS1_34radix_sort_onesweep_global_offsetsIS3_Lb0EPiPS5_mNS0_19identity_decomposerEEE10hipError_tT1_T2_PT3_SE_jT4_jjP12ihipStream_tbEUlT_E0_NS1_11comp_targetILNS1_3genE0ELNS1_11target_archE4294967295ELNS1_3gpuE0ELNS1_3repE0EEENS1_52radix_sort_onesweep_histogram_config_static_selectorELNS0_4arch9wavefront6targetE1EEEvSC_
	.p2align	8
	.type	_ZN7rocprim17ROCPRIM_400000_NS6detail17trampoline_kernelINS0_14default_configENS1_35radix_sort_onesweep_config_selectorIiNS0_10empty_typeEEEZNS1_34radix_sort_onesweep_global_offsetsIS3_Lb0EPiPS5_mNS0_19identity_decomposerEEE10hipError_tT1_T2_PT3_SE_jT4_jjP12ihipStream_tbEUlT_E0_NS1_11comp_targetILNS1_3genE0ELNS1_11target_archE4294967295ELNS1_3gpuE0ELNS1_3repE0EEENS1_52radix_sort_onesweep_histogram_config_static_selectorELNS0_4arch9wavefront6targetE1EEEvSC_,@function
_ZN7rocprim17ROCPRIM_400000_NS6detail17trampoline_kernelINS0_14default_configENS1_35radix_sort_onesweep_config_selectorIiNS0_10empty_typeEEEZNS1_34radix_sort_onesweep_global_offsetsIS3_Lb0EPiPS5_mNS0_19identity_decomposerEEE10hipError_tT1_T2_PT3_SE_jT4_jjP12ihipStream_tbEUlT_E0_NS1_11comp_targetILNS1_3genE0ELNS1_11target_archE4294967295ELNS1_3gpuE0ELNS1_3repE0EEENS1_52radix_sort_onesweep_histogram_config_static_selectorELNS0_4arch9wavefront6targetE1EEEvSC_: ; @_ZN7rocprim17ROCPRIM_400000_NS6detail17trampoline_kernelINS0_14default_configENS1_35radix_sort_onesweep_config_selectorIiNS0_10empty_typeEEEZNS1_34radix_sort_onesweep_global_offsetsIS3_Lb0EPiPS5_mNS0_19identity_decomposerEEE10hipError_tT1_T2_PT3_SE_jT4_jjP12ihipStream_tbEUlT_E0_NS1_11comp_targetILNS1_3genE0ELNS1_11target_archE4294967295ELNS1_3gpuE0ELNS1_3repE0EEENS1_52radix_sort_onesweep_histogram_config_static_selectorELNS0_4arch9wavefront6targetE1EEEvSC_
; %bb.0:
	.section	.rodata,"a",@progbits
	.p2align	6, 0x0
	.amdhsa_kernel _ZN7rocprim17ROCPRIM_400000_NS6detail17trampoline_kernelINS0_14default_configENS1_35radix_sort_onesweep_config_selectorIiNS0_10empty_typeEEEZNS1_34radix_sort_onesweep_global_offsetsIS3_Lb0EPiPS5_mNS0_19identity_decomposerEEE10hipError_tT1_T2_PT3_SE_jT4_jjP12ihipStream_tbEUlT_E0_NS1_11comp_targetILNS1_3genE0ELNS1_11target_archE4294967295ELNS1_3gpuE0ELNS1_3repE0EEENS1_52radix_sort_onesweep_histogram_config_static_selectorELNS0_4arch9wavefront6targetE1EEEvSC_
		.amdhsa_group_segment_fixed_size 0
		.amdhsa_private_segment_fixed_size 0
		.amdhsa_kernarg_size 8
		.amdhsa_user_sgpr_count 6
		.amdhsa_user_sgpr_private_segment_buffer 1
		.amdhsa_user_sgpr_dispatch_ptr 0
		.amdhsa_user_sgpr_queue_ptr 0
		.amdhsa_user_sgpr_kernarg_segment_ptr 1
		.amdhsa_user_sgpr_dispatch_id 0
		.amdhsa_user_sgpr_flat_scratch_init 0
		.amdhsa_user_sgpr_kernarg_preload_length 0
		.amdhsa_user_sgpr_kernarg_preload_offset 0
		.amdhsa_user_sgpr_private_segment_size 0
		.amdhsa_uses_dynamic_stack 0
		.amdhsa_system_sgpr_private_segment_wavefront_offset 0
		.amdhsa_system_sgpr_workgroup_id_x 1
		.amdhsa_system_sgpr_workgroup_id_y 0
		.amdhsa_system_sgpr_workgroup_id_z 0
		.amdhsa_system_sgpr_workgroup_info 0
		.amdhsa_system_vgpr_workitem_id 0
		.amdhsa_next_free_vgpr 1
		.amdhsa_next_free_sgpr 0
		.amdhsa_accum_offset 4
		.amdhsa_reserve_vcc 0
		.amdhsa_reserve_flat_scratch 0
		.amdhsa_float_round_mode_32 0
		.amdhsa_float_round_mode_16_64 0
		.amdhsa_float_denorm_mode_32 3
		.amdhsa_float_denorm_mode_16_64 3
		.amdhsa_dx10_clamp 1
		.amdhsa_ieee_mode 1
		.amdhsa_fp16_overflow 0
		.amdhsa_tg_split 0
		.amdhsa_exception_fp_ieee_invalid_op 0
		.amdhsa_exception_fp_denorm_src 0
		.amdhsa_exception_fp_ieee_div_zero 0
		.amdhsa_exception_fp_ieee_overflow 0
		.amdhsa_exception_fp_ieee_underflow 0
		.amdhsa_exception_fp_ieee_inexact 0
		.amdhsa_exception_int_div_zero 0
	.end_amdhsa_kernel
	.section	.text._ZN7rocprim17ROCPRIM_400000_NS6detail17trampoline_kernelINS0_14default_configENS1_35radix_sort_onesweep_config_selectorIiNS0_10empty_typeEEEZNS1_34radix_sort_onesweep_global_offsetsIS3_Lb0EPiPS5_mNS0_19identity_decomposerEEE10hipError_tT1_T2_PT3_SE_jT4_jjP12ihipStream_tbEUlT_E0_NS1_11comp_targetILNS1_3genE0ELNS1_11target_archE4294967295ELNS1_3gpuE0ELNS1_3repE0EEENS1_52radix_sort_onesweep_histogram_config_static_selectorELNS0_4arch9wavefront6targetE1EEEvSC_,"axG",@progbits,_ZN7rocprim17ROCPRIM_400000_NS6detail17trampoline_kernelINS0_14default_configENS1_35radix_sort_onesweep_config_selectorIiNS0_10empty_typeEEEZNS1_34radix_sort_onesweep_global_offsetsIS3_Lb0EPiPS5_mNS0_19identity_decomposerEEE10hipError_tT1_T2_PT3_SE_jT4_jjP12ihipStream_tbEUlT_E0_NS1_11comp_targetILNS1_3genE0ELNS1_11target_archE4294967295ELNS1_3gpuE0ELNS1_3repE0EEENS1_52radix_sort_onesweep_histogram_config_static_selectorELNS0_4arch9wavefront6targetE1EEEvSC_,comdat
.Lfunc_end641:
	.size	_ZN7rocprim17ROCPRIM_400000_NS6detail17trampoline_kernelINS0_14default_configENS1_35radix_sort_onesweep_config_selectorIiNS0_10empty_typeEEEZNS1_34radix_sort_onesweep_global_offsetsIS3_Lb0EPiPS5_mNS0_19identity_decomposerEEE10hipError_tT1_T2_PT3_SE_jT4_jjP12ihipStream_tbEUlT_E0_NS1_11comp_targetILNS1_3genE0ELNS1_11target_archE4294967295ELNS1_3gpuE0ELNS1_3repE0EEENS1_52radix_sort_onesweep_histogram_config_static_selectorELNS0_4arch9wavefront6targetE1EEEvSC_, .Lfunc_end641-_ZN7rocprim17ROCPRIM_400000_NS6detail17trampoline_kernelINS0_14default_configENS1_35radix_sort_onesweep_config_selectorIiNS0_10empty_typeEEEZNS1_34radix_sort_onesweep_global_offsetsIS3_Lb0EPiPS5_mNS0_19identity_decomposerEEE10hipError_tT1_T2_PT3_SE_jT4_jjP12ihipStream_tbEUlT_E0_NS1_11comp_targetILNS1_3genE0ELNS1_11target_archE4294967295ELNS1_3gpuE0ELNS1_3repE0EEENS1_52radix_sort_onesweep_histogram_config_static_selectorELNS0_4arch9wavefront6targetE1EEEvSC_
                                        ; -- End function
	.section	.AMDGPU.csdata,"",@progbits
; Kernel info:
; codeLenInByte = 0
; NumSgprs: 4
; NumVgprs: 0
; NumAgprs: 0
; TotalNumVgprs: 0
; ScratchSize: 0
; MemoryBound: 0
; FloatMode: 240
; IeeeMode: 1
; LDSByteSize: 0 bytes/workgroup (compile time only)
; SGPRBlocks: 0
; VGPRBlocks: 0
; NumSGPRsForWavesPerEU: 4
; NumVGPRsForWavesPerEU: 1
; AccumOffset: 4
; Occupancy: 8
; WaveLimiterHint : 0
; COMPUTE_PGM_RSRC2:SCRATCH_EN: 0
; COMPUTE_PGM_RSRC2:USER_SGPR: 6
; COMPUTE_PGM_RSRC2:TRAP_HANDLER: 0
; COMPUTE_PGM_RSRC2:TGID_X_EN: 1
; COMPUTE_PGM_RSRC2:TGID_Y_EN: 0
; COMPUTE_PGM_RSRC2:TGID_Z_EN: 0
; COMPUTE_PGM_RSRC2:TIDIG_COMP_CNT: 0
; COMPUTE_PGM_RSRC3_GFX90A:ACCUM_OFFSET: 0
; COMPUTE_PGM_RSRC3_GFX90A:TG_SPLIT: 0
	.section	.text._ZN7rocprim17ROCPRIM_400000_NS6detail17trampoline_kernelINS0_14default_configENS1_35radix_sort_onesweep_config_selectorIiNS0_10empty_typeEEEZNS1_34radix_sort_onesweep_global_offsetsIS3_Lb0EPiPS5_mNS0_19identity_decomposerEEE10hipError_tT1_T2_PT3_SE_jT4_jjP12ihipStream_tbEUlT_E0_NS1_11comp_targetILNS1_3genE6ELNS1_11target_archE950ELNS1_3gpuE13ELNS1_3repE0EEENS1_52radix_sort_onesweep_histogram_config_static_selectorELNS0_4arch9wavefront6targetE1EEEvSC_,"axG",@progbits,_ZN7rocprim17ROCPRIM_400000_NS6detail17trampoline_kernelINS0_14default_configENS1_35radix_sort_onesweep_config_selectorIiNS0_10empty_typeEEEZNS1_34radix_sort_onesweep_global_offsetsIS3_Lb0EPiPS5_mNS0_19identity_decomposerEEE10hipError_tT1_T2_PT3_SE_jT4_jjP12ihipStream_tbEUlT_E0_NS1_11comp_targetILNS1_3genE6ELNS1_11target_archE950ELNS1_3gpuE13ELNS1_3repE0EEENS1_52radix_sort_onesweep_histogram_config_static_selectorELNS0_4arch9wavefront6targetE1EEEvSC_,comdat
	.protected	_ZN7rocprim17ROCPRIM_400000_NS6detail17trampoline_kernelINS0_14default_configENS1_35radix_sort_onesweep_config_selectorIiNS0_10empty_typeEEEZNS1_34radix_sort_onesweep_global_offsetsIS3_Lb0EPiPS5_mNS0_19identity_decomposerEEE10hipError_tT1_T2_PT3_SE_jT4_jjP12ihipStream_tbEUlT_E0_NS1_11comp_targetILNS1_3genE6ELNS1_11target_archE950ELNS1_3gpuE13ELNS1_3repE0EEENS1_52radix_sort_onesweep_histogram_config_static_selectorELNS0_4arch9wavefront6targetE1EEEvSC_ ; -- Begin function _ZN7rocprim17ROCPRIM_400000_NS6detail17trampoline_kernelINS0_14default_configENS1_35radix_sort_onesweep_config_selectorIiNS0_10empty_typeEEEZNS1_34radix_sort_onesweep_global_offsetsIS3_Lb0EPiPS5_mNS0_19identity_decomposerEEE10hipError_tT1_T2_PT3_SE_jT4_jjP12ihipStream_tbEUlT_E0_NS1_11comp_targetILNS1_3genE6ELNS1_11target_archE950ELNS1_3gpuE13ELNS1_3repE0EEENS1_52radix_sort_onesweep_histogram_config_static_selectorELNS0_4arch9wavefront6targetE1EEEvSC_
	.globl	_ZN7rocprim17ROCPRIM_400000_NS6detail17trampoline_kernelINS0_14default_configENS1_35radix_sort_onesweep_config_selectorIiNS0_10empty_typeEEEZNS1_34radix_sort_onesweep_global_offsetsIS3_Lb0EPiPS5_mNS0_19identity_decomposerEEE10hipError_tT1_T2_PT3_SE_jT4_jjP12ihipStream_tbEUlT_E0_NS1_11comp_targetILNS1_3genE6ELNS1_11target_archE950ELNS1_3gpuE13ELNS1_3repE0EEENS1_52radix_sort_onesweep_histogram_config_static_selectorELNS0_4arch9wavefront6targetE1EEEvSC_
	.p2align	8
	.type	_ZN7rocprim17ROCPRIM_400000_NS6detail17trampoline_kernelINS0_14default_configENS1_35radix_sort_onesweep_config_selectorIiNS0_10empty_typeEEEZNS1_34radix_sort_onesweep_global_offsetsIS3_Lb0EPiPS5_mNS0_19identity_decomposerEEE10hipError_tT1_T2_PT3_SE_jT4_jjP12ihipStream_tbEUlT_E0_NS1_11comp_targetILNS1_3genE6ELNS1_11target_archE950ELNS1_3gpuE13ELNS1_3repE0EEENS1_52radix_sort_onesweep_histogram_config_static_selectorELNS0_4arch9wavefront6targetE1EEEvSC_,@function
_ZN7rocprim17ROCPRIM_400000_NS6detail17trampoline_kernelINS0_14default_configENS1_35radix_sort_onesweep_config_selectorIiNS0_10empty_typeEEEZNS1_34radix_sort_onesweep_global_offsetsIS3_Lb0EPiPS5_mNS0_19identity_decomposerEEE10hipError_tT1_T2_PT3_SE_jT4_jjP12ihipStream_tbEUlT_E0_NS1_11comp_targetILNS1_3genE6ELNS1_11target_archE950ELNS1_3gpuE13ELNS1_3repE0EEENS1_52radix_sort_onesweep_histogram_config_static_selectorELNS0_4arch9wavefront6targetE1EEEvSC_: ; @_ZN7rocprim17ROCPRIM_400000_NS6detail17trampoline_kernelINS0_14default_configENS1_35radix_sort_onesweep_config_selectorIiNS0_10empty_typeEEEZNS1_34radix_sort_onesweep_global_offsetsIS3_Lb0EPiPS5_mNS0_19identity_decomposerEEE10hipError_tT1_T2_PT3_SE_jT4_jjP12ihipStream_tbEUlT_E0_NS1_11comp_targetILNS1_3genE6ELNS1_11target_archE950ELNS1_3gpuE13ELNS1_3repE0EEENS1_52radix_sort_onesweep_histogram_config_static_selectorELNS0_4arch9wavefront6targetE1EEEvSC_
; %bb.0:
	.section	.rodata,"a",@progbits
	.p2align	6, 0x0
	.amdhsa_kernel _ZN7rocprim17ROCPRIM_400000_NS6detail17trampoline_kernelINS0_14default_configENS1_35radix_sort_onesweep_config_selectorIiNS0_10empty_typeEEEZNS1_34radix_sort_onesweep_global_offsetsIS3_Lb0EPiPS5_mNS0_19identity_decomposerEEE10hipError_tT1_T2_PT3_SE_jT4_jjP12ihipStream_tbEUlT_E0_NS1_11comp_targetILNS1_3genE6ELNS1_11target_archE950ELNS1_3gpuE13ELNS1_3repE0EEENS1_52radix_sort_onesweep_histogram_config_static_selectorELNS0_4arch9wavefront6targetE1EEEvSC_
		.amdhsa_group_segment_fixed_size 0
		.amdhsa_private_segment_fixed_size 0
		.amdhsa_kernarg_size 8
		.amdhsa_user_sgpr_count 6
		.amdhsa_user_sgpr_private_segment_buffer 1
		.amdhsa_user_sgpr_dispatch_ptr 0
		.amdhsa_user_sgpr_queue_ptr 0
		.amdhsa_user_sgpr_kernarg_segment_ptr 1
		.amdhsa_user_sgpr_dispatch_id 0
		.amdhsa_user_sgpr_flat_scratch_init 0
		.amdhsa_user_sgpr_kernarg_preload_length 0
		.amdhsa_user_sgpr_kernarg_preload_offset 0
		.amdhsa_user_sgpr_private_segment_size 0
		.amdhsa_uses_dynamic_stack 0
		.amdhsa_system_sgpr_private_segment_wavefront_offset 0
		.amdhsa_system_sgpr_workgroup_id_x 1
		.amdhsa_system_sgpr_workgroup_id_y 0
		.amdhsa_system_sgpr_workgroup_id_z 0
		.amdhsa_system_sgpr_workgroup_info 0
		.amdhsa_system_vgpr_workitem_id 0
		.amdhsa_next_free_vgpr 1
		.amdhsa_next_free_sgpr 0
		.amdhsa_accum_offset 4
		.amdhsa_reserve_vcc 0
		.amdhsa_reserve_flat_scratch 0
		.amdhsa_float_round_mode_32 0
		.amdhsa_float_round_mode_16_64 0
		.amdhsa_float_denorm_mode_32 3
		.amdhsa_float_denorm_mode_16_64 3
		.amdhsa_dx10_clamp 1
		.amdhsa_ieee_mode 1
		.amdhsa_fp16_overflow 0
		.amdhsa_tg_split 0
		.amdhsa_exception_fp_ieee_invalid_op 0
		.amdhsa_exception_fp_denorm_src 0
		.amdhsa_exception_fp_ieee_div_zero 0
		.amdhsa_exception_fp_ieee_overflow 0
		.amdhsa_exception_fp_ieee_underflow 0
		.amdhsa_exception_fp_ieee_inexact 0
		.amdhsa_exception_int_div_zero 0
	.end_amdhsa_kernel
	.section	.text._ZN7rocprim17ROCPRIM_400000_NS6detail17trampoline_kernelINS0_14default_configENS1_35radix_sort_onesweep_config_selectorIiNS0_10empty_typeEEEZNS1_34radix_sort_onesweep_global_offsetsIS3_Lb0EPiPS5_mNS0_19identity_decomposerEEE10hipError_tT1_T2_PT3_SE_jT4_jjP12ihipStream_tbEUlT_E0_NS1_11comp_targetILNS1_3genE6ELNS1_11target_archE950ELNS1_3gpuE13ELNS1_3repE0EEENS1_52radix_sort_onesweep_histogram_config_static_selectorELNS0_4arch9wavefront6targetE1EEEvSC_,"axG",@progbits,_ZN7rocprim17ROCPRIM_400000_NS6detail17trampoline_kernelINS0_14default_configENS1_35radix_sort_onesweep_config_selectorIiNS0_10empty_typeEEEZNS1_34radix_sort_onesweep_global_offsetsIS3_Lb0EPiPS5_mNS0_19identity_decomposerEEE10hipError_tT1_T2_PT3_SE_jT4_jjP12ihipStream_tbEUlT_E0_NS1_11comp_targetILNS1_3genE6ELNS1_11target_archE950ELNS1_3gpuE13ELNS1_3repE0EEENS1_52radix_sort_onesweep_histogram_config_static_selectorELNS0_4arch9wavefront6targetE1EEEvSC_,comdat
.Lfunc_end642:
	.size	_ZN7rocprim17ROCPRIM_400000_NS6detail17trampoline_kernelINS0_14default_configENS1_35radix_sort_onesweep_config_selectorIiNS0_10empty_typeEEEZNS1_34radix_sort_onesweep_global_offsetsIS3_Lb0EPiPS5_mNS0_19identity_decomposerEEE10hipError_tT1_T2_PT3_SE_jT4_jjP12ihipStream_tbEUlT_E0_NS1_11comp_targetILNS1_3genE6ELNS1_11target_archE950ELNS1_3gpuE13ELNS1_3repE0EEENS1_52radix_sort_onesweep_histogram_config_static_selectorELNS0_4arch9wavefront6targetE1EEEvSC_, .Lfunc_end642-_ZN7rocprim17ROCPRIM_400000_NS6detail17trampoline_kernelINS0_14default_configENS1_35radix_sort_onesweep_config_selectorIiNS0_10empty_typeEEEZNS1_34radix_sort_onesweep_global_offsetsIS3_Lb0EPiPS5_mNS0_19identity_decomposerEEE10hipError_tT1_T2_PT3_SE_jT4_jjP12ihipStream_tbEUlT_E0_NS1_11comp_targetILNS1_3genE6ELNS1_11target_archE950ELNS1_3gpuE13ELNS1_3repE0EEENS1_52radix_sort_onesweep_histogram_config_static_selectorELNS0_4arch9wavefront6targetE1EEEvSC_
                                        ; -- End function
	.section	.AMDGPU.csdata,"",@progbits
; Kernel info:
; codeLenInByte = 0
; NumSgprs: 4
; NumVgprs: 0
; NumAgprs: 0
; TotalNumVgprs: 0
; ScratchSize: 0
; MemoryBound: 0
; FloatMode: 240
; IeeeMode: 1
; LDSByteSize: 0 bytes/workgroup (compile time only)
; SGPRBlocks: 0
; VGPRBlocks: 0
; NumSGPRsForWavesPerEU: 4
; NumVGPRsForWavesPerEU: 1
; AccumOffset: 4
; Occupancy: 8
; WaveLimiterHint : 0
; COMPUTE_PGM_RSRC2:SCRATCH_EN: 0
; COMPUTE_PGM_RSRC2:USER_SGPR: 6
; COMPUTE_PGM_RSRC2:TRAP_HANDLER: 0
; COMPUTE_PGM_RSRC2:TGID_X_EN: 1
; COMPUTE_PGM_RSRC2:TGID_Y_EN: 0
; COMPUTE_PGM_RSRC2:TGID_Z_EN: 0
; COMPUTE_PGM_RSRC2:TIDIG_COMP_CNT: 0
; COMPUTE_PGM_RSRC3_GFX90A:ACCUM_OFFSET: 0
; COMPUTE_PGM_RSRC3_GFX90A:TG_SPLIT: 0
	.section	.text._ZN7rocprim17ROCPRIM_400000_NS6detail17trampoline_kernelINS0_14default_configENS1_35radix_sort_onesweep_config_selectorIiNS0_10empty_typeEEEZNS1_34radix_sort_onesweep_global_offsetsIS3_Lb0EPiPS5_mNS0_19identity_decomposerEEE10hipError_tT1_T2_PT3_SE_jT4_jjP12ihipStream_tbEUlT_E0_NS1_11comp_targetILNS1_3genE5ELNS1_11target_archE942ELNS1_3gpuE9ELNS1_3repE0EEENS1_52radix_sort_onesweep_histogram_config_static_selectorELNS0_4arch9wavefront6targetE1EEEvSC_,"axG",@progbits,_ZN7rocprim17ROCPRIM_400000_NS6detail17trampoline_kernelINS0_14default_configENS1_35radix_sort_onesweep_config_selectorIiNS0_10empty_typeEEEZNS1_34radix_sort_onesweep_global_offsetsIS3_Lb0EPiPS5_mNS0_19identity_decomposerEEE10hipError_tT1_T2_PT3_SE_jT4_jjP12ihipStream_tbEUlT_E0_NS1_11comp_targetILNS1_3genE5ELNS1_11target_archE942ELNS1_3gpuE9ELNS1_3repE0EEENS1_52radix_sort_onesweep_histogram_config_static_selectorELNS0_4arch9wavefront6targetE1EEEvSC_,comdat
	.protected	_ZN7rocprim17ROCPRIM_400000_NS6detail17trampoline_kernelINS0_14default_configENS1_35radix_sort_onesweep_config_selectorIiNS0_10empty_typeEEEZNS1_34radix_sort_onesweep_global_offsetsIS3_Lb0EPiPS5_mNS0_19identity_decomposerEEE10hipError_tT1_T2_PT3_SE_jT4_jjP12ihipStream_tbEUlT_E0_NS1_11comp_targetILNS1_3genE5ELNS1_11target_archE942ELNS1_3gpuE9ELNS1_3repE0EEENS1_52radix_sort_onesweep_histogram_config_static_selectorELNS0_4arch9wavefront6targetE1EEEvSC_ ; -- Begin function _ZN7rocprim17ROCPRIM_400000_NS6detail17trampoline_kernelINS0_14default_configENS1_35radix_sort_onesweep_config_selectorIiNS0_10empty_typeEEEZNS1_34radix_sort_onesweep_global_offsetsIS3_Lb0EPiPS5_mNS0_19identity_decomposerEEE10hipError_tT1_T2_PT3_SE_jT4_jjP12ihipStream_tbEUlT_E0_NS1_11comp_targetILNS1_3genE5ELNS1_11target_archE942ELNS1_3gpuE9ELNS1_3repE0EEENS1_52radix_sort_onesweep_histogram_config_static_selectorELNS0_4arch9wavefront6targetE1EEEvSC_
	.globl	_ZN7rocprim17ROCPRIM_400000_NS6detail17trampoline_kernelINS0_14default_configENS1_35radix_sort_onesweep_config_selectorIiNS0_10empty_typeEEEZNS1_34radix_sort_onesweep_global_offsetsIS3_Lb0EPiPS5_mNS0_19identity_decomposerEEE10hipError_tT1_T2_PT3_SE_jT4_jjP12ihipStream_tbEUlT_E0_NS1_11comp_targetILNS1_3genE5ELNS1_11target_archE942ELNS1_3gpuE9ELNS1_3repE0EEENS1_52radix_sort_onesweep_histogram_config_static_selectorELNS0_4arch9wavefront6targetE1EEEvSC_
	.p2align	8
	.type	_ZN7rocprim17ROCPRIM_400000_NS6detail17trampoline_kernelINS0_14default_configENS1_35radix_sort_onesweep_config_selectorIiNS0_10empty_typeEEEZNS1_34radix_sort_onesweep_global_offsetsIS3_Lb0EPiPS5_mNS0_19identity_decomposerEEE10hipError_tT1_T2_PT3_SE_jT4_jjP12ihipStream_tbEUlT_E0_NS1_11comp_targetILNS1_3genE5ELNS1_11target_archE942ELNS1_3gpuE9ELNS1_3repE0EEENS1_52radix_sort_onesweep_histogram_config_static_selectorELNS0_4arch9wavefront6targetE1EEEvSC_,@function
_ZN7rocprim17ROCPRIM_400000_NS6detail17trampoline_kernelINS0_14default_configENS1_35radix_sort_onesweep_config_selectorIiNS0_10empty_typeEEEZNS1_34radix_sort_onesweep_global_offsetsIS3_Lb0EPiPS5_mNS0_19identity_decomposerEEE10hipError_tT1_T2_PT3_SE_jT4_jjP12ihipStream_tbEUlT_E0_NS1_11comp_targetILNS1_3genE5ELNS1_11target_archE942ELNS1_3gpuE9ELNS1_3repE0EEENS1_52radix_sort_onesweep_histogram_config_static_selectorELNS0_4arch9wavefront6targetE1EEEvSC_: ; @_ZN7rocprim17ROCPRIM_400000_NS6detail17trampoline_kernelINS0_14default_configENS1_35radix_sort_onesweep_config_selectorIiNS0_10empty_typeEEEZNS1_34radix_sort_onesweep_global_offsetsIS3_Lb0EPiPS5_mNS0_19identity_decomposerEEE10hipError_tT1_T2_PT3_SE_jT4_jjP12ihipStream_tbEUlT_E0_NS1_11comp_targetILNS1_3genE5ELNS1_11target_archE942ELNS1_3gpuE9ELNS1_3repE0EEENS1_52radix_sort_onesweep_histogram_config_static_selectorELNS0_4arch9wavefront6targetE1EEEvSC_
; %bb.0:
	.section	.rodata,"a",@progbits
	.p2align	6, 0x0
	.amdhsa_kernel _ZN7rocprim17ROCPRIM_400000_NS6detail17trampoline_kernelINS0_14default_configENS1_35radix_sort_onesweep_config_selectorIiNS0_10empty_typeEEEZNS1_34radix_sort_onesweep_global_offsetsIS3_Lb0EPiPS5_mNS0_19identity_decomposerEEE10hipError_tT1_T2_PT3_SE_jT4_jjP12ihipStream_tbEUlT_E0_NS1_11comp_targetILNS1_3genE5ELNS1_11target_archE942ELNS1_3gpuE9ELNS1_3repE0EEENS1_52radix_sort_onesweep_histogram_config_static_selectorELNS0_4arch9wavefront6targetE1EEEvSC_
		.amdhsa_group_segment_fixed_size 0
		.amdhsa_private_segment_fixed_size 0
		.amdhsa_kernarg_size 8
		.amdhsa_user_sgpr_count 6
		.amdhsa_user_sgpr_private_segment_buffer 1
		.amdhsa_user_sgpr_dispatch_ptr 0
		.amdhsa_user_sgpr_queue_ptr 0
		.amdhsa_user_sgpr_kernarg_segment_ptr 1
		.amdhsa_user_sgpr_dispatch_id 0
		.amdhsa_user_sgpr_flat_scratch_init 0
		.amdhsa_user_sgpr_kernarg_preload_length 0
		.amdhsa_user_sgpr_kernarg_preload_offset 0
		.amdhsa_user_sgpr_private_segment_size 0
		.amdhsa_uses_dynamic_stack 0
		.amdhsa_system_sgpr_private_segment_wavefront_offset 0
		.amdhsa_system_sgpr_workgroup_id_x 1
		.amdhsa_system_sgpr_workgroup_id_y 0
		.amdhsa_system_sgpr_workgroup_id_z 0
		.amdhsa_system_sgpr_workgroup_info 0
		.amdhsa_system_vgpr_workitem_id 0
		.amdhsa_next_free_vgpr 1
		.amdhsa_next_free_sgpr 0
		.amdhsa_accum_offset 4
		.amdhsa_reserve_vcc 0
		.amdhsa_reserve_flat_scratch 0
		.amdhsa_float_round_mode_32 0
		.amdhsa_float_round_mode_16_64 0
		.amdhsa_float_denorm_mode_32 3
		.amdhsa_float_denorm_mode_16_64 3
		.amdhsa_dx10_clamp 1
		.amdhsa_ieee_mode 1
		.amdhsa_fp16_overflow 0
		.amdhsa_tg_split 0
		.amdhsa_exception_fp_ieee_invalid_op 0
		.amdhsa_exception_fp_denorm_src 0
		.amdhsa_exception_fp_ieee_div_zero 0
		.amdhsa_exception_fp_ieee_overflow 0
		.amdhsa_exception_fp_ieee_underflow 0
		.amdhsa_exception_fp_ieee_inexact 0
		.amdhsa_exception_int_div_zero 0
	.end_amdhsa_kernel
	.section	.text._ZN7rocprim17ROCPRIM_400000_NS6detail17trampoline_kernelINS0_14default_configENS1_35radix_sort_onesweep_config_selectorIiNS0_10empty_typeEEEZNS1_34radix_sort_onesweep_global_offsetsIS3_Lb0EPiPS5_mNS0_19identity_decomposerEEE10hipError_tT1_T2_PT3_SE_jT4_jjP12ihipStream_tbEUlT_E0_NS1_11comp_targetILNS1_3genE5ELNS1_11target_archE942ELNS1_3gpuE9ELNS1_3repE0EEENS1_52radix_sort_onesweep_histogram_config_static_selectorELNS0_4arch9wavefront6targetE1EEEvSC_,"axG",@progbits,_ZN7rocprim17ROCPRIM_400000_NS6detail17trampoline_kernelINS0_14default_configENS1_35radix_sort_onesweep_config_selectorIiNS0_10empty_typeEEEZNS1_34radix_sort_onesweep_global_offsetsIS3_Lb0EPiPS5_mNS0_19identity_decomposerEEE10hipError_tT1_T2_PT3_SE_jT4_jjP12ihipStream_tbEUlT_E0_NS1_11comp_targetILNS1_3genE5ELNS1_11target_archE942ELNS1_3gpuE9ELNS1_3repE0EEENS1_52radix_sort_onesweep_histogram_config_static_selectorELNS0_4arch9wavefront6targetE1EEEvSC_,comdat
.Lfunc_end643:
	.size	_ZN7rocprim17ROCPRIM_400000_NS6detail17trampoline_kernelINS0_14default_configENS1_35radix_sort_onesweep_config_selectorIiNS0_10empty_typeEEEZNS1_34radix_sort_onesweep_global_offsetsIS3_Lb0EPiPS5_mNS0_19identity_decomposerEEE10hipError_tT1_T2_PT3_SE_jT4_jjP12ihipStream_tbEUlT_E0_NS1_11comp_targetILNS1_3genE5ELNS1_11target_archE942ELNS1_3gpuE9ELNS1_3repE0EEENS1_52radix_sort_onesweep_histogram_config_static_selectorELNS0_4arch9wavefront6targetE1EEEvSC_, .Lfunc_end643-_ZN7rocprim17ROCPRIM_400000_NS6detail17trampoline_kernelINS0_14default_configENS1_35radix_sort_onesweep_config_selectorIiNS0_10empty_typeEEEZNS1_34radix_sort_onesweep_global_offsetsIS3_Lb0EPiPS5_mNS0_19identity_decomposerEEE10hipError_tT1_T2_PT3_SE_jT4_jjP12ihipStream_tbEUlT_E0_NS1_11comp_targetILNS1_3genE5ELNS1_11target_archE942ELNS1_3gpuE9ELNS1_3repE0EEENS1_52radix_sort_onesweep_histogram_config_static_selectorELNS0_4arch9wavefront6targetE1EEEvSC_
                                        ; -- End function
	.section	.AMDGPU.csdata,"",@progbits
; Kernel info:
; codeLenInByte = 0
; NumSgprs: 4
; NumVgprs: 0
; NumAgprs: 0
; TotalNumVgprs: 0
; ScratchSize: 0
; MemoryBound: 0
; FloatMode: 240
; IeeeMode: 1
; LDSByteSize: 0 bytes/workgroup (compile time only)
; SGPRBlocks: 0
; VGPRBlocks: 0
; NumSGPRsForWavesPerEU: 4
; NumVGPRsForWavesPerEU: 1
; AccumOffset: 4
; Occupancy: 8
; WaveLimiterHint : 0
; COMPUTE_PGM_RSRC2:SCRATCH_EN: 0
; COMPUTE_PGM_RSRC2:USER_SGPR: 6
; COMPUTE_PGM_RSRC2:TRAP_HANDLER: 0
; COMPUTE_PGM_RSRC2:TGID_X_EN: 1
; COMPUTE_PGM_RSRC2:TGID_Y_EN: 0
; COMPUTE_PGM_RSRC2:TGID_Z_EN: 0
; COMPUTE_PGM_RSRC2:TIDIG_COMP_CNT: 0
; COMPUTE_PGM_RSRC3_GFX90A:ACCUM_OFFSET: 0
; COMPUTE_PGM_RSRC3_GFX90A:TG_SPLIT: 0
	.section	.text._ZN7rocprim17ROCPRIM_400000_NS6detail17trampoline_kernelINS0_14default_configENS1_35radix_sort_onesweep_config_selectorIiNS0_10empty_typeEEEZNS1_34radix_sort_onesweep_global_offsetsIS3_Lb0EPiPS5_mNS0_19identity_decomposerEEE10hipError_tT1_T2_PT3_SE_jT4_jjP12ihipStream_tbEUlT_E0_NS1_11comp_targetILNS1_3genE2ELNS1_11target_archE906ELNS1_3gpuE6ELNS1_3repE0EEENS1_52radix_sort_onesweep_histogram_config_static_selectorELNS0_4arch9wavefront6targetE1EEEvSC_,"axG",@progbits,_ZN7rocprim17ROCPRIM_400000_NS6detail17trampoline_kernelINS0_14default_configENS1_35radix_sort_onesweep_config_selectorIiNS0_10empty_typeEEEZNS1_34radix_sort_onesweep_global_offsetsIS3_Lb0EPiPS5_mNS0_19identity_decomposerEEE10hipError_tT1_T2_PT3_SE_jT4_jjP12ihipStream_tbEUlT_E0_NS1_11comp_targetILNS1_3genE2ELNS1_11target_archE906ELNS1_3gpuE6ELNS1_3repE0EEENS1_52radix_sort_onesweep_histogram_config_static_selectorELNS0_4arch9wavefront6targetE1EEEvSC_,comdat
	.protected	_ZN7rocprim17ROCPRIM_400000_NS6detail17trampoline_kernelINS0_14default_configENS1_35radix_sort_onesweep_config_selectorIiNS0_10empty_typeEEEZNS1_34radix_sort_onesweep_global_offsetsIS3_Lb0EPiPS5_mNS0_19identity_decomposerEEE10hipError_tT1_T2_PT3_SE_jT4_jjP12ihipStream_tbEUlT_E0_NS1_11comp_targetILNS1_3genE2ELNS1_11target_archE906ELNS1_3gpuE6ELNS1_3repE0EEENS1_52radix_sort_onesweep_histogram_config_static_selectorELNS0_4arch9wavefront6targetE1EEEvSC_ ; -- Begin function _ZN7rocprim17ROCPRIM_400000_NS6detail17trampoline_kernelINS0_14default_configENS1_35radix_sort_onesweep_config_selectorIiNS0_10empty_typeEEEZNS1_34radix_sort_onesweep_global_offsetsIS3_Lb0EPiPS5_mNS0_19identity_decomposerEEE10hipError_tT1_T2_PT3_SE_jT4_jjP12ihipStream_tbEUlT_E0_NS1_11comp_targetILNS1_3genE2ELNS1_11target_archE906ELNS1_3gpuE6ELNS1_3repE0EEENS1_52radix_sort_onesweep_histogram_config_static_selectorELNS0_4arch9wavefront6targetE1EEEvSC_
	.globl	_ZN7rocprim17ROCPRIM_400000_NS6detail17trampoline_kernelINS0_14default_configENS1_35radix_sort_onesweep_config_selectorIiNS0_10empty_typeEEEZNS1_34radix_sort_onesweep_global_offsetsIS3_Lb0EPiPS5_mNS0_19identity_decomposerEEE10hipError_tT1_T2_PT3_SE_jT4_jjP12ihipStream_tbEUlT_E0_NS1_11comp_targetILNS1_3genE2ELNS1_11target_archE906ELNS1_3gpuE6ELNS1_3repE0EEENS1_52radix_sort_onesweep_histogram_config_static_selectorELNS0_4arch9wavefront6targetE1EEEvSC_
	.p2align	8
	.type	_ZN7rocprim17ROCPRIM_400000_NS6detail17trampoline_kernelINS0_14default_configENS1_35radix_sort_onesweep_config_selectorIiNS0_10empty_typeEEEZNS1_34radix_sort_onesweep_global_offsetsIS3_Lb0EPiPS5_mNS0_19identity_decomposerEEE10hipError_tT1_T2_PT3_SE_jT4_jjP12ihipStream_tbEUlT_E0_NS1_11comp_targetILNS1_3genE2ELNS1_11target_archE906ELNS1_3gpuE6ELNS1_3repE0EEENS1_52radix_sort_onesweep_histogram_config_static_selectorELNS0_4arch9wavefront6targetE1EEEvSC_,@function
_ZN7rocprim17ROCPRIM_400000_NS6detail17trampoline_kernelINS0_14default_configENS1_35radix_sort_onesweep_config_selectorIiNS0_10empty_typeEEEZNS1_34radix_sort_onesweep_global_offsetsIS3_Lb0EPiPS5_mNS0_19identity_decomposerEEE10hipError_tT1_T2_PT3_SE_jT4_jjP12ihipStream_tbEUlT_E0_NS1_11comp_targetILNS1_3genE2ELNS1_11target_archE906ELNS1_3gpuE6ELNS1_3repE0EEENS1_52radix_sort_onesweep_histogram_config_static_selectorELNS0_4arch9wavefront6targetE1EEEvSC_: ; @_ZN7rocprim17ROCPRIM_400000_NS6detail17trampoline_kernelINS0_14default_configENS1_35radix_sort_onesweep_config_selectorIiNS0_10empty_typeEEEZNS1_34radix_sort_onesweep_global_offsetsIS3_Lb0EPiPS5_mNS0_19identity_decomposerEEE10hipError_tT1_T2_PT3_SE_jT4_jjP12ihipStream_tbEUlT_E0_NS1_11comp_targetILNS1_3genE2ELNS1_11target_archE906ELNS1_3gpuE6ELNS1_3repE0EEENS1_52radix_sort_onesweep_histogram_config_static_selectorELNS0_4arch9wavefront6targetE1EEEvSC_
; %bb.0:
	.section	.rodata,"a",@progbits
	.p2align	6, 0x0
	.amdhsa_kernel _ZN7rocprim17ROCPRIM_400000_NS6detail17trampoline_kernelINS0_14default_configENS1_35radix_sort_onesweep_config_selectorIiNS0_10empty_typeEEEZNS1_34radix_sort_onesweep_global_offsetsIS3_Lb0EPiPS5_mNS0_19identity_decomposerEEE10hipError_tT1_T2_PT3_SE_jT4_jjP12ihipStream_tbEUlT_E0_NS1_11comp_targetILNS1_3genE2ELNS1_11target_archE906ELNS1_3gpuE6ELNS1_3repE0EEENS1_52radix_sort_onesweep_histogram_config_static_selectorELNS0_4arch9wavefront6targetE1EEEvSC_
		.amdhsa_group_segment_fixed_size 0
		.amdhsa_private_segment_fixed_size 0
		.amdhsa_kernarg_size 8
		.amdhsa_user_sgpr_count 6
		.amdhsa_user_sgpr_private_segment_buffer 1
		.amdhsa_user_sgpr_dispatch_ptr 0
		.amdhsa_user_sgpr_queue_ptr 0
		.amdhsa_user_sgpr_kernarg_segment_ptr 1
		.amdhsa_user_sgpr_dispatch_id 0
		.amdhsa_user_sgpr_flat_scratch_init 0
		.amdhsa_user_sgpr_kernarg_preload_length 0
		.amdhsa_user_sgpr_kernarg_preload_offset 0
		.amdhsa_user_sgpr_private_segment_size 0
		.amdhsa_uses_dynamic_stack 0
		.amdhsa_system_sgpr_private_segment_wavefront_offset 0
		.amdhsa_system_sgpr_workgroup_id_x 1
		.amdhsa_system_sgpr_workgroup_id_y 0
		.amdhsa_system_sgpr_workgroup_id_z 0
		.amdhsa_system_sgpr_workgroup_info 0
		.amdhsa_system_vgpr_workitem_id 0
		.amdhsa_next_free_vgpr 1
		.amdhsa_next_free_sgpr 0
		.amdhsa_accum_offset 4
		.amdhsa_reserve_vcc 0
		.amdhsa_reserve_flat_scratch 0
		.amdhsa_float_round_mode_32 0
		.amdhsa_float_round_mode_16_64 0
		.amdhsa_float_denorm_mode_32 3
		.amdhsa_float_denorm_mode_16_64 3
		.amdhsa_dx10_clamp 1
		.amdhsa_ieee_mode 1
		.amdhsa_fp16_overflow 0
		.amdhsa_tg_split 0
		.amdhsa_exception_fp_ieee_invalid_op 0
		.amdhsa_exception_fp_denorm_src 0
		.amdhsa_exception_fp_ieee_div_zero 0
		.amdhsa_exception_fp_ieee_overflow 0
		.amdhsa_exception_fp_ieee_underflow 0
		.amdhsa_exception_fp_ieee_inexact 0
		.amdhsa_exception_int_div_zero 0
	.end_amdhsa_kernel
	.section	.text._ZN7rocprim17ROCPRIM_400000_NS6detail17trampoline_kernelINS0_14default_configENS1_35radix_sort_onesweep_config_selectorIiNS0_10empty_typeEEEZNS1_34radix_sort_onesweep_global_offsetsIS3_Lb0EPiPS5_mNS0_19identity_decomposerEEE10hipError_tT1_T2_PT3_SE_jT4_jjP12ihipStream_tbEUlT_E0_NS1_11comp_targetILNS1_3genE2ELNS1_11target_archE906ELNS1_3gpuE6ELNS1_3repE0EEENS1_52radix_sort_onesweep_histogram_config_static_selectorELNS0_4arch9wavefront6targetE1EEEvSC_,"axG",@progbits,_ZN7rocprim17ROCPRIM_400000_NS6detail17trampoline_kernelINS0_14default_configENS1_35radix_sort_onesweep_config_selectorIiNS0_10empty_typeEEEZNS1_34radix_sort_onesweep_global_offsetsIS3_Lb0EPiPS5_mNS0_19identity_decomposerEEE10hipError_tT1_T2_PT3_SE_jT4_jjP12ihipStream_tbEUlT_E0_NS1_11comp_targetILNS1_3genE2ELNS1_11target_archE906ELNS1_3gpuE6ELNS1_3repE0EEENS1_52radix_sort_onesweep_histogram_config_static_selectorELNS0_4arch9wavefront6targetE1EEEvSC_,comdat
.Lfunc_end644:
	.size	_ZN7rocprim17ROCPRIM_400000_NS6detail17trampoline_kernelINS0_14default_configENS1_35radix_sort_onesweep_config_selectorIiNS0_10empty_typeEEEZNS1_34radix_sort_onesweep_global_offsetsIS3_Lb0EPiPS5_mNS0_19identity_decomposerEEE10hipError_tT1_T2_PT3_SE_jT4_jjP12ihipStream_tbEUlT_E0_NS1_11comp_targetILNS1_3genE2ELNS1_11target_archE906ELNS1_3gpuE6ELNS1_3repE0EEENS1_52radix_sort_onesweep_histogram_config_static_selectorELNS0_4arch9wavefront6targetE1EEEvSC_, .Lfunc_end644-_ZN7rocprim17ROCPRIM_400000_NS6detail17trampoline_kernelINS0_14default_configENS1_35radix_sort_onesweep_config_selectorIiNS0_10empty_typeEEEZNS1_34radix_sort_onesweep_global_offsetsIS3_Lb0EPiPS5_mNS0_19identity_decomposerEEE10hipError_tT1_T2_PT3_SE_jT4_jjP12ihipStream_tbEUlT_E0_NS1_11comp_targetILNS1_3genE2ELNS1_11target_archE906ELNS1_3gpuE6ELNS1_3repE0EEENS1_52radix_sort_onesweep_histogram_config_static_selectorELNS0_4arch9wavefront6targetE1EEEvSC_
                                        ; -- End function
	.section	.AMDGPU.csdata,"",@progbits
; Kernel info:
; codeLenInByte = 0
; NumSgprs: 4
; NumVgprs: 0
; NumAgprs: 0
; TotalNumVgprs: 0
; ScratchSize: 0
; MemoryBound: 0
; FloatMode: 240
; IeeeMode: 1
; LDSByteSize: 0 bytes/workgroup (compile time only)
; SGPRBlocks: 0
; VGPRBlocks: 0
; NumSGPRsForWavesPerEU: 4
; NumVGPRsForWavesPerEU: 1
; AccumOffset: 4
; Occupancy: 8
; WaveLimiterHint : 0
; COMPUTE_PGM_RSRC2:SCRATCH_EN: 0
; COMPUTE_PGM_RSRC2:USER_SGPR: 6
; COMPUTE_PGM_RSRC2:TRAP_HANDLER: 0
; COMPUTE_PGM_RSRC2:TGID_X_EN: 1
; COMPUTE_PGM_RSRC2:TGID_Y_EN: 0
; COMPUTE_PGM_RSRC2:TGID_Z_EN: 0
; COMPUTE_PGM_RSRC2:TIDIG_COMP_CNT: 0
; COMPUTE_PGM_RSRC3_GFX90A:ACCUM_OFFSET: 0
; COMPUTE_PGM_RSRC3_GFX90A:TG_SPLIT: 0
	.section	.text._ZN7rocprim17ROCPRIM_400000_NS6detail17trampoline_kernelINS0_14default_configENS1_35radix_sort_onesweep_config_selectorIiNS0_10empty_typeEEEZNS1_34radix_sort_onesweep_global_offsetsIS3_Lb0EPiPS5_mNS0_19identity_decomposerEEE10hipError_tT1_T2_PT3_SE_jT4_jjP12ihipStream_tbEUlT_E0_NS1_11comp_targetILNS1_3genE4ELNS1_11target_archE910ELNS1_3gpuE8ELNS1_3repE0EEENS1_52radix_sort_onesweep_histogram_config_static_selectorELNS0_4arch9wavefront6targetE1EEEvSC_,"axG",@progbits,_ZN7rocprim17ROCPRIM_400000_NS6detail17trampoline_kernelINS0_14default_configENS1_35radix_sort_onesweep_config_selectorIiNS0_10empty_typeEEEZNS1_34radix_sort_onesweep_global_offsetsIS3_Lb0EPiPS5_mNS0_19identity_decomposerEEE10hipError_tT1_T2_PT3_SE_jT4_jjP12ihipStream_tbEUlT_E0_NS1_11comp_targetILNS1_3genE4ELNS1_11target_archE910ELNS1_3gpuE8ELNS1_3repE0EEENS1_52radix_sort_onesweep_histogram_config_static_selectorELNS0_4arch9wavefront6targetE1EEEvSC_,comdat
	.protected	_ZN7rocprim17ROCPRIM_400000_NS6detail17trampoline_kernelINS0_14default_configENS1_35radix_sort_onesweep_config_selectorIiNS0_10empty_typeEEEZNS1_34radix_sort_onesweep_global_offsetsIS3_Lb0EPiPS5_mNS0_19identity_decomposerEEE10hipError_tT1_T2_PT3_SE_jT4_jjP12ihipStream_tbEUlT_E0_NS1_11comp_targetILNS1_3genE4ELNS1_11target_archE910ELNS1_3gpuE8ELNS1_3repE0EEENS1_52radix_sort_onesweep_histogram_config_static_selectorELNS0_4arch9wavefront6targetE1EEEvSC_ ; -- Begin function _ZN7rocprim17ROCPRIM_400000_NS6detail17trampoline_kernelINS0_14default_configENS1_35radix_sort_onesweep_config_selectorIiNS0_10empty_typeEEEZNS1_34radix_sort_onesweep_global_offsetsIS3_Lb0EPiPS5_mNS0_19identity_decomposerEEE10hipError_tT1_T2_PT3_SE_jT4_jjP12ihipStream_tbEUlT_E0_NS1_11comp_targetILNS1_3genE4ELNS1_11target_archE910ELNS1_3gpuE8ELNS1_3repE0EEENS1_52radix_sort_onesweep_histogram_config_static_selectorELNS0_4arch9wavefront6targetE1EEEvSC_
	.globl	_ZN7rocprim17ROCPRIM_400000_NS6detail17trampoline_kernelINS0_14default_configENS1_35radix_sort_onesweep_config_selectorIiNS0_10empty_typeEEEZNS1_34radix_sort_onesweep_global_offsetsIS3_Lb0EPiPS5_mNS0_19identity_decomposerEEE10hipError_tT1_T2_PT3_SE_jT4_jjP12ihipStream_tbEUlT_E0_NS1_11comp_targetILNS1_3genE4ELNS1_11target_archE910ELNS1_3gpuE8ELNS1_3repE0EEENS1_52radix_sort_onesweep_histogram_config_static_selectorELNS0_4arch9wavefront6targetE1EEEvSC_
	.p2align	8
	.type	_ZN7rocprim17ROCPRIM_400000_NS6detail17trampoline_kernelINS0_14default_configENS1_35radix_sort_onesweep_config_selectorIiNS0_10empty_typeEEEZNS1_34radix_sort_onesweep_global_offsetsIS3_Lb0EPiPS5_mNS0_19identity_decomposerEEE10hipError_tT1_T2_PT3_SE_jT4_jjP12ihipStream_tbEUlT_E0_NS1_11comp_targetILNS1_3genE4ELNS1_11target_archE910ELNS1_3gpuE8ELNS1_3repE0EEENS1_52radix_sort_onesweep_histogram_config_static_selectorELNS0_4arch9wavefront6targetE1EEEvSC_,@function
_ZN7rocprim17ROCPRIM_400000_NS6detail17trampoline_kernelINS0_14default_configENS1_35radix_sort_onesweep_config_selectorIiNS0_10empty_typeEEEZNS1_34radix_sort_onesweep_global_offsetsIS3_Lb0EPiPS5_mNS0_19identity_decomposerEEE10hipError_tT1_T2_PT3_SE_jT4_jjP12ihipStream_tbEUlT_E0_NS1_11comp_targetILNS1_3genE4ELNS1_11target_archE910ELNS1_3gpuE8ELNS1_3repE0EEENS1_52radix_sort_onesweep_histogram_config_static_selectorELNS0_4arch9wavefront6targetE1EEEvSC_: ; @_ZN7rocprim17ROCPRIM_400000_NS6detail17trampoline_kernelINS0_14default_configENS1_35radix_sort_onesweep_config_selectorIiNS0_10empty_typeEEEZNS1_34radix_sort_onesweep_global_offsetsIS3_Lb0EPiPS5_mNS0_19identity_decomposerEEE10hipError_tT1_T2_PT3_SE_jT4_jjP12ihipStream_tbEUlT_E0_NS1_11comp_targetILNS1_3genE4ELNS1_11target_archE910ELNS1_3gpuE8ELNS1_3repE0EEENS1_52radix_sort_onesweep_histogram_config_static_selectorELNS0_4arch9wavefront6targetE1EEEvSC_
; %bb.0:
	s_load_dwordx2 s[0:1], s[4:5], 0x0
	s_lshl_b32 s2, s6, 8
	s_mov_b32 s3, 0
	s_lshl_b64 s[2:3], s[2:3], 3
	v_lshlrev_b32_e32 v5, 3, v0
	s_waitcnt lgkmcnt(0)
	s_add_u32 s14, s0, s2
	s_movk_i32 s0, 0x100
	s_addc_u32 s15, s1, s3
	v_cmp_gt_u32_e32 vcc, s0, v0
                                        ; implicit-def: $vgpr2_vgpr3
	s_and_saveexec_b64 s[0:1], vcc
	s_cbranch_execz .LBB645_2
; %bb.1:
	global_load_dwordx2 v[2:3], v5, s[14:15]
.LBB645_2:
	s_or_b64 exec, exec, s[0:1]
	s_waitcnt vmcnt(0)
	v_mov_b32_dpp v4, v2 row_shr:1 row_mask:0xf bank_mask:0xf
	v_add_co_u32_e64 v4, s[0:1], v2, v4
	v_mbcnt_lo_u32_b32 v1, -1, 0
	v_addc_co_u32_e64 v8, s[0:1], 0, v3, s[0:1]
	v_mbcnt_hi_u32_b32 v6, -1, v1
	v_mov_b32_dpp v7, v3 row_shr:1 row_mask:0xf bank_mask:0xf
	v_add_co_u32_e64 v9, s[0:1], 0, v4
	v_and_b32_e32 v1, 15, v6
	v_addc_co_u32_e64 v7, s[0:1], v7, v8, s[0:1]
	v_cmp_eq_u32_e64 s[0:1], 0, v1
	v_cndmask_b32_e64 v4, v4, v2, s[0:1]
	v_cndmask_b32_e64 v7, v7, v3, s[0:1]
	v_cndmask_b32_e64 v8, v9, v2, s[0:1]
	v_mov_b32_dpp v9, v4 row_shr:2 row_mask:0xf bank_mask:0xf
	v_mov_b32_dpp v10, v7 row_shr:2 row_mask:0xf bank_mask:0xf
	v_add_co_u32_e64 v9, s[2:3], v9, v8
	v_cmp_lt_u32_e64 s[4:5], 1, v1
	v_addc_co_u32_e64 v10, s[2:3], v10, v7, s[2:3]
	v_cndmask_b32_e64 v4, v4, v9, s[4:5]
	v_cndmask_b32_e64 v7, v7, v10, s[4:5]
	v_cndmask_b32_e64 v8, v8, v9, s[4:5]
	v_mov_b32_dpp v9, v4 row_shr:4 row_mask:0xf bank_mask:0xf
	v_mov_b32_dpp v10, v7 row_shr:4 row_mask:0xf bank_mask:0xf
	v_add_co_u32_e64 v9, s[2:3], v9, v8
	v_cmp_lt_u32_e64 s[6:7], 3, v1
	v_addc_co_u32_e64 v10, s[2:3], v10, v7, s[2:3]
	;; [unrolled: 8-line block ×3, first 2 shown]
	v_cndmask_b32_e64 v11, v4, v9, s[8:9]
	v_cndmask_b32_e64 v1, v7, v10, s[8:9]
	;; [unrolled: 1-line block ×3, first 2 shown]
	v_mov_b32_dpp v7, v11 row_bcast:15 row_mask:0xf bank_mask:0xf
	v_mov_b32_dpp v8, v1 row_bcast:15 row_mask:0xf bank_mask:0xf
	v_and_b32_e32 v10, 16, v6
	v_add_co_u32_e64 v7, s[2:3], v7, v4
	v_addc_co_u32_e64 v9, s[2:3], v8, v1, s[2:3]
	v_cmp_eq_u32_e64 s[10:11], 0, v10
	v_cndmask_b32_e64 v10, v9, v1, s[10:11]
	v_cndmask_b32_e64 v8, v7, v11, s[10:11]
	v_cmp_eq_u32_e64 s[2:3], 0, v6
	v_mov_b32_dpp v10, v10 row_bcast:31 row_mask:0xf bank_mask:0xf
	v_mov_b32_dpp v8, v8 row_bcast:31 row_mask:0xf bank_mask:0xf
	v_cmp_ne_u32_e64 s[12:13], 0, v6
	s_and_saveexec_b64 s[16:17], s[12:13]
; %bb.3:
	v_cndmask_b32_e64 v1, v9, v1, s[10:11]
	v_cndmask_b32_e64 v2, v7, v4, s[10:11]
	v_cmp_lt_u32_e64 s[10:11], 31, v6
	v_cndmask_b32_e64 v4, 0, v8, s[10:11]
	v_cndmask_b32_e64 v3, 0, v10, s[10:11]
	v_add_co_u32_e64 v2, s[10:11], v4, v2
	v_addc_co_u32_e64 v3, s[10:11], v3, v1, s[10:11]
; %bb.4:
	s_or_b64 exec, exec, s[16:17]
	v_and_b32_e32 v1, 63, v0
	v_lshrrev_b32_e32 v4, 6, v0
	v_cmp_eq_u32_e64 s[10:11], 63, v1
	s_and_saveexec_b64 s[12:13], s[10:11]
	s_cbranch_execz .LBB645_6
; %bb.5:
	v_lshlrev_b32_e32 v1, 3, v4
	ds_write_b64 v1, v[2:3]
.LBB645_6:
	s_or_b64 exec, exec, s[12:13]
	v_cmp_gt_u32_e64 s[10:11], 16, v0
	s_waitcnt lgkmcnt(0)
	s_barrier
	s_and_saveexec_b64 s[12:13], s[10:11]
	s_cbranch_execz .LBB645_8
; %bb.7:
	ds_read_b64 v[8:9], v5
	s_waitcnt lgkmcnt(0)
	s_nop 0
	v_mov_b32_dpp v1, v8 row_shr:1 row_mask:0xf bank_mask:0xf
	v_add_co_u32_e64 v1, s[10:11], v8, v1
	v_addc_co_u32_e64 v10, s[10:11], 0, v9, s[10:11]
	v_mov_b32_dpp v7, v9 row_shr:1 row_mask:0xf bank_mask:0xf
	v_add_co_u32_e64 v11, s[10:11], 0, v1
	v_addc_co_u32_e64 v7, s[10:11], v7, v10, s[10:11]
	v_cndmask_b32_e64 v1, v1, v8, s[0:1]
	v_cndmask_b32_e64 v7, v7, v9, s[0:1]
	v_cndmask_b32_e64 v10, v11, v8, s[0:1]
	v_mov_b32_dpp v11, v1 row_shr:2 row_mask:0xf bank_mask:0xf
	v_mov_b32_dpp v12, v7 row_shr:2 row_mask:0xf bank_mask:0xf
	v_add_co_u32_e64 v11, s[10:11], v11, v10
	v_addc_co_u32_e64 v12, s[10:11], v12, v7, s[10:11]
	v_cndmask_b32_e64 v1, v1, v11, s[4:5]
	v_cndmask_b32_e64 v7, v7, v12, s[4:5]
	v_cndmask_b32_e64 v10, v10, v11, s[4:5]
	v_mov_b32_dpp v11, v1 row_shr:4 row_mask:0xf bank_mask:0xf
	;; [unrolled: 7-line block ×3, first 2 shown]
	v_mov_b32_dpp v12, v7 row_shr:8 row_mask:0xf bank_mask:0xf
	v_cndmask_b32_e64 v1, 0, v1, s[8:9]
	v_cndmask_b32_e64 v11, 0, v12, s[8:9]
	v_add_co_u32_e64 v1, s[4:5], v1, v10
	v_addc_co_u32_e64 v7, s[4:5], v11, v7, s[4:5]
	v_cndmask_b32_e64 v9, v7, v9, s[0:1]
	v_cndmask_b32_e64 v8, v1, v8, s[0:1]
	ds_write_b64 v5, v[8:9]
.LBB645_8:
	s_or_b64 exec, exec, s[12:13]
	v_cmp_lt_u32_e64 s[0:1], 63, v0
	v_pk_mov_b32 v[0:1], 0, 0
	s_waitcnt lgkmcnt(0)
	s_barrier
	s_and_saveexec_b64 s[4:5], s[0:1]
	s_cbranch_execz .LBB645_10
; %bb.9:
	v_lshl_add_u32 v0, v4, 3, -8
	ds_read_b64 v[0:1], v0
.LBB645_10:
	s_or_b64 exec, exec, s[4:5]
	s_waitcnt lgkmcnt(0)
	v_add_co_u32_e64 v2, s[0:1], v0, v2
	v_addc_co_u32_e64 v3, s[0:1], v1, v3, s[0:1]
	v_add_u32_e32 v4, -1, v6
	v_and_b32_e32 v7, 64, v6
	v_cmp_lt_i32_e64 s[0:1], v4, v7
	v_cndmask_b32_e64 v4, v4, v6, s[0:1]
	v_lshlrev_b32_e32 v4, 2, v4
	ds_bpermute_b32 v2, v4, v2
	ds_bpermute_b32 v3, v4, v3
	s_and_saveexec_b64 s[0:1], vcc
	s_cbranch_execz .LBB645_12
; %bb.11:
	s_waitcnt lgkmcnt(0)
	v_cndmask_b32_e64 v1, v3, v1, s[2:3]
	v_cndmask_b32_e64 v0, v2, v0, s[2:3]
	global_store_dwordx2 v5, v[0:1], s[14:15]
.LBB645_12:
	s_endpgm
	.section	.rodata,"a",@progbits
	.p2align	6, 0x0
	.amdhsa_kernel _ZN7rocprim17ROCPRIM_400000_NS6detail17trampoline_kernelINS0_14default_configENS1_35radix_sort_onesweep_config_selectorIiNS0_10empty_typeEEEZNS1_34radix_sort_onesweep_global_offsetsIS3_Lb0EPiPS5_mNS0_19identity_decomposerEEE10hipError_tT1_T2_PT3_SE_jT4_jjP12ihipStream_tbEUlT_E0_NS1_11comp_targetILNS1_3genE4ELNS1_11target_archE910ELNS1_3gpuE8ELNS1_3repE0EEENS1_52radix_sort_onesweep_histogram_config_static_selectorELNS0_4arch9wavefront6targetE1EEEvSC_
		.amdhsa_group_segment_fixed_size 128
		.amdhsa_private_segment_fixed_size 0
		.amdhsa_kernarg_size 8
		.amdhsa_user_sgpr_count 6
		.amdhsa_user_sgpr_private_segment_buffer 1
		.amdhsa_user_sgpr_dispatch_ptr 0
		.amdhsa_user_sgpr_queue_ptr 0
		.amdhsa_user_sgpr_kernarg_segment_ptr 1
		.amdhsa_user_sgpr_dispatch_id 0
		.amdhsa_user_sgpr_flat_scratch_init 0
		.amdhsa_user_sgpr_kernarg_preload_length 0
		.amdhsa_user_sgpr_kernarg_preload_offset 0
		.amdhsa_user_sgpr_private_segment_size 0
		.amdhsa_uses_dynamic_stack 0
		.amdhsa_system_sgpr_private_segment_wavefront_offset 0
		.amdhsa_system_sgpr_workgroup_id_x 1
		.amdhsa_system_sgpr_workgroup_id_y 0
		.amdhsa_system_sgpr_workgroup_id_z 0
		.amdhsa_system_sgpr_workgroup_info 0
		.amdhsa_system_vgpr_workitem_id 0
		.amdhsa_next_free_vgpr 13
		.amdhsa_next_free_sgpr 18
		.amdhsa_accum_offset 16
		.amdhsa_reserve_vcc 1
		.amdhsa_reserve_flat_scratch 0
		.amdhsa_float_round_mode_32 0
		.amdhsa_float_round_mode_16_64 0
		.amdhsa_float_denorm_mode_32 3
		.amdhsa_float_denorm_mode_16_64 3
		.amdhsa_dx10_clamp 1
		.amdhsa_ieee_mode 1
		.amdhsa_fp16_overflow 0
		.amdhsa_tg_split 0
		.amdhsa_exception_fp_ieee_invalid_op 0
		.amdhsa_exception_fp_denorm_src 0
		.amdhsa_exception_fp_ieee_div_zero 0
		.amdhsa_exception_fp_ieee_overflow 0
		.amdhsa_exception_fp_ieee_underflow 0
		.amdhsa_exception_fp_ieee_inexact 0
		.amdhsa_exception_int_div_zero 0
	.end_amdhsa_kernel
	.section	.text._ZN7rocprim17ROCPRIM_400000_NS6detail17trampoline_kernelINS0_14default_configENS1_35radix_sort_onesweep_config_selectorIiNS0_10empty_typeEEEZNS1_34radix_sort_onesweep_global_offsetsIS3_Lb0EPiPS5_mNS0_19identity_decomposerEEE10hipError_tT1_T2_PT3_SE_jT4_jjP12ihipStream_tbEUlT_E0_NS1_11comp_targetILNS1_3genE4ELNS1_11target_archE910ELNS1_3gpuE8ELNS1_3repE0EEENS1_52radix_sort_onesweep_histogram_config_static_selectorELNS0_4arch9wavefront6targetE1EEEvSC_,"axG",@progbits,_ZN7rocprim17ROCPRIM_400000_NS6detail17trampoline_kernelINS0_14default_configENS1_35radix_sort_onesweep_config_selectorIiNS0_10empty_typeEEEZNS1_34radix_sort_onesweep_global_offsetsIS3_Lb0EPiPS5_mNS0_19identity_decomposerEEE10hipError_tT1_T2_PT3_SE_jT4_jjP12ihipStream_tbEUlT_E0_NS1_11comp_targetILNS1_3genE4ELNS1_11target_archE910ELNS1_3gpuE8ELNS1_3repE0EEENS1_52radix_sort_onesweep_histogram_config_static_selectorELNS0_4arch9wavefront6targetE1EEEvSC_,comdat
.Lfunc_end645:
	.size	_ZN7rocprim17ROCPRIM_400000_NS6detail17trampoline_kernelINS0_14default_configENS1_35radix_sort_onesweep_config_selectorIiNS0_10empty_typeEEEZNS1_34radix_sort_onesweep_global_offsetsIS3_Lb0EPiPS5_mNS0_19identity_decomposerEEE10hipError_tT1_T2_PT3_SE_jT4_jjP12ihipStream_tbEUlT_E0_NS1_11comp_targetILNS1_3genE4ELNS1_11target_archE910ELNS1_3gpuE8ELNS1_3repE0EEENS1_52radix_sort_onesweep_histogram_config_static_selectorELNS0_4arch9wavefront6targetE1EEEvSC_, .Lfunc_end645-_ZN7rocprim17ROCPRIM_400000_NS6detail17trampoline_kernelINS0_14default_configENS1_35radix_sort_onesweep_config_selectorIiNS0_10empty_typeEEEZNS1_34radix_sort_onesweep_global_offsetsIS3_Lb0EPiPS5_mNS0_19identity_decomposerEEE10hipError_tT1_T2_PT3_SE_jT4_jjP12ihipStream_tbEUlT_E0_NS1_11comp_targetILNS1_3genE4ELNS1_11target_archE910ELNS1_3gpuE8ELNS1_3repE0EEENS1_52radix_sort_onesweep_histogram_config_static_selectorELNS0_4arch9wavefront6targetE1EEEvSC_
                                        ; -- End function
	.section	.AMDGPU.csdata,"",@progbits
; Kernel info:
; codeLenInByte = 1012
; NumSgprs: 22
; NumVgprs: 13
; NumAgprs: 0
; TotalNumVgprs: 13
; ScratchSize: 0
; MemoryBound: 0
; FloatMode: 240
; IeeeMode: 1
; LDSByteSize: 128 bytes/workgroup (compile time only)
; SGPRBlocks: 2
; VGPRBlocks: 1
; NumSGPRsForWavesPerEU: 22
; NumVGPRsForWavesPerEU: 13
; AccumOffset: 16
; Occupancy: 8
; WaveLimiterHint : 0
; COMPUTE_PGM_RSRC2:SCRATCH_EN: 0
; COMPUTE_PGM_RSRC2:USER_SGPR: 6
; COMPUTE_PGM_RSRC2:TRAP_HANDLER: 0
; COMPUTE_PGM_RSRC2:TGID_X_EN: 1
; COMPUTE_PGM_RSRC2:TGID_Y_EN: 0
; COMPUTE_PGM_RSRC2:TGID_Z_EN: 0
; COMPUTE_PGM_RSRC2:TIDIG_COMP_CNT: 0
; COMPUTE_PGM_RSRC3_GFX90A:ACCUM_OFFSET: 3
; COMPUTE_PGM_RSRC3_GFX90A:TG_SPLIT: 0
	.section	.text._ZN7rocprim17ROCPRIM_400000_NS6detail17trampoline_kernelINS0_14default_configENS1_35radix_sort_onesweep_config_selectorIiNS0_10empty_typeEEEZNS1_34radix_sort_onesweep_global_offsetsIS3_Lb0EPiPS5_mNS0_19identity_decomposerEEE10hipError_tT1_T2_PT3_SE_jT4_jjP12ihipStream_tbEUlT_E0_NS1_11comp_targetILNS1_3genE3ELNS1_11target_archE908ELNS1_3gpuE7ELNS1_3repE0EEENS1_52radix_sort_onesweep_histogram_config_static_selectorELNS0_4arch9wavefront6targetE1EEEvSC_,"axG",@progbits,_ZN7rocprim17ROCPRIM_400000_NS6detail17trampoline_kernelINS0_14default_configENS1_35radix_sort_onesweep_config_selectorIiNS0_10empty_typeEEEZNS1_34radix_sort_onesweep_global_offsetsIS3_Lb0EPiPS5_mNS0_19identity_decomposerEEE10hipError_tT1_T2_PT3_SE_jT4_jjP12ihipStream_tbEUlT_E0_NS1_11comp_targetILNS1_3genE3ELNS1_11target_archE908ELNS1_3gpuE7ELNS1_3repE0EEENS1_52radix_sort_onesweep_histogram_config_static_selectorELNS0_4arch9wavefront6targetE1EEEvSC_,comdat
	.protected	_ZN7rocprim17ROCPRIM_400000_NS6detail17trampoline_kernelINS0_14default_configENS1_35radix_sort_onesweep_config_selectorIiNS0_10empty_typeEEEZNS1_34radix_sort_onesweep_global_offsetsIS3_Lb0EPiPS5_mNS0_19identity_decomposerEEE10hipError_tT1_T2_PT3_SE_jT4_jjP12ihipStream_tbEUlT_E0_NS1_11comp_targetILNS1_3genE3ELNS1_11target_archE908ELNS1_3gpuE7ELNS1_3repE0EEENS1_52radix_sort_onesweep_histogram_config_static_selectorELNS0_4arch9wavefront6targetE1EEEvSC_ ; -- Begin function _ZN7rocprim17ROCPRIM_400000_NS6detail17trampoline_kernelINS0_14default_configENS1_35radix_sort_onesweep_config_selectorIiNS0_10empty_typeEEEZNS1_34radix_sort_onesweep_global_offsetsIS3_Lb0EPiPS5_mNS0_19identity_decomposerEEE10hipError_tT1_T2_PT3_SE_jT4_jjP12ihipStream_tbEUlT_E0_NS1_11comp_targetILNS1_3genE3ELNS1_11target_archE908ELNS1_3gpuE7ELNS1_3repE0EEENS1_52radix_sort_onesweep_histogram_config_static_selectorELNS0_4arch9wavefront6targetE1EEEvSC_
	.globl	_ZN7rocprim17ROCPRIM_400000_NS6detail17trampoline_kernelINS0_14default_configENS1_35radix_sort_onesweep_config_selectorIiNS0_10empty_typeEEEZNS1_34radix_sort_onesweep_global_offsetsIS3_Lb0EPiPS5_mNS0_19identity_decomposerEEE10hipError_tT1_T2_PT3_SE_jT4_jjP12ihipStream_tbEUlT_E0_NS1_11comp_targetILNS1_3genE3ELNS1_11target_archE908ELNS1_3gpuE7ELNS1_3repE0EEENS1_52radix_sort_onesweep_histogram_config_static_selectorELNS0_4arch9wavefront6targetE1EEEvSC_
	.p2align	8
	.type	_ZN7rocprim17ROCPRIM_400000_NS6detail17trampoline_kernelINS0_14default_configENS1_35radix_sort_onesweep_config_selectorIiNS0_10empty_typeEEEZNS1_34radix_sort_onesweep_global_offsetsIS3_Lb0EPiPS5_mNS0_19identity_decomposerEEE10hipError_tT1_T2_PT3_SE_jT4_jjP12ihipStream_tbEUlT_E0_NS1_11comp_targetILNS1_3genE3ELNS1_11target_archE908ELNS1_3gpuE7ELNS1_3repE0EEENS1_52radix_sort_onesweep_histogram_config_static_selectorELNS0_4arch9wavefront6targetE1EEEvSC_,@function
_ZN7rocprim17ROCPRIM_400000_NS6detail17trampoline_kernelINS0_14default_configENS1_35radix_sort_onesweep_config_selectorIiNS0_10empty_typeEEEZNS1_34radix_sort_onesweep_global_offsetsIS3_Lb0EPiPS5_mNS0_19identity_decomposerEEE10hipError_tT1_T2_PT3_SE_jT4_jjP12ihipStream_tbEUlT_E0_NS1_11comp_targetILNS1_3genE3ELNS1_11target_archE908ELNS1_3gpuE7ELNS1_3repE0EEENS1_52radix_sort_onesweep_histogram_config_static_selectorELNS0_4arch9wavefront6targetE1EEEvSC_: ; @_ZN7rocprim17ROCPRIM_400000_NS6detail17trampoline_kernelINS0_14default_configENS1_35radix_sort_onesweep_config_selectorIiNS0_10empty_typeEEEZNS1_34radix_sort_onesweep_global_offsetsIS3_Lb0EPiPS5_mNS0_19identity_decomposerEEE10hipError_tT1_T2_PT3_SE_jT4_jjP12ihipStream_tbEUlT_E0_NS1_11comp_targetILNS1_3genE3ELNS1_11target_archE908ELNS1_3gpuE7ELNS1_3repE0EEENS1_52radix_sort_onesweep_histogram_config_static_selectorELNS0_4arch9wavefront6targetE1EEEvSC_
; %bb.0:
	.section	.rodata,"a",@progbits
	.p2align	6, 0x0
	.amdhsa_kernel _ZN7rocprim17ROCPRIM_400000_NS6detail17trampoline_kernelINS0_14default_configENS1_35radix_sort_onesweep_config_selectorIiNS0_10empty_typeEEEZNS1_34radix_sort_onesweep_global_offsetsIS3_Lb0EPiPS5_mNS0_19identity_decomposerEEE10hipError_tT1_T2_PT3_SE_jT4_jjP12ihipStream_tbEUlT_E0_NS1_11comp_targetILNS1_3genE3ELNS1_11target_archE908ELNS1_3gpuE7ELNS1_3repE0EEENS1_52radix_sort_onesweep_histogram_config_static_selectorELNS0_4arch9wavefront6targetE1EEEvSC_
		.amdhsa_group_segment_fixed_size 0
		.amdhsa_private_segment_fixed_size 0
		.amdhsa_kernarg_size 8
		.amdhsa_user_sgpr_count 6
		.amdhsa_user_sgpr_private_segment_buffer 1
		.amdhsa_user_sgpr_dispatch_ptr 0
		.amdhsa_user_sgpr_queue_ptr 0
		.amdhsa_user_sgpr_kernarg_segment_ptr 1
		.amdhsa_user_sgpr_dispatch_id 0
		.amdhsa_user_sgpr_flat_scratch_init 0
		.amdhsa_user_sgpr_kernarg_preload_length 0
		.amdhsa_user_sgpr_kernarg_preload_offset 0
		.amdhsa_user_sgpr_private_segment_size 0
		.amdhsa_uses_dynamic_stack 0
		.amdhsa_system_sgpr_private_segment_wavefront_offset 0
		.amdhsa_system_sgpr_workgroup_id_x 1
		.amdhsa_system_sgpr_workgroup_id_y 0
		.amdhsa_system_sgpr_workgroup_id_z 0
		.amdhsa_system_sgpr_workgroup_info 0
		.amdhsa_system_vgpr_workitem_id 0
		.amdhsa_next_free_vgpr 1
		.amdhsa_next_free_sgpr 0
		.amdhsa_accum_offset 4
		.amdhsa_reserve_vcc 0
		.amdhsa_reserve_flat_scratch 0
		.amdhsa_float_round_mode_32 0
		.amdhsa_float_round_mode_16_64 0
		.amdhsa_float_denorm_mode_32 3
		.amdhsa_float_denorm_mode_16_64 3
		.amdhsa_dx10_clamp 1
		.amdhsa_ieee_mode 1
		.amdhsa_fp16_overflow 0
		.amdhsa_tg_split 0
		.amdhsa_exception_fp_ieee_invalid_op 0
		.amdhsa_exception_fp_denorm_src 0
		.amdhsa_exception_fp_ieee_div_zero 0
		.amdhsa_exception_fp_ieee_overflow 0
		.amdhsa_exception_fp_ieee_underflow 0
		.amdhsa_exception_fp_ieee_inexact 0
		.amdhsa_exception_int_div_zero 0
	.end_amdhsa_kernel
	.section	.text._ZN7rocprim17ROCPRIM_400000_NS6detail17trampoline_kernelINS0_14default_configENS1_35radix_sort_onesweep_config_selectorIiNS0_10empty_typeEEEZNS1_34radix_sort_onesweep_global_offsetsIS3_Lb0EPiPS5_mNS0_19identity_decomposerEEE10hipError_tT1_T2_PT3_SE_jT4_jjP12ihipStream_tbEUlT_E0_NS1_11comp_targetILNS1_3genE3ELNS1_11target_archE908ELNS1_3gpuE7ELNS1_3repE0EEENS1_52radix_sort_onesweep_histogram_config_static_selectorELNS0_4arch9wavefront6targetE1EEEvSC_,"axG",@progbits,_ZN7rocprim17ROCPRIM_400000_NS6detail17trampoline_kernelINS0_14default_configENS1_35radix_sort_onesweep_config_selectorIiNS0_10empty_typeEEEZNS1_34radix_sort_onesweep_global_offsetsIS3_Lb0EPiPS5_mNS0_19identity_decomposerEEE10hipError_tT1_T2_PT3_SE_jT4_jjP12ihipStream_tbEUlT_E0_NS1_11comp_targetILNS1_3genE3ELNS1_11target_archE908ELNS1_3gpuE7ELNS1_3repE0EEENS1_52radix_sort_onesweep_histogram_config_static_selectorELNS0_4arch9wavefront6targetE1EEEvSC_,comdat
.Lfunc_end646:
	.size	_ZN7rocprim17ROCPRIM_400000_NS6detail17trampoline_kernelINS0_14default_configENS1_35radix_sort_onesweep_config_selectorIiNS0_10empty_typeEEEZNS1_34radix_sort_onesweep_global_offsetsIS3_Lb0EPiPS5_mNS0_19identity_decomposerEEE10hipError_tT1_T2_PT3_SE_jT4_jjP12ihipStream_tbEUlT_E0_NS1_11comp_targetILNS1_3genE3ELNS1_11target_archE908ELNS1_3gpuE7ELNS1_3repE0EEENS1_52radix_sort_onesweep_histogram_config_static_selectorELNS0_4arch9wavefront6targetE1EEEvSC_, .Lfunc_end646-_ZN7rocprim17ROCPRIM_400000_NS6detail17trampoline_kernelINS0_14default_configENS1_35radix_sort_onesweep_config_selectorIiNS0_10empty_typeEEEZNS1_34radix_sort_onesweep_global_offsetsIS3_Lb0EPiPS5_mNS0_19identity_decomposerEEE10hipError_tT1_T2_PT3_SE_jT4_jjP12ihipStream_tbEUlT_E0_NS1_11comp_targetILNS1_3genE3ELNS1_11target_archE908ELNS1_3gpuE7ELNS1_3repE0EEENS1_52radix_sort_onesweep_histogram_config_static_selectorELNS0_4arch9wavefront6targetE1EEEvSC_
                                        ; -- End function
	.section	.AMDGPU.csdata,"",@progbits
; Kernel info:
; codeLenInByte = 0
; NumSgprs: 4
; NumVgprs: 0
; NumAgprs: 0
; TotalNumVgprs: 0
; ScratchSize: 0
; MemoryBound: 0
; FloatMode: 240
; IeeeMode: 1
; LDSByteSize: 0 bytes/workgroup (compile time only)
; SGPRBlocks: 0
; VGPRBlocks: 0
; NumSGPRsForWavesPerEU: 4
; NumVGPRsForWavesPerEU: 1
; AccumOffset: 4
; Occupancy: 8
; WaveLimiterHint : 0
; COMPUTE_PGM_RSRC2:SCRATCH_EN: 0
; COMPUTE_PGM_RSRC2:USER_SGPR: 6
; COMPUTE_PGM_RSRC2:TRAP_HANDLER: 0
; COMPUTE_PGM_RSRC2:TGID_X_EN: 1
; COMPUTE_PGM_RSRC2:TGID_Y_EN: 0
; COMPUTE_PGM_RSRC2:TGID_Z_EN: 0
; COMPUTE_PGM_RSRC2:TIDIG_COMP_CNT: 0
; COMPUTE_PGM_RSRC3_GFX90A:ACCUM_OFFSET: 0
; COMPUTE_PGM_RSRC3_GFX90A:TG_SPLIT: 0
	.section	.text._ZN7rocprim17ROCPRIM_400000_NS6detail17trampoline_kernelINS0_14default_configENS1_35radix_sort_onesweep_config_selectorIiNS0_10empty_typeEEEZNS1_34radix_sort_onesweep_global_offsetsIS3_Lb0EPiPS5_mNS0_19identity_decomposerEEE10hipError_tT1_T2_PT3_SE_jT4_jjP12ihipStream_tbEUlT_E0_NS1_11comp_targetILNS1_3genE10ELNS1_11target_archE1201ELNS1_3gpuE5ELNS1_3repE0EEENS1_52radix_sort_onesweep_histogram_config_static_selectorELNS0_4arch9wavefront6targetE1EEEvSC_,"axG",@progbits,_ZN7rocprim17ROCPRIM_400000_NS6detail17trampoline_kernelINS0_14default_configENS1_35radix_sort_onesweep_config_selectorIiNS0_10empty_typeEEEZNS1_34radix_sort_onesweep_global_offsetsIS3_Lb0EPiPS5_mNS0_19identity_decomposerEEE10hipError_tT1_T2_PT3_SE_jT4_jjP12ihipStream_tbEUlT_E0_NS1_11comp_targetILNS1_3genE10ELNS1_11target_archE1201ELNS1_3gpuE5ELNS1_3repE0EEENS1_52radix_sort_onesweep_histogram_config_static_selectorELNS0_4arch9wavefront6targetE1EEEvSC_,comdat
	.protected	_ZN7rocprim17ROCPRIM_400000_NS6detail17trampoline_kernelINS0_14default_configENS1_35radix_sort_onesweep_config_selectorIiNS0_10empty_typeEEEZNS1_34radix_sort_onesweep_global_offsetsIS3_Lb0EPiPS5_mNS0_19identity_decomposerEEE10hipError_tT1_T2_PT3_SE_jT4_jjP12ihipStream_tbEUlT_E0_NS1_11comp_targetILNS1_3genE10ELNS1_11target_archE1201ELNS1_3gpuE5ELNS1_3repE0EEENS1_52radix_sort_onesweep_histogram_config_static_selectorELNS0_4arch9wavefront6targetE1EEEvSC_ ; -- Begin function _ZN7rocprim17ROCPRIM_400000_NS6detail17trampoline_kernelINS0_14default_configENS1_35radix_sort_onesweep_config_selectorIiNS0_10empty_typeEEEZNS1_34radix_sort_onesweep_global_offsetsIS3_Lb0EPiPS5_mNS0_19identity_decomposerEEE10hipError_tT1_T2_PT3_SE_jT4_jjP12ihipStream_tbEUlT_E0_NS1_11comp_targetILNS1_3genE10ELNS1_11target_archE1201ELNS1_3gpuE5ELNS1_3repE0EEENS1_52radix_sort_onesweep_histogram_config_static_selectorELNS0_4arch9wavefront6targetE1EEEvSC_
	.globl	_ZN7rocprim17ROCPRIM_400000_NS6detail17trampoline_kernelINS0_14default_configENS1_35radix_sort_onesweep_config_selectorIiNS0_10empty_typeEEEZNS1_34radix_sort_onesweep_global_offsetsIS3_Lb0EPiPS5_mNS0_19identity_decomposerEEE10hipError_tT1_T2_PT3_SE_jT4_jjP12ihipStream_tbEUlT_E0_NS1_11comp_targetILNS1_3genE10ELNS1_11target_archE1201ELNS1_3gpuE5ELNS1_3repE0EEENS1_52radix_sort_onesweep_histogram_config_static_selectorELNS0_4arch9wavefront6targetE1EEEvSC_
	.p2align	8
	.type	_ZN7rocprim17ROCPRIM_400000_NS6detail17trampoline_kernelINS0_14default_configENS1_35radix_sort_onesweep_config_selectorIiNS0_10empty_typeEEEZNS1_34radix_sort_onesweep_global_offsetsIS3_Lb0EPiPS5_mNS0_19identity_decomposerEEE10hipError_tT1_T2_PT3_SE_jT4_jjP12ihipStream_tbEUlT_E0_NS1_11comp_targetILNS1_3genE10ELNS1_11target_archE1201ELNS1_3gpuE5ELNS1_3repE0EEENS1_52radix_sort_onesweep_histogram_config_static_selectorELNS0_4arch9wavefront6targetE1EEEvSC_,@function
_ZN7rocprim17ROCPRIM_400000_NS6detail17trampoline_kernelINS0_14default_configENS1_35radix_sort_onesweep_config_selectorIiNS0_10empty_typeEEEZNS1_34radix_sort_onesweep_global_offsetsIS3_Lb0EPiPS5_mNS0_19identity_decomposerEEE10hipError_tT1_T2_PT3_SE_jT4_jjP12ihipStream_tbEUlT_E0_NS1_11comp_targetILNS1_3genE10ELNS1_11target_archE1201ELNS1_3gpuE5ELNS1_3repE0EEENS1_52radix_sort_onesweep_histogram_config_static_selectorELNS0_4arch9wavefront6targetE1EEEvSC_: ; @_ZN7rocprim17ROCPRIM_400000_NS6detail17trampoline_kernelINS0_14default_configENS1_35radix_sort_onesweep_config_selectorIiNS0_10empty_typeEEEZNS1_34radix_sort_onesweep_global_offsetsIS3_Lb0EPiPS5_mNS0_19identity_decomposerEEE10hipError_tT1_T2_PT3_SE_jT4_jjP12ihipStream_tbEUlT_E0_NS1_11comp_targetILNS1_3genE10ELNS1_11target_archE1201ELNS1_3gpuE5ELNS1_3repE0EEENS1_52radix_sort_onesweep_histogram_config_static_selectorELNS0_4arch9wavefront6targetE1EEEvSC_
; %bb.0:
	.section	.rodata,"a",@progbits
	.p2align	6, 0x0
	.amdhsa_kernel _ZN7rocprim17ROCPRIM_400000_NS6detail17trampoline_kernelINS0_14default_configENS1_35radix_sort_onesweep_config_selectorIiNS0_10empty_typeEEEZNS1_34radix_sort_onesweep_global_offsetsIS3_Lb0EPiPS5_mNS0_19identity_decomposerEEE10hipError_tT1_T2_PT3_SE_jT4_jjP12ihipStream_tbEUlT_E0_NS1_11comp_targetILNS1_3genE10ELNS1_11target_archE1201ELNS1_3gpuE5ELNS1_3repE0EEENS1_52radix_sort_onesweep_histogram_config_static_selectorELNS0_4arch9wavefront6targetE1EEEvSC_
		.amdhsa_group_segment_fixed_size 0
		.amdhsa_private_segment_fixed_size 0
		.amdhsa_kernarg_size 8
		.amdhsa_user_sgpr_count 6
		.amdhsa_user_sgpr_private_segment_buffer 1
		.amdhsa_user_sgpr_dispatch_ptr 0
		.amdhsa_user_sgpr_queue_ptr 0
		.amdhsa_user_sgpr_kernarg_segment_ptr 1
		.amdhsa_user_sgpr_dispatch_id 0
		.amdhsa_user_sgpr_flat_scratch_init 0
		.amdhsa_user_sgpr_kernarg_preload_length 0
		.amdhsa_user_sgpr_kernarg_preload_offset 0
		.amdhsa_user_sgpr_private_segment_size 0
		.amdhsa_uses_dynamic_stack 0
		.amdhsa_system_sgpr_private_segment_wavefront_offset 0
		.amdhsa_system_sgpr_workgroup_id_x 1
		.amdhsa_system_sgpr_workgroup_id_y 0
		.amdhsa_system_sgpr_workgroup_id_z 0
		.amdhsa_system_sgpr_workgroup_info 0
		.amdhsa_system_vgpr_workitem_id 0
		.amdhsa_next_free_vgpr 1
		.amdhsa_next_free_sgpr 0
		.amdhsa_accum_offset 4
		.amdhsa_reserve_vcc 0
		.amdhsa_reserve_flat_scratch 0
		.amdhsa_float_round_mode_32 0
		.amdhsa_float_round_mode_16_64 0
		.amdhsa_float_denorm_mode_32 3
		.amdhsa_float_denorm_mode_16_64 3
		.amdhsa_dx10_clamp 1
		.amdhsa_ieee_mode 1
		.amdhsa_fp16_overflow 0
		.amdhsa_tg_split 0
		.amdhsa_exception_fp_ieee_invalid_op 0
		.amdhsa_exception_fp_denorm_src 0
		.amdhsa_exception_fp_ieee_div_zero 0
		.amdhsa_exception_fp_ieee_overflow 0
		.amdhsa_exception_fp_ieee_underflow 0
		.amdhsa_exception_fp_ieee_inexact 0
		.amdhsa_exception_int_div_zero 0
	.end_amdhsa_kernel
	.section	.text._ZN7rocprim17ROCPRIM_400000_NS6detail17trampoline_kernelINS0_14default_configENS1_35radix_sort_onesweep_config_selectorIiNS0_10empty_typeEEEZNS1_34radix_sort_onesweep_global_offsetsIS3_Lb0EPiPS5_mNS0_19identity_decomposerEEE10hipError_tT1_T2_PT3_SE_jT4_jjP12ihipStream_tbEUlT_E0_NS1_11comp_targetILNS1_3genE10ELNS1_11target_archE1201ELNS1_3gpuE5ELNS1_3repE0EEENS1_52radix_sort_onesweep_histogram_config_static_selectorELNS0_4arch9wavefront6targetE1EEEvSC_,"axG",@progbits,_ZN7rocprim17ROCPRIM_400000_NS6detail17trampoline_kernelINS0_14default_configENS1_35radix_sort_onesweep_config_selectorIiNS0_10empty_typeEEEZNS1_34radix_sort_onesweep_global_offsetsIS3_Lb0EPiPS5_mNS0_19identity_decomposerEEE10hipError_tT1_T2_PT3_SE_jT4_jjP12ihipStream_tbEUlT_E0_NS1_11comp_targetILNS1_3genE10ELNS1_11target_archE1201ELNS1_3gpuE5ELNS1_3repE0EEENS1_52radix_sort_onesweep_histogram_config_static_selectorELNS0_4arch9wavefront6targetE1EEEvSC_,comdat
.Lfunc_end647:
	.size	_ZN7rocprim17ROCPRIM_400000_NS6detail17trampoline_kernelINS0_14default_configENS1_35radix_sort_onesweep_config_selectorIiNS0_10empty_typeEEEZNS1_34radix_sort_onesweep_global_offsetsIS3_Lb0EPiPS5_mNS0_19identity_decomposerEEE10hipError_tT1_T2_PT3_SE_jT4_jjP12ihipStream_tbEUlT_E0_NS1_11comp_targetILNS1_3genE10ELNS1_11target_archE1201ELNS1_3gpuE5ELNS1_3repE0EEENS1_52radix_sort_onesweep_histogram_config_static_selectorELNS0_4arch9wavefront6targetE1EEEvSC_, .Lfunc_end647-_ZN7rocprim17ROCPRIM_400000_NS6detail17trampoline_kernelINS0_14default_configENS1_35radix_sort_onesweep_config_selectorIiNS0_10empty_typeEEEZNS1_34radix_sort_onesweep_global_offsetsIS3_Lb0EPiPS5_mNS0_19identity_decomposerEEE10hipError_tT1_T2_PT3_SE_jT4_jjP12ihipStream_tbEUlT_E0_NS1_11comp_targetILNS1_3genE10ELNS1_11target_archE1201ELNS1_3gpuE5ELNS1_3repE0EEENS1_52radix_sort_onesweep_histogram_config_static_selectorELNS0_4arch9wavefront6targetE1EEEvSC_
                                        ; -- End function
	.section	.AMDGPU.csdata,"",@progbits
; Kernel info:
; codeLenInByte = 0
; NumSgprs: 4
; NumVgprs: 0
; NumAgprs: 0
; TotalNumVgprs: 0
; ScratchSize: 0
; MemoryBound: 0
; FloatMode: 240
; IeeeMode: 1
; LDSByteSize: 0 bytes/workgroup (compile time only)
; SGPRBlocks: 0
; VGPRBlocks: 0
; NumSGPRsForWavesPerEU: 4
; NumVGPRsForWavesPerEU: 1
; AccumOffset: 4
; Occupancy: 8
; WaveLimiterHint : 0
; COMPUTE_PGM_RSRC2:SCRATCH_EN: 0
; COMPUTE_PGM_RSRC2:USER_SGPR: 6
; COMPUTE_PGM_RSRC2:TRAP_HANDLER: 0
; COMPUTE_PGM_RSRC2:TGID_X_EN: 1
; COMPUTE_PGM_RSRC2:TGID_Y_EN: 0
; COMPUTE_PGM_RSRC2:TGID_Z_EN: 0
; COMPUTE_PGM_RSRC2:TIDIG_COMP_CNT: 0
; COMPUTE_PGM_RSRC3_GFX90A:ACCUM_OFFSET: 0
; COMPUTE_PGM_RSRC3_GFX90A:TG_SPLIT: 0
	.section	.text._ZN7rocprim17ROCPRIM_400000_NS6detail17trampoline_kernelINS0_14default_configENS1_35radix_sort_onesweep_config_selectorIiNS0_10empty_typeEEEZNS1_34radix_sort_onesweep_global_offsetsIS3_Lb0EPiPS5_mNS0_19identity_decomposerEEE10hipError_tT1_T2_PT3_SE_jT4_jjP12ihipStream_tbEUlT_E0_NS1_11comp_targetILNS1_3genE9ELNS1_11target_archE1100ELNS1_3gpuE3ELNS1_3repE0EEENS1_52radix_sort_onesweep_histogram_config_static_selectorELNS0_4arch9wavefront6targetE1EEEvSC_,"axG",@progbits,_ZN7rocprim17ROCPRIM_400000_NS6detail17trampoline_kernelINS0_14default_configENS1_35radix_sort_onesweep_config_selectorIiNS0_10empty_typeEEEZNS1_34radix_sort_onesweep_global_offsetsIS3_Lb0EPiPS5_mNS0_19identity_decomposerEEE10hipError_tT1_T2_PT3_SE_jT4_jjP12ihipStream_tbEUlT_E0_NS1_11comp_targetILNS1_3genE9ELNS1_11target_archE1100ELNS1_3gpuE3ELNS1_3repE0EEENS1_52radix_sort_onesweep_histogram_config_static_selectorELNS0_4arch9wavefront6targetE1EEEvSC_,comdat
	.protected	_ZN7rocprim17ROCPRIM_400000_NS6detail17trampoline_kernelINS0_14default_configENS1_35radix_sort_onesweep_config_selectorIiNS0_10empty_typeEEEZNS1_34radix_sort_onesweep_global_offsetsIS3_Lb0EPiPS5_mNS0_19identity_decomposerEEE10hipError_tT1_T2_PT3_SE_jT4_jjP12ihipStream_tbEUlT_E0_NS1_11comp_targetILNS1_3genE9ELNS1_11target_archE1100ELNS1_3gpuE3ELNS1_3repE0EEENS1_52radix_sort_onesweep_histogram_config_static_selectorELNS0_4arch9wavefront6targetE1EEEvSC_ ; -- Begin function _ZN7rocprim17ROCPRIM_400000_NS6detail17trampoline_kernelINS0_14default_configENS1_35radix_sort_onesweep_config_selectorIiNS0_10empty_typeEEEZNS1_34radix_sort_onesweep_global_offsetsIS3_Lb0EPiPS5_mNS0_19identity_decomposerEEE10hipError_tT1_T2_PT3_SE_jT4_jjP12ihipStream_tbEUlT_E0_NS1_11comp_targetILNS1_3genE9ELNS1_11target_archE1100ELNS1_3gpuE3ELNS1_3repE0EEENS1_52radix_sort_onesweep_histogram_config_static_selectorELNS0_4arch9wavefront6targetE1EEEvSC_
	.globl	_ZN7rocprim17ROCPRIM_400000_NS6detail17trampoline_kernelINS0_14default_configENS1_35radix_sort_onesweep_config_selectorIiNS0_10empty_typeEEEZNS1_34radix_sort_onesweep_global_offsetsIS3_Lb0EPiPS5_mNS0_19identity_decomposerEEE10hipError_tT1_T2_PT3_SE_jT4_jjP12ihipStream_tbEUlT_E0_NS1_11comp_targetILNS1_3genE9ELNS1_11target_archE1100ELNS1_3gpuE3ELNS1_3repE0EEENS1_52radix_sort_onesweep_histogram_config_static_selectorELNS0_4arch9wavefront6targetE1EEEvSC_
	.p2align	8
	.type	_ZN7rocprim17ROCPRIM_400000_NS6detail17trampoline_kernelINS0_14default_configENS1_35radix_sort_onesweep_config_selectorIiNS0_10empty_typeEEEZNS1_34radix_sort_onesweep_global_offsetsIS3_Lb0EPiPS5_mNS0_19identity_decomposerEEE10hipError_tT1_T2_PT3_SE_jT4_jjP12ihipStream_tbEUlT_E0_NS1_11comp_targetILNS1_3genE9ELNS1_11target_archE1100ELNS1_3gpuE3ELNS1_3repE0EEENS1_52radix_sort_onesweep_histogram_config_static_selectorELNS0_4arch9wavefront6targetE1EEEvSC_,@function
_ZN7rocprim17ROCPRIM_400000_NS6detail17trampoline_kernelINS0_14default_configENS1_35radix_sort_onesweep_config_selectorIiNS0_10empty_typeEEEZNS1_34radix_sort_onesweep_global_offsetsIS3_Lb0EPiPS5_mNS0_19identity_decomposerEEE10hipError_tT1_T2_PT3_SE_jT4_jjP12ihipStream_tbEUlT_E0_NS1_11comp_targetILNS1_3genE9ELNS1_11target_archE1100ELNS1_3gpuE3ELNS1_3repE0EEENS1_52radix_sort_onesweep_histogram_config_static_selectorELNS0_4arch9wavefront6targetE1EEEvSC_: ; @_ZN7rocprim17ROCPRIM_400000_NS6detail17trampoline_kernelINS0_14default_configENS1_35radix_sort_onesweep_config_selectorIiNS0_10empty_typeEEEZNS1_34radix_sort_onesweep_global_offsetsIS3_Lb0EPiPS5_mNS0_19identity_decomposerEEE10hipError_tT1_T2_PT3_SE_jT4_jjP12ihipStream_tbEUlT_E0_NS1_11comp_targetILNS1_3genE9ELNS1_11target_archE1100ELNS1_3gpuE3ELNS1_3repE0EEENS1_52radix_sort_onesweep_histogram_config_static_selectorELNS0_4arch9wavefront6targetE1EEEvSC_
; %bb.0:
	.section	.rodata,"a",@progbits
	.p2align	6, 0x0
	.amdhsa_kernel _ZN7rocprim17ROCPRIM_400000_NS6detail17trampoline_kernelINS0_14default_configENS1_35radix_sort_onesweep_config_selectorIiNS0_10empty_typeEEEZNS1_34radix_sort_onesweep_global_offsetsIS3_Lb0EPiPS5_mNS0_19identity_decomposerEEE10hipError_tT1_T2_PT3_SE_jT4_jjP12ihipStream_tbEUlT_E0_NS1_11comp_targetILNS1_3genE9ELNS1_11target_archE1100ELNS1_3gpuE3ELNS1_3repE0EEENS1_52radix_sort_onesweep_histogram_config_static_selectorELNS0_4arch9wavefront6targetE1EEEvSC_
		.amdhsa_group_segment_fixed_size 0
		.amdhsa_private_segment_fixed_size 0
		.amdhsa_kernarg_size 8
		.amdhsa_user_sgpr_count 6
		.amdhsa_user_sgpr_private_segment_buffer 1
		.amdhsa_user_sgpr_dispatch_ptr 0
		.amdhsa_user_sgpr_queue_ptr 0
		.amdhsa_user_sgpr_kernarg_segment_ptr 1
		.amdhsa_user_sgpr_dispatch_id 0
		.amdhsa_user_sgpr_flat_scratch_init 0
		.amdhsa_user_sgpr_kernarg_preload_length 0
		.amdhsa_user_sgpr_kernarg_preload_offset 0
		.amdhsa_user_sgpr_private_segment_size 0
		.amdhsa_uses_dynamic_stack 0
		.amdhsa_system_sgpr_private_segment_wavefront_offset 0
		.amdhsa_system_sgpr_workgroup_id_x 1
		.amdhsa_system_sgpr_workgroup_id_y 0
		.amdhsa_system_sgpr_workgroup_id_z 0
		.amdhsa_system_sgpr_workgroup_info 0
		.amdhsa_system_vgpr_workitem_id 0
		.amdhsa_next_free_vgpr 1
		.amdhsa_next_free_sgpr 0
		.amdhsa_accum_offset 4
		.amdhsa_reserve_vcc 0
		.amdhsa_reserve_flat_scratch 0
		.amdhsa_float_round_mode_32 0
		.amdhsa_float_round_mode_16_64 0
		.amdhsa_float_denorm_mode_32 3
		.amdhsa_float_denorm_mode_16_64 3
		.amdhsa_dx10_clamp 1
		.amdhsa_ieee_mode 1
		.amdhsa_fp16_overflow 0
		.amdhsa_tg_split 0
		.amdhsa_exception_fp_ieee_invalid_op 0
		.amdhsa_exception_fp_denorm_src 0
		.amdhsa_exception_fp_ieee_div_zero 0
		.amdhsa_exception_fp_ieee_overflow 0
		.amdhsa_exception_fp_ieee_underflow 0
		.amdhsa_exception_fp_ieee_inexact 0
		.amdhsa_exception_int_div_zero 0
	.end_amdhsa_kernel
	.section	.text._ZN7rocprim17ROCPRIM_400000_NS6detail17trampoline_kernelINS0_14default_configENS1_35radix_sort_onesweep_config_selectorIiNS0_10empty_typeEEEZNS1_34radix_sort_onesweep_global_offsetsIS3_Lb0EPiPS5_mNS0_19identity_decomposerEEE10hipError_tT1_T2_PT3_SE_jT4_jjP12ihipStream_tbEUlT_E0_NS1_11comp_targetILNS1_3genE9ELNS1_11target_archE1100ELNS1_3gpuE3ELNS1_3repE0EEENS1_52radix_sort_onesweep_histogram_config_static_selectorELNS0_4arch9wavefront6targetE1EEEvSC_,"axG",@progbits,_ZN7rocprim17ROCPRIM_400000_NS6detail17trampoline_kernelINS0_14default_configENS1_35radix_sort_onesweep_config_selectorIiNS0_10empty_typeEEEZNS1_34radix_sort_onesweep_global_offsetsIS3_Lb0EPiPS5_mNS0_19identity_decomposerEEE10hipError_tT1_T2_PT3_SE_jT4_jjP12ihipStream_tbEUlT_E0_NS1_11comp_targetILNS1_3genE9ELNS1_11target_archE1100ELNS1_3gpuE3ELNS1_3repE0EEENS1_52radix_sort_onesweep_histogram_config_static_selectorELNS0_4arch9wavefront6targetE1EEEvSC_,comdat
.Lfunc_end648:
	.size	_ZN7rocprim17ROCPRIM_400000_NS6detail17trampoline_kernelINS0_14default_configENS1_35radix_sort_onesweep_config_selectorIiNS0_10empty_typeEEEZNS1_34radix_sort_onesweep_global_offsetsIS3_Lb0EPiPS5_mNS0_19identity_decomposerEEE10hipError_tT1_T2_PT3_SE_jT4_jjP12ihipStream_tbEUlT_E0_NS1_11comp_targetILNS1_3genE9ELNS1_11target_archE1100ELNS1_3gpuE3ELNS1_3repE0EEENS1_52radix_sort_onesweep_histogram_config_static_selectorELNS0_4arch9wavefront6targetE1EEEvSC_, .Lfunc_end648-_ZN7rocprim17ROCPRIM_400000_NS6detail17trampoline_kernelINS0_14default_configENS1_35radix_sort_onesweep_config_selectorIiNS0_10empty_typeEEEZNS1_34radix_sort_onesweep_global_offsetsIS3_Lb0EPiPS5_mNS0_19identity_decomposerEEE10hipError_tT1_T2_PT3_SE_jT4_jjP12ihipStream_tbEUlT_E0_NS1_11comp_targetILNS1_3genE9ELNS1_11target_archE1100ELNS1_3gpuE3ELNS1_3repE0EEENS1_52radix_sort_onesweep_histogram_config_static_selectorELNS0_4arch9wavefront6targetE1EEEvSC_
                                        ; -- End function
	.section	.AMDGPU.csdata,"",@progbits
; Kernel info:
; codeLenInByte = 0
; NumSgprs: 4
; NumVgprs: 0
; NumAgprs: 0
; TotalNumVgprs: 0
; ScratchSize: 0
; MemoryBound: 0
; FloatMode: 240
; IeeeMode: 1
; LDSByteSize: 0 bytes/workgroup (compile time only)
; SGPRBlocks: 0
; VGPRBlocks: 0
; NumSGPRsForWavesPerEU: 4
; NumVGPRsForWavesPerEU: 1
; AccumOffset: 4
; Occupancy: 8
; WaveLimiterHint : 0
; COMPUTE_PGM_RSRC2:SCRATCH_EN: 0
; COMPUTE_PGM_RSRC2:USER_SGPR: 6
; COMPUTE_PGM_RSRC2:TRAP_HANDLER: 0
; COMPUTE_PGM_RSRC2:TGID_X_EN: 1
; COMPUTE_PGM_RSRC2:TGID_Y_EN: 0
; COMPUTE_PGM_RSRC2:TGID_Z_EN: 0
; COMPUTE_PGM_RSRC2:TIDIG_COMP_CNT: 0
; COMPUTE_PGM_RSRC3_GFX90A:ACCUM_OFFSET: 0
; COMPUTE_PGM_RSRC3_GFX90A:TG_SPLIT: 0
	.section	.text._ZN7rocprim17ROCPRIM_400000_NS6detail17trampoline_kernelINS0_14default_configENS1_35radix_sort_onesweep_config_selectorIiNS0_10empty_typeEEEZNS1_34radix_sort_onesweep_global_offsetsIS3_Lb0EPiPS5_mNS0_19identity_decomposerEEE10hipError_tT1_T2_PT3_SE_jT4_jjP12ihipStream_tbEUlT_E0_NS1_11comp_targetILNS1_3genE8ELNS1_11target_archE1030ELNS1_3gpuE2ELNS1_3repE0EEENS1_52radix_sort_onesweep_histogram_config_static_selectorELNS0_4arch9wavefront6targetE1EEEvSC_,"axG",@progbits,_ZN7rocprim17ROCPRIM_400000_NS6detail17trampoline_kernelINS0_14default_configENS1_35radix_sort_onesweep_config_selectorIiNS0_10empty_typeEEEZNS1_34radix_sort_onesweep_global_offsetsIS3_Lb0EPiPS5_mNS0_19identity_decomposerEEE10hipError_tT1_T2_PT3_SE_jT4_jjP12ihipStream_tbEUlT_E0_NS1_11comp_targetILNS1_3genE8ELNS1_11target_archE1030ELNS1_3gpuE2ELNS1_3repE0EEENS1_52radix_sort_onesweep_histogram_config_static_selectorELNS0_4arch9wavefront6targetE1EEEvSC_,comdat
	.protected	_ZN7rocprim17ROCPRIM_400000_NS6detail17trampoline_kernelINS0_14default_configENS1_35radix_sort_onesweep_config_selectorIiNS0_10empty_typeEEEZNS1_34radix_sort_onesweep_global_offsetsIS3_Lb0EPiPS5_mNS0_19identity_decomposerEEE10hipError_tT1_T2_PT3_SE_jT4_jjP12ihipStream_tbEUlT_E0_NS1_11comp_targetILNS1_3genE8ELNS1_11target_archE1030ELNS1_3gpuE2ELNS1_3repE0EEENS1_52radix_sort_onesweep_histogram_config_static_selectorELNS0_4arch9wavefront6targetE1EEEvSC_ ; -- Begin function _ZN7rocprim17ROCPRIM_400000_NS6detail17trampoline_kernelINS0_14default_configENS1_35radix_sort_onesweep_config_selectorIiNS0_10empty_typeEEEZNS1_34radix_sort_onesweep_global_offsetsIS3_Lb0EPiPS5_mNS0_19identity_decomposerEEE10hipError_tT1_T2_PT3_SE_jT4_jjP12ihipStream_tbEUlT_E0_NS1_11comp_targetILNS1_3genE8ELNS1_11target_archE1030ELNS1_3gpuE2ELNS1_3repE0EEENS1_52radix_sort_onesweep_histogram_config_static_selectorELNS0_4arch9wavefront6targetE1EEEvSC_
	.globl	_ZN7rocprim17ROCPRIM_400000_NS6detail17trampoline_kernelINS0_14default_configENS1_35radix_sort_onesweep_config_selectorIiNS0_10empty_typeEEEZNS1_34radix_sort_onesweep_global_offsetsIS3_Lb0EPiPS5_mNS0_19identity_decomposerEEE10hipError_tT1_T2_PT3_SE_jT4_jjP12ihipStream_tbEUlT_E0_NS1_11comp_targetILNS1_3genE8ELNS1_11target_archE1030ELNS1_3gpuE2ELNS1_3repE0EEENS1_52radix_sort_onesweep_histogram_config_static_selectorELNS0_4arch9wavefront6targetE1EEEvSC_
	.p2align	8
	.type	_ZN7rocprim17ROCPRIM_400000_NS6detail17trampoline_kernelINS0_14default_configENS1_35radix_sort_onesweep_config_selectorIiNS0_10empty_typeEEEZNS1_34radix_sort_onesweep_global_offsetsIS3_Lb0EPiPS5_mNS0_19identity_decomposerEEE10hipError_tT1_T2_PT3_SE_jT4_jjP12ihipStream_tbEUlT_E0_NS1_11comp_targetILNS1_3genE8ELNS1_11target_archE1030ELNS1_3gpuE2ELNS1_3repE0EEENS1_52radix_sort_onesweep_histogram_config_static_selectorELNS0_4arch9wavefront6targetE1EEEvSC_,@function
_ZN7rocprim17ROCPRIM_400000_NS6detail17trampoline_kernelINS0_14default_configENS1_35radix_sort_onesweep_config_selectorIiNS0_10empty_typeEEEZNS1_34radix_sort_onesweep_global_offsetsIS3_Lb0EPiPS5_mNS0_19identity_decomposerEEE10hipError_tT1_T2_PT3_SE_jT4_jjP12ihipStream_tbEUlT_E0_NS1_11comp_targetILNS1_3genE8ELNS1_11target_archE1030ELNS1_3gpuE2ELNS1_3repE0EEENS1_52radix_sort_onesweep_histogram_config_static_selectorELNS0_4arch9wavefront6targetE1EEEvSC_: ; @_ZN7rocprim17ROCPRIM_400000_NS6detail17trampoline_kernelINS0_14default_configENS1_35radix_sort_onesweep_config_selectorIiNS0_10empty_typeEEEZNS1_34radix_sort_onesweep_global_offsetsIS3_Lb0EPiPS5_mNS0_19identity_decomposerEEE10hipError_tT1_T2_PT3_SE_jT4_jjP12ihipStream_tbEUlT_E0_NS1_11comp_targetILNS1_3genE8ELNS1_11target_archE1030ELNS1_3gpuE2ELNS1_3repE0EEENS1_52radix_sort_onesweep_histogram_config_static_selectorELNS0_4arch9wavefront6targetE1EEEvSC_
; %bb.0:
	.section	.rodata,"a",@progbits
	.p2align	6, 0x0
	.amdhsa_kernel _ZN7rocprim17ROCPRIM_400000_NS6detail17trampoline_kernelINS0_14default_configENS1_35radix_sort_onesweep_config_selectorIiNS0_10empty_typeEEEZNS1_34radix_sort_onesweep_global_offsetsIS3_Lb0EPiPS5_mNS0_19identity_decomposerEEE10hipError_tT1_T2_PT3_SE_jT4_jjP12ihipStream_tbEUlT_E0_NS1_11comp_targetILNS1_3genE8ELNS1_11target_archE1030ELNS1_3gpuE2ELNS1_3repE0EEENS1_52radix_sort_onesweep_histogram_config_static_selectorELNS0_4arch9wavefront6targetE1EEEvSC_
		.amdhsa_group_segment_fixed_size 0
		.amdhsa_private_segment_fixed_size 0
		.amdhsa_kernarg_size 8
		.amdhsa_user_sgpr_count 6
		.amdhsa_user_sgpr_private_segment_buffer 1
		.amdhsa_user_sgpr_dispatch_ptr 0
		.amdhsa_user_sgpr_queue_ptr 0
		.amdhsa_user_sgpr_kernarg_segment_ptr 1
		.amdhsa_user_sgpr_dispatch_id 0
		.amdhsa_user_sgpr_flat_scratch_init 0
		.amdhsa_user_sgpr_kernarg_preload_length 0
		.amdhsa_user_sgpr_kernarg_preload_offset 0
		.amdhsa_user_sgpr_private_segment_size 0
		.amdhsa_uses_dynamic_stack 0
		.amdhsa_system_sgpr_private_segment_wavefront_offset 0
		.amdhsa_system_sgpr_workgroup_id_x 1
		.amdhsa_system_sgpr_workgroup_id_y 0
		.amdhsa_system_sgpr_workgroup_id_z 0
		.amdhsa_system_sgpr_workgroup_info 0
		.amdhsa_system_vgpr_workitem_id 0
		.amdhsa_next_free_vgpr 1
		.amdhsa_next_free_sgpr 0
		.amdhsa_accum_offset 4
		.amdhsa_reserve_vcc 0
		.amdhsa_reserve_flat_scratch 0
		.amdhsa_float_round_mode_32 0
		.amdhsa_float_round_mode_16_64 0
		.amdhsa_float_denorm_mode_32 3
		.amdhsa_float_denorm_mode_16_64 3
		.amdhsa_dx10_clamp 1
		.amdhsa_ieee_mode 1
		.amdhsa_fp16_overflow 0
		.amdhsa_tg_split 0
		.amdhsa_exception_fp_ieee_invalid_op 0
		.amdhsa_exception_fp_denorm_src 0
		.amdhsa_exception_fp_ieee_div_zero 0
		.amdhsa_exception_fp_ieee_overflow 0
		.amdhsa_exception_fp_ieee_underflow 0
		.amdhsa_exception_fp_ieee_inexact 0
		.amdhsa_exception_int_div_zero 0
	.end_amdhsa_kernel
	.section	.text._ZN7rocprim17ROCPRIM_400000_NS6detail17trampoline_kernelINS0_14default_configENS1_35radix_sort_onesweep_config_selectorIiNS0_10empty_typeEEEZNS1_34radix_sort_onesweep_global_offsetsIS3_Lb0EPiPS5_mNS0_19identity_decomposerEEE10hipError_tT1_T2_PT3_SE_jT4_jjP12ihipStream_tbEUlT_E0_NS1_11comp_targetILNS1_3genE8ELNS1_11target_archE1030ELNS1_3gpuE2ELNS1_3repE0EEENS1_52radix_sort_onesweep_histogram_config_static_selectorELNS0_4arch9wavefront6targetE1EEEvSC_,"axG",@progbits,_ZN7rocprim17ROCPRIM_400000_NS6detail17trampoline_kernelINS0_14default_configENS1_35radix_sort_onesweep_config_selectorIiNS0_10empty_typeEEEZNS1_34radix_sort_onesweep_global_offsetsIS3_Lb0EPiPS5_mNS0_19identity_decomposerEEE10hipError_tT1_T2_PT3_SE_jT4_jjP12ihipStream_tbEUlT_E0_NS1_11comp_targetILNS1_3genE8ELNS1_11target_archE1030ELNS1_3gpuE2ELNS1_3repE0EEENS1_52radix_sort_onesweep_histogram_config_static_selectorELNS0_4arch9wavefront6targetE1EEEvSC_,comdat
.Lfunc_end649:
	.size	_ZN7rocprim17ROCPRIM_400000_NS6detail17trampoline_kernelINS0_14default_configENS1_35radix_sort_onesweep_config_selectorIiNS0_10empty_typeEEEZNS1_34radix_sort_onesweep_global_offsetsIS3_Lb0EPiPS5_mNS0_19identity_decomposerEEE10hipError_tT1_T2_PT3_SE_jT4_jjP12ihipStream_tbEUlT_E0_NS1_11comp_targetILNS1_3genE8ELNS1_11target_archE1030ELNS1_3gpuE2ELNS1_3repE0EEENS1_52radix_sort_onesweep_histogram_config_static_selectorELNS0_4arch9wavefront6targetE1EEEvSC_, .Lfunc_end649-_ZN7rocprim17ROCPRIM_400000_NS6detail17trampoline_kernelINS0_14default_configENS1_35radix_sort_onesweep_config_selectorIiNS0_10empty_typeEEEZNS1_34radix_sort_onesweep_global_offsetsIS3_Lb0EPiPS5_mNS0_19identity_decomposerEEE10hipError_tT1_T2_PT3_SE_jT4_jjP12ihipStream_tbEUlT_E0_NS1_11comp_targetILNS1_3genE8ELNS1_11target_archE1030ELNS1_3gpuE2ELNS1_3repE0EEENS1_52radix_sort_onesweep_histogram_config_static_selectorELNS0_4arch9wavefront6targetE1EEEvSC_
                                        ; -- End function
	.section	.AMDGPU.csdata,"",@progbits
; Kernel info:
; codeLenInByte = 0
; NumSgprs: 4
; NumVgprs: 0
; NumAgprs: 0
; TotalNumVgprs: 0
; ScratchSize: 0
; MemoryBound: 0
; FloatMode: 240
; IeeeMode: 1
; LDSByteSize: 0 bytes/workgroup (compile time only)
; SGPRBlocks: 0
; VGPRBlocks: 0
; NumSGPRsForWavesPerEU: 4
; NumVGPRsForWavesPerEU: 1
; AccumOffset: 4
; Occupancy: 8
; WaveLimiterHint : 0
; COMPUTE_PGM_RSRC2:SCRATCH_EN: 0
; COMPUTE_PGM_RSRC2:USER_SGPR: 6
; COMPUTE_PGM_RSRC2:TRAP_HANDLER: 0
; COMPUTE_PGM_RSRC2:TGID_X_EN: 1
; COMPUTE_PGM_RSRC2:TGID_Y_EN: 0
; COMPUTE_PGM_RSRC2:TGID_Z_EN: 0
; COMPUTE_PGM_RSRC2:TIDIG_COMP_CNT: 0
; COMPUTE_PGM_RSRC3_GFX90A:ACCUM_OFFSET: 0
; COMPUTE_PGM_RSRC3_GFX90A:TG_SPLIT: 0
	.section	.text._ZN7rocprim17ROCPRIM_400000_NS6detail17trampoline_kernelINS0_14default_configENS1_35radix_sort_onesweep_config_selectorIiNS0_10empty_typeEEEZZNS1_29radix_sort_onesweep_iterationIS3_Lb0EPiS8_PS5_S9_mNS0_19identity_decomposerENS1_16block_id_wrapperIjLb1EEEEE10hipError_tT1_PNSt15iterator_traitsISE_E10value_typeET2_T3_PNSF_ISK_E10value_typeET4_T5_PSP_SQ_PNS1_23onesweep_lookback_stateEbbT6_jjT7_P12ihipStream_tbENKUlT_T0_SE_SJ_E_clIS8_S8_S9_S9_EEDaSX_SY_SE_SJ_EUlSX_E_NS1_11comp_targetILNS1_3genE0ELNS1_11target_archE4294967295ELNS1_3gpuE0ELNS1_3repE0EEENS1_47radix_sort_onesweep_sort_config_static_selectorELNS0_4arch9wavefront6targetE1EEEvSE_,"axG",@progbits,_ZN7rocprim17ROCPRIM_400000_NS6detail17trampoline_kernelINS0_14default_configENS1_35radix_sort_onesweep_config_selectorIiNS0_10empty_typeEEEZZNS1_29radix_sort_onesweep_iterationIS3_Lb0EPiS8_PS5_S9_mNS0_19identity_decomposerENS1_16block_id_wrapperIjLb1EEEEE10hipError_tT1_PNSt15iterator_traitsISE_E10value_typeET2_T3_PNSF_ISK_E10value_typeET4_T5_PSP_SQ_PNS1_23onesweep_lookback_stateEbbT6_jjT7_P12ihipStream_tbENKUlT_T0_SE_SJ_E_clIS8_S8_S9_S9_EEDaSX_SY_SE_SJ_EUlSX_E_NS1_11comp_targetILNS1_3genE0ELNS1_11target_archE4294967295ELNS1_3gpuE0ELNS1_3repE0EEENS1_47radix_sort_onesweep_sort_config_static_selectorELNS0_4arch9wavefront6targetE1EEEvSE_,comdat
	.protected	_ZN7rocprim17ROCPRIM_400000_NS6detail17trampoline_kernelINS0_14default_configENS1_35radix_sort_onesweep_config_selectorIiNS0_10empty_typeEEEZZNS1_29radix_sort_onesweep_iterationIS3_Lb0EPiS8_PS5_S9_mNS0_19identity_decomposerENS1_16block_id_wrapperIjLb1EEEEE10hipError_tT1_PNSt15iterator_traitsISE_E10value_typeET2_T3_PNSF_ISK_E10value_typeET4_T5_PSP_SQ_PNS1_23onesweep_lookback_stateEbbT6_jjT7_P12ihipStream_tbENKUlT_T0_SE_SJ_E_clIS8_S8_S9_S9_EEDaSX_SY_SE_SJ_EUlSX_E_NS1_11comp_targetILNS1_3genE0ELNS1_11target_archE4294967295ELNS1_3gpuE0ELNS1_3repE0EEENS1_47radix_sort_onesweep_sort_config_static_selectorELNS0_4arch9wavefront6targetE1EEEvSE_ ; -- Begin function _ZN7rocprim17ROCPRIM_400000_NS6detail17trampoline_kernelINS0_14default_configENS1_35radix_sort_onesweep_config_selectorIiNS0_10empty_typeEEEZZNS1_29radix_sort_onesweep_iterationIS3_Lb0EPiS8_PS5_S9_mNS0_19identity_decomposerENS1_16block_id_wrapperIjLb1EEEEE10hipError_tT1_PNSt15iterator_traitsISE_E10value_typeET2_T3_PNSF_ISK_E10value_typeET4_T5_PSP_SQ_PNS1_23onesweep_lookback_stateEbbT6_jjT7_P12ihipStream_tbENKUlT_T0_SE_SJ_E_clIS8_S8_S9_S9_EEDaSX_SY_SE_SJ_EUlSX_E_NS1_11comp_targetILNS1_3genE0ELNS1_11target_archE4294967295ELNS1_3gpuE0ELNS1_3repE0EEENS1_47radix_sort_onesweep_sort_config_static_selectorELNS0_4arch9wavefront6targetE1EEEvSE_
	.globl	_ZN7rocprim17ROCPRIM_400000_NS6detail17trampoline_kernelINS0_14default_configENS1_35radix_sort_onesweep_config_selectorIiNS0_10empty_typeEEEZZNS1_29radix_sort_onesweep_iterationIS3_Lb0EPiS8_PS5_S9_mNS0_19identity_decomposerENS1_16block_id_wrapperIjLb1EEEEE10hipError_tT1_PNSt15iterator_traitsISE_E10value_typeET2_T3_PNSF_ISK_E10value_typeET4_T5_PSP_SQ_PNS1_23onesweep_lookback_stateEbbT6_jjT7_P12ihipStream_tbENKUlT_T0_SE_SJ_E_clIS8_S8_S9_S9_EEDaSX_SY_SE_SJ_EUlSX_E_NS1_11comp_targetILNS1_3genE0ELNS1_11target_archE4294967295ELNS1_3gpuE0ELNS1_3repE0EEENS1_47radix_sort_onesweep_sort_config_static_selectorELNS0_4arch9wavefront6targetE1EEEvSE_
	.p2align	8
	.type	_ZN7rocprim17ROCPRIM_400000_NS6detail17trampoline_kernelINS0_14default_configENS1_35radix_sort_onesweep_config_selectorIiNS0_10empty_typeEEEZZNS1_29radix_sort_onesweep_iterationIS3_Lb0EPiS8_PS5_S9_mNS0_19identity_decomposerENS1_16block_id_wrapperIjLb1EEEEE10hipError_tT1_PNSt15iterator_traitsISE_E10value_typeET2_T3_PNSF_ISK_E10value_typeET4_T5_PSP_SQ_PNS1_23onesweep_lookback_stateEbbT6_jjT7_P12ihipStream_tbENKUlT_T0_SE_SJ_E_clIS8_S8_S9_S9_EEDaSX_SY_SE_SJ_EUlSX_E_NS1_11comp_targetILNS1_3genE0ELNS1_11target_archE4294967295ELNS1_3gpuE0ELNS1_3repE0EEENS1_47radix_sort_onesweep_sort_config_static_selectorELNS0_4arch9wavefront6targetE1EEEvSE_,@function
_ZN7rocprim17ROCPRIM_400000_NS6detail17trampoline_kernelINS0_14default_configENS1_35radix_sort_onesweep_config_selectorIiNS0_10empty_typeEEEZZNS1_29radix_sort_onesweep_iterationIS3_Lb0EPiS8_PS5_S9_mNS0_19identity_decomposerENS1_16block_id_wrapperIjLb1EEEEE10hipError_tT1_PNSt15iterator_traitsISE_E10value_typeET2_T3_PNSF_ISK_E10value_typeET4_T5_PSP_SQ_PNS1_23onesweep_lookback_stateEbbT6_jjT7_P12ihipStream_tbENKUlT_T0_SE_SJ_E_clIS8_S8_S9_S9_EEDaSX_SY_SE_SJ_EUlSX_E_NS1_11comp_targetILNS1_3genE0ELNS1_11target_archE4294967295ELNS1_3gpuE0ELNS1_3repE0EEENS1_47radix_sort_onesweep_sort_config_static_selectorELNS0_4arch9wavefront6targetE1EEEvSE_: ; @_ZN7rocprim17ROCPRIM_400000_NS6detail17trampoline_kernelINS0_14default_configENS1_35radix_sort_onesweep_config_selectorIiNS0_10empty_typeEEEZZNS1_29radix_sort_onesweep_iterationIS3_Lb0EPiS8_PS5_S9_mNS0_19identity_decomposerENS1_16block_id_wrapperIjLb1EEEEE10hipError_tT1_PNSt15iterator_traitsISE_E10value_typeET2_T3_PNSF_ISK_E10value_typeET4_T5_PSP_SQ_PNS1_23onesweep_lookback_stateEbbT6_jjT7_P12ihipStream_tbENKUlT_T0_SE_SJ_E_clIS8_S8_S9_S9_EEDaSX_SY_SE_SJ_EUlSX_E_NS1_11comp_targetILNS1_3genE0ELNS1_11target_archE4294967295ELNS1_3gpuE0ELNS1_3repE0EEENS1_47radix_sort_onesweep_sort_config_static_selectorELNS0_4arch9wavefront6targetE1EEEvSE_
; %bb.0:
	.section	.rodata,"a",@progbits
	.p2align	6, 0x0
	.amdhsa_kernel _ZN7rocprim17ROCPRIM_400000_NS6detail17trampoline_kernelINS0_14default_configENS1_35radix_sort_onesweep_config_selectorIiNS0_10empty_typeEEEZZNS1_29radix_sort_onesweep_iterationIS3_Lb0EPiS8_PS5_S9_mNS0_19identity_decomposerENS1_16block_id_wrapperIjLb1EEEEE10hipError_tT1_PNSt15iterator_traitsISE_E10value_typeET2_T3_PNSF_ISK_E10value_typeET4_T5_PSP_SQ_PNS1_23onesweep_lookback_stateEbbT6_jjT7_P12ihipStream_tbENKUlT_T0_SE_SJ_E_clIS8_S8_S9_S9_EEDaSX_SY_SE_SJ_EUlSX_E_NS1_11comp_targetILNS1_3genE0ELNS1_11target_archE4294967295ELNS1_3gpuE0ELNS1_3repE0EEENS1_47radix_sort_onesweep_sort_config_static_selectorELNS0_4arch9wavefront6targetE1EEEvSE_
		.amdhsa_group_segment_fixed_size 0
		.amdhsa_private_segment_fixed_size 0
		.amdhsa_kernarg_size 88
		.amdhsa_user_sgpr_count 6
		.amdhsa_user_sgpr_private_segment_buffer 1
		.amdhsa_user_sgpr_dispatch_ptr 0
		.amdhsa_user_sgpr_queue_ptr 0
		.amdhsa_user_sgpr_kernarg_segment_ptr 1
		.amdhsa_user_sgpr_dispatch_id 0
		.amdhsa_user_sgpr_flat_scratch_init 0
		.amdhsa_user_sgpr_kernarg_preload_length 0
		.amdhsa_user_sgpr_kernarg_preload_offset 0
		.amdhsa_user_sgpr_private_segment_size 0
		.amdhsa_uses_dynamic_stack 0
		.amdhsa_system_sgpr_private_segment_wavefront_offset 0
		.amdhsa_system_sgpr_workgroup_id_x 1
		.amdhsa_system_sgpr_workgroup_id_y 0
		.amdhsa_system_sgpr_workgroup_id_z 0
		.amdhsa_system_sgpr_workgroup_info 0
		.amdhsa_system_vgpr_workitem_id 0
		.amdhsa_next_free_vgpr 1
		.amdhsa_next_free_sgpr 0
		.amdhsa_accum_offset 4
		.amdhsa_reserve_vcc 0
		.amdhsa_reserve_flat_scratch 0
		.amdhsa_float_round_mode_32 0
		.amdhsa_float_round_mode_16_64 0
		.amdhsa_float_denorm_mode_32 3
		.amdhsa_float_denorm_mode_16_64 3
		.amdhsa_dx10_clamp 1
		.amdhsa_ieee_mode 1
		.amdhsa_fp16_overflow 0
		.amdhsa_tg_split 0
		.amdhsa_exception_fp_ieee_invalid_op 0
		.amdhsa_exception_fp_denorm_src 0
		.amdhsa_exception_fp_ieee_div_zero 0
		.amdhsa_exception_fp_ieee_overflow 0
		.amdhsa_exception_fp_ieee_underflow 0
		.amdhsa_exception_fp_ieee_inexact 0
		.amdhsa_exception_int_div_zero 0
	.end_amdhsa_kernel
	.section	.text._ZN7rocprim17ROCPRIM_400000_NS6detail17trampoline_kernelINS0_14default_configENS1_35radix_sort_onesweep_config_selectorIiNS0_10empty_typeEEEZZNS1_29radix_sort_onesweep_iterationIS3_Lb0EPiS8_PS5_S9_mNS0_19identity_decomposerENS1_16block_id_wrapperIjLb1EEEEE10hipError_tT1_PNSt15iterator_traitsISE_E10value_typeET2_T3_PNSF_ISK_E10value_typeET4_T5_PSP_SQ_PNS1_23onesweep_lookback_stateEbbT6_jjT7_P12ihipStream_tbENKUlT_T0_SE_SJ_E_clIS8_S8_S9_S9_EEDaSX_SY_SE_SJ_EUlSX_E_NS1_11comp_targetILNS1_3genE0ELNS1_11target_archE4294967295ELNS1_3gpuE0ELNS1_3repE0EEENS1_47radix_sort_onesweep_sort_config_static_selectorELNS0_4arch9wavefront6targetE1EEEvSE_,"axG",@progbits,_ZN7rocprim17ROCPRIM_400000_NS6detail17trampoline_kernelINS0_14default_configENS1_35radix_sort_onesweep_config_selectorIiNS0_10empty_typeEEEZZNS1_29radix_sort_onesweep_iterationIS3_Lb0EPiS8_PS5_S9_mNS0_19identity_decomposerENS1_16block_id_wrapperIjLb1EEEEE10hipError_tT1_PNSt15iterator_traitsISE_E10value_typeET2_T3_PNSF_ISK_E10value_typeET4_T5_PSP_SQ_PNS1_23onesweep_lookback_stateEbbT6_jjT7_P12ihipStream_tbENKUlT_T0_SE_SJ_E_clIS8_S8_S9_S9_EEDaSX_SY_SE_SJ_EUlSX_E_NS1_11comp_targetILNS1_3genE0ELNS1_11target_archE4294967295ELNS1_3gpuE0ELNS1_3repE0EEENS1_47radix_sort_onesweep_sort_config_static_selectorELNS0_4arch9wavefront6targetE1EEEvSE_,comdat
.Lfunc_end650:
	.size	_ZN7rocprim17ROCPRIM_400000_NS6detail17trampoline_kernelINS0_14default_configENS1_35radix_sort_onesweep_config_selectorIiNS0_10empty_typeEEEZZNS1_29radix_sort_onesweep_iterationIS3_Lb0EPiS8_PS5_S9_mNS0_19identity_decomposerENS1_16block_id_wrapperIjLb1EEEEE10hipError_tT1_PNSt15iterator_traitsISE_E10value_typeET2_T3_PNSF_ISK_E10value_typeET4_T5_PSP_SQ_PNS1_23onesweep_lookback_stateEbbT6_jjT7_P12ihipStream_tbENKUlT_T0_SE_SJ_E_clIS8_S8_S9_S9_EEDaSX_SY_SE_SJ_EUlSX_E_NS1_11comp_targetILNS1_3genE0ELNS1_11target_archE4294967295ELNS1_3gpuE0ELNS1_3repE0EEENS1_47radix_sort_onesweep_sort_config_static_selectorELNS0_4arch9wavefront6targetE1EEEvSE_, .Lfunc_end650-_ZN7rocprim17ROCPRIM_400000_NS6detail17trampoline_kernelINS0_14default_configENS1_35radix_sort_onesweep_config_selectorIiNS0_10empty_typeEEEZZNS1_29radix_sort_onesweep_iterationIS3_Lb0EPiS8_PS5_S9_mNS0_19identity_decomposerENS1_16block_id_wrapperIjLb1EEEEE10hipError_tT1_PNSt15iterator_traitsISE_E10value_typeET2_T3_PNSF_ISK_E10value_typeET4_T5_PSP_SQ_PNS1_23onesweep_lookback_stateEbbT6_jjT7_P12ihipStream_tbENKUlT_T0_SE_SJ_E_clIS8_S8_S9_S9_EEDaSX_SY_SE_SJ_EUlSX_E_NS1_11comp_targetILNS1_3genE0ELNS1_11target_archE4294967295ELNS1_3gpuE0ELNS1_3repE0EEENS1_47radix_sort_onesweep_sort_config_static_selectorELNS0_4arch9wavefront6targetE1EEEvSE_
                                        ; -- End function
	.section	.AMDGPU.csdata,"",@progbits
; Kernel info:
; codeLenInByte = 0
; NumSgprs: 4
; NumVgprs: 0
; NumAgprs: 0
; TotalNumVgprs: 0
; ScratchSize: 0
; MemoryBound: 0
; FloatMode: 240
; IeeeMode: 1
; LDSByteSize: 0 bytes/workgroup (compile time only)
; SGPRBlocks: 0
; VGPRBlocks: 0
; NumSGPRsForWavesPerEU: 4
; NumVGPRsForWavesPerEU: 1
; AccumOffset: 4
; Occupancy: 8
; WaveLimiterHint : 0
; COMPUTE_PGM_RSRC2:SCRATCH_EN: 0
; COMPUTE_PGM_RSRC2:USER_SGPR: 6
; COMPUTE_PGM_RSRC2:TRAP_HANDLER: 0
; COMPUTE_PGM_RSRC2:TGID_X_EN: 1
; COMPUTE_PGM_RSRC2:TGID_Y_EN: 0
; COMPUTE_PGM_RSRC2:TGID_Z_EN: 0
; COMPUTE_PGM_RSRC2:TIDIG_COMP_CNT: 0
; COMPUTE_PGM_RSRC3_GFX90A:ACCUM_OFFSET: 0
; COMPUTE_PGM_RSRC3_GFX90A:TG_SPLIT: 0
	.section	.text._ZN7rocprim17ROCPRIM_400000_NS6detail17trampoline_kernelINS0_14default_configENS1_35radix_sort_onesweep_config_selectorIiNS0_10empty_typeEEEZZNS1_29radix_sort_onesweep_iterationIS3_Lb0EPiS8_PS5_S9_mNS0_19identity_decomposerENS1_16block_id_wrapperIjLb1EEEEE10hipError_tT1_PNSt15iterator_traitsISE_E10value_typeET2_T3_PNSF_ISK_E10value_typeET4_T5_PSP_SQ_PNS1_23onesweep_lookback_stateEbbT6_jjT7_P12ihipStream_tbENKUlT_T0_SE_SJ_E_clIS8_S8_S9_S9_EEDaSX_SY_SE_SJ_EUlSX_E_NS1_11comp_targetILNS1_3genE6ELNS1_11target_archE950ELNS1_3gpuE13ELNS1_3repE0EEENS1_47radix_sort_onesweep_sort_config_static_selectorELNS0_4arch9wavefront6targetE1EEEvSE_,"axG",@progbits,_ZN7rocprim17ROCPRIM_400000_NS6detail17trampoline_kernelINS0_14default_configENS1_35radix_sort_onesweep_config_selectorIiNS0_10empty_typeEEEZZNS1_29radix_sort_onesweep_iterationIS3_Lb0EPiS8_PS5_S9_mNS0_19identity_decomposerENS1_16block_id_wrapperIjLb1EEEEE10hipError_tT1_PNSt15iterator_traitsISE_E10value_typeET2_T3_PNSF_ISK_E10value_typeET4_T5_PSP_SQ_PNS1_23onesweep_lookback_stateEbbT6_jjT7_P12ihipStream_tbENKUlT_T0_SE_SJ_E_clIS8_S8_S9_S9_EEDaSX_SY_SE_SJ_EUlSX_E_NS1_11comp_targetILNS1_3genE6ELNS1_11target_archE950ELNS1_3gpuE13ELNS1_3repE0EEENS1_47radix_sort_onesweep_sort_config_static_selectorELNS0_4arch9wavefront6targetE1EEEvSE_,comdat
	.protected	_ZN7rocprim17ROCPRIM_400000_NS6detail17trampoline_kernelINS0_14default_configENS1_35radix_sort_onesweep_config_selectorIiNS0_10empty_typeEEEZZNS1_29radix_sort_onesweep_iterationIS3_Lb0EPiS8_PS5_S9_mNS0_19identity_decomposerENS1_16block_id_wrapperIjLb1EEEEE10hipError_tT1_PNSt15iterator_traitsISE_E10value_typeET2_T3_PNSF_ISK_E10value_typeET4_T5_PSP_SQ_PNS1_23onesweep_lookback_stateEbbT6_jjT7_P12ihipStream_tbENKUlT_T0_SE_SJ_E_clIS8_S8_S9_S9_EEDaSX_SY_SE_SJ_EUlSX_E_NS1_11comp_targetILNS1_3genE6ELNS1_11target_archE950ELNS1_3gpuE13ELNS1_3repE0EEENS1_47radix_sort_onesweep_sort_config_static_selectorELNS0_4arch9wavefront6targetE1EEEvSE_ ; -- Begin function _ZN7rocprim17ROCPRIM_400000_NS6detail17trampoline_kernelINS0_14default_configENS1_35radix_sort_onesweep_config_selectorIiNS0_10empty_typeEEEZZNS1_29radix_sort_onesweep_iterationIS3_Lb0EPiS8_PS5_S9_mNS0_19identity_decomposerENS1_16block_id_wrapperIjLb1EEEEE10hipError_tT1_PNSt15iterator_traitsISE_E10value_typeET2_T3_PNSF_ISK_E10value_typeET4_T5_PSP_SQ_PNS1_23onesweep_lookback_stateEbbT6_jjT7_P12ihipStream_tbENKUlT_T0_SE_SJ_E_clIS8_S8_S9_S9_EEDaSX_SY_SE_SJ_EUlSX_E_NS1_11comp_targetILNS1_3genE6ELNS1_11target_archE950ELNS1_3gpuE13ELNS1_3repE0EEENS1_47radix_sort_onesweep_sort_config_static_selectorELNS0_4arch9wavefront6targetE1EEEvSE_
	.globl	_ZN7rocprim17ROCPRIM_400000_NS6detail17trampoline_kernelINS0_14default_configENS1_35radix_sort_onesweep_config_selectorIiNS0_10empty_typeEEEZZNS1_29radix_sort_onesweep_iterationIS3_Lb0EPiS8_PS5_S9_mNS0_19identity_decomposerENS1_16block_id_wrapperIjLb1EEEEE10hipError_tT1_PNSt15iterator_traitsISE_E10value_typeET2_T3_PNSF_ISK_E10value_typeET4_T5_PSP_SQ_PNS1_23onesweep_lookback_stateEbbT6_jjT7_P12ihipStream_tbENKUlT_T0_SE_SJ_E_clIS8_S8_S9_S9_EEDaSX_SY_SE_SJ_EUlSX_E_NS1_11comp_targetILNS1_3genE6ELNS1_11target_archE950ELNS1_3gpuE13ELNS1_3repE0EEENS1_47radix_sort_onesweep_sort_config_static_selectorELNS0_4arch9wavefront6targetE1EEEvSE_
	.p2align	8
	.type	_ZN7rocprim17ROCPRIM_400000_NS6detail17trampoline_kernelINS0_14default_configENS1_35radix_sort_onesweep_config_selectorIiNS0_10empty_typeEEEZZNS1_29radix_sort_onesweep_iterationIS3_Lb0EPiS8_PS5_S9_mNS0_19identity_decomposerENS1_16block_id_wrapperIjLb1EEEEE10hipError_tT1_PNSt15iterator_traitsISE_E10value_typeET2_T3_PNSF_ISK_E10value_typeET4_T5_PSP_SQ_PNS1_23onesweep_lookback_stateEbbT6_jjT7_P12ihipStream_tbENKUlT_T0_SE_SJ_E_clIS8_S8_S9_S9_EEDaSX_SY_SE_SJ_EUlSX_E_NS1_11comp_targetILNS1_3genE6ELNS1_11target_archE950ELNS1_3gpuE13ELNS1_3repE0EEENS1_47radix_sort_onesweep_sort_config_static_selectorELNS0_4arch9wavefront6targetE1EEEvSE_,@function
_ZN7rocprim17ROCPRIM_400000_NS6detail17trampoline_kernelINS0_14default_configENS1_35radix_sort_onesweep_config_selectorIiNS0_10empty_typeEEEZZNS1_29radix_sort_onesweep_iterationIS3_Lb0EPiS8_PS5_S9_mNS0_19identity_decomposerENS1_16block_id_wrapperIjLb1EEEEE10hipError_tT1_PNSt15iterator_traitsISE_E10value_typeET2_T3_PNSF_ISK_E10value_typeET4_T5_PSP_SQ_PNS1_23onesweep_lookback_stateEbbT6_jjT7_P12ihipStream_tbENKUlT_T0_SE_SJ_E_clIS8_S8_S9_S9_EEDaSX_SY_SE_SJ_EUlSX_E_NS1_11comp_targetILNS1_3genE6ELNS1_11target_archE950ELNS1_3gpuE13ELNS1_3repE0EEENS1_47radix_sort_onesweep_sort_config_static_selectorELNS0_4arch9wavefront6targetE1EEEvSE_: ; @_ZN7rocprim17ROCPRIM_400000_NS6detail17trampoline_kernelINS0_14default_configENS1_35radix_sort_onesweep_config_selectorIiNS0_10empty_typeEEEZZNS1_29radix_sort_onesweep_iterationIS3_Lb0EPiS8_PS5_S9_mNS0_19identity_decomposerENS1_16block_id_wrapperIjLb1EEEEE10hipError_tT1_PNSt15iterator_traitsISE_E10value_typeET2_T3_PNSF_ISK_E10value_typeET4_T5_PSP_SQ_PNS1_23onesweep_lookback_stateEbbT6_jjT7_P12ihipStream_tbENKUlT_T0_SE_SJ_E_clIS8_S8_S9_S9_EEDaSX_SY_SE_SJ_EUlSX_E_NS1_11comp_targetILNS1_3genE6ELNS1_11target_archE950ELNS1_3gpuE13ELNS1_3repE0EEENS1_47radix_sort_onesweep_sort_config_static_selectorELNS0_4arch9wavefront6targetE1EEEvSE_
; %bb.0:
	.section	.rodata,"a",@progbits
	.p2align	6, 0x0
	.amdhsa_kernel _ZN7rocprim17ROCPRIM_400000_NS6detail17trampoline_kernelINS0_14default_configENS1_35radix_sort_onesweep_config_selectorIiNS0_10empty_typeEEEZZNS1_29radix_sort_onesweep_iterationIS3_Lb0EPiS8_PS5_S9_mNS0_19identity_decomposerENS1_16block_id_wrapperIjLb1EEEEE10hipError_tT1_PNSt15iterator_traitsISE_E10value_typeET2_T3_PNSF_ISK_E10value_typeET4_T5_PSP_SQ_PNS1_23onesweep_lookback_stateEbbT6_jjT7_P12ihipStream_tbENKUlT_T0_SE_SJ_E_clIS8_S8_S9_S9_EEDaSX_SY_SE_SJ_EUlSX_E_NS1_11comp_targetILNS1_3genE6ELNS1_11target_archE950ELNS1_3gpuE13ELNS1_3repE0EEENS1_47radix_sort_onesweep_sort_config_static_selectorELNS0_4arch9wavefront6targetE1EEEvSE_
		.amdhsa_group_segment_fixed_size 0
		.amdhsa_private_segment_fixed_size 0
		.amdhsa_kernarg_size 88
		.amdhsa_user_sgpr_count 6
		.amdhsa_user_sgpr_private_segment_buffer 1
		.amdhsa_user_sgpr_dispatch_ptr 0
		.amdhsa_user_sgpr_queue_ptr 0
		.amdhsa_user_sgpr_kernarg_segment_ptr 1
		.amdhsa_user_sgpr_dispatch_id 0
		.amdhsa_user_sgpr_flat_scratch_init 0
		.amdhsa_user_sgpr_kernarg_preload_length 0
		.amdhsa_user_sgpr_kernarg_preload_offset 0
		.amdhsa_user_sgpr_private_segment_size 0
		.amdhsa_uses_dynamic_stack 0
		.amdhsa_system_sgpr_private_segment_wavefront_offset 0
		.amdhsa_system_sgpr_workgroup_id_x 1
		.amdhsa_system_sgpr_workgroup_id_y 0
		.amdhsa_system_sgpr_workgroup_id_z 0
		.amdhsa_system_sgpr_workgroup_info 0
		.amdhsa_system_vgpr_workitem_id 0
		.amdhsa_next_free_vgpr 1
		.amdhsa_next_free_sgpr 0
		.amdhsa_accum_offset 4
		.amdhsa_reserve_vcc 0
		.amdhsa_reserve_flat_scratch 0
		.amdhsa_float_round_mode_32 0
		.amdhsa_float_round_mode_16_64 0
		.amdhsa_float_denorm_mode_32 3
		.amdhsa_float_denorm_mode_16_64 3
		.amdhsa_dx10_clamp 1
		.amdhsa_ieee_mode 1
		.amdhsa_fp16_overflow 0
		.amdhsa_tg_split 0
		.amdhsa_exception_fp_ieee_invalid_op 0
		.amdhsa_exception_fp_denorm_src 0
		.amdhsa_exception_fp_ieee_div_zero 0
		.amdhsa_exception_fp_ieee_overflow 0
		.amdhsa_exception_fp_ieee_underflow 0
		.amdhsa_exception_fp_ieee_inexact 0
		.amdhsa_exception_int_div_zero 0
	.end_amdhsa_kernel
	.section	.text._ZN7rocprim17ROCPRIM_400000_NS6detail17trampoline_kernelINS0_14default_configENS1_35radix_sort_onesweep_config_selectorIiNS0_10empty_typeEEEZZNS1_29radix_sort_onesweep_iterationIS3_Lb0EPiS8_PS5_S9_mNS0_19identity_decomposerENS1_16block_id_wrapperIjLb1EEEEE10hipError_tT1_PNSt15iterator_traitsISE_E10value_typeET2_T3_PNSF_ISK_E10value_typeET4_T5_PSP_SQ_PNS1_23onesweep_lookback_stateEbbT6_jjT7_P12ihipStream_tbENKUlT_T0_SE_SJ_E_clIS8_S8_S9_S9_EEDaSX_SY_SE_SJ_EUlSX_E_NS1_11comp_targetILNS1_3genE6ELNS1_11target_archE950ELNS1_3gpuE13ELNS1_3repE0EEENS1_47radix_sort_onesweep_sort_config_static_selectorELNS0_4arch9wavefront6targetE1EEEvSE_,"axG",@progbits,_ZN7rocprim17ROCPRIM_400000_NS6detail17trampoline_kernelINS0_14default_configENS1_35radix_sort_onesweep_config_selectorIiNS0_10empty_typeEEEZZNS1_29radix_sort_onesweep_iterationIS3_Lb0EPiS8_PS5_S9_mNS0_19identity_decomposerENS1_16block_id_wrapperIjLb1EEEEE10hipError_tT1_PNSt15iterator_traitsISE_E10value_typeET2_T3_PNSF_ISK_E10value_typeET4_T5_PSP_SQ_PNS1_23onesweep_lookback_stateEbbT6_jjT7_P12ihipStream_tbENKUlT_T0_SE_SJ_E_clIS8_S8_S9_S9_EEDaSX_SY_SE_SJ_EUlSX_E_NS1_11comp_targetILNS1_3genE6ELNS1_11target_archE950ELNS1_3gpuE13ELNS1_3repE0EEENS1_47radix_sort_onesweep_sort_config_static_selectorELNS0_4arch9wavefront6targetE1EEEvSE_,comdat
.Lfunc_end651:
	.size	_ZN7rocprim17ROCPRIM_400000_NS6detail17trampoline_kernelINS0_14default_configENS1_35radix_sort_onesweep_config_selectorIiNS0_10empty_typeEEEZZNS1_29radix_sort_onesweep_iterationIS3_Lb0EPiS8_PS5_S9_mNS0_19identity_decomposerENS1_16block_id_wrapperIjLb1EEEEE10hipError_tT1_PNSt15iterator_traitsISE_E10value_typeET2_T3_PNSF_ISK_E10value_typeET4_T5_PSP_SQ_PNS1_23onesweep_lookback_stateEbbT6_jjT7_P12ihipStream_tbENKUlT_T0_SE_SJ_E_clIS8_S8_S9_S9_EEDaSX_SY_SE_SJ_EUlSX_E_NS1_11comp_targetILNS1_3genE6ELNS1_11target_archE950ELNS1_3gpuE13ELNS1_3repE0EEENS1_47radix_sort_onesweep_sort_config_static_selectorELNS0_4arch9wavefront6targetE1EEEvSE_, .Lfunc_end651-_ZN7rocprim17ROCPRIM_400000_NS6detail17trampoline_kernelINS0_14default_configENS1_35radix_sort_onesweep_config_selectorIiNS0_10empty_typeEEEZZNS1_29radix_sort_onesweep_iterationIS3_Lb0EPiS8_PS5_S9_mNS0_19identity_decomposerENS1_16block_id_wrapperIjLb1EEEEE10hipError_tT1_PNSt15iterator_traitsISE_E10value_typeET2_T3_PNSF_ISK_E10value_typeET4_T5_PSP_SQ_PNS1_23onesweep_lookback_stateEbbT6_jjT7_P12ihipStream_tbENKUlT_T0_SE_SJ_E_clIS8_S8_S9_S9_EEDaSX_SY_SE_SJ_EUlSX_E_NS1_11comp_targetILNS1_3genE6ELNS1_11target_archE950ELNS1_3gpuE13ELNS1_3repE0EEENS1_47radix_sort_onesweep_sort_config_static_selectorELNS0_4arch9wavefront6targetE1EEEvSE_
                                        ; -- End function
	.section	.AMDGPU.csdata,"",@progbits
; Kernel info:
; codeLenInByte = 0
; NumSgprs: 4
; NumVgprs: 0
; NumAgprs: 0
; TotalNumVgprs: 0
; ScratchSize: 0
; MemoryBound: 0
; FloatMode: 240
; IeeeMode: 1
; LDSByteSize: 0 bytes/workgroup (compile time only)
; SGPRBlocks: 0
; VGPRBlocks: 0
; NumSGPRsForWavesPerEU: 4
; NumVGPRsForWavesPerEU: 1
; AccumOffset: 4
; Occupancy: 8
; WaveLimiterHint : 0
; COMPUTE_PGM_RSRC2:SCRATCH_EN: 0
; COMPUTE_PGM_RSRC2:USER_SGPR: 6
; COMPUTE_PGM_RSRC2:TRAP_HANDLER: 0
; COMPUTE_PGM_RSRC2:TGID_X_EN: 1
; COMPUTE_PGM_RSRC2:TGID_Y_EN: 0
; COMPUTE_PGM_RSRC2:TGID_Z_EN: 0
; COMPUTE_PGM_RSRC2:TIDIG_COMP_CNT: 0
; COMPUTE_PGM_RSRC3_GFX90A:ACCUM_OFFSET: 0
; COMPUTE_PGM_RSRC3_GFX90A:TG_SPLIT: 0
	.section	.text._ZN7rocprim17ROCPRIM_400000_NS6detail17trampoline_kernelINS0_14default_configENS1_35radix_sort_onesweep_config_selectorIiNS0_10empty_typeEEEZZNS1_29radix_sort_onesweep_iterationIS3_Lb0EPiS8_PS5_S9_mNS0_19identity_decomposerENS1_16block_id_wrapperIjLb1EEEEE10hipError_tT1_PNSt15iterator_traitsISE_E10value_typeET2_T3_PNSF_ISK_E10value_typeET4_T5_PSP_SQ_PNS1_23onesweep_lookback_stateEbbT6_jjT7_P12ihipStream_tbENKUlT_T0_SE_SJ_E_clIS8_S8_S9_S9_EEDaSX_SY_SE_SJ_EUlSX_E_NS1_11comp_targetILNS1_3genE5ELNS1_11target_archE942ELNS1_3gpuE9ELNS1_3repE0EEENS1_47radix_sort_onesweep_sort_config_static_selectorELNS0_4arch9wavefront6targetE1EEEvSE_,"axG",@progbits,_ZN7rocprim17ROCPRIM_400000_NS6detail17trampoline_kernelINS0_14default_configENS1_35radix_sort_onesweep_config_selectorIiNS0_10empty_typeEEEZZNS1_29radix_sort_onesweep_iterationIS3_Lb0EPiS8_PS5_S9_mNS0_19identity_decomposerENS1_16block_id_wrapperIjLb1EEEEE10hipError_tT1_PNSt15iterator_traitsISE_E10value_typeET2_T3_PNSF_ISK_E10value_typeET4_T5_PSP_SQ_PNS1_23onesweep_lookback_stateEbbT6_jjT7_P12ihipStream_tbENKUlT_T0_SE_SJ_E_clIS8_S8_S9_S9_EEDaSX_SY_SE_SJ_EUlSX_E_NS1_11comp_targetILNS1_3genE5ELNS1_11target_archE942ELNS1_3gpuE9ELNS1_3repE0EEENS1_47radix_sort_onesweep_sort_config_static_selectorELNS0_4arch9wavefront6targetE1EEEvSE_,comdat
	.protected	_ZN7rocprim17ROCPRIM_400000_NS6detail17trampoline_kernelINS0_14default_configENS1_35radix_sort_onesweep_config_selectorIiNS0_10empty_typeEEEZZNS1_29radix_sort_onesweep_iterationIS3_Lb0EPiS8_PS5_S9_mNS0_19identity_decomposerENS1_16block_id_wrapperIjLb1EEEEE10hipError_tT1_PNSt15iterator_traitsISE_E10value_typeET2_T3_PNSF_ISK_E10value_typeET4_T5_PSP_SQ_PNS1_23onesweep_lookback_stateEbbT6_jjT7_P12ihipStream_tbENKUlT_T0_SE_SJ_E_clIS8_S8_S9_S9_EEDaSX_SY_SE_SJ_EUlSX_E_NS1_11comp_targetILNS1_3genE5ELNS1_11target_archE942ELNS1_3gpuE9ELNS1_3repE0EEENS1_47radix_sort_onesweep_sort_config_static_selectorELNS0_4arch9wavefront6targetE1EEEvSE_ ; -- Begin function _ZN7rocprim17ROCPRIM_400000_NS6detail17trampoline_kernelINS0_14default_configENS1_35radix_sort_onesweep_config_selectorIiNS0_10empty_typeEEEZZNS1_29radix_sort_onesweep_iterationIS3_Lb0EPiS8_PS5_S9_mNS0_19identity_decomposerENS1_16block_id_wrapperIjLb1EEEEE10hipError_tT1_PNSt15iterator_traitsISE_E10value_typeET2_T3_PNSF_ISK_E10value_typeET4_T5_PSP_SQ_PNS1_23onesweep_lookback_stateEbbT6_jjT7_P12ihipStream_tbENKUlT_T0_SE_SJ_E_clIS8_S8_S9_S9_EEDaSX_SY_SE_SJ_EUlSX_E_NS1_11comp_targetILNS1_3genE5ELNS1_11target_archE942ELNS1_3gpuE9ELNS1_3repE0EEENS1_47radix_sort_onesweep_sort_config_static_selectorELNS0_4arch9wavefront6targetE1EEEvSE_
	.globl	_ZN7rocprim17ROCPRIM_400000_NS6detail17trampoline_kernelINS0_14default_configENS1_35radix_sort_onesweep_config_selectorIiNS0_10empty_typeEEEZZNS1_29radix_sort_onesweep_iterationIS3_Lb0EPiS8_PS5_S9_mNS0_19identity_decomposerENS1_16block_id_wrapperIjLb1EEEEE10hipError_tT1_PNSt15iterator_traitsISE_E10value_typeET2_T3_PNSF_ISK_E10value_typeET4_T5_PSP_SQ_PNS1_23onesweep_lookback_stateEbbT6_jjT7_P12ihipStream_tbENKUlT_T0_SE_SJ_E_clIS8_S8_S9_S9_EEDaSX_SY_SE_SJ_EUlSX_E_NS1_11comp_targetILNS1_3genE5ELNS1_11target_archE942ELNS1_3gpuE9ELNS1_3repE0EEENS1_47radix_sort_onesweep_sort_config_static_selectorELNS0_4arch9wavefront6targetE1EEEvSE_
	.p2align	8
	.type	_ZN7rocprim17ROCPRIM_400000_NS6detail17trampoline_kernelINS0_14default_configENS1_35radix_sort_onesweep_config_selectorIiNS0_10empty_typeEEEZZNS1_29radix_sort_onesweep_iterationIS3_Lb0EPiS8_PS5_S9_mNS0_19identity_decomposerENS1_16block_id_wrapperIjLb1EEEEE10hipError_tT1_PNSt15iterator_traitsISE_E10value_typeET2_T3_PNSF_ISK_E10value_typeET4_T5_PSP_SQ_PNS1_23onesweep_lookback_stateEbbT6_jjT7_P12ihipStream_tbENKUlT_T0_SE_SJ_E_clIS8_S8_S9_S9_EEDaSX_SY_SE_SJ_EUlSX_E_NS1_11comp_targetILNS1_3genE5ELNS1_11target_archE942ELNS1_3gpuE9ELNS1_3repE0EEENS1_47radix_sort_onesweep_sort_config_static_selectorELNS0_4arch9wavefront6targetE1EEEvSE_,@function
_ZN7rocprim17ROCPRIM_400000_NS6detail17trampoline_kernelINS0_14default_configENS1_35radix_sort_onesweep_config_selectorIiNS0_10empty_typeEEEZZNS1_29radix_sort_onesweep_iterationIS3_Lb0EPiS8_PS5_S9_mNS0_19identity_decomposerENS1_16block_id_wrapperIjLb1EEEEE10hipError_tT1_PNSt15iterator_traitsISE_E10value_typeET2_T3_PNSF_ISK_E10value_typeET4_T5_PSP_SQ_PNS1_23onesweep_lookback_stateEbbT6_jjT7_P12ihipStream_tbENKUlT_T0_SE_SJ_E_clIS8_S8_S9_S9_EEDaSX_SY_SE_SJ_EUlSX_E_NS1_11comp_targetILNS1_3genE5ELNS1_11target_archE942ELNS1_3gpuE9ELNS1_3repE0EEENS1_47radix_sort_onesweep_sort_config_static_selectorELNS0_4arch9wavefront6targetE1EEEvSE_: ; @_ZN7rocprim17ROCPRIM_400000_NS6detail17trampoline_kernelINS0_14default_configENS1_35radix_sort_onesweep_config_selectorIiNS0_10empty_typeEEEZZNS1_29radix_sort_onesweep_iterationIS3_Lb0EPiS8_PS5_S9_mNS0_19identity_decomposerENS1_16block_id_wrapperIjLb1EEEEE10hipError_tT1_PNSt15iterator_traitsISE_E10value_typeET2_T3_PNSF_ISK_E10value_typeET4_T5_PSP_SQ_PNS1_23onesweep_lookback_stateEbbT6_jjT7_P12ihipStream_tbENKUlT_T0_SE_SJ_E_clIS8_S8_S9_S9_EEDaSX_SY_SE_SJ_EUlSX_E_NS1_11comp_targetILNS1_3genE5ELNS1_11target_archE942ELNS1_3gpuE9ELNS1_3repE0EEENS1_47radix_sort_onesweep_sort_config_static_selectorELNS0_4arch9wavefront6targetE1EEEvSE_
; %bb.0:
	.section	.rodata,"a",@progbits
	.p2align	6, 0x0
	.amdhsa_kernel _ZN7rocprim17ROCPRIM_400000_NS6detail17trampoline_kernelINS0_14default_configENS1_35radix_sort_onesweep_config_selectorIiNS0_10empty_typeEEEZZNS1_29radix_sort_onesweep_iterationIS3_Lb0EPiS8_PS5_S9_mNS0_19identity_decomposerENS1_16block_id_wrapperIjLb1EEEEE10hipError_tT1_PNSt15iterator_traitsISE_E10value_typeET2_T3_PNSF_ISK_E10value_typeET4_T5_PSP_SQ_PNS1_23onesweep_lookback_stateEbbT6_jjT7_P12ihipStream_tbENKUlT_T0_SE_SJ_E_clIS8_S8_S9_S9_EEDaSX_SY_SE_SJ_EUlSX_E_NS1_11comp_targetILNS1_3genE5ELNS1_11target_archE942ELNS1_3gpuE9ELNS1_3repE0EEENS1_47radix_sort_onesweep_sort_config_static_selectorELNS0_4arch9wavefront6targetE1EEEvSE_
		.amdhsa_group_segment_fixed_size 0
		.amdhsa_private_segment_fixed_size 0
		.amdhsa_kernarg_size 88
		.amdhsa_user_sgpr_count 6
		.amdhsa_user_sgpr_private_segment_buffer 1
		.amdhsa_user_sgpr_dispatch_ptr 0
		.amdhsa_user_sgpr_queue_ptr 0
		.amdhsa_user_sgpr_kernarg_segment_ptr 1
		.amdhsa_user_sgpr_dispatch_id 0
		.amdhsa_user_sgpr_flat_scratch_init 0
		.amdhsa_user_sgpr_kernarg_preload_length 0
		.amdhsa_user_sgpr_kernarg_preload_offset 0
		.amdhsa_user_sgpr_private_segment_size 0
		.amdhsa_uses_dynamic_stack 0
		.amdhsa_system_sgpr_private_segment_wavefront_offset 0
		.amdhsa_system_sgpr_workgroup_id_x 1
		.amdhsa_system_sgpr_workgroup_id_y 0
		.amdhsa_system_sgpr_workgroup_id_z 0
		.amdhsa_system_sgpr_workgroup_info 0
		.amdhsa_system_vgpr_workitem_id 0
		.amdhsa_next_free_vgpr 1
		.amdhsa_next_free_sgpr 0
		.amdhsa_accum_offset 4
		.amdhsa_reserve_vcc 0
		.amdhsa_reserve_flat_scratch 0
		.amdhsa_float_round_mode_32 0
		.amdhsa_float_round_mode_16_64 0
		.amdhsa_float_denorm_mode_32 3
		.amdhsa_float_denorm_mode_16_64 3
		.amdhsa_dx10_clamp 1
		.amdhsa_ieee_mode 1
		.amdhsa_fp16_overflow 0
		.amdhsa_tg_split 0
		.amdhsa_exception_fp_ieee_invalid_op 0
		.amdhsa_exception_fp_denorm_src 0
		.amdhsa_exception_fp_ieee_div_zero 0
		.amdhsa_exception_fp_ieee_overflow 0
		.amdhsa_exception_fp_ieee_underflow 0
		.amdhsa_exception_fp_ieee_inexact 0
		.amdhsa_exception_int_div_zero 0
	.end_amdhsa_kernel
	.section	.text._ZN7rocprim17ROCPRIM_400000_NS6detail17trampoline_kernelINS0_14default_configENS1_35radix_sort_onesweep_config_selectorIiNS0_10empty_typeEEEZZNS1_29radix_sort_onesweep_iterationIS3_Lb0EPiS8_PS5_S9_mNS0_19identity_decomposerENS1_16block_id_wrapperIjLb1EEEEE10hipError_tT1_PNSt15iterator_traitsISE_E10value_typeET2_T3_PNSF_ISK_E10value_typeET4_T5_PSP_SQ_PNS1_23onesweep_lookback_stateEbbT6_jjT7_P12ihipStream_tbENKUlT_T0_SE_SJ_E_clIS8_S8_S9_S9_EEDaSX_SY_SE_SJ_EUlSX_E_NS1_11comp_targetILNS1_3genE5ELNS1_11target_archE942ELNS1_3gpuE9ELNS1_3repE0EEENS1_47radix_sort_onesweep_sort_config_static_selectorELNS0_4arch9wavefront6targetE1EEEvSE_,"axG",@progbits,_ZN7rocprim17ROCPRIM_400000_NS6detail17trampoline_kernelINS0_14default_configENS1_35radix_sort_onesweep_config_selectorIiNS0_10empty_typeEEEZZNS1_29radix_sort_onesweep_iterationIS3_Lb0EPiS8_PS5_S9_mNS0_19identity_decomposerENS1_16block_id_wrapperIjLb1EEEEE10hipError_tT1_PNSt15iterator_traitsISE_E10value_typeET2_T3_PNSF_ISK_E10value_typeET4_T5_PSP_SQ_PNS1_23onesweep_lookback_stateEbbT6_jjT7_P12ihipStream_tbENKUlT_T0_SE_SJ_E_clIS8_S8_S9_S9_EEDaSX_SY_SE_SJ_EUlSX_E_NS1_11comp_targetILNS1_3genE5ELNS1_11target_archE942ELNS1_3gpuE9ELNS1_3repE0EEENS1_47radix_sort_onesweep_sort_config_static_selectorELNS0_4arch9wavefront6targetE1EEEvSE_,comdat
.Lfunc_end652:
	.size	_ZN7rocprim17ROCPRIM_400000_NS6detail17trampoline_kernelINS0_14default_configENS1_35radix_sort_onesweep_config_selectorIiNS0_10empty_typeEEEZZNS1_29radix_sort_onesweep_iterationIS3_Lb0EPiS8_PS5_S9_mNS0_19identity_decomposerENS1_16block_id_wrapperIjLb1EEEEE10hipError_tT1_PNSt15iterator_traitsISE_E10value_typeET2_T3_PNSF_ISK_E10value_typeET4_T5_PSP_SQ_PNS1_23onesweep_lookback_stateEbbT6_jjT7_P12ihipStream_tbENKUlT_T0_SE_SJ_E_clIS8_S8_S9_S9_EEDaSX_SY_SE_SJ_EUlSX_E_NS1_11comp_targetILNS1_3genE5ELNS1_11target_archE942ELNS1_3gpuE9ELNS1_3repE0EEENS1_47radix_sort_onesweep_sort_config_static_selectorELNS0_4arch9wavefront6targetE1EEEvSE_, .Lfunc_end652-_ZN7rocprim17ROCPRIM_400000_NS6detail17trampoline_kernelINS0_14default_configENS1_35radix_sort_onesweep_config_selectorIiNS0_10empty_typeEEEZZNS1_29radix_sort_onesweep_iterationIS3_Lb0EPiS8_PS5_S9_mNS0_19identity_decomposerENS1_16block_id_wrapperIjLb1EEEEE10hipError_tT1_PNSt15iterator_traitsISE_E10value_typeET2_T3_PNSF_ISK_E10value_typeET4_T5_PSP_SQ_PNS1_23onesweep_lookback_stateEbbT6_jjT7_P12ihipStream_tbENKUlT_T0_SE_SJ_E_clIS8_S8_S9_S9_EEDaSX_SY_SE_SJ_EUlSX_E_NS1_11comp_targetILNS1_3genE5ELNS1_11target_archE942ELNS1_3gpuE9ELNS1_3repE0EEENS1_47radix_sort_onesweep_sort_config_static_selectorELNS0_4arch9wavefront6targetE1EEEvSE_
                                        ; -- End function
	.section	.AMDGPU.csdata,"",@progbits
; Kernel info:
; codeLenInByte = 0
; NumSgprs: 4
; NumVgprs: 0
; NumAgprs: 0
; TotalNumVgprs: 0
; ScratchSize: 0
; MemoryBound: 0
; FloatMode: 240
; IeeeMode: 1
; LDSByteSize: 0 bytes/workgroup (compile time only)
; SGPRBlocks: 0
; VGPRBlocks: 0
; NumSGPRsForWavesPerEU: 4
; NumVGPRsForWavesPerEU: 1
; AccumOffset: 4
; Occupancy: 8
; WaveLimiterHint : 0
; COMPUTE_PGM_RSRC2:SCRATCH_EN: 0
; COMPUTE_PGM_RSRC2:USER_SGPR: 6
; COMPUTE_PGM_RSRC2:TRAP_HANDLER: 0
; COMPUTE_PGM_RSRC2:TGID_X_EN: 1
; COMPUTE_PGM_RSRC2:TGID_Y_EN: 0
; COMPUTE_PGM_RSRC2:TGID_Z_EN: 0
; COMPUTE_PGM_RSRC2:TIDIG_COMP_CNT: 0
; COMPUTE_PGM_RSRC3_GFX90A:ACCUM_OFFSET: 0
; COMPUTE_PGM_RSRC3_GFX90A:TG_SPLIT: 0
	.section	.text._ZN7rocprim17ROCPRIM_400000_NS6detail17trampoline_kernelINS0_14default_configENS1_35radix_sort_onesweep_config_selectorIiNS0_10empty_typeEEEZZNS1_29radix_sort_onesweep_iterationIS3_Lb0EPiS8_PS5_S9_mNS0_19identity_decomposerENS1_16block_id_wrapperIjLb1EEEEE10hipError_tT1_PNSt15iterator_traitsISE_E10value_typeET2_T3_PNSF_ISK_E10value_typeET4_T5_PSP_SQ_PNS1_23onesweep_lookback_stateEbbT6_jjT7_P12ihipStream_tbENKUlT_T0_SE_SJ_E_clIS8_S8_S9_S9_EEDaSX_SY_SE_SJ_EUlSX_E_NS1_11comp_targetILNS1_3genE2ELNS1_11target_archE906ELNS1_3gpuE6ELNS1_3repE0EEENS1_47radix_sort_onesweep_sort_config_static_selectorELNS0_4arch9wavefront6targetE1EEEvSE_,"axG",@progbits,_ZN7rocprim17ROCPRIM_400000_NS6detail17trampoline_kernelINS0_14default_configENS1_35radix_sort_onesweep_config_selectorIiNS0_10empty_typeEEEZZNS1_29radix_sort_onesweep_iterationIS3_Lb0EPiS8_PS5_S9_mNS0_19identity_decomposerENS1_16block_id_wrapperIjLb1EEEEE10hipError_tT1_PNSt15iterator_traitsISE_E10value_typeET2_T3_PNSF_ISK_E10value_typeET4_T5_PSP_SQ_PNS1_23onesweep_lookback_stateEbbT6_jjT7_P12ihipStream_tbENKUlT_T0_SE_SJ_E_clIS8_S8_S9_S9_EEDaSX_SY_SE_SJ_EUlSX_E_NS1_11comp_targetILNS1_3genE2ELNS1_11target_archE906ELNS1_3gpuE6ELNS1_3repE0EEENS1_47radix_sort_onesweep_sort_config_static_selectorELNS0_4arch9wavefront6targetE1EEEvSE_,comdat
	.protected	_ZN7rocprim17ROCPRIM_400000_NS6detail17trampoline_kernelINS0_14default_configENS1_35radix_sort_onesweep_config_selectorIiNS0_10empty_typeEEEZZNS1_29radix_sort_onesweep_iterationIS3_Lb0EPiS8_PS5_S9_mNS0_19identity_decomposerENS1_16block_id_wrapperIjLb1EEEEE10hipError_tT1_PNSt15iterator_traitsISE_E10value_typeET2_T3_PNSF_ISK_E10value_typeET4_T5_PSP_SQ_PNS1_23onesweep_lookback_stateEbbT6_jjT7_P12ihipStream_tbENKUlT_T0_SE_SJ_E_clIS8_S8_S9_S9_EEDaSX_SY_SE_SJ_EUlSX_E_NS1_11comp_targetILNS1_3genE2ELNS1_11target_archE906ELNS1_3gpuE6ELNS1_3repE0EEENS1_47radix_sort_onesweep_sort_config_static_selectorELNS0_4arch9wavefront6targetE1EEEvSE_ ; -- Begin function _ZN7rocprim17ROCPRIM_400000_NS6detail17trampoline_kernelINS0_14default_configENS1_35radix_sort_onesweep_config_selectorIiNS0_10empty_typeEEEZZNS1_29radix_sort_onesweep_iterationIS3_Lb0EPiS8_PS5_S9_mNS0_19identity_decomposerENS1_16block_id_wrapperIjLb1EEEEE10hipError_tT1_PNSt15iterator_traitsISE_E10value_typeET2_T3_PNSF_ISK_E10value_typeET4_T5_PSP_SQ_PNS1_23onesweep_lookback_stateEbbT6_jjT7_P12ihipStream_tbENKUlT_T0_SE_SJ_E_clIS8_S8_S9_S9_EEDaSX_SY_SE_SJ_EUlSX_E_NS1_11comp_targetILNS1_3genE2ELNS1_11target_archE906ELNS1_3gpuE6ELNS1_3repE0EEENS1_47radix_sort_onesweep_sort_config_static_selectorELNS0_4arch9wavefront6targetE1EEEvSE_
	.globl	_ZN7rocprim17ROCPRIM_400000_NS6detail17trampoline_kernelINS0_14default_configENS1_35radix_sort_onesweep_config_selectorIiNS0_10empty_typeEEEZZNS1_29radix_sort_onesweep_iterationIS3_Lb0EPiS8_PS5_S9_mNS0_19identity_decomposerENS1_16block_id_wrapperIjLb1EEEEE10hipError_tT1_PNSt15iterator_traitsISE_E10value_typeET2_T3_PNSF_ISK_E10value_typeET4_T5_PSP_SQ_PNS1_23onesweep_lookback_stateEbbT6_jjT7_P12ihipStream_tbENKUlT_T0_SE_SJ_E_clIS8_S8_S9_S9_EEDaSX_SY_SE_SJ_EUlSX_E_NS1_11comp_targetILNS1_3genE2ELNS1_11target_archE906ELNS1_3gpuE6ELNS1_3repE0EEENS1_47radix_sort_onesweep_sort_config_static_selectorELNS0_4arch9wavefront6targetE1EEEvSE_
	.p2align	8
	.type	_ZN7rocprim17ROCPRIM_400000_NS6detail17trampoline_kernelINS0_14default_configENS1_35radix_sort_onesweep_config_selectorIiNS0_10empty_typeEEEZZNS1_29radix_sort_onesweep_iterationIS3_Lb0EPiS8_PS5_S9_mNS0_19identity_decomposerENS1_16block_id_wrapperIjLb1EEEEE10hipError_tT1_PNSt15iterator_traitsISE_E10value_typeET2_T3_PNSF_ISK_E10value_typeET4_T5_PSP_SQ_PNS1_23onesweep_lookback_stateEbbT6_jjT7_P12ihipStream_tbENKUlT_T0_SE_SJ_E_clIS8_S8_S9_S9_EEDaSX_SY_SE_SJ_EUlSX_E_NS1_11comp_targetILNS1_3genE2ELNS1_11target_archE906ELNS1_3gpuE6ELNS1_3repE0EEENS1_47radix_sort_onesweep_sort_config_static_selectorELNS0_4arch9wavefront6targetE1EEEvSE_,@function
_ZN7rocprim17ROCPRIM_400000_NS6detail17trampoline_kernelINS0_14default_configENS1_35radix_sort_onesweep_config_selectorIiNS0_10empty_typeEEEZZNS1_29radix_sort_onesweep_iterationIS3_Lb0EPiS8_PS5_S9_mNS0_19identity_decomposerENS1_16block_id_wrapperIjLb1EEEEE10hipError_tT1_PNSt15iterator_traitsISE_E10value_typeET2_T3_PNSF_ISK_E10value_typeET4_T5_PSP_SQ_PNS1_23onesweep_lookback_stateEbbT6_jjT7_P12ihipStream_tbENKUlT_T0_SE_SJ_E_clIS8_S8_S9_S9_EEDaSX_SY_SE_SJ_EUlSX_E_NS1_11comp_targetILNS1_3genE2ELNS1_11target_archE906ELNS1_3gpuE6ELNS1_3repE0EEENS1_47radix_sort_onesweep_sort_config_static_selectorELNS0_4arch9wavefront6targetE1EEEvSE_: ; @_ZN7rocprim17ROCPRIM_400000_NS6detail17trampoline_kernelINS0_14default_configENS1_35radix_sort_onesweep_config_selectorIiNS0_10empty_typeEEEZZNS1_29radix_sort_onesweep_iterationIS3_Lb0EPiS8_PS5_S9_mNS0_19identity_decomposerENS1_16block_id_wrapperIjLb1EEEEE10hipError_tT1_PNSt15iterator_traitsISE_E10value_typeET2_T3_PNSF_ISK_E10value_typeET4_T5_PSP_SQ_PNS1_23onesweep_lookback_stateEbbT6_jjT7_P12ihipStream_tbENKUlT_T0_SE_SJ_E_clIS8_S8_S9_S9_EEDaSX_SY_SE_SJ_EUlSX_E_NS1_11comp_targetILNS1_3genE2ELNS1_11target_archE906ELNS1_3gpuE6ELNS1_3repE0EEENS1_47radix_sort_onesweep_sort_config_static_selectorELNS0_4arch9wavefront6targetE1EEEvSE_
; %bb.0:
	.section	.rodata,"a",@progbits
	.p2align	6, 0x0
	.amdhsa_kernel _ZN7rocprim17ROCPRIM_400000_NS6detail17trampoline_kernelINS0_14default_configENS1_35radix_sort_onesweep_config_selectorIiNS0_10empty_typeEEEZZNS1_29radix_sort_onesweep_iterationIS3_Lb0EPiS8_PS5_S9_mNS0_19identity_decomposerENS1_16block_id_wrapperIjLb1EEEEE10hipError_tT1_PNSt15iterator_traitsISE_E10value_typeET2_T3_PNSF_ISK_E10value_typeET4_T5_PSP_SQ_PNS1_23onesweep_lookback_stateEbbT6_jjT7_P12ihipStream_tbENKUlT_T0_SE_SJ_E_clIS8_S8_S9_S9_EEDaSX_SY_SE_SJ_EUlSX_E_NS1_11comp_targetILNS1_3genE2ELNS1_11target_archE906ELNS1_3gpuE6ELNS1_3repE0EEENS1_47radix_sort_onesweep_sort_config_static_selectorELNS0_4arch9wavefront6targetE1EEEvSE_
		.amdhsa_group_segment_fixed_size 0
		.amdhsa_private_segment_fixed_size 0
		.amdhsa_kernarg_size 88
		.amdhsa_user_sgpr_count 6
		.amdhsa_user_sgpr_private_segment_buffer 1
		.amdhsa_user_sgpr_dispatch_ptr 0
		.amdhsa_user_sgpr_queue_ptr 0
		.amdhsa_user_sgpr_kernarg_segment_ptr 1
		.amdhsa_user_sgpr_dispatch_id 0
		.amdhsa_user_sgpr_flat_scratch_init 0
		.amdhsa_user_sgpr_kernarg_preload_length 0
		.amdhsa_user_sgpr_kernarg_preload_offset 0
		.amdhsa_user_sgpr_private_segment_size 0
		.amdhsa_uses_dynamic_stack 0
		.amdhsa_system_sgpr_private_segment_wavefront_offset 0
		.amdhsa_system_sgpr_workgroup_id_x 1
		.amdhsa_system_sgpr_workgroup_id_y 0
		.amdhsa_system_sgpr_workgroup_id_z 0
		.amdhsa_system_sgpr_workgroup_info 0
		.amdhsa_system_vgpr_workitem_id 0
		.amdhsa_next_free_vgpr 1
		.amdhsa_next_free_sgpr 0
		.amdhsa_accum_offset 4
		.amdhsa_reserve_vcc 0
		.amdhsa_reserve_flat_scratch 0
		.amdhsa_float_round_mode_32 0
		.amdhsa_float_round_mode_16_64 0
		.amdhsa_float_denorm_mode_32 3
		.amdhsa_float_denorm_mode_16_64 3
		.amdhsa_dx10_clamp 1
		.amdhsa_ieee_mode 1
		.amdhsa_fp16_overflow 0
		.amdhsa_tg_split 0
		.amdhsa_exception_fp_ieee_invalid_op 0
		.amdhsa_exception_fp_denorm_src 0
		.amdhsa_exception_fp_ieee_div_zero 0
		.amdhsa_exception_fp_ieee_overflow 0
		.amdhsa_exception_fp_ieee_underflow 0
		.amdhsa_exception_fp_ieee_inexact 0
		.amdhsa_exception_int_div_zero 0
	.end_amdhsa_kernel
	.section	.text._ZN7rocprim17ROCPRIM_400000_NS6detail17trampoline_kernelINS0_14default_configENS1_35radix_sort_onesweep_config_selectorIiNS0_10empty_typeEEEZZNS1_29radix_sort_onesweep_iterationIS3_Lb0EPiS8_PS5_S9_mNS0_19identity_decomposerENS1_16block_id_wrapperIjLb1EEEEE10hipError_tT1_PNSt15iterator_traitsISE_E10value_typeET2_T3_PNSF_ISK_E10value_typeET4_T5_PSP_SQ_PNS1_23onesweep_lookback_stateEbbT6_jjT7_P12ihipStream_tbENKUlT_T0_SE_SJ_E_clIS8_S8_S9_S9_EEDaSX_SY_SE_SJ_EUlSX_E_NS1_11comp_targetILNS1_3genE2ELNS1_11target_archE906ELNS1_3gpuE6ELNS1_3repE0EEENS1_47radix_sort_onesweep_sort_config_static_selectorELNS0_4arch9wavefront6targetE1EEEvSE_,"axG",@progbits,_ZN7rocprim17ROCPRIM_400000_NS6detail17trampoline_kernelINS0_14default_configENS1_35radix_sort_onesweep_config_selectorIiNS0_10empty_typeEEEZZNS1_29radix_sort_onesweep_iterationIS3_Lb0EPiS8_PS5_S9_mNS0_19identity_decomposerENS1_16block_id_wrapperIjLb1EEEEE10hipError_tT1_PNSt15iterator_traitsISE_E10value_typeET2_T3_PNSF_ISK_E10value_typeET4_T5_PSP_SQ_PNS1_23onesweep_lookback_stateEbbT6_jjT7_P12ihipStream_tbENKUlT_T0_SE_SJ_E_clIS8_S8_S9_S9_EEDaSX_SY_SE_SJ_EUlSX_E_NS1_11comp_targetILNS1_3genE2ELNS1_11target_archE906ELNS1_3gpuE6ELNS1_3repE0EEENS1_47radix_sort_onesweep_sort_config_static_selectorELNS0_4arch9wavefront6targetE1EEEvSE_,comdat
.Lfunc_end653:
	.size	_ZN7rocprim17ROCPRIM_400000_NS6detail17trampoline_kernelINS0_14default_configENS1_35radix_sort_onesweep_config_selectorIiNS0_10empty_typeEEEZZNS1_29radix_sort_onesweep_iterationIS3_Lb0EPiS8_PS5_S9_mNS0_19identity_decomposerENS1_16block_id_wrapperIjLb1EEEEE10hipError_tT1_PNSt15iterator_traitsISE_E10value_typeET2_T3_PNSF_ISK_E10value_typeET4_T5_PSP_SQ_PNS1_23onesweep_lookback_stateEbbT6_jjT7_P12ihipStream_tbENKUlT_T0_SE_SJ_E_clIS8_S8_S9_S9_EEDaSX_SY_SE_SJ_EUlSX_E_NS1_11comp_targetILNS1_3genE2ELNS1_11target_archE906ELNS1_3gpuE6ELNS1_3repE0EEENS1_47radix_sort_onesweep_sort_config_static_selectorELNS0_4arch9wavefront6targetE1EEEvSE_, .Lfunc_end653-_ZN7rocprim17ROCPRIM_400000_NS6detail17trampoline_kernelINS0_14default_configENS1_35radix_sort_onesweep_config_selectorIiNS0_10empty_typeEEEZZNS1_29radix_sort_onesweep_iterationIS3_Lb0EPiS8_PS5_S9_mNS0_19identity_decomposerENS1_16block_id_wrapperIjLb1EEEEE10hipError_tT1_PNSt15iterator_traitsISE_E10value_typeET2_T3_PNSF_ISK_E10value_typeET4_T5_PSP_SQ_PNS1_23onesweep_lookback_stateEbbT6_jjT7_P12ihipStream_tbENKUlT_T0_SE_SJ_E_clIS8_S8_S9_S9_EEDaSX_SY_SE_SJ_EUlSX_E_NS1_11comp_targetILNS1_3genE2ELNS1_11target_archE906ELNS1_3gpuE6ELNS1_3repE0EEENS1_47radix_sort_onesweep_sort_config_static_selectorELNS0_4arch9wavefront6targetE1EEEvSE_
                                        ; -- End function
	.section	.AMDGPU.csdata,"",@progbits
; Kernel info:
; codeLenInByte = 0
; NumSgprs: 4
; NumVgprs: 0
; NumAgprs: 0
; TotalNumVgprs: 0
; ScratchSize: 0
; MemoryBound: 0
; FloatMode: 240
; IeeeMode: 1
; LDSByteSize: 0 bytes/workgroup (compile time only)
; SGPRBlocks: 0
; VGPRBlocks: 0
; NumSGPRsForWavesPerEU: 4
; NumVGPRsForWavesPerEU: 1
; AccumOffset: 4
; Occupancy: 8
; WaveLimiterHint : 0
; COMPUTE_PGM_RSRC2:SCRATCH_EN: 0
; COMPUTE_PGM_RSRC2:USER_SGPR: 6
; COMPUTE_PGM_RSRC2:TRAP_HANDLER: 0
; COMPUTE_PGM_RSRC2:TGID_X_EN: 1
; COMPUTE_PGM_RSRC2:TGID_Y_EN: 0
; COMPUTE_PGM_RSRC2:TGID_Z_EN: 0
; COMPUTE_PGM_RSRC2:TIDIG_COMP_CNT: 0
; COMPUTE_PGM_RSRC3_GFX90A:ACCUM_OFFSET: 0
; COMPUTE_PGM_RSRC3_GFX90A:TG_SPLIT: 0
	.section	.text._ZN7rocprim17ROCPRIM_400000_NS6detail17trampoline_kernelINS0_14default_configENS1_35radix_sort_onesweep_config_selectorIiNS0_10empty_typeEEEZZNS1_29radix_sort_onesweep_iterationIS3_Lb0EPiS8_PS5_S9_mNS0_19identity_decomposerENS1_16block_id_wrapperIjLb1EEEEE10hipError_tT1_PNSt15iterator_traitsISE_E10value_typeET2_T3_PNSF_ISK_E10value_typeET4_T5_PSP_SQ_PNS1_23onesweep_lookback_stateEbbT6_jjT7_P12ihipStream_tbENKUlT_T0_SE_SJ_E_clIS8_S8_S9_S9_EEDaSX_SY_SE_SJ_EUlSX_E_NS1_11comp_targetILNS1_3genE4ELNS1_11target_archE910ELNS1_3gpuE8ELNS1_3repE0EEENS1_47radix_sort_onesweep_sort_config_static_selectorELNS0_4arch9wavefront6targetE1EEEvSE_,"axG",@progbits,_ZN7rocprim17ROCPRIM_400000_NS6detail17trampoline_kernelINS0_14default_configENS1_35radix_sort_onesweep_config_selectorIiNS0_10empty_typeEEEZZNS1_29radix_sort_onesweep_iterationIS3_Lb0EPiS8_PS5_S9_mNS0_19identity_decomposerENS1_16block_id_wrapperIjLb1EEEEE10hipError_tT1_PNSt15iterator_traitsISE_E10value_typeET2_T3_PNSF_ISK_E10value_typeET4_T5_PSP_SQ_PNS1_23onesweep_lookback_stateEbbT6_jjT7_P12ihipStream_tbENKUlT_T0_SE_SJ_E_clIS8_S8_S9_S9_EEDaSX_SY_SE_SJ_EUlSX_E_NS1_11comp_targetILNS1_3genE4ELNS1_11target_archE910ELNS1_3gpuE8ELNS1_3repE0EEENS1_47radix_sort_onesweep_sort_config_static_selectorELNS0_4arch9wavefront6targetE1EEEvSE_,comdat
	.protected	_ZN7rocprim17ROCPRIM_400000_NS6detail17trampoline_kernelINS0_14default_configENS1_35radix_sort_onesweep_config_selectorIiNS0_10empty_typeEEEZZNS1_29radix_sort_onesweep_iterationIS3_Lb0EPiS8_PS5_S9_mNS0_19identity_decomposerENS1_16block_id_wrapperIjLb1EEEEE10hipError_tT1_PNSt15iterator_traitsISE_E10value_typeET2_T3_PNSF_ISK_E10value_typeET4_T5_PSP_SQ_PNS1_23onesweep_lookback_stateEbbT6_jjT7_P12ihipStream_tbENKUlT_T0_SE_SJ_E_clIS8_S8_S9_S9_EEDaSX_SY_SE_SJ_EUlSX_E_NS1_11comp_targetILNS1_3genE4ELNS1_11target_archE910ELNS1_3gpuE8ELNS1_3repE0EEENS1_47radix_sort_onesweep_sort_config_static_selectorELNS0_4arch9wavefront6targetE1EEEvSE_ ; -- Begin function _ZN7rocprim17ROCPRIM_400000_NS6detail17trampoline_kernelINS0_14default_configENS1_35radix_sort_onesweep_config_selectorIiNS0_10empty_typeEEEZZNS1_29radix_sort_onesweep_iterationIS3_Lb0EPiS8_PS5_S9_mNS0_19identity_decomposerENS1_16block_id_wrapperIjLb1EEEEE10hipError_tT1_PNSt15iterator_traitsISE_E10value_typeET2_T3_PNSF_ISK_E10value_typeET4_T5_PSP_SQ_PNS1_23onesweep_lookback_stateEbbT6_jjT7_P12ihipStream_tbENKUlT_T0_SE_SJ_E_clIS8_S8_S9_S9_EEDaSX_SY_SE_SJ_EUlSX_E_NS1_11comp_targetILNS1_3genE4ELNS1_11target_archE910ELNS1_3gpuE8ELNS1_3repE0EEENS1_47radix_sort_onesweep_sort_config_static_selectorELNS0_4arch9wavefront6targetE1EEEvSE_
	.globl	_ZN7rocprim17ROCPRIM_400000_NS6detail17trampoline_kernelINS0_14default_configENS1_35radix_sort_onesweep_config_selectorIiNS0_10empty_typeEEEZZNS1_29radix_sort_onesweep_iterationIS3_Lb0EPiS8_PS5_S9_mNS0_19identity_decomposerENS1_16block_id_wrapperIjLb1EEEEE10hipError_tT1_PNSt15iterator_traitsISE_E10value_typeET2_T3_PNSF_ISK_E10value_typeET4_T5_PSP_SQ_PNS1_23onesweep_lookback_stateEbbT6_jjT7_P12ihipStream_tbENKUlT_T0_SE_SJ_E_clIS8_S8_S9_S9_EEDaSX_SY_SE_SJ_EUlSX_E_NS1_11comp_targetILNS1_3genE4ELNS1_11target_archE910ELNS1_3gpuE8ELNS1_3repE0EEENS1_47radix_sort_onesweep_sort_config_static_selectorELNS0_4arch9wavefront6targetE1EEEvSE_
	.p2align	8
	.type	_ZN7rocprim17ROCPRIM_400000_NS6detail17trampoline_kernelINS0_14default_configENS1_35radix_sort_onesweep_config_selectorIiNS0_10empty_typeEEEZZNS1_29radix_sort_onesweep_iterationIS3_Lb0EPiS8_PS5_S9_mNS0_19identity_decomposerENS1_16block_id_wrapperIjLb1EEEEE10hipError_tT1_PNSt15iterator_traitsISE_E10value_typeET2_T3_PNSF_ISK_E10value_typeET4_T5_PSP_SQ_PNS1_23onesweep_lookback_stateEbbT6_jjT7_P12ihipStream_tbENKUlT_T0_SE_SJ_E_clIS8_S8_S9_S9_EEDaSX_SY_SE_SJ_EUlSX_E_NS1_11comp_targetILNS1_3genE4ELNS1_11target_archE910ELNS1_3gpuE8ELNS1_3repE0EEENS1_47radix_sort_onesweep_sort_config_static_selectorELNS0_4arch9wavefront6targetE1EEEvSE_,@function
_ZN7rocprim17ROCPRIM_400000_NS6detail17trampoline_kernelINS0_14default_configENS1_35radix_sort_onesweep_config_selectorIiNS0_10empty_typeEEEZZNS1_29radix_sort_onesweep_iterationIS3_Lb0EPiS8_PS5_S9_mNS0_19identity_decomposerENS1_16block_id_wrapperIjLb1EEEEE10hipError_tT1_PNSt15iterator_traitsISE_E10value_typeET2_T3_PNSF_ISK_E10value_typeET4_T5_PSP_SQ_PNS1_23onesweep_lookback_stateEbbT6_jjT7_P12ihipStream_tbENKUlT_T0_SE_SJ_E_clIS8_S8_S9_S9_EEDaSX_SY_SE_SJ_EUlSX_E_NS1_11comp_targetILNS1_3genE4ELNS1_11target_archE910ELNS1_3gpuE8ELNS1_3repE0EEENS1_47radix_sort_onesweep_sort_config_static_selectorELNS0_4arch9wavefront6targetE1EEEvSE_: ; @_ZN7rocprim17ROCPRIM_400000_NS6detail17trampoline_kernelINS0_14default_configENS1_35radix_sort_onesweep_config_selectorIiNS0_10empty_typeEEEZZNS1_29radix_sort_onesweep_iterationIS3_Lb0EPiS8_PS5_S9_mNS0_19identity_decomposerENS1_16block_id_wrapperIjLb1EEEEE10hipError_tT1_PNSt15iterator_traitsISE_E10value_typeET2_T3_PNSF_ISK_E10value_typeET4_T5_PSP_SQ_PNS1_23onesweep_lookback_stateEbbT6_jjT7_P12ihipStream_tbENKUlT_T0_SE_SJ_E_clIS8_S8_S9_S9_EEDaSX_SY_SE_SJ_EUlSX_E_NS1_11comp_targetILNS1_3genE4ELNS1_11target_archE910ELNS1_3gpuE8ELNS1_3repE0EEENS1_47radix_sort_onesweep_sort_config_static_selectorELNS0_4arch9wavefront6targetE1EEEvSE_
; %bb.0:
	s_load_dwordx4 s[16:19], s[4:5], 0x28
	s_load_dwordx2 s[14:15], s[4:5], 0x38
	s_load_dwordx4 s[20:23], s[4:5], 0x44
	v_and_b32_e32 v2, 0x3ff, v0
	v_cmp_eq_u32_e64 s[0:1], 0, v2
	s_and_saveexec_b64 s[2:3], s[0:1]
	s_cbranch_execz .LBB654_4
; %bb.1:
	s_mov_b64 s[10:11], exec
	v_mbcnt_lo_u32_b32 v1, s10, 0
	v_mbcnt_hi_u32_b32 v1, s11, v1
	v_cmp_eq_u32_e32 vcc, 0, v1
                                        ; implicit-def: $vgpr3
	s_and_saveexec_b64 s[8:9], vcc
	s_cbranch_execz .LBB654_3
; %bb.2:
	s_load_dwordx2 s[12:13], s[4:5], 0x50
	s_bcnt1_i32_b64 s7, s[10:11]
	v_mov_b32_e32 v3, 0
	v_mov_b32_e32 v4, s7
	s_waitcnt lgkmcnt(0)
	global_atomic_add v3, v3, v4, s[12:13] glc
.LBB654_3:
	s_or_b64 exec, exec, s[8:9]
	s_waitcnt vmcnt(0)
	v_readfirstlane_b32 s7, v3
	v_add_u32_e32 v1, s7, v1
	v_mov_b32_e32 v3, 0
	ds_write_b32 v3, v1 offset:20544
.LBB654_4:
	s_or_b64 exec, exec, s[2:3]
	v_mov_b32_e32 v1, 0
	s_load_dwordx4 s[24:27], s[4:5], 0x0
	s_load_dword s2, s[4:5], 0x20
	s_waitcnt lgkmcnt(0)
	s_barrier
	ds_read_b32 v1, v1 offset:20544
	v_mbcnt_lo_u32_b32 v12, -1, 0
	s_waitcnt lgkmcnt(0)
	s_barrier
	v_readfirstlane_b32 s30, v1
	v_cmp_le_u32_e32 vcc, s22, v1
	s_mul_i32 s28, s30, 0x3000
	s_cbranch_vccz .LBB654_85
; %bb.5:
	s_mul_i32 s7, s22, 0xffffd000
	s_mov_b32 s29, 0
	s_add_i32 s7, s7, s2
	s_lshl_b64 s[2:3], s[28:29], 2
	v_mbcnt_hi_u32_b32 v1, -1, v12
	s_add_u32 s2, s24, s2
	v_and_b32_e32 v3, 63, v1
	v_and_b32_e32 v4, 0x3c0, v2
	s_addc_u32 s3, s25, s3
	v_mul_u32_u24_e32 v6, 12, v4
	v_lshlrev_b32_e32 v4, 2, v3
	v_mov_b32_e32 v5, s3
	v_add_co_u32_e32 v4, vcc, s2, v4
	v_addc_co_u32_e32 v5, vcc, 0, v5, vcc
	v_lshlrev_b32_e32 v7, 2, v6
	v_add_co_u32_e32 v4, vcc, v4, v7
	v_addc_co_u32_e32 v5, vcc, 0, v5, vcc
	v_or_b32_e32 v6, v3, v6
	v_cmp_gt_u32_e32 vcc, s7, v6
	v_bfrev_b32_e32 v9, -2
	v_bfrev_b32_e32 v3, -2
	s_and_saveexec_b64 s[2:3], vcc
	s_cbranch_execz .LBB654_7
; %bb.6:
	global_load_dword v3, v[4:5], off
.LBB654_7:
	s_or_b64 exec, exec, s[2:3]
	v_or_b32_e32 v7, 64, v6
	v_cmp_gt_u32_e32 vcc, s7, v7
	s_and_saveexec_b64 s[2:3], vcc
	s_cbranch_execz .LBB654_9
; %bb.8:
	global_load_dword v9, v[4:5], off offset:256
.LBB654_9:
	s_or_b64 exec, exec, s[2:3]
	v_or_b32_e32 v7, 0x80, v6
	v_cmp_gt_u32_e32 vcc, s7, v7
	v_bfrev_b32_e32 v18, -2
	v_bfrev_b32_e32 v11, -2
	s_and_saveexec_b64 s[2:3], vcc
	s_cbranch_execz .LBB654_11
; %bb.10:
	global_load_dword v11, v[4:5], off offset:512
.LBB654_11:
	s_or_b64 exec, exec, s[2:3]
	v_or_b32_e32 v7, 0xc0, v6
	v_cmp_gt_u32_e32 vcc, s7, v7
	s_and_saveexec_b64 s[2:3], vcc
	s_cbranch_execz .LBB654_13
; %bb.12:
	global_load_dword v18, v[4:5], off offset:768
.LBB654_13:
	s_or_b64 exec, exec, s[2:3]
	v_add_u32_e32 v7, 0x100, v6
	v_cmp_gt_u32_e32 vcc, s7, v7
	v_bfrev_b32_e32 v24, -2
	v_bfrev_b32_e32 v21, -2
	s_and_saveexec_b64 s[2:3], vcc
	s_cbranch_execz .LBB654_15
; %bb.14:
	global_load_dword v21, v[4:5], off offset:1024
.LBB654_15:
	s_or_b64 exec, exec, s[2:3]
	v_add_u32_e32 v7, 0x140, v6
	v_cmp_gt_u32_e32 vcc, s7, v7
	s_and_saveexec_b64 s[2:3], vcc
	s_cbranch_execz .LBB654_17
; %bb.16:
	global_load_dword v24, v[4:5], off offset:1280
.LBB654_17:
	s_or_b64 exec, exec, s[2:3]
	v_add_u32_e32 v7, 0x180, v6
	v_cmp_gt_u32_e32 vcc, s7, v7
	v_bfrev_b32_e32 v34, -2
	v_bfrev_b32_e32 v28, -2
	s_and_saveexec_b64 s[2:3], vcc
	s_cbranch_execz .LBB654_19
; %bb.18:
	global_load_dword v28, v[4:5], off offset:1536
.LBB654_19:
	s_or_b64 exec, exec, s[2:3]
	v_add_u32_e32 v7, 0x1c0, v6
	;; [unrolled: 18-line block ×4, first 2 shown]
	v_cmp_gt_u32_e32 vcc, s7, v6
	s_and_saveexec_b64 s[2:3], vcc
	s_cbranch_execz .LBB654_29
; %bb.28:
	global_load_dword v10, v[4:5], off offset:2816
.LBB654_29:
	s_or_b64 exec, exec, s[2:3]
	s_load_dword s2, s[4:5], 0x64
	s_load_dword s29, s[4:5], 0x58
	s_add_u32 s3, s4, 0x58
	s_addc_u32 s8, s5, 0
	v_mov_b32_e32 v4, 0
	s_waitcnt lgkmcnt(0)
	s_lshr_b32 s9, s2, 16
	s_cmp_lt_u32 s6, s29
	s_cselect_b32 s2, 12, 18
	s_add_u32 s2, s3, s2
	s_addc_u32 s3, s8, 0
	global_load_ushort v6, v4, s[2:3]
	s_waitcnt vmcnt(1)
	v_xor_b32_e32 v13, 0x80000000, v3
	s_lshl_b32 s2, -1, s21
	v_lshrrev_b32_e32 v8, s20, v13
	s_not_b32 s31, s2
	v_and_b32_e32 v8, s31, v8
	v_and_b32_e32 v15, 1, v8
	v_bfe_u32 v5, v0, 10, 10
	v_bfe_u32 v7, v0, 20, 10
	v_add_co_u32_e32 v16, vcc, -1, v15
	v_mad_u32_u24 v7, v7, s9, v5
	v_lshlrev_b32_e32 v5, 30, v8
	v_addc_co_u32_e64 v17, s[2:3], 0, -1, vcc
	v_cmp_ne_u32_e32 vcc, 0, v15
	v_cmp_gt_i64_e64 s[2:3], 0, v[4:5]
	v_not_b32_e32 v15, v5
	v_lshlrev_b32_e32 v5, 29, v8
	v_xor_b32_e32 v17, vcc_hi, v17
	v_xor_b32_e32 v16, vcc_lo, v16
	v_ashrrev_i32_e32 v15, 31, v15
	v_cmp_gt_i64_e32 vcc, 0, v[4:5]
	v_not_b32_e32 v19, v5
	v_lshlrev_b32_e32 v5, 28, v8
	v_and_b32_e32 v17, exec_hi, v17
	v_and_b32_e32 v16, exec_lo, v16
	v_xor_b32_e32 v20, s3, v15
	v_xor_b32_e32 v15, s2, v15
	v_ashrrev_i32_e32 v19, 31, v19
	v_cmp_gt_i64_e64 s[2:3], 0, v[4:5]
	v_not_b32_e32 v22, v5
	v_lshlrev_b32_e32 v5, 27, v8
	v_and_b32_e32 v17, v17, v20
	v_and_b32_e32 v15, v16, v15
	v_xor_b32_e32 v16, vcc_hi, v19
	v_xor_b32_e32 v19, vcc_lo, v19
	v_ashrrev_i32_e32 v20, 31, v22
	v_cmp_gt_i64_e32 vcc, 0, v[4:5]
	v_not_b32_e32 v22, v5
	v_lshlrev_b32_e32 v5, 26, v8
	v_and_b32_e32 v16, v17, v16
	v_and_b32_e32 v15, v15, v19
	v_xor_b32_e32 v17, s3, v20
	v_xor_b32_e32 v19, s2, v20
	v_ashrrev_i32_e32 v20, 31, v22
	v_cmp_gt_i64_e64 s[2:3], 0, v[4:5]
	v_not_b32_e32 v22, v5
	v_lshlrev_b32_e32 v5, 25, v8
	v_mul_u32_u24_e32 v3, 5, v2
	v_and_b32_e32 v16, v16, v17
	v_and_b32_e32 v15, v15, v19
	v_xor_b32_e32 v17, vcc_hi, v20
	v_xor_b32_e32 v19, vcc_lo, v20
	v_ashrrev_i32_e32 v20, 31, v22
	v_cmp_gt_i64_e32 vcc, 0, v[4:5]
	v_not_b32_e32 v22, v5
	v_lshlrev_b32_e32 v5, 24, v8
	v_lshlrev_b32_e32 v3, 2, v3
	v_lshl_add_u32 v14, v8, 4, v8
	v_and_b32_e32 v8, v16, v17
	v_and_b32_e32 v15, v15, v19
	v_xor_b32_e32 v16, s3, v20
	v_xor_b32_e32 v17, s2, v20
	v_ashrrev_i32_e32 v19, 31, v22
	v_cmp_gt_i64_e64 s[2:3], 0, v[4:5]
	v_not_b32_e32 v5, v5
	v_and_b32_e32 v8, v8, v16
	v_and_b32_e32 v15, v15, v17
	v_xor_b32_e32 v16, vcc_hi, v19
	v_xor_b32_e32 v17, vcc_lo, v19
	v_ashrrev_i32_e32 v5, 31, v5
	v_and_b32_e32 v16, v8, v16
	v_and_b32_e32 v15, v15, v17
	ds_write2_b32 v3, v4, v4 offset0:16 offset1:17
	ds_write2_b32 v3, v4, v4 offset0:18 offset1:19
	ds_write_b32 v3, v4 offset:80
	s_waitcnt lgkmcnt(0)
	s_barrier
	s_waitcnt lgkmcnt(0)
	; wave barrier
	s_waitcnt vmcnt(0)
	v_mad_u64_u32 v[6:7], s[8:9], v7, v6, v[2:3]
	v_lshrrev_b32_e32 v29, 6, v6
	v_xor_b32_e32 v6, s3, v5
	v_xor_b32_e32 v5, s2, v5
	v_and_b32_e32 v7, v16, v6
	v_and_b32_e32 v6, v15, v5
	v_mbcnt_lo_u32_b32 v5, v6, 0
	v_mbcnt_hi_u32_b32 v16, v7, v5
	v_cmp_eq_u32_e32 vcc, 0, v16
	v_cmp_ne_u64_e64 s[2:3], 0, v[6:7]
	v_add_lshl_u32 v8, v29, v14, 2
	s_and_b64 s[8:9], s[2:3], vcc
	s_and_saveexec_b64 s[2:3], s[8:9]
	s_cbranch_execz .LBB654_31
; %bb.30:
	v_bcnt_u32_b32 v5, v6, 0
	v_bcnt_u32_b32 v5, v7, v5
	ds_write_b32 v8, v5 offset:64
.LBB654_31:
	s_or_b64 exec, exec, s[2:3]
	v_xor_b32_e32 v14, 0x80000000, v9
	v_lshrrev_b32_e32 v5, s20, v14
	v_and_b32_e32 v6, s31, v5
	v_lshl_add_u32 v5, v6, 4, v6
	v_add_lshl_u32 v9, v29, v5, 2
	v_and_b32_e32 v5, 1, v6
	v_add_co_u32_e32 v7, vcc, -1, v5
	v_addc_co_u32_e64 v15, s[2:3], 0, -1, vcc
	v_cmp_ne_u32_e32 vcc, 0, v5
	v_xor_b32_e32 v5, vcc_hi, v15
	v_and_b32_e32 v15, exec_hi, v5
	v_lshlrev_b32_e32 v5, 30, v6
	v_xor_b32_e32 v7, vcc_lo, v7
	v_cmp_gt_i64_e32 vcc, 0, v[4:5]
	v_not_b32_e32 v5, v5
	v_ashrrev_i32_e32 v5, 31, v5
	v_and_b32_e32 v7, exec_lo, v7
	v_xor_b32_e32 v19, vcc_hi, v5
	v_xor_b32_e32 v5, vcc_lo, v5
	v_and_b32_e32 v7, v7, v5
	v_lshlrev_b32_e32 v5, 29, v6
	v_cmp_gt_i64_e32 vcc, 0, v[4:5]
	v_not_b32_e32 v5, v5
	v_ashrrev_i32_e32 v5, 31, v5
	v_and_b32_e32 v15, v15, v19
	v_xor_b32_e32 v19, vcc_hi, v5
	v_xor_b32_e32 v5, vcc_lo, v5
	v_and_b32_e32 v7, v7, v5
	v_lshlrev_b32_e32 v5, 28, v6
	v_cmp_gt_i64_e32 vcc, 0, v[4:5]
	v_not_b32_e32 v5, v5
	v_ashrrev_i32_e32 v5, 31, v5
	v_and_b32_e32 v15, v15, v19
	;; [unrolled: 8-line block ×5, first 2 shown]
	v_xor_b32_e32 v19, vcc_hi, v5
	v_xor_b32_e32 v5, vcc_lo, v5
	v_and_b32_e32 v7, v7, v5
	v_lshlrev_b32_e32 v5, 24, v6
	v_cmp_gt_i64_e32 vcc, 0, v[4:5]
	v_not_b32_e32 v4, v5
	v_ashrrev_i32_e32 v4, 31, v4
	v_xor_b32_e32 v5, vcc_hi, v4
	v_xor_b32_e32 v4, vcc_lo, v4
	; wave barrier
	ds_read_b32 v17, v9 offset:64
	v_and_b32_e32 v15, v15, v19
	v_and_b32_e32 v4, v7, v4
	v_and_b32_e32 v5, v15, v5
	v_mbcnt_lo_u32_b32 v6, v4, 0
	v_mbcnt_hi_u32_b32 v19, v5, v6
	v_cmp_eq_u32_e32 vcc, 0, v19
	v_cmp_ne_u64_e64 s[2:3], 0, v[4:5]
	s_and_b64 s[8:9], s[2:3], vcc
	; wave barrier
	s_and_saveexec_b64 s[2:3], s[8:9]
	s_cbranch_execz .LBB654_33
; %bb.32:
	v_bcnt_u32_b32 v4, v4, 0
	v_bcnt_u32_b32 v4, v5, v4
	s_waitcnt lgkmcnt(0)
	v_add_u32_e32 v4, v17, v4
	ds_write_b32 v9, v4 offset:64
.LBB654_33:
	s_or_b64 exec, exec, s[2:3]
	v_xor_b32_e32 v15, 0x80000000, v11
	v_lshrrev_b32_e32 v4, s20, v15
	v_and_b32_e32 v6, s31, v4
	v_and_b32_e32 v5, 1, v6
	v_add_co_u32_e32 v7, vcc, -1, v5
	v_addc_co_u32_e64 v22, s[2:3], 0, -1, vcc
	v_cmp_ne_u32_e32 vcc, 0, v5
	v_lshl_add_u32 v4, v6, 4, v6
	v_xor_b32_e32 v5, vcc_hi, v22
	v_add_lshl_u32 v11, v29, v4, 2
	v_mov_b32_e32 v4, 0
	v_and_b32_e32 v22, exec_hi, v5
	v_lshlrev_b32_e32 v5, 30, v6
	v_xor_b32_e32 v7, vcc_lo, v7
	v_cmp_gt_i64_e32 vcc, 0, v[4:5]
	v_not_b32_e32 v5, v5
	v_ashrrev_i32_e32 v5, 31, v5
	v_and_b32_e32 v7, exec_lo, v7
	v_xor_b32_e32 v23, vcc_hi, v5
	v_xor_b32_e32 v5, vcc_lo, v5
	v_and_b32_e32 v7, v7, v5
	v_lshlrev_b32_e32 v5, 29, v6
	v_cmp_gt_i64_e32 vcc, 0, v[4:5]
	v_not_b32_e32 v5, v5
	v_ashrrev_i32_e32 v5, 31, v5
	v_and_b32_e32 v22, v22, v23
	v_xor_b32_e32 v23, vcc_hi, v5
	v_xor_b32_e32 v5, vcc_lo, v5
	v_and_b32_e32 v7, v7, v5
	v_lshlrev_b32_e32 v5, 28, v6
	v_cmp_gt_i64_e32 vcc, 0, v[4:5]
	v_not_b32_e32 v5, v5
	v_ashrrev_i32_e32 v5, 31, v5
	v_and_b32_e32 v22, v22, v23
	;; [unrolled: 8-line block ×5, first 2 shown]
	v_xor_b32_e32 v23, vcc_hi, v5
	v_xor_b32_e32 v5, vcc_lo, v5
	v_and_b32_e32 v22, v22, v23
	v_and_b32_e32 v23, v7, v5
	v_lshlrev_b32_e32 v5, 24, v6
	v_cmp_gt_i64_e32 vcc, 0, v[4:5]
	v_not_b32_e32 v5, v5
	v_ashrrev_i32_e32 v5, 31, v5
	v_xor_b32_e32 v6, vcc_hi, v5
	v_xor_b32_e32 v5, vcc_lo, v5
	; wave barrier
	ds_read_b32 v20, v11 offset:64
	v_and_b32_e32 v7, v22, v6
	v_and_b32_e32 v6, v23, v5
	v_mbcnt_lo_u32_b32 v5, v6, 0
	v_mbcnt_hi_u32_b32 v22, v7, v5
	v_cmp_eq_u32_e32 vcc, 0, v22
	v_cmp_ne_u64_e64 s[2:3], 0, v[6:7]
	s_and_b64 s[8:9], s[2:3], vcc
	; wave barrier
	s_and_saveexec_b64 s[2:3], s[8:9]
	s_cbranch_execz .LBB654_35
; %bb.34:
	v_bcnt_u32_b32 v5, v6, 0
	v_bcnt_u32_b32 v5, v7, v5
	s_waitcnt lgkmcnt(0)
	v_add_u32_e32 v5, v20, v5
	ds_write_b32 v11, v5 offset:64
.LBB654_35:
	s_or_b64 exec, exec, s[2:3]
	v_xor_b32_e32 v18, 0x80000000, v18
	v_lshrrev_b32_e32 v5, s20, v18
	v_and_b32_e32 v6, s31, v5
	v_lshl_add_u32 v5, v6, 4, v6
	v_add_lshl_u32 v32, v29, v5, 2
	v_and_b32_e32 v5, 1, v6
	v_add_co_u32_e32 v7, vcc, -1, v5
	v_addc_co_u32_e64 v25, s[2:3], 0, -1, vcc
	v_cmp_ne_u32_e32 vcc, 0, v5
	v_xor_b32_e32 v5, vcc_hi, v25
	v_and_b32_e32 v25, exec_hi, v5
	v_lshlrev_b32_e32 v5, 30, v6
	v_xor_b32_e32 v7, vcc_lo, v7
	v_cmp_gt_i64_e32 vcc, 0, v[4:5]
	v_not_b32_e32 v5, v5
	v_ashrrev_i32_e32 v5, 31, v5
	v_and_b32_e32 v7, exec_lo, v7
	v_xor_b32_e32 v27, vcc_hi, v5
	v_xor_b32_e32 v5, vcc_lo, v5
	v_and_b32_e32 v7, v7, v5
	v_lshlrev_b32_e32 v5, 29, v6
	v_cmp_gt_i64_e32 vcc, 0, v[4:5]
	v_not_b32_e32 v5, v5
	v_ashrrev_i32_e32 v5, 31, v5
	v_and_b32_e32 v25, v25, v27
	v_xor_b32_e32 v27, vcc_hi, v5
	v_xor_b32_e32 v5, vcc_lo, v5
	v_and_b32_e32 v7, v7, v5
	v_lshlrev_b32_e32 v5, 28, v6
	v_cmp_gt_i64_e32 vcc, 0, v[4:5]
	v_not_b32_e32 v5, v5
	v_ashrrev_i32_e32 v5, 31, v5
	v_and_b32_e32 v25, v25, v27
	;; [unrolled: 8-line block ×5, first 2 shown]
	v_xor_b32_e32 v27, vcc_hi, v5
	v_xor_b32_e32 v5, vcc_lo, v5
	v_and_b32_e32 v7, v7, v5
	v_lshlrev_b32_e32 v5, 24, v6
	v_cmp_gt_i64_e32 vcc, 0, v[4:5]
	v_not_b32_e32 v4, v5
	v_ashrrev_i32_e32 v4, 31, v4
	v_xor_b32_e32 v5, vcc_hi, v4
	v_xor_b32_e32 v4, vcc_lo, v4
	; wave barrier
	ds_read_b32 v23, v32 offset:64
	v_and_b32_e32 v25, v25, v27
	v_and_b32_e32 v4, v7, v4
	;; [unrolled: 1-line block ×3, first 2 shown]
	v_mbcnt_lo_u32_b32 v6, v4, 0
	v_mbcnt_hi_u32_b32 v25, v5, v6
	v_cmp_eq_u32_e32 vcc, 0, v25
	v_cmp_ne_u64_e64 s[2:3], 0, v[4:5]
	s_and_b64 s[8:9], s[2:3], vcc
	; wave barrier
	s_and_saveexec_b64 s[2:3], s[8:9]
	s_cbranch_execz .LBB654_37
; %bb.36:
	v_bcnt_u32_b32 v4, v4, 0
	v_bcnt_u32_b32 v4, v5, v4
	s_waitcnt lgkmcnt(0)
	v_add_u32_e32 v4, v23, v4
	ds_write_b32 v32, v4 offset:64
.LBB654_37:
	s_or_b64 exec, exec, s[2:3]
	v_xor_b32_e32 v21, 0x80000000, v21
	v_lshrrev_b32_e32 v4, s20, v21
	v_and_b32_e32 v6, s31, v4
	v_and_b32_e32 v5, 1, v6
	v_add_co_u32_e32 v7, vcc, -1, v5
	v_addc_co_u32_e64 v31, s[2:3], 0, -1, vcc
	v_cmp_ne_u32_e32 vcc, 0, v5
	v_lshl_add_u32 v4, v6, 4, v6
	v_xor_b32_e32 v5, vcc_hi, v31
	v_add_lshl_u32 v37, v29, v4, 2
	v_mov_b32_e32 v4, 0
	v_and_b32_e32 v31, exec_hi, v5
	v_lshlrev_b32_e32 v5, 30, v6
	v_xor_b32_e32 v7, vcc_lo, v7
	v_cmp_gt_i64_e32 vcc, 0, v[4:5]
	v_not_b32_e32 v5, v5
	v_ashrrev_i32_e32 v5, 31, v5
	v_and_b32_e32 v7, exec_lo, v7
	v_xor_b32_e32 v33, vcc_hi, v5
	v_xor_b32_e32 v5, vcc_lo, v5
	v_and_b32_e32 v7, v7, v5
	v_lshlrev_b32_e32 v5, 29, v6
	v_cmp_gt_i64_e32 vcc, 0, v[4:5]
	v_not_b32_e32 v5, v5
	v_ashrrev_i32_e32 v5, 31, v5
	v_and_b32_e32 v31, v31, v33
	v_xor_b32_e32 v33, vcc_hi, v5
	v_xor_b32_e32 v5, vcc_lo, v5
	v_and_b32_e32 v7, v7, v5
	v_lshlrev_b32_e32 v5, 28, v6
	v_cmp_gt_i64_e32 vcc, 0, v[4:5]
	v_not_b32_e32 v5, v5
	v_ashrrev_i32_e32 v5, 31, v5
	v_and_b32_e32 v31, v31, v33
	v_xor_b32_e32 v33, vcc_hi, v5
	v_xor_b32_e32 v5, vcc_lo, v5
	v_and_b32_e32 v7, v7, v5
	v_lshlrev_b32_e32 v5, 27, v6
	v_cmp_gt_i64_e32 vcc, 0, v[4:5]
	v_not_b32_e32 v5, v5
	v_ashrrev_i32_e32 v5, 31, v5
	v_and_b32_e32 v31, v31, v33
	v_xor_b32_e32 v33, vcc_hi, v5
	v_xor_b32_e32 v5, vcc_lo, v5
	v_and_b32_e32 v7, v7, v5
	v_lshlrev_b32_e32 v5, 26, v6
	v_cmp_gt_i64_e32 vcc, 0, v[4:5]
	v_not_b32_e32 v5, v5
	v_ashrrev_i32_e32 v5, 31, v5
	v_and_b32_e32 v31, v31, v33
	v_xor_b32_e32 v33, vcc_hi, v5
	v_xor_b32_e32 v5, vcc_lo, v5
	v_and_b32_e32 v7, v7, v5
	v_lshlrev_b32_e32 v5, 25, v6
	v_cmp_gt_i64_e32 vcc, 0, v[4:5]
	v_not_b32_e32 v5, v5
	v_ashrrev_i32_e32 v5, 31, v5
	v_and_b32_e32 v31, v31, v33
	v_xor_b32_e32 v33, vcc_hi, v5
	v_xor_b32_e32 v5, vcc_lo, v5
	v_and_b32_e32 v31, v31, v33
	v_and_b32_e32 v33, v7, v5
	v_lshlrev_b32_e32 v5, 24, v6
	v_cmp_gt_i64_e32 vcc, 0, v[4:5]
	v_not_b32_e32 v5, v5
	v_ashrrev_i32_e32 v5, 31, v5
	v_xor_b32_e32 v6, vcc_hi, v5
	v_xor_b32_e32 v5, vcc_lo, v5
	; wave barrier
	ds_read_b32 v27, v37 offset:64
	v_and_b32_e32 v7, v31, v6
	v_and_b32_e32 v6, v33, v5
	v_mbcnt_lo_u32_b32 v5, v6, 0
	v_mbcnt_hi_u32_b32 v31, v7, v5
	v_cmp_eq_u32_e32 vcc, 0, v31
	v_cmp_ne_u64_e64 s[2:3], 0, v[6:7]
	s_and_b64 s[8:9], s[2:3], vcc
	; wave barrier
	s_and_saveexec_b64 s[2:3], s[8:9]
	s_cbranch_execz .LBB654_39
; %bb.38:
	v_bcnt_u32_b32 v5, v6, 0
	v_bcnt_u32_b32 v5, v7, v5
	s_waitcnt lgkmcnt(0)
	v_add_u32_e32 v5, v27, v5
	ds_write_b32 v37, v5 offset:64
.LBB654_39:
	s_or_b64 exec, exec, s[2:3]
	v_xor_b32_e32 v24, 0x80000000, v24
	v_lshrrev_b32_e32 v5, s20, v24
	v_and_b32_e32 v6, s31, v5
	v_lshl_add_u32 v5, v6, 4, v6
	v_add_lshl_u32 v40, v29, v5, 2
	v_and_b32_e32 v5, 1, v6
	v_add_co_u32_e32 v7, vcc, -1, v5
	v_addc_co_u32_e64 v36, s[2:3], 0, -1, vcc
	v_cmp_ne_u32_e32 vcc, 0, v5
	v_xor_b32_e32 v5, vcc_hi, v36
	v_and_b32_e32 v36, exec_hi, v5
	v_lshlrev_b32_e32 v5, 30, v6
	v_xor_b32_e32 v7, vcc_lo, v7
	v_cmp_gt_i64_e32 vcc, 0, v[4:5]
	v_not_b32_e32 v5, v5
	v_ashrrev_i32_e32 v5, 31, v5
	v_and_b32_e32 v7, exec_lo, v7
	v_xor_b32_e32 v38, vcc_hi, v5
	v_xor_b32_e32 v5, vcc_lo, v5
	v_and_b32_e32 v7, v7, v5
	v_lshlrev_b32_e32 v5, 29, v6
	v_cmp_gt_i64_e32 vcc, 0, v[4:5]
	v_not_b32_e32 v5, v5
	v_ashrrev_i32_e32 v5, 31, v5
	v_and_b32_e32 v36, v36, v38
	v_xor_b32_e32 v38, vcc_hi, v5
	v_xor_b32_e32 v5, vcc_lo, v5
	v_and_b32_e32 v7, v7, v5
	v_lshlrev_b32_e32 v5, 28, v6
	v_cmp_gt_i64_e32 vcc, 0, v[4:5]
	v_not_b32_e32 v5, v5
	v_ashrrev_i32_e32 v5, 31, v5
	v_and_b32_e32 v36, v36, v38
	;; [unrolled: 8-line block ×5, first 2 shown]
	v_xor_b32_e32 v38, vcc_hi, v5
	v_xor_b32_e32 v5, vcc_lo, v5
	v_and_b32_e32 v7, v7, v5
	v_lshlrev_b32_e32 v5, 24, v6
	v_cmp_gt_i64_e32 vcc, 0, v[4:5]
	v_not_b32_e32 v4, v5
	v_ashrrev_i32_e32 v4, 31, v4
	v_xor_b32_e32 v5, vcc_hi, v4
	v_xor_b32_e32 v4, vcc_lo, v4
	; wave barrier
	ds_read_b32 v33, v40 offset:64
	v_and_b32_e32 v36, v36, v38
	v_and_b32_e32 v4, v7, v4
	;; [unrolled: 1-line block ×3, first 2 shown]
	v_mbcnt_lo_u32_b32 v6, v4, 0
	v_mbcnt_hi_u32_b32 v36, v5, v6
	v_cmp_eq_u32_e32 vcc, 0, v36
	v_cmp_ne_u64_e64 s[2:3], 0, v[4:5]
	s_and_b64 s[8:9], s[2:3], vcc
	; wave barrier
	s_and_saveexec_b64 s[2:3], s[8:9]
	s_cbranch_execz .LBB654_41
; %bb.40:
	v_bcnt_u32_b32 v4, v4, 0
	v_bcnt_u32_b32 v4, v5, v4
	s_waitcnt lgkmcnt(0)
	v_add_u32_e32 v4, v33, v4
	ds_write_b32 v40, v4 offset:64
.LBB654_41:
	s_or_b64 exec, exec, s[2:3]
	v_xor_b32_e32 v28, 0x80000000, v28
	v_lshrrev_b32_e32 v4, s20, v28
	v_and_b32_e32 v6, s31, v4
	v_and_b32_e32 v5, 1, v6
	v_add_co_u32_e32 v7, vcc, -1, v5
	v_addc_co_u32_e64 v39, s[2:3], 0, -1, vcc
	v_cmp_ne_u32_e32 vcc, 0, v5
	v_lshl_add_u32 v4, v6, 4, v6
	v_xor_b32_e32 v5, vcc_hi, v39
	v_add_lshl_u32 v43, v29, v4, 2
	v_mov_b32_e32 v4, 0
	v_and_b32_e32 v39, exec_hi, v5
	v_lshlrev_b32_e32 v5, 30, v6
	v_xor_b32_e32 v7, vcc_lo, v7
	v_cmp_gt_i64_e32 vcc, 0, v[4:5]
	v_not_b32_e32 v5, v5
	v_ashrrev_i32_e32 v5, 31, v5
	v_and_b32_e32 v7, exec_lo, v7
	v_xor_b32_e32 v41, vcc_hi, v5
	v_xor_b32_e32 v5, vcc_lo, v5
	v_and_b32_e32 v7, v7, v5
	v_lshlrev_b32_e32 v5, 29, v6
	v_cmp_gt_i64_e32 vcc, 0, v[4:5]
	v_not_b32_e32 v5, v5
	v_ashrrev_i32_e32 v5, 31, v5
	v_and_b32_e32 v39, v39, v41
	v_xor_b32_e32 v41, vcc_hi, v5
	v_xor_b32_e32 v5, vcc_lo, v5
	v_and_b32_e32 v7, v7, v5
	v_lshlrev_b32_e32 v5, 28, v6
	v_cmp_gt_i64_e32 vcc, 0, v[4:5]
	v_not_b32_e32 v5, v5
	v_ashrrev_i32_e32 v5, 31, v5
	v_and_b32_e32 v39, v39, v41
	;; [unrolled: 8-line block ×5, first 2 shown]
	v_xor_b32_e32 v41, vcc_hi, v5
	v_xor_b32_e32 v5, vcc_lo, v5
	v_and_b32_e32 v39, v39, v41
	v_and_b32_e32 v41, v7, v5
	v_lshlrev_b32_e32 v5, 24, v6
	v_cmp_gt_i64_e32 vcc, 0, v[4:5]
	v_not_b32_e32 v5, v5
	v_ashrrev_i32_e32 v5, 31, v5
	v_xor_b32_e32 v6, vcc_hi, v5
	v_xor_b32_e32 v5, vcc_lo, v5
	; wave barrier
	ds_read_b32 v38, v43 offset:64
	v_and_b32_e32 v7, v39, v6
	v_and_b32_e32 v6, v41, v5
	v_mbcnt_lo_u32_b32 v5, v6, 0
	v_mbcnt_hi_u32_b32 v39, v7, v5
	v_cmp_eq_u32_e32 vcc, 0, v39
	v_cmp_ne_u64_e64 s[2:3], 0, v[6:7]
	s_and_b64 s[8:9], s[2:3], vcc
	; wave barrier
	s_and_saveexec_b64 s[2:3], s[8:9]
	s_cbranch_execz .LBB654_43
; %bb.42:
	v_bcnt_u32_b32 v5, v6, 0
	v_bcnt_u32_b32 v5, v7, v5
	s_waitcnt lgkmcnt(0)
	v_add_u32_e32 v5, v38, v5
	ds_write_b32 v43, v5 offset:64
.LBB654_43:
	s_or_b64 exec, exec, s[2:3]
	v_xor_b32_e32 v34, 0x80000000, v34
	v_lshrrev_b32_e32 v5, s20, v34
	v_and_b32_e32 v6, s31, v5
	v_lshl_add_u32 v5, v6, 4, v6
	v_add_lshl_u32 v46, v29, v5, 2
	v_and_b32_e32 v5, 1, v6
	v_add_co_u32_e32 v7, vcc, -1, v5
	v_addc_co_u32_e64 v42, s[2:3], 0, -1, vcc
	v_cmp_ne_u32_e32 vcc, 0, v5
	v_xor_b32_e32 v5, vcc_hi, v42
	v_and_b32_e32 v42, exec_hi, v5
	v_lshlrev_b32_e32 v5, 30, v6
	v_xor_b32_e32 v7, vcc_lo, v7
	v_cmp_gt_i64_e32 vcc, 0, v[4:5]
	v_not_b32_e32 v5, v5
	v_ashrrev_i32_e32 v5, 31, v5
	v_and_b32_e32 v7, exec_lo, v7
	v_xor_b32_e32 v44, vcc_hi, v5
	v_xor_b32_e32 v5, vcc_lo, v5
	v_and_b32_e32 v7, v7, v5
	v_lshlrev_b32_e32 v5, 29, v6
	v_cmp_gt_i64_e32 vcc, 0, v[4:5]
	v_not_b32_e32 v5, v5
	v_ashrrev_i32_e32 v5, 31, v5
	v_and_b32_e32 v42, v42, v44
	v_xor_b32_e32 v44, vcc_hi, v5
	v_xor_b32_e32 v5, vcc_lo, v5
	v_and_b32_e32 v7, v7, v5
	v_lshlrev_b32_e32 v5, 28, v6
	v_cmp_gt_i64_e32 vcc, 0, v[4:5]
	v_not_b32_e32 v5, v5
	v_ashrrev_i32_e32 v5, 31, v5
	v_and_b32_e32 v42, v42, v44
	v_xor_b32_e32 v44, vcc_hi, v5
	v_xor_b32_e32 v5, vcc_lo, v5
	v_and_b32_e32 v7, v7, v5
	v_lshlrev_b32_e32 v5, 27, v6
	v_cmp_gt_i64_e32 vcc, 0, v[4:5]
	v_not_b32_e32 v5, v5
	v_ashrrev_i32_e32 v5, 31, v5
	v_and_b32_e32 v42, v42, v44
	v_xor_b32_e32 v44, vcc_hi, v5
	v_xor_b32_e32 v5, vcc_lo, v5
	v_and_b32_e32 v7, v7, v5
	v_lshlrev_b32_e32 v5, 26, v6
	v_cmp_gt_i64_e32 vcc, 0, v[4:5]
	v_not_b32_e32 v5, v5
	v_ashrrev_i32_e32 v5, 31, v5
	v_and_b32_e32 v42, v42, v44
	v_xor_b32_e32 v44, vcc_hi, v5
	v_xor_b32_e32 v5, vcc_lo, v5
	v_and_b32_e32 v7, v7, v5
	v_lshlrev_b32_e32 v5, 25, v6
	v_cmp_gt_i64_e32 vcc, 0, v[4:5]
	v_not_b32_e32 v5, v5
	v_ashrrev_i32_e32 v5, 31, v5
	v_and_b32_e32 v42, v42, v44
	v_xor_b32_e32 v44, vcc_hi, v5
	v_xor_b32_e32 v5, vcc_lo, v5
	v_and_b32_e32 v7, v7, v5
	v_lshlrev_b32_e32 v5, 24, v6
	v_cmp_gt_i64_e32 vcc, 0, v[4:5]
	v_not_b32_e32 v4, v5
	v_ashrrev_i32_e32 v4, 31, v4
	v_xor_b32_e32 v5, vcc_hi, v4
	v_xor_b32_e32 v4, vcc_lo, v4
	; wave barrier
	ds_read_b32 v41, v46 offset:64
	v_and_b32_e32 v42, v42, v44
	v_and_b32_e32 v4, v7, v4
	;; [unrolled: 1-line block ×3, first 2 shown]
	v_mbcnt_lo_u32_b32 v6, v4, 0
	v_mbcnt_hi_u32_b32 v42, v5, v6
	v_cmp_eq_u32_e32 vcc, 0, v42
	v_cmp_ne_u64_e64 s[2:3], 0, v[4:5]
	s_and_b64 s[8:9], s[2:3], vcc
	; wave barrier
	s_and_saveexec_b64 s[2:3], s[8:9]
	s_cbranch_execz .LBB654_45
; %bb.44:
	v_bcnt_u32_b32 v4, v4, 0
	v_bcnt_u32_b32 v4, v5, v4
	s_waitcnt lgkmcnt(0)
	v_add_u32_e32 v4, v41, v4
	ds_write_b32 v46, v4 offset:64
.LBB654_45:
	s_or_b64 exec, exec, s[2:3]
	v_xor_b32_e32 v35, 0x80000000, v35
	v_lshrrev_b32_e32 v4, s20, v35
	v_and_b32_e32 v6, s31, v4
	v_and_b32_e32 v5, 1, v6
	v_add_co_u32_e32 v7, vcc, -1, v5
	v_addc_co_u32_e64 v45, s[2:3], 0, -1, vcc
	v_cmp_ne_u32_e32 vcc, 0, v5
	v_lshl_add_u32 v4, v6, 4, v6
	v_xor_b32_e32 v5, vcc_hi, v45
	v_add_lshl_u32 v50, v29, v4, 2
	v_mov_b32_e32 v4, 0
	v_and_b32_e32 v45, exec_hi, v5
	v_lshlrev_b32_e32 v5, 30, v6
	v_xor_b32_e32 v7, vcc_lo, v7
	v_cmp_gt_i64_e32 vcc, 0, v[4:5]
	v_not_b32_e32 v5, v5
	v_ashrrev_i32_e32 v5, 31, v5
	v_and_b32_e32 v7, exec_lo, v7
	v_xor_b32_e32 v47, vcc_hi, v5
	v_xor_b32_e32 v5, vcc_lo, v5
	v_and_b32_e32 v7, v7, v5
	v_lshlrev_b32_e32 v5, 29, v6
	v_cmp_gt_i64_e32 vcc, 0, v[4:5]
	v_not_b32_e32 v5, v5
	v_ashrrev_i32_e32 v5, 31, v5
	v_and_b32_e32 v45, v45, v47
	v_xor_b32_e32 v47, vcc_hi, v5
	v_xor_b32_e32 v5, vcc_lo, v5
	v_and_b32_e32 v7, v7, v5
	v_lshlrev_b32_e32 v5, 28, v6
	v_cmp_gt_i64_e32 vcc, 0, v[4:5]
	v_not_b32_e32 v5, v5
	v_ashrrev_i32_e32 v5, 31, v5
	v_and_b32_e32 v45, v45, v47
	;; [unrolled: 8-line block ×5, first 2 shown]
	v_xor_b32_e32 v47, vcc_hi, v5
	v_xor_b32_e32 v5, vcc_lo, v5
	v_and_b32_e32 v45, v45, v47
	v_and_b32_e32 v47, v7, v5
	v_lshlrev_b32_e32 v5, 24, v6
	v_cmp_gt_i64_e32 vcc, 0, v[4:5]
	v_not_b32_e32 v5, v5
	v_ashrrev_i32_e32 v5, 31, v5
	v_xor_b32_e32 v6, vcc_hi, v5
	v_xor_b32_e32 v5, vcc_lo, v5
	; wave barrier
	ds_read_b32 v44, v50 offset:64
	v_and_b32_e32 v7, v45, v6
	v_and_b32_e32 v6, v47, v5
	v_mbcnt_lo_u32_b32 v5, v6, 0
	v_mbcnt_hi_u32_b32 v45, v7, v5
	v_cmp_eq_u32_e32 vcc, 0, v45
	v_cmp_ne_u64_e64 s[2:3], 0, v[6:7]
	s_and_b64 s[8:9], s[2:3], vcc
	; wave barrier
	s_and_saveexec_b64 s[2:3], s[8:9]
	s_cbranch_execz .LBB654_47
; %bb.46:
	v_bcnt_u32_b32 v5, v6, 0
	v_bcnt_u32_b32 v5, v7, v5
	s_waitcnt lgkmcnt(0)
	v_add_u32_e32 v5, v44, v5
	ds_write_b32 v50, v5 offset:64
.LBB654_47:
	s_or_b64 exec, exec, s[2:3]
	v_xor_b32_e32 v30, 0x80000000, v30
	v_lshrrev_b32_e32 v5, s20, v30
	v_and_b32_e32 v6, s31, v5
	v_lshl_add_u32 v5, v6, 4, v6
	v_add_lshl_u32 v53, v29, v5, 2
	v_and_b32_e32 v5, 1, v6
	v_add_co_u32_e32 v7, vcc, -1, v5
	v_addc_co_u32_e64 v48, s[2:3], 0, -1, vcc
	v_cmp_ne_u32_e32 vcc, 0, v5
	v_xor_b32_e32 v5, vcc_hi, v48
	v_and_b32_e32 v48, exec_hi, v5
	v_lshlrev_b32_e32 v5, 30, v6
	v_xor_b32_e32 v7, vcc_lo, v7
	v_cmp_gt_i64_e32 vcc, 0, v[4:5]
	v_not_b32_e32 v5, v5
	v_ashrrev_i32_e32 v5, 31, v5
	v_and_b32_e32 v7, exec_lo, v7
	v_xor_b32_e32 v49, vcc_hi, v5
	v_xor_b32_e32 v5, vcc_lo, v5
	v_and_b32_e32 v7, v7, v5
	v_lshlrev_b32_e32 v5, 29, v6
	v_cmp_gt_i64_e32 vcc, 0, v[4:5]
	v_not_b32_e32 v5, v5
	v_ashrrev_i32_e32 v5, 31, v5
	v_and_b32_e32 v48, v48, v49
	v_xor_b32_e32 v49, vcc_hi, v5
	v_xor_b32_e32 v5, vcc_lo, v5
	v_and_b32_e32 v7, v7, v5
	v_lshlrev_b32_e32 v5, 28, v6
	v_cmp_gt_i64_e32 vcc, 0, v[4:5]
	v_not_b32_e32 v5, v5
	v_ashrrev_i32_e32 v5, 31, v5
	v_and_b32_e32 v48, v48, v49
	;; [unrolled: 8-line block ×5, first 2 shown]
	v_xor_b32_e32 v49, vcc_hi, v5
	v_xor_b32_e32 v5, vcc_lo, v5
	v_and_b32_e32 v7, v7, v5
	v_lshlrev_b32_e32 v5, 24, v6
	v_cmp_gt_i64_e32 vcc, 0, v[4:5]
	v_not_b32_e32 v4, v5
	v_ashrrev_i32_e32 v4, 31, v4
	v_xor_b32_e32 v5, vcc_hi, v4
	v_xor_b32_e32 v4, vcc_lo, v4
	; wave barrier
	ds_read_b32 v47, v53 offset:64
	v_and_b32_e32 v48, v48, v49
	v_and_b32_e32 v4, v7, v4
	;; [unrolled: 1-line block ×3, first 2 shown]
	v_mbcnt_lo_u32_b32 v6, v4, 0
	v_mbcnt_hi_u32_b32 v49, v5, v6
	v_cmp_eq_u32_e32 vcc, 0, v49
	v_cmp_ne_u64_e64 s[2:3], 0, v[4:5]
	s_and_b64 s[8:9], s[2:3], vcc
	; wave barrier
	s_and_saveexec_b64 s[2:3], s[8:9]
	s_cbranch_execz .LBB654_49
; %bb.48:
	v_bcnt_u32_b32 v4, v4, 0
	v_bcnt_u32_b32 v4, v5, v4
	s_waitcnt lgkmcnt(0)
	v_add_u32_e32 v4, v47, v4
	ds_write_b32 v53, v4 offset:64
.LBB654_49:
	s_or_b64 exec, exec, s[2:3]
	v_xor_b32_e32 v26, 0x80000000, v26
	v_lshrrev_b32_e32 v4, s20, v26
	v_and_b32_e32 v6, s31, v4
	v_and_b32_e32 v5, 1, v6
	v_add_co_u32_e32 v7, vcc, -1, v5
	v_addc_co_u32_e64 v48, s[2:3], 0, -1, vcc
	v_cmp_ne_u32_e32 vcc, 0, v5
	v_lshl_add_u32 v4, v6, 4, v6
	v_xor_b32_e32 v5, vcc_hi, v48
	v_add_lshl_u32 v55, v29, v4, 2
	v_mov_b32_e32 v4, 0
	v_and_b32_e32 v48, exec_hi, v5
	v_lshlrev_b32_e32 v5, 30, v6
	v_xor_b32_e32 v7, vcc_lo, v7
	v_cmp_gt_i64_e32 vcc, 0, v[4:5]
	v_not_b32_e32 v5, v5
	v_ashrrev_i32_e32 v5, 31, v5
	v_and_b32_e32 v7, exec_lo, v7
	v_xor_b32_e32 v52, vcc_hi, v5
	v_xor_b32_e32 v5, vcc_lo, v5
	v_and_b32_e32 v7, v7, v5
	v_lshlrev_b32_e32 v5, 29, v6
	v_cmp_gt_i64_e32 vcc, 0, v[4:5]
	v_not_b32_e32 v5, v5
	v_ashrrev_i32_e32 v5, 31, v5
	v_and_b32_e32 v48, v48, v52
	v_xor_b32_e32 v52, vcc_hi, v5
	v_xor_b32_e32 v5, vcc_lo, v5
	v_and_b32_e32 v7, v7, v5
	v_lshlrev_b32_e32 v5, 28, v6
	v_cmp_gt_i64_e32 vcc, 0, v[4:5]
	v_not_b32_e32 v5, v5
	v_ashrrev_i32_e32 v5, 31, v5
	v_and_b32_e32 v48, v48, v52
	;; [unrolled: 8-line block ×5, first 2 shown]
	v_xor_b32_e32 v52, vcc_hi, v5
	v_xor_b32_e32 v5, vcc_lo, v5
	v_and_b32_e32 v48, v48, v52
	v_and_b32_e32 v52, v7, v5
	v_lshlrev_b32_e32 v5, 24, v6
	v_cmp_gt_i64_e32 vcc, 0, v[4:5]
	v_not_b32_e32 v5, v5
	v_ashrrev_i32_e32 v5, 31, v5
	v_xor_b32_e32 v6, vcc_hi, v5
	v_xor_b32_e32 v5, vcc_lo, v5
	; wave barrier
	ds_read_b32 v51, v55 offset:64
	v_and_b32_e32 v7, v48, v6
	v_and_b32_e32 v6, v52, v5
	v_mbcnt_lo_u32_b32 v5, v6, 0
	v_mbcnt_hi_u32_b32 v52, v7, v5
	v_cmp_eq_u32_e32 vcc, 0, v52
	v_cmp_ne_u64_e64 s[2:3], 0, v[6:7]
	s_and_b64 s[8:9], s[2:3], vcc
	; wave barrier
	s_and_saveexec_b64 s[2:3], s[8:9]
	s_cbranch_execz .LBB654_51
; %bb.50:
	v_bcnt_u32_b32 v5, v6, 0
	v_bcnt_u32_b32 v5, v7, v5
	s_waitcnt lgkmcnt(0)
	v_add_u32_e32 v5, v51, v5
	ds_write_b32 v55, v5 offset:64
.LBB654_51:
	s_or_b64 exec, exec, s[2:3]
	v_xor_b32_e32 v48, 0x80000000, v10
	v_lshrrev_b32_e32 v5, s20, v48
	v_and_b32_e32 v6, s31, v5
	v_lshl_add_u32 v5, v6, 4, v6
	v_add_lshl_u32 v10, v29, v5, 2
	v_and_b32_e32 v5, 1, v6
	v_add_co_u32_e32 v7, vcc, -1, v5
	v_addc_co_u32_e64 v54, s[2:3], 0, -1, vcc
	v_cmp_ne_u32_e32 vcc, 0, v5
	v_xor_b32_e32 v5, vcc_hi, v54
	v_and_b32_e32 v54, exec_hi, v5
	v_lshlrev_b32_e32 v5, 30, v6
	v_xor_b32_e32 v7, vcc_lo, v7
	v_cmp_gt_i64_e32 vcc, 0, v[4:5]
	v_not_b32_e32 v5, v5
	v_ashrrev_i32_e32 v5, 31, v5
	v_and_b32_e32 v7, exec_lo, v7
	v_xor_b32_e32 v57, vcc_hi, v5
	v_xor_b32_e32 v5, vcc_lo, v5
	v_and_b32_e32 v7, v7, v5
	v_lshlrev_b32_e32 v5, 29, v6
	v_cmp_gt_i64_e32 vcc, 0, v[4:5]
	v_not_b32_e32 v5, v5
	v_ashrrev_i32_e32 v5, 31, v5
	v_and_b32_e32 v54, v54, v57
	v_xor_b32_e32 v57, vcc_hi, v5
	v_xor_b32_e32 v5, vcc_lo, v5
	v_and_b32_e32 v7, v7, v5
	v_lshlrev_b32_e32 v5, 28, v6
	v_cmp_gt_i64_e32 vcc, 0, v[4:5]
	v_not_b32_e32 v5, v5
	v_ashrrev_i32_e32 v5, 31, v5
	v_and_b32_e32 v54, v54, v57
	;; [unrolled: 8-line block ×5, first 2 shown]
	v_xor_b32_e32 v57, vcc_hi, v5
	v_xor_b32_e32 v5, vcc_lo, v5
	v_and_b32_e32 v7, v7, v5
	v_lshlrev_b32_e32 v5, 24, v6
	v_cmp_gt_i64_e32 vcc, 0, v[4:5]
	v_not_b32_e32 v4, v5
	v_ashrrev_i32_e32 v4, 31, v4
	v_xor_b32_e32 v5, vcc_hi, v4
	v_xor_b32_e32 v4, vcc_lo, v4
	; wave barrier
	ds_read_b32 v29, v10 offset:64
	v_and_b32_e32 v54, v54, v57
	v_and_b32_e32 v4, v7, v4
	;; [unrolled: 1-line block ×3, first 2 shown]
	v_mbcnt_lo_u32_b32 v6, v4, 0
	v_mbcnt_hi_u32_b32 v54, v5, v6
	v_cmp_eq_u32_e32 vcc, 0, v54
	v_cmp_ne_u64_e64 s[2:3], 0, v[4:5]
	v_add_u32_e32 v56, 64, v3
	s_and_b64 s[8:9], s[2:3], vcc
	; wave barrier
	s_and_saveexec_b64 s[2:3], s[8:9]
	s_cbranch_execz .LBB654_53
; %bb.52:
	v_bcnt_u32_b32 v4, v4, 0
	v_bcnt_u32_b32 v4, v5, v4
	s_waitcnt lgkmcnt(0)
	v_add_u32_e32 v4, v29, v4
	ds_write_b32 v10, v4 offset:64
.LBB654_53:
	s_or_b64 exec, exec, s[2:3]
	; wave barrier
	s_waitcnt lgkmcnt(0)
	s_barrier
	ds_read2_b32 v[6:7], v3 offset0:16 offset1:17
	ds_read2_b32 v[4:5], v56 offset0:2 offset1:3
	ds_read_b32 v57, v56 offset:16
	v_cmp_lt_u32_e64 s[12:13], 31, v1
	s_waitcnt lgkmcnt(1)
	v_add3_u32 v58, v7, v6, v4
	s_waitcnt lgkmcnt(0)
	v_add3_u32 v57, v58, v5, v57
	v_and_b32_e32 v58, 15, v1
	v_cmp_eq_u32_e32 vcc, 0, v58
	v_mov_b32_dpp v59, v57 row_shr:1 row_mask:0xf bank_mask:0xf
	v_cndmask_b32_e64 v59, v59, 0, vcc
	v_add_u32_e32 v57, v59, v57
	v_cmp_lt_u32_e64 s[2:3], 1, v58
	v_cmp_lt_u32_e64 s[10:11], 3, v58
	v_mov_b32_dpp v59, v57 row_shr:2 row_mask:0xf bank_mask:0xf
	v_cndmask_b32_e64 v59, 0, v59, s[2:3]
	v_add_u32_e32 v57, v57, v59
	v_cmp_lt_u32_e64 s[8:9], 7, v58
	s_nop 0
	v_mov_b32_dpp v59, v57 row_shr:4 row_mask:0xf bank_mask:0xf
	v_cndmask_b32_e64 v59, 0, v59, s[10:11]
	v_add_u32_e32 v57, v57, v59
	s_nop 1
	v_mov_b32_dpp v59, v57 row_shr:8 row_mask:0xf bank_mask:0xf
	v_cndmask_b32_e64 v58, 0, v59, s[8:9]
	v_add_u32_e32 v57, v57, v58
	v_bfe_i32 v59, v1, 4, 1
	s_nop 0
	v_mov_b32_dpp v58, v57 row_bcast:15 row_mask:0xf bank_mask:0xf
	v_and_b32_e32 v58, v59, v58
	v_add_u32_e32 v57, v57, v58
	v_and_b32_e32 v59, 63, v2
	s_nop 0
	v_mov_b32_dpp v58, v57 row_bcast:31 row_mask:0xf bank_mask:0xf
	v_cndmask_b32_e64 v58, 0, v58, s[12:13]
	v_add_u32_e32 v57, v57, v58
	v_lshrrev_b32_e32 v58, 6, v2
	v_cmp_eq_u32_e64 s[12:13], 63, v59
	s_and_saveexec_b64 s[22:23], s[12:13]
	s_cbranch_execz .LBB654_55
; %bb.54:
	v_lshlrev_b32_e32 v59, 2, v58
	ds_write_b32 v59, v57
.LBB654_55:
	s_or_b64 exec, exec, s[22:23]
	v_cmp_gt_u32_e64 s[12:13], 16, v2
	s_waitcnt lgkmcnt(0)
	s_barrier
	s_and_saveexec_b64 s[22:23], s[12:13]
	s_cbranch_execz .LBB654_57
; %bb.56:
	v_lshlrev_b32_e32 v59, 2, v2
	ds_read_b32 v60, v59
	s_waitcnt lgkmcnt(0)
	s_nop 0
	v_mov_b32_dpp v61, v60 row_shr:1 row_mask:0xf bank_mask:0xf
	v_cndmask_b32_e64 v61, v61, 0, vcc
	v_add_u32_e32 v60, v61, v60
	s_nop 1
	v_mov_b32_dpp v61, v60 row_shr:2 row_mask:0xf bank_mask:0xf
	v_cndmask_b32_e64 v61, 0, v61, s[2:3]
	v_add_u32_e32 v60, v60, v61
	s_nop 1
	v_mov_b32_dpp v61, v60 row_shr:4 row_mask:0xf bank_mask:0xf
	v_cndmask_b32_e64 v61, 0, v61, s[10:11]
	;; [unrolled: 4-line block ×3, first 2 shown]
	v_add_u32_e32 v60, v60, v61
	ds_write_b32 v59, v60
.LBB654_57:
	s_or_b64 exec, exec, s[22:23]
	v_cmp_lt_u32_e32 vcc, 63, v2
	v_mov_b32_e32 v59, 0
	s_waitcnt lgkmcnt(0)
	s_barrier
	s_and_saveexec_b64 s[2:3], vcc
	s_cbranch_execz .LBB654_59
; %bb.58:
	v_lshl_add_u32 v58, v58, 2, -4
	ds_read_b32 v59, v58
.LBB654_59:
	s_or_b64 exec, exec, s[2:3]
	v_add_u32_e32 v58, -1, v1
	v_and_b32_e32 v60, 64, v1
	v_cmp_lt_i32_e32 vcc, v58, v60
	v_cndmask_b32_e32 v58, v58, v1, vcc
	s_waitcnt lgkmcnt(0)
	v_add_u32_e32 v57, v59, v57
	v_lshlrev_b32_e32 v58, 2, v58
	ds_bpermute_b32 v57, v58, v57
	v_cmp_eq_u32_e32 vcc, 0, v1
	s_movk_i32 s8, 0xff
	s_movk_i32 s2, 0x100
	v_cmp_gt_u32_e64 s[2:3], s2, v2
	s_waitcnt lgkmcnt(0)
	v_cndmask_b32_e32 v1, v57, v59, vcc
	v_cndmask_b32_e64 v1, v1, 0, s[0:1]
	v_add_u32_e32 v6, v1, v6
	v_add_u32_e32 v7, v6, v7
	;; [unrolled: 1-line block ×4, first 2 shown]
	ds_write2_b32 v3, v1, v6 offset0:16 offset1:17
	ds_write2_b32 v56, v7, v4 offset0:2 offset1:3
	ds_write_b32 v56, v5 offset:16
	s_waitcnt lgkmcnt(0)
	s_barrier
	ds_read_b32 v58, v8 offset:64
	ds_read_b32 v1, v9 offset:64
	;; [unrolled: 1-line block ×12, first 2 shown]
	v_cmp_lt_u32_e32 vcc, s8, v2
	v_pk_mov_b32 v[4:5], 0, 0
                                        ; implicit-def: $vgpr40
	s_and_saveexec_b64 s[10:11], s[2:3]
	s_cbranch_execz .LBB654_63
; %bb.60:
	v_mul_u32_u24_e32 v3, 17, v2
	v_lshlrev_b32_e32 v5, 2, v3
	ds_read_b32 v4, v5 offset:64
	v_cmp_ne_u32_e64 s[8:9], s8, v2
	v_mov_b32_e32 v3, 0x3000
	s_and_saveexec_b64 s[12:13], s[8:9]
	s_cbranch_execz .LBB654_62
; %bb.61:
	ds_read_b32 v3, v5 offset:132
.LBB654_62:
	s_or_b64 exec, exec, s[12:13]
	s_waitcnt lgkmcnt(0)
	v_sub_u32_e32 v40, v3, v4
	v_mov_b32_e32 v5, 0
.LBB654_63:
	s_or_b64 exec, exec, s[10:11]
	s_waitcnt lgkmcnt(0)
	s_barrier
	s_and_saveexec_b64 s[8:9], vcc
	s_xor_b64 s[8:9], exec, s[8:9]
; %bb.64:
	v_mov_b32_e32 v3, 0
; %bb.65:
	s_andn2_saveexec_b64 s[8:9], s[8:9]
	s_cbranch_execz .LBB654_75
; %bb.66:
	v_lshl_or_b32 v6, s30, 8, v2
	v_mov_b32_e32 v7, 0
	v_lshlrev_b64 v[8:9], 2, v[6:7]
	v_mov_b32_e32 v3, s15
	v_add_co_u32_e32 v8, vcc, s14, v8
	v_addc_co_u32_e32 v9, vcc, v3, v9, vcc
	v_or_b32_e32 v6, 2.0, v40
	s_mov_b64 s[10:11], 0
	s_brev_b32 s33, 1
	s_mov_b32 s34, s30
	v_mov_b32_e32 v60, 0
	global_store_dword v[8:9], v6, off
                                        ; implicit-def: $sgpr12_sgpr13
	s_branch .LBB654_68
.LBB654_67:                             ;   in Loop: Header=BB654_68 Depth=1
	s_or_b64 exec, exec, s[12:13]
	v_and_b32_e32 v10, 0x3fffffff, v61
	v_add_u32_e32 v60, v10, v60
	v_cmp_eq_u32_e64 s[12:13], s33, v6
	s_and_b64 s[22:23], exec, s[12:13]
	s_or_b64 s[10:11], s[22:23], s[10:11]
	s_andn2_b64 exec, exec, s[10:11]
	s_cbranch_execz .LBB654_74
.LBB654_68:                             ; =>This Loop Header: Depth=1
                                        ;     Child Loop BB654_71 Depth 2
	s_or_b64 s[12:13], s[12:13], exec
	s_cmp_eq_u32 s34, 0
	s_cbranch_scc1 .LBB654_73
; %bb.69:                               ;   in Loop: Header=BB654_68 Depth=1
	s_add_i32 s34, s34, -1
	v_lshl_or_b32 v6, s34, 8, v2
	v_lshlrev_b64 v[10:11], 2, v[6:7]
	v_add_co_u32_e32 v10, vcc, s14, v10
	v_addc_co_u32_e32 v11, vcc, v3, v11, vcc
	global_load_dword v61, v[10:11], off glc
	s_waitcnt vmcnt(0)
	v_and_b32_e32 v6, -2.0, v61
	v_cmp_eq_u32_e32 vcc, 0, v6
	s_and_saveexec_b64 s[12:13], vcc
	s_cbranch_execz .LBB654_67
; %bb.70:                               ;   in Loop: Header=BB654_68 Depth=1
	s_mov_b64 s[22:23], 0
.LBB654_71:                             ;   Parent Loop BB654_68 Depth=1
                                        ; =>  This Inner Loop Header: Depth=2
	global_load_dword v61, v[10:11], off glc
	s_waitcnt vmcnt(0)
	v_and_b32_e32 v6, -2.0, v61
	v_cmp_ne_u32_e32 vcc, 0, v6
	s_or_b64 s[22:23], vcc, s[22:23]
	s_andn2_b64 exec, exec, s[22:23]
	s_cbranch_execnz .LBB654_71
; %bb.72:                               ;   in Loop: Header=BB654_68 Depth=1
	s_or_b64 exec, exec, s[22:23]
	s_branch .LBB654_67
.LBB654_73:                             ;   in Loop: Header=BB654_68 Depth=1
                                        ; implicit-def: $sgpr34
	s_and_b64 s[22:23], exec, s[12:13]
	s_or_b64 s[10:11], s[22:23], s[10:11]
	s_andn2_b64 exec, exec, s[10:11]
	s_cbranch_execnz .LBB654_68
.LBB654_74:
	s_or_b64 exec, exec, s[10:11]
	v_add_u32_e32 v3, v60, v40
	v_or_b32_e32 v3, 0x80000000, v3
	global_store_dword v[8:9], v3, off
	v_lshlrev_b32_e32 v8, 3, v2
	global_load_dwordx2 v[6:7], v8, s[16:17]
	v_sub_co_u32_e32 v9, vcc, v60, v4
	v_subb_co_u32_e32 v10, vcc, 0, v5, vcc
	v_mov_b32_e32 v3, 0
	s_waitcnt vmcnt(0)
	v_add_co_u32_e32 v6, vcc, v9, v6
	v_addc_co_u32_e32 v7, vcc, v10, v7, vcc
	ds_write_b64 v8, v[6:7]
.LBB654_75:
	s_or_b64 exec, exec, s[8:9]
	v_add3_u32 v33, v36, v57, v33
	v_add3_u32 v27, v31, v37, v27
	v_lshlrev_b64 v[36:37], 2, v[2:3]
	v_lshlrev_b32_e32 v8, 2, v2
	v_add3_u32 v17, v19, v1, v17
	v_mov_b32_e32 v1, s27
	v_add_co_u32_e32 v6, vcc, s26, v36
	v_add_u32_e32 v7, v58, v16
	v_add_u32_e32 v9, 0x800, v8
	v_add3_u32 v10, v54, v59, v29
	v_add3_u32 v11, v52, v55, v51
	;; [unrolled: 1-line block ×8, first 2 shown]
	v_addc_co_u32_e32 v1, vcc, v1, v37, vcc
	s_mov_b32 s10, 0
	v_mov_b32_e32 v19, v2
	s_branch .LBB654_77
.LBB654_76:                             ;   in Loop: Header=BB654_77 Depth=1
	s_or_b64 exec, exec, s[8:9]
	s_addk_i32 s10, 0xf000
	v_add_co_u32_e32 v6, vcc, 0x4000, v6
	v_addc_co_u32_e32 v1, vcc, 0, v1, vcc
	s_cmpk_eq_i32 s10, 0xd000
	v_add_u32_e32 v19, 0x1000, v19
	s_barrier
	s_cbranch_scc1 .LBB654_86
.LBB654_77:                             ; =>This Inner Loop Header: Depth=1
	v_add_u32_e32 v22, s10, v7
	v_min_u32_e32 v22, 0x1000, v22
	v_lshlrev_b32_e32 v22, 2, v22
	ds_write_b32 v22, v13 offset:2048
	v_add_u32_e32 v22, s10, v17
	v_min_u32_e32 v22, 0x1000, v22
	v_lshlrev_b32_e32 v22, 2, v22
	ds_write_b32 v22, v14 offset:2048
	v_add_u32_e32 v22, s10, v20
	v_min_u32_e32 v22, 0x1000, v22
	v_lshlrev_b32_e32 v22, 2, v22
	ds_write_b32 v22, v15 offset:2048
	v_add_u32_e32 v22, s10, v23
	v_min_u32_e32 v22, 0x1000, v22
	v_lshlrev_b32_e32 v22, 2, v22
	ds_write_b32 v22, v18 offset:2048
	v_add_u32_e32 v22, s10, v27
	v_min_u32_e32 v22, 0x1000, v22
	v_lshlrev_b32_e32 v22, 2, v22
	ds_write_b32 v22, v21 offset:2048
	v_add_u32_e32 v22, s10, v33
	v_min_u32_e32 v22, 0x1000, v22
	v_lshlrev_b32_e32 v22, 2, v22
	ds_write_b32 v22, v24 offset:2048
	v_add_u32_e32 v22, s10, v38
	v_min_u32_e32 v22, 0x1000, v22
	v_lshlrev_b32_e32 v22, 2, v22
	ds_write_b32 v22, v28 offset:2048
	v_add_u32_e32 v22, s10, v41
	v_min_u32_e32 v22, 0x1000, v22
	v_lshlrev_b32_e32 v22, 2, v22
	ds_write_b32 v22, v34 offset:2048
	v_add_u32_e32 v22, s10, v29
	v_min_u32_e32 v22, 0x1000, v22
	v_lshlrev_b32_e32 v22, 2, v22
	ds_write_b32 v22, v35 offset:2048
	v_add_u32_e32 v22, s10, v16
	v_min_u32_e32 v22, 0x1000, v22
	v_lshlrev_b32_e32 v22, 2, v22
	ds_write_b32 v22, v30 offset:2048
	v_add_u32_e32 v22, s10, v11
	v_min_u32_e32 v22, 0x1000, v22
	v_lshlrev_b32_e32 v22, 2, v22
	ds_write_b32 v22, v26 offset:2048
	v_add_u32_e32 v22, s10, v10
	v_min_u32_e32 v22, 0x1000, v22
	v_lshlrev_b32_e32 v22, 2, v22
	v_cmp_gt_u32_e32 vcc, s7, v19
	ds_write_b32 v22, v48 offset:2048
	s_waitcnt lgkmcnt(0)
	s_barrier
	s_and_saveexec_b64 s[8:9], vcc
	s_cbranch_execz .LBB654_79
; %bb.78:                               ;   in Loop: Header=BB654_77 Depth=1
	ds_read_b32 v22, v8 offset:2048
	s_waitcnt lgkmcnt(0)
	v_lshrrev_b32_e32 v25, s20, v22
	v_and_b32_e32 v25, s31, v25
	v_lshlrev_b32_e32 v25, 3, v25
	ds_read_b64 v[36:37], v25
	v_xor_b32_e32 v22, 0x80000000, v22
	s_waitcnt lgkmcnt(0)
	v_lshlrev_b64 v[36:37], 2, v[36:37]
	v_add_co_u32_e32 v36, vcc, v6, v36
	v_addc_co_u32_e32 v37, vcc, v1, v37, vcc
	global_store_dword v[36:37], v22, off
.LBB654_79:                             ;   in Loop: Header=BB654_77 Depth=1
	s_or_b64 exec, exec, s[8:9]
	v_add_u32_e32 v22, 0x400, v19
	v_cmp_gt_u32_e32 vcc, s7, v22
	s_and_saveexec_b64 s[8:9], vcc
	s_cbranch_execz .LBB654_81
; %bb.80:                               ;   in Loop: Header=BB654_77 Depth=1
	ds_read_b32 v22, v9 offset:4096
	s_waitcnt lgkmcnt(0)
	v_lshrrev_b32_e32 v25, s20, v22
	v_and_b32_e32 v25, s31, v25
	v_lshlrev_b32_e32 v25, 3, v25
	ds_read_b64 v[36:37], v25
	v_xor_b32_e32 v22, 0x80000000, v22
	s_waitcnt lgkmcnt(0)
	v_lshlrev_b64 v[36:37], 2, v[36:37]
	v_add_co_u32_e32 v25, vcc, v6, v36
	v_addc_co_u32_e32 v31, vcc, v1, v37, vcc
	v_add_co_u32_e32 v36, vcc, 0x1000, v25
	v_addc_co_u32_e32 v37, vcc, 0, v31, vcc
	global_store_dword v[36:37], v22, off
.LBB654_81:                             ;   in Loop: Header=BB654_77 Depth=1
	s_or_b64 exec, exec, s[8:9]
	v_add_u32_e32 v22, 0x800, v19
	v_cmp_gt_u32_e32 vcc, s7, v22
	s_and_saveexec_b64 s[8:9], vcc
	s_cbranch_execz .LBB654_83
; %bb.82:                               ;   in Loop: Header=BB654_77 Depth=1
	ds_read_b32 v22, v9 offset:8192
	s_waitcnt lgkmcnt(0)
	v_lshrrev_b32_e32 v25, s20, v22
	v_and_b32_e32 v25, s31, v25
	v_lshlrev_b32_e32 v25, 3, v25
	ds_read_b64 v[36:37], v25
	v_xor_b32_e32 v22, 0x80000000, v22
	s_waitcnt lgkmcnt(0)
	v_lshlrev_b64 v[36:37], 2, v[36:37]
	v_add_co_u32_e32 v25, vcc, v6, v36
	v_addc_co_u32_e32 v31, vcc, v1, v37, vcc
	v_add_co_u32_e32 v36, vcc, 0x2000, v25
	v_addc_co_u32_e32 v37, vcc, 0, v31, vcc
	global_store_dword v[36:37], v22, off
.LBB654_83:                             ;   in Loop: Header=BB654_77 Depth=1
	s_or_b64 exec, exec, s[8:9]
	v_add_u32_e32 v22, 0xc00, v19
	v_cmp_gt_u32_e32 vcc, s7, v22
	s_and_saveexec_b64 s[8:9], vcc
	s_cbranch_execz .LBB654_76
; %bb.84:                               ;   in Loop: Header=BB654_77 Depth=1
	ds_read_b32 v22, v9 offset:12288
	s_waitcnt lgkmcnt(0)
	v_lshrrev_b32_e32 v25, s20, v22
	v_and_b32_e32 v25, s31, v25
	v_lshlrev_b32_e32 v25, 3, v25
	ds_read_b64 v[36:37], v25
	v_xor_b32_e32 v22, 0x80000000, v22
	s_waitcnt lgkmcnt(0)
	v_lshlrev_b64 v[36:37], 2, v[36:37]
	v_add_co_u32_e32 v25, vcc, v6, v36
	v_addc_co_u32_e32 v31, vcc, v1, v37, vcc
	v_add_co_u32_e32 v36, vcc, 0x3000, v25
	v_addc_co_u32_e32 v37, vcc, 0, v31, vcc
	global_store_dword v[36:37], v22, off
	s_branch .LBB654_76
.LBB654_85:
	s_mov_b64 s[2:3], 0
                                        ; implicit-def: $vgpr4_vgpr5
                                        ; implicit-def: $vgpr40
	s_cbranch_execnz .LBB654_87
	s_branch .LBB654_136
.LBB654_86:
	s_add_i32 s29, s29, -1
	s_cmp_eq_u32 s29, s30
	s_cselect_b64 s[8:9], -1, 0
	s_and_b64 s[2:3], s[2:3], s[8:9]
	s_branch .LBB654_136
.LBB654_87:
	s_mov_b32 s29, 0
	v_mbcnt_hi_u32_b32 v3, -1, v12
	s_lshl_b64 s[2:3], s[28:29], 2
	v_and_b32_e32 v1, 63, v3
	s_add_u32 s2, s24, s2
	v_lshlrev_b32_e32 v1, 2, v1
	v_add_co_u32_e32 v1, vcc, s2, v1
	s_load_dword s12, s[4:5], 0x58
	s_load_dword s2, s[4:5], 0x64
	s_addc_u32 s3, s25, s3
	v_and_b32_e32 v5, 0x3c0, v2
	v_mul_u32_u24_e32 v5, 12, v5
	v_mov_b32_e32 v6, s3
	v_addc_co_u32_e32 v6, vcc, 0, v6, vcc
	v_lshlrev_b32_e32 v5, 2, v5
	s_add_u32 s3, s4, 0x58
	v_add_co_u32_e32 v10, vcc, v1, v5
	s_addc_u32 s4, s5, 0
	s_waitcnt lgkmcnt(0)
	s_lshr_b32 s5, s2, 16
	v_addc_co_u32_e32 v11, vcc, 0, v6, vcc
	s_cmp_lt_u32 s6, s12
	global_load_dword v1, v[10:11], off
	s_cselect_b32 s2, 12, 18
	s_add_u32 s2, s3, s2
	v_mov_b32_e32 v4, 0
	s_addc_u32 s3, s4, 0
	global_load_ushort v5, v4, s[2:3]
	v_mul_u32_u24_e32 v6, 5, v2
	v_lshlrev_b32_e32 v6, 2, v6
	ds_write2_b32 v6, v4, v4 offset0:16 offset1:17
	ds_write2_b32 v6, v4, v4 offset0:18 offset1:19
	ds_write_b32 v6, v4 offset:80
	global_load_dword v8, v[10:11], off offset:256
	global_load_dword v12, v[10:11], off offset:512
	global_load_dword v13, v[10:11], off offset:768
	global_load_dword v17, v[10:11], off offset:1024
	global_load_dword v20, v[10:11], off offset:1280
	global_load_dword v23, v[10:11], off offset:1536
	global_load_dword v29, v[10:11], off offset:1792
	global_load_dword v34, v[10:11], off offset:2048
	global_load_dword v32, v[10:11], off offset:2304
	global_load_dword v27, v[10:11], off offset:2560
	global_load_dword v9, v[10:11], off offset:2816
	s_lshl_b32 s2, -1, s21
	v_bfe_u32 v7, v0, 10, 10
	v_bfe_u32 v0, v0, 20, 10
	s_not_b32 s13, s2
	v_mad_u32_u24 v0, v0, s5, v7
	s_waitcnt lgkmcnt(0)
	s_barrier
	s_waitcnt lgkmcnt(0)
	; wave barrier
	s_waitcnt vmcnt(12)
	v_xor_b32_e32 v10, 0x80000000, v1
	v_lshrrev_b32_e32 v1, s20, v10
	v_and_b32_e32 v11, s13, v1
	v_and_b32_e32 v7, 1, v11
	s_waitcnt vmcnt(11)
	v_mad_u64_u32 v[0:1], s[2:3], v0, v5, v[2:3]
	v_lshrrev_b32_e32 v24, 6, v0
	v_add_co_u32_e32 v0, vcc, -1, v7
	v_lshlrev_b32_e32 v5, 30, v11
	v_addc_co_u32_e64 v14, s[2:3], 0, -1, vcc
	v_lshl_add_u32 v1, v11, 4, v11
	v_cmp_ne_u32_e32 vcc, 0, v7
	v_cmp_gt_i64_e64 s[2:3], 0, v[4:5]
	v_not_b32_e32 v15, v5
	v_lshlrev_b32_e32 v5, 29, v11
	v_add_lshl_u32 v7, v24, v1, 2
	v_xor_b32_e32 v1, vcc_hi, v14
	v_xor_b32_e32 v0, vcc_lo, v0
	v_ashrrev_i32_e32 v14, 31, v15
	v_cmp_gt_i64_e32 vcc, 0, v[4:5]
	v_not_b32_e32 v15, v5
	v_lshlrev_b32_e32 v5, 28, v11
	v_and_b32_e32 v1, exec_hi, v1
	v_and_b32_e32 v0, exec_lo, v0
	v_xor_b32_e32 v16, s3, v14
	v_xor_b32_e32 v14, s2, v14
	v_ashrrev_i32_e32 v15, 31, v15
	v_cmp_gt_i64_e64 s[2:3], 0, v[4:5]
	v_not_b32_e32 v5, v5
	v_and_b32_e32 v1, v1, v16
	v_and_b32_e32 v0, v0, v14
	v_xor_b32_e32 v14, vcc_hi, v15
	v_xor_b32_e32 v15, vcc_lo, v15
	v_ashrrev_i32_e32 v5, 31, v5
	v_and_b32_e32 v1, v1, v14
	v_and_b32_e32 v0, v0, v15
	v_xor_b32_e32 v14, s3, v5
	v_xor_b32_e32 v5, s2, v5
	v_and_b32_e32 v0, v0, v5
	v_lshlrev_b32_e32 v5, 27, v11
	v_cmp_gt_i64_e32 vcc, 0, v[4:5]
	v_not_b32_e32 v5, v5
	v_ashrrev_i32_e32 v5, 31, v5
	v_and_b32_e32 v1, v1, v14
	v_xor_b32_e32 v14, vcc_hi, v5
	v_xor_b32_e32 v5, vcc_lo, v5
	v_and_b32_e32 v0, v0, v5
	v_lshlrev_b32_e32 v5, 26, v11
	v_cmp_gt_i64_e32 vcc, 0, v[4:5]
	v_not_b32_e32 v5, v5
	v_ashrrev_i32_e32 v5, 31, v5
	v_and_b32_e32 v1, v1, v14
	v_xor_b32_e32 v14, vcc_hi, v5
	v_xor_b32_e32 v5, vcc_lo, v5
	;; [unrolled: 8-line block ×3, first 2 shown]
	v_and_b32_e32 v0, v0, v5
	v_lshlrev_b32_e32 v5, 24, v11
	v_cmp_gt_i64_e32 vcc, 0, v[4:5]
	v_not_b32_e32 v5, v5
	v_ashrrev_i32_e32 v5, 31, v5
	v_xor_b32_e32 v11, vcc_hi, v5
	v_xor_b32_e32 v5, vcc_lo, v5
	v_and_b32_e32 v1, v1, v14
	v_and_b32_e32 v0, v0, v5
	;; [unrolled: 1-line block ×3, first 2 shown]
	v_mbcnt_lo_u32_b32 v5, v0, 0
	v_mbcnt_hi_u32_b32 v14, v1, v5
	v_cmp_eq_u32_e32 vcc, 0, v14
	v_cmp_ne_u64_e64 s[2:3], 0, v[0:1]
	s_and_b64 s[4:5], s[2:3], vcc
	s_and_saveexec_b64 s[2:3], s[4:5]
	s_cbranch_execz .LBB654_89
; %bb.88:
	v_bcnt_u32_b32 v0, v0, 0
	v_bcnt_u32_b32 v0, v1, v0
	ds_write_b32 v7, v0 offset:64
.LBB654_89:
	s_or_b64 exec, exec, s[2:3]
	s_waitcnt vmcnt(10)
	v_xor_b32_e32 v11, 0x80000000, v8
	v_lshrrev_b32_e32 v0, s20, v11
	v_and_b32_e32 v0, s13, v0
	v_lshl_add_u32 v1, v0, 4, v0
	v_add_lshl_u32 v8, v24, v1, 2
	v_and_b32_e32 v1, 1, v0
	v_add_co_u32_e32 v5, vcc, -1, v1
	v_addc_co_u32_e64 v16, s[2:3], 0, -1, vcc
	v_cmp_ne_u32_e32 vcc, 0, v1
	v_xor_b32_e32 v5, vcc_lo, v5
	v_xor_b32_e32 v1, vcc_hi, v16
	v_and_b32_e32 v16, exec_lo, v5
	v_lshlrev_b32_e32 v5, 30, v0
	v_cmp_gt_i64_e32 vcc, 0, v[4:5]
	v_not_b32_e32 v5, v5
	v_ashrrev_i32_e32 v5, 31, v5
	v_xor_b32_e32 v18, vcc_hi, v5
	v_xor_b32_e32 v5, vcc_lo, v5
	v_and_b32_e32 v16, v16, v5
	v_lshlrev_b32_e32 v5, 29, v0
	v_cmp_gt_i64_e32 vcc, 0, v[4:5]
	v_not_b32_e32 v5, v5
	v_and_b32_e32 v1, exec_hi, v1
	v_ashrrev_i32_e32 v5, 31, v5
	v_and_b32_e32 v1, v1, v18
	v_xor_b32_e32 v18, vcc_hi, v5
	v_xor_b32_e32 v5, vcc_lo, v5
	v_and_b32_e32 v16, v16, v5
	v_lshlrev_b32_e32 v5, 28, v0
	v_cmp_gt_i64_e32 vcc, 0, v[4:5]
	v_not_b32_e32 v5, v5
	v_ashrrev_i32_e32 v5, 31, v5
	v_and_b32_e32 v1, v1, v18
	v_xor_b32_e32 v18, vcc_hi, v5
	v_xor_b32_e32 v5, vcc_lo, v5
	v_and_b32_e32 v16, v16, v5
	v_lshlrev_b32_e32 v5, 27, v0
	v_cmp_gt_i64_e32 vcc, 0, v[4:5]
	v_not_b32_e32 v5, v5
	;; [unrolled: 8-line block ×4, first 2 shown]
	v_ashrrev_i32_e32 v5, 31, v5
	v_and_b32_e32 v1, v1, v18
	v_xor_b32_e32 v18, vcc_hi, v5
	v_xor_b32_e32 v5, vcc_lo, v5
	v_and_b32_e32 v16, v16, v5
	v_lshlrev_b32_e32 v5, 24, v0
	v_not_b32_e32 v0, v5
	v_cmp_gt_i64_e32 vcc, 0, v[4:5]
	v_ashrrev_i32_e32 v0, 31, v0
	v_xor_b32_e32 v4, vcc_hi, v0
	v_xor_b32_e32 v0, vcc_lo, v0
	; wave barrier
	ds_read_b32 v15, v8 offset:64
	v_and_b32_e32 v1, v1, v18
	v_and_b32_e32 v0, v16, v0
	;; [unrolled: 1-line block ×3, first 2 shown]
	v_mbcnt_lo_u32_b32 v4, v0, 0
	v_mbcnt_hi_u32_b32 v16, v1, v4
	v_cmp_eq_u32_e32 vcc, 0, v16
	v_cmp_ne_u64_e64 s[2:3], 0, v[0:1]
	s_and_b64 s[4:5], s[2:3], vcc
	; wave barrier
	s_and_saveexec_b64 s[2:3], s[4:5]
	s_cbranch_execz .LBB654_91
; %bb.90:
	v_bcnt_u32_b32 v0, v0, 0
	v_bcnt_u32_b32 v0, v1, v0
	s_waitcnt lgkmcnt(0)
	v_add_u32_e32 v0, v15, v0
	ds_write_b32 v8, v0 offset:64
.LBB654_91:
	s_or_b64 exec, exec, s[2:3]
	s_waitcnt vmcnt(9)
	v_xor_b32_e32 v12, 0x80000000, v12
	v_lshrrev_b32_e32 v0, s20, v12
	v_and_b32_e32 v4, s13, v0
	v_and_b32_e32 v1, 1, v4
	v_add_co_u32_e32 v5, vcc, -1, v1
	v_addc_co_u32_e64 v19, s[2:3], 0, -1, vcc
	v_cmp_ne_u32_e32 vcc, 0, v1
	v_lshl_add_u32 v0, v4, 4, v4
	v_xor_b32_e32 v1, vcc_hi, v19
	v_add_lshl_u32 v25, v24, v0, 2
	v_mov_b32_e32 v0, 0
	v_and_b32_e32 v19, exec_hi, v1
	v_lshlrev_b32_e32 v1, 30, v4
	v_xor_b32_e32 v5, vcc_lo, v5
	v_cmp_gt_i64_e32 vcc, 0, v[0:1]
	v_not_b32_e32 v1, v1
	v_ashrrev_i32_e32 v1, 31, v1
	v_and_b32_e32 v5, exec_lo, v5
	v_xor_b32_e32 v21, vcc_hi, v1
	v_xor_b32_e32 v1, vcc_lo, v1
	v_and_b32_e32 v5, v5, v1
	v_lshlrev_b32_e32 v1, 29, v4
	v_cmp_gt_i64_e32 vcc, 0, v[0:1]
	v_not_b32_e32 v1, v1
	v_ashrrev_i32_e32 v1, 31, v1
	v_and_b32_e32 v19, v19, v21
	v_xor_b32_e32 v21, vcc_hi, v1
	v_xor_b32_e32 v1, vcc_lo, v1
	v_and_b32_e32 v5, v5, v1
	v_lshlrev_b32_e32 v1, 28, v4
	v_cmp_gt_i64_e32 vcc, 0, v[0:1]
	v_not_b32_e32 v1, v1
	v_ashrrev_i32_e32 v1, 31, v1
	v_and_b32_e32 v19, v19, v21
	;; [unrolled: 8-line block ×5, first 2 shown]
	v_xor_b32_e32 v21, vcc_hi, v1
	v_xor_b32_e32 v1, vcc_lo, v1
	v_and_b32_e32 v19, v19, v21
	v_and_b32_e32 v21, v5, v1
	v_lshlrev_b32_e32 v1, 24, v4
	v_cmp_gt_i64_e32 vcc, 0, v[0:1]
	v_not_b32_e32 v1, v1
	v_ashrrev_i32_e32 v1, 31, v1
	v_xor_b32_e32 v4, vcc_hi, v1
	v_xor_b32_e32 v1, vcc_lo, v1
	; wave barrier
	ds_read_b32 v18, v25 offset:64
	v_and_b32_e32 v5, v19, v4
	v_and_b32_e32 v4, v21, v1
	v_mbcnt_lo_u32_b32 v1, v4, 0
	v_mbcnt_hi_u32_b32 v19, v5, v1
	v_cmp_eq_u32_e32 vcc, 0, v19
	v_cmp_ne_u64_e64 s[2:3], 0, v[4:5]
	s_and_b64 s[4:5], s[2:3], vcc
	; wave barrier
	s_and_saveexec_b64 s[2:3], s[4:5]
	s_cbranch_execz .LBB654_93
; %bb.92:
	v_bcnt_u32_b32 v1, v4, 0
	v_bcnt_u32_b32 v1, v5, v1
	s_waitcnt lgkmcnt(0)
	v_add_u32_e32 v1, v18, v1
	ds_write_b32 v25, v1 offset:64
.LBB654_93:
	s_or_b64 exec, exec, s[2:3]
	s_waitcnt vmcnt(8)
	v_xor_b32_e32 v13, 0x80000000, v13
	v_lshrrev_b32_e32 v1, s20, v13
	v_and_b32_e32 v4, s13, v1
	v_lshl_add_u32 v1, v4, 4, v4
	v_add_lshl_u32 v30, v24, v1, 2
	v_and_b32_e32 v1, 1, v4
	v_add_co_u32_e32 v5, vcc, -1, v1
	v_addc_co_u32_e64 v22, s[2:3], 0, -1, vcc
	v_cmp_ne_u32_e32 vcc, 0, v1
	v_xor_b32_e32 v1, vcc_hi, v22
	v_and_b32_e32 v22, exec_hi, v1
	v_lshlrev_b32_e32 v1, 30, v4
	v_xor_b32_e32 v5, vcc_lo, v5
	v_cmp_gt_i64_e32 vcc, 0, v[0:1]
	v_not_b32_e32 v1, v1
	v_ashrrev_i32_e32 v1, 31, v1
	v_and_b32_e32 v5, exec_lo, v5
	v_xor_b32_e32 v26, vcc_hi, v1
	v_xor_b32_e32 v1, vcc_lo, v1
	v_and_b32_e32 v5, v5, v1
	v_lshlrev_b32_e32 v1, 29, v4
	v_cmp_gt_i64_e32 vcc, 0, v[0:1]
	v_not_b32_e32 v1, v1
	v_ashrrev_i32_e32 v1, 31, v1
	v_and_b32_e32 v22, v22, v26
	v_xor_b32_e32 v26, vcc_hi, v1
	v_xor_b32_e32 v1, vcc_lo, v1
	v_and_b32_e32 v5, v5, v1
	v_lshlrev_b32_e32 v1, 28, v4
	v_cmp_gt_i64_e32 vcc, 0, v[0:1]
	v_not_b32_e32 v1, v1
	v_ashrrev_i32_e32 v1, 31, v1
	v_and_b32_e32 v22, v22, v26
	;; [unrolled: 8-line block ×5, first 2 shown]
	v_xor_b32_e32 v26, vcc_hi, v1
	v_xor_b32_e32 v1, vcc_lo, v1
	v_and_b32_e32 v5, v5, v1
	v_lshlrev_b32_e32 v1, 24, v4
	v_cmp_gt_i64_e32 vcc, 0, v[0:1]
	v_not_b32_e32 v0, v1
	v_ashrrev_i32_e32 v0, 31, v0
	v_xor_b32_e32 v1, vcc_hi, v0
	v_xor_b32_e32 v0, vcc_lo, v0
	; wave barrier
	ds_read_b32 v21, v30 offset:64
	v_and_b32_e32 v22, v22, v26
	v_and_b32_e32 v0, v5, v0
	;; [unrolled: 1-line block ×3, first 2 shown]
	v_mbcnt_lo_u32_b32 v4, v0, 0
	v_mbcnt_hi_u32_b32 v22, v1, v4
	v_cmp_eq_u32_e32 vcc, 0, v22
	v_cmp_ne_u64_e64 s[2:3], 0, v[0:1]
	s_and_b64 s[4:5], s[2:3], vcc
	; wave barrier
	s_and_saveexec_b64 s[2:3], s[4:5]
	s_cbranch_execz .LBB654_95
; %bb.94:
	v_bcnt_u32_b32 v0, v0, 0
	v_bcnt_u32_b32 v0, v1, v0
	s_waitcnt lgkmcnt(0)
	v_add_u32_e32 v0, v21, v0
	ds_write_b32 v30, v0 offset:64
.LBB654_95:
	s_or_b64 exec, exec, s[2:3]
	s_waitcnt vmcnt(7)
	v_xor_b32_e32 v17, 0x80000000, v17
	v_lshrrev_b32_e32 v0, s20, v17
	v_and_b32_e32 v4, s13, v0
	v_and_b32_e32 v1, 1, v4
	v_add_co_u32_e32 v5, vcc, -1, v1
	v_addc_co_u32_e64 v28, s[2:3], 0, -1, vcc
	v_cmp_ne_u32_e32 vcc, 0, v1
	v_lshl_add_u32 v0, v4, 4, v4
	v_xor_b32_e32 v1, vcc_hi, v28
	v_add_lshl_u32 v35, v24, v0, 2
	v_mov_b32_e32 v0, 0
	v_and_b32_e32 v28, exec_hi, v1
	v_lshlrev_b32_e32 v1, 30, v4
	v_xor_b32_e32 v5, vcc_lo, v5
	v_cmp_gt_i64_e32 vcc, 0, v[0:1]
	v_not_b32_e32 v1, v1
	v_ashrrev_i32_e32 v1, 31, v1
	v_and_b32_e32 v5, exec_lo, v5
	v_xor_b32_e32 v31, vcc_hi, v1
	v_xor_b32_e32 v1, vcc_lo, v1
	v_and_b32_e32 v5, v5, v1
	v_lshlrev_b32_e32 v1, 29, v4
	v_cmp_gt_i64_e32 vcc, 0, v[0:1]
	v_not_b32_e32 v1, v1
	v_ashrrev_i32_e32 v1, 31, v1
	v_and_b32_e32 v28, v28, v31
	v_xor_b32_e32 v31, vcc_hi, v1
	v_xor_b32_e32 v1, vcc_lo, v1
	v_and_b32_e32 v5, v5, v1
	v_lshlrev_b32_e32 v1, 28, v4
	v_cmp_gt_i64_e32 vcc, 0, v[0:1]
	v_not_b32_e32 v1, v1
	v_ashrrev_i32_e32 v1, 31, v1
	v_and_b32_e32 v28, v28, v31
	;; [unrolled: 8-line block ×5, first 2 shown]
	v_xor_b32_e32 v31, vcc_hi, v1
	v_xor_b32_e32 v1, vcc_lo, v1
	v_and_b32_e32 v28, v28, v31
	v_and_b32_e32 v31, v5, v1
	v_lshlrev_b32_e32 v1, 24, v4
	v_cmp_gt_i64_e32 vcc, 0, v[0:1]
	v_not_b32_e32 v1, v1
	v_ashrrev_i32_e32 v1, 31, v1
	v_xor_b32_e32 v4, vcc_hi, v1
	v_xor_b32_e32 v1, vcc_lo, v1
	; wave barrier
	ds_read_b32 v26, v35 offset:64
	v_and_b32_e32 v5, v28, v4
	v_and_b32_e32 v4, v31, v1
	v_mbcnt_lo_u32_b32 v1, v4, 0
	v_mbcnt_hi_u32_b32 v28, v5, v1
	v_cmp_eq_u32_e32 vcc, 0, v28
	v_cmp_ne_u64_e64 s[2:3], 0, v[4:5]
	s_and_b64 s[4:5], s[2:3], vcc
	; wave barrier
	s_and_saveexec_b64 s[2:3], s[4:5]
	s_cbranch_execz .LBB654_97
; %bb.96:
	v_bcnt_u32_b32 v1, v4, 0
	v_bcnt_u32_b32 v1, v5, v1
	s_waitcnt lgkmcnt(0)
	v_add_u32_e32 v1, v26, v1
	ds_write_b32 v35, v1 offset:64
.LBB654_97:
	s_or_b64 exec, exec, s[2:3]
	s_waitcnt vmcnt(6)
	v_xor_b32_e32 v20, 0x80000000, v20
	v_lshrrev_b32_e32 v1, s20, v20
	v_and_b32_e32 v4, s13, v1
	v_lshl_add_u32 v1, v4, 4, v4
	v_add_lshl_u32 v38, v24, v1, 2
	v_and_b32_e32 v1, 1, v4
	v_add_co_u32_e32 v5, vcc, -1, v1
	v_addc_co_u32_e64 v33, s[2:3], 0, -1, vcc
	v_cmp_ne_u32_e32 vcc, 0, v1
	v_xor_b32_e32 v1, vcc_hi, v33
	v_and_b32_e32 v33, exec_hi, v1
	v_lshlrev_b32_e32 v1, 30, v4
	v_xor_b32_e32 v5, vcc_lo, v5
	v_cmp_gt_i64_e32 vcc, 0, v[0:1]
	v_not_b32_e32 v1, v1
	v_ashrrev_i32_e32 v1, 31, v1
	v_and_b32_e32 v5, exec_lo, v5
	v_xor_b32_e32 v36, vcc_hi, v1
	v_xor_b32_e32 v1, vcc_lo, v1
	v_and_b32_e32 v5, v5, v1
	v_lshlrev_b32_e32 v1, 29, v4
	v_cmp_gt_i64_e32 vcc, 0, v[0:1]
	v_not_b32_e32 v1, v1
	v_ashrrev_i32_e32 v1, 31, v1
	v_and_b32_e32 v33, v33, v36
	v_xor_b32_e32 v36, vcc_hi, v1
	v_xor_b32_e32 v1, vcc_lo, v1
	v_and_b32_e32 v5, v5, v1
	v_lshlrev_b32_e32 v1, 28, v4
	v_cmp_gt_i64_e32 vcc, 0, v[0:1]
	v_not_b32_e32 v1, v1
	v_ashrrev_i32_e32 v1, 31, v1
	v_and_b32_e32 v33, v33, v36
	;; [unrolled: 8-line block ×5, first 2 shown]
	v_xor_b32_e32 v36, vcc_hi, v1
	v_xor_b32_e32 v1, vcc_lo, v1
	v_and_b32_e32 v5, v5, v1
	v_lshlrev_b32_e32 v1, 24, v4
	v_cmp_gt_i64_e32 vcc, 0, v[0:1]
	v_not_b32_e32 v0, v1
	v_ashrrev_i32_e32 v0, 31, v0
	v_xor_b32_e32 v1, vcc_hi, v0
	v_xor_b32_e32 v0, vcc_lo, v0
	; wave barrier
	ds_read_b32 v31, v38 offset:64
	v_and_b32_e32 v33, v33, v36
	v_and_b32_e32 v0, v5, v0
	;; [unrolled: 1-line block ×3, first 2 shown]
	v_mbcnt_lo_u32_b32 v4, v0, 0
	v_mbcnt_hi_u32_b32 v33, v1, v4
	v_cmp_eq_u32_e32 vcc, 0, v33
	v_cmp_ne_u64_e64 s[2:3], 0, v[0:1]
	s_and_b64 s[4:5], s[2:3], vcc
	; wave barrier
	s_and_saveexec_b64 s[2:3], s[4:5]
	s_cbranch_execz .LBB654_99
; %bb.98:
	v_bcnt_u32_b32 v0, v0, 0
	v_bcnt_u32_b32 v0, v1, v0
	s_waitcnt lgkmcnt(0)
	v_add_u32_e32 v0, v31, v0
	ds_write_b32 v38, v0 offset:64
.LBB654_99:
	s_or_b64 exec, exec, s[2:3]
	s_waitcnt vmcnt(5)
	v_xor_b32_e32 v23, 0x80000000, v23
	v_lshrrev_b32_e32 v0, s20, v23
	v_and_b32_e32 v4, s13, v0
	v_and_b32_e32 v1, 1, v4
	v_add_co_u32_e32 v5, vcc, -1, v1
	v_addc_co_u32_e64 v37, s[2:3], 0, -1, vcc
	v_cmp_ne_u32_e32 vcc, 0, v1
	v_lshl_add_u32 v0, v4, 4, v4
	v_xor_b32_e32 v1, vcc_hi, v37
	v_add_lshl_u32 v40, v24, v0, 2
	v_mov_b32_e32 v0, 0
	v_and_b32_e32 v37, exec_hi, v1
	v_lshlrev_b32_e32 v1, 30, v4
	v_xor_b32_e32 v5, vcc_lo, v5
	v_cmp_gt_i64_e32 vcc, 0, v[0:1]
	v_not_b32_e32 v1, v1
	v_ashrrev_i32_e32 v1, 31, v1
	v_and_b32_e32 v5, exec_lo, v5
	v_xor_b32_e32 v39, vcc_hi, v1
	v_xor_b32_e32 v1, vcc_lo, v1
	v_and_b32_e32 v5, v5, v1
	v_lshlrev_b32_e32 v1, 29, v4
	v_cmp_gt_i64_e32 vcc, 0, v[0:1]
	v_not_b32_e32 v1, v1
	v_ashrrev_i32_e32 v1, 31, v1
	v_and_b32_e32 v37, v37, v39
	v_xor_b32_e32 v39, vcc_hi, v1
	v_xor_b32_e32 v1, vcc_lo, v1
	v_and_b32_e32 v5, v5, v1
	v_lshlrev_b32_e32 v1, 28, v4
	v_cmp_gt_i64_e32 vcc, 0, v[0:1]
	v_not_b32_e32 v1, v1
	v_ashrrev_i32_e32 v1, 31, v1
	v_and_b32_e32 v37, v37, v39
	;; [unrolled: 8-line block ×5, first 2 shown]
	v_xor_b32_e32 v39, vcc_hi, v1
	v_xor_b32_e32 v1, vcc_lo, v1
	v_and_b32_e32 v37, v37, v39
	v_and_b32_e32 v39, v5, v1
	v_lshlrev_b32_e32 v1, 24, v4
	v_cmp_gt_i64_e32 vcc, 0, v[0:1]
	v_not_b32_e32 v1, v1
	v_ashrrev_i32_e32 v1, 31, v1
	v_xor_b32_e32 v4, vcc_hi, v1
	v_xor_b32_e32 v1, vcc_lo, v1
	; wave barrier
	ds_read_b32 v36, v40 offset:64
	v_and_b32_e32 v5, v37, v4
	v_and_b32_e32 v4, v39, v1
	v_mbcnt_lo_u32_b32 v1, v4, 0
	v_mbcnt_hi_u32_b32 v37, v5, v1
	v_cmp_eq_u32_e32 vcc, 0, v37
	v_cmp_ne_u64_e64 s[2:3], 0, v[4:5]
	s_and_b64 s[4:5], s[2:3], vcc
	; wave barrier
	s_and_saveexec_b64 s[2:3], s[4:5]
	s_cbranch_execz .LBB654_101
; %bb.100:
	v_bcnt_u32_b32 v1, v4, 0
	v_bcnt_u32_b32 v1, v5, v1
	s_waitcnt lgkmcnt(0)
	v_add_u32_e32 v1, v36, v1
	ds_write_b32 v40, v1 offset:64
.LBB654_101:
	s_or_b64 exec, exec, s[2:3]
	s_waitcnt vmcnt(4)
	v_xor_b32_e32 v29, 0x80000000, v29
	v_lshrrev_b32_e32 v1, s20, v29
	v_and_b32_e32 v4, s13, v1
	v_lshl_add_u32 v1, v4, 4, v4
	v_add_lshl_u32 v45, v24, v1, 2
	v_and_b32_e32 v1, 1, v4
	v_add_co_u32_e32 v5, vcc, -1, v1
	v_addc_co_u32_e64 v41, s[2:3], 0, -1, vcc
	v_cmp_ne_u32_e32 vcc, 0, v1
	v_xor_b32_e32 v1, vcc_hi, v41
	v_and_b32_e32 v41, exec_hi, v1
	v_lshlrev_b32_e32 v1, 30, v4
	v_xor_b32_e32 v5, vcc_lo, v5
	v_cmp_gt_i64_e32 vcc, 0, v[0:1]
	v_not_b32_e32 v1, v1
	v_ashrrev_i32_e32 v1, 31, v1
	v_and_b32_e32 v5, exec_lo, v5
	v_xor_b32_e32 v42, vcc_hi, v1
	v_xor_b32_e32 v1, vcc_lo, v1
	v_and_b32_e32 v5, v5, v1
	v_lshlrev_b32_e32 v1, 29, v4
	v_cmp_gt_i64_e32 vcc, 0, v[0:1]
	v_not_b32_e32 v1, v1
	v_ashrrev_i32_e32 v1, 31, v1
	v_and_b32_e32 v41, v41, v42
	v_xor_b32_e32 v42, vcc_hi, v1
	v_xor_b32_e32 v1, vcc_lo, v1
	v_and_b32_e32 v5, v5, v1
	v_lshlrev_b32_e32 v1, 28, v4
	v_cmp_gt_i64_e32 vcc, 0, v[0:1]
	v_not_b32_e32 v1, v1
	v_ashrrev_i32_e32 v1, 31, v1
	v_and_b32_e32 v41, v41, v42
	;; [unrolled: 8-line block ×5, first 2 shown]
	v_xor_b32_e32 v42, vcc_hi, v1
	v_xor_b32_e32 v1, vcc_lo, v1
	v_and_b32_e32 v5, v5, v1
	v_lshlrev_b32_e32 v1, 24, v4
	v_cmp_gt_i64_e32 vcc, 0, v[0:1]
	v_not_b32_e32 v0, v1
	v_ashrrev_i32_e32 v0, 31, v0
	v_xor_b32_e32 v1, vcc_hi, v0
	v_xor_b32_e32 v0, vcc_lo, v0
	; wave barrier
	ds_read_b32 v39, v45 offset:64
	v_and_b32_e32 v41, v41, v42
	v_and_b32_e32 v0, v5, v0
	v_and_b32_e32 v1, v41, v1
	v_mbcnt_lo_u32_b32 v4, v0, 0
	v_mbcnt_hi_u32_b32 v41, v1, v4
	v_cmp_eq_u32_e32 vcc, 0, v41
	v_cmp_ne_u64_e64 s[2:3], 0, v[0:1]
	s_and_b64 s[4:5], s[2:3], vcc
	; wave barrier
	s_and_saveexec_b64 s[2:3], s[4:5]
	s_cbranch_execz .LBB654_103
; %bb.102:
	v_bcnt_u32_b32 v0, v0, 0
	v_bcnt_u32_b32 v0, v1, v0
	s_waitcnt lgkmcnt(0)
	v_add_u32_e32 v0, v39, v0
	ds_write_b32 v45, v0 offset:64
.LBB654_103:
	s_or_b64 exec, exec, s[2:3]
	s_waitcnt vmcnt(3)
	v_xor_b32_e32 v34, 0x80000000, v34
	v_lshrrev_b32_e32 v0, s20, v34
	v_and_b32_e32 v4, s13, v0
	v_and_b32_e32 v1, 1, v4
	v_add_co_u32_e32 v5, vcc, -1, v1
	v_addc_co_u32_e64 v43, s[2:3], 0, -1, vcc
	v_cmp_ne_u32_e32 vcc, 0, v1
	v_lshl_add_u32 v0, v4, 4, v4
	v_xor_b32_e32 v1, vcc_hi, v43
	v_add_lshl_u32 v48, v24, v0, 2
	v_mov_b32_e32 v0, 0
	v_and_b32_e32 v43, exec_hi, v1
	v_lshlrev_b32_e32 v1, 30, v4
	v_xor_b32_e32 v5, vcc_lo, v5
	v_cmp_gt_i64_e32 vcc, 0, v[0:1]
	v_not_b32_e32 v1, v1
	v_ashrrev_i32_e32 v1, 31, v1
	v_and_b32_e32 v5, exec_lo, v5
	v_xor_b32_e32 v44, vcc_hi, v1
	v_xor_b32_e32 v1, vcc_lo, v1
	v_and_b32_e32 v5, v5, v1
	v_lshlrev_b32_e32 v1, 29, v4
	v_cmp_gt_i64_e32 vcc, 0, v[0:1]
	v_not_b32_e32 v1, v1
	v_ashrrev_i32_e32 v1, 31, v1
	v_and_b32_e32 v43, v43, v44
	v_xor_b32_e32 v44, vcc_hi, v1
	v_xor_b32_e32 v1, vcc_lo, v1
	v_and_b32_e32 v5, v5, v1
	v_lshlrev_b32_e32 v1, 28, v4
	v_cmp_gt_i64_e32 vcc, 0, v[0:1]
	v_not_b32_e32 v1, v1
	v_ashrrev_i32_e32 v1, 31, v1
	v_and_b32_e32 v43, v43, v44
	;; [unrolled: 8-line block ×5, first 2 shown]
	v_xor_b32_e32 v44, vcc_hi, v1
	v_xor_b32_e32 v1, vcc_lo, v1
	v_and_b32_e32 v43, v43, v44
	v_and_b32_e32 v44, v5, v1
	v_lshlrev_b32_e32 v1, 24, v4
	v_cmp_gt_i64_e32 vcc, 0, v[0:1]
	v_not_b32_e32 v1, v1
	v_ashrrev_i32_e32 v1, 31, v1
	v_xor_b32_e32 v4, vcc_hi, v1
	v_xor_b32_e32 v1, vcc_lo, v1
	; wave barrier
	ds_read_b32 v42, v48 offset:64
	v_and_b32_e32 v5, v43, v4
	v_and_b32_e32 v4, v44, v1
	v_mbcnt_lo_u32_b32 v1, v4, 0
	v_mbcnt_hi_u32_b32 v43, v5, v1
	v_cmp_eq_u32_e32 vcc, 0, v43
	v_cmp_ne_u64_e64 s[2:3], 0, v[4:5]
	s_and_b64 s[4:5], s[2:3], vcc
	; wave barrier
	s_and_saveexec_b64 s[2:3], s[4:5]
	s_cbranch_execz .LBB654_105
; %bb.104:
	v_bcnt_u32_b32 v1, v4, 0
	v_bcnt_u32_b32 v1, v5, v1
	s_waitcnt lgkmcnt(0)
	v_add_u32_e32 v1, v42, v1
	ds_write_b32 v48, v1 offset:64
.LBB654_105:
	s_or_b64 exec, exec, s[2:3]
	s_waitcnt vmcnt(2)
	v_xor_b32_e32 v32, 0x80000000, v32
	v_lshrrev_b32_e32 v1, s20, v32
	v_and_b32_e32 v4, s13, v1
	v_lshl_add_u32 v1, v4, 4, v4
	v_add_lshl_u32 v51, v24, v1, 2
	v_and_b32_e32 v1, 1, v4
	v_add_co_u32_e32 v5, vcc, -1, v1
	v_addc_co_u32_e64 v44, s[2:3], 0, -1, vcc
	v_cmp_ne_u32_e32 vcc, 0, v1
	v_xor_b32_e32 v1, vcc_hi, v44
	v_and_b32_e32 v44, exec_hi, v1
	v_lshlrev_b32_e32 v1, 30, v4
	v_xor_b32_e32 v5, vcc_lo, v5
	v_cmp_gt_i64_e32 vcc, 0, v[0:1]
	v_not_b32_e32 v1, v1
	v_ashrrev_i32_e32 v1, 31, v1
	v_and_b32_e32 v5, exec_lo, v5
	v_xor_b32_e32 v47, vcc_hi, v1
	v_xor_b32_e32 v1, vcc_lo, v1
	v_and_b32_e32 v5, v5, v1
	v_lshlrev_b32_e32 v1, 29, v4
	v_cmp_gt_i64_e32 vcc, 0, v[0:1]
	v_not_b32_e32 v1, v1
	v_ashrrev_i32_e32 v1, 31, v1
	v_and_b32_e32 v44, v44, v47
	v_xor_b32_e32 v47, vcc_hi, v1
	v_xor_b32_e32 v1, vcc_lo, v1
	v_and_b32_e32 v5, v5, v1
	v_lshlrev_b32_e32 v1, 28, v4
	v_cmp_gt_i64_e32 vcc, 0, v[0:1]
	v_not_b32_e32 v1, v1
	v_ashrrev_i32_e32 v1, 31, v1
	v_and_b32_e32 v44, v44, v47
	;; [unrolled: 8-line block ×5, first 2 shown]
	v_xor_b32_e32 v47, vcc_hi, v1
	v_xor_b32_e32 v1, vcc_lo, v1
	v_and_b32_e32 v5, v5, v1
	v_lshlrev_b32_e32 v1, 24, v4
	v_cmp_gt_i64_e32 vcc, 0, v[0:1]
	v_not_b32_e32 v0, v1
	v_ashrrev_i32_e32 v0, 31, v0
	v_xor_b32_e32 v1, vcc_hi, v0
	v_xor_b32_e32 v0, vcc_lo, v0
	; wave barrier
	ds_read_b32 v46, v51 offset:64
	v_and_b32_e32 v44, v44, v47
	v_and_b32_e32 v0, v5, v0
	;; [unrolled: 1-line block ×3, first 2 shown]
	v_mbcnt_lo_u32_b32 v4, v0, 0
	v_mbcnt_hi_u32_b32 v47, v1, v4
	v_cmp_eq_u32_e32 vcc, 0, v47
	v_cmp_ne_u64_e64 s[2:3], 0, v[0:1]
	s_and_b64 s[4:5], s[2:3], vcc
	; wave barrier
	s_and_saveexec_b64 s[2:3], s[4:5]
	s_cbranch_execz .LBB654_107
; %bb.106:
	v_bcnt_u32_b32 v0, v0, 0
	v_bcnt_u32_b32 v0, v1, v0
	s_waitcnt lgkmcnt(0)
	v_add_u32_e32 v0, v46, v0
	ds_write_b32 v51, v0 offset:64
.LBB654_107:
	s_or_b64 exec, exec, s[2:3]
	s_waitcnt vmcnt(1)
	v_xor_b32_e32 v27, 0x80000000, v27
	v_lshrrev_b32_e32 v0, s20, v27
	v_and_b32_e32 v4, s13, v0
	v_and_b32_e32 v1, 1, v4
	v_add_co_u32_e32 v5, vcc, -1, v1
	v_addc_co_u32_e64 v44, s[2:3], 0, -1, vcc
	v_cmp_ne_u32_e32 vcc, 0, v1
	v_lshl_add_u32 v0, v4, 4, v4
	v_xor_b32_e32 v1, vcc_hi, v44
	v_add_lshl_u32 v54, v24, v0, 2
	v_mov_b32_e32 v0, 0
	v_and_b32_e32 v44, exec_hi, v1
	v_lshlrev_b32_e32 v1, 30, v4
	v_xor_b32_e32 v5, vcc_lo, v5
	v_cmp_gt_i64_e32 vcc, 0, v[0:1]
	v_not_b32_e32 v1, v1
	v_ashrrev_i32_e32 v1, 31, v1
	v_and_b32_e32 v5, exec_lo, v5
	v_xor_b32_e32 v50, vcc_hi, v1
	v_xor_b32_e32 v1, vcc_lo, v1
	v_and_b32_e32 v5, v5, v1
	v_lshlrev_b32_e32 v1, 29, v4
	v_cmp_gt_i64_e32 vcc, 0, v[0:1]
	v_not_b32_e32 v1, v1
	v_ashrrev_i32_e32 v1, 31, v1
	v_and_b32_e32 v44, v44, v50
	v_xor_b32_e32 v50, vcc_hi, v1
	v_xor_b32_e32 v1, vcc_lo, v1
	v_and_b32_e32 v5, v5, v1
	v_lshlrev_b32_e32 v1, 28, v4
	v_cmp_gt_i64_e32 vcc, 0, v[0:1]
	v_not_b32_e32 v1, v1
	v_ashrrev_i32_e32 v1, 31, v1
	v_and_b32_e32 v44, v44, v50
	;; [unrolled: 8-line block ×5, first 2 shown]
	v_xor_b32_e32 v50, vcc_hi, v1
	v_xor_b32_e32 v1, vcc_lo, v1
	v_and_b32_e32 v44, v44, v50
	v_and_b32_e32 v50, v5, v1
	v_lshlrev_b32_e32 v1, 24, v4
	v_cmp_gt_i64_e32 vcc, 0, v[0:1]
	v_not_b32_e32 v1, v1
	v_ashrrev_i32_e32 v1, 31, v1
	v_xor_b32_e32 v4, vcc_hi, v1
	v_xor_b32_e32 v1, vcc_lo, v1
	; wave barrier
	ds_read_b32 v49, v54 offset:64
	v_and_b32_e32 v5, v44, v4
	v_and_b32_e32 v4, v50, v1
	v_mbcnt_lo_u32_b32 v1, v4, 0
	v_mbcnt_hi_u32_b32 v50, v5, v1
	v_cmp_eq_u32_e32 vcc, 0, v50
	v_cmp_ne_u64_e64 s[2:3], 0, v[4:5]
	s_and_b64 s[4:5], s[2:3], vcc
	; wave barrier
	s_and_saveexec_b64 s[2:3], s[4:5]
	s_cbranch_execz .LBB654_109
; %bb.108:
	v_bcnt_u32_b32 v1, v4, 0
	v_bcnt_u32_b32 v1, v5, v1
	s_waitcnt lgkmcnt(0)
	v_add_u32_e32 v1, v49, v1
	ds_write_b32 v54, v1 offset:64
.LBB654_109:
	s_or_b64 exec, exec, s[2:3]
	s_waitcnt vmcnt(0)
	v_xor_b32_e32 v44, 0x80000000, v9
	v_lshrrev_b32_e32 v1, s20, v44
	v_and_b32_e32 v4, s13, v1
	v_lshl_add_u32 v1, v4, 4, v4
	v_add_lshl_u32 v9, v24, v1, 2
	v_and_b32_e32 v1, 1, v4
	v_add_co_u32_e32 v5, vcc, -1, v1
	v_addc_co_u32_e64 v24, s[2:3], 0, -1, vcc
	v_cmp_ne_u32_e32 vcc, 0, v1
	v_xor_b32_e32 v1, vcc_hi, v24
	v_and_b32_e32 v24, exec_hi, v1
	v_lshlrev_b32_e32 v1, 30, v4
	v_xor_b32_e32 v5, vcc_lo, v5
	v_cmp_gt_i64_e32 vcc, 0, v[0:1]
	v_not_b32_e32 v1, v1
	v_ashrrev_i32_e32 v1, 31, v1
	v_and_b32_e32 v5, exec_lo, v5
	v_xor_b32_e32 v53, vcc_hi, v1
	v_xor_b32_e32 v1, vcc_lo, v1
	v_and_b32_e32 v5, v5, v1
	v_lshlrev_b32_e32 v1, 29, v4
	v_cmp_gt_i64_e32 vcc, 0, v[0:1]
	v_not_b32_e32 v1, v1
	v_ashrrev_i32_e32 v1, 31, v1
	v_and_b32_e32 v24, v24, v53
	v_xor_b32_e32 v53, vcc_hi, v1
	v_xor_b32_e32 v1, vcc_lo, v1
	v_and_b32_e32 v5, v5, v1
	v_lshlrev_b32_e32 v1, 28, v4
	v_cmp_gt_i64_e32 vcc, 0, v[0:1]
	v_not_b32_e32 v1, v1
	v_ashrrev_i32_e32 v1, 31, v1
	v_and_b32_e32 v24, v24, v53
	;; [unrolled: 8-line block ×5, first 2 shown]
	v_xor_b32_e32 v53, vcc_hi, v1
	v_xor_b32_e32 v1, vcc_lo, v1
	v_and_b32_e32 v5, v5, v1
	v_lshlrev_b32_e32 v1, 24, v4
	v_cmp_gt_i64_e32 vcc, 0, v[0:1]
	v_not_b32_e32 v0, v1
	v_ashrrev_i32_e32 v0, 31, v0
	v_xor_b32_e32 v1, vcc_hi, v0
	v_xor_b32_e32 v0, vcc_lo, v0
	; wave barrier
	ds_read_b32 v52, v9 offset:64
	v_and_b32_e32 v24, v24, v53
	v_and_b32_e32 v0, v5, v0
	;; [unrolled: 1-line block ×3, first 2 shown]
	v_mbcnt_lo_u32_b32 v4, v0, 0
	v_mbcnt_hi_u32_b32 v53, v1, v4
	v_cmp_eq_u32_e32 vcc, 0, v53
	v_cmp_ne_u64_e64 s[2:3], 0, v[0:1]
	v_add_u32_e32 v55, 64, v6
	s_and_b64 s[4:5], s[2:3], vcc
	; wave barrier
	s_and_saveexec_b64 s[2:3], s[4:5]
	s_cbranch_execz .LBB654_111
; %bb.110:
	v_bcnt_u32_b32 v0, v0, 0
	v_bcnt_u32_b32 v0, v1, v0
	s_waitcnt lgkmcnt(0)
	v_add_u32_e32 v0, v52, v0
	ds_write_b32 v9, v0 offset:64
.LBB654_111:
	s_or_b64 exec, exec, s[2:3]
	; wave barrier
	s_waitcnt lgkmcnt(0)
	s_barrier
	ds_read2_b32 v[4:5], v6 offset0:16 offset1:17
	ds_read2_b32 v[0:1], v55 offset0:2 offset1:3
	ds_read_b32 v24, v55 offset:16
	v_cmp_lt_u32_e64 s[8:9], 31, v3
	s_waitcnt lgkmcnt(1)
	v_add3_u32 v56, v5, v4, v0
	s_waitcnt lgkmcnt(0)
	v_add3_u32 v24, v56, v1, v24
	v_and_b32_e32 v56, 15, v3
	v_cmp_eq_u32_e32 vcc, 0, v56
	v_mov_b32_dpp v57, v24 row_shr:1 row_mask:0xf bank_mask:0xf
	v_cndmask_b32_e64 v57, v57, 0, vcc
	v_add_u32_e32 v24, v57, v24
	v_cmp_lt_u32_e64 s[2:3], 1, v56
	v_cmp_lt_u32_e64 s[4:5], 3, v56
	v_mov_b32_dpp v57, v24 row_shr:2 row_mask:0xf bank_mask:0xf
	v_cndmask_b32_e64 v57, 0, v57, s[2:3]
	v_add_u32_e32 v24, v24, v57
	v_cmp_lt_u32_e64 s[6:7], 7, v56
	s_nop 0
	v_mov_b32_dpp v57, v24 row_shr:4 row_mask:0xf bank_mask:0xf
	v_cndmask_b32_e64 v57, 0, v57, s[4:5]
	v_add_u32_e32 v24, v24, v57
	s_nop 1
	v_mov_b32_dpp v57, v24 row_shr:8 row_mask:0xf bank_mask:0xf
	v_cndmask_b32_e64 v56, 0, v57, s[6:7]
	v_add_u32_e32 v24, v24, v56
	v_bfe_i32 v57, v3, 4, 1
	s_nop 0
	v_mov_b32_dpp v56, v24 row_bcast:15 row_mask:0xf bank_mask:0xf
	v_and_b32_e32 v56, v57, v56
	v_add_u32_e32 v24, v24, v56
	v_lshrrev_b32_e32 v57, 6, v2
	s_nop 0
	v_mov_b32_dpp v56, v24 row_bcast:31 row_mask:0xf bank_mask:0xf
	v_cndmask_b32_e64 v56, 0, v56, s[8:9]
	v_add_u32_e32 v56, v24, v56
	v_and_b32_e32 v24, 63, v2
	v_cmp_eq_u32_e64 s[8:9], 63, v24
	s_and_saveexec_b64 s[10:11], s[8:9]
	s_cbranch_execz .LBB654_113
; %bb.112:
	v_lshlrev_b32_e32 v24, 2, v57
	ds_write_b32 v24, v56
.LBB654_113:
	s_or_b64 exec, exec, s[10:11]
	v_cmp_gt_u32_e64 s[8:9], 16, v2
	v_lshlrev_b32_e32 v24, 2, v2
	s_waitcnt lgkmcnt(0)
	s_barrier
	s_and_saveexec_b64 s[10:11], s[8:9]
	s_cbranch_execz .LBB654_115
; %bb.114:
	ds_read_b32 v58, v24
	s_waitcnt lgkmcnt(0)
	s_nop 0
	v_mov_b32_dpp v59, v58 row_shr:1 row_mask:0xf bank_mask:0xf
	v_cndmask_b32_e64 v59, v59, 0, vcc
	v_add_u32_e32 v58, v59, v58
	s_nop 1
	v_mov_b32_dpp v59, v58 row_shr:2 row_mask:0xf bank_mask:0xf
	v_cndmask_b32_e64 v59, 0, v59, s[2:3]
	v_add_u32_e32 v58, v58, v59
	s_nop 1
	v_mov_b32_dpp v59, v58 row_shr:4 row_mask:0xf bank_mask:0xf
	v_cndmask_b32_e64 v59, 0, v59, s[4:5]
	;; [unrolled: 4-line block ×3, first 2 shown]
	v_add_u32_e32 v58, v58, v59
	ds_write_b32 v24, v58
.LBB654_115:
	s_or_b64 exec, exec, s[10:11]
	v_cmp_lt_u32_e32 vcc, 63, v2
	v_mov_b32_e32 v58, 0
	s_waitcnt lgkmcnt(0)
	s_barrier
	s_and_saveexec_b64 s[2:3], vcc
	s_cbranch_execz .LBB654_117
; %bb.116:
	v_lshl_add_u32 v57, v57, 2, -4
	ds_read_b32 v58, v57
.LBB654_117:
	s_or_b64 exec, exec, s[2:3]
	v_add_u32_e32 v57, -1, v3
	v_and_b32_e32 v59, 64, v3
	v_cmp_lt_i32_e32 vcc, v57, v59
	v_cndmask_b32_e32 v57, v57, v3, vcc
	s_waitcnt lgkmcnt(0)
	v_add_u32_e32 v56, v58, v56
	v_lshlrev_b32_e32 v57, 2, v57
	ds_bpermute_b32 v56, v57, v56
	v_cmp_eq_u32_e32 vcc, 0, v3
	s_movk_i32 s2, 0xff
	s_waitcnt lgkmcnt(0)
	v_cndmask_b32_e32 v3, v56, v58, vcc
	v_cndmask_b32_e64 v3, v3, 0, s[0:1]
	v_add_u32_e32 v4, v3, v4
	v_add_u32_e32 v5, v4, v5
	;; [unrolled: 1-line block ×4, first 2 shown]
	ds_write2_b32 v6, v3, v4 offset0:16 offset1:17
	ds_write2_b32 v55, v5, v0 offset0:2 offset1:3
	ds_write_b32 v55, v1 offset:16
	s_waitcnt lgkmcnt(0)
	s_barrier
	ds_read_b32 v59, v7 offset:64
	ds_read_b32 v55, v8 offset:64
	ds_read_b32 v56, v25 offset:64
	ds_read_b32 v57, v30 offset:64
	ds_read_b32 v58, v35 offset:64
	ds_read_b32 v38, v38 offset:64
	ds_read_b32 v35, v40 offset:64
	ds_read_b32 v30, v45 offset:64
	ds_read_b32 v25, v48 offset:64
	ds_read_b32 v45, v51 offset:64
	ds_read_b32 v48, v54 offset:64
	ds_read_b32 v51, v9 offset:64
	s_movk_i32 s0, 0x100
	v_cmp_lt_u32_e32 vcc, s2, v2
	v_cmp_gt_u32_e64 s[0:1], s0, v2
	v_pk_mov_b32 v[4:5], 0, 0
                                        ; implicit-def: $vgpr40
	s_and_saveexec_b64 s[4:5], s[0:1]
	s_cbranch_execz .LBB654_121
; %bb.118:
	v_mul_u32_u24_e32 v0, 17, v2
	v_lshlrev_b32_e32 v1, 2, v0
	ds_read_b32 v4, v1 offset:64
	v_cmp_ne_u32_e64 s[2:3], s2, v2
	v_mov_b32_e32 v0, 0x3000
	s_and_saveexec_b64 s[6:7], s[2:3]
	s_cbranch_execz .LBB654_120
; %bb.119:
	ds_read_b32 v0, v1 offset:132
.LBB654_120:
	s_or_b64 exec, exec, s[6:7]
	s_waitcnt lgkmcnt(0)
	v_sub_u32_e32 v40, v0, v4
	v_mov_b32_e32 v5, 0
.LBB654_121:
	s_or_b64 exec, exec, s[4:5]
	s_waitcnt lgkmcnt(0)
	s_barrier
	s_and_saveexec_b64 s[2:3], vcc
	s_xor_b64 s[2:3], exec, s[2:3]
; %bb.122:
	v_mov_b32_e32 v3, 0
; %bb.123:
	s_andn2_saveexec_b64 s[2:3], s[2:3]
	s_cbranch_execz .LBB654_133
; %bb.124:
	v_lshl_or_b32 v0, s30, 8, v2
	v_mov_b32_e32 v1, 0
	v_lshlrev_b64 v[6:7], 2, v[0:1]
	v_mov_b32_e32 v3, s15
	v_add_co_u32_e32 v6, vcc, s14, v6
	v_addc_co_u32_e32 v7, vcc, v3, v7, vcc
	v_or_b32_e32 v0, 2.0, v40
	s_mov_b64 s[4:5], 0
	s_brev_b32 s10, 1
	s_mov_b32 s11, s30
	v_mov_b32_e32 v54, 0
	global_store_dword v[6:7], v0, off
                                        ; implicit-def: $sgpr6_sgpr7
	s_branch .LBB654_127
.LBB654_125:                            ;   in Loop: Header=BB654_127 Depth=1
	s_or_b64 exec, exec, s[8:9]
.LBB654_126:                            ;   in Loop: Header=BB654_127 Depth=1
	s_or_b64 exec, exec, s[6:7]
	v_and_b32_e32 v8, 0x3fffffff, v60
	v_add_u32_e32 v54, v8, v54
	v_cmp_eq_u32_e64 s[6:7], s10, v0
	s_and_b64 s[8:9], exec, s[6:7]
	s_or_b64 s[4:5], s[8:9], s[4:5]
	s_andn2_b64 exec, exec, s[4:5]
	s_cbranch_execz .LBB654_132
.LBB654_127:                            ; =>This Loop Header: Depth=1
                                        ;     Child Loop BB654_130 Depth 2
	s_or_b64 s[6:7], s[6:7], exec
	s_cmp_eq_u32 s11, 0
	s_cbranch_scc1 .LBB654_131
; %bb.128:                              ;   in Loop: Header=BB654_127 Depth=1
	s_add_i32 s11, s11, -1
	v_lshl_or_b32 v0, s11, 8, v2
	v_lshlrev_b64 v[8:9], 2, v[0:1]
	v_add_co_u32_e32 v8, vcc, s14, v8
	v_addc_co_u32_e32 v9, vcc, v3, v9, vcc
	global_load_dword v60, v[8:9], off glc
	s_waitcnt vmcnt(0)
	v_and_b32_e32 v0, -2.0, v60
	v_cmp_eq_u32_e32 vcc, 0, v0
	s_and_saveexec_b64 s[6:7], vcc
	s_cbranch_execz .LBB654_126
; %bb.129:                              ;   in Loop: Header=BB654_127 Depth=1
	s_mov_b64 s[8:9], 0
.LBB654_130:                            ;   Parent Loop BB654_127 Depth=1
                                        ; =>  This Inner Loop Header: Depth=2
	global_load_dword v60, v[8:9], off glc
	s_waitcnt vmcnt(0)
	v_and_b32_e32 v0, -2.0, v60
	v_cmp_ne_u32_e32 vcc, 0, v0
	s_or_b64 s[8:9], vcc, s[8:9]
	s_andn2_b64 exec, exec, s[8:9]
	s_cbranch_execnz .LBB654_130
	s_branch .LBB654_125
.LBB654_131:                            ;   in Loop: Header=BB654_127 Depth=1
                                        ; implicit-def: $sgpr11
	s_and_b64 s[8:9], exec, s[6:7]
	s_or_b64 s[4:5], s[8:9], s[4:5]
	s_andn2_b64 exec, exec, s[4:5]
	s_cbranch_execnz .LBB654_127
.LBB654_132:
	s_or_b64 exec, exec, s[4:5]
	v_add_u32_e32 v0, v54, v40
	v_or_b32_e32 v0, 0x80000000, v0
	global_store_dword v[6:7], v0, off
	v_lshlrev_b32_e32 v6, 3, v2
	global_load_dwordx2 v[0:1], v6, s[16:17]
	v_sub_co_u32_e32 v7, vcc, v54, v4
	v_subb_co_u32_e32 v8, vcc, 0, v5, vcc
	v_mov_b32_e32 v3, 0
	s_waitcnt vmcnt(0)
	v_add_co_u32_e32 v0, vcc, v7, v0
	v_addc_co_u32_e32 v1, vcc, v8, v1, vcc
	ds_write_b64 v6, v[0:1]
.LBB654_133:
	s_or_b64 exec, exec, s[2:3]
	v_lshlrev_b64 v[0:1], 2, v[2:3]
	v_add3_u32 v15, v16, v55, v15
	v_mov_b32_e32 v16, s27
	v_add_co_u32_e32 v0, vcc, s26, v0
	v_add_u32_e32 v6, v59, v14
	v_add_u32_e32 v7, 0x800, v24
	v_add3_u32 v8, v53, v51, v52
	v_add3_u32 v9, v50, v48, v49
	;; [unrolled: 1-line block ×10, first 2 shown]
	v_addc_co_u32_e32 v1, vcc, v16, v1, vcc
	s_mov_b32 s2, 0
	s_movk_i32 s3, 0x1000
	s_movk_i32 s4, 0x2000
.LBB654_134:                            ; =>This Inner Loop Header: Depth=1
	v_add_u32_e32 v16, s2, v6
	v_add_u32_e32 v36, s2, v31
	;; [unrolled: 1-line block ×12, first 2 shown]
	v_min_u32_e32 v16, 0x1000, v16
	v_min_u32_e32 v36, 0x1000, v36
	;; [unrolled: 1-line block ×12, first 2 shown]
	v_lshlrev_b32_e32 v16, 2, v16
	v_lshlrev_b32_e32 v36, 2, v36
	;; [unrolled: 1-line block ×12, first 2 shown]
	ds_write_b32 v16, v10 offset:2048
	ds_write_b32 v19, v11 offset:2048
	;; [unrolled: 1-line block ×12, first 2 shown]
	s_waitcnt lgkmcnt(0)
	s_barrier
	ds_read_b32 v16, v24 offset:2048
	ds_read2st64_b32 v[36:37], v7 offset0:16 offset1:32
	s_addk_i32 s2, 0xf000
	s_cmpk_lg_i32 s2, 0xd000
	s_waitcnt lgkmcnt(1)
	v_lshrrev_b32_e32 v19, s20, v16
	s_waitcnt lgkmcnt(0)
	v_lshrrev_b32_e32 v22, s20, v36
	v_lshrrev_b32_e32 v33, s20, v37
	v_and_b32_e32 v19, s13, v19
	v_and_b32_e32 v22, s13, v22
	;; [unrolled: 1-line block ×3, first 2 shown]
	v_lshlrev_b32_e32 v19, 3, v19
	v_xor_b32_e32 v28, 0x80000000, v36
	v_xor_b32_e32 v41, 0x80000000, v37
	v_lshlrev_b32_e32 v22, 3, v22
	v_lshlrev_b32_e32 v33, 3, v33
	ds_read_b64 v[36:37], v19
	ds_read_b64 v[38:39], v22
	;; [unrolled: 1-line block ×3, first 2 shown]
	ds_read_b32 v19, v7 offset:12288
	v_xor_b32_e32 v16, 0x80000000, v16
	s_waitcnt lgkmcnt(3)
	v_lshlrev_b64 v[36:37], 2, v[36:37]
	v_add_co_u32_e32 v36, vcc, v0, v36
	s_waitcnt lgkmcnt(2)
	v_lshlrev_b64 v[38:39], 2, v[38:39]
	v_addc_co_u32_e32 v37, vcc, v1, v37, vcc
	v_add_co_u32_e32 v33, vcc, v0, v38
	s_waitcnt lgkmcnt(1)
	v_lshlrev_b64 v[42:43], 2, v[42:43]
	v_addc_co_u32_e32 v38, vcc, v1, v39, vcc
	v_add_co_u32_e32 v39, vcc, v0, v42
	s_waitcnt lgkmcnt(0)
	v_lshrrev_b32_e32 v22, s20, v19
	v_addc_co_u32_e32 v42, vcc, v1, v43, vcc
	v_and_b32_e32 v22, s13, v22
	global_store_dword v[36:37], v16, off
	v_add_co_u32_e32 v36, vcc, s3, v33
	v_addc_co_u32_e32 v37, vcc, 0, v38, vcc
	v_lshlrev_b32_e32 v16, 3, v22
	global_store_dword v[36:37], v28, off
	ds_read_b64 v[36:37], v16
	v_add_co_u32_e32 v38, vcc, s4, v39
	v_addc_co_u32_e32 v39, vcc, 0, v42, vcc
	s_waitcnt lgkmcnt(0)
	v_lshlrev_b64 v[36:37], 2, v[36:37]
	v_add_co_u32_e32 v16, vcc, v0, v36
	v_addc_co_u32_e32 v22, vcc, v1, v37, vcc
	v_add_co_u32_e32 v36, vcc, 0x3000, v16
	v_addc_co_u32_e32 v37, vcc, 0, v22, vcc
	v_add_co_u32_e32 v0, vcc, 0x4000, v0
	v_xor_b32_e32 v19, 0x80000000, v19
	v_addc_co_u32_e32 v1, vcc, 0, v1, vcc
	global_store_dword v[38:39], v41, off
	global_store_dword v[36:37], v19, off
	s_barrier
	s_cbranch_scc1 .LBB654_134
; %bb.135:
	s_add_i32 s12, s12, -1
	s_cmp_eq_u32 s12, s30
	s_cselect_b64 s[2:3], -1, 0
	s_and_b64 s[2:3], s[0:1], s[2:3]
.LBB654_136:
	s_and_saveexec_b64 s[0:1], s[2:3]
	s_cbranch_execnz .LBB654_138
; %bb.137:
	s_endpgm
.LBB654_138:
	v_lshlrev_b32_e32 v6, 3, v2
	v_lshlrev_b64 v[0:1], 3, v[2:3]
	ds_read_b64 v[2:3], v6
	v_add_co_u32_e32 v4, vcc, v4, v40
	v_addc_co_u32_e32 v5, vcc, 0, v5, vcc
	v_mov_b32_e32 v7, s19
	v_add_co_u32_e32 v0, vcc, s18, v0
	v_addc_co_u32_e32 v1, vcc, v7, v1, vcc
	s_waitcnt lgkmcnt(0)
	v_add_co_u32_e32 v2, vcc, v4, v2
	v_addc_co_u32_e32 v3, vcc, v5, v3, vcc
	global_store_dwordx2 v[0:1], v[2:3], off
	s_endpgm
	.section	.rodata,"a",@progbits
	.p2align	6, 0x0
	.amdhsa_kernel _ZN7rocprim17ROCPRIM_400000_NS6detail17trampoline_kernelINS0_14default_configENS1_35radix_sort_onesweep_config_selectorIiNS0_10empty_typeEEEZZNS1_29radix_sort_onesweep_iterationIS3_Lb0EPiS8_PS5_S9_mNS0_19identity_decomposerENS1_16block_id_wrapperIjLb1EEEEE10hipError_tT1_PNSt15iterator_traitsISE_E10value_typeET2_T3_PNSF_ISK_E10value_typeET4_T5_PSP_SQ_PNS1_23onesweep_lookback_stateEbbT6_jjT7_P12ihipStream_tbENKUlT_T0_SE_SJ_E_clIS8_S8_S9_S9_EEDaSX_SY_SE_SJ_EUlSX_E_NS1_11comp_targetILNS1_3genE4ELNS1_11target_archE910ELNS1_3gpuE8ELNS1_3repE0EEENS1_47radix_sort_onesweep_sort_config_static_selectorELNS0_4arch9wavefront6targetE1EEEvSE_
		.amdhsa_group_segment_fixed_size 20552
		.amdhsa_private_segment_fixed_size 0
		.amdhsa_kernarg_size 344
		.amdhsa_user_sgpr_count 6
		.amdhsa_user_sgpr_private_segment_buffer 1
		.amdhsa_user_sgpr_dispatch_ptr 0
		.amdhsa_user_sgpr_queue_ptr 0
		.amdhsa_user_sgpr_kernarg_segment_ptr 1
		.amdhsa_user_sgpr_dispatch_id 0
		.amdhsa_user_sgpr_flat_scratch_init 0
		.amdhsa_user_sgpr_kernarg_preload_length 0
		.amdhsa_user_sgpr_kernarg_preload_offset 0
		.amdhsa_user_sgpr_private_segment_size 0
		.amdhsa_uses_dynamic_stack 0
		.amdhsa_system_sgpr_private_segment_wavefront_offset 0
		.amdhsa_system_sgpr_workgroup_id_x 1
		.amdhsa_system_sgpr_workgroup_id_y 0
		.amdhsa_system_sgpr_workgroup_id_z 0
		.amdhsa_system_sgpr_workgroup_info 0
		.amdhsa_system_vgpr_workitem_id 2
		.amdhsa_next_free_vgpr 62
		.amdhsa_next_free_sgpr 35
		.amdhsa_accum_offset 64
		.amdhsa_reserve_vcc 1
		.amdhsa_reserve_flat_scratch 0
		.amdhsa_float_round_mode_32 0
		.amdhsa_float_round_mode_16_64 0
		.amdhsa_float_denorm_mode_32 3
		.amdhsa_float_denorm_mode_16_64 3
		.amdhsa_dx10_clamp 1
		.amdhsa_ieee_mode 1
		.amdhsa_fp16_overflow 0
		.amdhsa_tg_split 0
		.amdhsa_exception_fp_ieee_invalid_op 0
		.amdhsa_exception_fp_denorm_src 0
		.amdhsa_exception_fp_ieee_div_zero 0
		.amdhsa_exception_fp_ieee_overflow 0
		.amdhsa_exception_fp_ieee_underflow 0
		.amdhsa_exception_fp_ieee_inexact 0
		.amdhsa_exception_int_div_zero 0
	.end_amdhsa_kernel
	.section	.text._ZN7rocprim17ROCPRIM_400000_NS6detail17trampoline_kernelINS0_14default_configENS1_35radix_sort_onesweep_config_selectorIiNS0_10empty_typeEEEZZNS1_29radix_sort_onesweep_iterationIS3_Lb0EPiS8_PS5_S9_mNS0_19identity_decomposerENS1_16block_id_wrapperIjLb1EEEEE10hipError_tT1_PNSt15iterator_traitsISE_E10value_typeET2_T3_PNSF_ISK_E10value_typeET4_T5_PSP_SQ_PNS1_23onesweep_lookback_stateEbbT6_jjT7_P12ihipStream_tbENKUlT_T0_SE_SJ_E_clIS8_S8_S9_S9_EEDaSX_SY_SE_SJ_EUlSX_E_NS1_11comp_targetILNS1_3genE4ELNS1_11target_archE910ELNS1_3gpuE8ELNS1_3repE0EEENS1_47radix_sort_onesweep_sort_config_static_selectorELNS0_4arch9wavefront6targetE1EEEvSE_,"axG",@progbits,_ZN7rocprim17ROCPRIM_400000_NS6detail17trampoline_kernelINS0_14default_configENS1_35radix_sort_onesweep_config_selectorIiNS0_10empty_typeEEEZZNS1_29radix_sort_onesweep_iterationIS3_Lb0EPiS8_PS5_S9_mNS0_19identity_decomposerENS1_16block_id_wrapperIjLb1EEEEE10hipError_tT1_PNSt15iterator_traitsISE_E10value_typeET2_T3_PNSF_ISK_E10value_typeET4_T5_PSP_SQ_PNS1_23onesweep_lookback_stateEbbT6_jjT7_P12ihipStream_tbENKUlT_T0_SE_SJ_E_clIS8_S8_S9_S9_EEDaSX_SY_SE_SJ_EUlSX_E_NS1_11comp_targetILNS1_3genE4ELNS1_11target_archE910ELNS1_3gpuE8ELNS1_3repE0EEENS1_47radix_sort_onesweep_sort_config_static_selectorELNS0_4arch9wavefront6targetE1EEEvSE_,comdat
.Lfunc_end654:
	.size	_ZN7rocprim17ROCPRIM_400000_NS6detail17trampoline_kernelINS0_14default_configENS1_35radix_sort_onesweep_config_selectorIiNS0_10empty_typeEEEZZNS1_29radix_sort_onesweep_iterationIS3_Lb0EPiS8_PS5_S9_mNS0_19identity_decomposerENS1_16block_id_wrapperIjLb1EEEEE10hipError_tT1_PNSt15iterator_traitsISE_E10value_typeET2_T3_PNSF_ISK_E10value_typeET4_T5_PSP_SQ_PNS1_23onesweep_lookback_stateEbbT6_jjT7_P12ihipStream_tbENKUlT_T0_SE_SJ_E_clIS8_S8_S9_S9_EEDaSX_SY_SE_SJ_EUlSX_E_NS1_11comp_targetILNS1_3genE4ELNS1_11target_archE910ELNS1_3gpuE8ELNS1_3repE0EEENS1_47radix_sort_onesweep_sort_config_static_selectorELNS0_4arch9wavefront6targetE1EEEvSE_, .Lfunc_end654-_ZN7rocprim17ROCPRIM_400000_NS6detail17trampoline_kernelINS0_14default_configENS1_35radix_sort_onesweep_config_selectorIiNS0_10empty_typeEEEZZNS1_29radix_sort_onesweep_iterationIS3_Lb0EPiS8_PS5_S9_mNS0_19identity_decomposerENS1_16block_id_wrapperIjLb1EEEEE10hipError_tT1_PNSt15iterator_traitsISE_E10value_typeET2_T3_PNSF_ISK_E10value_typeET4_T5_PSP_SQ_PNS1_23onesweep_lookback_stateEbbT6_jjT7_P12ihipStream_tbENKUlT_T0_SE_SJ_E_clIS8_S8_S9_S9_EEDaSX_SY_SE_SJ_EUlSX_E_NS1_11comp_targetILNS1_3genE4ELNS1_11target_archE910ELNS1_3gpuE8ELNS1_3repE0EEENS1_47radix_sort_onesweep_sort_config_static_selectorELNS0_4arch9wavefront6targetE1EEEvSE_
                                        ; -- End function
	.section	.AMDGPU.csdata,"",@progbits
; Kernel info:
; codeLenInByte = 14256
; NumSgprs: 39
; NumVgprs: 62
; NumAgprs: 0
; TotalNumVgprs: 62
; ScratchSize: 0
; MemoryBound: 0
; FloatMode: 240
; IeeeMode: 1
; LDSByteSize: 20552 bytes/workgroup (compile time only)
; SGPRBlocks: 4
; VGPRBlocks: 7
; NumSGPRsForWavesPerEU: 39
; NumVGPRsForWavesPerEU: 62
; AccumOffset: 64
; Occupancy: 8
; WaveLimiterHint : 1
; COMPUTE_PGM_RSRC2:SCRATCH_EN: 0
; COMPUTE_PGM_RSRC2:USER_SGPR: 6
; COMPUTE_PGM_RSRC2:TRAP_HANDLER: 0
; COMPUTE_PGM_RSRC2:TGID_X_EN: 1
; COMPUTE_PGM_RSRC2:TGID_Y_EN: 0
; COMPUTE_PGM_RSRC2:TGID_Z_EN: 0
; COMPUTE_PGM_RSRC2:TIDIG_COMP_CNT: 2
; COMPUTE_PGM_RSRC3_GFX90A:ACCUM_OFFSET: 15
; COMPUTE_PGM_RSRC3_GFX90A:TG_SPLIT: 0
	.section	.text._ZN7rocprim17ROCPRIM_400000_NS6detail17trampoline_kernelINS0_14default_configENS1_35radix_sort_onesweep_config_selectorIiNS0_10empty_typeEEEZZNS1_29radix_sort_onesweep_iterationIS3_Lb0EPiS8_PS5_S9_mNS0_19identity_decomposerENS1_16block_id_wrapperIjLb1EEEEE10hipError_tT1_PNSt15iterator_traitsISE_E10value_typeET2_T3_PNSF_ISK_E10value_typeET4_T5_PSP_SQ_PNS1_23onesweep_lookback_stateEbbT6_jjT7_P12ihipStream_tbENKUlT_T0_SE_SJ_E_clIS8_S8_S9_S9_EEDaSX_SY_SE_SJ_EUlSX_E_NS1_11comp_targetILNS1_3genE3ELNS1_11target_archE908ELNS1_3gpuE7ELNS1_3repE0EEENS1_47radix_sort_onesweep_sort_config_static_selectorELNS0_4arch9wavefront6targetE1EEEvSE_,"axG",@progbits,_ZN7rocprim17ROCPRIM_400000_NS6detail17trampoline_kernelINS0_14default_configENS1_35radix_sort_onesweep_config_selectorIiNS0_10empty_typeEEEZZNS1_29radix_sort_onesweep_iterationIS3_Lb0EPiS8_PS5_S9_mNS0_19identity_decomposerENS1_16block_id_wrapperIjLb1EEEEE10hipError_tT1_PNSt15iterator_traitsISE_E10value_typeET2_T3_PNSF_ISK_E10value_typeET4_T5_PSP_SQ_PNS1_23onesweep_lookback_stateEbbT6_jjT7_P12ihipStream_tbENKUlT_T0_SE_SJ_E_clIS8_S8_S9_S9_EEDaSX_SY_SE_SJ_EUlSX_E_NS1_11comp_targetILNS1_3genE3ELNS1_11target_archE908ELNS1_3gpuE7ELNS1_3repE0EEENS1_47radix_sort_onesweep_sort_config_static_selectorELNS0_4arch9wavefront6targetE1EEEvSE_,comdat
	.protected	_ZN7rocprim17ROCPRIM_400000_NS6detail17trampoline_kernelINS0_14default_configENS1_35radix_sort_onesweep_config_selectorIiNS0_10empty_typeEEEZZNS1_29radix_sort_onesweep_iterationIS3_Lb0EPiS8_PS5_S9_mNS0_19identity_decomposerENS1_16block_id_wrapperIjLb1EEEEE10hipError_tT1_PNSt15iterator_traitsISE_E10value_typeET2_T3_PNSF_ISK_E10value_typeET4_T5_PSP_SQ_PNS1_23onesweep_lookback_stateEbbT6_jjT7_P12ihipStream_tbENKUlT_T0_SE_SJ_E_clIS8_S8_S9_S9_EEDaSX_SY_SE_SJ_EUlSX_E_NS1_11comp_targetILNS1_3genE3ELNS1_11target_archE908ELNS1_3gpuE7ELNS1_3repE0EEENS1_47radix_sort_onesweep_sort_config_static_selectorELNS0_4arch9wavefront6targetE1EEEvSE_ ; -- Begin function _ZN7rocprim17ROCPRIM_400000_NS6detail17trampoline_kernelINS0_14default_configENS1_35radix_sort_onesweep_config_selectorIiNS0_10empty_typeEEEZZNS1_29radix_sort_onesweep_iterationIS3_Lb0EPiS8_PS5_S9_mNS0_19identity_decomposerENS1_16block_id_wrapperIjLb1EEEEE10hipError_tT1_PNSt15iterator_traitsISE_E10value_typeET2_T3_PNSF_ISK_E10value_typeET4_T5_PSP_SQ_PNS1_23onesweep_lookback_stateEbbT6_jjT7_P12ihipStream_tbENKUlT_T0_SE_SJ_E_clIS8_S8_S9_S9_EEDaSX_SY_SE_SJ_EUlSX_E_NS1_11comp_targetILNS1_3genE3ELNS1_11target_archE908ELNS1_3gpuE7ELNS1_3repE0EEENS1_47radix_sort_onesweep_sort_config_static_selectorELNS0_4arch9wavefront6targetE1EEEvSE_
	.globl	_ZN7rocprim17ROCPRIM_400000_NS6detail17trampoline_kernelINS0_14default_configENS1_35radix_sort_onesweep_config_selectorIiNS0_10empty_typeEEEZZNS1_29radix_sort_onesweep_iterationIS3_Lb0EPiS8_PS5_S9_mNS0_19identity_decomposerENS1_16block_id_wrapperIjLb1EEEEE10hipError_tT1_PNSt15iterator_traitsISE_E10value_typeET2_T3_PNSF_ISK_E10value_typeET4_T5_PSP_SQ_PNS1_23onesweep_lookback_stateEbbT6_jjT7_P12ihipStream_tbENKUlT_T0_SE_SJ_E_clIS8_S8_S9_S9_EEDaSX_SY_SE_SJ_EUlSX_E_NS1_11comp_targetILNS1_3genE3ELNS1_11target_archE908ELNS1_3gpuE7ELNS1_3repE0EEENS1_47radix_sort_onesweep_sort_config_static_selectorELNS0_4arch9wavefront6targetE1EEEvSE_
	.p2align	8
	.type	_ZN7rocprim17ROCPRIM_400000_NS6detail17trampoline_kernelINS0_14default_configENS1_35radix_sort_onesweep_config_selectorIiNS0_10empty_typeEEEZZNS1_29radix_sort_onesweep_iterationIS3_Lb0EPiS8_PS5_S9_mNS0_19identity_decomposerENS1_16block_id_wrapperIjLb1EEEEE10hipError_tT1_PNSt15iterator_traitsISE_E10value_typeET2_T3_PNSF_ISK_E10value_typeET4_T5_PSP_SQ_PNS1_23onesweep_lookback_stateEbbT6_jjT7_P12ihipStream_tbENKUlT_T0_SE_SJ_E_clIS8_S8_S9_S9_EEDaSX_SY_SE_SJ_EUlSX_E_NS1_11comp_targetILNS1_3genE3ELNS1_11target_archE908ELNS1_3gpuE7ELNS1_3repE0EEENS1_47radix_sort_onesweep_sort_config_static_selectorELNS0_4arch9wavefront6targetE1EEEvSE_,@function
_ZN7rocprim17ROCPRIM_400000_NS6detail17trampoline_kernelINS0_14default_configENS1_35radix_sort_onesweep_config_selectorIiNS0_10empty_typeEEEZZNS1_29radix_sort_onesweep_iterationIS3_Lb0EPiS8_PS5_S9_mNS0_19identity_decomposerENS1_16block_id_wrapperIjLb1EEEEE10hipError_tT1_PNSt15iterator_traitsISE_E10value_typeET2_T3_PNSF_ISK_E10value_typeET4_T5_PSP_SQ_PNS1_23onesweep_lookback_stateEbbT6_jjT7_P12ihipStream_tbENKUlT_T0_SE_SJ_E_clIS8_S8_S9_S9_EEDaSX_SY_SE_SJ_EUlSX_E_NS1_11comp_targetILNS1_3genE3ELNS1_11target_archE908ELNS1_3gpuE7ELNS1_3repE0EEENS1_47radix_sort_onesweep_sort_config_static_selectorELNS0_4arch9wavefront6targetE1EEEvSE_: ; @_ZN7rocprim17ROCPRIM_400000_NS6detail17trampoline_kernelINS0_14default_configENS1_35radix_sort_onesweep_config_selectorIiNS0_10empty_typeEEEZZNS1_29radix_sort_onesweep_iterationIS3_Lb0EPiS8_PS5_S9_mNS0_19identity_decomposerENS1_16block_id_wrapperIjLb1EEEEE10hipError_tT1_PNSt15iterator_traitsISE_E10value_typeET2_T3_PNSF_ISK_E10value_typeET4_T5_PSP_SQ_PNS1_23onesweep_lookback_stateEbbT6_jjT7_P12ihipStream_tbENKUlT_T0_SE_SJ_E_clIS8_S8_S9_S9_EEDaSX_SY_SE_SJ_EUlSX_E_NS1_11comp_targetILNS1_3genE3ELNS1_11target_archE908ELNS1_3gpuE7ELNS1_3repE0EEENS1_47radix_sort_onesweep_sort_config_static_selectorELNS0_4arch9wavefront6targetE1EEEvSE_
; %bb.0:
	.section	.rodata,"a",@progbits
	.p2align	6, 0x0
	.amdhsa_kernel _ZN7rocprim17ROCPRIM_400000_NS6detail17trampoline_kernelINS0_14default_configENS1_35radix_sort_onesweep_config_selectorIiNS0_10empty_typeEEEZZNS1_29radix_sort_onesweep_iterationIS3_Lb0EPiS8_PS5_S9_mNS0_19identity_decomposerENS1_16block_id_wrapperIjLb1EEEEE10hipError_tT1_PNSt15iterator_traitsISE_E10value_typeET2_T3_PNSF_ISK_E10value_typeET4_T5_PSP_SQ_PNS1_23onesweep_lookback_stateEbbT6_jjT7_P12ihipStream_tbENKUlT_T0_SE_SJ_E_clIS8_S8_S9_S9_EEDaSX_SY_SE_SJ_EUlSX_E_NS1_11comp_targetILNS1_3genE3ELNS1_11target_archE908ELNS1_3gpuE7ELNS1_3repE0EEENS1_47radix_sort_onesweep_sort_config_static_selectorELNS0_4arch9wavefront6targetE1EEEvSE_
		.amdhsa_group_segment_fixed_size 0
		.amdhsa_private_segment_fixed_size 0
		.amdhsa_kernarg_size 88
		.amdhsa_user_sgpr_count 6
		.amdhsa_user_sgpr_private_segment_buffer 1
		.amdhsa_user_sgpr_dispatch_ptr 0
		.amdhsa_user_sgpr_queue_ptr 0
		.amdhsa_user_sgpr_kernarg_segment_ptr 1
		.amdhsa_user_sgpr_dispatch_id 0
		.amdhsa_user_sgpr_flat_scratch_init 0
		.amdhsa_user_sgpr_kernarg_preload_length 0
		.amdhsa_user_sgpr_kernarg_preload_offset 0
		.amdhsa_user_sgpr_private_segment_size 0
		.amdhsa_uses_dynamic_stack 0
		.amdhsa_system_sgpr_private_segment_wavefront_offset 0
		.amdhsa_system_sgpr_workgroup_id_x 1
		.amdhsa_system_sgpr_workgroup_id_y 0
		.amdhsa_system_sgpr_workgroup_id_z 0
		.amdhsa_system_sgpr_workgroup_info 0
		.amdhsa_system_vgpr_workitem_id 0
		.amdhsa_next_free_vgpr 1
		.amdhsa_next_free_sgpr 0
		.amdhsa_accum_offset 4
		.amdhsa_reserve_vcc 0
		.amdhsa_reserve_flat_scratch 0
		.amdhsa_float_round_mode_32 0
		.amdhsa_float_round_mode_16_64 0
		.amdhsa_float_denorm_mode_32 3
		.amdhsa_float_denorm_mode_16_64 3
		.amdhsa_dx10_clamp 1
		.amdhsa_ieee_mode 1
		.amdhsa_fp16_overflow 0
		.amdhsa_tg_split 0
		.amdhsa_exception_fp_ieee_invalid_op 0
		.amdhsa_exception_fp_denorm_src 0
		.amdhsa_exception_fp_ieee_div_zero 0
		.amdhsa_exception_fp_ieee_overflow 0
		.amdhsa_exception_fp_ieee_underflow 0
		.amdhsa_exception_fp_ieee_inexact 0
		.amdhsa_exception_int_div_zero 0
	.end_amdhsa_kernel
	.section	.text._ZN7rocprim17ROCPRIM_400000_NS6detail17trampoline_kernelINS0_14default_configENS1_35radix_sort_onesweep_config_selectorIiNS0_10empty_typeEEEZZNS1_29radix_sort_onesweep_iterationIS3_Lb0EPiS8_PS5_S9_mNS0_19identity_decomposerENS1_16block_id_wrapperIjLb1EEEEE10hipError_tT1_PNSt15iterator_traitsISE_E10value_typeET2_T3_PNSF_ISK_E10value_typeET4_T5_PSP_SQ_PNS1_23onesweep_lookback_stateEbbT6_jjT7_P12ihipStream_tbENKUlT_T0_SE_SJ_E_clIS8_S8_S9_S9_EEDaSX_SY_SE_SJ_EUlSX_E_NS1_11comp_targetILNS1_3genE3ELNS1_11target_archE908ELNS1_3gpuE7ELNS1_3repE0EEENS1_47radix_sort_onesweep_sort_config_static_selectorELNS0_4arch9wavefront6targetE1EEEvSE_,"axG",@progbits,_ZN7rocprim17ROCPRIM_400000_NS6detail17trampoline_kernelINS0_14default_configENS1_35radix_sort_onesweep_config_selectorIiNS0_10empty_typeEEEZZNS1_29radix_sort_onesweep_iterationIS3_Lb0EPiS8_PS5_S9_mNS0_19identity_decomposerENS1_16block_id_wrapperIjLb1EEEEE10hipError_tT1_PNSt15iterator_traitsISE_E10value_typeET2_T3_PNSF_ISK_E10value_typeET4_T5_PSP_SQ_PNS1_23onesweep_lookback_stateEbbT6_jjT7_P12ihipStream_tbENKUlT_T0_SE_SJ_E_clIS8_S8_S9_S9_EEDaSX_SY_SE_SJ_EUlSX_E_NS1_11comp_targetILNS1_3genE3ELNS1_11target_archE908ELNS1_3gpuE7ELNS1_3repE0EEENS1_47radix_sort_onesweep_sort_config_static_selectorELNS0_4arch9wavefront6targetE1EEEvSE_,comdat
.Lfunc_end655:
	.size	_ZN7rocprim17ROCPRIM_400000_NS6detail17trampoline_kernelINS0_14default_configENS1_35radix_sort_onesweep_config_selectorIiNS0_10empty_typeEEEZZNS1_29radix_sort_onesweep_iterationIS3_Lb0EPiS8_PS5_S9_mNS0_19identity_decomposerENS1_16block_id_wrapperIjLb1EEEEE10hipError_tT1_PNSt15iterator_traitsISE_E10value_typeET2_T3_PNSF_ISK_E10value_typeET4_T5_PSP_SQ_PNS1_23onesweep_lookback_stateEbbT6_jjT7_P12ihipStream_tbENKUlT_T0_SE_SJ_E_clIS8_S8_S9_S9_EEDaSX_SY_SE_SJ_EUlSX_E_NS1_11comp_targetILNS1_3genE3ELNS1_11target_archE908ELNS1_3gpuE7ELNS1_3repE0EEENS1_47radix_sort_onesweep_sort_config_static_selectorELNS0_4arch9wavefront6targetE1EEEvSE_, .Lfunc_end655-_ZN7rocprim17ROCPRIM_400000_NS6detail17trampoline_kernelINS0_14default_configENS1_35radix_sort_onesweep_config_selectorIiNS0_10empty_typeEEEZZNS1_29radix_sort_onesweep_iterationIS3_Lb0EPiS8_PS5_S9_mNS0_19identity_decomposerENS1_16block_id_wrapperIjLb1EEEEE10hipError_tT1_PNSt15iterator_traitsISE_E10value_typeET2_T3_PNSF_ISK_E10value_typeET4_T5_PSP_SQ_PNS1_23onesweep_lookback_stateEbbT6_jjT7_P12ihipStream_tbENKUlT_T0_SE_SJ_E_clIS8_S8_S9_S9_EEDaSX_SY_SE_SJ_EUlSX_E_NS1_11comp_targetILNS1_3genE3ELNS1_11target_archE908ELNS1_3gpuE7ELNS1_3repE0EEENS1_47radix_sort_onesweep_sort_config_static_selectorELNS0_4arch9wavefront6targetE1EEEvSE_
                                        ; -- End function
	.section	.AMDGPU.csdata,"",@progbits
; Kernel info:
; codeLenInByte = 0
; NumSgprs: 4
; NumVgprs: 0
; NumAgprs: 0
; TotalNumVgprs: 0
; ScratchSize: 0
; MemoryBound: 0
; FloatMode: 240
; IeeeMode: 1
; LDSByteSize: 0 bytes/workgroup (compile time only)
; SGPRBlocks: 0
; VGPRBlocks: 0
; NumSGPRsForWavesPerEU: 4
; NumVGPRsForWavesPerEU: 1
; AccumOffset: 4
; Occupancy: 8
; WaveLimiterHint : 0
; COMPUTE_PGM_RSRC2:SCRATCH_EN: 0
; COMPUTE_PGM_RSRC2:USER_SGPR: 6
; COMPUTE_PGM_RSRC2:TRAP_HANDLER: 0
; COMPUTE_PGM_RSRC2:TGID_X_EN: 1
; COMPUTE_PGM_RSRC2:TGID_Y_EN: 0
; COMPUTE_PGM_RSRC2:TGID_Z_EN: 0
; COMPUTE_PGM_RSRC2:TIDIG_COMP_CNT: 0
; COMPUTE_PGM_RSRC3_GFX90A:ACCUM_OFFSET: 0
; COMPUTE_PGM_RSRC3_GFX90A:TG_SPLIT: 0
	.section	.text._ZN7rocprim17ROCPRIM_400000_NS6detail17trampoline_kernelINS0_14default_configENS1_35radix_sort_onesweep_config_selectorIiNS0_10empty_typeEEEZZNS1_29radix_sort_onesweep_iterationIS3_Lb0EPiS8_PS5_S9_mNS0_19identity_decomposerENS1_16block_id_wrapperIjLb1EEEEE10hipError_tT1_PNSt15iterator_traitsISE_E10value_typeET2_T3_PNSF_ISK_E10value_typeET4_T5_PSP_SQ_PNS1_23onesweep_lookback_stateEbbT6_jjT7_P12ihipStream_tbENKUlT_T0_SE_SJ_E_clIS8_S8_S9_S9_EEDaSX_SY_SE_SJ_EUlSX_E_NS1_11comp_targetILNS1_3genE10ELNS1_11target_archE1201ELNS1_3gpuE5ELNS1_3repE0EEENS1_47radix_sort_onesweep_sort_config_static_selectorELNS0_4arch9wavefront6targetE1EEEvSE_,"axG",@progbits,_ZN7rocprim17ROCPRIM_400000_NS6detail17trampoline_kernelINS0_14default_configENS1_35radix_sort_onesweep_config_selectorIiNS0_10empty_typeEEEZZNS1_29radix_sort_onesweep_iterationIS3_Lb0EPiS8_PS5_S9_mNS0_19identity_decomposerENS1_16block_id_wrapperIjLb1EEEEE10hipError_tT1_PNSt15iterator_traitsISE_E10value_typeET2_T3_PNSF_ISK_E10value_typeET4_T5_PSP_SQ_PNS1_23onesweep_lookback_stateEbbT6_jjT7_P12ihipStream_tbENKUlT_T0_SE_SJ_E_clIS8_S8_S9_S9_EEDaSX_SY_SE_SJ_EUlSX_E_NS1_11comp_targetILNS1_3genE10ELNS1_11target_archE1201ELNS1_3gpuE5ELNS1_3repE0EEENS1_47radix_sort_onesweep_sort_config_static_selectorELNS0_4arch9wavefront6targetE1EEEvSE_,comdat
	.protected	_ZN7rocprim17ROCPRIM_400000_NS6detail17trampoline_kernelINS0_14default_configENS1_35radix_sort_onesweep_config_selectorIiNS0_10empty_typeEEEZZNS1_29radix_sort_onesweep_iterationIS3_Lb0EPiS8_PS5_S9_mNS0_19identity_decomposerENS1_16block_id_wrapperIjLb1EEEEE10hipError_tT1_PNSt15iterator_traitsISE_E10value_typeET2_T3_PNSF_ISK_E10value_typeET4_T5_PSP_SQ_PNS1_23onesweep_lookback_stateEbbT6_jjT7_P12ihipStream_tbENKUlT_T0_SE_SJ_E_clIS8_S8_S9_S9_EEDaSX_SY_SE_SJ_EUlSX_E_NS1_11comp_targetILNS1_3genE10ELNS1_11target_archE1201ELNS1_3gpuE5ELNS1_3repE0EEENS1_47radix_sort_onesweep_sort_config_static_selectorELNS0_4arch9wavefront6targetE1EEEvSE_ ; -- Begin function _ZN7rocprim17ROCPRIM_400000_NS6detail17trampoline_kernelINS0_14default_configENS1_35radix_sort_onesweep_config_selectorIiNS0_10empty_typeEEEZZNS1_29radix_sort_onesweep_iterationIS3_Lb0EPiS8_PS5_S9_mNS0_19identity_decomposerENS1_16block_id_wrapperIjLb1EEEEE10hipError_tT1_PNSt15iterator_traitsISE_E10value_typeET2_T3_PNSF_ISK_E10value_typeET4_T5_PSP_SQ_PNS1_23onesweep_lookback_stateEbbT6_jjT7_P12ihipStream_tbENKUlT_T0_SE_SJ_E_clIS8_S8_S9_S9_EEDaSX_SY_SE_SJ_EUlSX_E_NS1_11comp_targetILNS1_3genE10ELNS1_11target_archE1201ELNS1_3gpuE5ELNS1_3repE0EEENS1_47radix_sort_onesweep_sort_config_static_selectorELNS0_4arch9wavefront6targetE1EEEvSE_
	.globl	_ZN7rocprim17ROCPRIM_400000_NS6detail17trampoline_kernelINS0_14default_configENS1_35radix_sort_onesweep_config_selectorIiNS0_10empty_typeEEEZZNS1_29radix_sort_onesweep_iterationIS3_Lb0EPiS8_PS5_S9_mNS0_19identity_decomposerENS1_16block_id_wrapperIjLb1EEEEE10hipError_tT1_PNSt15iterator_traitsISE_E10value_typeET2_T3_PNSF_ISK_E10value_typeET4_T5_PSP_SQ_PNS1_23onesweep_lookback_stateEbbT6_jjT7_P12ihipStream_tbENKUlT_T0_SE_SJ_E_clIS8_S8_S9_S9_EEDaSX_SY_SE_SJ_EUlSX_E_NS1_11comp_targetILNS1_3genE10ELNS1_11target_archE1201ELNS1_3gpuE5ELNS1_3repE0EEENS1_47radix_sort_onesweep_sort_config_static_selectorELNS0_4arch9wavefront6targetE1EEEvSE_
	.p2align	8
	.type	_ZN7rocprim17ROCPRIM_400000_NS6detail17trampoline_kernelINS0_14default_configENS1_35radix_sort_onesweep_config_selectorIiNS0_10empty_typeEEEZZNS1_29radix_sort_onesweep_iterationIS3_Lb0EPiS8_PS5_S9_mNS0_19identity_decomposerENS1_16block_id_wrapperIjLb1EEEEE10hipError_tT1_PNSt15iterator_traitsISE_E10value_typeET2_T3_PNSF_ISK_E10value_typeET4_T5_PSP_SQ_PNS1_23onesweep_lookback_stateEbbT6_jjT7_P12ihipStream_tbENKUlT_T0_SE_SJ_E_clIS8_S8_S9_S9_EEDaSX_SY_SE_SJ_EUlSX_E_NS1_11comp_targetILNS1_3genE10ELNS1_11target_archE1201ELNS1_3gpuE5ELNS1_3repE0EEENS1_47radix_sort_onesweep_sort_config_static_selectorELNS0_4arch9wavefront6targetE1EEEvSE_,@function
_ZN7rocprim17ROCPRIM_400000_NS6detail17trampoline_kernelINS0_14default_configENS1_35radix_sort_onesweep_config_selectorIiNS0_10empty_typeEEEZZNS1_29radix_sort_onesweep_iterationIS3_Lb0EPiS8_PS5_S9_mNS0_19identity_decomposerENS1_16block_id_wrapperIjLb1EEEEE10hipError_tT1_PNSt15iterator_traitsISE_E10value_typeET2_T3_PNSF_ISK_E10value_typeET4_T5_PSP_SQ_PNS1_23onesweep_lookback_stateEbbT6_jjT7_P12ihipStream_tbENKUlT_T0_SE_SJ_E_clIS8_S8_S9_S9_EEDaSX_SY_SE_SJ_EUlSX_E_NS1_11comp_targetILNS1_3genE10ELNS1_11target_archE1201ELNS1_3gpuE5ELNS1_3repE0EEENS1_47radix_sort_onesweep_sort_config_static_selectorELNS0_4arch9wavefront6targetE1EEEvSE_: ; @_ZN7rocprim17ROCPRIM_400000_NS6detail17trampoline_kernelINS0_14default_configENS1_35radix_sort_onesweep_config_selectorIiNS0_10empty_typeEEEZZNS1_29radix_sort_onesweep_iterationIS3_Lb0EPiS8_PS5_S9_mNS0_19identity_decomposerENS1_16block_id_wrapperIjLb1EEEEE10hipError_tT1_PNSt15iterator_traitsISE_E10value_typeET2_T3_PNSF_ISK_E10value_typeET4_T5_PSP_SQ_PNS1_23onesweep_lookback_stateEbbT6_jjT7_P12ihipStream_tbENKUlT_T0_SE_SJ_E_clIS8_S8_S9_S9_EEDaSX_SY_SE_SJ_EUlSX_E_NS1_11comp_targetILNS1_3genE10ELNS1_11target_archE1201ELNS1_3gpuE5ELNS1_3repE0EEENS1_47radix_sort_onesweep_sort_config_static_selectorELNS0_4arch9wavefront6targetE1EEEvSE_
; %bb.0:
	.section	.rodata,"a",@progbits
	.p2align	6, 0x0
	.amdhsa_kernel _ZN7rocprim17ROCPRIM_400000_NS6detail17trampoline_kernelINS0_14default_configENS1_35radix_sort_onesweep_config_selectorIiNS0_10empty_typeEEEZZNS1_29radix_sort_onesweep_iterationIS3_Lb0EPiS8_PS5_S9_mNS0_19identity_decomposerENS1_16block_id_wrapperIjLb1EEEEE10hipError_tT1_PNSt15iterator_traitsISE_E10value_typeET2_T3_PNSF_ISK_E10value_typeET4_T5_PSP_SQ_PNS1_23onesweep_lookback_stateEbbT6_jjT7_P12ihipStream_tbENKUlT_T0_SE_SJ_E_clIS8_S8_S9_S9_EEDaSX_SY_SE_SJ_EUlSX_E_NS1_11comp_targetILNS1_3genE10ELNS1_11target_archE1201ELNS1_3gpuE5ELNS1_3repE0EEENS1_47radix_sort_onesweep_sort_config_static_selectorELNS0_4arch9wavefront6targetE1EEEvSE_
		.amdhsa_group_segment_fixed_size 0
		.amdhsa_private_segment_fixed_size 0
		.amdhsa_kernarg_size 88
		.amdhsa_user_sgpr_count 6
		.amdhsa_user_sgpr_private_segment_buffer 1
		.amdhsa_user_sgpr_dispatch_ptr 0
		.amdhsa_user_sgpr_queue_ptr 0
		.amdhsa_user_sgpr_kernarg_segment_ptr 1
		.amdhsa_user_sgpr_dispatch_id 0
		.amdhsa_user_sgpr_flat_scratch_init 0
		.amdhsa_user_sgpr_kernarg_preload_length 0
		.amdhsa_user_sgpr_kernarg_preload_offset 0
		.amdhsa_user_sgpr_private_segment_size 0
		.amdhsa_uses_dynamic_stack 0
		.amdhsa_system_sgpr_private_segment_wavefront_offset 0
		.amdhsa_system_sgpr_workgroup_id_x 1
		.amdhsa_system_sgpr_workgroup_id_y 0
		.amdhsa_system_sgpr_workgroup_id_z 0
		.amdhsa_system_sgpr_workgroup_info 0
		.amdhsa_system_vgpr_workitem_id 0
		.amdhsa_next_free_vgpr 1
		.amdhsa_next_free_sgpr 0
		.amdhsa_accum_offset 4
		.amdhsa_reserve_vcc 0
		.amdhsa_reserve_flat_scratch 0
		.amdhsa_float_round_mode_32 0
		.amdhsa_float_round_mode_16_64 0
		.amdhsa_float_denorm_mode_32 3
		.amdhsa_float_denorm_mode_16_64 3
		.amdhsa_dx10_clamp 1
		.amdhsa_ieee_mode 1
		.amdhsa_fp16_overflow 0
		.amdhsa_tg_split 0
		.amdhsa_exception_fp_ieee_invalid_op 0
		.amdhsa_exception_fp_denorm_src 0
		.amdhsa_exception_fp_ieee_div_zero 0
		.amdhsa_exception_fp_ieee_overflow 0
		.amdhsa_exception_fp_ieee_underflow 0
		.amdhsa_exception_fp_ieee_inexact 0
		.amdhsa_exception_int_div_zero 0
	.end_amdhsa_kernel
	.section	.text._ZN7rocprim17ROCPRIM_400000_NS6detail17trampoline_kernelINS0_14default_configENS1_35radix_sort_onesweep_config_selectorIiNS0_10empty_typeEEEZZNS1_29radix_sort_onesweep_iterationIS3_Lb0EPiS8_PS5_S9_mNS0_19identity_decomposerENS1_16block_id_wrapperIjLb1EEEEE10hipError_tT1_PNSt15iterator_traitsISE_E10value_typeET2_T3_PNSF_ISK_E10value_typeET4_T5_PSP_SQ_PNS1_23onesweep_lookback_stateEbbT6_jjT7_P12ihipStream_tbENKUlT_T0_SE_SJ_E_clIS8_S8_S9_S9_EEDaSX_SY_SE_SJ_EUlSX_E_NS1_11comp_targetILNS1_3genE10ELNS1_11target_archE1201ELNS1_3gpuE5ELNS1_3repE0EEENS1_47radix_sort_onesweep_sort_config_static_selectorELNS0_4arch9wavefront6targetE1EEEvSE_,"axG",@progbits,_ZN7rocprim17ROCPRIM_400000_NS6detail17trampoline_kernelINS0_14default_configENS1_35radix_sort_onesweep_config_selectorIiNS0_10empty_typeEEEZZNS1_29radix_sort_onesweep_iterationIS3_Lb0EPiS8_PS5_S9_mNS0_19identity_decomposerENS1_16block_id_wrapperIjLb1EEEEE10hipError_tT1_PNSt15iterator_traitsISE_E10value_typeET2_T3_PNSF_ISK_E10value_typeET4_T5_PSP_SQ_PNS1_23onesweep_lookback_stateEbbT6_jjT7_P12ihipStream_tbENKUlT_T0_SE_SJ_E_clIS8_S8_S9_S9_EEDaSX_SY_SE_SJ_EUlSX_E_NS1_11comp_targetILNS1_3genE10ELNS1_11target_archE1201ELNS1_3gpuE5ELNS1_3repE0EEENS1_47radix_sort_onesweep_sort_config_static_selectorELNS0_4arch9wavefront6targetE1EEEvSE_,comdat
.Lfunc_end656:
	.size	_ZN7rocprim17ROCPRIM_400000_NS6detail17trampoline_kernelINS0_14default_configENS1_35radix_sort_onesweep_config_selectorIiNS0_10empty_typeEEEZZNS1_29radix_sort_onesweep_iterationIS3_Lb0EPiS8_PS5_S9_mNS0_19identity_decomposerENS1_16block_id_wrapperIjLb1EEEEE10hipError_tT1_PNSt15iterator_traitsISE_E10value_typeET2_T3_PNSF_ISK_E10value_typeET4_T5_PSP_SQ_PNS1_23onesweep_lookback_stateEbbT6_jjT7_P12ihipStream_tbENKUlT_T0_SE_SJ_E_clIS8_S8_S9_S9_EEDaSX_SY_SE_SJ_EUlSX_E_NS1_11comp_targetILNS1_3genE10ELNS1_11target_archE1201ELNS1_3gpuE5ELNS1_3repE0EEENS1_47radix_sort_onesweep_sort_config_static_selectorELNS0_4arch9wavefront6targetE1EEEvSE_, .Lfunc_end656-_ZN7rocprim17ROCPRIM_400000_NS6detail17trampoline_kernelINS0_14default_configENS1_35radix_sort_onesweep_config_selectorIiNS0_10empty_typeEEEZZNS1_29radix_sort_onesweep_iterationIS3_Lb0EPiS8_PS5_S9_mNS0_19identity_decomposerENS1_16block_id_wrapperIjLb1EEEEE10hipError_tT1_PNSt15iterator_traitsISE_E10value_typeET2_T3_PNSF_ISK_E10value_typeET4_T5_PSP_SQ_PNS1_23onesweep_lookback_stateEbbT6_jjT7_P12ihipStream_tbENKUlT_T0_SE_SJ_E_clIS8_S8_S9_S9_EEDaSX_SY_SE_SJ_EUlSX_E_NS1_11comp_targetILNS1_3genE10ELNS1_11target_archE1201ELNS1_3gpuE5ELNS1_3repE0EEENS1_47radix_sort_onesweep_sort_config_static_selectorELNS0_4arch9wavefront6targetE1EEEvSE_
                                        ; -- End function
	.section	.AMDGPU.csdata,"",@progbits
; Kernel info:
; codeLenInByte = 0
; NumSgprs: 4
; NumVgprs: 0
; NumAgprs: 0
; TotalNumVgprs: 0
; ScratchSize: 0
; MemoryBound: 0
; FloatMode: 240
; IeeeMode: 1
; LDSByteSize: 0 bytes/workgroup (compile time only)
; SGPRBlocks: 0
; VGPRBlocks: 0
; NumSGPRsForWavesPerEU: 4
; NumVGPRsForWavesPerEU: 1
; AccumOffset: 4
; Occupancy: 8
; WaveLimiterHint : 0
; COMPUTE_PGM_RSRC2:SCRATCH_EN: 0
; COMPUTE_PGM_RSRC2:USER_SGPR: 6
; COMPUTE_PGM_RSRC2:TRAP_HANDLER: 0
; COMPUTE_PGM_RSRC2:TGID_X_EN: 1
; COMPUTE_PGM_RSRC2:TGID_Y_EN: 0
; COMPUTE_PGM_RSRC2:TGID_Z_EN: 0
; COMPUTE_PGM_RSRC2:TIDIG_COMP_CNT: 0
; COMPUTE_PGM_RSRC3_GFX90A:ACCUM_OFFSET: 0
; COMPUTE_PGM_RSRC3_GFX90A:TG_SPLIT: 0
	.section	.text._ZN7rocprim17ROCPRIM_400000_NS6detail17trampoline_kernelINS0_14default_configENS1_35radix_sort_onesweep_config_selectorIiNS0_10empty_typeEEEZZNS1_29radix_sort_onesweep_iterationIS3_Lb0EPiS8_PS5_S9_mNS0_19identity_decomposerENS1_16block_id_wrapperIjLb1EEEEE10hipError_tT1_PNSt15iterator_traitsISE_E10value_typeET2_T3_PNSF_ISK_E10value_typeET4_T5_PSP_SQ_PNS1_23onesweep_lookback_stateEbbT6_jjT7_P12ihipStream_tbENKUlT_T0_SE_SJ_E_clIS8_S8_S9_S9_EEDaSX_SY_SE_SJ_EUlSX_E_NS1_11comp_targetILNS1_3genE9ELNS1_11target_archE1100ELNS1_3gpuE3ELNS1_3repE0EEENS1_47radix_sort_onesweep_sort_config_static_selectorELNS0_4arch9wavefront6targetE1EEEvSE_,"axG",@progbits,_ZN7rocprim17ROCPRIM_400000_NS6detail17trampoline_kernelINS0_14default_configENS1_35radix_sort_onesweep_config_selectorIiNS0_10empty_typeEEEZZNS1_29radix_sort_onesweep_iterationIS3_Lb0EPiS8_PS5_S9_mNS0_19identity_decomposerENS1_16block_id_wrapperIjLb1EEEEE10hipError_tT1_PNSt15iterator_traitsISE_E10value_typeET2_T3_PNSF_ISK_E10value_typeET4_T5_PSP_SQ_PNS1_23onesweep_lookback_stateEbbT6_jjT7_P12ihipStream_tbENKUlT_T0_SE_SJ_E_clIS8_S8_S9_S9_EEDaSX_SY_SE_SJ_EUlSX_E_NS1_11comp_targetILNS1_3genE9ELNS1_11target_archE1100ELNS1_3gpuE3ELNS1_3repE0EEENS1_47radix_sort_onesweep_sort_config_static_selectorELNS0_4arch9wavefront6targetE1EEEvSE_,comdat
	.protected	_ZN7rocprim17ROCPRIM_400000_NS6detail17trampoline_kernelINS0_14default_configENS1_35radix_sort_onesweep_config_selectorIiNS0_10empty_typeEEEZZNS1_29radix_sort_onesweep_iterationIS3_Lb0EPiS8_PS5_S9_mNS0_19identity_decomposerENS1_16block_id_wrapperIjLb1EEEEE10hipError_tT1_PNSt15iterator_traitsISE_E10value_typeET2_T3_PNSF_ISK_E10value_typeET4_T5_PSP_SQ_PNS1_23onesweep_lookback_stateEbbT6_jjT7_P12ihipStream_tbENKUlT_T0_SE_SJ_E_clIS8_S8_S9_S9_EEDaSX_SY_SE_SJ_EUlSX_E_NS1_11comp_targetILNS1_3genE9ELNS1_11target_archE1100ELNS1_3gpuE3ELNS1_3repE0EEENS1_47radix_sort_onesweep_sort_config_static_selectorELNS0_4arch9wavefront6targetE1EEEvSE_ ; -- Begin function _ZN7rocprim17ROCPRIM_400000_NS6detail17trampoline_kernelINS0_14default_configENS1_35radix_sort_onesweep_config_selectorIiNS0_10empty_typeEEEZZNS1_29radix_sort_onesweep_iterationIS3_Lb0EPiS8_PS5_S9_mNS0_19identity_decomposerENS1_16block_id_wrapperIjLb1EEEEE10hipError_tT1_PNSt15iterator_traitsISE_E10value_typeET2_T3_PNSF_ISK_E10value_typeET4_T5_PSP_SQ_PNS1_23onesweep_lookback_stateEbbT6_jjT7_P12ihipStream_tbENKUlT_T0_SE_SJ_E_clIS8_S8_S9_S9_EEDaSX_SY_SE_SJ_EUlSX_E_NS1_11comp_targetILNS1_3genE9ELNS1_11target_archE1100ELNS1_3gpuE3ELNS1_3repE0EEENS1_47radix_sort_onesweep_sort_config_static_selectorELNS0_4arch9wavefront6targetE1EEEvSE_
	.globl	_ZN7rocprim17ROCPRIM_400000_NS6detail17trampoline_kernelINS0_14default_configENS1_35radix_sort_onesweep_config_selectorIiNS0_10empty_typeEEEZZNS1_29radix_sort_onesweep_iterationIS3_Lb0EPiS8_PS5_S9_mNS0_19identity_decomposerENS1_16block_id_wrapperIjLb1EEEEE10hipError_tT1_PNSt15iterator_traitsISE_E10value_typeET2_T3_PNSF_ISK_E10value_typeET4_T5_PSP_SQ_PNS1_23onesweep_lookback_stateEbbT6_jjT7_P12ihipStream_tbENKUlT_T0_SE_SJ_E_clIS8_S8_S9_S9_EEDaSX_SY_SE_SJ_EUlSX_E_NS1_11comp_targetILNS1_3genE9ELNS1_11target_archE1100ELNS1_3gpuE3ELNS1_3repE0EEENS1_47radix_sort_onesweep_sort_config_static_selectorELNS0_4arch9wavefront6targetE1EEEvSE_
	.p2align	8
	.type	_ZN7rocprim17ROCPRIM_400000_NS6detail17trampoline_kernelINS0_14default_configENS1_35radix_sort_onesweep_config_selectorIiNS0_10empty_typeEEEZZNS1_29radix_sort_onesweep_iterationIS3_Lb0EPiS8_PS5_S9_mNS0_19identity_decomposerENS1_16block_id_wrapperIjLb1EEEEE10hipError_tT1_PNSt15iterator_traitsISE_E10value_typeET2_T3_PNSF_ISK_E10value_typeET4_T5_PSP_SQ_PNS1_23onesweep_lookback_stateEbbT6_jjT7_P12ihipStream_tbENKUlT_T0_SE_SJ_E_clIS8_S8_S9_S9_EEDaSX_SY_SE_SJ_EUlSX_E_NS1_11comp_targetILNS1_3genE9ELNS1_11target_archE1100ELNS1_3gpuE3ELNS1_3repE0EEENS1_47radix_sort_onesweep_sort_config_static_selectorELNS0_4arch9wavefront6targetE1EEEvSE_,@function
_ZN7rocprim17ROCPRIM_400000_NS6detail17trampoline_kernelINS0_14default_configENS1_35radix_sort_onesweep_config_selectorIiNS0_10empty_typeEEEZZNS1_29radix_sort_onesweep_iterationIS3_Lb0EPiS8_PS5_S9_mNS0_19identity_decomposerENS1_16block_id_wrapperIjLb1EEEEE10hipError_tT1_PNSt15iterator_traitsISE_E10value_typeET2_T3_PNSF_ISK_E10value_typeET4_T5_PSP_SQ_PNS1_23onesweep_lookback_stateEbbT6_jjT7_P12ihipStream_tbENKUlT_T0_SE_SJ_E_clIS8_S8_S9_S9_EEDaSX_SY_SE_SJ_EUlSX_E_NS1_11comp_targetILNS1_3genE9ELNS1_11target_archE1100ELNS1_3gpuE3ELNS1_3repE0EEENS1_47radix_sort_onesweep_sort_config_static_selectorELNS0_4arch9wavefront6targetE1EEEvSE_: ; @_ZN7rocprim17ROCPRIM_400000_NS6detail17trampoline_kernelINS0_14default_configENS1_35radix_sort_onesweep_config_selectorIiNS0_10empty_typeEEEZZNS1_29radix_sort_onesweep_iterationIS3_Lb0EPiS8_PS5_S9_mNS0_19identity_decomposerENS1_16block_id_wrapperIjLb1EEEEE10hipError_tT1_PNSt15iterator_traitsISE_E10value_typeET2_T3_PNSF_ISK_E10value_typeET4_T5_PSP_SQ_PNS1_23onesweep_lookback_stateEbbT6_jjT7_P12ihipStream_tbENKUlT_T0_SE_SJ_E_clIS8_S8_S9_S9_EEDaSX_SY_SE_SJ_EUlSX_E_NS1_11comp_targetILNS1_3genE9ELNS1_11target_archE1100ELNS1_3gpuE3ELNS1_3repE0EEENS1_47radix_sort_onesweep_sort_config_static_selectorELNS0_4arch9wavefront6targetE1EEEvSE_
; %bb.0:
	.section	.rodata,"a",@progbits
	.p2align	6, 0x0
	.amdhsa_kernel _ZN7rocprim17ROCPRIM_400000_NS6detail17trampoline_kernelINS0_14default_configENS1_35radix_sort_onesweep_config_selectorIiNS0_10empty_typeEEEZZNS1_29radix_sort_onesweep_iterationIS3_Lb0EPiS8_PS5_S9_mNS0_19identity_decomposerENS1_16block_id_wrapperIjLb1EEEEE10hipError_tT1_PNSt15iterator_traitsISE_E10value_typeET2_T3_PNSF_ISK_E10value_typeET4_T5_PSP_SQ_PNS1_23onesweep_lookback_stateEbbT6_jjT7_P12ihipStream_tbENKUlT_T0_SE_SJ_E_clIS8_S8_S9_S9_EEDaSX_SY_SE_SJ_EUlSX_E_NS1_11comp_targetILNS1_3genE9ELNS1_11target_archE1100ELNS1_3gpuE3ELNS1_3repE0EEENS1_47radix_sort_onesweep_sort_config_static_selectorELNS0_4arch9wavefront6targetE1EEEvSE_
		.amdhsa_group_segment_fixed_size 0
		.amdhsa_private_segment_fixed_size 0
		.amdhsa_kernarg_size 88
		.amdhsa_user_sgpr_count 6
		.amdhsa_user_sgpr_private_segment_buffer 1
		.amdhsa_user_sgpr_dispatch_ptr 0
		.amdhsa_user_sgpr_queue_ptr 0
		.amdhsa_user_sgpr_kernarg_segment_ptr 1
		.amdhsa_user_sgpr_dispatch_id 0
		.amdhsa_user_sgpr_flat_scratch_init 0
		.amdhsa_user_sgpr_kernarg_preload_length 0
		.amdhsa_user_sgpr_kernarg_preload_offset 0
		.amdhsa_user_sgpr_private_segment_size 0
		.amdhsa_uses_dynamic_stack 0
		.amdhsa_system_sgpr_private_segment_wavefront_offset 0
		.amdhsa_system_sgpr_workgroup_id_x 1
		.amdhsa_system_sgpr_workgroup_id_y 0
		.amdhsa_system_sgpr_workgroup_id_z 0
		.amdhsa_system_sgpr_workgroup_info 0
		.amdhsa_system_vgpr_workitem_id 0
		.amdhsa_next_free_vgpr 1
		.amdhsa_next_free_sgpr 0
		.amdhsa_accum_offset 4
		.amdhsa_reserve_vcc 0
		.amdhsa_reserve_flat_scratch 0
		.amdhsa_float_round_mode_32 0
		.amdhsa_float_round_mode_16_64 0
		.amdhsa_float_denorm_mode_32 3
		.amdhsa_float_denorm_mode_16_64 3
		.amdhsa_dx10_clamp 1
		.amdhsa_ieee_mode 1
		.amdhsa_fp16_overflow 0
		.amdhsa_tg_split 0
		.amdhsa_exception_fp_ieee_invalid_op 0
		.amdhsa_exception_fp_denorm_src 0
		.amdhsa_exception_fp_ieee_div_zero 0
		.amdhsa_exception_fp_ieee_overflow 0
		.amdhsa_exception_fp_ieee_underflow 0
		.amdhsa_exception_fp_ieee_inexact 0
		.amdhsa_exception_int_div_zero 0
	.end_amdhsa_kernel
	.section	.text._ZN7rocprim17ROCPRIM_400000_NS6detail17trampoline_kernelINS0_14default_configENS1_35radix_sort_onesweep_config_selectorIiNS0_10empty_typeEEEZZNS1_29radix_sort_onesweep_iterationIS3_Lb0EPiS8_PS5_S9_mNS0_19identity_decomposerENS1_16block_id_wrapperIjLb1EEEEE10hipError_tT1_PNSt15iterator_traitsISE_E10value_typeET2_T3_PNSF_ISK_E10value_typeET4_T5_PSP_SQ_PNS1_23onesweep_lookback_stateEbbT6_jjT7_P12ihipStream_tbENKUlT_T0_SE_SJ_E_clIS8_S8_S9_S9_EEDaSX_SY_SE_SJ_EUlSX_E_NS1_11comp_targetILNS1_3genE9ELNS1_11target_archE1100ELNS1_3gpuE3ELNS1_3repE0EEENS1_47radix_sort_onesweep_sort_config_static_selectorELNS0_4arch9wavefront6targetE1EEEvSE_,"axG",@progbits,_ZN7rocprim17ROCPRIM_400000_NS6detail17trampoline_kernelINS0_14default_configENS1_35radix_sort_onesweep_config_selectorIiNS0_10empty_typeEEEZZNS1_29radix_sort_onesweep_iterationIS3_Lb0EPiS8_PS5_S9_mNS0_19identity_decomposerENS1_16block_id_wrapperIjLb1EEEEE10hipError_tT1_PNSt15iterator_traitsISE_E10value_typeET2_T3_PNSF_ISK_E10value_typeET4_T5_PSP_SQ_PNS1_23onesweep_lookback_stateEbbT6_jjT7_P12ihipStream_tbENKUlT_T0_SE_SJ_E_clIS8_S8_S9_S9_EEDaSX_SY_SE_SJ_EUlSX_E_NS1_11comp_targetILNS1_3genE9ELNS1_11target_archE1100ELNS1_3gpuE3ELNS1_3repE0EEENS1_47radix_sort_onesweep_sort_config_static_selectorELNS0_4arch9wavefront6targetE1EEEvSE_,comdat
.Lfunc_end657:
	.size	_ZN7rocprim17ROCPRIM_400000_NS6detail17trampoline_kernelINS0_14default_configENS1_35radix_sort_onesweep_config_selectorIiNS0_10empty_typeEEEZZNS1_29radix_sort_onesweep_iterationIS3_Lb0EPiS8_PS5_S9_mNS0_19identity_decomposerENS1_16block_id_wrapperIjLb1EEEEE10hipError_tT1_PNSt15iterator_traitsISE_E10value_typeET2_T3_PNSF_ISK_E10value_typeET4_T5_PSP_SQ_PNS1_23onesweep_lookback_stateEbbT6_jjT7_P12ihipStream_tbENKUlT_T0_SE_SJ_E_clIS8_S8_S9_S9_EEDaSX_SY_SE_SJ_EUlSX_E_NS1_11comp_targetILNS1_3genE9ELNS1_11target_archE1100ELNS1_3gpuE3ELNS1_3repE0EEENS1_47radix_sort_onesweep_sort_config_static_selectorELNS0_4arch9wavefront6targetE1EEEvSE_, .Lfunc_end657-_ZN7rocprim17ROCPRIM_400000_NS6detail17trampoline_kernelINS0_14default_configENS1_35radix_sort_onesweep_config_selectorIiNS0_10empty_typeEEEZZNS1_29radix_sort_onesweep_iterationIS3_Lb0EPiS8_PS5_S9_mNS0_19identity_decomposerENS1_16block_id_wrapperIjLb1EEEEE10hipError_tT1_PNSt15iterator_traitsISE_E10value_typeET2_T3_PNSF_ISK_E10value_typeET4_T5_PSP_SQ_PNS1_23onesweep_lookback_stateEbbT6_jjT7_P12ihipStream_tbENKUlT_T0_SE_SJ_E_clIS8_S8_S9_S9_EEDaSX_SY_SE_SJ_EUlSX_E_NS1_11comp_targetILNS1_3genE9ELNS1_11target_archE1100ELNS1_3gpuE3ELNS1_3repE0EEENS1_47radix_sort_onesweep_sort_config_static_selectorELNS0_4arch9wavefront6targetE1EEEvSE_
                                        ; -- End function
	.section	.AMDGPU.csdata,"",@progbits
; Kernel info:
; codeLenInByte = 0
; NumSgprs: 4
; NumVgprs: 0
; NumAgprs: 0
; TotalNumVgprs: 0
; ScratchSize: 0
; MemoryBound: 0
; FloatMode: 240
; IeeeMode: 1
; LDSByteSize: 0 bytes/workgroup (compile time only)
; SGPRBlocks: 0
; VGPRBlocks: 0
; NumSGPRsForWavesPerEU: 4
; NumVGPRsForWavesPerEU: 1
; AccumOffset: 4
; Occupancy: 8
; WaveLimiterHint : 0
; COMPUTE_PGM_RSRC2:SCRATCH_EN: 0
; COMPUTE_PGM_RSRC2:USER_SGPR: 6
; COMPUTE_PGM_RSRC2:TRAP_HANDLER: 0
; COMPUTE_PGM_RSRC2:TGID_X_EN: 1
; COMPUTE_PGM_RSRC2:TGID_Y_EN: 0
; COMPUTE_PGM_RSRC2:TGID_Z_EN: 0
; COMPUTE_PGM_RSRC2:TIDIG_COMP_CNT: 0
; COMPUTE_PGM_RSRC3_GFX90A:ACCUM_OFFSET: 0
; COMPUTE_PGM_RSRC3_GFX90A:TG_SPLIT: 0
	.section	.text._ZN7rocprim17ROCPRIM_400000_NS6detail17trampoline_kernelINS0_14default_configENS1_35radix_sort_onesweep_config_selectorIiNS0_10empty_typeEEEZZNS1_29radix_sort_onesweep_iterationIS3_Lb0EPiS8_PS5_S9_mNS0_19identity_decomposerENS1_16block_id_wrapperIjLb1EEEEE10hipError_tT1_PNSt15iterator_traitsISE_E10value_typeET2_T3_PNSF_ISK_E10value_typeET4_T5_PSP_SQ_PNS1_23onesweep_lookback_stateEbbT6_jjT7_P12ihipStream_tbENKUlT_T0_SE_SJ_E_clIS8_S8_S9_S9_EEDaSX_SY_SE_SJ_EUlSX_E_NS1_11comp_targetILNS1_3genE8ELNS1_11target_archE1030ELNS1_3gpuE2ELNS1_3repE0EEENS1_47radix_sort_onesweep_sort_config_static_selectorELNS0_4arch9wavefront6targetE1EEEvSE_,"axG",@progbits,_ZN7rocprim17ROCPRIM_400000_NS6detail17trampoline_kernelINS0_14default_configENS1_35radix_sort_onesweep_config_selectorIiNS0_10empty_typeEEEZZNS1_29radix_sort_onesweep_iterationIS3_Lb0EPiS8_PS5_S9_mNS0_19identity_decomposerENS1_16block_id_wrapperIjLb1EEEEE10hipError_tT1_PNSt15iterator_traitsISE_E10value_typeET2_T3_PNSF_ISK_E10value_typeET4_T5_PSP_SQ_PNS1_23onesweep_lookback_stateEbbT6_jjT7_P12ihipStream_tbENKUlT_T0_SE_SJ_E_clIS8_S8_S9_S9_EEDaSX_SY_SE_SJ_EUlSX_E_NS1_11comp_targetILNS1_3genE8ELNS1_11target_archE1030ELNS1_3gpuE2ELNS1_3repE0EEENS1_47radix_sort_onesweep_sort_config_static_selectorELNS0_4arch9wavefront6targetE1EEEvSE_,comdat
	.protected	_ZN7rocprim17ROCPRIM_400000_NS6detail17trampoline_kernelINS0_14default_configENS1_35radix_sort_onesweep_config_selectorIiNS0_10empty_typeEEEZZNS1_29radix_sort_onesweep_iterationIS3_Lb0EPiS8_PS5_S9_mNS0_19identity_decomposerENS1_16block_id_wrapperIjLb1EEEEE10hipError_tT1_PNSt15iterator_traitsISE_E10value_typeET2_T3_PNSF_ISK_E10value_typeET4_T5_PSP_SQ_PNS1_23onesweep_lookback_stateEbbT6_jjT7_P12ihipStream_tbENKUlT_T0_SE_SJ_E_clIS8_S8_S9_S9_EEDaSX_SY_SE_SJ_EUlSX_E_NS1_11comp_targetILNS1_3genE8ELNS1_11target_archE1030ELNS1_3gpuE2ELNS1_3repE0EEENS1_47radix_sort_onesweep_sort_config_static_selectorELNS0_4arch9wavefront6targetE1EEEvSE_ ; -- Begin function _ZN7rocprim17ROCPRIM_400000_NS6detail17trampoline_kernelINS0_14default_configENS1_35radix_sort_onesweep_config_selectorIiNS0_10empty_typeEEEZZNS1_29radix_sort_onesweep_iterationIS3_Lb0EPiS8_PS5_S9_mNS0_19identity_decomposerENS1_16block_id_wrapperIjLb1EEEEE10hipError_tT1_PNSt15iterator_traitsISE_E10value_typeET2_T3_PNSF_ISK_E10value_typeET4_T5_PSP_SQ_PNS1_23onesweep_lookback_stateEbbT6_jjT7_P12ihipStream_tbENKUlT_T0_SE_SJ_E_clIS8_S8_S9_S9_EEDaSX_SY_SE_SJ_EUlSX_E_NS1_11comp_targetILNS1_3genE8ELNS1_11target_archE1030ELNS1_3gpuE2ELNS1_3repE0EEENS1_47radix_sort_onesweep_sort_config_static_selectorELNS0_4arch9wavefront6targetE1EEEvSE_
	.globl	_ZN7rocprim17ROCPRIM_400000_NS6detail17trampoline_kernelINS0_14default_configENS1_35radix_sort_onesweep_config_selectorIiNS0_10empty_typeEEEZZNS1_29radix_sort_onesweep_iterationIS3_Lb0EPiS8_PS5_S9_mNS0_19identity_decomposerENS1_16block_id_wrapperIjLb1EEEEE10hipError_tT1_PNSt15iterator_traitsISE_E10value_typeET2_T3_PNSF_ISK_E10value_typeET4_T5_PSP_SQ_PNS1_23onesweep_lookback_stateEbbT6_jjT7_P12ihipStream_tbENKUlT_T0_SE_SJ_E_clIS8_S8_S9_S9_EEDaSX_SY_SE_SJ_EUlSX_E_NS1_11comp_targetILNS1_3genE8ELNS1_11target_archE1030ELNS1_3gpuE2ELNS1_3repE0EEENS1_47radix_sort_onesweep_sort_config_static_selectorELNS0_4arch9wavefront6targetE1EEEvSE_
	.p2align	8
	.type	_ZN7rocprim17ROCPRIM_400000_NS6detail17trampoline_kernelINS0_14default_configENS1_35radix_sort_onesweep_config_selectorIiNS0_10empty_typeEEEZZNS1_29radix_sort_onesweep_iterationIS3_Lb0EPiS8_PS5_S9_mNS0_19identity_decomposerENS1_16block_id_wrapperIjLb1EEEEE10hipError_tT1_PNSt15iterator_traitsISE_E10value_typeET2_T3_PNSF_ISK_E10value_typeET4_T5_PSP_SQ_PNS1_23onesweep_lookback_stateEbbT6_jjT7_P12ihipStream_tbENKUlT_T0_SE_SJ_E_clIS8_S8_S9_S9_EEDaSX_SY_SE_SJ_EUlSX_E_NS1_11comp_targetILNS1_3genE8ELNS1_11target_archE1030ELNS1_3gpuE2ELNS1_3repE0EEENS1_47radix_sort_onesweep_sort_config_static_selectorELNS0_4arch9wavefront6targetE1EEEvSE_,@function
_ZN7rocprim17ROCPRIM_400000_NS6detail17trampoline_kernelINS0_14default_configENS1_35radix_sort_onesweep_config_selectorIiNS0_10empty_typeEEEZZNS1_29radix_sort_onesweep_iterationIS3_Lb0EPiS8_PS5_S9_mNS0_19identity_decomposerENS1_16block_id_wrapperIjLb1EEEEE10hipError_tT1_PNSt15iterator_traitsISE_E10value_typeET2_T3_PNSF_ISK_E10value_typeET4_T5_PSP_SQ_PNS1_23onesweep_lookback_stateEbbT6_jjT7_P12ihipStream_tbENKUlT_T0_SE_SJ_E_clIS8_S8_S9_S9_EEDaSX_SY_SE_SJ_EUlSX_E_NS1_11comp_targetILNS1_3genE8ELNS1_11target_archE1030ELNS1_3gpuE2ELNS1_3repE0EEENS1_47radix_sort_onesweep_sort_config_static_selectorELNS0_4arch9wavefront6targetE1EEEvSE_: ; @_ZN7rocprim17ROCPRIM_400000_NS6detail17trampoline_kernelINS0_14default_configENS1_35radix_sort_onesweep_config_selectorIiNS0_10empty_typeEEEZZNS1_29radix_sort_onesweep_iterationIS3_Lb0EPiS8_PS5_S9_mNS0_19identity_decomposerENS1_16block_id_wrapperIjLb1EEEEE10hipError_tT1_PNSt15iterator_traitsISE_E10value_typeET2_T3_PNSF_ISK_E10value_typeET4_T5_PSP_SQ_PNS1_23onesweep_lookback_stateEbbT6_jjT7_P12ihipStream_tbENKUlT_T0_SE_SJ_E_clIS8_S8_S9_S9_EEDaSX_SY_SE_SJ_EUlSX_E_NS1_11comp_targetILNS1_3genE8ELNS1_11target_archE1030ELNS1_3gpuE2ELNS1_3repE0EEENS1_47radix_sort_onesweep_sort_config_static_selectorELNS0_4arch9wavefront6targetE1EEEvSE_
; %bb.0:
	.section	.rodata,"a",@progbits
	.p2align	6, 0x0
	.amdhsa_kernel _ZN7rocprim17ROCPRIM_400000_NS6detail17trampoline_kernelINS0_14default_configENS1_35radix_sort_onesweep_config_selectorIiNS0_10empty_typeEEEZZNS1_29radix_sort_onesweep_iterationIS3_Lb0EPiS8_PS5_S9_mNS0_19identity_decomposerENS1_16block_id_wrapperIjLb1EEEEE10hipError_tT1_PNSt15iterator_traitsISE_E10value_typeET2_T3_PNSF_ISK_E10value_typeET4_T5_PSP_SQ_PNS1_23onesweep_lookback_stateEbbT6_jjT7_P12ihipStream_tbENKUlT_T0_SE_SJ_E_clIS8_S8_S9_S9_EEDaSX_SY_SE_SJ_EUlSX_E_NS1_11comp_targetILNS1_3genE8ELNS1_11target_archE1030ELNS1_3gpuE2ELNS1_3repE0EEENS1_47radix_sort_onesweep_sort_config_static_selectorELNS0_4arch9wavefront6targetE1EEEvSE_
		.amdhsa_group_segment_fixed_size 0
		.amdhsa_private_segment_fixed_size 0
		.amdhsa_kernarg_size 88
		.amdhsa_user_sgpr_count 6
		.amdhsa_user_sgpr_private_segment_buffer 1
		.amdhsa_user_sgpr_dispatch_ptr 0
		.amdhsa_user_sgpr_queue_ptr 0
		.amdhsa_user_sgpr_kernarg_segment_ptr 1
		.amdhsa_user_sgpr_dispatch_id 0
		.amdhsa_user_sgpr_flat_scratch_init 0
		.amdhsa_user_sgpr_kernarg_preload_length 0
		.amdhsa_user_sgpr_kernarg_preload_offset 0
		.amdhsa_user_sgpr_private_segment_size 0
		.amdhsa_uses_dynamic_stack 0
		.amdhsa_system_sgpr_private_segment_wavefront_offset 0
		.amdhsa_system_sgpr_workgroup_id_x 1
		.amdhsa_system_sgpr_workgroup_id_y 0
		.amdhsa_system_sgpr_workgroup_id_z 0
		.amdhsa_system_sgpr_workgroup_info 0
		.amdhsa_system_vgpr_workitem_id 0
		.amdhsa_next_free_vgpr 1
		.amdhsa_next_free_sgpr 0
		.amdhsa_accum_offset 4
		.amdhsa_reserve_vcc 0
		.amdhsa_reserve_flat_scratch 0
		.amdhsa_float_round_mode_32 0
		.amdhsa_float_round_mode_16_64 0
		.amdhsa_float_denorm_mode_32 3
		.amdhsa_float_denorm_mode_16_64 3
		.amdhsa_dx10_clamp 1
		.amdhsa_ieee_mode 1
		.amdhsa_fp16_overflow 0
		.amdhsa_tg_split 0
		.amdhsa_exception_fp_ieee_invalid_op 0
		.amdhsa_exception_fp_denorm_src 0
		.amdhsa_exception_fp_ieee_div_zero 0
		.amdhsa_exception_fp_ieee_overflow 0
		.amdhsa_exception_fp_ieee_underflow 0
		.amdhsa_exception_fp_ieee_inexact 0
		.amdhsa_exception_int_div_zero 0
	.end_amdhsa_kernel
	.section	.text._ZN7rocprim17ROCPRIM_400000_NS6detail17trampoline_kernelINS0_14default_configENS1_35radix_sort_onesweep_config_selectorIiNS0_10empty_typeEEEZZNS1_29radix_sort_onesweep_iterationIS3_Lb0EPiS8_PS5_S9_mNS0_19identity_decomposerENS1_16block_id_wrapperIjLb1EEEEE10hipError_tT1_PNSt15iterator_traitsISE_E10value_typeET2_T3_PNSF_ISK_E10value_typeET4_T5_PSP_SQ_PNS1_23onesweep_lookback_stateEbbT6_jjT7_P12ihipStream_tbENKUlT_T0_SE_SJ_E_clIS8_S8_S9_S9_EEDaSX_SY_SE_SJ_EUlSX_E_NS1_11comp_targetILNS1_3genE8ELNS1_11target_archE1030ELNS1_3gpuE2ELNS1_3repE0EEENS1_47radix_sort_onesweep_sort_config_static_selectorELNS0_4arch9wavefront6targetE1EEEvSE_,"axG",@progbits,_ZN7rocprim17ROCPRIM_400000_NS6detail17trampoline_kernelINS0_14default_configENS1_35radix_sort_onesweep_config_selectorIiNS0_10empty_typeEEEZZNS1_29radix_sort_onesweep_iterationIS3_Lb0EPiS8_PS5_S9_mNS0_19identity_decomposerENS1_16block_id_wrapperIjLb1EEEEE10hipError_tT1_PNSt15iterator_traitsISE_E10value_typeET2_T3_PNSF_ISK_E10value_typeET4_T5_PSP_SQ_PNS1_23onesweep_lookback_stateEbbT6_jjT7_P12ihipStream_tbENKUlT_T0_SE_SJ_E_clIS8_S8_S9_S9_EEDaSX_SY_SE_SJ_EUlSX_E_NS1_11comp_targetILNS1_3genE8ELNS1_11target_archE1030ELNS1_3gpuE2ELNS1_3repE0EEENS1_47radix_sort_onesweep_sort_config_static_selectorELNS0_4arch9wavefront6targetE1EEEvSE_,comdat
.Lfunc_end658:
	.size	_ZN7rocprim17ROCPRIM_400000_NS6detail17trampoline_kernelINS0_14default_configENS1_35radix_sort_onesweep_config_selectorIiNS0_10empty_typeEEEZZNS1_29radix_sort_onesweep_iterationIS3_Lb0EPiS8_PS5_S9_mNS0_19identity_decomposerENS1_16block_id_wrapperIjLb1EEEEE10hipError_tT1_PNSt15iterator_traitsISE_E10value_typeET2_T3_PNSF_ISK_E10value_typeET4_T5_PSP_SQ_PNS1_23onesweep_lookback_stateEbbT6_jjT7_P12ihipStream_tbENKUlT_T0_SE_SJ_E_clIS8_S8_S9_S9_EEDaSX_SY_SE_SJ_EUlSX_E_NS1_11comp_targetILNS1_3genE8ELNS1_11target_archE1030ELNS1_3gpuE2ELNS1_3repE0EEENS1_47radix_sort_onesweep_sort_config_static_selectorELNS0_4arch9wavefront6targetE1EEEvSE_, .Lfunc_end658-_ZN7rocprim17ROCPRIM_400000_NS6detail17trampoline_kernelINS0_14default_configENS1_35radix_sort_onesweep_config_selectorIiNS0_10empty_typeEEEZZNS1_29radix_sort_onesweep_iterationIS3_Lb0EPiS8_PS5_S9_mNS0_19identity_decomposerENS1_16block_id_wrapperIjLb1EEEEE10hipError_tT1_PNSt15iterator_traitsISE_E10value_typeET2_T3_PNSF_ISK_E10value_typeET4_T5_PSP_SQ_PNS1_23onesweep_lookback_stateEbbT6_jjT7_P12ihipStream_tbENKUlT_T0_SE_SJ_E_clIS8_S8_S9_S9_EEDaSX_SY_SE_SJ_EUlSX_E_NS1_11comp_targetILNS1_3genE8ELNS1_11target_archE1030ELNS1_3gpuE2ELNS1_3repE0EEENS1_47radix_sort_onesweep_sort_config_static_selectorELNS0_4arch9wavefront6targetE1EEEvSE_
                                        ; -- End function
	.section	.AMDGPU.csdata,"",@progbits
; Kernel info:
; codeLenInByte = 0
; NumSgprs: 4
; NumVgprs: 0
; NumAgprs: 0
; TotalNumVgprs: 0
; ScratchSize: 0
; MemoryBound: 0
; FloatMode: 240
; IeeeMode: 1
; LDSByteSize: 0 bytes/workgroup (compile time only)
; SGPRBlocks: 0
; VGPRBlocks: 0
; NumSGPRsForWavesPerEU: 4
; NumVGPRsForWavesPerEU: 1
; AccumOffset: 4
; Occupancy: 8
; WaveLimiterHint : 0
; COMPUTE_PGM_RSRC2:SCRATCH_EN: 0
; COMPUTE_PGM_RSRC2:USER_SGPR: 6
; COMPUTE_PGM_RSRC2:TRAP_HANDLER: 0
; COMPUTE_PGM_RSRC2:TGID_X_EN: 1
; COMPUTE_PGM_RSRC2:TGID_Y_EN: 0
; COMPUTE_PGM_RSRC2:TGID_Z_EN: 0
; COMPUTE_PGM_RSRC2:TIDIG_COMP_CNT: 0
; COMPUTE_PGM_RSRC3_GFX90A:ACCUM_OFFSET: 0
; COMPUTE_PGM_RSRC3_GFX90A:TG_SPLIT: 0
	.section	.text._ZN7rocprim17ROCPRIM_400000_NS6detail17trampoline_kernelINS0_14default_configENS1_35radix_sort_onesweep_config_selectorIiNS0_10empty_typeEEEZZNS1_29radix_sort_onesweep_iterationIS3_Lb0EPiS8_PS5_S9_mNS0_19identity_decomposerENS1_16block_id_wrapperIjLb0EEEEE10hipError_tT1_PNSt15iterator_traitsISE_E10value_typeET2_T3_PNSF_ISK_E10value_typeET4_T5_PSP_SQ_PNS1_23onesweep_lookback_stateEbbT6_jjT7_P12ihipStream_tbENKUlT_T0_SE_SJ_E_clIS8_S8_S9_S9_EEDaSX_SY_SE_SJ_EUlSX_E_NS1_11comp_targetILNS1_3genE0ELNS1_11target_archE4294967295ELNS1_3gpuE0ELNS1_3repE0EEENS1_47radix_sort_onesweep_sort_config_static_selectorELNS0_4arch9wavefront6targetE1EEEvSE_,"axG",@progbits,_ZN7rocprim17ROCPRIM_400000_NS6detail17trampoline_kernelINS0_14default_configENS1_35radix_sort_onesweep_config_selectorIiNS0_10empty_typeEEEZZNS1_29radix_sort_onesweep_iterationIS3_Lb0EPiS8_PS5_S9_mNS0_19identity_decomposerENS1_16block_id_wrapperIjLb0EEEEE10hipError_tT1_PNSt15iterator_traitsISE_E10value_typeET2_T3_PNSF_ISK_E10value_typeET4_T5_PSP_SQ_PNS1_23onesweep_lookback_stateEbbT6_jjT7_P12ihipStream_tbENKUlT_T0_SE_SJ_E_clIS8_S8_S9_S9_EEDaSX_SY_SE_SJ_EUlSX_E_NS1_11comp_targetILNS1_3genE0ELNS1_11target_archE4294967295ELNS1_3gpuE0ELNS1_3repE0EEENS1_47radix_sort_onesweep_sort_config_static_selectorELNS0_4arch9wavefront6targetE1EEEvSE_,comdat
	.protected	_ZN7rocprim17ROCPRIM_400000_NS6detail17trampoline_kernelINS0_14default_configENS1_35radix_sort_onesweep_config_selectorIiNS0_10empty_typeEEEZZNS1_29radix_sort_onesweep_iterationIS3_Lb0EPiS8_PS5_S9_mNS0_19identity_decomposerENS1_16block_id_wrapperIjLb0EEEEE10hipError_tT1_PNSt15iterator_traitsISE_E10value_typeET2_T3_PNSF_ISK_E10value_typeET4_T5_PSP_SQ_PNS1_23onesweep_lookback_stateEbbT6_jjT7_P12ihipStream_tbENKUlT_T0_SE_SJ_E_clIS8_S8_S9_S9_EEDaSX_SY_SE_SJ_EUlSX_E_NS1_11comp_targetILNS1_3genE0ELNS1_11target_archE4294967295ELNS1_3gpuE0ELNS1_3repE0EEENS1_47radix_sort_onesweep_sort_config_static_selectorELNS0_4arch9wavefront6targetE1EEEvSE_ ; -- Begin function _ZN7rocprim17ROCPRIM_400000_NS6detail17trampoline_kernelINS0_14default_configENS1_35radix_sort_onesweep_config_selectorIiNS0_10empty_typeEEEZZNS1_29radix_sort_onesweep_iterationIS3_Lb0EPiS8_PS5_S9_mNS0_19identity_decomposerENS1_16block_id_wrapperIjLb0EEEEE10hipError_tT1_PNSt15iterator_traitsISE_E10value_typeET2_T3_PNSF_ISK_E10value_typeET4_T5_PSP_SQ_PNS1_23onesweep_lookback_stateEbbT6_jjT7_P12ihipStream_tbENKUlT_T0_SE_SJ_E_clIS8_S8_S9_S9_EEDaSX_SY_SE_SJ_EUlSX_E_NS1_11comp_targetILNS1_3genE0ELNS1_11target_archE4294967295ELNS1_3gpuE0ELNS1_3repE0EEENS1_47radix_sort_onesweep_sort_config_static_selectorELNS0_4arch9wavefront6targetE1EEEvSE_
	.globl	_ZN7rocprim17ROCPRIM_400000_NS6detail17trampoline_kernelINS0_14default_configENS1_35radix_sort_onesweep_config_selectorIiNS0_10empty_typeEEEZZNS1_29radix_sort_onesweep_iterationIS3_Lb0EPiS8_PS5_S9_mNS0_19identity_decomposerENS1_16block_id_wrapperIjLb0EEEEE10hipError_tT1_PNSt15iterator_traitsISE_E10value_typeET2_T3_PNSF_ISK_E10value_typeET4_T5_PSP_SQ_PNS1_23onesweep_lookback_stateEbbT6_jjT7_P12ihipStream_tbENKUlT_T0_SE_SJ_E_clIS8_S8_S9_S9_EEDaSX_SY_SE_SJ_EUlSX_E_NS1_11comp_targetILNS1_3genE0ELNS1_11target_archE4294967295ELNS1_3gpuE0ELNS1_3repE0EEENS1_47radix_sort_onesweep_sort_config_static_selectorELNS0_4arch9wavefront6targetE1EEEvSE_
	.p2align	8
	.type	_ZN7rocprim17ROCPRIM_400000_NS6detail17trampoline_kernelINS0_14default_configENS1_35radix_sort_onesweep_config_selectorIiNS0_10empty_typeEEEZZNS1_29radix_sort_onesweep_iterationIS3_Lb0EPiS8_PS5_S9_mNS0_19identity_decomposerENS1_16block_id_wrapperIjLb0EEEEE10hipError_tT1_PNSt15iterator_traitsISE_E10value_typeET2_T3_PNSF_ISK_E10value_typeET4_T5_PSP_SQ_PNS1_23onesweep_lookback_stateEbbT6_jjT7_P12ihipStream_tbENKUlT_T0_SE_SJ_E_clIS8_S8_S9_S9_EEDaSX_SY_SE_SJ_EUlSX_E_NS1_11comp_targetILNS1_3genE0ELNS1_11target_archE4294967295ELNS1_3gpuE0ELNS1_3repE0EEENS1_47radix_sort_onesweep_sort_config_static_selectorELNS0_4arch9wavefront6targetE1EEEvSE_,@function
_ZN7rocprim17ROCPRIM_400000_NS6detail17trampoline_kernelINS0_14default_configENS1_35radix_sort_onesweep_config_selectorIiNS0_10empty_typeEEEZZNS1_29radix_sort_onesweep_iterationIS3_Lb0EPiS8_PS5_S9_mNS0_19identity_decomposerENS1_16block_id_wrapperIjLb0EEEEE10hipError_tT1_PNSt15iterator_traitsISE_E10value_typeET2_T3_PNSF_ISK_E10value_typeET4_T5_PSP_SQ_PNS1_23onesweep_lookback_stateEbbT6_jjT7_P12ihipStream_tbENKUlT_T0_SE_SJ_E_clIS8_S8_S9_S9_EEDaSX_SY_SE_SJ_EUlSX_E_NS1_11comp_targetILNS1_3genE0ELNS1_11target_archE4294967295ELNS1_3gpuE0ELNS1_3repE0EEENS1_47radix_sort_onesweep_sort_config_static_selectorELNS0_4arch9wavefront6targetE1EEEvSE_: ; @_ZN7rocprim17ROCPRIM_400000_NS6detail17trampoline_kernelINS0_14default_configENS1_35radix_sort_onesweep_config_selectorIiNS0_10empty_typeEEEZZNS1_29radix_sort_onesweep_iterationIS3_Lb0EPiS8_PS5_S9_mNS0_19identity_decomposerENS1_16block_id_wrapperIjLb0EEEEE10hipError_tT1_PNSt15iterator_traitsISE_E10value_typeET2_T3_PNSF_ISK_E10value_typeET4_T5_PSP_SQ_PNS1_23onesweep_lookback_stateEbbT6_jjT7_P12ihipStream_tbENKUlT_T0_SE_SJ_E_clIS8_S8_S9_S9_EEDaSX_SY_SE_SJ_EUlSX_E_NS1_11comp_targetILNS1_3genE0ELNS1_11target_archE4294967295ELNS1_3gpuE0ELNS1_3repE0EEENS1_47radix_sort_onesweep_sort_config_static_selectorELNS0_4arch9wavefront6targetE1EEEvSE_
; %bb.0:
	.section	.rodata,"a",@progbits
	.p2align	6, 0x0
	.amdhsa_kernel _ZN7rocprim17ROCPRIM_400000_NS6detail17trampoline_kernelINS0_14default_configENS1_35radix_sort_onesweep_config_selectorIiNS0_10empty_typeEEEZZNS1_29radix_sort_onesweep_iterationIS3_Lb0EPiS8_PS5_S9_mNS0_19identity_decomposerENS1_16block_id_wrapperIjLb0EEEEE10hipError_tT1_PNSt15iterator_traitsISE_E10value_typeET2_T3_PNSF_ISK_E10value_typeET4_T5_PSP_SQ_PNS1_23onesweep_lookback_stateEbbT6_jjT7_P12ihipStream_tbENKUlT_T0_SE_SJ_E_clIS8_S8_S9_S9_EEDaSX_SY_SE_SJ_EUlSX_E_NS1_11comp_targetILNS1_3genE0ELNS1_11target_archE4294967295ELNS1_3gpuE0ELNS1_3repE0EEENS1_47radix_sort_onesweep_sort_config_static_selectorELNS0_4arch9wavefront6targetE1EEEvSE_
		.amdhsa_group_segment_fixed_size 0
		.amdhsa_private_segment_fixed_size 0
		.amdhsa_kernarg_size 88
		.amdhsa_user_sgpr_count 6
		.amdhsa_user_sgpr_private_segment_buffer 1
		.amdhsa_user_sgpr_dispatch_ptr 0
		.amdhsa_user_sgpr_queue_ptr 0
		.amdhsa_user_sgpr_kernarg_segment_ptr 1
		.amdhsa_user_sgpr_dispatch_id 0
		.amdhsa_user_sgpr_flat_scratch_init 0
		.amdhsa_user_sgpr_kernarg_preload_length 0
		.amdhsa_user_sgpr_kernarg_preload_offset 0
		.amdhsa_user_sgpr_private_segment_size 0
		.amdhsa_uses_dynamic_stack 0
		.amdhsa_system_sgpr_private_segment_wavefront_offset 0
		.amdhsa_system_sgpr_workgroup_id_x 1
		.amdhsa_system_sgpr_workgroup_id_y 0
		.amdhsa_system_sgpr_workgroup_id_z 0
		.amdhsa_system_sgpr_workgroup_info 0
		.amdhsa_system_vgpr_workitem_id 0
		.amdhsa_next_free_vgpr 1
		.amdhsa_next_free_sgpr 0
		.amdhsa_accum_offset 4
		.amdhsa_reserve_vcc 0
		.amdhsa_reserve_flat_scratch 0
		.amdhsa_float_round_mode_32 0
		.amdhsa_float_round_mode_16_64 0
		.amdhsa_float_denorm_mode_32 3
		.amdhsa_float_denorm_mode_16_64 3
		.amdhsa_dx10_clamp 1
		.amdhsa_ieee_mode 1
		.amdhsa_fp16_overflow 0
		.amdhsa_tg_split 0
		.amdhsa_exception_fp_ieee_invalid_op 0
		.amdhsa_exception_fp_denorm_src 0
		.amdhsa_exception_fp_ieee_div_zero 0
		.amdhsa_exception_fp_ieee_overflow 0
		.amdhsa_exception_fp_ieee_underflow 0
		.amdhsa_exception_fp_ieee_inexact 0
		.amdhsa_exception_int_div_zero 0
	.end_amdhsa_kernel
	.section	.text._ZN7rocprim17ROCPRIM_400000_NS6detail17trampoline_kernelINS0_14default_configENS1_35radix_sort_onesweep_config_selectorIiNS0_10empty_typeEEEZZNS1_29radix_sort_onesweep_iterationIS3_Lb0EPiS8_PS5_S9_mNS0_19identity_decomposerENS1_16block_id_wrapperIjLb0EEEEE10hipError_tT1_PNSt15iterator_traitsISE_E10value_typeET2_T3_PNSF_ISK_E10value_typeET4_T5_PSP_SQ_PNS1_23onesweep_lookback_stateEbbT6_jjT7_P12ihipStream_tbENKUlT_T0_SE_SJ_E_clIS8_S8_S9_S9_EEDaSX_SY_SE_SJ_EUlSX_E_NS1_11comp_targetILNS1_3genE0ELNS1_11target_archE4294967295ELNS1_3gpuE0ELNS1_3repE0EEENS1_47radix_sort_onesweep_sort_config_static_selectorELNS0_4arch9wavefront6targetE1EEEvSE_,"axG",@progbits,_ZN7rocprim17ROCPRIM_400000_NS6detail17trampoline_kernelINS0_14default_configENS1_35radix_sort_onesweep_config_selectorIiNS0_10empty_typeEEEZZNS1_29radix_sort_onesweep_iterationIS3_Lb0EPiS8_PS5_S9_mNS0_19identity_decomposerENS1_16block_id_wrapperIjLb0EEEEE10hipError_tT1_PNSt15iterator_traitsISE_E10value_typeET2_T3_PNSF_ISK_E10value_typeET4_T5_PSP_SQ_PNS1_23onesweep_lookback_stateEbbT6_jjT7_P12ihipStream_tbENKUlT_T0_SE_SJ_E_clIS8_S8_S9_S9_EEDaSX_SY_SE_SJ_EUlSX_E_NS1_11comp_targetILNS1_3genE0ELNS1_11target_archE4294967295ELNS1_3gpuE0ELNS1_3repE0EEENS1_47radix_sort_onesweep_sort_config_static_selectorELNS0_4arch9wavefront6targetE1EEEvSE_,comdat
.Lfunc_end659:
	.size	_ZN7rocprim17ROCPRIM_400000_NS6detail17trampoline_kernelINS0_14default_configENS1_35radix_sort_onesweep_config_selectorIiNS0_10empty_typeEEEZZNS1_29radix_sort_onesweep_iterationIS3_Lb0EPiS8_PS5_S9_mNS0_19identity_decomposerENS1_16block_id_wrapperIjLb0EEEEE10hipError_tT1_PNSt15iterator_traitsISE_E10value_typeET2_T3_PNSF_ISK_E10value_typeET4_T5_PSP_SQ_PNS1_23onesweep_lookback_stateEbbT6_jjT7_P12ihipStream_tbENKUlT_T0_SE_SJ_E_clIS8_S8_S9_S9_EEDaSX_SY_SE_SJ_EUlSX_E_NS1_11comp_targetILNS1_3genE0ELNS1_11target_archE4294967295ELNS1_3gpuE0ELNS1_3repE0EEENS1_47radix_sort_onesweep_sort_config_static_selectorELNS0_4arch9wavefront6targetE1EEEvSE_, .Lfunc_end659-_ZN7rocprim17ROCPRIM_400000_NS6detail17trampoline_kernelINS0_14default_configENS1_35radix_sort_onesweep_config_selectorIiNS0_10empty_typeEEEZZNS1_29radix_sort_onesweep_iterationIS3_Lb0EPiS8_PS5_S9_mNS0_19identity_decomposerENS1_16block_id_wrapperIjLb0EEEEE10hipError_tT1_PNSt15iterator_traitsISE_E10value_typeET2_T3_PNSF_ISK_E10value_typeET4_T5_PSP_SQ_PNS1_23onesweep_lookback_stateEbbT6_jjT7_P12ihipStream_tbENKUlT_T0_SE_SJ_E_clIS8_S8_S9_S9_EEDaSX_SY_SE_SJ_EUlSX_E_NS1_11comp_targetILNS1_3genE0ELNS1_11target_archE4294967295ELNS1_3gpuE0ELNS1_3repE0EEENS1_47radix_sort_onesweep_sort_config_static_selectorELNS0_4arch9wavefront6targetE1EEEvSE_
                                        ; -- End function
	.section	.AMDGPU.csdata,"",@progbits
; Kernel info:
; codeLenInByte = 0
; NumSgprs: 4
; NumVgprs: 0
; NumAgprs: 0
; TotalNumVgprs: 0
; ScratchSize: 0
; MemoryBound: 0
; FloatMode: 240
; IeeeMode: 1
; LDSByteSize: 0 bytes/workgroup (compile time only)
; SGPRBlocks: 0
; VGPRBlocks: 0
; NumSGPRsForWavesPerEU: 4
; NumVGPRsForWavesPerEU: 1
; AccumOffset: 4
; Occupancy: 8
; WaveLimiterHint : 0
; COMPUTE_PGM_RSRC2:SCRATCH_EN: 0
; COMPUTE_PGM_RSRC2:USER_SGPR: 6
; COMPUTE_PGM_RSRC2:TRAP_HANDLER: 0
; COMPUTE_PGM_RSRC2:TGID_X_EN: 1
; COMPUTE_PGM_RSRC2:TGID_Y_EN: 0
; COMPUTE_PGM_RSRC2:TGID_Z_EN: 0
; COMPUTE_PGM_RSRC2:TIDIG_COMP_CNT: 0
; COMPUTE_PGM_RSRC3_GFX90A:ACCUM_OFFSET: 0
; COMPUTE_PGM_RSRC3_GFX90A:TG_SPLIT: 0
	.section	.text._ZN7rocprim17ROCPRIM_400000_NS6detail17trampoline_kernelINS0_14default_configENS1_35radix_sort_onesweep_config_selectorIiNS0_10empty_typeEEEZZNS1_29radix_sort_onesweep_iterationIS3_Lb0EPiS8_PS5_S9_mNS0_19identity_decomposerENS1_16block_id_wrapperIjLb0EEEEE10hipError_tT1_PNSt15iterator_traitsISE_E10value_typeET2_T3_PNSF_ISK_E10value_typeET4_T5_PSP_SQ_PNS1_23onesweep_lookback_stateEbbT6_jjT7_P12ihipStream_tbENKUlT_T0_SE_SJ_E_clIS8_S8_S9_S9_EEDaSX_SY_SE_SJ_EUlSX_E_NS1_11comp_targetILNS1_3genE6ELNS1_11target_archE950ELNS1_3gpuE13ELNS1_3repE0EEENS1_47radix_sort_onesweep_sort_config_static_selectorELNS0_4arch9wavefront6targetE1EEEvSE_,"axG",@progbits,_ZN7rocprim17ROCPRIM_400000_NS6detail17trampoline_kernelINS0_14default_configENS1_35radix_sort_onesweep_config_selectorIiNS0_10empty_typeEEEZZNS1_29radix_sort_onesweep_iterationIS3_Lb0EPiS8_PS5_S9_mNS0_19identity_decomposerENS1_16block_id_wrapperIjLb0EEEEE10hipError_tT1_PNSt15iterator_traitsISE_E10value_typeET2_T3_PNSF_ISK_E10value_typeET4_T5_PSP_SQ_PNS1_23onesweep_lookback_stateEbbT6_jjT7_P12ihipStream_tbENKUlT_T0_SE_SJ_E_clIS8_S8_S9_S9_EEDaSX_SY_SE_SJ_EUlSX_E_NS1_11comp_targetILNS1_3genE6ELNS1_11target_archE950ELNS1_3gpuE13ELNS1_3repE0EEENS1_47radix_sort_onesweep_sort_config_static_selectorELNS0_4arch9wavefront6targetE1EEEvSE_,comdat
	.protected	_ZN7rocprim17ROCPRIM_400000_NS6detail17trampoline_kernelINS0_14default_configENS1_35radix_sort_onesweep_config_selectorIiNS0_10empty_typeEEEZZNS1_29radix_sort_onesweep_iterationIS3_Lb0EPiS8_PS5_S9_mNS0_19identity_decomposerENS1_16block_id_wrapperIjLb0EEEEE10hipError_tT1_PNSt15iterator_traitsISE_E10value_typeET2_T3_PNSF_ISK_E10value_typeET4_T5_PSP_SQ_PNS1_23onesweep_lookback_stateEbbT6_jjT7_P12ihipStream_tbENKUlT_T0_SE_SJ_E_clIS8_S8_S9_S9_EEDaSX_SY_SE_SJ_EUlSX_E_NS1_11comp_targetILNS1_3genE6ELNS1_11target_archE950ELNS1_3gpuE13ELNS1_3repE0EEENS1_47radix_sort_onesweep_sort_config_static_selectorELNS0_4arch9wavefront6targetE1EEEvSE_ ; -- Begin function _ZN7rocprim17ROCPRIM_400000_NS6detail17trampoline_kernelINS0_14default_configENS1_35radix_sort_onesweep_config_selectorIiNS0_10empty_typeEEEZZNS1_29radix_sort_onesweep_iterationIS3_Lb0EPiS8_PS5_S9_mNS0_19identity_decomposerENS1_16block_id_wrapperIjLb0EEEEE10hipError_tT1_PNSt15iterator_traitsISE_E10value_typeET2_T3_PNSF_ISK_E10value_typeET4_T5_PSP_SQ_PNS1_23onesweep_lookback_stateEbbT6_jjT7_P12ihipStream_tbENKUlT_T0_SE_SJ_E_clIS8_S8_S9_S9_EEDaSX_SY_SE_SJ_EUlSX_E_NS1_11comp_targetILNS1_3genE6ELNS1_11target_archE950ELNS1_3gpuE13ELNS1_3repE0EEENS1_47radix_sort_onesweep_sort_config_static_selectorELNS0_4arch9wavefront6targetE1EEEvSE_
	.globl	_ZN7rocprim17ROCPRIM_400000_NS6detail17trampoline_kernelINS0_14default_configENS1_35radix_sort_onesweep_config_selectorIiNS0_10empty_typeEEEZZNS1_29radix_sort_onesweep_iterationIS3_Lb0EPiS8_PS5_S9_mNS0_19identity_decomposerENS1_16block_id_wrapperIjLb0EEEEE10hipError_tT1_PNSt15iterator_traitsISE_E10value_typeET2_T3_PNSF_ISK_E10value_typeET4_T5_PSP_SQ_PNS1_23onesweep_lookback_stateEbbT6_jjT7_P12ihipStream_tbENKUlT_T0_SE_SJ_E_clIS8_S8_S9_S9_EEDaSX_SY_SE_SJ_EUlSX_E_NS1_11comp_targetILNS1_3genE6ELNS1_11target_archE950ELNS1_3gpuE13ELNS1_3repE0EEENS1_47radix_sort_onesweep_sort_config_static_selectorELNS0_4arch9wavefront6targetE1EEEvSE_
	.p2align	8
	.type	_ZN7rocprim17ROCPRIM_400000_NS6detail17trampoline_kernelINS0_14default_configENS1_35radix_sort_onesweep_config_selectorIiNS0_10empty_typeEEEZZNS1_29radix_sort_onesweep_iterationIS3_Lb0EPiS8_PS5_S9_mNS0_19identity_decomposerENS1_16block_id_wrapperIjLb0EEEEE10hipError_tT1_PNSt15iterator_traitsISE_E10value_typeET2_T3_PNSF_ISK_E10value_typeET4_T5_PSP_SQ_PNS1_23onesweep_lookback_stateEbbT6_jjT7_P12ihipStream_tbENKUlT_T0_SE_SJ_E_clIS8_S8_S9_S9_EEDaSX_SY_SE_SJ_EUlSX_E_NS1_11comp_targetILNS1_3genE6ELNS1_11target_archE950ELNS1_3gpuE13ELNS1_3repE0EEENS1_47radix_sort_onesweep_sort_config_static_selectorELNS0_4arch9wavefront6targetE1EEEvSE_,@function
_ZN7rocprim17ROCPRIM_400000_NS6detail17trampoline_kernelINS0_14default_configENS1_35radix_sort_onesweep_config_selectorIiNS0_10empty_typeEEEZZNS1_29radix_sort_onesweep_iterationIS3_Lb0EPiS8_PS5_S9_mNS0_19identity_decomposerENS1_16block_id_wrapperIjLb0EEEEE10hipError_tT1_PNSt15iterator_traitsISE_E10value_typeET2_T3_PNSF_ISK_E10value_typeET4_T5_PSP_SQ_PNS1_23onesweep_lookback_stateEbbT6_jjT7_P12ihipStream_tbENKUlT_T0_SE_SJ_E_clIS8_S8_S9_S9_EEDaSX_SY_SE_SJ_EUlSX_E_NS1_11comp_targetILNS1_3genE6ELNS1_11target_archE950ELNS1_3gpuE13ELNS1_3repE0EEENS1_47radix_sort_onesweep_sort_config_static_selectorELNS0_4arch9wavefront6targetE1EEEvSE_: ; @_ZN7rocprim17ROCPRIM_400000_NS6detail17trampoline_kernelINS0_14default_configENS1_35radix_sort_onesweep_config_selectorIiNS0_10empty_typeEEEZZNS1_29radix_sort_onesweep_iterationIS3_Lb0EPiS8_PS5_S9_mNS0_19identity_decomposerENS1_16block_id_wrapperIjLb0EEEEE10hipError_tT1_PNSt15iterator_traitsISE_E10value_typeET2_T3_PNSF_ISK_E10value_typeET4_T5_PSP_SQ_PNS1_23onesweep_lookback_stateEbbT6_jjT7_P12ihipStream_tbENKUlT_T0_SE_SJ_E_clIS8_S8_S9_S9_EEDaSX_SY_SE_SJ_EUlSX_E_NS1_11comp_targetILNS1_3genE6ELNS1_11target_archE950ELNS1_3gpuE13ELNS1_3repE0EEENS1_47radix_sort_onesweep_sort_config_static_selectorELNS0_4arch9wavefront6targetE1EEEvSE_
; %bb.0:
	.section	.rodata,"a",@progbits
	.p2align	6, 0x0
	.amdhsa_kernel _ZN7rocprim17ROCPRIM_400000_NS6detail17trampoline_kernelINS0_14default_configENS1_35radix_sort_onesweep_config_selectorIiNS0_10empty_typeEEEZZNS1_29radix_sort_onesweep_iterationIS3_Lb0EPiS8_PS5_S9_mNS0_19identity_decomposerENS1_16block_id_wrapperIjLb0EEEEE10hipError_tT1_PNSt15iterator_traitsISE_E10value_typeET2_T3_PNSF_ISK_E10value_typeET4_T5_PSP_SQ_PNS1_23onesweep_lookback_stateEbbT6_jjT7_P12ihipStream_tbENKUlT_T0_SE_SJ_E_clIS8_S8_S9_S9_EEDaSX_SY_SE_SJ_EUlSX_E_NS1_11comp_targetILNS1_3genE6ELNS1_11target_archE950ELNS1_3gpuE13ELNS1_3repE0EEENS1_47radix_sort_onesweep_sort_config_static_selectorELNS0_4arch9wavefront6targetE1EEEvSE_
		.amdhsa_group_segment_fixed_size 0
		.amdhsa_private_segment_fixed_size 0
		.amdhsa_kernarg_size 88
		.amdhsa_user_sgpr_count 6
		.amdhsa_user_sgpr_private_segment_buffer 1
		.amdhsa_user_sgpr_dispatch_ptr 0
		.amdhsa_user_sgpr_queue_ptr 0
		.amdhsa_user_sgpr_kernarg_segment_ptr 1
		.amdhsa_user_sgpr_dispatch_id 0
		.amdhsa_user_sgpr_flat_scratch_init 0
		.amdhsa_user_sgpr_kernarg_preload_length 0
		.amdhsa_user_sgpr_kernarg_preload_offset 0
		.amdhsa_user_sgpr_private_segment_size 0
		.amdhsa_uses_dynamic_stack 0
		.amdhsa_system_sgpr_private_segment_wavefront_offset 0
		.amdhsa_system_sgpr_workgroup_id_x 1
		.amdhsa_system_sgpr_workgroup_id_y 0
		.amdhsa_system_sgpr_workgroup_id_z 0
		.amdhsa_system_sgpr_workgroup_info 0
		.amdhsa_system_vgpr_workitem_id 0
		.amdhsa_next_free_vgpr 1
		.amdhsa_next_free_sgpr 0
		.amdhsa_accum_offset 4
		.amdhsa_reserve_vcc 0
		.amdhsa_reserve_flat_scratch 0
		.amdhsa_float_round_mode_32 0
		.amdhsa_float_round_mode_16_64 0
		.amdhsa_float_denorm_mode_32 3
		.amdhsa_float_denorm_mode_16_64 3
		.amdhsa_dx10_clamp 1
		.amdhsa_ieee_mode 1
		.amdhsa_fp16_overflow 0
		.amdhsa_tg_split 0
		.amdhsa_exception_fp_ieee_invalid_op 0
		.amdhsa_exception_fp_denorm_src 0
		.amdhsa_exception_fp_ieee_div_zero 0
		.amdhsa_exception_fp_ieee_overflow 0
		.amdhsa_exception_fp_ieee_underflow 0
		.amdhsa_exception_fp_ieee_inexact 0
		.amdhsa_exception_int_div_zero 0
	.end_amdhsa_kernel
	.section	.text._ZN7rocprim17ROCPRIM_400000_NS6detail17trampoline_kernelINS0_14default_configENS1_35radix_sort_onesweep_config_selectorIiNS0_10empty_typeEEEZZNS1_29radix_sort_onesweep_iterationIS3_Lb0EPiS8_PS5_S9_mNS0_19identity_decomposerENS1_16block_id_wrapperIjLb0EEEEE10hipError_tT1_PNSt15iterator_traitsISE_E10value_typeET2_T3_PNSF_ISK_E10value_typeET4_T5_PSP_SQ_PNS1_23onesweep_lookback_stateEbbT6_jjT7_P12ihipStream_tbENKUlT_T0_SE_SJ_E_clIS8_S8_S9_S9_EEDaSX_SY_SE_SJ_EUlSX_E_NS1_11comp_targetILNS1_3genE6ELNS1_11target_archE950ELNS1_3gpuE13ELNS1_3repE0EEENS1_47radix_sort_onesweep_sort_config_static_selectorELNS0_4arch9wavefront6targetE1EEEvSE_,"axG",@progbits,_ZN7rocprim17ROCPRIM_400000_NS6detail17trampoline_kernelINS0_14default_configENS1_35radix_sort_onesweep_config_selectorIiNS0_10empty_typeEEEZZNS1_29radix_sort_onesweep_iterationIS3_Lb0EPiS8_PS5_S9_mNS0_19identity_decomposerENS1_16block_id_wrapperIjLb0EEEEE10hipError_tT1_PNSt15iterator_traitsISE_E10value_typeET2_T3_PNSF_ISK_E10value_typeET4_T5_PSP_SQ_PNS1_23onesweep_lookback_stateEbbT6_jjT7_P12ihipStream_tbENKUlT_T0_SE_SJ_E_clIS8_S8_S9_S9_EEDaSX_SY_SE_SJ_EUlSX_E_NS1_11comp_targetILNS1_3genE6ELNS1_11target_archE950ELNS1_3gpuE13ELNS1_3repE0EEENS1_47radix_sort_onesweep_sort_config_static_selectorELNS0_4arch9wavefront6targetE1EEEvSE_,comdat
.Lfunc_end660:
	.size	_ZN7rocprim17ROCPRIM_400000_NS6detail17trampoline_kernelINS0_14default_configENS1_35radix_sort_onesweep_config_selectorIiNS0_10empty_typeEEEZZNS1_29radix_sort_onesweep_iterationIS3_Lb0EPiS8_PS5_S9_mNS0_19identity_decomposerENS1_16block_id_wrapperIjLb0EEEEE10hipError_tT1_PNSt15iterator_traitsISE_E10value_typeET2_T3_PNSF_ISK_E10value_typeET4_T5_PSP_SQ_PNS1_23onesweep_lookback_stateEbbT6_jjT7_P12ihipStream_tbENKUlT_T0_SE_SJ_E_clIS8_S8_S9_S9_EEDaSX_SY_SE_SJ_EUlSX_E_NS1_11comp_targetILNS1_3genE6ELNS1_11target_archE950ELNS1_3gpuE13ELNS1_3repE0EEENS1_47radix_sort_onesweep_sort_config_static_selectorELNS0_4arch9wavefront6targetE1EEEvSE_, .Lfunc_end660-_ZN7rocprim17ROCPRIM_400000_NS6detail17trampoline_kernelINS0_14default_configENS1_35radix_sort_onesweep_config_selectorIiNS0_10empty_typeEEEZZNS1_29radix_sort_onesweep_iterationIS3_Lb0EPiS8_PS5_S9_mNS0_19identity_decomposerENS1_16block_id_wrapperIjLb0EEEEE10hipError_tT1_PNSt15iterator_traitsISE_E10value_typeET2_T3_PNSF_ISK_E10value_typeET4_T5_PSP_SQ_PNS1_23onesweep_lookback_stateEbbT6_jjT7_P12ihipStream_tbENKUlT_T0_SE_SJ_E_clIS8_S8_S9_S9_EEDaSX_SY_SE_SJ_EUlSX_E_NS1_11comp_targetILNS1_3genE6ELNS1_11target_archE950ELNS1_3gpuE13ELNS1_3repE0EEENS1_47radix_sort_onesweep_sort_config_static_selectorELNS0_4arch9wavefront6targetE1EEEvSE_
                                        ; -- End function
	.section	.AMDGPU.csdata,"",@progbits
; Kernel info:
; codeLenInByte = 0
; NumSgprs: 4
; NumVgprs: 0
; NumAgprs: 0
; TotalNumVgprs: 0
; ScratchSize: 0
; MemoryBound: 0
; FloatMode: 240
; IeeeMode: 1
; LDSByteSize: 0 bytes/workgroup (compile time only)
; SGPRBlocks: 0
; VGPRBlocks: 0
; NumSGPRsForWavesPerEU: 4
; NumVGPRsForWavesPerEU: 1
; AccumOffset: 4
; Occupancy: 8
; WaveLimiterHint : 0
; COMPUTE_PGM_RSRC2:SCRATCH_EN: 0
; COMPUTE_PGM_RSRC2:USER_SGPR: 6
; COMPUTE_PGM_RSRC2:TRAP_HANDLER: 0
; COMPUTE_PGM_RSRC2:TGID_X_EN: 1
; COMPUTE_PGM_RSRC2:TGID_Y_EN: 0
; COMPUTE_PGM_RSRC2:TGID_Z_EN: 0
; COMPUTE_PGM_RSRC2:TIDIG_COMP_CNT: 0
; COMPUTE_PGM_RSRC3_GFX90A:ACCUM_OFFSET: 0
; COMPUTE_PGM_RSRC3_GFX90A:TG_SPLIT: 0
	.section	.text._ZN7rocprim17ROCPRIM_400000_NS6detail17trampoline_kernelINS0_14default_configENS1_35radix_sort_onesweep_config_selectorIiNS0_10empty_typeEEEZZNS1_29radix_sort_onesweep_iterationIS3_Lb0EPiS8_PS5_S9_mNS0_19identity_decomposerENS1_16block_id_wrapperIjLb0EEEEE10hipError_tT1_PNSt15iterator_traitsISE_E10value_typeET2_T3_PNSF_ISK_E10value_typeET4_T5_PSP_SQ_PNS1_23onesweep_lookback_stateEbbT6_jjT7_P12ihipStream_tbENKUlT_T0_SE_SJ_E_clIS8_S8_S9_S9_EEDaSX_SY_SE_SJ_EUlSX_E_NS1_11comp_targetILNS1_3genE5ELNS1_11target_archE942ELNS1_3gpuE9ELNS1_3repE0EEENS1_47radix_sort_onesweep_sort_config_static_selectorELNS0_4arch9wavefront6targetE1EEEvSE_,"axG",@progbits,_ZN7rocprim17ROCPRIM_400000_NS6detail17trampoline_kernelINS0_14default_configENS1_35radix_sort_onesweep_config_selectorIiNS0_10empty_typeEEEZZNS1_29radix_sort_onesweep_iterationIS3_Lb0EPiS8_PS5_S9_mNS0_19identity_decomposerENS1_16block_id_wrapperIjLb0EEEEE10hipError_tT1_PNSt15iterator_traitsISE_E10value_typeET2_T3_PNSF_ISK_E10value_typeET4_T5_PSP_SQ_PNS1_23onesweep_lookback_stateEbbT6_jjT7_P12ihipStream_tbENKUlT_T0_SE_SJ_E_clIS8_S8_S9_S9_EEDaSX_SY_SE_SJ_EUlSX_E_NS1_11comp_targetILNS1_3genE5ELNS1_11target_archE942ELNS1_3gpuE9ELNS1_3repE0EEENS1_47radix_sort_onesweep_sort_config_static_selectorELNS0_4arch9wavefront6targetE1EEEvSE_,comdat
	.protected	_ZN7rocprim17ROCPRIM_400000_NS6detail17trampoline_kernelINS0_14default_configENS1_35radix_sort_onesweep_config_selectorIiNS0_10empty_typeEEEZZNS1_29radix_sort_onesweep_iterationIS3_Lb0EPiS8_PS5_S9_mNS0_19identity_decomposerENS1_16block_id_wrapperIjLb0EEEEE10hipError_tT1_PNSt15iterator_traitsISE_E10value_typeET2_T3_PNSF_ISK_E10value_typeET4_T5_PSP_SQ_PNS1_23onesweep_lookback_stateEbbT6_jjT7_P12ihipStream_tbENKUlT_T0_SE_SJ_E_clIS8_S8_S9_S9_EEDaSX_SY_SE_SJ_EUlSX_E_NS1_11comp_targetILNS1_3genE5ELNS1_11target_archE942ELNS1_3gpuE9ELNS1_3repE0EEENS1_47radix_sort_onesweep_sort_config_static_selectorELNS0_4arch9wavefront6targetE1EEEvSE_ ; -- Begin function _ZN7rocprim17ROCPRIM_400000_NS6detail17trampoline_kernelINS0_14default_configENS1_35radix_sort_onesweep_config_selectorIiNS0_10empty_typeEEEZZNS1_29radix_sort_onesweep_iterationIS3_Lb0EPiS8_PS5_S9_mNS0_19identity_decomposerENS1_16block_id_wrapperIjLb0EEEEE10hipError_tT1_PNSt15iterator_traitsISE_E10value_typeET2_T3_PNSF_ISK_E10value_typeET4_T5_PSP_SQ_PNS1_23onesweep_lookback_stateEbbT6_jjT7_P12ihipStream_tbENKUlT_T0_SE_SJ_E_clIS8_S8_S9_S9_EEDaSX_SY_SE_SJ_EUlSX_E_NS1_11comp_targetILNS1_3genE5ELNS1_11target_archE942ELNS1_3gpuE9ELNS1_3repE0EEENS1_47radix_sort_onesweep_sort_config_static_selectorELNS0_4arch9wavefront6targetE1EEEvSE_
	.globl	_ZN7rocprim17ROCPRIM_400000_NS6detail17trampoline_kernelINS0_14default_configENS1_35radix_sort_onesweep_config_selectorIiNS0_10empty_typeEEEZZNS1_29radix_sort_onesweep_iterationIS3_Lb0EPiS8_PS5_S9_mNS0_19identity_decomposerENS1_16block_id_wrapperIjLb0EEEEE10hipError_tT1_PNSt15iterator_traitsISE_E10value_typeET2_T3_PNSF_ISK_E10value_typeET4_T5_PSP_SQ_PNS1_23onesweep_lookback_stateEbbT6_jjT7_P12ihipStream_tbENKUlT_T0_SE_SJ_E_clIS8_S8_S9_S9_EEDaSX_SY_SE_SJ_EUlSX_E_NS1_11comp_targetILNS1_3genE5ELNS1_11target_archE942ELNS1_3gpuE9ELNS1_3repE0EEENS1_47radix_sort_onesweep_sort_config_static_selectorELNS0_4arch9wavefront6targetE1EEEvSE_
	.p2align	8
	.type	_ZN7rocprim17ROCPRIM_400000_NS6detail17trampoline_kernelINS0_14default_configENS1_35radix_sort_onesweep_config_selectorIiNS0_10empty_typeEEEZZNS1_29radix_sort_onesweep_iterationIS3_Lb0EPiS8_PS5_S9_mNS0_19identity_decomposerENS1_16block_id_wrapperIjLb0EEEEE10hipError_tT1_PNSt15iterator_traitsISE_E10value_typeET2_T3_PNSF_ISK_E10value_typeET4_T5_PSP_SQ_PNS1_23onesweep_lookback_stateEbbT6_jjT7_P12ihipStream_tbENKUlT_T0_SE_SJ_E_clIS8_S8_S9_S9_EEDaSX_SY_SE_SJ_EUlSX_E_NS1_11comp_targetILNS1_3genE5ELNS1_11target_archE942ELNS1_3gpuE9ELNS1_3repE0EEENS1_47radix_sort_onesweep_sort_config_static_selectorELNS0_4arch9wavefront6targetE1EEEvSE_,@function
_ZN7rocprim17ROCPRIM_400000_NS6detail17trampoline_kernelINS0_14default_configENS1_35radix_sort_onesweep_config_selectorIiNS0_10empty_typeEEEZZNS1_29radix_sort_onesweep_iterationIS3_Lb0EPiS8_PS5_S9_mNS0_19identity_decomposerENS1_16block_id_wrapperIjLb0EEEEE10hipError_tT1_PNSt15iterator_traitsISE_E10value_typeET2_T3_PNSF_ISK_E10value_typeET4_T5_PSP_SQ_PNS1_23onesweep_lookback_stateEbbT6_jjT7_P12ihipStream_tbENKUlT_T0_SE_SJ_E_clIS8_S8_S9_S9_EEDaSX_SY_SE_SJ_EUlSX_E_NS1_11comp_targetILNS1_3genE5ELNS1_11target_archE942ELNS1_3gpuE9ELNS1_3repE0EEENS1_47radix_sort_onesweep_sort_config_static_selectorELNS0_4arch9wavefront6targetE1EEEvSE_: ; @_ZN7rocprim17ROCPRIM_400000_NS6detail17trampoline_kernelINS0_14default_configENS1_35radix_sort_onesweep_config_selectorIiNS0_10empty_typeEEEZZNS1_29radix_sort_onesweep_iterationIS3_Lb0EPiS8_PS5_S9_mNS0_19identity_decomposerENS1_16block_id_wrapperIjLb0EEEEE10hipError_tT1_PNSt15iterator_traitsISE_E10value_typeET2_T3_PNSF_ISK_E10value_typeET4_T5_PSP_SQ_PNS1_23onesweep_lookback_stateEbbT6_jjT7_P12ihipStream_tbENKUlT_T0_SE_SJ_E_clIS8_S8_S9_S9_EEDaSX_SY_SE_SJ_EUlSX_E_NS1_11comp_targetILNS1_3genE5ELNS1_11target_archE942ELNS1_3gpuE9ELNS1_3repE0EEENS1_47radix_sort_onesweep_sort_config_static_selectorELNS0_4arch9wavefront6targetE1EEEvSE_
; %bb.0:
	.section	.rodata,"a",@progbits
	.p2align	6, 0x0
	.amdhsa_kernel _ZN7rocprim17ROCPRIM_400000_NS6detail17trampoline_kernelINS0_14default_configENS1_35radix_sort_onesweep_config_selectorIiNS0_10empty_typeEEEZZNS1_29radix_sort_onesweep_iterationIS3_Lb0EPiS8_PS5_S9_mNS0_19identity_decomposerENS1_16block_id_wrapperIjLb0EEEEE10hipError_tT1_PNSt15iterator_traitsISE_E10value_typeET2_T3_PNSF_ISK_E10value_typeET4_T5_PSP_SQ_PNS1_23onesweep_lookback_stateEbbT6_jjT7_P12ihipStream_tbENKUlT_T0_SE_SJ_E_clIS8_S8_S9_S9_EEDaSX_SY_SE_SJ_EUlSX_E_NS1_11comp_targetILNS1_3genE5ELNS1_11target_archE942ELNS1_3gpuE9ELNS1_3repE0EEENS1_47radix_sort_onesweep_sort_config_static_selectorELNS0_4arch9wavefront6targetE1EEEvSE_
		.amdhsa_group_segment_fixed_size 0
		.amdhsa_private_segment_fixed_size 0
		.amdhsa_kernarg_size 88
		.amdhsa_user_sgpr_count 6
		.amdhsa_user_sgpr_private_segment_buffer 1
		.amdhsa_user_sgpr_dispatch_ptr 0
		.amdhsa_user_sgpr_queue_ptr 0
		.amdhsa_user_sgpr_kernarg_segment_ptr 1
		.amdhsa_user_sgpr_dispatch_id 0
		.amdhsa_user_sgpr_flat_scratch_init 0
		.amdhsa_user_sgpr_kernarg_preload_length 0
		.amdhsa_user_sgpr_kernarg_preload_offset 0
		.amdhsa_user_sgpr_private_segment_size 0
		.amdhsa_uses_dynamic_stack 0
		.amdhsa_system_sgpr_private_segment_wavefront_offset 0
		.amdhsa_system_sgpr_workgroup_id_x 1
		.amdhsa_system_sgpr_workgroup_id_y 0
		.amdhsa_system_sgpr_workgroup_id_z 0
		.amdhsa_system_sgpr_workgroup_info 0
		.amdhsa_system_vgpr_workitem_id 0
		.amdhsa_next_free_vgpr 1
		.amdhsa_next_free_sgpr 0
		.amdhsa_accum_offset 4
		.amdhsa_reserve_vcc 0
		.amdhsa_reserve_flat_scratch 0
		.amdhsa_float_round_mode_32 0
		.amdhsa_float_round_mode_16_64 0
		.amdhsa_float_denorm_mode_32 3
		.amdhsa_float_denorm_mode_16_64 3
		.amdhsa_dx10_clamp 1
		.amdhsa_ieee_mode 1
		.amdhsa_fp16_overflow 0
		.amdhsa_tg_split 0
		.amdhsa_exception_fp_ieee_invalid_op 0
		.amdhsa_exception_fp_denorm_src 0
		.amdhsa_exception_fp_ieee_div_zero 0
		.amdhsa_exception_fp_ieee_overflow 0
		.amdhsa_exception_fp_ieee_underflow 0
		.amdhsa_exception_fp_ieee_inexact 0
		.amdhsa_exception_int_div_zero 0
	.end_amdhsa_kernel
	.section	.text._ZN7rocprim17ROCPRIM_400000_NS6detail17trampoline_kernelINS0_14default_configENS1_35radix_sort_onesweep_config_selectorIiNS0_10empty_typeEEEZZNS1_29radix_sort_onesweep_iterationIS3_Lb0EPiS8_PS5_S9_mNS0_19identity_decomposerENS1_16block_id_wrapperIjLb0EEEEE10hipError_tT1_PNSt15iterator_traitsISE_E10value_typeET2_T3_PNSF_ISK_E10value_typeET4_T5_PSP_SQ_PNS1_23onesweep_lookback_stateEbbT6_jjT7_P12ihipStream_tbENKUlT_T0_SE_SJ_E_clIS8_S8_S9_S9_EEDaSX_SY_SE_SJ_EUlSX_E_NS1_11comp_targetILNS1_3genE5ELNS1_11target_archE942ELNS1_3gpuE9ELNS1_3repE0EEENS1_47radix_sort_onesweep_sort_config_static_selectorELNS0_4arch9wavefront6targetE1EEEvSE_,"axG",@progbits,_ZN7rocprim17ROCPRIM_400000_NS6detail17trampoline_kernelINS0_14default_configENS1_35radix_sort_onesweep_config_selectorIiNS0_10empty_typeEEEZZNS1_29radix_sort_onesweep_iterationIS3_Lb0EPiS8_PS5_S9_mNS0_19identity_decomposerENS1_16block_id_wrapperIjLb0EEEEE10hipError_tT1_PNSt15iterator_traitsISE_E10value_typeET2_T3_PNSF_ISK_E10value_typeET4_T5_PSP_SQ_PNS1_23onesweep_lookback_stateEbbT6_jjT7_P12ihipStream_tbENKUlT_T0_SE_SJ_E_clIS8_S8_S9_S9_EEDaSX_SY_SE_SJ_EUlSX_E_NS1_11comp_targetILNS1_3genE5ELNS1_11target_archE942ELNS1_3gpuE9ELNS1_3repE0EEENS1_47radix_sort_onesweep_sort_config_static_selectorELNS0_4arch9wavefront6targetE1EEEvSE_,comdat
.Lfunc_end661:
	.size	_ZN7rocprim17ROCPRIM_400000_NS6detail17trampoline_kernelINS0_14default_configENS1_35radix_sort_onesweep_config_selectorIiNS0_10empty_typeEEEZZNS1_29radix_sort_onesweep_iterationIS3_Lb0EPiS8_PS5_S9_mNS0_19identity_decomposerENS1_16block_id_wrapperIjLb0EEEEE10hipError_tT1_PNSt15iterator_traitsISE_E10value_typeET2_T3_PNSF_ISK_E10value_typeET4_T5_PSP_SQ_PNS1_23onesweep_lookback_stateEbbT6_jjT7_P12ihipStream_tbENKUlT_T0_SE_SJ_E_clIS8_S8_S9_S9_EEDaSX_SY_SE_SJ_EUlSX_E_NS1_11comp_targetILNS1_3genE5ELNS1_11target_archE942ELNS1_3gpuE9ELNS1_3repE0EEENS1_47radix_sort_onesweep_sort_config_static_selectorELNS0_4arch9wavefront6targetE1EEEvSE_, .Lfunc_end661-_ZN7rocprim17ROCPRIM_400000_NS6detail17trampoline_kernelINS0_14default_configENS1_35radix_sort_onesweep_config_selectorIiNS0_10empty_typeEEEZZNS1_29radix_sort_onesweep_iterationIS3_Lb0EPiS8_PS5_S9_mNS0_19identity_decomposerENS1_16block_id_wrapperIjLb0EEEEE10hipError_tT1_PNSt15iterator_traitsISE_E10value_typeET2_T3_PNSF_ISK_E10value_typeET4_T5_PSP_SQ_PNS1_23onesweep_lookback_stateEbbT6_jjT7_P12ihipStream_tbENKUlT_T0_SE_SJ_E_clIS8_S8_S9_S9_EEDaSX_SY_SE_SJ_EUlSX_E_NS1_11comp_targetILNS1_3genE5ELNS1_11target_archE942ELNS1_3gpuE9ELNS1_3repE0EEENS1_47radix_sort_onesweep_sort_config_static_selectorELNS0_4arch9wavefront6targetE1EEEvSE_
                                        ; -- End function
	.section	.AMDGPU.csdata,"",@progbits
; Kernel info:
; codeLenInByte = 0
; NumSgprs: 4
; NumVgprs: 0
; NumAgprs: 0
; TotalNumVgprs: 0
; ScratchSize: 0
; MemoryBound: 0
; FloatMode: 240
; IeeeMode: 1
; LDSByteSize: 0 bytes/workgroup (compile time only)
; SGPRBlocks: 0
; VGPRBlocks: 0
; NumSGPRsForWavesPerEU: 4
; NumVGPRsForWavesPerEU: 1
; AccumOffset: 4
; Occupancy: 8
; WaveLimiterHint : 0
; COMPUTE_PGM_RSRC2:SCRATCH_EN: 0
; COMPUTE_PGM_RSRC2:USER_SGPR: 6
; COMPUTE_PGM_RSRC2:TRAP_HANDLER: 0
; COMPUTE_PGM_RSRC2:TGID_X_EN: 1
; COMPUTE_PGM_RSRC2:TGID_Y_EN: 0
; COMPUTE_PGM_RSRC2:TGID_Z_EN: 0
; COMPUTE_PGM_RSRC2:TIDIG_COMP_CNT: 0
; COMPUTE_PGM_RSRC3_GFX90A:ACCUM_OFFSET: 0
; COMPUTE_PGM_RSRC3_GFX90A:TG_SPLIT: 0
	.section	.text._ZN7rocprim17ROCPRIM_400000_NS6detail17trampoline_kernelINS0_14default_configENS1_35radix_sort_onesweep_config_selectorIiNS0_10empty_typeEEEZZNS1_29radix_sort_onesweep_iterationIS3_Lb0EPiS8_PS5_S9_mNS0_19identity_decomposerENS1_16block_id_wrapperIjLb0EEEEE10hipError_tT1_PNSt15iterator_traitsISE_E10value_typeET2_T3_PNSF_ISK_E10value_typeET4_T5_PSP_SQ_PNS1_23onesweep_lookback_stateEbbT6_jjT7_P12ihipStream_tbENKUlT_T0_SE_SJ_E_clIS8_S8_S9_S9_EEDaSX_SY_SE_SJ_EUlSX_E_NS1_11comp_targetILNS1_3genE2ELNS1_11target_archE906ELNS1_3gpuE6ELNS1_3repE0EEENS1_47radix_sort_onesweep_sort_config_static_selectorELNS0_4arch9wavefront6targetE1EEEvSE_,"axG",@progbits,_ZN7rocprim17ROCPRIM_400000_NS6detail17trampoline_kernelINS0_14default_configENS1_35radix_sort_onesweep_config_selectorIiNS0_10empty_typeEEEZZNS1_29radix_sort_onesweep_iterationIS3_Lb0EPiS8_PS5_S9_mNS0_19identity_decomposerENS1_16block_id_wrapperIjLb0EEEEE10hipError_tT1_PNSt15iterator_traitsISE_E10value_typeET2_T3_PNSF_ISK_E10value_typeET4_T5_PSP_SQ_PNS1_23onesweep_lookback_stateEbbT6_jjT7_P12ihipStream_tbENKUlT_T0_SE_SJ_E_clIS8_S8_S9_S9_EEDaSX_SY_SE_SJ_EUlSX_E_NS1_11comp_targetILNS1_3genE2ELNS1_11target_archE906ELNS1_3gpuE6ELNS1_3repE0EEENS1_47radix_sort_onesweep_sort_config_static_selectorELNS0_4arch9wavefront6targetE1EEEvSE_,comdat
	.protected	_ZN7rocprim17ROCPRIM_400000_NS6detail17trampoline_kernelINS0_14default_configENS1_35radix_sort_onesweep_config_selectorIiNS0_10empty_typeEEEZZNS1_29radix_sort_onesweep_iterationIS3_Lb0EPiS8_PS5_S9_mNS0_19identity_decomposerENS1_16block_id_wrapperIjLb0EEEEE10hipError_tT1_PNSt15iterator_traitsISE_E10value_typeET2_T3_PNSF_ISK_E10value_typeET4_T5_PSP_SQ_PNS1_23onesweep_lookback_stateEbbT6_jjT7_P12ihipStream_tbENKUlT_T0_SE_SJ_E_clIS8_S8_S9_S9_EEDaSX_SY_SE_SJ_EUlSX_E_NS1_11comp_targetILNS1_3genE2ELNS1_11target_archE906ELNS1_3gpuE6ELNS1_3repE0EEENS1_47radix_sort_onesweep_sort_config_static_selectorELNS0_4arch9wavefront6targetE1EEEvSE_ ; -- Begin function _ZN7rocprim17ROCPRIM_400000_NS6detail17trampoline_kernelINS0_14default_configENS1_35radix_sort_onesweep_config_selectorIiNS0_10empty_typeEEEZZNS1_29radix_sort_onesweep_iterationIS3_Lb0EPiS8_PS5_S9_mNS0_19identity_decomposerENS1_16block_id_wrapperIjLb0EEEEE10hipError_tT1_PNSt15iterator_traitsISE_E10value_typeET2_T3_PNSF_ISK_E10value_typeET4_T5_PSP_SQ_PNS1_23onesweep_lookback_stateEbbT6_jjT7_P12ihipStream_tbENKUlT_T0_SE_SJ_E_clIS8_S8_S9_S9_EEDaSX_SY_SE_SJ_EUlSX_E_NS1_11comp_targetILNS1_3genE2ELNS1_11target_archE906ELNS1_3gpuE6ELNS1_3repE0EEENS1_47radix_sort_onesweep_sort_config_static_selectorELNS0_4arch9wavefront6targetE1EEEvSE_
	.globl	_ZN7rocprim17ROCPRIM_400000_NS6detail17trampoline_kernelINS0_14default_configENS1_35radix_sort_onesweep_config_selectorIiNS0_10empty_typeEEEZZNS1_29radix_sort_onesweep_iterationIS3_Lb0EPiS8_PS5_S9_mNS0_19identity_decomposerENS1_16block_id_wrapperIjLb0EEEEE10hipError_tT1_PNSt15iterator_traitsISE_E10value_typeET2_T3_PNSF_ISK_E10value_typeET4_T5_PSP_SQ_PNS1_23onesweep_lookback_stateEbbT6_jjT7_P12ihipStream_tbENKUlT_T0_SE_SJ_E_clIS8_S8_S9_S9_EEDaSX_SY_SE_SJ_EUlSX_E_NS1_11comp_targetILNS1_3genE2ELNS1_11target_archE906ELNS1_3gpuE6ELNS1_3repE0EEENS1_47radix_sort_onesweep_sort_config_static_selectorELNS0_4arch9wavefront6targetE1EEEvSE_
	.p2align	8
	.type	_ZN7rocprim17ROCPRIM_400000_NS6detail17trampoline_kernelINS0_14default_configENS1_35radix_sort_onesweep_config_selectorIiNS0_10empty_typeEEEZZNS1_29radix_sort_onesweep_iterationIS3_Lb0EPiS8_PS5_S9_mNS0_19identity_decomposerENS1_16block_id_wrapperIjLb0EEEEE10hipError_tT1_PNSt15iterator_traitsISE_E10value_typeET2_T3_PNSF_ISK_E10value_typeET4_T5_PSP_SQ_PNS1_23onesweep_lookback_stateEbbT6_jjT7_P12ihipStream_tbENKUlT_T0_SE_SJ_E_clIS8_S8_S9_S9_EEDaSX_SY_SE_SJ_EUlSX_E_NS1_11comp_targetILNS1_3genE2ELNS1_11target_archE906ELNS1_3gpuE6ELNS1_3repE0EEENS1_47radix_sort_onesweep_sort_config_static_selectorELNS0_4arch9wavefront6targetE1EEEvSE_,@function
_ZN7rocprim17ROCPRIM_400000_NS6detail17trampoline_kernelINS0_14default_configENS1_35radix_sort_onesweep_config_selectorIiNS0_10empty_typeEEEZZNS1_29radix_sort_onesweep_iterationIS3_Lb0EPiS8_PS5_S9_mNS0_19identity_decomposerENS1_16block_id_wrapperIjLb0EEEEE10hipError_tT1_PNSt15iterator_traitsISE_E10value_typeET2_T3_PNSF_ISK_E10value_typeET4_T5_PSP_SQ_PNS1_23onesweep_lookback_stateEbbT6_jjT7_P12ihipStream_tbENKUlT_T0_SE_SJ_E_clIS8_S8_S9_S9_EEDaSX_SY_SE_SJ_EUlSX_E_NS1_11comp_targetILNS1_3genE2ELNS1_11target_archE906ELNS1_3gpuE6ELNS1_3repE0EEENS1_47radix_sort_onesweep_sort_config_static_selectorELNS0_4arch9wavefront6targetE1EEEvSE_: ; @_ZN7rocprim17ROCPRIM_400000_NS6detail17trampoline_kernelINS0_14default_configENS1_35radix_sort_onesweep_config_selectorIiNS0_10empty_typeEEEZZNS1_29radix_sort_onesweep_iterationIS3_Lb0EPiS8_PS5_S9_mNS0_19identity_decomposerENS1_16block_id_wrapperIjLb0EEEEE10hipError_tT1_PNSt15iterator_traitsISE_E10value_typeET2_T3_PNSF_ISK_E10value_typeET4_T5_PSP_SQ_PNS1_23onesweep_lookback_stateEbbT6_jjT7_P12ihipStream_tbENKUlT_T0_SE_SJ_E_clIS8_S8_S9_S9_EEDaSX_SY_SE_SJ_EUlSX_E_NS1_11comp_targetILNS1_3genE2ELNS1_11target_archE906ELNS1_3gpuE6ELNS1_3repE0EEENS1_47radix_sort_onesweep_sort_config_static_selectorELNS0_4arch9wavefront6targetE1EEEvSE_
; %bb.0:
	.section	.rodata,"a",@progbits
	.p2align	6, 0x0
	.amdhsa_kernel _ZN7rocprim17ROCPRIM_400000_NS6detail17trampoline_kernelINS0_14default_configENS1_35radix_sort_onesweep_config_selectorIiNS0_10empty_typeEEEZZNS1_29radix_sort_onesweep_iterationIS3_Lb0EPiS8_PS5_S9_mNS0_19identity_decomposerENS1_16block_id_wrapperIjLb0EEEEE10hipError_tT1_PNSt15iterator_traitsISE_E10value_typeET2_T3_PNSF_ISK_E10value_typeET4_T5_PSP_SQ_PNS1_23onesweep_lookback_stateEbbT6_jjT7_P12ihipStream_tbENKUlT_T0_SE_SJ_E_clIS8_S8_S9_S9_EEDaSX_SY_SE_SJ_EUlSX_E_NS1_11comp_targetILNS1_3genE2ELNS1_11target_archE906ELNS1_3gpuE6ELNS1_3repE0EEENS1_47radix_sort_onesweep_sort_config_static_selectorELNS0_4arch9wavefront6targetE1EEEvSE_
		.amdhsa_group_segment_fixed_size 0
		.amdhsa_private_segment_fixed_size 0
		.amdhsa_kernarg_size 88
		.amdhsa_user_sgpr_count 6
		.amdhsa_user_sgpr_private_segment_buffer 1
		.amdhsa_user_sgpr_dispatch_ptr 0
		.amdhsa_user_sgpr_queue_ptr 0
		.amdhsa_user_sgpr_kernarg_segment_ptr 1
		.amdhsa_user_sgpr_dispatch_id 0
		.amdhsa_user_sgpr_flat_scratch_init 0
		.amdhsa_user_sgpr_kernarg_preload_length 0
		.amdhsa_user_sgpr_kernarg_preload_offset 0
		.amdhsa_user_sgpr_private_segment_size 0
		.amdhsa_uses_dynamic_stack 0
		.amdhsa_system_sgpr_private_segment_wavefront_offset 0
		.amdhsa_system_sgpr_workgroup_id_x 1
		.amdhsa_system_sgpr_workgroup_id_y 0
		.amdhsa_system_sgpr_workgroup_id_z 0
		.amdhsa_system_sgpr_workgroup_info 0
		.amdhsa_system_vgpr_workitem_id 0
		.amdhsa_next_free_vgpr 1
		.amdhsa_next_free_sgpr 0
		.amdhsa_accum_offset 4
		.amdhsa_reserve_vcc 0
		.amdhsa_reserve_flat_scratch 0
		.amdhsa_float_round_mode_32 0
		.amdhsa_float_round_mode_16_64 0
		.amdhsa_float_denorm_mode_32 3
		.amdhsa_float_denorm_mode_16_64 3
		.amdhsa_dx10_clamp 1
		.amdhsa_ieee_mode 1
		.amdhsa_fp16_overflow 0
		.amdhsa_tg_split 0
		.amdhsa_exception_fp_ieee_invalid_op 0
		.amdhsa_exception_fp_denorm_src 0
		.amdhsa_exception_fp_ieee_div_zero 0
		.amdhsa_exception_fp_ieee_overflow 0
		.amdhsa_exception_fp_ieee_underflow 0
		.amdhsa_exception_fp_ieee_inexact 0
		.amdhsa_exception_int_div_zero 0
	.end_amdhsa_kernel
	.section	.text._ZN7rocprim17ROCPRIM_400000_NS6detail17trampoline_kernelINS0_14default_configENS1_35radix_sort_onesweep_config_selectorIiNS0_10empty_typeEEEZZNS1_29radix_sort_onesweep_iterationIS3_Lb0EPiS8_PS5_S9_mNS0_19identity_decomposerENS1_16block_id_wrapperIjLb0EEEEE10hipError_tT1_PNSt15iterator_traitsISE_E10value_typeET2_T3_PNSF_ISK_E10value_typeET4_T5_PSP_SQ_PNS1_23onesweep_lookback_stateEbbT6_jjT7_P12ihipStream_tbENKUlT_T0_SE_SJ_E_clIS8_S8_S9_S9_EEDaSX_SY_SE_SJ_EUlSX_E_NS1_11comp_targetILNS1_3genE2ELNS1_11target_archE906ELNS1_3gpuE6ELNS1_3repE0EEENS1_47radix_sort_onesweep_sort_config_static_selectorELNS0_4arch9wavefront6targetE1EEEvSE_,"axG",@progbits,_ZN7rocprim17ROCPRIM_400000_NS6detail17trampoline_kernelINS0_14default_configENS1_35radix_sort_onesweep_config_selectorIiNS0_10empty_typeEEEZZNS1_29radix_sort_onesweep_iterationIS3_Lb0EPiS8_PS5_S9_mNS0_19identity_decomposerENS1_16block_id_wrapperIjLb0EEEEE10hipError_tT1_PNSt15iterator_traitsISE_E10value_typeET2_T3_PNSF_ISK_E10value_typeET4_T5_PSP_SQ_PNS1_23onesweep_lookback_stateEbbT6_jjT7_P12ihipStream_tbENKUlT_T0_SE_SJ_E_clIS8_S8_S9_S9_EEDaSX_SY_SE_SJ_EUlSX_E_NS1_11comp_targetILNS1_3genE2ELNS1_11target_archE906ELNS1_3gpuE6ELNS1_3repE0EEENS1_47radix_sort_onesweep_sort_config_static_selectorELNS0_4arch9wavefront6targetE1EEEvSE_,comdat
.Lfunc_end662:
	.size	_ZN7rocprim17ROCPRIM_400000_NS6detail17trampoline_kernelINS0_14default_configENS1_35radix_sort_onesweep_config_selectorIiNS0_10empty_typeEEEZZNS1_29radix_sort_onesweep_iterationIS3_Lb0EPiS8_PS5_S9_mNS0_19identity_decomposerENS1_16block_id_wrapperIjLb0EEEEE10hipError_tT1_PNSt15iterator_traitsISE_E10value_typeET2_T3_PNSF_ISK_E10value_typeET4_T5_PSP_SQ_PNS1_23onesweep_lookback_stateEbbT6_jjT7_P12ihipStream_tbENKUlT_T0_SE_SJ_E_clIS8_S8_S9_S9_EEDaSX_SY_SE_SJ_EUlSX_E_NS1_11comp_targetILNS1_3genE2ELNS1_11target_archE906ELNS1_3gpuE6ELNS1_3repE0EEENS1_47radix_sort_onesweep_sort_config_static_selectorELNS0_4arch9wavefront6targetE1EEEvSE_, .Lfunc_end662-_ZN7rocprim17ROCPRIM_400000_NS6detail17trampoline_kernelINS0_14default_configENS1_35radix_sort_onesweep_config_selectorIiNS0_10empty_typeEEEZZNS1_29radix_sort_onesweep_iterationIS3_Lb0EPiS8_PS5_S9_mNS0_19identity_decomposerENS1_16block_id_wrapperIjLb0EEEEE10hipError_tT1_PNSt15iterator_traitsISE_E10value_typeET2_T3_PNSF_ISK_E10value_typeET4_T5_PSP_SQ_PNS1_23onesweep_lookback_stateEbbT6_jjT7_P12ihipStream_tbENKUlT_T0_SE_SJ_E_clIS8_S8_S9_S9_EEDaSX_SY_SE_SJ_EUlSX_E_NS1_11comp_targetILNS1_3genE2ELNS1_11target_archE906ELNS1_3gpuE6ELNS1_3repE0EEENS1_47radix_sort_onesweep_sort_config_static_selectorELNS0_4arch9wavefront6targetE1EEEvSE_
                                        ; -- End function
	.section	.AMDGPU.csdata,"",@progbits
; Kernel info:
; codeLenInByte = 0
; NumSgprs: 4
; NumVgprs: 0
; NumAgprs: 0
; TotalNumVgprs: 0
; ScratchSize: 0
; MemoryBound: 0
; FloatMode: 240
; IeeeMode: 1
; LDSByteSize: 0 bytes/workgroup (compile time only)
; SGPRBlocks: 0
; VGPRBlocks: 0
; NumSGPRsForWavesPerEU: 4
; NumVGPRsForWavesPerEU: 1
; AccumOffset: 4
; Occupancy: 8
; WaveLimiterHint : 0
; COMPUTE_PGM_RSRC2:SCRATCH_EN: 0
; COMPUTE_PGM_RSRC2:USER_SGPR: 6
; COMPUTE_PGM_RSRC2:TRAP_HANDLER: 0
; COMPUTE_PGM_RSRC2:TGID_X_EN: 1
; COMPUTE_PGM_RSRC2:TGID_Y_EN: 0
; COMPUTE_PGM_RSRC2:TGID_Z_EN: 0
; COMPUTE_PGM_RSRC2:TIDIG_COMP_CNT: 0
; COMPUTE_PGM_RSRC3_GFX90A:ACCUM_OFFSET: 0
; COMPUTE_PGM_RSRC3_GFX90A:TG_SPLIT: 0
	.section	.text._ZN7rocprim17ROCPRIM_400000_NS6detail17trampoline_kernelINS0_14default_configENS1_35radix_sort_onesweep_config_selectorIiNS0_10empty_typeEEEZZNS1_29radix_sort_onesweep_iterationIS3_Lb0EPiS8_PS5_S9_mNS0_19identity_decomposerENS1_16block_id_wrapperIjLb0EEEEE10hipError_tT1_PNSt15iterator_traitsISE_E10value_typeET2_T3_PNSF_ISK_E10value_typeET4_T5_PSP_SQ_PNS1_23onesweep_lookback_stateEbbT6_jjT7_P12ihipStream_tbENKUlT_T0_SE_SJ_E_clIS8_S8_S9_S9_EEDaSX_SY_SE_SJ_EUlSX_E_NS1_11comp_targetILNS1_3genE4ELNS1_11target_archE910ELNS1_3gpuE8ELNS1_3repE0EEENS1_47radix_sort_onesweep_sort_config_static_selectorELNS0_4arch9wavefront6targetE1EEEvSE_,"axG",@progbits,_ZN7rocprim17ROCPRIM_400000_NS6detail17trampoline_kernelINS0_14default_configENS1_35radix_sort_onesweep_config_selectorIiNS0_10empty_typeEEEZZNS1_29radix_sort_onesweep_iterationIS3_Lb0EPiS8_PS5_S9_mNS0_19identity_decomposerENS1_16block_id_wrapperIjLb0EEEEE10hipError_tT1_PNSt15iterator_traitsISE_E10value_typeET2_T3_PNSF_ISK_E10value_typeET4_T5_PSP_SQ_PNS1_23onesweep_lookback_stateEbbT6_jjT7_P12ihipStream_tbENKUlT_T0_SE_SJ_E_clIS8_S8_S9_S9_EEDaSX_SY_SE_SJ_EUlSX_E_NS1_11comp_targetILNS1_3genE4ELNS1_11target_archE910ELNS1_3gpuE8ELNS1_3repE0EEENS1_47radix_sort_onesweep_sort_config_static_selectorELNS0_4arch9wavefront6targetE1EEEvSE_,comdat
	.protected	_ZN7rocprim17ROCPRIM_400000_NS6detail17trampoline_kernelINS0_14default_configENS1_35radix_sort_onesweep_config_selectorIiNS0_10empty_typeEEEZZNS1_29radix_sort_onesweep_iterationIS3_Lb0EPiS8_PS5_S9_mNS0_19identity_decomposerENS1_16block_id_wrapperIjLb0EEEEE10hipError_tT1_PNSt15iterator_traitsISE_E10value_typeET2_T3_PNSF_ISK_E10value_typeET4_T5_PSP_SQ_PNS1_23onesweep_lookback_stateEbbT6_jjT7_P12ihipStream_tbENKUlT_T0_SE_SJ_E_clIS8_S8_S9_S9_EEDaSX_SY_SE_SJ_EUlSX_E_NS1_11comp_targetILNS1_3genE4ELNS1_11target_archE910ELNS1_3gpuE8ELNS1_3repE0EEENS1_47radix_sort_onesweep_sort_config_static_selectorELNS0_4arch9wavefront6targetE1EEEvSE_ ; -- Begin function _ZN7rocprim17ROCPRIM_400000_NS6detail17trampoline_kernelINS0_14default_configENS1_35radix_sort_onesweep_config_selectorIiNS0_10empty_typeEEEZZNS1_29radix_sort_onesweep_iterationIS3_Lb0EPiS8_PS5_S9_mNS0_19identity_decomposerENS1_16block_id_wrapperIjLb0EEEEE10hipError_tT1_PNSt15iterator_traitsISE_E10value_typeET2_T3_PNSF_ISK_E10value_typeET4_T5_PSP_SQ_PNS1_23onesweep_lookback_stateEbbT6_jjT7_P12ihipStream_tbENKUlT_T0_SE_SJ_E_clIS8_S8_S9_S9_EEDaSX_SY_SE_SJ_EUlSX_E_NS1_11comp_targetILNS1_3genE4ELNS1_11target_archE910ELNS1_3gpuE8ELNS1_3repE0EEENS1_47radix_sort_onesweep_sort_config_static_selectorELNS0_4arch9wavefront6targetE1EEEvSE_
	.globl	_ZN7rocprim17ROCPRIM_400000_NS6detail17trampoline_kernelINS0_14default_configENS1_35radix_sort_onesweep_config_selectorIiNS0_10empty_typeEEEZZNS1_29radix_sort_onesweep_iterationIS3_Lb0EPiS8_PS5_S9_mNS0_19identity_decomposerENS1_16block_id_wrapperIjLb0EEEEE10hipError_tT1_PNSt15iterator_traitsISE_E10value_typeET2_T3_PNSF_ISK_E10value_typeET4_T5_PSP_SQ_PNS1_23onesweep_lookback_stateEbbT6_jjT7_P12ihipStream_tbENKUlT_T0_SE_SJ_E_clIS8_S8_S9_S9_EEDaSX_SY_SE_SJ_EUlSX_E_NS1_11comp_targetILNS1_3genE4ELNS1_11target_archE910ELNS1_3gpuE8ELNS1_3repE0EEENS1_47radix_sort_onesweep_sort_config_static_selectorELNS0_4arch9wavefront6targetE1EEEvSE_
	.p2align	8
	.type	_ZN7rocprim17ROCPRIM_400000_NS6detail17trampoline_kernelINS0_14default_configENS1_35radix_sort_onesweep_config_selectorIiNS0_10empty_typeEEEZZNS1_29radix_sort_onesweep_iterationIS3_Lb0EPiS8_PS5_S9_mNS0_19identity_decomposerENS1_16block_id_wrapperIjLb0EEEEE10hipError_tT1_PNSt15iterator_traitsISE_E10value_typeET2_T3_PNSF_ISK_E10value_typeET4_T5_PSP_SQ_PNS1_23onesweep_lookback_stateEbbT6_jjT7_P12ihipStream_tbENKUlT_T0_SE_SJ_E_clIS8_S8_S9_S9_EEDaSX_SY_SE_SJ_EUlSX_E_NS1_11comp_targetILNS1_3genE4ELNS1_11target_archE910ELNS1_3gpuE8ELNS1_3repE0EEENS1_47radix_sort_onesweep_sort_config_static_selectorELNS0_4arch9wavefront6targetE1EEEvSE_,@function
_ZN7rocprim17ROCPRIM_400000_NS6detail17trampoline_kernelINS0_14default_configENS1_35radix_sort_onesweep_config_selectorIiNS0_10empty_typeEEEZZNS1_29radix_sort_onesweep_iterationIS3_Lb0EPiS8_PS5_S9_mNS0_19identity_decomposerENS1_16block_id_wrapperIjLb0EEEEE10hipError_tT1_PNSt15iterator_traitsISE_E10value_typeET2_T3_PNSF_ISK_E10value_typeET4_T5_PSP_SQ_PNS1_23onesweep_lookback_stateEbbT6_jjT7_P12ihipStream_tbENKUlT_T0_SE_SJ_E_clIS8_S8_S9_S9_EEDaSX_SY_SE_SJ_EUlSX_E_NS1_11comp_targetILNS1_3genE4ELNS1_11target_archE910ELNS1_3gpuE8ELNS1_3repE0EEENS1_47radix_sort_onesweep_sort_config_static_selectorELNS0_4arch9wavefront6targetE1EEEvSE_: ; @_ZN7rocprim17ROCPRIM_400000_NS6detail17trampoline_kernelINS0_14default_configENS1_35radix_sort_onesweep_config_selectorIiNS0_10empty_typeEEEZZNS1_29radix_sort_onesweep_iterationIS3_Lb0EPiS8_PS5_S9_mNS0_19identity_decomposerENS1_16block_id_wrapperIjLb0EEEEE10hipError_tT1_PNSt15iterator_traitsISE_E10value_typeET2_T3_PNSF_ISK_E10value_typeET4_T5_PSP_SQ_PNS1_23onesweep_lookback_stateEbbT6_jjT7_P12ihipStream_tbENKUlT_T0_SE_SJ_E_clIS8_S8_S9_S9_EEDaSX_SY_SE_SJ_EUlSX_E_NS1_11comp_targetILNS1_3genE4ELNS1_11target_archE910ELNS1_3gpuE8ELNS1_3repE0EEENS1_47radix_sort_onesweep_sort_config_static_selectorELNS0_4arch9wavefront6targetE1EEEvSE_
; %bb.0:
	s_load_dwordx4 s[16:19], s[4:5], 0x44
	s_load_dwordx2 s[24:25], s[4:5], 0x38
	s_load_dwordx4 s[20:23], s[4:5], 0x0
	s_load_dwordx4 s[12:15], s[4:5], 0x28
	s_mul_i32 s26, s6, 0x3000
	s_waitcnt lgkmcnt(0)
	s_cmp_ge_u32 s6, s18
	v_mbcnt_lo_u32_b32 v12, -1, 0
	s_cbranch_scc0 .LBB663_81
; %bb.1:
	s_load_dword s7, s[4:5], 0x20
	s_mul_i32 s2, s18, 0xffffd000
	s_mov_b32 s27, 0
	v_and_b32_e32 v2, 0x3ff, v0
	s_lshl_b64 s[0:1], s[26:27], 2
	s_waitcnt lgkmcnt(0)
	s_add_i32 s7, s7, s2
	v_mbcnt_hi_u32_b32 v1, -1, v12
	s_add_u32 s0, s20, s0
	v_and_b32_e32 v3, 63, v1
	v_and_b32_e32 v4, 0x3c0, v2
	s_addc_u32 s1, s21, s1
	v_mul_u32_u24_e32 v6, 12, v4
	v_lshlrev_b32_e32 v4, 2, v3
	v_mov_b32_e32 v5, s1
	v_add_co_u32_e32 v4, vcc, s0, v4
	v_addc_co_u32_e32 v5, vcc, 0, v5, vcc
	v_lshlrev_b32_e32 v7, 2, v6
	v_add_co_u32_e32 v4, vcc, v4, v7
	v_addc_co_u32_e32 v5, vcc, 0, v5, vcc
	v_or_b32_e32 v6, v3, v6
	v_cmp_gt_u32_e32 vcc, s7, v6
	v_bfrev_b32_e32 v9, -2
	v_bfrev_b32_e32 v3, -2
	s_and_saveexec_b64 s[0:1], vcc
	s_cbranch_execz .LBB663_3
; %bb.2:
	global_load_dword v3, v[4:5], off
.LBB663_3:
	s_or_b64 exec, exec, s[0:1]
	v_or_b32_e32 v7, 64, v6
	v_cmp_gt_u32_e32 vcc, s7, v7
	s_and_saveexec_b64 s[0:1], vcc
	s_cbranch_execz .LBB663_5
; %bb.4:
	global_load_dword v9, v[4:5], off offset:256
.LBB663_5:
	s_or_b64 exec, exec, s[0:1]
	v_or_b32_e32 v7, 0x80, v6
	v_cmp_gt_u32_e32 vcc, s7, v7
	v_bfrev_b32_e32 v18, -2
	v_bfrev_b32_e32 v11, -2
	s_and_saveexec_b64 s[0:1], vcc
	s_cbranch_execz .LBB663_7
; %bb.6:
	global_load_dword v11, v[4:5], off offset:512
.LBB663_7:
	s_or_b64 exec, exec, s[0:1]
	v_or_b32_e32 v7, 0xc0, v6
	v_cmp_gt_u32_e32 vcc, s7, v7
	s_and_saveexec_b64 s[0:1], vcc
	s_cbranch_execz .LBB663_9
; %bb.8:
	global_load_dword v18, v[4:5], off offset:768
.LBB663_9:
	s_or_b64 exec, exec, s[0:1]
	v_add_u32_e32 v7, 0x100, v6
	v_cmp_gt_u32_e32 vcc, s7, v7
	v_bfrev_b32_e32 v24, -2
	v_bfrev_b32_e32 v21, -2
	s_and_saveexec_b64 s[0:1], vcc
	s_cbranch_execz .LBB663_11
; %bb.10:
	global_load_dword v21, v[4:5], off offset:1024
.LBB663_11:
	s_or_b64 exec, exec, s[0:1]
	v_add_u32_e32 v7, 0x140, v6
	v_cmp_gt_u32_e32 vcc, s7, v7
	s_and_saveexec_b64 s[0:1], vcc
	s_cbranch_execz .LBB663_13
; %bb.12:
	global_load_dword v24, v[4:5], off offset:1280
.LBB663_13:
	s_or_b64 exec, exec, s[0:1]
	v_add_u32_e32 v7, 0x180, v6
	v_cmp_gt_u32_e32 vcc, s7, v7
	v_bfrev_b32_e32 v34, -2
	v_bfrev_b32_e32 v28, -2
	s_and_saveexec_b64 s[0:1], vcc
	s_cbranch_execz .LBB663_15
; %bb.14:
	global_load_dword v28, v[4:5], off offset:1536
.LBB663_15:
	s_or_b64 exec, exec, s[0:1]
	v_add_u32_e32 v7, 0x1c0, v6
	;; [unrolled: 18-line block ×4, first 2 shown]
	v_cmp_gt_u32_e32 vcc, s7, v6
	s_and_saveexec_b64 s[0:1], vcc
	s_cbranch_execz .LBB663_25
; %bb.24:
	global_load_dword v10, v[4:5], off offset:2816
.LBB663_25:
	s_or_b64 exec, exec, s[0:1]
	s_load_dword s0, s[4:5], 0x64
	s_load_dword s27, s[4:5], 0x58
	s_add_u32 s1, s4, 0x58
	s_addc_u32 s2, s5, 0
	v_mov_b32_e32 v4, 0
	s_waitcnt lgkmcnt(0)
	s_lshr_b32 s3, s0, 16
	s_cmp_lt_u32 s6, s27
	s_cselect_b32 s0, 12, 18
	s_add_u32 s0, s1, s0
	s_addc_u32 s1, s2, 0
	global_load_ushort v6, v4, s[0:1]
	s_waitcnt vmcnt(1)
	v_xor_b32_e32 v13, 0x80000000, v3
	s_lshl_b32 s0, -1, s17
	v_lshrrev_b32_e32 v8, s16, v13
	s_not_b32 s28, s0
	v_and_b32_e32 v8, s28, v8
	v_and_b32_e32 v15, 1, v8
	v_bfe_u32 v5, v0, 10, 10
	v_bfe_u32 v7, v0, 20, 10
	v_add_co_u32_e32 v16, vcc, -1, v15
	v_mad_u32_u24 v7, v7, s3, v5
	v_lshlrev_b32_e32 v5, 30, v8
	v_addc_co_u32_e64 v17, s[0:1], 0, -1, vcc
	v_cmp_ne_u32_e32 vcc, 0, v15
	v_cmp_gt_i64_e64 s[0:1], 0, v[4:5]
	v_not_b32_e32 v15, v5
	v_lshlrev_b32_e32 v5, 29, v8
	v_xor_b32_e32 v17, vcc_hi, v17
	v_xor_b32_e32 v16, vcc_lo, v16
	v_ashrrev_i32_e32 v15, 31, v15
	v_cmp_gt_i64_e32 vcc, 0, v[4:5]
	v_not_b32_e32 v19, v5
	v_lshlrev_b32_e32 v5, 28, v8
	v_and_b32_e32 v17, exec_hi, v17
	v_and_b32_e32 v16, exec_lo, v16
	v_xor_b32_e32 v20, s1, v15
	v_xor_b32_e32 v15, s0, v15
	v_ashrrev_i32_e32 v19, 31, v19
	v_cmp_gt_i64_e64 s[0:1], 0, v[4:5]
	v_not_b32_e32 v22, v5
	v_lshlrev_b32_e32 v5, 27, v8
	v_and_b32_e32 v17, v17, v20
	v_and_b32_e32 v15, v16, v15
	v_xor_b32_e32 v16, vcc_hi, v19
	v_xor_b32_e32 v19, vcc_lo, v19
	v_ashrrev_i32_e32 v20, 31, v22
	v_cmp_gt_i64_e32 vcc, 0, v[4:5]
	v_not_b32_e32 v22, v5
	v_lshlrev_b32_e32 v5, 26, v8
	v_and_b32_e32 v16, v17, v16
	v_and_b32_e32 v15, v15, v19
	v_xor_b32_e32 v17, s1, v20
	v_xor_b32_e32 v19, s0, v20
	v_ashrrev_i32_e32 v20, 31, v22
	v_cmp_gt_i64_e64 s[0:1], 0, v[4:5]
	v_not_b32_e32 v22, v5
	v_lshlrev_b32_e32 v5, 25, v8
	v_mul_u32_u24_e32 v3, 5, v2
	v_and_b32_e32 v16, v16, v17
	v_and_b32_e32 v15, v15, v19
	v_xor_b32_e32 v17, vcc_hi, v20
	v_xor_b32_e32 v19, vcc_lo, v20
	v_ashrrev_i32_e32 v20, 31, v22
	v_cmp_gt_i64_e32 vcc, 0, v[4:5]
	v_not_b32_e32 v22, v5
	v_lshlrev_b32_e32 v5, 24, v8
	v_lshlrev_b32_e32 v3, 2, v3
	v_lshl_add_u32 v14, v8, 4, v8
	v_and_b32_e32 v8, v16, v17
	v_and_b32_e32 v15, v15, v19
	v_xor_b32_e32 v16, s1, v20
	v_xor_b32_e32 v17, s0, v20
	v_ashrrev_i32_e32 v19, 31, v22
	v_cmp_gt_i64_e64 s[0:1], 0, v[4:5]
	v_not_b32_e32 v5, v5
	v_and_b32_e32 v8, v8, v16
	v_and_b32_e32 v15, v15, v17
	v_xor_b32_e32 v16, vcc_hi, v19
	v_xor_b32_e32 v17, vcc_lo, v19
	v_ashrrev_i32_e32 v5, 31, v5
	v_and_b32_e32 v16, v8, v16
	v_and_b32_e32 v15, v15, v17
	ds_write2_b32 v3, v4, v4 offset0:16 offset1:17
	ds_write2_b32 v3, v4, v4 offset0:18 offset1:19
	ds_write_b32 v3, v4 offset:80
	s_waitcnt lgkmcnt(0)
	s_barrier
	s_waitcnt lgkmcnt(0)
	; wave barrier
	s_waitcnt vmcnt(0)
	v_mad_u64_u32 v[6:7], s[2:3], v7, v6, v[2:3]
	v_lshrrev_b32_e32 v29, 6, v6
	v_xor_b32_e32 v6, s1, v5
	v_xor_b32_e32 v5, s0, v5
	v_and_b32_e32 v7, v16, v6
	v_and_b32_e32 v6, v15, v5
	v_mbcnt_lo_u32_b32 v5, v6, 0
	v_mbcnt_hi_u32_b32 v16, v7, v5
	v_cmp_eq_u32_e32 vcc, 0, v16
	v_cmp_ne_u64_e64 s[0:1], 0, v[6:7]
	v_add_lshl_u32 v8, v29, v14, 2
	s_and_b64 s[2:3], s[0:1], vcc
	s_and_saveexec_b64 s[0:1], s[2:3]
	s_cbranch_execz .LBB663_27
; %bb.26:
	v_bcnt_u32_b32 v5, v6, 0
	v_bcnt_u32_b32 v5, v7, v5
	ds_write_b32 v8, v5 offset:64
.LBB663_27:
	s_or_b64 exec, exec, s[0:1]
	v_xor_b32_e32 v14, 0x80000000, v9
	v_lshrrev_b32_e32 v5, s16, v14
	v_and_b32_e32 v6, s28, v5
	v_lshl_add_u32 v5, v6, 4, v6
	v_add_lshl_u32 v9, v29, v5, 2
	v_and_b32_e32 v5, 1, v6
	v_add_co_u32_e32 v7, vcc, -1, v5
	v_addc_co_u32_e64 v15, s[0:1], 0, -1, vcc
	v_cmp_ne_u32_e32 vcc, 0, v5
	v_xor_b32_e32 v5, vcc_hi, v15
	v_and_b32_e32 v15, exec_hi, v5
	v_lshlrev_b32_e32 v5, 30, v6
	v_xor_b32_e32 v7, vcc_lo, v7
	v_cmp_gt_i64_e32 vcc, 0, v[4:5]
	v_not_b32_e32 v5, v5
	v_ashrrev_i32_e32 v5, 31, v5
	v_and_b32_e32 v7, exec_lo, v7
	v_xor_b32_e32 v19, vcc_hi, v5
	v_xor_b32_e32 v5, vcc_lo, v5
	v_and_b32_e32 v7, v7, v5
	v_lshlrev_b32_e32 v5, 29, v6
	v_cmp_gt_i64_e32 vcc, 0, v[4:5]
	v_not_b32_e32 v5, v5
	v_ashrrev_i32_e32 v5, 31, v5
	v_and_b32_e32 v15, v15, v19
	v_xor_b32_e32 v19, vcc_hi, v5
	v_xor_b32_e32 v5, vcc_lo, v5
	v_and_b32_e32 v7, v7, v5
	v_lshlrev_b32_e32 v5, 28, v6
	v_cmp_gt_i64_e32 vcc, 0, v[4:5]
	v_not_b32_e32 v5, v5
	v_ashrrev_i32_e32 v5, 31, v5
	v_and_b32_e32 v15, v15, v19
	;; [unrolled: 8-line block ×5, first 2 shown]
	v_xor_b32_e32 v19, vcc_hi, v5
	v_xor_b32_e32 v5, vcc_lo, v5
	v_and_b32_e32 v7, v7, v5
	v_lshlrev_b32_e32 v5, 24, v6
	v_cmp_gt_i64_e32 vcc, 0, v[4:5]
	v_not_b32_e32 v4, v5
	v_ashrrev_i32_e32 v4, 31, v4
	v_xor_b32_e32 v5, vcc_hi, v4
	v_xor_b32_e32 v4, vcc_lo, v4
	; wave barrier
	ds_read_b32 v17, v9 offset:64
	v_and_b32_e32 v15, v15, v19
	v_and_b32_e32 v4, v7, v4
	v_and_b32_e32 v5, v15, v5
	v_mbcnt_lo_u32_b32 v6, v4, 0
	v_mbcnt_hi_u32_b32 v19, v5, v6
	v_cmp_eq_u32_e32 vcc, 0, v19
	v_cmp_ne_u64_e64 s[0:1], 0, v[4:5]
	s_and_b64 s[2:3], s[0:1], vcc
	; wave barrier
	s_and_saveexec_b64 s[0:1], s[2:3]
	s_cbranch_execz .LBB663_29
; %bb.28:
	v_bcnt_u32_b32 v4, v4, 0
	v_bcnt_u32_b32 v4, v5, v4
	s_waitcnt lgkmcnt(0)
	v_add_u32_e32 v4, v17, v4
	ds_write_b32 v9, v4 offset:64
.LBB663_29:
	s_or_b64 exec, exec, s[0:1]
	v_xor_b32_e32 v15, 0x80000000, v11
	v_lshrrev_b32_e32 v4, s16, v15
	v_and_b32_e32 v6, s28, v4
	v_and_b32_e32 v5, 1, v6
	v_add_co_u32_e32 v7, vcc, -1, v5
	v_addc_co_u32_e64 v22, s[0:1], 0, -1, vcc
	v_cmp_ne_u32_e32 vcc, 0, v5
	v_lshl_add_u32 v4, v6, 4, v6
	v_xor_b32_e32 v5, vcc_hi, v22
	v_add_lshl_u32 v11, v29, v4, 2
	v_mov_b32_e32 v4, 0
	v_and_b32_e32 v22, exec_hi, v5
	v_lshlrev_b32_e32 v5, 30, v6
	v_xor_b32_e32 v7, vcc_lo, v7
	v_cmp_gt_i64_e32 vcc, 0, v[4:5]
	v_not_b32_e32 v5, v5
	v_ashrrev_i32_e32 v5, 31, v5
	v_and_b32_e32 v7, exec_lo, v7
	v_xor_b32_e32 v23, vcc_hi, v5
	v_xor_b32_e32 v5, vcc_lo, v5
	v_and_b32_e32 v7, v7, v5
	v_lshlrev_b32_e32 v5, 29, v6
	v_cmp_gt_i64_e32 vcc, 0, v[4:5]
	v_not_b32_e32 v5, v5
	v_ashrrev_i32_e32 v5, 31, v5
	v_and_b32_e32 v22, v22, v23
	v_xor_b32_e32 v23, vcc_hi, v5
	v_xor_b32_e32 v5, vcc_lo, v5
	v_and_b32_e32 v7, v7, v5
	v_lshlrev_b32_e32 v5, 28, v6
	v_cmp_gt_i64_e32 vcc, 0, v[4:5]
	v_not_b32_e32 v5, v5
	v_ashrrev_i32_e32 v5, 31, v5
	v_and_b32_e32 v22, v22, v23
	;; [unrolled: 8-line block ×5, first 2 shown]
	v_xor_b32_e32 v23, vcc_hi, v5
	v_xor_b32_e32 v5, vcc_lo, v5
	v_and_b32_e32 v22, v22, v23
	v_and_b32_e32 v23, v7, v5
	v_lshlrev_b32_e32 v5, 24, v6
	v_cmp_gt_i64_e32 vcc, 0, v[4:5]
	v_not_b32_e32 v5, v5
	v_ashrrev_i32_e32 v5, 31, v5
	v_xor_b32_e32 v6, vcc_hi, v5
	v_xor_b32_e32 v5, vcc_lo, v5
	; wave barrier
	ds_read_b32 v20, v11 offset:64
	v_and_b32_e32 v7, v22, v6
	v_and_b32_e32 v6, v23, v5
	v_mbcnt_lo_u32_b32 v5, v6, 0
	v_mbcnt_hi_u32_b32 v22, v7, v5
	v_cmp_eq_u32_e32 vcc, 0, v22
	v_cmp_ne_u64_e64 s[0:1], 0, v[6:7]
	s_and_b64 s[2:3], s[0:1], vcc
	; wave barrier
	s_and_saveexec_b64 s[0:1], s[2:3]
	s_cbranch_execz .LBB663_31
; %bb.30:
	v_bcnt_u32_b32 v5, v6, 0
	v_bcnt_u32_b32 v5, v7, v5
	s_waitcnt lgkmcnt(0)
	v_add_u32_e32 v5, v20, v5
	ds_write_b32 v11, v5 offset:64
.LBB663_31:
	s_or_b64 exec, exec, s[0:1]
	v_xor_b32_e32 v18, 0x80000000, v18
	v_lshrrev_b32_e32 v5, s16, v18
	v_and_b32_e32 v6, s28, v5
	v_lshl_add_u32 v5, v6, 4, v6
	v_add_lshl_u32 v32, v29, v5, 2
	v_and_b32_e32 v5, 1, v6
	v_add_co_u32_e32 v7, vcc, -1, v5
	v_addc_co_u32_e64 v25, s[0:1], 0, -1, vcc
	v_cmp_ne_u32_e32 vcc, 0, v5
	v_xor_b32_e32 v5, vcc_hi, v25
	v_and_b32_e32 v25, exec_hi, v5
	v_lshlrev_b32_e32 v5, 30, v6
	v_xor_b32_e32 v7, vcc_lo, v7
	v_cmp_gt_i64_e32 vcc, 0, v[4:5]
	v_not_b32_e32 v5, v5
	v_ashrrev_i32_e32 v5, 31, v5
	v_and_b32_e32 v7, exec_lo, v7
	v_xor_b32_e32 v27, vcc_hi, v5
	v_xor_b32_e32 v5, vcc_lo, v5
	v_and_b32_e32 v7, v7, v5
	v_lshlrev_b32_e32 v5, 29, v6
	v_cmp_gt_i64_e32 vcc, 0, v[4:5]
	v_not_b32_e32 v5, v5
	v_ashrrev_i32_e32 v5, 31, v5
	v_and_b32_e32 v25, v25, v27
	v_xor_b32_e32 v27, vcc_hi, v5
	v_xor_b32_e32 v5, vcc_lo, v5
	v_and_b32_e32 v7, v7, v5
	v_lshlrev_b32_e32 v5, 28, v6
	v_cmp_gt_i64_e32 vcc, 0, v[4:5]
	v_not_b32_e32 v5, v5
	v_ashrrev_i32_e32 v5, 31, v5
	v_and_b32_e32 v25, v25, v27
	;; [unrolled: 8-line block ×5, first 2 shown]
	v_xor_b32_e32 v27, vcc_hi, v5
	v_xor_b32_e32 v5, vcc_lo, v5
	v_and_b32_e32 v7, v7, v5
	v_lshlrev_b32_e32 v5, 24, v6
	v_cmp_gt_i64_e32 vcc, 0, v[4:5]
	v_not_b32_e32 v4, v5
	v_ashrrev_i32_e32 v4, 31, v4
	v_xor_b32_e32 v5, vcc_hi, v4
	v_xor_b32_e32 v4, vcc_lo, v4
	; wave barrier
	ds_read_b32 v23, v32 offset:64
	v_and_b32_e32 v25, v25, v27
	v_and_b32_e32 v4, v7, v4
	;; [unrolled: 1-line block ×3, first 2 shown]
	v_mbcnt_lo_u32_b32 v6, v4, 0
	v_mbcnt_hi_u32_b32 v25, v5, v6
	v_cmp_eq_u32_e32 vcc, 0, v25
	v_cmp_ne_u64_e64 s[0:1], 0, v[4:5]
	s_and_b64 s[2:3], s[0:1], vcc
	; wave barrier
	s_and_saveexec_b64 s[0:1], s[2:3]
	s_cbranch_execz .LBB663_33
; %bb.32:
	v_bcnt_u32_b32 v4, v4, 0
	v_bcnt_u32_b32 v4, v5, v4
	s_waitcnt lgkmcnt(0)
	v_add_u32_e32 v4, v23, v4
	ds_write_b32 v32, v4 offset:64
.LBB663_33:
	s_or_b64 exec, exec, s[0:1]
	v_xor_b32_e32 v21, 0x80000000, v21
	v_lshrrev_b32_e32 v4, s16, v21
	v_and_b32_e32 v6, s28, v4
	v_and_b32_e32 v5, 1, v6
	v_add_co_u32_e32 v7, vcc, -1, v5
	v_addc_co_u32_e64 v31, s[0:1], 0, -1, vcc
	v_cmp_ne_u32_e32 vcc, 0, v5
	v_lshl_add_u32 v4, v6, 4, v6
	v_xor_b32_e32 v5, vcc_hi, v31
	v_add_lshl_u32 v37, v29, v4, 2
	v_mov_b32_e32 v4, 0
	v_and_b32_e32 v31, exec_hi, v5
	v_lshlrev_b32_e32 v5, 30, v6
	v_xor_b32_e32 v7, vcc_lo, v7
	v_cmp_gt_i64_e32 vcc, 0, v[4:5]
	v_not_b32_e32 v5, v5
	v_ashrrev_i32_e32 v5, 31, v5
	v_and_b32_e32 v7, exec_lo, v7
	v_xor_b32_e32 v33, vcc_hi, v5
	v_xor_b32_e32 v5, vcc_lo, v5
	v_and_b32_e32 v7, v7, v5
	v_lshlrev_b32_e32 v5, 29, v6
	v_cmp_gt_i64_e32 vcc, 0, v[4:5]
	v_not_b32_e32 v5, v5
	v_ashrrev_i32_e32 v5, 31, v5
	v_and_b32_e32 v31, v31, v33
	v_xor_b32_e32 v33, vcc_hi, v5
	v_xor_b32_e32 v5, vcc_lo, v5
	v_and_b32_e32 v7, v7, v5
	v_lshlrev_b32_e32 v5, 28, v6
	v_cmp_gt_i64_e32 vcc, 0, v[4:5]
	v_not_b32_e32 v5, v5
	v_ashrrev_i32_e32 v5, 31, v5
	v_and_b32_e32 v31, v31, v33
	;; [unrolled: 8-line block ×5, first 2 shown]
	v_xor_b32_e32 v33, vcc_hi, v5
	v_xor_b32_e32 v5, vcc_lo, v5
	v_and_b32_e32 v31, v31, v33
	v_and_b32_e32 v33, v7, v5
	v_lshlrev_b32_e32 v5, 24, v6
	v_cmp_gt_i64_e32 vcc, 0, v[4:5]
	v_not_b32_e32 v5, v5
	v_ashrrev_i32_e32 v5, 31, v5
	v_xor_b32_e32 v6, vcc_hi, v5
	v_xor_b32_e32 v5, vcc_lo, v5
	; wave barrier
	ds_read_b32 v27, v37 offset:64
	v_and_b32_e32 v7, v31, v6
	v_and_b32_e32 v6, v33, v5
	v_mbcnt_lo_u32_b32 v5, v6, 0
	v_mbcnt_hi_u32_b32 v31, v7, v5
	v_cmp_eq_u32_e32 vcc, 0, v31
	v_cmp_ne_u64_e64 s[0:1], 0, v[6:7]
	s_and_b64 s[2:3], s[0:1], vcc
	; wave barrier
	s_and_saveexec_b64 s[0:1], s[2:3]
	s_cbranch_execz .LBB663_35
; %bb.34:
	v_bcnt_u32_b32 v5, v6, 0
	v_bcnt_u32_b32 v5, v7, v5
	s_waitcnt lgkmcnt(0)
	v_add_u32_e32 v5, v27, v5
	ds_write_b32 v37, v5 offset:64
.LBB663_35:
	s_or_b64 exec, exec, s[0:1]
	v_xor_b32_e32 v24, 0x80000000, v24
	v_lshrrev_b32_e32 v5, s16, v24
	v_and_b32_e32 v6, s28, v5
	v_lshl_add_u32 v5, v6, 4, v6
	v_add_lshl_u32 v40, v29, v5, 2
	v_and_b32_e32 v5, 1, v6
	v_add_co_u32_e32 v7, vcc, -1, v5
	v_addc_co_u32_e64 v36, s[0:1], 0, -1, vcc
	v_cmp_ne_u32_e32 vcc, 0, v5
	v_xor_b32_e32 v5, vcc_hi, v36
	v_and_b32_e32 v36, exec_hi, v5
	v_lshlrev_b32_e32 v5, 30, v6
	v_xor_b32_e32 v7, vcc_lo, v7
	v_cmp_gt_i64_e32 vcc, 0, v[4:5]
	v_not_b32_e32 v5, v5
	v_ashrrev_i32_e32 v5, 31, v5
	v_and_b32_e32 v7, exec_lo, v7
	v_xor_b32_e32 v38, vcc_hi, v5
	v_xor_b32_e32 v5, vcc_lo, v5
	v_and_b32_e32 v7, v7, v5
	v_lshlrev_b32_e32 v5, 29, v6
	v_cmp_gt_i64_e32 vcc, 0, v[4:5]
	v_not_b32_e32 v5, v5
	v_ashrrev_i32_e32 v5, 31, v5
	v_and_b32_e32 v36, v36, v38
	v_xor_b32_e32 v38, vcc_hi, v5
	v_xor_b32_e32 v5, vcc_lo, v5
	v_and_b32_e32 v7, v7, v5
	v_lshlrev_b32_e32 v5, 28, v6
	v_cmp_gt_i64_e32 vcc, 0, v[4:5]
	v_not_b32_e32 v5, v5
	v_ashrrev_i32_e32 v5, 31, v5
	v_and_b32_e32 v36, v36, v38
	;; [unrolled: 8-line block ×5, first 2 shown]
	v_xor_b32_e32 v38, vcc_hi, v5
	v_xor_b32_e32 v5, vcc_lo, v5
	v_and_b32_e32 v7, v7, v5
	v_lshlrev_b32_e32 v5, 24, v6
	v_cmp_gt_i64_e32 vcc, 0, v[4:5]
	v_not_b32_e32 v4, v5
	v_ashrrev_i32_e32 v4, 31, v4
	v_xor_b32_e32 v5, vcc_hi, v4
	v_xor_b32_e32 v4, vcc_lo, v4
	; wave barrier
	ds_read_b32 v33, v40 offset:64
	v_and_b32_e32 v36, v36, v38
	v_and_b32_e32 v4, v7, v4
	;; [unrolled: 1-line block ×3, first 2 shown]
	v_mbcnt_lo_u32_b32 v6, v4, 0
	v_mbcnt_hi_u32_b32 v36, v5, v6
	v_cmp_eq_u32_e32 vcc, 0, v36
	v_cmp_ne_u64_e64 s[0:1], 0, v[4:5]
	s_and_b64 s[2:3], s[0:1], vcc
	; wave barrier
	s_and_saveexec_b64 s[0:1], s[2:3]
	s_cbranch_execz .LBB663_37
; %bb.36:
	v_bcnt_u32_b32 v4, v4, 0
	v_bcnt_u32_b32 v4, v5, v4
	s_waitcnt lgkmcnt(0)
	v_add_u32_e32 v4, v33, v4
	ds_write_b32 v40, v4 offset:64
.LBB663_37:
	s_or_b64 exec, exec, s[0:1]
	v_xor_b32_e32 v28, 0x80000000, v28
	v_lshrrev_b32_e32 v4, s16, v28
	v_and_b32_e32 v6, s28, v4
	v_and_b32_e32 v5, 1, v6
	v_add_co_u32_e32 v7, vcc, -1, v5
	v_addc_co_u32_e64 v39, s[0:1], 0, -1, vcc
	v_cmp_ne_u32_e32 vcc, 0, v5
	v_lshl_add_u32 v4, v6, 4, v6
	v_xor_b32_e32 v5, vcc_hi, v39
	v_add_lshl_u32 v43, v29, v4, 2
	v_mov_b32_e32 v4, 0
	v_and_b32_e32 v39, exec_hi, v5
	v_lshlrev_b32_e32 v5, 30, v6
	v_xor_b32_e32 v7, vcc_lo, v7
	v_cmp_gt_i64_e32 vcc, 0, v[4:5]
	v_not_b32_e32 v5, v5
	v_ashrrev_i32_e32 v5, 31, v5
	v_and_b32_e32 v7, exec_lo, v7
	v_xor_b32_e32 v41, vcc_hi, v5
	v_xor_b32_e32 v5, vcc_lo, v5
	v_and_b32_e32 v7, v7, v5
	v_lshlrev_b32_e32 v5, 29, v6
	v_cmp_gt_i64_e32 vcc, 0, v[4:5]
	v_not_b32_e32 v5, v5
	v_ashrrev_i32_e32 v5, 31, v5
	v_and_b32_e32 v39, v39, v41
	v_xor_b32_e32 v41, vcc_hi, v5
	v_xor_b32_e32 v5, vcc_lo, v5
	v_and_b32_e32 v7, v7, v5
	v_lshlrev_b32_e32 v5, 28, v6
	v_cmp_gt_i64_e32 vcc, 0, v[4:5]
	v_not_b32_e32 v5, v5
	v_ashrrev_i32_e32 v5, 31, v5
	v_and_b32_e32 v39, v39, v41
	;; [unrolled: 8-line block ×5, first 2 shown]
	v_xor_b32_e32 v41, vcc_hi, v5
	v_xor_b32_e32 v5, vcc_lo, v5
	v_and_b32_e32 v39, v39, v41
	v_and_b32_e32 v41, v7, v5
	v_lshlrev_b32_e32 v5, 24, v6
	v_cmp_gt_i64_e32 vcc, 0, v[4:5]
	v_not_b32_e32 v5, v5
	v_ashrrev_i32_e32 v5, 31, v5
	v_xor_b32_e32 v6, vcc_hi, v5
	v_xor_b32_e32 v5, vcc_lo, v5
	; wave barrier
	ds_read_b32 v38, v43 offset:64
	v_and_b32_e32 v7, v39, v6
	v_and_b32_e32 v6, v41, v5
	v_mbcnt_lo_u32_b32 v5, v6, 0
	v_mbcnt_hi_u32_b32 v39, v7, v5
	v_cmp_eq_u32_e32 vcc, 0, v39
	v_cmp_ne_u64_e64 s[0:1], 0, v[6:7]
	s_and_b64 s[2:3], s[0:1], vcc
	; wave barrier
	s_and_saveexec_b64 s[0:1], s[2:3]
	s_cbranch_execz .LBB663_39
; %bb.38:
	v_bcnt_u32_b32 v5, v6, 0
	v_bcnt_u32_b32 v5, v7, v5
	s_waitcnt lgkmcnt(0)
	v_add_u32_e32 v5, v38, v5
	ds_write_b32 v43, v5 offset:64
.LBB663_39:
	s_or_b64 exec, exec, s[0:1]
	v_xor_b32_e32 v34, 0x80000000, v34
	v_lshrrev_b32_e32 v5, s16, v34
	v_and_b32_e32 v6, s28, v5
	v_lshl_add_u32 v5, v6, 4, v6
	v_add_lshl_u32 v46, v29, v5, 2
	v_and_b32_e32 v5, 1, v6
	v_add_co_u32_e32 v7, vcc, -1, v5
	v_addc_co_u32_e64 v42, s[0:1], 0, -1, vcc
	v_cmp_ne_u32_e32 vcc, 0, v5
	v_xor_b32_e32 v5, vcc_hi, v42
	v_and_b32_e32 v42, exec_hi, v5
	v_lshlrev_b32_e32 v5, 30, v6
	v_xor_b32_e32 v7, vcc_lo, v7
	v_cmp_gt_i64_e32 vcc, 0, v[4:5]
	v_not_b32_e32 v5, v5
	v_ashrrev_i32_e32 v5, 31, v5
	v_and_b32_e32 v7, exec_lo, v7
	v_xor_b32_e32 v44, vcc_hi, v5
	v_xor_b32_e32 v5, vcc_lo, v5
	v_and_b32_e32 v7, v7, v5
	v_lshlrev_b32_e32 v5, 29, v6
	v_cmp_gt_i64_e32 vcc, 0, v[4:5]
	v_not_b32_e32 v5, v5
	v_ashrrev_i32_e32 v5, 31, v5
	v_and_b32_e32 v42, v42, v44
	v_xor_b32_e32 v44, vcc_hi, v5
	v_xor_b32_e32 v5, vcc_lo, v5
	v_and_b32_e32 v7, v7, v5
	v_lshlrev_b32_e32 v5, 28, v6
	v_cmp_gt_i64_e32 vcc, 0, v[4:5]
	v_not_b32_e32 v5, v5
	v_ashrrev_i32_e32 v5, 31, v5
	v_and_b32_e32 v42, v42, v44
	;; [unrolled: 8-line block ×5, first 2 shown]
	v_xor_b32_e32 v44, vcc_hi, v5
	v_xor_b32_e32 v5, vcc_lo, v5
	v_and_b32_e32 v7, v7, v5
	v_lshlrev_b32_e32 v5, 24, v6
	v_cmp_gt_i64_e32 vcc, 0, v[4:5]
	v_not_b32_e32 v4, v5
	v_ashrrev_i32_e32 v4, 31, v4
	v_xor_b32_e32 v5, vcc_hi, v4
	v_xor_b32_e32 v4, vcc_lo, v4
	; wave barrier
	ds_read_b32 v41, v46 offset:64
	v_and_b32_e32 v42, v42, v44
	v_and_b32_e32 v4, v7, v4
	;; [unrolled: 1-line block ×3, first 2 shown]
	v_mbcnt_lo_u32_b32 v6, v4, 0
	v_mbcnt_hi_u32_b32 v42, v5, v6
	v_cmp_eq_u32_e32 vcc, 0, v42
	v_cmp_ne_u64_e64 s[0:1], 0, v[4:5]
	s_and_b64 s[2:3], s[0:1], vcc
	; wave barrier
	s_and_saveexec_b64 s[0:1], s[2:3]
	s_cbranch_execz .LBB663_41
; %bb.40:
	v_bcnt_u32_b32 v4, v4, 0
	v_bcnt_u32_b32 v4, v5, v4
	s_waitcnt lgkmcnt(0)
	v_add_u32_e32 v4, v41, v4
	ds_write_b32 v46, v4 offset:64
.LBB663_41:
	s_or_b64 exec, exec, s[0:1]
	v_xor_b32_e32 v35, 0x80000000, v35
	v_lshrrev_b32_e32 v4, s16, v35
	v_and_b32_e32 v6, s28, v4
	v_and_b32_e32 v5, 1, v6
	v_add_co_u32_e32 v7, vcc, -1, v5
	v_addc_co_u32_e64 v45, s[0:1], 0, -1, vcc
	v_cmp_ne_u32_e32 vcc, 0, v5
	v_lshl_add_u32 v4, v6, 4, v6
	v_xor_b32_e32 v5, vcc_hi, v45
	v_add_lshl_u32 v50, v29, v4, 2
	v_mov_b32_e32 v4, 0
	v_and_b32_e32 v45, exec_hi, v5
	v_lshlrev_b32_e32 v5, 30, v6
	v_xor_b32_e32 v7, vcc_lo, v7
	v_cmp_gt_i64_e32 vcc, 0, v[4:5]
	v_not_b32_e32 v5, v5
	v_ashrrev_i32_e32 v5, 31, v5
	v_and_b32_e32 v7, exec_lo, v7
	v_xor_b32_e32 v47, vcc_hi, v5
	v_xor_b32_e32 v5, vcc_lo, v5
	v_and_b32_e32 v7, v7, v5
	v_lshlrev_b32_e32 v5, 29, v6
	v_cmp_gt_i64_e32 vcc, 0, v[4:5]
	v_not_b32_e32 v5, v5
	v_ashrrev_i32_e32 v5, 31, v5
	v_and_b32_e32 v45, v45, v47
	v_xor_b32_e32 v47, vcc_hi, v5
	v_xor_b32_e32 v5, vcc_lo, v5
	v_and_b32_e32 v7, v7, v5
	v_lshlrev_b32_e32 v5, 28, v6
	v_cmp_gt_i64_e32 vcc, 0, v[4:5]
	v_not_b32_e32 v5, v5
	v_ashrrev_i32_e32 v5, 31, v5
	v_and_b32_e32 v45, v45, v47
	;; [unrolled: 8-line block ×5, first 2 shown]
	v_xor_b32_e32 v47, vcc_hi, v5
	v_xor_b32_e32 v5, vcc_lo, v5
	v_and_b32_e32 v45, v45, v47
	v_and_b32_e32 v47, v7, v5
	v_lshlrev_b32_e32 v5, 24, v6
	v_cmp_gt_i64_e32 vcc, 0, v[4:5]
	v_not_b32_e32 v5, v5
	v_ashrrev_i32_e32 v5, 31, v5
	v_xor_b32_e32 v6, vcc_hi, v5
	v_xor_b32_e32 v5, vcc_lo, v5
	; wave barrier
	ds_read_b32 v44, v50 offset:64
	v_and_b32_e32 v7, v45, v6
	v_and_b32_e32 v6, v47, v5
	v_mbcnt_lo_u32_b32 v5, v6, 0
	v_mbcnt_hi_u32_b32 v45, v7, v5
	v_cmp_eq_u32_e32 vcc, 0, v45
	v_cmp_ne_u64_e64 s[0:1], 0, v[6:7]
	s_and_b64 s[2:3], s[0:1], vcc
	; wave barrier
	s_and_saveexec_b64 s[0:1], s[2:3]
	s_cbranch_execz .LBB663_43
; %bb.42:
	v_bcnt_u32_b32 v5, v6, 0
	v_bcnt_u32_b32 v5, v7, v5
	s_waitcnt lgkmcnt(0)
	v_add_u32_e32 v5, v44, v5
	ds_write_b32 v50, v5 offset:64
.LBB663_43:
	s_or_b64 exec, exec, s[0:1]
	v_xor_b32_e32 v30, 0x80000000, v30
	v_lshrrev_b32_e32 v5, s16, v30
	v_and_b32_e32 v6, s28, v5
	v_lshl_add_u32 v5, v6, 4, v6
	v_add_lshl_u32 v53, v29, v5, 2
	v_and_b32_e32 v5, 1, v6
	v_add_co_u32_e32 v7, vcc, -1, v5
	v_addc_co_u32_e64 v48, s[0:1], 0, -1, vcc
	v_cmp_ne_u32_e32 vcc, 0, v5
	v_xor_b32_e32 v5, vcc_hi, v48
	v_and_b32_e32 v48, exec_hi, v5
	v_lshlrev_b32_e32 v5, 30, v6
	v_xor_b32_e32 v7, vcc_lo, v7
	v_cmp_gt_i64_e32 vcc, 0, v[4:5]
	v_not_b32_e32 v5, v5
	v_ashrrev_i32_e32 v5, 31, v5
	v_and_b32_e32 v7, exec_lo, v7
	v_xor_b32_e32 v49, vcc_hi, v5
	v_xor_b32_e32 v5, vcc_lo, v5
	v_and_b32_e32 v7, v7, v5
	v_lshlrev_b32_e32 v5, 29, v6
	v_cmp_gt_i64_e32 vcc, 0, v[4:5]
	v_not_b32_e32 v5, v5
	v_ashrrev_i32_e32 v5, 31, v5
	v_and_b32_e32 v48, v48, v49
	v_xor_b32_e32 v49, vcc_hi, v5
	v_xor_b32_e32 v5, vcc_lo, v5
	v_and_b32_e32 v7, v7, v5
	v_lshlrev_b32_e32 v5, 28, v6
	v_cmp_gt_i64_e32 vcc, 0, v[4:5]
	v_not_b32_e32 v5, v5
	v_ashrrev_i32_e32 v5, 31, v5
	v_and_b32_e32 v48, v48, v49
	;; [unrolled: 8-line block ×5, first 2 shown]
	v_xor_b32_e32 v49, vcc_hi, v5
	v_xor_b32_e32 v5, vcc_lo, v5
	v_and_b32_e32 v7, v7, v5
	v_lshlrev_b32_e32 v5, 24, v6
	v_cmp_gt_i64_e32 vcc, 0, v[4:5]
	v_not_b32_e32 v4, v5
	v_ashrrev_i32_e32 v4, 31, v4
	v_xor_b32_e32 v5, vcc_hi, v4
	v_xor_b32_e32 v4, vcc_lo, v4
	; wave barrier
	ds_read_b32 v47, v53 offset:64
	v_and_b32_e32 v48, v48, v49
	v_and_b32_e32 v4, v7, v4
	v_and_b32_e32 v5, v48, v5
	v_mbcnt_lo_u32_b32 v6, v4, 0
	v_mbcnt_hi_u32_b32 v49, v5, v6
	v_cmp_eq_u32_e32 vcc, 0, v49
	v_cmp_ne_u64_e64 s[0:1], 0, v[4:5]
	s_and_b64 s[2:3], s[0:1], vcc
	; wave barrier
	s_and_saveexec_b64 s[0:1], s[2:3]
	s_cbranch_execz .LBB663_45
; %bb.44:
	v_bcnt_u32_b32 v4, v4, 0
	v_bcnt_u32_b32 v4, v5, v4
	s_waitcnt lgkmcnt(0)
	v_add_u32_e32 v4, v47, v4
	ds_write_b32 v53, v4 offset:64
.LBB663_45:
	s_or_b64 exec, exec, s[0:1]
	v_xor_b32_e32 v26, 0x80000000, v26
	v_lshrrev_b32_e32 v4, s16, v26
	v_and_b32_e32 v6, s28, v4
	v_and_b32_e32 v5, 1, v6
	v_add_co_u32_e32 v7, vcc, -1, v5
	v_addc_co_u32_e64 v48, s[0:1], 0, -1, vcc
	v_cmp_ne_u32_e32 vcc, 0, v5
	v_lshl_add_u32 v4, v6, 4, v6
	v_xor_b32_e32 v5, vcc_hi, v48
	v_add_lshl_u32 v56, v29, v4, 2
	v_mov_b32_e32 v4, 0
	v_and_b32_e32 v48, exec_hi, v5
	v_lshlrev_b32_e32 v5, 30, v6
	v_xor_b32_e32 v7, vcc_lo, v7
	v_cmp_gt_i64_e32 vcc, 0, v[4:5]
	v_not_b32_e32 v5, v5
	v_ashrrev_i32_e32 v5, 31, v5
	v_and_b32_e32 v7, exec_lo, v7
	v_xor_b32_e32 v52, vcc_hi, v5
	v_xor_b32_e32 v5, vcc_lo, v5
	v_and_b32_e32 v7, v7, v5
	v_lshlrev_b32_e32 v5, 29, v6
	v_cmp_gt_i64_e32 vcc, 0, v[4:5]
	v_not_b32_e32 v5, v5
	v_ashrrev_i32_e32 v5, 31, v5
	v_and_b32_e32 v48, v48, v52
	v_xor_b32_e32 v52, vcc_hi, v5
	v_xor_b32_e32 v5, vcc_lo, v5
	v_and_b32_e32 v7, v7, v5
	v_lshlrev_b32_e32 v5, 28, v6
	v_cmp_gt_i64_e32 vcc, 0, v[4:5]
	v_not_b32_e32 v5, v5
	v_ashrrev_i32_e32 v5, 31, v5
	v_and_b32_e32 v48, v48, v52
	;; [unrolled: 8-line block ×5, first 2 shown]
	v_xor_b32_e32 v52, vcc_hi, v5
	v_xor_b32_e32 v5, vcc_lo, v5
	v_and_b32_e32 v48, v48, v52
	v_and_b32_e32 v52, v7, v5
	v_lshlrev_b32_e32 v5, 24, v6
	v_cmp_gt_i64_e32 vcc, 0, v[4:5]
	v_not_b32_e32 v5, v5
	v_ashrrev_i32_e32 v5, 31, v5
	v_xor_b32_e32 v6, vcc_hi, v5
	v_xor_b32_e32 v5, vcc_lo, v5
	; wave barrier
	ds_read_b32 v51, v56 offset:64
	v_and_b32_e32 v7, v48, v6
	v_and_b32_e32 v6, v52, v5
	v_mbcnt_lo_u32_b32 v5, v6, 0
	v_mbcnt_hi_u32_b32 v52, v7, v5
	v_cmp_eq_u32_e32 vcc, 0, v52
	v_cmp_ne_u64_e64 s[0:1], 0, v[6:7]
	s_and_b64 s[2:3], s[0:1], vcc
	; wave barrier
	s_and_saveexec_b64 s[0:1], s[2:3]
	s_cbranch_execz .LBB663_47
; %bb.46:
	v_bcnt_u32_b32 v5, v6, 0
	v_bcnt_u32_b32 v5, v7, v5
	s_waitcnt lgkmcnt(0)
	v_add_u32_e32 v5, v51, v5
	ds_write_b32 v56, v5 offset:64
.LBB663_47:
	s_or_b64 exec, exec, s[0:1]
	v_xor_b32_e32 v48, 0x80000000, v10
	v_lshrrev_b32_e32 v5, s16, v48
	v_and_b32_e32 v6, s28, v5
	v_lshl_add_u32 v5, v6, 4, v6
	v_add_lshl_u32 v10, v29, v5, 2
	v_and_b32_e32 v5, 1, v6
	v_add_co_u32_e32 v7, vcc, -1, v5
	v_addc_co_u32_e64 v29, s[0:1], 0, -1, vcc
	v_cmp_ne_u32_e32 vcc, 0, v5
	v_xor_b32_e32 v5, vcc_hi, v29
	v_and_b32_e32 v29, exec_hi, v5
	v_lshlrev_b32_e32 v5, 30, v6
	v_xor_b32_e32 v7, vcc_lo, v7
	v_cmp_gt_i64_e32 vcc, 0, v[4:5]
	v_not_b32_e32 v5, v5
	v_ashrrev_i32_e32 v5, 31, v5
	v_and_b32_e32 v7, exec_lo, v7
	v_xor_b32_e32 v55, vcc_hi, v5
	v_xor_b32_e32 v5, vcc_lo, v5
	v_and_b32_e32 v7, v7, v5
	v_lshlrev_b32_e32 v5, 29, v6
	v_cmp_gt_i64_e32 vcc, 0, v[4:5]
	v_not_b32_e32 v5, v5
	v_ashrrev_i32_e32 v5, 31, v5
	v_and_b32_e32 v29, v29, v55
	v_xor_b32_e32 v55, vcc_hi, v5
	v_xor_b32_e32 v5, vcc_lo, v5
	v_and_b32_e32 v7, v7, v5
	v_lshlrev_b32_e32 v5, 28, v6
	v_cmp_gt_i64_e32 vcc, 0, v[4:5]
	v_not_b32_e32 v5, v5
	v_ashrrev_i32_e32 v5, 31, v5
	v_and_b32_e32 v29, v29, v55
	;; [unrolled: 8-line block ×5, first 2 shown]
	v_xor_b32_e32 v55, vcc_hi, v5
	v_xor_b32_e32 v5, vcc_lo, v5
	v_and_b32_e32 v7, v7, v5
	v_lshlrev_b32_e32 v5, 24, v6
	v_cmp_gt_i64_e32 vcc, 0, v[4:5]
	v_not_b32_e32 v4, v5
	v_ashrrev_i32_e32 v4, 31, v4
	v_xor_b32_e32 v5, vcc_hi, v4
	v_xor_b32_e32 v4, vcc_lo, v4
	; wave barrier
	ds_read_b32 v54, v10 offset:64
	v_and_b32_e32 v29, v29, v55
	v_and_b32_e32 v4, v7, v4
	;; [unrolled: 1-line block ×3, first 2 shown]
	v_mbcnt_lo_u32_b32 v6, v4, 0
	v_mbcnt_hi_u32_b32 v55, v5, v6
	v_cmp_eq_u32_e32 vcc, 0, v55
	v_cmp_ne_u64_e64 s[0:1], 0, v[4:5]
	v_add_u32_e32 v57, 64, v3
	s_and_b64 s[2:3], s[0:1], vcc
	; wave barrier
	s_and_saveexec_b64 s[0:1], s[2:3]
	s_cbranch_execz .LBB663_49
; %bb.48:
	v_bcnt_u32_b32 v4, v4, 0
	v_bcnt_u32_b32 v4, v5, v4
	s_waitcnt lgkmcnt(0)
	v_add_u32_e32 v4, v54, v4
	ds_write_b32 v10, v4 offset:64
.LBB663_49:
	s_or_b64 exec, exec, s[0:1]
	; wave barrier
	s_waitcnt lgkmcnt(0)
	s_barrier
	ds_read2_b32 v[6:7], v3 offset0:16 offset1:17
	ds_read2_b32 v[4:5], v57 offset0:2 offset1:3
	ds_read_b32 v29, v57 offset:16
	v_cmp_lt_u32_e64 s[10:11], 31, v1
	s_waitcnt lgkmcnt(1)
	v_add3_u32 v58, v7, v6, v4
	s_waitcnt lgkmcnt(0)
	v_add3_u32 v29, v58, v5, v29
	v_and_b32_e32 v58, 15, v1
	v_cmp_eq_u32_e32 vcc, 0, v58
	v_mov_b32_dpp v59, v29 row_shr:1 row_mask:0xf bank_mask:0xf
	v_cndmask_b32_e64 v59, v59, 0, vcc
	v_add_u32_e32 v29, v59, v29
	v_cmp_lt_u32_e64 s[0:1], 1, v58
	v_cmp_lt_u32_e64 s[2:3], 3, v58
	v_mov_b32_dpp v59, v29 row_shr:2 row_mask:0xf bank_mask:0xf
	v_cndmask_b32_e64 v59, 0, v59, s[0:1]
	v_add_u32_e32 v29, v29, v59
	v_cmp_lt_u32_e64 s[8:9], 7, v58
	s_nop 0
	v_mov_b32_dpp v59, v29 row_shr:4 row_mask:0xf bank_mask:0xf
	v_cndmask_b32_e64 v59, 0, v59, s[2:3]
	v_add_u32_e32 v29, v29, v59
	s_nop 1
	v_mov_b32_dpp v59, v29 row_shr:8 row_mask:0xf bank_mask:0xf
	v_cndmask_b32_e64 v58, 0, v59, s[8:9]
	v_add_u32_e32 v29, v29, v58
	v_bfe_i32 v59, v1, 4, 1
	s_nop 0
	v_mov_b32_dpp v58, v29 row_bcast:15 row_mask:0xf bank_mask:0xf
	v_and_b32_e32 v58, v59, v58
	v_add_u32_e32 v29, v29, v58
	v_lshrrev_b32_e32 v59, 6, v2
	s_nop 0
	v_mov_b32_dpp v58, v29 row_bcast:31 row_mask:0xf bank_mask:0xf
	v_cndmask_b32_e64 v58, 0, v58, s[10:11]
	v_add_u32_e32 v58, v29, v58
	v_and_b32_e32 v29, 63, v2
	v_cmp_eq_u32_e64 s[10:11], 63, v29
	s_and_saveexec_b64 s[18:19], s[10:11]
	s_cbranch_execz .LBB663_51
; %bb.50:
	v_lshlrev_b32_e32 v29, 2, v59
	ds_write_b32 v29, v58
.LBB663_51:
	s_or_b64 exec, exec, s[18:19]
	v_cmp_gt_u32_e64 s[10:11], 16, v2
	v_lshlrev_b32_e32 v29, 2, v2
	s_waitcnt lgkmcnt(0)
	s_barrier
	s_and_saveexec_b64 s[18:19], s[10:11]
	s_cbranch_execz .LBB663_53
; %bb.52:
	ds_read_b32 v60, v29
	s_waitcnt lgkmcnt(0)
	s_nop 0
	v_mov_b32_dpp v61, v60 row_shr:1 row_mask:0xf bank_mask:0xf
	v_cndmask_b32_e64 v61, v61, 0, vcc
	v_add_u32_e32 v60, v61, v60
	s_nop 1
	v_mov_b32_dpp v61, v60 row_shr:2 row_mask:0xf bank_mask:0xf
	v_cndmask_b32_e64 v61, 0, v61, s[0:1]
	v_add_u32_e32 v60, v60, v61
	s_nop 1
	v_mov_b32_dpp v61, v60 row_shr:4 row_mask:0xf bank_mask:0xf
	v_cndmask_b32_e64 v61, 0, v61, s[2:3]
	;; [unrolled: 4-line block ×3, first 2 shown]
	v_add_u32_e32 v60, v60, v61
	ds_write_b32 v29, v60
.LBB663_53:
	s_or_b64 exec, exec, s[18:19]
	v_cmp_lt_u32_e32 vcc, 63, v2
	v_mov_b32_e32 v60, 0
	s_waitcnt lgkmcnt(0)
	s_barrier
	s_and_saveexec_b64 s[0:1], vcc
	s_cbranch_execz .LBB663_55
; %bb.54:
	v_lshl_add_u32 v59, v59, 2, -4
	ds_read_b32 v60, v59
.LBB663_55:
	s_or_b64 exec, exec, s[0:1]
	v_add_u32_e32 v59, -1, v1
	v_and_b32_e32 v61, 64, v1
	v_cmp_lt_i32_e32 vcc, v59, v61
	v_cndmask_b32_e32 v59, v59, v1, vcc
	s_waitcnt lgkmcnt(0)
	v_add_u32_e32 v58, v60, v58
	v_lshlrev_b32_e32 v59, 2, v59
	ds_bpermute_b32 v58, v59, v58
	v_cmp_eq_u32_e32 vcc, 0, v1
	s_movk_i32 s2, 0xff
	s_movk_i32 s0, 0x100
	v_cmp_gt_u32_e64 s[0:1], s0, v2
	s_waitcnt lgkmcnt(0)
	v_cndmask_b32_e32 v1, v58, v60, vcc
	v_cmp_ne_u32_e32 vcc, 0, v2
	v_cndmask_b32_e32 v1, 0, v1, vcc
	v_add_u32_e32 v6, v1, v6
	v_add_u32_e32 v7, v6, v7
	;; [unrolled: 1-line block ×4, first 2 shown]
	ds_write2_b32 v3, v1, v6 offset0:16 offset1:17
	ds_write2_b32 v57, v7, v4 offset0:2 offset1:3
	ds_write_b32 v57, v5 offset:16
	s_waitcnt lgkmcnt(0)
	s_barrier
	ds_read_b32 v59, v8 offset:64
	ds_read_b32 v1, v9 offset:64
	;; [unrolled: 1-line block ×12, first 2 shown]
	v_cmp_lt_u32_e32 vcc, s2, v2
	v_pk_mov_b32 v[4:5], 0, 0
                                        ; implicit-def: $vgpr40
	s_and_saveexec_b64 s[8:9], s[0:1]
	s_cbranch_execz .LBB663_59
; %bb.56:
	v_mul_u32_u24_e32 v3, 17, v2
	v_lshlrev_b32_e32 v5, 2, v3
	ds_read_b32 v4, v5 offset:64
	v_cmp_ne_u32_e64 s[2:3], s2, v2
	v_mov_b32_e32 v3, 0x3000
	s_and_saveexec_b64 s[10:11], s[2:3]
	s_cbranch_execz .LBB663_58
; %bb.57:
	ds_read_b32 v3, v5 offset:132
.LBB663_58:
	s_or_b64 exec, exec, s[10:11]
	s_waitcnt lgkmcnt(0)
	v_sub_u32_e32 v40, v3, v4
	v_mov_b32_e32 v5, 0
.LBB663_59:
	s_or_b64 exec, exec, s[8:9]
	s_waitcnt lgkmcnt(0)
	s_barrier
	s_and_saveexec_b64 s[2:3], vcc
	s_xor_b64 s[2:3], exec, s[2:3]
; %bb.60:
	v_mov_b32_e32 v3, 0
; %bb.61:
	s_andn2_saveexec_b64 s[2:3], s[2:3]
	s_cbranch_execz .LBB663_71
; %bb.62:
	v_lshl_or_b32 v6, s6, 8, v2
	v_mov_b32_e32 v7, 0
	v_lshlrev_b64 v[8:9], 2, v[6:7]
	v_mov_b32_e32 v3, s25
	v_add_co_u32_e32 v8, vcc, s24, v8
	v_addc_co_u32_e32 v9, vcc, v3, v9, vcc
	v_or_b32_e32 v6, 2.0, v40
	s_mov_b64 s[8:9], 0
	s_brev_b32 s29, 1
	s_mov_b32 s30, s6
	v_mov_b32_e32 v61, 0
	global_store_dword v[8:9], v6, off
                                        ; implicit-def: $sgpr10_sgpr11
	s_branch .LBB663_64
.LBB663_63:                             ;   in Loop: Header=BB663_64 Depth=1
	s_or_b64 exec, exec, s[10:11]
	v_and_b32_e32 v10, 0x3fffffff, v62
	v_add_u32_e32 v61, v10, v61
	v_cmp_eq_u32_e64 s[10:11], s29, v6
	s_and_b64 s[18:19], exec, s[10:11]
	s_or_b64 s[8:9], s[18:19], s[8:9]
	s_andn2_b64 exec, exec, s[8:9]
	s_cbranch_execz .LBB663_70
.LBB663_64:                             ; =>This Loop Header: Depth=1
                                        ;     Child Loop BB663_67 Depth 2
	s_or_b64 s[10:11], s[10:11], exec
	s_cmp_eq_u32 s30, 0
	s_cbranch_scc1 .LBB663_69
; %bb.65:                               ;   in Loop: Header=BB663_64 Depth=1
	s_add_i32 s30, s30, -1
	v_lshl_or_b32 v6, s30, 8, v2
	v_lshlrev_b64 v[10:11], 2, v[6:7]
	v_add_co_u32_e32 v10, vcc, s24, v10
	v_addc_co_u32_e32 v11, vcc, v3, v11, vcc
	global_load_dword v62, v[10:11], off glc
	s_waitcnt vmcnt(0)
	v_and_b32_e32 v6, -2.0, v62
	v_cmp_eq_u32_e32 vcc, 0, v6
	s_and_saveexec_b64 s[10:11], vcc
	s_cbranch_execz .LBB663_63
; %bb.66:                               ;   in Loop: Header=BB663_64 Depth=1
	s_mov_b64 s[18:19], 0
.LBB663_67:                             ;   Parent Loop BB663_64 Depth=1
                                        ; =>  This Inner Loop Header: Depth=2
	global_load_dword v62, v[10:11], off glc
	s_waitcnt vmcnt(0)
	v_and_b32_e32 v6, -2.0, v62
	v_cmp_ne_u32_e32 vcc, 0, v6
	s_or_b64 s[18:19], vcc, s[18:19]
	s_andn2_b64 exec, exec, s[18:19]
	s_cbranch_execnz .LBB663_67
; %bb.68:                               ;   in Loop: Header=BB663_64 Depth=1
	s_or_b64 exec, exec, s[18:19]
	s_branch .LBB663_63
.LBB663_69:                             ;   in Loop: Header=BB663_64 Depth=1
                                        ; implicit-def: $sgpr30
	s_and_b64 s[18:19], exec, s[10:11]
	s_or_b64 s[8:9], s[18:19], s[8:9]
	s_andn2_b64 exec, exec, s[8:9]
	s_cbranch_execnz .LBB663_64
.LBB663_70:
	s_or_b64 exec, exec, s[8:9]
	v_add_u32_e32 v3, v61, v40
	v_or_b32_e32 v3, 0x80000000, v3
	global_store_dword v[8:9], v3, off
	v_lshlrev_b32_e32 v8, 3, v2
	global_load_dwordx2 v[6:7], v8, s[12:13]
	v_sub_co_u32_e32 v9, vcc, v61, v4
	v_subb_co_u32_e32 v10, vcc, 0, v5, vcc
	v_mov_b32_e32 v3, 0
	s_waitcnt vmcnt(0)
	v_add_co_u32_e32 v6, vcc, v9, v6
	v_addc_co_u32_e32 v7, vcc, v10, v7, vcc
	ds_write_b64 v8, v[6:7]
.LBB663_71:
	s_or_b64 exec, exec, s[2:3]
	v_add3_u32 v33, v36, v58, v33
	v_add3_u32 v27, v31, v37, v27
	v_lshlrev_b64 v[36:37], 2, v[2:3]
	v_add3_u32 v17, v19, v1, v17
	v_mov_b32_e32 v1, s23
	v_add_co_u32_e32 v6, vcc, s22, v36
	v_add_u32_e32 v7, v59, v16
	v_add_u32_e32 v8, 0x800, v29
	v_add3_u32 v9, v55, v60, v54
	v_add3_u32 v10, v52, v56, v51
	;; [unrolled: 1-line block ×8, first 2 shown]
	v_addc_co_u32_e32 v1, vcc, v1, v37, vcc
	s_mov_b32 s8, 0
	s_mov_b32 s9, 0
	s_branch .LBB663_73
.LBB663_72:                             ;   in Loop: Header=BB663_73 Depth=1
	s_or_b64 exec, exec, s[2:3]
	s_addk_i32 s9, 0x1000
	s_addk_i32 s8, 0xf000
	v_add_co_u32_e32 v6, vcc, 0x4000, v6
	s_cmpk_eq_i32 s8, 0xd000
	v_addc_co_u32_e32 v1, vcc, 0, v1, vcc
	s_barrier
	s_cbranch_scc1 .LBB663_82
.LBB663_73:                             ; =>This Inner Loop Header: Depth=1
	v_add_u32_e32 v19, s8, v7
	v_min_u32_e32 v19, 0x1000, v19
	v_lshlrev_b32_e32 v19, 2, v19
	ds_write_b32 v19, v13 offset:2048
	v_add_u32_e32 v19, s8, v17
	v_min_u32_e32 v19, 0x1000, v19
	v_lshlrev_b32_e32 v19, 2, v19
	ds_write_b32 v19, v14 offset:2048
	;; [unrolled: 4-line block ×12, first 2 shown]
	v_add_u32_e32 v19, s9, v2
	v_cmp_gt_u32_e32 vcc, s7, v19
	s_waitcnt lgkmcnt(0)
	s_barrier
	s_and_saveexec_b64 s[2:3], vcc
	s_cbranch_execz .LBB663_75
; %bb.74:                               ;   in Loop: Header=BB663_73 Depth=1
	ds_read_b32 v22, v29 offset:2048
	s_waitcnt lgkmcnt(0)
	v_lshrrev_b32_e32 v25, s16, v22
	v_and_b32_e32 v25, s28, v25
	v_lshlrev_b32_e32 v25, 3, v25
	ds_read_b64 v[36:37], v25
	v_xor_b32_e32 v22, 0x80000000, v22
	s_waitcnt lgkmcnt(0)
	v_lshlrev_b64 v[36:37], 2, v[36:37]
	v_add_co_u32_e32 v36, vcc, v6, v36
	v_addc_co_u32_e32 v37, vcc, v1, v37, vcc
	global_store_dword v[36:37], v22, off
.LBB663_75:                             ;   in Loop: Header=BB663_73 Depth=1
	s_or_b64 exec, exec, s[2:3]
	v_add_u32_e32 v22, 0x400, v19
	v_cmp_gt_u32_e32 vcc, s7, v22
	s_and_saveexec_b64 s[2:3], vcc
	s_cbranch_execz .LBB663_77
; %bb.76:                               ;   in Loop: Header=BB663_73 Depth=1
	ds_read_b32 v22, v8 offset:4096
	s_waitcnt lgkmcnt(0)
	v_lshrrev_b32_e32 v25, s16, v22
	v_and_b32_e32 v25, s28, v25
	v_lshlrev_b32_e32 v25, 3, v25
	ds_read_b64 v[36:37], v25
	v_xor_b32_e32 v22, 0x80000000, v22
	s_waitcnt lgkmcnt(0)
	v_lshlrev_b64 v[36:37], 2, v[36:37]
	v_add_co_u32_e32 v25, vcc, v6, v36
	v_addc_co_u32_e32 v31, vcc, v1, v37, vcc
	v_add_co_u32_e32 v36, vcc, 0x1000, v25
	v_addc_co_u32_e32 v37, vcc, 0, v31, vcc
	global_store_dword v[36:37], v22, off
.LBB663_77:                             ;   in Loop: Header=BB663_73 Depth=1
	s_or_b64 exec, exec, s[2:3]
	v_add_u32_e32 v22, 0x800, v19
	v_cmp_gt_u32_e32 vcc, s7, v22
	s_and_saveexec_b64 s[2:3], vcc
	s_cbranch_execz .LBB663_79
; %bb.78:                               ;   in Loop: Header=BB663_73 Depth=1
	ds_read_b32 v22, v8 offset:8192
	s_waitcnt lgkmcnt(0)
	v_lshrrev_b32_e32 v25, s16, v22
	v_and_b32_e32 v25, s28, v25
	v_lshlrev_b32_e32 v25, 3, v25
	ds_read_b64 v[36:37], v25
	v_xor_b32_e32 v22, 0x80000000, v22
	s_waitcnt lgkmcnt(0)
	v_lshlrev_b64 v[36:37], 2, v[36:37]
	v_add_co_u32_e32 v25, vcc, v6, v36
	v_addc_co_u32_e32 v31, vcc, v1, v37, vcc
	v_add_co_u32_e32 v36, vcc, 0x2000, v25
	v_addc_co_u32_e32 v37, vcc, 0, v31, vcc
	global_store_dword v[36:37], v22, off
.LBB663_79:                             ;   in Loop: Header=BB663_73 Depth=1
	s_or_b64 exec, exec, s[2:3]
	v_add_u32_e32 v19, 0xc00, v19
	v_cmp_gt_u32_e32 vcc, s7, v19
	s_and_saveexec_b64 s[2:3], vcc
	s_cbranch_execz .LBB663_72
; %bb.80:                               ;   in Loop: Header=BB663_73 Depth=1
	ds_read_b32 v19, v8 offset:12288
	s_waitcnt lgkmcnt(0)
	v_lshrrev_b32_e32 v22, s16, v19
	v_and_b32_e32 v22, s28, v22
	v_lshlrev_b32_e32 v22, 3, v22
	ds_read_b64 v[36:37], v22
	v_xor_b32_e32 v19, 0x80000000, v19
	s_waitcnt lgkmcnt(0)
	v_lshlrev_b64 v[36:37], 2, v[36:37]
	v_add_co_u32_e32 v22, vcc, v6, v36
	v_addc_co_u32_e32 v25, vcc, v1, v37, vcc
	v_add_co_u32_e32 v36, vcc, 0x3000, v22
	v_addc_co_u32_e32 v37, vcc, 0, v25, vcc
	global_store_dword v[36:37], v19, off
	s_branch .LBB663_72
.LBB663_81:
	s_mov_b64 s[0:1], 0
                                        ; implicit-def: $vgpr2
                                        ; implicit-def: $vgpr4_vgpr5
                                        ; implicit-def: $vgpr40
	s_cbranch_execnz .LBB663_83
	s_branch .LBB663_132
.LBB663_82:
	s_add_i32 s27, s27, -1
	s_cmp_eq_u32 s27, s6
	s_cselect_b64 s[2:3], -1, 0
	s_and_b64 s[0:1], s[0:1], s[2:3]
	s_branch .LBB663_132
.LBB663_83:
	s_mov_b32 s27, 0
	v_mbcnt_hi_u32_b32 v3, -1, v12
	s_lshl_b64 s[0:1], s[26:27], 2
	v_and_b32_e32 v1, 63, v3
	s_add_u32 s0, s20, s0
	v_lshlrev_b32_e32 v1, 2, v1
	v_add_co_u32_e32 v1, vcc, s0, v1
	s_load_dword s7, s[4:5], 0x58
	s_load_dword s0, s[4:5], 0x64
	v_and_b32_e32 v2, 0x3ff, v0
	s_addc_u32 s1, s21, s1
	v_and_b32_e32 v5, 0x3c0, v2
	v_mul_u32_u24_e32 v5, 12, v5
	v_mov_b32_e32 v6, s1
	v_addc_co_u32_e32 v6, vcc, 0, v6, vcc
	v_lshlrev_b32_e32 v5, 2, v5
	s_add_u32 s1, s4, 0x58
	v_add_co_u32_e32 v10, vcc, v1, v5
	s_addc_u32 s2, s5, 0
	s_waitcnt lgkmcnt(0)
	s_lshr_b32 s3, s0, 16
	v_addc_co_u32_e32 v11, vcc, 0, v6, vcc
	s_cmp_lt_u32 s6, s7
	global_load_dword v1, v[10:11], off
	s_cselect_b32 s0, 12, 18
	s_add_u32 s0, s1, s0
	v_mov_b32_e32 v4, 0
	s_addc_u32 s1, s2, 0
	global_load_ushort v5, v4, s[0:1]
	v_mul_u32_u24_e32 v6, 5, v2
	v_lshlrev_b32_e32 v6, 2, v6
	ds_write2_b32 v6, v4, v4 offset0:16 offset1:17
	ds_write2_b32 v6, v4, v4 offset0:18 offset1:19
	ds_write_b32 v6, v4 offset:80
	global_load_dword v8, v[10:11], off offset:256
	global_load_dword v12, v[10:11], off offset:512
	;; [unrolled: 1-line block ×11, first 2 shown]
	s_lshl_b32 s0, -1, s17
	v_bfe_u32 v7, v0, 10, 10
	v_bfe_u32 v0, v0, 20, 10
	s_not_b32 s17, s0
	v_mad_u32_u24 v0, v0, s3, v7
	s_waitcnt lgkmcnt(0)
	s_barrier
	s_waitcnt lgkmcnt(0)
	; wave barrier
	s_waitcnt vmcnt(12)
	v_xor_b32_e32 v10, 0x80000000, v1
	v_lshrrev_b32_e32 v1, s16, v10
	v_and_b32_e32 v11, s17, v1
	v_and_b32_e32 v7, 1, v11
	s_waitcnt vmcnt(11)
	v_mad_u64_u32 v[0:1], s[0:1], v0, v5, v[2:3]
	v_lshrrev_b32_e32 v24, 6, v0
	v_add_co_u32_e32 v0, vcc, -1, v7
	v_lshlrev_b32_e32 v5, 30, v11
	v_addc_co_u32_e64 v14, s[0:1], 0, -1, vcc
	v_lshl_add_u32 v1, v11, 4, v11
	v_cmp_ne_u32_e32 vcc, 0, v7
	v_cmp_gt_i64_e64 s[0:1], 0, v[4:5]
	v_not_b32_e32 v15, v5
	v_lshlrev_b32_e32 v5, 29, v11
	v_add_lshl_u32 v7, v24, v1, 2
	v_xor_b32_e32 v1, vcc_hi, v14
	v_xor_b32_e32 v0, vcc_lo, v0
	v_ashrrev_i32_e32 v14, 31, v15
	v_cmp_gt_i64_e32 vcc, 0, v[4:5]
	v_not_b32_e32 v15, v5
	v_lshlrev_b32_e32 v5, 28, v11
	v_and_b32_e32 v1, exec_hi, v1
	v_and_b32_e32 v0, exec_lo, v0
	v_xor_b32_e32 v16, s1, v14
	v_xor_b32_e32 v14, s0, v14
	v_ashrrev_i32_e32 v15, 31, v15
	v_cmp_gt_i64_e64 s[0:1], 0, v[4:5]
	v_not_b32_e32 v5, v5
	v_and_b32_e32 v1, v1, v16
	v_and_b32_e32 v0, v0, v14
	v_xor_b32_e32 v14, vcc_hi, v15
	v_xor_b32_e32 v15, vcc_lo, v15
	v_ashrrev_i32_e32 v5, 31, v5
	v_and_b32_e32 v1, v1, v14
	v_and_b32_e32 v0, v0, v15
	v_xor_b32_e32 v14, s1, v5
	v_xor_b32_e32 v5, s0, v5
	v_and_b32_e32 v0, v0, v5
	v_lshlrev_b32_e32 v5, 27, v11
	v_cmp_gt_i64_e32 vcc, 0, v[4:5]
	v_not_b32_e32 v5, v5
	v_ashrrev_i32_e32 v5, 31, v5
	v_and_b32_e32 v1, v1, v14
	v_xor_b32_e32 v14, vcc_hi, v5
	v_xor_b32_e32 v5, vcc_lo, v5
	v_and_b32_e32 v0, v0, v5
	v_lshlrev_b32_e32 v5, 26, v11
	v_cmp_gt_i64_e32 vcc, 0, v[4:5]
	v_not_b32_e32 v5, v5
	v_ashrrev_i32_e32 v5, 31, v5
	v_and_b32_e32 v1, v1, v14
	v_xor_b32_e32 v14, vcc_hi, v5
	v_xor_b32_e32 v5, vcc_lo, v5
	;; [unrolled: 8-line block ×3, first 2 shown]
	v_and_b32_e32 v0, v0, v5
	v_lshlrev_b32_e32 v5, 24, v11
	v_cmp_gt_i64_e32 vcc, 0, v[4:5]
	v_not_b32_e32 v5, v5
	v_ashrrev_i32_e32 v5, 31, v5
	v_xor_b32_e32 v11, vcc_hi, v5
	v_xor_b32_e32 v5, vcc_lo, v5
	v_and_b32_e32 v1, v1, v14
	v_and_b32_e32 v0, v0, v5
	;; [unrolled: 1-line block ×3, first 2 shown]
	v_mbcnt_lo_u32_b32 v5, v0, 0
	v_mbcnt_hi_u32_b32 v14, v1, v5
	v_cmp_eq_u32_e32 vcc, 0, v14
	v_cmp_ne_u64_e64 s[0:1], 0, v[0:1]
	s_and_b64 s[2:3], s[0:1], vcc
	s_and_saveexec_b64 s[0:1], s[2:3]
	s_cbranch_execz .LBB663_85
; %bb.84:
	v_bcnt_u32_b32 v0, v0, 0
	v_bcnt_u32_b32 v0, v1, v0
	ds_write_b32 v7, v0 offset:64
.LBB663_85:
	s_or_b64 exec, exec, s[0:1]
	s_waitcnt vmcnt(10)
	v_xor_b32_e32 v11, 0x80000000, v8
	v_lshrrev_b32_e32 v0, s16, v11
	v_and_b32_e32 v0, s17, v0
	v_lshl_add_u32 v1, v0, 4, v0
	v_add_lshl_u32 v8, v24, v1, 2
	v_and_b32_e32 v1, 1, v0
	v_add_co_u32_e32 v5, vcc, -1, v1
	v_addc_co_u32_e64 v16, s[0:1], 0, -1, vcc
	v_cmp_ne_u32_e32 vcc, 0, v1
	v_xor_b32_e32 v5, vcc_lo, v5
	v_xor_b32_e32 v1, vcc_hi, v16
	v_and_b32_e32 v16, exec_lo, v5
	v_lshlrev_b32_e32 v5, 30, v0
	v_cmp_gt_i64_e32 vcc, 0, v[4:5]
	v_not_b32_e32 v5, v5
	v_ashrrev_i32_e32 v5, 31, v5
	v_xor_b32_e32 v18, vcc_hi, v5
	v_xor_b32_e32 v5, vcc_lo, v5
	v_and_b32_e32 v16, v16, v5
	v_lshlrev_b32_e32 v5, 29, v0
	v_cmp_gt_i64_e32 vcc, 0, v[4:5]
	v_not_b32_e32 v5, v5
	v_and_b32_e32 v1, exec_hi, v1
	v_ashrrev_i32_e32 v5, 31, v5
	v_and_b32_e32 v1, v1, v18
	v_xor_b32_e32 v18, vcc_hi, v5
	v_xor_b32_e32 v5, vcc_lo, v5
	v_and_b32_e32 v16, v16, v5
	v_lshlrev_b32_e32 v5, 28, v0
	v_cmp_gt_i64_e32 vcc, 0, v[4:5]
	v_not_b32_e32 v5, v5
	v_ashrrev_i32_e32 v5, 31, v5
	v_and_b32_e32 v1, v1, v18
	v_xor_b32_e32 v18, vcc_hi, v5
	v_xor_b32_e32 v5, vcc_lo, v5
	v_and_b32_e32 v16, v16, v5
	v_lshlrev_b32_e32 v5, 27, v0
	v_cmp_gt_i64_e32 vcc, 0, v[4:5]
	v_not_b32_e32 v5, v5
	;; [unrolled: 8-line block ×4, first 2 shown]
	v_ashrrev_i32_e32 v5, 31, v5
	v_and_b32_e32 v1, v1, v18
	v_xor_b32_e32 v18, vcc_hi, v5
	v_xor_b32_e32 v5, vcc_lo, v5
	v_and_b32_e32 v16, v16, v5
	v_lshlrev_b32_e32 v5, 24, v0
	v_not_b32_e32 v0, v5
	v_cmp_gt_i64_e32 vcc, 0, v[4:5]
	v_ashrrev_i32_e32 v0, 31, v0
	v_xor_b32_e32 v4, vcc_hi, v0
	v_xor_b32_e32 v0, vcc_lo, v0
	; wave barrier
	ds_read_b32 v15, v8 offset:64
	v_and_b32_e32 v1, v1, v18
	v_and_b32_e32 v0, v16, v0
	;; [unrolled: 1-line block ×3, first 2 shown]
	v_mbcnt_lo_u32_b32 v4, v0, 0
	v_mbcnt_hi_u32_b32 v16, v1, v4
	v_cmp_eq_u32_e32 vcc, 0, v16
	v_cmp_ne_u64_e64 s[0:1], 0, v[0:1]
	s_and_b64 s[2:3], s[0:1], vcc
	; wave barrier
	s_and_saveexec_b64 s[0:1], s[2:3]
	s_cbranch_execz .LBB663_87
; %bb.86:
	v_bcnt_u32_b32 v0, v0, 0
	v_bcnt_u32_b32 v0, v1, v0
	s_waitcnt lgkmcnt(0)
	v_add_u32_e32 v0, v15, v0
	ds_write_b32 v8, v0 offset:64
.LBB663_87:
	s_or_b64 exec, exec, s[0:1]
	s_waitcnt vmcnt(9)
	v_xor_b32_e32 v12, 0x80000000, v12
	v_lshrrev_b32_e32 v0, s16, v12
	v_and_b32_e32 v4, s17, v0
	v_and_b32_e32 v1, 1, v4
	v_add_co_u32_e32 v5, vcc, -1, v1
	v_addc_co_u32_e64 v19, s[0:1], 0, -1, vcc
	v_cmp_ne_u32_e32 vcc, 0, v1
	v_lshl_add_u32 v0, v4, 4, v4
	v_xor_b32_e32 v1, vcc_hi, v19
	v_add_lshl_u32 v25, v24, v0, 2
	v_mov_b32_e32 v0, 0
	v_and_b32_e32 v19, exec_hi, v1
	v_lshlrev_b32_e32 v1, 30, v4
	v_xor_b32_e32 v5, vcc_lo, v5
	v_cmp_gt_i64_e32 vcc, 0, v[0:1]
	v_not_b32_e32 v1, v1
	v_ashrrev_i32_e32 v1, 31, v1
	v_and_b32_e32 v5, exec_lo, v5
	v_xor_b32_e32 v21, vcc_hi, v1
	v_xor_b32_e32 v1, vcc_lo, v1
	v_and_b32_e32 v5, v5, v1
	v_lshlrev_b32_e32 v1, 29, v4
	v_cmp_gt_i64_e32 vcc, 0, v[0:1]
	v_not_b32_e32 v1, v1
	v_ashrrev_i32_e32 v1, 31, v1
	v_and_b32_e32 v19, v19, v21
	v_xor_b32_e32 v21, vcc_hi, v1
	v_xor_b32_e32 v1, vcc_lo, v1
	v_and_b32_e32 v5, v5, v1
	v_lshlrev_b32_e32 v1, 28, v4
	v_cmp_gt_i64_e32 vcc, 0, v[0:1]
	v_not_b32_e32 v1, v1
	v_ashrrev_i32_e32 v1, 31, v1
	v_and_b32_e32 v19, v19, v21
	v_xor_b32_e32 v21, vcc_hi, v1
	v_xor_b32_e32 v1, vcc_lo, v1
	v_and_b32_e32 v5, v5, v1
	v_lshlrev_b32_e32 v1, 27, v4
	v_cmp_gt_i64_e32 vcc, 0, v[0:1]
	v_not_b32_e32 v1, v1
	v_ashrrev_i32_e32 v1, 31, v1
	v_and_b32_e32 v19, v19, v21
	v_xor_b32_e32 v21, vcc_hi, v1
	v_xor_b32_e32 v1, vcc_lo, v1
	v_and_b32_e32 v5, v5, v1
	v_lshlrev_b32_e32 v1, 26, v4
	v_cmp_gt_i64_e32 vcc, 0, v[0:1]
	v_not_b32_e32 v1, v1
	v_ashrrev_i32_e32 v1, 31, v1
	v_and_b32_e32 v19, v19, v21
	v_xor_b32_e32 v21, vcc_hi, v1
	v_xor_b32_e32 v1, vcc_lo, v1
	v_and_b32_e32 v5, v5, v1
	v_lshlrev_b32_e32 v1, 25, v4
	v_cmp_gt_i64_e32 vcc, 0, v[0:1]
	v_not_b32_e32 v1, v1
	v_ashrrev_i32_e32 v1, 31, v1
	v_and_b32_e32 v19, v19, v21
	v_xor_b32_e32 v21, vcc_hi, v1
	v_xor_b32_e32 v1, vcc_lo, v1
	v_and_b32_e32 v19, v19, v21
	v_and_b32_e32 v21, v5, v1
	v_lshlrev_b32_e32 v1, 24, v4
	v_cmp_gt_i64_e32 vcc, 0, v[0:1]
	v_not_b32_e32 v1, v1
	v_ashrrev_i32_e32 v1, 31, v1
	v_xor_b32_e32 v4, vcc_hi, v1
	v_xor_b32_e32 v1, vcc_lo, v1
	; wave barrier
	ds_read_b32 v18, v25 offset:64
	v_and_b32_e32 v5, v19, v4
	v_and_b32_e32 v4, v21, v1
	v_mbcnt_lo_u32_b32 v1, v4, 0
	v_mbcnt_hi_u32_b32 v19, v5, v1
	v_cmp_eq_u32_e32 vcc, 0, v19
	v_cmp_ne_u64_e64 s[0:1], 0, v[4:5]
	s_and_b64 s[2:3], s[0:1], vcc
	; wave barrier
	s_and_saveexec_b64 s[0:1], s[2:3]
	s_cbranch_execz .LBB663_89
; %bb.88:
	v_bcnt_u32_b32 v1, v4, 0
	v_bcnt_u32_b32 v1, v5, v1
	s_waitcnt lgkmcnt(0)
	v_add_u32_e32 v1, v18, v1
	ds_write_b32 v25, v1 offset:64
.LBB663_89:
	s_or_b64 exec, exec, s[0:1]
	s_waitcnt vmcnt(8)
	v_xor_b32_e32 v13, 0x80000000, v13
	v_lshrrev_b32_e32 v1, s16, v13
	v_and_b32_e32 v4, s17, v1
	v_lshl_add_u32 v1, v4, 4, v4
	v_add_lshl_u32 v30, v24, v1, 2
	v_and_b32_e32 v1, 1, v4
	v_add_co_u32_e32 v5, vcc, -1, v1
	v_addc_co_u32_e64 v22, s[0:1], 0, -1, vcc
	v_cmp_ne_u32_e32 vcc, 0, v1
	v_xor_b32_e32 v1, vcc_hi, v22
	v_and_b32_e32 v22, exec_hi, v1
	v_lshlrev_b32_e32 v1, 30, v4
	v_xor_b32_e32 v5, vcc_lo, v5
	v_cmp_gt_i64_e32 vcc, 0, v[0:1]
	v_not_b32_e32 v1, v1
	v_ashrrev_i32_e32 v1, 31, v1
	v_and_b32_e32 v5, exec_lo, v5
	v_xor_b32_e32 v26, vcc_hi, v1
	v_xor_b32_e32 v1, vcc_lo, v1
	v_and_b32_e32 v5, v5, v1
	v_lshlrev_b32_e32 v1, 29, v4
	v_cmp_gt_i64_e32 vcc, 0, v[0:1]
	v_not_b32_e32 v1, v1
	v_ashrrev_i32_e32 v1, 31, v1
	v_and_b32_e32 v22, v22, v26
	v_xor_b32_e32 v26, vcc_hi, v1
	v_xor_b32_e32 v1, vcc_lo, v1
	v_and_b32_e32 v5, v5, v1
	v_lshlrev_b32_e32 v1, 28, v4
	v_cmp_gt_i64_e32 vcc, 0, v[0:1]
	v_not_b32_e32 v1, v1
	v_ashrrev_i32_e32 v1, 31, v1
	v_and_b32_e32 v22, v22, v26
	;; [unrolled: 8-line block ×5, first 2 shown]
	v_xor_b32_e32 v26, vcc_hi, v1
	v_xor_b32_e32 v1, vcc_lo, v1
	v_and_b32_e32 v5, v5, v1
	v_lshlrev_b32_e32 v1, 24, v4
	v_cmp_gt_i64_e32 vcc, 0, v[0:1]
	v_not_b32_e32 v0, v1
	v_ashrrev_i32_e32 v0, 31, v0
	v_xor_b32_e32 v1, vcc_hi, v0
	v_xor_b32_e32 v0, vcc_lo, v0
	; wave barrier
	ds_read_b32 v21, v30 offset:64
	v_and_b32_e32 v22, v22, v26
	v_and_b32_e32 v0, v5, v0
	;; [unrolled: 1-line block ×3, first 2 shown]
	v_mbcnt_lo_u32_b32 v4, v0, 0
	v_mbcnt_hi_u32_b32 v22, v1, v4
	v_cmp_eq_u32_e32 vcc, 0, v22
	v_cmp_ne_u64_e64 s[0:1], 0, v[0:1]
	s_and_b64 s[2:3], s[0:1], vcc
	; wave barrier
	s_and_saveexec_b64 s[0:1], s[2:3]
	s_cbranch_execz .LBB663_91
; %bb.90:
	v_bcnt_u32_b32 v0, v0, 0
	v_bcnt_u32_b32 v0, v1, v0
	s_waitcnt lgkmcnt(0)
	v_add_u32_e32 v0, v21, v0
	ds_write_b32 v30, v0 offset:64
.LBB663_91:
	s_or_b64 exec, exec, s[0:1]
	s_waitcnt vmcnt(7)
	v_xor_b32_e32 v17, 0x80000000, v17
	v_lshrrev_b32_e32 v0, s16, v17
	v_and_b32_e32 v4, s17, v0
	v_and_b32_e32 v1, 1, v4
	v_add_co_u32_e32 v5, vcc, -1, v1
	v_addc_co_u32_e64 v28, s[0:1], 0, -1, vcc
	v_cmp_ne_u32_e32 vcc, 0, v1
	v_lshl_add_u32 v0, v4, 4, v4
	v_xor_b32_e32 v1, vcc_hi, v28
	v_add_lshl_u32 v35, v24, v0, 2
	v_mov_b32_e32 v0, 0
	v_and_b32_e32 v28, exec_hi, v1
	v_lshlrev_b32_e32 v1, 30, v4
	v_xor_b32_e32 v5, vcc_lo, v5
	v_cmp_gt_i64_e32 vcc, 0, v[0:1]
	v_not_b32_e32 v1, v1
	v_ashrrev_i32_e32 v1, 31, v1
	v_and_b32_e32 v5, exec_lo, v5
	v_xor_b32_e32 v31, vcc_hi, v1
	v_xor_b32_e32 v1, vcc_lo, v1
	v_and_b32_e32 v5, v5, v1
	v_lshlrev_b32_e32 v1, 29, v4
	v_cmp_gt_i64_e32 vcc, 0, v[0:1]
	v_not_b32_e32 v1, v1
	v_ashrrev_i32_e32 v1, 31, v1
	v_and_b32_e32 v28, v28, v31
	v_xor_b32_e32 v31, vcc_hi, v1
	v_xor_b32_e32 v1, vcc_lo, v1
	v_and_b32_e32 v5, v5, v1
	v_lshlrev_b32_e32 v1, 28, v4
	v_cmp_gt_i64_e32 vcc, 0, v[0:1]
	v_not_b32_e32 v1, v1
	v_ashrrev_i32_e32 v1, 31, v1
	v_and_b32_e32 v28, v28, v31
	;; [unrolled: 8-line block ×5, first 2 shown]
	v_xor_b32_e32 v31, vcc_hi, v1
	v_xor_b32_e32 v1, vcc_lo, v1
	v_and_b32_e32 v28, v28, v31
	v_and_b32_e32 v31, v5, v1
	v_lshlrev_b32_e32 v1, 24, v4
	v_cmp_gt_i64_e32 vcc, 0, v[0:1]
	v_not_b32_e32 v1, v1
	v_ashrrev_i32_e32 v1, 31, v1
	v_xor_b32_e32 v4, vcc_hi, v1
	v_xor_b32_e32 v1, vcc_lo, v1
	; wave barrier
	ds_read_b32 v26, v35 offset:64
	v_and_b32_e32 v5, v28, v4
	v_and_b32_e32 v4, v31, v1
	v_mbcnt_lo_u32_b32 v1, v4, 0
	v_mbcnt_hi_u32_b32 v28, v5, v1
	v_cmp_eq_u32_e32 vcc, 0, v28
	v_cmp_ne_u64_e64 s[0:1], 0, v[4:5]
	s_and_b64 s[2:3], s[0:1], vcc
	; wave barrier
	s_and_saveexec_b64 s[0:1], s[2:3]
	s_cbranch_execz .LBB663_93
; %bb.92:
	v_bcnt_u32_b32 v1, v4, 0
	v_bcnt_u32_b32 v1, v5, v1
	s_waitcnt lgkmcnt(0)
	v_add_u32_e32 v1, v26, v1
	ds_write_b32 v35, v1 offset:64
.LBB663_93:
	s_or_b64 exec, exec, s[0:1]
	s_waitcnt vmcnt(6)
	v_xor_b32_e32 v20, 0x80000000, v20
	v_lshrrev_b32_e32 v1, s16, v20
	v_and_b32_e32 v4, s17, v1
	v_lshl_add_u32 v1, v4, 4, v4
	v_add_lshl_u32 v38, v24, v1, 2
	v_and_b32_e32 v1, 1, v4
	v_add_co_u32_e32 v5, vcc, -1, v1
	v_addc_co_u32_e64 v33, s[0:1], 0, -1, vcc
	v_cmp_ne_u32_e32 vcc, 0, v1
	v_xor_b32_e32 v1, vcc_hi, v33
	v_and_b32_e32 v33, exec_hi, v1
	v_lshlrev_b32_e32 v1, 30, v4
	v_xor_b32_e32 v5, vcc_lo, v5
	v_cmp_gt_i64_e32 vcc, 0, v[0:1]
	v_not_b32_e32 v1, v1
	v_ashrrev_i32_e32 v1, 31, v1
	v_and_b32_e32 v5, exec_lo, v5
	v_xor_b32_e32 v36, vcc_hi, v1
	v_xor_b32_e32 v1, vcc_lo, v1
	v_and_b32_e32 v5, v5, v1
	v_lshlrev_b32_e32 v1, 29, v4
	v_cmp_gt_i64_e32 vcc, 0, v[0:1]
	v_not_b32_e32 v1, v1
	v_ashrrev_i32_e32 v1, 31, v1
	v_and_b32_e32 v33, v33, v36
	v_xor_b32_e32 v36, vcc_hi, v1
	v_xor_b32_e32 v1, vcc_lo, v1
	v_and_b32_e32 v5, v5, v1
	v_lshlrev_b32_e32 v1, 28, v4
	v_cmp_gt_i64_e32 vcc, 0, v[0:1]
	v_not_b32_e32 v1, v1
	v_ashrrev_i32_e32 v1, 31, v1
	v_and_b32_e32 v33, v33, v36
	v_xor_b32_e32 v36, vcc_hi, v1
	v_xor_b32_e32 v1, vcc_lo, v1
	v_and_b32_e32 v5, v5, v1
	v_lshlrev_b32_e32 v1, 27, v4
	v_cmp_gt_i64_e32 vcc, 0, v[0:1]
	v_not_b32_e32 v1, v1
	v_ashrrev_i32_e32 v1, 31, v1
	v_and_b32_e32 v33, v33, v36
	v_xor_b32_e32 v36, vcc_hi, v1
	v_xor_b32_e32 v1, vcc_lo, v1
	v_and_b32_e32 v5, v5, v1
	v_lshlrev_b32_e32 v1, 26, v4
	v_cmp_gt_i64_e32 vcc, 0, v[0:1]
	v_not_b32_e32 v1, v1
	v_ashrrev_i32_e32 v1, 31, v1
	v_and_b32_e32 v33, v33, v36
	v_xor_b32_e32 v36, vcc_hi, v1
	v_xor_b32_e32 v1, vcc_lo, v1
	v_and_b32_e32 v5, v5, v1
	v_lshlrev_b32_e32 v1, 25, v4
	v_cmp_gt_i64_e32 vcc, 0, v[0:1]
	v_not_b32_e32 v1, v1
	v_ashrrev_i32_e32 v1, 31, v1
	v_and_b32_e32 v33, v33, v36
	v_xor_b32_e32 v36, vcc_hi, v1
	v_xor_b32_e32 v1, vcc_lo, v1
	v_and_b32_e32 v5, v5, v1
	v_lshlrev_b32_e32 v1, 24, v4
	v_cmp_gt_i64_e32 vcc, 0, v[0:1]
	v_not_b32_e32 v0, v1
	v_ashrrev_i32_e32 v0, 31, v0
	v_xor_b32_e32 v1, vcc_hi, v0
	v_xor_b32_e32 v0, vcc_lo, v0
	; wave barrier
	ds_read_b32 v31, v38 offset:64
	v_and_b32_e32 v33, v33, v36
	v_and_b32_e32 v0, v5, v0
	;; [unrolled: 1-line block ×3, first 2 shown]
	v_mbcnt_lo_u32_b32 v4, v0, 0
	v_mbcnt_hi_u32_b32 v33, v1, v4
	v_cmp_eq_u32_e32 vcc, 0, v33
	v_cmp_ne_u64_e64 s[0:1], 0, v[0:1]
	s_and_b64 s[2:3], s[0:1], vcc
	; wave barrier
	s_and_saveexec_b64 s[0:1], s[2:3]
	s_cbranch_execz .LBB663_95
; %bb.94:
	v_bcnt_u32_b32 v0, v0, 0
	v_bcnt_u32_b32 v0, v1, v0
	s_waitcnt lgkmcnt(0)
	v_add_u32_e32 v0, v31, v0
	ds_write_b32 v38, v0 offset:64
.LBB663_95:
	s_or_b64 exec, exec, s[0:1]
	s_waitcnt vmcnt(5)
	v_xor_b32_e32 v23, 0x80000000, v23
	v_lshrrev_b32_e32 v0, s16, v23
	v_and_b32_e32 v4, s17, v0
	v_and_b32_e32 v1, 1, v4
	v_add_co_u32_e32 v5, vcc, -1, v1
	v_addc_co_u32_e64 v37, s[0:1], 0, -1, vcc
	v_cmp_ne_u32_e32 vcc, 0, v1
	v_lshl_add_u32 v0, v4, 4, v4
	v_xor_b32_e32 v1, vcc_hi, v37
	v_add_lshl_u32 v40, v24, v0, 2
	v_mov_b32_e32 v0, 0
	v_and_b32_e32 v37, exec_hi, v1
	v_lshlrev_b32_e32 v1, 30, v4
	v_xor_b32_e32 v5, vcc_lo, v5
	v_cmp_gt_i64_e32 vcc, 0, v[0:1]
	v_not_b32_e32 v1, v1
	v_ashrrev_i32_e32 v1, 31, v1
	v_and_b32_e32 v5, exec_lo, v5
	v_xor_b32_e32 v39, vcc_hi, v1
	v_xor_b32_e32 v1, vcc_lo, v1
	v_and_b32_e32 v5, v5, v1
	v_lshlrev_b32_e32 v1, 29, v4
	v_cmp_gt_i64_e32 vcc, 0, v[0:1]
	v_not_b32_e32 v1, v1
	v_ashrrev_i32_e32 v1, 31, v1
	v_and_b32_e32 v37, v37, v39
	v_xor_b32_e32 v39, vcc_hi, v1
	v_xor_b32_e32 v1, vcc_lo, v1
	v_and_b32_e32 v5, v5, v1
	v_lshlrev_b32_e32 v1, 28, v4
	v_cmp_gt_i64_e32 vcc, 0, v[0:1]
	v_not_b32_e32 v1, v1
	v_ashrrev_i32_e32 v1, 31, v1
	v_and_b32_e32 v37, v37, v39
	v_xor_b32_e32 v39, vcc_hi, v1
	v_xor_b32_e32 v1, vcc_lo, v1
	v_and_b32_e32 v5, v5, v1
	v_lshlrev_b32_e32 v1, 27, v4
	v_cmp_gt_i64_e32 vcc, 0, v[0:1]
	v_not_b32_e32 v1, v1
	v_ashrrev_i32_e32 v1, 31, v1
	v_and_b32_e32 v37, v37, v39
	v_xor_b32_e32 v39, vcc_hi, v1
	v_xor_b32_e32 v1, vcc_lo, v1
	v_and_b32_e32 v5, v5, v1
	v_lshlrev_b32_e32 v1, 26, v4
	v_cmp_gt_i64_e32 vcc, 0, v[0:1]
	v_not_b32_e32 v1, v1
	v_ashrrev_i32_e32 v1, 31, v1
	v_and_b32_e32 v37, v37, v39
	v_xor_b32_e32 v39, vcc_hi, v1
	v_xor_b32_e32 v1, vcc_lo, v1
	v_and_b32_e32 v5, v5, v1
	v_lshlrev_b32_e32 v1, 25, v4
	v_cmp_gt_i64_e32 vcc, 0, v[0:1]
	v_not_b32_e32 v1, v1
	v_ashrrev_i32_e32 v1, 31, v1
	v_and_b32_e32 v37, v37, v39
	v_xor_b32_e32 v39, vcc_hi, v1
	v_xor_b32_e32 v1, vcc_lo, v1
	v_and_b32_e32 v37, v37, v39
	v_and_b32_e32 v39, v5, v1
	v_lshlrev_b32_e32 v1, 24, v4
	v_cmp_gt_i64_e32 vcc, 0, v[0:1]
	v_not_b32_e32 v1, v1
	v_ashrrev_i32_e32 v1, 31, v1
	v_xor_b32_e32 v4, vcc_hi, v1
	v_xor_b32_e32 v1, vcc_lo, v1
	; wave barrier
	ds_read_b32 v36, v40 offset:64
	v_and_b32_e32 v5, v37, v4
	v_and_b32_e32 v4, v39, v1
	v_mbcnt_lo_u32_b32 v1, v4, 0
	v_mbcnt_hi_u32_b32 v37, v5, v1
	v_cmp_eq_u32_e32 vcc, 0, v37
	v_cmp_ne_u64_e64 s[0:1], 0, v[4:5]
	s_and_b64 s[2:3], s[0:1], vcc
	; wave barrier
	s_and_saveexec_b64 s[0:1], s[2:3]
	s_cbranch_execz .LBB663_97
; %bb.96:
	v_bcnt_u32_b32 v1, v4, 0
	v_bcnt_u32_b32 v1, v5, v1
	s_waitcnt lgkmcnt(0)
	v_add_u32_e32 v1, v36, v1
	ds_write_b32 v40, v1 offset:64
.LBB663_97:
	s_or_b64 exec, exec, s[0:1]
	s_waitcnt vmcnt(4)
	v_xor_b32_e32 v29, 0x80000000, v29
	v_lshrrev_b32_e32 v1, s16, v29
	v_and_b32_e32 v4, s17, v1
	v_lshl_add_u32 v1, v4, 4, v4
	v_add_lshl_u32 v45, v24, v1, 2
	v_and_b32_e32 v1, 1, v4
	v_add_co_u32_e32 v5, vcc, -1, v1
	v_addc_co_u32_e64 v41, s[0:1], 0, -1, vcc
	v_cmp_ne_u32_e32 vcc, 0, v1
	v_xor_b32_e32 v1, vcc_hi, v41
	v_and_b32_e32 v41, exec_hi, v1
	v_lshlrev_b32_e32 v1, 30, v4
	v_xor_b32_e32 v5, vcc_lo, v5
	v_cmp_gt_i64_e32 vcc, 0, v[0:1]
	v_not_b32_e32 v1, v1
	v_ashrrev_i32_e32 v1, 31, v1
	v_and_b32_e32 v5, exec_lo, v5
	v_xor_b32_e32 v42, vcc_hi, v1
	v_xor_b32_e32 v1, vcc_lo, v1
	v_and_b32_e32 v5, v5, v1
	v_lshlrev_b32_e32 v1, 29, v4
	v_cmp_gt_i64_e32 vcc, 0, v[0:1]
	v_not_b32_e32 v1, v1
	v_ashrrev_i32_e32 v1, 31, v1
	v_and_b32_e32 v41, v41, v42
	v_xor_b32_e32 v42, vcc_hi, v1
	v_xor_b32_e32 v1, vcc_lo, v1
	v_and_b32_e32 v5, v5, v1
	v_lshlrev_b32_e32 v1, 28, v4
	v_cmp_gt_i64_e32 vcc, 0, v[0:1]
	v_not_b32_e32 v1, v1
	v_ashrrev_i32_e32 v1, 31, v1
	v_and_b32_e32 v41, v41, v42
	;; [unrolled: 8-line block ×5, first 2 shown]
	v_xor_b32_e32 v42, vcc_hi, v1
	v_xor_b32_e32 v1, vcc_lo, v1
	v_and_b32_e32 v5, v5, v1
	v_lshlrev_b32_e32 v1, 24, v4
	v_cmp_gt_i64_e32 vcc, 0, v[0:1]
	v_not_b32_e32 v0, v1
	v_ashrrev_i32_e32 v0, 31, v0
	v_xor_b32_e32 v1, vcc_hi, v0
	v_xor_b32_e32 v0, vcc_lo, v0
	; wave barrier
	ds_read_b32 v39, v45 offset:64
	v_and_b32_e32 v41, v41, v42
	v_and_b32_e32 v0, v5, v0
	;; [unrolled: 1-line block ×3, first 2 shown]
	v_mbcnt_lo_u32_b32 v4, v0, 0
	v_mbcnt_hi_u32_b32 v41, v1, v4
	v_cmp_eq_u32_e32 vcc, 0, v41
	v_cmp_ne_u64_e64 s[0:1], 0, v[0:1]
	s_and_b64 s[2:3], s[0:1], vcc
	; wave barrier
	s_and_saveexec_b64 s[0:1], s[2:3]
	s_cbranch_execz .LBB663_99
; %bb.98:
	v_bcnt_u32_b32 v0, v0, 0
	v_bcnt_u32_b32 v0, v1, v0
	s_waitcnt lgkmcnt(0)
	v_add_u32_e32 v0, v39, v0
	ds_write_b32 v45, v0 offset:64
.LBB663_99:
	s_or_b64 exec, exec, s[0:1]
	s_waitcnt vmcnt(3)
	v_xor_b32_e32 v34, 0x80000000, v34
	v_lshrrev_b32_e32 v0, s16, v34
	v_and_b32_e32 v4, s17, v0
	v_and_b32_e32 v1, 1, v4
	v_add_co_u32_e32 v5, vcc, -1, v1
	v_addc_co_u32_e64 v43, s[0:1], 0, -1, vcc
	v_cmp_ne_u32_e32 vcc, 0, v1
	v_lshl_add_u32 v0, v4, 4, v4
	v_xor_b32_e32 v1, vcc_hi, v43
	v_add_lshl_u32 v48, v24, v0, 2
	v_mov_b32_e32 v0, 0
	v_and_b32_e32 v43, exec_hi, v1
	v_lshlrev_b32_e32 v1, 30, v4
	v_xor_b32_e32 v5, vcc_lo, v5
	v_cmp_gt_i64_e32 vcc, 0, v[0:1]
	v_not_b32_e32 v1, v1
	v_ashrrev_i32_e32 v1, 31, v1
	v_and_b32_e32 v5, exec_lo, v5
	v_xor_b32_e32 v44, vcc_hi, v1
	v_xor_b32_e32 v1, vcc_lo, v1
	v_and_b32_e32 v5, v5, v1
	v_lshlrev_b32_e32 v1, 29, v4
	v_cmp_gt_i64_e32 vcc, 0, v[0:1]
	v_not_b32_e32 v1, v1
	v_ashrrev_i32_e32 v1, 31, v1
	v_and_b32_e32 v43, v43, v44
	v_xor_b32_e32 v44, vcc_hi, v1
	v_xor_b32_e32 v1, vcc_lo, v1
	v_and_b32_e32 v5, v5, v1
	v_lshlrev_b32_e32 v1, 28, v4
	v_cmp_gt_i64_e32 vcc, 0, v[0:1]
	v_not_b32_e32 v1, v1
	v_ashrrev_i32_e32 v1, 31, v1
	v_and_b32_e32 v43, v43, v44
	;; [unrolled: 8-line block ×5, first 2 shown]
	v_xor_b32_e32 v44, vcc_hi, v1
	v_xor_b32_e32 v1, vcc_lo, v1
	v_and_b32_e32 v43, v43, v44
	v_and_b32_e32 v44, v5, v1
	v_lshlrev_b32_e32 v1, 24, v4
	v_cmp_gt_i64_e32 vcc, 0, v[0:1]
	v_not_b32_e32 v1, v1
	v_ashrrev_i32_e32 v1, 31, v1
	v_xor_b32_e32 v4, vcc_hi, v1
	v_xor_b32_e32 v1, vcc_lo, v1
	; wave barrier
	ds_read_b32 v42, v48 offset:64
	v_and_b32_e32 v5, v43, v4
	v_and_b32_e32 v4, v44, v1
	v_mbcnt_lo_u32_b32 v1, v4, 0
	v_mbcnt_hi_u32_b32 v43, v5, v1
	v_cmp_eq_u32_e32 vcc, 0, v43
	v_cmp_ne_u64_e64 s[0:1], 0, v[4:5]
	s_and_b64 s[2:3], s[0:1], vcc
	; wave barrier
	s_and_saveexec_b64 s[0:1], s[2:3]
	s_cbranch_execz .LBB663_101
; %bb.100:
	v_bcnt_u32_b32 v1, v4, 0
	v_bcnt_u32_b32 v1, v5, v1
	s_waitcnt lgkmcnt(0)
	v_add_u32_e32 v1, v42, v1
	ds_write_b32 v48, v1 offset:64
.LBB663_101:
	s_or_b64 exec, exec, s[0:1]
	s_waitcnt vmcnt(2)
	v_xor_b32_e32 v32, 0x80000000, v32
	v_lshrrev_b32_e32 v1, s16, v32
	v_and_b32_e32 v4, s17, v1
	v_lshl_add_u32 v1, v4, 4, v4
	v_add_lshl_u32 v51, v24, v1, 2
	v_and_b32_e32 v1, 1, v4
	v_add_co_u32_e32 v5, vcc, -1, v1
	v_addc_co_u32_e64 v44, s[0:1], 0, -1, vcc
	v_cmp_ne_u32_e32 vcc, 0, v1
	v_xor_b32_e32 v1, vcc_hi, v44
	v_and_b32_e32 v44, exec_hi, v1
	v_lshlrev_b32_e32 v1, 30, v4
	v_xor_b32_e32 v5, vcc_lo, v5
	v_cmp_gt_i64_e32 vcc, 0, v[0:1]
	v_not_b32_e32 v1, v1
	v_ashrrev_i32_e32 v1, 31, v1
	v_and_b32_e32 v5, exec_lo, v5
	v_xor_b32_e32 v47, vcc_hi, v1
	v_xor_b32_e32 v1, vcc_lo, v1
	v_and_b32_e32 v5, v5, v1
	v_lshlrev_b32_e32 v1, 29, v4
	v_cmp_gt_i64_e32 vcc, 0, v[0:1]
	v_not_b32_e32 v1, v1
	v_ashrrev_i32_e32 v1, 31, v1
	v_and_b32_e32 v44, v44, v47
	v_xor_b32_e32 v47, vcc_hi, v1
	v_xor_b32_e32 v1, vcc_lo, v1
	v_and_b32_e32 v5, v5, v1
	v_lshlrev_b32_e32 v1, 28, v4
	v_cmp_gt_i64_e32 vcc, 0, v[0:1]
	v_not_b32_e32 v1, v1
	v_ashrrev_i32_e32 v1, 31, v1
	v_and_b32_e32 v44, v44, v47
	;; [unrolled: 8-line block ×5, first 2 shown]
	v_xor_b32_e32 v47, vcc_hi, v1
	v_xor_b32_e32 v1, vcc_lo, v1
	v_and_b32_e32 v5, v5, v1
	v_lshlrev_b32_e32 v1, 24, v4
	v_cmp_gt_i64_e32 vcc, 0, v[0:1]
	v_not_b32_e32 v0, v1
	v_ashrrev_i32_e32 v0, 31, v0
	v_xor_b32_e32 v1, vcc_hi, v0
	v_xor_b32_e32 v0, vcc_lo, v0
	; wave barrier
	ds_read_b32 v46, v51 offset:64
	v_and_b32_e32 v44, v44, v47
	v_and_b32_e32 v0, v5, v0
	;; [unrolled: 1-line block ×3, first 2 shown]
	v_mbcnt_lo_u32_b32 v4, v0, 0
	v_mbcnt_hi_u32_b32 v47, v1, v4
	v_cmp_eq_u32_e32 vcc, 0, v47
	v_cmp_ne_u64_e64 s[0:1], 0, v[0:1]
	s_and_b64 s[2:3], s[0:1], vcc
	; wave barrier
	s_and_saveexec_b64 s[0:1], s[2:3]
	s_cbranch_execz .LBB663_103
; %bb.102:
	v_bcnt_u32_b32 v0, v0, 0
	v_bcnt_u32_b32 v0, v1, v0
	s_waitcnt lgkmcnt(0)
	v_add_u32_e32 v0, v46, v0
	ds_write_b32 v51, v0 offset:64
.LBB663_103:
	s_or_b64 exec, exec, s[0:1]
	s_waitcnt vmcnt(1)
	v_xor_b32_e32 v27, 0x80000000, v27
	v_lshrrev_b32_e32 v0, s16, v27
	v_and_b32_e32 v4, s17, v0
	v_and_b32_e32 v1, 1, v4
	v_add_co_u32_e32 v5, vcc, -1, v1
	v_addc_co_u32_e64 v44, s[0:1], 0, -1, vcc
	v_cmp_ne_u32_e32 vcc, 0, v1
	v_lshl_add_u32 v0, v4, 4, v4
	v_xor_b32_e32 v1, vcc_hi, v44
	v_add_lshl_u32 v54, v24, v0, 2
	v_mov_b32_e32 v0, 0
	v_and_b32_e32 v44, exec_hi, v1
	v_lshlrev_b32_e32 v1, 30, v4
	v_xor_b32_e32 v5, vcc_lo, v5
	v_cmp_gt_i64_e32 vcc, 0, v[0:1]
	v_not_b32_e32 v1, v1
	v_ashrrev_i32_e32 v1, 31, v1
	v_and_b32_e32 v5, exec_lo, v5
	v_xor_b32_e32 v50, vcc_hi, v1
	v_xor_b32_e32 v1, vcc_lo, v1
	v_and_b32_e32 v5, v5, v1
	v_lshlrev_b32_e32 v1, 29, v4
	v_cmp_gt_i64_e32 vcc, 0, v[0:1]
	v_not_b32_e32 v1, v1
	v_ashrrev_i32_e32 v1, 31, v1
	v_and_b32_e32 v44, v44, v50
	v_xor_b32_e32 v50, vcc_hi, v1
	v_xor_b32_e32 v1, vcc_lo, v1
	v_and_b32_e32 v5, v5, v1
	v_lshlrev_b32_e32 v1, 28, v4
	v_cmp_gt_i64_e32 vcc, 0, v[0:1]
	v_not_b32_e32 v1, v1
	v_ashrrev_i32_e32 v1, 31, v1
	v_and_b32_e32 v44, v44, v50
	v_xor_b32_e32 v50, vcc_hi, v1
	v_xor_b32_e32 v1, vcc_lo, v1
	v_and_b32_e32 v5, v5, v1
	v_lshlrev_b32_e32 v1, 27, v4
	v_cmp_gt_i64_e32 vcc, 0, v[0:1]
	v_not_b32_e32 v1, v1
	v_ashrrev_i32_e32 v1, 31, v1
	v_and_b32_e32 v44, v44, v50
	v_xor_b32_e32 v50, vcc_hi, v1
	v_xor_b32_e32 v1, vcc_lo, v1
	v_and_b32_e32 v5, v5, v1
	v_lshlrev_b32_e32 v1, 26, v4
	v_cmp_gt_i64_e32 vcc, 0, v[0:1]
	v_not_b32_e32 v1, v1
	v_ashrrev_i32_e32 v1, 31, v1
	v_and_b32_e32 v44, v44, v50
	v_xor_b32_e32 v50, vcc_hi, v1
	v_xor_b32_e32 v1, vcc_lo, v1
	v_and_b32_e32 v5, v5, v1
	v_lshlrev_b32_e32 v1, 25, v4
	v_cmp_gt_i64_e32 vcc, 0, v[0:1]
	v_not_b32_e32 v1, v1
	v_ashrrev_i32_e32 v1, 31, v1
	v_and_b32_e32 v44, v44, v50
	v_xor_b32_e32 v50, vcc_hi, v1
	v_xor_b32_e32 v1, vcc_lo, v1
	v_and_b32_e32 v44, v44, v50
	v_and_b32_e32 v50, v5, v1
	v_lshlrev_b32_e32 v1, 24, v4
	v_cmp_gt_i64_e32 vcc, 0, v[0:1]
	v_not_b32_e32 v1, v1
	v_ashrrev_i32_e32 v1, 31, v1
	v_xor_b32_e32 v4, vcc_hi, v1
	v_xor_b32_e32 v1, vcc_lo, v1
	; wave barrier
	ds_read_b32 v49, v54 offset:64
	v_and_b32_e32 v5, v44, v4
	v_and_b32_e32 v4, v50, v1
	v_mbcnt_lo_u32_b32 v1, v4, 0
	v_mbcnt_hi_u32_b32 v50, v5, v1
	v_cmp_eq_u32_e32 vcc, 0, v50
	v_cmp_ne_u64_e64 s[0:1], 0, v[4:5]
	s_and_b64 s[2:3], s[0:1], vcc
	; wave barrier
	s_and_saveexec_b64 s[0:1], s[2:3]
	s_cbranch_execz .LBB663_105
; %bb.104:
	v_bcnt_u32_b32 v1, v4, 0
	v_bcnt_u32_b32 v1, v5, v1
	s_waitcnt lgkmcnt(0)
	v_add_u32_e32 v1, v49, v1
	ds_write_b32 v54, v1 offset:64
.LBB663_105:
	s_or_b64 exec, exec, s[0:1]
	s_waitcnt vmcnt(0)
	v_xor_b32_e32 v44, 0x80000000, v9
	v_lshrrev_b32_e32 v1, s16, v44
	v_and_b32_e32 v4, s17, v1
	v_lshl_add_u32 v1, v4, 4, v4
	v_add_lshl_u32 v9, v24, v1, 2
	v_and_b32_e32 v1, 1, v4
	v_add_co_u32_e32 v5, vcc, -1, v1
	v_addc_co_u32_e64 v24, s[0:1], 0, -1, vcc
	v_cmp_ne_u32_e32 vcc, 0, v1
	v_xor_b32_e32 v1, vcc_hi, v24
	v_and_b32_e32 v24, exec_hi, v1
	v_lshlrev_b32_e32 v1, 30, v4
	v_xor_b32_e32 v5, vcc_lo, v5
	v_cmp_gt_i64_e32 vcc, 0, v[0:1]
	v_not_b32_e32 v1, v1
	v_ashrrev_i32_e32 v1, 31, v1
	v_and_b32_e32 v5, exec_lo, v5
	v_xor_b32_e32 v53, vcc_hi, v1
	v_xor_b32_e32 v1, vcc_lo, v1
	v_and_b32_e32 v5, v5, v1
	v_lshlrev_b32_e32 v1, 29, v4
	v_cmp_gt_i64_e32 vcc, 0, v[0:1]
	v_not_b32_e32 v1, v1
	v_ashrrev_i32_e32 v1, 31, v1
	v_and_b32_e32 v24, v24, v53
	v_xor_b32_e32 v53, vcc_hi, v1
	v_xor_b32_e32 v1, vcc_lo, v1
	v_and_b32_e32 v5, v5, v1
	v_lshlrev_b32_e32 v1, 28, v4
	v_cmp_gt_i64_e32 vcc, 0, v[0:1]
	v_not_b32_e32 v1, v1
	v_ashrrev_i32_e32 v1, 31, v1
	v_and_b32_e32 v24, v24, v53
	;; [unrolled: 8-line block ×5, first 2 shown]
	v_xor_b32_e32 v53, vcc_hi, v1
	v_xor_b32_e32 v1, vcc_lo, v1
	v_and_b32_e32 v5, v5, v1
	v_lshlrev_b32_e32 v1, 24, v4
	v_cmp_gt_i64_e32 vcc, 0, v[0:1]
	v_not_b32_e32 v0, v1
	v_ashrrev_i32_e32 v0, 31, v0
	v_xor_b32_e32 v1, vcc_hi, v0
	v_xor_b32_e32 v0, vcc_lo, v0
	; wave barrier
	ds_read_b32 v52, v9 offset:64
	v_and_b32_e32 v24, v24, v53
	v_and_b32_e32 v0, v5, v0
	;; [unrolled: 1-line block ×3, first 2 shown]
	v_mbcnt_lo_u32_b32 v4, v0, 0
	v_mbcnt_hi_u32_b32 v53, v1, v4
	v_cmp_eq_u32_e32 vcc, 0, v53
	v_cmp_ne_u64_e64 s[0:1], 0, v[0:1]
	v_add_u32_e32 v55, 64, v6
	s_and_b64 s[2:3], s[0:1], vcc
	; wave barrier
	s_and_saveexec_b64 s[0:1], s[2:3]
	s_cbranch_execz .LBB663_107
; %bb.106:
	v_bcnt_u32_b32 v0, v0, 0
	v_bcnt_u32_b32 v0, v1, v0
	s_waitcnt lgkmcnt(0)
	v_add_u32_e32 v0, v52, v0
	ds_write_b32 v9, v0 offset:64
.LBB663_107:
	s_or_b64 exec, exec, s[0:1]
	; wave barrier
	s_waitcnt lgkmcnt(0)
	s_barrier
	ds_read2_b32 v[4:5], v6 offset0:16 offset1:17
	ds_read2_b32 v[0:1], v55 offset0:2 offset1:3
	ds_read_b32 v24, v55 offset:16
	v_cmp_lt_u32_e64 s[8:9], 31, v3
	s_waitcnt lgkmcnt(1)
	v_add3_u32 v56, v5, v4, v0
	s_waitcnt lgkmcnt(0)
	v_add3_u32 v24, v56, v1, v24
	v_and_b32_e32 v56, 15, v3
	v_cmp_eq_u32_e32 vcc, 0, v56
	v_mov_b32_dpp v57, v24 row_shr:1 row_mask:0xf bank_mask:0xf
	v_cndmask_b32_e64 v57, v57, 0, vcc
	v_add_u32_e32 v24, v57, v24
	v_cmp_lt_u32_e64 s[0:1], 1, v56
	v_cmp_lt_u32_e64 s[2:3], 3, v56
	v_mov_b32_dpp v57, v24 row_shr:2 row_mask:0xf bank_mask:0xf
	v_cndmask_b32_e64 v57, 0, v57, s[0:1]
	v_add_u32_e32 v24, v24, v57
	v_cmp_lt_u32_e64 s[4:5], 7, v56
	s_nop 0
	v_mov_b32_dpp v57, v24 row_shr:4 row_mask:0xf bank_mask:0xf
	v_cndmask_b32_e64 v57, 0, v57, s[2:3]
	v_add_u32_e32 v24, v24, v57
	s_nop 1
	v_mov_b32_dpp v57, v24 row_shr:8 row_mask:0xf bank_mask:0xf
	v_cndmask_b32_e64 v56, 0, v57, s[4:5]
	v_add_u32_e32 v24, v24, v56
	v_bfe_i32 v57, v3, 4, 1
	s_nop 0
	v_mov_b32_dpp v56, v24 row_bcast:15 row_mask:0xf bank_mask:0xf
	v_and_b32_e32 v56, v57, v56
	v_add_u32_e32 v24, v24, v56
	v_lshrrev_b32_e32 v57, 6, v2
	s_nop 0
	v_mov_b32_dpp v56, v24 row_bcast:31 row_mask:0xf bank_mask:0xf
	v_cndmask_b32_e64 v56, 0, v56, s[8:9]
	v_add_u32_e32 v56, v24, v56
	v_and_b32_e32 v24, 63, v2
	v_cmp_eq_u32_e64 s[8:9], 63, v24
	s_and_saveexec_b64 s[10:11], s[8:9]
	s_cbranch_execz .LBB663_109
; %bb.108:
	v_lshlrev_b32_e32 v24, 2, v57
	ds_write_b32 v24, v56
.LBB663_109:
	s_or_b64 exec, exec, s[10:11]
	v_cmp_gt_u32_e64 s[8:9], 16, v2
	v_lshlrev_b32_e32 v24, 2, v2
	s_waitcnt lgkmcnt(0)
	s_barrier
	s_and_saveexec_b64 s[10:11], s[8:9]
	s_cbranch_execz .LBB663_111
; %bb.110:
	ds_read_b32 v58, v24
	s_waitcnt lgkmcnt(0)
	s_nop 0
	v_mov_b32_dpp v59, v58 row_shr:1 row_mask:0xf bank_mask:0xf
	v_cndmask_b32_e64 v59, v59, 0, vcc
	v_add_u32_e32 v58, v59, v58
	s_nop 1
	v_mov_b32_dpp v59, v58 row_shr:2 row_mask:0xf bank_mask:0xf
	v_cndmask_b32_e64 v59, 0, v59, s[0:1]
	v_add_u32_e32 v58, v58, v59
	s_nop 1
	v_mov_b32_dpp v59, v58 row_shr:4 row_mask:0xf bank_mask:0xf
	v_cndmask_b32_e64 v59, 0, v59, s[2:3]
	v_add_u32_e32 v58, v58, v59
	s_nop 1
	v_mov_b32_dpp v59, v58 row_shr:8 row_mask:0xf bank_mask:0xf
	v_cndmask_b32_e64 v59, 0, v59, s[4:5]
	v_add_u32_e32 v58, v58, v59
	ds_write_b32 v24, v58
.LBB663_111:
	s_or_b64 exec, exec, s[10:11]
	v_cmp_lt_u32_e32 vcc, 63, v2
	v_mov_b32_e32 v58, 0
	s_waitcnt lgkmcnt(0)
	s_barrier
	s_and_saveexec_b64 s[0:1], vcc
	s_cbranch_execz .LBB663_113
; %bb.112:
	v_lshl_add_u32 v57, v57, 2, -4
	ds_read_b32 v58, v57
.LBB663_113:
	s_or_b64 exec, exec, s[0:1]
	v_add_u32_e32 v57, -1, v3
	v_and_b32_e32 v59, 64, v3
	v_cmp_lt_i32_e32 vcc, v57, v59
	v_cndmask_b32_e32 v57, v57, v3, vcc
	s_waitcnt lgkmcnt(0)
	v_add_u32_e32 v56, v58, v56
	v_lshlrev_b32_e32 v57, 2, v57
	ds_bpermute_b32 v56, v57, v56
	v_cmp_eq_u32_e32 vcc, 0, v3
	s_movk_i32 s2, 0xff
	s_movk_i32 s0, 0x100
	v_cmp_gt_u32_e64 s[0:1], s0, v2
	s_waitcnt lgkmcnt(0)
	v_cndmask_b32_e32 v3, v56, v58, vcc
	v_cmp_ne_u32_e32 vcc, 0, v2
	v_cndmask_b32_e32 v3, 0, v3, vcc
	v_add_u32_e32 v4, v3, v4
	v_add_u32_e32 v5, v4, v5
	;; [unrolled: 1-line block ×4, first 2 shown]
	ds_write2_b32 v6, v3, v4 offset0:16 offset1:17
	ds_write2_b32 v55, v5, v0 offset0:2 offset1:3
	ds_write_b32 v55, v1 offset:16
	s_waitcnt lgkmcnt(0)
	s_barrier
	ds_read_b32 v59, v7 offset:64
	ds_read_b32 v55, v8 offset:64
	;; [unrolled: 1-line block ×12, first 2 shown]
	v_cmp_lt_u32_e32 vcc, s2, v2
	v_pk_mov_b32 v[4:5], 0, 0
                                        ; implicit-def: $vgpr40
	s_and_saveexec_b64 s[4:5], s[0:1]
	s_cbranch_execz .LBB663_117
; %bb.114:
	v_mul_u32_u24_e32 v0, 17, v2
	v_lshlrev_b32_e32 v1, 2, v0
	ds_read_b32 v4, v1 offset:64
	v_cmp_ne_u32_e64 s[2:3], s2, v2
	v_mov_b32_e32 v0, 0x3000
	s_and_saveexec_b64 s[8:9], s[2:3]
	s_cbranch_execz .LBB663_116
; %bb.115:
	ds_read_b32 v0, v1 offset:132
.LBB663_116:
	s_or_b64 exec, exec, s[8:9]
	s_waitcnt lgkmcnt(0)
	v_sub_u32_e32 v40, v0, v4
	v_mov_b32_e32 v5, 0
.LBB663_117:
	s_or_b64 exec, exec, s[4:5]
	s_waitcnt lgkmcnt(0)
	s_barrier
	s_and_saveexec_b64 s[2:3], vcc
	s_xor_b64 s[2:3], exec, s[2:3]
; %bb.118:
	v_mov_b32_e32 v3, 0
; %bb.119:
	s_andn2_saveexec_b64 s[2:3], s[2:3]
	s_cbranch_execz .LBB663_129
; %bb.120:
	v_lshl_or_b32 v0, s6, 8, v2
	v_mov_b32_e32 v1, 0
	v_lshlrev_b64 v[6:7], 2, v[0:1]
	v_mov_b32_e32 v3, s25
	v_add_co_u32_e32 v6, vcc, s24, v6
	v_addc_co_u32_e32 v7, vcc, v3, v7, vcc
	v_or_b32_e32 v0, 2.0, v40
	s_mov_b64 s[4:5], 0
	s_brev_b32 s18, 1
	s_mov_b32 s19, s6
	v_mov_b32_e32 v54, 0
	global_store_dword v[6:7], v0, off
                                        ; implicit-def: $sgpr8_sgpr9
	s_branch .LBB663_123
.LBB663_121:                            ;   in Loop: Header=BB663_123 Depth=1
	s_or_b64 exec, exec, s[10:11]
.LBB663_122:                            ;   in Loop: Header=BB663_123 Depth=1
	s_or_b64 exec, exec, s[8:9]
	v_and_b32_e32 v8, 0x3fffffff, v60
	v_add_u32_e32 v54, v8, v54
	v_cmp_eq_u32_e64 s[8:9], s18, v0
	s_and_b64 s[10:11], exec, s[8:9]
	s_or_b64 s[4:5], s[10:11], s[4:5]
	s_andn2_b64 exec, exec, s[4:5]
	s_cbranch_execz .LBB663_128
.LBB663_123:                            ; =>This Loop Header: Depth=1
                                        ;     Child Loop BB663_126 Depth 2
	s_or_b64 s[8:9], s[8:9], exec
	s_cmp_eq_u32 s19, 0
	s_cbranch_scc1 .LBB663_127
; %bb.124:                              ;   in Loop: Header=BB663_123 Depth=1
	s_add_i32 s19, s19, -1
	v_lshl_or_b32 v0, s19, 8, v2
	v_lshlrev_b64 v[8:9], 2, v[0:1]
	v_add_co_u32_e32 v8, vcc, s24, v8
	v_addc_co_u32_e32 v9, vcc, v3, v9, vcc
	global_load_dword v60, v[8:9], off glc
	s_waitcnt vmcnt(0)
	v_and_b32_e32 v0, -2.0, v60
	v_cmp_eq_u32_e32 vcc, 0, v0
	s_and_saveexec_b64 s[8:9], vcc
	s_cbranch_execz .LBB663_122
; %bb.125:                              ;   in Loop: Header=BB663_123 Depth=1
	s_mov_b64 s[10:11], 0
.LBB663_126:                            ;   Parent Loop BB663_123 Depth=1
                                        ; =>  This Inner Loop Header: Depth=2
	global_load_dword v60, v[8:9], off glc
	s_waitcnt vmcnt(0)
	v_and_b32_e32 v0, -2.0, v60
	v_cmp_ne_u32_e32 vcc, 0, v0
	s_or_b64 s[10:11], vcc, s[10:11]
	s_andn2_b64 exec, exec, s[10:11]
	s_cbranch_execnz .LBB663_126
	s_branch .LBB663_121
.LBB663_127:                            ;   in Loop: Header=BB663_123 Depth=1
                                        ; implicit-def: $sgpr19
	s_and_b64 s[10:11], exec, s[8:9]
	s_or_b64 s[4:5], s[10:11], s[4:5]
	s_andn2_b64 exec, exec, s[4:5]
	s_cbranch_execnz .LBB663_123
.LBB663_128:
	s_or_b64 exec, exec, s[4:5]
	v_add_u32_e32 v0, v54, v40
	v_or_b32_e32 v0, 0x80000000, v0
	global_store_dword v[6:7], v0, off
	v_lshlrev_b32_e32 v6, 3, v2
	global_load_dwordx2 v[0:1], v6, s[12:13]
	v_sub_co_u32_e32 v7, vcc, v54, v4
	v_subb_co_u32_e32 v8, vcc, 0, v5, vcc
	v_mov_b32_e32 v3, 0
	s_waitcnt vmcnt(0)
	v_add_co_u32_e32 v0, vcc, v7, v0
	v_addc_co_u32_e32 v1, vcc, v8, v1, vcc
	ds_write_b64 v6, v[0:1]
.LBB663_129:
	s_or_b64 exec, exec, s[2:3]
	v_lshlrev_b64 v[0:1], 2, v[2:3]
	v_add3_u32 v15, v16, v55, v15
	v_mov_b32_e32 v16, s23
	v_add_co_u32_e32 v0, vcc, s22, v0
	v_add_u32_e32 v6, v59, v14
	v_add_u32_e32 v7, 0x800, v24
	v_add3_u32 v8, v53, v51, v52
	v_add3_u32 v9, v50, v48, v49
	;; [unrolled: 1-line block ×10, first 2 shown]
	v_addc_co_u32_e32 v1, vcc, v16, v1, vcc
	s_mov_b32 s2, 0
	s_movk_i32 s3, 0x1000
	s_movk_i32 s4, 0x2000
.LBB663_130:                            ; =>This Inner Loop Header: Depth=1
	v_add_u32_e32 v16, s2, v6
	v_add_u32_e32 v36, s2, v31
	;; [unrolled: 1-line block ×12, first 2 shown]
	v_min_u32_e32 v16, 0x1000, v16
	v_min_u32_e32 v36, 0x1000, v36
	;; [unrolled: 1-line block ×12, first 2 shown]
	v_lshlrev_b32_e32 v16, 2, v16
	v_lshlrev_b32_e32 v36, 2, v36
	;; [unrolled: 1-line block ×12, first 2 shown]
	ds_write_b32 v16, v10 offset:2048
	ds_write_b32 v19, v11 offset:2048
	ds_write_b32 v22, v12 offset:2048
	ds_write_b32 v28, v13 offset:2048
	ds_write_b32 v33, v17 offset:2048
	ds_write_b32 v36, v20 offset:2048
	ds_write_b32 v37, v23 offset:2048
	ds_write_b32 v38, v29 offset:2048
	ds_write_b32 v39, v34 offset:2048
	ds_write_b32 v41, v32 offset:2048
	ds_write_b32 v42, v27 offset:2048
	ds_write_b32 v43, v44 offset:2048
	s_waitcnt lgkmcnt(0)
	s_barrier
	ds_read_b32 v16, v24 offset:2048
	ds_read2st64_b32 v[36:37], v7 offset0:16 offset1:32
	s_addk_i32 s2, 0xf000
	s_cmpk_lg_i32 s2, 0xd000
	s_waitcnt lgkmcnt(1)
	v_lshrrev_b32_e32 v19, s16, v16
	s_waitcnt lgkmcnt(0)
	v_lshrrev_b32_e32 v22, s16, v36
	v_lshrrev_b32_e32 v33, s16, v37
	v_and_b32_e32 v19, s17, v19
	v_and_b32_e32 v22, s17, v22
	;; [unrolled: 1-line block ×3, first 2 shown]
	v_lshlrev_b32_e32 v19, 3, v19
	v_xor_b32_e32 v28, 0x80000000, v36
	v_xor_b32_e32 v41, 0x80000000, v37
	v_lshlrev_b32_e32 v22, 3, v22
	v_lshlrev_b32_e32 v33, 3, v33
	ds_read_b64 v[36:37], v19
	ds_read_b64 v[38:39], v22
	;; [unrolled: 1-line block ×3, first 2 shown]
	ds_read_b32 v19, v7 offset:12288
	v_xor_b32_e32 v16, 0x80000000, v16
	s_waitcnt lgkmcnt(3)
	v_lshlrev_b64 v[36:37], 2, v[36:37]
	v_add_co_u32_e32 v36, vcc, v0, v36
	s_waitcnt lgkmcnt(2)
	v_lshlrev_b64 v[38:39], 2, v[38:39]
	v_addc_co_u32_e32 v37, vcc, v1, v37, vcc
	v_add_co_u32_e32 v33, vcc, v0, v38
	s_waitcnt lgkmcnt(1)
	v_lshlrev_b64 v[42:43], 2, v[42:43]
	v_addc_co_u32_e32 v38, vcc, v1, v39, vcc
	v_add_co_u32_e32 v39, vcc, v0, v42
	s_waitcnt lgkmcnt(0)
	v_lshrrev_b32_e32 v22, s16, v19
	v_addc_co_u32_e32 v42, vcc, v1, v43, vcc
	v_and_b32_e32 v22, s17, v22
	global_store_dword v[36:37], v16, off
	v_add_co_u32_e32 v36, vcc, s3, v33
	v_addc_co_u32_e32 v37, vcc, 0, v38, vcc
	v_lshlrev_b32_e32 v16, 3, v22
	global_store_dword v[36:37], v28, off
	ds_read_b64 v[36:37], v16
	v_add_co_u32_e32 v38, vcc, s4, v39
	v_addc_co_u32_e32 v39, vcc, 0, v42, vcc
	s_waitcnt lgkmcnt(0)
	v_lshlrev_b64 v[36:37], 2, v[36:37]
	v_add_co_u32_e32 v16, vcc, v0, v36
	v_addc_co_u32_e32 v22, vcc, v1, v37, vcc
	v_add_co_u32_e32 v36, vcc, 0x3000, v16
	v_addc_co_u32_e32 v37, vcc, 0, v22, vcc
	v_add_co_u32_e32 v0, vcc, 0x4000, v0
	v_xor_b32_e32 v19, 0x80000000, v19
	v_addc_co_u32_e32 v1, vcc, 0, v1, vcc
	global_store_dword v[38:39], v41, off
	global_store_dword v[36:37], v19, off
	s_barrier
	s_cbranch_scc1 .LBB663_130
; %bb.131:
	s_add_i32 s7, s7, -1
	s_cmp_eq_u32 s7, s6
	s_cselect_b64 s[2:3], -1, 0
	s_and_b64 s[0:1], s[0:1], s[2:3]
.LBB663_132:
	s_and_saveexec_b64 s[2:3], s[0:1]
	s_cbranch_execnz .LBB663_134
; %bb.133:
	s_endpgm
.LBB663_134:
	v_lshlrev_b32_e32 v6, 3, v2
	v_lshlrev_b64 v[0:1], 3, v[2:3]
	ds_read_b64 v[2:3], v6
	v_add_co_u32_e32 v4, vcc, v4, v40
	v_addc_co_u32_e32 v5, vcc, 0, v5, vcc
	v_mov_b32_e32 v7, s15
	v_add_co_u32_e32 v0, vcc, s14, v0
	v_addc_co_u32_e32 v1, vcc, v7, v1, vcc
	s_waitcnt lgkmcnt(0)
	v_add_co_u32_e32 v2, vcc, v4, v2
	v_addc_co_u32_e32 v3, vcc, v5, v3, vcc
	global_store_dwordx2 v[0:1], v[2:3], off
	s_endpgm
	.section	.rodata,"a",@progbits
	.p2align	6, 0x0
	.amdhsa_kernel _ZN7rocprim17ROCPRIM_400000_NS6detail17trampoline_kernelINS0_14default_configENS1_35radix_sort_onesweep_config_selectorIiNS0_10empty_typeEEEZZNS1_29radix_sort_onesweep_iterationIS3_Lb0EPiS8_PS5_S9_mNS0_19identity_decomposerENS1_16block_id_wrapperIjLb0EEEEE10hipError_tT1_PNSt15iterator_traitsISE_E10value_typeET2_T3_PNSF_ISK_E10value_typeET4_T5_PSP_SQ_PNS1_23onesweep_lookback_stateEbbT6_jjT7_P12ihipStream_tbENKUlT_T0_SE_SJ_E_clIS8_S8_S9_S9_EEDaSX_SY_SE_SJ_EUlSX_E_NS1_11comp_targetILNS1_3genE4ELNS1_11target_archE910ELNS1_3gpuE8ELNS1_3repE0EEENS1_47radix_sort_onesweep_sort_config_static_selectorELNS0_4arch9wavefront6targetE1EEEvSE_
		.amdhsa_group_segment_fixed_size 20552
		.amdhsa_private_segment_fixed_size 0
		.amdhsa_kernarg_size 344
		.amdhsa_user_sgpr_count 6
		.amdhsa_user_sgpr_private_segment_buffer 1
		.amdhsa_user_sgpr_dispatch_ptr 0
		.amdhsa_user_sgpr_queue_ptr 0
		.amdhsa_user_sgpr_kernarg_segment_ptr 1
		.amdhsa_user_sgpr_dispatch_id 0
		.amdhsa_user_sgpr_flat_scratch_init 0
		.amdhsa_user_sgpr_kernarg_preload_length 0
		.amdhsa_user_sgpr_kernarg_preload_offset 0
		.amdhsa_user_sgpr_private_segment_size 0
		.amdhsa_uses_dynamic_stack 0
		.amdhsa_system_sgpr_private_segment_wavefront_offset 0
		.amdhsa_system_sgpr_workgroup_id_x 1
		.amdhsa_system_sgpr_workgroup_id_y 0
		.amdhsa_system_sgpr_workgroup_id_z 0
		.amdhsa_system_sgpr_workgroup_info 0
		.amdhsa_system_vgpr_workitem_id 2
		.amdhsa_next_free_vgpr 63
		.amdhsa_next_free_sgpr 31
		.amdhsa_accum_offset 64
		.amdhsa_reserve_vcc 1
		.amdhsa_reserve_flat_scratch 0
		.amdhsa_float_round_mode_32 0
		.amdhsa_float_round_mode_16_64 0
		.amdhsa_float_denorm_mode_32 3
		.amdhsa_float_denorm_mode_16_64 3
		.amdhsa_dx10_clamp 1
		.amdhsa_ieee_mode 1
		.amdhsa_fp16_overflow 0
		.amdhsa_tg_split 0
		.amdhsa_exception_fp_ieee_invalid_op 0
		.amdhsa_exception_fp_denorm_src 0
		.amdhsa_exception_fp_ieee_div_zero 0
		.amdhsa_exception_fp_ieee_overflow 0
		.amdhsa_exception_fp_ieee_underflow 0
		.amdhsa_exception_fp_ieee_inexact 0
		.amdhsa_exception_int_div_zero 0
	.end_amdhsa_kernel
	.section	.text._ZN7rocprim17ROCPRIM_400000_NS6detail17trampoline_kernelINS0_14default_configENS1_35radix_sort_onesweep_config_selectorIiNS0_10empty_typeEEEZZNS1_29radix_sort_onesweep_iterationIS3_Lb0EPiS8_PS5_S9_mNS0_19identity_decomposerENS1_16block_id_wrapperIjLb0EEEEE10hipError_tT1_PNSt15iterator_traitsISE_E10value_typeET2_T3_PNSF_ISK_E10value_typeET4_T5_PSP_SQ_PNS1_23onesweep_lookback_stateEbbT6_jjT7_P12ihipStream_tbENKUlT_T0_SE_SJ_E_clIS8_S8_S9_S9_EEDaSX_SY_SE_SJ_EUlSX_E_NS1_11comp_targetILNS1_3genE4ELNS1_11target_archE910ELNS1_3gpuE8ELNS1_3repE0EEENS1_47radix_sort_onesweep_sort_config_static_selectorELNS0_4arch9wavefront6targetE1EEEvSE_,"axG",@progbits,_ZN7rocprim17ROCPRIM_400000_NS6detail17trampoline_kernelINS0_14default_configENS1_35radix_sort_onesweep_config_selectorIiNS0_10empty_typeEEEZZNS1_29radix_sort_onesweep_iterationIS3_Lb0EPiS8_PS5_S9_mNS0_19identity_decomposerENS1_16block_id_wrapperIjLb0EEEEE10hipError_tT1_PNSt15iterator_traitsISE_E10value_typeET2_T3_PNSF_ISK_E10value_typeET4_T5_PSP_SQ_PNS1_23onesweep_lookback_stateEbbT6_jjT7_P12ihipStream_tbENKUlT_T0_SE_SJ_E_clIS8_S8_S9_S9_EEDaSX_SY_SE_SJ_EUlSX_E_NS1_11comp_targetILNS1_3genE4ELNS1_11target_archE910ELNS1_3gpuE8ELNS1_3repE0EEENS1_47radix_sort_onesweep_sort_config_static_selectorELNS0_4arch9wavefront6targetE1EEEvSE_,comdat
.Lfunc_end663:
	.size	_ZN7rocprim17ROCPRIM_400000_NS6detail17trampoline_kernelINS0_14default_configENS1_35radix_sort_onesweep_config_selectorIiNS0_10empty_typeEEEZZNS1_29radix_sort_onesweep_iterationIS3_Lb0EPiS8_PS5_S9_mNS0_19identity_decomposerENS1_16block_id_wrapperIjLb0EEEEE10hipError_tT1_PNSt15iterator_traitsISE_E10value_typeET2_T3_PNSF_ISK_E10value_typeET4_T5_PSP_SQ_PNS1_23onesweep_lookback_stateEbbT6_jjT7_P12ihipStream_tbENKUlT_T0_SE_SJ_E_clIS8_S8_S9_S9_EEDaSX_SY_SE_SJ_EUlSX_E_NS1_11comp_targetILNS1_3genE4ELNS1_11target_archE910ELNS1_3gpuE8ELNS1_3repE0EEENS1_47radix_sort_onesweep_sort_config_static_selectorELNS0_4arch9wavefront6targetE1EEEvSE_, .Lfunc_end663-_ZN7rocprim17ROCPRIM_400000_NS6detail17trampoline_kernelINS0_14default_configENS1_35radix_sort_onesweep_config_selectorIiNS0_10empty_typeEEEZZNS1_29radix_sort_onesweep_iterationIS3_Lb0EPiS8_PS5_S9_mNS0_19identity_decomposerENS1_16block_id_wrapperIjLb0EEEEE10hipError_tT1_PNSt15iterator_traitsISE_E10value_typeET2_T3_PNSF_ISK_E10value_typeET4_T5_PSP_SQ_PNS1_23onesweep_lookback_stateEbbT6_jjT7_P12ihipStream_tbENKUlT_T0_SE_SJ_E_clIS8_S8_S9_S9_EEDaSX_SY_SE_SJ_EUlSX_E_NS1_11comp_targetILNS1_3genE4ELNS1_11target_archE910ELNS1_3gpuE8ELNS1_3repE0EEENS1_47radix_sort_onesweep_sort_config_static_selectorELNS0_4arch9wavefront6targetE1EEEvSE_
                                        ; -- End function
	.section	.AMDGPU.csdata,"",@progbits
; Kernel info:
; codeLenInByte = 14124
; NumSgprs: 35
; NumVgprs: 63
; NumAgprs: 0
; TotalNumVgprs: 63
; ScratchSize: 0
; MemoryBound: 0
; FloatMode: 240
; IeeeMode: 1
; LDSByteSize: 20552 bytes/workgroup (compile time only)
; SGPRBlocks: 4
; VGPRBlocks: 7
; NumSGPRsForWavesPerEU: 35
; NumVGPRsForWavesPerEU: 63
; AccumOffset: 64
; Occupancy: 8
; WaveLimiterHint : 1
; COMPUTE_PGM_RSRC2:SCRATCH_EN: 0
; COMPUTE_PGM_RSRC2:USER_SGPR: 6
; COMPUTE_PGM_RSRC2:TRAP_HANDLER: 0
; COMPUTE_PGM_RSRC2:TGID_X_EN: 1
; COMPUTE_PGM_RSRC2:TGID_Y_EN: 0
; COMPUTE_PGM_RSRC2:TGID_Z_EN: 0
; COMPUTE_PGM_RSRC2:TIDIG_COMP_CNT: 2
; COMPUTE_PGM_RSRC3_GFX90A:ACCUM_OFFSET: 15
; COMPUTE_PGM_RSRC3_GFX90A:TG_SPLIT: 0
	.section	.text._ZN7rocprim17ROCPRIM_400000_NS6detail17trampoline_kernelINS0_14default_configENS1_35radix_sort_onesweep_config_selectorIiNS0_10empty_typeEEEZZNS1_29radix_sort_onesweep_iterationIS3_Lb0EPiS8_PS5_S9_mNS0_19identity_decomposerENS1_16block_id_wrapperIjLb0EEEEE10hipError_tT1_PNSt15iterator_traitsISE_E10value_typeET2_T3_PNSF_ISK_E10value_typeET4_T5_PSP_SQ_PNS1_23onesweep_lookback_stateEbbT6_jjT7_P12ihipStream_tbENKUlT_T0_SE_SJ_E_clIS8_S8_S9_S9_EEDaSX_SY_SE_SJ_EUlSX_E_NS1_11comp_targetILNS1_3genE3ELNS1_11target_archE908ELNS1_3gpuE7ELNS1_3repE0EEENS1_47radix_sort_onesweep_sort_config_static_selectorELNS0_4arch9wavefront6targetE1EEEvSE_,"axG",@progbits,_ZN7rocprim17ROCPRIM_400000_NS6detail17trampoline_kernelINS0_14default_configENS1_35radix_sort_onesweep_config_selectorIiNS0_10empty_typeEEEZZNS1_29radix_sort_onesweep_iterationIS3_Lb0EPiS8_PS5_S9_mNS0_19identity_decomposerENS1_16block_id_wrapperIjLb0EEEEE10hipError_tT1_PNSt15iterator_traitsISE_E10value_typeET2_T3_PNSF_ISK_E10value_typeET4_T5_PSP_SQ_PNS1_23onesweep_lookback_stateEbbT6_jjT7_P12ihipStream_tbENKUlT_T0_SE_SJ_E_clIS8_S8_S9_S9_EEDaSX_SY_SE_SJ_EUlSX_E_NS1_11comp_targetILNS1_3genE3ELNS1_11target_archE908ELNS1_3gpuE7ELNS1_3repE0EEENS1_47radix_sort_onesweep_sort_config_static_selectorELNS0_4arch9wavefront6targetE1EEEvSE_,comdat
	.protected	_ZN7rocprim17ROCPRIM_400000_NS6detail17trampoline_kernelINS0_14default_configENS1_35radix_sort_onesweep_config_selectorIiNS0_10empty_typeEEEZZNS1_29radix_sort_onesweep_iterationIS3_Lb0EPiS8_PS5_S9_mNS0_19identity_decomposerENS1_16block_id_wrapperIjLb0EEEEE10hipError_tT1_PNSt15iterator_traitsISE_E10value_typeET2_T3_PNSF_ISK_E10value_typeET4_T5_PSP_SQ_PNS1_23onesweep_lookback_stateEbbT6_jjT7_P12ihipStream_tbENKUlT_T0_SE_SJ_E_clIS8_S8_S9_S9_EEDaSX_SY_SE_SJ_EUlSX_E_NS1_11comp_targetILNS1_3genE3ELNS1_11target_archE908ELNS1_3gpuE7ELNS1_3repE0EEENS1_47radix_sort_onesweep_sort_config_static_selectorELNS0_4arch9wavefront6targetE1EEEvSE_ ; -- Begin function _ZN7rocprim17ROCPRIM_400000_NS6detail17trampoline_kernelINS0_14default_configENS1_35radix_sort_onesweep_config_selectorIiNS0_10empty_typeEEEZZNS1_29radix_sort_onesweep_iterationIS3_Lb0EPiS8_PS5_S9_mNS0_19identity_decomposerENS1_16block_id_wrapperIjLb0EEEEE10hipError_tT1_PNSt15iterator_traitsISE_E10value_typeET2_T3_PNSF_ISK_E10value_typeET4_T5_PSP_SQ_PNS1_23onesweep_lookback_stateEbbT6_jjT7_P12ihipStream_tbENKUlT_T0_SE_SJ_E_clIS8_S8_S9_S9_EEDaSX_SY_SE_SJ_EUlSX_E_NS1_11comp_targetILNS1_3genE3ELNS1_11target_archE908ELNS1_3gpuE7ELNS1_3repE0EEENS1_47radix_sort_onesweep_sort_config_static_selectorELNS0_4arch9wavefront6targetE1EEEvSE_
	.globl	_ZN7rocprim17ROCPRIM_400000_NS6detail17trampoline_kernelINS0_14default_configENS1_35radix_sort_onesweep_config_selectorIiNS0_10empty_typeEEEZZNS1_29radix_sort_onesweep_iterationIS3_Lb0EPiS8_PS5_S9_mNS0_19identity_decomposerENS1_16block_id_wrapperIjLb0EEEEE10hipError_tT1_PNSt15iterator_traitsISE_E10value_typeET2_T3_PNSF_ISK_E10value_typeET4_T5_PSP_SQ_PNS1_23onesweep_lookback_stateEbbT6_jjT7_P12ihipStream_tbENKUlT_T0_SE_SJ_E_clIS8_S8_S9_S9_EEDaSX_SY_SE_SJ_EUlSX_E_NS1_11comp_targetILNS1_3genE3ELNS1_11target_archE908ELNS1_3gpuE7ELNS1_3repE0EEENS1_47radix_sort_onesweep_sort_config_static_selectorELNS0_4arch9wavefront6targetE1EEEvSE_
	.p2align	8
	.type	_ZN7rocprim17ROCPRIM_400000_NS6detail17trampoline_kernelINS0_14default_configENS1_35radix_sort_onesweep_config_selectorIiNS0_10empty_typeEEEZZNS1_29radix_sort_onesweep_iterationIS3_Lb0EPiS8_PS5_S9_mNS0_19identity_decomposerENS1_16block_id_wrapperIjLb0EEEEE10hipError_tT1_PNSt15iterator_traitsISE_E10value_typeET2_T3_PNSF_ISK_E10value_typeET4_T5_PSP_SQ_PNS1_23onesweep_lookback_stateEbbT6_jjT7_P12ihipStream_tbENKUlT_T0_SE_SJ_E_clIS8_S8_S9_S9_EEDaSX_SY_SE_SJ_EUlSX_E_NS1_11comp_targetILNS1_3genE3ELNS1_11target_archE908ELNS1_3gpuE7ELNS1_3repE0EEENS1_47radix_sort_onesweep_sort_config_static_selectorELNS0_4arch9wavefront6targetE1EEEvSE_,@function
_ZN7rocprim17ROCPRIM_400000_NS6detail17trampoline_kernelINS0_14default_configENS1_35radix_sort_onesweep_config_selectorIiNS0_10empty_typeEEEZZNS1_29radix_sort_onesweep_iterationIS3_Lb0EPiS8_PS5_S9_mNS0_19identity_decomposerENS1_16block_id_wrapperIjLb0EEEEE10hipError_tT1_PNSt15iterator_traitsISE_E10value_typeET2_T3_PNSF_ISK_E10value_typeET4_T5_PSP_SQ_PNS1_23onesweep_lookback_stateEbbT6_jjT7_P12ihipStream_tbENKUlT_T0_SE_SJ_E_clIS8_S8_S9_S9_EEDaSX_SY_SE_SJ_EUlSX_E_NS1_11comp_targetILNS1_3genE3ELNS1_11target_archE908ELNS1_3gpuE7ELNS1_3repE0EEENS1_47radix_sort_onesweep_sort_config_static_selectorELNS0_4arch9wavefront6targetE1EEEvSE_: ; @_ZN7rocprim17ROCPRIM_400000_NS6detail17trampoline_kernelINS0_14default_configENS1_35radix_sort_onesweep_config_selectorIiNS0_10empty_typeEEEZZNS1_29radix_sort_onesweep_iterationIS3_Lb0EPiS8_PS5_S9_mNS0_19identity_decomposerENS1_16block_id_wrapperIjLb0EEEEE10hipError_tT1_PNSt15iterator_traitsISE_E10value_typeET2_T3_PNSF_ISK_E10value_typeET4_T5_PSP_SQ_PNS1_23onesweep_lookback_stateEbbT6_jjT7_P12ihipStream_tbENKUlT_T0_SE_SJ_E_clIS8_S8_S9_S9_EEDaSX_SY_SE_SJ_EUlSX_E_NS1_11comp_targetILNS1_3genE3ELNS1_11target_archE908ELNS1_3gpuE7ELNS1_3repE0EEENS1_47radix_sort_onesweep_sort_config_static_selectorELNS0_4arch9wavefront6targetE1EEEvSE_
; %bb.0:
	.section	.rodata,"a",@progbits
	.p2align	6, 0x0
	.amdhsa_kernel _ZN7rocprim17ROCPRIM_400000_NS6detail17trampoline_kernelINS0_14default_configENS1_35radix_sort_onesweep_config_selectorIiNS0_10empty_typeEEEZZNS1_29radix_sort_onesweep_iterationIS3_Lb0EPiS8_PS5_S9_mNS0_19identity_decomposerENS1_16block_id_wrapperIjLb0EEEEE10hipError_tT1_PNSt15iterator_traitsISE_E10value_typeET2_T3_PNSF_ISK_E10value_typeET4_T5_PSP_SQ_PNS1_23onesweep_lookback_stateEbbT6_jjT7_P12ihipStream_tbENKUlT_T0_SE_SJ_E_clIS8_S8_S9_S9_EEDaSX_SY_SE_SJ_EUlSX_E_NS1_11comp_targetILNS1_3genE3ELNS1_11target_archE908ELNS1_3gpuE7ELNS1_3repE0EEENS1_47radix_sort_onesweep_sort_config_static_selectorELNS0_4arch9wavefront6targetE1EEEvSE_
		.amdhsa_group_segment_fixed_size 0
		.amdhsa_private_segment_fixed_size 0
		.amdhsa_kernarg_size 88
		.amdhsa_user_sgpr_count 6
		.amdhsa_user_sgpr_private_segment_buffer 1
		.amdhsa_user_sgpr_dispatch_ptr 0
		.amdhsa_user_sgpr_queue_ptr 0
		.amdhsa_user_sgpr_kernarg_segment_ptr 1
		.amdhsa_user_sgpr_dispatch_id 0
		.amdhsa_user_sgpr_flat_scratch_init 0
		.amdhsa_user_sgpr_kernarg_preload_length 0
		.amdhsa_user_sgpr_kernarg_preload_offset 0
		.amdhsa_user_sgpr_private_segment_size 0
		.amdhsa_uses_dynamic_stack 0
		.amdhsa_system_sgpr_private_segment_wavefront_offset 0
		.amdhsa_system_sgpr_workgroup_id_x 1
		.amdhsa_system_sgpr_workgroup_id_y 0
		.amdhsa_system_sgpr_workgroup_id_z 0
		.amdhsa_system_sgpr_workgroup_info 0
		.amdhsa_system_vgpr_workitem_id 0
		.amdhsa_next_free_vgpr 1
		.amdhsa_next_free_sgpr 0
		.amdhsa_accum_offset 4
		.amdhsa_reserve_vcc 0
		.amdhsa_reserve_flat_scratch 0
		.amdhsa_float_round_mode_32 0
		.amdhsa_float_round_mode_16_64 0
		.amdhsa_float_denorm_mode_32 3
		.amdhsa_float_denorm_mode_16_64 3
		.amdhsa_dx10_clamp 1
		.amdhsa_ieee_mode 1
		.amdhsa_fp16_overflow 0
		.amdhsa_tg_split 0
		.amdhsa_exception_fp_ieee_invalid_op 0
		.amdhsa_exception_fp_denorm_src 0
		.amdhsa_exception_fp_ieee_div_zero 0
		.amdhsa_exception_fp_ieee_overflow 0
		.amdhsa_exception_fp_ieee_underflow 0
		.amdhsa_exception_fp_ieee_inexact 0
		.amdhsa_exception_int_div_zero 0
	.end_amdhsa_kernel
	.section	.text._ZN7rocprim17ROCPRIM_400000_NS6detail17trampoline_kernelINS0_14default_configENS1_35radix_sort_onesweep_config_selectorIiNS0_10empty_typeEEEZZNS1_29radix_sort_onesweep_iterationIS3_Lb0EPiS8_PS5_S9_mNS0_19identity_decomposerENS1_16block_id_wrapperIjLb0EEEEE10hipError_tT1_PNSt15iterator_traitsISE_E10value_typeET2_T3_PNSF_ISK_E10value_typeET4_T5_PSP_SQ_PNS1_23onesweep_lookback_stateEbbT6_jjT7_P12ihipStream_tbENKUlT_T0_SE_SJ_E_clIS8_S8_S9_S9_EEDaSX_SY_SE_SJ_EUlSX_E_NS1_11comp_targetILNS1_3genE3ELNS1_11target_archE908ELNS1_3gpuE7ELNS1_3repE0EEENS1_47radix_sort_onesweep_sort_config_static_selectorELNS0_4arch9wavefront6targetE1EEEvSE_,"axG",@progbits,_ZN7rocprim17ROCPRIM_400000_NS6detail17trampoline_kernelINS0_14default_configENS1_35radix_sort_onesweep_config_selectorIiNS0_10empty_typeEEEZZNS1_29radix_sort_onesweep_iterationIS3_Lb0EPiS8_PS5_S9_mNS0_19identity_decomposerENS1_16block_id_wrapperIjLb0EEEEE10hipError_tT1_PNSt15iterator_traitsISE_E10value_typeET2_T3_PNSF_ISK_E10value_typeET4_T5_PSP_SQ_PNS1_23onesweep_lookback_stateEbbT6_jjT7_P12ihipStream_tbENKUlT_T0_SE_SJ_E_clIS8_S8_S9_S9_EEDaSX_SY_SE_SJ_EUlSX_E_NS1_11comp_targetILNS1_3genE3ELNS1_11target_archE908ELNS1_3gpuE7ELNS1_3repE0EEENS1_47radix_sort_onesweep_sort_config_static_selectorELNS0_4arch9wavefront6targetE1EEEvSE_,comdat
.Lfunc_end664:
	.size	_ZN7rocprim17ROCPRIM_400000_NS6detail17trampoline_kernelINS0_14default_configENS1_35radix_sort_onesweep_config_selectorIiNS0_10empty_typeEEEZZNS1_29radix_sort_onesweep_iterationIS3_Lb0EPiS8_PS5_S9_mNS0_19identity_decomposerENS1_16block_id_wrapperIjLb0EEEEE10hipError_tT1_PNSt15iterator_traitsISE_E10value_typeET2_T3_PNSF_ISK_E10value_typeET4_T5_PSP_SQ_PNS1_23onesweep_lookback_stateEbbT6_jjT7_P12ihipStream_tbENKUlT_T0_SE_SJ_E_clIS8_S8_S9_S9_EEDaSX_SY_SE_SJ_EUlSX_E_NS1_11comp_targetILNS1_3genE3ELNS1_11target_archE908ELNS1_3gpuE7ELNS1_3repE0EEENS1_47radix_sort_onesweep_sort_config_static_selectorELNS0_4arch9wavefront6targetE1EEEvSE_, .Lfunc_end664-_ZN7rocprim17ROCPRIM_400000_NS6detail17trampoline_kernelINS0_14default_configENS1_35radix_sort_onesweep_config_selectorIiNS0_10empty_typeEEEZZNS1_29radix_sort_onesweep_iterationIS3_Lb0EPiS8_PS5_S9_mNS0_19identity_decomposerENS1_16block_id_wrapperIjLb0EEEEE10hipError_tT1_PNSt15iterator_traitsISE_E10value_typeET2_T3_PNSF_ISK_E10value_typeET4_T5_PSP_SQ_PNS1_23onesweep_lookback_stateEbbT6_jjT7_P12ihipStream_tbENKUlT_T0_SE_SJ_E_clIS8_S8_S9_S9_EEDaSX_SY_SE_SJ_EUlSX_E_NS1_11comp_targetILNS1_3genE3ELNS1_11target_archE908ELNS1_3gpuE7ELNS1_3repE0EEENS1_47radix_sort_onesweep_sort_config_static_selectorELNS0_4arch9wavefront6targetE1EEEvSE_
                                        ; -- End function
	.section	.AMDGPU.csdata,"",@progbits
; Kernel info:
; codeLenInByte = 0
; NumSgprs: 4
; NumVgprs: 0
; NumAgprs: 0
; TotalNumVgprs: 0
; ScratchSize: 0
; MemoryBound: 0
; FloatMode: 240
; IeeeMode: 1
; LDSByteSize: 0 bytes/workgroup (compile time only)
; SGPRBlocks: 0
; VGPRBlocks: 0
; NumSGPRsForWavesPerEU: 4
; NumVGPRsForWavesPerEU: 1
; AccumOffset: 4
; Occupancy: 8
; WaveLimiterHint : 0
; COMPUTE_PGM_RSRC2:SCRATCH_EN: 0
; COMPUTE_PGM_RSRC2:USER_SGPR: 6
; COMPUTE_PGM_RSRC2:TRAP_HANDLER: 0
; COMPUTE_PGM_RSRC2:TGID_X_EN: 1
; COMPUTE_PGM_RSRC2:TGID_Y_EN: 0
; COMPUTE_PGM_RSRC2:TGID_Z_EN: 0
; COMPUTE_PGM_RSRC2:TIDIG_COMP_CNT: 0
; COMPUTE_PGM_RSRC3_GFX90A:ACCUM_OFFSET: 0
; COMPUTE_PGM_RSRC3_GFX90A:TG_SPLIT: 0
	.section	.text._ZN7rocprim17ROCPRIM_400000_NS6detail17trampoline_kernelINS0_14default_configENS1_35radix_sort_onesweep_config_selectorIiNS0_10empty_typeEEEZZNS1_29radix_sort_onesweep_iterationIS3_Lb0EPiS8_PS5_S9_mNS0_19identity_decomposerENS1_16block_id_wrapperIjLb0EEEEE10hipError_tT1_PNSt15iterator_traitsISE_E10value_typeET2_T3_PNSF_ISK_E10value_typeET4_T5_PSP_SQ_PNS1_23onesweep_lookback_stateEbbT6_jjT7_P12ihipStream_tbENKUlT_T0_SE_SJ_E_clIS8_S8_S9_S9_EEDaSX_SY_SE_SJ_EUlSX_E_NS1_11comp_targetILNS1_3genE10ELNS1_11target_archE1201ELNS1_3gpuE5ELNS1_3repE0EEENS1_47radix_sort_onesweep_sort_config_static_selectorELNS0_4arch9wavefront6targetE1EEEvSE_,"axG",@progbits,_ZN7rocprim17ROCPRIM_400000_NS6detail17trampoline_kernelINS0_14default_configENS1_35radix_sort_onesweep_config_selectorIiNS0_10empty_typeEEEZZNS1_29radix_sort_onesweep_iterationIS3_Lb0EPiS8_PS5_S9_mNS0_19identity_decomposerENS1_16block_id_wrapperIjLb0EEEEE10hipError_tT1_PNSt15iterator_traitsISE_E10value_typeET2_T3_PNSF_ISK_E10value_typeET4_T5_PSP_SQ_PNS1_23onesweep_lookback_stateEbbT6_jjT7_P12ihipStream_tbENKUlT_T0_SE_SJ_E_clIS8_S8_S9_S9_EEDaSX_SY_SE_SJ_EUlSX_E_NS1_11comp_targetILNS1_3genE10ELNS1_11target_archE1201ELNS1_3gpuE5ELNS1_3repE0EEENS1_47radix_sort_onesweep_sort_config_static_selectorELNS0_4arch9wavefront6targetE1EEEvSE_,comdat
	.protected	_ZN7rocprim17ROCPRIM_400000_NS6detail17trampoline_kernelINS0_14default_configENS1_35radix_sort_onesweep_config_selectorIiNS0_10empty_typeEEEZZNS1_29radix_sort_onesweep_iterationIS3_Lb0EPiS8_PS5_S9_mNS0_19identity_decomposerENS1_16block_id_wrapperIjLb0EEEEE10hipError_tT1_PNSt15iterator_traitsISE_E10value_typeET2_T3_PNSF_ISK_E10value_typeET4_T5_PSP_SQ_PNS1_23onesweep_lookback_stateEbbT6_jjT7_P12ihipStream_tbENKUlT_T0_SE_SJ_E_clIS8_S8_S9_S9_EEDaSX_SY_SE_SJ_EUlSX_E_NS1_11comp_targetILNS1_3genE10ELNS1_11target_archE1201ELNS1_3gpuE5ELNS1_3repE0EEENS1_47radix_sort_onesweep_sort_config_static_selectorELNS0_4arch9wavefront6targetE1EEEvSE_ ; -- Begin function _ZN7rocprim17ROCPRIM_400000_NS6detail17trampoline_kernelINS0_14default_configENS1_35radix_sort_onesweep_config_selectorIiNS0_10empty_typeEEEZZNS1_29radix_sort_onesweep_iterationIS3_Lb0EPiS8_PS5_S9_mNS0_19identity_decomposerENS1_16block_id_wrapperIjLb0EEEEE10hipError_tT1_PNSt15iterator_traitsISE_E10value_typeET2_T3_PNSF_ISK_E10value_typeET4_T5_PSP_SQ_PNS1_23onesweep_lookback_stateEbbT6_jjT7_P12ihipStream_tbENKUlT_T0_SE_SJ_E_clIS8_S8_S9_S9_EEDaSX_SY_SE_SJ_EUlSX_E_NS1_11comp_targetILNS1_3genE10ELNS1_11target_archE1201ELNS1_3gpuE5ELNS1_3repE0EEENS1_47radix_sort_onesweep_sort_config_static_selectorELNS0_4arch9wavefront6targetE1EEEvSE_
	.globl	_ZN7rocprim17ROCPRIM_400000_NS6detail17trampoline_kernelINS0_14default_configENS1_35radix_sort_onesweep_config_selectorIiNS0_10empty_typeEEEZZNS1_29radix_sort_onesweep_iterationIS3_Lb0EPiS8_PS5_S9_mNS0_19identity_decomposerENS1_16block_id_wrapperIjLb0EEEEE10hipError_tT1_PNSt15iterator_traitsISE_E10value_typeET2_T3_PNSF_ISK_E10value_typeET4_T5_PSP_SQ_PNS1_23onesweep_lookback_stateEbbT6_jjT7_P12ihipStream_tbENKUlT_T0_SE_SJ_E_clIS8_S8_S9_S9_EEDaSX_SY_SE_SJ_EUlSX_E_NS1_11comp_targetILNS1_3genE10ELNS1_11target_archE1201ELNS1_3gpuE5ELNS1_3repE0EEENS1_47radix_sort_onesweep_sort_config_static_selectorELNS0_4arch9wavefront6targetE1EEEvSE_
	.p2align	8
	.type	_ZN7rocprim17ROCPRIM_400000_NS6detail17trampoline_kernelINS0_14default_configENS1_35radix_sort_onesweep_config_selectorIiNS0_10empty_typeEEEZZNS1_29radix_sort_onesweep_iterationIS3_Lb0EPiS8_PS5_S9_mNS0_19identity_decomposerENS1_16block_id_wrapperIjLb0EEEEE10hipError_tT1_PNSt15iterator_traitsISE_E10value_typeET2_T3_PNSF_ISK_E10value_typeET4_T5_PSP_SQ_PNS1_23onesweep_lookback_stateEbbT6_jjT7_P12ihipStream_tbENKUlT_T0_SE_SJ_E_clIS8_S8_S9_S9_EEDaSX_SY_SE_SJ_EUlSX_E_NS1_11comp_targetILNS1_3genE10ELNS1_11target_archE1201ELNS1_3gpuE5ELNS1_3repE0EEENS1_47radix_sort_onesweep_sort_config_static_selectorELNS0_4arch9wavefront6targetE1EEEvSE_,@function
_ZN7rocprim17ROCPRIM_400000_NS6detail17trampoline_kernelINS0_14default_configENS1_35radix_sort_onesweep_config_selectorIiNS0_10empty_typeEEEZZNS1_29radix_sort_onesweep_iterationIS3_Lb0EPiS8_PS5_S9_mNS0_19identity_decomposerENS1_16block_id_wrapperIjLb0EEEEE10hipError_tT1_PNSt15iterator_traitsISE_E10value_typeET2_T3_PNSF_ISK_E10value_typeET4_T5_PSP_SQ_PNS1_23onesweep_lookback_stateEbbT6_jjT7_P12ihipStream_tbENKUlT_T0_SE_SJ_E_clIS8_S8_S9_S9_EEDaSX_SY_SE_SJ_EUlSX_E_NS1_11comp_targetILNS1_3genE10ELNS1_11target_archE1201ELNS1_3gpuE5ELNS1_3repE0EEENS1_47radix_sort_onesweep_sort_config_static_selectorELNS0_4arch9wavefront6targetE1EEEvSE_: ; @_ZN7rocprim17ROCPRIM_400000_NS6detail17trampoline_kernelINS0_14default_configENS1_35radix_sort_onesweep_config_selectorIiNS0_10empty_typeEEEZZNS1_29radix_sort_onesweep_iterationIS3_Lb0EPiS8_PS5_S9_mNS0_19identity_decomposerENS1_16block_id_wrapperIjLb0EEEEE10hipError_tT1_PNSt15iterator_traitsISE_E10value_typeET2_T3_PNSF_ISK_E10value_typeET4_T5_PSP_SQ_PNS1_23onesweep_lookback_stateEbbT6_jjT7_P12ihipStream_tbENKUlT_T0_SE_SJ_E_clIS8_S8_S9_S9_EEDaSX_SY_SE_SJ_EUlSX_E_NS1_11comp_targetILNS1_3genE10ELNS1_11target_archE1201ELNS1_3gpuE5ELNS1_3repE0EEENS1_47radix_sort_onesweep_sort_config_static_selectorELNS0_4arch9wavefront6targetE1EEEvSE_
; %bb.0:
	.section	.rodata,"a",@progbits
	.p2align	6, 0x0
	.amdhsa_kernel _ZN7rocprim17ROCPRIM_400000_NS6detail17trampoline_kernelINS0_14default_configENS1_35radix_sort_onesweep_config_selectorIiNS0_10empty_typeEEEZZNS1_29radix_sort_onesweep_iterationIS3_Lb0EPiS8_PS5_S9_mNS0_19identity_decomposerENS1_16block_id_wrapperIjLb0EEEEE10hipError_tT1_PNSt15iterator_traitsISE_E10value_typeET2_T3_PNSF_ISK_E10value_typeET4_T5_PSP_SQ_PNS1_23onesweep_lookback_stateEbbT6_jjT7_P12ihipStream_tbENKUlT_T0_SE_SJ_E_clIS8_S8_S9_S9_EEDaSX_SY_SE_SJ_EUlSX_E_NS1_11comp_targetILNS1_3genE10ELNS1_11target_archE1201ELNS1_3gpuE5ELNS1_3repE0EEENS1_47radix_sort_onesweep_sort_config_static_selectorELNS0_4arch9wavefront6targetE1EEEvSE_
		.amdhsa_group_segment_fixed_size 0
		.amdhsa_private_segment_fixed_size 0
		.amdhsa_kernarg_size 88
		.amdhsa_user_sgpr_count 6
		.amdhsa_user_sgpr_private_segment_buffer 1
		.amdhsa_user_sgpr_dispatch_ptr 0
		.amdhsa_user_sgpr_queue_ptr 0
		.amdhsa_user_sgpr_kernarg_segment_ptr 1
		.amdhsa_user_sgpr_dispatch_id 0
		.amdhsa_user_sgpr_flat_scratch_init 0
		.amdhsa_user_sgpr_kernarg_preload_length 0
		.amdhsa_user_sgpr_kernarg_preload_offset 0
		.amdhsa_user_sgpr_private_segment_size 0
		.amdhsa_uses_dynamic_stack 0
		.amdhsa_system_sgpr_private_segment_wavefront_offset 0
		.amdhsa_system_sgpr_workgroup_id_x 1
		.amdhsa_system_sgpr_workgroup_id_y 0
		.amdhsa_system_sgpr_workgroup_id_z 0
		.amdhsa_system_sgpr_workgroup_info 0
		.amdhsa_system_vgpr_workitem_id 0
		.amdhsa_next_free_vgpr 1
		.amdhsa_next_free_sgpr 0
		.amdhsa_accum_offset 4
		.amdhsa_reserve_vcc 0
		.amdhsa_reserve_flat_scratch 0
		.amdhsa_float_round_mode_32 0
		.amdhsa_float_round_mode_16_64 0
		.amdhsa_float_denorm_mode_32 3
		.amdhsa_float_denorm_mode_16_64 3
		.amdhsa_dx10_clamp 1
		.amdhsa_ieee_mode 1
		.amdhsa_fp16_overflow 0
		.amdhsa_tg_split 0
		.amdhsa_exception_fp_ieee_invalid_op 0
		.amdhsa_exception_fp_denorm_src 0
		.amdhsa_exception_fp_ieee_div_zero 0
		.amdhsa_exception_fp_ieee_overflow 0
		.amdhsa_exception_fp_ieee_underflow 0
		.amdhsa_exception_fp_ieee_inexact 0
		.amdhsa_exception_int_div_zero 0
	.end_amdhsa_kernel
	.section	.text._ZN7rocprim17ROCPRIM_400000_NS6detail17trampoline_kernelINS0_14default_configENS1_35radix_sort_onesweep_config_selectorIiNS0_10empty_typeEEEZZNS1_29radix_sort_onesweep_iterationIS3_Lb0EPiS8_PS5_S9_mNS0_19identity_decomposerENS1_16block_id_wrapperIjLb0EEEEE10hipError_tT1_PNSt15iterator_traitsISE_E10value_typeET2_T3_PNSF_ISK_E10value_typeET4_T5_PSP_SQ_PNS1_23onesweep_lookback_stateEbbT6_jjT7_P12ihipStream_tbENKUlT_T0_SE_SJ_E_clIS8_S8_S9_S9_EEDaSX_SY_SE_SJ_EUlSX_E_NS1_11comp_targetILNS1_3genE10ELNS1_11target_archE1201ELNS1_3gpuE5ELNS1_3repE0EEENS1_47radix_sort_onesweep_sort_config_static_selectorELNS0_4arch9wavefront6targetE1EEEvSE_,"axG",@progbits,_ZN7rocprim17ROCPRIM_400000_NS6detail17trampoline_kernelINS0_14default_configENS1_35radix_sort_onesweep_config_selectorIiNS0_10empty_typeEEEZZNS1_29radix_sort_onesweep_iterationIS3_Lb0EPiS8_PS5_S9_mNS0_19identity_decomposerENS1_16block_id_wrapperIjLb0EEEEE10hipError_tT1_PNSt15iterator_traitsISE_E10value_typeET2_T3_PNSF_ISK_E10value_typeET4_T5_PSP_SQ_PNS1_23onesweep_lookback_stateEbbT6_jjT7_P12ihipStream_tbENKUlT_T0_SE_SJ_E_clIS8_S8_S9_S9_EEDaSX_SY_SE_SJ_EUlSX_E_NS1_11comp_targetILNS1_3genE10ELNS1_11target_archE1201ELNS1_3gpuE5ELNS1_3repE0EEENS1_47radix_sort_onesweep_sort_config_static_selectorELNS0_4arch9wavefront6targetE1EEEvSE_,comdat
.Lfunc_end665:
	.size	_ZN7rocprim17ROCPRIM_400000_NS6detail17trampoline_kernelINS0_14default_configENS1_35radix_sort_onesweep_config_selectorIiNS0_10empty_typeEEEZZNS1_29radix_sort_onesweep_iterationIS3_Lb0EPiS8_PS5_S9_mNS0_19identity_decomposerENS1_16block_id_wrapperIjLb0EEEEE10hipError_tT1_PNSt15iterator_traitsISE_E10value_typeET2_T3_PNSF_ISK_E10value_typeET4_T5_PSP_SQ_PNS1_23onesweep_lookback_stateEbbT6_jjT7_P12ihipStream_tbENKUlT_T0_SE_SJ_E_clIS8_S8_S9_S9_EEDaSX_SY_SE_SJ_EUlSX_E_NS1_11comp_targetILNS1_3genE10ELNS1_11target_archE1201ELNS1_3gpuE5ELNS1_3repE0EEENS1_47radix_sort_onesweep_sort_config_static_selectorELNS0_4arch9wavefront6targetE1EEEvSE_, .Lfunc_end665-_ZN7rocprim17ROCPRIM_400000_NS6detail17trampoline_kernelINS0_14default_configENS1_35radix_sort_onesweep_config_selectorIiNS0_10empty_typeEEEZZNS1_29radix_sort_onesweep_iterationIS3_Lb0EPiS8_PS5_S9_mNS0_19identity_decomposerENS1_16block_id_wrapperIjLb0EEEEE10hipError_tT1_PNSt15iterator_traitsISE_E10value_typeET2_T3_PNSF_ISK_E10value_typeET4_T5_PSP_SQ_PNS1_23onesweep_lookback_stateEbbT6_jjT7_P12ihipStream_tbENKUlT_T0_SE_SJ_E_clIS8_S8_S9_S9_EEDaSX_SY_SE_SJ_EUlSX_E_NS1_11comp_targetILNS1_3genE10ELNS1_11target_archE1201ELNS1_3gpuE5ELNS1_3repE0EEENS1_47radix_sort_onesweep_sort_config_static_selectorELNS0_4arch9wavefront6targetE1EEEvSE_
                                        ; -- End function
	.section	.AMDGPU.csdata,"",@progbits
; Kernel info:
; codeLenInByte = 0
; NumSgprs: 4
; NumVgprs: 0
; NumAgprs: 0
; TotalNumVgprs: 0
; ScratchSize: 0
; MemoryBound: 0
; FloatMode: 240
; IeeeMode: 1
; LDSByteSize: 0 bytes/workgroup (compile time only)
; SGPRBlocks: 0
; VGPRBlocks: 0
; NumSGPRsForWavesPerEU: 4
; NumVGPRsForWavesPerEU: 1
; AccumOffset: 4
; Occupancy: 8
; WaveLimiterHint : 0
; COMPUTE_PGM_RSRC2:SCRATCH_EN: 0
; COMPUTE_PGM_RSRC2:USER_SGPR: 6
; COMPUTE_PGM_RSRC2:TRAP_HANDLER: 0
; COMPUTE_PGM_RSRC2:TGID_X_EN: 1
; COMPUTE_PGM_RSRC2:TGID_Y_EN: 0
; COMPUTE_PGM_RSRC2:TGID_Z_EN: 0
; COMPUTE_PGM_RSRC2:TIDIG_COMP_CNT: 0
; COMPUTE_PGM_RSRC3_GFX90A:ACCUM_OFFSET: 0
; COMPUTE_PGM_RSRC3_GFX90A:TG_SPLIT: 0
	.section	.text._ZN7rocprim17ROCPRIM_400000_NS6detail17trampoline_kernelINS0_14default_configENS1_35radix_sort_onesweep_config_selectorIiNS0_10empty_typeEEEZZNS1_29radix_sort_onesweep_iterationIS3_Lb0EPiS8_PS5_S9_mNS0_19identity_decomposerENS1_16block_id_wrapperIjLb0EEEEE10hipError_tT1_PNSt15iterator_traitsISE_E10value_typeET2_T3_PNSF_ISK_E10value_typeET4_T5_PSP_SQ_PNS1_23onesweep_lookback_stateEbbT6_jjT7_P12ihipStream_tbENKUlT_T0_SE_SJ_E_clIS8_S8_S9_S9_EEDaSX_SY_SE_SJ_EUlSX_E_NS1_11comp_targetILNS1_3genE9ELNS1_11target_archE1100ELNS1_3gpuE3ELNS1_3repE0EEENS1_47radix_sort_onesweep_sort_config_static_selectorELNS0_4arch9wavefront6targetE1EEEvSE_,"axG",@progbits,_ZN7rocprim17ROCPRIM_400000_NS6detail17trampoline_kernelINS0_14default_configENS1_35radix_sort_onesweep_config_selectorIiNS0_10empty_typeEEEZZNS1_29radix_sort_onesweep_iterationIS3_Lb0EPiS8_PS5_S9_mNS0_19identity_decomposerENS1_16block_id_wrapperIjLb0EEEEE10hipError_tT1_PNSt15iterator_traitsISE_E10value_typeET2_T3_PNSF_ISK_E10value_typeET4_T5_PSP_SQ_PNS1_23onesweep_lookback_stateEbbT6_jjT7_P12ihipStream_tbENKUlT_T0_SE_SJ_E_clIS8_S8_S9_S9_EEDaSX_SY_SE_SJ_EUlSX_E_NS1_11comp_targetILNS1_3genE9ELNS1_11target_archE1100ELNS1_3gpuE3ELNS1_3repE0EEENS1_47radix_sort_onesweep_sort_config_static_selectorELNS0_4arch9wavefront6targetE1EEEvSE_,comdat
	.protected	_ZN7rocprim17ROCPRIM_400000_NS6detail17trampoline_kernelINS0_14default_configENS1_35radix_sort_onesweep_config_selectorIiNS0_10empty_typeEEEZZNS1_29radix_sort_onesweep_iterationIS3_Lb0EPiS8_PS5_S9_mNS0_19identity_decomposerENS1_16block_id_wrapperIjLb0EEEEE10hipError_tT1_PNSt15iterator_traitsISE_E10value_typeET2_T3_PNSF_ISK_E10value_typeET4_T5_PSP_SQ_PNS1_23onesweep_lookback_stateEbbT6_jjT7_P12ihipStream_tbENKUlT_T0_SE_SJ_E_clIS8_S8_S9_S9_EEDaSX_SY_SE_SJ_EUlSX_E_NS1_11comp_targetILNS1_3genE9ELNS1_11target_archE1100ELNS1_3gpuE3ELNS1_3repE0EEENS1_47radix_sort_onesweep_sort_config_static_selectorELNS0_4arch9wavefront6targetE1EEEvSE_ ; -- Begin function _ZN7rocprim17ROCPRIM_400000_NS6detail17trampoline_kernelINS0_14default_configENS1_35radix_sort_onesweep_config_selectorIiNS0_10empty_typeEEEZZNS1_29radix_sort_onesweep_iterationIS3_Lb0EPiS8_PS5_S9_mNS0_19identity_decomposerENS1_16block_id_wrapperIjLb0EEEEE10hipError_tT1_PNSt15iterator_traitsISE_E10value_typeET2_T3_PNSF_ISK_E10value_typeET4_T5_PSP_SQ_PNS1_23onesweep_lookback_stateEbbT6_jjT7_P12ihipStream_tbENKUlT_T0_SE_SJ_E_clIS8_S8_S9_S9_EEDaSX_SY_SE_SJ_EUlSX_E_NS1_11comp_targetILNS1_3genE9ELNS1_11target_archE1100ELNS1_3gpuE3ELNS1_3repE0EEENS1_47radix_sort_onesweep_sort_config_static_selectorELNS0_4arch9wavefront6targetE1EEEvSE_
	.globl	_ZN7rocprim17ROCPRIM_400000_NS6detail17trampoline_kernelINS0_14default_configENS1_35radix_sort_onesweep_config_selectorIiNS0_10empty_typeEEEZZNS1_29radix_sort_onesweep_iterationIS3_Lb0EPiS8_PS5_S9_mNS0_19identity_decomposerENS1_16block_id_wrapperIjLb0EEEEE10hipError_tT1_PNSt15iterator_traitsISE_E10value_typeET2_T3_PNSF_ISK_E10value_typeET4_T5_PSP_SQ_PNS1_23onesweep_lookback_stateEbbT6_jjT7_P12ihipStream_tbENKUlT_T0_SE_SJ_E_clIS8_S8_S9_S9_EEDaSX_SY_SE_SJ_EUlSX_E_NS1_11comp_targetILNS1_3genE9ELNS1_11target_archE1100ELNS1_3gpuE3ELNS1_3repE0EEENS1_47radix_sort_onesweep_sort_config_static_selectorELNS0_4arch9wavefront6targetE1EEEvSE_
	.p2align	8
	.type	_ZN7rocprim17ROCPRIM_400000_NS6detail17trampoline_kernelINS0_14default_configENS1_35radix_sort_onesweep_config_selectorIiNS0_10empty_typeEEEZZNS1_29radix_sort_onesweep_iterationIS3_Lb0EPiS8_PS5_S9_mNS0_19identity_decomposerENS1_16block_id_wrapperIjLb0EEEEE10hipError_tT1_PNSt15iterator_traitsISE_E10value_typeET2_T3_PNSF_ISK_E10value_typeET4_T5_PSP_SQ_PNS1_23onesweep_lookback_stateEbbT6_jjT7_P12ihipStream_tbENKUlT_T0_SE_SJ_E_clIS8_S8_S9_S9_EEDaSX_SY_SE_SJ_EUlSX_E_NS1_11comp_targetILNS1_3genE9ELNS1_11target_archE1100ELNS1_3gpuE3ELNS1_3repE0EEENS1_47radix_sort_onesweep_sort_config_static_selectorELNS0_4arch9wavefront6targetE1EEEvSE_,@function
_ZN7rocprim17ROCPRIM_400000_NS6detail17trampoline_kernelINS0_14default_configENS1_35radix_sort_onesweep_config_selectorIiNS0_10empty_typeEEEZZNS1_29radix_sort_onesweep_iterationIS3_Lb0EPiS8_PS5_S9_mNS0_19identity_decomposerENS1_16block_id_wrapperIjLb0EEEEE10hipError_tT1_PNSt15iterator_traitsISE_E10value_typeET2_T3_PNSF_ISK_E10value_typeET4_T5_PSP_SQ_PNS1_23onesweep_lookback_stateEbbT6_jjT7_P12ihipStream_tbENKUlT_T0_SE_SJ_E_clIS8_S8_S9_S9_EEDaSX_SY_SE_SJ_EUlSX_E_NS1_11comp_targetILNS1_3genE9ELNS1_11target_archE1100ELNS1_3gpuE3ELNS1_3repE0EEENS1_47radix_sort_onesweep_sort_config_static_selectorELNS0_4arch9wavefront6targetE1EEEvSE_: ; @_ZN7rocprim17ROCPRIM_400000_NS6detail17trampoline_kernelINS0_14default_configENS1_35radix_sort_onesweep_config_selectorIiNS0_10empty_typeEEEZZNS1_29radix_sort_onesweep_iterationIS3_Lb0EPiS8_PS5_S9_mNS0_19identity_decomposerENS1_16block_id_wrapperIjLb0EEEEE10hipError_tT1_PNSt15iterator_traitsISE_E10value_typeET2_T3_PNSF_ISK_E10value_typeET4_T5_PSP_SQ_PNS1_23onesweep_lookback_stateEbbT6_jjT7_P12ihipStream_tbENKUlT_T0_SE_SJ_E_clIS8_S8_S9_S9_EEDaSX_SY_SE_SJ_EUlSX_E_NS1_11comp_targetILNS1_3genE9ELNS1_11target_archE1100ELNS1_3gpuE3ELNS1_3repE0EEENS1_47radix_sort_onesweep_sort_config_static_selectorELNS0_4arch9wavefront6targetE1EEEvSE_
; %bb.0:
	.section	.rodata,"a",@progbits
	.p2align	6, 0x0
	.amdhsa_kernel _ZN7rocprim17ROCPRIM_400000_NS6detail17trampoline_kernelINS0_14default_configENS1_35radix_sort_onesweep_config_selectorIiNS0_10empty_typeEEEZZNS1_29radix_sort_onesweep_iterationIS3_Lb0EPiS8_PS5_S9_mNS0_19identity_decomposerENS1_16block_id_wrapperIjLb0EEEEE10hipError_tT1_PNSt15iterator_traitsISE_E10value_typeET2_T3_PNSF_ISK_E10value_typeET4_T5_PSP_SQ_PNS1_23onesweep_lookback_stateEbbT6_jjT7_P12ihipStream_tbENKUlT_T0_SE_SJ_E_clIS8_S8_S9_S9_EEDaSX_SY_SE_SJ_EUlSX_E_NS1_11comp_targetILNS1_3genE9ELNS1_11target_archE1100ELNS1_3gpuE3ELNS1_3repE0EEENS1_47radix_sort_onesweep_sort_config_static_selectorELNS0_4arch9wavefront6targetE1EEEvSE_
		.amdhsa_group_segment_fixed_size 0
		.amdhsa_private_segment_fixed_size 0
		.amdhsa_kernarg_size 88
		.amdhsa_user_sgpr_count 6
		.amdhsa_user_sgpr_private_segment_buffer 1
		.amdhsa_user_sgpr_dispatch_ptr 0
		.amdhsa_user_sgpr_queue_ptr 0
		.amdhsa_user_sgpr_kernarg_segment_ptr 1
		.amdhsa_user_sgpr_dispatch_id 0
		.amdhsa_user_sgpr_flat_scratch_init 0
		.amdhsa_user_sgpr_kernarg_preload_length 0
		.amdhsa_user_sgpr_kernarg_preload_offset 0
		.amdhsa_user_sgpr_private_segment_size 0
		.amdhsa_uses_dynamic_stack 0
		.amdhsa_system_sgpr_private_segment_wavefront_offset 0
		.amdhsa_system_sgpr_workgroup_id_x 1
		.amdhsa_system_sgpr_workgroup_id_y 0
		.amdhsa_system_sgpr_workgroup_id_z 0
		.amdhsa_system_sgpr_workgroup_info 0
		.amdhsa_system_vgpr_workitem_id 0
		.amdhsa_next_free_vgpr 1
		.amdhsa_next_free_sgpr 0
		.amdhsa_accum_offset 4
		.amdhsa_reserve_vcc 0
		.amdhsa_reserve_flat_scratch 0
		.amdhsa_float_round_mode_32 0
		.amdhsa_float_round_mode_16_64 0
		.amdhsa_float_denorm_mode_32 3
		.amdhsa_float_denorm_mode_16_64 3
		.amdhsa_dx10_clamp 1
		.amdhsa_ieee_mode 1
		.amdhsa_fp16_overflow 0
		.amdhsa_tg_split 0
		.amdhsa_exception_fp_ieee_invalid_op 0
		.amdhsa_exception_fp_denorm_src 0
		.amdhsa_exception_fp_ieee_div_zero 0
		.amdhsa_exception_fp_ieee_overflow 0
		.amdhsa_exception_fp_ieee_underflow 0
		.amdhsa_exception_fp_ieee_inexact 0
		.amdhsa_exception_int_div_zero 0
	.end_amdhsa_kernel
	.section	.text._ZN7rocprim17ROCPRIM_400000_NS6detail17trampoline_kernelINS0_14default_configENS1_35radix_sort_onesweep_config_selectorIiNS0_10empty_typeEEEZZNS1_29radix_sort_onesweep_iterationIS3_Lb0EPiS8_PS5_S9_mNS0_19identity_decomposerENS1_16block_id_wrapperIjLb0EEEEE10hipError_tT1_PNSt15iterator_traitsISE_E10value_typeET2_T3_PNSF_ISK_E10value_typeET4_T5_PSP_SQ_PNS1_23onesweep_lookback_stateEbbT6_jjT7_P12ihipStream_tbENKUlT_T0_SE_SJ_E_clIS8_S8_S9_S9_EEDaSX_SY_SE_SJ_EUlSX_E_NS1_11comp_targetILNS1_3genE9ELNS1_11target_archE1100ELNS1_3gpuE3ELNS1_3repE0EEENS1_47radix_sort_onesweep_sort_config_static_selectorELNS0_4arch9wavefront6targetE1EEEvSE_,"axG",@progbits,_ZN7rocprim17ROCPRIM_400000_NS6detail17trampoline_kernelINS0_14default_configENS1_35radix_sort_onesweep_config_selectorIiNS0_10empty_typeEEEZZNS1_29radix_sort_onesweep_iterationIS3_Lb0EPiS8_PS5_S9_mNS0_19identity_decomposerENS1_16block_id_wrapperIjLb0EEEEE10hipError_tT1_PNSt15iterator_traitsISE_E10value_typeET2_T3_PNSF_ISK_E10value_typeET4_T5_PSP_SQ_PNS1_23onesweep_lookback_stateEbbT6_jjT7_P12ihipStream_tbENKUlT_T0_SE_SJ_E_clIS8_S8_S9_S9_EEDaSX_SY_SE_SJ_EUlSX_E_NS1_11comp_targetILNS1_3genE9ELNS1_11target_archE1100ELNS1_3gpuE3ELNS1_3repE0EEENS1_47radix_sort_onesweep_sort_config_static_selectorELNS0_4arch9wavefront6targetE1EEEvSE_,comdat
.Lfunc_end666:
	.size	_ZN7rocprim17ROCPRIM_400000_NS6detail17trampoline_kernelINS0_14default_configENS1_35radix_sort_onesweep_config_selectorIiNS0_10empty_typeEEEZZNS1_29radix_sort_onesweep_iterationIS3_Lb0EPiS8_PS5_S9_mNS0_19identity_decomposerENS1_16block_id_wrapperIjLb0EEEEE10hipError_tT1_PNSt15iterator_traitsISE_E10value_typeET2_T3_PNSF_ISK_E10value_typeET4_T5_PSP_SQ_PNS1_23onesweep_lookback_stateEbbT6_jjT7_P12ihipStream_tbENKUlT_T0_SE_SJ_E_clIS8_S8_S9_S9_EEDaSX_SY_SE_SJ_EUlSX_E_NS1_11comp_targetILNS1_3genE9ELNS1_11target_archE1100ELNS1_3gpuE3ELNS1_3repE0EEENS1_47radix_sort_onesweep_sort_config_static_selectorELNS0_4arch9wavefront6targetE1EEEvSE_, .Lfunc_end666-_ZN7rocprim17ROCPRIM_400000_NS6detail17trampoline_kernelINS0_14default_configENS1_35radix_sort_onesweep_config_selectorIiNS0_10empty_typeEEEZZNS1_29radix_sort_onesweep_iterationIS3_Lb0EPiS8_PS5_S9_mNS0_19identity_decomposerENS1_16block_id_wrapperIjLb0EEEEE10hipError_tT1_PNSt15iterator_traitsISE_E10value_typeET2_T3_PNSF_ISK_E10value_typeET4_T5_PSP_SQ_PNS1_23onesweep_lookback_stateEbbT6_jjT7_P12ihipStream_tbENKUlT_T0_SE_SJ_E_clIS8_S8_S9_S9_EEDaSX_SY_SE_SJ_EUlSX_E_NS1_11comp_targetILNS1_3genE9ELNS1_11target_archE1100ELNS1_3gpuE3ELNS1_3repE0EEENS1_47radix_sort_onesweep_sort_config_static_selectorELNS0_4arch9wavefront6targetE1EEEvSE_
                                        ; -- End function
	.section	.AMDGPU.csdata,"",@progbits
; Kernel info:
; codeLenInByte = 0
; NumSgprs: 4
; NumVgprs: 0
; NumAgprs: 0
; TotalNumVgprs: 0
; ScratchSize: 0
; MemoryBound: 0
; FloatMode: 240
; IeeeMode: 1
; LDSByteSize: 0 bytes/workgroup (compile time only)
; SGPRBlocks: 0
; VGPRBlocks: 0
; NumSGPRsForWavesPerEU: 4
; NumVGPRsForWavesPerEU: 1
; AccumOffset: 4
; Occupancy: 8
; WaveLimiterHint : 0
; COMPUTE_PGM_RSRC2:SCRATCH_EN: 0
; COMPUTE_PGM_RSRC2:USER_SGPR: 6
; COMPUTE_PGM_RSRC2:TRAP_HANDLER: 0
; COMPUTE_PGM_RSRC2:TGID_X_EN: 1
; COMPUTE_PGM_RSRC2:TGID_Y_EN: 0
; COMPUTE_PGM_RSRC2:TGID_Z_EN: 0
; COMPUTE_PGM_RSRC2:TIDIG_COMP_CNT: 0
; COMPUTE_PGM_RSRC3_GFX90A:ACCUM_OFFSET: 0
; COMPUTE_PGM_RSRC3_GFX90A:TG_SPLIT: 0
	.section	.text._ZN7rocprim17ROCPRIM_400000_NS6detail17trampoline_kernelINS0_14default_configENS1_35radix_sort_onesweep_config_selectorIiNS0_10empty_typeEEEZZNS1_29radix_sort_onesweep_iterationIS3_Lb0EPiS8_PS5_S9_mNS0_19identity_decomposerENS1_16block_id_wrapperIjLb0EEEEE10hipError_tT1_PNSt15iterator_traitsISE_E10value_typeET2_T3_PNSF_ISK_E10value_typeET4_T5_PSP_SQ_PNS1_23onesweep_lookback_stateEbbT6_jjT7_P12ihipStream_tbENKUlT_T0_SE_SJ_E_clIS8_S8_S9_S9_EEDaSX_SY_SE_SJ_EUlSX_E_NS1_11comp_targetILNS1_3genE8ELNS1_11target_archE1030ELNS1_3gpuE2ELNS1_3repE0EEENS1_47radix_sort_onesweep_sort_config_static_selectorELNS0_4arch9wavefront6targetE1EEEvSE_,"axG",@progbits,_ZN7rocprim17ROCPRIM_400000_NS6detail17trampoline_kernelINS0_14default_configENS1_35radix_sort_onesweep_config_selectorIiNS0_10empty_typeEEEZZNS1_29radix_sort_onesweep_iterationIS3_Lb0EPiS8_PS5_S9_mNS0_19identity_decomposerENS1_16block_id_wrapperIjLb0EEEEE10hipError_tT1_PNSt15iterator_traitsISE_E10value_typeET2_T3_PNSF_ISK_E10value_typeET4_T5_PSP_SQ_PNS1_23onesweep_lookback_stateEbbT6_jjT7_P12ihipStream_tbENKUlT_T0_SE_SJ_E_clIS8_S8_S9_S9_EEDaSX_SY_SE_SJ_EUlSX_E_NS1_11comp_targetILNS1_3genE8ELNS1_11target_archE1030ELNS1_3gpuE2ELNS1_3repE0EEENS1_47radix_sort_onesweep_sort_config_static_selectorELNS0_4arch9wavefront6targetE1EEEvSE_,comdat
	.protected	_ZN7rocprim17ROCPRIM_400000_NS6detail17trampoline_kernelINS0_14default_configENS1_35radix_sort_onesweep_config_selectorIiNS0_10empty_typeEEEZZNS1_29radix_sort_onesweep_iterationIS3_Lb0EPiS8_PS5_S9_mNS0_19identity_decomposerENS1_16block_id_wrapperIjLb0EEEEE10hipError_tT1_PNSt15iterator_traitsISE_E10value_typeET2_T3_PNSF_ISK_E10value_typeET4_T5_PSP_SQ_PNS1_23onesweep_lookback_stateEbbT6_jjT7_P12ihipStream_tbENKUlT_T0_SE_SJ_E_clIS8_S8_S9_S9_EEDaSX_SY_SE_SJ_EUlSX_E_NS1_11comp_targetILNS1_3genE8ELNS1_11target_archE1030ELNS1_3gpuE2ELNS1_3repE0EEENS1_47radix_sort_onesweep_sort_config_static_selectorELNS0_4arch9wavefront6targetE1EEEvSE_ ; -- Begin function _ZN7rocprim17ROCPRIM_400000_NS6detail17trampoline_kernelINS0_14default_configENS1_35radix_sort_onesweep_config_selectorIiNS0_10empty_typeEEEZZNS1_29radix_sort_onesweep_iterationIS3_Lb0EPiS8_PS5_S9_mNS0_19identity_decomposerENS1_16block_id_wrapperIjLb0EEEEE10hipError_tT1_PNSt15iterator_traitsISE_E10value_typeET2_T3_PNSF_ISK_E10value_typeET4_T5_PSP_SQ_PNS1_23onesweep_lookback_stateEbbT6_jjT7_P12ihipStream_tbENKUlT_T0_SE_SJ_E_clIS8_S8_S9_S9_EEDaSX_SY_SE_SJ_EUlSX_E_NS1_11comp_targetILNS1_3genE8ELNS1_11target_archE1030ELNS1_3gpuE2ELNS1_3repE0EEENS1_47radix_sort_onesweep_sort_config_static_selectorELNS0_4arch9wavefront6targetE1EEEvSE_
	.globl	_ZN7rocprim17ROCPRIM_400000_NS6detail17trampoline_kernelINS0_14default_configENS1_35radix_sort_onesweep_config_selectorIiNS0_10empty_typeEEEZZNS1_29radix_sort_onesweep_iterationIS3_Lb0EPiS8_PS5_S9_mNS0_19identity_decomposerENS1_16block_id_wrapperIjLb0EEEEE10hipError_tT1_PNSt15iterator_traitsISE_E10value_typeET2_T3_PNSF_ISK_E10value_typeET4_T5_PSP_SQ_PNS1_23onesweep_lookback_stateEbbT6_jjT7_P12ihipStream_tbENKUlT_T0_SE_SJ_E_clIS8_S8_S9_S9_EEDaSX_SY_SE_SJ_EUlSX_E_NS1_11comp_targetILNS1_3genE8ELNS1_11target_archE1030ELNS1_3gpuE2ELNS1_3repE0EEENS1_47radix_sort_onesweep_sort_config_static_selectorELNS0_4arch9wavefront6targetE1EEEvSE_
	.p2align	8
	.type	_ZN7rocprim17ROCPRIM_400000_NS6detail17trampoline_kernelINS0_14default_configENS1_35radix_sort_onesweep_config_selectorIiNS0_10empty_typeEEEZZNS1_29radix_sort_onesweep_iterationIS3_Lb0EPiS8_PS5_S9_mNS0_19identity_decomposerENS1_16block_id_wrapperIjLb0EEEEE10hipError_tT1_PNSt15iterator_traitsISE_E10value_typeET2_T3_PNSF_ISK_E10value_typeET4_T5_PSP_SQ_PNS1_23onesweep_lookback_stateEbbT6_jjT7_P12ihipStream_tbENKUlT_T0_SE_SJ_E_clIS8_S8_S9_S9_EEDaSX_SY_SE_SJ_EUlSX_E_NS1_11comp_targetILNS1_3genE8ELNS1_11target_archE1030ELNS1_3gpuE2ELNS1_3repE0EEENS1_47radix_sort_onesweep_sort_config_static_selectorELNS0_4arch9wavefront6targetE1EEEvSE_,@function
_ZN7rocprim17ROCPRIM_400000_NS6detail17trampoline_kernelINS0_14default_configENS1_35radix_sort_onesweep_config_selectorIiNS0_10empty_typeEEEZZNS1_29radix_sort_onesweep_iterationIS3_Lb0EPiS8_PS5_S9_mNS0_19identity_decomposerENS1_16block_id_wrapperIjLb0EEEEE10hipError_tT1_PNSt15iterator_traitsISE_E10value_typeET2_T3_PNSF_ISK_E10value_typeET4_T5_PSP_SQ_PNS1_23onesweep_lookback_stateEbbT6_jjT7_P12ihipStream_tbENKUlT_T0_SE_SJ_E_clIS8_S8_S9_S9_EEDaSX_SY_SE_SJ_EUlSX_E_NS1_11comp_targetILNS1_3genE8ELNS1_11target_archE1030ELNS1_3gpuE2ELNS1_3repE0EEENS1_47radix_sort_onesweep_sort_config_static_selectorELNS0_4arch9wavefront6targetE1EEEvSE_: ; @_ZN7rocprim17ROCPRIM_400000_NS6detail17trampoline_kernelINS0_14default_configENS1_35radix_sort_onesweep_config_selectorIiNS0_10empty_typeEEEZZNS1_29radix_sort_onesweep_iterationIS3_Lb0EPiS8_PS5_S9_mNS0_19identity_decomposerENS1_16block_id_wrapperIjLb0EEEEE10hipError_tT1_PNSt15iterator_traitsISE_E10value_typeET2_T3_PNSF_ISK_E10value_typeET4_T5_PSP_SQ_PNS1_23onesweep_lookback_stateEbbT6_jjT7_P12ihipStream_tbENKUlT_T0_SE_SJ_E_clIS8_S8_S9_S9_EEDaSX_SY_SE_SJ_EUlSX_E_NS1_11comp_targetILNS1_3genE8ELNS1_11target_archE1030ELNS1_3gpuE2ELNS1_3repE0EEENS1_47radix_sort_onesweep_sort_config_static_selectorELNS0_4arch9wavefront6targetE1EEEvSE_
; %bb.0:
	.section	.rodata,"a",@progbits
	.p2align	6, 0x0
	.amdhsa_kernel _ZN7rocprim17ROCPRIM_400000_NS6detail17trampoline_kernelINS0_14default_configENS1_35radix_sort_onesweep_config_selectorIiNS0_10empty_typeEEEZZNS1_29radix_sort_onesweep_iterationIS3_Lb0EPiS8_PS5_S9_mNS0_19identity_decomposerENS1_16block_id_wrapperIjLb0EEEEE10hipError_tT1_PNSt15iterator_traitsISE_E10value_typeET2_T3_PNSF_ISK_E10value_typeET4_T5_PSP_SQ_PNS1_23onesweep_lookback_stateEbbT6_jjT7_P12ihipStream_tbENKUlT_T0_SE_SJ_E_clIS8_S8_S9_S9_EEDaSX_SY_SE_SJ_EUlSX_E_NS1_11comp_targetILNS1_3genE8ELNS1_11target_archE1030ELNS1_3gpuE2ELNS1_3repE0EEENS1_47radix_sort_onesweep_sort_config_static_selectorELNS0_4arch9wavefront6targetE1EEEvSE_
		.amdhsa_group_segment_fixed_size 0
		.amdhsa_private_segment_fixed_size 0
		.amdhsa_kernarg_size 88
		.amdhsa_user_sgpr_count 6
		.amdhsa_user_sgpr_private_segment_buffer 1
		.amdhsa_user_sgpr_dispatch_ptr 0
		.amdhsa_user_sgpr_queue_ptr 0
		.amdhsa_user_sgpr_kernarg_segment_ptr 1
		.amdhsa_user_sgpr_dispatch_id 0
		.amdhsa_user_sgpr_flat_scratch_init 0
		.amdhsa_user_sgpr_kernarg_preload_length 0
		.amdhsa_user_sgpr_kernarg_preload_offset 0
		.amdhsa_user_sgpr_private_segment_size 0
		.amdhsa_uses_dynamic_stack 0
		.amdhsa_system_sgpr_private_segment_wavefront_offset 0
		.amdhsa_system_sgpr_workgroup_id_x 1
		.amdhsa_system_sgpr_workgroup_id_y 0
		.amdhsa_system_sgpr_workgroup_id_z 0
		.amdhsa_system_sgpr_workgroup_info 0
		.amdhsa_system_vgpr_workitem_id 0
		.amdhsa_next_free_vgpr 1
		.amdhsa_next_free_sgpr 0
		.amdhsa_accum_offset 4
		.amdhsa_reserve_vcc 0
		.amdhsa_reserve_flat_scratch 0
		.amdhsa_float_round_mode_32 0
		.amdhsa_float_round_mode_16_64 0
		.amdhsa_float_denorm_mode_32 3
		.amdhsa_float_denorm_mode_16_64 3
		.amdhsa_dx10_clamp 1
		.amdhsa_ieee_mode 1
		.amdhsa_fp16_overflow 0
		.amdhsa_tg_split 0
		.amdhsa_exception_fp_ieee_invalid_op 0
		.amdhsa_exception_fp_denorm_src 0
		.amdhsa_exception_fp_ieee_div_zero 0
		.amdhsa_exception_fp_ieee_overflow 0
		.amdhsa_exception_fp_ieee_underflow 0
		.amdhsa_exception_fp_ieee_inexact 0
		.amdhsa_exception_int_div_zero 0
	.end_amdhsa_kernel
	.section	.text._ZN7rocprim17ROCPRIM_400000_NS6detail17trampoline_kernelINS0_14default_configENS1_35radix_sort_onesweep_config_selectorIiNS0_10empty_typeEEEZZNS1_29radix_sort_onesweep_iterationIS3_Lb0EPiS8_PS5_S9_mNS0_19identity_decomposerENS1_16block_id_wrapperIjLb0EEEEE10hipError_tT1_PNSt15iterator_traitsISE_E10value_typeET2_T3_PNSF_ISK_E10value_typeET4_T5_PSP_SQ_PNS1_23onesweep_lookback_stateEbbT6_jjT7_P12ihipStream_tbENKUlT_T0_SE_SJ_E_clIS8_S8_S9_S9_EEDaSX_SY_SE_SJ_EUlSX_E_NS1_11comp_targetILNS1_3genE8ELNS1_11target_archE1030ELNS1_3gpuE2ELNS1_3repE0EEENS1_47radix_sort_onesweep_sort_config_static_selectorELNS0_4arch9wavefront6targetE1EEEvSE_,"axG",@progbits,_ZN7rocprim17ROCPRIM_400000_NS6detail17trampoline_kernelINS0_14default_configENS1_35radix_sort_onesweep_config_selectorIiNS0_10empty_typeEEEZZNS1_29radix_sort_onesweep_iterationIS3_Lb0EPiS8_PS5_S9_mNS0_19identity_decomposerENS1_16block_id_wrapperIjLb0EEEEE10hipError_tT1_PNSt15iterator_traitsISE_E10value_typeET2_T3_PNSF_ISK_E10value_typeET4_T5_PSP_SQ_PNS1_23onesweep_lookback_stateEbbT6_jjT7_P12ihipStream_tbENKUlT_T0_SE_SJ_E_clIS8_S8_S9_S9_EEDaSX_SY_SE_SJ_EUlSX_E_NS1_11comp_targetILNS1_3genE8ELNS1_11target_archE1030ELNS1_3gpuE2ELNS1_3repE0EEENS1_47radix_sort_onesweep_sort_config_static_selectorELNS0_4arch9wavefront6targetE1EEEvSE_,comdat
.Lfunc_end667:
	.size	_ZN7rocprim17ROCPRIM_400000_NS6detail17trampoline_kernelINS0_14default_configENS1_35radix_sort_onesweep_config_selectorIiNS0_10empty_typeEEEZZNS1_29radix_sort_onesweep_iterationIS3_Lb0EPiS8_PS5_S9_mNS0_19identity_decomposerENS1_16block_id_wrapperIjLb0EEEEE10hipError_tT1_PNSt15iterator_traitsISE_E10value_typeET2_T3_PNSF_ISK_E10value_typeET4_T5_PSP_SQ_PNS1_23onesweep_lookback_stateEbbT6_jjT7_P12ihipStream_tbENKUlT_T0_SE_SJ_E_clIS8_S8_S9_S9_EEDaSX_SY_SE_SJ_EUlSX_E_NS1_11comp_targetILNS1_3genE8ELNS1_11target_archE1030ELNS1_3gpuE2ELNS1_3repE0EEENS1_47radix_sort_onesweep_sort_config_static_selectorELNS0_4arch9wavefront6targetE1EEEvSE_, .Lfunc_end667-_ZN7rocprim17ROCPRIM_400000_NS6detail17trampoline_kernelINS0_14default_configENS1_35radix_sort_onesweep_config_selectorIiNS0_10empty_typeEEEZZNS1_29radix_sort_onesweep_iterationIS3_Lb0EPiS8_PS5_S9_mNS0_19identity_decomposerENS1_16block_id_wrapperIjLb0EEEEE10hipError_tT1_PNSt15iterator_traitsISE_E10value_typeET2_T3_PNSF_ISK_E10value_typeET4_T5_PSP_SQ_PNS1_23onesweep_lookback_stateEbbT6_jjT7_P12ihipStream_tbENKUlT_T0_SE_SJ_E_clIS8_S8_S9_S9_EEDaSX_SY_SE_SJ_EUlSX_E_NS1_11comp_targetILNS1_3genE8ELNS1_11target_archE1030ELNS1_3gpuE2ELNS1_3repE0EEENS1_47radix_sort_onesweep_sort_config_static_selectorELNS0_4arch9wavefront6targetE1EEEvSE_
                                        ; -- End function
	.section	.AMDGPU.csdata,"",@progbits
; Kernel info:
; codeLenInByte = 0
; NumSgprs: 4
; NumVgprs: 0
; NumAgprs: 0
; TotalNumVgprs: 0
; ScratchSize: 0
; MemoryBound: 0
; FloatMode: 240
; IeeeMode: 1
; LDSByteSize: 0 bytes/workgroup (compile time only)
; SGPRBlocks: 0
; VGPRBlocks: 0
; NumSGPRsForWavesPerEU: 4
; NumVGPRsForWavesPerEU: 1
; AccumOffset: 4
; Occupancy: 8
; WaveLimiterHint : 0
; COMPUTE_PGM_RSRC2:SCRATCH_EN: 0
; COMPUTE_PGM_RSRC2:USER_SGPR: 6
; COMPUTE_PGM_RSRC2:TRAP_HANDLER: 0
; COMPUTE_PGM_RSRC2:TGID_X_EN: 1
; COMPUTE_PGM_RSRC2:TGID_Y_EN: 0
; COMPUTE_PGM_RSRC2:TGID_Z_EN: 0
; COMPUTE_PGM_RSRC2:TIDIG_COMP_CNT: 0
; COMPUTE_PGM_RSRC3_GFX90A:ACCUM_OFFSET: 0
; COMPUTE_PGM_RSRC3_GFX90A:TG_SPLIT: 0
	.section	.text._ZN7rocprim17ROCPRIM_400000_NS6detail17trampoline_kernelINS0_13kernel_configILj256ELj4ELj4294967295EEENS1_37radix_sort_block_sort_config_selectorIjNS0_10empty_typeEEEZNS1_21radix_sort_block_sortIS4_Lb0EPjS9_PS6_SA_NS0_19identity_decomposerEEE10hipError_tT1_T2_T3_T4_jRjT5_jjP12ihipStream_tbEUlT_E_NS1_11comp_targetILNS1_3genE0ELNS1_11target_archE4294967295ELNS1_3gpuE0ELNS1_3repE0EEENS1_44radix_sort_block_sort_config_static_selectorELNS0_4arch9wavefront6targetE1EEEvSD_,"axG",@progbits,_ZN7rocprim17ROCPRIM_400000_NS6detail17trampoline_kernelINS0_13kernel_configILj256ELj4ELj4294967295EEENS1_37radix_sort_block_sort_config_selectorIjNS0_10empty_typeEEEZNS1_21radix_sort_block_sortIS4_Lb0EPjS9_PS6_SA_NS0_19identity_decomposerEEE10hipError_tT1_T2_T3_T4_jRjT5_jjP12ihipStream_tbEUlT_E_NS1_11comp_targetILNS1_3genE0ELNS1_11target_archE4294967295ELNS1_3gpuE0ELNS1_3repE0EEENS1_44radix_sort_block_sort_config_static_selectorELNS0_4arch9wavefront6targetE1EEEvSD_,comdat
	.protected	_ZN7rocprim17ROCPRIM_400000_NS6detail17trampoline_kernelINS0_13kernel_configILj256ELj4ELj4294967295EEENS1_37radix_sort_block_sort_config_selectorIjNS0_10empty_typeEEEZNS1_21radix_sort_block_sortIS4_Lb0EPjS9_PS6_SA_NS0_19identity_decomposerEEE10hipError_tT1_T2_T3_T4_jRjT5_jjP12ihipStream_tbEUlT_E_NS1_11comp_targetILNS1_3genE0ELNS1_11target_archE4294967295ELNS1_3gpuE0ELNS1_3repE0EEENS1_44radix_sort_block_sort_config_static_selectorELNS0_4arch9wavefront6targetE1EEEvSD_ ; -- Begin function _ZN7rocprim17ROCPRIM_400000_NS6detail17trampoline_kernelINS0_13kernel_configILj256ELj4ELj4294967295EEENS1_37radix_sort_block_sort_config_selectorIjNS0_10empty_typeEEEZNS1_21radix_sort_block_sortIS4_Lb0EPjS9_PS6_SA_NS0_19identity_decomposerEEE10hipError_tT1_T2_T3_T4_jRjT5_jjP12ihipStream_tbEUlT_E_NS1_11comp_targetILNS1_3genE0ELNS1_11target_archE4294967295ELNS1_3gpuE0ELNS1_3repE0EEENS1_44radix_sort_block_sort_config_static_selectorELNS0_4arch9wavefront6targetE1EEEvSD_
	.globl	_ZN7rocprim17ROCPRIM_400000_NS6detail17trampoline_kernelINS0_13kernel_configILj256ELj4ELj4294967295EEENS1_37radix_sort_block_sort_config_selectorIjNS0_10empty_typeEEEZNS1_21radix_sort_block_sortIS4_Lb0EPjS9_PS6_SA_NS0_19identity_decomposerEEE10hipError_tT1_T2_T3_T4_jRjT5_jjP12ihipStream_tbEUlT_E_NS1_11comp_targetILNS1_3genE0ELNS1_11target_archE4294967295ELNS1_3gpuE0ELNS1_3repE0EEENS1_44radix_sort_block_sort_config_static_selectorELNS0_4arch9wavefront6targetE1EEEvSD_
	.p2align	8
	.type	_ZN7rocprim17ROCPRIM_400000_NS6detail17trampoline_kernelINS0_13kernel_configILj256ELj4ELj4294967295EEENS1_37radix_sort_block_sort_config_selectorIjNS0_10empty_typeEEEZNS1_21radix_sort_block_sortIS4_Lb0EPjS9_PS6_SA_NS0_19identity_decomposerEEE10hipError_tT1_T2_T3_T4_jRjT5_jjP12ihipStream_tbEUlT_E_NS1_11comp_targetILNS1_3genE0ELNS1_11target_archE4294967295ELNS1_3gpuE0ELNS1_3repE0EEENS1_44radix_sort_block_sort_config_static_selectorELNS0_4arch9wavefront6targetE1EEEvSD_,@function
_ZN7rocprim17ROCPRIM_400000_NS6detail17trampoline_kernelINS0_13kernel_configILj256ELj4ELj4294967295EEENS1_37radix_sort_block_sort_config_selectorIjNS0_10empty_typeEEEZNS1_21radix_sort_block_sortIS4_Lb0EPjS9_PS6_SA_NS0_19identity_decomposerEEE10hipError_tT1_T2_T3_T4_jRjT5_jjP12ihipStream_tbEUlT_E_NS1_11comp_targetILNS1_3genE0ELNS1_11target_archE4294967295ELNS1_3gpuE0ELNS1_3repE0EEENS1_44radix_sort_block_sort_config_static_selectorELNS0_4arch9wavefront6targetE1EEEvSD_: ; @_ZN7rocprim17ROCPRIM_400000_NS6detail17trampoline_kernelINS0_13kernel_configILj256ELj4ELj4294967295EEENS1_37radix_sort_block_sort_config_selectorIjNS0_10empty_typeEEEZNS1_21radix_sort_block_sortIS4_Lb0EPjS9_PS6_SA_NS0_19identity_decomposerEEE10hipError_tT1_T2_T3_T4_jRjT5_jjP12ihipStream_tbEUlT_E_NS1_11comp_targetILNS1_3genE0ELNS1_11target_archE4294967295ELNS1_3gpuE0ELNS1_3repE0EEENS1_44radix_sort_block_sort_config_static_selectorELNS0_4arch9wavefront6targetE1EEEvSD_
; %bb.0:
	.section	.rodata,"a",@progbits
	.p2align	6, 0x0
	.amdhsa_kernel _ZN7rocprim17ROCPRIM_400000_NS6detail17trampoline_kernelINS0_13kernel_configILj256ELj4ELj4294967295EEENS1_37radix_sort_block_sort_config_selectorIjNS0_10empty_typeEEEZNS1_21radix_sort_block_sortIS4_Lb0EPjS9_PS6_SA_NS0_19identity_decomposerEEE10hipError_tT1_T2_T3_T4_jRjT5_jjP12ihipStream_tbEUlT_E_NS1_11comp_targetILNS1_3genE0ELNS1_11target_archE4294967295ELNS1_3gpuE0ELNS1_3repE0EEENS1_44radix_sort_block_sort_config_static_selectorELNS0_4arch9wavefront6targetE1EEEvSD_
		.amdhsa_group_segment_fixed_size 0
		.amdhsa_private_segment_fixed_size 0
		.amdhsa_kernarg_size 48
		.amdhsa_user_sgpr_count 6
		.amdhsa_user_sgpr_private_segment_buffer 1
		.amdhsa_user_sgpr_dispatch_ptr 0
		.amdhsa_user_sgpr_queue_ptr 0
		.amdhsa_user_sgpr_kernarg_segment_ptr 1
		.amdhsa_user_sgpr_dispatch_id 0
		.amdhsa_user_sgpr_flat_scratch_init 0
		.amdhsa_user_sgpr_kernarg_preload_length 0
		.amdhsa_user_sgpr_kernarg_preload_offset 0
		.amdhsa_user_sgpr_private_segment_size 0
		.amdhsa_uses_dynamic_stack 0
		.amdhsa_system_sgpr_private_segment_wavefront_offset 0
		.amdhsa_system_sgpr_workgroup_id_x 1
		.amdhsa_system_sgpr_workgroup_id_y 0
		.amdhsa_system_sgpr_workgroup_id_z 0
		.amdhsa_system_sgpr_workgroup_info 0
		.amdhsa_system_vgpr_workitem_id 0
		.amdhsa_next_free_vgpr 1
		.amdhsa_next_free_sgpr 0
		.amdhsa_accum_offset 4
		.amdhsa_reserve_vcc 0
		.amdhsa_reserve_flat_scratch 0
		.amdhsa_float_round_mode_32 0
		.amdhsa_float_round_mode_16_64 0
		.amdhsa_float_denorm_mode_32 3
		.amdhsa_float_denorm_mode_16_64 3
		.amdhsa_dx10_clamp 1
		.amdhsa_ieee_mode 1
		.amdhsa_fp16_overflow 0
		.amdhsa_tg_split 0
		.amdhsa_exception_fp_ieee_invalid_op 0
		.amdhsa_exception_fp_denorm_src 0
		.amdhsa_exception_fp_ieee_div_zero 0
		.amdhsa_exception_fp_ieee_overflow 0
		.amdhsa_exception_fp_ieee_underflow 0
		.amdhsa_exception_fp_ieee_inexact 0
		.amdhsa_exception_int_div_zero 0
	.end_amdhsa_kernel
	.section	.text._ZN7rocprim17ROCPRIM_400000_NS6detail17trampoline_kernelINS0_13kernel_configILj256ELj4ELj4294967295EEENS1_37radix_sort_block_sort_config_selectorIjNS0_10empty_typeEEEZNS1_21radix_sort_block_sortIS4_Lb0EPjS9_PS6_SA_NS0_19identity_decomposerEEE10hipError_tT1_T2_T3_T4_jRjT5_jjP12ihipStream_tbEUlT_E_NS1_11comp_targetILNS1_3genE0ELNS1_11target_archE4294967295ELNS1_3gpuE0ELNS1_3repE0EEENS1_44radix_sort_block_sort_config_static_selectorELNS0_4arch9wavefront6targetE1EEEvSD_,"axG",@progbits,_ZN7rocprim17ROCPRIM_400000_NS6detail17trampoline_kernelINS0_13kernel_configILj256ELj4ELj4294967295EEENS1_37radix_sort_block_sort_config_selectorIjNS0_10empty_typeEEEZNS1_21radix_sort_block_sortIS4_Lb0EPjS9_PS6_SA_NS0_19identity_decomposerEEE10hipError_tT1_T2_T3_T4_jRjT5_jjP12ihipStream_tbEUlT_E_NS1_11comp_targetILNS1_3genE0ELNS1_11target_archE4294967295ELNS1_3gpuE0ELNS1_3repE0EEENS1_44radix_sort_block_sort_config_static_selectorELNS0_4arch9wavefront6targetE1EEEvSD_,comdat
.Lfunc_end668:
	.size	_ZN7rocprim17ROCPRIM_400000_NS6detail17trampoline_kernelINS0_13kernel_configILj256ELj4ELj4294967295EEENS1_37radix_sort_block_sort_config_selectorIjNS0_10empty_typeEEEZNS1_21radix_sort_block_sortIS4_Lb0EPjS9_PS6_SA_NS0_19identity_decomposerEEE10hipError_tT1_T2_T3_T4_jRjT5_jjP12ihipStream_tbEUlT_E_NS1_11comp_targetILNS1_3genE0ELNS1_11target_archE4294967295ELNS1_3gpuE0ELNS1_3repE0EEENS1_44radix_sort_block_sort_config_static_selectorELNS0_4arch9wavefront6targetE1EEEvSD_, .Lfunc_end668-_ZN7rocprim17ROCPRIM_400000_NS6detail17trampoline_kernelINS0_13kernel_configILj256ELj4ELj4294967295EEENS1_37radix_sort_block_sort_config_selectorIjNS0_10empty_typeEEEZNS1_21radix_sort_block_sortIS4_Lb0EPjS9_PS6_SA_NS0_19identity_decomposerEEE10hipError_tT1_T2_T3_T4_jRjT5_jjP12ihipStream_tbEUlT_E_NS1_11comp_targetILNS1_3genE0ELNS1_11target_archE4294967295ELNS1_3gpuE0ELNS1_3repE0EEENS1_44radix_sort_block_sort_config_static_selectorELNS0_4arch9wavefront6targetE1EEEvSD_
                                        ; -- End function
	.section	.AMDGPU.csdata,"",@progbits
; Kernel info:
; codeLenInByte = 0
; NumSgprs: 4
; NumVgprs: 0
; NumAgprs: 0
; TotalNumVgprs: 0
; ScratchSize: 0
; MemoryBound: 0
; FloatMode: 240
; IeeeMode: 1
; LDSByteSize: 0 bytes/workgroup (compile time only)
; SGPRBlocks: 0
; VGPRBlocks: 0
; NumSGPRsForWavesPerEU: 4
; NumVGPRsForWavesPerEU: 1
; AccumOffset: 4
; Occupancy: 8
; WaveLimiterHint : 0
; COMPUTE_PGM_RSRC2:SCRATCH_EN: 0
; COMPUTE_PGM_RSRC2:USER_SGPR: 6
; COMPUTE_PGM_RSRC2:TRAP_HANDLER: 0
; COMPUTE_PGM_RSRC2:TGID_X_EN: 1
; COMPUTE_PGM_RSRC2:TGID_Y_EN: 0
; COMPUTE_PGM_RSRC2:TGID_Z_EN: 0
; COMPUTE_PGM_RSRC2:TIDIG_COMP_CNT: 0
; COMPUTE_PGM_RSRC3_GFX90A:ACCUM_OFFSET: 0
; COMPUTE_PGM_RSRC3_GFX90A:TG_SPLIT: 0
	.section	.text._ZN7rocprim17ROCPRIM_400000_NS6detail17trampoline_kernelINS0_13kernel_configILj256ELj4ELj4294967295EEENS1_37radix_sort_block_sort_config_selectorIjNS0_10empty_typeEEEZNS1_21radix_sort_block_sortIS4_Lb0EPjS9_PS6_SA_NS0_19identity_decomposerEEE10hipError_tT1_T2_T3_T4_jRjT5_jjP12ihipStream_tbEUlT_E_NS1_11comp_targetILNS1_3genE5ELNS1_11target_archE942ELNS1_3gpuE9ELNS1_3repE0EEENS1_44radix_sort_block_sort_config_static_selectorELNS0_4arch9wavefront6targetE1EEEvSD_,"axG",@progbits,_ZN7rocprim17ROCPRIM_400000_NS6detail17trampoline_kernelINS0_13kernel_configILj256ELj4ELj4294967295EEENS1_37radix_sort_block_sort_config_selectorIjNS0_10empty_typeEEEZNS1_21radix_sort_block_sortIS4_Lb0EPjS9_PS6_SA_NS0_19identity_decomposerEEE10hipError_tT1_T2_T3_T4_jRjT5_jjP12ihipStream_tbEUlT_E_NS1_11comp_targetILNS1_3genE5ELNS1_11target_archE942ELNS1_3gpuE9ELNS1_3repE0EEENS1_44radix_sort_block_sort_config_static_selectorELNS0_4arch9wavefront6targetE1EEEvSD_,comdat
	.protected	_ZN7rocprim17ROCPRIM_400000_NS6detail17trampoline_kernelINS0_13kernel_configILj256ELj4ELj4294967295EEENS1_37radix_sort_block_sort_config_selectorIjNS0_10empty_typeEEEZNS1_21radix_sort_block_sortIS4_Lb0EPjS9_PS6_SA_NS0_19identity_decomposerEEE10hipError_tT1_T2_T3_T4_jRjT5_jjP12ihipStream_tbEUlT_E_NS1_11comp_targetILNS1_3genE5ELNS1_11target_archE942ELNS1_3gpuE9ELNS1_3repE0EEENS1_44radix_sort_block_sort_config_static_selectorELNS0_4arch9wavefront6targetE1EEEvSD_ ; -- Begin function _ZN7rocprim17ROCPRIM_400000_NS6detail17trampoline_kernelINS0_13kernel_configILj256ELj4ELj4294967295EEENS1_37radix_sort_block_sort_config_selectorIjNS0_10empty_typeEEEZNS1_21radix_sort_block_sortIS4_Lb0EPjS9_PS6_SA_NS0_19identity_decomposerEEE10hipError_tT1_T2_T3_T4_jRjT5_jjP12ihipStream_tbEUlT_E_NS1_11comp_targetILNS1_3genE5ELNS1_11target_archE942ELNS1_3gpuE9ELNS1_3repE0EEENS1_44radix_sort_block_sort_config_static_selectorELNS0_4arch9wavefront6targetE1EEEvSD_
	.globl	_ZN7rocprim17ROCPRIM_400000_NS6detail17trampoline_kernelINS0_13kernel_configILj256ELj4ELj4294967295EEENS1_37radix_sort_block_sort_config_selectorIjNS0_10empty_typeEEEZNS1_21radix_sort_block_sortIS4_Lb0EPjS9_PS6_SA_NS0_19identity_decomposerEEE10hipError_tT1_T2_T3_T4_jRjT5_jjP12ihipStream_tbEUlT_E_NS1_11comp_targetILNS1_3genE5ELNS1_11target_archE942ELNS1_3gpuE9ELNS1_3repE0EEENS1_44radix_sort_block_sort_config_static_selectorELNS0_4arch9wavefront6targetE1EEEvSD_
	.p2align	8
	.type	_ZN7rocprim17ROCPRIM_400000_NS6detail17trampoline_kernelINS0_13kernel_configILj256ELj4ELj4294967295EEENS1_37radix_sort_block_sort_config_selectorIjNS0_10empty_typeEEEZNS1_21radix_sort_block_sortIS4_Lb0EPjS9_PS6_SA_NS0_19identity_decomposerEEE10hipError_tT1_T2_T3_T4_jRjT5_jjP12ihipStream_tbEUlT_E_NS1_11comp_targetILNS1_3genE5ELNS1_11target_archE942ELNS1_3gpuE9ELNS1_3repE0EEENS1_44radix_sort_block_sort_config_static_selectorELNS0_4arch9wavefront6targetE1EEEvSD_,@function
_ZN7rocprim17ROCPRIM_400000_NS6detail17trampoline_kernelINS0_13kernel_configILj256ELj4ELj4294967295EEENS1_37radix_sort_block_sort_config_selectorIjNS0_10empty_typeEEEZNS1_21radix_sort_block_sortIS4_Lb0EPjS9_PS6_SA_NS0_19identity_decomposerEEE10hipError_tT1_T2_T3_T4_jRjT5_jjP12ihipStream_tbEUlT_E_NS1_11comp_targetILNS1_3genE5ELNS1_11target_archE942ELNS1_3gpuE9ELNS1_3repE0EEENS1_44radix_sort_block_sort_config_static_selectorELNS0_4arch9wavefront6targetE1EEEvSD_: ; @_ZN7rocprim17ROCPRIM_400000_NS6detail17trampoline_kernelINS0_13kernel_configILj256ELj4ELj4294967295EEENS1_37radix_sort_block_sort_config_selectorIjNS0_10empty_typeEEEZNS1_21radix_sort_block_sortIS4_Lb0EPjS9_PS6_SA_NS0_19identity_decomposerEEE10hipError_tT1_T2_T3_T4_jRjT5_jjP12ihipStream_tbEUlT_E_NS1_11comp_targetILNS1_3genE5ELNS1_11target_archE942ELNS1_3gpuE9ELNS1_3repE0EEENS1_44radix_sort_block_sort_config_static_selectorELNS0_4arch9wavefront6targetE1EEEvSD_
; %bb.0:
	.section	.rodata,"a",@progbits
	.p2align	6, 0x0
	.amdhsa_kernel _ZN7rocprim17ROCPRIM_400000_NS6detail17trampoline_kernelINS0_13kernel_configILj256ELj4ELj4294967295EEENS1_37radix_sort_block_sort_config_selectorIjNS0_10empty_typeEEEZNS1_21radix_sort_block_sortIS4_Lb0EPjS9_PS6_SA_NS0_19identity_decomposerEEE10hipError_tT1_T2_T3_T4_jRjT5_jjP12ihipStream_tbEUlT_E_NS1_11comp_targetILNS1_3genE5ELNS1_11target_archE942ELNS1_3gpuE9ELNS1_3repE0EEENS1_44radix_sort_block_sort_config_static_selectorELNS0_4arch9wavefront6targetE1EEEvSD_
		.amdhsa_group_segment_fixed_size 0
		.amdhsa_private_segment_fixed_size 0
		.amdhsa_kernarg_size 48
		.amdhsa_user_sgpr_count 6
		.amdhsa_user_sgpr_private_segment_buffer 1
		.amdhsa_user_sgpr_dispatch_ptr 0
		.amdhsa_user_sgpr_queue_ptr 0
		.amdhsa_user_sgpr_kernarg_segment_ptr 1
		.amdhsa_user_sgpr_dispatch_id 0
		.amdhsa_user_sgpr_flat_scratch_init 0
		.amdhsa_user_sgpr_kernarg_preload_length 0
		.amdhsa_user_sgpr_kernarg_preload_offset 0
		.amdhsa_user_sgpr_private_segment_size 0
		.amdhsa_uses_dynamic_stack 0
		.amdhsa_system_sgpr_private_segment_wavefront_offset 0
		.amdhsa_system_sgpr_workgroup_id_x 1
		.amdhsa_system_sgpr_workgroup_id_y 0
		.amdhsa_system_sgpr_workgroup_id_z 0
		.amdhsa_system_sgpr_workgroup_info 0
		.amdhsa_system_vgpr_workitem_id 0
		.amdhsa_next_free_vgpr 1
		.amdhsa_next_free_sgpr 0
		.amdhsa_accum_offset 4
		.amdhsa_reserve_vcc 0
		.amdhsa_reserve_flat_scratch 0
		.amdhsa_float_round_mode_32 0
		.amdhsa_float_round_mode_16_64 0
		.amdhsa_float_denorm_mode_32 3
		.amdhsa_float_denorm_mode_16_64 3
		.amdhsa_dx10_clamp 1
		.amdhsa_ieee_mode 1
		.amdhsa_fp16_overflow 0
		.amdhsa_tg_split 0
		.amdhsa_exception_fp_ieee_invalid_op 0
		.amdhsa_exception_fp_denorm_src 0
		.amdhsa_exception_fp_ieee_div_zero 0
		.amdhsa_exception_fp_ieee_overflow 0
		.amdhsa_exception_fp_ieee_underflow 0
		.amdhsa_exception_fp_ieee_inexact 0
		.amdhsa_exception_int_div_zero 0
	.end_amdhsa_kernel
	.section	.text._ZN7rocprim17ROCPRIM_400000_NS6detail17trampoline_kernelINS0_13kernel_configILj256ELj4ELj4294967295EEENS1_37radix_sort_block_sort_config_selectorIjNS0_10empty_typeEEEZNS1_21radix_sort_block_sortIS4_Lb0EPjS9_PS6_SA_NS0_19identity_decomposerEEE10hipError_tT1_T2_T3_T4_jRjT5_jjP12ihipStream_tbEUlT_E_NS1_11comp_targetILNS1_3genE5ELNS1_11target_archE942ELNS1_3gpuE9ELNS1_3repE0EEENS1_44radix_sort_block_sort_config_static_selectorELNS0_4arch9wavefront6targetE1EEEvSD_,"axG",@progbits,_ZN7rocprim17ROCPRIM_400000_NS6detail17trampoline_kernelINS0_13kernel_configILj256ELj4ELj4294967295EEENS1_37radix_sort_block_sort_config_selectorIjNS0_10empty_typeEEEZNS1_21radix_sort_block_sortIS4_Lb0EPjS9_PS6_SA_NS0_19identity_decomposerEEE10hipError_tT1_T2_T3_T4_jRjT5_jjP12ihipStream_tbEUlT_E_NS1_11comp_targetILNS1_3genE5ELNS1_11target_archE942ELNS1_3gpuE9ELNS1_3repE0EEENS1_44radix_sort_block_sort_config_static_selectorELNS0_4arch9wavefront6targetE1EEEvSD_,comdat
.Lfunc_end669:
	.size	_ZN7rocprim17ROCPRIM_400000_NS6detail17trampoline_kernelINS0_13kernel_configILj256ELj4ELj4294967295EEENS1_37radix_sort_block_sort_config_selectorIjNS0_10empty_typeEEEZNS1_21radix_sort_block_sortIS4_Lb0EPjS9_PS6_SA_NS0_19identity_decomposerEEE10hipError_tT1_T2_T3_T4_jRjT5_jjP12ihipStream_tbEUlT_E_NS1_11comp_targetILNS1_3genE5ELNS1_11target_archE942ELNS1_3gpuE9ELNS1_3repE0EEENS1_44radix_sort_block_sort_config_static_selectorELNS0_4arch9wavefront6targetE1EEEvSD_, .Lfunc_end669-_ZN7rocprim17ROCPRIM_400000_NS6detail17trampoline_kernelINS0_13kernel_configILj256ELj4ELj4294967295EEENS1_37radix_sort_block_sort_config_selectorIjNS0_10empty_typeEEEZNS1_21radix_sort_block_sortIS4_Lb0EPjS9_PS6_SA_NS0_19identity_decomposerEEE10hipError_tT1_T2_T3_T4_jRjT5_jjP12ihipStream_tbEUlT_E_NS1_11comp_targetILNS1_3genE5ELNS1_11target_archE942ELNS1_3gpuE9ELNS1_3repE0EEENS1_44radix_sort_block_sort_config_static_selectorELNS0_4arch9wavefront6targetE1EEEvSD_
                                        ; -- End function
	.section	.AMDGPU.csdata,"",@progbits
; Kernel info:
; codeLenInByte = 0
; NumSgprs: 4
; NumVgprs: 0
; NumAgprs: 0
; TotalNumVgprs: 0
; ScratchSize: 0
; MemoryBound: 0
; FloatMode: 240
; IeeeMode: 1
; LDSByteSize: 0 bytes/workgroup (compile time only)
; SGPRBlocks: 0
; VGPRBlocks: 0
; NumSGPRsForWavesPerEU: 4
; NumVGPRsForWavesPerEU: 1
; AccumOffset: 4
; Occupancy: 8
; WaveLimiterHint : 0
; COMPUTE_PGM_RSRC2:SCRATCH_EN: 0
; COMPUTE_PGM_RSRC2:USER_SGPR: 6
; COMPUTE_PGM_RSRC2:TRAP_HANDLER: 0
; COMPUTE_PGM_RSRC2:TGID_X_EN: 1
; COMPUTE_PGM_RSRC2:TGID_Y_EN: 0
; COMPUTE_PGM_RSRC2:TGID_Z_EN: 0
; COMPUTE_PGM_RSRC2:TIDIG_COMP_CNT: 0
; COMPUTE_PGM_RSRC3_GFX90A:ACCUM_OFFSET: 0
; COMPUTE_PGM_RSRC3_GFX90A:TG_SPLIT: 0
	.section	.text._ZN7rocprim17ROCPRIM_400000_NS6detail17trampoline_kernelINS0_13kernel_configILj256ELj4ELj4294967295EEENS1_37radix_sort_block_sort_config_selectorIjNS0_10empty_typeEEEZNS1_21radix_sort_block_sortIS4_Lb0EPjS9_PS6_SA_NS0_19identity_decomposerEEE10hipError_tT1_T2_T3_T4_jRjT5_jjP12ihipStream_tbEUlT_E_NS1_11comp_targetILNS1_3genE4ELNS1_11target_archE910ELNS1_3gpuE8ELNS1_3repE0EEENS1_44radix_sort_block_sort_config_static_selectorELNS0_4arch9wavefront6targetE1EEEvSD_,"axG",@progbits,_ZN7rocprim17ROCPRIM_400000_NS6detail17trampoline_kernelINS0_13kernel_configILj256ELj4ELj4294967295EEENS1_37radix_sort_block_sort_config_selectorIjNS0_10empty_typeEEEZNS1_21radix_sort_block_sortIS4_Lb0EPjS9_PS6_SA_NS0_19identity_decomposerEEE10hipError_tT1_T2_T3_T4_jRjT5_jjP12ihipStream_tbEUlT_E_NS1_11comp_targetILNS1_3genE4ELNS1_11target_archE910ELNS1_3gpuE8ELNS1_3repE0EEENS1_44radix_sort_block_sort_config_static_selectorELNS0_4arch9wavefront6targetE1EEEvSD_,comdat
	.protected	_ZN7rocprim17ROCPRIM_400000_NS6detail17trampoline_kernelINS0_13kernel_configILj256ELj4ELj4294967295EEENS1_37radix_sort_block_sort_config_selectorIjNS0_10empty_typeEEEZNS1_21radix_sort_block_sortIS4_Lb0EPjS9_PS6_SA_NS0_19identity_decomposerEEE10hipError_tT1_T2_T3_T4_jRjT5_jjP12ihipStream_tbEUlT_E_NS1_11comp_targetILNS1_3genE4ELNS1_11target_archE910ELNS1_3gpuE8ELNS1_3repE0EEENS1_44radix_sort_block_sort_config_static_selectorELNS0_4arch9wavefront6targetE1EEEvSD_ ; -- Begin function _ZN7rocprim17ROCPRIM_400000_NS6detail17trampoline_kernelINS0_13kernel_configILj256ELj4ELj4294967295EEENS1_37radix_sort_block_sort_config_selectorIjNS0_10empty_typeEEEZNS1_21radix_sort_block_sortIS4_Lb0EPjS9_PS6_SA_NS0_19identity_decomposerEEE10hipError_tT1_T2_T3_T4_jRjT5_jjP12ihipStream_tbEUlT_E_NS1_11comp_targetILNS1_3genE4ELNS1_11target_archE910ELNS1_3gpuE8ELNS1_3repE0EEENS1_44radix_sort_block_sort_config_static_selectorELNS0_4arch9wavefront6targetE1EEEvSD_
	.globl	_ZN7rocprim17ROCPRIM_400000_NS6detail17trampoline_kernelINS0_13kernel_configILj256ELj4ELj4294967295EEENS1_37radix_sort_block_sort_config_selectorIjNS0_10empty_typeEEEZNS1_21radix_sort_block_sortIS4_Lb0EPjS9_PS6_SA_NS0_19identity_decomposerEEE10hipError_tT1_T2_T3_T4_jRjT5_jjP12ihipStream_tbEUlT_E_NS1_11comp_targetILNS1_3genE4ELNS1_11target_archE910ELNS1_3gpuE8ELNS1_3repE0EEENS1_44radix_sort_block_sort_config_static_selectorELNS0_4arch9wavefront6targetE1EEEvSD_
	.p2align	8
	.type	_ZN7rocprim17ROCPRIM_400000_NS6detail17trampoline_kernelINS0_13kernel_configILj256ELj4ELj4294967295EEENS1_37radix_sort_block_sort_config_selectorIjNS0_10empty_typeEEEZNS1_21radix_sort_block_sortIS4_Lb0EPjS9_PS6_SA_NS0_19identity_decomposerEEE10hipError_tT1_T2_T3_T4_jRjT5_jjP12ihipStream_tbEUlT_E_NS1_11comp_targetILNS1_3genE4ELNS1_11target_archE910ELNS1_3gpuE8ELNS1_3repE0EEENS1_44radix_sort_block_sort_config_static_selectorELNS0_4arch9wavefront6targetE1EEEvSD_,@function
_ZN7rocprim17ROCPRIM_400000_NS6detail17trampoline_kernelINS0_13kernel_configILj256ELj4ELj4294967295EEENS1_37radix_sort_block_sort_config_selectorIjNS0_10empty_typeEEEZNS1_21radix_sort_block_sortIS4_Lb0EPjS9_PS6_SA_NS0_19identity_decomposerEEE10hipError_tT1_T2_T3_T4_jRjT5_jjP12ihipStream_tbEUlT_E_NS1_11comp_targetILNS1_3genE4ELNS1_11target_archE910ELNS1_3gpuE8ELNS1_3repE0EEENS1_44radix_sort_block_sort_config_static_selectorELNS0_4arch9wavefront6targetE1EEEvSD_: ; @_ZN7rocprim17ROCPRIM_400000_NS6detail17trampoline_kernelINS0_13kernel_configILj256ELj4ELj4294967295EEENS1_37radix_sort_block_sort_config_selectorIjNS0_10empty_typeEEEZNS1_21radix_sort_block_sortIS4_Lb0EPjS9_PS6_SA_NS0_19identity_decomposerEEE10hipError_tT1_T2_T3_T4_jRjT5_jjP12ihipStream_tbEUlT_E_NS1_11comp_targetILNS1_3genE4ELNS1_11target_archE910ELNS1_3gpuE8ELNS1_3repE0EEENS1_44radix_sort_block_sort_config_static_selectorELNS0_4arch9wavefront6targetE1EEEvSD_
; %bb.0:
	s_load_dword s7, s[4:5], 0x20
	s_load_dwordx4 s[28:31], s[4:5], 0x0
	s_lshl_b32 s0, s6, 10
	s_mov_b32 s1, 0
	v_mbcnt_lo_u32_b32 v1, -1, 0
	s_waitcnt lgkmcnt(0)
	s_lshr_b32 s2, s7, 10
	s_cmp_lg_u32 s6, s2
	s_cselect_b64 s[34:35], -1, 0
	s_lshl_b64 s[36:37], s[0:1], 2
	v_mbcnt_hi_u32_b32 v1, -1, v1
	v_and_b32_e32 v8, 0x3ff, v0
	s_add_u32 s1, s28, s36
	v_and_b32_e32 v10, 63, v1
	s_addc_u32 s3, s29, s37
	v_lshlrev_b32_e32 v9, 2, v8
	v_lshlrev_b32_e32 v2, 2, v10
	v_and_b32_e32 v11, 0x300, v9
	v_mov_b32_e32 v3, s3
	v_add_co_u32_e32 v2, vcc, s1, v2
	v_addc_co_u32_e32 v3, vcc, 0, v3, vcc
	v_lshlrev_b32_e32 v4, 2, v11
	v_add_co_u32_e32 v2, vcc, v2, v4
	s_cmp_eq_u32 s6, s2
	v_addc_co_u32_e32 v3, vcc, 0, v3, vcc
	v_or_b32_e32 v12, v10, v11
	s_cbranch_scc1 .LBB670_2
; %bb.1:
	global_load_dword v4, v[2:3], off
	global_load_dword v5, v[2:3], off offset:256
	global_load_dword v6, v[2:3], off offset:512
	;; [unrolled: 1-line block ×3, first 2 shown]
	v_or_b32_e32 v14, v10, v11
	v_or_b32_e32 v10, 64, v14
	;; [unrolled: 1-line block ×4, first 2 shown]
	s_load_dwordx2 s[28:29], s[4:5], 0x28
	s_sub_i32 s33, s7, s0
	s_cbranch_execz .LBB670_3
	s_branch .LBB670_12
.LBB670_2:
                                        ; implicit-def: $vgpr4_vgpr5_vgpr6_vgpr7
                                        ; implicit-def: $vgpr14
                                        ; implicit-def: $vgpr10
                                        ; implicit-def: $vgpr11
                                        ; implicit-def: $vgpr13
	s_load_dwordx2 s[28:29], s[4:5], 0x28
	s_sub_i32 s33, s7, s0
.LBB670_3:
	s_mov_b32 s0, -1
	s_mov_b32 s2, s0
	s_mov_b32 s3, s0
	;; [unrolled: 1-line block ×3, first 2 shown]
	s_waitcnt vmcnt(0)
	v_pk_mov_b32 v[6:7], s[2:3], s[2:3] op_sel:[0,1]
	v_cmp_gt_u32_e32 vcc, s33, v12
	v_pk_mov_b32 v[4:5], s[0:1], s[0:1] op_sel:[0,1]
	s_and_saveexec_b64 s[0:1], vcc
	s_cbranch_execz .LBB670_5
; %bb.4:
	global_load_dword v4, v[2:3], off
	v_mov_b32_e32 v5, -1
	v_mov_b32_e32 v6, v5
	v_mov_b32_e32 v7, v5
.LBB670_5:
	s_or_b64 exec, exec, s[0:1]
	v_or_b32_e32 v10, 64, v12
	v_cmp_gt_u32_e32 vcc, s33, v10
	s_and_saveexec_b64 s[0:1], vcc
	s_cbranch_execz .LBB670_7
; %bb.6:
	global_load_dword v5, v[2:3], off offset:256
.LBB670_7:
	s_or_b64 exec, exec, s[0:1]
	v_or_b32_e32 v11, 0x80, v12
	v_cmp_gt_u32_e32 vcc, s33, v11
	s_and_saveexec_b64 s[0:1], vcc
	s_cbranch_execz .LBB670_9
; %bb.8:
	global_load_dword v6, v[2:3], off offset:512
.LBB670_9:
	;; [unrolled: 8-line block ×3, first 2 shown]
	s_or_b64 exec, exec, s[0:1]
	v_mov_b32_e32 v14, v12
.LBB670_12:
	s_load_dword s2, s[4:5], 0x3c
	s_waitcnt lgkmcnt(0)
	s_add_i32 s38, s29, s28
	s_getpc_b64 s[0:1]
	s_add_u32 s0, s0, _ZN7rocprim17ROCPRIM_400000_NS16block_radix_sortIjLj256ELj4ENS0_10empty_typeELj1ELj1ELj0ELNS0_26block_radix_rank_algorithmE1ELNS0_18block_padding_hintE2ELNS0_4arch9wavefront6targetE1EE19radix_bits_per_passE@rel32@lo+4
	s_addc_u32 s1, s1, _ZN7rocprim17ROCPRIM_400000_NS16block_radix_sortIjLj256ELj4ENS0_10empty_typeELj1ELj1ELj0ELNS0_26block_radix_rank_algorithmE1ELNS0_18block_padding_hintE2ELNS0_4arch9wavefront6targetE1EE19radix_bits_per_passE@rel32@hi+12
	s_load_dword s39, s[0:1], 0x0
	v_bfe_u32 v2, v0, 10, 10
	s_lshr_b32 s0, s2, 16
	v_bfe_u32 v0, v0, 20, 10
	s_and_b32 s1, s2, 0xffff
	v_mad_u32_u24 v0, v0, s0, v2
	v_mad_u64_u32 v[2:3], s[0:1], v0, s1, v[8:9]
	v_and_b32_e32 v0, 15, v1
	v_cmp_eq_u32_e64 s[0:1], 0, v0
	v_cmp_lt_u32_e64 s[2:3], 1, v0
	v_cmp_lt_u32_e64 s[4:5], 3, v0
	;; [unrolled: 1-line block ×3, first 2 shown]
	v_and_b32_e32 v0, 16, v1
	v_cmp_eq_u32_e64 s[8:9], 0, v0
	v_and_b32_e32 v0, 0x3c0, v8
	v_min_u32_e32 v0, 0xc0, v0
	v_or_b32_e32 v0, 63, v0
	v_lshrrev_b32_e32 v17, 6, v2
	v_cmp_eq_u32_e64 s[12:13], v0, v8
	v_add_u32_e32 v0, -1, v1
	v_and_b32_e32 v2, 64, v1
	v_cmp_lt_i32_e32 vcc, v0, v2
	v_cndmask_b32_e32 v0, v0, v1, vcc
	s_mov_b32 s26, 0
	v_lshlrev_b32_e32 v19, 2, v0
	v_lshrrev_b32_e32 v0, 4, v8
	v_and_b32_e32 v20, 60, v0
	v_and_b32_e32 v0, 3, v1
	s_mov_b32 s27, s26
	s_mov_b32 s40, s26
	;; [unrolled: 1-line block ×3, first 2 shown]
	v_lshlrev_b32_e32 v16, 2, v9
	v_cmp_lt_u32_e64 s[10:11], 31, v1
	v_cmp_gt_u32_e64 s[14:15], 4, v8
	v_cmp_lt_u32_e64 s[16:17], 63, v8
	v_cmp_eq_u32_e64 s[18:19], 0, v1
	v_cmp_eq_u32_e64 s[20:21], 0, v8
	v_mul_i32_i24_e32 v18, -12, v8
	v_cmp_eq_u32_e64 s[22:23], 0, v0
	v_cmp_lt_u32_e64 s[24:25], 1, v0
	v_add_u32_e32 v21, -4, v20
	v_lshlrev_b32_e32 v22, 2, v14
	v_lshlrev_b32_e32 v23, 2, v10
	;; [unrolled: 1-line block ×4, first 2 shown]
	v_pk_mov_b32 v[10:11], s[26:27], s[26:27] op_sel:[0,1]
	v_pk_mov_b32 v[12:13], s[40:41], s[40:41] op_sel:[0,1]
	v_mov_b32_e32 v14, 0
	s_branch .LBB670_14
.LBB670_13:                             ;   in Loop: Header=BB670_14 Depth=1
	s_barrier
	ds_write_b32 v26, v0
	ds_write_b32 v27, v1
	;; [unrolled: 1-line block ×4, first 2 shown]
	s_waitcnt lgkmcnt(0)
	s_barrier
	ds_read_b32 v4, v22
	ds_read_b32 v5, v23
	;; [unrolled: 1-line block ×4, first 2 shown]
	s_add_i32 s29, s29, -8
	s_waitcnt lgkmcnt(0)
	s_barrier
	s_cbranch_execz .LBB670_30
.LBB670_14:                             ; =>This Inner Loop Header: Depth=1
	s_waitcnt lgkmcnt(0)
	s_min_u32 s26, s39, s29
	s_waitcnt vmcnt(0)
	v_pk_mov_b32 v[0:1], v[4:5], v[4:5] op_sel:[0,1]
	s_lshl_b32 s26, -1, s26
	v_pk_mov_b32 v[2:3], v[6:7], v[6:7] op_sel:[0,1]
	s_not_b32 s40, s26
	v_lshrrev_b32_e32 v4, s28, v0
	v_and_b32_e32 v4, s40, v4
	v_lshl_add_u32 v5, v4, 2, v17
	v_lshl_add_u32 v26, v5, 2, 16
	v_and_b32_e32 v5, 1, v4
	v_add_co_u32_e32 v6, vcc, -1, v5
	v_addc_co_u32_e64 v7, s[26:27], 0, -1, vcc
	v_cmp_ne_u32_e32 vcc, 0, v5
	v_lshlrev_b32_e32 v15, 30, v4
	v_xor_b32_e32 v5, vcc_hi, v7
	v_not_b32_e32 v7, v15
	v_xor_b32_e32 v6, vcc_lo, v6
	v_cmp_gt_i64_e32 vcc, 0, v[14:15]
	v_ashrrev_i32_e32 v7, 31, v7
	v_and_b32_e32 v5, exec_hi, v5
	v_xor_b32_e32 v15, vcc_hi, v7
	v_and_b32_e32 v6, exec_lo, v6
	v_xor_b32_e32 v7, vcc_lo, v7
	v_and_b32_e32 v5, v5, v15
	v_lshlrev_b32_e32 v15, 29, v4
	v_and_b32_e32 v6, v6, v7
	v_not_b32_e32 v7, v15
	v_cmp_gt_i64_e32 vcc, 0, v[14:15]
	v_ashrrev_i32_e32 v7, 31, v7
	v_xor_b32_e32 v15, vcc_hi, v7
	v_xor_b32_e32 v7, vcc_lo, v7
	v_and_b32_e32 v5, v5, v15
	v_lshlrev_b32_e32 v15, 28, v4
	v_and_b32_e32 v6, v6, v7
	v_not_b32_e32 v7, v15
	v_cmp_gt_i64_e32 vcc, 0, v[14:15]
	v_ashrrev_i32_e32 v7, 31, v7
	v_xor_b32_e32 v15, vcc_hi, v7
	;; [unrolled: 8-line block ×5, first 2 shown]
	v_and_b32_e32 v5, v5, v15
	v_lshlrev_b32_e32 v15, 24, v4
	v_not_b32_e32 v4, v15
	v_xor_b32_e32 v7, vcc_lo, v7
	v_cmp_gt_i64_e32 vcc, 0, v[14:15]
	v_ashrrev_i32_e32 v4, 31, v4
	v_and_b32_e32 v6, v6, v7
	v_xor_b32_e32 v7, vcc_hi, v4
	v_xor_b32_e32 v4, vcc_lo, v4
	v_and_b32_e32 v4, v6, v4
	v_and_b32_e32 v5, v5, v7
	v_mbcnt_lo_u32_b32 v6, v4, 0
	v_mbcnt_hi_u32_b32 v27, v5, v6
	v_cmp_eq_u32_e32 vcc, 0, v27
	v_cmp_ne_u64_e64 s[26:27], 0, v[4:5]
	s_and_b64 s[42:43], s[26:27], vcc
	ds_write2_b64 v16, v[10:11], v[12:13] offset0:2 offset1:3
	s_waitcnt lgkmcnt(0)
	s_barrier
	s_waitcnt lgkmcnt(0)
	; wave barrier
	s_and_saveexec_b64 s[26:27], s[42:43]
	s_cbranch_execz .LBB670_16
; %bb.15:                               ;   in Loop: Header=BB670_14 Depth=1
	v_bcnt_u32_b32 v4, v4, 0
	v_bcnt_u32_b32 v4, v5, v4
	ds_write_b32 v26, v4
.LBB670_16:                             ;   in Loop: Header=BB670_14 Depth=1
	s_or_b64 exec, exec, s[26:27]
	v_lshrrev_b32_e32 v4, s28, v1
	v_and_b32_e32 v4, s40, v4
	v_lshlrev_b32_e32 v5, 2, v4
	v_add_lshl_u32 v5, v5, v17, 2
	; wave barrier
	v_add_u32_e32 v29, 16, v5
	ds_read_b32 v28, v5 offset:16
	v_and_b32_e32 v5, 1, v4
	v_add_co_u32_e32 v6, vcc, -1, v5
	v_addc_co_u32_e64 v7, s[26:27], 0, -1, vcc
	v_cmp_ne_u32_e32 vcc, 0, v5
	v_lshlrev_b32_e32 v15, 30, v4
	v_xor_b32_e32 v5, vcc_hi, v7
	v_not_b32_e32 v7, v15
	v_xor_b32_e32 v6, vcc_lo, v6
	v_cmp_gt_i64_e32 vcc, 0, v[14:15]
	v_ashrrev_i32_e32 v7, 31, v7
	v_and_b32_e32 v5, exec_hi, v5
	v_xor_b32_e32 v15, vcc_hi, v7
	v_and_b32_e32 v6, exec_lo, v6
	v_xor_b32_e32 v7, vcc_lo, v7
	v_and_b32_e32 v5, v5, v15
	v_lshlrev_b32_e32 v15, 29, v4
	v_and_b32_e32 v6, v6, v7
	v_not_b32_e32 v7, v15
	v_cmp_gt_i64_e32 vcc, 0, v[14:15]
	v_ashrrev_i32_e32 v7, 31, v7
	v_xor_b32_e32 v15, vcc_hi, v7
	v_xor_b32_e32 v7, vcc_lo, v7
	v_and_b32_e32 v5, v5, v15
	v_lshlrev_b32_e32 v15, 28, v4
	v_and_b32_e32 v6, v6, v7
	v_not_b32_e32 v7, v15
	v_cmp_gt_i64_e32 vcc, 0, v[14:15]
	v_ashrrev_i32_e32 v7, 31, v7
	v_xor_b32_e32 v15, vcc_hi, v7
	;; [unrolled: 8-line block ×5, first 2 shown]
	v_and_b32_e32 v5, v5, v15
	v_lshlrev_b32_e32 v15, 24, v4
	v_not_b32_e32 v4, v15
	v_xor_b32_e32 v7, vcc_lo, v7
	v_cmp_gt_i64_e32 vcc, 0, v[14:15]
	v_ashrrev_i32_e32 v4, 31, v4
	v_and_b32_e32 v6, v6, v7
	v_xor_b32_e32 v7, vcc_hi, v4
	v_xor_b32_e32 v4, vcc_lo, v4
	v_and_b32_e32 v4, v6, v4
	v_and_b32_e32 v5, v5, v7
	v_mbcnt_lo_u32_b32 v6, v4, 0
	v_mbcnt_hi_u32_b32 v30, v5, v6
	v_cmp_eq_u32_e32 vcc, 0, v30
	v_cmp_ne_u64_e64 s[26:27], 0, v[4:5]
	s_and_b64 s[42:43], s[26:27], vcc
	; wave barrier
	s_and_saveexec_b64 s[26:27], s[42:43]
	s_cbranch_execz .LBB670_18
; %bb.17:                               ;   in Loop: Header=BB670_14 Depth=1
	v_bcnt_u32_b32 v4, v4, 0
	v_bcnt_u32_b32 v4, v5, v4
	s_waitcnt lgkmcnt(0)
	v_add_u32_e32 v4, v28, v4
	ds_write_b32 v29, v4
.LBB670_18:                             ;   in Loop: Header=BB670_14 Depth=1
	s_or_b64 exec, exec, s[26:27]
	v_lshrrev_b32_e32 v4, s28, v2
	v_and_b32_e32 v4, s40, v4
	v_lshlrev_b32_e32 v5, 2, v4
	v_add_lshl_u32 v5, v5, v17, 2
	; wave barrier
	v_add_u32_e32 v32, 16, v5
	ds_read_b32 v31, v5 offset:16
	v_and_b32_e32 v5, 1, v4
	v_add_co_u32_e32 v6, vcc, -1, v5
	v_addc_co_u32_e64 v7, s[26:27], 0, -1, vcc
	v_cmp_ne_u32_e32 vcc, 0, v5
	v_lshlrev_b32_e32 v15, 30, v4
	v_xor_b32_e32 v5, vcc_hi, v7
	v_not_b32_e32 v7, v15
	v_xor_b32_e32 v6, vcc_lo, v6
	v_cmp_gt_i64_e32 vcc, 0, v[14:15]
	v_ashrrev_i32_e32 v7, 31, v7
	v_and_b32_e32 v5, exec_hi, v5
	v_xor_b32_e32 v15, vcc_hi, v7
	v_and_b32_e32 v6, exec_lo, v6
	v_xor_b32_e32 v7, vcc_lo, v7
	v_and_b32_e32 v5, v5, v15
	v_lshlrev_b32_e32 v15, 29, v4
	v_and_b32_e32 v6, v6, v7
	v_not_b32_e32 v7, v15
	v_cmp_gt_i64_e32 vcc, 0, v[14:15]
	v_ashrrev_i32_e32 v7, 31, v7
	v_xor_b32_e32 v15, vcc_hi, v7
	v_xor_b32_e32 v7, vcc_lo, v7
	v_and_b32_e32 v5, v5, v15
	v_lshlrev_b32_e32 v15, 28, v4
	v_and_b32_e32 v6, v6, v7
	v_not_b32_e32 v7, v15
	v_cmp_gt_i64_e32 vcc, 0, v[14:15]
	v_ashrrev_i32_e32 v7, 31, v7
	v_xor_b32_e32 v15, vcc_hi, v7
	v_xor_b32_e32 v7, vcc_lo, v7
	v_and_b32_e32 v5, v5, v15
	v_lshlrev_b32_e32 v15, 27, v4
	v_and_b32_e32 v6, v6, v7
	v_not_b32_e32 v7, v15
	v_cmp_gt_i64_e32 vcc, 0, v[14:15]
	v_ashrrev_i32_e32 v7, 31, v7
	v_xor_b32_e32 v15, vcc_hi, v7
	v_xor_b32_e32 v7, vcc_lo, v7
	v_and_b32_e32 v5, v5, v15
	v_lshlrev_b32_e32 v15, 26, v4
	v_and_b32_e32 v6, v6, v7
	v_not_b32_e32 v7, v15
	v_cmp_gt_i64_e32 vcc, 0, v[14:15]
	v_ashrrev_i32_e32 v7, 31, v7
	v_xor_b32_e32 v15, vcc_hi, v7
	v_xor_b32_e32 v7, vcc_lo, v7
	v_and_b32_e32 v5, v5, v15
	v_lshlrev_b32_e32 v15, 25, v4
	v_and_b32_e32 v6, v6, v7
	v_not_b32_e32 v7, v15
	v_cmp_gt_i64_e32 vcc, 0, v[14:15]
	v_ashrrev_i32_e32 v7, 31, v7
	v_xor_b32_e32 v15, vcc_hi, v7
	v_and_b32_e32 v5, v5, v15
	v_lshlrev_b32_e32 v15, 24, v4
	v_not_b32_e32 v4, v15
	v_xor_b32_e32 v7, vcc_lo, v7
	v_cmp_gt_i64_e32 vcc, 0, v[14:15]
	v_ashrrev_i32_e32 v4, 31, v4
	v_and_b32_e32 v6, v6, v7
	v_xor_b32_e32 v7, vcc_hi, v4
	v_xor_b32_e32 v4, vcc_lo, v4
	v_and_b32_e32 v4, v6, v4
	v_and_b32_e32 v5, v5, v7
	v_mbcnt_lo_u32_b32 v6, v4, 0
	v_mbcnt_hi_u32_b32 v33, v5, v6
	v_cmp_eq_u32_e32 vcc, 0, v33
	v_cmp_ne_u64_e64 s[26:27], 0, v[4:5]
	s_and_b64 s[42:43], s[26:27], vcc
	; wave barrier
	s_and_saveexec_b64 s[26:27], s[42:43]
	s_cbranch_execz .LBB670_20
; %bb.19:                               ;   in Loop: Header=BB670_14 Depth=1
	v_bcnt_u32_b32 v4, v4, 0
	v_bcnt_u32_b32 v4, v5, v4
	s_waitcnt lgkmcnt(0)
	v_add_u32_e32 v4, v31, v4
	ds_write_b32 v32, v4
.LBB670_20:                             ;   in Loop: Header=BB670_14 Depth=1
	s_or_b64 exec, exec, s[26:27]
	v_lshrrev_b32_e32 v4, s28, v3
	v_and_b32_e32 v4, s40, v4
	v_lshlrev_b32_e32 v5, 2, v4
	v_add_lshl_u32 v5, v5, v17, 2
	; wave barrier
	v_add_u32_e32 v35, 16, v5
	ds_read_b32 v34, v5 offset:16
	v_and_b32_e32 v5, 1, v4
	v_add_co_u32_e32 v6, vcc, -1, v5
	v_addc_co_u32_e64 v7, s[26:27], 0, -1, vcc
	v_cmp_ne_u32_e32 vcc, 0, v5
	v_lshlrev_b32_e32 v15, 30, v4
	v_xor_b32_e32 v5, vcc_hi, v7
	v_not_b32_e32 v7, v15
	v_xor_b32_e32 v6, vcc_lo, v6
	v_cmp_gt_i64_e32 vcc, 0, v[14:15]
	v_ashrrev_i32_e32 v7, 31, v7
	v_and_b32_e32 v5, exec_hi, v5
	v_xor_b32_e32 v15, vcc_hi, v7
	v_and_b32_e32 v6, exec_lo, v6
	v_xor_b32_e32 v7, vcc_lo, v7
	v_and_b32_e32 v5, v5, v15
	v_lshlrev_b32_e32 v15, 29, v4
	v_and_b32_e32 v6, v6, v7
	v_not_b32_e32 v7, v15
	v_cmp_gt_i64_e32 vcc, 0, v[14:15]
	v_ashrrev_i32_e32 v7, 31, v7
	v_xor_b32_e32 v15, vcc_hi, v7
	v_xor_b32_e32 v7, vcc_lo, v7
	v_and_b32_e32 v5, v5, v15
	v_lshlrev_b32_e32 v15, 28, v4
	v_and_b32_e32 v6, v6, v7
	v_not_b32_e32 v7, v15
	v_cmp_gt_i64_e32 vcc, 0, v[14:15]
	v_ashrrev_i32_e32 v7, 31, v7
	v_xor_b32_e32 v15, vcc_hi, v7
	;; [unrolled: 8-line block ×5, first 2 shown]
	v_and_b32_e32 v5, v5, v15
	v_lshlrev_b32_e32 v15, 24, v4
	v_not_b32_e32 v4, v15
	v_xor_b32_e32 v7, vcc_lo, v7
	v_cmp_gt_i64_e32 vcc, 0, v[14:15]
	v_ashrrev_i32_e32 v4, 31, v4
	v_and_b32_e32 v6, v6, v7
	v_xor_b32_e32 v7, vcc_hi, v4
	v_xor_b32_e32 v4, vcc_lo, v4
	v_and_b32_e32 v4, v6, v4
	v_and_b32_e32 v5, v5, v7
	v_mbcnt_lo_u32_b32 v6, v4, 0
	v_mbcnt_hi_u32_b32 v15, v5, v6
	v_cmp_eq_u32_e32 vcc, 0, v15
	v_cmp_ne_u64_e64 s[26:27], 0, v[4:5]
	s_and_b64 s[40:41], s[26:27], vcc
	; wave barrier
	s_and_saveexec_b64 s[26:27], s[40:41]
	s_cbranch_execz .LBB670_22
; %bb.21:                               ;   in Loop: Header=BB670_14 Depth=1
	v_bcnt_u32_b32 v4, v4, 0
	v_bcnt_u32_b32 v4, v5, v4
	s_waitcnt lgkmcnt(0)
	v_add_u32_e32 v4, v34, v4
	ds_write_b32 v35, v4
.LBB670_22:                             ;   in Loop: Header=BB670_14 Depth=1
	s_or_b64 exec, exec, s[26:27]
	; wave barrier
	s_waitcnt lgkmcnt(0)
	s_barrier
	ds_read2_b64 v[4:7], v16 offset0:2 offset1:3
	s_waitcnt lgkmcnt(0)
	v_add_u32_e32 v36, v5, v4
	v_add3_u32 v7, v36, v6, v7
	s_nop 1
	v_mov_b32_dpp v36, v7 row_shr:1 row_mask:0xf bank_mask:0xf
	v_cndmask_b32_e64 v36, v36, 0, s[0:1]
	v_add_u32_e32 v7, v36, v7
	s_nop 1
	v_mov_b32_dpp v36, v7 row_shr:2 row_mask:0xf bank_mask:0xf
	v_cndmask_b32_e64 v36, 0, v36, s[2:3]
	v_add_u32_e32 v7, v7, v36
	;; [unrolled: 4-line block ×4, first 2 shown]
	s_nop 1
	v_mov_b32_dpp v36, v7 row_bcast:15 row_mask:0xf bank_mask:0xf
	v_cndmask_b32_e64 v36, v36, 0, s[8:9]
	v_add_u32_e32 v7, v7, v36
	s_nop 1
	v_mov_b32_dpp v36, v7 row_bcast:31 row_mask:0xf bank_mask:0xf
	v_cndmask_b32_e64 v36, 0, v36, s[10:11]
	v_add_u32_e32 v7, v7, v36
	s_and_saveexec_b64 s[26:27], s[12:13]
	s_cbranch_execz .LBB670_24
; %bb.23:                               ;   in Loop: Header=BB670_14 Depth=1
	ds_write_b32 v20, v7
.LBB670_24:                             ;   in Loop: Header=BB670_14 Depth=1
	s_or_b64 exec, exec, s[26:27]
	s_waitcnt lgkmcnt(0)
	s_barrier
	s_and_saveexec_b64 s[26:27], s[14:15]
	s_cbranch_execz .LBB670_26
; %bb.25:                               ;   in Loop: Header=BB670_14 Depth=1
	v_add_u32_e32 v36, v16, v18
	ds_read_b32 v37, v36
	s_waitcnt lgkmcnt(0)
	s_nop 0
	v_mov_b32_dpp v38, v37 row_shr:1 row_mask:0xf bank_mask:0xf
	v_cndmask_b32_e64 v38, v38, 0, s[22:23]
	v_add_u32_e32 v37, v38, v37
	s_nop 1
	v_mov_b32_dpp v38, v37 row_shr:2 row_mask:0xf bank_mask:0xf
	v_cndmask_b32_e64 v38, 0, v38, s[24:25]
	v_add_u32_e32 v37, v37, v38
	ds_write_b32 v36, v37
.LBB670_26:                             ;   in Loop: Header=BB670_14 Depth=1
	s_or_b64 exec, exec, s[26:27]
	v_mov_b32_e32 v36, 0
	s_waitcnt lgkmcnt(0)
	s_barrier
	s_and_saveexec_b64 s[26:27], s[16:17]
	s_cbranch_execz .LBB670_28
; %bb.27:                               ;   in Loop: Header=BB670_14 Depth=1
	ds_read_b32 v36, v21
.LBB670_28:                             ;   in Loop: Header=BB670_14 Depth=1
	s_or_b64 exec, exec, s[26:27]
	s_waitcnt lgkmcnt(0)
	v_add_u32_e32 v7, v36, v7
	ds_bpermute_b32 v7, v19, v7
	s_add_i32 s28, s28, 8
	s_cmp_ge_u32 s28, s38
	s_waitcnt lgkmcnt(0)
	v_cndmask_b32_e64 v7, v7, v36, s[18:19]
	v_cndmask_b32_e64 v36, v7, 0, s[20:21]
	v_add_u32_e32 v37, v36, v4
	v_add_u32_e32 v4, v37, v5
	;; [unrolled: 1-line block ×3, first 2 shown]
	ds_write2_b64 v16, v[36:37], v[4:5] offset0:2 offset1:3
	s_waitcnt lgkmcnt(0)
	s_barrier
	ds_read_b32 v4, v26
	ds_read_b32 v5, v29
	;; [unrolled: 1-line block ×4, first 2 shown]
	v_lshlrev_b32_e32 v26, 2, v27
	s_waitcnt lgkmcnt(3)
	v_lshl_add_u32 v26, v4, 2, v26
	v_lshlrev_b32_e32 v4, 2, v30
	v_lshlrev_b32_e32 v27, 2, v28
	s_waitcnt lgkmcnt(2)
	v_lshlrev_b32_e32 v5, 2, v5
	v_add3_u32 v27, v4, v27, v5
	v_lshlrev_b32_e32 v4, 2, v33
	v_lshlrev_b32_e32 v5, 2, v31
	s_waitcnt lgkmcnt(1)
	v_lshlrev_b32_e32 v6, 2, v6
	v_add3_u32 v28, v4, v5, v6
	;; [unrolled: 5-line block ×3, first 2 shown]
	s_cbranch_scc0 .LBB670_13
; %bb.29:
                                        ; implicit-def: $sgpr28
                                        ; implicit-def: $vgpr4_vgpr5_vgpr6_vgpr7
.LBB670_30:
	s_barrier
	ds_write_b32 v26, v0
	ds_write_b32 v27, v1
	;; [unrolled: 1-line block ×4, first 2 shown]
	s_waitcnt lgkmcnt(0)
	s_barrier
	v_add_u32_e32 v0, v16, v18
	ds_read2st64_b32 v[2:3], v9 offset0:4 offset1:8
	ds_read_b32 v5, v0
	ds_read_b32 v4, v9 offset:3072
	s_add_u32 s0, s30, s36
	s_addc_u32 s1, s31, s37
	v_mov_b32_e32 v1, s1
	v_add_co_u32_e64 v0, s[0:1], s0, v9
	s_andn2_b64 vcc, exec, s[34:35]
	v_addc_co_u32_e64 v1, s[0:1], 0, v1, s[0:1]
	s_cbranch_vccnz .LBB670_32
; %bb.31:
	s_mov_b64 s[0:1], -1
	s_waitcnt lgkmcnt(1)
	global_store_dword v[0:1], v5, off
	global_store_dword v[0:1], v2, off offset:1024
	global_store_dword v[0:1], v3, off offset:2048
	s_cbranch_execz .LBB670_33
	s_branch .LBB670_40
.LBB670_32:
	s_mov_b64 s[0:1], 0
.LBB670_33:
	v_cmp_gt_u32_e32 vcc, s33, v8
	s_and_saveexec_b64 s[0:1], vcc
	s_cbranch_execz .LBB670_35
; %bb.34:
	s_waitcnt lgkmcnt(1)
	global_store_dword v[0:1], v5, off
.LBB670_35:
	s_or_b64 exec, exec, s[0:1]
	s_waitcnt lgkmcnt(1)
	v_add_u32_e32 v5, 0x100, v8
	v_cmp_gt_u32_e32 vcc, s33, v5
	s_and_saveexec_b64 s[0:1], vcc
	s_cbranch_execz .LBB670_37
; %bb.36:
	global_store_dword v[0:1], v2, off offset:1024
.LBB670_37:
	s_or_b64 exec, exec, s[0:1]
	v_add_u32_e32 v2, 0x200, v8
	v_cmp_gt_u32_e32 vcc, s33, v2
	s_and_saveexec_b64 s[0:1], vcc
	s_cbranch_execz .LBB670_39
; %bb.38:
	global_store_dword v[0:1], v3, off offset:2048
.LBB670_39:
	s_or_b64 exec, exec, s[0:1]
	v_add_u32_e32 v2, 0x300, v8
	v_cmp_gt_u32_e64 s[0:1], s33, v2
.LBB670_40:
	s_and_saveexec_b64 s[2:3], s[0:1]
	s_cbranch_execnz .LBB670_42
; %bb.41:
	s_endpgm
.LBB670_42:
	s_waitcnt lgkmcnt(0)
	global_store_dword v[0:1], v4, off offset:3072
	s_endpgm
	.section	.rodata,"a",@progbits
	.p2align	6, 0x0
	.amdhsa_kernel _ZN7rocprim17ROCPRIM_400000_NS6detail17trampoline_kernelINS0_13kernel_configILj256ELj4ELj4294967295EEENS1_37radix_sort_block_sort_config_selectorIjNS0_10empty_typeEEEZNS1_21radix_sort_block_sortIS4_Lb0EPjS9_PS6_SA_NS0_19identity_decomposerEEE10hipError_tT1_T2_T3_T4_jRjT5_jjP12ihipStream_tbEUlT_E_NS1_11comp_targetILNS1_3genE4ELNS1_11target_archE910ELNS1_3gpuE8ELNS1_3repE0EEENS1_44radix_sort_block_sort_config_static_selectorELNS0_4arch9wavefront6targetE1EEEvSD_
		.amdhsa_group_segment_fixed_size 4112
		.amdhsa_private_segment_fixed_size 0
		.amdhsa_kernarg_size 304
		.amdhsa_user_sgpr_count 6
		.amdhsa_user_sgpr_private_segment_buffer 1
		.amdhsa_user_sgpr_dispatch_ptr 0
		.amdhsa_user_sgpr_queue_ptr 0
		.amdhsa_user_sgpr_kernarg_segment_ptr 1
		.amdhsa_user_sgpr_dispatch_id 0
		.amdhsa_user_sgpr_flat_scratch_init 0
		.amdhsa_user_sgpr_kernarg_preload_length 0
		.amdhsa_user_sgpr_kernarg_preload_offset 0
		.amdhsa_user_sgpr_private_segment_size 0
		.amdhsa_uses_dynamic_stack 0
		.amdhsa_system_sgpr_private_segment_wavefront_offset 0
		.amdhsa_system_sgpr_workgroup_id_x 1
		.amdhsa_system_sgpr_workgroup_id_y 0
		.amdhsa_system_sgpr_workgroup_id_z 0
		.amdhsa_system_sgpr_workgroup_info 0
		.amdhsa_system_vgpr_workitem_id 2
		.amdhsa_next_free_vgpr 39
		.amdhsa_next_free_sgpr 44
		.amdhsa_accum_offset 40
		.amdhsa_reserve_vcc 1
		.amdhsa_reserve_flat_scratch 0
		.amdhsa_float_round_mode_32 0
		.amdhsa_float_round_mode_16_64 0
		.amdhsa_float_denorm_mode_32 3
		.amdhsa_float_denorm_mode_16_64 3
		.amdhsa_dx10_clamp 1
		.amdhsa_ieee_mode 1
		.amdhsa_fp16_overflow 0
		.amdhsa_tg_split 0
		.amdhsa_exception_fp_ieee_invalid_op 0
		.amdhsa_exception_fp_denorm_src 0
		.amdhsa_exception_fp_ieee_div_zero 0
		.amdhsa_exception_fp_ieee_overflow 0
		.amdhsa_exception_fp_ieee_underflow 0
		.amdhsa_exception_fp_ieee_inexact 0
		.amdhsa_exception_int_div_zero 0
	.end_amdhsa_kernel
	.section	.text._ZN7rocprim17ROCPRIM_400000_NS6detail17trampoline_kernelINS0_13kernel_configILj256ELj4ELj4294967295EEENS1_37radix_sort_block_sort_config_selectorIjNS0_10empty_typeEEEZNS1_21radix_sort_block_sortIS4_Lb0EPjS9_PS6_SA_NS0_19identity_decomposerEEE10hipError_tT1_T2_T3_T4_jRjT5_jjP12ihipStream_tbEUlT_E_NS1_11comp_targetILNS1_3genE4ELNS1_11target_archE910ELNS1_3gpuE8ELNS1_3repE0EEENS1_44radix_sort_block_sort_config_static_selectorELNS0_4arch9wavefront6targetE1EEEvSD_,"axG",@progbits,_ZN7rocprim17ROCPRIM_400000_NS6detail17trampoline_kernelINS0_13kernel_configILj256ELj4ELj4294967295EEENS1_37radix_sort_block_sort_config_selectorIjNS0_10empty_typeEEEZNS1_21radix_sort_block_sortIS4_Lb0EPjS9_PS6_SA_NS0_19identity_decomposerEEE10hipError_tT1_T2_T3_T4_jRjT5_jjP12ihipStream_tbEUlT_E_NS1_11comp_targetILNS1_3genE4ELNS1_11target_archE910ELNS1_3gpuE8ELNS1_3repE0EEENS1_44radix_sort_block_sort_config_static_selectorELNS0_4arch9wavefront6targetE1EEEvSD_,comdat
.Lfunc_end670:
	.size	_ZN7rocprim17ROCPRIM_400000_NS6detail17trampoline_kernelINS0_13kernel_configILj256ELj4ELj4294967295EEENS1_37radix_sort_block_sort_config_selectorIjNS0_10empty_typeEEEZNS1_21radix_sort_block_sortIS4_Lb0EPjS9_PS6_SA_NS0_19identity_decomposerEEE10hipError_tT1_T2_T3_T4_jRjT5_jjP12ihipStream_tbEUlT_E_NS1_11comp_targetILNS1_3genE4ELNS1_11target_archE910ELNS1_3gpuE8ELNS1_3repE0EEENS1_44radix_sort_block_sort_config_static_selectorELNS0_4arch9wavefront6targetE1EEEvSD_, .Lfunc_end670-_ZN7rocprim17ROCPRIM_400000_NS6detail17trampoline_kernelINS0_13kernel_configILj256ELj4ELj4294967295EEENS1_37radix_sort_block_sort_config_selectorIjNS0_10empty_typeEEEZNS1_21radix_sort_block_sortIS4_Lb0EPjS9_PS6_SA_NS0_19identity_decomposerEEE10hipError_tT1_T2_T3_T4_jRjT5_jjP12ihipStream_tbEUlT_E_NS1_11comp_targetILNS1_3genE4ELNS1_11target_archE910ELNS1_3gpuE8ELNS1_3repE0EEENS1_44radix_sort_block_sort_config_static_selectorELNS0_4arch9wavefront6targetE1EEEvSD_
                                        ; -- End function
	.section	.AMDGPU.csdata,"",@progbits
; Kernel info:
; codeLenInByte = 3124
; NumSgprs: 48
; NumVgprs: 39
; NumAgprs: 0
; TotalNumVgprs: 39
; ScratchSize: 0
; MemoryBound: 0
; FloatMode: 240
; IeeeMode: 1
; LDSByteSize: 4112 bytes/workgroup (compile time only)
; SGPRBlocks: 5
; VGPRBlocks: 4
; NumSGPRsForWavesPerEU: 48
; NumVGPRsForWavesPerEU: 39
; AccumOffset: 40
; Occupancy: 8
; WaveLimiterHint : 1
; COMPUTE_PGM_RSRC2:SCRATCH_EN: 0
; COMPUTE_PGM_RSRC2:USER_SGPR: 6
; COMPUTE_PGM_RSRC2:TRAP_HANDLER: 0
; COMPUTE_PGM_RSRC2:TGID_X_EN: 1
; COMPUTE_PGM_RSRC2:TGID_Y_EN: 0
; COMPUTE_PGM_RSRC2:TGID_Z_EN: 0
; COMPUTE_PGM_RSRC2:TIDIG_COMP_CNT: 2
; COMPUTE_PGM_RSRC3_GFX90A:ACCUM_OFFSET: 9
; COMPUTE_PGM_RSRC3_GFX90A:TG_SPLIT: 0
	.section	.text._ZN7rocprim17ROCPRIM_400000_NS6detail17trampoline_kernelINS0_13kernel_configILj256ELj4ELj4294967295EEENS1_37radix_sort_block_sort_config_selectorIjNS0_10empty_typeEEEZNS1_21radix_sort_block_sortIS4_Lb0EPjS9_PS6_SA_NS0_19identity_decomposerEEE10hipError_tT1_T2_T3_T4_jRjT5_jjP12ihipStream_tbEUlT_E_NS1_11comp_targetILNS1_3genE3ELNS1_11target_archE908ELNS1_3gpuE7ELNS1_3repE0EEENS1_44radix_sort_block_sort_config_static_selectorELNS0_4arch9wavefront6targetE1EEEvSD_,"axG",@progbits,_ZN7rocprim17ROCPRIM_400000_NS6detail17trampoline_kernelINS0_13kernel_configILj256ELj4ELj4294967295EEENS1_37radix_sort_block_sort_config_selectorIjNS0_10empty_typeEEEZNS1_21radix_sort_block_sortIS4_Lb0EPjS9_PS6_SA_NS0_19identity_decomposerEEE10hipError_tT1_T2_T3_T4_jRjT5_jjP12ihipStream_tbEUlT_E_NS1_11comp_targetILNS1_3genE3ELNS1_11target_archE908ELNS1_3gpuE7ELNS1_3repE0EEENS1_44radix_sort_block_sort_config_static_selectorELNS0_4arch9wavefront6targetE1EEEvSD_,comdat
	.protected	_ZN7rocprim17ROCPRIM_400000_NS6detail17trampoline_kernelINS0_13kernel_configILj256ELj4ELj4294967295EEENS1_37radix_sort_block_sort_config_selectorIjNS0_10empty_typeEEEZNS1_21radix_sort_block_sortIS4_Lb0EPjS9_PS6_SA_NS0_19identity_decomposerEEE10hipError_tT1_T2_T3_T4_jRjT5_jjP12ihipStream_tbEUlT_E_NS1_11comp_targetILNS1_3genE3ELNS1_11target_archE908ELNS1_3gpuE7ELNS1_3repE0EEENS1_44radix_sort_block_sort_config_static_selectorELNS0_4arch9wavefront6targetE1EEEvSD_ ; -- Begin function _ZN7rocprim17ROCPRIM_400000_NS6detail17trampoline_kernelINS0_13kernel_configILj256ELj4ELj4294967295EEENS1_37radix_sort_block_sort_config_selectorIjNS0_10empty_typeEEEZNS1_21radix_sort_block_sortIS4_Lb0EPjS9_PS6_SA_NS0_19identity_decomposerEEE10hipError_tT1_T2_T3_T4_jRjT5_jjP12ihipStream_tbEUlT_E_NS1_11comp_targetILNS1_3genE3ELNS1_11target_archE908ELNS1_3gpuE7ELNS1_3repE0EEENS1_44radix_sort_block_sort_config_static_selectorELNS0_4arch9wavefront6targetE1EEEvSD_
	.globl	_ZN7rocprim17ROCPRIM_400000_NS6detail17trampoline_kernelINS0_13kernel_configILj256ELj4ELj4294967295EEENS1_37radix_sort_block_sort_config_selectorIjNS0_10empty_typeEEEZNS1_21radix_sort_block_sortIS4_Lb0EPjS9_PS6_SA_NS0_19identity_decomposerEEE10hipError_tT1_T2_T3_T4_jRjT5_jjP12ihipStream_tbEUlT_E_NS1_11comp_targetILNS1_3genE3ELNS1_11target_archE908ELNS1_3gpuE7ELNS1_3repE0EEENS1_44radix_sort_block_sort_config_static_selectorELNS0_4arch9wavefront6targetE1EEEvSD_
	.p2align	8
	.type	_ZN7rocprim17ROCPRIM_400000_NS6detail17trampoline_kernelINS0_13kernel_configILj256ELj4ELj4294967295EEENS1_37radix_sort_block_sort_config_selectorIjNS0_10empty_typeEEEZNS1_21radix_sort_block_sortIS4_Lb0EPjS9_PS6_SA_NS0_19identity_decomposerEEE10hipError_tT1_T2_T3_T4_jRjT5_jjP12ihipStream_tbEUlT_E_NS1_11comp_targetILNS1_3genE3ELNS1_11target_archE908ELNS1_3gpuE7ELNS1_3repE0EEENS1_44radix_sort_block_sort_config_static_selectorELNS0_4arch9wavefront6targetE1EEEvSD_,@function
_ZN7rocprim17ROCPRIM_400000_NS6detail17trampoline_kernelINS0_13kernel_configILj256ELj4ELj4294967295EEENS1_37radix_sort_block_sort_config_selectorIjNS0_10empty_typeEEEZNS1_21radix_sort_block_sortIS4_Lb0EPjS9_PS6_SA_NS0_19identity_decomposerEEE10hipError_tT1_T2_T3_T4_jRjT5_jjP12ihipStream_tbEUlT_E_NS1_11comp_targetILNS1_3genE3ELNS1_11target_archE908ELNS1_3gpuE7ELNS1_3repE0EEENS1_44radix_sort_block_sort_config_static_selectorELNS0_4arch9wavefront6targetE1EEEvSD_: ; @_ZN7rocprim17ROCPRIM_400000_NS6detail17trampoline_kernelINS0_13kernel_configILj256ELj4ELj4294967295EEENS1_37radix_sort_block_sort_config_selectorIjNS0_10empty_typeEEEZNS1_21radix_sort_block_sortIS4_Lb0EPjS9_PS6_SA_NS0_19identity_decomposerEEE10hipError_tT1_T2_T3_T4_jRjT5_jjP12ihipStream_tbEUlT_E_NS1_11comp_targetILNS1_3genE3ELNS1_11target_archE908ELNS1_3gpuE7ELNS1_3repE0EEENS1_44radix_sort_block_sort_config_static_selectorELNS0_4arch9wavefront6targetE1EEEvSD_
; %bb.0:
	.section	.rodata,"a",@progbits
	.p2align	6, 0x0
	.amdhsa_kernel _ZN7rocprim17ROCPRIM_400000_NS6detail17trampoline_kernelINS0_13kernel_configILj256ELj4ELj4294967295EEENS1_37radix_sort_block_sort_config_selectorIjNS0_10empty_typeEEEZNS1_21radix_sort_block_sortIS4_Lb0EPjS9_PS6_SA_NS0_19identity_decomposerEEE10hipError_tT1_T2_T3_T4_jRjT5_jjP12ihipStream_tbEUlT_E_NS1_11comp_targetILNS1_3genE3ELNS1_11target_archE908ELNS1_3gpuE7ELNS1_3repE0EEENS1_44radix_sort_block_sort_config_static_selectorELNS0_4arch9wavefront6targetE1EEEvSD_
		.amdhsa_group_segment_fixed_size 0
		.amdhsa_private_segment_fixed_size 0
		.amdhsa_kernarg_size 48
		.amdhsa_user_sgpr_count 6
		.amdhsa_user_sgpr_private_segment_buffer 1
		.amdhsa_user_sgpr_dispatch_ptr 0
		.amdhsa_user_sgpr_queue_ptr 0
		.amdhsa_user_sgpr_kernarg_segment_ptr 1
		.amdhsa_user_sgpr_dispatch_id 0
		.amdhsa_user_sgpr_flat_scratch_init 0
		.amdhsa_user_sgpr_kernarg_preload_length 0
		.amdhsa_user_sgpr_kernarg_preload_offset 0
		.amdhsa_user_sgpr_private_segment_size 0
		.amdhsa_uses_dynamic_stack 0
		.amdhsa_system_sgpr_private_segment_wavefront_offset 0
		.amdhsa_system_sgpr_workgroup_id_x 1
		.amdhsa_system_sgpr_workgroup_id_y 0
		.amdhsa_system_sgpr_workgroup_id_z 0
		.amdhsa_system_sgpr_workgroup_info 0
		.amdhsa_system_vgpr_workitem_id 0
		.amdhsa_next_free_vgpr 1
		.amdhsa_next_free_sgpr 0
		.amdhsa_accum_offset 4
		.amdhsa_reserve_vcc 0
		.amdhsa_reserve_flat_scratch 0
		.amdhsa_float_round_mode_32 0
		.amdhsa_float_round_mode_16_64 0
		.amdhsa_float_denorm_mode_32 3
		.amdhsa_float_denorm_mode_16_64 3
		.amdhsa_dx10_clamp 1
		.amdhsa_ieee_mode 1
		.amdhsa_fp16_overflow 0
		.amdhsa_tg_split 0
		.amdhsa_exception_fp_ieee_invalid_op 0
		.amdhsa_exception_fp_denorm_src 0
		.amdhsa_exception_fp_ieee_div_zero 0
		.amdhsa_exception_fp_ieee_overflow 0
		.amdhsa_exception_fp_ieee_underflow 0
		.amdhsa_exception_fp_ieee_inexact 0
		.amdhsa_exception_int_div_zero 0
	.end_amdhsa_kernel
	.section	.text._ZN7rocprim17ROCPRIM_400000_NS6detail17trampoline_kernelINS0_13kernel_configILj256ELj4ELj4294967295EEENS1_37radix_sort_block_sort_config_selectorIjNS0_10empty_typeEEEZNS1_21radix_sort_block_sortIS4_Lb0EPjS9_PS6_SA_NS0_19identity_decomposerEEE10hipError_tT1_T2_T3_T4_jRjT5_jjP12ihipStream_tbEUlT_E_NS1_11comp_targetILNS1_3genE3ELNS1_11target_archE908ELNS1_3gpuE7ELNS1_3repE0EEENS1_44radix_sort_block_sort_config_static_selectorELNS0_4arch9wavefront6targetE1EEEvSD_,"axG",@progbits,_ZN7rocprim17ROCPRIM_400000_NS6detail17trampoline_kernelINS0_13kernel_configILj256ELj4ELj4294967295EEENS1_37radix_sort_block_sort_config_selectorIjNS0_10empty_typeEEEZNS1_21radix_sort_block_sortIS4_Lb0EPjS9_PS6_SA_NS0_19identity_decomposerEEE10hipError_tT1_T2_T3_T4_jRjT5_jjP12ihipStream_tbEUlT_E_NS1_11comp_targetILNS1_3genE3ELNS1_11target_archE908ELNS1_3gpuE7ELNS1_3repE0EEENS1_44radix_sort_block_sort_config_static_selectorELNS0_4arch9wavefront6targetE1EEEvSD_,comdat
.Lfunc_end671:
	.size	_ZN7rocprim17ROCPRIM_400000_NS6detail17trampoline_kernelINS0_13kernel_configILj256ELj4ELj4294967295EEENS1_37radix_sort_block_sort_config_selectorIjNS0_10empty_typeEEEZNS1_21radix_sort_block_sortIS4_Lb0EPjS9_PS6_SA_NS0_19identity_decomposerEEE10hipError_tT1_T2_T3_T4_jRjT5_jjP12ihipStream_tbEUlT_E_NS1_11comp_targetILNS1_3genE3ELNS1_11target_archE908ELNS1_3gpuE7ELNS1_3repE0EEENS1_44radix_sort_block_sort_config_static_selectorELNS0_4arch9wavefront6targetE1EEEvSD_, .Lfunc_end671-_ZN7rocprim17ROCPRIM_400000_NS6detail17trampoline_kernelINS0_13kernel_configILj256ELj4ELj4294967295EEENS1_37radix_sort_block_sort_config_selectorIjNS0_10empty_typeEEEZNS1_21radix_sort_block_sortIS4_Lb0EPjS9_PS6_SA_NS0_19identity_decomposerEEE10hipError_tT1_T2_T3_T4_jRjT5_jjP12ihipStream_tbEUlT_E_NS1_11comp_targetILNS1_3genE3ELNS1_11target_archE908ELNS1_3gpuE7ELNS1_3repE0EEENS1_44radix_sort_block_sort_config_static_selectorELNS0_4arch9wavefront6targetE1EEEvSD_
                                        ; -- End function
	.section	.AMDGPU.csdata,"",@progbits
; Kernel info:
; codeLenInByte = 0
; NumSgprs: 4
; NumVgprs: 0
; NumAgprs: 0
; TotalNumVgprs: 0
; ScratchSize: 0
; MemoryBound: 0
; FloatMode: 240
; IeeeMode: 1
; LDSByteSize: 0 bytes/workgroup (compile time only)
; SGPRBlocks: 0
; VGPRBlocks: 0
; NumSGPRsForWavesPerEU: 4
; NumVGPRsForWavesPerEU: 1
; AccumOffset: 4
; Occupancy: 8
; WaveLimiterHint : 0
; COMPUTE_PGM_RSRC2:SCRATCH_EN: 0
; COMPUTE_PGM_RSRC2:USER_SGPR: 6
; COMPUTE_PGM_RSRC2:TRAP_HANDLER: 0
; COMPUTE_PGM_RSRC2:TGID_X_EN: 1
; COMPUTE_PGM_RSRC2:TGID_Y_EN: 0
; COMPUTE_PGM_RSRC2:TGID_Z_EN: 0
; COMPUTE_PGM_RSRC2:TIDIG_COMP_CNT: 0
; COMPUTE_PGM_RSRC3_GFX90A:ACCUM_OFFSET: 0
; COMPUTE_PGM_RSRC3_GFX90A:TG_SPLIT: 0
	.section	.text._ZN7rocprim17ROCPRIM_400000_NS6detail17trampoline_kernelINS0_13kernel_configILj256ELj4ELj4294967295EEENS1_37radix_sort_block_sort_config_selectorIjNS0_10empty_typeEEEZNS1_21radix_sort_block_sortIS4_Lb0EPjS9_PS6_SA_NS0_19identity_decomposerEEE10hipError_tT1_T2_T3_T4_jRjT5_jjP12ihipStream_tbEUlT_E_NS1_11comp_targetILNS1_3genE2ELNS1_11target_archE906ELNS1_3gpuE6ELNS1_3repE0EEENS1_44radix_sort_block_sort_config_static_selectorELNS0_4arch9wavefront6targetE1EEEvSD_,"axG",@progbits,_ZN7rocprim17ROCPRIM_400000_NS6detail17trampoline_kernelINS0_13kernel_configILj256ELj4ELj4294967295EEENS1_37radix_sort_block_sort_config_selectorIjNS0_10empty_typeEEEZNS1_21radix_sort_block_sortIS4_Lb0EPjS9_PS6_SA_NS0_19identity_decomposerEEE10hipError_tT1_T2_T3_T4_jRjT5_jjP12ihipStream_tbEUlT_E_NS1_11comp_targetILNS1_3genE2ELNS1_11target_archE906ELNS1_3gpuE6ELNS1_3repE0EEENS1_44radix_sort_block_sort_config_static_selectorELNS0_4arch9wavefront6targetE1EEEvSD_,comdat
	.protected	_ZN7rocprim17ROCPRIM_400000_NS6detail17trampoline_kernelINS0_13kernel_configILj256ELj4ELj4294967295EEENS1_37radix_sort_block_sort_config_selectorIjNS0_10empty_typeEEEZNS1_21radix_sort_block_sortIS4_Lb0EPjS9_PS6_SA_NS0_19identity_decomposerEEE10hipError_tT1_T2_T3_T4_jRjT5_jjP12ihipStream_tbEUlT_E_NS1_11comp_targetILNS1_3genE2ELNS1_11target_archE906ELNS1_3gpuE6ELNS1_3repE0EEENS1_44radix_sort_block_sort_config_static_selectorELNS0_4arch9wavefront6targetE1EEEvSD_ ; -- Begin function _ZN7rocprim17ROCPRIM_400000_NS6detail17trampoline_kernelINS0_13kernel_configILj256ELj4ELj4294967295EEENS1_37radix_sort_block_sort_config_selectorIjNS0_10empty_typeEEEZNS1_21radix_sort_block_sortIS4_Lb0EPjS9_PS6_SA_NS0_19identity_decomposerEEE10hipError_tT1_T2_T3_T4_jRjT5_jjP12ihipStream_tbEUlT_E_NS1_11comp_targetILNS1_3genE2ELNS1_11target_archE906ELNS1_3gpuE6ELNS1_3repE0EEENS1_44radix_sort_block_sort_config_static_selectorELNS0_4arch9wavefront6targetE1EEEvSD_
	.globl	_ZN7rocprim17ROCPRIM_400000_NS6detail17trampoline_kernelINS0_13kernel_configILj256ELj4ELj4294967295EEENS1_37radix_sort_block_sort_config_selectorIjNS0_10empty_typeEEEZNS1_21radix_sort_block_sortIS4_Lb0EPjS9_PS6_SA_NS0_19identity_decomposerEEE10hipError_tT1_T2_T3_T4_jRjT5_jjP12ihipStream_tbEUlT_E_NS1_11comp_targetILNS1_3genE2ELNS1_11target_archE906ELNS1_3gpuE6ELNS1_3repE0EEENS1_44radix_sort_block_sort_config_static_selectorELNS0_4arch9wavefront6targetE1EEEvSD_
	.p2align	8
	.type	_ZN7rocprim17ROCPRIM_400000_NS6detail17trampoline_kernelINS0_13kernel_configILj256ELj4ELj4294967295EEENS1_37radix_sort_block_sort_config_selectorIjNS0_10empty_typeEEEZNS1_21radix_sort_block_sortIS4_Lb0EPjS9_PS6_SA_NS0_19identity_decomposerEEE10hipError_tT1_T2_T3_T4_jRjT5_jjP12ihipStream_tbEUlT_E_NS1_11comp_targetILNS1_3genE2ELNS1_11target_archE906ELNS1_3gpuE6ELNS1_3repE0EEENS1_44radix_sort_block_sort_config_static_selectorELNS0_4arch9wavefront6targetE1EEEvSD_,@function
_ZN7rocprim17ROCPRIM_400000_NS6detail17trampoline_kernelINS0_13kernel_configILj256ELj4ELj4294967295EEENS1_37radix_sort_block_sort_config_selectorIjNS0_10empty_typeEEEZNS1_21radix_sort_block_sortIS4_Lb0EPjS9_PS6_SA_NS0_19identity_decomposerEEE10hipError_tT1_T2_T3_T4_jRjT5_jjP12ihipStream_tbEUlT_E_NS1_11comp_targetILNS1_3genE2ELNS1_11target_archE906ELNS1_3gpuE6ELNS1_3repE0EEENS1_44radix_sort_block_sort_config_static_selectorELNS0_4arch9wavefront6targetE1EEEvSD_: ; @_ZN7rocprim17ROCPRIM_400000_NS6detail17trampoline_kernelINS0_13kernel_configILj256ELj4ELj4294967295EEENS1_37radix_sort_block_sort_config_selectorIjNS0_10empty_typeEEEZNS1_21radix_sort_block_sortIS4_Lb0EPjS9_PS6_SA_NS0_19identity_decomposerEEE10hipError_tT1_T2_T3_T4_jRjT5_jjP12ihipStream_tbEUlT_E_NS1_11comp_targetILNS1_3genE2ELNS1_11target_archE906ELNS1_3gpuE6ELNS1_3repE0EEENS1_44radix_sort_block_sort_config_static_selectorELNS0_4arch9wavefront6targetE1EEEvSD_
; %bb.0:
	.section	.rodata,"a",@progbits
	.p2align	6, 0x0
	.amdhsa_kernel _ZN7rocprim17ROCPRIM_400000_NS6detail17trampoline_kernelINS0_13kernel_configILj256ELj4ELj4294967295EEENS1_37radix_sort_block_sort_config_selectorIjNS0_10empty_typeEEEZNS1_21radix_sort_block_sortIS4_Lb0EPjS9_PS6_SA_NS0_19identity_decomposerEEE10hipError_tT1_T2_T3_T4_jRjT5_jjP12ihipStream_tbEUlT_E_NS1_11comp_targetILNS1_3genE2ELNS1_11target_archE906ELNS1_3gpuE6ELNS1_3repE0EEENS1_44radix_sort_block_sort_config_static_selectorELNS0_4arch9wavefront6targetE1EEEvSD_
		.amdhsa_group_segment_fixed_size 0
		.amdhsa_private_segment_fixed_size 0
		.amdhsa_kernarg_size 48
		.amdhsa_user_sgpr_count 6
		.amdhsa_user_sgpr_private_segment_buffer 1
		.amdhsa_user_sgpr_dispatch_ptr 0
		.amdhsa_user_sgpr_queue_ptr 0
		.amdhsa_user_sgpr_kernarg_segment_ptr 1
		.amdhsa_user_sgpr_dispatch_id 0
		.amdhsa_user_sgpr_flat_scratch_init 0
		.amdhsa_user_sgpr_kernarg_preload_length 0
		.amdhsa_user_sgpr_kernarg_preload_offset 0
		.amdhsa_user_sgpr_private_segment_size 0
		.amdhsa_uses_dynamic_stack 0
		.amdhsa_system_sgpr_private_segment_wavefront_offset 0
		.amdhsa_system_sgpr_workgroup_id_x 1
		.amdhsa_system_sgpr_workgroup_id_y 0
		.amdhsa_system_sgpr_workgroup_id_z 0
		.amdhsa_system_sgpr_workgroup_info 0
		.amdhsa_system_vgpr_workitem_id 0
		.amdhsa_next_free_vgpr 1
		.amdhsa_next_free_sgpr 0
		.amdhsa_accum_offset 4
		.amdhsa_reserve_vcc 0
		.amdhsa_reserve_flat_scratch 0
		.amdhsa_float_round_mode_32 0
		.amdhsa_float_round_mode_16_64 0
		.amdhsa_float_denorm_mode_32 3
		.amdhsa_float_denorm_mode_16_64 3
		.amdhsa_dx10_clamp 1
		.amdhsa_ieee_mode 1
		.amdhsa_fp16_overflow 0
		.amdhsa_tg_split 0
		.amdhsa_exception_fp_ieee_invalid_op 0
		.amdhsa_exception_fp_denorm_src 0
		.amdhsa_exception_fp_ieee_div_zero 0
		.amdhsa_exception_fp_ieee_overflow 0
		.amdhsa_exception_fp_ieee_underflow 0
		.amdhsa_exception_fp_ieee_inexact 0
		.amdhsa_exception_int_div_zero 0
	.end_amdhsa_kernel
	.section	.text._ZN7rocprim17ROCPRIM_400000_NS6detail17trampoline_kernelINS0_13kernel_configILj256ELj4ELj4294967295EEENS1_37radix_sort_block_sort_config_selectorIjNS0_10empty_typeEEEZNS1_21radix_sort_block_sortIS4_Lb0EPjS9_PS6_SA_NS0_19identity_decomposerEEE10hipError_tT1_T2_T3_T4_jRjT5_jjP12ihipStream_tbEUlT_E_NS1_11comp_targetILNS1_3genE2ELNS1_11target_archE906ELNS1_3gpuE6ELNS1_3repE0EEENS1_44radix_sort_block_sort_config_static_selectorELNS0_4arch9wavefront6targetE1EEEvSD_,"axG",@progbits,_ZN7rocprim17ROCPRIM_400000_NS6detail17trampoline_kernelINS0_13kernel_configILj256ELj4ELj4294967295EEENS1_37radix_sort_block_sort_config_selectorIjNS0_10empty_typeEEEZNS1_21radix_sort_block_sortIS4_Lb0EPjS9_PS6_SA_NS0_19identity_decomposerEEE10hipError_tT1_T2_T3_T4_jRjT5_jjP12ihipStream_tbEUlT_E_NS1_11comp_targetILNS1_3genE2ELNS1_11target_archE906ELNS1_3gpuE6ELNS1_3repE0EEENS1_44radix_sort_block_sort_config_static_selectorELNS0_4arch9wavefront6targetE1EEEvSD_,comdat
.Lfunc_end672:
	.size	_ZN7rocprim17ROCPRIM_400000_NS6detail17trampoline_kernelINS0_13kernel_configILj256ELj4ELj4294967295EEENS1_37radix_sort_block_sort_config_selectorIjNS0_10empty_typeEEEZNS1_21radix_sort_block_sortIS4_Lb0EPjS9_PS6_SA_NS0_19identity_decomposerEEE10hipError_tT1_T2_T3_T4_jRjT5_jjP12ihipStream_tbEUlT_E_NS1_11comp_targetILNS1_3genE2ELNS1_11target_archE906ELNS1_3gpuE6ELNS1_3repE0EEENS1_44radix_sort_block_sort_config_static_selectorELNS0_4arch9wavefront6targetE1EEEvSD_, .Lfunc_end672-_ZN7rocprim17ROCPRIM_400000_NS6detail17trampoline_kernelINS0_13kernel_configILj256ELj4ELj4294967295EEENS1_37radix_sort_block_sort_config_selectorIjNS0_10empty_typeEEEZNS1_21radix_sort_block_sortIS4_Lb0EPjS9_PS6_SA_NS0_19identity_decomposerEEE10hipError_tT1_T2_T3_T4_jRjT5_jjP12ihipStream_tbEUlT_E_NS1_11comp_targetILNS1_3genE2ELNS1_11target_archE906ELNS1_3gpuE6ELNS1_3repE0EEENS1_44radix_sort_block_sort_config_static_selectorELNS0_4arch9wavefront6targetE1EEEvSD_
                                        ; -- End function
	.section	.AMDGPU.csdata,"",@progbits
; Kernel info:
; codeLenInByte = 0
; NumSgprs: 4
; NumVgprs: 0
; NumAgprs: 0
; TotalNumVgprs: 0
; ScratchSize: 0
; MemoryBound: 0
; FloatMode: 240
; IeeeMode: 1
; LDSByteSize: 0 bytes/workgroup (compile time only)
; SGPRBlocks: 0
; VGPRBlocks: 0
; NumSGPRsForWavesPerEU: 4
; NumVGPRsForWavesPerEU: 1
; AccumOffset: 4
; Occupancy: 8
; WaveLimiterHint : 0
; COMPUTE_PGM_RSRC2:SCRATCH_EN: 0
; COMPUTE_PGM_RSRC2:USER_SGPR: 6
; COMPUTE_PGM_RSRC2:TRAP_HANDLER: 0
; COMPUTE_PGM_RSRC2:TGID_X_EN: 1
; COMPUTE_PGM_RSRC2:TGID_Y_EN: 0
; COMPUTE_PGM_RSRC2:TGID_Z_EN: 0
; COMPUTE_PGM_RSRC2:TIDIG_COMP_CNT: 0
; COMPUTE_PGM_RSRC3_GFX90A:ACCUM_OFFSET: 0
; COMPUTE_PGM_RSRC3_GFX90A:TG_SPLIT: 0
	.section	.text._ZN7rocprim17ROCPRIM_400000_NS6detail17trampoline_kernelINS0_13kernel_configILj256ELj4ELj4294967295EEENS1_37radix_sort_block_sort_config_selectorIjNS0_10empty_typeEEEZNS1_21radix_sort_block_sortIS4_Lb0EPjS9_PS6_SA_NS0_19identity_decomposerEEE10hipError_tT1_T2_T3_T4_jRjT5_jjP12ihipStream_tbEUlT_E_NS1_11comp_targetILNS1_3genE10ELNS1_11target_archE1201ELNS1_3gpuE5ELNS1_3repE0EEENS1_44radix_sort_block_sort_config_static_selectorELNS0_4arch9wavefront6targetE1EEEvSD_,"axG",@progbits,_ZN7rocprim17ROCPRIM_400000_NS6detail17trampoline_kernelINS0_13kernel_configILj256ELj4ELj4294967295EEENS1_37radix_sort_block_sort_config_selectorIjNS0_10empty_typeEEEZNS1_21radix_sort_block_sortIS4_Lb0EPjS9_PS6_SA_NS0_19identity_decomposerEEE10hipError_tT1_T2_T3_T4_jRjT5_jjP12ihipStream_tbEUlT_E_NS1_11comp_targetILNS1_3genE10ELNS1_11target_archE1201ELNS1_3gpuE5ELNS1_3repE0EEENS1_44radix_sort_block_sort_config_static_selectorELNS0_4arch9wavefront6targetE1EEEvSD_,comdat
	.protected	_ZN7rocprim17ROCPRIM_400000_NS6detail17trampoline_kernelINS0_13kernel_configILj256ELj4ELj4294967295EEENS1_37radix_sort_block_sort_config_selectorIjNS0_10empty_typeEEEZNS1_21radix_sort_block_sortIS4_Lb0EPjS9_PS6_SA_NS0_19identity_decomposerEEE10hipError_tT1_T2_T3_T4_jRjT5_jjP12ihipStream_tbEUlT_E_NS1_11comp_targetILNS1_3genE10ELNS1_11target_archE1201ELNS1_3gpuE5ELNS1_3repE0EEENS1_44radix_sort_block_sort_config_static_selectorELNS0_4arch9wavefront6targetE1EEEvSD_ ; -- Begin function _ZN7rocprim17ROCPRIM_400000_NS6detail17trampoline_kernelINS0_13kernel_configILj256ELj4ELj4294967295EEENS1_37radix_sort_block_sort_config_selectorIjNS0_10empty_typeEEEZNS1_21radix_sort_block_sortIS4_Lb0EPjS9_PS6_SA_NS0_19identity_decomposerEEE10hipError_tT1_T2_T3_T4_jRjT5_jjP12ihipStream_tbEUlT_E_NS1_11comp_targetILNS1_3genE10ELNS1_11target_archE1201ELNS1_3gpuE5ELNS1_3repE0EEENS1_44radix_sort_block_sort_config_static_selectorELNS0_4arch9wavefront6targetE1EEEvSD_
	.globl	_ZN7rocprim17ROCPRIM_400000_NS6detail17trampoline_kernelINS0_13kernel_configILj256ELj4ELj4294967295EEENS1_37radix_sort_block_sort_config_selectorIjNS0_10empty_typeEEEZNS1_21radix_sort_block_sortIS4_Lb0EPjS9_PS6_SA_NS0_19identity_decomposerEEE10hipError_tT1_T2_T3_T4_jRjT5_jjP12ihipStream_tbEUlT_E_NS1_11comp_targetILNS1_3genE10ELNS1_11target_archE1201ELNS1_3gpuE5ELNS1_3repE0EEENS1_44radix_sort_block_sort_config_static_selectorELNS0_4arch9wavefront6targetE1EEEvSD_
	.p2align	8
	.type	_ZN7rocprim17ROCPRIM_400000_NS6detail17trampoline_kernelINS0_13kernel_configILj256ELj4ELj4294967295EEENS1_37radix_sort_block_sort_config_selectorIjNS0_10empty_typeEEEZNS1_21radix_sort_block_sortIS4_Lb0EPjS9_PS6_SA_NS0_19identity_decomposerEEE10hipError_tT1_T2_T3_T4_jRjT5_jjP12ihipStream_tbEUlT_E_NS1_11comp_targetILNS1_3genE10ELNS1_11target_archE1201ELNS1_3gpuE5ELNS1_3repE0EEENS1_44radix_sort_block_sort_config_static_selectorELNS0_4arch9wavefront6targetE1EEEvSD_,@function
_ZN7rocprim17ROCPRIM_400000_NS6detail17trampoline_kernelINS0_13kernel_configILj256ELj4ELj4294967295EEENS1_37radix_sort_block_sort_config_selectorIjNS0_10empty_typeEEEZNS1_21radix_sort_block_sortIS4_Lb0EPjS9_PS6_SA_NS0_19identity_decomposerEEE10hipError_tT1_T2_T3_T4_jRjT5_jjP12ihipStream_tbEUlT_E_NS1_11comp_targetILNS1_3genE10ELNS1_11target_archE1201ELNS1_3gpuE5ELNS1_3repE0EEENS1_44radix_sort_block_sort_config_static_selectorELNS0_4arch9wavefront6targetE1EEEvSD_: ; @_ZN7rocprim17ROCPRIM_400000_NS6detail17trampoline_kernelINS0_13kernel_configILj256ELj4ELj4294967295EEENS1_37radix_sort_block_sort_config_selectorIjNS0_10empty_typeEEEZNS1_21radix_sort_block_sortIS4_Lb0EPjS9_PS6_SA_NS0_19identity_decomposerEEE10hipError_tT1_T2_T3_T4_jRjT5_jjP12ihipStream_tbEUlT_E_NS1_11comp_targetILNS1_3genE10ELNS1_11target_archE1201ELNS1_3gpuE5ELNS1_3repE0EEENS1_44radix_sort_block_sort_config_static_selectorELNS0_4arch9wavefront6targetE1EEEvSD_
; %bb.0:
	.section	.rodata,"a",@progbits
	.p2align	6, 0x0
	.amdhsa_kernel _ZN7rocprim17ROCPRIM_400000_NS6detail17trampoline_kernelINS0_13kernel_configILj256ELj4ELj4294967295EEENS1_37radix_sort_block_sort_config_selectorIjNS0_10empty_typeEEEZNS1_21radix_sort_block_sortIS4_Lb0EPjS9_PS6_SA_NS0_19identity_decomposerEEE10hipError_tT1_T2_T3_T4_jRjT5_jjP12ihipStream_tbEUlT_E_NS1_11comp_targetILNS1_3genE10ELNS1_11target_archE1201ELNS1_3gpuE5ELNS1_3repE0EEENS1_44radix_sort_block_sort_config_static_selectorELNS0_4arch9wavefront6targetE1EEEvSD_
		.amdhsa_group_segment_fixed_size 0
		.amdhsa_private_segment_fixed_size 0
		.amdhsa_kernarg_size 48
		.amdhsa_user_sgpr_count 6
		.amdhsa_user_sgpr_private_segment_buffer 1
		.amdhsa_user_sgpr_dispatch_ptr 0
		.amdhsa_user_sgpr_queue_ptr 0
		.amdhsa_user_sgpr_kernarg_segment_ptr 1
		.amdhsa_user_sgpr_dispatch_id 0
		.amdhsa_user_sgpr_flat_scratch_init 0
		.amdhsa_user_sgpr_kernarg_preload_length 0
		.amdhsa_user_sgpr_kernarg_preload_offset 0
		.amdhsa_user_sgpr_private_segment_size 0
		.amdhsa_uses_dynamic_stack 0
		.amdhsa_system_sgpr_private_segment_wavefront_offset 0
		.amdhsa_system_sgpr_workgroup_id_x 1
		.amdhsa_system_sgpr_workgroup_id_y 0
		.amdhsa_system_sgpr_workgroup_id_z 0
		.amdhsa_system_sgpr_workgroup_info 0
		.amdhsa_system_vgpr_workitem_id 0
		.amdhsa_next_free_vgpr 1
		.amdhsa_next_free_sgpr 0
		.amdhsa_accum_offset 4
		.amdhsa_reserve_vcc 0
		.amdhsa_reserve_flat_scratch 0
		.amdhsa_float_round_mode_32 0
		.amdhsa_float_round_mode_16_64 0
		.amdhsa_float_denorm_mode_32 3
		.amdhsa_float_denorm_mode_16_64 3
		.amdhsa_dx10_clamp 1
		.amdhsa_ieee_mode 1
		.amdhsa_fp16_overflow 0
		.amdhsa_tg_split 0
		.amdhsa_exception_fp_ieee_invalid_op 0
		.amdhsa_exception_fp_denorm_src 0
		.amdhsa_exception_fp_ieee_div_zero 0
		.amdhsa_exception_fp_ieee_overflow 0
		.amdhsa_exception_fp_ieee_underflow 0
		.amdhsa_exception_fp_ieee_inexact 0
		.amdhsa_exception_int_div_zero 0
	.end_amdhsa_kernel
	.section	.text._ZN7rocprim17ROCPRIM_400000_NS6detail17trampoline_kernelINS0_13kernel_configILj256ELj4ELj4294967295EEENS1_37radix_sort_block_sort_config_selectorIjNS0_10empty_typeEEEZNS1_21radix_sort_block_sortIS4_Lb0EPjS9_PS6_SA_NS0_19identity_decomposerEEE10hipError_tT1_T2_T3_T4_jRjT5_jjP12ihipStream_tbEUlT_E_NS1_11comp_targetILNS1_3genE10ELNS1_11target_archE1201ELNS1_3gpuE5ELNS1_3repE0EEENS1_44radix_sort_block_sort_config_static_selectorELNS0_4arch9wavefront6targetE1EEEvSD_,"axG",@progbits,_ZN7rocprim17ROCPRIM_400000_NS6detail17trampoline_kernelINS0_13kernel_configILj256ELj4ELj4294967295EEENS1_37radix_sort_block_sort_config_selectorIjNS0_10empty_typeEEEZNS1_21radix_sort_block_sortIS4_Lb0EPjS9_PS6_SA_NS0_19identity_decomposerEEE10hipError_tT1_T2_T3_T4_jRjT5_jjP12ihipStream_tbEUlT_E_NS1_11comp_targetILNS1_3genE10ELNS1_11target_archE1201ELNS1_3gpuE5ELNS1_3repE0EEENS1_44radix_sort_block_sort_config_static_selectorELNS0_4arch9wavefront6targetE1EEEvSD_,comdat
.Lfunc_end673:
	.size	_ZN7rocprim17ROCPRIM_400000_NS6detail17trampoline_kernelINS0_13kernel_configILj256ELj4ELj4294967295EEENS1_37radix_sort_block_sort_config_selectorIjNS0_10empty_typeEEEZNS1_21radix_sort_block_sortIS4_Lb0EPjS9_PS6_SA_NS0_19identity_decomposerEEE10hipError_tT1_T2_T3_T4_jRjT5_jjP12ihipStream_tbEUlT_E_NS1_11comp_targetILNS1_3genE10ELNS1_11target_archE1201ELNS1_3gpuE5ELNS1_3repE0EEENS1_44radix_sort_block_sort_config_static_selectorELNS0_4arch9wavefront6targetE1EEEvSD_, .Lfunc_end673-_ZN7rocprim17ROCPRIM_400000_NS6detail17trampoline_kernelINS0_13kernel_configILj256ELj4ELj4294967295EEENS1_37radix_sort_block_sort_config_selectorIjNS0_10empty_typeEEEZNS1_21radix_sort_block_sortIS4_Lb0EPjS9_PS6_SA_NS0_19identity_decomposerEEE10hipError_tT1_T2_T3_T4_jRjT5_jjP12ihipStream_tbEUlT_E_NS1_11comp_targetILNS1_3genE10ELNS1_11target_archE1201ELNS1_3gpuE5ELNS1_3repE0EEENS1_44radix_sort_block_sort_config_static_selectorELNS0_4arch9wavefront6targetE1EEEvSD_
                                        ; -- End function
	.section	.AMDGPU.csdata,"",@progbits
; Kernel info:
; codeLenInByte = 0
; NumSgprs: 4
; NumVgprs: 0
; NumAgprs: 0
; TotalNumVgprs: 0
; ScratchSize: 0
; MemoryBound: 0
; FloatMode: 240
; IeeeMode: 1
; LDSByteSize: 0 bytes/workgroup (compile time only)
; SGPRBlocks: 0
; VGPRBlocks: 0
; NumSGPRsForWavesPerEU: 4
; NumVGPRsForWavesPerEU: 1
; AccumOffset: 4
; Occupancy: 8
; WaveLimiterHint : 0
; COMPUTE_PGM_RSRC2:SCRATCH_EN: 0
; COMPUTE_PGM_RSRC2:USER_SGPR: 6
; COMPUTE_PGM_RSRC2:TRAP_HANDLER: 0
; COMPUTE_PGM_RSRC2:TGID_X_EN: 1
; COMPUTE_PGM_RSRC2:TGID_Y_EN: 0
; COMPUTE_PGM_RSRC2:TGID_Z_EN: 0
; COMPUTE_PGM_RSRC2:TIDIG_COMP_CNT: 0
; COMPUTE_PGM_RSRC3_GFX90A:ACCUM_OFFSET: 0
; COMPUTE_PGM_RSRC3_GFX90A:TG_SPLIT: 0
	.section	.text._ZN7rocprim17ROCPRIM_400000_NS6detail17trampoline_kernelINS0_13kernel_configILj256ELj4ELj4294967295EEENS1_37radix_sort_block_sort_config_selectorIjNS0_10empty_typeEEEZNS1_21radix_sort_block_sortIS4_Lb0EPjS9_PS6_SA_NS0_19identity_decomposerEEE10hipError_tT1_T2_T3_T4_jRjT5_jjP12ihipStream_tbEUlT_E_NS1_11comp_targetILNS1_3genE10ELNS1_11target_archE1200ELNS1_3gpuE4ELNS1_3repE0EEENS1_44radix_sort_block_sort_config_static_selectorELNS0_4arch9wavefront6targetE1EEEvSD_,"axG",@progbits,_ZN7rocprim17ROCPRIM_400000_NS6detail17trampoline_kernelINS0_13kernel_configILj256ELj4ELj4294967295EEENS1_37radix_sort_block_sort_config_selectorIjNS0_10empty_typeEEEZNS1_21radix_sort_block_sortIS4_Lb0EPjS9_PS6_SA_NS0_19identity_decomposerEEE10hipError_tT1_T2_T3_T4_jRjT5_jjP12ihipStream_tbEUlT_E_NS1_11comp_targetILNS1_3genE10ELNS1_11target_archE1200ELNS1_3gpuE4ELNS1_3repE0EEENS1_44radix_sort_block_sort_config_static_selectorELNS0_4arch9wavefront6targetE1EEEvSD_,comdat
	.protected	_ZN7rocprim17ROCPRIM_400000_NS6detail17trampoline_kernelINS0_13kernel_configILj256ELj4ELj4294967295EEENS1_37radix_sort_block_sort_config_selectorIjNS0_10empty_typeEEEZNS1_21radix_sort_block_sortIS4_Lb0EPjS9_PS6_SA_NS0_19identity_decomposerEEE10hipError_tT1_T2_T3_T4_jRjT5_jjP12ihipStream_tbEUlT_E_NS1_11comp_targetILNS1_3genE10ELNS1_11target_archE1200ELNS1_3gpuE4ELNS1_3repE0EEENS1_44radix_sort_block_sort_config_static_selectorELNS0_4arch9wavefront6targetE1EEEvSD_ ; -- Begin function _ZN7rocprim17ROCPRIM_400000_NS6detail17trampoline_kernelINS0_13kernel_configILj256ELj4ELj4294967295EEENS1_37radix_sort_block_sort_config_selectorIjNS0_10empty_typeEEEZNS1_21radix_sort_block_sortIS4_Lb0EPjS9_PS6_SA_NS0_19identity_decomposerEEE10hipError_tT1_T2_T3_T4_jRjT5_jjP12ihipStream_tbEUlT_E_NS1_11comp_targetILNS1_3genE10ELNS1_11target_archE1200ELNS1_3gpuE4ELNS1_3repE0EEENS1_44radix_sort_block_sort_config_static_selectorELNS0_4arch9wavefront6targetE1EEEvSD_
	.globl	_ZN7rocprim17ROCPRIM_400000_NS6detail17trampoline_kernelINS0_13kernel_configILj256ELj4ELj4294967295EEENS1_37radix_sort_block_sort_config_selectorIjNS0_10empty_typeEEEZNS1_21radix_sort_block_sortIS4_Lb0EPjS9_PS6_SA_NS0_19identity_decomposerEEE10hipError_tT1_T2_T3_T4_jRjT5_jjP12ihipStream_tbEUlT_E_NS1_11comp_targetILNS1_3genE10ELNS1_11target_archE1200ELNS1_3gpuE4ELNS1_3repE0EEENS1_44radix_sort_block_sort_config_static_selectorELNS0_4arch9wavefront6targetE1EEEvSD_
	.p2align	8
	.type	_ZN7rocprim17ROCPRIM_400000_NS6detail17trampoline_kernelINS0_13kernel_configILj256ELj4ELj4294967295EEENS1_37radix_sort_block_sort_config_selectorIjNS0_10empty_typeEEEZNS1_21radix_sort_block_sortIS4_Lb0EPjS9_PS6_SA_NS0_19identity_decomposerEEE10hipError_tT1_T2_T3_T4_jRjT5_jjP12ihipStream_tbEUlT_E_NS1_11comp_targetILNS1_3genE10ELNS1_11target_archE1200ELNS1_3gpuE4ELNS1_3repE0EEENS1_44radix_sort_block_sort_config_static_selectorELNS0_4arch9wavefront6targetE1EEEvSD_,@function
_ZN7rocprim17ROCPRIM_400000_NS6detail17trampoline_kernelINS0_13kernel_configILj256ELj4ELj4294967295EEENS1_37radix_sort_block_sort_config_selectorIjNS0_10empty_typeEEEZNS1_21radix_sort_block_sortIS4_Lb0EPjS9_PS6_SA_NS0_19identity_decomposerEEE10hipError_tT1_T2_T3_T4_jRjT5_jjP12ihipStream_tbEUlT_E_NS1_11comp_targetILNS1_3genE10ELNS1_11target_archE1200ELNS1_3gpuE4ELNS1_3repE0EEENS1_44radix_sort_block_sort_config_static_selectorELNS0_4arch9wavefront6targetE1EEEvSD_: ; @_ZN7rocprim17ROCPRIM_400000_NS6detail17trampoline_kernelINS0_13kernel_configILj256ELj4ELj4294967295EEENS1_37radix_sort_block_sort_config_selectorIjNS0_10empty_typeEEEZNS1_21radix_sort_block_sortIS4_Lb0EPjS9_PS6_SA_NS0_19identity_decomposerEEE10hipError_tT1_T2_T3_T4_jRjT5_jjP12ihipStream_tbEUlT_E_NS1_11comp_targetILNS1_3genE10ELNS1_11target_archE1200ELNS1_3gpuE4ELNS1_3repE0EEENS1_44radix_sort_block_sort_config_static_selectorELNS0_4arch9wavefront6targetE1EEEvSD_
; %bb.0:
	.section	.rodata,"a",@progbits
	.p2align	6, 0x0
	.amdhsa_kernel _ZN7rocprim17ROCPRIM_400000_NS6detail17trampoline_kernelINS0_13kernel_configILj256ELj4ELj4294967295EEENS1_37radix_sort_block_sort_config_selectorIjNS0_10empty_typeEEEZNS1_21radix_sort_block_sortIS4_Lb0EPjS9_PS6_SA_NS0_19identity_decomposerEEE10hipError_tT1_T2_T3_T4_jRjT5_jjP12ihipStream_tbEUlT_E_NS1_11comp_targetILNS1_3genE10ELNS1_11target_archE1200ELNS1_3gpuE4ELNS1_3repE0EEENS1_44radix_sort_block_sort_config_static_selectorELNS0_4arch9wavefront6targetE1EEEvSD_
		.amdhsa_group_segment_fixed_size 0
		.amdhsa_private_segment_fixed_size 0
		.amdhsa_kernarg_size 48
		.amdhsa_user_sgpr_count 6
		.amdhsa_user_sgpr_private_segment_buffer 1
		.amdhsa_user_sgpr_dispatch_ptr 0
		.amdhsa_user_sgpr_queue_ptr 0
		.amdhsa_user_sgpr_kernarg_segment_ptr 1
		.amdhsa_user_sgpr_dispatch_id 0
		.amdhsa_user_sgpr_flat_scratch_init 0
		.amdhsa_user_sgpr_kernarg_preload_length 0
		.amdhsa_user_sgpr_kernarg_preload_offset 0
		.amdhsa_user_sgpr_private_segment_size 0
		.amdhsa_uses_dynamic_stack 0
		.amdhsa_system_sgpr_private_segment_wavefront_offset 0
		.amdhsa_system_sgpr_workgroup_id_x 1
		.amdhsa_system_sgpr_workgroup_id_y 0
		.amdhsa_system_sgpr_workgroup_id_z 0
		.amdhsa_system_sgpr_workgroup_info 0
		.amdhsa_system_vgpr_workitem_id 0
		.amdhsa_next_free_vgpr 1
		.amdhsa_next_free_sgpr 0
		.amdhsa_accum_offset 4
		.amdhsa_reserve_vcc 0
		.amdhsa_reserve_flat_scratch 0
		.amdhsa_float_round_mode_32 0
		.amdhsa_float_round_mode_16_64 0
		.amdhsa_float_denorm_mode_32 3
		.amdhsa_float_denorm_mode_16_64 3
		.amdhsa_dx10_clamp 1
		.amdhsa_ieee_mode 1
		.amdhsa_fp16_overflow 0
		.amdhsa_tg_split 0
		.amdhsa_exception_fp_ieee_invalid_op 0
		.amdhsa_exception_fp_denorm_src 0
		.amdhsa_exception_fp_ieee_div_zero 0
		.amdhsa_exception_fp_ieee_overflow 0
		.amdhsa_exception_fp_ieee_underflow 0
		.amdhsa_exception_fp_ieee_inexact 0
		.amdhsa_exception_int_div_zero 0
	.end_amdhsa_kernel
	.section	.text._ZN7rocprim17ROCPRIM_400000_NS6detail17trampoline_kernelINS0_13kernel_configILj256ELj4ELj4294967295EEENS1_37radix_sort_block_sort_config_selectorIjNS0_10empty_typeEEEZNS1_21radix_sort_block_sortIS4_Lb0EPjS9_PS6_SA_NS0_19identity_decomposerEEE10hipError_tT1_T2_T3_T4_jRjT5_jjP12ihipStream_tbEUlT_E_NS1_11comp_targetILNS1_3genE10ELNS1_11target_archE1200ELNS1_3gpuE4ELNS1_3repE0EEENS1_44radix_sort_block_sort_config_static_selectorELNS0_4arch9wavefront6targetE1EEEvSD_,"axG",@progbits,_ZN7rocprim17ROCPRIM_400000_NS6detail17trampoline_kernelINS0_13kernel_configILj256ELj4ELj4294967295EEENS1_37radix_sort_block_sort_config_selectorIjNS0_10empty_typeEEEZNS1_21radix_sort_block_sortIS4_Lb0EPjS9_PS6_SA_NS0_19identity_decomposerEEE10hipError_tT1_T2_T3_T4_jRjT5_jjP12ihipStream_tbEUlT_E_NS1_11comp_targetILNS1_3genE10ELNS1_11target_archE1200ELNS1_3gpuE4ELNS1_3repE0EEENS1_44radix_sort_block_sort_config_static_selectorELNS0_4arch9wavefront6targetE1EEEvSD_,comdat
.Lfunc_end674:
	.size	_ZN7rocprim17ROCPRIM_400000_NS6detail17trampoline_kernelINS0_13kernel_configILj256ELj4ELj4294967295EEENS1_37radix_sort_block_sort_config_selectorIjNS0_10empty_typeEEEZNS1_21radix_sort_block_sortIS4_Lb0EPjS9_PS6_SA_NS0_19identity_decomposerEEE10hipError_tT1_T2_T3_T4_jRjT5_jjP12ihipStream_tbEUlT_E_NS1_11comp_targetILNS1_3genE10ELNS1_11target_archE1200ELNS1_3gpuE4ELNS1_3repE0EEENS1_44radix_sort_block_sort_config_static_selectorELNS0_4arch9wavefront6targetE1EEEvSD_, .Lfunc_end674-_ZN7rocprim17ROCPRIM_400000_NS6detail17trampoline_kernelINS0_13kernel_configILj256ELj4ELj4294967295EEENS1_37radix_sort_block_sort_config_selectorIjNS0_10empty_typeEEEZNS1_21radix_sort_block_sortIS4_Lb0EPjS9_PS6_SA_NS0_19identity_decomposerEEE10hipError_tT1_T2_T3_T4_jRjT5_jjP12ihipStream_tbEUlT_E_NS1_11comp_targetILNS1_3genE10ELNS1_11target_archE1200ELNS1_3gpuE4ELNS1_3repE0EEENS1_44radix_sort_block_sort_config_static_selectorELNS0_4arch9wavefront6targetE1EEEvSD_
                                        ; -- End function
	.section	.AMDGPU.csdata,"",@progbits
; Kernel info:
; codeLenInByte = 0
; NumSgprs: 4
; NumVgprs: 0
; NumAgprs: 0
; TotalNumVgprs: 0
; ScratchSize: 0
; MemoryBound: 0
; FloatMode: 240
; IeeeMode: 1
; LDSByteSize: 0 bytes/workgroup (compile time only)
; SGPRBlocks: 0
; VGPRBlocks: 0
; NumSGPRsForWavesPerEU: 4
; NumVGPRsForWavesPerEU: 1
; AccumOffset: 4
; Occupancy: 8
; WaveLimiterHint : 0
; COMPUTE_PGM_RSRC2:SCRATCH_EN: 0
; COMPUTE_PGM_RSRC2:USER_SGPR: 6
; COMPUTE_PGM_RSRC2:TRAP_HANDLER: 0
; COMPUTE_PGM_RSRC2:TGID_X_EN: 1
; COMPUTE_PGM_RSRC2:TGID_Y_EN: 0
; COMPUTE_PGM_RSRC2:TGID_Z_EN: 0
; COMPUTE_PGM_RSRC2:TIDIG_COMP_CNT: 0
; COMPUTE_PGM_RSRC3_GFX90A:ACCUM_OFFSET: 0
; COMPUTE_PGM_RSRC3_GFX90A:TG_SPLIT: 0
	.section	.text._ZN7rocprim17ROCPRIM_400000_NS6detail17trampoline_kernelINS0_13kernel_configILj256ELj4ELj4294967295EEENS1_37radix_sort_block_sort_config_selectorIjNS0_10empty_typeEEEZNS1_21radix_sort_block_sortIS4_Lb0EPjS9_PS6_SA_NS0_19identity_decomposerEEE10hipError_tT1_T2_T3_T4_jRjT5_jjP12ihipStream_tbEUlT_E_NS1_11comp_targetILNS1_3genE9ELNS1_11target_archE1100ELNS1_3gpuE3ELNS1_3repE0EEENS1_44radix_sort_block_sort_config_static_selectorELNS0_4arch9wavefront6targetE1EEEvSD_,"axG",@progbits,_ZN7rocprim17ROCPRIM_400000_NS6detail17trampoline_kernelINS0_13kernel_configILj256ELj4ELj4294967295EEENS1_37radix_sort_block_sort_config_selectorIjNS0_10empty_typeEEEZNS1_21radix_sort_block_sortIS4_Lb0EPjS9_PS6_SA_NS0_19identity_decomposerEEE10hipError_tT1_T2_T3_T4_jRjT5_jjP12ihipStream_tbEUlT_E_NS1_11comp_targetILNS1_3genE9ELNS1_11target_archE1100ELNS1_3gpuE3ELNS1_3repE0EEENS1_44radix_sort_block_sort_config_static_selectorELNS0_4arch9wavefront6targetE1EEEvSD_,comdat
	.protected	_ZN7rocprim17ROCPRIM_400000_NS6detail17trampoline_kernelINS0_13kernel_configILj256ELj4ELj4294967295EEENS1_37radix_sort_block_sort_config_selectorIjNS0_10empty_typeEEEZNS1_21radix_sort_block_sortIS4_Lb0EPjS9_PS6_SA_NS0_19identity_decomposerEEE10hipError_tT1_T2_T3_T4_jRjT5_jjP12ihipStream_tbEUlT_E_NS1_11comp_targetILNS1_3genE9ELNS1_11target_archE1100ELNS1_3gpuE3ELNS1_3repE0EEENS1_44radix_sort_block_sort_config_static_selectorELNS0_4arch9wavefront6targetE1EEEvSD_ ; -- Begin function _ZN7rocprim17ROCPRIM_400000_NS6detail17trampoline_kernelINS0_13kernel_configILj256ELj4ELj4294967295EEENS1_37radix_sort_block_sort_config_selectorIjNS0_10empty_typeEEEZNS1_21radix_sort_block_sortIS4_Lb0EPjS9_PS6_SA_NS0_19identity_decomposerEEE10hipError_tT1_T2_T3_T4_jRjT5_jjP12ihipStream_tbEUlT_E_NS1_11comp_targetILNS1_3genE9ELNS1_11target_archE1100ELNS1_3gpuE3ELNS1_3repE0EEENS1_44radix_sort_block_sort_config_static_selectorELNS0_4arch9wavefront6targetE1EEEvSD_
	.globl	_ZN7rocprim17ROCPRIM_400000_NS6detail17trampoline_kernelINS0_13kernel_configILj256ELj4ELj4294967295EEENS1_37radix_sort_block_sort_config_selectorIjNS0_10empty_typeEEEZNS1_21radix_sort_block_sortIS4_Lb0EPjS9_PS6_SA_NS0_19identity_decomposerEEE10hipError_tT1_T2_T3_T4_jRjT5_jjP12ihipStream_tbEUlT_E_NS1_11comp_targetILNS1_3genE9ELNS1_11target_archE1100ELNS1_3gpuE3ELNS1_3repE0EEENS1_44radix_sort_block_sort_config_static_selectorELNS0_4arch9wavefront6targetE1EEEvSD_
	.p2align	8
	.type	_ZN7rocprim17ROCPRIM_400000_NS6detail17trampoline_kernelINS0_13kernel_configILj256ELj4ELj4294967295EEENS1_37radix_sort_block_sort_config_selectorIjNS0_10empty_typeEEEZNS1_21radix_sort_block_sortIS4_Lb0EPjS9_PS6_SA_NS0_19identity_decomposerEEE10hipError_tT1_T2_T3_T4_jRjT5_jjP12ihipStream_tbEUlT_E_NS1_11comp_targetILNS1_3genE9ELNS1_11target_archE1100ELNS1_3gpuE3ELNS1_3repE0EEENS1_44radix_sort_block_sort_config_static_selectorELNS0_4arch9wavefront6targetE1EEEvSD_,@function
_ZN7rocprim17ROCPRIM_400000_NS6detail17trampoline_kernelINS0_13kernel_configILj256ELj4ELj4294967295EEENS1_37radix_sort_block_sort_config_selectorIjNS0_10empty_typeEEEZNS1_21radix_sort_block_sortIS4_Lb0EPjS9_PS6_SA_NS0_19identity_decomposerEEE10hipError_tT1_T2_T3_T4_jRjT5_jjP12ihipStream_tbEUlT_E_NS1_11comp_targetILNS1_3genE9ELNS1_11target_archE1100ELNS1_3gpuE3ELNS1_3repE0EEENS1_44radix_sort_block_sort_config_static_selectorELNS0_4arch9wavefront6targetE1EEEvSD_: ; @_ZN7rocprim17ROCPRIM_400000_NS6detail17trampoline_kernelINS0_13kernel_configILj256ELj4ELj4294967295EEENS1_37radix_sort_block_sort_config_selectorIjNS0_10empty_typeEEEZNS1_21radix_sort_block_sortIS4_Lb0EPjS9_PS6_SA_NS0_19identity_decomposerEEE10hipError_tT1_T2_T3_T4_jRjT5_jjP12ihipStream_tbEUlT_E_NS1_11comp_targetILNS1_3genE9ELNS1_11target_archE1100ELNS1_3gpuE3ELNS1_3repE0EEENS1_44radix_sort_block_sort_config_static_selectorELNS0_4arch9wavefront6targetE1EEEvSD_
; %bb.0:
	.section	.rodata,"a",@progbits
	.p2align	6, 0x0
	.amdhsa_kernel _ZN7rocprim17ROCPRIM_400000_NS6detail17trampoline_kernelINS0_13kernel_configILj256ELj4ELj4294967295EEENS1_37radix_sort_block_sort_config_selectorIjNS0_10empty_typeEEEZNS1_21radix_sort_block_sortIS4_Lb0EPjS9_PS6_SA_NS0_19identity_decomposerEEE10hipError_tT1_T2_T3_T4_jRjT5_jjP12ihipStream_tbEUlT_E_NS1_11comp_targetILNS1_3genE9ELNS1_11target_archE1100ELNS1_3gpuE3ELNS1_3repE0EEENS1_44radix_sort_block_sort_config_static_selectorELNS0_4arch9wavefront6targetE1EEEvSD_
		.amdhsa_group_segment_fixed_size 0
		.amdhsa_private_segment_fixed_size 0
		.amdhsa_kernarg_size 48
		.amdhsa_user_sgpr_count 6
		.amdhsa_user_sgpr_private_segment_buffer 1
		.amdhsa_user_sgpr_dispatch_ptr 0
		.amdhsa_user_sgpr_queue_ptr 0
		.amdhsa_user_sgpr_kernarg_segment_ptr 1
		.amdhsa_user_sgpr_dispatch_id 0
		.amdhsa_user_sgpr_flat_scratch_init 0
		.amdhsa_user_sgpr_kernarg_preload_length 0
		.amdhsa_user_sgpr_kernarg_preload_offset 0
		.amdhsa_user_sgpr_private_segment_size 0
		.amdhsa_uses_dynamic_stack 0
		.amdhsa_system_sgpr_private_segment_wavefront_offset 0
		.amdhsa_system_sgpr_workgroup_id_x 1
		.amdhsa_system_sgpr_workgroup_id_y 0
		.amdhsa_system_sgpr_workgroup_id_z 0
		.amdhsa_system_sgpr_workgroup_info 0
		.amdhsa_system_vgpr_workitem_id 0
		.amdhsa_next_free_vgpr 1
		.amdhsa_next_free_sgpr 0
		.amdhsa_accum_offset 4
		.amdhsa_reserve_vcc 0
		.amdhsa_reserve_flat_scratch 0
		.amdhsa_float_round_mode_32 0
		.amdhsa_float_round_mode_16_64 0
		.amdhsa_float_denorm_mode_32 3
		.amdhsa_float_denorm_mode_16_64 3
		.amdhsa_dx10_clamp 1
		.amdhsa_ieee_mode 1
		.amdhsa_fp16_overflow 0
		.amdhsa_tg_split 0
		.amdhsa_exception_fp_ieee_invalid_op 0
		.amdhsa_exception_fp_denorm_src 0
		.amdhsa_exception_fp_ieee_div_zero 0
		.amdhsa_exception_fp_ieee_overflow 0
		.amdhsa_exception_fp_ieee_underflow 0
		.amdhsa_exception_fp_ieee_inexact 0
		.amdhsa_exception_int_div_zero 0
	.end_amdhsa_kernel
	.section	.text._ZN7rocprim17ROCPRIM_400000_NS6detail17trampoline_kernelINS0_13kernel_configILj256ELj4ELj4294967295EEENS1_37radix_sort_block_sort_config_selectorIjNS0_10empty_typeEEEZNS1_21radix_sort_block_sortIS4_Lb0EPjS9_PS6_SA_NS0_19identity_decomposerEEE10hipError_tT1_T2_T3_T4_jRjT5_jjP12ihipStream_tbEUlT_E_NS1_11comp_targetILNS1_3genE9ELNS1_11target_archE1100ELNS1_3gpuE3ELNS1_3repE0EEENS1_44radix_sort_block_sort_config_static_selectorELNS0_4arch9wavefront6targetE1EEEvSD_,"axG",@progbits,_ZN7rocprim17ROCPRIM_400000_NS6detail17trampoline_kernelINS0_13kernel_configILj256ELj4ELj4294967295EEENS1_37radix_sort_block_sort_config_selectorIjNS0_10empty_typeEEEZNS1_21radix_sort_block_sortIS4_Lb0EPjS9_PS6_SA_NS0_19identity_decomposerEEE10hipError_tT1_T2_T3_T4_jRjT5_jjP12ihipStream_tbEUlT_E_NS1_11comp_targetILNS1_3genE9ELNS1_11target_archE1100ELNS1_3gpuE3ELNS1_3repE0EEENS1_44radix_sort_block_sort_config_static_selectorELNS0_4arch9wavefront6targetE1EEEvSD_,comdat
.Lfunc_end675:
	.size	_ZN7rocprim17ROCPRIM_400000_NS6detail17trampoline_kernelINS0_13kernel_configILj256ELj4ELj4294967295EEENS1_37radix_sort_block_sort_config_selectorIjNS0_10empty_typeEEEZNS1_21radix_sort_block_sortIS4_Lb0EPjS9_PS6_SA_NS0_19identity_decomposerEEE10hipError_tT1_T2_T3_T4_jRjT5_jjP12ihipStream_tbEUlT_E_NS1_11comp_targetILNS1_3genE9ELNS1_11target_archE1100ELNS1_3gpuE3ELNS1_3repE0EEENS1_44radix_sort_block_sort_config_static_selectorELNS0_4arch9wavefront6targetE1EEEvSD_, .Lfunc_end675-_ZN7rocprim17ROCPRIM_400000_NS6detail17trampoline_kernelINS0_13kernel_configILj256ELj4ELj4294967295EEENS1_37radix_sort_block_sort_config_selectorIjNS0_10empty_typeEEEZNS1_21radix_sort_block_sortIS4_Lb0EPjS9_PS6_SA_NS0_19identity_decomposerEEE10hipError_tT1_T2_T3_T4_jRjT5_jjP12ihipStream_tbEUlT_E_NS1_11comp_targetILNS1_3genE9ELNS1_11target_archE1100ELNS1_3gpuE3ELNS1_3repE0EEENS1_44radix_sort_block_sort_config_static_selectorELNS0_4arch9wavefront6targetE1EEEvSD_
                                        ; -- End function
	.section	.AMDGPU.csdata,"",@progbits
; Kernel info:
; codeLenInByte = 0
; NumSgprs: 4
; NumVgprs: 0
; NumAgprs: 0
; TotalNumVgprs: 0
; ScratchSize: 0
; MemoryBound: 0
; FloatMode: 240
; IeeeMode: 1
; LDSByteSize: 0 bytes/workgroup (compile time only)
; SGPRBlocks: 0
; VGPRBlocks: 0
; NumSGPRsForWavesPerEU: 4
; NumVGPRsForWavesPerEU: 1
; AccumOffset: 4
; Occupancy: 8
; WaveLimiterHint : 0
; COMPUTE_PGM_RSRC2:SCRATCH_EN: 0
; COMPUTE_PGM_RSRC2:USER_SGPR: 6
; COMPUTE_PGM_RSRC2:TRAP_HANDLER: 0
; COMPUTE_PGM_RSRC2:TGID_X_EN: 1
; COMPUTE_PGM_RSRC2:TGID_Y_EN: 0
; COMPUTE_PGM_RSRC2:TGID_Z_EN: 0
; COMPUTE_PGM_RSRC2:TIDIG_COMP_CNT: 0
; COMPUTE_PGM_RSRC3_GFX90A:ACCUM_OFFSET: 0
; COMPUTE_PGM_RSRC3_GFX90A:TG_SPLIT: 0
	.section	.text._ZN7rocprim17ROCPRIM_400000_NS6detail17trampoline_kernelINS0_13kernel_configILj256ELj4ELj4294967295EEENS1_37radix_sort_block_sort_config_selectorIjNS0_10empty_typeEEEZNS1_21radix_sort_block_sortIS4_Lb0EPjS9_PS6_SA_NS0_19identity_decomposerEEE10hipError_tT1_T2_T3_T4_jRjT5_jjP12ihipStream_tbEUlT_E_NS1_11comp_targetILNS1_3genE8ELNS1_11target_archE1030ELNS1_3gpuE2ELNS1_3repE0EEENS1_44radix_sort_block_sort_config_static_selectorELNS0_4arch9wavefront6targetE1EEEvSD_,"axG",@progbits,_ZN7rocprim17ROCPRIM_400000_NS6detail17trampoline_kernelINS0_13kernel_configILj256ELj4ELj4294967295EEENS1_37radix_sort_block_sort_config_selectorIjNS0_10empty_typeEEEZNS1_21radix_sort_block_sortIS4_Lb0EPjS9_PS6_SA_NS0_19identity_decomposerEEE10hipError_tT1_T2_T3_T4_jRjT5_jjP12ihipStream_tbEUlT_E_NS1_11comp_targetILNS1_3genE8ELNS1_11target_archE1030ELNS1_3gpuE2ELNS1_3repE0EEENS1_44radix_sort_block_sort_config_static_selectorELNS0_4arch9wavefront6targetE1EEEvSD_,comdat
	.protected	_ZN7rocprim17ROCPRIM_400000_NS6detail17trampoline_kernelINS0_13kernel_configILj256ELj4ELj4294967295EEENS1_37radix_sort_block_sort_config_selectorIjNS0_10empty_typeEEEZNS1_21radix_sort_block_sortIS4_Lb0EPjS9_PS6_SA_NS0_19identity_decomposerEEE10hipError_tT1_T2_T3_T4_jRjT5_jjP12ihipStream_tbEUlT_E_NS1_11comp_targetILNS1_3genE8ELNS1_11target_archE1030ELNS1_3gpuE2ELNS1_3repE0EEENS1_44radix_sort_block_sort_config_static_selectorELNS0_4arch9wavefront6targetE1EEEvSD_ ; -- Begin function _ZN7rocprim17ROCPRIM_400000_NS6detail17trampoline_kernelINS0_13kernel_configILj256ELj4ELj4294967295EEENS1_37radix_sort_block_sort_config_selectorIjNS0_10empty_typeEEEZNS1_21radix_sort_block_sortIS4_Lb0EPjS9_PS6_SA_NS0_19identity_decomposerEEE10hipError_tT1_T2_T3_T4_jRjT5_jjP12ihipStream_tbEUlT_E_NS1_11comp_targetILNS1_3genE8ELNS1_11target_archE1030ELNS1_3gpuE2ELNS1_3repE0EEENS1_44radix_sort_block_sort_config_static_selectorELNS0_4arch9wavefront6targetE1EEEvSD_
	.globl	_ZN7rocprim17ROCPRIM_400000_NS6detail17trampoline_kernelINS0_13kernel_configILj256ELj4ELj4294967295EEENS1_37radix_sort_block_sort_config_selectorIjNS0_10empty_typeEEEZNS1_21radix_sort_block_sortIS4_Lb0EPjS9_PS6_SA_NS0_19identity_decomposerEEE10hipError_tT1_T2_T3_T4_jRjT5_jjP12ihipStream_tbEUlT_E_NS1_11comp_targetILNS1_3genE8ELNS1_11target_archE1030ELNS1_3gpuE2ELNS1_3repE0EEENS1_44radix_sort_block_sort_config_static_selectorELNS0_4arch9wavefront6targetE1EEEvSD_
	.p2align	8
	.type	_ZN7rocprim17ROCPRIM_400000_NS6detail17trampoline_kernelINS0_13kernel_configILj256ELj4ELj4294967295EEENS1_37radix_sort_block_sort_config_selectorIjNS0_10empty_typeEEEZNS1_21radix_sort_block_sortIS4_Lb0EPjS9_PS6_SA_NS0_19identity_decomposerEEE10hipError_tT1_T2_T3_T4_jRjT5_jjP12ihipStream_tbEUlT_E_NS1_11comp_targetILNS1_3genE8ELNS1_11target_archE1030ELNS1_3gpuE2ELNS1_3repE0EEENS1_44radix_sort_block_sort_config_static_selectorELNS0_4arch9wavefront6targetE1EEEvSD_,@function
_ZN7rocprim17ROCPRIM_400000_NS6detail17trampoline_kernelINS0_13kernel_configILj256ELj4ELj4294967295EEENS1_37radix_sort_block_sort_config_selectorIjNS0_10empty_typeEEEZNS1_21radix_sort_block_sortIS4_Lb0EPjS9_PS6_SA_NS0_19identity_decomposerEEE10hipError_tT1_T2_T3_T4_jRjT5_jjP12ihipStream_tbEUlT_E_NS1_11comp_targetILNS1_3genE8ELNS1_11target_archE1030ELNS1_3gpuE2ELNS1_3repE0EEENS1_44radix_sort_block_sort_config_static_selectorELNS0_4arch9wavefront6targetE1EEEvSD_: ; @_ZN7rocprim17ROCPRIM_400000_NS6detail17trampoline_kernelINS0_13kernel_configILj256ELj4ELj4294967295EEENS1_37radix_sort_block_sort_config_selectorIjNS0_10empty_typeEEEZNS1_21radix_sort_block_sortIS4_Lb0EPjS9_PS6_SA_NS0_19identity_decomposerEEE10hipError_tT1_T2_T3_T4_jRjT5_jjP12ihipStream_tbEUlT_E_NS1_11comp_targetILNS1_3genE8ELNS1_11target_archE1030ELNS1_3gpuE2ELNS1_3repE0EEENS1_44radix_sort_block_sort_config_static_selectorELNS0_4arch9wavefront6targetE1EEEvSD_
; %bb.0:
	.section	.rodata,"a",@progbits
	.p2align	6, 0x0
	.amdhsa_kernel _ZN7rocprim17ROCPRIM_400000_NS6detail17trampoline_kernelINS0_13kernel_configILj256ELj4ELj4294967295EEENS1_37radix_sort_block_sort_config_selectorIjNS0_10empty_typeEEEZNS1_21radix_sort_block_sortIS4_Lb0EPjS9_PS6_SA_NS0_19identity_decomposerEEE10hipError_tT1_T2_T3_T4_jRjT5_jjP12ihipStream_tbEUlT_E_NS1_11comp_targetILNS1_3genE8ELNS1_11target_archE1030ELNS1_3gpuE2ELNS1_3repE0EEENS1_44radix_sort_block_sort_config_static_selectorELNS0_4arch9wavefront6targetE1EEEvSD_
		.amdhsa_group_segment_fixed_size 0
		.amdhsa_private_segment_fixed_size 0
		.amdhsa_kernarg_size 48
		.amdhsa_user_sgpr_count 6
		.amdhsa_user_sgpr_private_segment_buffer 1
		.amdhsa_user_sgpr_dispatch_ptr 0
		.amdhsa_user_sgpr_queue_ptr 0
		.amdhsa_user_sgpr_kernarg_segment_ptr 1
		.amdhsa_user_sgpr_dispatch_id 0
		.amdhsa_user_sgpr_flat_scratch_init 0
		.amdhsa_user_sgpr_kernarg_preload_length 0
		.amdhsa_user_sgpr_kernarg_preload_offset 0
		.amdhsa_user_sgpr_private_segment_size 0
		.amdhsa_uses_dynamic_stack 0
		.amdhsa_system_sgpr_private_segment_wavefront_offset 0
		.amdhsa_system_sgpr_workgroup_id_x 1
		.amdhsa_system_sgpr_workgroup_id_y 0
		.amdhsa_system_sgpr_workgroup_id_z 0
		.amdhsa_system_sgpr_workgroup_info 0
		.amdhsa_system_vgpr_workitem_id 0
		.amdhsa_next_free_vgpr 1
		.amdhsa_next_free_sgpr 0
		.amdhsa_accum_offset 4
		.amdhsa_reserve_vcc 0
		.amdhsa_reserve_flat_scratch 0
		.amdhsa_float_round_mode_32 0
		.amdhsa_float_round_mode_16_64 0
		.amdhsa_float_denorm_mode_32 3
		.amdhsa_float_denorm_mode_16_64 3
		.amdhsa_dx10_clamp 1
		.amdhsa_ieee_mode 1
		.amdhsa_fp16_overflow 0
		.amdhsa_tg_split 0
		.amdhsa_exception_fp_ieee_invalid_op 0
		.amdhsa_exception_fp_denorm_src 0
		.amdhsa_exception_fp_ieee_div_zero 0
		.amdhsa_exception_fp_ieee_overflow 0
		.amdhsa_exception_fp_ieee_underflow 0
		.amdhsa_exception_fp_ieee_inexact 0
		.amdhsa_exception_int_div_zero 0
	.end_amdhsa_kernel
	.section	.text._ZN7rocprim17ROCPRIM_400000_NS6detail17trampoline_kernelINS0_13kernel_configILj256ELj4ELj4294967295EEENS1_37radix_sort_block_sort_config_selectorIjNS0_10empty_typeEEEZNS1_21radix_sort_block_sortIS4_Lb0EPjS9_PS6_SA_NS0_19identity_decomposerEEE10hipError_tT1_T2_T3_T4_jRjT5_jjP12ihipStream_tbEUlT_E_NS1_11comp_targetILNS1_3genE8ELNS1_11target_archE1030ELNS1_3gpuE2ELNS1_3repE0EEENS1_44radix_sort_block_sort_config_static_selectorELNS0_4arch9wavefront6targetE1EEEvSD_,"axG",@progbits,_ZN7rocprim17ROCPRIM_400000_NS6detail17trampoline_kernelINS0_13kernel_configILj256ELj4ELj4294967295EEENS1_37radix_sort_block_sort_config_selectorIjNS0_10empty_typeEEEZNS1_21radix_sort_block_sortIS4_Lb0EPjS9_PS6_SA_NS0_19identity_decomposerEEE10hipError_tT1_T2_T3_T4_jRjT5_jjP12ihipStream_tbEUlT_E_NS1_11comp_targetILNS1_3genE8ELNS1_11target_archE1030ELNS1_3gpuE2ELNS1_3repE0EEENS1_44radix_sort_block_sort_config_static_selectorELNS0_4arch9wavefront6targetE1EEEvSD_,comdat
.Lfunc_end676:
	.size	_ZN7rocprim17ROCPRIM_400000_NS6detail17trampoline_kernelINS0_13kernel_configILj256ELj4ELj4294967295EEENS1_37radix_sort_block_sort_config_selectorIjNS0_10empty_typeEEEZNS1_21radix_sort_block_sortIS4_Lb0EPjS9_PS6_SA_NS0_19identity_decomposerEEE10hipError_tT1_T2_T3_T4_jRjT5_jjP12ihipStream_tbEUlT_E_NS1_11comp_targetILNS1_3genE8ELNS1_11target_archE1030ELNS1_3gpuE2ELNS1_3repE0EEENS1_44radix_sort_block_sort_config_static_selectorELNS0_4arch9wavefront6targetE1EEEvSD_, .Lfunc_end676-_ZN7rocprim17ROCPRIM_400000_NS6detail17trampoline_kernelINS0_13kernel_configILj256ELj4ELj4294967295EEENS1_37radix_sort_block_sort_config_selectorIjNS0_10empty_typeEEEZNS1_21radix_sort_block_sortIS4_Lb0EPjS9_PS6_SA_NS0_19identity_decomposerEEE10hipError_tT1_T2_T3_T4_jRjT5_jjP12ihipStream_tbEUlT_E_NS1_11comp_targetILNS1_3genE8ELNS1_11target_archE1030ELNS1_3gpuE2ELNS1_3repE0EEENS1_44radix_sort_block_sort_config_static_selectorELNS0_4arch9wavefront6targetE1EEEvSD_
                                        ; -- End function
	.section	.AMDGPU.csdata,"",@progbits
; Kernel info:
; codeLenInByte = 0
; NumSgprs: 4
; NumVgprs: 0
; NumAgprs: 0
; TotalNumVgprs: 0
; ScratchSize: 0
; MemoryBound: 0
; FloatMode: 240
; IeeeMode: 1
; LDSByteSize: 0 bytes/workgroup (compile time only)
; SGPRBlocks: 0
; VGPRBlocks: 0
; NumSGPRsForWavesPerEU: 4
; NumVGPRsForWavesPerEU: 1
; AccumOffset: 4
; Occupancy: 8
; WaveLimiterHint : 0
; COMPUTE_PGM_RSRC2:SCRATCH_EN: 0
; COMPUTE_PGM_RSRC2:USER_SGPR: 6
; COMPUTE_PGM_RSRC2:TRAP_HANDLER: 0
; COMPUTE_PGM_RSRC2:TGID_X_EN: 1
; COMPUTE_PGM_RSRC2:TGID_Y_EN: 0
; COMPUTE_PGM_RSRC2:TGID_Z_EN: 0
; COMPUTE_PGM_RSRC2:TIDIG_COMP_CNT: 0
; COMPUTE_PGM_RSRC3_GFX90A:ACCUM_OFFSET: 0
; COMPUTE_PGM_RSRC3_GFX90A:TG_SPLIT: 0
	.section	.text._ZN7rocprim17ROCPRIM_400000_NS6detail44device_merge_sort_compile_time_verifier_archINS1_11comp_targetILNS1_3genE0ELNS1_11target_archE4294967295ELNS1_3gpuE0ELNS1_3repE0EEES8_NS1_28merge_sort_block_sort_configILj256ELj4ELNS0_20block_sort_algorithmE0EEENS0_14default_configENS1_37merge_sort_block_sort_config_selectorIjNS0_10empty_typeEEENS1_38merge_sort_block_merge_config_selectorIjSE_EEEEvv,"axG",@progbits,_ZN7rocprim17ROCPRIM_400000_NS6detail44device_merge_sort_compile_time_verifier_archINS1_11comp_targetILNS1_3genE0ELNS1_11target_archE4294967295ELNS1_3gpuE0ELNS1_3repE0EEES8_NS1_28merge_sort_block_sort_configILj256ELj4ELNS0_20block_sort_algorithmE0EEENS0_14default_configENS1_37merge_sort_block_sort_config_selectorIjNS0_10empty_typeEEENS1_38merge_sort_block_merge_config_selectorIjSE_EEEEvv,comdat
	.protected	_ZN7rocprim17ROCPRIM_400000_NS6detail44device_merge_sort_compile_time_verifier_archINS1_11comp_targetILNS1_3genE0ELNS1_11target_archE4294967295ELNS1_3gpuE0ELNS1_3repE0EEES8_NS1_28merge_sort_block_sort_configILj256ELj4ELNS0_20block_sort_algorithmE0EEENS0_14default_configENS1_37merge_sort_block_sort_config_selectorIjNS0_10empty_typeEEENS1_38merge_sort_block_merge_config_selectorIjSE_EEEEvv ; -- Begin function _ZN7rocprim17ROCPRIM_400000_NS6detail44device_merge_sort_compile_time_verifier_archINS1_11comp_targetILNS1_3genE0ELNS1_11target_archE4294967295ELNS1_3gpuE0ELNS1_3repE0EEES8_NS1_28merge_sort_block_sort_configILj256ELj4ELNS0_20block_sort_algorithmE0EEENS0_14default_configENS1_37merge_sort_block_sort_config_selectorIjNS0_10empty_typeEEENS1_38merge_sort_block_merge_config_selectorIjSE_EEEEvv
	.globl	_ZN7rocprim17ROCPRIM_400000_NS6detail44device_merge_sort_compile_time_verifier_archINS1_11comp_targetILNS1_3genE0ELNS1_11target_archE4294967295ELNS1_3gpuE0ELNS1_3repE0EEES8_NS1_28merge_sort_block_sort_configILj256ELj4ELNS0_20block_sort_algorithmE0EEENS0_14default_configENS1_37merge_sort_block_sort_config_selectorIjNS0_10empty_typeEEENS1_38merge_sort_block_merge_config_selectorIjSE_EEEEvv
	.p2align	8
	.type	_ZN7rocprim17ROCPRIM_400000_NS6detail44device_merge_sort_compile_time_verifier_archINS1_11comp_targetILNS1_3genE0ELNS1_11target_archE4294967295ELNS1_3gpuE0ELNS1_3repE0EEES8_NS1_28merge_sort_block_sort_configILj256ELj4ELNS0_20block_sort_algorithmE0EEENS0_14default_configENS1_37merge_sort_block_sort_config_selectorIjNS0_10empty_typeEEENS1_38merge_sort_block_merge_config_selectorIjSE_EEEEvv,@function
_ZN7rocprim17ROCPRIM_400000_NS6detail44device_merge_sort_compile_time_verifier_archINS1_11comp_targetILNS1_3genE0ELNS1_11target_archE4294967295ELNS1_3gpuE0ELNS1_3repE0EEES8_NS1_28merge_sort_block_sort_configILj256ELj4ELNS0_20block_sort_algorithmE0EEENS0_14default_configENS1_37merge_sort_block_sort_config_selectorIjNS0_10empty_typeEEENS1_38merge_sort_block_merge_config_selectorIjSE_EEEEvv: ; @_ZN7rocprim17ROCPRIM_400000_NS6detail44device_merge_sort_compile_time_verifier_archINS1_11comp_targetILNS1_3genE0ELNS1_11target_archE4294967295ELNS1_3gpuE0ELNS1_3repE0EEES8_NS1_28merge_sort_block_sort_configILj256ELj4ELNS0_20block_sort_algorithmE0EEENS0_14default_configENS1_37merge_sort_block_sort_config_selectorIjNS0_10empty_typeEEENS1_38merge_sort_block_merge_config_selectorIjSE_EEEEvv
; %bb.0:
	s_endpgm
	.section	.rodata,"a",@progbits
	.p2align	6, 0x0
	.amdhsa_kernel _ZN7rocprim17ROCPRIM_400000_NS6detail44device_merge_sort_compile_time_verifier_archINS1_11comp_targetILNS1_3genE0ELNS1_11target_archE4294967295ELNS1_3gpuE0ELNS1_3repE0EEES8_NS1_28merge_sort_block_sort_configILj256ELj4ELNS0_20block_sort_algorithmE0EEENS0_14default_configENS1_37merge_sort_block_sort_config_selectorIjNS0_10empty_typeEEENS1_38merge_sort_block_merge_config_selectorIjSE_EEEEvv
		.amdhsa_group_segment_fixed_size 0
		.amdhsa_private_segment_fixed_size 0
		.amdhsa_kernarg_size 0
		.amdhsa_user_sgpr_count 4
		.amdhsa_user_sgpr_private_segment_buffer 1
		.amdhsa_user_sgpr_dispatch_ptr 0
		.amdhsa_user_sgpr_queue_ptr 0
		.amdhsa_user_sgpr_kernarg_segment_ptr 0
		.amdhsa_user_sgpr_dispatch_id 0
		.amdhsa_user_sgpr_flat_scratch_init 0
		.amdhsa_user_sgpr_kernarg_preload_length 0
		.amdhsa_user_sgpr_kernarg_preload_offset 0
		.amdhsa_user_sgpr_private_segment_size 0
		.amdhsa_uses_dynamic_stack 0
		.amdhsa_system_sgpr_private_segment_wavefront_offset 0
		.amdhsa_system_sgpr_workgroup_id_x 1
		.amdhsa_system_sgpr_workgroup_id_y 0
		.amdhsa_system_sgpr_workgroup_id_z 0
		.amdhsa_system_sgpr_workgroup_info 0
		.amdhsa_system_vgpr_workitem_id 0
		.amdhsa_next_free_vgpr 1
		.amdhsa_next_free_sgpr 0
		.amdhsa_accum_offset 4
		.amdhsa_reserve_vcc 0
		.amdhsa_reserve_flat_scratch 0
		.amdhsa_float_round_mode_32 0
		.amdhsa_float_round_mode_16_64 0
		.amdhsa_float_denorm_mode_32 3
		.amdhsa_float_denorm_mode_16_64 3
		.amdhsa_dx10_clamp 1
		.amdhsa_ieee_mode 1
		.amdhsa_fp16_overflow 0
		.amdhsa_tg_split 0
		.amdhsa_exception_fp_ieee_invalid_op 0
		.amdhsa_exception_fp_denorm_src 0
		.amdhsa_exception_fp_ieee_div_zero 0
		.amdhsa_exception_fp_ieee_overflow 0
		.amdhsa_exception_fp_ieee_underflow 0
		.amdhsa_exception_fp_ieee_inexact 0
		.amdhsa_exception_int_div_zero 0
	.end_amdhsa_kernel
	.section	.text._ZN7rocprim17ROCPRIM_400000_NS6detail44device_merge_sort_compile_time_verifier_archINS1_11comp_targetILNS1_3genE0ELNS1_11target_archE4294967295ELNS1_3gpuE0ELNS1_3repE0EEES8_NS1_28merge_sort_block_sort_configILj256ELj4ELNS0_20block_sort_algorithmE0EEENS0_14default_configENS1_37merge_sort_block_sort_config_selectorIjNS0_10empty_typeEEENS1_38merge_sort_block_merge_config_selectorIjSE_EEEEvv,"axG",@progbits,_ZN7rocprim17ROCPRIM_400000_NS6detail44device_merge_sort_compile_time_verifier_archINS1_11comp_targetILNS1_3genE0ELNS1_11target_archE4294967295ELNS1_3gpuE0ELNS1_3repE0EEES8_NS1_28merge_sort_block_sort_configILj256ELj4ELNS0_20block_sort_algorithmE0EEENS0_14default_configENS1_37merge_sort_block_sort_config_selectorIjNS0_10empty_typeEEENS1_38merge_sort_block_merge_config_selectorIjSE_EEEEvv,comdat
.Lfunc_end677:
	.size	_ZN7rocprim17ROCPRIM_400000_NS6detail44device_merge_sort_compile_time_verifier_archINS1_11comp_targetILNS1_3genE0ELNS1_11target_archE4294967295ELNS1_3gpuE0ELNS1_3repE0EEES8_NS1_28merge_sort_block_sort_configILj256ELj4ELNS0_20block_sort_algorithmE0EEENS0_14default_configENS1_37merge_sort_block_sort_config_selectorIjNS0_10empty_typeEEENS1_38merge_sort_block_merge_config_selectorIjSE_EEEEvv, .Lfunc_end677-_ZN7rocprim17ROCPRIM_400000_NS6detail44device_merge_sort_compile_time_verifier_archINS1_11comp_targetILNS1_3genE0ELNS1_11target_archE4294967295ELNS1_3gpuE0ELNS1_3repE0EEES8_NS1_28merge_sort_block_sort_configILj256ELj4ELNS0_20block_sort_algorithmE0EEENS0_14default_configENS1_37merge_sort_block_sort_config_selectorIjNS0_10empty_typeEEENS1_38merge_sort_block_merge_config_selectorIjSE_EEEEvv
                                        ; -- End function
	.section	.AMDGPU.csdata,"",@progbits
; Kernel info:
; codeLenInByte = 4
; NumSgprs: 4
; NumVgprs: 0
; NumAgprs: 0
; TotalNumVgprs: 0
; ScratchSize: 0
; MemoryBound: 0
; FloatMode: 240
; IeeeMode: 1
; LDSByteSize: 0 bytes/workgroup (compile time only)
; SGPRBlocks: 0
; VGPRBlocks: 0
; NumSGPRsForWavesPerEU: 4
; NumVGPRsForWavesPerEU: 1
; AccumOffset: 4
; Occupancy: 8
; WaveLimiterHint : 0
; COMPUTE_PGM_RSRC2:SCRATCH_EN: 0
; COMPUTE_PGM_RSRC2:USER_SGPR: 4
; COMPUTE_PGM_RSRC2:TRAP_HANDLER: 0
; COMPUTE_PGM_RSRC2:TGID_X_EN: 1
; COMPUTE_PGM_RSRC2:TGID_Y_EN: 0
; COMPUTE_PGM_RSRC2:TGID_Z_EN: 0
; COMPUTE_PGM_RSRC2:TIDIG_COMP_CNT: 0
; COMPUTE_PGM_RSRC3_GFX90A:ACCUM_OFFSET: 0
; COMPUTE_PGM_RSRC3_GFX90A:TG_SPLIT: 0
	.section	.text._ZN7rocprim17ROCPRIM_400000_NS6detail44device_merge_sort_compile_time_verifier_archINS1_11comp_targetILNS1_3genE5ELNS1_11target_archE942ELNS1_3gpuE9ELNS1_3repE0EEES8_NS1_28merge_sort_block_sort_configILj256ELj4ELNS0_20block_sort_algorithmE0EEENS0_14default_configENS1_37merge_sort_block_sort_config_selectorIjNS0_10empty_typeEEENS1_38merge_sort_block_merge_config_selectorIjSE_EEEEvv,"axG",@progbits,_ZN7rocprim17ROCPRIM_400000_NS6detail44device_merge_sort_compile_time_verifier_archINS1_11comp_targetILNS1_3genE5ELNS1_11target_archE942ELNS1_3gpuE9ELNS1_3repE0EEES8_NS1_28merge_sort_block_sort_configILj256ELj4ELNS0_20block_sort_algorithmE0EEENS0_14default_configENS1_37merge_sort_block_sort_config_selectorIjNS0_10empty_typeEEENS1_38merge_sort_block_merge_config_selectorIjSE_EEEEvv,comdat
	.protected	_ZN7rocprim17ROCPRIM_400000_NS6detail44device_merge_sort_compile_time_verifier_archINS1_11comp_targetILNS1_3genE5ELNS1_11target_archE942ELNS1_3gpuE9ELNS1_3repE0EEES8_NS1_28merge_sort_block_sort_configILj256ELj4ELNS0_20block_sort_algorithmE0EEENS0_14default_configENS1_37merge_sort_block_sort_config_selectorIjNS0_10empty_typeEEENS1_38merge_sort_block_merge_config_selectorIjSE_EEEEvv ; -- Begin function _ZN7rocprim17ROCPRIM_400000_NS6detail44device_merge_sort_compile_time_verifier_archINS1_11comp_targetILNS1_3genE5ELNS1_11target_archE942ELNS1_3gpuE9ELNS1_3repE0EEES8_NS1_28merge_sort_block_sort_configILj256ELj4ELNS0_20block_sort_algorithmE0EEENS0_14default_configENS1_37merge_sort_block_sort_config_selectorIjNS0_10empty_typeEEENS1_38merge_sort_block_merge_config_selectorIjSE_EEEEvv
	.globl	_ZN7rocprim17ROCPRIM_400000_NS6detail44device_merge_sort_compile_time_verifier_archINS1_11comp_targetILNS1_3genE5ELNS1_11target_archE942ELNS1_3gpuE9ELNS1_3repE0EEES8_NS1_28merge_sort_block_sort_configILj256ELj4ELNS0_20block_sort_algorithmE0EEENS0_14default_configENS1_37merge_sort_block_sort_config_selectorIjNS0_10empty_typeEEENS1_38merge_sort_block_merge_config_selectorIjSE_EEEEvv
	.p2align	8
	.type	_ZN7rocprim17ROCPRIM_400000_NS6detail44device_merge_sort_compile_time_verifier_archINS1_11comp_targetILNS1_3genE5ELNS1_11target_archE942ELNS1_3gpuE9ELNS1_3repE0EEES8_NS1_28merge_sort_block_sort_configILj256ELj4ELNS0_20block_sort_algorithmE0EEENS0_14default_configENS1_37merge_sort_block_sort_config_selectorIjNS0_10empty_typeEEENS1_38merge_sort_block_merge_config_selectorIjSE_EEEEvv,@function
_ZN7rocprim17ROCPRIM_400000_NS6detail44device_merge_sort_compile_time_verifier_archINS1_11comp_targetILNS1_3genE5ELNS1_11target_archE942ELNS1_3gpuE9ELNS1_3repE0EEES8_NS1_28merge_sort_block_sort_configILj256ELj4ELNS0_20block_sort_algorithmE0EEENS0_14default_configENS1_37merge_sort_block_sort_config_selectorIjNS0_10empty_typeEEENS1_38merge_sort_block_merge_config_selectorIjSE_EEEEvv: ; @_ZN7rocprim17ROCPRIM_400000_NS6detail44device_merge_sort_compile_time_verifier_archINS1_11comp_targetILNS1_3genE5ELNS1_11target_archE942ELNS1_3gpuE9ELNS1_3repE0EEES8_NS1_28merge_sort_block_sort_configILj256ELj4ELNS0_20block_sort_algorithmE0EEENS0_14default_configENS1_37merge_sort_block_sort_config_selectorIjNS0_10empty_typeEEENS1_38merge_sort_block_merge_config_selectorIjSE_EEEEvv
; %bb.0:
	s_endpgm
	.section	.rodata,"a",@progbits
	.p2align	6, 0x0
	.amdhsa_kernel _ZN7rocprim17ROCPRIM_400000_NS6detail44device_merge_sort_compile_time_verifier_archINS1_11comp_targetILNS1_3genE5ELNS1_11target_archE942ELNS1_3gpuE9ELNS1_3repE0EEES8_NS1_28merge_sort_block_sort_configILj256ELj4ELNS0_20block_sort_algorithmE0EEENS0_14default_configENS1_37merge_sort_block_sort_config_selectorIjNS0_10empty_typeEEENS1_38merge_sort_block_merge_config_selectorIjSE_EEEEvv
		.amdhsa_group_segment_fixed_size 0
		.amdhsa_private_segment_fixed_size 0
		.amdhsa_kernarg_size 0
		.amdhsa_user_sgpr_count 4
		.amdhsa_user_sgpr_private_segment_buffer 1
		.amdhsa_user_sgpr_dispatch_ptr 0
		.amdhsa_user_sgpr_queue_ptr 0
		.amdhsa_user_sgpr_kernarg_segment_ptr 0
		.amdhsa_user_sgpr_dispatch_id 0
		.amdhsa_user_sgpr_flat_scratch_init 0
		.amdhsa_user_sgpr_kernarg_preload_length 0
		.amdhsa_user_sgpr_kernarg_preload_offset 0
		.amdhsa_user_sgpr_private_segment_size 0
		.amdhsa_uses_dynamic_stack 0
		.amdhsa_system_sgpr_private_segment_wavefront_offset 0
		.amdhsa_system_sgpr_workgroup_id_x 1
		.amdhsa_system_sgpr_workgroup_id_y 0
		.amdhsa_system_sgpr_workgroup_id_z 0
		.amdhsa_system_sgpr_workgroup_info 0
		.amdhsa_system_vgpr_workitem_id 0
		.amdhsa_next_free_vgpr 1
		.amdhsa_next_free_sgpr 0
		.amdhsa_accum_offset 4
		.amdhsa_reserve_vcc 0
		.amdhsa_reserve_flat_scratch 0
		.amdhsa_float_round_mode_32 0
		.amdhsa_float_round_mode_16_64 0
		.amdhsa_float_denorm_mode_32 3
		.amdhsa_float_denorm_mode_16_64 3
		.amdhsa_dx10_clamp 1
		.amdhsa_ieee_mode 1
		.amdhsa_fp16_overflow 0
		.amdhsa_tg_split 0
		.amdhsa_exception_fp_ieee_invalid_op 0
		.amdhsa_exception_fp_denorm_src 0
		.amdhsa_exception_fp_ieee_div_zero 0
		.amdhsa_exception_fp_ieee_overflow 0
		.amdhsa_exception_fp_ieee_underflow 0
		.amdhsa_exception_fp_ieee_inexact 0
		.amdhsa_exception_int_div_zero 0
	.end_amdhsa_kernel
	.section	.text._ZN7rocprim17ROCPRIM_400000_NS6detail44device_merge_sort_compile_time_verifier_archINS1_11comp_targetILNS1_3genE5ELNS1_11target_archE942ELNS1_3gpuE9ELNS1_3repE0EEES8_NS1_28merge_sort_block_sort_configILj256ELj4ELNS0_20block_sort_algorithmE0EEENS0_14default_configENS1_37merge_sort_block_sort_config_selectorIjNS0_10empty_typeEEENS1_38merge_sort_block_merge_config_selectorIjSE_EEEEvv,"axG",@progbits,_ZN7rocprim17ROCPRIM_400000_NS6detail44device_merge_sort_compile_time_verifier_archINS1_11comp_targetILNS1_3genE5ELNS1_11target_archE942ELNS1_3gpuE9ELNS1_3repE0EEES8_NS1_28merge_sort_block_sort_configILj256ELj4ELNS0_20block_sort_algorithmE0EEENS0_14default_configENS1_37merge_sort_block_sort_config_selectorIjNS0_10empty_typeEEENS1_38merge_sort_block_merge_config_selectorIjSE_EEEEvv,comdat
.Lfunc_end678:
	.size	_ZN7rocprim17ROCPRIM_400000_NS6detail44device_merge_sort_compile_time_verifier_archINS1_11comp_targetILNS1_3genE5ELNS1_11target_archE942ELNS1_3gpuE9ELNS1_3repE0EEES8_NS1_28merge_sort_block_sort_configILj256ELj4ELNS0_20block_sort_algorithmE0EEENS0_14default_configENS1_37merge_sort_block_sort_config_selectorIjNS0_10empty_typeEEENS1_38merge_sort_block_merge_config_selectorIjSE_EEEEvv, .Lfunc_end678-_ZN7rocprim17ROCPRIM_400000_NS6detail44device_merge_sort_compile_time_verifier_archINS1_11comp_targetILNS1_3genE5ELNS1_11target_archE942ELNS1_3gpuE9ELNS1_3repE0EEES8_NS1_28merge_sort_block_sort_configILj256ELj4ELNS0_20block_sort_algorithmE0EEENS0_14default_configENS1_37merge_sort_block_sort_config_selectorIjNS0_10empty_typeEEENS1_38merge_sort_block_merge_config_selectorIjSE_EEEEvv
                                        ; -- End function
	.section	.AMDGPU.csdata,"",@progbits
; Kernel info:
; codeLenInByte = 4
; NumSgprs: 4
; NumVgprs: 0
; NumAgprs: 0
; TotalNumVgprs: 0
; ScratchSize: 0
; MemoryBound: 0
; FloatMode: 240
; IeeeMode: 1
; LDSByteSize: 0 bytes/workgroup (compile time only)
; SGPRBlocks: 0
; VGPRBlocks: 0
; NumSGPRsForWavesPerEU: 4
; NumVGPRsForWavesPerEU: 1
; AccumOffset: 4
; Occupancy: 8
; WaveLimiterHint : 0
; COMPUTE_PGM_RSRC2:SCRATCH_EN: 0
; COMPUTE_PGM_RSRC2:USER_SGPR: 4
; COMPUTE_PGM_RSRC2:TRAP_HANDLER: 0
; COMPUTE_PGM_RSRC2:TGID_X_EN: 1
; COMPUTE_PGM_RSRC2:TGID_Y_EN: 0
; COMPUTE_PGM_RSRC2:TGID_Z_EN: 0
; COMPUTE_PGM_RSRC2:TIDIG_COMP_CNT: 0
; COMPUTE_PGM_RSRC3_GFX90A:ACCUM_OFFSET: 0
; COMPUTE_PGM_RSRC3_GFX90A:TG_SPLIT: 0
	.section	.text._ZN7rocprim17ROCPRIM_400000_NS6detail44device_merge_sort_compile_time_verifier_archINS1_11comp_targetILNS1_3genE4ELNS1_11target_archE910ELNS1_3gpuE8ELNS1_3repE0EEES8_NS1_28merge_sort_block_sort_configILj256ELj4ELNS0_20block_sort_algorithmE0EEENS0_14default_configENS1_37merge_sort_block_sort_config_selectorIjNS0_10empty_typeEEENS1_38merge_sort_block_merge_config_selectorIjSE_EEEEvv,"axG",@progbits,_ZN7rocprim17ROCPRIM_400000_NS6detail44device_merge_sort_compile_time_verifier_archINS1_11comp_targetILNS1_3genE4ELNS1_11target_archE910ELNS1_3gpuE8ELNS1_3repE0EEES8_NS1_28merge_sort_block_sort_configILj256ELj4ELNS0_20block_sort_algorithmE0EEENS0_14default_configENS1_37merge_sort_block_sort_config_selectorIjNS0_10empty_typeEEENS1_38merge_sort_block_merge_config_selectorIjSE_EEEEvv,comdat
	.protected	_ZN7rocprim17ROCPRIM_400000_NS6detail44device_merge_sort_compile_time_verifier_archINS1_11comp_targetILNS1_3genE4ELNS1_11target_archE910ELNS1_3gpuE8ELNS1_3repE0EEES8_NS1_28merge_sort_block_sort_configILj256ELj4ELNS0_20block_sort_algorithmE0EEENS0_14default_configENS1_37merge_sort_block_sort_config_selectorIjNS0_10empty_typeEEENS1_38merge_sort_block_merge_config_selectorIjSE_EEEEvv ; -- Begin function _ZN7rocprim17ROCPRIM_400000_NS6detail44device_merge_sort_compile_time_verifier_archINS1_11comp_targetILNS1_3genE4ELNS1_11target_archE910ELNS1_3gpuE8ELNS1_3repE0EEES8_NS1_28merge_sort_block_sort_configILj256ELj4ELNS0_20block_sort_algorithmE0EEENS0_14default_configENS1_37merge_sort_block_sort_config_selectorIjNS0_10empty_typeEEENS1_38merge_sort_block_merge_config_selectorIjSE_EEEEvv
	.globl	_ZN7rocprim17ROCPRIM_400000_NS6detail44device_merge_sort_compile_time_verifier_archINS1_11comp_targetILNS1_3genE4ELNS1_11target_archE910ELNS1_3gpuE8ELNS1_3repE0EEES8_NS1_28merge_sort_block_sort_configILj256ELj4ELNS0_20block_sort_algorithmE0EEENS0_14default_configENS1_37merge_sort_block_sort_config_selectorIjNS0_10empty_typeEEENS1_38merge_sort_block_merge_config_selectorIjSE_EEEEvv
	.p2align	8
	.type	_ZN7rocprim17ROCPRIM_400000_NS6detail44device_merge_sort_compile_time_verifier_archINS1_11comp_targetILNS1_3genE4ELNS1_11target_archE910ELNS1_3gpuE8ELNS1_3repE0EEES8_NS1_28merge_sort_block_sort_configILj256ELj4ELNS0_20block_sort_algorithmE0EEENS0_14default_configENS1_37merge_sort_block_sort_config_selectorIjNS0_10empty_typeEEENS1_38merge_sort_block_merge_config_selectorIjSE_EEEEvv,@function
_ZN7rocprim17ROCPRIM_400000_NS6detail44device_merge_sort_compile_time_verifier_archINS1_11comp_targetILNS1_3genE4ELNS1_11target_archE910ELNS1_3gpuE8ELNS1_3repE0EEES8_NS1_28merge_sort_block_sort_configILj256ELj4ELNS0_20block_sort_algorithmE0EEENS0_14default_configENS1_37merge_sort_block_sort_config_selectorIjNS0_10empty_typeEEENS1_38merge_sort_block_merge_config_selectorIjSE_EEEEvv: ; @_ZN7rocprim17ROCPRIM_400000_NS6detail44device_merge_sort_compile_time_verifier_archINS1_11comp_targetILNS1_3genE4ELNS1_11target_archE910ELNS1_3gpuE8ELNS1_3repE0EEES8_NS1_28merge_sort_block_sort_configILj256ELj4ELNS0_20block_sort_algorithmE0EEENS0_14default_configENS1_37merge_sort_block_sort_config_selectorIjNS0_10empty_typeEEENS1_38merge_sort_block_merge_config_selectorIjSE_EEEEvv
; %bb.0:
	s_endpgm
	.section	.rodata,"a",@progbits
	.p2align	6, 0x0
	.amdhsa_kernel _ZN7rocprim17ROCPRIM_400000_NS6detail44device_merge_sort_compile_time_verifier_archINS1_11comp_targetILNS1_3genE4ELNS1_11target_archE910ELNS1_3gpuE8ELNS1_3repE0EEES8_NS1_28merge_sort_block_sort_configILj256ELj4ELNS0_20block_sort_algorithmE0EEENS0_14default_configENS1_37merge_sort_block_sort_config_selectorIjNS0_10empty_typeEEENS1_38merge_sort_block_merge_config_selectorIjSE_EEEEvv
		.amdhsa_group_segment_fixed_size 0
		.amdhsa_private_segment_fixed_size 0
		.amdhsa_kernarg_size 0
		.amdhsa_user_sgpr_count 4
		.amdhsa_user_sgpr_private_segment_buffer 1
		.amdhsa_user_sgpr_dispatch_ptr 0
		.amdhsa_user_sgpr_queue_ptr 0
		.amdhsa_user_sgpr_kernarg_segment_ptr 0
		.amdhsa_user_sgpr_dispatch_id 0
		.amdhsa_user_sgpr_flat_scratch_init 0
		.amdhsa_user_sgpr_kernarg_preload_length 0
		.amdhsa_user_sgpr_kernarg_preload_offset 0
		.amdhsa_user_sgpr_private_segment_size 0
		.amdhsa_uses_dynamic_stack 0
		.amdhsa_system_sgpr_private_segment_wavefront_offset 0
		.amdhsa_system_sgpr_workgroup_id_x 1
		.amdhsa_system_sgpr_workgroup_id_y 0
		.amdhsa_system_sgpr_workgroup_id_z 0
		.amdhsa_system_sgpr_workgroup_info 0
		.amdhsa_system_vgpr_workitem_id 0
		.amdhsa_next_free_vgpr 1
		.amdhsa_next_free_sgpr 0
		.amdhsa_accum_offset 4
		.amdhsa_reserve_vcc 0
		.amdhsa_reserve_flat_scratch 0
		.amdhsa_float_round_mode_32 0
		.amdhsa_float_round_mode_16_64 0
		.amdhsa_float_denorm_mode_32 3
		.amdhsa_float_denorm_mode_16_64 3
		.amdhsa_dx10_clamp 1
		.amdhsa_ieee_mode 1
		.amdhsa_fp16_overflow 0
		.amdhsa_tg_split 0
		.amdhsa_exception_fp_ieee_invalid_op 0
		.amdhsa_exception_fp_denorm_src 0
		.amdhsa_exception_fp_ieee_div_zero 0
		.amdhsa_exception_fp_ieee_overflow 0
		.amdhsa_exception_fp_ieee_underflow 0
		.amdhsa_exception_fp_ieee_inexact 0
		.amdhsa_exception_int_div_zero 0
	.end_amdhsa_kernel
	.section	.text._ZN7rocprim17ROCPRIM_400000_NS6detail44device_merge_sort_compile_time_verifier_archINS1_11comp_targetILNS1_3genE4ELNS1_11target_archE910ELNS1_3gpuE8ELNS1_3repE0EEES8_NS1_28merge_sort_block_sort_configILj256ELj4ELNS0_20block_sort_algorithmE0EEENS0_14default_configENS1_37merge_sort_block_sort_config_selectorIjNS0_10empty_typeEEENS1_38merge_sort_block_merge_config_selectorIjSE_EEEEvv,"axG",@progbits,_ZN7rocprim17ROCPRIM_400000_NS6detail44device_merge_sort_compile_time_verifier_archINS1_11comp_targetILNS1_3genE4ELNS1_11target_archE910ELNS1_3gpuE8ELNS1_3repE0EEES8_NS1_28merge_sort_block_sort_configILj256ELj4ELNS0_20block_sort_algorithmE0EEENS0_14default_configENS1_37merge_sort_block_sort_config_selectorIjNS0_10empty_typeEEENS1_38merge_sort_block_merge_config_selectorIjSE_EEEEvv,comdat
.Lfunc_end679:
	.size	_ZN7rocprim17ROCPRIM_400000_NS6detail44device_merge_sort_compile_time_verifier_archINS1_11comp_targetILNS1_3genE4ELNS1_11target_archE910ELNS1_3gpuE8ELNS1_3repE0EEES8_NS1_28merge_sort_block_sort_configILj256ELj4ELNS0_20block_sort_algorithmE0EEENS0_14default_configENS1_37merge_sort_block_sort_config_selectorIjNS0_10empty_typeEEENS1_38merge_sort_block_merge_config_selectorIjSE_EEEEvv, .Lfunc_end679-_ZN7rocprim17ROCPRIM_400000_NS6detail44device_merge_sort_compile_time_verifier_archINS1_11comp_targetILNS1_3genE4ELNS1_11target_archE910ELNS1_3gpuE8ELNS1_3repE0EEES8_NS1_28merge_sort_block_sort_configILj256ELj4ELNS0_20block_sort_algorithmE0EEENS0_14default_configENS1_37merge_sort_block_sort_config_selectorIjNS0_10empty_typeEEENS1_38merge_sort_block_merge_config_selectorIjSE_EEEEvv
                                        ; -- End function
	.section	.AMDGPU.csdata,"",@progbits
; Kernel info:
; codeLenInByte = 4
; NumSgprs: 4
; NumVgprs: 0
; NumAgprs: 0
; TotalNumVgprs: 0
; ScratchSize: 0
; MemoryBound: 0
; FloatMode: 240
; IeeeMode: 1
; LDSByteSize: 0 bytes/workgroup (compile time only)
; SGPRBlocks: 0
; VGPRBlocks: 0
; NumSGPRsForWavesPerEU: 4
; NumVGPRsForWavesPerEU: 1
; AccumOffset: 4
; Occupancy: 8
; WaveLimiterHint : 0
; COMPUTE_PGM_RSRC2:SCRATCH_EN: 0
; COMPUTE_PGM_RSRC2:USER_SGPR: 4
; COMPUTE_PGM_RSRC2:TRAP_HANDLER: 0
; COMPUTE_PGM_RSRC2:TGID_X_EN: 1
; COMPUTE_PGM_RSRC2:TGID_Y_EN: 0
; COMPUTE_PGM_RSRC2:TGID_Z_EN: 0
; COMPUTE_PGM_RSRC2:TIDIG_COMP_CNT: 0
; COMPUTE_PGM_RSRC3_GFX90A:ACCUM_OFFSET: 0
; COMPUTE_PGM_RSRC3_GFX90A:TG_SPLIT: 0
	.section	.text._ZN7rocprim17ROCPRIM_400000_NS6detail44device_merge_sort_compile_time_verifier_archINS1_11comp_targetILNS1_3genE3ELNS1_11target_archE908ELNS1_3gpuE7ELNS1_3repE0EEES8_NS1_28merge_sort_block_sort_configILj256ELj4ELNS0_20block_sort_algorithmE0EEENS0_14default_configENS1_37merge_sort_block_sort_config_selectorIjNS0_10empty_typeEEENS1_38merge_sort_block_merge_config_selectorIjSE_EEEEvv,"axG",@progbits,_ZN7rocprim17ROCPRIM_400000_NS6detail44device_merge_sort_compile_time_verifier_archINS1_11comp_targetILNS1_3genE3ELNS1_11target_archE908ELNS1_3gpuE7ELNS1_3repE0EEES8_NS1_28merge_sort_block_sort_configILj256ELj4ELNS0_20block_sort_algorithmE0EEENS0_14default_configENS1_37merge_sort_block_sort_config_selectorIjNS0_10empty_typeEEENS1_38merge_sort_block_merge_config_selectorIjSE_EEEEvv,comdat
	.protected	_ZN7rocprim17ROCPRIM_400000_NS6detail44device_merge_sort_compile_time_verifier_archINS1_11comp_targetILNS1_3genE3ELNS1_11target_archE908ELNS1_3gpuE7ELNS1_3repE0EEES8_NS1_28merge_sort_block_sort_configILj256ELj4ELNS0_20block_sort_algorithmE0EEENS0_14default_configENS1_37merge_sort_block_sort_config_selectorIjNS0_10empty_typeEEENS1_38merge_sort_block_merge_config_selectorIjSE_EEEEvv ; -- Begin function _ZN7rocprim17ROCPRIM_400000_NS6detail44device_merge_sort_compile_time_verifier_archINS1_11comp_targetILNS1_3genE3ELNS1_11target_archE908ELNS1_3gpuE7ELNS1_3repE0EEES8_NS1_28merge_sort_block_sort_configILj256ELj4ELNS0_20block_sort_algorithmE0EEENS0_14default_configENS1_37merge_sort_block_sort_config_selectorIjNS0_10empty_typeEEENS1_38merge_sort_block_merge_config_selectorIjSE_EEEEvv
	.globl	_ZN7rocprim17ROCPRIM_400000_NS6detail44device_merge_sort_compile_time_verifier_archINS1_11comp_targetILNS1_3genE3ELNS1_11target_archE908ELNS1_3gpuE7ELNS1_3repE0EEES8_NS1_28merge_sort_block_sort_configILj256ELj4ELNS0_20block_sort_algorithmE0EEENS0_14default_configENS1_37merge_sort_block_sort_config_selectorIjNS0_10empty_typeEEENS1_38merge_sort_block_merge_config_selectorIjSE_EEEEvv
	.p2align	8
	.type	_ZN7rocprim17ROCPRIM_400000_NS6detail44device_merge_sort_compile_time_verifier_archINS1_11comp_targetILNS1_3genE3ELNS1_11target_archE908ELNS1_3gpuE7ELNS1_3repE0EEES8_NS1_28merge_sort_block_sort_configILj256ELj4ELNS0_20block_sort_algorithmE0EEENS0_14default_configENS1_37merge_sort_block_sort_config_selectorIjNS0_10empty_typeEEENS1_38merge_sort_block_merge_config_selectorIjSE_EEEEvv,@function
_ZN7rocprim17ROCPRIM_400000_NS6detail44device_merge_sort_compile_time_verifier_archINS1_11comp_targetILNS1_3genE3ELNS1_11target_archE908ELNS1_3gpuE7ELNS1_3repE0EEES8_NS1_28merge_sort_block_sort_configILj256ELj4ELNS0_20block_sort_algorithmE0EEENS0_14default_configENS1_37merge_sort_block_sort_config_selectorIjNS0_10empty_typeEEENS1_38merge_sort_block_merge_config_selectorIjSE_EEEEvv: ; @_ZN7rocprim17ROCPRIM_400000_NS6detail44device_merge_sort_compile_time_verifier_archINS1_11comp_targetILNS1_3genE3ELNS1_11target_archE908ELNS1_3gpuE7ELNS1_3repE0EEES8_NS1_28merge_sort_block_sort_configILj256ELj4ELNS0_20block_sort_algorithmE0EEENS0_14default_configENS1_37merge_sort_block_sort_config_selectorIjNS0_10empty_typeEEENS1_38merge_sort_block_merge_config_selectorIjSE_EEEEvv
; %bb.0:
	s_endpgm
	.section	.rodata,"a",@progbits
	.p2align	6, 0x0
	.amdhsa_kernel _ZN7rocprim17ROCPRIM_400000_NS6detail44device_merge_sort_compile_time_verifier_archINS1_11comp_targetILNS1_3genE3ELNS1_11target_archE908ELNS1_3gpuE7ELNS1_3repE0EEES8_NS1_28merge_sort_block_sort_configILj256ELj4ELNS0_20block_sort_algorithmE0EEENS0_14default_configENS1_37merge_sort_block_sort_config_selectorIjNS0_10empty_typeEEENS1_38merge_sort_block_merge_config_selectorIjSE_EEEEvv
		.amdhsa_group_segment_fixed_size 0
		.amdhsa_private_segment_fixed_size 0
		.amdhsa_kernarg_size 0
		.amdhsa_user_sgpr_count 4
		.amdhsa_user_sgpr_private_segment_buffer 1
		.amdhsa_user_sgpr_dispatch_ptr 0
		.amdhsa_user_sgpr_queue_ptr 0
		.amdhsa_user_sgpr_kernarg_segment_ptr 0
		.amdhsa_user_sgpr_dispatch_id 0
		.amdhsa_user_sgpr_flat_scratch_init 0
		.amdhsa_user_sgpr_kernarg_preload_length 0
		.amdhsa_user_sgpr_kernarg_preload_offset 0
		.amdhsa_user_sgpr_private_segment_size 0
		.amdhsa_uses_dynamic_stack 0
		.amdhsa_system_sgpr_private_segment_wavefront_offset 0
		.amdhsa_system_sgpr_workgroup_id_x 1
		.amdhsa_system_sgpr_workgroup_id_y 0
		.amdhsa_system_sgpr_workgroup_id_z 0
		.amdhsa_system_sgpr_workgroup_info 0
		.amdhsa_system_vgpr_workitem_id 0
		.amdhsa_next_free_vgpr 1
		.amdhsa_next_free_sgpr 0
		.amdhsa_accum_offset 4
		.amdhsa_reserve_vcc 0
		.amdhsa_reserve_flat_scratch 0
		.amdhsa_float_round_mode_32 0
		.amdhsa_float_round_mode_16_64 0
		.amdhsa_float_denorm_mode_32 3
		.amdhsa_float_denorm_mode_16_64 3
		.amdhsa_dx10_clamp 1
		.amdhsa_ieee_mode 1
		.amdhsa_fp16_overflow 0
		.amdhsa_tg_split 0
		.amdhsa_exception_fp_ieee_invalid_op 0
		.amdhsa_exception_fp_denorm_src 0
		.amdhsa_exception_fp_ieee_div_zero 0
		.amdhsa_exception_fp_ieee_overflow 0
		.amdhsa_exception_fp_ieee_underflow 0
		.amdhsa_exception_fp_ieee_inexact 0
		.amdhsa_exception_int_div_zero 0
	.end_amdhsa_kernel
	.section	.text._ZN7rocprim17ROCPRIM_400000_NS6detail44device_merge_sort_compile_time_verifier_archINS1_11comp_targetILNS1_3genE3ELNS1_11target_archE908ELNS1_3gpuE7ELNS1_3repE0EEES8_NS1_28merge_sort_block_sort_configILj256ELj4ELNS0_20block_sort_algorithmE0EEENS0_14default_configENS1_37merge_sort_block_sort_config_selectorIjNS0_10empty_typeEEENS1_38merge_sort_block_merge_config_selectorIjSE_EEEEvv,"axG",@progbits,_ZN7rocprim17ROCPRIM_400000_NS6detail44device_merge_sort_compile_time_verifier_archINS1_11comp_targetILNS1_3genE3ELNS1_11target_archE908ELNS1_3gpuE7ELNS1_3repE0EEES8_NS1_28merge_sort_block_sort_configILj256ELj4ELNS0_20block_sort_algorithmE0EEENS0_14default_configENS1_37merge_sort_block_sort_config_selectorIjNS0_10empty_typeEEENS1_38merge_sort_block_merge_config_selectorIjSE_EEEEvv,comdat
.Lfunc_end680:
	.size	_ZN7rocprim17ROCPRIM_400000_NS6detail44device_merge_sort_compile_time_verifier_archINS1_11comp_targetILNS1_3genE3ELNS1_11target_archE908ELNS1_3gpuE7ELNS1_3repE0EEES8_NS1_28merge_sort_block_sort_configILj256ELj4ELNS0_20block_sort_algorithmE0EEENS0_14default_configENS1_37merge_sort_block_sort_config_selectorIjNS0_10empty_typeEEENS1_38merge_sort_block_merge_config_selectorIjSE_EEEEvv, .Lfunc_end680-_ZN7rocprim17ROCPRIM_400000_NS6detail44device_merge_sort_compile_time_verifier_archINS1_11comp_targetILNS1_3genE3ELNS1_11target_archE908ELNS1_3gpuE7ELNS1_3repE0EEES8_NS1_28merge_sort_block_sort_configILj256ELj4ELNS0_20block_sort_algorithmE0EEENS0_14default_configENS1_37merge_sort_block_sort_config_selectorIjNS0_10empty_typeEEENS1_38merge_sort_block_merge_config_selectorIjSE_EEEEvv
                                        ; -- End function
	.section	.AMDGPU.csdata,"",@progbits
; Kernel info:
; codeLenInByte = 4
; NumSgprs: 4
; NumVgprs: 0
; NumAgprs: 0
; TotalNumVgprs: 0
; ScratchSize: 0
; MemoryBound: 0
; FloatMode: 240
; IeeeMode: 1
; LDSByteSize: 0 bytes/workgroup (compile time only)
; SGPRBlocks: 0
; VGPRBlocks: 0
; NumSGPRsForWavesPerEU: 4
; NumVGPRsForWavesPerEU: 1
; AccumOffset: 4
; Occupancy: 8
; WaveLimiterHint : 0
; COMPUTE_PGM_RSRC2:SCRATCH_EN: 0
; COMPUTE_PGM_RSRC2:USER_SGPR: 4
; COMPUTE_PGM_RSRC2:TRAP_HANDLER: 0
; COMPUTE_PGM_RSRC2:TGID_X_EN: 1
; COMPUTE_PGM_RSRC2:TGID_Y_EN: 0
; COMPUTE_PGM_RSRC2:TGID_Z_EN: 0
; COMPUTE_PGM_RSRC2:TIDIG_COMP_CNT: 0
; COMPUTE_PGM_RSRC3_GFX90A:ACCUM_OFFSET: 0
; COMPUTE_PGM_RSRC3_GFX90A:TG_SPLIT: 0
	.section	.text._ZN7rocprim17ROCPRIM_400000_NS6detail44device_merge_sort_compile_time_verifier_archINS1_11comp_targetILNS1_3genE2ELNS1_11target_archE906ELNS1_3gpuE6ELNS1_3repE0EEES8_NS1_28merge_sort_block_sort_configILj256ELj4ELNS0_20block_sort_algorithmE0EEENS0_14default_configENS1_37merge_sort_block_sort_config_selectorIjNS0_10empty_typeEEENS1_38merge_sort_block_merge_config_selectorIjSE_EEEEvv,"axG",@progbits,_ZN7rocprim17ROCPRIM_400000_NS6detail44device_merge_sort_compile_time_verifier_archINS1_11comp_targetILNS1_3genE2ELNS1_11target_archE906ELNS1_3gpuE6ELNS1_3repE0EEES8_NS1_28merge_sort_block_sort_configILj256ELj4ELNS0_20block_sort_algorithmE0EEENS0_14default_configENS1_37merge_sort_block_sort_config_selectorIjNS0_10empty_typeEEENS1_38merge_sort_block_merge_config_selectorIjSE_EEEEvv,comdat
	.protected	_ZN7rocprim17ROCPRIM_400000_NS6detail44device_merge_sort_compile_time_verifier_archINS1_11comp_targetILNS1_3genE2ELNS1_11target_archE906ELNS1_3gpuE6ELNS1_3repE0EEES8_NS1_28merge_sort_block_sort_configILj256ELj4ELNS0_20block_sort_algorithmE0EEENS0_14default_configENS1_37merge_sort_block_sort_config_selectorIjNS0_10empty_typeEEENS1_38merge_sort_block_merge_config_selectorIjSE_EEEEvv ; -- Begin function _ZN7rocprim17ROCPRIM_400000_NS6detail44device_merge_sort_compile_time_verifier_archINS1_11comp_targetILNS1_3genE2ELNS1_11target_archE906ELNS1_3gpuE6ELNS1_3repE0EEES8_NS1_28merge_sort_block_sort_configILj256ELj4ELNS0_20block_sort_algorithmE0EEENS0_14default_configENS1_37merge_sort_block_sort_config_selectorIjNS0_10empty_typeEEENS1_38merge_sort_block_merge_config_selectorIjSE_EEEEvv
	.globl	_ZN7rocprim17ROCPRIM_400000_NS6detail44device_merge_sort_compile_time_verifier_archINS1_11comp_targetILNS1_3genE2ELNS1_11target_archE906ELNS1_3gpuE6ELNS1_3repE0EEES8_NS1_28merge_sort_block_sort_configILj256ELj4ELNS0_20block_sort_algorithmE0EEENS0_14default_configENS1_37merge_sort_block_sort_config_selectorIjNS0_10empty_typeEEENS1_38merge_sort_block_merge_config_selectorIjSE_EEEEvv
	.p2align	8
	.type	_ZN7rocprim17ROCPRIM_400000_NS6detail44device_merge_sort_compile_time_verifier_archINS1_11comp_targetILNS1_3genE2ELNS1_11target_archE906ELNS1_3gpuE6ELNS1_3repE0EEES8_NS1_28merge_sort_block_sort_configILj256ELj4ELNS0_20block_sort_algorithmE0EEENS0_14default_configENS1_37merge_sort_block_sort_config_selectorIjNS0_10empty_typeEEENS1_38merge_sort_block_merge_config_selectorIjSE_EEEEvv,@function
_ZN7rocprim17ROCPRIM_400000_NS6detail44device_merge_sort_compile_time_verifier_archINS1_11comp_targetILNS1_3genE2ELNS1_11target_archE906ELNS1_3gpuE6ELNS1_3repE0EEES8_NS1_28merge_sort_block_sort_configILj256ELj4ELNS0_20block_sort_algorithmE0EEENS0_14default_configENS1_37merge_sort_block_sort_config_selectorIjNS0_10empty_typeEEENS1_38merge_sort_block_merge_config_selectorIjSE_EEEEvv: ; @_ZN7rocprim17ROCPRIM_400000_NS6detail44device_merge_sort_compile_time_verifier_archINS1_11comp_targetILNS1_3genE2ELNS1_11target_archE906ELNS1_3gpuE6ELNS1_3repE0EEES8_NS1_28merge_sort_block_sort_configILj256ELj4ELNS0_20block_sort_algorithmE0EEENS0_14default_configENS1_37merge_sort_block_sort_config_selectorIjNS0_10empty_typeEEENS1_38merge_sort_block_merge_config_selectorIjSE_EEEEvv
; %bb.0:
	s_endpgm
	.section	.rodata,"a",@progbits
	.p2align	6, 0x0
	.amdhsa_kernel _ZN7rocprim17ROCPRIM_400000_NS6detail44device_merge_sort_compile_time_verifier_archINS1_11comp_targetILNS1_3genE2ELNS1_11target_archE906ELNS1_3gpuE6ELNS1_3repE0EEES8_NS1_28merge_sort_block_sort_configILj256ELj4ELNS0_20block_sort_algorithmE0EEENS0_14default_configENS1_37merge_sort_block_sort_config_selectorIjNS0_10empty_typeEEENS1_38merge_sort_block_merge_config_selectorIjSE_EEEEvv
		.amdhsa_group_segment_fixed_size 0
		.amdhsa_private_segment_fixed_size 0
		.amdhsa_kernarg_size 0
		.amdhsa_user_sgpr_count 4
		.amdhsa_user_sgpr_private_segment_buffer 1
		.amdhsa_user_sgpr_dispatch_ptr 0
		.amdhsa_user_sgpr_queue_ptr 0
		.amdhsa_user_sgpr_kernarg_segment_ptr 0
		.amdhsa_user_sgpr_dispatch_id 0
		.amdhsa_user_sgpr_flat_scratch_init 0
		.amdhsa_user_sgpr_kernarg_preload_length 0
		.amdhsa_user_sgpr_kernarg_preload_offset 0
		.amdhsa_user_sgpr_private_segment_size 0
		.amdhsa_uses_dynamic_stack 0
		.amdhsa_system_sgpr_private_segment_wavefront_offset 0
		.amdhsa_system_sgpr_workgroup_id_x 1
		.amdhsa_system_sgpr_workgroup_id_y 0
		.amdhsa_system_sgpr_workgroup_id_z 0
		.amdhsa_system_sgpr_workgroup_info 0
		.amdhsa_system_vgpr_workitem_id 0
		.amdhsa_next_free_vgpr 1
		.amdhsa_next_free_sgpr 0
		.amdhsa_accum_offset 4
		.amdhsa_reserve_vcc 0
		.amdhsa_reserve_flat_scratch 0
		.amdhsa_float_round_mode_32 0
		.amdhsa_float_round_mode_16_64 0
		.amdhsa_float_denorm_mode_32 3
		.amdhsa_float_denorm_mode_16_64 3
		.amdhsa_dx10_clamp 1
		.amdhsa_ieee_mode 1
		.amdhsa_fp16_overflow 0
		.amdhsa_tg_split 0
		.amdhsa_exception_fp_ieee_invalid_op 0
		.amdhsa_exception_fp_denorm_src 0
		.amdhsa_exception_fp_ieee_div_zero 0
		.amdhsa_exception_fp_ieee_overflow 0
		.amdhsa_exception_fp_ieee_underflow 0
		.amdhsa_exception_fp_ieee_inexact 0
		.amdhsa_exception_int_div_zero 0
	.end_amdhsa_kernel
	.section	.text._ZN7rocprim17ROCPRIM_400000_NS6detail44device_merge_sort_compile_time_verifier_archINS1_11comp_targetILNS1_3genE2ELNS1_11target_archE906ELNS1_3gpuE6ELNS1_3repE0EEES8_NS1_28merge_sort_block_sort_configILj256ELj4ELNS0_20block_sort_algorithmE0EEENS0_14default_configENS1_37merge_sort_block_sort_config_selectorIjNS0_10empty_typeEEENS1_38merge_sort_block_merge_config_selectorIjSE_EEEEvv,"axG",@progbits,_ZN7rocprim17ROCPRIM_400000_NS6detail44device_merge_sort_compile_time_verifier_archINS1_11comp_targetILNS1_3genE2ELNS1_11target_archE906ELNS1_3gpuE6ELNS1_3repE0EEES8_NS1_28merge_sort_block_sort_configILj256ELj4ELNS0_20block_sort_algorithmE0EEENS0_14default_configENS1_37merge_sort_block_sort_config_selectorIjNS0_10empty_typeEEENS1_38merge_sort_block_merge_config_selectorIjSE_EEEEvv,comdat
.Lfunc_end681:
	.size	_ZN7rocprim17ROCPRIM_400000_NS6detail44device_merge_sort_compile_time_verifier_archINS1_11comp_targetILNS1_3genE2ELNS1_11target_archE906ELNS1_3gpuE6ELNS1_3repE0EEES8_NS1_28merge_sort_block_sort_configILj256ELj4ELNS0_20block_sort_algorithmE0EEENS0_14default_configENS1_37merge_sort_block_sort_config_selectorIjNS0_10empty_typeEEENS1_38merge_sort_block_merge_config_selectorIjSE_EEEEvv, .Lfunc_end681-_ZN7rocprim17ROCPRIM_400000_NS6detail44device_merge_sort_compile_time_verifier_archINS1_11comp_targetILNS1_3genE2ELNS1_11target_archE906ELNS1_3gpuE6ELNS1_3repE0EEES8_NS1_28merge_sort_block_sort_configILj256ELj4ELNS0_20block_sort_algorithmE0EEENS0_14default_configENS1_37merge_sort_block_sort_config_selectorIjNS0_10empty_typeEEENS1_38merge_sort_block_merge_config_selectorIjSE_EEEEvv
                                        ; -- End function
	.section	.AMDGPU.csdata,"",@progbits
; Kernel info:
; codeLenInByte = 4
; NumSgprs: 4
; NumVgprs: 0
; NumAgprs: 0
; TotalNumVgprs: 0
; ScratchSize: 0
; MemoryBound: 0
; FloatMode: 240
; IeeeMode: 1
; LDSByteSize: 0 bytes/workgroup (compile time only)
; SGPRBlocks: 0
; VGPRBlocks: 0
; NumSGPRsForWavesPerEU: 4
; NumVGPRsForWavesPerEU: 1
; AccumOffset: 4
; Occupancy: 8
; WaveLimiterHint : 0
; COMPUTE_PGM_RSRC2:SCRATCH_EN: 0
; COMPUTE_PGM_RSRC2:USER_SGPR: 4
; COMPUTE_PGM_RSRC2:TRAP_HANDLER: 0
; COMPUTE_PGM_RSRC2:TGID_X_EN: 1
; COMPUTE_PGM_RSRC2:TGID_Y_EN: 0
; COMPUTE_PGM_RSRC2:TGID_Z_EN: 0
; COMPUTE_PGM_RSRC2:TIDIG_COMP_CNT: 0
; COMPUTE_PGM_RSRC3_GFX90A:ACCUM_OFFSET: 0
; COMPUTE_PGM_RSRC3_GFX90A:TG_SPLIT: 0
	.section	.text._ZN7rocprim17ROCPRIM_400000_NS6detail44device_merge_sort_compile_time_verifier_archINS1_11comp_targetILNS1_3genE10ELNS1_11target_archE1201ELNS1_3gpuE5ELNS1_3repE0EEES8_NS1_28merge_sort_block_sort_configILj256ELj4ELNS0_20block_sort_algorithmE0EEENS0_14default_configENS1_37merge_sort_block_sort_config_selectorIjNS0_10empty_typeEEENS1_38merge_sort_block_merge_config_selectorIjSE_EEEEvv,"axG",@progbits,_ZN7rocprim17ROCPRIM_400000_NS6detail44device_merge_sort_compile_time_verifier_archINS1_11comp_targetILNS1_3genE10ELNS1_11target_archE1201ELNS1_3gpuE5ELNS1_3repE0EEES8_NS1_28merge_sort_block_sort_configILj256ELj4ELNS0_20block_sort_algorithmE0EEENS0_14default_configENS1_37merge_sort_block_sort_config_selectorIjNS0_10empty_typeEEENS1_38merge_sort_block_merge_config_selectorIjSE_EEEEvv,comdat
	.protected	_ZN7rocprim17ROCPRIM_400000_NS6detail44device_merge_sort_compile_time_verifier_archINS1_11comp_targetILNS1_3genE10ELNS1_11target_archE1201ELNS1_3gpuE5ELNS1_3repE0EEES8_NS1_28merge_sort_block_sort_configILj256ELj4ELNS0_20block_sort_algorithmE0EEENS0_14default_configENS1_37merge_sort_block_sort_config_selectorIjNS0_10empty_typeEEENS1_38merge_sort_block_merge_config_selectorIjSE_EEEEvv ; -- Begin function _ZN7rocprim17ROCPRIM_400000_NS6detail44device_merge_sort_compile_time_verifier_archINS1_11comp_targetILNS1_3genE10ELNS1_11target_archE1201ELNS1_3gpuE5ELNS1_3repE0EEES8_NS1_28merge_sort_block_sort_configILj256ELj4ELNS0_20block_sort_algorithmE0EEENS0_14default_configENS1_37merge_sort_block_sort_config_selectorIjNS0_10empty_typeEEENS1_38merge_sort_block_merge_config_selectorIjSE_EEEEvv
	.globl	_ZN7rocprim17ROCPRIM_400000_NS6detail44device_merge_sort_compile_time_verifier_archINS1_11comp_targetILNS1_3genE10ELNS1_11target_archE1201ELNS1_3gpuE5ELNS1_3repE0EEES8_NS1_28merge_sort_block_sort_configILj256ELj4ELNS0_20block_sort_algorithmE0EEENS0_14default_configENS1_37merge_sort_block_sort_config_selectorIjNS0_10empty_typeEEENS1_38merge_sort_block_merge_config_selectorIjSE_EEEEvv
	.p2align	8
	.type	_ZN7rocprim17ROCPRIM_400000_NS6detail44device_merge_sort_compile_time_verifier_archINS1_11comp_targetILNS1_3genE10ELNS1_11target_archE1201ELNS1_3gpuE5ELNS1_3repE0EEES8_NS1_28merge_sort_block_sort_configILj256ELj4ELNS0_20block_sort_algorithmE0EEENS0_14default_configENS1_37merge_sort_block_sort_config_selectorIjNS0_10empty_typeEEENS1_38merge_sort_block_merge_config_selectorIjSE_EEEEvv,@function
_ZN7rocprim17ROCPRIM_400000_NS6detail44device_merge_sort_compile_time_verifier_archINS1_11comp_targetILNS1_3genE10ELNS1_11target_archE1201ELNS1_3gpuE5ELNS1_3repE0EEES8_NS1_28merge_sort_block_sort_configILj256ELj4ELNS0_20block_sort_algorithmE0EEENS0_14default_configENS1_37merge_sort_block_sort_config_selectorIjNS0_10empty_typeEEENS1_38merge_sort_block_merge_config_selectorIjSE_EEEEvv: ; @_ZN7rocprim17ROCPRIM_400000_NS6detail44device_merge_sort_compile_time_verifier_archINS1_11comp_targetILNS1_3genE10ELNS1_11target_archE1201ELNS1_3gpuE5ELNS1_3repE0EEES8_NS1_28merge_sort_block_sort_configILj256ELj4ELNS0_20block_sort_algorithmE0EEENS0_14default_configENS1_37merge_sort_block_sort_config_selectorIjNS0_10empty_typeEEENS1_38merge_sort_block_merge_config_selectorIjSE_EEEEvv
; %bb.0:
	s_endpgm
	.section	.rodata,"a",@progbits
	.p2align	6, 0x0
	.amdhsa_kernel _ZN7rocprim17ROCPRIM_400000_NS6detail44device_merge_sort_compile_time_verifier_archINS1_11comp_targetILNS1_3genE10ELNS1_11target_archE1201ELNS1_3gpuE5ELNS1_3repE0EEES8_NS1_28merge_sort_block_sort_configILj256ELj4ELNS0_20block_sort_algorithmE0EEENS0_14default_configENS1_37merge_sort_block_sort_config_selectorIjNS0_10empty_typeEEENS1_38merge_sort_block_merge_config_selectorIjSE_EEEEvv
		.amdhsa_group_segment_fixed_size 0
		.amdhsa_private_segment_fixed_size 0
		.amdhsa_kernarg_size 0
		.amdhsa_user_sgpr_count 4
		.amdhsa_user_sgpr_private_segment_buffer 1
		.amdhsa_user_sgpr_dispatch_ptr 0
		.amdhsa_user_sgpr_queue_ptr 0
		.amdhsa_user_sgpr_kernarg_segment_ptr 0
		.amdhsa_user_sgpr_dispatch_id 0
		.amdhsa_user_sgpr_flat_scratch_init 0
		.amdhsa_user_sgpr_kernarg_preload_length 0
		.amdhsa_user_sgpr_kernarg_preload_offset 0
		.amdhsa_user_sgpr_private_segment_size 0
		.amdhsa_uses_dynamic_stack 0
		.amdhsa_system_sgpr_private_segment_wavefront_offset 0
		.amdhsa_system_sgpr_workgroup_id_x 1
		.amdhsa_system_sgpr_workgroup_id_y 0
		.amdhsa_system_sgpr_workgroup_id_z 0
		.amdhsa_system_sgpr_workgroup_info 0
		.amdhsa_system_vgpr_workitem_id 0
		.amdhsa_next_free_vgpr 1
		.amdhsa_next_free_sgpr 0
		.amdhsa_accum_offset 4
		.amdhsa_reserve_vcc 0
		.amdhsa_reserve_flat_scratch 0
		.amdhsa_float_round_mode_32 0
		.amdhsa_float_round_mode_16_64 0
		.amdhsa_float_denorm_mode_32 3
		.amdhsa_float_denorm_mode_16_64 3
		.amdhsa_dx10_clamp 1
		.amdhsa_ieee_mode 1
		.amdhsa_fp16_overflow 0
		.amdhsa_tg_split 0
		.amdhsa_exception_fp_ieee_invalid_op 0
		.amdhsa_exception_fp_denorm_src 0
		.amdhsa_exception_fp_ieee_div_zero 0
		.amdhsa_exception_fp_ieee_overflow 0
		.amdhsa_exception_fp_ieee_underflow 0
		.amdhsa_exception_fp_ieee_inexact 0
		.amdhsa_exception_int_div_zero 0
	.end_amdhsa_kernel
	.section	.text._ZN7rocprim17ROCPRIM_400000_NS6detail44device_merge_sort_compile_time_verifier_archINS1_11comp_targetILNS1_3genE10ELNS1_11target_archE1201ELNS1_3gpuE5ELNS1_3repE0EEES8_NS1_28merge_sort_block_sort_configILj256ELj4ELNS0_20block_sort_algorithmE0EEENS0_14default_configENS1_37merge_sort_block_sort_config_selectorIjNS0_10empty_typeEEENS1_38merge_sort_block_merge_config_selectorIjSE_EEEEvv,"axG",@progbits,_ZN7rocprim17ROCPRIM_400000_NS6detail44device_merge_sort_compile_time_verifier_archINS1_11comp_targetILNS1_3genE10ELNS1_11target_archE1201ELNS1_3gpuE5ELNS1_3repE0EEES8_NS1_28merge_sort_block_sort_configILj256ELj4ELNS0_20block_sort_algorithmE0EEENS0_14default_configENS1_37merge_sort_block_sort_config_selectorIjNS0_10empty_typeEEENS1_38merge_sort_block_merge_config_selectorIjSE_EEEEvv,comdat
.Lfunc_end682:
	.size	_ZN7rocprim17ROCPRIM_400000_NS6detail44device_merge_sort_compile_time_verifier_archINS1_11comp_targetILNS1_3genE10ELNS1_11target_archE1201ELNS1_3gpuE5ELNS1_3repE0EEES8_NS1_28merge_sort_block_sort_configILj256ELj4ELNS0_20block_sort_algorithmE0EEENS0_14default_configENS1_37merge_sort_block_sort_config_selectorIjNS0_10empty_typeEEENS1_38merge_sort_block_merge_config_selectorIjSE_EEEEvv, .Lfunc_end682-_ZN7rocprim17ROCPRIM_400000_NS6detail44device_merge_sort_compile_time_verifier_archINS1_11comp_targetILNS1_3genE10ELNS1_11target_archE1201ELNS1_3gpuE5ELNS1_3repE0EEES8_NS1_28merge_sort_block_sort_configILj256ELj4ELNS0_20block_sort_algorithmE0EEENS0_14default_configENS1_37merge_sort_block_sort_config_selectorIjNS0_10empty_typeEEENS1_38merge_sort_block_merge_config_selectorIjSE_EEEEvv
                                        ; -- End function
	.section	.AMDGPU.csdata,"",@progbits
; Kernel info:
; codeLenInByte = 4
; NumSgprs: 4
; NumVgprs: 0
; NumAgprs: 0
; TotalNumVgprs: 0
; ScratchSize: 0
; MemoryBound: 0
; FloatMode: 240
; IeeeMode: 1
; LDSByteSize: 0 bytes/workgroup (compile time only)
; SGPRBlocks: 0
; VGPRBlocks: 0
; NumSGPRsForWavesPerEU: 4
; NumVGPRsForWavesPerEU: 1
; AccumOffset: 4
; Occupancy: 8
; WaveLimiterHint : 0
; COMPUTE_PGM_RSRC2:SCRATCH_EN: 0
; COMPUTE_PGM_RSRC2:USER_SGPR: 4
; COMPUTE_PGM_RSRC2:TRAP_HANDLER: 0
; COMPUTE_PGM_RSRC2:TGID_X_EN: 1
; COMPUTE_PGM_RSRC2:TGID_Y_EN: 0
; COMPUTE_PGM_RSRC2:TGID_Z_EN: 0
; COMPUTE_PGM_RSRC2:TIDIG_COMP_CNT: 0
; COMPUTE_PGM_RSRC3_GFX90A:ACCUM_OFFSET: 0
; COMPUTE_PGM_RSRC3_GFX90A:TG_SPLIT: 0
	.section	.text._ZN7rocprim17ROCPRIM_400000_NS6detail44device_merge_sort_compile_time_verifier_archINS1_11comp_targetILNS1_3genE10ELNS1_11target_archE1200ELNS1_3gpuE4ELNS1_3repE0EEENS3_ILS4_10ELS5_1201ELS6_5ELS7_0EEENS1_28merge_sort_block_sort_configILj256ELj4ELNS0_20block_sort_algorithmE0EEENS0_14default_configENS1_37merge_sort_block_sort_config_selectorIjNS0_10empty_typeEEENS1_38merge_sort_block_merge_config_selectorIjSF_EEEEvv,"axG",@progbits,_ZN7rocprim17ROCPRIM_400000_NS6detail44device_merge_sort_compile_time_verifier_archINS1_11comp_targetILNS1_3genE10ELNS1_11target_archE1200ELNS1_3gpuE4ELNS1_3repE0EEENS3_ILS4_10ELS5_1201ELS6_5ELS7_0EEENS1_28merge_sort_block_sort_configILj256ELj4ELNS0_20block_sort_algorithmE0EEENS0_14default_configENS1_37merge_sort_block_sort_config_selectorIjNS0_10empty_typeEEENS1_38merge_sort_block_merge_config_selectorIjSF_EEEEvv,comdat
	.protected	_ZN7rocprim17ROCPRIM_400000_NS6detail44device_merge_sort_compile_time_verifier_archINS1_11comp_targetILNS1_3genE10ELNS1_11target_archE1200ELNS1_3gpuE4ELNS1_3repE0EEENS3_ILS4_10ELS5_1201ELS6_5ELS7_0EEENS1_28merge_sort_block_sort_configILj256ELj4ELNS0_20block_sort_algorithmE0EEENS0_14default_configENS1_37merge_sort_block_sort_config_selectorIjNS0_10empty_typeEEENS1_38merge_sort_block_merge_config_selectorIjSF_EEEEvv ; -- Begin function _ZN7rocprim17ROCPRIM_400000_NS6detail44device_merge_sort_compile_time_verifier_archINS1_11comp_targetILNS1_3genE10ELNS1_11target_archE1200ELNS1_3gpuE4ELNS1_3repE0EEENS3_ILS4_10ELS5_1201ELS6_5ELS7_0EEENS1_28merge_sort_block_sort_configILj256ELj4ELNS0_20block_sort_algorithmE0EEENS0_14default_configENS1_37merge_sort_block_sort_config_selectorIjNS0_10empty_typeEEENS1_38merge_sort_block_merge_config_selectorIjSF_EEEEvv
	.globl	_ZN7rocprim17ROCPRIM_400000_NS6detail44device_merge_sort_compile_time_verifier_archINS1_11comp_targetILNS1_3genE10ELNS1_11target_archE1200ELNS1_3gpuE4ELNS1_3repE0EEENS3_ILS4_10ELS5_1201ELS6_5ELS7_0EEENS1_28merge_sort_block_sort_configILj256ELj4ELNS0_20block_sort_algorithmE0EEENS0_14default_configENS1_37merge_sort_block_sort_config_selectorIjNS0_10empty_typeEEENS1_38merge_sort_block_merge_config_selectorIjSF_EEEEvv
	.p2align	8
	.type	_ZN7rocprim17ROCPRIM_400000_NS6detail44device_merge_sort_compile_time_verifier_archINS1_11comp_targetILNS1_3genE10ELNS1_11target_archE1200ELNS1_3gpuE4ELNS1_3repE0EEENS3_ILS4_10ELS5_1201ELS6_5ELS7_0EEENS1_28merge_sort_block_sort_configILj256ELj4ELNS0_20block_sort_algorithmE0EEENS0_14default_configENS1_37merge_sort_block_sort_config_selectorIjNS0_10empty_typeEEENS1_38merge_sort_block_merge_config_selectorIjSF_EEEEvv,@function
_ZN7rocprim17ROCPRIM_400000_NS6detail44device_merge_sort_compile_time_verifier_archINS1_11comp_targetILNS1_3genE10ELNS1_11target_archE1200ELNS1_3gpuE4ELNS1_3repE0EEENS3_ILS4_10ELS5_1201ELS6_5ELS7_0EEENS1_28merge_sort_block_sort_configILj256ELj4ELNS0_20block_sort_algorithmE0EEENS0_14default_configENS1_37merge_sort_block_sort_config_selectorIjNS0_10empty_typeEEENS1_38merge_sort_block_merge_config_selectorIjSF_EEEEvv: ; @_ZN7rocprim17ROCPRIM_400000_NS6detail44device_merge_sort_compile_time_verifier_archINS1_11comp_targetILNS1_3genE10ELNS1_11target_archE1200ELNS1_3gpuE4ELNS1_3repE0EEENS3_ILS4_10ELS5_1201ELS6_5ELS7_0EEENS1_28merge_sort_block_sort_configILj256ELj4ELNS0_20block_sort_algorithmE0EEENS0_14default_configENS1_37merge_sort_block_sort_config_selectorIjNS0_10empty_typeEEENS1_38merge_sort_block_merge_config_selectorIjSF_EEEEvv
; %bb.0:
	s_endpgm
	.section	.rodata,"a",@progbits
	.p2align	6, 0x0
	.amdhsa_kernel _ZN7rocprim17ROCPRIM_400000_NS6detail44device_merge_sort_compile_time_verifier_archINS1_11comp_targetILNS1_3genE10ELNS1_11target_archE1200ELNS1_3gpuE4ELNS1_3repE0EEENS3_ILS4_10ELS5_1201ELS6_5ELS7_0EEENS1_28merge_sort_block_sort_configILj256ELj4ELNS0_20block_sort_algorithmE0EEENS0_14default_configENS1_37merge_sort_block_sort_config_selectorIjNS0_10empty_typeEEENS1_38merge_sort_block_merge_config_selectorIjSF_EEEEvv
		.amdhsa_group_segment_fixed_size 0
		.amdhsa_private_segment_fixed_size 0
		.amdhsa_kernarg_size 0
		.amdhsa_user_sgpr_count 4
		.amdhsa_user_sgpr_private_segment_buffer 1
		.amdhsa_user_sgpr_dispatch_ptr 0
		.amdhsa_user_sgpr_queue_ptr 0
		.amdhsa_user_sgpr_kernarg_segment_ptr 0
		.amdhsa_user_sgpr_dispatch_id 0
		.amdhsa_user_sgpr_flat_scratch_init 0
		.amdhsa_user_sgpr_kernarg_preload_length 0
		.amdhsa_user_sgpr_kernarg_preload_offset 0
		.amdhsa_user_sgpr_private_segment_size 0
		.amdhsa_uses_dynamic_stack 0
		.amdhsa_system_sgpr_private_segment_wavefront_offset 0
		.amdhsa_system_sgpr_workgroup_id_x 1
		.amdhsa_system_sgpr_workgroup_id_y 0
		.amdhsa_system_sgpr_workgroup_id_z 0
		.amdhsa_system_sgpr_workgroup_info 0
		.amdhsa_system_vgpr_workitem_id 0
		.amdhsa_next_free_vgpr 1
		.amdhsa_next_free_sgpr 0
		.amdhsa_accum_offset 4
		.amdhsa_reserve_vcc 0
		.amdhsa_reserve_flat_scratch 0
		.amdhsa_float_round_mode_32 0
		.amdhsa_float_round_mode_16_64 0
		.amdhsa_float_denorm_mode_32 3
		.amdhsa_float_denorm_mode_16_64 3
		.amdhsa_dx10_clamp 1
		.amdhsa_ieee_mode 1
		.amdhsa_fp16_overflow 0
		.amdhsa_tg_split 0
		.amdhsa_exception_fp_ieee_invalid_op 0
		.amdhsa_exception_fp_denorm_src 0
		.amdhsa_exception_fp_ieee_div_zero 0
		.amdhsa_exception_fp_ieee_overflow 0
		.amdhsa_exception_fp_ieee_underflow 0
		.amdhsa_exception_fp_ieee_inexact 0
		.amdhsa_exception_int_div_zero 0
	.end_amdhsa_kernel
	.section	.text._ZN7rocprim17ROCPRIM_400000_NS6detail44device_merge_sort_compile_time_verifier_archINS1_11comp_targetILNS1_3genE10ELNS1_11target_archE1200ELNS1_3gpuE4ELNS1_3repE0EEENS3_ILS4_10ELS5_1201ELS6_5ELS7_0EEENS1_28merge_sort_block_sort_configILj256ELj4ELNS0_20block_sort_algorithmE0EEENS0_14default_configENS1_37merge_sort_block_sort_config_selectorIjNS0_10empty_typeEEENS1_38merge_sort_block_merge_config_selectorIjSF_EEEEvv,"axG",@progbits,_ZN7rocprim17ROCPRIM_400000_NS6detail44device_merge_sort_compile_time_verifier_archINS1_11comp_targetILNS1_3genE10ELNS1_11target_archE1200ELNS1_3gpuE4ELNS1_3repE0EEENS3_ILS4_10ELS5_1201ELS6_5ELS7_0EEENS1_28merge_sort_block_sort_configILj256ELj4ELNS0_20block_sort_algorithmE0EEENS0_14default_configENS1_37merge_sort_block_sort_config_selectorIjNS0_10empty_typeEEENS1_38merge_sort_block_merge_config_selectorIjSF_EEEEvv,comdat
.Lfunc_end683:
	.size	_ZN7rocprim17ROCPRIM_400000_NS6detail44device_merge_sort_compile_time_verifier_archINS1_11comp_targetILNS1_3genE10ELNS1_11target_archE1200ELNS1_3gpuE4ELNS1_3repE0EEENS3_ILS4_10ELS5_1201ELS6_5ELS7_0EEENS1_28merge_sort_block_sort_configILj256ELj4ELNS0_20block_sort_algorithmE0EEENS0_14default_configENS1_37merge_sort_block_sort_config_selectorIjNS0_10empty_typeEEENS1_38merge_sort_block_merge_config_selectorIjSF_EEEEvv, .Lfunc_end683-_ZN7rocprim17ROCPRIM_400000_NS6detail44device_merge_sort_compile_time_verifier_archINS1_11comp_targetILNS1_3genE10ELNS1_11target_archE1200ELNS1_3gpuE4ELNS1_3repE0EEENS3_ILS4_10ELS5_1201ELS6_5ELS7_0EEENS1_28merge_sort_block_sort_configILj256ELj4ELNS0_20block_sort_algorithmE0EEENS0_14default_configENS1_37merge_sort_block_sort_config_selectorIjNS0_10empty_typeEEENS1_38merge_sort_block_merge_config_selectorIjSF_EEEEvv
                                        ; -- End function
	.section	.AMDGPU.csdata,"",@progbits
; Kernel info:
; codeLenInByte = 4
; NumSgprs: 4
; NumVgprs: 0
; NumAgprs: 0
; TotalNumVgprs: 0
; ScratchSize: 0
; MemoryBound: 0
; FloatMode: 240
; IeeeMode: 1
; LDSByteSize: 0 bytes/workgroup (compile time only)
; SGPRBlocks: 0
; VGPRBlocks: 0
; NumSGPRsForWavesPerEU: 4
; NumVGPRsForWavesPerEU: 1
; AccumOffset: 4
; Occupancy: 8
; WaveLimiterHint : 0
; COMPUTE_PGM_RSRC2:SCRATCH_EN: 0
; COMPUTE_PGM_RSRC2:USER_SGPR: 4
; COMPUTE_PGM_RSRC2:TRAP_HANDLER: 0
; COMPUTE_PGM_RSRC2:TGID_X_EN: 1
; COMPUTE_PGM_RSRC2:TGID_Y_EN: 0
; COMPUTE_PGM_RSRC2:TGID_Z_EN: 0
; COMPUTE_PGM_RSRC2:TIDIG_COMP_CNT: 0
; COMPUTE_PGM_RSRC3_GFX90A:ACCUM_OFFSET: 0
; COMPUTE_PGM_RSRC3_GFX90A:TG_SPLIT: 0
	.section	.text._ZN7rocprim17ROCPRIM_400000_NS6detail44device_merge_sort_compile_time_verifier_archINS1_11comp_targetILNS1_3genE9ELNS1_11target_archE1100ELNS1_3gpuE3ELNS1_3repE0EEES8_NS1_28merge_sort_block_sort_configILj256ELj4ELNS0_20block_sort_algorithmE0EEENS0_14default_configENS1_37merge_sort_block_sort_config_selectorIjNS0_10empty_typeEEENS1_38merge_sort_block_merge_config_selectorIjSE_EEEEvv,"axG",@progbits,_ZN7rocprim17ROCPRIM_400000_NS6detail44device_merge_sort_compile_time_verifier_archINS1_11comp_targetILNS1_3genE9ELNS1_11target_archE1100ELNS1_3gpuE3ELNS1_3repE0EEES8_NS1_28merge_sort_block_sort_configILj256ELj4ELNS0_20block_sort_algorithmE0EEENS0_14default_configENS1_37merge_sort_block_sort_config_selectorIjNS0_10empty_typeEEENS1_38merge_sort_block_merge_config_selectorIjSE_EEEEvv,comdat
	.protected	_ZN7rocprim17ROCPRIM_400000_NS6detail44device_merge_sort_compile_time_verifier_archINS1_11comp_targetILNS1_3genE9ELNS1_11target_archE1100ELNS1_3gpuE3ELNS1_3repE0EEES8_NS1_28merge_sort_block_sort_configILj256ELj4ELNS0_20block_sort_algorithmE0EEENS0_14default_configENS1_37merge_sort_block_sort_config_selectorIjNS0_10empty_typeEEENS1_38merge_sort_block_merge_config_selectorIjSE_EEEEvv ; -- Begin function _ZN7rocprim17ROCPRIM_400000_NS6detail44device_merge_sort_compile_time_verifier_archINS1_11comp_targetILNS1_3genE9ELNS1_11target_archE1100ELNS1_3gpuE3ELNS1_3repE0EEES8_NS1_28merge_sort_block_sort_configILj256ELj4ELNS0_20block_sort_algorithmE0EEENS0_14default_configENS1_37merge_sort_block_sort_config_selectorIjNS0_10empty_typeEEENS1_38merge_sort_block_merge_config_selectorIjSE_EEEEvv
	.globl	_ZN7rocprim17ROCPRIM_400000_NS6detail44device_merge_sort_compile_time_verifier_archINS1_11comp_targetILNS1_3genE9ELNS1_11target_archE1100ELNS1_3gpuE3ELNS1_3repE0EEES8_NS1_28merge_sort_block_sort_configILj256ELj4ELNS0_20block_sort_algorithmE0EEENS0_14default_configENS1_37merge_sort_block_sort_config_selectorIjNS0_10empty_typeEEENS1_38merge_sort_block_merge_config_selectorIjSE_EEEEvv
	.p2align	8
	.type	_ZN7rocprim17ROCPRIM_400000_NS6detail44device_merge_sort_compile_time_verifier_archINS1_11comp_targetILNS1_3genE9ELNS1_11target_archE1100ELNS1_3gpuE3ELNS1_3repE0EEES8_NS1_28merge_sort_block_sort_configILj256ELj4ELNS0_20block_sort_algorithmE0EEENS0_14default_configENS1_37merge_sort_block_sort_config_selectorIjNS0_10empty_typeEEENS1_38merge_sort_block_merge_config_selectorIjSE_EEEEvv,@function
_ZN7rocprim17ROCPRIM_400000_NS6detail44device_merge_sort_compile_time_verifier_archINS1_11comp_targetILNS1_3genE9ELNS1_11target_archE1100ELNS1_3gpuE3ELNS1_3repE0EEES8_NS1_28merge_sort_block_sort_configILj256ELj4ELNS0_20block_sort_algorithmE0EEENS0_14default_configENS1_37merge_sort_block_sort_config_selectorIjNS0_10empty_typeEEENS1_38merge_sort_block_merge_config_selectorIjSE_EEEEvv: ; @_ZN7rocprim17ROCPRIM_400000_NS6detail44device_merge_sort_compile_time_verifier_archINS1_11comp_targetILNS1_3genE9ELNS1_11target_archE1100ELNS1_3gpuE3ELNS1_3repE0EEES8_NS1_28merge_sort_block_sort_configILj256ELj4ELNS0_20block_sort_algorithmE0EEENS0_14default_configENS1_37merge_sort_block_sort_config_selectorIjNS0_10empty_typeEEENS1_38merge_sort_block_merge_config_selectorIjSE_EEEEvv
; %bb.0:
	s_endpgm
	.section	.rodata,"a",@progbits
	.p2align	6, 0x0
	.amdhsa_kernel _ZN7rocprim17ROCPRIM_400000_NS6detail44device_merge_sort_compile_time_verifier_archINS1_11comp_targetILNS1_3genE9ELNS1_11target_archE1100ELNS1_3gpuE3ELNS1_3repE0EEES8_NS1_28merge_sort_block_sort_configILj256ELj4ELNS0_20block_sort_algorithmE0EEENS0_14default_configENS1_37merge_sort_block_sort_config_selectorIjNS0_10empty_typeEEENS1_38merge_sort_block_merge_config_selectorIjSE_EEEEvv
		.amdhsa_group_segment_fixed_size 0
		.amdhsa_private_segment_fixed_size 0
		.amdhsa_kernarg_size 0
		.amdhsa_user_sgpr_count 4
		.amdhsa_user_sgpr_private_segment_buffer 1
		.amdhsa_user_sgpr_dispatch_ptr 0
		.amdhsa_user_sgpr_queue_ptr 0
		.amdhsa_user_sgpr_kernarg_segment_ptr 0
		.amdhsa_user_sgpr_dispatch_id 0
		.amdhsa_user_sgpr_flat_scratch_init 0
		.amdhsa_user_sgpr_kernarg_preload_length 0
		.amdhsa_user_sgpr_kernarg_preload_offset 0
		.amdhsa_user_sgpr_private_segment_size 0
		.amdhsa_uses_dynamic_stack 0
		.amdhsa_system_sgpr_private_segment_wavefront_offset 0
		.amdhsa_system_sgpr_workgroup_id_x 1
		.amdhsa_system_sgpr_workgroup_id_y 0
		.amdhsa_system_sgpr_workgroup_id_z 0
		.amdhsa_system_sgpr_workgroup_info 0
		.amdhsa_system_vgpr_workitem_id 0
		.amdhsa_next_free_vgpr 1
		.amdhsa_next_free_sgpr 0
		.amdhsa_accum_offset 4
		.amdhsa_reserve_vcc 0
		.amdhsa_reserve_flat_scratch 0
		.amdhsa_float_round_mode_32 0
		.amdhsa_float_round_mode_16_64 0
		.amdhsa_float_denorm_mode_32 3
		.amdhsa_float_denorm_mode_16_64 3
		.amdhsa_dx10_clamp 1
		.amdhsa_ieee_mode 1
		.amdhsa_fp16_overflow 0
		.amdhsa_tg_split 0
		.amdhsa_exception_fp_ieee_invalid_op 0
		.amdhsa_exception_fp_denorm_src 0
		.amdhsa_exception_fp_ieee_div_zero 0
		.amdhsa_exception_fp_ieee_overflow 0
		.amdhsa_exception_fp_ieee_underflow 0
		.amdhsa_exception_fp_ieee_inexact 0
		.amdhsa_exception_int_div_zero 0
	.end_amdhsa_kernel
	.section	.text._ZN7rocprim17ROCPRIM_400000_NS6detail44device_merge_sort_compile_time_verifier_archINS1_11comp_targetILNS1_3genE9ELNS1_11target_archE1100ELNS1_3gpuE3ELNS1_3repE0EEES8_NS1_28merge_sort_block_sort_configILj256ELj4ELNS0_20block_sort_algorithmE0EEENS0_14default_configENS1_37merge_sort_block_sort_config_selectorIjNS0_10empty_typeEEENS1_38merge_sort_block_merge_config_selectorIjSE_EEEEvv,"axG",@progbits,_ZN7rocprim17ROCPRIM_400000_NS6detail44device_merge_sort_compile_time_verifier_archINS1_11comp_targetILNS1_3genE9ELNS1_11target_archE1100ELNS1_3gpuE3ELNS1_3repE0EEES8_NS1_28merge_sort_block_sort_configILj256ELj4ELNS0_20block_sort_algorithmE0EEENS0_14default_configENS1_37merge_sort_block_sort_config_selectorIjNS0_10empty_typeEEENS1_38merge_sort_block_merge_config_selectorIjSE_EEEEvv,comdat
.Lfunc_end684:
	.size	_ZN7rocprim17ROCPRIM_400000_NS6detail44device_merge_sort_compile_time_verifier_archINS1_11comp_targetILNS1_3genE9ELNS1_11target_archE1100ELNS1_3gpuE3ELNS1_3repE0EEES8_NS1_28merge_sort_block_sort_configILj256ELj4ELNS0_20block_sort_algorithmE0EEENS0_14default_configENS1_37merge_sort_block_sort_config_selectorIjNS0_10empty_typeEEENS1_38merge_sort_block_merge_config_selectorIjSE_EEEEvv, .Lfunc_end684-_ZN7rocprim17ROCPRIM_400000_NS6detail44device_merge_sort_compile_time_verifier_archINS1_11comp_targetILNS1_3genE9ELNS1_11target_archE1100ELNS1_3gpuE3ELNS1_3repE0EEES8_NS1_28merge_sort_block_sort_configILj256ELj4ELNS0_20block_sort_algorithmE0EEENS0_14default_configENS1_37merge_sort_block_sort_config_selectorIjNS0_10empty_typeEEENS1_38merge_sort_block_merge_config_selectorIjSE_EEEEvv
                                        ; -- End function
	.section	.AMDGPU.csdata,"",@progbits
; Kernel info:
; codeLenInByte = 4
; NumSgprs: 4
; NumVgprs: 0
; NumAgprs: 0
; TotalNumVgprs: 0
; ScratchSize: 0
; MemoryBound: 0
; FloatMode: 240
; IeeeMode: 1
; LDSByteSize: 0 bytes/workgroup (compile time only)
; SGPRBlocks: 0
; VGPRBlocks: 0
; NumSGPRsForWavesPerEU: 4
; NumVGPRsForWavesPerEU: 1
; AccumOffset: 4
; Occupancy: 8
; WaveLimiterHint : 0
; COMPUTE_PGM_RSRC2:SCRATCH_EN: 0
; COMPUTE_PGM_RSRC2:USER_SGPR: 4
; COMPUTE_PGM_RSRC2:TRAP_HANDLER: 0
; COMPUTE_PGM_RSRC2:TGID_X_EN: 1
; COMPUTE_PGM_RSRC2:TGID_Y_EN: 0
; COMPUTE_PGM_RSRC2:TGID_Z_EN: 0
; COMPUTE_PGM_RSRC2:TIDIG_COMP_CNT: 0
; COMPUTE_PGM_RSRC3_GFX90A:ACCUM_OFFSET: 0
; COMPUTE_PGM_RSRC3_GFX90A:TG_SPLIT: 0
	.section	.text._ZN7rocprim17ROCPRIM_400000_NS6detail44device_merge_sort_compile_time_verifier_archINS1_11comp_targetILNS1_3genE8ELNS1_11target_archE1030ELNS1_3gpuE2ELNS1_3repE0EEES8_NS1_28merge_sort_block_sort_configILj256ELj4ELNS0_20block_sort_algorithmE0EEENS0_14default_configENS1_37merge_sort_block_sort_config_selectorIjNS0_10empty_typeEEENS1_38merge_sort_block_merge_config_selectorIjSE_EEEEvv,"axG",@progbits,_ZN7rocprim17ROCPRIM_400000_NS6detail44device_merge_sort_compile_time_verifier_archINS1_11comp_targetILNS1_3genE8ELNS1_11target_archE1030ELNS1_3gpuE2ELNS1_3repE0EEES8_NS1_28merge_sort_block_sort_configILj256ELj4ELNS0_20block_sort_algorithmE0EEENS0_14default_configENS1_37merge_sort_block_sort_config_selectorIjNS0_10empty_typeEEENS1_38merge_sort_block_merge_config_selectorIjSE_EEEEvv,comdat
	.protected	_ZN7rocprim17ROCPRIM_400000_NS6detail44device_merge_sort_compile_time_verifier_archINS1_11comp_targetILNS1_3genE8ELNS1_11target_archE1030ELNS1_3gpuE2ELNS1_3repE0EEES8_NS1_28merge_sort_block_sort_configILj256ELj4ELNS0_20block_sort_algorithmE0EEENS0_14default_configENS1_37merge_sort_block_sort_config_selectorIjNS0_10empty_typeEEENS1_38merge_sort_block_merge_config_selectorIjSE_EEEEvv ; -- Begin function _ZN7rocprim17ROCPRIM_400000_NS6detail44device_merge_sort_compile_time_verifier_archINS1_11comp_targetILNS1_3genE8ELNS1_11target_archE1030ELNS1_3gpuE2ELNS1_3repE0EEES8_NS1_28merge_sort_block_sort_configILj256ELj4ELNS0_20block_sort_algorithmE0EEENS0_14default_configENS1_37merge_sort_block_sort_config_selectorIjNS0_10empty_typeEEENS1_38merge_sort_block_merge_config_selectorIjSE_EEEEvv
	.globl	_ZN7rocprim17ROCPRIM_400000_NS6detail44device_merge_sort_compile_time_verifier_archINS1_11comp_targetILNS1_3genE8ELNS1_11target_archE1030ELNS1_3gpuE2ELNS1_3repE0EEES8_NS1_28merge_sort_block_sort_configILj256ELj4ELNS0_20block_sort_algorithmE0EEENS0_14default_configENS1_37merge_sort_block_sort_config_selectorIjNS0_10empty_typeEEENS1_38merge_sort_block_merge_config_selectorIjSE_EEEEvv
	.p2align	8
	.type	_ZN7rocprim17ROCPRIM_400000_NS6detail44device_merge_sort_compile_time_verifier_archINS1_11comp_targetILNS1_3genE8ELNS1_11target_archE1030ELNS1_3gpuE2ELNS1_3repE0EEES8_NS1_28merge_sort_block_sort_configILj256ELj4ELNS0_20block_sort_algorithmE0EEENS0_14default_configENS1_37merge_sort_block_sort_config_selectorIjNS0_10empty_typeEEENS1_38merge_sort_block_merge_config_selectorIjSE_EEEEvv,@function
_ZN7rocprim17ROCPRIM_400000_NS6detail44device_merge_sort_compile_time_verifier_archINS1_11comp_targetILNS1_3genE8ELNS1_11target_archE1030ELNS1_3gpuE2ELNS1_3repE0EEES8_NS1_28merge_sort_block_sort_configILj256ELj4ELNS0_20block_sort_algorithmE0EEENS0_14default_configENS1_37merge_sort_block_sort_config_selectorIjNS0_10empty_typeEEENS1_38merge_sort_block_merge_config_selectorIjSE_EEEEvv: ; @_ZN7rocprim17ROCPRIM_400000_NS6detail44device_merge_sort_compile_time_verifier_archINS1_11comp_targetILNS1_3genE8ELNS1_11target_archE1030ELNS1_3gpuE2ELNS1_3repE0EEES8_NS1_28merge_sort_block_sort_configILj256ELj4ELNS0_20block_sort_algorithmE0EEENS0_14default_configENS1_37merge_sort_block_sort_config_selectorIjNS0_10empty_typeEEENS1_38merge_sort_block_merge_config_selectorIjSE_EEEEvv
; %bb.0:
	s_endpgm
	.section	.rodata,"a",@progbits
	.p2align	6, 0x0
	.amdhsa_kernel _ZN7rocprim17ROCPRIM_400000_NS6detail44device_merge_sort_compile_time_verifier_archINS1_11comp_targetILNS1_3genE8ELNS1_11target_archE1030ELNS1_3gpuE2ELNS1_3repE0EEES8_NS1_28merge_sort_block_sort_configILj256ELj4ELNS0_20block_sort_algorithmE0EEENS0_14default_configENS1_37merge_sort_block_sort_config_selectorIjNS0_10empty_typeEEENS1_38merge_sort_block_merge_config_selectorIjSE_EEEEvv
		.amdhsa_group_segment_fixed_size 0
		.amdhsa_private_segment_fixed_size 0
		.amdhsa_kernarg_size 0
		.amdhsa_user_sgpr_count 4
		.amdhsa_user_sgpr_private_segment_buffer 1
		.amdhsa_user_sgpr_dispatch_ptr 0
		.amdhsa_user_sgpr_queue_ptr 0
		.amdhsa_user_sgpr_kernarg_segment_ptr 0
		.amdhsa_user_sgpr_dispatch_id 0
		.amdhsa_user_sgpr_flat_scratch_init 0
		.amdhsa_user_sgpr_kernarg_preload_length 0
		.amdhsa_user_sgpr_kernarg_preload_offset 0
		.amdhsa_user_sgpr_private_segment_size 0
		.amdhsa_uses_dynamic_stack 0
		.amdhsa_system_sgpr_private_segment_wavefront_offset 0
		.amdhsa_system_sgpr_workgroup_id_x 1
		.amdhsa_system_sgpr_workgroup_id_y 0
		.amdhsa_system_sgpr_workgroup_id_z 0
		.amdhsa_system_sgpr_workgroup_info 0
		.amdhsa_system_vgpr_workitem_id 0
		.amdhsa_next_free_vgpr 1
		.amdhsa_next_free_sgpr 0
		.amdhsa_accum_offset 4
		.amdhsa_reserve_vcc 0
		.amdhsa_reserve_flat_scratch 0
		.amdhsa_float_round_mode_32 0
		.amdhsa_float_round_mode_16_64 0
		.amdhsa_float_denorm_mode_32 3
		.amdhsa_float_denorm_mode_16_64 3
		.amdhsa_dx10_clamp 1
		.amdhsa_ieee_mode 1
		.amdhsa_fp16_overflow 0
		.amdhsa_tg_split 0
		.amdhsa_exception_fp_ieee_invalid_op 0
		.amdhsa_exception_fp_denorm_src 0
		.amdhsa_exception_fp_ieee_div_zero 0
		.amdhsa_exception_fp_ieee_overflow 0
		.amdhsa_exception_fp_ieee_underflow 0
		.amdhsa_exception_fp_ieee_inexact 0
		.amdhsa_exception_int_div_zero 0
	.end_amdhsa_kernel
	.section	.text._ZN7rocprim17ROCPRIM_400000_NS6detail44device_merge_sort_compile_time_verifier_archINS1_11comp_targetILNS1_3genE8ELNS1_11target_archE1030ELNS1_3gpuE2ELNS1_3repE0EEES8_NS1_28merge_sort_block_sort_configILj256ELj4ELNS0_20block_sort_algorithmE0EEENS0_14default_configENS1_37merge_sort_block_sort_config_selectorIjNS0_10empty_typeEEENS1_38merge_sort_block_merge_config_selectorIjSE_EEEEvv,"axG",@progbits,_ZN7rocprim17ROCPRIM_400000_NS6detail44device_merge_sort_compile_time_verifier_archINS1_11comp_targetILNS1_3genE8ELNS1_11target_archE1030ELNS1_3gpuE2ELNS1_3repE0EEES8_NS1_28merge_sort_block_sort_configILj256ELj4ELNS0_20block_sort_algorithmE0EEENS0_14default_configENS1_37merge_sort_block_sort_config_selectorIjNS0_10empty_typeEEENS1_38merge_sort_block_merge_config_selectorIjSE_EEEEvv,comdat
.Lfunc_end685:
	.size	_ZN7rocprim17ROCPRIM_400000_NS6detail44device_merge_sort_compile_time_verifier_archINS1_11comp_targetILNS1_3genE8ELNS1_11target_archE1030ELNS1_3gpuE2ELNS1_3repE0EEES8_NS1_28merge_sort_block_sort_configILj256ELj4ELNS0_20block_sort_algorithmE0EEENS0_14default_configENS1_37merge_sort_block_sort_config_selectorIjNS0_10empty_typeEEENS1_38merge_sort_block_merge_config_selectorIjSE_EEEEvv, .Lfunc_end685-_ZN7rocprim17ROCPRIM_400000_NS6detail44device_merge_sort_compile_time_verifier_archINS1_11comp_targetILNS1_3genE8ELNS1_11target_archE1030ELNS1_3gpuE2ELNS1_3repE0EEES8_NS1_28merge_sort_block_sort_configILj256ELj4ELNS0_20block_sort_algorithmE0EEENS0_14default_configENS1_37merge_sort_block_sort_config_selectorIjNS0_10empty_typeEEENS1_38merge_sort_block_merge_config_selectorIjSE_EEEEvv
                                        ; -- End function
	.section	.AMDGPU.csdata,"",@progbits
; Kernel info:
; codeLenInByte = 4
; NumSgprs: 4
; NumVgprs: 0
; NumAgprs: 0
; TotalNumVgprs: 0
; ScratchSize: 0
; MemoryBound: 0
; FloatMode: 240
; IeeeMode: 1
; LDSByteSize: 0 bytes/workgroup (compile time only)
; SGPRBlocks: 0
; VGPRBlocks: 0
; NumSGPRsForWavesPerEU: 4
; NumVGPRsForWavesPerEU: 1
; AccumOffset: 4
; Occupancy: 8
; WaveLimiterHint : 0
; COMPUTE_PGM_RSRC2:SCRATCH_EN: 0
; COMPUTE_PGM_RSRC2:USER_SGPR: 4
; COMPUTE_PGM_RSRC2:TRAP_HANDLER: 0
; COMPUTE_PGM_RSRC2:TGID_X_EN: 1
; COMPUTE_PGM_RSRC2:TGID_Y_EN: 0
; COMPUTE_PGM_RSRC2:TGID_Z_EN: 0
; COMPUTE_PGM_RSRC2:TIDIG_COMP_CNT: 0
; COMPUTE_PGM_RSRC3_GFX90A:ACCUM_OFFSET: 0
; COMPUTE_PGM_RSRC3_GFX90A:TG_SPLIT: 0
	.section	.text._ZN7rocprim17ROCPRIM_400000_NS6detail17trampoline_kernelINS0_14default_configENS1_38merge_sort_block_merge_config_selectorIjNS0_10empty_typeEEEZZNS1_27merge_sort_block_merge_implIS3_PjPS5_jNS1_19radix_merge_compareILb0ELb0EjNS0_19identity_decomposerEEEEE10hipError_tT0_T1_T2_jT3_P12ihipStream_tbPNSt15iterator_traitsISE_E10value_typeEPNSK_ISF_E10value_typeEPSG_NS1_7vsmem_tEENKUlT_SE_SF_SG_E_clIS8_S8_S9_S9_EESD_ST_SE_SF_SG_EUlST_E_NS1_11comp_targetILNS1_3genE0ELNS1_11target_archE4294967295ELNS1_3gpuE0ELNS1_3repE0EEENS1_48merge_mergepath_partition_config_static_selectorELNS0_4arch9wavefront6targetE1EEEvSF_,"axG",@progbits,_ZN7rocprim17ROCPRIM_400000_NS6detail17trampoline_kernelINS0_14default_configENS1_38merge_sort_block_merge_config_selectorIjNS0_10empty_typeEEEZZNS1_27merge_sort_block_merge_implIS3_PjPS5_jNS1_19radix_merge_compareILb0ELb0EjNS0_19identity_decomposerEEEEE10hipError_tT0_T1_T2_jT3_P12ihipStream_tbPNSt15iterator_traitsISE_E10value_typeEPNSK_ISF_E10value_typeEPSG_NS1_7vsmem_tEENKUlT_SE_SF_SG_E_clIS8_S8_S9_S9_EESD_ST_SE_SF_SG_EUlST_E_NS1_11comp_targetILNS1_3genE0ELNS1_11target_archE4294967295ELNS1_3gpuE0ELNS1_3repE0EEENS1_48merge_mergepath_partition_config_static_selectorELNS0_4arch9wavefront6targetE1EEEvSF_,comdat
	.protected	_ZN7rocprim17ROCPRIM_400000_NS6detail17trampoline_kernelINS0_14default_configENS1_38merge_sort_block_merge_config_selectorIjNS0_10empty_typeEEEZZNS1_27merge_sort_block_merge_implIS3_PjPS5_jNS1_19radix_merge_compareILb0ELb0EjNS0_19identity_decomposerEEEEE10hipError_tT0_T1_T2_jT3_P12ihipStream_tbPNSt15iterator_traitsISE_E10value_typeEPNSK_ISF_E10value_typeEPSG_NS1_7vsmem_tEENKUlT_SE_SF_SG_E_clIS8_S8_S9_S9_EESD_ST_SE_SF_SG_EUlST_E_NS1_11comp_targetILNS1_3genE0ELNS1_11target_archE4294967295ELNS1_3gpuE0ELNS1_3repE0EEENS1_48merge_mergepath_partition_config_static_selectorELNS0_4arch9wavefront6targetE1EEEvSF_ ; -- Begin function _ZN7rocprim17ROCPRIM_400000_NS6detail17trampoline_kernelINS0_14default_configENS1_38merge_sort_block_merge_config_selectorIjNS0_10empty_typeEEEZZNS1_27merge_sort_block_merge_implIS3_PjPS5_jNS1_19radix_merge_compareILb0ELb0EjNS0_19identity_decomposerEEEEE10hipError_tT0_T1_T2_jT3_P12ihipStream_tbPNSt15iterator_traitsISE_E10value_typeEPNSK_ISF_E10value_typeEPSG_NS1_7vsmem_tEENKUlT_SE_SF_SG_E_clIS8_S8_S9_S9_EESD_ST_SE_SF_SG_EUlST_E_NS1_11comp_targetILNS1_3genE0ELNS1_11target_archE4294967295ELNS1_3gpuE0ELNS1_3repE0EEENS1_48merge_mergepath_partition_config_static_selectorELNS0_4arch9wavefront6targetE1EEEvSF_
	.globl	_ZN7rocprim17ROCPRIM_400000_NS6detail17trampoline_kernelINS0_14default_configENS1_38merge_sort_block_merge_config_selectorIjNS0_10empty_typeEEEZZNS1_27merge_sort_block_merge_implIS3_PjPS5_jNS1_19radix_merge_compareILb0ELb0EjNS0_19identity_decomposerEEEEE10hipError_tT0_T1_T2_jT3_P12ihipStream_tbPNSt15iterator_traitsISE_E10value_typeEPNSK_ISF_E10value_typeEPSG_NS1_7vsmem_tEENKUlT_SE_SF_SG_E_clIS8_S8_S9_S9_EESD_ST_SE_SF_SG_EUlST_E_NS1_11comp_targetILNS1_3genE0ELNS1_11target_archE4294967295ELNS1_3gpuE0ELNS1_3repE0EEENS1_48merge_mergepath_partition_config_static_selectorELNS0_4arch9wavefront6targetE1EEEvSF_
	.p2align	8
	.type	_ZN7rocprim17ROCPRIM_400000_NS6detail17trampoline_kernelINS0_14default_configENS1_38merge_sort_block_merge_config_selectorIjNS0_10empty_typeEEEZZNS1_27merge_sort_block_merge_implIS3_PjPS5_jNS1_19radix_merge_compareILb0ELb0EjNS0_19identity_decomposerEEEEE10hipError_tT0_T1_T2_jT3_P12ihipStream_tbPNSt15iterator_traitsISE_E10value_typeEPNSK_ISF_E10value_typeEPSG_NS1_7vsmem_tEENKUlT_SE_SF_SG_E_clIS8_S8_S9_S9_EESD_ST_SE_SF_SG_EUlST_E_NS1_11comp_targetILNS1_3genE0ELNS1_11target_archE4294967295ELNS1_3gpuE0ELNS1_3repE0EEENS1_48merge_mergepath_partition_config_static_selectorELNS0_4arch9wavefront6targetE1EEEvSF_,@function
_ZN7rocprim17ROCPRIM_400000_NS6detail17trampoline_kernelINS0_14default_configENS1_38merge_sort_block_merge_config_selectorIjNS0_10empty_typeEEEZZNS1_27merge_sort_block_merge_implIS3_PjPS5_jNS1_19radix_merge_compareILb0ELb0EjNS0_19identity_decomposerEEEEE10hipError_tT0_T1_T2_jT3_P12ihipStream_tbPNSt15iterator_traitsISE_E10value_typeEPNSK_ISF_E10value_typeEPSG_NS1_7vsmem_tEENKUlT_SE_SF_SG_E_clIS8_S8_S9_S9_EESD_ST_SE_SF_SG_EUlST_E_NS1_11comp_targetILNS1_3genE0ELNS1_11target_archE4294967295ELNS1_3gpuE0ELNS1_3repE0EEENS1_48merge_mergepath_partition_config_static_selectorELNS0_4arch9wavefront6targetE1EEEvSF_: ; @_ZN7rocprim17ROCPRIM_400000_NS6detail17trampoline_kernelINS0_14default_configENS1_38merge_sort_block_merge_config_selectorIjNS0_10empty_typeEEEZZNS1_27merge_sort_block_merge_implIS3_PjPS5_jNS1_19radix_merge_compareILb0ELb0EjNS0_19identity_decomposerEEEEE10hipError_tT0_T1_T2_jT3_P12ihipStream_tbPNSt15iterator_traitsISE_E10value_typeEPNSK_ISF_E10value_typeEPSG_NS1_7vsmem_tEENKUlT_SE_SF_SG_E_clIS8_S8_S9_S9_EESD_ST_SE_SF_SG_EUlST_E_NS1_11comp_targetILNS1_3genE0ELNS1_11target_archE4294967295ELNS1_3gpuE0ELNS1_3repE0EEENS1_48merge_mergepath_partition_config_static_selectorELNS0_4arch9wavefront6targetE1EEEvSF_
; %bb.0:
	.section	.rodata,"a",@progbits
	.p2align	6, 0x0
	.amdhsa_kernel _ZN7rocprim17ROCPRIM_400000_NS6detail17trampoline_kernelINS0_14default_configENS1_38merge_sort_block_merge_config_selectorIjNS0_10empty_typeEEEZZNS1_27merge_sort_block_merge_implIS3_PjPS5_jNS1_19radix_merge_compareILb0ELb0EjNS0_19identity_decomposerEEEEE10hipError_tT0_T1_T2_jT3_P12ihipStream_tbPNSt15iterator_traitsISE_E10value_typeEPNSK_ISF_E10value_typeEPSG_NS1_7vsmem_tEENKUlT_SE_SF_SG_E_clIS8_S8_S9_S9_EESD_ST_SE_SF_SG_EUlST_E_NS1_11comp_targetILNS1_3genE0ELNS1_11target_archE4294967295ELNS1_3gpuE0ELNS1_3repE0EEENS1_48merge_mergepath_partition_config_static_selectorELNS0_4arch9wavefront6targetE1EEEvSF_
		.amdhsa_group_segment_fixed_size 0
		.amdhsa_private_segment_fixed_size 0
		.amdhsa_kernarg_size 40
		.amdhsa_user_sgpr_count 6
		.amdhsa_user_sgpr_private_segment_buffer 1
		.amdhsa_user_sgpr_dispatch_ptr 0
		.amdhsa_user_sgpr_queue_ptr 0
		.amdhsa_user_sgpr_kernarg_segment_ptr 1
		.amdhsa_user_sgpr_dispatch_id 0
		.amdhsa_user_sgpr_flat_scratch_init 0
		.amdhsa_user_sgpr_kernarg_preload_length 0
		.amdhsa_user_sgpr_kernarg_preload_offset 0
		.amdhsa_user_sgpr_private_segment_size 0
		.amdhsa_uses_dynamic_stack 0
		.amdhsa_system_sgpr_private_segment_wavefront_offset 0
		.amdhsa_system_sgpr_workgroup_id_x 1
		.amdhsa_system_sgpr_workgroup_id_y 0
		.amdhsa_system_sgpr_workgroup_id_z 0
		.amdhsa_system_sgpr_workgroup_info 0
		.amdhsa_system_vgpr_workitem_id 0
		.amdhsa_next_free_vgpr 1
		.amdhsa_next_free_sgpr 0
		.amdhsa_accum_offset 4
		.amdhsa_reserve_vcc 0
		.amdhsa_reserve_flat_scratch 0
		.amdhsa_float_round_mode_32 0
		.amdhsa_float_round_mode_16_64 0
		.amdhsa_float_denorm_mode_32 3
		.amdhsa_float_denorm_mode_16_64 3
		.amdhsa_dx10_clamp 1
		.amdhsa_ieee_mode 1
		.amdhsa_fp16_overflow 0
		.amdhsa_tg_split 0
		.amdhsa_exception_fp_ieee_invalid_op 0
		.amdhsa_exception_fp_denorm_src 0
		.amdhsa_exception_fp_ieee_div_zero 0
		.amdhsa_exception_fp_ieee_overflow 0
		.amdhsa_exception_fp_ieee_underflow 0
		.amdhsa_exception_fp_ieee_inexact 0
		.amdhsa_exception_int_div_zero 0
	.end_amdhsa_kernel
	.section	.text._ZN7rocprim17ROCPRIM_400000_NS6detail17trampoline_kernelINS0_14default_configENS1_38merge_sort_block_merge_config_selectorIjNS0_10empty_typeEEEZZNS1_27merge_sort_block_merge_implIS3_PjPS5_jNS1_19radix_merge_compareILb0ELb0EjNS0_19identity_decomposerEEEEE10hipError_tT0_T1_T2_jT3_P12ihipStream_tbPNSt15iterator_traitsISE_E10value_typeEPNSK_ISF_E10value_typeEPSG_NS1_7vsmem_tEENKUlT_SE_SF_SG_E_clIS8_S8_S9_S9_EESD_ST_SE_SF_SG_EUlST_E_NS1_11comp_targetILNS1_3genE0ELNS1_11target_archE4294967295ELNS1_3gpuE0ELNS1_3repE0EEENS1_48merge_mergepath_partition_config_static_selectorELNS0_4arch9wavefront6targetE1EEEvSF_,"axG",@progbits,_ZN7rocprim17ROCPRIM_400000_NS6detail17trampoline_kernelINS0_14default_configENS1_38merge_sort_block_merge_config_selectorIjNS0_10empty_typeEEEZZNS1_27merge_sort_block_merge_implIS3_PjPS5_jNS1_19radix_merge_compareILb0ELb0EjNS0_19identity_decomposerEEEEE10hipError_tT0_T1_T2_jT3_P12ihipStream_tbPNSt15iterator_traitsISE_E10value_typeEPNSK_ISF_E10value_typeEPSG_NS1_7vsmem_tEENKUlT_SE_SF_SG_E_clIS8_S8_S9_S9_EESD_ST_SE_SF_SG_EUlST_E_NS1_11comp_targetILNS1_3genE0ELNS1_11target_archE4294967295ELNS1_3gpuE0ELNS1_3repE0EEENS1_48merge_mergepath_partition_config_static_selectorELNS0_4arch9wavefront6targetE1EEEvSF_,comdat
.Lfunc_end686:
	.size	_ZN7rocprim17ROCPRIM_400000_NS6detail17trampoline_kernelINS0_14default_configENS1_38merge_sort_block_merge_config_selectorIjNS0_10empty_typeEEEZZNS1_27merge_sort_block_merge_implIS3_PjPS5_jNS1_19radix_merge_compareILb0ELb0EjNS0_19identity_decomposerEEEEE10hipError_tT0_T1_T2_jT3_P12ihipStream_tbPNSt15iterator_traitsISE_E10value_typeEPNSK_ISF_E10value_typeEPSG_NS1_7vsmem_tEENKUlT_SE_SF_SG_E_clIS8_S8_S9_S9_EESD_ST_SE_SF_SG_EUlST_E_NS1_11comp_targetILNS1_3genE0ELNS1_11target_archE4294967295ELNS1_3gpuE0ELNS1_3repE0EEENS1_48merge_mergepath_partition_config_static_selectorELNS0_4arch9wavefront6targetE1EEEvSF_, .Lfunc_end686-_ZN7rocprim17ROCPRIM_400000_NS6detail17trampoline_kernelINS0_14default_configENS1_38merge_sort_block_merge_config_selectorIjNS0_10empty_typeEEEZZNS1_27merge_sort_block_merge_implIS3_PjPS5_jNS1_19radix_merge_compareILb0ELb0EjNS0_19identity_decomposerEEEEE10hipError_tT0_T1_T2_jT3_P12ihipStream_tbPNSt15iterator_traitsISE_E10value_typeEPNSK_ISF_E10value_typeEPSG_NS1_7vsmem_tEENKUlT_SE_SF_SG_E_clIS8_S8_S9_S9_EESD_ST_SE_SF_SG_EUlST_E_NS1_11comp_targetILNS1_3genE0ELNS1_11target_archE4294967295ELNS1_3gpuE0ELNS1_3repE0EEENS1_48merge_mergepath_partition_config_static_selectorELNS0_4arch9wavefront6targetE1EEEvSF_
                                        ; -- End function
	.section	.AMDGPU.csdata,"",@progbits
; Kernel info:
; codeLenInByte = 0
; NumSgprs: 4
; NumVgprs: 0
; NumAgprs: 0
; TotalNumVgprs: 0
; ScratchSize: 0
; MemoryBound: 0
; FloatMode: 240
; IeeeMode: 1
; LDSByteSize: 0 bytes/workgroup (compile time only)
; SGPRBlocks: 0
; VGPRBlocks: 0
; NumSGPRsForWavesPerEU: 4
; NumVGPRsForWavesPerEU: 1
; AccumOffset: 4
; Occupancy: 8
; WaveLimiterHint : 0
; COMPUTE_PGM_RSRC2:SCRATCH_EN: 0
; COMPUTE_PGM_RSRC2:USER_SGPR: 6
; COMPUTE_PGM_RSRC2:TRAP_HANDLER: 0
; COMPUTE_PGM_RSRC2:TGID_X_EN: 1
; COMPUTE_PGM_RSRC2:TGID_Y_EN: 0
; COMPUTE_PGM_RSRC2:TGID_Z_EN: 0
; COMPUTE_PGM_RSRC2:TIDIG_COMP_CNT: 0
; COMPUTE_PGM_RSRC3_GFX90A:ACCUM_OFFSET: 0
; COMPUTE_PGM_RSRC3_GFX90A:TG_SPLIT: 0
	.section	.text._ZN7rocprim17ROCPRIM_400000_NS6detail17trampoline_kernelINS0_14default_configENS1_38merge_sort_block_merge_config_selectorIjNS0_10empty_typeEEEZZNS1_27merge_sort_block_merge_implIS3_PjPS5_jNS1_19radix_merge_compareILb0ELb0EjNS0_19identity_decomposerEEEEE10hipError_tT0_T1_T2_jT3_P12ihipStream_tbPNSt15iterator_traitsISE_E10value_typeEPNSK_ISF_E10value_typeEPSG_NS1_7vsmem_tEENKUlT_SE_SF_SG_E_clIS8_S8_S9_S9_EESD_ST_SE_SF_SG_EUlST_E_NS1_11comp_targetILNS1_3genE10ELNS1_11target_archE1201ELNS1_3gpuE5ELNS1_3repE0EEENS1_48merge_mergepath_partition_config_static_selectorELNS0_4arch9wavefront6targetE1EEEvSF_,"axG",@progbits,_ZN7rocprim17ROCPRIM_400000_NS6detail17trampoline_kernelINS0_14default_configENS1_38merge_sort_block_merge_config_selectorIjNS0_10empty_typeEEEZZNS1_27merge_sort_block_merge_implIS3_PjPS5_jNS1_19radix_merge_compareILb0ELb0EjNS0_19identity_decomposerEEEEE10hipError_tT0_T1_T2_jT3_P12ihipStream_tbPNSt15iterator_traitsISE_E10value_typeEPNSK_ISF_E10value_typeEPSG_NS1_7vsmem_tEENKUlT_SE_SF_SG_E_clIS8_S8_S9_S9_EESD_ST_SE_SF_SG_EUlST_E_NS1_11comp_targetILNS1_3genE10ELNS1_11target_archE1201ELNS1_3gpuE5ELNS1_3repE0EEENS1_48merge_mergepath_partition_config_static_selectorELNS0_4arch9wavefront6targetE1EEEvSF_,comdat
	.protected	_ZN7rocprim17ROCPRIM_400000_NS6detail17trampoline_kernelINS0_14default_configENS1_38merge_sort_block_merge_config_selectorIjNS0_10empty_typeEEEZZNS1_27merge_sort_block_merge_implIS3_PjPS5_jNS1_19radix_merge_compareILb0ELb0EjNS0_19identity_decomposerEEEEE10hipError_tT0_T1_T2_jT3_P12ihipStream_tbPNSt15iterator_traitsISE_E10value_typeEPNSK_ISF_E10value_typeEPSG_NS1_7vsmem_tEENKUlT_SE_SF_SG_E_clIS8_S8_S9_S9_EESD_ST_SE_SF_SG_EUlST_E_NS1_11comp_targetILNS1_3genE10ELNS1_11target_archE1201ELNS1_3gpuE5ELNS1_3repE0EEENS1_48merge_mergepath_partition_config_static_selectorELNS0_4arch9wavefront6targetE1EEEvSF_ ; -- Begin function _ZN7rocprim17ROCPRIM_400000_NS6detail17trampoline_kernelINS0_14default_configENS1_38merge_sort_block_merge_config_selectorIjNS0_10empty_typeEEEZZNS1_27merge_sort_block_merge_implIS3_PjPS5_jNS1_19radix_merge_compareILb0ELb0EjNS0_19identity_decomposerEEEEE10hipError_tT0_T1_T2_jT3_P12ihipStream_tbPNSt15iterator_traitsISE_E10value_typeEPNSK_ISF_E10value_typeEPSG_NS1_7vsmem_tEENKUlT_SE_SF_SG_E_clIS8_S8_S9_S9_EESD_ST_SE_SF_SG_EUlST_E_NS1_11comp_targetILNS1_3genE10ELNS1_11target_archE1201ELNS1_3gpuE5ELNS1_3repE0EEENS1_48merge_mergepath_partition_config_static_selectorELNS0_4arch9wavefront6targetE1EEEvSF_
	.globl	_ZN7rocprim17ROCPRIM_400000_NS6detail17trampoline_kernelINS0_14default_configENS1_38merge_sort_block_merge_config_selectorIjNS0_10empty_typeEEEZZNS1_27merge_sort_block_merge_implIS3_PjPS5_jNS1_19radix_merge_compareILb0ELb0EjNS0_19identity_decomposerEEEEE10hipError_tT0_T1_T2_jT3_P12ihipStream_tbPNSt15iterator_traitsISE_E10value_typeEPNSK_ISF_E10value_typeEPSG_NS1_7vsmem_tEENKUlT_SE_SF_SG_E_clIS8_S8_S9_S9_EESD_ST_SE_SF_SG_EUlST_E_NS1_11comp_targetILNS1_3genE10ELNS1_11target_archE1201ELNS1_3gpuE5ELNS1_3repE0EEENS1_48merge_mergepath_partition_config_static_selectorELNS0_4arch9wavefront6targetE1EEEvSF_
	.p2align	8
	.type	_ZN7rocprim17ROCPRIM_400000_NS6detail17trampoline_kernelINS0_14default_configENS1_38merge_sort_block_merge_config_selectorIjNS0_10empty_typeEEEZZNS1_27merge_sort_block_merge_implIS3_PjPS5_jNS1_19radix_merge_compareILb0ELb0EjNS0_19identity_decomposerEEEEE10hipError_tT0_T1_T2_jT3_P12ihipStream_tbPNSt15iterator_traitsISE_E10value_typeEPNSK_ISF_E10value_typeEPSG_NS1_7vsmem_tEENKUlT_SE_SF_SG_E_clIS8_S8_S9_S9_EESD_ST_SE_SF_SG_EUlST_E_NS1_11comp_targetILNS1_3genE10ELNS1_11target_archE1201ELNS1_3gpuE5ELNS1_3repE0EEENS1_48merge_mergepath_partition_config_static_selectorELNS0_4arch9wavefront6targetE1EEEvSF_,@function
_ZN7rocprim17ROCPRIM_400000_NS6detail17trampoline_kernelINS0_14default_configENS1_38merge_sort_block_merge_config_selectorIjNS0_10empty_typeEEEZZNS1_27merge_sort_block_merge_implIS3_PjPS5_jNS1_19radix_merge_compareILb0ELb0EjNS0_19identity_decomposerEEEEE10hipError_tT0_T1_T2_jT3_P12ihipStream_tbPNSt15iterator_traitsISE_E10value_typeEPNSK_ISF_E10value_typeEPSG_NS1_7vsmem_tEENKUlT_SE_SF_SG_E_clIS8_S8_S9_S9_EESD_ST_SE_SF_SG_EUlST_E_NS1_11comp_targetILNS1_3genE10ELNS1_11target_archE1201ELNS1_3gpuE5ELNS1_3repE0EEENS1_48merge_mergepath_partition_config_static_selectorELNS0_4arch9wavefront6targetE1EEEvSF_: ; @_ZN7rocprim17ROCPRIM_400000_NS6detail17trampoline_kernelINS0_14default_configENS1_38merge_sort_block_merge_config_selectorIjNS0_10empty_typeEEEZZNS1_27merge_sort_block_merge_implIS3_PjPS5_jNS1_19radix_merge_compareILb0ELb0EjNS0_19identity_decomposerEEEEE10hipError_tT0_T1_T2_jT3_P12ihipStream_tbPNSt15iterator_traitsISE_E10value_typeEPNSK_ISF_E10value_typeEPSG_NS1_7vsmem_tEENKUlT_SE_SF_SG_E_clIS8_S8_S9_S9_EESD_ST_SE_SF_SG_EUlST_E_NS1_11comp_targetILNS1_3genE10ELNS1_11target_archE1201ELNS1_3gpuE5ELNS1_3repE0EEENS1_48merge_mergepath_partition_config_static_selectorELNS0_4arch9wavefront6targetE1EEEvSF_
; %bb.0:
	.section	.rodata,"a",@progbits
	.p2align	6, 0x0
	.amdhsa_kernel _ZN7rocprim17ROCPRIM_400000_NS6detail17trampoline_kernelINS0_14default_configENS1_38merge_sort_block_merge_config_selectorIjNS0_10empty_typeEEEZZNS1_27merge_sort_block_merge_implIS3_PjPS5_jNS1_19radix_merge_compareILb0ELb0EjNS0_19identity_decomposerEEEEE10hipError_tT0_T1_T2_jT3_P12ihipStream_tbPNSt15iterator_traitsISE_E10value_typeEPNSK_ISF_E10value_typeEPSG_NS1_7vsmem_tEENKUlT_SE_SF_SG_E_clIS8_S8_S9_S9_EESD_ST_SE_SF_SG_EUlST_E_NS1_11comp_targetILNS1_3genE10ELNS1_11target_archE1201ELNS1_3gpuE5ELNS1_3repE0EEENS1_48merge_mergepath_partition_config_static_selectorELNS0_4arch9wavefront6targetE1EEEvSF_
		.amdhsa_group_segment_fixed_size 0
		.amdhsa_private_segment_fixed_size 0
		.amdhsa_kernarg_size 40
		.amdhsa_user_sgpr_count 6
		.amdhsa_user_sgpr_private_segment_buffer 1
		.amdhsa_user_sgpr_dispatch_ptr 0
		.amdhsa_user_sgpr_queue_ptr 0
		.amdhsa_user_sgpr_kernarg_segment_ptr 1
		.amdhsa_user_sgpr_dispatch_id 0
		.amdhsa_user_sgpr_flat_scratch_init 0
		.amdhsa_user_sgpr_kernarg_preload_length 0
		.amdhsa_user_sgpr_kernarg_preload_offset 0
		.amdhsa_user_sgpr_private_segment_size 0
		.amdhsa_uses_dynamic_stack 0
		.amdhsa_system_sgpr_private_segment_wavefront_offset 0
		.amdhsa_system_sgpr_workgroup_id_x 1
		.amdhsa_system_sgpr_workgroup_id_y 0
		.amdhsa_system_sgpr_workgroup_id_z 0
		.amdhsa_system_sgpr_workgroup_info 0
		.amdhsa_system_vgpr_workitem_id 0
		.amdhsa_next_free_vgpr 1
		.amdhsa_next_free_sgpr 0
		.amdhsa_accum_offset 4
		.amdhsa_reserve_vcc 0
		.amdhsa_reserve_flat_scratch 0
		.amdhsa_float_round_mode_32 0
		.amdhsa_float_round_mode_16_64 0
		.amdhsa_float_denorm_mode_32 3
		.amdhsa_float_denorm_mode_16_64 3
		.amdhsa_dx10_clamp 1
		.amdhsa_ieee_mode 1
		.amdhsa_fp16_overflow 0
		.amdhsa_tg_split 0
		.amdhsa_exception_fp_ieee_invalid_op 0
		.amdhsa_exception_fp_denorm_src 0
		.amdhsa_exception_fp_ieee_div_zero 0
		.amdhsa_exception_fp_ieee_overflow 0
		.amdhsa_exception_fp_ieee_underflow 0
		.amdhsa_exception_fp_ieee_inexact 0
		.amdhsa_exception_int_div_zero 0
	.end_amdhsa_kernel
	.section	.text._ZN7rocprim17ROCPRIM_400000_NS6detail17trampoline_kernelINS0_14default_configENS1_38merge_sort_block_merge_config_selectorIjNS0_10empty_typeEEEZZNS1_27merge_sort_block_merge_implIS3_PjPS5_jNS1_19radix_merge_compareILb0ELb0EjNS0_19identity_decomposerEEEEE10hipError_tT0_T1_T2_jT3_P12ihipStream_tbPNSt15iterator_traitsISE_E10value_typeEPNSK_ISF_E10value_typeEPSG_NS1_7vsmem_tEENKUlT_SE_SF_SG_E_clIS8_S8_S9_S9_EESD_ST_SE_SF_SG_EUlST_E_NS1_11comp_targetILNS1_3genE10ELNS1_11target_archE1201ELNS1_3gpuE5ELNS1_3repE0EEENS1_48merge_mergepath_partition_config_static_selectorELNS0_4arch9wavefront6targetE1EEEvSF_,"axG",@progbits,_ZN7rocprim17ROCPRIM_400000_NS6detail17trampoline_kernelINS0_14default_configENS1_38merge_sort_block_merge_config_selectorIjNS0_10empty_typeEEEZZNS1_27merge_sort_block_merge_implIS3_PjPS5_jNS1_19radix_merge_compareILb0ELb0EjNS0_19identity_decomposerEEEEE10hipError_tT0_T1_T2_jT3_P12ihipStream_tbPNSt15iterator_traitsISE_E10value_typeEPNSK_ISF_E10value_typeEPSG_NS1_7vsmem_tEENKUlT_SE_SF_SG_E_clIS8_S8_S9_S9_EESD_ST_SE_SF_SG_EUlST_E_NS1_11comp_targetILNS1_3genE10ELNS1_11target_archE1201ELNS1_3gpuE5ELNS1_3repE0EEENS1_48merge_mergepath_partition_config_static_selectorELNS0_4arch9wavefront6targetE1EEEvSF_,comdat
.Lfunc_end687:
	.size	_ZN7rocprim17ROCPRIM_400000_NS6detail17trampoline_kernelINS0_14default_configENS1_38merge_sort_block_merge_config_selectorIjNS0_10empty_typeEEEZZNS1_27merge_sort_block_merge_implIS3_PjPS5_jNS1_19radix_merge_compareILb0ELb0EjNS0_19identity_decomposerEEEEE10hipError_tT0_T1_T2_jT3_P12ihipStream_tbPNSt15iterator_traitsISE_E10value_typeEPNSK_ISF_E10value_typeEPSG_NS1_7vsmem_tEENKUlT_SE_SF_SG_E_clIS8_S8_S9_S9_EESD_ST_SE_SF_SG_EUlST_E_NS1_11comp_targetILNS1_3genE10ELNS1_11target_archE1201ELNS1_3gpuE5ELNS1_3repE0EEENS1_48merge_mergepath_partition_config_static_selectorELNS0_4arch9wavefront6targetE1EEEvSF_, .Lfunc_end687-_ZN7rocprim17ROCPRIM_400000_NS6detail17trampoline_kernelINS0_14default_configENS1_38merge_sort_block_merge_config_selectorIjNS0_10empty_typeEEEZZNS1_27merge_sort_block_merge_implIS3_PjPS5_jNS1_19radix_merge_compareILb0ELb0EjNS0_19identity_decomposerEEEEE10hipError_tT0_T1_T2_jT3_P12ihipStream_tbPNSt15iterator_traitsISE_E10value_typeEPNSK_ISF_E10value_typeEPSG_NS1_7vsmem_tEENKUlT_SE_SF_SG_E_clIS8_S8_S9_S9_EESD_ST_SE_SF_SG_EUlST_E_NS1_11comp_targetILNS1_3genE10ELNS1_11target_archE1201ELNS1_3gpuE5ELNS1_3repE0EEENS1_48merge_mergepath_partition_config_static_selectorELNS0_4arch9wavefront6targetE1EEEvSF_
                                        ; -- End function
	.section	.AMDGPU.csdata,"",@progbits
; Kernel info:
; codeLenInByte = 0
; NumSgprs: 4
; NumVgprs: 0
; NumAgprs: 0
; TotalNumVgprs: 0
; ScratchSize: 0
; MemoryBound: 0
; FloatMode: 240
; IeeeMode: 1
; LDSByteSize: 0 bytes/workgroup (compile time only)
; SGPRBlocks: 0
; VGPRBlocks: 0
; NumSGPRsForWavesPerEU: 4
; NumVGPRsForWavesPerEU: 1
; AccumOffset: 4
; Occupancy: 8
; WaveLimiterHint : 0
; COMPUTE_PGM_RSRC2:SCRATCH_EN: 0
; COMPUTE_PGM_RSRC2:USER_SGPR: 6
; COMPUTE_PGM_RSRC2:TRAP_HANDLER: 0
; COMPUTE_PGM_RSRC2:TGID_X_EN: 1
; COMPUTE_PGM_RSRC2:TGID_Y_EN: 0
; COMPUTE_PGM_RSRC2:TGID_Z_EN: 0
; COMPUTE_PGM_RSRC2:TIDIG_COMP_CNT: 0
; COMPUTE_PGM_RSRC3_GFX90A:ACCUM_OFFSET: 0
; COMPUTE_PGM_RSRC3_GFX90A:TG_SPLIT: 0
	.section	.text._ZN7rocprim17ROCPRIM_400000_NS6detail17trampoline_kernelINS0_14default_configENS1_38merge_sort_block_merge_config_selectorIjNS0_10empty_typeEEEZZNS1_27merge_sort_block_merge_implIS3_PjPS5_jNS1_19radix_merge_compareILb0ELb0EjNS0_19identity_decomposerEEEEE10hipError_tT0_T1_T2_jT3_P12ihipStream_tbPNSt15iterator_traitsISE_E10value_typeEPNSK_ISF_E10value_typeEPSG_NS1_7vsmem_tEENKUlT_SE_SF_SG_E_clIS8_S8_S9_S9_EESD_ST_SE_SF_SG_EUlST_E_NS1_11comp_targetILNS1_3genE5ELNS1_11target_archE942ELNS1_3gpuE9ELNS1_3repE0EEENS1_48merge_mergepath_partition_config_static_selectorELNS0_4arch9wavefront6targetE1EEEvSF_,"axG",@progbits,_ZN7rocprim17ROCPRIM_400000_NS6detail17trampoline_kernelINS0_14default_configENS1_38merge_sort_block_merge_config_selectorIjNS0_10empty_typeEEEZZNS1_27merge_sort_block_merge_implIS3_PjPS5_jNS1_19radix_merge_compareILb0ELb0EjNS0_19identity_decomposerEEEEE10hipError_tT0_T1_T2_jT3_P12ihipStream_tbPNSt15iterator_traitsISE_E10value_typeEPNSK_ISF_E10value_typeEPSG_NS1_7vsmem_tEENKUlT_SE_SF_SG_E_clIS8_S8_S9_S9_EESD_ST_SE_SF_SG_EUlST_E_NS1_11comp_targetILNS1_3genE5ELNS1_11target_archE942ELNS1_3gpuE9ELNS1_3repE0EEENS1_48merge_mergepath_partition_config_static_selectorELNS0_4arch9wavefront6targetE1EEEvSF_,comdat
	.protected	_ZN7rocprim17ROCPRIM_400000_NS6detail17trampoline_kernelINS0_14default_configENS1_38merge_sort_block_merge_config_selectorIjNS0_10empty_typeEEEZZNS1_27merge_sort_block_merge_implIS3_PjPS5_jNS1_19radix_merge_compareILb0ELb0EjNS0_19identity_decomposerEEEEE10hipError_tT0_T1_T2_jT3_P12ihipStream_tbPNSt15iterator_traitsISE_E10value_typeEPNSK_ISF_E10value_typeEPSG_NS1_7vsmem_tEENKUlT_SE_SF_SG_E_clIS8_S8_S9_S9_EESD_ST_SE_SF_SG_EUlST_E_NS1_11comp_targetILNS1_3genE5ELNS1_11target_archE942ELNS1_3gpuE9ELNS1_3repE0EEENS1_48merge_mergepath_partition_config_static_selectorELNS0_4arch9wavefront6targetE1EEEvSF_ ; -- Begin function _ZN7rocprim17ROCPRIM_400000_NS6detail17trampoline_kernelINS0_14default_configENS1_38merge_sort_block_merge_config_selectorIjNS0_10empty_typeEEEZZNS1_27merge_sort_block_merge_implIS3_PjPS5_jNS1_19radix_merge_compareILb0ELb0EjNS0_19identity_decomposerEEEEE10hipError_tT0_T1_T2_jT3_P12ihipStream_tbPNSt15iterator_traitsISE_E10value_typeEPNSK_ISF_E10value_typeEPSG_NS1_7vsmem_tEENKUlT_SE_SF_SG_E_clIS8_S8_S9_S9_EESD_ST_SE_SF_SG_EUlST_E_NS1_11comp_targetILNS1_3genE5ELNS1_11target_archE942ELNS1_3gpuE9ELNS1_3repE0EEENS1_48merge_mergepath_partition_config_static_selectorELNS0_4arch9wavefront6targetE1EEEvSF_
	.globl	_ZN7rocprim17ROCPRIM_400000_NS6detail17trampoline_kernelINS0_14default_configENS1_38merge_sort_block_merge_config_selectorIjNS0_10empty_typeEEEZZNS1_27merge_sort_block_merge_implIS3_PjPS5_jNS1_19radix_merge_compareILb0ELb0EjNS0_19identity_decomposerEEEEE10hipError_tT0_T1_T2_jT3_P12ihipStream_tbPNSt15iterator_traitsISE_E10value_typeEPNSK_ISF_E10value_typeEPSG_NS1_7vsmem_tEENKUlT_SE_SF_SG_E_clIS8_S8_S9_S9_EESD_ST_SE_SF_SG_EUlST_E_NS1_11comp_targetILNS1_3genE5ELNS1_11target_archE942ELNS1_3gpuE9ELNS1_3repE0EEENS1_48merge_mergepath_partition_config_static_selectorELNS0_4arch9wavefront6targetE1EEEvSF_
	.p2align	8
	.type	_ZN7rocprim17ROCPRIM_400000_NS6detail17trampoline_kernelINS0_14default_configENS1_38merge_sort_block_merge_config_selectorIjNS0_10empty_typeEEEZZNS1_27merge_sort_block_merge_implIS3_PjPS5_jNS1_19radix_merge_compareILb0ELb0EjNS0_19identity_decomposerEEEEE10hipError_tT0_T1_T2_jT3_P12ihipStream_tbPNSt15iterator_traitsISE_E10value_typeEPNSK_ISF_E10value_typeEPSG_NS1_7vsmem_tEENKUlT_SE_SF_SG_E_clIS8_S8_S9_S9_EESD_ST_SE_SF_SG_EUlST_E_NS1_11comp_targetILNS1_3genE5ELNS1_11target_archE942ELNS1_3gpuE9ELNS1_3repE0EEENS1_48merge_mergepath_partition_config_static_selectorELNS0_4arch9wavefront6targetE1EEEvSF_,@function
_ZN7rocprim17ROCPRIM_400000_NS6detail17trampoline_kernelINS0_14default_configENS1_38merge_sort_block_merge_config_selectorIjNS0_10empty_typeEEEZZNS1_27merge_sort_block_merge_implIS3_PjPS5_jNS1_19radix_merge_compareILb0ELb0EjNS0_19identity_decomposerEEEEE10hipError_tT0_T1_T2_jT3_P12ihipStream_tbPNSt15iterator_traitsISE_E10value_typeEPNSK_ISF_E10value_typeEPSG_NS1_7vsmem_tEENKUlT_SE_SF_SG_E_clIS8_S8_S9_S9_EESD_ST_SE_SF_SG_EUlST_E_NS1_11comp_targetILNS1_3genE5ELNS1_11target_archE942ELNS1_3gpuE9ELNS1_3repE0EEENS1_48merge_mergepath_partition_config_static_selectorELNS0_4arch9wavefront6targetE1EEEvSF_: ; @_ZN7rocprim17ROCPRIM_400000_NS6detail17trampoline_kernelINS0_14default_configENS1_38merge_sort_block_merge_config_selectorIjNS0_10empty_typeEEEZZNS1_27merge_sort_block_merge_implIS3_PjPS5_jNS1_19radix_merge_compareILb0ELb0EjNS0_19identity_decomposerEEEEE10hipError_tT0_T1_T2_jT3_P12ihipStream_tbPNSt15iterator_traitsISE_E10value_typeEPNSK_ISF_E10value_typeEPSG_NS1_7vsmem_tEENKUlT_SE_SF_SG_E_clIS8_S8_S9_S9_EESD_ST_SE_SF_SG_EUlST_E_NS1_11comp_targetILNS1_3genE5ELNS1_11target_archE942ELNS1_3gpuE9ELNS1_3repE0EEENS1_48merge_mergepath_partition_config_static_selectorELNS0_4arch9wavefront6targetE1EEEvSF_
; %bb.0:
	.section	.rodata,"a",@progbits
	.p2align	6, 0x0
	.amdhsa_kernel _ZN7rocprim17ROCPRIM_400000_NS6detail17trampoline_kernelINS0_14default_configENS1_38merge_sort_block_merge_config_selectorIjNS0_10empty_typeEEEZZNS1_27merge_sort_block_merge_implIS3_PjPS5_jNS1_19radix_merge_compareILb0ELb0EjNS0_19identity_decomposerEEEEE10hipError_tT0_T1_T2_jT3_P12ihipStream_tbPNSt15iterator_traitsISE_E10value_typeEPNSK_ISF_E10value_typeEPSG_NS1_7vsmem_tEENKUlT_SE_SF_SG_E_clIS8_S8_S9_S9_EESD_ST_SE_SF_SG_EUlST_E_NS1_11comp_targetILNS1_3genE5ELNS1_11target_archE942ELNS1_3gpuE9ELNS1_3repE0EEENS1_48merge_mergepath_partition_config_static_selectorELNS0_4arch9wavefront6targetE1EEEvSF_
		.amdhsa_group_segment_fixed_size 0
		.amdhsa_private_segment_fixed_size 0
		.amdhsa_kernarg_size 40
		.amdhsa_user_sgpr_count 6
		.amdhsa_user_sgpr_private_segment_buffer 1
		.amdhsa_user_sgpr_dispatch_ptr 0
		.amdhsa_user_sgpr_queue_ptr 0
		.amdhsa_user_sgpr_kernarg_segment_ptr 1
		.amdhsa_user_sgpr_dispatch_id 0
		.amdhsa_user_sgpr_flat_scratch_init 0
		.amdhsa_user_sgpr_kernarg_preload_length 0
		.amdhsa_user_sgpr_kernarg_preload_offset 0
		.amdhsa_user_sgpr_private_segment_size 0
		.amdhsa_uses_dynamic_stack 0
		.amdhsa_system_sgpr_private_segment_wavefront_offset 0
		.amdhsa_system_sgpr_workgroup_id_x 1
		.amdhsa_system_sgpr_workgroup_id_y 0
		.amdhsa_system_sgpr_workgroup_id_z 0
		.amdhsa_system_sgpr_workgroup_info 0
		.amdhsa_system_vgpr_workitem_id 0
		.amdhsa_next_free_vgpr 1
		.amdhsa_next_free_sgpr 0
		.amdhsa_accum_offset 4
		.amdhsa_reserve_vcc 0
		.amdhsa_reserve_flat_scratch 0
		.amdhsa_float_round_mode_32 0
		.amdhsa_float_round_mode_16_64 0
		.amdhsa_float_denorm_mode_32 3
		.amdhsa_float_denorm_mode_16_64 3
		.amdhsa_dx10_clamp 1
		.amdhsa_ieee_mode 1
		.amdhsa_fp16_overflow 0
		.amdhsa_tg_split 0
		.amdhsa_exception_fp_ieee_invalid_op 0
		.amdhsa_exception_fp_denorm_src 0
		.amdhsa_exception_fp_ieee_div_zero 0
		.amdhsa_exception_fp_ieee_overflow 0
		.amdhsa_exception_fp_ieee_underflow 0
		.amdhsa_exception_fp_ieee_inexact 0
		.amdhsa_exception_int_div_zero 0
	.end_amdhsa_kernel
	.section	.text._ZN7rocprim17ROCPRIM_400000_NS6detail17trampoline_kernelINS0_14default_configENS1_38merge_sort_block_merge_config_selectorIjNS0_10empty_typeEEEZZNS1_27merge_sort_block_merge_implIS3_PjPS5_jNS1_19radix_merge_compareILb0ELb0EjNS0_19identity_decomposerEEEEE10hipError_tT0_T1_T2_jT3_P12ihipStream_tbPNSt15iterator_traitsISE_E10value_typeEPNSK_ISF_E10value_typeEPSG_NS1_7vsmem_tEENKUlT_SE_SF_SG_E_clIS8_S8_S9_S9_EESD_ST_SE_SF_SG_EUlST_E_NS1_11comp_targetILNS1_3genE5ELNS1_11target_archE942ELNS1_3gpuE9ELNS1_3repE0EEENS1_48merge_mergepath_partition_config_static_selectorELNS0_4arch9wavefront6targetE1EEEvSF_,"axG",@progbits,_ZN7rocprim17ROCPRIM_400000_NS6detail17trampoline_kernelINS0_14default_configENS1_38merge_sort_block_merge_config_selectorIjNS0_10empty_typeEEEZZNS1_27merge_sort_block_merge_implIS3_PjPS5_jNS1_19radix_merge_compareILb0ELb0EjNS0_19identity_decomposerEEEEE10hipError_tT0_T1_T2_jT3_P12ihipStream_tbPNSt15iterator_traitsISE_E10value_typeEPNSK_ISF_E10value_typeEPSG_NS1_7vsmem_tEENKUlT_SE_SF_SG_E_clIS8_S8_S9_S9_EESD_ST_SE_SF_SG_EUlST_E_NS1_11comp_targetILNS1_3genE5ELNS1_11target_archE942ELNS1_3gpuE9ELNS1_3repE0EEENS1_48merge_mergepath_partition_config_static_selectorELNS0_4arch9wavefront6targetE1EEEvSF_,comdat
.Lfunc_end688:
	.size	_ZN7rocprim17ROCPRIM_400000_NS6detail17trampoline_kernelINS0_14default_configENS1_38merge_sort_block_merge_config_selectorIjNS0_10empty_typeEEEZZNS1_27merge_sort_block_merge_implIS3_PjPS5_jNS1_19radix_merge_compareILb0ELb0EjNS0_19identity_decomposerEEEEE10hipError_tT0_T1_T2_jT3_P12ihipStream_tbPNSt15iterator_traitsISE_E10value_typeEPNSK_ISF_E10value_typeEPSG_NS1_7vsmem_tEENKUlT_SE_SF_SG_E_clIS8_S8_S9_S9_EESD_ST_SE_SF_SG_EUlST_E_NS1_11comp_targetILNS1_3genE5ELNS1_11target_archE942ELNS1_3gpuE9ELNS1_3repE0EEENS1_48merge_mergepath_partition_config_static_selectorELNS0_4arch9wavefront6targetE1EEEvSF_, .Lfunc_end688-_ZN7rocprim17ROCPRIM_400000_NS6detail17trampoline_kernelINS0_14default_configENS1_38merge_sort_block_merge_config_selectorIjNS0_10empty_typeEEEZZNS1_27merge_sort_block_merge_implIS3_PjPS5_jNS1_19radix_merge_compareILb0ELb0EjNS0_19identity_decomposerEEEEE10hipError_tT0_T1_T2_jT3_P12ihipStream_tbPNSt15iterator_traitsISE_E10value_typeEPNSK_ISF_E10value_typeEPSG_NS1_7vsmem_tEENKUlT_SE_SF_SG_E_clIS8_S8_S9_S9_EESD_ST_SE_SF_SG_EUlST_E_NS1_11comp_targetILNS1_3genE5ELNS1_11target_archE942ELNS1_3gpuE9ELNS1_3repE0EEENS1_48merge_mergepath_partition_config_static_selectorELNS0_4arch9wavefront6targetE1EEEvSF_
                                        ; -- End function
	.section	.AMDGPU.csdata,"",@progbits
; Kernel info:
; codeLenInByte = 0
; NumSgprs: 4
; NumVgprs: 0
; NumAgprs: 0
; TotalNumVgprs: 0
; ScratchSize: 0
; MemoryBound: 0
; FloatMode: 240
; IeeeMode: 1
; LDSByteSize: 0 bytes/workgroup (compile time only)
; SGPRBlocks: 0
; VGPRBlocks: 0
; NumSGPRsForWavesPerEU: 4
; NumVGPRsForWavesPerEU: 1
; AccumOffset: 4
; Occupancy: 8
; WaveLimiterHint : 0
; COMPUTE_PGM_RSRC2:SCRATCH_EN: 0
; COMPUTE_PGM_RSRC2:USER_SGPR: 6
; COMPUTE_PGM_RSRC2:TRAP_HANDLER: 0
; COMPUTE_PGM_RSRC2:TGID_X_EN: 1
; COMPUTE_PGM_RSRC2:TGID_Y_EN: 0
; COMPUTE_PGM_RSRC2:TGID_Z_EN: 0
; COMPUTE_PGM_RSRC2:TIDIG_COMP_CNT: 0
; COMPUTE_PGM_RSRC3_GFX90A:ACCUM_OFFSET: 0
; COMPUTE_PGM_RSRC3_GFX90A:TG_SPLIT: 0
	.section	.text._ZN7rocprim17ROCPRIM_400000_NS6detail17trampoline_kernelINS0_14default_configENS1_38merge_sort_block_merge_config_selectorIjNS0_10empty_typeEEEZZNS1_27merge_sort_block_merge_implIS3_PjPS5_jNS1_19radix_merge_compareILb0ELb0EjNS0_19identity_decomposerEEEEE10hipError_tT0_T1_T2_jT3_P12ihipStream_tbPNSt15iterator_traitsISE_E10value_typeEPNSK_ISF_E10value_typeEPSG_NS1_7vsmem_tEENKUlT_SE_SF_SG_E_clIS8_S8_S9_S9_EESD_ST_SE_SF_SG_EUlST_E_NS1_11comp_targetILNS1_3genE4ELNS1_11target_archE910ELNS1_3gpuE8ELNS1_3repE0EEENS1_48merge_mergepath_partition_config_static_selectorELNS0_4arch9wavefront6targetE1EEEvSF_,"axG",@progbits,_ZN7rocprim17ROCPRIM_400000_NS6detail17trampoline_kernelINS0_14default_configENS1_38merge_sort_block_merge_config_selectorIjNS0_10empty_typeEEEZZNS1_27merge_sort_block_merge_implIS3_PjPS5_jNS1_19radix_merge_compareILb0ELb0EjNS0_19identity_decomposerEEEEE10hipError_tT0_T1_T2_jT3_P12ihipStream_tbPNSt15iterator_traitsISE_E10value_typeEPNSK_ISF_E10value_typeEPSG_NS1_7vsmem_tEENKUlT_SE_SF_SG_E_clIS8_S8_S9_S9_EESD_ST_SE_SF_SG_EUlST_E_NS1_11comp_targetILNS1_3genE4ELNS1_11target_archE910ELNS1_3gpuE8ELNS1_3repE0EEENS1_48merge_mergepath_partition_config_static_selectorELNS0_4arch9wavefront6targetE1EEEvSF_,comdat
	.protected	_ZN7rocprim17ROCPRIM_400000_NS6detail17trampoline_kernelINS0_14default_configENS1_38merge_sort_block_merge_config_selectorIjNS0_10empty_typeEEEZZNS1_27merge_sort_block_merge_implIS3_PjPS5_jNS1_19radix_merge_compareILb0ELb0EjNS0_19identity_decomposerEEEEE10hipError_tT0_T1_T2_jT3_P12ihipStream_tbPNSt15iterator_traitsISE_E10value_typeEPNSK_ISF_E10value_typeEPSG_NS1_7vsmem_tEENKUlT_SE_SF_SG_E_clIS8_S8_S9_S9_EESD_ST_SE_SF_SG_EUlST_E_NS1_11comp_targetILNS1_3genE4ELNS1_11target_archE910ELNS1_3gpuE8ELNS1_3repE0EEENS1_48merge_mergepath_partition_config_static_selectorELNS0_4arch9wavefront6targetE1EEEvSF_ ; -- Begin function _ZN7rocprim17ROCPRIM_400000_NS6detail17trampoline_kernelINS0_14default_configENS1_38merge_sort_block_merge_config_selectorIjNS0_10empty_typeEEEZZNS1_27merge_sort_block_merge_implIS3_PjPS5_jNS1_19radix_merge_compareILb0ELb0EjNS0_19identity_decomposerEEEEE10hipError_tT0_T1_T2_jT3_P12ihipStream_tbPNSt15iterator_traitsISE_E10value_typeEPNSK_ISF_E10value_typeEPSG_NS1_7vsmem_tEENKUlT_SE_SF_SG_E_clIS8_S8_S9_S9_EESD_ST_SE_SF_SG_EUlST_E_NS1_11comp_targetILNS1_3genE4ELNS1_11target_archE910ELNS1_3gpuE8ELNS1_3repE0EEENS1_48merge_mergepath_partition_config_static_selectorELNS0_4arch9wavefront6targetE1EEEvSF_
	.globl	_ZN7rocprim17ROCPRIM_400000_NS6detail17trampoline_kernelINS0_14default_configENS1_38merge_sort_block_merge_config_selectorIjNS0_10empty_typeEEEZZNS1_27merge_sort_block_merge_implIS3_PjPS5_jNS1_19radix_merge_compareILb0ELb0EjNS0_19identity_decomposerEEEEE10hipError_tT0_T1_T2_jT3_P12ihipStream_tbPNSt15iterator_traitsISE_E10value_typeEPNSK_ISF_E10value_typeEPSG_NS1_7vsmem_tEENKUlT_SE_SF_SG_E_clIS8_S8_S9_S9_EESD_ST_SE_SF_SG_EUlST_E_NS1_11comp_targetILNS1_3genE4ELNS1_11target_archE910ELNS1_3gpuE8ELNS1_3repE0EEENS1_48merge_mergepath_partition_config_static_selectorELNS0_4arch9wavefront6targetE1EEEvSF_
	.p2align	8
	.type	_ZN7rocprim17ROCPRIM_400000_NS6detail17trampoline_kernelINS0_14default_configENS1_38merge_sort_block_merge_config_selectorIjNS0_10empty_typeEEEZZNS1_27merge_sort_block_merge_implIS3_PjPS5_jNS1_19radix_merge_compareILb0ELb0EjNS0_19identity_decomposerEEEEE10hipError_tT0_T1_T2_jT3_P12ihipStream_tbPNSt15iterator_traitsISE_E10value_typeEPNSK_ISF_E10value_typeEPSG_NS1_7vsmem_tEENKUlT_SE_SF_SG_E_clIS8_S8_S9_S9_EESD_ST_SE_SF_SG_EUlST_E_NS1_11comp_targetILNS1_3genE4ELNS1_11target_archE910ELNS1_3gpuE8ELNS1_3repE0EEENS1_48merge_mergepath_partition_config_static_selectorELNS0_4arch9wavefront6targetE1EEEvSF_,@function
_ZN7rocprim17ROCPRIM_400000_NS6detail17trampoline_kernelINS0_14default_configENS1_38merge_sort_block_merge_config_selectorIjNS0_10empty_typeEEEZZNS1_27merge_sort_block_merge_implIS3_PjPS5_jNS1_19radix_merge_compareILb0ELb0EjNS0_19identity_decomposerEEEEE10hipError_tT0_T1_T2_jT3_P12ihipStream_tbPNSt15iterator_traitsISE_E10value_typeEPNSK_ISF_E10value_typeEPSG_NS1_7vsmem_tEENKUlT_SE_SF_SG_E_clIS8_S8_S9_S9_EESD_ST_SE_SF_SG_EUlST_E_NS1_11comp_targetILNS1_3genE4ELNS1_11target_archE910ELNS1_3gpuE8ELNS1_3repE0EEENS1_48merge_mergepath_partition_config_static_selectorELNS0_4arch9wavefront6targetE1EEEvSF_: ; @_ZN7rocprim17ROCPRIM_400000_NS6detail17trampoline_kernelINS0_14default_configENS1_38merge_sort_block_merge_config_selectorIjNS0_10empty_typeEEEZZNS1_27merge_sort_block_merge_implIS3_PjPS5_jNS1_19radix_merge_compareILb0ELb0EjNS0_19identity_decomposerEEEEE10hipError_tT0_T1_T2_jT3_P12ihipStream_tbPNSt15iterator_traitsISE_E10value_typeEPNSK_ISF_E10value_typeEPSG_NS1_7vsmem_tEENKUlT_SE_SF_SG_E_clIS8_S8_S9_S9_EESD_ST_SE_SF_SG_EUlST_E_NS1_11comp_targetILNS1_3genE4ELNS1_11target_archE910ELNS1_3gpuE8ELNS1_3repE0EEENS1_48merge_mergepath_partition_config_static_selectorELNS0_4arch9wavefront6targetE1EEEvSF_
; %bb.0:
	s_load_dword s0, s[4:5], 0x0
	v_lshl_or_b32 v0, s6, 7, v0
	s_waitcnt lgkmcnt(0)
	v_cmp_gt_u32_e32 vcc, s0, v0
	s_and_saveexec_b64 s[0:1], vcc
	s_cbranch_execz .LBB689_6
; %bb.1:
	s_load_dwordx2 s[2:3], s[4:5], 0x4
	s_load_dwordx2 s[0:1], s[4:5], 0x20
	s_waitcnt lgkmcnt(0)
	s_lshr_b32 s6, s2, 9
	s_and_b32 s6, s6, 0x7ffffe
	s_add_i32 s7, s6, -1
	s_sub_i32 s6, 0, s6
	v_and_b32_e32 v1, s6, v0
	v_lshlrev_b32_e32 v1, 10, v1
	v_min_u32_e32 v2, s3, v1
	v_add_u32_e32 v1, s2, v1
	v_min_u32_e32 v4, s3, v1
	v_add_u32_e32 v1, s2, v4
	v_and_b32_e32 v3, s7, v0
	v_min_u32_e32 v1, s3, v1
	v_sub_u32_e32 v5, v1, v2
	v_lshlrev_b32_e32 v3, 10, v3
	v_min_u32_e32 v6, v5, v3
	v_sub_u32_e32 v3, v4, v2
	v_sub_u32_e32 v1, v1, v4
	v_sub_u32_e64 v1, v6, v1 clamp
	v_min_u32_e32 v7, v6, v3
	v_cmp_lt_u32_e32 vcc, v1, v7
	s_and_saveexec_b64 s[2:3], vcc
	s_cbranch_execz .LBB689_5
; %bb.2:
	s_load_dwordx2 s[4:5], s[4:5], 0x10
	v_mov_b32_e32 v5, 0
	v_mov_b32_e32 v3, v5
	v_lshlrev_b64 v[8:9], 2, v[2:3]
	v_lshlrev_b64 v[10:11], 2, v[4:5]
	s_waitcnt lgkmcnt(0)
	v_mov_b32_e32 v12, s5
	v_add_co_u32_e32 v3, vcc, s4, v8
	v_addc_co_u32_e32 v8, vcc, v12, v9, vcc
	v_add_co_u32_e32 v9, vcc, s4, v10
	v_addc_co_u32_e32 v10, vcc, v12, v11, vcc
	s_mov_b64 s[4:5], 0
.LBB689_3:                              ; =>This Inner Loop Header: Depth=1
	v_add_u32_e32 v4, v7, v1
	v_lshrrev_b32_e32 v4, 1, v4
	v_lshlrev_b64 v[14:15], 2, v[4:5]
	v_mov_b32_e32 v13, v5
	v_xad_u32 v12, v4, -1, v6
	v_add_co_u32_e32 v14, vcc, v3, v14
	v_addc_co_u32_e32 v15, vcc, v8, v15, vcc
	v_lshlrev_b64 v[12:13], 2, v[12:13]
	v_add_co_u32_e32 v12, vcc, v9, v12
	v_addc_co_u32_e32 v13, vcc, v10, v13, vcc
	global_load_dword v11, v[14:15], off
	global_load_dword v16, v[12:13], off
	v_add_u32_e32 v12, 1, v4
	s_waitcnt vmcnt(0)
	v_cmp_gt_u32_e32 vcc, v11, v16
	v_cndmask_b32_e32 v7, v7, v4, vcc
	v_cndmask_b32_e32 v1, v12, v1, vcc
	v_cmp_ge_u32_e32 vcc, v1, v7
	s_or_b64 s[4:5], vcc, s[4:5]
	s_andn2_b64 exec, exec, s[4:5]
	s_cbranch_execnz .LBB689_3
; %bb.4:
	s_or_b64 exec, exec, s[4:5]
.LBB689_5:
	s_or_b64 exec, exec, s[2:3]
	v_add_u32_e32 v2, v1, v2
	v_mov_b32_e32 v1, 0
	v_lshlrev_b64 v[0:1], 2, v[0:1]
	v_mov_b32_e32 v3, s1
	v_add_co_u32_e32 v0, vcc, s0, v0
	v_addc_co_u32_e32 v1, vcc, v3, v1, vcc
	global_store_dword v[0:1], v2, off
.LBB689_6:
	s_endpgm
	.section	.rodata,"a",@progbits
	.p2align	6, 0x0
	.amdhsa_kernel _ZN7rocprim17ROCPRIM_400000_NS6detail17trampoline_kernelINS0_14default_configENS1_38merge_sort_block_merge_config_selectorIjNS0_10empty_typeEEEZZNS1_27merge_sort_block_merge_implIS3_PjPS5_jNS1_19radix_merge_compareILb0ELb0EjNS0_19identity_decomposerEEEEE10hipError_tT0_T1_T2_jT3_P12ihipStream_tbPNSt15iterator_traitsISE_E10value_typeEPNSK_ISF_E10value_typeEPSG_NS1_7vsmem_tEENKUlT_SE_SF_SG_E_clIS8_S8_S9_S9_EESD_ST_SE_SF_SG_EUlST_E_NS1_11comp_targetILNS1_3genE4ELNS1_11target_archE910ELNS1_3gpuE8ELNS1_3repE0EEENS1_48merge_mergepath_partition_config_static_selectorELNS0_4arch9wavefront6targetE1EEEvSF_
		.amdhsa_group_segment_fixed_size 0
		.amdhsa_private_segment_fixed_size 0
		.amdhsa_kernarg_size 40
		.amdhsa_user_sgpr_count 6
		.amdhsa_user_sgpr_private_segment_buffer 1
		.amdhsa_user_sgpr_dispatch_ptr 0
		.amdhsa_user_sgpr_queue_ptr 0
		.amdhsa_user_sgpr_kernarg_segment_ptr 1
		.amdhsa_user_sgpr_dispatch_id 0
		.amdhsa_user_sgpr_flat_scratch_init 0
		.amdhsa_user_sgpr_kernarg_preload_length 0
		.amdhsa_user_sgpr_kernarg_preload_offset 0
		.amdhsa_user_sgpr_private_segment_size 0
		.amdhsa_uses_dynamic_stack 0
		.amdhsa_system_sgpr_private_segment_wavefront_offset 0
		.amdhsa_system_sgpr_workgroup_id_x 1
		.amdhsa_system_sgpr_workgroup_id_y 0
		.amdhsa_system_sgpr_workgroup_id_z 0
		.amdhsa_system_sgpr_workgroup_info 0
		.amdhsa_system_vgpr_workitem_id 0
		.amdhsa_next_free_vgpr 17
		.amdhsa_next_free_sgpr 8
		.amdhsa_accum_offset 20
		.amdhsa_reserve_vcc 1
		.amdhsa_reserve_flat_scratch 0
		.amdhsa_float_round_mode_32 0
		.amdhsa_float_round_mode_16_64 0
		.amdhsa_float_denorm_mode_32 3
		.amdhsa_float_denorm_mode_16_64 3
		.amdhsa_dx10_clamp 1
		.amdhsa_ieee_mode 1
		.amdhsa_fp16_overflow 0
		.amdhsa_tg_split 0
		.amdhsa_exception_fp_ieee_invalid_op 0
		.amdhsa_exception_fp_denorm_src 0
		.amdhsa_exception_fp_ieee_div_zero 0
		.amdhsa_exception_fp_ieee_overflow 0
		.amdhsa_exception_fp_ieee_underflow 0
		.amdhsa_exception_fp_ieee_inexact 0
		.amdhsa_exception_int_div_zero 0
	.end_amdhsa_kernel
	.section	.text._ZN7rocprim17ROCPRIM_400000_NS6detail17trampoline_kernelINS0_14default_configENS1_38merge_sort_block_merge_config_selectorIjNS0_10empty_typeEEEZZNS1_27merge_sort_block_merge_implIS3_PjPS5_jNS1_19radix_merge_compareILb0ELb0EjNS0_19identity_decomposerEEEEE10hipError_tT0_T1_T2_jT3_P12ihipStream_tbPNSt15iterator_traitsISE_E10value_typeEPNSK_ISF_E10value_typeEPSG_NS1_7vsmem_tEENKUlT_SE_SF_SG_E_clIS8_S8_S9_S9_EESD_ST_SE_SF_SG_EUlST_E_NS1_11comp_targetILNS1_3genE4ELNS1_11target_archE910ELNS1_3gpuE8ELNS1_3repE0EEENS1_48merge_mergepath_partition_config_static_selectorELNS0_4arch9wavefront6targetE1EEEvSF_,"axG",@progbits,_ZN7rocprim17ROCPRIM_400000_NS6detail17trampoline_kernelINS0_14default_configENS1_38merge_sort_block_merge_config_selectorIjNS0_10empty_typeEEEZZNS1_27merge_sort_block_merge_implIS3_PjPS5_jNS1_19radix_merge_compareILb0ELb0EjNS0_19identity_decomposerEEEEE10hipError_tT0_T1_T2_jT3_P12ihipStream_tbPNSt15iterator_traitsISE_E10value_typeEPNSK_ISF_E10value_typeEPSG_NS1_7vsmem_tEENKUlT_SE_SF_SG_E_clIS8_S8_S9_S9_EESD_ST_SE_SF_SG_EUlST_E_NS1_11comp_targetILNS1_3genE4ELNS1_11target_archE910ELNS1_3gpuE8ELNS1_3repE0EEENS1_48merge_mergepath_partition_config_static_selectorELNS0_4arch9wavefront6targetE1EEEvSF_,comdat
.Lfunc_end689:
	.size	_ZN7rocprim17ROCPRIM_400000_NS6detail17trampoline_kernelINS0_14default_configENS1_38merge_sort_block_merge_config_selectorIjNS0_10empty_typeEEEZZNS1_27merge_sort_block_merge_implIS3_PjPS5_jNS1_19radix_merge_compareILb0ELb0EjNS0_19identity_decomposerEEEEE10hipError_tT0_T1_T2_jT3_P12ihipStream_tbPNSt15iterator_traitsISE_E10value_typeEPNSK_ISF_E10value_typeEPSG_NS1_7vsmem_tEENKUlT_SE_SF_SG_E_clIS8_S8_S9_S9_EESD_ST_SE_SF_SG_EUlST_E_NS1_11comp_targetILNS1_3genE4ELNS1_11target_archE910ELNS1_3gpuE8ELNS1_3repE0EEENS1_48merge_mergepath_partition_config_static_selectorELNS0_4arch9wavefront6targetE1EEEvSF_, .Lfunc_end689-_ZN7rocprim17ROCPRIM_400000_NS6detail17trampoline_kernelINS0_14default_configENS1_38merge_sort_block_merge_config_selectorIjNS0_10empty_typeEEEZZNS1_27merge_sort_block_merge_implIS3_PjPS5_jNS1_19radix_merge_compareILb0ELb0EjNS0_19identity_decomposerEEEEE10hipError_tT0_T1_T2_jT3_P12ihipStream_tbPNSt15iterator_traitsISE_E10value_typeEPNSK_ISF_E10value_typeEPSG_NS1_7vsmem_tEENKUlT_SE_SF_SG_E_clIS8_S8_S9_S9_EESD_ST_SE_SF_SG_EUlST_E_NS1_11comp_targetILNS1_3genE4ELNS1_11target_archE910ELNS1_3gpuE8ELNS1_3repE0EEENS1_48merge_mergepath_partition_config_static_selectorELNS0_4arch9wavefront6targetE1EEEvSF_
                                        ; -- End function
	.section	.AMDGPU.csdata,"",@progbits
; Kernel info:
; codeLenInByte = 360
; NumSgprs: 12
; NumVgprs: 17
; NumAgprs: 0
; TotalNumVgprs: 17
; ScratchSize: 0
; MemoryBound: 0
; FloatMode: 240
; IeeeMode: 1
; LDSByteSize: 0 bytes/workgroup (compile time only)
; SGPRBlocks: 1
; VGPRBlocks: 2
; NumSGPRsForWavesPerEU: 12
; NumVGPRsForWavesPerEU: 17
; AccumOffset: 20
; Occupancy: 8
; WaveLimiterHint : 0
; COMPUTE_PGM_RSRC2:SCRATCH_EN: 0
; COMPUTE_PGM_RSRC2:USER_SGPR: 6
; COMPUTE_PGM_RSRC2:TRAP_HANDLER: 0
; COMPUTE_PGM_RSRC2:TGID_X_EN: 1
; COMPUTE_PGM_RSRC2:TGID_Y_EN: 0
; COMPUTE_PGM_RSRC2:TGID_Z_EN: 0
; COMPUTE_PGM_RSRC2:TIDIG_COMP_CNT: 0
; COMPUTE_PGM_RSRC3_GFX90A:ACCUM_OFFSET: 4
; COMPUTE_PGM_RSRC3_GFX90A:TG_SPLIT: 0
	.section	.text._ZN7rocprim17ROCPRIM_400000_NS6detail17trampoline_kernelINS0_14default_configENS1_38merge_sort_block_merge_config_selectorIjNS0_10empty_typeEEEZZNS1_27merge_sort_block_merge_implIS3_PjPS5_jNS1_19radix_merge_compareILb0ELb0EjNS0_19identity_decomposerEEEEE10hipError_tT0_T1_T2_jT3_P12ihipStream_tbPNSt15iterator_traitsISE_E10value_typeEPNSK_ISF_E10value_typeEPSG_NS1_7vsmem_tEENKUlT_SE_SF_SG_E_clIS8_S8_S9_S9_EESD_ST_SE_SF_SG_EUlST_E_NS1_11comp_targetILNS1_3genE3ELNS1_11target_archE908ELNS1_3gpuE7ELNS1_3repE0EEENS1_48merge_mergepath_partition_config_static_selectorELNS0_4arch9wavefront6targetE1EEEvSF_,"axG",@progbits,_ZN7rocprim17ROCPRIM_400000_NS6detail17trampoline_kernelINS0_14default_configENS1_38merge_sort_block_merge_config_selectorIjNS0_10empty_typeEEEZZNS1_27merge_sort_block_merge_implIS3_PjPS5_jNS1_19radix_merge_compareILb0ELb0EjNS0_19identity_decomposerEEEEE10hipError_tT0_T1_T2_jT3_P12ihipStream_tbPNSt15iterator_traitsISE_E10value_typeEPNSK_ISF_E10value_typeEPSG_NS1_7vsmem_tEENKUlT_SE_SF_SG_E_clIS8_S8_S9_S9_EESD_ST_SE_SF_SG_EUlST_E_NS1_11comp_targetILNS1_3genE3ELNS1_11target_archE908ELNS1_3gpuE7ELNS1_3repE0EEENS1_48merge_mergepath_partition_config_static_selectorELNS0_4arch9wavefront6targetE1EEEvSF_,comdat
	.protected	_ZN7rocprim17ROCPRIM_400000_NS6detail17trampoline_kernelINS0_14default_configENS1_38merge_sort_block_merge_config_selectorIjNS0_10empty_typeEEEZZNS1_27merge_sort_block_merge_implIS3_PjPS5_jNS1_19radix_merge_compareILb0ELb0EjNS0_19identity_decomposerEEEEE10hipError_tT0_T1_T2_jT3_P12ihipStream_tbPNSt15iterator_traitsISE_E10value_typeEPNSK_ISF_E10value_typeEPSG_NS1_7vsmem_tEENKUlT_SE_SF_SG_E_clIS8_S8_S9_S9_EESD_ST_SE_SF_SG_EUlST_E_NS1_11comp_targetILNS1_3genE3ELNS1_11target_archE908ELNS1_3gpuE7ELNS1_3repE0EEENS1_48merge_mergepath_partition_config_static_selectorELNS0_4arch9wavefront6targetE1EEEvSF_ ; -- Begin function _ZN7rocprim17ROCPRIM_400000_NS6detail17trampoline_kernelINS0_14default_configENS1_38merge_sort_block_merge_config_selectorIjNS0_10empty_typeEEEZZNS1_27merge_sort_block_merge_implIS3_PjPS5_jNS1_19radix_merge_compareILb0ELb0EjNS0_19identity_decomposerEEEEE10hipError_tT0_T1_T2_jT3_P12ihipStream_tbPNSt15iterator_traitsISE_E10value_typeEPNSK_ISF_E10value_typeEPSG_NS1_7vsmem_tEENKUlT_SE_SF_SG_E_clIS8_S8_S9_S9_EESD_ST_SE_SF_SG_EUlST_E_NS1_11comp_targetILNS1_3genE3ELNS1_11target_archE908ELNS1_3gpuE7ELNS1_3repE0EEENS1_48merge_mergepath_partition_config_static_selectorELNS0_4arch9wavefront6targetE1EEEvSF_
	.globl	_ZN7rocprim17ROCPRIM_400000_NS6detail17trampoline_kernelINS0_14default_configENS1_38merge_sort_block_merge_config_selectorIjNS0_10empty_typeEEEZZNS1_27merge_sort_block_merge_implIS3_PjPS5_jNS1_19radix_merge_compareILb0ELb0EjNS0_19identity_decomposerEEEEE10hipError_tT0_T1_T2_jT3_P12ihipStream_tbPNSt15iterator_traitsISE_E10value_typeEPNSK_ISF_E10value_typeEPSG_NS1_7vsmem_tEENKUlT_SE_SF_SG_E_clIS8_S8_S9_S9_EESD_ST_SE_SF_SG_EUlST_E_NS1_11comp_targetILNS1_3genE3ELNS1_11target_archE908ELNS1_3gpuE7ELNS1_3repE0EEENS1_48merge_mergepath_partition_config_static_selectorELNS0_4arch9wavefront6targetE1EEEvSF_
	.p2align	8
	.type	_ZN7rocprim17ROCPRIM_400000_NS6detail17trampoline_kernelINS0_14default_configENS1_38merge_sort_block_merge_config_selectorIjNS0_10empty_typeEEEZZNS1_27merge_sort_block_merge_implIS3_PjPS5_jNS1_19radix_merge_compareILb0ELb0EjNS0_19identity_decomposerEEEEE10hipError_tT0_T1_T2_jT3_P12ihipStream_tbPNSt15iterator_traitsISE_E10value_typeEPNSK_ISF_E10value_typeEPSG_NS1_7vsmem_tEENKUlT_SE_SF_SG_E_clIS8_S8_S9_S9_EESD_ST_SE_SF_SG_EUlST_E_NS1_11comp_targetILNS1_3genE3ELNS1_11target_archE908ELNS1_3gpuE7ELNS1_3repE0EEENS1_48merge_mergepath_partition_config_static_selectorELNS0_4arch9wavefront6targetE1EEEvSF_,@function
_ZN7rocprim17ROCPRIM_400000_NS6detail17trampoline_kernelINS0_14default_configENS1_38merge_sort_block_merge_config_selectorIjNS0_10empty_typeEEEZZNS1_27merge_sort_block_merge_implIS3_PjPS5_jNS1_19radix_merge_compareILb0ELb0EjNS0_19identity_decomposerEEEEE10hipError_tT0_T1_T2_jT3_P12ihipStream_tbPNSt15iterator_traitsISE_E10value_typeEPNSK_ISF_E10value_typeEPSG_NS1_7vsmem_tEENKUlT_SE_SF_SG_E_clIS8_S8_S9_S9_EESD_ST_SE_SF_SG_EUlST_E_NS1_11comp_targetILNS1_3genE3ELNS1_11target_archE908ELNS1_3gpuE7ELNS1_3repE0EEENS1_48merge_mergepath_partition_config_static_selectorELNS0_4arch9wavefront6targetE1EEEvSF_: ; @_ZN7rocprim17ROCPRIM_400000_NS6detail17trampoline_kernelINS0_14default_configENS1_38merge_sort_block_merge_config_selectorIjNS0_10empty_typeEEEZZNS1_27merge_sort_block_merge_implIS3_PjPS5_jNS1_19radix_merge_compareILb0ELb0EjNS0_19identity_decomposerEEEEE10hipError_tT0_T1_T2_jT3_P12ihipStream_tbPNSt15iterator_traitsISE_E10value_typeEPNSK_ISF_E10value_typeEPSG_NS1_7vsmem_tEENKUlT_SE_SF_SG_E_clIS8_S8_S9_S9_EESD_ST_SE_SF_SG_EUlST_E_NS1_11comp_targetILNS1_3genE3ELNS1_11target_archE908ELNS1_3gpuE7ELNS1_3repE0EEENS1_48merge_mergepath_partition_config_static_selectorELNS0_4arch9wavefront6targetE1EEEvSF_
; %bb.0:
	.section	.rodata,"a",@progbits
	.p2align	6, 0x0
	.amdhsa_kernel _ZN7rocprim17ROCPRIM_400000_NS6detail17trampoline_kernelINS0_14default_configENS1_38merge_sort_block_merge_config_selectorIjNS0_10empty_typeEEEZZNS1_27merge_sort_block_merge_implIS3_PjPS5_jNS1_19radix_merge_compareILb0ELb0EjNS0_19identity_decomposerEEEEE10hipError_tT0_T1_T2_jT3_P12ihipStream_tbPNSt15iterator_traitsISE_E10value_typeEPNSK_ISF_E10value_typeEPSG_NS1_7vsmem_tEENKUlT_SE_SF_SG_E_clIS8_S8_S9_S9_EESD_ST_SE_SF_SG_EUlST_E_NS1_11comp_targetILNS1_3genE3ELNS1_11target_archE908ELNS1_3gpuE7ELNS1_3repE0EEENS1_48merge_mergepath_partition_config_static_selectorELNS0_4arch9wavefront6targetE1EEEvSF_
		.amdhsa_group_segment_fixed_size 0
		.amdhsa_private_segment_fixed_size 0
		.amdhsa_kernarg_size 40
		.amdhsa_user_sgpr_count 6
		.amdhsa_user_sgpr_private_segment_buffer 1
		.amdhsa_user_sgpr_dispatch_ptr 0
		.amdhsa_user_sgpr_queue_ptr 0
		.amdhsa_user_sgpr_kernarg_segment_ptr 1
		.amdhsa_user_sgpr_dispatch_id 0
		.amdhsa_user_sgpr_flat_scratch_init 0
		.amdhsa_user_sgpr_kernarg_preload_length 0
		.amdhsa_user_sgpr_kernarg_preload_offset 0
		.amdhsa_user_sgpr_private_segment_size 0
		.amdhsa_uses_dynamic_stack 0
		.amdhsa_system_sgpr_private_segment_wavefront_offset 0
		.amdhsa_system_sgpr_workgroup_id_x 1
		.amdhsa_system_sgpr_workgroup_id_y 0
		.amdhsa_system_sgpr_workgroup_id_z 0
		.amdhsa_system_sgpr_workgroup_info 0
		.amdhsa_system_vgpr_workitem_id 0
		.amdhsa_next_free_vgpr 1
		.amdhsa_next_free_sgpr 0
		.amdhsa_accum_offset 4
		.amdhsa_reserve_vcc 0
		.amdhsa_reserve_flat_scratch 0
		.amdhsa_float_round_mode_32 0
		.amdhsa_float_round_mode_16_64 0
		.amdhsa_float_denorm_mode_32 3
		.amdhsa_float_denorm_mode_16_64 3
		.amdhsa_dx10_clamp 1
		.amdhsa_ieee_mode 1
		.amdhsa_fp16_overflow 0
		.amdhsa_tg_split 0
		.amdhsa_exception_fp_ieee_invalid_op 0
		.amdhsa_exception_fp_denorm_src 0
		.amdhsa_exception_fp_ieee_div_zero 0
		.amdhsa_exception_fp_ieee_overflow 0
		.amdhsa_exception_fp_ieee_underflow 0
		.amdhsa_exception_fp_ieee_inexact 0
		.amdhsa_exception_int_div_zero 0
	.end_amdhsa_kernel
	.section	.text._ZN7rocprim17ROCPRIM_400000_NS6detail17trampoline_kernelINS0_14default_configENS1_38merge_sort_block_merge_config_selectorIjNS0_10empty_typeEEEZZNS1_27merge_sort_block_merge_implIS3_PjPS5_jNS1_19radix_merge_compareILb0ELb0EjNS0_19identity_decomposerEEEEE10hipError_tT0_T1_T2_jT3_P12ihipStream_tbPNSt15iterator_traitsISE_E10value_typeEPNSK_ISF_E10value_typeEPSG_NS1_7vsmem_tEENKUlT_SE_SF_SG_E_clIS8_S8_S9_S9_EESD_ST_SE_SF_SG_EUlST_E_NS1_11comp_targetILNS1_3genE3ELNS1_11target_archE908ELNS1_3gpuE7ELNS1_3repE0EEENS1_48merge_mergepath_partition_config_static_selectorELNS0_4arch9wavefront6targetE1EEEvSF_,"axG",@progbits,_ZN7rocprim17ROCPRIM_400000_NS6detail17trampoline_kernelINS0_14default_configENS1_38merge_sort_block_merge_config_selectorIjNS0_10empty_typeEEEZZNS1_27merge_sort_block_merge_implIS3_PjPS5_jNS1_19radix_merge_compareILb0ELb0EjNS0_19identity_decomposerEEEEE10hipError_tT0_T1_T2_jT3_P12ihipStream_tbPNSt15iterator_traitsISE_E10value_typeEPNSK_ISF_E10value_typeEPSG_NS1_7vsmem_tEENKUlT_SE_SF_SG_E_clIS8_S8_S9_S9_EESD_ST_SE_SF_SG_EUlST_E_NS1_11comp_targetILNS1_3genE3ELNS1_11target_archE908ELNS1_3gpuE7ELNS1_3repE0EEENS1_48merge_mergepath_partition_config_static_selectorELNS0_4arch9wavefront6targetE1EEEvSF_,comdat
.Lfunc_end690:
	.size	_ZN7rocprim17ROCPRIM_400000_NS6detail17trampoline_kernelINS0_14default_configENS1_38merge_sort_block_merge_config_selectorIjNS0_10empty_typeEEEZZNS1_27merge_sort_block_merge_implIS3_PjPS5_jNS1_19radix_merge_compareILb0ELb0EjNS0_19identity_decomposerEEEEE10hipError_tT0_T1_T2_jT3_P12ihipStream_tbPNSt15iterator_traitsISE_E10value_typeEPNSK_ISF_E10value_typeEPSG_NS1_7vsmem_tEENKUlT_SE_SF_SG_E_clIS8_S8_S9_S9_EESD_ST_SE_SF_SG_EUlST_E_NS1_11comp_targetILNS1_3genE3ELNS1_11target_archE908ELNS1_3gpuE7ELNS1_3repE0EEENS1_48merge_mergepath_partition_config_static_selectorELNS0_4arch9wavefront6targetE1EEEvSF_, .Lfunc_end690-_ZN7rocprim17ROCPRIM_400000_NS6detail17trampoline_kernelINS0_14default_configENS1_38merge_sort_block_merge_config_selectorIjNS0_10empty_typeEEEZZNS1_27merge_sort_block_merge_implIS3_PjPS5_jNS1_19radix_merge_compareILb0ELb0EjNS0_19identity_decomposerEEEEE10hipError_tT0_T1_T2_jT3_P12ihipStream_tbPNSt15iterator_traitsISE_E10value_typeEPNSK_ISF_E10value_typeEPSG_NS1_7vsmem_tEENKUlT_SE_SF_SG_E_clIS8_S8_S9_S9_EESD_ST_SE_SF_SG_EUlST_E_NS1_11comp_targetILNS1_3genE3ELNS1_11target_archE908ELNS1_3gpuE7ELNS1_3repE0EEENS1_48merge_mergepath_partition_config_static_selectorELNS0_4arch9wavefront6targetE1EEEvSF_
                                        ; -- End function
	.section	.AMDGPU.csdata,"",@progbits
; Kernel info:
; codeLenInByte = 0
; NumSgprs: 4
; NumVgprs: 0
; NumAgprs: 0
; TotalNumVgprs: 0
; ScratchSize: 0
; MemoryBound: 0
; FloatMode: 240
; IeeeMode: 1
; LDSByteSize: 0 bytes/workgroup (compile time only)
; SGPRBlocks: 0
; VGPRBlocks: 0
; NumSGPRsForWavesPerEU: 4
; NumVGPRsForWavesPerEU: 1
; AccumOffset: 4
; Occupancy: 8
; WaveLimiterHint : 0
; COMPUTE_PGM_RSRC2:SCRATCH_EN: 0
; COMPUTE_PGM_RSRC2:USER_SGPR: 6
; COMPUTE_PGM_RSRC2:TRAP_HANDLER: 0
; COMPUTE_PGM_RSRC2:TGID_X_EN: 1
; COMPUTE_PGM_RSRC2:TGID_Y_EN: 0
; COMPUTE_PGM_RSRC2:TGID_Z_EN: 0
; COMPUTE_PGM_RSRC2:TIDIG_COMP_CNT: 0
; COMPUTE_PGM_RSRC3_GFX90A:ACCUM_OFFSET: 0
; COMPUTE_PGM_RSRC3_GFX90A:TG_SPLIT: 0
	.section	.text._ZN7rocprim17ROCPRIM_400000_NS6detail17trampoline_kernelINS0_14default_configENS1_38merge_sort_block_merge_config_selectorIjNS0_10empty_typeEEEZZNS1_27merge_sort_block_merge_implIS3_PjPS5_jNS1_19radix_merge_compareILb0ELb0EjNS0_19identity_decomposerEEEEE10hipError_tT0_T1_T2_jT3_P12ihipStream_tbPNSt15iterator_traitsISE_E10value_typeEPNSK_ISF_E10value_typeEPSG_NS1_7vsmem_tEENKUlT_SE_SF_SG_E_clIS8_S8_S9_S9_EESD_ST_SE_SF_SG_EUlST_E_NS1_11comp_targetILNS1_3genE2ELNS1_11target_archE906ELNS1_3gpuE6ELNS1_3repE0EEENS1_48merge_mergepath_partition_config_static_selectorELNS0_4arch9wavefront6targetE1EEEvSF_,"axG",@progbits,_ZN7rocprim17ROCPRIM_400000_NS6detail17trampoline_kernelINS0_14default_configENS1_38merge_sort_block_merge_config_selectorIjNS0_10empty_typeEEEZZNS1_27merge_sort_block_merge_implIS3_PjPS5_jNS1_19radix_merge_compareILb0ELb0EjNS0_19identity_decomposerEEEEE10hipError_tT0_T1_T2_jT3_P12ihipStream_tbPNSt15iterator_traitsISE_E10value_typeEPNSK_ISF_E10value_typeEPSG_NS1_7vsmem_tEENKUlT_SE_SF_SG_E_clIS8_S8_S9_S9_EESD_ST_SE_SF_SG_EUlST_E_NS1_11comp_targetILNS1_3genE2ELNS1_11target_archE906ELNS1_3gpuE6ELNS1_3repE0EEENS1_48merge_mergepath_partition_config_static_selectorELNS0_4arch9wavefront6targetE1EEEvSF_,comdat
	.protected	_ZN7rocprim17ROCPRIM_400000_NS6detail17trampoline_kernelINS0_14default_configENS1_38merge_sort_block_merge_config_selectorIjNS0_10empty_typeEEEZZNS1_27merge_sort_block_merge_implIS3_PjPS5_jNS1_19radix_merge_compareILb0ELb0EjNS0_19identity_decomposerEEEEE10hipError_tT0_T1_T2_jT3_P12ihipStream_tbPNSt15iterator_traitsISE_E10value_typeEPNSK_ISF_E10value_typeEPSG_NS1_7vsmem_tEENKUlT_SE_SF_SG_E_clIS8_S8_S9_S9_EESD_ST_SE_SF_SG_EUlST_E_NS1_11comp_targetILNS1_3genE2ELNS1_11target_archE906ELNS1_3gpuE6ELNS1_3repE0EEENS1_48merge_mergepath_partition_config_static_selectorELNS0_4arch9wavefront6targetE1EEEvSF_ ; -- Begin function _ZN7rocprim17ROCPRIM_400000_NS6detail17trampoline_kernelINS0_14default_configENS1_38merge_sort_block_merge_config_selectorIjNS0_10empty_typeEEEZZNS1_27merge_sort_block_merge_implIS3_PjPS5_jNS1_19radix_merge_compareILb0ELb0EjNS0_19identity_decomposerEEEEE10hipError_tT0_T1_T2_jT3_P12ihipStream_tbPNSt15iterator_traitsISE_E10value_typeEPNSK_ISF_E10value_typeEPSG_NS1_7vsmem_tEENKUlT_SE_SF_SG_E_clIS8_S8_S9_S9_EESD_ST_SE_SF_SG_EUlST_E_NS1_11comp_targetILNS1_3genE2ELNS1_11target_archE906ELNS1_3gpuE6ELNS1_3repE0EEENS1_48merge_mergepath_partition_config_static_selectorELNS0_4arch9wavefront6targetE1EEEvSF_
	.globl	_ZN7rocprim17ROCPRIM_400000_NS6detail17trampoline_kernelINS0_14default_configENS1_38merge_sort_block_merge_config_selectorIjNS0_10empty_typeEEEZZNS1_27merge_sort_block_merge_implIS3_PjPS5_jNS1_19radix_merge_compareILb0ELb0EjNS0_19identity_decomposerEEEEE10hipError_tT0_T1_T2_jT3_P12ihipStream_tbPNSt15iterator_traitsISE_E10value_typeEPNSK_ISF_E10value_typeEPSG_NS1_7vsmem_tEENKUlT_SE_SF_SG_E_clIS8_S8_S9_S9_EESD_ST_SE_SF_SG_EUlST_E_NS1_11comp_targetILNS1_3genE2ELNS1_11target_archE906ELNS1_3gpuE6ELNS1_3repE0EEENS1_48merge_mergepath_partition_config_static_selectorELNS0_4arch9wavefront6targetE1EEEvSF_
	.p2align	8
	.type	_ZN7rocprim17ROCPRIM_400000_NS6detail17trampoline_kernelINS0_14default_configENS1_38merge_sort_block_merge_config_selectorIjNS0_10empty_typeEEEZZNS1_27merge_sort_block_merge_implIS3_PjPS5_jNS1_19radix_merge_compareILb0ELb0EjNS0_19identity_decomposerEEEEE10hipError_tT0_T1_T2_jT3_P12ihipStream_tbPNSt15iterator_traitsISE_E10value_typeEPNSK_ISF_E10value_typeEPSG_NS1_7vsmem_tEENKUlT_SE_SF_SG_E_clIS8_S8_S9_S9_EESD_ST_SE_SF_SG_EUlST_E_NS1_11comp_targetILNS1_3genE2ELNS1_11target_archE906ELNS1_3gpuE6ELNS1_3repE0EEENS1_48merge_mergepath_partition_config_static_selectorELNS0_4arch9wavefront6targetE1EEEvSF_,@function
_ZN7rocprim17ROCPRIM_400000_NS6detail17trampoline_kernelINS0_14default_configENS1_38merge_sort_block_merge_config_selectorIjNS0_10empty_typeEEEZZNS1_27merge_sort_block_merge_implIS3_PjPS5_jNS1_19radix_merge_compareILb0ELb0EjNS0_19identity_decomposerEEEEE10hipError_tT0_T1_T2_jT3_P12ihipStream_tbPNSt15iterator_traitsISE_E10value_typeEPNSK_ISF_E10value_typeEPSG_NS1_7vsmem_tEENKUlT_SE_SF_SG_E_clIS8_S8_S9_S9_EESD_ST_SE_SF_SG_EUlST_E_NS1_11comp_targetILNS1_3genE2ELNS1_11target_archE906ELNS1_3gpuE6ELNS1_3repE0EEENS1_48merge_mergepath_partition_config_static_selectorELNS0_4arch9wavefront6targetE1EEEvSF_: ; @_ZN7rocprim17ROCPRIM_400000_NS6detail17trampoline_kernelINS0_14default_configENS1_38merge_sort_block_merge_config_selectorIjNS0_10empty_typeEEEZZNS1_27merge_sort_block_merge_implIS3_PjPS5_jNS1_19radix_merge_compareILb0ELb0EjNS0_19identity_decomposerEEEEE10hipError_tT0_T1_T2_jT3_P12ihipStream_tbPNSt15iterator_traitsISE_E10value_typeEPNSK_ISF_E10value_typeEPSG_NS1_7vsmem_tEENKUlT_SE_SF_SG_E_clIS8_S8_S9_S9_EESD_ST_SE_SF_SG_EUlST_E_NS1_11comp_targetILNS1_3genE2ELNS1_11target_archE906ELNS1_3gpuE6ELNS1_3repE0EEENS1_48merge_mergepath_partition_config_static_selectorELNS0_4arch9wavefront6targetE1EEEvSF_
; %bb.0:
	.section	.rodata,"a",@progbits
	.p2align	6, 0x0
	.amdhsa_kernel _ZN7rocprim17ROCPRIM_400000_NS6detail17trampoline_kernelINS0_14default_configENS1_38merge_sort_block_merge_config_selectorIjNS0_10empty_typeEEEZZNS1_27merge_sort_block_merge_implIS3_PjPS5_jNS1_19radix_merge_compareILb0ELb0EjNS0_19identity_decomposerEEEEE10hipError_tT0_T1_T2_jT3_P12ihipStream_tbPNSt15iterator_traitsISE_E10value_typeEPNSK_ISF_E10value_typeEPSG_NS1_7vsmem_tEENKUlT_SE_SF_SG_E_clIS8_S8_S9_S9_EESD_ST_SE_SF_SG_EUlST_E_NS1_11comp_targetILNS1_3genE2ELNS1_11target_archE906ELNS1_3gpuE6ELNS1_3repE0EEENS1_48merge_mergepath_partition_config_static_selectorELNS0_4arch9wavefront6targetE1EEEvSF_
		.amdhsa_group_segment_fixed_size 0
		.amdhsa_private_segment_fixed_size 0
		.amdhsa_kernarg_size 40
		.amdhsa_user_sgpr_count 6
		.amdhsa_user_sgpr_private_segment_buffer 1
		.amdhsa_user_sgpr_dispatch_ptr 0
		.amdhsa_user_sgpr_queue_ptr 0
		.amdhsa_user_sgpr_kernarg_segment_ptr 1
		.amdhsa_user_sgpr_dispatch_id 0
		.amdhsa_user_sgpr_flat_scratch_init 0
		.amdhsa_user_sgpr_kernarg_preload_length 0
		.amdhsa_user_sgpr_kernarg_preload_offset 0
		.amdhsa_user_sgpr_private_segment_size 0
		.amdhsa_uses_dynamic_stack 0
		.amdhsa_system_sgpr_private_segment_wavefront_offset 0
		.amdhsa_system_sgpr_workgroup_id_x 1
		.amdhsa_system_sgpr_workgroup_id_y 0
		.amdhsa_system_sgpr_workgroup_id_z 0
		.amdhsa_system_sgpr_workgroup_info 0
		.amdhsa_system_vgpr_workitem_id 0
		.amdhsa_next_free_vgpr 1
		.amdhsa_next_free_sgpr 0
		.amdhsa_accum_offset 4
		.amdhsa_reserve_vcc 0
		.amdhsa_reserve_flat_scratch 0
		.amdhsa_float_round_mode_32 0
		.amdhsa_float_round_mode_16_64 0
		.amdhsa_float_denorm_mode_32 3
		.amdhsa_float_denorm_mode_16_64 3
		.amdhsa_dx10_clamp 1
		.amdhsa_ieee_mode 1
		.amdhsa_fp16_overflow 0
		.amdhsa_tg_split 0
		.amdhsa_exception_fp_ieee_invalid_op 0
		.amdhsa_exception_fp_denorm_src 0
		.amdhsa_exception_fp_ieee_div_zero 0
		.amdhsa_exception_fp_ieee_overflow 0
		.amdhsa_exception_fp_ieee_underflow 0
		.amdhsa_exception_fp_ieee_inexact 0
		.amdhsa_exception_int_div_zero 0
	.end_amdhsa_kernel
	.section	.text._ZN7rocprim17ROCPRIM_400000_NS6detail17trampoline_kernelINS0_14default_configENS1_38merge_sort_block_merge_config_selectorIjNS0_10empty_typeEEEZZNS1_27merge_sort_block_merge_implIS3_PjPS5_jNS1_19radix_merge_compareILb0ELb0EjNS0_19identity_decomposerEEEEE10hipError_tT0_T1_T2_jT3_P12ihipStream_tbPNSt15iterator_traitsISE_E10value_typeEPNSK_ISF_E10value_typeEPSG_NS1_7vsmem_tEENKUlT_SE_SF_SG_E_clIS8_S8_S9_S9_EESD_ST_SE_SF_SG_EUlST_E_NS1_11comp_targetILNS1_3genE2ELNS1_11target_archE906ELNS1_3gpuE6ELNS1_3repE0EEENS1_48merge_mergepath_partition_config_static_selectorELNS0_4arch9wavefront6targetE1EEEvSF_,"axG",@progbits,_ZN7rocprim17ROCPRIM_400000_NS6detail17trampoline_kernelINS0_14default_configENS1_38merge_sort_block_merge_config_selectorIjNS0_10empty_typeEEEZZNS1_27merge_sort_block_merge_implIS3_PjPS5_jNS1_19radix_merge_compareILb0ELb0EjNS0_19identity_decomposerEEEEE10hipError_tT0_T1_T2_jT3_P12ihipStream_tbPNSt15iterator_traitsISE_E10value_typeEPNSK_ISF_E10value_typeEPSG_NS1_7vsmem_tEENKUlT_SE_SF_SG_E_clIS8_S8_S9_S9_EESD_ST_SE_SF_SG_EUlST_E_NS1_11comp_targetILNS1_3genE2ELNS1_11target_archE906ELNS1_3gpuE6ELNS1_3repE0EEENS1_48merge_mergepath_partition_config_static_selectorELNS0_4arch9wavefront6targetE1EEEvSF_,comdat
.Lfunc_end691:
	.size	_ZN7rocprim17ROCPRIM_400000_NS6detail17trampoline_kernelINS0_14default_configENS1_38merge_sort_block_merge_config_selectorIjNS0_10empty_typeEEEZZNS1_27merge_sort_block_merge_implIS3_PjPS5_jNS1_19radix_merge_compareILb0ELb0EjNS0_19identity_decomposerEEEEE10hipError_tT0_T1_T2_jT3_P12ihipStream_tbPNSt15iterator_traitsISE_E10value_typeEPNSK_ISF_E10value_typeEPSG_NS1_7vsmem_tEENKUlT_SE_SF_SG_E_clIS8_S8_S9_S9_EESD_ST_SE_SF_SG_EUlST_E_NS1_11comp_targetILNS1_3genE2ELNS1_11target_archE906ELNS1_3gpuE6ELNS1_3repE0EEENS1_48merge_mergepath_partition_config_static_selectorELNS0_4arch9wavefront6targetE1EEEvSF_, .Lfunc_end691-_ZN7rocprim17ROCPRIM_400000_NS6detail17trampoline_kernelINS0_14default_configENS1_38merge_sort_block_merge_config_selectorIjNS0_10empty_typeEEEZZNS1_27merge_sort_block_merge_implIS3_PjPS5_jNS1_19radix_merge_compareILb0ELb0EjNS0_19identity_decomposerEEEEE10hipError_tT0_T1_T2_jT3_P12ihipStream_tbPNSt15iterator_traitsISE_E10value_typeEPNSK_ISF_E10value_typeEPSG_NS1_7vsmem_tEENKUlT_SE_SF_SG_E_clIS8_S8_S9_S9_EESD_ST_SE_SF_SG_EUlST_E_NS1_11comp_targetILNS1_3genE2ELNS1_11target_archE906ELNS1_3gpuE6ELNS1_3repE0EEENS1_48merge_mergepath_partition_config_static_selectorELNS0_4arch9wavefront6targetE1EEEvSF_
                                        ; -- End function
	.section	.AMDGPU.csdata,"",@progbits
; Kernel info:
; codeLenInByte = 0
; NumSgprs: 4
; NumVgprs: 0
; NumAgprs: 0
; TotalNumVgprs: 0
; ScratchSize: 0
; MemoryBound: 0
; FloatMode: 240
; IeeeMode: 1
; LDSByteSize: 0 bytes/workgroup (compile time only)
; SGPRBlocks: 0
; VGPRBlocks: 0
; NumSGPRsForWavesPerEU: 4
; NumVGPRsForWavesPerEU: 1
; AccumOffset: 4
; Occupancy: 8
; WaveLimiterHint : 0
; COMPUTE_PGM_RSRC2:SCRATCH_EN: 0
; COMPUTE_PGM_RSRC2:USER_SGPR: 6
; COMPUTE_PGM_RSRC2:TRAP_HANDLER: 0
; COMPUTE_PGM_RSRC2:TGID_X_EN: 1
; COMPUTE_PGM_RSRC2:TGID_Y_EN: 0
; COMPUTE_PGM_RSRC2:TGID_Z_EN: 0
; COMPUTE_PGM_RSRC2:TIDIG_COMP_CNT: 0
; COMPUTE_PGM_RSRC3_GFX90A:ACCUM_OFFSET: 0
; COMPUTE_PGM_RSRC3_GFX90A:TG_SPLIT: 0
	.section	.text._ZN7rocprim17ROCPRIM_400000_NS6detail17trampoline_kernelINS0_14default_configENS1_38merge_sort_block_merge_config_selectorIjNS0_10empty_typeEEEZZNS1_27merge_sort_block_merge_implIS3_PjPS5_jNS1_19radix_merge_compareILb0ELb0EjNS0_19identity_decomposerEEEEE10hipError_tT0_T1_T2_jT3_P12ihipStream_tbPNSt15iterator_traitsISE_E10value_typeEPNSK_ISF_E10value_typeEPSG_NS1_7vsmem_tEENKUlT_SE_SF_SG_E_clIS8_S8_S9_S9_EESD_ST_SE_SF_SG_EUlST_E_NS1_11comp_targetILNS1_3genE9ELNS1_11target_archE1100ELNS1_3gpuE3ELNS1_3repE0EEENS1_48merge_mergepath_partition_config_static_selectorELNS0_4arch9wavefront6targetE1EEEvSF_,"axG",@progbits,_ZN7rocprim17ROCPRIM_400000_NS6detail17trampoline_kernelINS0_14default_configENS1_38merge_sort_block_merge_config_selectorIjNS0_10empty_typeEEEZZNS1_27merge_sort_block_merge_implIS3_PjPS5_jNS1_19radix_merge_compareILb0ELb0EjNS0_19identity_decomposerEEEEE10hipError_tT0_T1_T2_jT3_P12ihipStream_tbPNSt15iterator_traitsISE_E10value_typeEPNSK_ISF_E10value_typeEPSG_NS1_7vsmem_tEENKUlT_SE_SF_SG_E_clIS8_S8_S9_S9_EESD_ST_SE_SF_SG_EUlST_E_NS1_11comp_targetILNS1_3genE9ELNS1_11target_archE1100ELNS1_3gpuE3ELNS1_3repE0EEENS1_48merge_mergepath_partition_config_static_selectorELNS0_4arch9wavefront6targetE1EEEvSF_,comdat
	.protected	_ZN7rocprim17ROCPRIM_400000_NS6detail17trampoline_kernelINS0_14default_configENS1_38merge_sort_block_merge_config_selectorIjNS0_10empty_typeEEEZZNS1_27merge_sort_block_merge_implIS3_PjPS5_jNS1_19radix_merge_compareILb0ELb0EjNS0_19identity_decomposerEEEEE10hipError_tT0_T1_T2_jT3_P12ihipStream_tbPNSt15iterator_traitsISE_E10value_typeEPNSK_ISF_E10value_typeEPSG_NS1_7vsmem_tEENKUlT_SE_SF_SG_E_clIS8_S8_S9_S9_EESD_ST_SE_SF_SG_EUlST_E_NS1_11comp_targetILNS1_3genE9ELNS1_11target_archE1100ELNS1_3gpuE3ELNS1_3repE0EEENS1_48merge_mergepath_partition_config_static_selectorELNS0_4arch9wavefront6targetE1EEEvSF_ ; -- Begin function _ZN7rocprim17ROCPRIM_400000_NS6detail17trampoline_kernelINS0_14default_configENS1_38merge_sort_block_merge_config_selectorIjNS0_10empty_typeEEEZZNS1_27merge_sort_block_merge_implIS3_PjPS5_jNS1_19radix_merge_compareILb0ELb0EjNS0_19identity_decomposerEEEEE10hipError_tT0_T1_T2_jT3_P12ihipStream_tbPNSt15iterator_traitsISE_E10value_typeEPNSK_ISF_E10value_typeEPSG_NS1_7vsmem_tEENKUlT_SE_SF_SG_E_clIS8_S8_S9_S9_EESD_ST_SE_SF_SG_EUlST_E_NS1_11comp_targetILNS1_3genE9ELNS1_11target_archE1100ELNS1_3gpuE3ELNS1_3repE0EEENS1_48merge_mergepath_partition_config_static_selectorELNS0_4arch9wavefront6targetE1EEEvSF_
	.globl	_ZN7rocprim17ROCPRIM_400000_NS6detail17trampoline_kernelINS0_14default_configENS1_38merge_sort_block_merge_config_selectorIjNS0_10empty_typeEEEZZNS1_27merge_sort_block_merge_implIS3_PjPS5_jNS1_19radix_merge_compareILb0ELb0EjNS0_19identity_decomposerEEEEE10hipError_tT0_T1_T2_jT3_P12ihipStream_tbPNSt15iterator_traitsISE_E10value_typeEPNSK_ISF_E10value_typeEPSG_NS1_7vsmem_tEENKUlT_SE_SF_SG_E_clIS8_S8_S9_S9_EESD_ST_SE_SF_SG_EUlST_E_NS1_11comp_targetILNS1_3genE9ELNS1_11target_archE1100ELNS1_3gpuE3ELNS1_3repE0EEENS1_48merge_mergepath_partition_config_static_selectorELNS0_4arch9wavefront6targetE1EEEvSF_
	.p2align	8
	.type	_ZN7rocprim17ROCPRIM_400000_NS6detail17trampoline_kernelINS0_14default_configENS1_38merge_sort_block_merge_config_selectorIjNS0_10empty_typeEEEZZNS1_27merge_sort_block_merge_implIS3_PjPS5_jNS1_19radix_merge_compareILb0ELb0EjNS0_19identity_decomposerEEEEE10hipError_tT0_T1_T2_jT3_P12ihipStream_tbPNSt15iterator_traitsISE_E10value_typeEPNSK_ISF_E10value_typeEPSG_NS1_7vsmem_tEENKUlT_SE_SF_SG_E_clIS8_S8_S9_S9_EESD_ST_SE_SF_SG_EUlST_E_NS1_11comp_targetILNS1_3genE9ELNS1_11target_archE1100ELNS1_3gpuE3ELNS1_3repE0EEENS1_48merge_mergepath_partition_config_static_selectorELNS0_4arch9wavefront6targetE1EEEvSF_,@function
_ZN7rocprim17ROCPRIM_400000_NS6detail17trampoline_kernelINS0_14default_configENS1_38merge_sort_block_merge_config_selectorIjNS0_10empty_typeEEEZZNS1_27merge_sort_block_merge_implIS3_PjPS5_jNS1_19radix_merge_compareILb0ELb0EjNS0_19identity_decomposerEEEEE10hipError_tT0_T1_T2_jT3_P12ihipStream_tbPNSt15iterator_traitsISE_E10value_typeEPNSK_ISF_E10value_typeEPSG_NS1_7vsmem_tEENKUlT_SE_SF_SG_E_clIS8_S8_S9_S9_EESD_ST_SE_SF_SG_EUlST_E_NS1_11comp_targetILNS1_3genE9ELNS1_11target_archE1100ELNS1_3gpuE3ELNS1_3repE0EEENS1_48merge_mergepath_partition_config_static_selectorELNS0_4arch9wavefront6targetE1EEEvSF_: ; @_ZN7rocprim17ROCPRIM_400000_NS6detail17trampoline_kernelINS0_14default_configENS1_38merge_sort_block_merge_config_selectorIjNS0_10empty_typeEEEZZNS1_27merge_sort_block_merge_implIS3_PjPS5_jNS1_19radix_merge_compareILb0ELb0EjNS0_19identity_decomposerEEEEE10hipError_tT0_T1_T2_jT3_P12ihipStream_tbPNSt15iterator_traitsISE_E10value_typeEPNSK_ISF_E10value_typeEPSG_NS1_7vsmem_tEENKUlT_SE_SF_SG_E_clIS8_S8_S9_S9_EESD_ST_SE_SF_SG_EUlST_E_NS1_11comp_targetILNS1_3genE9ELNS1_11target_archE1100ELNS1_3gpuE3ELNS1_3repE0EEENS1_48merge_mergepath_partition_config_static_selectorELNS0_4arch9wavefront6targetE1EEEvSF_
; %bb.0:
	.section	.rodata,"a",@progbits
	.p2align	6, 0x0
	.amdhsa_kernel _ZN7rocprim17ROCPRIM_400000_NS6detail17trampoline_kernelINS0_14default_configENS1_38merge_sort_block_merge_config_selectorIjNS0_10empty_typeEEEZZNS1_27merge_sort_block_merge_implIS3_PjPS5_jNS1_19radix_merge_compareILb0ELb0EjNS0_19identity_decomposerEEEEE10hipError_tT0_T1_T2_jT3_P12ihipStream_tbPNSt15iterator_traitsISE_E10value_typeEPNSK_ISF_E10value_typeEPSG_NS1_7vsmem_tEENKUlT_SE_SF_SG_E_clIS8_S8_S9_S9_EESD_ST_SE_SF_SG_EUlST_E_NS1_11comp_targetILNS1_3genE9ELNS1_11target_archE1100ELNS1_3gpuE3ELNS1_3repE0EEENS1_48merge_mergepath_partition_config_static_selectorELNS0_4arch9wavefront6targetE1EEEvSF_
		.amdhsa_group_segment_fixed_size 0
		.amdhsa_private_segment_fixed_size 0
		.amdhsa_kernarg_size 40
		.amdhsa_user_sgpr_count 6
		.amdhsa_user_sgpr_private_segment_buffer 1
		.amdhsa_user_sgpr_dispatch_ptr 0
		.amdhsa_user_sgpr_queue_ptr 0
		.amdhsa_user_sgpr_kernarg_segment_ptr 1
		.amdhsa_user_sgpr_dispatch_id 0
		.amdhsa_user_sgpr_flat_scratch_init 0
		.amdhsa_user_sgpr_kernarg_preload_length 0
		.amdhsa_user_sgpr_kernarg_preload_offset 0
		.amdhsa_user_sgpr_private_segment_size 0
		.amdhsa_uses_dynamic_stack 0
		.amdhsa_system_sgpr_private_segment_wavefront_offset 0
		.amdhsa_system_sgpr_workgroup_id_x 1
		.amdhsa_system_sgpr_workgroup_id_y 0
		.amdhsa_system_sgpr_workgroup_id_z 0
		.amdhsa_system_sgpr_workgroup_info 0
		.amdhsa_system_vgpr_workitem_id 0
		.amdhsa_next_free_vgpr 1
		.amdhsa_next_free_sgpr 0
		.amdhsa_accum_offset 4
		.amdhsa_reserve_vcc 0
		.amdhsa_reserve_flat_scratch 0
		.amdhsa_float_round_mode_32 0
		.amdhsa_float_round_mode_16_64 0
		.amdhsa_float_denorm_mode_32 3
		.amdhsa_float_denorm_mode_16_64 3
		.amdhsa_dx10_clamp 1
		.amdhsa_ieee_mode 1
		.amdhsa_fp16_overflow 0
		.amdhsa_tg_split 0
		.amdhsa_exception_fp_ieee_invalid_op 0
		.amdhsa_exception_fp_denorm_src 0
		.amdhsa_exception_fp_ieee_div_zero 0
		.amdhsa_exception_fp_ieee_overflow 0
		.amdhsa_exception_fp_ieee_underflow 0
		.amdhsa_exception_fp_ieee_inexact 0
		.amdhsa_exception_int_div_zero 0
	.end_amdhsa_kernel
	.section	.text._ZN7rocprim17ROCPRIM_400000_NS6detail17trampoline_kernelINS0_14default_configENS1_38merge_sort_block_merge_config_selectorIjNS0_10empty_typeEEEZZNS1_27merge_sort_block_merge_implIS3_PjPS5_jNS1_19radix_merge_compareILb0ELb0EjNS0_19identity_decomposerEEEEE10hipError_tT0_T1_T2_jT3_P12ihipStream_tbPNSt15iterator_traitsISE_E10value_typeEPNSK_ISF_E10value_typeEPSG_NS1_7vsmem_tEENKUlT_SE_SF_SG_E_clIS8_S8_S9_S9_EESD_ST_SE_SF_SG_EUlST_E_NS1_11comp_targetILNS1_3genE9ELNS1_11target_archE1100ELNS1_3gpuE3ELNS1_3repE0EEENS1_48merge_mergepath_partition_config_static_selectorELNS0_4arch9wavefront6targetE1EEEvSF_,"axG",@progbits,_ZN7rocprim17ROCPRIM_400000_NS6detail17trampoline_kernelINS0_14default_configENS1_38merge_sort_block_merge_config_selectorIjNS0_10empty_typeEEEZZNS1_27merge_sort_block_merge_implIS3_PjPS5_jNS1_19radix_merge_compareILb0ELb0EjNS0_19identity_decomposerEEEEE10hipError_tT0_T1_T2_jT3_P12ihipStream_tbPNSt15iterator_traitsISE_E10value_typeEPNSK_ISF_E10value_typeEPSG_NS1_7vsmem_tEENKUlT_SE_SF_SG_E_clIS8_S8_S9_S9_EESD_ST_SE_SF_SG_EUlST_E_NS1_11comp_targetILNS1_3genE9ELNS1_11target_archE1100ELNS1_3gpuE3ELNS1_3repE0EEENS1_48merge_mergepath_partition_config_static_selectorELNS0_4arch9wavefront6targetE1EEEvSF_,comdat
.Lfunc_end692:
	.size	_ZN7rocprim17ROCPRIM_400000_NS6detail17trampoline_kernelINS0_14default_configENS1_38merge_sort_block_merge_config_selectorIjNS0_10empty_typeEEEZZNS1_27merge_sort_block_merge_implIS3_PjPS5_jNS1_19radix_merge_compareILb0ELb0EjNS0_19identity_decomposerEEEEE10hipError_tT0_T1_T2_jT3_P12ihipStream_tbPNSt15iterator_traitsISE_E10value_typeEPNSK_ISF_E10value_typeEPSG_NS1_7vsmem_tEENKUlT_SE_SF_SG_E_clIS8_S8_S9_S9_EESD_ST_SE_SF_SG_EUlST_E_NS1_11comp_targetILNS1_3genE9ELNS1_11target_archE1100ELNS1_3gpuE3ELNS1_3repE0EEENS1_48merge_mergepath_partition_config_static_selectorELNS0_4arch9wavefront6targetE1EEEvSF_, .Lfunc_end692-_ZN7rocprim17ROCPRIM_400000_NS6detail17trampoline_kernelINS0_14default_configENS1_38merge_sort_block_merge_config_selectorIjNS0_10empty_typeEEEZZNS1_27merge_sort_block_merge_implIS3_PjPS5_jNS1_19radix_merge_compareILb0ELb0EjNS0_19identity_decomposerEEEEE10hipError_tT0_T1_T2_jT3_P12ihipStream_tbPNSt15iterator_traitsISE_E10value_typeEPNSK_ISF_E10value_typeEPSG_NS1_7vsmem_tEENKUlT_SE_SF_SG_E_clIS8_S8_S9_S9_EESD_ST_SE_SF_SG_EUlST_E_NS1_11comp_targetILNS1_3genE9ELNS1_11target_archE1100ELNS1_3gpuE3ELNS1_3repE0EEENS1_48merge_mergepath_partition_config_static_selectorELNS0_4arch9wavefront6targetE1EEEvSF_
                                        ; -- End function
	.section	.AMDGPU.csdata,"",@progbits
; Kernel info:
; codeLenInByte = 0
; NumSgprs: 4
; NumVgprs: 0
; NumAgprs: 0
; TotalNumVgprs: 0
; ScratchSize: 0
; MemoryBound: 0
; FloatMode: 240
; IeeeMode: 1
; LDSByteSize: 0 bytes/workgroup (compile time only)
; SGPRBlocks: 0
; VGPRBlocks: 0
; NumSGPRsForWavesPerEU: 4
; NumVGPRsForWavesPerEU: 1
; AccumOffset: 4
; Occupancy: 8
; WaveLimiterHint : 0
; COMPUTE_PGM_RSRC2:SCRATCH_EN: 0
; COMPUTE_PGM_RSRC2:USER_SGPR: 6
; COMPUTE_PGM_RSRC2:TRAP_HANDLER: 0
; COMPUTE_PGM_RSRC2:TGID_X_EN: 1
; COMPUTE_PGM_RSRC2:TGID_Y_EN: 0
; COMPUTE_PGM_RSRC2:TGID_Z_EN: 0
; COMPUTE_PGM_RSRC2:TIDIG_COMP_CNT: 0
; COMPUTE_PGM_RSRC3_GFX90A:ACCUM_OFFSET: 0
; COMPUTE_PGM_RSRC3_GFX90A:TG_SPLIT: 0
	.section	.text._ZN7rocprim17ROCPRIM_400000_NS6detail17trampoline_kernelINS0_14default_configENS1_38merge_sort_block_merge_config_selectorIjNS0_10empty_typeEEEZZNS1_27merge_sort_block_merge_implIS3_PjPS5_jNS1_19radix_merge_compareILb0ELb0EjNS0_19identity_decomposerEEEEE10hipError_tT0_T1_T2_jT3_P12ihipStream_tbPNSt15iterator_traitsISE_E10value_typeEPNSK_ISF_E10value_typeEPSG_NS1_7vsmem_tEENKUlT_SE_SF_SG_E_clIS8_S8_S9_S9_EESD_ST_SE_SF_SG_EUlST_E_NS1_11comp_targetILNS1_3genE8ELNS1_11target_archE1030ELNS1_3gpuE2ELNS1_3repE0EEENS1_48merge_mergepath_partition_config_static_selectorELNS0_4arch9wavefront6targetE1EEEvSF_,"axG",@progbits,_ZN7rocprim17ROCPRIM_400000_NS6detail17trampoline_kernelINS0_14default_configENS1_38merge_sort_block_merge_config_selectorIjNS0_10empty_typeEEEZZNS1_27merge_sort_block_merge_implIS3_PjPS5_jNS1_19radix_merge_compareILb0ELb0EjNS0_19identity_decomposerEEEEE10hipError_tT0_T1_T2_jT3_P12ihipStream_tbPNSt15iterator_traitsISE_E10value_typeEPNSK_ISF_E10value_typeEPSG_NS1_7vsmem_tEENKUlT_SE_SF_SG_E_clIS8_S8_S9_S9_EESD_ST_SE_SF_SG_EUlST_E_NS1_11comp_targetILNS1_3genE8ELNS1_11target_archE1030ELNS1_3gpuE2ELNS1_3repE0EEENS1_48merge_mergepath_partition_config_static_selectorELNS0_4arch9wavefront6targetE1EEEvSF_,comdat
	.protected	_ZN7rocprim17ROCPRIM_400000_NS6detail17trampoline_kernelINS0_14default_configENS1_38merge_sort_block_merge_config_selectorIjNS0_10empty_typeEEEZZNS1_27merge_sort_block_merge_implIS3_PjPS5_jNS1_19radix_merge_compareILb0ELb0EjNS0_19identity_decomposerEEEEE10hipError_tT0_T1_T2_jT3_P12ihipStream_tbPNSt15iterator_traitsISE_E10value_typeEPNSK_ISF_E10value_typeEPSG_NS1_7vsmem_tEENKUlT_SE_SF_SG_E_clIS8_S8_S9_S9_EESD_ST_SE_SF_SG_EUlST_E_NS1_11comp_targetILNS1_3genE8ELNS1_11target_archE1030ELNS1_3gpuE2ELNS1_3repE0EEENS1_48merge_mergepath_partition_config_static_selectorELNS0_4arch9wavefront6targetE1EEEvSF_ ; -- Begin function _ZN7rocprim17ROCPRIM_400000_NS6detail17trampoline_kernelINS0_14default_configENS1_38merge_sort_block_merge_config_selectorIjNS0_10empty_typeEEEZZNS1_27merge_sort_block_merge_implIS3_PjPS5_jNS1_19radix_merge_compareILb0ELb0EjNS0_19identity_decomposerEEEEE10hipError_tT0_T1_T2_jT3_P12ihipStream_tbPNSt15iterator_traitsISE_E10value_typeEPNSK_ISF_E10value_typeEPSG_NS1_7vsmem_tEENKUlT_SE_SF_SG_E_clIS8_S8_S9_S9_EESD_ST_SE_SF_SG_EUlST_E_NS1_11comp_targetILNS1_3genE8ELNS1_11target_archE1030ELNS1_3gpuE2ELNS1_3repE0EEENS1_48merge_mergepath_partition_config_static_selectorELNS0_4arch9wavefront6targetE1EEEvSF_
	.globl	_ZN7rocprim17ROCPRIM_400000_NS6detail17trampoline_kernelINS0_14default_configENS1_38merge_sort_block_merge_config_selectorIjNS0_10empty_typeEEEZZNS1_27merge_sort_block_merge_implIS3_PjPS5_jNS1_19radix_merge_compareILb0ELb0EjNS0_19identity_decomposerEEEEE10hipError_tT0_T1_T2_jT3_P12ihipStream_tbPNSt15iterator_traitsISE_E10value_typeEPNSK_ISF_E10value_typeEPSG_NS1_7vsmem_tEENKUlT_SE_SF_SG_E_clIS8_S8_S9_S9_EESD_ST_SE_SF_SG_EUlST_E_NS1_11comp_targetILNS1_3genE8ELNS1_11target_archE1030ELNS1_3gpuE2ELNS1_3repE0EEENS1_48merge_mergepath_partition_config_static_selectorELNS0_4arch9wavefront6targetE1EEEvSF_
	.p2align	8
	.type	_ZN7rocprim17ROCPRIM_400000_NS6detail17trampoline_kernelINS0_14default_configENS1_38merge_sort_block_merge_config_selectorIjNS0_10empty_typeEEEZZNS1_27merge_sort_block_merge_implIS3_PjPS5_jNS1_19radix_merge_compareILb0ELb0EjNS0_19identity_decomposerEEEEE10hipError_tT0_T1_T2_jT3_P12ihipStream_tbPNSt15iterator_traitsISE_E10value_typeEPNSK_ISF_E10value_typeEPSG_NS1_7vsmem_tEENKUlT_SE_SF_SG_E_clIS8_S8_S9_S9_EESD_ST_SE_SF_SG_EUlST_E_NS1_11comp_targetILNS1_3genE8ELNS1_11target_archE1030ELNS1_3gpuE2ELNS1_3repE0EEENS1_48merge_mergepath_partition_config_static_selectorELNS0_4arch9wavefront6targetE1EEEvSF_,@function
_ZN7rocprim17ROCPRIM_400000_NS6detail17trampoline_kernelINS0_14default_configENS1_38merge_sort_block_merge_config_selectorIjNS0_10empty_typeEEEZZNS1_27merge_sort_block_merge_implIS3_PjPS5_jNS1_19radix_merge_compareILb0ELb0EjNS0_19identity_decomposerEEEEE10hipError_tT0_T1_T2_jT3_P12ihipStream_tbPNSt15iterator_traitsISE_E10value_typeEPNSK_ISF_E10value_typeEPSG_NS1_7vsmem_tEENKUlT_SE_SF_SG_E_clIS8_S8_S9_S9_EESD_ST_SE_SF_SG_EUlST_E_NS1_11comp_targetILNS1_3genE8ELNS1_11target_archE1030ELNS1_3gpuE2ELNS1_3repE0EEENS1_48merge_mergepath_partition_config_static_selectorELNS0_4arch9wavefront6targetE1EEEvSF_: ; @_ZN7rocprim17ROCPRIM_400000_NS6detail17trampoline_kernelINS0_14default_configENS1_38merge_sort_block_merge_config_selectorIjNS0_10empty_typeEEEZZNS1_27merge_sort_block_merge_implIS3_PjPS5_jNS1_19radix_merge_compareILb0ELb0EjNS0_19identity_decomposerEEEEE10hipError_tT0_T1_T2_jT3_P12ihipStream_tbPNSt15iterator_traitsISE_E10value_typeEPNSK_ISF_E10value_typeEPSG_NS1_7vsmem_tEENKUlT_SE_SF_SG_E_clIS8_S8_S9_S9_EESD_ST_SE_SF_SG_EUlST_E_NS1_11comp_targetILNS1_3genE8ELNS1_11target_archE1030ELNS1_3gpuE2ELNS1_3repE0EEENS1_48merge_mergepath_partition_config_static_selectorELNS0_4arch9wavefront6targetE1EEEvSF_
; %bb.0:
	.section	.rodata,"a",@progbits
	.p2align	6, 0x0
	.amdhsa_kernel _ZN7rocprim17ROCPRIM_400000_NS6detail17trampoline_kernelINS0_14default_configENS1_38merge_sort_block_merge_config_selectorIjNS0_10empty_typeEEEZZNS1_27merge_sort_block_merge_implIS3_PjPS5_jNS1_19radix_merge_compareILb0ELb0EjNS0_19identity_decomposerEEEEE10hipError_tT0_T1_T2_jT3_P12ihipStream_tbPNSt15iterator_traitsISE_E10value_typeEPNSK_ISF_E10value_typeEPSG_NS1_7vsmem_tEENKUlT_SE_SF_SG_E_clIS8_S8_S9_S9_EESD_ST_SE_SF_SG_EUlST_E_NS1_11comp_targetILNS1_3genE8ELNS1_11target_archE1030ELNS1_3gpuE2ELNS1_3repE0EEENS1_48merge_mergepath_partition_config_static_selectorELNS0_4arch9wavefront6targetE1EEEvSF_
		.amdhsa_group_segment_fixed_size 0
		.amdhsa_private_segment_fixed_size 0
		.amdhsa_kernarg_size 40
		.amdhsa_user_sgpr_count 6
		.amdhsa_user_sgpr_private_segment_buffer 1
		.amdhsa_user_sgpr_dispatch_ptr 0
		.amdhsa_user_sgpr_queue_ptr 0
		.amdhsa_user_sgpr_kernarg_segment_ptr 1
		.amdhsa_user_sgpr_dispatch_id 0
		.amdhsa_user_sgpr_flat_scratch_init 0
		.amdhsa_user_sgpr_kernarg_preload_length 0
		.amdhsa_user_sgpr_kernarg_preload_offset 0
		.amdhsa_user_sgpr_private_segment_size 0
		.amdhsa_uses_dynamic_stack 0
		.amdhsa_system_sgpr_private_segment_wavefront_offset 0
		.amdhsa_system_sgpr_workgroup_id_x 1
		.amdhsa_system_sgpr_workgroup_id_y 0
		.amdhsa_system_sgpr_workgroup_id_z 0
		.amdhsa_system_sgpr_workgroup_info 0
		.amdhsa_system_vgpr_workitem_id 0
		.amdhsa_next_free_vgpr 1
		.amdhsa_next_free_sgpr 0
		.amdhsa_accum_offset 4
		.amdhsa_reserve_vcc 0
		.amdhsa_reserve_flat_scratch 0
		.amdhsa_float_round_mode_32 0
		.amdhsa_float_round_mode_16_64 0
		.amdhsa_float_denorm_mode_32 3
		.amdhsa_float_denorm_mode_16_64 3
		.amdhsa_dx10_clamp 1
		.amdhsa_ieee_mode 1
		.amdhsa_fp16_overflow 0
		.amdhsa_tg_split 0
		.amdhsa_exception_fp_ieee_invalid_op 0
		.amdhsa_exception_fp_denorm_src 0
		.amdhsa_exception_fp_ieee_div_zero 0
		.amdhsa_exception_fp_ieee_overflow 0
		.amdhsa_exception_fp_ieee_underflow 0
		.amdhsa_exception_fp_ieee_inexact 0
		.amdhsa_exception_int_div_zero 0
	.end_amdhsa_kernel
	.section	.text._ZN7rocprim17ROCPRIM_400000_NS6detail17trampoline_kernelINS0_14default_configENS1_38merge_sort_block_merge_config_selectorIjNS0_10empty_typeEEEZZNS1_27merge_sort_block_merge_implIS3_PjPS5_jNS1_19radix_merge_compareILb0ELb0EjNS0_19identity_decomposerEEEEE10hipError_tT0_T1_T2_jT3_P12ihipStream_tbPNSt15iterator_traitsISE_E10value_typeEPNSK_ISF_E10value_typeEPSG_NS1_7vsmem_tEENKUlT_SE_SF_SG_E_clIS8_S8_S9_S9_EESD_ST_SE_SF_SG_EUlST_E_NS1_11comp_targetILNS1_3genE8ELNS1_11target_archE1030ELNS1_3gpuE2ELNS1_3repE0EEENS1_48merge_mergepath_partition_config_static_selectorELNS0_4arch9wavefront6targetE1EEEvSF_,"axG",@progbits,_ZN7rocprim17ROCPRIM_400000_NS6detail17trampoline_kernelINS0_14default_configENS1_38merge_sort_block_merge_config_selectorIjNS0_10empty_typeEEEZZNS1_27merge_sort_block_merge_implIS3_PjPS5_jNS1_19radix_merge_compareILb0ELb0EjNS0_19identity_decomposerEEEEE10hipError_tT0_T1_T2_jT3_P12ihipStream_tbPNSt15iterator_traitsISE_E10value_typeEPNSK_ISF_E10value_typeEPSG_NS1_7vsmem_tEENKUlT_SE_SF_SG_E_clIS8_S8_S9_S9_EESD_ST_SE_SF_SG_EUlST_E_NS1_11comp_targetILNS1_3genE8ELNS1_11target_archE1030ELNS1_3gpuE2ELNS1_3repE0EEENS1_48merge_mergepath_partition_config_static_selectorELNS0_4arch9wavefront6targetE1EEEvSF_,comdat
.Lfunc_end693:
	.size	_ZN7rocprim17ROCPRIM_400000_NS6detail17trampoline_kernelINS0_14default_configENS1_38merge_sort_block_merge_config_selectorIjNS0_10empty_typeEEEZZNS1_27merge_sort_block_merge_implIS3_PjPS5_jNS1_19radix_merge_compareILb0ELb0EjNS0_19identity_decomposerEEEEE10hipError_tT0_T1_T2_jT3_P12ihipStream_tbPNSt15iterator_traitsISE_E10value_typeEPNSK_ISF_E10value_typeEPSG_NS1_7vsmem_tEENKUlT_SE_SF_SG_E_clIS8_S8_S9_S9_EESD_ST_SE_SF_SG_EUlST_E_NS1_11comp_targetILNS1_3genE8ELNS1_11target_archE1030ELNS1_3gpuE2ELNS1_3repE0EEENS1_48merge_mergepath_partition_config_static_selectorELNS0_4arch9wavefront6targetE1EEEvSF_, .Lfunc_end693-_ZN7rocprim17ROCPRIM_400000_NS6detail17trampoline_kernelINS0_14default_configENS1_38merge_sort_block_merge_config_selectorIjNS0_10empty_typeEEEZZNS1_27merge_sort_block_merge_implIS3_PjPS5_jNS1_19radix_merge_compareILb0ELb0EjNS0_19identity_decomposerEEEEE10hipError_tT0_T1_T2_jT3_P12ihipStream_tbPNSt15iterator_traitsISE_E10value_typeEPNSK_ISF_E10value_typeEPSG_NS1_7vsmem_tEENKUlT_SE_SF_SG_E_clIS8_S8_S9_S9_EESD_ST_SE_SF_SG_EUlST_E_NS1_11comp_targetILNS1_3genE8ELNS1_11target_archE1030ELNS1_3gpuE2ELNS1_3repE0EEENS1_48merge_mergepath_partition_config_static_selectorELNS0_4arch9wavefront6targetE1EEEvSF_
                                        ; -- End function
	.section	.AMDGPU.csdata,"",@progbits
; Kernel info:
; codeLenInByte = 0
; NumSgprs: 4
; NumVgprs: 0
; NumAgprs: 0
; TotalNumVgprs: 0
; ScratchSize: 0
; MemoryBound: 0
; FloatMode: 240
; IeeeMode: 1
; LDSByteSize: 0 bytes/workgroup (compile time only)
; SGPRBlocks: 0
; VGPRBlocks: 0
; NumSGPRsForWavesPerEU: 4
; NumVGPRsForWavesPerEU: 1
; AccumOffset: 4
; Occupancy: 8
; WaveLimiterHint : 0
; COMPUTE_PGM_RSRC2:SCRATCH_EN: 0
; COMPUTE_PGM_RSRC2:USER_SGPR: 6
; COMPUTE_PGM_RSRC2:TRAP_HANDLER: 0
; COMPUTE_PGM_RSRC2:TGID_X_EN: 1
; COMPUTE_PGM_RSRC2:TGID_Y_EN: 0
; COMPUTE_PGM_RSRC2:TGID_Z_EN: 0
; COMPUTE_PGM_RSRC2:TIDIG_COMP_CNT: 0
; COMPUTE_PGM_RSRC3_GFX90A:ACCUM_OFFSET: 0
; COMPUTE_PGM_RSRC3_GFX90A:TG_SPLIT: 0
	.section	.text._ZN7rocprim17ROCPRIM_400000_NS6detail17trampoline_kernelINS0_14default_configENS1_38merge_sort_block_merge_config_selectorIjNS0_10empty_typeEEEZZNS1_27merge_sort_block_merge_implIS3_PjPS5_jNS1_19radix_merge_compareILb0ELb0EjNS0_19identity_decomposerEEEEE10hipError_tT0_T1_T2_jT3_P12ihipStream_tbPNSt15iterator_traitsISE_E10value_typeEPNSK_ISF_E10value_typeEPSG_NS1_7vsmem_tEENKUlT_SE_SF_SG_E_clIS8_S8_S9_S9_EESD_ST_SE_SF_SG_EUlST_E0_NS1_11comp_targetILNS1_3genE0ELNS1_11target_archE4294967295ELNS1_3gpuE0ELNS1_3repE0EEENS1_38merge_mergepath_config_static_selectorELNS0_4arch9wavefront6targetE1EEEvSF_,"axG",@progbits,_ZN7rocprim17ROCPRIM_400000_NS6detail17trampoline_kernelINS0_14default_configENS1_38merge_sort_block_merge_config_selectorIjNS0_10empty_typeEEEZZNS1_27merge_sort_block_merge_implIS3_PjPS5_jNS1_19radix_merge_compareILb0ELb0EjNS0_19identity_decomposerEEEEE10hipError_tT0_T1_T2_jT3_P12ihipStream_tbPNSt15iterator_traitsISE_E10value_typeEPNSK_ISF_E10value_typeEPSG_NS1_7vsmem_tEENKUlT_SE_SF_SG_E_clIS8_S8_S9_S9_EESD_ST_SE_SF_SG_EUlST_E0_NS1_11comp_targetILNS1_3genE0ELNS1_11target_archE4294967295ELNS1_3gpuE0ELNS1_3repE0EEENS1_38merge_mergepath_config_static_selectorELNS0_4arch9wavefront6targetE1EEEvSF_,comdat
	.protected	_ZN7rocprim17ROCPRIM_400000_NS6detail17trampoline_kernelINS0_14default_configENS1_38merge_sort_block_merge_config_selectorIjNS0_10empty_typeEEEZZNS1_27merge_sort_block_merge_implIS3_PjPS5_jNS1_19radix_merge_compareILb0ELb0EjNS0_19identity_decomposerEEEEE10hipError_tT0_T1_T2_jT3_P12ihipStream_tbPNSt15iterator_traitsISE_E10value_typeEPNSK_ISF_E10value_typeEPSG_NS1_7vsmem_tEENKUlT_SE_SF_SG_E_clIS8_S8_S9_S9_EESD_ST_SE_SF_SG_EUlST_E0_NS1_11comp_targetILNS1_3genE0ELNS1_11target_archE4294967295ELNS1_3gpuE0ELNS1_3repE0EEENS1_38merge_mergepath_config_static_selectorELNS0_4arch9wavefront6targetE1EEEvSF_ ; -- Begin function _ZN7rocprim17ROCPRIM_400000_NS6detail17trampoline_kernelINS0_14default_configENS1_38merge_sort_block_merge_config_selectorIjNS0_10empty_typeEEEZZNS1_27merge_sort_block_merge_implIS3_PjPS5_jNS1_19radix_merge_compareILb0ELb0EjNS0_19identity_decomposerEEEEE10hipError_tT0_T1_T2_jT3_P12ihipStream_tbPNSt15iterator_traitsISE_E10value_typeEPNSK_ISF_E10value_typeEPSG_NS1_7vsmem_tEENKUlT_SE_SF_SG_E_clIS8_S8_S9_S9_EESD_ST_SE_SF_SG_EUlST_E0_NS1_11comp_targetILNS1_3genE0ELNS1_11target_archE4294967295ELNS1_3gpuE0ELNS1_3repE0EEENS1_38merge_mergepath_config_static_selectorELNS0_4arch9wavefront6targetE1EEEvSF_
	.globl	_ZN7rocprim17ROCPRIM_400000_NS6detail17trampoline_kernelINS0_14default_configENS1_38merge_sort_block_merge_config_selectorIjNS0_10empty_typeEEEZZNS1_27merge_sort_block_merge_implIS3_PjPS5_jNS1_19radix_merge_compareILb0ELb0EjNS0_19identity_decomposerEEEEE10hipError_tT0_T1_T2_jT3_P12ihipStream_tbPNSt15iterator_traitsISE_E10value_typeEPNSK_ISF_E10value_typeEPSG_NS1_7vsmem_tEENKUlT_SE_SF_SG_E_clIS8_S8_S9_S9_EESD_ST_SE_SF_SG_EUlST_E0_NS1_11comp_targetILNS1_3genE0ELNS1_11target_archE4294967295ELNS1_3gpuE0ELNS1_3repE0EEENS1_38merge_mergepath_config_static_selectorELNS0_4arch9wavefront6targetE1EEEvSF_
	.p2align	8
	.type	_ZN7rocprim17ROCPRIM_400000_NS6detail17trampoline_kernelINS0_14default_configENS1_38merge_sort_block_merge_config_selectorIjNS0_10empty_typeEEEZZNS1_27merge_sort_block_merge_implIS3_PjPS5_jNS1_19radix_merge_compareILb0ELb0EjNS0_19identity_decomposerEEEEE10hipError_tT0_T1_T2_jT3_P12ihipStream_tbPNSt15iterator_traitsISE_E10value_typeEPNSK_ISF_E10value_typeEPSG_NS1_7vsmem_tEENKUlT_SE_SF_SG_E_clIS8_S8_S9_S9_EESD_ST_SE_SF_SG_EUlST_E0_NS1_11comp_targetILNS1_3genE0ELNS1_11target_archE4294967295ELNS1_3gpuE0ELNS1_3repE0EEENS1_38merge_mergepath_config_static_selectorELNS0_4arch9wavefront6targetE1EEEvSF_,@function
_ZN7rocprim17ROCPRIM_400000_NS6detail17trampoline_kernelINS0_14default_configENS1_38merge_sort_block_merge_config_selectorIjNS0_10empty_typeEEEZZNS1_27merge_sort_block_merge_implIS3_PjPS5_jNS1_19radix_merge_compareILb0ELb0EjNS0_19identity_decomposerEEEEE10hipError_tT0_T1_T2_jT3_P12ihipStream_tbPNSt15iterator_traitsISE_E10value_typeEPNSK_ISF_E10value_typeEPSG_NS1_7vsmem_tEENKUlT_SE_SF_SG_E_clIS8_S8_S9_S9_EESD_ST_SE_SF_SG_EUlST_E0_NS1_11comp_targetILNS1_3genE0ELNS1_11target_archE4294967295ELNS1_3gpuE0ELNS1_3repE0EEENS1_38merge_mergepath_config_static_selectorELNS0_4arch9wavefront6targetE1EEEvSF_: ; @_ZN7rocprim17ROCPRIM_400000_NS6detail17trampoline_kernelINS0_14default_configENS1_38merge_sort_block_merge_config_selectorIjNS0_10empty_typeEEEZZNS1_27merge_sort_block_merge_implIS3_PjPS5_jNS1_19radix_merge_compareILb0ELb0EjNS0_19identity_decomposerEEEEE10hipError_tT0_T1_T2_jT3_P12ihipStream_tbPNSt15iterator_traitsISE_E10value_typeEPNSK_ISF_E10value_typeEPSG_NS1_7vsmem_tEENKUlT_SE_SF_SG_E_clIS8_S8_S9_S9_EESD_ST_SE_SF_SG_EUlST_E0_NS1_11comp_targetILNS1_3genE0ELNS1_11target_archE4294967295ELNS1_3gpuE0ELNS1_3repE0EEENS1_38merge_mergepath_config_static_selectorELNS0_4arch9wavefront6targetE1EEEvSF_
; %bb.0:
	.section	.rodata,"a",@progbits
	.p2align	6, 0x0
	.amdhsa_kernel _ZN7rocprim17ROCPRIM_400000_NS6detail17trampoline_kernelINS0_14default_configENS1_38merge_sort_block_merge_config_selectorIjNS0_10empty_typeEEEZZNS1_27merge_sort_block_merge_implIS3_PjPS5_jNS1_19radix_merge_compareILb0ELb0EjNS0_19identity_decomposerEEEEE10hipError_tT0_T1_T2_jT3_P12ihipStream_tbPNSt15iterator_traitsISE_E10value_typeEPNSK_ISF_E10value_typeEPSG_NS1_7vsmem_tEENKUlT_SE_SF_SG_E_clIS8_S8_S9_S9_EESD_ST_SE_SF_SG_EUlST_E0_NS1_11comp_targetILNS1_3genE0ELNS1_11target_archE4294967295ELNS1_3gpuE0ELNS1_3repE0EEENS1_38merge_mergepath_config_static_selectorELNS0_4arch9wavefront6targetE1EEEvSF_
		.amdhsa_group_segment_fixed_size 0
		.amdhsa_private_segment_fixed_size 0
		.amdhsa_kernarg_size 64
		.amdhsa_user_sgpr_count 6
		.amdhsa_user_sgpr_private_segment_buffer 1
		.amdhsa_user_sgpr_dispatch_ptr 0
		.amdhsa_user_sgpr_queue_ptr 0
		.amdhsa_user_sgpr_kernarg_segment_ptr 1
		.amdhsa_user_sgpr_dispatch_id 0
		.amdhsa_user_sgpr_flat_scratch_init 0
		.amdhsa_user_sgpr_kernarg_preload_length 0
		.amdhsa_user_sgpr_kernarg_preload_offset 0
		.amdhsa_user_sgpr_private_segment_size 0
		.amdhsa_uses_dynamic_stack 0
		.amdhsa_system_sgpr_private_segment_wavefront_offset 0
		.amdhsa_system_sgpr_workgroup_id_x 1
		.amdhsa_system_sgpr_workgroup_id_y 0
		.amdhsa_system_sgpr_workgroup_id_z 0
		.amdhsa_system_sgpr_workgroup_info 0
		.amdhsa_system_vgpr_workitem_id 0
		.amdhsa_next_free_vgpr 1
		.amdhsa_next_free_sgpr 0
		.amdhsa_accum_offset 4
		.amdhsa_reserve_vcc 0
		.amdhsa_reserve_flat_scratch 0
		.amdhsa_float_round_mode_32 0
		.amdhsa_float_round_mode_16_64 0
		.amdhsa_float_denorm_mode_32 3
		.amdhsa_float_denorm_mode_16_64 3
		.amdhsa_dx10_clamp 1
		.amdhsa_ieee_mode 1
		.amdhsa_fp16_overflow 0
		.amdhsa_tg_split 0
		.amdhsa_exception_fp_ieee_invalid_op 0
		.amdhsa_exception_fp_denorm_src 0
		.amdhsa_exception_fp_ieee_div_zero 0
		.amdhsa_exception_fp_ieee_overflow 0
		.amdhsa_exception_fp_ieee_underflow 0
		.amdhsa_exception_fp_ieee_inexact 0
		.amdhsa_exception_int_div_zero 0
	.end_amdhsa_kernel
	.section	.text._ZN7rocprim17ROCPRIM_400000_NS6detail17trampoline_kernelINS0_14default_configENS1_38merge_sort_block_merge_config_selectorIjNS0_10empty_typeEEEZZNS1_27merge_sort_block_merge_implIS3_PjPS5_jNS1_19radix_merge_compareILb0ELb0EjNS0_19identity_decomposerEEEEE10hipError_tT0_T1_T2_jT3_P12ihipStream_tbPNSt15iterator_traitsISE_E10value_typeEPNSK_ISF_E10value_typeEPSG_NS1_7vsmem_tEENKUlT_SE_SF_SG_E_clIS8_S8_S9_S9_EESD_ST_SE_SF_SG_EUlST_E0_NS1_11comp_targetILNS1_3genE0ELNS1_11target_archE4294967295ELNS1_3gpuE0ELNS1_3repE0EEENS1_38merge_mergepath_config_static_selectorELNS0_4arch9wavefront6targetE1EEEvSF_,"axG",@progbits,_ZN7rocprim17ROCPRIM_400000_NS6detail17trampoline_kernelINS0_14default_configENS1_38merge_sort_block_merge_config_selectorIjNS0_10empty_typeEEEZZNS1_27merge_sort_block_merge_implIS3_PjPS5_jNS1_19radix_merge_compareILb0ELb0EjNS0_19identity_decomposerEEEEE10hipError_tT0_T1_T2_jT3_P12ihipStream_tbPNSt15iterator_traitsISE_E10value_typeEPNSK_ISF_E10value_typeEPSG_NS1_7vsmem_tEENKUlT_SE_SF_SG_E_clIS8_S8_S9_S9_EESD_ST_SE_SF_SG_EUlST_E0_NS1_11comp_targetILNS1_3genE0ELNS1_11target_archE4294967295ELNS1_3gpuE0ELNS1_3repE0EEENS1_38merge_mergepath_config_static_selectorELNS0_4arch9wavefront6targetE1EEEvSF_,comdat
.Lfunc_end694:
	.size	_ZN7rocprim17ROCPRIM_400000_NS6detail17trampoline_kernelINS0_14default_configENS1_38merge_sort_block_merge_config_selectorIjNS0_10empty_typeEEEZZNS1_27merge_sort_block_merge_implIS3_PjPS5_jNS1_19radix_merge_compareILb0ELb0EjNS0_19identity_decomposerEEEEE10hipError_tT0_T1_T2_jT3_P12ihipStream_tbPNSt15iterator_traitsISE_E10value_typeEPNSK_ISF_E10value_typeEPSG_NS1_7vsmem_tEENKUlT_SE_SF_SG_E_clIS8_S8_S9_S9_EESD_ST_SE_SF_SG_EUlST_E0_NS1_11comp_targetILNS1_3genE0ELNS1_11target_archE4294967295ELNS1_3gpuE0ELNS1_3repE0EEENS1_38merge_mergepath_config_static_selectorELNS0_4arch9wavefront6targetE1EEEvSF_, .Lfunc_end694-_ZN7rocprim17ROCPRIM_400000_NS6detail17trampoline_kernelINS0_14default_configENS1_38merge_sort_block_merge_config_selectorIjNS0_10empty_typeEEEZZNS1_27merge_sort_block_merge_implIS3_PjPS5_jNS1_19radix_merge_compareILb0ELb0EjNS0_19identity_decomposerEEEEE10hipError_tT0_T1_T2_jT3_P12ihipStream_tbPNSt15iterator_traitsISE_E10value_typeEPNSK_ISF_E10value_typeEPSG_NS1_7vsmem_tEENKUlT_SE_SF_SG_E_clIS8_S8_S9_S9_EESD_ST_SE_SF_SG_EUlST_E0_NS1_11comp_targetILNS1_3genE0ELNS1_11target_archE4294967295ELNS1_3gpuE0ELNS1_3repE0EEENS1_38merge_mergepath_config_static_selectorELNS0_4arch9wavefront6targetE1EEEvSF_
                                        ; -- End function
	.section	.AMDGPU.csdata,"",@progbits
; Kernel info:
; codeLenInByte = 0
; NumSgprs: 4
; NumVgprs: 0
; NumAgprs: 0
; TotalNumVgprs: 0
; ScratchSize: 0
; MemoryBound: 0
; FloatMode: 240
; IeeeMode: 1
; LDSByteSize: 0 bytes/workgroup (compile time only)
; SGPRBlocks: 0
; VGPRBlocks: 0
; NumSGPRsForWavesPerEU: 4
; NumVGPRsForWavesPerEU: 1
; AccumOffset: 4
; Occupancy: 8
; WaveLimiterHint : 0
; COMPUTE_PGM_RSRC2:SCRATCH_EN: 0
; COMPUTE_PGM_RSRC2:USER_SGPR: 6
; COMPUTE_PGM_RSRC2:TRAP_HANDLER: 0
; COMPUTE_PGM_RSRC2:TGID_X_EN: 1
; COMPUTE_PGM_RSRC2:TGID_Y_EN: 0
; COMPUTE_PGM_RSRC2:TGID_Z_EN: 0
; COMPUTE_PGM_RSRC2:TIDIG_COMP_CNT: 0
; COMPUTE_PGM_RSRC3_GFX90A:ACCUM_OFFSET: 0
; COMPUTE_PGM_RSRC3_GFX90A:TG_SPLIT: 0
	.section	.text._ZN7rocprim17ROCPRIM_400000_NS6detail17trampoline_kernelINS0_14default_configENS1_38merge_sort_block_merge_config_selectorIjNS0_10empty_typeEEEZZNS1_27merge_sort_block_merge_implIS3_PjPS5_jNS1_19radix_merge_compareILb0ELb0EjNS0_19identity_decomposerEEEEE10hipError_tT0_T1_T2_jT3_P12ihipStream_tbPNSt15iterator_traitsISE_E10value_typeEPNSK_ISF_E10value_typeEPSG_NS1_7vsmem_tEENKUlT_SE_SF_SG_E_clIS8_S8_S9_S9_EESD_ST_SE_SF_SG_EUlST_E0_NS1_11comp_targetILNS1_3genE10ELNS1_11target_archE1201ELNS1_3gpuE5ELNS1_3repE0EEENS1_38merge_mergepath_config_static_selectorELNS0_4arch9wavefront6targetE1EEEvSF_,"axG",@progbits,_ZN7rocprim17ROCPRIM_400000_NS6detail17trampoline_kernelINS0_14default_configENS1_38merge_sort_block_merge_config_selectorIjNS0_10empty_typeEEEZZNS1_27merge_sort_block_merge_implIS3_PjPS5_jNS1_19radix_merge_compareILb0ELb0EjNS0_19identity_decomposerEEEEE10hipError_tT0_T1_T2_jT3_P12ihipStream_tbPNSt15iterator_traitsISE_E10value_typeEPNSK_ISF_E10value_typeEPSG_NS1_7vsmem_tEENKUlT_SE_SF_SG_E_clIS8_S8_S9_S9_EESD_ST_SE_SF_SG_EUlST_E0_NS1_11comp_targetILNS1_3genE10ELNS1_11target_archE1201ELNS1_3gpuE5ELNS1_3repE0EEENS1_38merge_mergepath_config_static_selectorELNS0_4arch9wavefront6targetE1EEEvSF_,comdat
	.protected	_ZN7rocprim17ROCPRIM_400000_NS6detail17trampoline_kernelINS0_14default_configENS1_38merge_sort_block_merge_config_selectorIjNS0_10empty_typeEEEZZNS1_27merge_sort_block_merge_implIS3_PjPS5_jNS1_19radix_merge_compareILb0ELb0EjNS0_19identity_decomposerEEEEE10hipError_tT0_T1_T2_jT3_P12ihipStream_tbPNSt15iterator_traitsISE_E10value_typeEPNSK_ISF_E10value_typeEPSG_NS1_7vsmem_tEENKUlT_SE_SF_SG_E_clIS8_S8_S9_S9_EESD_ST_SE_SF_SG_EUlST_E0_NS1_11comp_targetILNS1_3genE10ELNS1_11target_archE1201ELNS1_3gpuE5ELNS1_3repE0EEENS1_38merge_mergepath_config_static_selectorELNS0_4arch9wavefront6targetE1EEEvSF_ ; -- Begin function _ZN7rocprim17ROCPRIM_400000_NS6detail17trampoline_kernelINS0_14default_configENS1_38merge_sort_block_merge_config_selectorIjNS0_10empty_typeEEEZZNS1_27merge_sort_block_merge_implIS3_PjPS5_jNS1_19radix_merge_compareILb0ELb0EjNS0_19identity_decomposerEEEEE10hipError_tT0_T1_T2_jT3_P12ihipStream_tbPNSt15iterator_traitsISE_E10value_typeEPNSK_ISF_E10value_typeEPSG_NS1_7vsmem_tEENKUlT_SE_SF_SG_E_clIS8_S8_S9_S9_EESD_ST_SE_SF_SG_EUlST_E0_NS1_11comp_targetILNS1_3genE10ELNS1_11target_archE1201ELNS1_3gpuE5ELNS1_3repE0EEENS1_38merge_mergepath_config_static_selectorELNS0_4arch9wavefront6targetE1EEEvSF_
	.globl	_ZN7rocprim17ROCPRIM_400000_NS6detail17trampoline_kernelINS0_14default_configENS1_38merge_sort_block_merge_config_selectorIjNS0_10empty_typeEEEZZNS1_27merge_sort_block_merge_implIS3_PjPS5_jNS1_19radix_merge_compareILb0ELb0EjNS0_19identity_decomposerEEEEE10hipError_tT0_T1_T2_jT3_P12ihipStream_tbPNSt15iterator_traitsISE_E10value_typeEPNSK_ISF_E10value_typeEPSG_NS1_7vsmem_tEENKUlT_SE_SF_SG_E_clIS8_S8_S9_S9_EESD_ST_SE_SF_SG_EUlST_E0_NS1_11comp_targetILNS1_3genE10ELNS1_11target_archE1201ELNS1_3gpuE5ELNS1_3repE0EEENS1_38merge_mergepath_config_static_selectorELNS0_4arch9wavefront6targetE1EEEvSF_
	.p2align	8
	.type	_ZN7rocprim17ROCPRIM_400000_NS6detail17trampoline_kernelINS0_14default_configENS1_38merge_sort_block_merge_config_selectorIjNS0_10empty_typeEEEZZNS1_27merge_sort_block_merge_implIS3_PjPS5_jNS1_19radix_merge_compareILb0ELb0EjNS0_19identity_decomposerEEEEE10hipError_tT0_T1_T2_jT3_P12ihipStream_tbPNSt15iterator_traitsISE_E10value_typeEPNSK_ISF_E10value_typeEPSG_NS1_7vsmem_tEENKUlT_SE_SF_SG_E_clIS8_S8_S9_S9_EESD_ST_SE_SF_SG_EUlST_E0_NS1_11comp_targetILNS1_3genE10ELNS1_11target_archE1201ELNS1_3gpuE5ELNS1_3repE0EEENS1_38merge_mergepath_config_static_selectorELNS0_4arch9wavefront6targetE1EEEvSF_,@function
_ZN7rocprim17ROCPRIM_400000_NS6detail17trampoline_kernelINS0_14default_configENS1_38merge_sort_block_merge_config_selectorIjNS0_10empty_typeEEEZZNS1_27merge_sort_block_merge_implIS3_PjPS5_jNS1_19radix_merge_compareILb0ELb0EjNS0_19identity_decomposerEEEEE10hipError_tT0_T1_T2_jT3_P12ihipStream_tbPNSt15iterator_traitsISE_E10value_typeEPNSK_ISF_E10value_typeEPSG_NS1_7vsmem_tEENKUlT_SE_SF_SG_E_clIS8_S8_S9_S9_EESD_ST_SE_SF_SG_EUlST_E0_NS1_11comp_targetILNS1_3genE10ELNS1_11target_archE1201ELNS1_3gpuE5ELNS1_3repE0EEENS1_38merge_mergepath_config_static_selectorELNS0_4arch9wavefront6targetE1EEEvSF_: ; @_ZN7rocprim17ROCPRIM_400000_NS6detail17trampoline_kernelINS0_14default_configENS1_38merge_sort_block_merge_config_selectorIjNS0_10empty_typeEEEZZNS1_27merge_sort_block_merge_implIS3_PjPS5_jNS1_19radix_merge_compareILb0ELb0EjNS0_19identity_decomposerEEEEE10hipError_tT0_T1_T2_jT3_P12ihipStream_tbPNSt15iterator_traitsISE_E10value_typeEPNSK_ISF_E10value_typeEPSG_NS1_7vsmem_tEENKUlT_SE_SF_SG_E_clIS8_S8_S9_S9_EESD_ST_SE_SF_SG_EUlST_E0_NS1_11comp_targetILNS1_3genE10ELNS1_11target_archE1201ELNS1_3gpuE5ELNS1_3repE0EEENS1_38merge_mergepath_config_static_selectorELNS0_4arch9wavefront6targetE1EEEvSF_
; %bb.0:
	.section	.rodata,"a",@progbits
	.p2align	6, 0x0
	.amdhsa_kernel _ZN7rocprim17ROCPRIM_400000_NS6detail17trampoline_kernelINS0_14default_configENS1_38merge_sort_block_merge_config_selectorIjNS0_10empty_typeEEEZZNS1_27merge_sort_block_merge_implIS3_PjPS5_jNS1_19radix_merge_compareILb0ELb0EjNS0_19identity_decomposerEEEEE10hipError_tT0_T1_T2_jT3_P12ihipStream_tbPNSt15iterator_traitsISE_E10value_typeEPNSK_ISF_E10value_typeEPSG_NS1_7vsmem_tEENKUlT_SE_SF_SG_E_clIS8_S8_S9_S9_EESD_ST_SE_SF_SG_EUlST_E0_NS1_11comp_targetILNS1_3genE10ELNS1_11target_archE1201ELNS1_3gpuE5ELNS1_3repE0EEENS1_38merge_mergepath_config_static_selectorELNS0_4arch9wavefront6targetE1EEEvSF_
		.amdhsa_group_segment_fixed_size 0
		.amdhsa_private_segment_fixed_size 0
		.amdhsa_kernarg_size 64
		.amdhsa_user_sgpr_count 6
		.amdhsa_user_sgpr_private_segment_buffer 1
		.amdhsa_user_sgpr_dispatch_ptr 0
		.amdhsa_user_sgpr_queue_ptr 0
		.amdhsa_user_sgpr_kernarg_segment_ptr 1
		.amdhsa_user_sgpr_dispatch_id 0
		.amdhsa_user_sgpr_flat_scratch_init 0
		.amdhsa_user_sgpr_kernarg_preload_length 0
		.amdhsa_user_sgpr_kernarg_preload_offset 0
		.amdhsa_user_sgpr_private_segment_size 0
		.amdhsa_uses_dynamic_stack 0
		.amdhsa_system_sgpr_private_segment_wavefront_offset 0
		.amdhsa_system_sgpr_workgroup_id_x 1
		.amdhsa_system_sgpr_workgroup_id_y 0
		.amdhsa_system_sgpr_workgroup_id_z 0
		.amdhsa_system_sgpr_workgroup_info 0
		.amdhsa_system_vgpr_workitem_id 0
		.amdhsa_next_free_vgpr 1
		.amdhsa_next_free_sgpr 0
		.amdhsa_accum_offset 4
		.amdhsa_reserve_vcc 0
		.amdhsa_reserve_flat_scratch 0
		.amdhsa_float_round_mode_32 0
		.amdhsa_float_round_mode_16_64 0
		.amdhsa_float_denorm_mode_32 3
		.amdhsa_float_denorm_mode_16_64 3
		.amdhsa_dx10_clamp 1
		.amdhsa_ieee_mode 1
		.amdhsa_fp16_overflow 0
		.amdhsa_tg_split 0
		.amdhsa_exception_fp_ieee_invalid_op 0
		.amdhsa_exception_fp_denorm_src 0
		.amdhsa_exception_fp_ieee_div_zero 0
		.amdhsa_exception_fp_ieee_overflow 0
		.amdhsa_exception_fp_ieee_underflow 0
		.amdhsa_exception_fp_ieee_inexact 0
		.amdhsa_exception_int_div_zero 0
	.end_amdhsa_kernel
	.section	.text._ZN7rocprim17ROCPRIM_400000_NS6detail17trampoline_kernelINS0_14default_configENS1_38merge_sort_block_merge_config_selectorIjNS0_10empty_typeEEEZZNS1_27merge_sort_block_merge_implIS3_PjPS5_jNS1_19radix_merge_compareILb0ELb0EjNS0_19identity_decomposerEEEEE10hipError_tT0_T1_T2_jT3_P12ihipStream_tbPNSt15iterator_traitsISE_E10value_typeEPNSK_ISF_E10value_typeEPSG_NS1_7vsmem_tEENKUlT_SE_SF_SG_E_clIS8_S8_S9_S9_EESD_ST_SE_SF_SG_EUlST_E0_NS1_11comp_targetILNS1_3genE10ELNS1_11target_archE1201ELNS1_3gpuE5ELNS1_3repE0EEENS1_38merge_mergepath_config_static_selectorELNS0_4arch9wavefront6targetE1EEEvSF_,"axG",@progbits,_ZN7rocprim17ROCPRIM_400000_NS6detail17trampoline_kernelINS0_14default_configENS1_38merge_sort_block_merge_config_selectorIjNS0_10empty_typeEEEZZNS1_27merge_sort_block_merge_implIS3_PjPS5_jNS1_19radix_merge_compareILb0ELb0EjNS0_19identity_decomposerEEEEE10hipError_tT0_T1_T2_jT3_P12ihipStream_tbPNSt15iterator_traitsISE_E10value_typeEPNSK_ISF_E10value_typeEPSG_NS1_7vsmem_tEENKUlT_SE_SF_SG_E_clIS8_S8_S9_S9_EESD_ST_SE_SF_SG_EUlST_E0_NS1_11comp_targetILNS1_3genE10ELNS1_11target_archE1201ELNS1_3gpuE5ELNS1_3repE0EEENS1_38merge_mergepath_config_static_selectorELNS0_4arch9wavefront6targetE1EEEvSF_,comdat
.Lfunc_end695:
	.size	_ZN7rocprim17ROCPRIM_400000_NS6detail17trampoline_kernelINS0_14default_configENS1_38merge_sort_block_merge_config_selectorIjNS0_10empty_typeEEEZZNS1_27merge_sort_block_merge_implIS3_PjPS5_jNS1_19radix_merge_compareILb0ELb0EjNS0_19identity_decomposerEEEEE10hipError_tT0_T1_T2_jT3_P12ihipStream_tbPNSt15iterator_traitsISE_E10value_typeEPNSK_ISF_E10value_typeEPSG_NS1_7vsmem_tEENKUlT_SE_SF_SG_E_clIS8_S8_S9_S9_EESD_ST_SE_SF_SG_EUlST_E0_NS1_11comp_targetILNS1_3genE10ELNS1_11target_archE1201ELNS1_3gpuE5ELNS1_3repE0EEENS1_38merge_mergepath_config_static_selectorELNS0_4arch9wavefront6targetE1EEEvSF_, .Lfunc_end695-_ZN7rocprim17ROCPRIM_400000_NS6detail17trampoline_kernelINS0_14default_configENS1_38merge_sort_block_merge_config_selectorIjNS0_10empty_typeEEEZZNS1_27merge_sort_block_merge_implIS3_PjPS5_jNS1_19radix_merge_compareILb0ELb0EjNS0_19identity_decomposerEEEEE10hipError_tT0_T1_T2_jT3_P12ihipStream_tbPNSt15iterator_traitsISE_E10value_typeEPNSK_ISF_E10value_typeEPSG_NS1_7vsmem_tEENKUlT_SE_SF_SG_E_clIS8_S8_S9_S9_EESD_ST_SE_SF_SG_EUlST_E0_NS1_11comp_targetILNS1_3genE10ELNS1_11target_archE1201ELNS1_3gpuE5ELNS1_3repE0EEENS1_38merge_mergepath_config_static_selectorELNS0_4arch9wavefront6targetE1EEEvSF_
                                        ; -- End function
	.section	.AMDGPU.csdata,"",@progbits
; Kernel info:
; codeLenInByte = 0
; NumSgprs: 4
; NumVgprs: 0
; NumAgprs: 0
; TotalNumVgprs: 0
; ScratchSize: 0
; MemoryBound: 0
; FloatMode: 240
; IeeeMode: 1
; LDSByteSize: 0 bytes/workgroup (compile time only)
; SGPRBlocks: 0
; VGPRBlocks: 0
; NumSGPRsForWavesPerEU: 4
; NumVGPRsForWavesPerEU: 1
; AccumOffset: 4
; Occupancy: 8
; WaveLimiterHint : 0
; COMPUTE_PGM_RSRC2:SCRATCH_EN: 0
; COMPUTE_PGM_RSRC2:USER_SGPR: 6
; COMPUTE_PGM_RSRC2:TRAP_HANDLER: 0
; COMPUTE_PGM_RSRC2:TGID_X_EN: 1
; COMPUTE_PGM_RSRC2:TGID_Y_EN: 0
; COMPUTE_PGM_RSRC2:TGID_Z_EN: 0
; COMPUTE_PGM_RSRC2:TIDIG_COMP_CNT: 0
; COMPUTE_PGM_RSRC3_GFX90A:ACCUM_OFFSET: 0
; COMPUTE_PGM_RSRC3_GFX90A:TG_SPLIT: 0
	.section	.text._ZN7rocprim17ROCPRIM_400000_NS6detail17trampoline_kernelINS0_14default_configENS1_38merge_sort_block_merge_config_selectorIjNS0_10empty_typeEEEZZNS1_27merge_sort_block_merge_implIS3_PjPS5_jNS1_19radix_merge_compareILb0ELb0EjNS0_19identity_decomposerEEEEE10hipError_tT0_T1_T2_jT3_P12ihipStream_tbPNSt15iterator_traitsISE_E10value_typeEPNSK_ISF_E10value_typeEPSG_NS1_7vsmem_tEENKUlT_SE_SF_SG_E_clIS8_S8_S9_S9_EESD_ST_SE_SF_SG_EUlST_E0_NS1_11comp_targetILNS1_3genE5ELNS1_11target_archE942ELNS1_3gpuE9ELNS1_3repE0EEENS1_38merge_mergepath_config_static_selectorELNS0_4arch9wavefront6targetE1EEEvSF_,"axG",@progbits,_ZN7rocprim17ROCPRIM_400000_NS6detail17trampoline_kernelINS0_14default_configENS1_38merge_sort_block_merge_config_selectorIjNS0_10empty_typeEEEZZNS1_27merge_sort_block_merge_implIS3_PjPS5_jNS1_19radix_merge_compareILb0ELb0EjNS0_19identity_decomposerEEEEE10hipError_tT0_T1_T2_jT3_P12ihipStream_tbPNSt15iterator_traitsISE_E10value_typeEPNSK_ISF_E10value_typeEPSG_NS1_7vsmem_tEENKUlT_SE_SF_SG_E_clIS8_S8_S9_S9_EESD_ST_SE_SF_SG_EUlST_E0_NS1_11comp_targetILNS1_3genE5ELNS1_11target_archE942ELNS1_3gpuE9ELNS1_3repE0EEENS1_38merge_mergepath_config_static_selectorELNS0_4arch9wavefront6targetE1EEEvSF_,comdat
	.protected	_ZN7rocprim17ROCPRIM_400000_NS6detail17trampoline_kernelINS0_14default_configENS1_38merge_sort_block_merge_config_selectorIjNS0_10empty_typeEEEZZNS1_27merge_sort_block_merge_implIS3_PjPS5_jNS1_19radix_merge_compareILb0ELb0EjNS0_19identity_decomposerEEEEE10hipError_tT0_T1_T2_jT3_P12ihipStream_tbPNSt15iterator_traitsISE_E10value_typeEPNSK_ISF_E10value_typeEPSG_NS1_7vsmem_tEENKUlT_SE_SF_SG_E_clIS8_S8_S9_S9_EESD_ST_SE_SF_SG_EUlST_E0_NS1_11comp_targetILNS1_3genE5ELNS1_11target_archE942ELNS1_3gpuE9ELNS1_3repE0EEENS1_38merge_mergepath_config_static_selectorELNS0_4arch9wavefront6targetE1EEEvSF_ ; -- Begin function _ZN7rocprim17ROCPRIM_400000_NS6detail17trampoline_kernelINS0_14default_configENS1_38merge_sort_block_merge_config_selectorIjNS0_10empty_typeEEEZZNS1_27merge_sort_block_merge_implIS3_PjPS5_jNS1_19radix_merge_compareILb0ELb0EjNS0_19identity_decomposerEEEEE10hipError_tT0_T1_T2_jT3_P12ihipStream_tbPNSt15iterator_traitsISE_E10value_typeEPNSK_ISF_E10value_typeEPSG_NS1_7vsmem_tEENKUlT_SE_SF_SG_E_clIS8_S8_S9_S9_EESD_ST_SE_SF_SG_EUlST_E0_NS1_11comp_targetILNS1_3genE5ELNS1_11target_archE942ELNS1_3gpuE9ELNS1_3repE0EEENS1_38merge_mergepath_config_static_selectorELNS0_4arch9wavefront6targetE1EEEvSF_
	.globl	_ZN7rocprim17ROCPRIM_400000_NS6detail17trampoline_kernelINS0_14default_configENS1_38merge_sort_block_merge_config_selectorIjNS0_10empty_typeEEEZZNS1_27merge_sort_block_merge_implIS3_PjPS5_jNS1_19radix_merge_compareILb0ELb0EjNS0_19identity_decomposerEEEEE10hipError_tT0_T1_T2_jT3_P12ihipStream_tbPNSt15iterator_traitsISE_E10value_typeEPNSK_ISF_E10value_typeEPSG_NS1_7vsmem_tEENKUlT_SE_SF_SG_E_clIS8_S8_S9_S9_EESD_ST_SE_SF_SG_EUlST_E0_NS1_11comp_targetILNS1_3genE5ELNS1_11target_archE942ELNS1_3gpuE9ELNS1_3repE0EEENS1_38merge_mergepath_config_static_selectorELNS0_4arch9wavefront6targetE1EEEvSF_
	.p2align	8
	.type	_ZN7rocprim17ROCPRIM_400000_NS6detail17trampoline_kernelINS0_14default_configENS1_38merge_sort_block_merge_config_selectorIjNS0_10empty_typeEEEZZNS1_27merge_sort_block_merge_implIS3_PjPS5_jNS1_19radix_merge_compareILb0ELb0EjNS0_19identity_decomposerEEEEE10hipError_tT0_T1_T2_jT3_P12ihipStream_tbPNSt15iterator_traitsISE_E10value_typeEPNSK_ISF_E10value_typeEPSG_NS1_7vsmem_tEENKUlT_SE_SF_SG_E_clIS8_S8_S9_S9_EESD_ST_SE_SF_SG_EUlST_E0_NS1_11comp_targetILNS1_3genE5ELNS1_11target_archE942ELNS1_3gpuE9ELNS1_3repE0EEENS1_38merge_mergepath_config_static_selectorELNS0_4arch9wavefront6targetE1EEEvSF_,@function
_ZN7rocprim17ROCPRIM_400000_NS6detail17trampoline_kernelINS0_14default_configENS1_38merge_sort_block_merge_config_selectorIjNS0_10empty_typeEEEZZNS1_27merge_sort_block_merge_implIS3_PjPS5_jNS1_19radix_merge_compareILb0ELb0EjNS0_19identity_decomposerEEEEE10hipError_tT0_T1_T2_jT3_P12ihipStream_tbPNSt15iterator_traitsISE_E10value_typeEPNSK_ISF_E10value_typeEPSG_NS1_7vsmem_tEENKUlT_SE_SF_SG_E_clIS8_S8_S9_S9_EESD_ST_SE_SF_SG_EUlST_E0_NS1_11comp_targetILNS1_3genE5ELNS1_11target_archE942ELNS1_3gpuE9ELNS1_3repE0EEENS1_38merge_mergepath_config_static_selectorELNS0_4arch9wavefront6targetE1EEEvSF_: ; @_ZN7rocprim17ROCPRIM_400000_NS6detail17trampoline_kernelINS0_14default_configENS1_38merge_sort_block_merge_config_selectorIjNS0_10empty_typeEEEZZNS1_27merge_sort_block_merge_implIS3_PjPS5_jNS1_19radix_merge_compareILb0ELb0EjNS0_19identity_decomposerEEEEE10hipError_tT0_T1_T2_jT3_P12ihipStream_tbPNSt15iterator_traitsISE_E10value_typeEPNSK_ISF_E10value_typeEPSG_NS1_7vsmem_tEENKUlT_SE_SF_SG_E_clIS8_S8_S9_S9_EESD_ST_SE_SF_SG_EUlST_E0_NS1_11comp_targetILNS1_3genE5ELNS1_11target_archE942ELNS1_3gpuE9ELNS1_3repE0EEENS1_38merge_mergepath_config_static_selectorELNS0_4arch9wavefront6targetE1EEEvSF_
; %bb.0:
	.section	.rodata,"a",@progbits
	.p2align	6, 0x0
	.amdhsa_kernel _ZN7rocprim17ROCPRIM_400000_NS6detail17trampoline_kernelINS0_14default_configENS1_38merge_sort_block_merge_config_selectorIjNS0_10empty_typeEEEZZNS1_27merge_sort_block_merge_implIS3_PjPS5_jNS1_19radix_merge_compareILb0ELb0EjNS0_19identity_decomposerEEEEE10hipError_tT0_T1_T2_jT3_P12ihipStream_tbPNSt15iterator_traitsISE_E10value_typeEPNSK_ISF_E10value_typeEPSG_NS1_7vsmem_tEENKUlT_SE_SF_SG_E_clIS8_S8_S9_S9_EESD_ST_SE_SF_SG_EUlST_E0_NS1_11comp_targetILNS1_3genE5ELNS1_11target_archE942ELNS1_3gpuE9ELNS1_3repE0EEENS1_38merge_mergepath_config_static_selectorELNS0_4arch9wavefront6targetE1EEEvSF_
		.amdhsa_group_segment_fixed_size 0
		.amdhsa_private_segment_fixed_size 0
		.amdhsa_kernarg_size 64
		.amdhsa_user_sgpr_count 6
		.amdhsa_user_sgpr_private_segment_buffer 1
		.amdhsa_user_sgpr_dispatch_ptr 0
		.amdhsa_user_sgpr_queue_ptr 0
		.amdhsa_user_sgpr_kernarg_segment_ptr 1
		.amdhsa_user_sgpr_dispatch_id 0
		.amdhsa_user_sgpr_flat_scratch_init 0
		.amdhsa_user_sgpr_kernarg_preload_length 0
		.amdhsa_user_sgpr_kernarg_preload_offset 0
		.amdhsa_user_sgpr_private_segment_size 0
		.amdhsa_uses_dynamic_stack 0
		.amdhsa_system_sgpr_private_segment_wavefront_offset 0
		.amdhsa_system_sgpr_workgroup_id_x 1
		.amdhsa_system_sgpr_workgroup_id_y 0
		.amdhsa_system_sgpr_workgroup_id_z 0
		.amdhsa_system_sgpr_workgroup_info 0
		.amdhsa_system_vgpr_workitem_id 0
		.amdhsa_next_free_vgpr 1
		.amdhsa_next_free_sgpr 0
		.amdhsa_accum_offset 4
		.amdhsa_reserve_vcc 0
		.amdhsa_reserve_flat_scratch 0
		.amdhsa_float_round_mode_32 0
		.amdhsa_float_round_mode_16_64 0
		.amdhsa_float_denorm_mode_32 3
		.amdhsa_float_denorm_mode_16_64 3
		.amdhsa_dx10_clamp 1
		.amdhsa_ieee_mode 1
		.amdhsa_fp16_overflow 0
		.amdhsa_tg_split 0
		.amdhsa_exception_fp_ieee_invalid_op 0
		.amdhsa_exception_fp_denorm_src 0
		.amdhsa_exception_fp_ieee_div_zero 0
		.amdhsa_exception_fp_ieee_overflow 0
		.amdhsa_exception_fp_ieee_underflow 0
		.amdhsa_exception_fp_ieee_inexact 0
		.amdhsa_exception_int_div_zero 0
	.end_amdhsa_kernel
	.section	.text._ZN7rocprim17ROCPRIM_400000_NS6detail17trampoline_kernelINS0_14default_configENS1_38merge_sort_block_merge_config_selectorIjNS0_10empty_typeEEEZZNS1_27merge_sort_block_merge_implIS3_PjPS5_jNS1_19radix_merge_compareILb0ELb0EjNS0_19identity_decomposerEEEEE10hipError_tT0_T1_T2_jT3_P12ihipStream_tbPNSt15iterator_traitsISE_E10value_typeEPNSK_ISF_E10value_typeEPSG_NS1_7vsmem_tEENKUlT_SE_SF_SG_E_clIS8_S8_S9_S9_EESD_ST_SE_SF_SG_EUlST_E0_NS1_11comp_targetILNS1_3genE5ELNS1_11target_archE942ELNS1_3gpuE9ELNS1_3repE0EEENS1_38merge_mergepath_config_static_selectorELNS0_4arch9wavefront6targetE1EEEvSF_,"axG",@progbits,_ZN7rocprim17ROCPRIM_400000_NS6detail17trampoline_kernelINS0_14default_configENS1_38merge_sort_block_merge_config_selectorIjNS0_10empty_typeEEEZZNS1_27merge_sort_block_merge_implIS3_PjPS5_jNS1_19radix_merge_compareILb0ELb0EjNS0_19identity_decomposerEEEEE10hipError_tT0_T1_T2_jT3_P12ihipStream_tbPNSt15iterator_traitsISE_E10value_typeEPNSK_ISF_E10value_typeEPSG_NS1_7vsmem_tEENKUlT_SE_SF_SG_E_clIS8_S8_S9_S9_EESD_ST_SE_SF_SG_EUlST_E0_NS1_11comp_targetILNS1_3genE5ELNS1_11target_archE942ELNS1_3gpuE9ELNS1_3repE0EEENS1_38merge_mergepath_config_static_selectorELNS0_4arch9wavefront6targetE1EEEvSF_,comdat
.Lfunc_end696:
	.size	_ZN7rocprim17ROCPRIM_400000_NS6detail17trampoline_kernelINS0_14default_configENS1_38merge_sort_block_merge_config_selectorIjNS0_10empty_typeEEEZZNS1_27merge_sort_block_merge_implIS3_PjPS5_jNS1_19radix_merge_compareILb0ELb0EjNS0_19identity_decomposerEEEEE10hipError_tT0_T1_T2_jT3_P12ihipStream_tbPNSt15iterator_traitsISE_E10value_typeEPNSK_ISF_E10value_typeEPSG_NS1_7vsmem_tEENKUlT_SE_SF_SG_E_clIS8_S8_S9_S9_EESD_ST_SE_SF_SG_EUlST_E0_NS1_11comp_targetILNS1_3genE5ELNS1_11target_archE942ELNS1_3gpuE9ELNS1_3repE0EEENS1_38merge_mergepath_config_static_selectorELNS0_4arch9wavefront6targetE1EEEvSF_, .Lfunc_end696-_ZN7rocprim17ROCPRIM_400000_NS6detail17trampoline_kernelINS0_14default_configENS1_38merge_sort_block_merge_config_selectorIjNS0_10empty_typeEEEZZNS1_27merge_sort_block_merge_implIS3_PjPS5_jNS1_19radix_merge_compareILb0ELb0EjNS0_19identity_decomposerEEEEE10hipError_tT0_T1_T2_jT3_P12ihipStream_tbPNSt15iterator_traitsISE_E10value_typeEPNSK_ISF_E10value_typeEPSG_NS1_7vsmem_tEENKUlT_SE_SF_SG_E_clIS8_S8_S9_S9_EESD_ST_SE_SF_SG_EUlST_E0_NS1_11comp_targetILNS1_3genE5ELNS1_11target_archE942ELNS1_3gpuE9ELNS1_3repE0EEENS1_38merge_mergepath_config_static_selectorELNS0_4arch9wavefront6targetE1EEEvSF_
                                        ; -- End function
	.section	.AMDGPU.csdata,"",@progbits
; Kernel info:
; codeLenInByte = 0
; NumSgprs: 4
; NumVgprs: 0
; NumAgprs: 0
; TotalNumVgprs: 0
; ScratchSize: 0
; MemoryBound: 0
; FloatMode: 240
; IeeeMode: 1
; LDSByteSize: 0 bytes/workgroup (compile time only)
; SGPRBlocks: 0
; VGPRBlocks: 0
; NumSGPRsForWavesPerEU: 4
; NumVGPRsForWavesPerEU: 1
; AccumOffset: 4
; Occupancy: 8
; WaveLimiterHint : 0
; COMPUTE_PGM_RSRC2:SCRATCH_EN: 0
; COMPUTE_PGM_RSRC2:USER_SGPR: 6
; COMPUTE_PGM_RSRC2:TRAP_HANDLER: 0
; COMPUTE_PGM_RSRC2:TGID_X_EN: 1
; COMPUTE_PGM_RSRC2:TGID_Y_EN: 0
; COMPUTE_PGM_RSRC2:TGID_Z_EN: 0
; COMPUTE_PGM_RSRC2:TIDIG_COMP_CNT: 0
; COMPUTE_PGM_RSRC3_GFX90A:ACCUM_OFFSET: 0
; COMPUTE_PGM_RSRC3_GFX90A:TG_SPLIT: 0
	.section	.text._ZN7rocprim17ROCPRIM_400000_NS6detail17trampoline_kernelINS0_14default_configENS1_38merge_sort_block_merge_config_selectorIjNS0_10empty_typeEEEZZNS1_27merge_sort_block_merge_implIS3_PjPS5_jNS1_19radix_merge_compareILb0ELb0EjNS0_19identity_decomposerEEEEE10hipError_tT0_T1_T2_jT3_P12ihipStream_tbPNSt15iterator_traitsISE_E10value_typeEPNSK_ISF_E10value_typeEPSG_NS1_7vsmem_tEENKUlT_SE_SF_SG_E_clIS8_S8_S9_S9_EESD_ST_SE_SF_SG_EUlST_E0_NS1_11comp_targetILNS1_3genE4ELNS1_11target_archE910ELNS1_3gpuE8ELNS1_3repE0EEENS1_38merge_mergepath_config_static_selectorELNS0_4arch9wavefront6targetE1EEEvSF_,"axG",@progbits,_ZN7rocprim17ROCPRIM_400000_NS6detail17trampoline_kernelINS0_14default_configENS1_38merge_sort_block_merge_config_selectorIjNS0_10empty_typeEEEZZNS1_27merge_sort_block_merge_implIS3_PjPS5_jNS1_19radix_merge_compareILb0ELb0EjNS0_19identity_decomposerEEEEE10hipError_tT0_T1_T2_jT3_P12ihipStream_tbPNSt15iterator_traitsISE_E10value_typeEPNSK_ISF_E10value_typeEPSG_NS1_7vsmem_tEENKUlT_SE_SF_SG_E_clIS8_S8_S9_S9_EESD_ST_SE_SF_SG_EUlST_E0_NS1_11comp_targetILNS1_3genE4ELNS1_11target_archE910ELNS1_3gpuE8ELNS1_3repE0EEENS1_38merge_mergepath_config_static_selectorELNS0_4arch9wavefront6targetE1EEEvSF_,comdat
	.protected	_ZN7rocprim17ROCPRIM_400000_NS6detail17trampoline_kernelINS0_14default_configENS1_38merge_sort_block_merge_config_selectorIjNS0_10empty_typeEEEZZNS1_27merge_sort_block_merge_implIS3_PjPS5_jNS1_19radix_merge_compareILb0ELb0EjNS0_19identity_decomposerEEEEE10hipError_tT0_T1_T2_jT3_P12ihipStream_tbPNSt15iterator_traitsISE_E10value_typeEPNSK_ISF_E10value_typeEPSG_NS1_7vsmem_tEENKUlT_SE_SF_SG_E_clIS8_S8_S9_S9_EESD_ST_SE_SF_SG_EUlST_E0_NS1_11comp_targetILNS1_3genE4ELNS1_11target_archE910ELNS1_3gpuE8ELNS1_3repE0EEENS1_38merge_mergepath_config_static_selectorELNS0_4arch9wavefront6targetE1EEEvSF_ ; -- Begin function _ZN7rocprim17ROCPRIM_400000_NS6detail17trampoline_kernelINS0_14default_configENS1_38merge_sort_block_merge_config_selectorIjNS0_10empty_typeEEEZZNS1_27merge_sort_block_merge_implIS3_PjPS5_jNS1_19radix_merge_compareILb0ELb0EjNS0_19identity_decomposerEEEEE10hipError_tT0_T1_T2_jT3_P12ihipStream_tbPNSt15iterator_traitsISE_E10value_typeEPNSK_ISF_E10value_typeEPSG_NS1_7vsmem_tEENKUlT_SE_SF_SG_E_clIS8_S8_S9_S9_EESD_ST_SE_SF_SG_EUlST_E0_NS1_11comp_targetILNS1_3genE4ELNS1_11target_archE910ELNS1_3gpuE8ELNS1_3repE0EEENS1_38merge_mergepath_config_static_selectorELNS0_4arch9wavefront6targetE1EEEvSF_
	.globl	_ZN7rocprim17ROCPRIM_400000_NS6detail17trampoline_kernelINS0_14default_configENS1_38merge_sort_block_merge_config_selectorIjNS0_10empty_typeEEEZZNS1_27merge_sort_block_merge_implIS3_PjPS5_jNS1_19radix_merge_compareILb0ELb0EjNS0_19identity_decomposerEEEEE10hipError_tT0_T1_T2_jT3_P12ihipStream_tbPNSt15iterator_traitsISE_E10value_typeEPNSK_ISF_E10value_typeEPSG_NS1_7vsmem_tEENKUlT_SE_SF_SG_E_clIS8_S8_S9_S9_EESD_ST_SE_SF_SG_EUlST_E0_NS1_11comp_targetILNS1_3genE4ELNS1_11target_archE910ELNS1_3gpuE8ELNS1_3repE0EEENS1_38merge_mergepath_config_static_selectorELNS0_4arch9wavefront6targetE1EEEvSF_
	.p2align	8
	.type	_ZN7rocprim17ROCPRIM_400000_NS6detail17trampoline_kernelINS0_14default_configENS1_38merge_sort_block_merge_config_selectorIjNS0_10empty_typeEEEZZNS1_27merge_sort_block_merge_implIS3_PjPS5_jNS1_19radix_merge_compareILb0ELb0EjNS0_19identity_decomposerEEEEE10hipError_tT0_T1_T2_jT3_P12ihipStream_tbPNSt15iterator_traitsISE_E10value_typeEPNSK_ISF_E10value_typeEPSG_NS1_7vsmem_tEENKUlT_SE_SF_SG_E_clIS8_S8_S9_S9_EESD_ST_SE_SF_SG_EUlST_E0_NS1_11comp_targetILNS1_3genE4ELNS1_11target_archE910ELNS1_3gpuE8ELNS1_3repE0EEENS1_38merge_mergepath_config_static_selectorELNS0_4arch9wavefront6targetE1EEEvSF_,@function
_ZN7rocprim17ROCPRIM_400000_NS6detail17trampoline_kernelINS0_14default_configENS1_38merge_sort_block_merge_config_selectorIjNS0_10empty_typeEEEZZNS1_27merge_sort_block_merge_implIS3_PjPS5_jNS1_19radix_merge_compareILb0ELb0EjNS0_19identity_decomposerEEEEE10hipError_tT0_T1_T2_jT3_P12ihipStream_tbPNSt15iterator_traitsISE_E10value_typeEPNSK_ISF_E10value_typeEPSG_NS1_7vsmem_tEENKUlT_SE_SF_SG_E_clIS8_S8_S9_S9_EESD_ST_SE_SF_SG_EUlST_E0_NS1_11comp_targetILNS1_3genE4ELNS1_11target_archE910ELNS1_3gpuE8ELNS1_3repE0EEENS1_38merge_mergepath_config_static_selectorELNS0_4arch9wavefront6targetE1EEEvSF_: ; @_ZN7rocprim17ROCPRIM_400000_NS6detail17trampoline_kernelINS0_14default_configENS1_38merge_sort_block_merge_config_selectorIjNS0_10empty_typeEEEZZNS1_27merge_sort_block_merge_implIS3_PjPS5_jNS1_19radix_merge_compareILb0ELb0EjNS0_19identity_decomposerEEEEE10hipError_tT0_T1_T2_jT3_P12ihipStream_tbPNSt15iterator_traitsISE_E10value_typeEPNSK_ISF_E10value_typeEPSG_NS1_7vsmem_tEENKUlT_SE_SF_SG_E_clIS8_S8_S9_S9_EESD_ST_SE_SF_SG_EUlST_E0_NS1_11comp_targetILNS1_3genE4ELNS1_11target_archE910ELNS1_3gpuE8ELNS1_3repE0EEENS1_38merge_mergepath_config_static_selectorELNS0_4arch9wavefront6targetE1EEEvSF_
; %bb.0:
	s_load_dwordx2 s[10:11], s[4:5], 0x40
	s_load_dword s3, s[4:5], 0x30
	s_add_u32 s0, s4, 64
	s_addc_u32 s1, s5, 0
	s_waitcnt lgkmcnt(0)
	s_mul_i32 s2, s11, s8
	s_add_i32 s2, s2, s7
	s_mul_i32 s2, s2, s10
	s_add_i32 s2, s2, s6
	s_cmp_ge_u32 s2, s3
	s_cbranch_scc1 .LBB697_43
; %bb.1:
	s_load_dwordx2 s[14:15], s[4:5], 0x28
	s_load_dwordx2 s[8:9], s[4:5], 0x38
	;; [unrolled: 1-line block ×3, first 2 shown]
	s_mov_b32 s3, 0
	s_mov_b32 s23, s3
	s_waitcnt lgkmcnt(0)
	s_lshr_b32 s17, s14, 10
	s_cmp_lg_u32 s2, s17
	s_cselect_b64 s[18:19], -1, 0
	s_lshl_b64 s[12:13], s[2:3], 2
	s_add_u32 s8, s8, s12
	s_addc_u32 s9, s9, s13
	s_lshr_b32 s7, s15, 9
	s_and_b32 s7, s7, 0x7ffffe
	s_load_dwordx2 s[8:9], s[8:9], 0x0
	s_sub_i32 s7, 0, s7
	s_and_b32 s11, s2, s7
	s_lshl_b32 s12, s11, 10
	s_lshl_b32 s16, s2, 10
	;; [unrolled: 1-line block ×3, first 2 shown]
	s_sub_i32 s13, s16, s12
	s_add_i32 s11, s11, s15
	s_add_i32 s13, s11, s13
	s_waitcnt lgkmcnt(0)
	s_sub_i32 s22, s13, s8
	s_sub_i32 s13, s13, s9
	s_sub_i32 s11, s11, s12
	s_min_u32 s22, s14, s22
	s_addk_i32 s13, 0x400
	s_or_b32 s7, s2, s7
	s_min_u32 s12, s14, s11
	s_add_i32 s11, s11, s15
	s_cmp_eq_u32 s7, -1
	s_cselect_b32 s7, s11, s13
	s_cselect_b32 s9, s12, s9
	s_min_u32 s7, s7, s14
	s_sub_i32 s15, s9, s8
	s_mov_b32 s9, s3
	s_sub_i32 s7, s7, s22
	s_lshl_b64 s[8:9], s[8:9], 2
	s_add_u32 s11, s20, s8
	s_addc_u32 s12, s21, s9
	s_lshl_b64 s[8:9], s[22:23], 2
	s_add_u32 s8, s20, s8
	s_addc_u32 s9, s21, s9
	s_cmp_lt_u32 s6, s10
	v_mov_b32_e32 v15, 0
	s_cselect_b32 s3, 12, 18
	global_load_dword v1, v15, s[0:1] offset:14
	s_add_u32 s0, s0, s3
	s_addc_u32 s1, s1, 0
	global_load_ushort v2, v15, s[0:1]
	s_cmp_eq_u32 s2, s17
	s_waitcnt vmcnt(1)
	v_lshrrev_b32_e32 v3, 16, v1
	v_and_b32_e32 v1, 0xffff, v1
	v_mul_lo_u32 v1, v1, v3
	s_waitcnt vmcnt(0)
	v_mul_lo_u32 v16, v1, v2
	v_add_u32_e32 v12, v16, v0
	v_lshlrev_b32_e32 v1, 2, v0
	v_add_u32_e32 v10, v12, v16
	s_cbranch_scc1 .LBB697_3
; %bb.2:
	v_mov_b32_e32 v2, s12
	v_add_co_u32_e32 v4, vcc, s11, v1
	v_subrev_u32_e32 v14, s15, v0
	v_addc_co_u32_e32 v5, vcc, 0, v2, vcc
	v_lshlrev_b64 v[2:3], 2, v[14:15]
	v_mov_b32_e32 v6, s9
	v_add_co_u32_e32 v2, vcc, s8, v2
	v_addc_co_u32_e32 v3, vcc, v6, v3, vcc
	v_cmp_gt_u32_e32 vcc, s15, v0
	v_mov_b32_e32 v13, v15
	v_cndmask_b32_e32 v3, v3, v5, vcc
	v_cndmask_b32_e32 v2, v2, v4, vcc
	v_lshlrev_b64 v[4:5], 2, v[12:13]
	global_load_dword v2, v[2:3], off
	v_mov_b32_e32 v3, s12
	v_add_co_u32_e32 v6, vcc, s11, v4
	v_subrev_u32_e32 v14, s15, v12
	v_addc_co_u32_e32 v3, vcc, v3, v5, vcc
	v_lshlrev_b64 v[4:5], 2, v[14:15]
	v_mov_b32_e32 v7, s9
	v_add_co_u32_e32 v4, vcc, s8, v4
	v_addc_co_u32_e32 v5, vcc, v7, v5, vcc
	v_cmp_gt_u32_e32 vcc, s15, v12
	v_cndmask_b32_e32 v5, v5, v3, vcc
	v_cndmask_b32_e32 v4, v4, v6, vcc
	v_mov_b32_e32 v11, v15
	global_load_dword v3, v[4:5], off
	v_lshlrev_b64 v[4:5], 2, v[10:11]
	v_mov_b32_e32 v6, s12
	v_add_co_u32_e32 v7, vcc, s11, v4
	v_subrev_u32_e32 v14, s15, v10
	v_addc_co_u32_e32 v6, vcc, v6, v5, vcc
	v_lshlrev_b64 v[4:5], 2, v[14:15]
	v_mov_b32_e32 v8, s9
	v_add_co_u32_e32 v4, vcc, s8, v4
	v_addc_co_u32_e32 v5, vcc, v8, v5, vcc
	v_cmp_gt_u32_e32 vcc, s15, v10
	v_add_u32_e32 v14, v10, v16
	v_cndmask_b32_e32 v5, v5, v6, vcc
	v_cndmask_b32_e32 v4, v4, v7, vcc
	v_lshlrev_b64 v[6:7], 2, v[14:15]
	global_load_dword v4, v[4:5], off
	v_mov_b32_e32 v5, s12
	v_add_co_u32_e32 v8, vcc, s11, v6
	v_addc_co_u32_e32 v5, vcc, v5, v7, vcc
	v_subrev_u32_e32 v6, s15, v14
	v_mov_b32_e32 v7, v15
	v_lshlrev_b64 v[6:7], 2, v[6:7]
	v_mov_b32_e32 v9, s9
	v_add_co_u32_e32 v6, vcc, s8, v6
	v_addc_co_u32_e32 v7, vcc, v9, v7, vcc
	v_cmp_gt_u32_e32 vcc, s15, v14
	v_cndmask_b32_e32 v7, v7, v5, vcc
	v_cndmask_b32_e32 v6, v6, v8, vcc
	v_add_u32_e32 v14, v14, v16
	global_load_dword v5, v[6:7], off
	v_lshlrev_b64 v[6:7], 2, v[14:15]
	v_mov_b32_e32 v8, s12
	v_add_co_u32_e32 v9, vcc, s11, v6
	v_addc_co_u32_e32 v8, vcc, v8, v7, vcc
	v_subrev_u32_e32 v6, s15, v14
	v_mov_b32_e32 v7, v15
	v_lshlrev_b64 v[6:7], 2, v[6:7]
	v_mov_b32_e32 v11, s9
	v_add_co_u32_e32 v6, vcc, s8, v6
	v_addc_co_u32_e32 v7, vcc, v11, v7, vcc
	v_cmp_gt_u32_e32 vcc, s15, v14
	v_add_u32_e32 v14, v14, v16
	v_cndmask_b32_e32 v7, v7, v8, vcc
	v_cndmask_b32_e32 v6, v6, v9, vcc
	v_lshlrev_b64 v[8:9], 2, v[14:15]
	global_load_dword v6, v[6:7], off
	v_mov_b32_e32 v7, s12
	v_add_co_u32_e32 v11, vcc, s11, v8
	v_addc_co_u32_e32 v7, vcc, v7, v9, vcc
	v_subrev_u32_e32 v8, s15, v14
	v_mov_b32_e32 v9, v15
	v_lshlrev_b64 v[8:9], 2, v[8:9]
	v_mov_b32_e32 v13, s9
	v_add_co_u32_e32 v8, vcc, s8, v8
	v_addc_co_u32_e32 v9, vcc, v13, v9, vcc
	v_cmp_gt_u32_e32 vcc, s15, v14
	v_cndmask_b32_e32 v9, v9, v7, vcc
	v_cndmask_b32_e32 v8, v8, v11, vcc
	v_add_u32_e32 v14, v14, v16
	global_load_dword v7, v[8:9], off
	v_lshlrev_b64 v[8:9], 2, v[14:15]
	v_mov_b32_e32 v11, s12
	v_add_co_u32_e32 v13, vcc, s11, v8
	v_addc_co_u32_e32 v11, vcc, v11, v9, vcc
	v_subrev_u32_e32 v8, s15, v14
	v_mov_b32_e32 v9, v15
	v_lshlrev_b64 v[8:9], 2, v[8:9]
	v_mov_b32_e32 v17, s9
	v_add_co_u32_e32 v8, vcc, s8, v8
	v_addc_co_u32_e32 v9, vcc, v17, v9, vcc
	v_cmp_gt_u32_e32 vcc, s15, v14
	v_add_u32_e32 v14, v14, v16
	v_cndmask_b32_e32 v9, v9, v11, vcc
	v_cndmask_b32_e32 v8, v8, v13, vcc
	v_lshlrev_b64 v[18:19], 2, v[14:15]
	global_load_dword v8, v[8:9], off
	v_mov_b32_e32 v9, s12
	v_add_co_u32_e32 v11, vcc, s11, v18
	v_addc_co_u32_e32 v9, vcc, v9, v19, vcc
	v_cmp_gt_u32_e32 vcc, s15, v14
	v_subrev_u32_e32 v14, s15, v14
	v_lshlrev_b64 v[14:15], 2, v[14:15]
	v_mov_b32_e32 v13, s9
	v_add_co_u32_e64 v14, s[0:1], s8, v14
	v_addc_co_u32_e64 v13, s[0:1], v13, v15, s[0:1]
	v_cndmask_b32_e32 v15, v13, v9, vcc
	v_cndmask_b32_e32 v14, v14, v11, vcc
	global_load_dword v9, v[14:15], off
	s_add_i32 s17, s7, s15
	s_load_dwordx2 s[20:21], s[4:5], 0x10
	s_cbranch_execz .LBB697_4
	s_branch .LBB697_19
.LBB697_3:
                                        ; implicit-def: $vgpr2_vgpr3_vgpr4_vgpr5_vgpr6_vgpr7_vgpr8_vgpr9
                                        ; implicit-def: $sgpr17
	s_load_dwordx2 s[20:21], s[4:5], 0x10
.LBB697_4:
	s_add_i32 s17, s7, s15
	v_cmp_gt_u32_e32 vcc, s17, v0
                                        ; implicit-def: $vgpr2_vgpr3_vgpr4_vgpr5_vgpr6_vgpr7_vgpr8_vgpr9
	s_and_saveexec_b64 s[0:1], vcc
	s_cbranch_execnz .LBB697_44
; %bb.5:
	s_or_b64 exec, exec, s[0:1]
	v_cmp_gt_u32_e32 vcc, s17, v12
	s_and_saveexec_b64 s[2:3], vcc
	s_cbranch_execnz .LBB697_45
.LBB697_6:
	s_or_b64 exec, exec, s[2:3]
	v_cmp_gt_u32_e32 vcc, s17, v10
	s_and_saveexec_b64 s[0:1], vcc
	s_cbranch_execz .LBB697_8
.LBB697_7:
	v_mov_b32_e32 v11, 0
	v_lshlrev_b64 v[12:13], 2, v[10:11]
	s_waitcnt vmcnt(5)
	v_mov_b32_e32 v4, s12
	v_add_co_u32_e32 v14, vcc, s11, v12
	v_addc_co_u32_e32 v4, vcc, v4, v13, vcc
	v_subrev_u32_e32 v12, s15, v10
	v_mov_b32_e32 v13, v11
	v_lshlrev_b64 v[12:13], 2, v[12:13]
	v_mov_b32_e32 v11, s9
	v_add_co_u32_e32 v12, vcc, s8, v12
	v_addc_co_u32_e32 v11, vcc, v11, v13, vcc
	v_cmp_gt_u32_e32 vcc, s15, v10
	v_cndmask_b32_e32 v13, v11, v4, vcc
	v_cndmask_b32_e32 v12, v12, v14, vcc
	global_load_dword v4, v[12:13], off
.LBB697_8:
	s_or_b64 exec, exec, s[0:1]
	v_add_u32_e32 v10, v10, v16
	v_cmp_gt_u32_e32 vcc, s17, v10
	s_and_saveexec_b64 s[0:1], vcc
	s_cbranch_execz .LBB697_10
; %bb.9:
	v_mov_b32_e32 v11, 0
	v_lshlrev_b64 v[12:13], 2, v[10:11]
	s_waitcnt vmcnt(4)
	v_mov_b32_e32 v5, s12
	v_add_co_u32_e32 v14, vcc, s11, v12
	v_addc_co_u32_e32 v5, vcc, v5, v13, vcc
	v_subrev_u32_e32 v12, s15, v10
	v_mov_b32_e32 v13, v11
	v_lshlrev_b64 v[12:13], 2, v[12:13]
	v_mov_b32_e32 v11, s9
	v_add_co_u32_e32 v12, vcc, s8, v12
	v_addc_co_u32_e32 v11, vcc, v11, v13, vcc
	v_cmp_gt_u32_e32 vcc, s15, v10
	v_cndmask_b32_e32 v13, v11, v5, vcc
	v_cndmask_b32_e32 v12, v12, v14, vcc
	global_load_dword v5, v[12:13], off
.LBB697_10:
	s_or_b64 exec, exec, s[0:1]
	v_add_u32_e32 v10, v10, v16
	v_cmp_gt_u32_e32 vcc, s17, v10
	s_and_saveexec_b64 s[0:1], vcc
	s_cbranch_execz .LBB697_12
; %bb.11:
	v_mov_b32_e32 v11, 0
	v_lshlrev_b64 v[12:13], 2, v[10:11]
	s_waitcnt vmcnt(3)
	v_mov_b32_e32 v6, s12
	v_add_co_u32_e32 v14, vcc, s11, v12
	v_addc_co_u32_e32 v6, vcc, v6, v13, vcc
	v_subrev_u32_e32 v12, s15, v10
	v_mov_b32_e32 v13, v11
	v_lshlrev_b64 v[12:13], 2, v[12:13]
	v_mov_b32_e32 v11, s9
	v_add_co_u32_e32 v12, vcc, s8, v12
	v_addc_co_u32_e32 v11, vcc, v11, v13, vcc
	v_cmp_gt_u32_e32 vcc, s15, v10
	v_cndmask_b32_e32 v13, v11, v6, vcc
	v_cndmask_b32_e32 v12, v12, v14, vcc
	global_load_dword v6, v[12:13], off
.LBB697_12:
	;; [unrolled: 23-line block ×4, first 2 shown]
	s_or_b64 exec, exec, s[0:1]
	v_add_u32_e32 v10, v10, v16
	v_cmp_gt_u32_e32 vcc, s17, v10
	s_and_saveexec_b64 s[2:3], vcc
	s_cbranch_execz .LBB697_18
; %bb.17:
	v_mov_b32_e32 v11, 0
	v_lshlrev_b64 v[12:13], 2, v[10:11]
	s_waitcnt vmcnt(0)
	v_mov_b32_e32 v9, s12
	v_add_co_u32_e32 v12, vcc, s11, v12
	v_addc_co_u32_e32 v9, vcc, v9, v13, vcc
	v_cmp_gt_u32_e32 vcc, s15, v10
	v_subrev_u32_e32 v10, s15, v10
	v_lshlrev_b64 v[10:11], 2, v[10:11]
	v_mov_b32_e32 v13, s9
	v_add_co_u32_e64 v10, s[0:1], s8, v10
	v_addc_co_u32_e64 v11, s[0:1], v13, v11, s[0:1]
	v_cndmask_b32_e32 v11, v11, v9, vcc
	v_cndmask_b32_e32 v10, v10, v12, vcc
	global_load_dword v9, v[10:11], off
.LBB697_18:
	s_or_b64 exec, exec, s[2:3]
.LBB697_19:
	v_lshlrev_b32_e32 v10, 3, v0
	v_min_u32_e32 v12, s17, v10
	v_sub_u32_e64 v11, v12, s7 clamp
	v_min_u32_e32 v13, s15, v12
	v_cmp_lt_u32_e32 vcc, v11, v13
	s_waitcnt vmcnt(0)
	ds_write2st64_b32 v1, v2, v3 offset1:2
	ds_write2st64_b32 v1, v4, v5 offset0:4 offset1:6
	ds_write2st64_b32 v1, v6, v7 offset0:8 offset1:10
	;; [unrolled: 1-line block ×3, first 2 shown]
	s_waitcnt lgkmcnt(0)
	s_barrier
	s_and_saveexec_b64 s[0:1], vcc
	s_cbranch_execz .LBB697_23
; %bb.20:
	v_lshlrev_b32_e32 v14, 2, v12
	v_lshl_add_u32 v14, s15, 2, v14
	s_mov_b64 s[2:3], 0
.LBB697_21:                             ; =>This Inner Loop Header: Depth=1
	v_add_u32_e32 v15, v13, v11
	v_lshrrev_b32_e32 v15, 1, v15
	v_not_b32_e32 v16, v15
	v_lshlrev_b32_e32 v17, 2, v15
	v_lshl_add_u32 v16, v16, 2, v14
	ds_read_b32 v17, v17
	ds_read_b32 v16, v16
	v_add_u32_e32 v18, 1, v15
	s_waitcnt lgkmcnt(0)
	v_cmp_gt_u32_e32 vcc, v17, v16
	v_cndmask_b32_e32 v13, v13, v15, vcc
	v_cndmask_b32_e32 v11, v18, v11, vcc
	v_cmp_ge_u32_e32 vcc, v11, v13
	s_or_b64 s[2:3], vcc, s[2:3]
	s_andn2_b64 exec, exec, s[2:3]
	s_cbranch_execnz .LBB697_21
; %bb.22:
	s_or_b64 exec, exec, s[2:3]
.LBB697_23:
	s_or_b64 exec, exec, s[0:1]
	v_sub_u32_e32 v12, v12, v11
	v_add_u32_e32 v12, s15, v12
	v_cmp_ge_u32_e32 vcc, s15, v11
	v_cmp_ge_u32_e64 s[0:1], s17, v12
	s_or_b64 s[0:1], vcc, s[0:1]
	s_and_saveexec_b64 s[22:23], s[0:1]
	s_cbranch_execz .LBB697_29
; %bb.24:
	v_cmp_gt_u32_e32 vcc, s15, v11
                                        ; implicit-def: $vgpr2
	s_and_saveexec_b64 s[0:1], vcc
	s_cbranch_execz .LBB697_26
; %bb.25:
	v_lshlrev_b32_e32 v2, 2, v11
	ds_read_b32 v2, v2
.LBB697_26:
	s_or_b64 exec, exec, s[0:1]
	v_cmp_le_u32_e64 s[0:1], s17, v12
	v_cmp_gt_u32_e64 s[2:3], s17, v12
                                        ; implicit-def: $vgpr3
	s_and_saveexec_b64 s[4:5], s[2:3]
	s_cbranch_execz .LBB697_28
; %bb.27:
	v_lshlrev_b32_e32 v3, 2, v12
	ds_read_b32 v3, v3
.LBB697_28:
	s_or_b64 exec, exec, s[4:5]
	s_waitcnt lgkmcnt(0)
	v_cmp_le_u32_e64 s[2:3], v2, v3
	s_and_b64 s[2:3], vcc, s[2:3]
	s_or_b64 vcc, s[0:1], s[2:3]
	v_mov_b32_e32 v5, s17
	v_mov_b32_e32 v6, s15
	v_cndmask_b32_e32 v4, v12, v11, vcc
	v_cndmask_b32_e32 v7, v5, v6, vcc
	v_add_u32_e32 v4, 1, v4
	v_add_u32_e32 v7, -1, v7
	v_min_u32_e32 v7, v4, v7
	v_lshlrev_b32_e32 v7, 2, v7
	ds_read_b32 v7, v7
	v_cndmask_b32_e32 v9, v4, v12, vcc
	v_cndmask_b32_e32 v4, v11, v4, vcc
	v_cmp_gt_u32_e64 s[2:3], s15, v4
	v_cmp_le_u32_e64 s[0:1], s17, v9
	s_waitcnt lgkmcnt(0)
	v_cndmask_b32_e32 v8, v7, v3, vcc
	v_cndmask_b32_e32 v7, v2, v7, vcc
	v_cmp_le_u32_e64 s[4:5], v7, v8
	s_and_b64 s[2:3], s[2:3], s[4:5]
	s_or_b64 s[0:1], s[0:1], s[2:3]
	v_cndmask_b32_e64 v11, v9, v4, s[0:1]
	v_cndmask_b32_e64 v12, v5, v6, s[0:1]
	v_add_u32_e32 v11, 1, v11
	v_add_u32_e32 v12, -1, v12
	v_min_u32_e32 v12, v11, v12
	v_lshlrev_b32_e32 v12, 2, v12
	ds_read_b32 v12, v12
	v_cndmask_b32_e64 v4, v4, v11, s[0:1]
	v_cndmask_b32_e64 v9, v11, v9, s[0:1]
	v_cmp_gt_u32_e64 s[4:5], s15, v4
	v_cmp_le_u32_e64 s[2:3], s17, v9
	s_waitcnt lgkmcnt(0)
	v_cndmask_b32_e64 v13, v12, v8, s[0:1]
	v_cndmask_b32_e64 v12, v7, v12, s[0:1]
	v_cmp_le_u32_e64 s[6:7], v12, v13
	s_and_b64 s[4:5], s[4:5], s[6:7]
	s_or_b64 s[2:3], s[2:3], s[4:5]
	v_cndmask_b32_e64 v11, v9, v4, s[2:3]
	v_cndmask_b32_e64 v14, v5, v6, s[2:3]
	v_add_u32_e32 v11, 1, v11
	v_add_u32_e32 v14, -1, v14
	v_min_u32_e32 v14, v11, v14
	v_lshlrev_b32_e32 v14, 2, v14
	ds_read_b32 v14, v14
	v_cndmask_b32_e64 v4, v4, v11, s[2:3]
	v_cndmask_b32_e64 v9, v11, v9, s[2:3]
	v_cmp_gt_u32_e64 s[6:7], s15, v4
	v_cmp_le_u32_e64 s[4:5], s17, v9
	s_waitcnt lgkmcnt(0)
	v_cndmask_b32_e64 v15, v14, v13, s[2:3]
	v_cndmask_b32_e64 v14, v12, v14, s[2:3]
	;; [unrolled: 17-line block ×4, first 2 shown]
	v_cmp_le_u32_e64 s[12:13], v18, v19
	s_and_b64 s[10:11], s[10:11], s[12:13]
	s_or_b64 s[8:9], s[8:9], s[10:11]
	v_cndmask_b32_e64 v4, v9, v11, s[8:9]
	v_cndmask_b32_e64 v20, v5, v6, s[8:9]
	v_add_u32_e32 v21, 1, v4
	v_add_u32_e32 v4, -1, v20
	v_min_u32_e32 v4, v21, v4
	v_lshlrev_b32_e32 v4, 2, v4
	ds_read_b32 v20, v4
	v_cndmask_b32_e64 v4, v13, v12, s[2:3]
	v_cndmask_b32_e64 v11, v11, v21, s[8:9]
	v_cndmask_b32_e32 v2, v3, v2, vcc
	v_cndmask_b32_e64 v3, v8, v7, s[0:1]
	s_waitcnt lgkmcnt(0)
	v_cndmask_b32_e64 v12, v20, v19, s[8:9]
	v_cndmask_b32_e64 v13, v18, v20, s[8:9]
	;; [unrolled: 1-line block ×3, first 2 shown]
	v_cmp_gt_u32_e64 s[0:1], s15, v11
	v_cmp_le_u32_e64 s[2:3], v13, v12
	v_cmp_le_u32_e32 vcc, s17, v9
	s_and_b64 s[0:1], s[0:1], s[2:3]
	s_or_b64 vcc, vcc, s[0:1]
	v_cndmask_b32_e32 v7, v9, v11, vcc
	v_cndmask_b32_e32 v5, v5, v6, vcc
	v_add_u32_e32 v20, 1, v7
	v_add_u32_e32 v5, -1, v5
	v_min_u32_e32 v5, v20, v5
	v_lshlrev_b32_e32 v5, 2, v5
	ds_read_b32 v21, v5
	v_cndmask_b32_e32 v8, v12, v13, vcc
	v_cndmask_b32_e32 v11, v11, v20, vcc
	;; [unrolled: 1-line block ×3, first 2 shown]
	v_cmp_gt_u32_e64 s[0:1], s15, v11
	s_waitcnt lgkmcnt(0)
	v_cndmask_b32_e32 v12, v21, v12, vcc
	v_cndmask_b32_e32 v13, v13, v21, vcc
	v_cmp_le_u32_e64 s[2:3], v13, v12
	v_cmp_le_u32_e32 vcc, s17, v9
	s_and_b64 s[0:1], s[0:1], s[2:3]
	s_or_b64 vcc, vcc, s[0:1]
	v_cndmask_b32_e64 v5, v15, v14, s[4:5]
	v_cndmask_b32_e64 v6, v17, v16, s[6:7]
	;; [unrolled: 1-line block ×3, first 2 shown]
	v_cndmask_b32_e32 v9, v12, v13, vcc
.LBB697_29:
	s_or_b64 exec, exec, s[22:23]
	v_and_b32_e32 v11, 0x7c, v0
	v_lshl_add_u32 v10, v10, 2, v11
	s_barrier
	s_barrier
	ds_write2_b32 v10, v2, v3 offset1:1
	ds_write2_b32 v10, v4, v5 offset0:2 offset1:3
	ds_write2_b32 v10, v6, v7 offset0:4 offset1:5
	;; [unrolled: 1-line block ×3, first 2 shown]
	v_lshrrev_b32_e32 v2, 3, v0
	v_and_b32_e32 v2, 12, v2
	v_or_b32_e32 v10, 0x80, v0
	v_add_u32_e32 v11, v1, v2
	v_lshrrev_b32_e32 v2, 3, v10
	v_and_b32_e32 v2, 28, v2
	v_or_b32_e32 v9, 0x100, v0
	v_add_u32_e32 v12, v1, v2
	;; [unrolled: 4-line block ×5, first 2 shown]
	v_lshrrev_b32_e32 v2, 3, v6
	v_and_b32_e32 v2, 0x5c, v2
	v_or_b32_e32 v5, 0x300, v0
	s_mov_b32 s17, 0
	v_add_u32_e32 v16, v1, v2
	v_lshrrev_b32_e32 v2, 3, v5
	s_lshl_b64 s[0:1], s[16:17], 2
	v_and_b32_e32 v2, 0x6c, v2
	v_or_b32_e32 v4, 0x380, v0
	s_add_u32 s0, s20, s0
	v_add_u32_e32 v17, v1, v2
	v_lshrrev_b32_e32 v2, 3, v4
	s_addc_u32 s1, s21, s1
	v_and_b32_e32 v2, 0x7c, v2
	v_add_u32_e32 v18, v1, v2
	v_mov_b32_e32 v3, s1
	v_add_co_u32_e32 v2, vcc, s0, v1
	v_addc_co_u32_e32 v3, vcc, 0, v3, vcc
	s_and_b64 vcc, exec, s[18:19]
	s_waitcnt lgkmcnt(0)
	s_cbranch_vccz .LBB697_31
; %bb.30:
	s_barrier
	ds_read_b32 v19, v11
	ds_read_b32 v20, v12 offset:512
	ds_read_b32 v21, v13 offset:1024
	;; [unrolled: 1-line block ×7, first 2 shown]
	s_waitcnt lgkmcnt(7)
	global_store_dword v[2:3], v19, off
	s_waitcnt lgkmcnt(6)
	global_store_dword v[2:3], v20, off offset:512
	s_waitcnt lgkmcnt(5)
	global_store_dword v[2:3], v21, off offset:1024
	;; [unrolled: 2-line block ×6, first 2 shown]
	s_mov_b64 s[0:1], -1
	s_cbranch_execz .LBB697_32
	s_branch .LBB697_41
.LBB697_31:
	s_mov_b64 s[0:1], 0
                                        ; implicit-def: $vgpr1
.LBB697_32:
	s_barrier
	s_waitcnt lgkmcnt(0)
	ds_read_b32 v21, v12 offset:512
	ds_read_b32 v20, v13 offset:1024
	;; [unrolled: 1-line block ×7, first 2 shown]
	s_sub_i32 s2, s14, s16
	v_cmp_gt_u32_e32 vcc, s2, v0
	s_and_saveexec_b64 s[0:1], vcc
	s_cbranch_execnz .LBB697_46
; %bb.33:
	s_or_b64 exec, exec, s[0:1]
	v_cmp_gt_u32_e32 vcc, s2, v10
	s_and_saveexec_b64 s[0:1], vcc
	s_cbranch_execnz .LBB697_47
.LBB697_34:
	s_or_b64 exec, exec, s[0:1]
	v_cmp_gt_u32_e32 vcc, s2, v9
	s_and_saveexec_b64 s[0:1], vcc
	s_cbranch_execnz .LBB697_48
.LBB697_35:
	s_or_b64 exec, exec, s[0:1]
	v_cmp_gt_u32_e32 vcc, s2, v8
	s_and_saveexec_b64 s[0:1], vcc
	s_cbranch_execnz .LBB697_49
.LBB697_36:
	s_or_b64 exec, exec, s[0:1]
	v_cmp_gt_u32_e32 vcc, s2, v7
	s_and_saveexec_b64 s[0:1], vcc
	s_cbranch_execnz .LBB697_50
.LBB697_37:
	s_or_b64 exec, exec, s[0:1]
	v_cmp_gt_u32_e32 vcc, s2, v6
	s_and_saveexec_b64 s[0:1], vcc
	s_cbranch_execnz .LBB697_51
.LBB697_38:
	s_or_b64 exec, exec, s[0:1]
	v_cmp_gt_u32_e32 vcc, s2, v5
	s_and_saveexec_b64 s[0:1], vcc
	s_cbranch_execz .LBB697_40
.LBB697_39:
	s_waitcnt lgkmcnt(1)
	global_store_dword v[2:3], v12, off offset:3072
.LBB697_40:
	s_or_b64 exec, exec, s[0:1]
	v_cmp_gt_u32_e64 s[0:1], s2, v4
.LBB697_41:
	s_and_saveexec_b64 s[2:3], s[0:1]
	s_cbranch_execz .LBB697_43
; %bb.42:
	s_waitcnt lgkmcnt(0)
	global_store_dword v[2:3], v1, off offset:3584
.LBB697_43:
	s_endpgm
.LBB697_44:
	s_waitcnt vmcnt(7)
	v_mov_b32_e32 v2, s12
	s_waitcnt vmcnt(5)
	v_add_co_u32_e32 v4, vcc, s11, v1
	v_mov_b32_e32 v3, 0
	s_waitcnt vmcnt(4)
	v_addc_co_u32_e32 v5, vcc, 0, v2, vcc
	v_subrev_u32_e32 v2, s15, v0
	v_lshlrev_b64 v[2:3], 2, v[2:3]
	s_waitcnt vmcnt(3)
	v_mov_b32_e32 v6, s9
	v_add_co_u32_e32 v2, vcc, s8, v2
	v_addc_co_u32_e32 v3, vcc, v6, v3, vcc
	v_cmp_gt_u32_e32 vcc, s15, v0
	v_cndmask_b32_e32 v3, v3, v5, vcc
	v_cndmask_b32_e32 v2, v2, v4, vcc
	global_load_dword v2, v[2:3], off
	s_or_b64 exec, exec, s[0:1]
	v_cmp_gt_u32_e32 vcc, s17, v12
	s_and_saveexec_b64 s[2:3], vcc
	s_cbranch_execz .LBB697_6
.LBB697_45:
	v_mov_b32_e32 v13, 0
	v_lshlrev_b64 v[14:15], 2, v[12:13]
	s_waitcnt vmcnt(6)
	v_mov_b32_e32 v3, s12
	v_add_co_u32_e32 v11, vcc, s11, v14
	v_addc_co_u32_e32 v3, vcc, v3, v15, vcc
	v_cmp_gt_u32_e32 vcc, s15, v12
	v_subrev_u32_e32 v12, s15, v12
	v_lshlrev_b64 v[12:13], 2, v[12:13]
	v_mov_b32_e32 v14, s9
	v_add_co_u32_e64 v12, s[0:1], s8, v12
	v_addc_co_u32_e64 v13, s[0:1], v14, v13, s[0:1]
	v_cndmask_b32_e32 v13, v13, v3, vcc
	v_cndmask_b32_e32 v12, v12, v11, vcc
	global_load_dword v3, v[12:13], off
	s_or_b64 exec, exec, s[2:3]
	v_cmp_gt_u32_e32 vcc, s17, v10
	s_and_saveexec_b64 s[0:1], vcc
	s_cbranch_execnz .LBB697_7
	s_branch .LBB697_8
.LBB697_46:
	ds_read_b32 v0, v11
	s_waitcnt lgkmcnt(0)
	global_store_dword v[2:3], v0, off
	s_or_b64 exec, exec, s[0:1]
	v_cmp_gt_u32_e32 vcc, s2, v10
	s_and_saveexec_b64 s[0:1], vcc
	s_cbranch_execz .LBB697_34
.LBB697_47:
	s_waitcnt lgkmcnt(6)
	global_store_dword v[2:3], v21, off offset:512
	s_or_b64 exec, exec, s[0:1]
	v_cmp_gt_u32_e32 vcc, s2, v9
	s_and_saveexec_b64 s[0:1], vcc
	s_cbranch_execz .LBB697_35
.LBB697_48:
	s_waitcnt lgkmcnt(5)
	global_store_dword v[2:3], v20, off offset:1024
	s_or_b64 exec, exec, s[0:1]
	v_cmp_gt_u32_e32 vcc, s2, v8
	s_and_saveexec_b64 s[0:1], vcc
	s_cbranch_execz .LBB697_36
.LBB697_49:
	s_waitcnt lgkmcnt(4)
	global_store_dword v[2:3], v19, off offset:1536
	s_or_b64 exec, exec, s[0:1]
	v_cmp_gt_u32_e32 vcc, s2, v7
	s_and_saveexec_b64 s[0:1], vcc
	s_cbranch_execz .LBB697_37
.LBB697_50:
	s_waitcnt lgkmcnt(3)
	global_store_dword v[2:3], v14, off offset:2048
	s_or_b64 exec, exec, s[0:1]
	v_cmp_gt_u32_e32 vcc, s2, v6
	s_and_saveexec_b64 s[0:1], vcc
	s_cbranch_execz .LBB697_38
.LBB697_51:
	s_waitcnt lgkmcnt(2)
	global_store_dword v[2:3], v13, off offset:2560
	s_or_b64 exec, exec, s[0:1]
	v_cmp_gt_u32_e32 vcc, s2, v5
	s_and_saveexec_b64 s[0:1], vcc
	s_cbranch_execnz .LBB697_39
	s_branch .LBB697_40
	.section	.rodata,"a",@progbits
	.p2align	6, 0x0
	.amdhsa_kernel _ZN7rocprim17ROCPRIM_400000_NS6detail17trampoline_kernelINS0_14default_configENS1_38merge_sort_block_merge_config_selectorIjNS0_10empty_typeEEEZZNS1_27merge_sort_block_merge_implIS3_PjPS5_jNS1_19radix_merge_compareILb0ELb0EjNS0_19identity_decomposerEEEEE10hipError_tT0_T1_T2_jT3_P12ihipStream_tbPNSt15iterator_traitsISE_E10value_typeEPNSK_ISF_E10value_typeEPSG_NS1_7vsmem_tEENKUlT_SE_SF_SG_E_clIS8_S8_S9_S9_EESD_ST_SE_SF_SG_EUlST_E0_NS1_11comp_targetILNS1_3genE4ELNS1_11target_archE910ELNS1_3gpuE8ELNS1_3repE0EEENS1_38merge_mergepath_config_static_selectorELNS0_4arch9wavefront6targetE1EEEvSF_
		.amdhsa_group_segment_fixed_size 4224
		.amdhsa_private_segment_fixed_size 0
		.amdhsa_kernarg_size 320
		.amdhsa_user_sgpr_count 6
		.amdhsa_user_sgpr_private_segment_buffer 1
		.amdhsa_user_sgpr_dispatch_ptr 0
		.amdhsa_user_sgpr_queue_ptr 0
		.amdhsa_user_sgpr_kernarg_segment_ptr 1
		.amdhsa_user_sgpr_dispatch_id 0
		.amdhsa_user_sgpr_flat_scratch_init 0
		.amdhsa_user_sgpr_kernarg_preload_length 0
		.amdhsa_user_sgpr_kernarg_preload_offset 0
		.amdhsa_user_sgpr_private_segment_size 0
		.amdhsa_uses_dynamic_stack 0
		.amdhsa_system_sgpr_private_segment_wavefront_offset 0
		.amdhsa_system_sgpr_workgroup_id_x 1
		.amdhsa_system_sgpr_workgroup_id_y 1
		.amdhsa_system_sgpr_workgroup_id_z 1
		.amdhsa_system_sgpr_workgroup_info 0
		.amdhsa_system_vgpr_workitem_id 0
		.amdhsa_next_free_vgpr 26
		.amdhsa_next_free_sgpr 24
		.amdhsa_accum_offset 28
		.amdhsa_reserve_vcc 1
		.amdhsa_reserve_flat_scratch 0
		.amdhsa_float_round_mode_32 0
		.amdhsa_float_round_mode_16_64 0
		.amdhsa_float_denorm_mode_32 3
		.amdhsa_float_denorm_mode_16_64 3
		.amdhsa_dx10_clamp 1
		.amdhsa_ieee_mode 1
		.amdhsa_fp16_overflow 0
		.amdhsa_tg_split 0
		.amdhsa_exception_fp_ieee_invalid_op 0
		.amdhsa_exception_fp_denorm_src 0
		.amdhsa_exception_fp_ieee_div_zero 0
		.amdhsa_exception_fp_ieee_overflow 0
		.amdhsa_exception_fp_ieee_underflow 0
		.amdhsa_exception_fp_ieee_inexact 0
		.amdhsa_exception_int_div_zero 0
	.end_amdhsa_kernel
	.section	.text._ZN7rocprim17ROCPRIM_400000_NS6detail17trampoline_kernelINS0_14default_configENS1_38merge_sort_block_merge_config_selectorIjNS0_10empty_typeEEEZZNS1_27merge_sort_block_merge_implIS3_PjPS5_jNS1_19radix_merge_compareILb0ELb0EjNS0_19identity_decomposerEEEEE10hipError_tT0_T1_T2_jT3_P12ihipStream_tbPNSt15iterator_traitsISE_E10value_typeEPNSK_ISF_E10value_typeEPSG_NS1_7vsmem_tEENKUlT_SE_SF_SG_E_clIS8_S8_S9_S9_EESD_ST_SE_SF_SG_EUlST_E0_NS1_11comp_targetILNS1_3genE4ELNS1_11target_archE910ELNS1_3gpuE8ELNS1_3repE0EEENS1_38merge_mergepath_config_static_selectorELNS0_4arch9wavefront6targetE1EEEvSF_,"axG",@progbits,_ZN7rocprim17ROCPRIM_400000_NS6detail17trampoline_kernelINS0_14default_configENS1_38merge_sort_block_merge_config_selectorIjNS0_10empty_typeEEEZZNS1_27merge_sort_block_merge_implIS3_PjPS5_jNS1_19radix_merge_compareILb0ELb0EjNS0_19identity_decomposerEEEEE10hipError_tT0_T1_T2_jT3_P12ihipStream_tbPNSt15iterator_traitsISE_E10value_typeEPNSK_ISF_E10value_typeEPSG_NS1_7vsmem_tEENKUlT_SE_SF_SG_E_clIS8_S8_S9_S9_EESD_ST_SE_SF_SG_EUlST_E0_NS1_11comp_targetILNS1_3genE4ELNS1_11target_archE910ELNS1_3gpuE8ELNS1_3repE0EEENS1_38merge_mergepath_config_static_selectorELNS0_4arch9wavefront6targetE1EEEvSF_,comdat
.Lfunc_end697:
	.size	_ZN7rocprim17ROCPRIM_400000_NS6detail17trampoline_kernelINS0_14default_configENS1_38merge_sort_block_merge_config_selectorIjNS0_10empty_typeEEEZZNS1_27merge_sort_block_merge_implIS3_PjPS5_jNS1_19radix_merge_compareILb0ELb0EjNS0_19identity_decomposerEEEEE10hipError_tT0_T1_T2_jT3_P12ihipStream_tbPNSt15iterator_traitsISE_E10value_typeEPNSK_ISF_E10value_typeEPSG_NS1_7vsmem_tEENKUlT_SE_SF_SG_E_clIS8_S8_S9_S9_EESD_ST_SE_SF_SG_EUlST_E0_NS1_11comp_targetILNS1_3genE4ELNS1_11target_archE910ELNS1_3gpuE8ELNS1_3repE0EEENS1_38merge_mergepath_config_static_selectorELNS0_4arch9wavefront6targetE1EEEvSF_, .Lfunc_end697-_ZN7rocprim17ROCPRIM_400000_NS6detail17trampoline_kernelINS0_14default_configENS1_38merge_sort_block_merge_config_selectorIjNS0_10empty_typeEEEZZNS1_27merge_sort_block_merge_implIS3_PjPS5_jNS1_19radix_merge_compareILb0ELb0EjNS0_19identity_decomposerEEEEE10hipError_tT0_T1_T2_jT3_P12ihipStream_tbPNSt15iterator_traitsISE_E10value_typeEPNSK_ISF_E10value_typeEPSG_NS1_7vsmem_tEENKUlT_SE_SF_SG_E_clIS8_S8_S9_S9_EESD_ST_SE_SF_SG_EUlST_E0_NS1_11comp_targetILNS1_3genE4ELNS1_11target_archE910ELNS1_3gpuE8ELNS1_3repE0EEENS1_38merge_mergepath_config_static_selectorELNS0_4arch9wavefront6targetE1EEEvSF_
                                        ; -- End function
	.section	.AMDGPU.csdata,"",@progbits
; Kernel info:
; codeLenInByte = 3628
; NumSgprs: 28
; NumVgprs: 26
; NumAgprs: 0
; TotalNumVgprs: 26
; ScratchSize: 0
; MemoryBound: 0
; FloatMode: 240
; IeeeMode: 1
; LDSByteSize: 4224 bytes/workgroup (compile time only)
; SGPRBlocks: 3
; VGPRBlocks: 3
; NumSGPRsForWavesPerEU: 28
; NumVGPRsForWavesPerEU: 26
; AccumOffset: 28
; Occupancy: 8
; WaveLimiterHint : 1
; COMPUTE_PGM_RSRC2:SCRATCH_EN: 0
; COMPUTE_PGM_RSRC2:USER_SGPR: 6
; COMPUTE_PGM_RSRC2:TRAP_HANDLER: 0
; COMPUTE_PGM_RSRC2:TGID_X_EN: 1
; COMPUTE_PGM_RSRC2:TGID_Y_EN: 1
; COMPUTE_PGM_RSRC2:TGID_Z_EN: 1
; COMPUTE_PGM_RSRC2:TIDIG_COMP_CNT: 0
; COMPUTE_PGM_RSRC3_GFX90A:ACCUM_OFFSET: 6
; COMPUTE_PGM_RSRC3_GFX90A:TG_SPLIT: 0
	.section	.text._ZN7rocprim17ROCPRIM_400000_NS6detail17trampoline_kernelINS0_14default_configENS1_38merge_sort_block_merge_config_selectorIjNS0_10empty_typeEEEZZNS1_27merge_sort_block_merge_implIS3_PjPS5_jNS1_19radix_merge_compareILb0ELb0EjNS0_19identity_decomposerEEEEE10hipError_tT0_T1_T2_jT3_P12ihipStream_tbPNSt15iterator_traitsISE_E10value_typeEPNSK_ISF_E10value_typeEPSG_NS1_7vsmem_tEENKUlT_SE_SF_SG_E_clIS8_S8_S9_S9_EESD_ST_SE_SF_SG_EUlST_E0_NS1_11comp_targetILNS1_3genE3ELNS1_11target_archE908ELNS1_3gpuE7ELNS1_3repE0EEENS1_38merge_mergepath_config_static_selectorELNS0_4arch9wavefront6targetE1EEEvSF_,"axG",@progbits,_ZN7rocprim17ROCPRIM_400000_NS6detail17trampoline_kernelINS0_14default_configENS1_38merge_sort_block_merge_config_selectorIjNS0_10empty_typeEEEZZNS1_27merge_sort_block_merge_implIS3_PjPS5_jNS1_19radix_merge_compareILb0ELb0EjNS0_19identity_decomposerEEEEE10hipError_tT0_T1_T2_jT3_P12ihipStream_tbPNSt15iterator_traitsISE_E10value_typeEPNSK_ISF_E10value_typeEPSG_NS1_7vsmem_tEENKUlT_SE_SF_SG_E_clIS8_S8_S9_S9_EESD_ST_SE_SF_SG_EUlST_E0_NS1_11comp_targetILNS1_3genE3ELNS1_11target_archE908ELNS1_3gpuE7ELNS1_3repE0EEENS1_38merge_mergepath_config_static_selectorELNS0_4arch9wavefront6targetE1EEEvSF_,comdat
	.protected	_ZN7rocprim17ROCPRIM_400000_NS6detail17trampoline_kernelINS0_14default_configENS1_38merge_sort_block_merge_config_selectorIjNS0_10empty_typeEEEZZNS1_27merge_sort_block_merge_implIS3_PjPS5_jNS1_19radix_merge_compareILb0ELb0EjNS0_19identity_decomposerEEEEE10hipError_tT0_T1_T2_jT3_P12ihipStream_tbPNSt15iterator_traitsISE_E10value_typeEPNSK_ISF_E10value_typeEPSG_NS1_7vsmem_tEENKUlT_SE_SF_SG_E_clIS8_S8_S9_S9_EESD_ST_SE_SF_SG_EUlST_E0_NS1_11comp_targetILNS1_3genE3ELNS1_11target_archE908ELNS1_3gpuE7ELNS1_3repE0EEENS1_38merge_mergepath_config_static_selectorELNS0_4arch9wavefront6targetE1EEEvSF_ ; -- Begin function _ZN7rocprim17ROCPRIM_400000_NS6detail17trampoline_kernelINS0_14default_configENS1_38merge_sort_block_merge_config_selectorIjNS0_10empty_typeEEEZZNS1_27merge_sort_block_merge_implIS3_PjPS5_jNS1_19radix_merge_compareILb0ELb0EjNS0_19identity_decomposerEEEEE10hipError_tT0_T1_T2_jT3_P12ihipStream_tbPNSt15iterator_traitsISE_E10value_typeEPNSK_ISF_E10value_typeEPSG_NS1_7vsmem_tEENKUlT_SE_SF_SG_E_clIS8_S8_S9_S9_EESD_ST_SE_SF_SG_EUlST_E0_NS1_11comp_targetILNS1_3genE3ELNS1_11target_archE908ELNS1_3gpuE7ELNS1_3repE0EEENS1_38merge_mergepath_config_static_selectorELNS0_4arch9wavefront6targetE1EEEvSF_
	.globl	_ZN7rocprim17ROCPRIM_400000_NS6detail17trampoline_kernelINS0_14default_configENS1_38merge_sort_block_merge_config_selectorIjNS0_10empty_typeEEEZZNS1_27merge_sort_block_merge_implIS3_PjPS5_jNS1_19radix_merge_compareILb0ELb0EjNS0_19identity_decomposerEEEEE10hipError_tT0_T1_T2_jT3_P12ihipStream_tbPNSt15iterator_traitsISE_E10value_typeEPNSK_ISF_E10value_typeEPSG_NS1_7vsmem_tEENKUlT_SE_SF_SG_E_clIS8_S8_S9_S9_EESD_ST_SE_SF_SG_EUlST_E0_NS1_11comp_targetILNS1_3genE3ELNS1_11target_archE908ELNS1_3gpuE7ELNS1_3repE0EEENS1_38merge_mergepath_config_static_selectorELNS0_4arch9wavefront6targetE1EEEvSF_
	.p2align	8
	.type	_ZN7rocprim17ROCPRIM_400000_NS6detail17trampoline_kernelINS0_14default_configENS1_38merge_sort_block_merge_config_selectorIjNS0_10empty_typeEEEZZNS1_27merge_sort_block_merge_implIS3_PjPS5_jNS1_19radix_merge_compareILb0ELb0EjNS0_19identity_decomposerEEEEE10hipError_tT0_T1_T2_jT3_P12ihipStream_tbPNSt15iterator_traitsISE_E10value_typeEPNSK_ISF_E10value_typeEPSG_NS1_7vsmem_tEENKUlT_SE_SF_SG_E_clIS8_S8_S9_S9_EESD_ST_SE_SF_SG_EUlST_E0_NS1_11comp_targetILNS1_3genE3ELNS1_11target_archE908ELNS1_3gpuE7ELNS1_3repE0EEENS1_38merge_mergepath_config_static_selectorELNS0_4arch9wavefront6targetE1EEEvSF_,@function
_ZN7rocprim17ROCPRIM_400000_NS6detail17trampoline_kernelINS0_14default_configENS1_38merge_sort_block_merge_config_selectorIjNS0_10empty_typeEEEZZNS1_27merge_sort_block_merge_implIS3_PjPS5_jNS1_19radix_merge_compareILb0ELb0EjNS0_19identity_decomposerEEEEE10hipError_tT0_T1_T2_jT3_P12ihipStream_tbPNSt15iterator_traitsISE_E10value_typeEPNSK_ISF_E10value_typeEPSG_NS1_7vsmem_tEENKUlT_SE_SF_SG_E_clIS8_S8_S9_S9_EESD_ST_SE_SF_SG_EUlST_E0_NS1_11comp_targetILNS1_3genE3ELNS1_11target_archE908ELNS1_3gpuE7ELNS1_3repE0EEENS1_38merge_mergepath_config_static_selectorELNS0_4arch9wavefront6targetE1EEEvSF_: ; @_ZN7rocprim17ROCPRIM_400000_NS6detail17trampoline_kernelINS0_14default_configENS1_38merge_sort_block_merge_config_selectorIjNS0_10empty_typeEEEZZNS1_27merge_sort_block_merge_implIS3_PjPS5_jNS1_19radix_merge_compareILb0ELb0EjNS0_19identity_decomposerEEEEE10hipError_tT0_T1_T2_jT3_P12ihipStream_tbPNSt15iterator_traitsISE_E10value_typeEPNSK_ISF_E10value_typeEPSG_NS1_7vsmem_tEENKUlT_SE_SF_SG_E_clIS8_S8_S9_S9_EESD_ST_SE_SF_SG_EUlST_E0_NS1_11comp_targetILNS1_3genE3ELNS1_11target_archE908ELNS1_3gpuE7ELNS1_3repE0EEENS1_38merge_mergepath_config_static_selectorELNS0_4arch9wavefront6targetE1EEEvSF_
; %bb.0:
	.section	.rodata,"a",@progbits
	.p2align	6, 0x0
	.amdhsa_kernel _ZN7rocprim17ROCPRIM_400000_NS6detail17trampoline_kernelINS0_14default_configENS1_38merge_sort_block_merge_config_selectorIjNS0_10empty_typeEEEZZNS1_27merge_sort_block_merge_implIS3_PjPS5_jNS1_19radix_merge_compareILb0ELb0EjNS0_19identity_decomposerEEEEE10hipError_tT0_T1_T2_jT3_P12ihipStream_tbPNSt15iterator_traitsISE_E10value_typeEPNSK_ISF_E10value_typeEPSG_NS1_7vsmem_tEENKUlT_SE_SF_SG_E_clIS8_S8_S9_S9_EESD_ST_SE_SF_SG_EUlST_E0_NS1_11comp_targetILNS1_3genE3ELNS1_11target_archE908ELNS1_3gpuE7ELNS1_3repE0EEENS1_38merge_mergepath_config_static_selectorELNS0_4arch9wavefront6targetE1EEEvSF_
		.amdhsa_group_segment_fixed_size 0
		.amdhsa_private_segment_fixed_size 0
		.amdhsa_kernarg_size 64
		.amdhsa_user_sgpr_count 6
		.amdhsa_user_sgpr_private_segment_buffer 1
		.amdhsa_user_sgpr_dispatch_ptr 0
		.amdhsa_user_sgpr_queue_ptr 0
		.amdhsa_user_sgpr_kernarg_segment_ptr 1
		.amdhsa_user_sgpr_dispatch_id 0
		.amdhsa_user_sgpr_flat_scratch_init 0
		.amdhsa_user_sgpr_kernarg_preload_length 0
		.amdhsa_user_sgpr_kernarg_preload_offset 0
		.amdhsa_user_sgpr_private_segment_size 0
		.amdhsa_uses_dynamic_stack 0
		.amdhsa_system_sgpr_private_segment_wavefront_offset 0
		.amdhsa_system_sgpr_workgroup_id_x 1
		.amdhsa_system_sgpr_workgroup_id_y 0
		.amdhsa_system_sgpr_workgroup_id_z 0
		.amdhsa_system_sgpr_workgroup_info 0
		.amdhsa_system_vgpr_workitem_id 0
		.amdhsa_next_free_vgpr 1
		.amdhsa_next_free_sgpr 0
		.amdhsa_accum_offset 4
		.amdhsa_reserve_vcc 0
		.amdhsa_reserve_flat_scratch 0
		.amdhsa_float_round_mode_32 0
		.amdhsa_float_round_mode_16_64 0
		.amdhsa_float_denorm_mode_32 3
		.amdhsa_float_denorm_mode_16_64 3
		.amdhsa_dx10_clamp 1
		.amdhsa_ieee_mode 1
		.amdhsa_fp16_overflow 0
		.amdhsa_tg_split 0
		.amdhsa_exception_fp_ieee_invalid_op 0
		.amdhsa_exception_fp_denorm_src 0
		.amdhsa_exception_fp_ieee_div_zero 0
		.amdhsa_exception_fp_ieee_overflow 0
		.amdhsa_exception_fp_ieee_underflow 0
		.amdhsa_exception_fp_ieee_inexact 0
		.amdhsa_exception_int_div_zero 0
	.end_amdhsa_kernel
	.section	.text._ZN7rocprim17ROCPRIM_400000_NS6detail17trampoline_kernelINS0_14default_configENS1_38merge_sort_block_merge_config_selectorIjNS0_10empty_typeEEEZZNS1_27merge_sort_block_merge_implIS3_PjPS5_jNS1_19radix_merge_compareILb0ELb0EjNS0_19identity_decomposerEEEEE10hipError_tT0_T1_T2_jT3_P12ihipStream_tbPNSt15iterator_traitsISE_E10value_typeEPNSK_ISF_E10value_typeEPSG_NS1_7vsmem_tEENKUlT_SE_SF_SG_E_clIS8_S8_S9_S9_EESD_ST_SE_SF_SG_EUlST_E0_NS1_11comp_targetILNS1_3genE3ELNS1_11target_archE908ELNS1_3gpuE7ELNS1_3repE0EEENS1_38merge_mergepath_config_static_selectorELNS0_4arch9wavefront6targetE1EEEvSF_,"axG",@progbits,_ZN7rocprim17ROCPRIM_400000_NS6detail17trampoline_kernelINS0_14default_configENS1_38merge_sort_block_merge_config_selectorIjNS0_10empty_typeEEEZZNS1_27merge_sort_block_merge_implIS3_PjPS5_jNS1_19radix_merge_compareILb0ELb0EjNS0_19identity_decomposerEEEEE10hipError_tT0_T1_T2_jT3_P12ihipStream_tbPNSt15iterator_traitsISE_E10value_typeEPNSK_ISF_E10value_typeEPSG_NS1_7vsmem_tEENKUlT_SE_SF_SG_E_clIS8_S8_S9_S9_EESD_ST_SE_SF_SG_EUlST_E0_NS1_11comp_targetILNS1_3genE3ELNS1_11target_archE908ELNS1_3gpuE7ELNS1_3repE0EEENS1_38merge_mergepath_config_static_selectorELNS0_4arch9wavefront6targetE1EEEvSF_,comdat
.Lfunc_end698:
	.size	_ZN7rocprim17ROCPRIM_400000_NS6detail17trampoline_kernelINS0_14default_configENS1_38merge_sort_block_merge_config_selectorIjNS0_10empty_typeEEEZZNS1_27merge_sort_block_merge_implIS3_PjPS5_jNS1_19radix_merge_compareILb0ELb0EjNS0_19identity_decomposerEEEEE10hipError_tT0_T1_T2_jT3_P12ihipStream_tbPNSt15iterator_traitsISE_E10value_typeEPNSK_ISF_E10value_typeEPSG_NS1_7vsmem_tEENKUlT_SE_SF_SG_E_clIS8_S8_S9_S9_EESD_ST_SE_SF_SG_EUlST_E0_NS1_11comp_targetILNS1_3genE3ELNS1_11target_archE908ELNS1_3gpuE7ELNS1_3repE0EEENS1_38merge_mergepath_config_static_selectorELNS0_4arch9wavefront6targetE1EEEvSF_, .Lfunc_end698-_ZN7rocprim17ROCPRIM_400000_NS6detail17trampoline_kernelINS0_14default_configENS1_38merge_sort_block_merge_config_selectorIjNS0_10empty_typeEEEZZNS1_27merge_sort_block_merge_implIS3_PjPS5_jNS1_19radix_merge_compareILb0ELb0EjNS0_19identity_decomposerEEEEE10hipError_tT0_T1_T2_jT3_P12ihipStream_tbPNSt15iterator_traitsISE_E10value_typeEPNSK_ISF_E10value_typeEPSG_NS1_7vsmem_tEENKUlT_SE_SF_SG_E_clIS8_S8_S9_S9_EESD_ST_SE_SF_SG_EUlST_E0_NS1_11comp_targetILNS1_3genE3ELNS1_11target_archE908ELNS1_3gpuE7ELNS1_3repE0EEENS1_38merge_mergepath_config_static_selectorELNS0_4arch9wavefront6targetE1EEEvSF_
                                        ; -- End function
	.section	.AMDGPU.csdata,"",@progbits
; Kernel info:
; codeLenInByte = 0
; NumSgprs: 4
; NumVgprs: 0
; NumAgprs: 0
; TotalNumVgprs: 0
; ScratchSize: 0
; MemoryBound: 0
; FloatMode: 240
; IeeeMode: 1
; LDSByteSize: 0 bytes/workgroup (compile time only)
; SGPRBlocks: 0
; VGPRBlocks: 0
; NumSGPRsForWavesPerEU: 4
; NumVGPRsForWavesPerEU: 1
; AccumOffset: 4
; Occupancy: 8
; WaveLimiterHint : 0
; COMPUTE_PGM_RSRC2:SCRATCH_EN: 0
; COMPUTE_PGM_RSRC2:USER_SGPR: 6
; COMPUTE_PGM_RSRC2:TRAP_HANDLER: 0
; COMPUTE_PGM_RSRC2:TGID_X_EN: 1
; COMPUTE_PGM_RSRC2:TGID_Y_EN: 0
; COMPUTE_PGM_RSRC2:TGID_Z_EN: 0
; COMPUTE_PGM_RSRC2:TIDIG_COMP_CNT: 0
; COMPUTE_PGM_RSRC3_GFX90A:ACCUM_OFFSET: 0
; COMPUTE_PGM_RSRC3_GFX90A:TG_SPLIT: 0
	.section	.text._ZN7rocprim17ROCPRIM_400000_NS6detail17trampoline_kernelINS0_14default_configENS1_38merge_sort_block_merge_config_selectorIjNS0_10empty_typeEEEZZNS1_27merge_sort_block_merge_implIS3_PjPS5_jNS1_19radix_merge_compareILb0ELb0EjNS0_19identity_decomposerEEEEE10hipError_tT0_T1_T2_jT3_P12ihipStream_tbPNSt15iterator_traitsISE_E10value_typeEPNSK_ISF_E10value_typeEPSG_NS1_7vsmem_tEENKUlT_SE_SF_SG_E_clIS8_S8_S9_S9_EESD_ST_SE_SF_SG_EUlST_E0_NS1_11comp_targetILNS1_3genE2ELNS1_11target_archE906ELNS1_3gpuE6ELNS1_3repE0EEENS1_38merge_mergepath_config_static_selectorELNS0_4arch9wavefront6targetE1EEEvSF_,"axG",@progbits,_ZN7rocprim17ROCPRIM_400000_NS6detail17trampoline_kernelINS0_14default_configENS1_38merge_sort_block_merge_config_selectorIjNS0_10empty_typeEEEZZNS1_27merge_sort_block_merge_implIS3_PjPS5_jNS1_19radix_merge_compareILb0ELb0EjNS0_19identity_decomposerEEEEE10hipError_tT0_T1_T2_jT3_P12ihipStream_tbPNSt15iterator_traitsISE_E10value_typeEPNSK_ISF_E10value_typeEPSG_NS1_7vsmem_tEENKUlT_SE_SF_SG_E_clIS8_S8_S9_S9_EESD_ST_SE_SF_SG_EUlST_E0_NS1_11comp_targetILNS1_3genE2ELNS1_11target_archE906ELNS1_3gpuE6ELNS1_3repE0EEENS1_38merge_mergepath_config_static_selectorELNS0_4arch9wavefront6targetE1EEEvSF_,comdat
	.protected	_ZN7rocprim17ROCPRIM_400000_NS6detail17trampoline_kernelINS0_14default_configENS1_38merge_sort_block_merge_config_selectorIjNS0_10empty_typeEEEZZNS1_27merge_sort_block_merge_implIS3_PjPS5_jNS1_19radix_merge_compareILb0ELb0EjNS0_19identity_decomposerEEEEE10hipError_tT0_T1_T2_jT3_P12ihipStream_tbPNSt15iterator_traitsISE_E10value_typeEPNSK_ISF_E10value_typeEPSG_NS1_7vsmem_tEENKUlT_SE_SF_SG_E_clIS8_S8_S9_S9_EESD_ST_SE_SF_SG_EUlST_E0_NS1_11comp_targetILNS1_3genE2ELNS1_11target_archE906ELNS1_3gpuE6ELNS1_3repE0EEENS1_38merge_mergepath_config_static_selectorELNS0_4arch9wavefront6targetE1EEEvSF_ ; -- Begin function _ZN7rocprim17ROCPRIM_400000_NS6detail17trampoline_kernelINS0_14default_configENS1_38merge_sort_block_merge_config_selectorIjNS0_10empty_typeEEEZZNS1_27merge_sort_block_merge_implIS3_PjPS5_jNS1_19radix_merge_compareILb0ELb0EjNS0_19identity_decomposerEEEEE10hipError_tT0_T1_T2_jT3_P12ihipStream_tbPNSt15iterator_traitsISE_E10value_typeEPNSK_ISF_E10value_typeEPSG_NS1_7vsmem_tEENKUlT_SE_SF_SG_E_clIS8_S8_S9_S9_EESD_ST_SE_SF_SG_EUlST_E0_NS1_11comp_targetILNS1_3genE2ELNS1_11target_archE906ELNS1_3gpuE6ELNS1_3repE0EEENS1_38merge_mergepath_config_static_selectorELNS0_4arch9wavefront6targetE1EEEvSF_
	.globl	_ZN7rocprim17ROCPRIM_400000_NS6detail17trampoline_kernelINS0_14default_configENS1_38merge_sort_block_merge_config_selectorIjNS0_10empty_typeEEEZZNS1_27merge_sort_block_merge_implIS3_PjPS5_jNS1_19radix_merge_compareILb0ELb0EjNS0_19identity_decomposerEEEEE10hipError_tT0_T1_T2_jT3_P12ihipStream_tbPNSt15iterator_traitsISE_E10value_typeEPNSK_ISF_E10value_typeEPSG_NS1_7vsmem_tEENKUlT_SE_SF_SG_E_clIS8_S8_S9_S9_EESD_ST_SE_SF_SG_EUlST_E0_NS1_11comp_targetILNS1_3genE2ELNS1_11target_archE906ELNS1_3gpuE6ELNS1_3repE0EEENS1_38merge_mergepath_config_static_selectorELNS0_4arch9wavefront6targetE1EEEvSF_
	.p2align	8
	.type	_ZN7rocprim17ROCPRIM_400000_NS6detail17trampoline_kernelINS0_14default_configENS1_38merge_sort_block_merge_config_selectorIjNS0_10empty_typeEEEZZNS1_27merge_sort_block_merge_implIS3_PjPS5_jNS1_19radix_merge_compareILb0ELb0EjNS0_19identity_decomposerEEEEE10hipError_tT0_T1_T2_jT3_P12ihipStream_tbPNSt15iterator_traitsISE_E10value_typeEPNSK_ISF_E10value_typeEPSG_NS1_7vsmem_tEENKUlT_SE_SF_SG_E_clIS8_S8_S9_S9_EESD_ST_SE_SF_SG_EUlST_E0_NS1_11comp_targetILNS1_3genE2ELNS1_11target_archE906ELNS1_3gpuE6ELNS1_3repE0EEENS1_38merge_mergepath_config_static_selectorELNS0_4arch9wavefront6targetE1EEEvSF_,@function
_ZN7rocprim17ROCPRIM_400000_NS6detail17trampoline_kernelINS0_14default_configENS1_38merge_sort_block_merge_config_selectorIjNS0_10empty_typeEEEZZNS1_27merge_sort_block_merge_implIS3_PjPS5_jNS1_19radix_merge_compareILb0ELb0EjNS0_19identity_decomposerEEEEE10hipError_tT0_T1_T2_jT3_P12ihipStream_tbPNSt15iterator_traitsISE_E10value_typeEPNSK_ISF_E10value_typeEPSG_NS1_7vsmem_tEENKUlT_SE_SF_SG_E_clIS8_S8_S9_S9_EESD_ST_SE_SF_SG_EUlST_E0_NS1_11comp_targetILNS1_3genE2ELNS1_11target_archE906ELNS1_3gpuE6ELNS1_3repE0EEENS1_38merge_mergepath_config_static_selectorELNS0_4arch9wavefront6targetE1EEEvSF_: ; @_ZN7rocprim17ROCPRIM_400000_NS6detail17trampoline_kernelINS0_14default_configENS1_38merge_sort_block_merge_config_selectorIjNS0_10empty_typeEEEZZNS1_27merge_sort_block_merge_implIS3_PjPS5_jNS1_19radix_merge_compareILb0ELb0EjNS0_19identity_decomposerEEEEE10hipError_tT0_T1_T2_jT3_P12ihipStream_tbPNSt15iterator_traitsISE_E10value_typeEPNSK_ISF_E10value_typeEPSG_NS1_7vsmem_tEENKUlT_SE_SF_SG_E_clIS8_S8_S9_S9_EESD_ST_SE_SF_SG_EUlST_E0_NS1_11comp_targetILNS1_3genE2ELNS1_11target_archE906ELNS1_3gpuE6ELNS1_3repE0EEENS1_38merge_mergepath_config_static_selectorELNS0_4arch9wavefront6targetE1EEEvSF_
; %bb.0:
	.section	.rodata,"a",@progbits
	.p2align	6, 0x0
	.amdhsa_kernel _ZN7rocprim17ROCPRIM_400000_NS6detail17trampoline_kernelINS0_14default_configENS1_38merge_sort_block_merge_config_selectorIjNS0_10empty_typeEEEZZNS1_27merge_sort_block_merge_implIS3_PjPS5_jNS1_19radix_merge_compareILb0ELb0EjNS0_19identity_decomposerEEEEE10hipError_tT0_T1_T2_jT3_P12ihipStream_tbPNSt15iterator_traitsISE_E10value_typeEPNSK_ISF_E10value_typeEPSG_NS1_7vsmem_tEENKUlT_SE_SF_SG_E_clIS8_S8_S9_S9_EESD_ST_SE_SF_SG_EUlST_E0_NS1_11comp_targetILNS1_3genE2ELNS1_11target_archE906ELNS1_3gpuE6ELNS1_3repE0EEENS1_38merge_mergepath_config_static_selectorELNS0_4arch9wavefront6targetE1EEEvSF_
		.amdhsa_group_segment_fixed_size 0
		.amdhsa_private_segment_fixed_size 0
		.amdhsa_kernarg_size 64
		.amdhsa_user_sgpr_count 6
		.amdhsa_user_sgpr_private_segment_buffer 1
		.amdhsa_user_sgpr_dispatch_ptr 0
		.amdhsa_user_sgpr_queue_ptr 0
		.amdhsa_user_sgpr_kernarg_segment_ptr 1
		.amdhsa_user_sgpr_dispatch_id 0
		.amdhsa_user_sgpr_flat_scratch_init 0
		.amdhsa_user_sgpr_kernarg_preload_length 0
		.amdhsa_user_sgpr_kernarg_preload_offset 0
		.amdhsa_user_sgpr_private_segment_size 0
		.amdhsa_uses_dynamic_stack 0
		.amdhsa_system_sgpr_private_segment_wavefront_offset 0
		.amdhsa_system_sgpr_workgroup_id_x 1
		.amdhsa_system_sgpr_workgroup_id_y 0
		.amdhsa_system_sgpr_workgroup_id_z 0
		.amdhsa_system_sgpr_workgroup_info 0
		.amdhsa_system_vgpr_workitem_id 0
		.amdhsa_next_free_vgpr 1
		.amdhsa_next_free_sgpr 0
		.amdhsa_accum_offset 4
		.amdhsa_reserve_vcc 0
		.amdhsa_reserve_flat_scratch 0
		.amdhsa_float_round_mode_32 0
		.amdhsa_float_round_mode_16_64 0
		.amdhsa_float_denorm_mode_32 3
		.amdhsa_float_denorm_mode_16_64 3
		.amdhsa_dx10_clamp 1
		.amdhsa_ieee_mode 1
		.amdhsa_fp16_overflow 0
		.amdhsa_tg_split 0
		.amdhsa_exception_fp_ieee_invalid_op 0
		.amdhsa_exception_fp_denorm_src 0
		.amdhsa_exception_fp_ieee_div_zero 0
		.amdhsa_exception_fp_ieee_overflow 0
		.amdhsa_exception_fp_ieee_underflow 0
		.amdhsa_exception_fp_ieee_inexact 0
		.amdhsa_exception_int_div_zero 0
	.end_amdhsa_kernel
	.section	.text._ZN7rocprim17ROCPRIM_400000_NS6detail17trampoline_kernelINS0_14default_configENS1_38merge_sort_block_merge_config_selectorIjNS0_10empty_typeEEEZZNS1_27merge_sort_block_merge_implIS3_PjPS5_jNS1_19radix_merge_compareILb0ELb0EjNS0_19identity_decomposerEEEEE10hipError_tT0_T1_T2_jT3_P12ihipStream_tbPNSt15iterator_traitsISE_E10value_typeEPNSK_ISF_E10value_typeEPSG_NS1_7vsmem_tEENKUlT_SE_SF_SG_E_clIS8_S8_S9_S9_EESD_ST_SE_SF_SG_EUlST_E0_NS1_11comp_targetILNS1_3genE2ELNS1_11target_archE906ELNS1_3gpuE6ELNS1_3repE0EEENS1_38merge_mergepath_config_static_selectorELNS0_4arch9wavefront6targetE1EEEvSF_,"axG",@progbits,_ZN7rocprim17ROCPRIM_400000_NS6detail17trampoline_kernelINS0_14default_configENS1_38merge_sort_block_merge_config_selectorIjNS0_10empty_typeEEEZZNS1_27merge_sort_block_merge_implIS3_PjPS5_jNS1_19radix_merge_compareILb0ELb0EjNS0_19identity_decomposerEEEEE10hipError_tT0_T1_T2_jT3_P12ihipStream_tbPNSt15iterator_traitsISE_E10value_typeEPNSK_ISF_E10value_typeEPSG_NS1_7vsmem_tEENKUlT_SE_SF_SG_E_clIS8_S8_S9_S9_EESD_ST_SE_SF_SG_EUlST_E0_NS1_11comp_targetILNS1_3genE2ELNS1_11target_archE906ELNS1_3gpuE6ELNS1_3repE0EEENS1_38merge_mergepath_config_static_selectorELNS0_4arch9wavefront6targetE1EEEvSF_,comdat
.Lfunc_end699:
	.size	_ZN7rocprim17ROCPRIM_400000_NS6detail17trampoline_kernelINS0_14default_configENS1_38merge_sort_block_merge_config_selectorIjNS0_10empty_typeEEEZZNS1_27merge_sort_block_merge_implIS3_PjPS5_jNS1_19radix_merge_compareILb0ELb0EjNS0_19identity_decomposerEEEEE10hipError_tT0_T1_T2_jT3_P12ihipStream_tbPNSt15iterator_traitsISE_E10value_typeEPNSK_ISF_E10value_typeEPSG_NS1_7vsmem_tEENKUlT_SE_SF_SG_E_clIS8_S8_S9_S9_EESD_ST_SE_SF_SG_EUlST_E0_NS1_11comp_targetILNS1_3genE2ELNS1_11target_archE906ELNS1_3gpuE6ELNS1_3repE0EEENS1_38merge_mergepath_config_static_selectorELNS0_4arch9wavefront6targetE1EEEvSF_, .Lfunc_end699-_ZN7rocprim17ROCPRIM_400000_NS6detail17trampoline_kernelINS0_14default_configENS1_38merge_sort_block_merge_config_selectorIjNS0_10empty_typeEEEZZNS1_27merge_sort_block_merge_implIS3_PjPS5_jNS1_19radix_merge_compareILb0ELb0EjNS0_19identity_decomposerEEEEE10hipError_tT0_T1_T2_jT3_P12ihipStream_tbPNSt15iterator_traitsISE_E10value_typeEPNSK_ISF_E10value_typeEPSG_NS1_7vsmem_tEENKUlT_SE_SF_SG_E_clIS8_S8_S9_S9_EESD_ST_SE_SF_SG_EUlST_E0_NS1_11comp_targetILNS1_3genE2ELNS1_11target_archE906ELNS1_3gpuE6ELNS1_3repE0EEENS1_38merge_mergepath_config_static_selectorELNS0_4arch9wavefront6targetE1EEEvSF_
                                        ; -- End function
	.section	.AMDGPU.csdata,"",@progbits
; Kernel info:
; codeLenInByte = 0
; NumSgprs: 4
; NumVgprs: 0
; NumAgprs: 0
; TotalNumVgprs: 0
; ScratchSize: 0
; MemoryBound: 0
; FloatMode: 240
; IeeeMode: 1
; LDSByteSize: 0 bytes/workgroup (compile time only)
; SGPRBlocks: 0
; VGPRBlocks: 0
; NumSGPRsForWavesPerEU: 4
; NumVGPRsForWavesPerEU: 1
; AccumOffset: 4
; Occupancy: 8
; WaveLimiterHint : 0
; COMPUTE_PGM_RSRC2:SCRATCH_EN: 0
; COMPUTE_PGM_RSRC2:USER_SGPR: 6
; COMPUTE_PGM_RSRC2:TRAP_HANDLER: 0
; COMPUTE_PGM_RSRC2:TGID_X_EN: 1
; COMPUTE_PGM_RSRC2:TGID_Y_EN: 0
; COMPUTE_PGM_RSRC2:TGID_Z_EN: 0
; COMPUTE_PGM_RSRC2:TIDIG_COMP_CNT: 0
; COMPUTE_PGM_RSRC3_GFX90A:ACCUM_OFFSET: 0
; COMPUTE_PGM_RSRC3_GFX90A:TG_SPLIT: 0
	.section	.text._ZN7rocprim17ROCPRIM_400000_NS6detail17trampoline_kernelINS0_14default_configENS1_38merge_sort_block_merge_config_selectorIjNS0_10empty_typeEEEZZNS1_27merge_sort_block_merge_implIS3_PjPS5_jNS1_19radix_merge_compareILb0ELb0EjNS0_19identity_decomposerEEEEE10hipError_tT0_T1_T2_jT3_P12ihipStream_tbPNSt15iterator_traitsISE_E10value_typeEPNSK_ISF_E10value_typeEPSG_NS1_7vsmem_tEENKUlT_SE_SF_SG_E_clIS8_S8_S9_S9_EESD_ST_SE_SF_SG_EUlST_E0_NS1_11comp_targetILNS1_3genE9ELNS1_11target_archE1100ELNS1_3gpuE3ELNS1_3repE0EEENS1_38merge_mergepath_config_static_selectorELNS0_4arch9wavefront6targetE1EEEvSF_,"axG",@progbits,_ZN7rocprim17ROCPRIM_400000_NS6detail17trampoline_kernelINS0_14default_configENS1_38merge_sort_block_merge_config_selectorIjNS0_10empty_typeEEEZZNS1_27merge_sort_block_merge_implIS3_PjPS5_jNS1_19radix_merge_compareILb0ELb0EjNS0_19identity_decomposerEEEEE10hipError_tT0_T1_T2_jT3_P12ihipStream_tbPNSt15iterator_traitsISE_E10value_typeEPNSK_ISF_E10value_typeEPSG_NS1_7vsmem_tEENKUlT_SE_SF_SG_E_clIS8_S8_S9_S9_EESD_ST_SE_SF_SG_EUlST_E0_NS1_11comp_targetILNS1_3genE9ELNS1_11target_archE1100ELNS1_3gpuE3ELNS1_3repE0EEENS1_38merge_mergepath_config_static_selectorELNS0_4arch9wavefront6targetE1EEEvSF_,comdat
	.protected	_ZN7rocprim17ROCPRIM_400000_NS6detail17trampoline_kernelINS0_14default_configENS1_38merge_sort_block_merge_config_selectorIjNS0_10empty_typeEEEZZNS1_27merge_sort_block_merge_implIS3_PjPS5_jNS1_19radix_merge_compareILb0ELb0EjNS0_19identity_decomposerEEEEE10hipError_tT0_T1_T2_jT3_P12ihipStream_tbPNSt15iterator_traitsISE_E10value_typeEPNSK_ISF_E10value_typeEPSG_NS1_7vsmem_tEENKUlT_SE_SF_SG_E_clIS8_S8_S9_S9_EESD_ST_SE_SF_SG_EUlST_E0_NS1_11comp_targetILNS1_3genE9ELNS1_11target_archE1100ELNS1_3gpuE3ELNS1_3repE0EEENS1_38merge_mergepath_config_static_selectorELNS0_4arch9wavefront6targetE1EEEvSF_ ; -- Begin function _ZN7rocprim17ROCPRIM_400000_NS6detail17trampoline_kernelINS0_14default_configENS1_38merge_sort_block_merge_config_selectorIjNS0_10empty_typeEEEZZNS1_27merge_sort_block_merge_implIS3_PjPS5_jNS1_19radix_merge_compareILb0ELb0EjNS0_19identity_decomposerEEEEE10hipError_tT0_T1_T2_jT3_P12ihipStream_tbPNSt15iterator_traitsISE_E10value_typeEPNSK_ISF_E10value_typeEPSG_NS1_7vsmem_tEENKUlT_SE_SF_SG_E_clIS8_S8_S9_S9_EESD_ST_SE_SF_SG_EUlST_E0_NS1_11comp_targetILNS1_3genE9ELNS1_11target_archE1100ELNS1_3gpuE3ELNS1_3repE0EEENS1_38merge_mergepath_config_static_selectorELNS0_4arch9wavefront6targetE1EEEvSF_
	.globl	_ZN7rocprim17ROCPRIM_400000_NS6detail17trampoline_kernelINS0_14default_configENS1_38merge_sort_block_merge_config_selectorIjNS0_10empty_typeEEEZZNS1_27merge_sort_block_merge_implIS3_PjPS5_jNS1_19radix_merge_compareILb0ELb0EjNS0_19identity_decomposerEEEEE10hipError_tT0_T1_T2_jT3_P12ihipStream_tbPNSt15iterator_traitsISE_E10value_typeEPNSK_ISF_E10value_typeEPSG_NS1_7vsmem_tEENKUlT_SE_SF_SG_E_clIS8_S8_S9_S9_EESD_ST_SE_SF_SG_EUlST_E0_NS1_11comp_targetILNS1_3genE9ELNS1_11target_archE1100ELNS1_3gpuE3ELNS1_3repE0EEENS1_38merge_mergepath_config_static_selectorELNS0_4arch9wavefront6targetE1EEEvSF_
	.p2align	8
	.type	_ZN7rocprim17ROCPRIM_400000_NS6detail17trampoline_kernelINS0_14default_configENS1_38merge_sort_block_merge_config_selectorIjNS0_10empty_typeEEEZZNS1_27merge_sort_block_merge_implIS3_PjPS5_jNS1_19radix_merge_compareILb0ELb0EjNS0_19identity_decomposerEEEEE10hipError_tT0_T1_T2_jT3_P12ihipStream_tbPNSt15iterator_traitsISE_E10value_typeEPNSK_ISF_E10value_typeEPSG_NS1_7vsmem_tEENKUlT_SE_SF_SG_E_clIS8_S8_S9_S9_EESD_ST_SE_SF_SG_EUlST_E0_NS1_11comp_targetILNS1_3genE9ELNS1_11target_archE1100ELNS1_3gpuE3ELNS1_3repE0EEENS1_38merge_mergepath_config_static_selectorELNS0_4arch9wavefront6targetE1EEEvSF_,@function
_ZN7rocprim17ROCPRIM_400000_NS6detail17trampoline_kernelINS0_14default_configENS1_38merge_sort_block_merge_config_selectorIjNS0_10empty_typeEEEZZNS1_27merge_sort_block_merge_implIS3_PjPS5_jNS1_19radix_merge_compareILb0ELb0EjNS0_19identity_decomposerEEEEE10hipError_tT0_T1_T2_jT3_P12ihipStream_tbPNSt15iterator_traitsISE_E10value_typeEPNSK_ISF_E10value_typeEPSG_NS1_7vsmem_tEENKUlT_SE_SF_SG_E_clIS8_S8_S9_S9_EESD_ST_SE_SF_SG_EUlST_E0_NS1_11comp_targetILNS1_3genE9ELNS1_11target_archE1100ELNS1_3gpuE3ELNS1_3repE0EEENS1_38merge_mergepath_config_static_selectorELNS0_4arch9wavefront6targetE1EEEvSF_: ; @_ZN7rocprim17ROCPRIM_400000_NS6detail17trampoline_kernelINS0_14default_configENS1_38merge_sort_block_merge_config_selectorIjNS0_10empty_typeEEEZZNS1_27merge_sort_block_merge_implIS3_PjPS5_jNS1_19radix_merge_compareILb0ELb0EjNS0_19identity_decomposerEEEEE10hipError_tT0_T1_T2_jT3_P12ihipStream_tbPNSt15iterator_traitsISE_E10value_typeEPNSK_ISF_E10value_typeEPSG_NS1_7vsmem_tEENKUlT_SE_SF_SG_E_clIS8_S8_S9_S9_EESD_ST_SE_SF_SG_EUlST_E0_NS1_11comp_targetILNS1_3genE9ELNS1_11target_archE1100ELNS1_3gpuE3ELNS1_3repE0EEENS1_38merge_mergepath_config_static_selectorELNS0_4arch9wavefront6targetE1EEEvSF_
; %bb.0:
	.section	.rodata,"a",@progbits
	.p2align	6, 0x0
	.amdhsa_kernel _ZN7rocprim17ROCPRIM_400000_NS6detail17trampoline_kernelINS0_14default_configENS1_38merge_sort_block_merge_config_selectorIjNS0_10empty_typeEEEZZNS1_27merge_sort_block_merge_implIS3_PjPS5_jNS1_19radix_merge_compareILb0ELb0EjNS0_19identity_decomposerEEEEE10hipError_tT0_T1_T2_jT3_P12ihipStream_tbPNSt15iterator_traitsISE_E10value_typeEPNSK_ISF_E10value_typeEPSG_NS1_7vsmem_tEENKUlT_SE_SF_SG_E_clIS8_S8_S9_S9_EESD_ST_SE_SF_SG_EUlST_E0_NS1_11comp_targetILNS1_3genE9ELNS1_11target_archE1100ELNS1_3gpuE3ELNS1_3repE0EEENS1_38merge_mergepath_config_static_selectorELNS0_4arch9wavefront6targetE1EEEvSF_
		.amdhsa_group_segment_fixed_size 0
		.amdhsa_private_segment_fixed_size 0
		.amdhsa_kernarg_size 64
		.amdhsa_user_sgpr_count 6
		.amdhsa_user_sgpr_private_segment_buffer 1
		.amdhsa_user_sgpr_dispatch_ptr 0
		.amdhsa_user_sgpr_queue_ptr 0
		.amdhsa_user_sgpr_kernarg_segment_ptr 1
		.amdhsa_user_sgpr_dispatch_id 0
		.amdhsa_user_sgpr_flat_scratch_init 0
		.amdhsa_user_sgpr_kernarg_preload_length 0
		.amdhsa_user_sgpr_kernarg_preload_offset 0
		.amdhsa_user_sgpr_private_segment_size 0
		.amdhsa_uses_dynamic_stack 0
		.amdhsa_system_sgpr_private_segment_wavefront_offset 0
		.amdhsa_system_sgpr_workgroup_id_x 1
		.amdhsa_system_sgpr_workgroup_id_y 0
		.amdhsa_system_sgpr_workgroup_id_z 0
		.amdhsa_system_sgpr_workgroup_info 0
		.amdhsa_system_vgpr_workitem_id 0
		.amdhsa_next_free_vgpr 1
		.amdhsa_next_free_sgpr 0
		.amdhsa_accum_offset 4
		.amdhsa_reserve_vcc 0
		.amdhsa_reserve_flat_scratch 0
		.amdhsa_float_round_mode_32 0
		.amdhsa_float_round_mode_16_64 0
		.amdhsa_float_denorm_mode_32 3
		.amdhsa_float_denorm_mode_16_64 3
		.amdhsa_dx10_clamp 1
		.amdhsa_ieee_mode 1
		.amdhsa_fp16_overflow 0
		.amdhsa_tg_split 0
		.amdhsa_exception_fp_ieee_invalid_op 0
		.amdhsa_exception_fp_denorm_src 0
		.amdhsa_exception_fp_ieee_div_zero 0
		.amdhsa_exception_fp_ieee_overflow 0
		.amdhsa_exception_fp_ieee_underflow 0
		.amdhsa_exception_fp_ieee_inexact 0
		.amdhsa_exception_int_div_zero 0
	.end_amdhsa_kernel
	.section	.text._ZN7rocprim17ROCPRIM_400000_NS6detail17trampoline_kernelINS0_14default_configENS1_38merge_sort_block_merge_config_selectorIjNS0_10empty_typeEEEZZNS1_27merge_sort_block_merge_implIS3_PjPS5_jNS1_19radix_merge_compareILb0ELb0EjNS0_19identity_decomposerEEEEE10hipError_tT0_T1_T2_jT3_P12ihipStream_tbPNSt15iterator_traitsISE_E10value_typeEPNSK_ISF_E10value_typeEPSG_NS1_7vsmem_tEENKUlT_SE_SF_SG_E_clIS8_S8_S9_S9_EESD_ST_SE_SF_SG_EUlST_E0_NS1_11comp_targetILNS1_3genE9ELNS1_11target_archE1100ELNS1_3gpuE3ELNS1_3repE0EEENS1_38merge_mergepath_config_static_selectorELNS0_4arch9wavefront6targetE1EEEvSF_,"axG",@progbits,_ZN7rocprim17ROCPRIM_400000_NS6detail17trampoline_kernelINS0_14default_configENS1_38merge_sort_block_merge_config_selectorIjNS0_10empty_typeEEEZZNS1_27merge_sort_block_merge_implIS3_PjPS5_jNS1_19radix_merge_compareILb0ELb0EjNS0_19identity_decomposerEEEEE10hipError_tT0_T1_T2_jT3_P12ihipStream_tbPNSt15iterator_traitsISE_E10value_typeEPNSK_ISF_E10value_typeEPSG_NS1_7vsmem_tEENKUlT_SE_SF_SG_E_clIS8_S8_S9_S9_EESD_ST_SE_SF_SG_EUlST_E0_NS1_11comp_targetILNS1_3genE9ELNS1_11target_archE1100ELNS1_3gpuE3ELNS1_3repE0EEENS1_38merge_mergepath_config_static_selectorELNS0_4arch9wavefront6targetE1EEEvSF_,comdat
.Lfunc_end700:
	.size	_ZN7rocprim17ROCPRIM_400000_NS6detail17trampoline_kernelINS0_14default_configENS1_38merge_sort_block_merge_config_selectorIjNS0_10empty_typeEEEZZNS1_27merge_sort_block_merge_implIS3_PjPS5_jNS1_19radix_merge_compareILb0ELb0EjNS0_19identity_decomposerEEEEE10hipError_tT0_T1_T2_jT3_P12ihipStream_tbPNSt15iterator_traitsISE_E10value_typeEPNSK_ISF_E10value_typeEPSG_NS1_7vsmem_tEENKUlT_SE_SF_SG_E_clIS8_S8_S9_S9_EESD_ST_SE_SF_SG_EUlST_E0_NS1_11comp_targetILNS1_3genE9ELNS1_11target_archE1100ELNS1_3gpuE3ELNS1_3repE0EEENS1_38merge_mergepath_config_static_selectorELNS0_4arch9wavefront6targetE1EEEvSF_, .Lfunc_end700-_ZN7rocprim17ROCPRIM_400000_NS6detail17trampoline_kernelINS0_14default_configENS1_38merge_sort_block_merge_config_selectorIjNS0_10empty_typeEEEZZNS1_27merge_sort_block_merge_implIS3_PjPS5_jNS1_19radix_merge_compareILb0ELb0EjNS0_19identity_decomposerEEEEE10hipError_tT0_T1_T2_jT3_P12ihipStream_tbPNSt15iterator_traitsISE_E10value_typeEPNSK_ISF_E10value_typeEPSG_NS1_7vsmem_tEENKUlT_SE_SF_SG_E_clIS8_S8_S9_S9_EESD_ST_SE_SF_SG_EUlST_E0_NS1_11comp_targetILNS1_3genE9ELNS1_11target_archE1100ELNS1_3gpuE3ELNS1_3repE0EEENS1_38merge_mergepath_config_static_selectorELNS0_4arch9wavefront6targetE1EEEvSF_
                                        ; -- End function
	.section	.AMDGPU.csdata,"",@progbits
; Kernel info:
; codeLenInByte = 0
; NumSgprs: 4
; NumVgprs: 0
; NumAgprs: 0
; TotalNumVgprs: 0
; ScratchSize: 0
; MemoryBound: 0
; FloatMode: 240
; IeeeMode: 1
; LDSByteSize: 0 bytes/workgroup (compile time only)
; SGPRBlocks: 0
; VGPRBlocks: 0
; NumSGPRsForWavesPerEU: 4
; NumVGPRsForWavesPerEU: 1
; AccumOffset: 4
; Occupancy: 8
; WaveLimiterHint : 0
; COMPUTE_PGM_RSRC2:SCRATCH_EN: 0
; COMPUTE_PGM_RSRC2:USER_SGPR: 6
; COMPUTE_PGM_RSRC2:TRAP_HANDLER: 0
; COMPUTE_PGM_RSRC2:TGID_X_EN: 1
; COMPUTE_PGM_RSRC2:TGID_Y_EN: 0
; COMPUTE_PGM_RSRC2:TGID_Z_EN: 0
; COMPUTE_PGM_RSRC2:TIDIG_COMP_CNT: 0
; COMPUTE_PGM_RSRC3_GFX90A:ACCUM_OFFSET: 0
; COMPUTE_PGM_RSRC3_GFX90A:TG_SPLIT: 0
	.section	.text._ZN7rocprim17ROCPRIM_400000_NS6detail17trampoline_kernelINS0_14default_configENS1_38merge_sort_block_merge_config_selectorIjNS0_10empty_typeEEEZZNS1_27merge_sort_block_merge_implIS3_PjPS5_jNS1_19radix_merge_compareILb0ELb0EjNS0_19identity_decomposerEEEEE10hipError_tT0_T1_T2_jT3_P12ihipStream_tbPNSt15iterator_traitsISE_E10value_typeEPNSK_ISF_E10value_typeEPSG_NS1_7vsmem_tEENKUlT_SE_SF_SG_E_clIS8_S8_S9_S9_EESD_ST_SE_SF_SG_EUlST_E0_NS1_11comp_targetILNS1_3genE8ELNS1_11target_archE1030ELNS1_3gpuE2ELNS1_3repE0EEENS1_38merge_mergepath_config_static_selectorELNS0_4arch9wavefront6targetE1EEEvSF_,"axG",@progbits,_ZN7rocprim17ROCPRIM_400000_NS6detail17trampoline_kernelINS0_14default_configENS1_38merge_sort_block_merge_config_selectorIjNS0_10empty_typeEEEZZNS1_27merge_sort_block_merge_implIS3_PjPS5_jNS1_19radix_merge_compareILb0ELb0EjNS0_19identity_decomposerEEEEE10hipError_tT0_T1_T2_jT3_P12ihipStream_tbPNSt15iterator_traitsISE_E10value_typeEPNSK_ISF_E10value_typeEPSG_NS1_7vsmem_tEENKUlT_SE_SF_SG_E_clIS8_S8_S9_S9_EESD_ST_SE_SF_SG_EUlST_E0_NS1_11comp_targetILNS1_3genE8ELNS1_11target_archE1030ELNS1_3gpuE2ELNS1_3repE0EEENS1_38merge_mergepath_config_static_selectorELNS0_4arch9wavefront6targetE1EEEvSF_,comdat
	.protected	_ZN7rocprim17ROCPRIM_400000_NS6detail17trampoline_kernelINS0_14default_configENS1_38merge_sort_block_merge_config_selectorIjNS0_10empty_typeEEEZZNS1_27merge_sort_block_merge_implIS3_PjPS5_jNS1_19radix_merge_compareILb0ELb0EjNS0_19identity_decomposerEEEEE10hipError_tT0_T1_T2_jT3_P12ihipStream_tbPNSt15iterator_traitsISE_E10value_typeEPNSK_ISF_E10value_typeEPSG_NS1_7vsmem_tEENKUlT_SE_SF_SG_E_clIS8_S8_S9_S9_EESD_ST_SE_SF_SG_EUlST_E0_NS1_11comp_targetILNS1_3genE8ELNS1_11target_archE1030ELNS1_3gpuE2ELNS1_3repE0EEENS1_38merge_mergepath_config_static_selectorELNS0_4arch9wavefront6targetE1EEEvSF_ ; -- Begin function _ZN7rocprim17ROCPRIM_400000_NS6detail17trampoline_kernelINS0_14default_configENS1_38merge_sort_block_merge_config_selectorIjNS0_10empty_typeEEEZZNS1_27merge_sort_block_merge_implIS3_PjPS5_jNS1_19radix_merge_compareILb0ELb0EjNS0_19identity_decomposerEEEEE10hipError_tT0_T1_T2_jT3_P12ihipStream_tbPNSt15iterator_traitsISE_E10value_typeEPNSK_ISF_E10value_typeEPSG_NS1_7vsmem_tEENKUlT_SE_SF_SG_E_clIS8_S8_S9_S9_EESD_ST_SE_SF_SG_EUlST_E0_NS1_11comp_targetILNS1_3genE8ELNS1_11target_archE1030ELNS1_3gpuE2ELNS1_3repE0EEENS1_38merge_mergepath_config_static_selectorELNS0_4arch9wavefront6targetE1EEEvSF_
	.globl	_ZN7rocprim17ROCPRIM_400000_NS6detail17trampoline_kernelINS0_14default_configENS1_38merge_sort_block_merge_config_selectorIjNS0_10empty_typeEEEZZNS1_27merge_sort_block_merge_implIS3_PjPS5_jNS1_19radix_merge_compareILb0ELb0EjNS0_19identity_decomposerEEEEE10hipError_tT0_T1_T2_jT3_P12ihipStream_tbPNSt15iterator_traitsISE_E10value_typeEPNSK_ISF_E10value_typeEPSG_NS1_7vsmem_tEENKUlT_SE_SF_SG_E_clIS8_S8_S9_S9_EESD_ST_SE_SF_SG_EUlST_E0_NS1_11comp_targetILNS1_3genE8ELNS1_11target_archE1030ELNS1_3gpuE2ELNS1_3repE0EEENS1_38merge_mergepath_config_static_selectorELNS0_4arch9wavefront6targetE1EEEvSF_
	.p2align	8
	.type	_ZN7rocprim17ROCPRIM_400000_NS6detail17trampoline_kernelINS0_14default_configENS1_38merge_sort_block_merge_config_selectorIjNS0_10empty_typeEEEZZNS1_27merge_sort_block_merge_implIS3_PjPS5_jNS1_19radix_merge_compareILb0ELb0EjNS0_19identity_decomposerEEEEE10hipError_tT0_T1_T2_jT3_P12ihipStream_tbPNSt15iterator_traitsISE_E10value_typeEPNSK_ISF_E10value_typeEPSG_NS1_7vsmem_tEENKUlT_SE_SF_SG_E_clIS8_S8_S9_S9_EESD_ST_SE_SF_SG_EUlST_E0_NS1_11comp_targetILNS1_3genE8ELNS1_11target_archE1030ELNS1_3gpuE2ELNS1_3repE0EEENS1_38merge_mergepath_config_static_selectorELNS0_4arch9wavefront6targetE1EEEvSF_,@function
_ZN7rocprim17ROCPRIM_400000_NS6detail17trampoline_kernelINS0_14default_configENS1_38merge_sort_block_merge_config_selectorIjNS0_10empty_typeEEEZZNS1_27merge_sort_block_merge_implIS3_PjPS5_jNS1_19radix_merge_compareILb0ELb0EjNS0_19identity_decomposerEEEEE10hipError_tT0_T1_T2_jT3_P12ihipStream_tbPNSt15iterator_traitsISE_E10value_typeEPNSK_ISF_E10value_typeEPSG_NS1_7vsmem_tEENKUlT_SE_SF_SG_E_clIS8_S8_S9_S9_EESD_ST_SE_SF_SG_EUlST_E0_NS1_11comp_targetILNS1_3genE8ELNS1_11target_archE1030ELNS1_3gpuE2ELNS1_3repE0EEENS1_38merge_mergepath_config_static_selectorELNS0_4arch9wavefront6targetE1EEEvSF_: ; @_ZN7rocprim17ROCPRIM_400000_NS6detail17trampoline_kernelINS0_14default_configENS1_38merge_sort_block_merge_config_selectorIjNS0_10empty_typeEEEZZNS1_27merge_sort_block_merge_implIS3_PjPS5_jNS1_19radix_merge_compareILb0ELb0EjNS0_19identity_decomposerEEEEE10hipError_tT0_T1_T2_jT3_P12ihipStream_tbPNSt15iterator_traitsISE_E10value_typeEPNSK_ISF_E10value_typeEPSG_NS1_7vsmem_tEENKUlT_SE_SF_SG_E_clIS8_S8_S9_S9_EESD_ST_SE_SF_SG_EUlST_E0_NS1_11comp_targetILNS1_3genE8ELNS1_11target_archE1030ELNS1_3gpuE2ELNS1_3repE0EEENS1_38merge_mergepath_config_static_selectorELNS0_4arch9wavefront6targetE1EEEvSF_
; %bb.0:
	.section	.rodata,"a",@progbits
	.p2align	6, 0x0
	.amdhsa_kernel _ZN7rocprim17ROCPRIM_400000_NS6detail17trampoline_kernelINS0_14default_configENS1_38merge_sort_block_merge_config_selectorIjNS0_10empty_typeEEEZZNS1_27merge_sort_block_merge_implIS3_PjPS5_jNS1_19radix_merge_compareILb0ELb0EjNS0_19identity_decomposerEEEEE10hipError_tT0_T1_T2_jT3_P12ihipStream_tbPNSt15iterator_traitsISE_E10value_typeEPNSK_ISF_E10value_typeEPSG_NS1_7vsmem_tEENKUlT_SE_SF_SG_E_clIS8_S8_S9_S9_EESD_ST_SE_SF_SG_EUlST_E0_NS1_11comp_targetILNS1_3genE8ELNS1_11target_archE1030ELNS1_3gpuE2ELNS1_3repE0EEENS1_38merge_mergepath_config_static_selectorELNS0_4arch9wavefront6targetE1EEEvSF_
		.amdhsa_group_segment_fixed_size 0
		.amdhsa_private_segment_fixed_size 0
		.amdhsa_kernarg_size 64
		.amdhsa_user_sgpr_count 6
		.amdhsa_user_sgpr_private_segment_buffer 1
		.amdhsa_user_sgpr_dispatch_ptr 0
		.amdhsa_user_sgpr_queue_ptr 0
		.amdhsa_user_sgpr_kernarg_segment_ptr 1
		.amdhsa_user_sgpr_dispatch_id 0
		.amdhsa_user_sgpr_flat_scratch_init 0
		.amdhsa_user_sgpr_kernarg_preload_length 0
		.amdhsa_user_sgpr_kernarg_preload_offset 0
		.amdhsa_user_sgpr_private_segment_size 0
		.amdhsa_uses_dynamic_stack 0
		.amdhsa_system_sgpr_private_segment_wavefront_offset 0
		.amdhsa_system_sgpr_workgroup_id_x 1
		.amdhsa_system_sgpr_workgroup_id_y 0
		.amdhsa_system_sgpr_workgroup_id_z 0
		.amdhsa_system_sgpr_workgroup_info 0
		.amdhsa_system_vgpr_workitem_id 0
		.amdhsa_next_free_vgpr 1
		.amdhsa_next_free_sgpr 0
		.amdhsa_accum_offset 4
		.amdhsa_reserve_vcc 0
		.amdhsa_reserve_flat_scratch 0
		.amdhsa_float_round_mode_32 0
		.amdhsa_float_round_mode_16_64 0
		.amdhsa_float_denorm_mode_32 3
		.amdhsa_float_denorm_mode_16_64 3
		.amdhsa_dx10_clamp 1
		.amdhsa_ieee_mode 1
		.amdhsa_fp16_overflow 0
		.amdhsa_tg_split 0
		.amdhsa_exception_fp_ieee_invalid_op 0
		.amdhsa_exception_fp_denorm_src 0
		.amdhsa_exception_fp_ieee_div_zero 0
		.amdhsa_exception_fp_ieee_overflow 0
		.amdhsa_exception_fp_ieee_underflow 0
		.amdhsa_exception_fp_ieee_inexact 0
		.amdhsa_exception_int_div_zero 0
	.end_amdhsa_kernel
	.section	.text._ZN7rocprim17ROCPRIM_400000_NS6detail17trampoline_kernelINS0_14default_configENS1_38merge_sort_block_merge_config_selectorIjNS0_10empty_typeEEEZZNS1_27merge_sort_block_merge_implIS3_PjPS5_jNS1_19radix_merge_compareILb0ELb0EjNS0_19identity_decomposerEEEEE10hipError_tT0_T1_T2_jT3_P12ihipStream_tbPNSt15iterator_traitsISE_E10value_typeEPNSK_ISF_E10value_typeEPSG_NS1_7vsmem_tEENKUlT_SE_SF_SG_E_clIS8_S8_S9_S9_EESD_ST_SE_SF_SG_EUlST_E0_NS1_11comp_targetILNS1_3genE8ELNS1_11target_archE1030ELNS1_3gpuE2ELNS1_3repE0EEENS1_38merge_mergepath_config_static_selectorELNS0_4arch9wavefront6targetE1EEEvSF_,"axG",@progbits,_ZN7rocprim17ROCPRIM_400000_NS6detail17trampoline_kernelINS0_14default_configENS1_38merge_sort_block_merge_config_selectorIjNS0_10empty_typeEEEZZNS1_27merge_sort_block_merge_implIS3_PjPS5_jNS1_19radix_merge_compareILb0ELb0EjNS0_19identity_decomposerEEEEE10hipError_tT0_T1_T2_jT3_P12ihipStream_tbPNSt15iterator_traitsISE_E10value_typeEPNSK_ISF_E10value_typeEPSG_NS1_7vsmem_tEENKUlT_SE_SF_SG_E_clIS8_S8_S9_S9_EESD_ST_SE_SF_SG_EUlST_E0_NS1_11comp_targetILNS1_3genE8ELNS1_11target_archE1030ELNS1_3gpuE2ELNS1_3repE0EEENS1_38merge_mergepath_config_static_selectorELNS0_4arch9wavefront6targetE1EEEvSF_,comdat
.Lfunc_end701:
	.size	_ZN7rocprim17ROCPRIM_400000_NS6detail17trampoline_kernelINS0_14default_configENS1_38merge_sort_block_merge_config_selectorIjNS0_10empty_typeEEEZZNS1_27merge_sort_block_merge_implIS3_PjPS5_jNS1_19radix_merge_compareILb0ELb0EjNS0_19identity_decomposerEEEEE10hipError_tT0_T1_T2_jT3_P12ihipStream_tbPNSt15iterator_traitsISE_E10value_typeEPNSK_ISF_E10value_typeEPSG_NS1_7vsmem_tEENKUlT_SE_SF_SG_E_clIS8_S8_S9_S9_EESD_ST_SE_SF_SG_EUlST_E0_NS1_11comp_targetILNS1_3genE8ELNS1_11target_archE1030ELNS1_3gpuE2ELNS1_3repE0EEENS1_38merge_mergepath_config_static_selectorELNS0_4arch9wavefront6targetE1EEEvSF_, .Lfunc_end701-_ZN7rocprim17ROCPRIM_400000_NS6detail17trampoline_kernelINS0_14default_configENS1_38merge_sort_block_merge_config_selectorIjNS0_10empty_typeEEEZZNS1_27merge_sort_block_merge_implIS3_PjPS5_jNS1_19radix_merge_compareILb0ELb0EjNS0_19identity_decomposerEEEEE10hipError_tT0_T1_T2_jT3_P12ihipStream_tbPNSt15iterator_traitsISE_E10value_typeEPNSK_ISF_E10value_typeEPSG_NS1_7vsmem_tEENKUlT_SE_SF_SG_E_clIS8_S8_S9_S9_EESD_ST_SE_SF_SG_EUlST_E0_NS1_11comp_targetILNS1_3genE8ELNS1_11target_archE1030ELNS1_3gpuE2ELNS1_3repE0EEENS1_38merge_mergepath_config_static_selectorELNS0_4arch9wavefront6targetE1EEEvSF_
                                        ; -- End function
	.section	.AMDGPU.csdata,"",@progbits
; Kernel info:
; codeLenInByte = 0
; NumSgprs: 4
; NumVgprs: 0
; NumAgprs: 0
; TotalNumVgprs: 0
; ScratchSize: 0
; MemoryBound: 0
; FloatMode: 240
; IeeeMode: 1
; LDSByteSize: 0 bytes/workgroup (compile time only)
; SGPRBlocks: 0
; VGPRBlocks: 0
; NumSGPRsForWavesPerEU: 4
; NumVGPRsForWavesPerEU: 1
; AccumOffset: 4
; Occupancy: 8
; WaveLimiterHint : 0
; COMPUTE_PGM_RSRC2:SCRATCH_EN: 0
; COMPUTE_PGM_RSRC2:USER_SGPR: 6
; COMPUTE_PGM_RSRC2:TRAP_HANDLER: 0
; COMPUTE_PGM_RSRC2:TGID_X_EN: 1
; COMPUTE_PGM_RSRC2:TGID_Y_EN: 0
; COMPUTE_PGM_RSRC2:TGID_Z_EN: 0
; COMPUTE_PGM_RSRC2:TIDIG_COMP_CNT: 0
; COMPUTE_PGM_RSRC3_GFX90A:ACCUM_OFFSET: 0
; COMPUTE_PGM_RSRC3_GFX90A:TG_SPLIT: 0
	.section	.text._ZN7rocprim17ROCPRIM_400000_NS6detail17trampoline_kernelINS0_14default_configENS1_38merge_sort_block_merge_config_selectorIjNS0_10empty_typeEEEZZNS1_27merge_sort_block_merge_implIS3_PjPS5_jNS1_19radix_merge_compareILb0ELb0EjNS0_19identity_decomposerEEEEE10hipError_tT0_T1_T2_jT3_P12ihipStream_tbPNSt15iterator_traitsISE_E10value_typeEPNSK_ISF_E10value_typeEPSG_NS1_7vsmem_tEENKUlT_SE_SF_SG_E_clIS8_S8_S9_S9_EESD_ST_SE_SF_SG_EUlST_E1_NS1_11comp_targetILNS1_3genE0ELNS1_11target_archE4294967295ELNS1_3gpuE0ELNS1_3repE0EEENS1_36merge_oddeven_config_static_selectorELNS0_4arch9wavefront6targetE1EEEvSF_,"axG",@progbits,_ZN7rocprim17ROCPRIM_400000_NS6detail17trampoline_kernelINS0_14default_configENS1_38merge_sort_block_merge_config_selectorIjNS0_10empty_typeEEEZZNS1_27merge_sort_block_merge_implIS3_PjPS5_jNS1_19radix_merge_compareILb0ELb0EjNS0_19identity_decomposerEEEEE10hipError_tT0_T1_T2_jT3_P12ihipStream_tbPNSt15iterator_traitsISE_E10value_typeEPNSK_ISF_E10value_typeEPSG_NS1_7vsmem_tEENKUlT_SE_SF_SG_E_clIS8_S8_S9_S9_EESD_ST_SE_SF_SG_EUlST_E1_NS1_11comp_targetILNS1_3genE0ELNS1_11target_archE4294967295ELNS1_3gpuE0ELNS1_3repE0EEENS1_36merge_oddeven_config_static_selectorELNS0_4arch9wavefront6targetE1EEEvSF_,comdat
	.protected	_ZN7rocprim17ROCPRIM_400000_NS6detail17trampoline_kernelINS0_14default_configENS1_38merge_sort_block_merge_config_selectorIjNS0_10empty_typeEEEZZNS1_27merge_sort_block_merge_implIS3_PjPS5_jNS1_19radix_merge_compareILb0ELb0EjNS0_19identity_decomposerEEEEE10hipError_tT0_T1_T2_jT3_P12ihipStream_tbPNSt15iterator_traitsISE_E10value_typeEPNSK_ISF_E10value_typeEPSG_NS1_7vsmem_tEENKUlT_SE_SF_SG_E_clIS8_S8_S9_S9_EESD_ST_SE_SF_SG_EUlST_E1_NS1_11comp_targetILNS1_3genE0ELNS1_11target_archE4294967295ELNS1_3gpuE0ELNS1_3repE0EEENS1_36merge_oddeven_config_static_selectorELNS0_4arch9wavefront6targetE1EEEvSF_ ; -- Begin function _ZN7rocprim17ROCPRIM_400000_NS6detail17trampoline_kernelINS0_14default_configENS1_38merge_sort_block_merge_config_selectorIjNS0_10empty_typeEEEZZNS1_27merge_sort_block_merge_implIS3_PjPS5_jNS1_19radix_merge_compareILb0ELb0EjNS0_19identity_decomposerEEEEE10hipError_tT0_T1_T2_jT3_P12ihipStream_tbPNSt15iterator_traitsISE_E10value_typeEPNSK_ISF_E10value_typeEPSG_NS1_7vsmem_tEENKUlT_SE_SF_SG_E_clIS8_S8_S9_S9_EESD_ST_SE_SF_SG_EUlST_E1_NS1_11comp_targetILNS1_3genE0ELNS1_11target_archE4294967295ELNS1_3gpuE0ELNS1_3repE0EEENS1_36merge_oddeven_config_static_selectorELNS0_4arch9wavefront6targetE1EEEvSF_
	.globl	_ZN7rocprim17ROCPRIM_400000_NS6detail17trampoline_kernelINS0_14default_configENS1_38merge_sort_block_merge_config_selectorIjNS0_10empty_typeEEEZZNS1_27merge_sort_block_merge_implIS3_PjPS5_jNS1_19radix_merge_compareILb0ELb0EjNS0_19identity_decomposerEEEEE10hipError_tT0_T1_T2_jT3_P12ihipStream_tbPNSt15iterator_traitsISE_E10value_typeEPNSK_ISF_E10value_typeEPSG_NS1_7vsmem_tEENKUlT_SE_SF_SG_E_clIS8_S8_S9_S9_EESD_ST_SE_SF_SG_EUlST_E1_NS1_11comp_targetILNS1_3genE0ELNS1_11target_archE4294967295ELNS1_3gpuE0ELNS1_3repE0EEENS1_36merge_oddeven_config_static_selectorELNS0_4arch9wavefront6targetE1EEEvSF_
	.p2align	8
	.type	_ZN7rocprim17ROCPRIM_400000_NS6detail17trampoline_kernelINS0_14default_configENS1_38merge_sort_block_merge_config_selectorIjNS0_10empty_typeEEEZZNS1_27merge_sort_block_merge_implIS3_PjPS5_jNS1_19radix_merge_compareILb0ELb0EjNS0_19identity_decomposerEEEEE10hipError_tT0_T1_T2_jT3_P12ihipStream_tbPNSt15iterator_traitsISE_E10value_typeEPNSK_ISF_E10value_typeEPSG_NS1_7vsmem_tEENKUlT_SE_SF_SG_E_clIS8_S8_S9_S9_EESD_ST_SE_SF_SG_EUlST_E1_NS1_11comp_targetILNS1_3genE0ELNS1_11target_archE4294967295ELNS1_3gpuE0ELNS1_3repE0EEENS1_36merge_oddeven_config_static_selectorELNS0_4arch9wavefront6targetE1EEEvSF_,@function
_ZN7rocprim17ROCPRIM_400000_NS6detail17trampoline_kernelINS0_14default_configENS1_38merge_sort_block_merge_config_selectorIjNS0_10empty_typeEEEZZNS1_27merge_sort_block_merge_implIS3_PjPS5_jNS1_19radix_merge_compareILb0ELb0EjNS0_19identity_decomposerEEEEE10hipError_tT0_T1_T2_jT3_P12ihipStream_tbPNSt15iterator_traitsISE_E10value_typeEPNSK_ISF_E10value_typeEPSG_NS1_7vsmem_tEENKUlT_SE_SF_SG_E_clIS8_S8_S9_S9_EESD_ST_SE_SF_SG_EUlST_E1_NS1_11comp_targetILNS1_3genE0ELNS1_11target_archE4294967295ELNS1_3gpuE0ELNS1_3repE0EEENS1_36merge_oddeven_config_static_selectorELNS0_4arch9wavefront6targetE1EEEvSF_: ; @_ZN7rocprim17ROCPRIM_400000_NS6detail17trampoline_kernelINS0_14default_configENS1_38merge_sort_block_merge_config_selectorIjNS0_10empty_typeEEEZZNS1_27merge_sort_block_merge_implIS3_PjPS5_jNS1_19radix_merge_compareILb0ELb0EjNS0_19identity_decomposerEEEEE10hipError_tT0_T1_T2_jT3_P12ihipStream_tbPNSt15iterator_traitsISE_E10value_typeEPNSK_ISF_E10value_typeEPSG_NS1_7vsmem_tEENKUlT_SE_SF_SG_E_clIS8_S8_S9_S9_EESD_ST_SE_SF_SG_EUlST_E1_NS1_11comp_targetILNS1_3genE0ELNS1_11target_archE4294967295ELNS1_3gpuE0ELNS1_3repE0EEENS1_36merge_oddeven_config_static_selectorELNS0_4arch9wavefront6targetE1EEEvSF_
; %bb.0:
	.section	.rodata,"a",@progbits
	.p2align	6, 0x0
	.amdhsa_kernel _ZN7rocprim17ROCPRIM_400000_NS6detail17trampoline_kernelINS0_14default_configENS1_38merge_sort_block_merge_config_selectorIjNS0_10empty_typeEEEZZNS1_27merge_sort_block_merge_implIS3_PjPS5_jNS1_19radix_merge_compareILb0ELb0EjNS0_19identity_decomposerEEEEE10hipError_tT0_T1_T2_jT3_P12ihipStream_tbPNSt15iterator_traitsISE_E10value_typeEPNSK_ISF_E10value_typeEPSG_NS1_7vsmem_tEENKUlT_SE_SF_SG_E_clIS8_S8_S9_S9_EESD_ST_SE_SF_SG_EUlST_E1_NS1_11comp_targetILNS1_3genE0ELNS1_11target_archE4294967295ELNS1_3gpuE0ELNS1_3repE0EEENS1_36merge_oddeven_config_static_selectorELNS0_4arch9wavefront6targetE1EEEvSF_
		.amdhsa_group_segment_fixed_size 0
		.amdhsa_private_segment_fixed_size 0
		.amdhsa_kernarg_size 48
		.amdhsa_user_sgpr_count 6
		.amdhsa_user_sgpr_private_segment_buffer 1
		.amdhsa_user_sgpr_dispatch_ptr 0
		.amdhsa_user_sgpr_queue_ptr 0
		.amdhsa_user_sgpr_kernarg_segment_ptr 1
		.amdhsa_user_sgpr_dispatch_id 0
		.amdhsa_user_sgpr_flat_scratch_init 0
		.amdhsa_user_sgpr_kernarg_preload_length 0
		.amdhsa_user_sgpr_kernarg_preload_offset 0
		.amdhsa_user_sgpr_private_segment_size 0
		.amdhsa_uses_dynamic_stack 0
		.amdhsa_system_sgpr_private_segment_wavefront_offset 0
		.amdhsa_system_sgpr_workgroup_id_x 1
		.amdhsa_system_sgpr_workgroup_id_y 0
		.amdhsa_system_sgpr_workgroup_id_z 0
		.amdhsa_system_sgpr_workgroup_info 0
		.amdhsa_system_vgpr_workitem_id 0
		.amdhsa_next_free_vgpr 1
		.amdhsa_next_free_sgpr 0
		.amdhsa_accum_offset 4
		.amdhsa_reserve_vcc 0
		.amdhsa_reserve_flat_scratch 0
		.amdhsa_float_round_mode_32 0
		.amdhsa_float_round_mode_16_64 0
		.amdhsa_float_denorm_mode_32 3
		.amdhsa_float_denorm_mode_16_64 3
		.amdhsa_dx10_clamp 1
		.amdhsa_ieee_mode 1
		.amdhsa_fp16_overflow 0
		.amdhsa_tg_split 0
		.amdhsa_exception_fp_ieee_invalid_op 0
		.amdhsa_exception_fp_denorm_src 0
		.amdhsa_exception_fp_ieee_div_zero 0
		.amdhsa_exception_fp_ieee_overflow 0
		.amdhsa_exception_fp_ieee_underflow 0
		.amdhsa_exception_fp_ieee_inexact 0
		.amdhsa_exception_int_div_zero 0
	.end_amdhsa_kernel
	.section	.text._ZN7rocprim17ROCPRIM_400000_NS6detail17trampoline_kernelINS0_14default_configENS1_38merge_sort_block_merge_config_selectorIjNS0_10empty_typeEEEZZNS1_27merge_sort_block_merge_implIS3_PjPS5_jNS1_19radix_merge_compareILb0ELb0EjNS0_19identity_decomposerEEEEE10hipError_tT0_T1_T2_jT3_P12ihipStream_tbPNSt15iterator_traitsISE_E10value_typeEPNSK_ISF_E10value_typeEPSG_NS1_7vsmem_tEENKUlT_SE_SF_SG_E_clIS8_S8_S9_S9_EESD_ST_SE_SF_SG_EUlST_E1_NS1_11comp_targetILNS1_3genE0ELNS1_11target_archE4294967295ELNS1_3gpuE0ELNS1_3repE0EEENS1_36merge_oddeven_config_static_selectorELNS0_4arch9wavefront6targetE1EEEvSF_,"axG",@progbits,_ZN7rocprim17ROCPRIM_400000_NS6detail17trampoline_kernelINS0_14default_configENS1_38merge_sort_block_merge_config_selectorIjNS0_10empty_typeEEEZZNS1_27merge_sort_block_merge_implIS3_PjPS5_jNS1_19radix_merge_compareILb0ELb0EjNS0_19identity_decomposerEEEEE10hipError_tT0_T1_T2_jT3_P12ihipStream_tbPNSt15iterator_traitsISE_E10value_typeEPNSK_ISF_E10value_typeEPSG_NS1_7vsmem_tEENKUlT_SE_SF_SG_E_clIS8_S8_S9_S9_EESD_ST_SE_SF_SG_EUlST_E1_NS1_11comp_targetILNS1_3genE0ELNS1_11target_archE4294967295ELNS1_3gpuE0ELNS1_3repE0EEENS1_36merge_oddeven_config_static_selectorELNS0_4arch9wavefront6targetE1EEEvSF_,comdat
.Lfunc_end702:
	.size	_ZN7rocprim17ROCPRIM_400000_NS6detail17trampoline_kernelINS0_14default_configENS1_38merge_sort_block_merge_config_selectorIjNS0_10empty_typeEEEZZNS1_27merge_sort_block_merge_implIS3_PjPS5_jNS1_19radix_merge_compareILb0ELb0EjNS0_19identity_decomposerEEEEE10hipError_tT0_T1_T2_jT3_P12ihipStream_tbPNSt15iterator_traitsISE_E10value_typeEPNSK_ISF_E10value_typeEPSG_NS1_7vsmem_tEENKUlT_SE_SF_SG_E_clIS8_S8_S9_S9_EESD_ST_SE_SF_SG_EUlST_E1_NS1_11comp_targetILNS1_3genE0ELNS1_11target_archE4294967295ELNS1_3gpuE0ELNS1_3repE0EEENS1_36merge_oddeven_config_static_selectorELNS0_4arch9wavefront6targetE1EEEvSF_, .Lfunc_end702-_ZN7rocprim17ROCPRIM_400000_NS6detail17trampoline_kernelINS0_14default_configENS1_38merge_sort_block_merge_config_selectorIjNS0_10empty_typeEEEZZNS1_27merge_sort_block_merge_implIS3_PjPS5_jNS1_19radix_merge_compareILb0ELb0EjNS0_19identity_decomposerEEEEE10hipError_tT0_T1_T2_jT3_P12ihipStream_tbPNSt15iterator_traitsISE_E10value_typeEPNSK_ISF_E10value_typeEPSG_NS1_7vsmem_tEENKUlT_SE_SF_SG_E_clIS8_S8_S9_S9_EESD_ST_SE_SF_SG_EUlST_E1_NS1_11comp_targetILNS1_3genE0ELNS1_11target_archE4294967295ELNS1_3gpuE0ELNS1_3repE0EEENS1_36merge_oddeven_config_static_selectorELNS0_4arch9wavefront6targetE1EEEvSF_
                                        ; -- End function
	.section	.AMDGPU.csdata,"",@progbits
; Kernel info:
; codeLenInByte = 0
; NumSgprs: 4
; NumVgprs: 0
; NumAgprs: 0
; TotalNumVgprs: 0
; ScratchSize: 0
; MemoryBound: 0
; FloatMode: 240
; IeeeMode: 1
; LDSByteSize: 0 bytes/workgroup (compile time only)
; SGPRBlocks: 0
; VGPRBlocks: 0
; NumSGPRsForWavesPerEU: 4
; NumVGPRsForWavesPerEU: 1
; AccumOffset: 4
; Occupancy: 8
; WaveLimiterHint : 0
; COMPUTE_PGM_RSRC2:SCRATCH_EN: 0
; COMPUTE_PGM_RSRC2:USER_SGPR: 6
; COMPUTE_PGM_RSRC2:TRAP_HANDLER: 0
; COMPUTE_PGM_RSRC2:TGID_X_EN: 1
; COMPUTE_PGM_RSRC2:TGID_Y_EN: 0
; COMPUTE_PGM_RSRC2:TGID_Z_EN: 0
; COMPUTE_PGM_RSRC2:TIDIG_COMP_CNT: 0
; COMPUTE_PGM_RSRC3_GFX90A:ACCUM_OFFSET: 0
; COMPUTE_PGM_RSRC3_GFX90A:TG_SPLIT: 0
	.section	.text._ZN7rocprim17ROCPRIM_400000_NS6detail17trampoline_kernelINS0_14default_configENS1_38merge_sort_block_merge_config_selectorIjNS0_10empty_typeEEEZZNS1_27merge_sort_block_merge_implIS3_PjPS5_jNS1_19radix_merge_compareILb0ELb0EjNS0_19identity_decomposerEEEEE10hipError_tT0_T1_T2_jT3_P12ihipStream_tbPNSt15iterator_traitsISE_E10value_typeEPNSK_ISF_E10value_typeEPSG_NS1_7vsmem_tEENKUlT_SE_SF_SG_E_clIS8_S8_S9_S9_EESD_ST_SE_SF_SG_EUlST_E1_NS1_11comp_targetILNS1_3genE10ELNS1_11target_archE1201ELNS1_3gpuE5ELNS1_3repE0EEENS1_36merge_oddeven_config_static_selectorELNS0_4arch9wavefront6targetE1EEEvSF_,"axG",@progbits,_ZN7rocprim17ROCPRIM_400000_NS6detail17trampoline_kernelINS0_14default_configENS1_38merge_sort_block_merge_config_selectorIjNS0_10empty_typeEEEZZNS1_27merge_sort_block_merge_implIS3_PjPS5_jNS1_19radix_merge_compareILb0ELb0EjNS0_19identity_decomposerEEEEE10hipError_tT0_T1_T2_jT3_P12ihipStream_tbPNSt15iterator_traitsISE_E10value_typeEPNSK_ISF_E10value_typeEPSG_NS1_7vsmem_tEENKUlT_SE_SF_SG_E_clIS8_S8_S9_S9_EESD_ST_SE_SF_SG_EUlST_E1_NS1_11comp_targetILNS1_3genE10ELNS1_11target_archE1201ELNS1_3gpuE5ELNS1_3repE0EEENS1_36merge_oddeven_config_static_selectorELNS0_4arch9wavefront6targetE1EEEvSF_,comdat
	.protected	_ZN7rocprim17ROCPRIM_400000_NS6detail17trampoline_kernelINS0_14default_configENS1_38merge_sort_block_merge_config_selectorIjNS0_10empty_typeEEEZZNS1_27merge_sort_block_merge_implIS3_PjPS5_jNS1_19radix_merge_compareILb0ELb0EjNS0_19identity_decomposerEEEEE10hipError_tT0_T1_T2_jT3_P12ihipStream_tbPNSt15iterator_traitsISE_E10value_typeEPNSK_ISF_E10value_typeEPSG_NS1_7vsmem_tEENKUlT_SE_SF_SG_E_clIS8_S8_S9_S9_EESD_ST_SE_SF_SG_EUlST_E1_NS1_11comp_targetILNS1_3genE10ELNS1_11target_archE1201ELNS1_3gpuE5ELNS1_3repE0EEENS1_36merge_oddeven_config_static_selectorELNS0_4arch9wavefront6targetE1EEEvSF_ ; -- Begin function _ZN7rocprim17ROCPRIM_400000_NS6detail17trampoline_kernelINS0_14default_configENS1_38merge_sort_block_merge_config_selectorIjNS0_10empty_typeEEEZZNS1_27merge_sort_block_merge_implIS3_PjPS5_jNS1_19radix_merge_compareILb0ELb0EjNS0_19identity_decomposerEEEEE10hipError_tT0_T1_T2_jT3_P12ihipStream_tbPNSt15iterator_traitsISE_E10value_typeEPNSK_ISF_E10value_typeEPSG_NS1_7vsmem_tEENKUlT_SE_SF_SG_E_clIS8_S8_S9_S9_EESD_ST_SE_SF_SG_EUlST_E1_NS1_11comp_targetILNS1_3genE10ELNS1_11target_archE1201ELNS1_3gpuE5ELNS1_3repE0EEENS1_36merge_oddeven_config_static_selectorELNS0_4arch9wavefront6targetE1EEEvSF_
	.globl	_ZN7rocprim17ROCPRIM_400000_NS6detail17trampoline_kernelINS0_14default_configENS1_38merge_sort_block_merge_config_selectorIjNS0_10empty_typeEEEZZNS1_27merge_sort_block_merge_implIS3_PjPS5_jNS1_19radix_merge_compareILb0ELb0EjNS0_19identity_decomposerEEEEE10hipError_tT0_T1_T2_jT3_P12ihipStream_tbPNSt15iterator_traitsISE_E10value_typeEPNSK_ISF_E10value_typeEPSG_NS1_7vsmem_tEENKUlT_SE_SF_SG_E_clIS8_S8_S9_S9_EESD_ST_SE_SF_SG_EUlST_E1_NS1_11comp_targetILNS1_3genE10ELNS1_11target_archE1201ELNS1_3gpuE5ELNS1_3repE0EEENS1_36merge_oddeven_config_static_selectorELNS0_4arch9wavefront6targetE1EEEvSF_
	.p2align	8
	.type	_ZN7rocprim17ROCPRIM_400000_NS6detail17trampoline_kernelINS0_14default_configENS1_38merge_sort_block_merge_config_selectorIjNS0_10empty_typeEEEZZNS1_27merge_sort_block_merge_implIS3_PjPS5_jNS1_19radix_merge_compareILb0ELb0EjNS0_19identity_decomposerEEEEE10hipError_tT0_T1_T2_jT3_P12ihipStream_tbPNSt15iterator_traitsISE_E10value_typeEPNSK_ISF_E10value_typeEPSG_NS1_7vsmem_tEENKUlT_SE_SF_SG_E_clIS8_S8_S9_S9_EESD_ST_SE_SF_SG_EUlST_E1_NS1_11comp_targetILNS1_3genE10ELNS1_11target_archE1201ELNS1_3gpuE5ELNS1_3repE0EEENS1_36merge_oddeven_config_static_selectorELNS0_4arch9wavefront6targetE1EEEvSF_,@function
_ZN7rocprim17ROCPRIM_400000_NS6detail17trampoline_kernelINS0_14default_configENS1_38merge_sort_block_merge_config_selectorIjNS0_10empty_typeEEEZZNS1_27merge_sort_block_merge_implIS3_PjPS5_jNS1_19radix_merge_compareILb0ELb0EjNS0_19identity_decomposerEEEEE10hipError_tT0_T1_T2_jT3_P12ihipStream_tbPNSt15iterator_traitsISE_E10value_typeEPNSK_ISF_E10value_typeEPSG_NS1_7vsmem_tEENKUlT_SE_SF_SG_E_clIS8_S8_S9_S9_EESD_ST_SE_SF_SG_EUlST_E1_NS1_11comp_targetILNS1_3genE10ELNS1_11target_archE1201ELNS1_3gpuE5ELNS1_3repE0EEENS1_36merge_oddeven_config_static_selectorELNS0_4arch9wavefront6targetE1EEEvSF_: ; @_ZN7rocprim17ROCPRIM_400000_NS6detail17trampoline_kernelINS0_14default_configENS1_38merge_sort_block_merge_config_selectorIjNS0_10empty_typeEEEZZNS1_27merge_sort_block_merge_implIS3_PjPS5_jNS1_19radix_merge_compareILb0ELb0EjNS0_19identity_decomposerEEEEE10hipError_tT0_T1_T2_jT3_P12ihipStream_tbPNSt15iterator_traitsISE_E10value_typeEPNSK_ISF_E10value_typeEPSG_NS1_7vsmem_tEENKUlT_SE_SF_SG_E_clIS8_S8_S9_S9_EESD_ST_SE_SF_SG_EUlST_E1_NS1_11comp_targetILNS1_3genE10ELNS1_11target_archE1201ELNS1_3gpuE5ELNS1_3repE0EEENS1_36merge_oddeven_config_static_selectorELNS0_4arch9wavefront6targetE1EEEvSF_
; %bb.0:
	.section	.rodata,"a",@progbits
	.p2align	6, 0x0
	.amdhsa_kernel _ZN7rocprim17ROCPRIM_400000_NS6detail17trampoline_kernelINS0_14default_configENS1_38merge_sort_block_merge_config_selectorIjNS0_10empty_typeEEEZZNS1_27merge_sort_block_merge_implIS3_PjPS5_jNS1_19radix_merge_compareILb0ELb0EjNS0_19identity_decomposerEEEEE10hipError_tT0_T1_T2_jT3_P12ihipStream_tbPNSt15iterator_traitsISE_E10value_typeEPNSK_ISF_E10value_typeEPSG_NS1_7vsmem_tEENKUlT_SE_SF_SG_E_clIS8_S8_S9_S9_EESD_ST_SE_SF_SG_EUlST_E1_NS1_11comp_targetILNS1_3genE10ELNS1_11target_archE1201ELNS1_3gpuE5ELNS1_3repE0EEENS1_36merge_oddeven_config_static_selectorELNS0_4arch9wavefront6targetE1EEEvSF_
		.amdhsa_group_segment_fixed_size 0
		.amdhsa_private_segment_fixed_size 0
		.amdhsa_kernarg_size 48
		.amdhsa_user_sgpr_count 6
		.amdhsa_user_sgpr_private_segment_buffer 1
		.amdhsa_user_sgpr_dispatch_ptr 0
		.amdhsa_user_sgpr_queue_ptr 0
		.amdhsa_user_sgpr_kernarg_segment_ptr 1
		.amdhsa_user_sgpr_dispatch_id 0
		.amdhsa_user_sgpr_flat_scratch_init 0
		.amdhsa_user_sgpr_kernarg_preload_length 0
		.amdhsa_user_sgpr_kernarg_preload_offset 0
		.amdhsa_user_sgpr_private_segment_size 0
		.amdhsa_uses_dynamic_stack 0
		.amdhsa_system_sgpr_private_segment_wavefront_offset 0
		.amdhsa_system_sgpr_workgroup_id_x 1
		.amdhsa_system_sgpr_workgroup_id_y 0
		.amdhsa_system_sgpr_workgroup_id_z 0
		.amdhsa_system_sgpr_workgroup_info 0
		.amdhsa_system_vgpr_workitem_id 0
		.amdhsa_next_free_vgpr 1
		.amdhsa_next_free_sgpr 0
		.amdhsa_accum_offset 4
		.amdhsa_reserve_vcc 0
		.amdhsa_reserve_flat_scratch 0
		.amdhsa_float_round_mode_32 0
		.amdhsa_float_round_mode_16_64 0
		.amdhsa_float_denorm_mode_32 3
		.amdhsa_float_denorm_mode_16_64 3
		.amdhsa_dx10_clamp 1
		.amdhsa_ieee_mode 1
		.amdhsa_fp16_overflow 0
		.amdhsa_tg_split 0
		.amdhsa_exception_fp_ieee_invalid_op 0
		.amdhsa_exception_fp_denorm_src 0
		.amdhsa_exception_fp_ieee_div_zero 0
		.amdhsa_exception_fp_ieee_overflow 0
		.amdhsa_exception_fp_ieee_underflow 0
		.amdhsa_exception_fp_ieee_inexact 0
		.amdhsa_exception_int_div_zero 0
	.end_amdhsa_kernel
	.section	.text._ZN7rocprim17ROCPRIM_400000_NS6detail17trampoline_kernelINS0_14default_configENS1_38merge_sort_block_merge_config_selectorIjNS0_10empty_typeEEEZZNS1_27merge_sort_block_merge_implIS3_PjPS5_jNS1_19radix_merge_compareILb0ELb0EjNS0_19identity_decomposerEEEEE10hipError_tT0_T1_T2_jT3_P12ihipStream_tbPNSt15iterator_traitsISE_E10value_typeEPNSK_ISF_E10value_typeEPSG_NS1_7vsmem_tEENKUlT_SE_SF_SG_E_clIS8_S8_S9_S9_EESD_ST_SE_SF_SG_EUlST_E1_NS1_11comp_targetILNS1_3genE10ELNS1_11target_archE1201ELNS1_3gpuE5ELNS1_3repE0EEENS1_36merge_oddeven_config_static_selectorELNS0_4arch9wavefront6targetE1EEEvSF_,"axG",@progbits,_ZN7rocprim17ROCPRIM_400000_NS6detail17trampoline_kernelINS0_14default_configENS1_38merge_sort_block_merge_config_selectorIjNS0_10empty_typeEEEZZNS1_27merge_sort_block_merge_implIS3_PjPS5_jNS1_19radix_merge_compareILb0ELb0EjNS0_19identity_decomposerEEEEE10hipError_tT0_T1_T2_jT3_P12ihipStream_tbPNSt15iterator_traitsISE_E10value_typeEPNSK_ISF_E10value_typeEPSG_NS1_7vsmem_tEENKUlT_SE_SF_SG_E_clIS8_S8_S9_S9_EESD_ST_SE_SF_SG_EUlST_E1_NS1_11comp_targetILNS1_3genE10ELNS1_11target_archE1201ELNS1_3gpuE5ELNS1_3repE0EEENS1_36merge_oddeven_config_static_selectorELNS0_4arch9wavefront6targetE1EEEvSF_,comdat
.Lfunc_end703:
	.size	_ZN7rocprim17ROCPRIM_400000_NS6detail17trampoline_kernelINS0_14default_configENS1_38merge_sort_block_merge_config_selectorIjNS0_10empty_typeEEEZZNS1_27merge_sort_block_merge_implIS3_PjPS5_jNS1_19radix_merge_compareILb0ELb0EjNS0_19identity_decomposerEEEEE10hipError_tT0_T1_T2_jT3_P12ihipStream_tbPNSt15iterator_traitsISE_E10value_typeEPNSK_ISF_E10value_typeEPSG_NS1_7vsmem_tEENKUlT_SE_SF_SG_E_clIS8_S8_S9_S9_EESD_ST_SE_SF_SG_EUlST_E1_NS1_11comp_targetILNS1_3genE10ELNS1_11target_archE1201ELNS1_3gpuE5ELNS1_3repE0EEENS1_36merge_oddeven_config_static_selectorELNS0_4arch9wavefront6targetE1EEEvSF_, .Lfunc_end703-_ZN7rocprim17ROCPRIM_400000_NS6detail17trampoline_kernelINS0_14default_configENS1_38merge_sort_block_merge_config_selectorIjNS0_10empty_typeEEEZZNS1_27merge_sort_block_merge_implIS3_PjPS5_jNS1_19radix_merge_compareILb0ELb0EjNS0_19identity_decomposerEEEEE10hipError_tT0_T1_T2_jT3_P12ihipStream_tbPNSt15iterator_traitsISE_E10value_typeEPNSK_ISF_E10value_typeEPSG_NS1_7vsmem_tEENKUlT_SE_SF_SG_E_clIS8_S8_S9_S9_EESD_ST_SE_SF_SG_EUlST_E1_NS1_11comp_targetILNS1_3genE10ELNS1_11target_archE1201ELNS1_3gpuE5ELNS1_3repE0EEENS1_36merge_oddeven_config_static_selectorELNS0_4arch9wavefront6targetE1EEEvSF_
                                        ; -- End function
	.section	.AMDGPU.csdata,"",@progbits
; Kernel info:
; codeLenInByte = 0
; NumSgprs: 4
; NumVgprs: 0
; NumAgprs: 0
; TotalNumVgprs: 0
; ScratchSize: 0
; MemoryBound: 0
; FloatMode: 240
; IeeeMode: 1
; LDSByteSize: 0 bytes/workgroup (compile time only)
; SGPRBlocks: 0
; VGPRBlocks: 0
; NumSGPRsForWavesPerEU: 4
; NumVGPRsForWavesPerEU: 1
; AccumOffset: 4
; Occupancy: 8
; WaveLimiterHint : 0
; COMPUTE_PGM_RSRC2:SCRATCH_EN: 0
; COMPUTE_PGM_RSRC2:USER_SGPR: 6
; COMPUTE_PGM_RSRC2:TRAP_HANDLER: 0
; COMPUTE_PGM_RSRC2:TGID_X_EN: 1
; COMPUTE_PGM_RSRC2:TGID_Y_EN: 0
; COMPUTE_PGM_RSRC2:TGID_Z_EN: 0
; COMPUTE_PGM_RSRC2:TIDIG_COMP_CNT: 0
; COMPUTE_PGM_RSRC3_GFX90A:ACCUM_OFFSET: 0
; COMPUTE_PGM_RSRC3_GFX90A:TG_SPLIT: 0
	.section	.text._ZN7rocprim17ROCPRIM_400000_NS6detail17trampoline_kernelINS0_14default_configENS1_38merge_sort_block_merge_config_selectorIjNS0_10empty_typeEEEZZNS1_27merge_sort_block_merge_implIS3_PjPS5_jNS1_19radix_merge_compareILb0ELb0EjNS0_19identity_decomposerEEEEE10hipError_tT0_T1_T2_jT3_P12ihipStream_tbPNSt15iterator_traitsISE_E10value_typeEPNSK_ISF_E10value_typeEPSG_NS1_7vsmem_tEENKUlT_SE_SF_SG_E_clIS8_S8_S9_S9_EESD_ST_SE_SF_SG_EUlST_E1_NS1_11comp_targetILNS1_3genE5ELNS1_11target_archE942ELNS1_3gpuE9ELNS1_3repE0EEENS1_36merge_oddeven_config_static_selectorELNS0_4arch9wavefront6targetE1EEEvSF_,"axG",@progbits,_ZN7rocprim17ROCPRIM_400000_NS6detail17trampoline_kernelINS0_14default_configENS1_38merge_sort_block_merge_config_selectorIjNS0_10empty_typeEEEZZNS1_27merge_sort_block_merge_implIS3_PjPS5_jNS1_19radix_merge_compareILb0ELb0EjNS0_19identity_decomposerEEEEE10hipError_tT0_T1_T2_jT3_P12ihipStream_tbPNSt15iterator_traitsISE_E10value_typeEPNSK_ISF_E10value_typeEPSG_NS1_7vsmem_tEENKUlT_SE_SF_SG_E_clIS8_S8_S9_S9_EESD_ST_SE_SF_SG_EUlST_E1_NS1_11comp_targetILNS1_3genE5ELNS1_11target_archE942ELNS1_3gpuE9ELNS1_3repE0EEENS1_36merge_oddeven_config_static_selectorELNS0_4arch9wavefront6targetE1EEEvSF_,comdat
	.protected	_ZN7rocprim17ROCPRIM_400000_NS6detail17trampoline_kernelINS0_14default_configENS1_38merge_sort_block_merge_config_selectorIjNS0_10empty_typeEEEZZNS1_27merge_sort_block_merge_implIS3_PjPS5_jNS1_19radix_merge_compareILb0ELb0EjNS0_19identity_decomposerEEEEE10hipError_tT0_T1_T2_jT3_P12ihipStream_tbPNSt15iterator_traitsISE_E10value_typeEPNSK_ISF_E10value_typeEPSG_NS1_7vsmem_tEENKUlT_SE_SF_SG_E_clIS8_S8_S9_S9_EESD_ST_SE_SF_SG_EUlST_E1_NS1_11comp_targetILNS1_3genE5ELNS1_11target_archE942ELNS1_3gpuE9ELNS1_3repE0EEENS1_36merge_oddeven_config_static_selectorELNS0_4arch9wavefront6targetE1EEEvSF_ ; -- Begin function _ZN7rocprim17ROCPRIM_400000_NS6detail17trampoline_kernelINS0_14default_configENS1_38merge_sort_block_merge_config_selectorIjNS0_10empty_typeEEEZZNS1_27merge_sort_block_merge_implIS3_PjPS5_jNS1_19radix_merge_compareILb0ELb0EjNS0_19identity_decomposerEEEEE10hipError_tT0_T1_T2_jT3_P12ihipStream_tbPNSt15iterator_traitsISE_E10value_typeEPNSK_ISF_E10value_typeEPSG_NS1_7vsmem_tEENKUlT_SE_SF_SG_E_clIS8_S8_S9_S9_EESD_ST_SE_SF_SG_EUlST_E1_NS1_11comp_targetILNS1_3genE5ELNS1_11target_archE942ELNS1_3gpuE9ELNS1_3repE0EEENS1_36merge_oddeven_config_static_selectorELNS0_4arch9wavefront6targetE1EEEvSF_
	.globl	_ZN7rocprim17ROCPRIM_400000_NS6detail17trampoline_kernelINS0_14default_configENS1_38merge_sort_block_merge_config_selectorIjNS0_10empty_typeEEEZZNS1_27merge_sort_block_merge_implIS3_PjPS5_jNS1_19radix_merge_compareILb0ELb0EjNS0_19identity_decomposerEEEEE10hipError_tT0_T1_T2_jT3_P12ihipStream_tbPNSt15iterator_traitsISE_E10value_typeEPNSK_ISF_E10value_typeEPSG_NS1_7vsmem_tEENKUlT_SE_SF_SG_E_clIS8_S8_S9_S9_EESD_ST_SE_SF_SG_EUlST_E1_NS1_11comp_targetILNS1_3genE5ELNS1_11target_archE942ELNS1_3gpuE9ELNS1_3repE0EEENS1_36merge_oddeven_config_static_selectorELNS0_4arch9wavefront6targetE1EEEvSF_
	.p2align	8
	.type	_ZN7rocprim17ROCPRIM_400000_NS6detail17trampoline_kernelINS0_14default_configENS1_38merge_sort_block_merge_config_selectorIjNS0_10empty_typeEEEZZNS1_27merge_sort_block_merge_implIS3_PjPS5_jNS1_19radix_merge_compareILb0ELb0EjNS0_19identity_decomposerEEEEE10hipError_tT0_T1_T2_jT3_P12ihipStream_tbPNSt15iterator_traitsISE_E10value_typeEPNSK_ISF_E10value_typeEPSG_NS1_7vsmem_tEENKUlT_SE_SF_SG_E_clIS8_S8_S9_S9_EESD_ST_SE_SF_SG_EUlST_E1_NS1_11comp_targetILNS1_3genE5ELNS1_11target_archE942ELNS1_3gpuE9ELNS1_3repE0EEENS1_36merge_oddeven_config_static_selectorELNS0_4arch9wavefront6targetE1EEEvSF_,@function
_ZN7rocprim17ROCPRIM_400000_NS6detail17trampoline_kernelINS0_14default_configENS1_38merge_sort_block_merge_config_selectorIjNS0_10empty_typeEEEZZNS1_27merge_sort_block_merge_implIS3_PjPS5_jNS1_19radix_merge_compareILb0ELb0EjNS0_19identity_decomposerEEEEE10hipError_tT0_T1_T2_jT3_P12ihipStream_tbPNSt15iterator_traitsISE_E10value_typeEPNSK_ISF_E10value_typeEPSG_NS1_7vsmem_tEENKUlT_SE_SF_SG_E_clIS8_S8_S9_S9_EESD_ST_SE_SF_SG_EUlST_E1_NS1_11comp_targetILNS1_3genE5ELNS1_11target_archE942ELNS1_3gpuE9ELNS1_3repE0EEENS1_36merge_oddeven_config_static_selectorELNS0_4arch9wavefront6targetE1EEEvSF_: ; @_ZN7rocprim17ROCPRIM_400000_NS6detail17trampoline_kernelINS0_14default_configENS1_38merge_sort_block_merge_config_selectorIjNS0_10empty_typeEEEZZNS1_27merge_sort_block_merge_implIS3_PjPS5_jNS1_19radix_merge_compareILb0ELb0EjNS0_19identity_decomposerEEEEE10hipError_tT0_T1_T2_jT3_P12ihipStream_tbPNSt15iterator_traitsISE_E10value_typeEPNSK_ISF_E10value_typeEPSG_NS1_7vsmem_tEENKUlT_SE_SF_SG_E_clIS8_S8_S9_S9_EESD_ST_SE_SF_SG_EUlST_E1_NS1_11comp_targetILNS1_3genE5ELNS1_11target_archE942ELNS1_3gpuE9ELNS1_3repE0EEENS1_36merge_oddeven_config_static_selectorELNS0_4arch9wavefront6targetE1EEEvSF_
; %bb.0:
	.section	.rodata,"a",@progbits
	.p2align	6, 0x0
	.amdhsa_kernel _ZN7rocprim17ROCPRIM_400000_NS6detail17trampoline_kernelINS0_14default_configENS1_38merge_sort_block_merge_config_selectorIjNS0_10empty_typeEEEZZNS1_27merge_sort_block_merge_implIS3_PjPS5_jNS1_19radix_merge_compareILb0ELb0EjNS0_19identity_decomposerEEEEE10hipError_tT0_T1_T2_jT3_P12ihipStream_tbPNSt15iterator_traitsISE_E10value_typeEPNSK_ISF_E10value_typeEPSG_NS1_7vsmem_tEENKUlT_SE_SF_SG_E_clIS8_S8_S9_S9_EESD_ST_SE_SF_SG_EUlST_E1_NS1_11comp_targetILNS1_3genE5ELNS1_11target_archE942ELNS1_3gpuE9ELNS1_3repE0EEENS1_36merge_oddeven_config_static_selectorELNS0_4arch9wavefront6targetE1EEEvSF_
		.amdhsa_group_segment_fixed_size 0
		.amdhsa_private_segment_fixed_size 0
		.amdhsa_kernarg_size 48
		.amdhsa_user_sgpr_count 6
		.amdhsa_user_sgpr_private_segment_buffer 1
		.amdhsa_user_sgpr_dispatch_ptr 0
		.amdhsa_user_sgpr_queue_ptr 0
		.amdhsa_user_sgpr_kernarg_segment_ptr 1
		.amdhsa_user_sgpr_dispatch_id 0
		.amdhsa_user_sgpr_flat_scratch_init 0
		.amdhsa_user_sgpr_kernarg_preload_length 0
		.amdhsa_user_sgpr_kernarg_preload_offset 0
		.amdhsa_user_sgpr_private_segment_size 0
		.amdhsa_uses_dynamic_stack 0
		.amdhsa_system_sgpr_private_segment_wavefront_offset 0
		.amdhsa_system_sgpr_workgroup_id_x 1
		.amdhsa_system_sgpr_workgroup_id_y 0
		.amdhsa_system_sgpr_workgroup_id_z 0
		.amdhsa_system_sgpr_workgroup_info 0
		.amdhsa_system_vgpr_workitem_id 0
		.amdhsa_next_free_vgpr 1
		.amdhsa_next_free_sgpr 0
		.amdhsa_accum_offset 4
		.amdhsa_reserve_vcc 0
		.amdhsa_reserve_flat_scratch 0
		.amdhsa_float_round_mode_32 0
		.amdhsa_float_round_mode_16_64 0
		.amdhsa_float_denorm_mode_32 3
		.amdhsa_float_denorm_mode_16_64 3
		.amdhsa_dx10_clamp 1
		.amdhsa_ieee_mode 1
		.amdhsa_fp16_overflow 0
		.amdhsa_tg_split 0
		.amdhsa_exception_fp_ieee_invalid_op 0
		.amdhsa_exception_fp_denorm_src 0
		.amdhsa_exception_fp_ieee_div_zero 0
		.amdhsa_exception_fp_ieee_overflow 0
		.amdhsa_exception_fp_ieee_underflow 0
		.amdhsa_exception_fp_ieee_inexact 0
		.amdhsa_exception_int_div_zero 0
	.end_amdhsa_kernel
	.section	.text._ZN7rocprim17ROCPRIM_400000_NS6detail17trampoline_kernelINS0_14default_configENS1_38merge_sort_block_merge_config_selectorIjNS0_10empty_typeEEEZZNS1_27merge_sort_block_merge_implIS3_PjPS5_jNS1_19radix_merge_compareILb0ELb0EjNS0_19identity_decomposerEEEEE10hipError_tT0_T1_T2_jT3_P12ihipStream_tbPNSt15iterator_traitsISE_E10value_typeEPNSK_ISF_E10value_typeEPSG_NS1_7vsmem_tEENKUlT_SE_SF_SG_E_clIS8_S8_S9_S9_EESD_ST_SE_SF_SG_EUlST_E1_NS1_11comp_targetILNS1_3genE5ELNS1_11target_archE942ELNS1_3gpuE9ELNS1_3repE0EEENS1_36merge_oddeven_config_static_selectorELNS0_4arch9wavefront6targetE1EEEvSF_,"axG",@progbits,_ZN7rocprim17ROCPRIM_400000_NS6detail17trampoline_kernelINS0_14default_configENS1_38merge_sort_block_merge_config_selectorIjNS0_10empty_typeEEEZZNS1_27merge_sort_block_merge_implIS3_PjPS5_jNS1_19radix_merge_compareILb0ELb0EjNS0_19identity_decomposerEEEEE10hipError_tT0_T1_T2_jT3_P12ihipStream_tbPNSt15iterator_traitsISE_E10value_typeEPNSK_ISF_E10value_typeEPSG_NS1_7vsmem_tEENKUlT_SE_SF_SG_E_clIS8_S8_S9_S9_EESD_ST_SE_SF_SG_EUlST_E1_NS1_11comp_targetILNS1_3genE5ELNS1_11target_archE942ELNS1_3gpuE9ELNS1_3repE0EEENS1_36merge_oddeven_config_static_selectorELNS0_4arch9wavefront6targetE1EEEvSF_,comdat
.Lfunc_end704:
	.size	_ZN7rocprim17ROCPRIM_400000_NS6detail17trampoline_kernelINS0_14default_configENS1_38merge_sort_block_merge_config_selectorIjNS0_10empty_typeEEEZZNS1_27merge_sort_block_merge_implIS3_PjPS5_jNS1_19radix_merge_compareILb0ELb0EjNS0_19identity_decomposerEEEEE10hipError_tT0_T1_T2_jT3_P12ihipStream_tbPNSt15iterator_traitsISE_E10value_typeEPNSK_ISF_E10value_typeEPSG_NS1_7vsmem_tEENKUlT_SE_SF_SG_E_clIS8_S8_S9_S9_EESD_ST_SE_SF_SG_EUlST_E1_NS1_11comp_targetILNS1_3genE5ELNS1_11target_archE942ELNS1_3gpuE9ELNS1_3repE0EEENS1_36merge_oddeven_config_static_selectorELNS0_4arch9wavefront6targetE1EEEvSF_, .Lfunc_end704-_ZN7rocprim17ROCPRIM_400000_NS6detail17trampoline_kernelINS0_14default_configENS1_38merge_sort_block_merge_config_selectorIjNS0_10empty_typeEEEZZNS1_27merge_sort_block_merge_implIS3_PjPS5_jNS1_19radix_merge_compareILb0ELb0EjNS0_19identity_decomposerEEEEE10hipError_tT0_T1_T2_jT3_P12ihipStream_tbPNSt15iterator_traitsISE_E10value_typeEPNSK_ISF_E10value_typeEPSG_NS1_7vsmem_tEENKUlT_SE_SF_SG_E_clIS8_S8_S9_S9_EESD_ST_SE_SF_SG_EUlST_E1_NS1_11comp_targetILNS1_3genE5ELNS1_11target_archE942ELNS1_3gpuE9ELNS1_3repE0EEENS1_36merge_oddeven_config_static_selectorELNS0_4arch9wavefront6targetE1EEEvSF_
                                        ; -- End function
	.section	.AMDGPU.csdata,"",@progbits
; Kernel info:
; codeLenInByte = 0
; NumSgprs: 4
; NumVgprs: 0
; NumAgprs: 0
; TotalNumVgprs: 0
; ScratchSize: 0
; MemoryBound: 0
; FloatMode: 240
; IeeeMode: 1
; LDSByteSize: 0 bytes/workgroup (compile time only)
; SGPRBlocks: 0
; VGPRBlocks: 0
; NumSGPRsForWavesPerEU: 4
; NumVGPRsForWavesPerEU: 1
; AccumOffset: 4
; Occupancy: 8
; WaveLimiterHint : 0
; COMPUTE_PGM_RSRC2:SCRATCH_EN: 0
; COMPUTE_PGM_RSRC2:USER_SGPR: 6
; COMPUTE_PGM_RSRC2:TRAP_HANDLER: 0
; COMPUTE_PGM_RSRC2:TGID_X_EN: 1
; COMPUTE_PGM_RSRC2:TGID_Y_EN: 0
; COMPUTE_PGM_RSRC2:TGID_Z_EN: 0
; COMPUTE_PGM_RSRC2:TIDIG_COMP_CNT: 0
; COMPUTE_PGM_RSRC3_GFX90A:ACCUM_OFFSET: 0
; COMPUTE_PGM_RSRC3_GFX90A:TG_SPLIT: 0
	.section	.text._ZN7rocprim17ROCPRIM_400000_NS6detail17trampoline_kernelINS0_14default_configENS1_38merge_sort_block_merge_config_selectorIjNS0_10empty_typeEEEZZNS1_27merge_sort_block_merge_implIS3_PjPS5_jNS1_19radix_merge_compareILb0ELb0EjNS0_19identity_decomposerEEEEE10hipError_tT0_T1_T2_jT3_P12ihipStream_tbPNSt15iterator_traitsISE_E10value_typeEPNSK_ISF_E10value_typeEPSG_NS1_7vsmem_tEENKUlT_SE_SF_SG_E_clIS8_S8_S9_S9_EESD_ST_SE_SF_SG_EUlST_E1_NS1_11comp_targetILNS1_3genE4ELNS1_11target_archE910ELNS1_3gpuE8ELNS1_3repE0EEENS1_36merge_oddeven_config_static_selectorELNS0_4arch9wavefront6targetE1EEEvSF_,"axG",@progbits,_ZN7rocprim17ROCPRIM_400000_NS6detail17trampoline_kernelINS0_14default_configENS1_38merge_sort_block_merge_config_selectorIjNS0_10empty_typeEEEZZNS1_27merge_sort_block_merge_implIS3_PjPS5_jNS1_19radix_merge_compareILb0ELb0EjNS0_19identity_decomposerEEEEE10hipError_tT0_T1_T2_jT3_P12ihipStream_tbPNSt15iterator_traitsISE_E10value_typeEPNSK_ISF_E10value_typeEPSG_NS1_7vsmem_tEENKUlT_SE_SF_SG_E_clIS8_S8_S9_S9_EESD_ST_SE_SF_SG_EUlST_E1_NS1_11comp_targetILNS1_3genE4ELNS1_11target_archE910ELNS1_3gpuE8ELNS1_3repE0EEENS1_36merge_oddeven_config_static_selectorELNS0_4arch9wavefront6targetE1EEEvSF_,comdat
	.protected	_ZN7rocprim17ROCPRIM_400000_NS6detail17trampoline_kernelINS0_14default_configENS1_38merge_sort_block_merge_config_selectorIjNS0_10empty_typeEEEZZNS1_27merge_sort_block_merge_implIS3_PjPS5_jNS1_19radix_merge_compareILb0ELb0EjNS0_19identity_decomposerEEEEE10hipError_tT0_T1_T2_jT3_P12ihipStream_tbPNSt15iterator_traitsISE_E10value_typeEPNSK_ISF_E10value_typeEPSG_NS1_7vsmem_tEENKUlT_SE_SF_SG_E_clIS8_S8_S9_S9_EESD_ST_SE_SF_SG_EUlST_E1_NS1_11comp_targetILNS1_3genE4ELNS1_11target_archE910ELNS1_3gpuE8ELNS1_3repE0EEENS1_36merge_oddeven_config_static_selectorELNS0_4arch9wavefront6targetE1EEEvSF_ ; -- Begin function _ZN7rocprim17ROCPRIM_400000_NS6detail17trampoline_kernelINS0_14default_configENS1_38merge_sort_block_merge_config_selectorIjNS0_10empty_typeEEEZZNS1_27merge_sort_block_merge_implIS3_PjPS5_jNS1_19radix_merge_compareILb0ELb0EjNS0_19identity_decomposerEEEEE10hipError_tT0_T1_T2_jT3_P12ihipStream_tbPNSt15iterator_traitsISE_E10value_typeEPNSK_ISF_E10value_typeEPSG_NS1_7vsmem_tEENKUlT_SE_SF_SG_E_clIS8_S8_S9_S9_EESD_ST_SE_SF_SG_EUlST_E1_NS1_11comp_targetILNS1_3genE4ELNS1_11target_archE910ELNS1_3gpuE8ELNS1_3repE0EEENS1_36merge_oddeven_config_static_selectorELNS0_4arch9wavefront6targetE1EEEvSF_
	.globl	_ZN7rocprim17ROCPRIM_400000_NS6detail17trampoline_kernelINS0_14default_configENS1_38merge_sort_block_merge_config_selectorIjNS0_10empty_typeEEEZZNS1_27merge_sort_block_merge_implIS3_PjPS5_jNS1_19radix_merge_compareILb0ELb0EjNS0_19identity_decomposerEEEEE10hipError_tT0_T1_T2_jT3_P12ihipStream_tbPNSt15iterator_traitsISE_E10value_typeEPNSK_ISF_E10value_typeEPSG_NS1_7vsmem_tEENKUlT_SE_SF_SG_E_clIS8_S8_S9_S9_EESD_ST_SE_SF_SG_EUlST_E1_NS1_11comp_targetILNS1_3genE4ELNS1_11target_archE910ELNS1_3gpuE8ELNS1_3repE0EEENS1_36merge_oddeven_config_static_selectorELNS0_4arch9wavefront6targetE1EEEvSF_
	.p2align	8
	.type	_ZN7rocprim17ROCPRIM_400000_NS6detail17trampoline_kernelINS0_14default_configENS1_38merge_sort_block_merge_config_selectorIjNS0_10empty_typeEEEZZNS1_27merge_sort_block_merge_implIS3_PjPS5_jNS1_19radix_merge_compareILb0ELb0EjNS0_19identity_decomposerEEEEE10hipError_tT0_T1_T2_jT3_P12ihipStream_tbPNSt15iterator_traitsISE_E10value_typeEPNSK_ISF_E10value_typeEPSG_NS1_7vsmem_tEENKUlT_SE_SF_SG_E_clIS8_S8_S9_S9_EESD_ST_SE_SF_SG_EUlST_E1_NS1_11comp_targetILNS1_3genE4ELNS1_11target_archE910ELNS1_3gpuE8ELNS1_3repE0EEENS1_36merge_oddeven_config_static_selectorELNS0_4arch9wavefront6targetE1EEEvSF_,@function
_ZN7rocprim17ROCPRIM_400000_NS6detail17trampoline_kernelINS0_14default_configENS1_38merge_sort_block_merge_config_selectorIjNS0_10empty_typeEEEZZNS1_27merge_sort_block_merge_implIS3_PjPS5_jNS1_19radix_merge_compareILb0ELb0EjNS0_19identity_decomposerEEEEE10hipError_tT0_T1_T2_jT3_P12ihipStream_tbPNSt15iterator_traitsISE_E10value_typeEPNSK_ISF_E10value_typeEPSG_NS1_7vsmem_tEENKUlT_SE_SF_SG_E_clIS8_S8_S9_S9_EESD_ST_SE_SF_SG_EUlST_E1_NS1_11comp_targetILNS1_3genE4ELNS1_11target_archE910ELNS1_3gpuE8ELNS1_3repE0EEENS1_36merge_oddeven_config_static_selectorELNS0_4arch9wavefront6targetE1EEEvSF_: ; @_ZN7rocprim17ROCPRIM_400000_NS6detail17trampoline_kernelINS0_14default_configENS1_38merge_sort_block_merge_config_selectorIjNS0_10empty_typeEEEZZNS1_27merge_sort_block_merge_implIS3_PjPS5_jNS1_19radix_merge_compareILb0ELb0EjNS0_19identity_decomposerEEEEE10hipError_tT0_T1_T2_jT3_P12ihipStream_tbPNSt15iterator_traitsISE_E10value_typeEPNSK_ISF_E10value_typeEPSG_NS1_7vsmem_tEENKUlT_SE_SF_SG_E_clIS8_S8_S9_S9_EESD_ST_SE_SF_SG_EUlST_E1_NS1_11comp_targetILNS1_3genE4ELNS1_11target_archE910ELNS1_3gpuE8ELNS1_3repE0EEENS1_36merge_oddeven_config_static_selectorELNS0_4arch9wavefront6targetE1EEEvSF_
; %bb.0:
	s_load_dword s18, s[4:5], 0x20
	s_waitcnt lgkmcnt(0)
	s_lshr_b32 s0, s18, 8
	s_cmp_lg_u32 s6, s0
	s_cselect_b64 s[14:15], -1, 0
	s_cmp_eq_u32 s6, s0
	s_cselect_b64 s[12:13], -1, 0
	s_lshl_b32 s16, s6, 8
	s_sub_i32 s0, s18, s16
	v_cmp_gt_u32_e64 s[2:3], s0, v0
	s_or_b64 s[0:1], s[14:15], s[2:3]
	s_and_saveexec_b64 s[8:9], s[0:1]
	s_cbranch_execz .LBB705_20
; %bb.1:
	s_load_dwordx4 s[8:11], s[4:5], 0x0
	s_load_dword s19, s[4:5], 0x24
	s_mov_b32 s17, 0
	s_lshl_b64 s[0:1], s[16:17], 2
	v_lshlrev_b32_e32 v1, 2, v0
	s_waitcnt lgkmcnt(0)
	s_add_u32 s0, s8, s0
	s_addc_u32 s1, s9, s1
	global_load_dword v2, v1, s[0:1]
	s_lshr_b32 s0, s19, 8
	s_sub_i32 s1, 0, s0
	s_and_b32 s1, s6, s1
	s_and_b32 s0, s1, s0
	s_lshl_b32 s20, s1, 8
	s_sub_i32 s6, 0, s19
	s_cmp_eq_u32 s0, 0
	s_cselect_b64 s[0:1], -1, 0
	s_and_b64 s[4:5], s[0:1], exec
	s_cselect_b32 s17, s19, s6
	s_add_i32 s17, s17, s20
	s_cmp_lt_u32 s17, s18
	v_add_u32_e32 v0, s16, v0
	s_cbranch_scc1 .LBB705_3
; %bb.2:
	v_cmp_gt_u32_e32 vcc, s18, v0
	s_or_b64 s[4:5], vcc, s[14:15]
	s_and_b64 s[4:5], s[4:5], exec
	s_cbranch_execz .LBB705_4
	s_branch .LBB705_18
.LBB705_3:
	s_mov_b64 s[4:5], 0
.LBB705_4:
	s_min_u32 s14, s17, s18
	s_add_i32 s6, s14, s19
	s_min_u32 s15, s6, s18
	s_min_u32 s6, s20, s14
	s_add_i32 s20, s20, s14
	v_subrev_u32_e32 v0, s20, v0
	v_add_u32_e32 v3, s6, v0
	s_and_b64 vcc, exec, s[12:13]
	s_cbranch_vccz .LBB705_12
; %bb.5:
                                        ; implicit-def: $vgpr0
	s_and_saveexec_b64 s[6:7], s[2:3]
	s_cbranch_execz .LBB705_11
; %bb.6:
	s_cmp_ge_u32 s17, s15
	v_mov_b32_e32 v4, s14
	s_cbranch_scc1 .LBB705_10
; %bb.7:
	s_mov_b64 s[2:3], 0
	v_mov_b32_e32 v5, s15
	v_mov_b32_e32 v4, s14
	v_mov_b32_e32 v1, 0
	v_mov_b32_e32 v6, s9
.LBB705_8:                              ; =>This Inner Loop Header: Depth=1
	v_add_u32_e32 v0, v4, v5
	v_lshrrev_b32_e32 v0, 1, v0
	v_lshlrev_b64 v[8:9], 2, v[0:1]
	v_add_co_u32_e32 v8, vcc, s8, v8
	v_addc_co_u32_e32 v9, vcc, v6, v9, vcc
	global_load_dword v7, v[8:9], off
	v_add_u32_e32 v8, 1, v0
	s_waitcnt vmcnt(0)
	v_cmp_gt_u32_e32 vcc, v2, v7
	v_cndmask_b32_e64 v9, 0, 1, vcc
	v_cmp_le_u32_e32 vcc, v7, v2
	v_cndmask_b32_e64 v7, 0, 1, vcc
	v_cndmask_b32_e64 v7, v7, v9, s[0:1]
	v_and_b32_e32 v7, 1, v7
	v_cmp_eq_u32_e32 vcc, 1, v7
	v_cndmask_b32_e32 v5, v0, v5, vcc
	v_cndmask_b32_e32 v4, v4, v8, vcc
	v_cmp_ge_u32_e32 vcc, v4, v5
	s_or_b64 s[2:3], vcc, s[2:3]
	s_andn2_b64 exec, exec, s[2:3]
	s_cbranch_execnz .LBB705_8
; %bb.9:
	s_or_b64 exec, exec, s[2:3]
.LBB705_10:
	v_add_u32_e32 v0, v4, v3
	s_or_b64 s[4:5], s[4:5], exec
.LBB705_11:
	s_or_b64 exec, exec, s[6:7]
	s_branch .LBB705_18
.LBB705_12:
                                        ; implicit-def: $vgpr0
	s_cbranch_execz .LBB705_18
; %bb.13:
	s_cmp_ge_u32 s17, s15
	v_mov_b32_e32 v4, s14
	s_cbranch_scc1 .LBB705_17
; %bb.14:
	s_mov_b64 s[2:3], 0
	v_mov_b32_e32 v5, s15
	v_mov_b32_e32 v4, s14
	;; [unrolled: 1-line block ×4, first 2 shown]
.LBB705_15:                             ; =>This Inner Loop Header: Depth=1
	v_add_u32_e32 v0, v4, v5
	v_lshrrev_b32_e32 v0, 1, v0
	v_lshlrev_b64 v[8:9], 2, v[0:1]
	v_add_co_u32_e32 v8, vcc, s8, v8
	v_addc_co_u32_e32 v9, vcc, v6, v9, vcc
	global_load_dword v7, v[8:9], off
	v_add_u32_e32 v8, 1, v0
	s_waitcnt vmcnt(0)
	v_cmp_gt_u32_e32 vcc, v2, v7
	v_cndmask_b32_e64 v9, 0, 1, vcc
	v_cmp_le_u32_e32 vcc, v7, v2
	v_cndmask_b32_e64 v7, 0, 1, vcc
	v_cndmask_b32_e64 v7, v7, v9, s[0:1]
	v_and_b32_e32 v7, 1, v7
	v_cmp_eq_u32_e32 vcc, 1, v7
	v_cndmask_b32_e32 v5, v0, v5, vcc
	v_cndmask_b32_e32 v4, v4, v8, vcc
	v_cmp_ge_u32_e32 vcc, v4, v5
	s_or_b64 s[2:3], vcc, s[2:3]
	s_andn2_b64 exec, exec, s[2:3]
	s_cbranch_execnz .LBB705_15
; %bb.16:
	s_or_b64 exec, exec, s[2:3]
.LBB705_17:
	v_add_u32_e32 v0, v4, v3
	s_mov_b64 s[4:5], -1
.LBB705_18:
	s_and_b64 exec, exec, s[4:5]
	s_cbranch_execz .LBB705_20
; %bb.19:
	v_mov_b32_e32 v1, 0
	v_lshlrev_b64 v[0:1], 2, v[0:1]
	v_mov_b32_e32 v3, s11
	v_add_co_u32_e32 v0, vcc, s10, v0
	v_addc_co_u32_e32 v1, vcc, v3, v1, vcc
	s_waitcnt vmcnt(0)
	global_store_dword v[0:1], v2, off
.LBB705_20:
	s_endpgm
	.section	.rodata,"a",@progbits
	.p2align	6, 0x0
	.amdhsa_kernel _ZN7rocprim17ROCPRIM_400000_NS6detail17trampoline_kernelINS0_14default_configENS1_38merge_sort_block_merge_config_selectorIjNS0_10empty_typeEEEZZNS1_27merge_sort_block_merge_implIS3_PjPS5_jNS1_19radix_merge_compareILb0ELb0EjNS0_19identity_decomposerEEEEE10hipError_tT0_T1_T2_jT3_P12ihipStream_tbPNSt15iterator_traitsISE_E10value_typeEPNSK_ISF_E10value_typeEPSG_NS1_7vsmem_tEENKUlT_SE_SF_SG_E_clIS8_S8_S9_S9_EESD_ST_SE_SF_SG_EUlST_E1_NS1_11comp_targetILNS1_3genE4ELNS1_11target_archE910ELNS1_3gpuE8ELNS1_3repE0EEENS1_36merge_oddeven_config_static_selectorELNS0_4arch9wavefront6targetE1EEEvSF_
		.amdhsa_group_segment_fixed_size 0
		.amdhsa_private_segment_fixed_size 0
		.amdhsa_kernarg_size 48
		.amdhsa_user_sgpr_count 6
		.amdhsa_user_sgpr_private_segment_buffer 1
		.amdhsa_user_sgpr_dispatch_ptr 0
		.amdhsa_user_sgpr_queue_ptr 0
		.amdhsa_user_sgpr_kernarg_segment_ptr 1
		.amdhsa_user_sgpr_dispatch_id 0
		.amdhsa_user_sgpr_flat_scratch_init 0
		.amdhsa_user_sgpr_kernarg_preload_length 0
		.amdhsa_user_sgpr_kernarg_preload_offset 0
		.amdhsa_user_sgpr_private_segment_size 0
		.amdhsa_uses_dynamic_stack 0
		.amdhsa_system_sgpr_private_segment_wavefront_offset 0
		.amdhsa_system_sgpr_workgroup_id_x 1
		.amdhsa_system_sgpr_workgroup_id_y 0
		.amdhsa_system_sgpr_workgroup_id_z 0
		.amdhsa_system_sgpr_workgroup_info 0
		.amdhsa_system_vgpr_workitem_id 0
		.amdhsa_next_free_vgpr 10
		.amdhsa_next_free_sgpr 21
		.amdhsa_accum_offset 12
		.amdhsa_reserve_vcc 1
		.amdhsa_reserve_flat_scratch 0
		.amdhsa_float_round_mode_32 0
		.amdhsa_float_round_mode_16_64 0
		.amdhsa_float_denorm_mode_32 3
		.amdhsa_float_denorm_mode_16_64 3
		.amdhsa_dx10_clamp 1
		.amdhsa_ieee_mode 1
		.amdhsa_fp16_overflow 0
		.amdhsa_tg_split 0
		.amdhsa_exception_fp_ieee_invalid_op 0
		.amdhsa_exception_fp_denorm_src 0
		.amdhsa_exception_fp_ieee_div_zero 0
		.amdhsa_exception_fp_ieee_overflow 0
		.amdhsa_exception_fp_ieee_underflow 0
		.amdhsa_exception_fp_ieee_inexact 0
		.amdhsa_exception_int_div_zero 0
	.end_amdhsa_kernel
	.section	.text._ZN7rocprim17ROCPRIM_400000_NS6detail17trampoline_kernelINS0_14default_configENS1_38merge_sort_block_merge_config_selectorIjNS0_10empty_typeEEEZZNS1_27merge_sort_block_merge_implIS3_PjPS5_jNS1_19radix_merge_compareILb0ELb0EjNS0_19identity_decomposerEEEEE10hipError_tT0_T1_T2_jT3_P12ihipStream_tbPNSt15iterator_traitsISE_E10value_typeEPNSK_ISF_E10value_typeEPSG_NS1_7vsmem_tEENKUlT_SE_SF_SG_E_clIS8_S8_S9_S9_EESD_ST_SE_SF_SG_EUlST_E1_NS1_11comp_targetILNS1_3genE4ELNS1_11target_archE910ELNS1_3gpuE8ELNS1_3repE0EEENS1_36merge_oddeven_config_static_selectorELNS0_4arch9wavefront6targetE1EEEvSF_,"axG",@progbits,_ZN7rocprim17ROCPRIM_400000_NS6detail17trampoline_kernelINS0_14default_configENS1_38merge_sort_block_merge_config_selectorIjNS0_10empty_typeEEEZZNS1_27merge_sort_block_merge_implIS3_PjPS5_jNS1_19radix_merge_compareILb0ELb0EjNS0_19identity_decomposerEEEEE10hipError_tT0_T1_T2_jT3_P12ihipStream_tbPNSt15iterator_traitsISE_E10value_typeEPNSK_ISF_E10value_typeEPSG_NS1_7vsmem_tEENKUlT_SE_SF_SG_E_clIS8_S8_S9_S9_EESD_ST_SE_SF_SG_EUlST_E1_NS1_11comp_targetILNS1_3genE4ELNS1_11target_archE910ELNS1_3gpuE8ELNS1_3repE0EEENS1_36merge_oddeven_config_static_selectorELNS0_4arch9wavefront6targetE1EEEvSF_,comdat
.Lfunc_end705:
	.size	_ZN7rocprim17ROCPRIM_400000_NS6detail17trampoline_kernelINS0_14default_configENS1_38merge_sort_block_merge_config_selectorIjNS0_10empty_typeEEEZZNS1_27merge_sort_block_merge_implIS3_PjPS5_jNS1_19radix_merge_compareILb0ELb0EjNS0_19identity_decomposerEEEEE10hipError_tT0_T1_T2_jT3_P12ihipStream_tbPNSt15iterator_traitsISE_E10value_typeEPNSK_ISF_E10value_typeEPSG_NS1_7vsmem_tEENKUlT_SE_SF_SG_E_clIS8_S8_S9_S9_EESD_ST_SE_SF_SG_EUlST_E1_NS1_11comp_targetILNS1_3genE4ELNS1_11target_archE910ELNS1_3gpuE8ELNS1_3repE0EEENS1_36merge_oddeven_config_static_selectorELNS0_4arch9wavefront6targetE1EEEvSF_, .Lfunc_end705-_ZN7rocprim17ROCPRIM_400000_NS6detail17trampoline_kernelINS0_14default_configENS1_38merge_sort_block_merge_config_selectorIjNS0_10empty_typeEEEZZNS1_27merge_sort_block_merge_implIS3_PjPS5_jNS1_19radix_merge_compareILb0ELb0EjNS0_19identity_decomposerEEEEE10hipError_tT0_T1_T2_jT3_P12ihipStream_tbPNSt15iterator_traitsISE_E10value_typeEPNSK_ISF_E10value_typeEPSG_NS1_7vsmem_tEENKUlT_SE_SF_SG_E_clIS8_S8_S9_S9_EESD_ST_SE_SF_SG_EUlST_E1_NS1_11comp_targetILNS1_3genE4ELNS1_11target_archE910ELNS1_3gpuE8ELNS1_3repE0EEENS1_36merge_oddeven_config_static_selectorELNS0_4arch9wavefront6targetE1EEEvSF_
                                        ; -- End function
	.section	.AMDGPU.csdata,"",@progbits
; Kernel info:
; codeLenInByte = 588
; NumSgprs: 25
; NumVgprs: 10
; NumAgprs: 0
; TotalNumVgprs: 10
; ScratchSize: 0
; MemoryBound: 0
; FloatMode: 240
; IeeeMode: 1
; LDSByteSize: 0 bytes/workgroup (compile time only)
; SGPRBlocks: 3
; VGPRBlocks: 1
; NumSGPRsForWavesPerEU: 25
; NumVGPRsForWavesPerEU: 10
; AccumOffset: 12
; Occupancy: 8
; WaveLimiterHint : 0
; COMPUTE_PGM_RSRC2:SCRATCH_EN: 0
; COMPUTE_PGM_RSRC2:USER_SGPR: 6
; COMPUTE_PGM_RSRC2:TRAP_HANDLER: 0
; COMPUTE_PGM_RSRC2:TGID_X_EN: 1
; COMPUTE_PGM_RSRC2:TGID_Y_EN: 0
; COMPUTE_PGM_RSRC2:TGID_Z_EN: 0
; COMPUTE_PGM_RSRC2:TIDIG_COMP_CNT: 0
; COMPUTE_PGM_RSRC3_GFX90A:ACCUM_OFFSET: 2
; COMPUTE_PGM_RSRC3_GFX90A:TG_SPLIT: 0
	.section	.text._ZN7rocprim17ROCPRIM_400000_NS6detail17trampoline_kernelINS0_14default_configENS1_38merge_sort_block_merge_config_selectorIjNS0_10empty_typeEEEZZNS1_27merge_sort_block_merge_implIS3_PjPS5_jNS1_19radix_merge_compareILb0ELb0EjNS0_19identity_decomposerEEEEE10hipError_tT0_T1_T2_jT3_P12ihipStream_tbPNSt15iterator_traitsISE_E10value_typeEPNSK_ISF_E10value_typeEPSG_NS1_7vsmem_tEENKUlT_SE_SF_SG_E_clIS8_S8_S9_S9_EESD_ST_SE_SF_SG_EUlST_E1_NS1_11comp_targetILNS1_3genE3ELNS1_11target_archE908ELNS1_3gpuE7ELNS1_3repE0EEENS1_36merge_oddeven_config_static_selectorELNS0_4arch9wavefront6targetE1EEEvSF_,"axG",@progbits,_ZN7rocprim17ROCPRIM_400000_NS6detail17trampoline_kernelINS0_14default_configENS1_38merge_sort_block_merge_config_selectorIjNS0_10empty_typeEEEZZNS1_27merge_sort_block_merge_implIS3_PjPS5_jNS1_19radix_merge_compareILb0ELb0EjNS0_19identity_decomposerEEEEE10hipError_tT0_T1_T2_jT3_P12ihipStream_tbPNSt15iterator_traitsISE_E10value_typeEPNSK_ISF_E10value_typeEPSG_NS1_7vsmem_tEENKUlT_SE_SF_SG_E_clIS8_S8_S9_S9_EESD_ST_SE_SF_SG_EUlST_E1_NS1_11comp_targetILNS1_3genE3ELNS1_11target_archE908ELNS1_3gpuE7ELNS1_3repE0EEENS1_36merge_oddeven_config_static_selectorELNS0_4arch9wavefront6targetE1EEEvSF_,comdat
	.protected	_ZN7rocprim17ROCPRIM_400000_NS6detail17trampoline_kernelINS0_14default_configENS1_38merge_sort_block_merge_config_selectorIjNS0_10empty_typeEEEZZNS1_27merge_sort_block_merge_implIS3_PjPS5_jNS1_19radix_merge_compareILb0ELb0EjNS0_19identity_decomposerEEEEE10hipError_tT0_T1_T2_jT3_P12ihipStream_tbPNSt15iterator_traitsISE_E10value_typeEPNSK_ISF_E10value_typeEPSG_NS1_7vsmem_tEENKUlT_SE_SF_SG_E_clIS8_S8_S9_S9_EESD_ST_SE_SF_SG_EUlST_E1_NS1_11comp_targetILNS1_3genE3ELNS1_11target_archE908ELNS1_3gpuE7ELNS1_3repE0EEENS1_36merge_oddeven_config_static_selectorELNS0_4arch9wavefront6targetE1EEEvSF_ ; -- Begin function _ZN7rocprim17ROCPRIM_400000_NS6detail17trampoline_kernelINS0_14default_configENS1_38merge_sort_block_merge_config_selectorIjNS0_10empty_typeEEEZZNS1_27merge_sort_block_merge_implIS3_PjPS5_jNS1_19radix_merge_compareILb0ELb0EjNS0_19identity_decomposerEEEEE10hipError_tT0_T1_T2_jT3_P12ihipStream_tbPNSt15iterator_traitsISE_E10value_typeEPNSK_ISF_E10value_typeEPSG_NS1_7vsmem_tEENKUlT_SE_SF_SG_E_clIS8_S8_S9_S9_EESD_ST_SE_SF_SG_EUlST_E1_NS1_11comp_targetILNS1_3genE3ELNS1_11target_archE908ELNS1_3gpuE7ELNS1_3repE0EEENS1_36merge_oddeven_config_static_selectorELNS0_4arch9wavefront6targetE1EEEvSF_
	.globl	_ZN7rocprim17ROCPRIM_400000_NS6detail17trampoline_kernelINS0_14default_configENS1_38merge_sort_block_merge_config_selectorIjNS0_10empty_typeEEEZZNS1_27merge_sort_block_merge_implIS3_PjPS5_jNS1_19radix_merge_compareILb0ELb0EjNS0_19identity_decomposerEEEEE10hipError_tT0_T1_T2_jT3_P12ihipStream_tbPNSt15iterator_traitsISE_E10value_typeEPNSK_ISF_E10value_typeEPSG_NS1_7vsmem_tEENKUlT_SE_SF_SG_E_clIS8_S8_S9_S9_EESD_ST_SE_SF_SG_EUlST_E1_NS1_11comp_targetILNS1_3genE3ELNS1_11target_archE908ELNS1_3gpuE7ELNS1_3repE0EEENS1_36merge_oddeven_config_static_selectorELNS0_4arch9wavefront6targetE1EEEvSF_
	.p2align	8
	.type	_ZN7rocprim17ROCPRIM_400000_NS6detail17trampoline_kernelINS0_14default_configENS1_38merge_sort_block_merge_config_selectorIjNS0_10empty_typeEEEZZNS1_27merge_sort_block_merge_implIS3_PjPS5_jNS1_19radix_merge_compareILb0ELb0EjNS0_19identity_decomposerEEEEE10hipError_tT0_T1_T2_jT3_P12ihipStream_tbPNSt15iterator_traitsISE_E10value_typeEPNSK_ISF_E10value_typeEPSG_NS1_7vsmem_tEENKUlT_SE_SF_SG_E_clIS8_S8_S9_S9_EESD_ST_SE_SF_SG_EUlST_E1_NS1_11comp_targetILNS1_3genE3ELNS1_11target_archE908ELNS1_3gpuE7ELNS1_3repE0EEENS1_36merge_oddeven_config_static_selectorELNS0_4arch9wavefront6targetE1EEEvSF_,@function
_ZN7rocprim17ROCPRIM_400000_NS6detail17trampoline_kernelINS0_14default_configENS1_38merge_sort_block_merge_config_selectorIjNS0_10empty_typeEEEZZNS1_27merge_sort_block_merge_implIS3_PjPS5_jNS1_19radix_merge_compareILb0ELb0EjNS0_19identity_decomposerEEEEE10hipError_tT0_T1_T2_jT3_P12ihipStream_tbPNSt15iterator_traitsISE_E10value_typeEPNSK_ISF_E10value_typeEPSG_NS1_7vsmem_tEENKUlT_SE_SF_SG_E_clIS8_S8_S9_S9_EESD_ST_SE_SF_SG_EUlST_E1_NS1_11comp_targetILNS1_3genE3ELNS1_11target_archE908ELNS1_3gpuE7ELNS1_3repE0EEENS1_36merge_oddeven_config_static_selectorELNS0_4arch9wavefront6targetE1EEEvSF_: ; @_ZN7rocprim17ROCPRIM_400000_NS6detail17trampoline_kernelINS0_14default_configENS1_38merge_sort_block_merge_config_selectorIjNS0_10empty_typeEEEZZNS1_27merge_sort_block_merge_implIS3_PjPS5_jNS1_19radix_merge_compareILb0ELb0EjNS0_19identity_decomposerEEEEE10hipError_tT0_T1_T2_jT3_P12ihipStream_tbPNSt15iterator_traitsISE_E10value_typeEPNSK_ISF_E10value_typeEPSG_NS1_7vsmem_tEENKUlT_SE_SF_SG_E_clIS8_S8_S9_S9_EESD_ST_SE_SF_SG_EUlST_E1_NS1_11comp_targetILNS1_3genE3ELNS1_11target_archE908ELNS1_3gpuE7ELNS1_3repE0EEENS1_36merge_oddeven_config_static_selectorELNS0_4arch9wavefront6targetE1EEEvSF_
; %bb.0:
	.section	.rodata,"a",@progbits
	.p2align	6, 0x0
	.amdhsa_kernel _ZN7rocprim17ROCPRIM_400000_NS6detail17trampoline_kernelINS0_14default_configENS1_38merge_sort_block_merge_config_selectorIjNS0_10empty_typeEEEZZNS1_27merge_sort_block_merge_implIS3_PjPS5_jNS1_19radix_merge_compareILb0ELb0EjNS0_19identity_decomposerEEEEE10hipError_tT0_T1_T2_jT3_P12ihipStream_tbPNSt15iterator_traitsISE_E10value_typeEPNSK_ISF_E10value_typeEPSG_NS1_7vsmem_tEENKUlT_SE_SF_SG_E_clIS8_S8_S9_S9_EESD_ST_SE_SF_SG_EUlST_E1_NS1_11comp_targetILNS1_3genE3ELNS1_11target_archE908ELNS1_3gpuE7ELNS1_3repE0EEENS1_36merge_oddeven_config_static_selectorELNS0_4arch9wavefront6targetE1EEEvSF_
		.amdhsa_group_segment_fixed_size 0
		.amdhsa_private_segment_fixed_size 0
		.amdhsa_kernarg_size 48
		.amdhsa_user_sgpr_count 6
		.amdhsa_user_sgpr_private_segment_buffer 1
		.amdhsa_user_sgpr_dispatch_ptr 0
		.amdhsa_user_sgpr_queue_ptr 0
		.amdhsa_user_sgpr_kernarg_segment_ptr 1
		.amdhsa_user_sgpr_dispatch_id 0
		.amdhsa_user_sgpr_flat_scratch_init 0
		.amdhsa_user_sgpr_kernarg_preload_length 0
		.amdhsa_user_sgpr_kernarg_preload_offset 0
		.amdhsa_user_sgpr_private_segment_size 0
		.amdhsa_uses_dynamic_stack 0
		.amdhsa_system_sgpr_private_segment_wavefront_offset 0
		.amdhsa_system_sgpr_workgroup_id_x 1
		.amdhsa_system_sgpr_workgroup_id_y 0
		.amdhsa_system_sgpr_workgroup_id_z 0
		.amdhsa_system_sgpr_workgroup_info 0
		.amdhsa_system_vgpr_workitem_id 0
		.amdhsa_next_free_vgpr 1
		.amdhsa_next_free_sgpr 0
		.amdhsa_accum_offset 4
		.amdhsa_reserve_vcc 0
		.amdhsa_reserve_flat_scratch 0
		.amdhsa_float_round_mode_32 0
		.amdhsa_float_round_mode_16_64 0
		.amdhsa_float_denorm_mode_32 3
		.amdhsa_float_denorm_mode_16_64 3
		.amdhsa_dx10_clamp 1
		.amdhsa_ieee_mode 1
		.amdhsa_fp16_overflow 0
		.amdhsa_tg_split 0
		.amdhsa_exception_fp_ieee_invalid_op 0
		.amdhsa_exception_fp_denorm_src 0
		.amdhsa_exception_fp_ieee_div_zero 0
		.amdhsa_exception_fp_ieee_overflow 0
		.amdhsa_exception_fp_ieee_underflow 0
		.amdhsa_exception_fp_ieee_inexact 0
		.amdhsa_exception_int_div_zero 0
	.end_amdhsa_kernel
	.section	.text._ZN7rocprim17ROCPRIM_400000_NS6detail17trampoline_kernelINS0_14default_configENS1_38merge_sort_block_merge_config_selectorIjNS0_10empty_typeEEEZZNS1_27merge_sort_block_merge_implIS3_PjPS5_jNS1_19radix_merge_compareILb0ELb0EjNS0_19identity_decomposerEEEEE10hipError_tT0_T1_T2_jT3_P12ihipStream_tbPNSt15iterator_traitsISE_E10value_typeEPNSK_ISF_E10value_typeEPSG_NS1_7vsmem_tEENKUlT_SE_SF_SG_E_clIS8_S8_S9_S9_EESD_ST_SE_SF_SG_EUlST_E1_NS1_11comp_targetILNS1_3genE3ELNS1_11target_archE908ELNS1_3gpuE7ELNS1_3repE0EEENS1_36merge_oddeven_config_static_selectorELNS0_4arch9wavefront6targetE1EEEvSF_,"axG",@progbits,_ZN7rocprim17ROCPRIM_400000_NS6detail17trampoline_kernelINS0_14default_configENS1_38merge_sort_block_merge_config_selectorIjNS0_10empty_typeEEEZZNS1_27merge_sort_block_merge_implIS3_PjPS5_jNS1_19radix_merge_compareILb0ELb0EjNS0_19identity_decomposerEEEEE10hipError_tT0_T1_T2_jT3_P12ihipStream_tbPNSt15iterator_traitsISE_E10value_typeEPNSK_ISF_E10value_typeEPSG_NS1_7vsmem_tEENKUlT_SE_SF_SG_E_clIS8_S8_S9_S9_EESD_ST_SE_SF_SG_EUlST_E1_NS1_11comp_targetILNS1_3genE3ELNS1_11target_archE908ELNS1_3gpuE7ELNS1_3repE0EEENS1_36merge_oddeven_config_static_selectorELNS0_4arch9wavefront6targetE1EEEvSF_,comdat
.Lfunc_end706:
	.size	_ZN7rocprim17ROCPRIM_400000_NS6detail17trampoline_kernelINS0_14default_configENS1_38merge_sort_block_merge_config_selectorIjNS0_10empty_typeEEEZZNS1_27merge_sort_block_merge_implIS3_PjPS5_jNS1_19radix_merge_compareILb0ELb0EjNS0_19identity_decomposerEEEEE10hipError_tT0_T1_T2_jT3_P12ihipStream_tbPNSt15iterator_traitsISE_E10value_typeEPNSK_ISF_E10value_typeEPSG_NS1_7vsmem_tEENKUlT_SE_SF_SG_E_clIS8_S8_S9_S9_EESD_ST_SE_SF_SG_EUlST_E1_NS1_11comp_targetILNS1_3genE3ELNS1_11target_archE908ELNS1_3gpuE7ELNS1_3repE0EEENS1_36merge_oddeven_config_static_selectorELNS0_4arch9wavefront6targetE1EEEvSF_, .Lfunc_end706-_ZN7rocprim17ROCPRIM_400000_NS6detail17trampoline_kernelINS0_14default_configENS1_38merge_sort_block_merge_config_selectorIjNS0_10empty_typeEEEZZNS1_27merge_sort_block_merge_implIS3_PjPS5_jNS1_19radix_merge_compareILb0ELb0EjNS0_19identity_decomposerEEEEE10hipError_tT0_T1_T2_jT3_P12ihipStream_tbPNSt15iterator_traitsISE_E10value_typeEPNSK_ISF_E10value_typeEPSG_NS1_7vsmem_tEENKUlT_SE_SF_SG_E_clIS8_S8_S9_S9_EESD_ST_SE_SF_SG_EUlST_E1_NS1_11comp_targetILNS1_3genE3ELNS1_11target_archE908ELNS1_3gpuE7ELNS1_3repE0EEENS1_36merge_oddeven_config_static_selectorELNS0_4arch9wavefront6targetE1EEEvSF_
                                        ; -- End function
	.section	.AMDGPU.csdata,"",@progbits
; Kernel info:
; codeLenInByte = 0
; NumSgprs: 4
; NumVgprs: 0
; NumAgprs: 0
; TotalNumVgprs: 0
; ScratchSize: 0
; MemoryBound: 0
; FloatMode: 240
; IeeeMode: 1
; LDSByteSize: 0 bytes/workgroup (compile time only)
; SGPRBlocks: 0
; VGPRBlocks: 0
; NumSGPRsForWavesPerEU: 4
; NumVGPRsForWavesPerEU: 1
; AccumOffset: 4
; Occupancy: 8
; WaveLimiterHint : 0
; COMPUTE_PGM_RSRC2:SCRATCH_EN: 0
; COMPUTE_PGM_RSRC2:USER_SGPR: 6
; COMPUTE_PGM_RSRC2:TRAP_HANDLER: 0
; COMPUTE_PGM_RSRC2:TGID_X_EN: 1
; COMPUTE_PGM_RSRC2:TGID_Y_EN: 0
; COMPUTE_PGM_RSRC2:TGID_Z_EN: 0
; COMPUTE_PGM_RSRC2:TIDIG_COMP_CNT: 0
; COMPUTE_PGM_RSRC3_GFX90A:ACCUM_OFFSET: 0
; COMPUTE_PGM_RSRC3_GFX90A:TG_SPLIT: 0
	.section	.text._ZN7rocprim17ROCPRIM_400000_NS6detail17trampoline_kernelINS0_14default_configENS1_38merge_sort_block_merge_config_selectorIjNS0_10empty_typeEEEZZNS1_27merge_sort_block_merge_implIS3_PjPS5_jNS1_19radix_merge_compareILb0ELb0EjNS0_19identity_decomposerEEEEE10hipError_tT0_T1_T2_jT3_P12ihipStream_tbPNSt15iterator_traitsISE_E10value_typeEPNSK_ISF_E10value_typeEPSG_NS1_7vsmem_tEENKUlT_SE_SF_SG_E_clIS8_S8_S9_S9_EESD_ST_SE_SF_SG_EUlST_E1_NS1_11comp_targetILNS1_3genE2ELNS1_11target_archE906ELNS1_3gpuE6ELNS1_3repE0EEENS1_36merge_oddeven_config_static_selectorELNS0_4arch9wavefront6targetE1EEEvSF_,"axG",@progbits,_ZN7rocprim17ROCPRIM_400000_NS6detail17trampoline_kernelINS0_14default_configENS1_38merge_sort_block_merge_config_selectorIjNS0_10empty_typeEEEZZNS1_27merge_sort_block_merge_implIS3_PjPS5_jNS1_19radix_merge_compareILb0ELb0EjNS0_19identity_decomposerEEEEE10hipError_tT0_T1_T2_jT3_P12ihipStream_tbPNSt15iterator_traitsISE_E10value_typeEPNSK_ISF_E10value_typeEPSG_NS1_7vsmem_tEENKUlT_SE_SF_SG_E_clIS8_S8_S9_S9_EESD_ST_SE_SF_SG_EUlST_E1_NS1_11comp_targetILNS1_3genE2ELNS1_11target_archE906ELNS1_3gpuE6ELNS1_3repE0EEENS1_36merge_oddeven_config_static_selectorELNS0_4arch9wavefront6targetE1EEEvSF_,comdat
	.protected	_ZN7rocprim17ROCPRIM_400000_NS6detail17trampoline_kernelINS0_14default_configENS1_38merge_sort_block_merge_config_selectorIjNS0_10empty_typeEEEZZNS1_27merge_sort_block_merge_implIS3_PjPS5_jNS1_19radix_merge_compareILb0ELb0EjNS0_19identity_decomposerEEEEE10hipError_tT0_T1_T2_jT3_P12ihipStream_tbPNSt15iterator_traitsISE_E10value_typeEPNSK_ISF_E10value_typeEPSG_NS1_7vsmem_tEENKUlT_SE_SF_SG_E_clIS8_S8_S9_S9_EESD_ST_SE_SF_SG_EUlST_E1_NS1_11comp_targetILNS1_3genE2ELNS1_11target_archE906ELNS1_3gpuE6ELNS1_3repE0EEENS1_36merge_oddeven_config_static_selectorELNS0_4arch9wavefront6targetE1EEEvSF_ ; -- Begin function _ZN7rocprim17ROCPRIM_400000_NS6detail17trampoline_kernelINS0_14default_configENS1_38merge_sort_block_merge_config_selectorIjNS0_10empty_typeEEEZZNS1_27merge_sort_block_merge_implIS3_PjPS5_jNS1_19radix_merge_compareILb0ELb0EjNS0_19identity_decomposerEEEEE10hipError_tT0_T1_T2_jT3_P12ihipStream_tbPNSt15iterator_traitsISE_E10value_typeEPNSK_ISF_E10value_typeEPSG_NS1_7vsmem_tEENKUlT_SE_SF_SG_E_clIS8_S8_S9_S9_EESD_ST_SE_SF_SG_EUlST_E1_NS1_11comp_targetILNS1_3genE2ELNS1_11target_archE906ELNS1_3gpuE6ELNS1_3repE0EEENS1_36merge_oddeven_config_static_selectorELNS0_4arch9wavefront6targetE1EEEvSF_
	.globl	_ZN7rocprim17ROCPRIM_400000_NS6detail17trampoline_kernelINS0_14default_configENS1_38merge_sort_block_merge_config_selectorIjNS0_10empty_typeEEEZZNS1_27merge_sort_block_merge_implIS3_PjPS5_jNS1_19radix_merge_compareILb0ELb0EjNS0_19identity_decomposerEEEEE10hipError_tT0_T1_T2_jT3_P12ihipStream_tbPNSt15iterator_traitsISE_E10value_typeEPNSK_ISF_E10value_typeEPSG_NS1_7vsmem_tEENKUlT_SE_SF_SG_E_clIS8_S8_S9_S9_EESD_ST_SE_SF_SG_EUlST_E1_NS1_11comp_targetILNS1_3genE2ELNS1_11target_archE906ELNS1_3gpuE6ELNS1_3repE0EEENS1_36merge_oddeven_config_static_selectorELNS0_4arch9wavefront6targetE1EEEvSF_
	.p2align	8
	.type	_ZN7rocprim17ROCPRIM_400000_NS6detail17trampoline_kernelINS0_14default_configENS1_38merge_sort_block_merge_config_selectorIjNS0_10empty_typeEEEZZNS1_27merge_sort_block_merge_implIS3_PjPS5_jNS1_19radix_merge_compareILb0ELb0EjNS0_19identity_decomposerEEEEE10hipError_tT0_T1_T2_jT3_P12ihipStream_tbPNSt15iterator_traitsISE_E10value_typeEPNSK_ISF_E10value_typeEPSG_NS1_7vsmem_tEENKUlT_SE_SF_SG_E_clIS8_S8_S9_S9_EESD_ST_SE_SF_SG_EUlST_E1_NS1_11comp_targetILNS1_3genE2ELNS1_11target_archE906ELNS1_3gpuE6ELNS1_3repE0EEENS1_36merge_oddeven_config_static_selectorELNS0_4arch9wavefront6targetE1EEEvSF_,@function
_ZN7rocprim17ROCPRIM_400000_NS6detail17trampoline_kernelINS0_14default_configENS1_38merge_sort_block_merge_config_selectorIjNS0_10empty_typeEEEZZNS1_27merge_sort_block_merge_implIS3_PjPS5_jNS1_19radix_merge_compareILb0ELb0EjNS0_19identity_decomposerEEEEE10hipError_tT0_T1_T2_jT3_P12ihipStream_tbPNSt15iterator_traitsISE_E10value_typeEPNSK_ISF_E10value_typeEPSG_NS1_7vsmem_tEENKUlT_SE_SF_SG_E_clIS8_S8_S9_S9_EESD_ST_SE_SF_SG_EUlST_E1_NS1_11comp_targetILNS1_3genE2ELNS1_11target_archE906ELNS1_3gpuE6ELNS1_3repE0EEENS1_36merge_oddeven_config_static_selectorELNS0_4arch9wavefront6targetE1EEEvSF_: ; @_ZN7rocprim17ROCPRIM_400000_NS6detail17trampoline_kernelINS0_14default_configENS1_38merge_sort_block_merge_config_selectorIjNS0_10empty_typeEEEZZNS1_27merge_sort_block_merge_implIS3_PjPS5_jNS1_19radix_merge_compareILb0ELb0EjNS0_19identity_decomposerEEEEE10hipError_tT0_T1_T2_jT3_P12ihipStream_tbPNSt15iterator_traitsISE_E10value_typeEPNSK_ISF_E10value_typeEPSG_NS1_7vsmem_tEENKUlT_SE_SF_SG_E_clIS8_S8_S9_S9_EESD_ST_SE_SF_SG_EUlST_E1_NS1_11comp_targetILNS1_3genE2ELNS1_11target_archE906ELNS1_3gpuE6ELNS1_3repE0EEENS1_36merge_oddeven_config_static_selectorELNS0_4arch9wavefront6targetE1EEEvSF_
; %bb.0:
	.section	.rodata,"a",@progbits
	.p2align	6, 0x0
	.amdhsa_kernel _ZN7rocprim17ROCPRIM_400000_NS6detail17trampoline_kernelINS0_14default_configENS1_38merge_sort_block_merge_config_selectorIjNS0_10empty_typeEEEZZNS1_27merge_sort_block_merge_implIS3_PjPS5_jNS1_19radix_merge_compareILb0ELb0EjNS0_19identity_decomposerEEEEE10hipError_tT0_T1_T2_jT3_P12ihipStream_tbPNSt15iterator_traitsISE_E10value_typeEPNSK_ISF_E10value_typeEPSG_NS1_7vsmem_tEENKUlT_SE_SF_SG_E_clIS8_S8_S9_S9_EESD_ST_SE_SF_SG_EUlST_E1_NS1_11comp_targetILNS1_3genE2ELNS1_11target_archE906ELNS1_3gpuE6ELNS1_3repE0EEENS1_36merge_oddeven_config_static_selectorELNS0_4arch9wavefront6targetE1EEEvSF_
		.amdhsa_group_segment_fixed_size 0
		.amdhsa_private_segment_fixed_size 0
		.amdhsa_kernarg_size 48
		.amdhsa_user_sgpr_count 6
		.amdhsa_user_sgpr_private_segment_buffer 1
		.amdhsa_user_sgpr_dispatch_ptr 0
		.amdhsa_user_sgpr_queue_ptr 0
		.amdhsa_user_sgpr_kernarg_segment_ptr 1
		.amdhsa_user_sgpr_dispatch_id 0
		.amdhsa_user_sgpr_flat_scratch_init 0
		.amdhsa_user_sgpr_kernarg_preload_length 0
		.amdhsa_user_sgpr_kernarg_preload_offset 0
		.amdhsa_user_sgpr_private_segment_size 0
		.amdhsa_uses_dynamic_stack 0
		.amdhsa_system_sgpr_private_segment_wavefront_offset 0
		.amdhsa_system_sgpr_workgroup_id_x 1
		.amdhsa_system_sgpr_workgroup_id_y 0
		.amdhsa_system_sgpr_workgroup_id_z 0
		.amdhsa_system_sgpr_workgroup_info 0
		.amdhsa_system_vgpr_workitem_id 0
		.amdhsa_next_free_vgpr 1
		.amdhsa_next_free_sgpr 0
		.amdhsa_accum_offset 4
		.amdhsa_reserve_vcc 0
		.amdhsa_reserve_flat_scratch 0
		.amdhsa_float_round_mode_32 0
		.amdhsa_float_round_mode_16_64 0
		.amdhsa_float_denorm_mode_32 3
		.amdhsa_float_denorm_mode_16_64 3
		.amdhsa_dx10_clamp 1
		.amdhsa_ieee_mode 1
		.amdhsa_fp16_overflow 0
		.amdhsa_tg_split 0
		.amdhsa_exception_fp_ieee_invalid_op 0
		.amdhsa_exception_fp_denorm_src 0
		.amdhsa_exception_fp_ieee_div_zero 0
		.amdhsa_exception_fp_ieee_overflow 0
		.amdhsa_exception_fp_ieee_underflow 0
		.amdhsa_exception_fp_ieee_inexact 0
		.amdhsa_exception_int_div_zero 0
	.end_amdhsa_kernel
	.section	.text._ZN7rocprim17ROCPRIM_400000_NS6detail17trampoline_kernelINS0_14default_configENS1_38merge_sort_block_merge_config_selectorIjNS0_10empty_typeEEEZZNS1_27merge_sort_block_merge_implIS3_PjPS5_jNS1_19radix_merge_compareILb0ELb0EjNS0_19identity_decomposerEEEEE10hipError_tT0_T1_T2_jT3_P12ihipStream_tbPNSt15iterator_traitsISE_E10value_typeEPNSK_ISF_E10value_typeEPSG_NS1_7vsmem_tEENKUlT_SE_SF_SG_E_clIS8_S8_S9_S9_EESD_ST_SE_SF_SG_EUlST_E1_NS1_11comp_targetILNS1_3genE2ELNS1_11target_archE906ELNS1_3gpuE6ELNS1_3repE0EEENS1_36merge_oddeven_config_static_selectorELNS0_4arch9wavefront6targetE1EEEvSF_,"axG",@progbits,_ZN7rocprim17ROCPRIM_400000_NS6detail17trampoline_kernelINS0_14default_configENS1_38merge_sort_block_merge_config_selectorIjNS0_10empty_typeEEEZZNS1_27merge_sort_block_merge_implIS3_PjPS5_jNS1_19radix_merge_compareILb0ELb0EjNS0_19identity_decomposerEEEEE10hipError_tT0_T1_T2_jT3_P12ihipStream_tbPNSt15iterator_traitsISE_E10value_typeEPNSK_ISF_E10value_typeEPSG_NS1_7vsmem_tEENKUlT_SE_SF_SG_E_clIS8_S8_S9_S9_EESD_ST_SE_SF_SG_EUlST_E1_NS1_11comp_targetILNS1_3genE2ELNS1_11target_archE906ELNS1_3gpuE6ELNS1_3repE0EEENS1_36merge_oddeven_config_static_selectorELNS0_4arch9wavefront6targetE1EEEvSF_,comdat
.Lfunc_end707:
	.size	_ZN7rocprim17ROCPRIM_400000_NS6detail17trampoline_kernelINS0_14default_configENS1_38merge_sort_block_merge_config_selectorIjNS0_10empty_typeEEEZZNS1_27merge_sort_block_merge_implIS3_PjPS5_jNS1_19radix_merge_compareILb0ELb0EjNS0_19identity_decomposerEEEEE10hipError_tT0_T1_T2_jT3_P12ihipStream_tbPNSt15iterator_traitsISE_E10value_typeEPNSK_ISF_E10value_typeEPSG_NS1_7vsmem_tEENKUlT_SE_SF_SG_E_clIS8_S8_S9_S9_EESD_ST_SE_SF_SG_EUlST_E1_NS1_11comp_targetILNS1_3genE2ELNS1_11target_archE906ELNS1_3gpuE6ELNS1_3repE0EEENS1_36merge_oddeven_config_static_selectorELNS0_4arch9wavefront6targetE1EEEvSF_, .Lfunc_end707-_ZN7rocprim17ROCPRIM_400000_NS6detail17trampoline_kernelINS0_14default_configENS1_38merge_sort_block_merge_config_selectorIjNS0_10empty_typeEEEZZNS1_27merge_sort_block_merge_implIS3_PjPS5_jNS1_19radix_merge_compareILb0ELb0EjNS0_19identity_decomposerEEEEE10hipError_tT0_T1_T2_jT3_P12ihipStream_tbPNSt15iterator_traitsISE_E10value_typeEPNSK_ISF_E10value_typeEPSG_NS1_7vsmem_tEENKUlT_SE_SF_SG_E_clIS8_S8_S9_S9_EESD_ST_SE_SF_SG_EUlST_E1_NS1_11comp_targetILNS1_3genE2ELNS1_11target_archE906ELNS1_3gpuE6ELNS1_3repE0EEENS1_36merge_oddeven_config_static_selectorELNS0_4arch9wavefront6targetE1EEEvSF_
                                        ; -- End function
	.section	.AMDGPU.csdata,"",@progbits
; Kernel info:
; codeLenInByte = 0
; NumSgprs: 4
; NumVgprs: 0
; NumAgprs: 0
; TotalNumVgprs: 0
; ScratchSize: 0
; MemoryBound: 0
; FloatMode: 240
; IeeeMode: 1
; LDSByteSize: 0 bytes/workgroup (compile time only)
; SGPRBlocks: 0
; VGPRBlocks: 0
; NumSGPRsForWavesPerEU: 4
; NumVGPRsForWavesPerEU: 1
; AccumOffset: 4
; Occupancy: 8
; WaveLimiterHint : 0
; COMPUTE_PGM_RSRC2:SCRATCH_EN: 0
; COMPUTE_PGM_RSRC2:USER_SGPR: 6
; COMPUTE_PGM_RSRC2:TRAP_HANDLER: 0
; COMPUTE_PGM_RSRC2:TGID_X_EN: 1
; COMPUTE_PGM_RSRC2:TGID_Y_EN: 0
; COMPUTE_PGM_RSRC2:TGID_Z_EN: 0
; COMPUTE_PGM_RSRC2:TIDIG_COMP_CNT: 0
; COMPUTE_PGM_RSRC3_GFX90A:ACCUM_OFFSET: 0
; COMPUTE_PGM_RSRC3_GFX90A:TG_SPLIT: 0
	.section	.text._ZN7rocprim17ROCPRIM_400000_NS6detail17trampoline_kernelINS0_14default_configENS1_38merge_sort_block_merge_config_selectorIjNS0_10empty_typeEEEZZNS1_27merge_sort_block_merge_implIS3_PjPS5_jNS1_19radix_merge_compareILb0ELb0EjNS0_19identity_decomposerEEEEE10hipError_tT0_T1_T2_jT3_P12ihipStream_tbPNSt15iterator_traitsISE_E10value_typeEPNSK_ISF_E10value_typeEPSG_NS1_7vsmem_tEENKUlT_SE_SF_SG_E_clIS8_S8_S9_S9_EESD_ST_SE_SF_SG_EUlST_E1_NS1_11comp_targetILNS1_3genE9ELNS1_11target_archE1100ELNS1_3gpuE3ELNS1_3repE0EEENS1_36merge_oddeven_config_static_selectorELNS0_4arch9wavefront6targetE1EEEvSF_,"axG",@progbits,_ZN7rocprim17ROCPRIM_400000_NS6detail17trampoline_kernelINS0_14default_configENS1_38merge_sort_block_merge_config_selectorIjNS0_10empty_typeEEEZZNS1_27merge_sort_block_merge_implIS3_PjPS5_jNS1_19radix_merge_compareILb0ELb0EjNS0_19identity_decomposerEEEEE10hipError_tT0_T1_T2_jT3_P12ihipStream_tbPNSt15iterator_traitsISE_E10value_typeEPNSK_ISF_E10value_typeEPSG_NS1_7vsmem_tEENKUlT_SE_SF_SG_E_clIS8_S8_S9_S9_EESD_ST_SE_SF_SG_EUlST_E1_NS1_11comp_targetILNS1_3genE9ELNS1_11target_archE1100ELNS1_3gpuE3ELNS1_3repE0EEENS1_36merge_oddeven_config_static_selectorELNS0_4arch9wavefront6targetE1EEEvSF_,comdat
	.protected	_ZN7rocprim17ROCPRIM_400000_NS6detail17trampoline_kernelINS0_14default_configENS1_38merge_sort_block_merge_config_selectorIjNS0_10empty_typeEEEZZNS1_27merge_sort_block_merge_implIS3_PjPS5_jNS1_19radix_merge_compareILb0ELb0EjNS0_19identity_decomposerEEEEE10hipError_tT0_T1_T2_jT3_P12ihipStream_tbPNSt15iterator_traitsISE_E10value_typeEPNSK_ISF_E10value_typeEPSG_NS1_7vsmem_tEENKUlT_SE_SF_SG_E_clIS8_S8_S9_S9_EESD_ST_SE_SF_SG_EUlST_E1_NS1_11comp_targetILNS1_3genE9ELNS1_11target_archE1100ELNS1_3gpuE3ELNS1_3repE0EEENS1_36merge_oddeven_config_static_selectorELNS0_4arch9wavefront6targetE1EEEvSF_ ; -- Begin function _ZN7rocprim17ROCPRIM_400000_NS6detail17trampoline_kernelINS0_14default_configENS1_38merge_sort_block_merge_config_selectorIjNS0_10empty_typeEEEZZNS1_27merge_sort_block_merge_implIS3_PjPS5_jNS1_19radix_merge_compareILb0ELb0EjNS0_19identity_decomposerEEEEE10hipError_tT0_T1_T2_jT3_P12ihipStream_tbPNSt15iterator_traitsISE_E10value_typeEPNSK_ISF_E10value_typeEPSG_NS1_7vsmem_tEENKUlT_SE_SF_SG_E_clIS8_S8_S9_S9_EESD_ST_SE_SF_SG_EUlST_E1_NS1_11comp_targetILNS1_3genE9ELNS1_11target_archE1100ELNS1_3gpuE3ELNS1_3repE0EEENS1_36merge_oddeven_config_static_selectorELNS0_4arch9wavefront6targetE1EEEvSF_
	.globl	_ZN7rocprim17ROCPRIM_400000_NS6detail17trampoline_kernelINS0_14default_configENS1_38merge_sort_block_merge_config_selectorIjNS0_10empty_typeEEEZZNS1_27merge_sort_block_merge_implIS3_PjPS5_jNS1_19radix_merge_compareILb0ELb0EjNS0_19identity_decomposerEEEEE10hipError_tT0_T1_T2_jT3_P12ihipStream_tbPNSt15iterator_traitsISE_E10value_typeEPNSK_ISF_E10value_typeEPSG_NS1_7vsmem_tEENKUlT_SE_SF_SG_E_clIS8_S8_S9_S9_EESD_ST_SE_SF_SG_EUlST_E1_NS1_11comp_targetILNS1_3genE9ELNS1_11target_archE1100ELNS1_3gpuE3ELNS1_3repE0EEENS1_36merge_oddeven_config_static_selectorELNS0_4arch9wavefront6targetE1EEEvSF_
	.p2align	8
	.type	_ZN7rocprim17ROCPRIM_400000_NS6detail17trampoline_kernelINS0_14default_configENS1_38merge_sort_block_merge_config_selectorIjNS0_10empty_typeEEEZZNS1_27merge_sort_block_merge_implIS3_PjPS5_jNS1_19radix_merge_compareILb0ELb0EjNS0_19identity_decomposerEEEEE10hipError_tT0_T1_T2_jT3_P12ihipStream_tbPNSt15iterator_traitsISE_E10value_typeEPNSK_ISF_E10value_typeEPSG_NS1_7vsmem_tEENKUlT_SE_SF_SG_E_clIS8_S8_S9_S9_EESD_ST_SE_SF_SG_EUlST_E1_NS1_11comp_targetILNS1_3genE9ELNS1_11target_archE1100ELNS1_3gpuE3ELNS1_3repE0EEENS1_36merge_oddeven_config_static_selectorELNS0_4arch9wavefront6targetE1EEEvSF_,@function
_ZN7rocprim17ROCPRIM_400000_NS6detail17trampoline_kernelINS0_14default_configENS1_38merge_sort_block_merge_config_selectorIjNS0_10empty_typeEEEZZNS1_27merge_sort_block_merge_implIS3_PjPS5_jNS1_19radix_merge_compareILb0ELb0EjNS0_19identity_decomposerEEEEE10hipError_tT0_T1_T2_jT3_P12ihipStream_tbPNSt15iterator_traitsISE_E10value_typeEPNSK_ISF_E10value_typeEPSG_NS1_7vsmem_tEENKUlT_SE_SF_SG_E_clIS8_S8_S9_S9_EESD_ST_SE_SF_SG_EUlST_E1_NS1_11comp_targetILNS1_3genE9ELNS1_11target_archE1100ELNS1_3gpuE3ELNS1_3repE0EEENS1_36merge_oddeven_config_static_selectorELNS0_4arch9wavefront6targetE1EEEvSF_: ; @_ZN7rocprim17ROCPRIM_400000_NS6detail17trampoline_kernelINS0_14default_configENS1_38merge_sort_block_merge_config_selectorIjNS0_10empty_typeEEEZZNS1_27merge_sort_block_merge_implIS3_PjPS5_jNS1_19radix_merge_compareILb0ELb0EjNS0_19identity_decomposerEEEEE10hipError_tT0_T1_T2_jT3_P12ihipStream_tbPNSt15iterator_traitsISE_E10value_typeEPNSK_ISF_E10value_typeEPSG_NS1_7vsmem_tEENKUlT_SE_SF_SG_E_clIS8_S8_S9_S9_EESD_ST_SE_SF_SG_EUlST_E1_NS1_11comp_targetILNS1_3genE9ELNS1_11target_archE1100ELNS1_3gpuE3ELNS1_3repE0EEENS1_36merge_oddeven_config_static_selectorELNS0_4arch9wavefront6targetE1EEEvSF_
; %bb.0:
	.section	.rodata,"a",@progbits
	.p2align	6, 0x0
	.amdhsa_kernel _ZN7rocprim17ROCPRIM_400000_NS6detail17trampoline_kernelINS0_14default_configENS1_38merge_sort_block_merge_config_selectorIjNS0_10empty_typeEEEZZNS1_27merge_sort_block_merge_implIS3_PjPS5_jNS1_19radix_merge_compareILb0ELb0EjNS0_19identity_decomposerEEEEE10hipError_tT0_T1_T2_jT3_P12ihipStream_tbPNSt15iterator_traitsISE_E10value_typeEPNSK_ISF_E10value_typeEPSG_NS1_7vsmem_tEENKUlT_SE_SF_SG_E_clIS8_S8_S9_S9_EESD_ST_SE_SF_SG_EUlST_E1_NS1_11comp_targetILNS1_3genE9ELNS1_11target_archE1100ELNS1_3gpuE3ELNS1_3repE0EEENS1_36merge_oddeven_config_static_selectorELNS0_4arch9wavefront6targetE1EEEvSF_
		.amdhsa_group_segment_fixed_size 0
		.amdhsa_private_segment_fixed_size 0
		.amdhsa_kernarg_size 48
		.amdhsa_user_sgpr_count 6
		.amdhsa_user_sgpr_private_segment_buffer 1
		.amdhsa_user_sgpr_dispatch_ptr 0
		.amdhsa_user_sgpr_queue_ptr 0
		.amdhsa_user_sgpr_kernarg_segment_ptr 1
		.amdhsa_user_sgpr_dispatch_id 0
		.amdhsa_user_sgpr_flat_scratch_init 0
		.amdhsa_user_sgpr_kernarg_preload_length 0
		.amdhsa_user_sgpr_kernarg_preload_offset 0
		.amdhsa_user_sgpr_private_segment_size 0
		.amdhsa_uses_dynamic_stack 0
		.amdhsa_system_sgpr_private_segment_wavefront_offset 0
		.amdhsa_system_sgpr_workgroup_id_x 1
		.amdhsa_system_sgpr_workgroup_id_y 0
		.amdhsa_system_sgpr_workgroup_id_z 0
		.amdhsa_system_sgpr_workgroup_info 0
		.amdhsa_system_vgpr_workitem_id 0
		.amdhsa_next_free_vgpr 1
		.amdhsa_next_free_sgpr 0
		.amdhsa_accum_offset 4
		.amdhsa_reserve_vcc 0
		.amdhsa_reserve_flat_scratch 0
		.amdhsa_float_round_mode_32 0
		.amdhsa_float_round_mode_16_64 0
		.amdhsa_float_denorm_mode_32 3
		.amdhsa_float_denorm_mode_16_64 3
		.amdhsa_dx10_clamp 1
		.amdhsa_ieee_mode 1
		.amdhsa_fp16_overflow 0
		.amdhsa_tg_split 0
		.amdhsa_exception_fp_ieee_invalid_op 0
		.amdhsa_exception_fp_denorm_src 0
		.amdhsa_exception_fp_ieee_div_zero 0
		.amdhsa_exception_fp_ieee_overflow 0
		.amdhsa_exception_fp_ieee_underflow 0
		.amdhsa_exception_fp_ieee_inexact 0
		.amdhsa_exception_int_div_zero 0
	.end_amdhsa_kernel
	.section	.text._ZN7rocprim17ROCPRIM_400000_NS6detail17trampoline_kernelINS0_14default_configENS1_38merge_sort_block_merge_config_selectorIjNS0_10empty_typeEEEZZNS1_27merge_sort_block_merge_implIS3_PjPS5_jNS1_19radix_merge_compareILb0ELb0EjNS0_19identity_decomposerEEEEE10hipError_tT0_T1_T2_jT3_P12ihipStream_tbPNSt15iterator_traitsISE_E10value_typeEPNSK_ISF_E10value_typeEPSG_NS1_7vsmem_tEENKUlT_SE_SF_SG_E_clIS8_S8_S9_S9_EESD_ST_SE_SF_SG_EUlST_E1_NS1_11comp_targetILNS1_3genE9ELNS1_11target_archE1100ELNS1_3gpuE3ELNS1_3repE0EEENS1_36merge_oddeven_config_static_selectorELNS0_4arch9wavefront6targetE1EEEvSF_,"axG",@progbits,_ZN7rocprim17ROCPRIM_400000_NS6detail17trampoline_kernelINS0_14default_configENS1_38merge_sort_block_merge_config_selectorIjNS0_10empty_typeEEEZZNS1_27merge_sort_block_merge_implIS3_PjPS5_jNS1_19radix_merge_compareILb0ELb0EjNS0_19identity_decomposerEEEEE10hipError_tT0_T1_T2_jT3_P12ihipStream_tbPNSt15iterator_traitsISE_E10value_typeEPNSK_ISF_E10value_typeEPSG_NS1_7vsmem_tEENKUlT_SE_SF_SG_E_clIS8_S8_S9_S9_EESD_ST_SE_SF_SG_EUlST_E1_NS1_11comp_targetILNS1_3genE9ELNS1_11target_archE1100ELNS1_3gpuE3ELNS1_3repE0EEENS1_36merge_oddeven_config_static_selectorELNS0_4arch9wavefront6targetE1EEEvSF_,comdat
.Lfunc_end708:
	.size	_ZN7rocprim17ROCPRIM_400000_NS6detail17trampoline_kernelINS0_14default_configENS1_38merge_sort_block_merge_config_selectorIjNS0_10empty_typeEEEZZNS1_27merge_sort_block_merge_implIS3_PjPS5_jNS1_19radix_merge_compareILb0ELb0EjNS0_19identity_decomposerEEEEE10hipError_tT0_T1_T2_jT3_P12ihipStream_tbPNSt15iterator_traitsISE_E10value_typeEPNSK_ISF_E10value_typeEPSG_NS1_7vsmem_tEENKUlT_SE_SF_SG_E_clIS8_S8_S9_S9_EESD_ST_SE_SF_SG_EUlST_E1_NS1_11comp_targetILNS1_3genE9ELNS1_11target_archE1100ELNS1_3gpuE3ELNS1_3repE0EEENS1_36merge_oddeven_config_static_selectorELNS0_4arch9wavefront6targetE1EEEvSF_, .Lfunc_end708-_ZN7rocprim17ROCPRIM_400000_NS6detail17trampoline_kernelINS0_14default_configENS1_38merge_sort_block_merge_config_selectorIjNS0_10empty_typeEEEZZNS1_27merge_sort_block_merge_implIS3_PjPS5_jNS1_19radix_merge_compareILb0ELb0EjNS0_19identity_decomposerEEEEE10hipError_tT0_T1_T2_jT3_P12ihipStream_tbPNSt15iterator_traitsISE_E10value_typeEPNSK_ISF_E10value_typeEPSG_NS1_7vsmem_tEENKUlT_SE_SF_SG_E_clIS8_S8_S9_S9_EESD_ST_SE_SF_SG_EUlST_E1_NS1_11comp_targetILNS1_3genE9ELNS1_11target_archE1100ELNS1_3gpuE3ELNS1_3repE0EEENS1_36merge_oddeven_config_static_selectorELNS0_4arch9wavefront6targetE1EEEvSF_
                                        ; -- End function
	.section	.AMDGPU.csdata,"",@progbits
; Kernel info:
; codeLenInByte = 0
; NumSgprs: 4
; NumVgprs: 0
; NumAgprs: 0
; TotalNumVgprs: 0
; ScratchSize: 0
; MemoryBound: 0
; FloatMode: 240
; IeeeMode: 1
; LDSByteSize: 0 bytes/workgroup (compile time only)
; SGPRBlocks: 0
; VGPRBlocks: 0
; NumSGPRsForWavesPerEU: 4
; NumVGPRsForWavesPerEU: 1
; AccumOffset: 4
; Occupancy: 8
; WaveLimiterHint : 0
; COMPUTE_PGM_RSRC2:SCRATCH_EN: 0
; COMPUTE_PGM_RSRC2:USER_SGPR: 6
; COMPUTE_PGM_RSRC2:TRAP_HANDLER: 0
; COMPUTE_PGM_RSRC2:TGID_X_EN: 1
; COMPUTE_PGM_RSRC2:TGID_Y_EN: 0
; COMPUTE_PGM_RSRC2:TGID_Z_EN: 0
; COMPUTE_PGM_RSRC2:TIDIG_COMP_CNT: 0
; COMPUTE_PGM_RSRC3_GFX90A:ACCUM_OFFSET: 0
; COMPUTE_PGM_RSRC3_GFX90A:TG_SPLIT: 0
	.section	.text._ZN7rocprim17ROCPRIM_400000_NS6detail17trampoline_kernelINS0_14default_configENS1_38merge_sort_block_merge_config_selectorIjNS0_10empty_typeEEEZZNS1_27merge_sort_block_merge_implIS3_PjPS5_jNS1_19radix_merge_compareILb0ELb0EjNS0_19identity_decomposerEEEEE10hipError_tT0_T1_T2_jT3_P12ihipStream_tbPNSt15iterator_traitsISE_E10value_typeEPNSK_ISF_E10value_typeEPSG_NS1_7vsmem_tEENKUlT_SE_SF_SG_E_clIS8_S8_S9_S9_EESD_ST_SE_SF_SG_EUlST_E1_NS1_11comp_targetILNS1_3genE8ELNS1_11target_archE1030ELNS1_3gpuE2ELNS1_3repE0EEENS1_36merge_oddeven_config_static_selectorELNS0_4arch9wavefront6targetE1EEEvSF_,"axG",@progbits,_ZN7rocprim17ROCPRIM_400000_NS6detail17trampoline_kernelINS0_14default_configENS1_38merge_sort_block_merge_config_selectorIjNS0_10empty_typeEEEZZNS1_27merge_sort_block_merge_implIS3_PjPS5_jNS1_19radix_merge_compareILb0ELb0EjNS0_19identity_decomposerEEEEE10hipError_tT0_T1_T2_jT3_P12ihipStream_tbPNSt15iterator_traitsISE_E10value_typeEPNSK_ISF_E10value_typeEPSG_NS1_7vsmem_tEENKUlT_SE_SF_SG_E_clIS8_S8_S9_S9_EESD_ST_SE_SF_SG_EUlST_E1_NS1_11comp_targetILNS1_3genE8ELNS1_11target_archE1030ELNS1_3gpuE2ELNS1_3repE0EEENS1_36merge_oddeven_config_static_selectorELNS0_4arch9wavefront6targetE1EEEvSF_,comdat
	.protected	_ZN7rocprim17ROCPRIM_400000_NS6detail17trampoline_kernelINS0_14default_configENS1_38merge_sort_block_merge_config_selectorIjNS0_10empty_typeEEEZZNS1_27merge_sort_block_merge_implIS3_PjPS5_jNS1_19radix_merge_compareILb0ELb0EjNS0_19identity_decomposerEEEEE10hipError_tT0_T1_T2_jT3_P12ihipStream_tbPNSt15iterator_traitsISE_E10value_typeEPNSK_ISF_E10value_typeEPSG_NS1_7vsmem_tEENKUlT_SE_SF_SG_E_clIS8_S8_S9_S9_EESD_ST_SE_SF_SG_EUlST_E1_NS1_11comp_targetILNS1_3genE8ELNS1_11target_archE1030ELNS1_3gpuE2ELNS1_3repE0EEENS1_36merge_oddeven_config_static_selectorELNS0_4arch9wavefront6targetE1EEEvSF_ ; -- Begin function _ZN7rocprim17ROCPRIM_400000_NS6detail17trampoline_kernelINS0_14default_configENS1_38merge_sort_block_merge_config_selectorIjNS0_10empty_typeEEEZZNS1_27merge_sort_block_merge_implIS3_PjPS5_jNS1_19radix_merge_compareILb0ELb0EjNS0_19identity_decomposerEEEEE10hipError_tT0_T1_T2_jT3_P12ihipStream_tbPNSt15iterator_traitsISE_E10value_typeEPNSK_ISF_E10value_typeEPSG_NS1_7vsmem_tEENKUlT_SE_SF_SG_E_clIS8_S8_S9_S9_EESD_ST_SE_SF_SG_EUlST_E1_NS1_11comp_targetILNS1_3genE8ELNS1_11target_archE1030ELNS1_3gpuE2ELNS1_3repE0EEENS1_36merge_oddeven_config_static_selectorELNS0_4arch9wavefront6targetE1EEEvSF_
	.globl	_ZN7rocprim17ROCPRIM_400000_NS6detail17trampoline_kernelINS0_14default_configENS1_38merge_sort_block_merge_config_selectorIjNS0_10empty_typeEEEZZNS1_27merge_sort_block_merge_implIS3_PjPS5_jNS1_19radix_merge_compareILb0ELb0EjNS0_19identity_decomposerEEEEE10hipError_tT0_T1_T2_jT3_P12ihipStream_tbPNSt15iterator_traitsISE_E10value_typeEPNSK_ISF_E10value_typeEPSG_NS1_7vsmem_tEENKUlT_SE_SF_SG_E_clIS8_S8_S9_S9_EESD_ST_SE_SF_SG_EUlST_E1_NS1_11comp_targetILNS1_3genE8ELNS1_11target_archE1030ELNS1_3gpuE2ELNS1_3repE0EEENS1_36merge_oddeven_config_static_selectorELNS0_4arch9wavefront6targetE1EEEvSF_
	.p2align	8
	.type	_ZN7rocprim17ROCPRIM_400000_NS6detail17trampoline_kernelINS0_14default_configENS1_38merge_sort_block_merge_config_selectorIjNS0_10empty_typeEEEZZNS1_27merge_sort_block_merge_implIS3_PjPS5_jNS1_19radix_merge_compareILb0ELb0EjNS0_19identity_decomposerEEEEE10hipError_tT0_T1_T2_jT3_P12ihipStream_tbPNSt15iterator_traitsISE_E10value_typeEPNSK_ISF_E10value_typeEPSG_NS1_7vsmem_tEENKUlT_SE_SF_SG_E_clIS8_S8_S9_S9_EESD_ST_SE_SF_SG_EUlST_E1_NS1_11comp_targetILNS1_3genE8ELNS1_11target_archE1030ELNS1_3gpuE2ELNS1_3repE0EEENS1_36merge_oddeven_config_static_selectorELNS0_4arch9wavefront6targetE1EEEvSF_,@function
_ZN7rocprim17ROCPRIM_400000_NS6detail17trampoline_kernelINS0_14default_configENS1_38merge_sort_block_merge_config_selectorIjNS0_10empty_typeEEEZZNS1_27merge_sort_block_merge_implIS3_PjPS5_jNS1_19radix_merge_compareILb0ELb0EjNS0_19identity_decomposerEEEEE10hipError_tT0_T1_T2_jT3_P12ihipStream_tbPNSt15iterator_traitsISE_E10value_typeEPNSK_ISF_E10value_typeEPSG_NS1_7vsmem_tEENKUlT_SE_SF_SG_E_clIS8_S8_S9_S9_EESD_ST_SE_SF_SG_EUlST_E1_NS1_11comp_targetILNS1_3genE8ELNS1_11target_archE1030ELNS1_3gpuE2ELNS1_3repE0EEENS1_36merge_oddeven_config_static_selectorELNS0_4arch9wavefront6targetE1EEEvSF_: ; @_ZN7rocprim17ROCPRIM_400000_NS6detail17trampoline_kernelINS0_14default_configENS1_38merge_sort_block_merge_config_selectorIjNS0_10empty_typeEEEZZNS1_27merge_sort_block_merge_implIS3_PjPS5_jNS1_19radix_merge_compareILb0ELb0EjNS0_19identity_decomposerEEEEE10hipError_tT0_T1_T2_jT3_P12ihipStream_tbPNSt15iterator_traitsISE_E10value_typeEPNSK_ISF_E10value_typeEPSG_NS1_7vsmem_tEENKUlT_SE_SF_SG_E_clIS8_S8_S9_S9_EESD_ST_SE_SF_SG_EUlST_E1_NS1_11comp_targetILNS1_3genE8ELNS1_11target_archE1030ELNS1_3gpuE2ELNS1_3repE0EEENS1_36merge_oddeven_config_static_selectorELNS0_4arch9wavefront6targetE1EEEvSF_
; %bb.0:
	.section	.rodata,"a",@progbits
	.p2align	6, 0x0
	.amdhsa_kernel _ZN7rocprim17ROCPRIM_400000_NS6detail17trampoline_kernelINS0_14default_configENS1_38merge_sort_block_merge_config_selectorIjNS0_10empty_typeEEEZZNS1_27merge_sort_block_merge_implIS3_PjPS5_jNS1_19radix_merge_compareILb0ELb0EjNS0_19identity_decomposerEEEEE10hipError_tT0_T1_T2_jT3_P12ihipStream_tbPNSt15iterator_traitsISE_E10value_typeEPNSK_ISF_E10value_typeEPSG_NS1_7vsmem_tEENKUlT_SE_SF_SG_E_clIS8_S8_S9_S9_EESD_ST_SE_SF_SG_EUlST_E1_NS1_11comp_targetILNS1_3genE8ELNS1_11target_archE1030ELNS1_3gpuE2ELNS1_3repE0EEENS1_36merge_oddeven_config_static_selectorELNS0_4arch9wavefront6targetE1EEEvSF_
		.amdhsa_group_segment_fixed_size 0
		.amdhsa_private_segment_fixed_size 0
		.amdhsa_kernarg_size 48
		.amdhsa_user_sgpr_count 6
		.amdhsa_user_sgpr_private_segment_buffer 1
		.amdhsa_user_sgpr_dispatch_ptr 0
		.amdhsa_user_sgpr_queue_ptr 0
		.amdhsa_user_sgpr_kernarg_segment_ptr 1
		.amdhsa_user_sgpr_dispatch_id 0
		.amdhsa_user_sgpr_flat_scratch_init 0
		.amdhsa_user_sgpr_kernarg_preload_length 0
		.amdhsa_user_sgpr_kernarg_preload_offset 0
		.amdhsa_user_sgpr_private_segment_size 0
		.amdhsa_uses_dynamic_stack 0
		.amdhsa_system_sgpr_private_segment_wavefront_offset 0
		.amdhsa_system_sgpr_workgroup_id_x 1
		.amdhsa_system_sgpr_workgroup_id_y 0
		.amdhsa_system_sgpr_workgroup_id_z 0
		.amdhsa_system_sgpr_workgroup_info 0
		.amdhsa_system_vgpr_workitem_id 0
		.amdhsa_next_free_vgpr 1
		.amdhsa_next_free_sgpr 0
		.amdhsa_accum_offset 4
		.amdhsa_reserve_vcc 0
		.amdhsa_reserve_flat_scratch 0
		.amdhsa_float_round_mode_32 0
		.amdhsa_float_round_mode_16_64 0
		.amdhsa_float_denorm_mode_32 3
		.amdhsa_float_denorm_mode_16_64 3
		.amdhsa_dx10_clamp 1
		.amdhsa_ieee_mode 1
		.amdhsa_fp16_overflow 0
		.amdhsa_tg_split 0
		.amdhsa_exception_fp_ieee_invalid_op 0
		.amdhsa_exception_fp_denorm_src 0
		.amdhsa_exception_fp_ieee_div_zero 0
		.amdhsa_exception_fp_ieee_overflow 0
		.amdhsa_exception_fp_ieee_underflow 0
		.amdhsa_exception_fp_ieee_inexact 0
		.amdhsa_exception_int_div_zero 0
	.end_amdhsa_kernel
	.section	.text._ZN7rocprim17ROCPRIM_400000_NS6detail17trampoline_kernelINS0_14default_configENS1_38merge_sort_block_merge_config_selectorIjNS0_10empty_typeEEEZZNS1_27merge_sort_block_merge_implIS3_PjPS5_jNS1_19radix_merge_compareILb0ELb0EjNS0_19identity_decomposerEEEEE10hipError_tT0_T1_T2_jT3_P12ihipStream_tbPNSt15iterator_traitsISE_E10value_typeEPNSK_ISF_E10value_typeEPSG_NS1_7vsmem_tEENKUlT_SE_SF_SG_E_clIS8_S8_S9_S9_EESD_ST_SE_SF_SG_EUlST_E1_NS1_11comp_targetILNS1_3genE8ELNS1_11target_archE1030ELNS1_3gpuE2ELNS1_3repE0EEENS1_36merge_oddeven_config_static_selectorELNS0_4arch9wavefront6targetE1EEEvSF_,"axG",@progbits,_ZN7rocprim17ROCPRIM_400000_NS6detail17trampoline_kernelINS0_14default_configENS1_38merge_sort_block_merge_config_selectorIjNS0_10empty_typeEEEZZNS1_27merge_sort_block_merge_implIS3_PjPS5_jNS1_19radix_merge_compareILb0ELb0EjNS0_19identity_decomposerEEEEE10hipError_tT0_T1_T2_jT3_P12ihipStream_tbPNSt15iterator_traitsISE_E10value_typeEPNSK_ISF_E10value_typeEPSG_NS1_7vsmem_tEENKUlT_SE_SF_SG_E_clIS8_S8_S9_S9_EESD_ST_SE_SF_SG_EUlST_E1_NS1_11comp_targetILNS1_3genE8ELNS1_11target_archE1030ELNS1_3gpuE2ELNS1_3repE0EEENS1_36merge_oddeven_config_static_selectorELNS0_4arch9wavefront6targetE1EEEvSF_,comdat
.Lfunc_end709:
	.size	_ZN7rocprim17ROCPRIM_400000_NS6detail17trampoline_kernelINS0_14default_configENS1_38merge_sort_block_merge_config_selectorIjNS0_10empty_typeEEEZZNS1_27merge_sort_block_merge_implIS3_PjPS5_jNS1_19radix_merge_compareILb0ELb0EjNS0_19identity_decomposerEEEEE10hipError_tT0_T1_T2_jT3_P12ihipStream_tbPNSt15iterator_traitsISE_E10value_typeEPNSK_ISF_E10value_typeEPSG_NS1_7vsmem_tEENKUlT_SE_SF_SG_E_clIS8_S8_S9_S9_EESD_ST_SE_SF_SG_EUlST_E1_NS1_11comp_targetILNS1_3genE8ELNS1_11target_archE1030ELNS1_3gpuE2ELNS1_3repE0EEENS1_36merge_oddeven_config_static_selectorELNS0_4arch9wavefront6targetE1EEEvSF_, .Lfunc_end709-_ZN7rocprim17ROCPRIM_400000_NS6detail17trampoline_kernelINS0_14default_configENS1_38merge_sort_block_merge_config_selectorIjNS0_10empty_typeEEEZZNS1_27merge_sort_block_merge_implIS3_PjPS5_jNS1_19radix_merge_compareILb0ELb0EjNS0_19identity_decomposerEEEEE10hipError_tT0_T1_T2_jT3_P12ihipStream_tbPNSt15iterator_traitsISE_E10value_typeEPNSK_ISF_E10value_typeEPSG_NS1_7vsmem_tEENKUlT_SE_SF_SG_E_clIS8_S8_S9_S9_EESD_ST_SE_SF_SG_EUlST_E1_NS1_11comp_targetILNS1_3genE8ELNS1_11target_archE1030ELNS1_3gpuE2ELNS1_3repE0EEENS1_36merge_oddeven_config_static_selectorELNS0_4arch9wavefront6targetE1EEEvSF_
                                        ; -- End function
	.section	.AMDGPU.csdata,"",@progbits
; Kernel info:
; codeLenInByte = 0
; NumSgprs: 4
; NumVgprs: 0
; NumAgprs: 0
; TotalNumVgprs: 0
; ScratchSize: 0
; MemoryBound: 0
; FloatMode: 240
; IeeeMode: 1
; LDSByteSize: 0 bytes/workgroup (compile time only)
; SGPRBlocks: 0
; VGPRBlocks: 0
; NumSGPRsForWavesPerEU: 4
; NumVGPRsForWavesPerEU: 1
; AccumOffset: 4
; Occupancy: 8
; WaveLimiterHint : 0
; COMPUTE_PGM_RSRC2:SCRATCH_EN: 0
; COMPUTE_PGM_RSRC2:USER_SGPR: 6
; COMPUTE_PGM_RSRC2:TRAP_HANDLER: 0
; COMPUTE_PGM_RSRC2:TGID_X_EN: 1
; COMPUTE_PGM_RSRC2:TGID_Y_EN: 0
; COMPUTE_PGM_RSRC2:TGID_Z_EN: 0
; COMPUTE_PGM_RSRC2:TIDIG_COMP_CNT: 0
; COMPUTE_PGM_RSRC3_GFX90A:ACCUM_OFFSET: 0
; COMPUTE_PGM_RSRC3_GFX90A:TG_SPLIT: 0
	.section	.text._ZN7rocprim17ROCPRIM_400000_NS6detail17trampoline_kernelINS0_14default_configENS1_25transform_config_selectorIjLb1EEEZNS1_14transform_implILb1ES3_S5_PjS7_NS0_8identityIjEEEE10hipError_tT2_T3_mT4_P12ihipStream_tbEUlT_E_NS1_11comp_targetILNS1_3genE0ELNS1_11target_archE4294967295ELNS1_3gpuE0ELNS1_3repE0EEENS1_30default_config_static_selectorELNS0_4arch9wavefront6targetE1EEEvT1_,"axG",@progbits,_ZN7rocprim17ROCPRIM_400000_NS6detail17trampoline_kernelINS0_14default_configENS1_25transform_config_selectorIjLb1EEEZNS1_14transform_implILb1ES3_S5_PjS7_NS0_8identityIjEEEE10hipError_tT2_T3_mT4_P12ihipStream_tbEUlT_E_NS1_11comp_targetILNS1_3genE0ELNS1_11target_archE4294967295ELNS1_3gpuE0ELNS1_3repE0EEENS1_30default_config_static_selectorELNS0_4arch9wavefront6targetE1EEEvT1_,comdat
	.protected	_ZN7rocprim17ROCPRIM_400000_NS6detail17trampoline_kernelINS0_14default_configENS1_25transform_config_selectorIjLb1EEEZNS1_14transform_implILb1ES3_S5_PjS7_NS0_8identityIjEEEE10hipError_tT2_T3_mT4_P12ihipStream_tbEUlT_E_NS1_11comp_targetILNS1_3genE0ELNS1_11target_archE4294967295ELNS1_3gpuE0ELNS1_3repE0EEENS1_30default_config_static_selectorELNS0_4arch9wavefront6targetE1EEEvT1_ ; -- Begin function _ZN7rocprim17ROCPRIM_400000_NS6detail17trampoline_kernelINS0_14default_configENS1_25transform_config_selectorIjLb1EEEZNS1_14transform_implILb1ES3_S5_PjS7_NS0_8identityIjEEEE10hipError_tT2_T3_mT4_P12ihipStream_tbEUlT_E_NS1_11comp_targetILNS1_3genE0ELNS1_11target_archE4294967295ELNS1_3gpuE0ELNS1_3repE0EEENS1_30default_config_static_selectorELNS0_4arch9wavefront6targetE1EEEvT1_
	.globl	_ZN7rocprim17ROCPRIM_400000_NS6detail17trampoline_kernelINS0_14default_configENS1_25transform_config_selectorIjLb1EEEZNS1_14transform_implILb1ES3_S5_PjS7_NS0_8identityIjEEEE10hipError_tT2_T3_mT4_P12ihipStream_tbEUlT_E_NS1_11comp_targetILNS1_3genE0ELNS1_11target_archE4294967295ELNS1_3gpuE0ELNS1_3repE0EEENS1_30default_config_static_selectorELNS0_4arch9wavefront6targetE1EEEvT1_
	.p2align	8
	.type	_ZN7rocprim17ROCPRIM_400000_NS6detail17trampoline_kernelINS0_14default_configENS1_25transform_config_selectorIjLb1EEEZNS1_14transform_implILb1ES3_S5_PjS7_NS0_8identityIjEEEE10hipError_tT2_T3_mT4_P12ihipStream_tbEUlT_E_NS1_11comp_targetILNS1_3genE0ELNS1_11target_archE4294967295ELNS1_3gpuE0ELNS1_3repE0EEENS1_30default_config_static_selectorELNS0_4arch9wavefront6targetE1EEEvT1_,@function
_ZN7rocprim17ROCPRIM_400000_NS6detail17trampoline_kernelINS0_14default_configENS1_25transform_config_selectorIjLb1EEEZNS1_14transform_implILb1ES3_S5_PjS7_NS0_8identityIjEEEE10hipError_tT2_T3_mT4_P12ihipStream_tbEUlT_E_NS1_11comp_targetILNS1_3genE0ELNS1_11target_archE4294967295ELNS1_3gpuE0ELNS1_3repE0EEENS1_30default_config_static_selectorELNS0_4arch9wavefront6targetE1EEEvT1_: ; @_ZN7rocprim17ROCPRIM_400000_NS6detail17trampoline_kernelINS0_14default_configENS1_25transform_config_selectorIjLb1EEEZNS1_14transform_implILb1ES3_S5_PjS7_NS0_8identityIjEEEE10hipError_tT2_T3_mT4_P12ihipStream_tbEUlT_E_NS1_11comp_targetILNS1_3genE0ELNS1_11target_archE4294967295ELNS1_3gpuE0ELNS1_3repE0EEENS1_30default_config_static_selectorELNS0_4arch9wavefront6targetE1EEEvT1_
; %bb.0:
	.section	.rodata,"a",@progbits
	.p2align	6, 0x0
	.amdhsa_kernel _ZN7rocprim17ROCPRIM_400000_NS6detail17trampoline_kernelINS0_14default_configENS1_25transform_config_selectorIjLb1EEEZNS1_14transform_implILb1ES3_S5_PjS7_NS0_8identityIjEEEE10hipError_tT2_T3_mT4_P12ihipStream_tbEUlT_E_NS1_11comp_targetILNS1_3genE0ELNS1_11target_archE4294967295ELNS1_3gpuE0ELNS1_3repE0EEENS1_30default_config_static_selectorELNS0_4arch9wavefront6targetE1EEEvT1_
		.amdhsa_group_segment_fixed_size 0
		.amdhsa_private_segment_fixed_size 0
		.amdhsa_kernarg_size 40
		.amdhsa_user_sgpr_count 6
		.amdhsa_user_sgpr_private_segment_buffer 1
		.amdhsa_user_sgpr_dispatch_ptr 0
		.amdhsa_user_sgpr_queue_ptr 0
		.amdhsa_user_sgpr_kernarg_segment_ptr 1
		.amdhsa_user_sgpr_dispatch_id 0
		.amdhsa_user_sgpr_flat_scratch_init 0
		.amdhsa_user_sgpr_kernarg_preload_length 0
		.amdhsa_user_sgpr_kernarg_preload_offset 0
		.amdhsa_user_sgpr_private_segment_size 0
		.amdhsa_uses_dynamic_stack 0
		.amdhsa_system_sgpr_private_segment_wavefront_offset 0
		.amdhsa_system_sgpr_workgroup_id_x 1
		.amdhsa_system_sgpr_workgroup_id_y 0
		.amdhsa_system_sgpr_workgroup_id_z 0
		.amdhsa_system_sgpr_workgroup_info 0
		.amdhsa_system_vgpr_workitem_id 0
		.amdhsa_next_free_vgpr 1
		.amdhsa_next_free_sgpr 0
		.amdhsa_accum_offset 4
		.amdhsa_reserve_vcc 0
		.amdhsa_reserve_flat_scratch 0
		.amdhsa_float_round_mode_32 0
		.amdhsa_float_round_mode_16_64 0
		.amdhsa_float_denorm_mode_32 3
		.amdhsa_float_denorm_mode_16_64 3
		.amdhsa_dx10_clamp 1
		.amdhsa_ieee_mode 1
		.amdhsa_fp16_overflow 0
		.amdhsa_tg_split 0
		.amdhsa_exception_fp_ieee_invalid_op 0
		.amdhsa_exception_fp_denorm_src 0
		.amdhsa_exception_fp_ieee_div_zero 0
		.amdhsa_exception_fp_ieee_overflow 0
		.amdhsa_exception_fp_ieee_underflow 0
		.amdhsa_exception_fp_ieee_inexact 0
		.amdhsa_exception_int_div_zero 0
	.end_amdhsa_kernel
	.section	.text._ZN7rocprim17ROCPRIM_400000_NS6detail17trampoline_kernelINS0_14default_configENS1_25transform_config_selectorIjLb1EEEZNS1_14transform_implILb1ES3_S5_PjS7_NS0_8identityIjEEEE10hipError_tT2_T3_mT4_P12ihipStream_tbEUlT_E_NS1_11comp_targetILNS1_3genE0ELNS1_11target_archE4294967295ELNS1_3gpuE0ELNS1_3repE0EEENS1_30default_config_static_selectorELNS0_4arch9wavefront6targetE1EEEvT1_,"axG",@progbits,_ZN7rocprim17ROCPRIM_400000_NS6detail17trampoline_kernelINS0_14default_configENS1_25transform_config_selectorIjLb1EEEZNS1_14transform_implILb1ES3_S5_PjS7_NS0_8identityIjEEEE10hipError_tT2_T3_mT4_P12ihipStream_tbEUlT_E_NS1_11comp_targetILNS1_3genE0ELNS1_11target_archE4294967295ELNS1_3gpuE0ELNS1_3repE0EEENS1_30default_config_static_selectorELNS0_4arch9wavefront6targetE1EEEvT1_,comdat
.Lfunc_end710:
	.size	_ZN7rocprim17ROCPRIM_400000_NS6detail17trampoline_kernelINS0_14default_configENS1_25transform_config_selectorIjLb1EEEZNS1_14transform_implILb1ES3_S5_PjS7_NS0_8identityIjEEEE10hipError_tT2_T3_mT4_P12ihipStream_tbEUlT_E_NS1_11comp_targetILNS1_3genE0ELNS1_11target_archE4294967295ELNS1_3gpuE0ELNS1_3repE0EEENS1_30default_config_static_selectorELNS0_4arch9wavefront6targetE1EEEvT1_, .Lfunc_end710-_ZN7rocprim17ROCPRIM_400000_NS6detail17trampoline_kernelINS0_14default_configENS1_25transform_config_selectorIjLb1EEEZNS1_14transform_implILb1ES3_S5_PjS7_NS0_8identityIjEEEE10hipError_tT2_T3_mT4_P12ihipStream_tbEUlT_E_NS1_11comp_targetILNS1_3genE0ELNS1_11target_archE4294967295ELNS1_3gpuE0ELNS1_3repE0EEENS1_30default_config_static_selectorELNS0_4arch9wavefront6targetE1EEEvT1_
                                        ; -- End function
	.section	.AMDGPU.csdata,"",@progbits
; Kernel info:
; codeLenInByte = 0
; NumSgprs: 4
; NumVgprs: 0
; NumAgprs: 0
; TotalNumVgprs: 0
; ScratchSize: 0
; MemoryBound: 0
; FloatMode: 240
; IeeeMode: 1
; LDSByteSize: 0 bytes/workgroup (compile time only)
; SGPRBlocks: 0
; VGPRBlocks: 0
; NumSGPRsForWavesPerEU: 4
; NumVGPRsForWavesPerEU: 1
; AccumOffset: 4
; Occupancy: 8
; WaveLimiterHint : 0
; COMPUTE_PGM_RSRC2:SCRATCH_EN: 0
; COMPUTE_PGM_RSRC2:USER_SGPR: 6
; COMPUTE_PGM_RSRC2:TRAP_HANDLER: 0
; COMPUTE_PGM_RSRC2:TGID_X_EN: 1
; COMPUTE_PGM_RSRC2:TGID_Y_EN: 0
; COMPUTE_PGM_RSRC2:TGID_Z_EN: 0
; COMPUTE_PGM_RSRC2:TIDIG_COMP_CNT: 0
; COMPUTE_PGM_RSRC3_GFX90A:ACCUM_OFFSET: 0
; COMPUTE_PGM_RSRC3_GFX90A:TG_SPLIT: 0
	.section	.text._ZN7rocprim17ROCPRIM_400000_NS6detail17trampoline_kernelINS0_14default_configENS1_25transform_config_selectorIjLb1EEEZNS1_14transform_implILb1ES3_S5_PjS7_NS0_8identityIjEEEE10hipError_tT2_T3_mT4_P12ihipStream_tbEUlT_E_NS1_11comp_targetILNS1_3genE10ELNS1_11target_archE1201ELNS1_3gpuE5ELNS1_3repE0EEENS1_30default_config_static_selectorELNS0_4arch9wavefront6targetE1EEEvT1_,"axG",@progbits,_ZN7rocprim17ROCPRIM_400000_NS6detail17trampoline_kernelINS0_14default_configENS1_25transform_config_selectorIjLb1EEEZNS1_14transform_implILb1ES3_S5_PjS7_NS0_8identityIjEEEE10hipError_tT2_T3_mT4_P12ihipStream_tbEUlT_E_NS1_11comp_targetILNS1_3genE10ELNS1_11target_archE1201ELNS1_3gpuE5ELNS1_3repE0EEENS1_30default_config_static_selectorELNS0_4arch9wavefront6targetE1EEEvT1_,comdat
	.protected	_ZN7rocprim17ROCPRIM_400000_NS6detail17trampoline_kernelINS0_14default_configENS1_25transform_config_selectorIjLb1EEEZNS1_14transform_implILb1ES3_S5_PjS7_NS0_8identityIjEEEE10hipError_tT2_T3_mT4_P12ihipStream_tbEUlT_E_NS1_11comp_targetILNS1_3genE10ELNS1_11target_archE1201ELNS1_3gpuE5ELNS1_3repE0EEENS1_30default_config_static_selectorELNS0_4arch9wavefront6targetE1EEEvT1_ ; -- Begin function _ZN7rocprim17ROCPRIM_400000_NS6detail17trampoline_kernelINS0_14default_configENS1_25transform_config_selectorIjLb1EEEZNS1_14transform_implILb1ES3_S5_PjS7_NS0_8identityIjEEEE10hipError_tT2_T3_mT4_P12ihipStream_tbEUlT_E_NS1_11comp_targetILNS1_3genE10ELNS1_11target_archE1201ELNS1_3gpuE5ELNS1_3repE0EEENS1_30default_config_static_selectorELNS0_4arch9wavefront6targetE1EEEvT1_
	.globl	_ZN7rocprim17ROCPRIM_400000_NS6detail17trampoline_kernelINS0_14default_configENS1_25transform_config_selectorIjLb1EEEZNS1_14transform_implILb1ES3_S5_PjS7_NS0_8identityIjEEEE10hipError_tT2_T3_mT4_P12ihipStream_tbEUlT_E_NS1_11comp_targetILNS1_3genE10ELNS1_11target_archE1201ELNS1_3gpuE5ELNS1_3repE0EEENS1_30default_config_static_selectorELNS0_4arch9wavefront6targetE1EEEvT1_
	.p2align	8
	.type	_ZN7rocprim17ROCPRIM_400000_NS6detail17trampoline_kernelINS0_14default_configENS1_25transform_config_selectorIjLb1EEEZNS1_14transform_implILb1ES3_S5_PjS7_NS0_8identityIjEEEE10hipError_tT2_T3_mT4_P12ihipStream_tbEUlT_E_NS1_11comp_targetILNS1_3genE10ELNS1_11target_archE1201ELNS1_3gpuE5ELNS1_3repE0EEENS1_30default_config_static_selectorELNS0_4arch9wavefront6targetE1EEEvT1_,@function
_ZN7rocprim17ROCPRIM_400000_NS6detail17trampoline_kernelINS0_14default_configENS1_25transform_config_selectorIjLb1EEEZNS1_14transform_implILb1ES3_S5_PjS7_NS0_8identityIjEEEE10hipError_tT2_T3_mT4_P12ihipStream_tbEUlT_E_NS1_11comp_targetILNS1_3genE10ELNS1_11target_archE1201ELNS1_3gpuE5ELNS1_3repE0EEENS1_30default_config_static_selectorELNS0_4arch9wavefront6targetE1EEEvT1_: ; @_ZN7rocprim17ROCPRIM_400000_NS6detail17trampoline_kernelINS0_14default_configENS1_25transform_config_selectorIjLb1EEEZNS1_14transform_implILb1ES3_S5_PjS7_NS0_8identityIjEEEE10hipError_tT2_T3_mT4_P12ihipStream_tbEUlT_E_NS1_11comp_targetILNS1_3genE10ELNS1_11target_archE1201ELNS1_3gpuE5ELNS1_3repE0EEENS1_30default_config_static_selectorELNS0_4arch9wavefront6targetE1EEEvT1_
; %bb.0:
	.section	.rodata,"a",@progbits
	.p2align	6, 0x0
	.amdhsa_kernel _ZN7rocprim17ROCPRIM_400000_NS6detail17trampoline_kernelINS0_14default_configENS1_25transform_config_selectorIjLb1EEEZNS1_14transform_implILb1ES3_S5_PjS7_NS0_8identityIjEEEE10hipError_tT2_T3_mT4_P12ihipStream_tbEUlT_E_NS1_11comp_targetILNS1_3genE10ELNS1_11target_archE1201ELNS1_3gpuE5ELNS1_3repE0EEENS1_30default_config_static_selectorELNS0_4arch9wavefront6targetE1EEEvT1_
		.amdhsa_group_segment_fixed_size 0
		.amdhsa_private_segment_fixed_size 0
		.amdhsa_kernarg_size 40
		.amdhsa_user_sgpr_count 6
		.amdhsa_user_sgpr_private_segment_buffer 1
		.amdhsa_user_sgpr_dispatch_ptr 0
		.amdhsa_user_sgpr_queue_ptr 0
		.amdhsa_user_sgpr_kernarg_segment_ptr 1
		.amdhsa_user_sgpr_dispatch_id 0
		.amdhsa_user_sgpr_flat_scratch_init 0
		.amdhsa_user_sgpr_kernarg_preload_length 0
		.amdhsa_user_sgpr_kernarg_preload_offset 0
		.amdhsa_user_sgpr_private_segment_size 0
		.amdhsa_uses_dynamic_stack 0
		.amdhsa_system_sgpr_private_segment_wavefront_offset 0
		.amdhsa_system_sgpr_workgroup_id_x 1
		.amdhsa_system_sgpr_workgroup_id_y 0
		.amdhsa_system_sgpr_workgroup_id_z 0
		.amdhsa_system_sgpr_workgroup_info 0
		.amdhsa_system_vgpr_workitem_id 0
		.amdhsa_next_free_vgpr 1
		.amdhsa_next_free_sgpr 0
		.amdhsa_accum_offset 4
		.amdhsa_reserve_vcc 0
		.amdhsa_reserve_flat_scratch 0
		.amdhsa_float_round_mode_32 0
		.amdhsa_float_round_mode_16_64 0
		.amdhsa_float_denorm_mode_32 3
		.amdhsa_float_denorm_mode_16_64 3
		.amdhsa_dx10_clamp 1
		.amdhsa_ieee_mode 1
		.amdhsa_fp16_overflow 0
		.amdhsa_tg_split 0
		.amdhsa_exception_fp_ieee_invalid_op 0
		.amdhsa_exception_fp_denorm_src 0
		.amdhsa_exception_fp_ieee_div_zero 0
		.amdhsa_exception_fp_ieee_overflow 0
		.amdhsa_exception_fp_ieee_underflow 0
		.amdhsa_exception_fp_ieee_inexact 0
		.amdhsa_exception_int_div_zero 0
	.end_amdhsa_kernel
	.section	.text._ZN7rocprim17ROCPRIM_400000_NS6detail17trampoline_kernelINS0_14default_configENS1_25transform_config_selectorIjLb1EEEZNS1_14transform_implILb1ES3_S5_PjS7_NS0_8identityIjEEEE10hipError_tT2_T3_mT4_P12ihipStream_tbEUlT_E_NS1_11comp_targetILNS1_3genE10ELNS1_11target_archE1201ELNS1_3gpuE5ELNS1_3repE0EEENS1_30default_config_static_selectorELNS0_4arch9wavefront6targetE1EEEvT1_,"axG",@progbits,_ZN7rocprim17ROCPRIM_400000_NS6detail17trampoline_kernelINS0_14default_configENS1_25transform_config_selectorIjLb1EEEZNS1_14transform_implILb1ES3_S5_PjS7_NS0_8identityIjEEEE10hipError_tT2_T3_mT4_P12ihipStream_tbEUlT_E_NS1_11comp_targetILNS1_3genE10ELNS1_11target_archE1201ELNS1_3gpuE5ELNS1_3repE0EEENS1_30default_config_static_selectorELNS0_4arch9wavefront6targetE1EEEvT1_,comdat
.Lfunc_end711:
	.size	_ZN7rocprim17ROCPRIM_400000_NS6detail17trampoline_kernelINS0_14default_configENS1_25transform_config_selectorIjLb1EEEZNS1_14transform_implILb1ES3_S5_PjS7_NS0_8identityIjEEEE10hipError_tT2_T3_mT4_P12ihipStream_tbEUlT_E_NS1_11comp_targetILNS1_3genE10ELNS1_11target_archE1201ELNS1_3gpuE5ELNS1_3repE0EEENS1_30default_config_static_selectorELNS0_4arch9wavefront6targetE1EEEvT1_, .Lfunc_end711-_ZN7rocprim17ROCPRIM_400000_NS6detail17trampoline_kernelINS0_14default_configENS1_25transform_config_selectorIjLb1EEEZNS1_14transform_implILb1ES3_S5_PjS7_NS0_8identityIjEEEE10hipError_tT2_T3_mT4_P12ihipStream_tbEUlT_E_NS1_11comp_targetILNS1_3genE10ELNS1_11target_archE1201ELNS1_3gpuE5ELNS1_3repE0EEENS1_30default_config_static_selectorELNS0_4arch9wavefront6targetE1EEEvT1_
                                        ; -- End function
	.section	.AMDGPU.csdata,"",@progbits
; Kernel info:
; codeLenInByte = 0
; NumSgprs: 4
; NumVgprs: 0
; NumAgprs: 0
; TotalNumVgprs: 0
; ScratchSize: 0
; MemoryBound: 0
; FloatMode: 240
; IeeeMode: 1
; LDSByteSize: 0 bytes/workgroup (compile time only)
; SGPRBlocks: 0
; VGPRBlocks: 0
; NumSGPRsForWavesPerEU: 4
; NumVGPRsForWavesPerEU: 1
; AccumOffset: 4
; Occupancy: 8
; WaveLimiterHint : 0
; COMPUTE_PGM_RSRC2:SCRATCH_EN: 0
; COMPUTE_PGM_RSRC2:USER_SGPR: 6
; COMPUTE_PGM_RSRC2:TRAP_HANDLER: 0
; COMPUTE_PGM_RSRC2:TGID_X_EN: 1
; COMPUTE_PGM_RSRC2:TGID_Y_EN: 0
; COMPUTE_PGM_RSRC2:TGID_Z_EN: 0
; COMPUTE_PGM_RSRC2:TIDIG_COMP_CNT: 0
; COMPUTE_PGM_RSRC3_GFX90A:ACCUM_OFFSET: 0
; COMPUTE_PGM_RSRC3_GFX90A:TG_SPLIT: 0
	.section	.text._ZN7rocprim17ROCPRIM_400000_NS6detail17trampoline_kernelINS0_14default_configENS1_25transform_config_selectorIjLb1EEEZNS1_14transform_implILb1ES3_S5_PjS7_NS0_8identityIjEEEE10hipError_tT2_T3_mT4_P12ihipStream_tbEUlT_E_NS1_11comp_targetILNS1_3genE5ELNS1_11target_archE942ELNS1_3gpuE9ELNS1_3repE0EEENS1_30default_config_static_selectorELNS0_4arch9wavefront6targetE1EEEvT1_,"axG",@progbits,_ZN7rocprim17ROCPRIM_400000_NS6detail17trampoline_kernelINS0_14default_configENS1_25transform_config_selectorIjLb1EEEZNS1_14transform_implILb1ES3_S5_PjS7_NS0_8identityIjEEEE10hipError_tT2_T3_mT4_P12ihipStream_tbEUlT_E_NS1_11comp_targetILNS1_3genE5ELNS1_11target_archE942ELNS1_3gpuE9ELNS1_3repE0EEENS1_30default_config_static_selectorELNS0_4arch9wavefront6targetE1EEEvT1_,comdat
	.protected	_ZN7rocprim17ROCPRIM_400000_NS6detail17trampoline_kernelINS0_14default_configENS1_25transform_config_selectorIjLb1EEEZNS1_14transform_implILb1ES3_S5_PjS7_NS0_8identityIjEEEE10hipError_tT2_T3_mT4_P12ihipStream_tbEUlT_E_NS1_11comp_targetILNS1_3genE5ELNS1_11target_archE942ELNS1_3gpuE9ELNS1_3repE0EEENS1_30default_config_static_selectorELNS0_4arch9wavefront6targetE1EEEvT1_ ; -- Begin function _ZN7rocprim17ROCPRIM_400000_NS6detail17trampoline_kernelINS0_14default_configENS1_25transform_config_selectorIjLb1EEEZNS1_14transform_implILb1ES3_S5_PjS7_NS0_8identityIjEEEE10hipError_tT2_T3_mT4_P12ihipStream_tbEUlT_E_NS1_11comp_targetILNS1_3genE5ELNS1_11target_archE942ELNS1_3gpuE9ELNS1_3repE0EEENS1_30default_config_static_selectorELNS0_4arch9wavefront6targetE1EEEvT1_
	.globl	_ZN7rocprim17ROCPRIM_400000_NS6detail17trampoline_kernelINS0_14default_configENS1_25transform_config_selectorIjLb1EEEZNS1_14transform_implILb1ES3_S5_PjS7_NS0_8identityIjEEEE10hipError_tT2_T3_mT4_P12ihipStream_tbEUlT_E_NS1_11comp_targetILNS1_3genE5ELNS1_11target_archE942ELNS1_3gpuE9ELNS1_3repE0EEENS1_30default_config_static_selectorELNS0_4arch9wavefront6targetE1EEEvT1_
	.p2align	8
	.type	_ZN7rocprim17ROCPRIM_400000_NS6detail17trampoline_kernelINS0_14default_configENS1_25transform_config_selectorIjLb1EEEZNS1_14transform_implILb1ES3_S5_PjS7_NS0_8identityIjEEEE10hipError_tT2_T3_mT4_P12ihipStream_tbEUlT_E_NS1_11comp_targetILNS1_3genE5ELNS1_11target_archE942ELNS1_3gpuE9ELNS1_3repE0EEENS1_30default_config_static_selectorELNS0_4arch9wavefront6targetE1EEEvT1_,@function
_ZN7rocprim17ROCPRIM_400000_NS6detail17trampoline_kernelINS0_14default_configENS1_25transform_config_selectorIjLb1EEEZNS1_14transform_implILb1ES3_S5_PjS7_NS0_8identityIjEEEE10hipError_tT2_T3_mT4_P12ihipStream_tbEUlT_E_NS1_11comp_targetILNS1_3genE5ELNS1_11target_archE942ELNS1_3gpuE9ELNS1_3repE0EEENS1_30default_config_static_selectorELNS0_4arch9wavefront6targetE1EEEvT1_: ; @_ZN7rocprim17ROCPRIM_400000_NS6detail17trampoline_kernelINS0_14default_configENS1_25transform_config_selectorIjLb1EEEZNS1_14transform_implILb1ES3_S5_PjS7_NS0_8identityIjEEEE10hipError_tT2_T3_mT4_P12ihipStream_tbEUlT_E_NS1_11comp_targetILNS1_3genE5ELNS1_11target_archE942ELNS1_3gpuE9ELNS1_3repE0EEENS1_30default_config_static_selectorELNS0_4arch9wavefront6targetE1EEEvT1_
; %bb.0:
	.section	.rodata,"a",@progbits
	.p2align	6, 0x0
	.amdhsa_kernel _ZN7rocprim17ROCPRIM_400000_NS6detail17trampoline_kernelINS0_14default_configENS1_25transform_config_selectorIjLb1EEEZNS1_14transform_implILb1ES3_S5_PjS7_NS0_8identityIjEEEE10hipError_tT2_T3_mT4_P12ihipStream_tbEUlT_E_NS1_11comp_targetILNS1_3genE5ELNS1_11target_archE942ELNS1_3gpuE9ELNS1_3repE0EEENS1_30default_config_static_selectorELNS0_4arch9wavefront6targetE1EEEvT1_
		.amdhsa_group_segment_fixed_size 0
		.amdhsa_private_segment_fixed_size 0
		.amdhsa_kernarg_size 40
		.amdhsa_user_sgpr_count 6
		.amdhsa_user_sgpr_private_segment_buffer 1
		.amdhsa_user_sgpr_dispatch_ptr 0
		.amdhsa_user_sgpr_queue_ptr 0
		.amdhsa_user_sgpr_kernarg_segment_ptr 1
		.amdhsa_user_sgpr_dispatch_id 0
		.amdhsa_user_sgpr_flat_scratch_init 0
		.amdhsa_user_sgpr_kernarg_preload_length 0
		.amdhsa_user_sgpr_kernarg_preload_offset 0
		.amdhsa_user_sgpr_private_segment_size 0
		.amdhsa_uses_dynamic_stack 0
		.amdhsa_system_sgpr_private_segment_wavefront_offset 0
		.amdhsa_system_sgpr_workgroup_id_x 1
		.amdhsa_system_sgpr_workgroup_id_y 0
		.amdhsa_system_sgpr_workgroup_id_z 0
		.amdhsa_system_sgpr_workgroup_info 0
		.amdhsa_system_vgpr_workitem_id 0
		.amdhsa_next_free_vgpr 1
		.amdhsa_next_free_sgpr 0
		.amdhsa_accum_offset 4
		.amdhsa_reserve_vcc 0
		.amdhsa_reserve_flat_scratch 0
		.amdhsa_float_round_mode_32 0
		.amdhsa_float_round_mode_16_64 0
		.amdhsa_float_denorm_mode_32 3
		.amdhsa_float_denorm_mode_16_64 3
		.amdhsa_dx10_clamp 1
		.amdhsa_ieee_mode 1
		.amdhsa_fp16_overflow 0
		.amdhsa_tg_split 0
		.amdhsa_exception_fp_ieee_invalid_op 0
		.amdhsa_exception_fp_denorm_src 0
		.amdhsa_exception_fp_ieee_div_zero 0
		.amdhsa_exception_fp_ieee_overflow 0
		.amdhsa_exception_fp_ieee_underflow 0
		.amdhsa_exception_fp_ieee_inexact 0
		.amdhsa_exception_int_div_zero 0
	.end_amdhsa_kernel
	.section	.text._ZN7rocprim17ROCPRIM_400000_NS6detail17trampoline_kernelINS0_14default_configENS1_25transform_config_selectorIjLb1EEEZNS1_14transform_implILb1ES3_S5_PjS7_NS0_8identityIjEEEE10hipError_tT2_T3_mT4_P12ihipStream_tbEUlT_E_NS1_11comp_targetILNS1_3genE5ELNS1_11target_archE942ELNS1_3gpuE9ELNS1_3repE0EEENS1_30default_config_static_selectorELNS0_4arch9wavefront6targetE1EEEvT1_,"axG",@progbits,_ZN7rocprim17ROCPRIM_400000_NS6detail17trampoline_kernelINS0_14default_configENS1_25transform_config_selectorIjLb1EEEZNS1_14transform_implILb1ES3_S5_PjS7_NS0_8identityIjEEEE10hipError_tT2_T3_mT4_P12ihipStream_tbEUlT_E_NS1_11comp_targetILNS1_3genE5ELNS1_11target_archE942ELNS1_3gpuE9ELNS1_3repE0EEENS1_30default_config_static_selectorELNS0_4arch9wavefront6targetE1EEEvT1_,comdat
.Lfunc_end712:
	.size	_ZN7rocprim17ROCPRIM_400000_NS6detail17trampoline_kernelINS0_14default_configENS1_25transform_config_selectorIjLb1EEEZNS1_14transform_implILb1ES3_S5_PjS7_NS0_8identityIjEEEE10hipError_tT2_T3_mT4_P12ihipStream_tbEUlT_E_NS1_11comp_targetILNS1_3genE5ELNS1_11target_archE942ELNS1_3gpuE9ELNS1_3repE0EEENS1_30default_config_static_selectorELNS0_4arch9wavefront6targetE1EEEvT1_, .Lfunc_end712-_ZN7rocprim17ROCPRIM_400000_NS6detail17trampoline_kernelINS0_14default_configENS1_25transform_config_selectorIjLb1EEEZNS1_14transform_implILb1ES3_S5_PjS7_NS0_8identityIjEEEE10hipError_tT2_T3_mT4_P12ihipStream_tbEUlT_E_NS1_11comp_targetILNS1_3genE5ELNS1_11target_archE942ELNS1_3gpuE9ELNS1_3repE0EEENS1_30default_config_static_selectorELNS0_4arch9wavefront6targetE1EEEvT1_
                                        ; -- End function
	.section	.AMDGPU.csdata,"",@progbits
; Kernel info:
; codeLenInByte = 0
; NumSgprs: 4
; NumVgprs: 0
; NumAgprs: 0
; TotalNumVgprs: 0
; ScratchSize: 0
; MemoryBound: 0
; FloatMode: 240
; IeeeMode: 1
; LDSByteSize: 0 bytes/workgroup (compile time only)
; SGPRBlocks: 0
; VGPRBlocks: 0
; NumSGPRsForWavesPerEU: 4
; NumVGPRsForWavesPerEU: 1
; AccumOffset: 4
; Occupancy: 8
; WaveLimiterHint : 0
; COMPUTE_PGM_RSRC2:SCRATCH_EN: 0
; COMPUTE_PGM_RSRC2:USER_SGPR: 6
; COMPUTE_PGM_RSRC2:TRAP_HANDLER: 0
; COMPUTE_PGM_RSRC2:TGID_X_EN: 1
; COMPUTE_PGM_RSRC2:TGID_Y_EN: 0
; COMPUTE_PGM_RSRC2:TGID_Z_EN: 0
; COMPUTE_PGM_RSRC2:TIDIG_COMP_CNT: 0
; COMPUTE_PGM_RSRC3_GFX90A:ACCUM_OFFSET: 0
; COMPUTE_PGM_RSRC3_GFX90A:TG_SPLIT: 0
	.section	.text._ZN7rocprim17ROCPRIM_400000_NS6detail17trampoline_kernelINS0_14default_configENS1_25transform_config_selectorIjLb1EEEZNS1_14transform_implILb1ES3_S5_PjS7_NS0_8identityIjEEEE10hipError_tT2_T3_mT4_P12ihipStream_tbEUlT_E_NS1_11comp_targetILNS1_3genE4ELNS1_11target_archE910ELNS1_3gpuE8ELNS1_3repE0EEENS1_30default_config_static_selectorELNS0_4arch9wavefront6targetE1EEEvT1_,"axG",@progbits,_ZN7rocprim17ROCPRIM_400000_NS6detail17trampoline_kernelINS0_14default_configENS1_25transform_config_selectorIjLb1EEEZNS1_14transform_implILb1ES3_S5_PjS7_NS0_8identityIjEEEE10hipError_tT2_T3_mT4_P12ihipStream_tbEUlT_E_NS1_11comp_targetILNS1_3genE4ELNS1_11target_archE910ELNS1_3gpuE8ELNS1_3repE0EEENS1_30default_config_static_selectorELNS0_4arch9wavefront6targetE1EEEvT1_,comdat
	.protected	_ZN7rocprim17ROCPRIM_400000_NS6detail17trampoline_kernelINS0_14default_configENS1_25transform_config_selectorIjLb1EEEZNS1_14transform_implILb1ES3_S5_PjS7_NS0_8identityIjEEEE10hipError_tT2_T3_mT4_P12ihipStream_tbEUlT_E_NS1_11comp_targetILNS1_3genE4ELNS1_11target_archE910ELNS1_3gpuE8ELNS1_3repE0EEENS1_30default_config_static_selectorELNS0_4arch9wavefront6targetE1EEEvT1_ ; -- Begin function _ZN7rocprim17ROCPRIM_400000_NS6detail17trampoline_kernelINS0_14default_configENS1_25transform_config_selectorIjLb1EEEZNS1_14transform_implILb1ES3_S5_PjS7_NS0_8identityIjEEEE10hipError_tT2_T3_mT4_P12ihipStream_tbEUlT_E_NS1_11comp_targetILNS1_3genE4ELNS1_11target_archE910ELNS1_3gpuE8ELNS1_3repE0EEENS1_30default_config_static_selectorELNS0_4arch9wavefront6targetE1EEEvT1_
	.globl	_ZN7rocprim17ROCPRIM_400000_NS6detail17trampoline_kernelINS0_14default_configENS1_25transform_config_selectorIjLb1EEEZNS1_14transform_implILb1ES3_S5_PjS7_NS0_8identityIjEEEE10hipError_tT2_T3_mT4_P12ihipStream_tbEUlT_E_NS1_11comp_targetILNS1_3genE4ELNS1_11target_archE910ELNS1_3gpuE8ELNS1_3repE0EEENS1_30default_config_static_selectorELNS0_4arch9wavefront6targetE1EEEvT1_
	.p2align	8
	.type	_ZN7rocprim17ROCPRIM_400000_NS6detail17trampoline_kernelINS0_14default_configENS1_25transform_config_selectorIjLb1EEEZNS1_14transform_implILb1ES3_S5_PjS7_NS0_8identityIjEEEE10hipError_tT2_T3_mT4_P12ihipStream_tbEUlT_E_NS1_11comp_targetILNS1_3genE4ELNS1_11target_archE910ELNS1_3gpuE8ELNS1_3repE0EEENS1_30default_config_static_selectorELNS0_4arch9wavefront6targetE1EEEvT1_,@function
_ZN7rocprim17ROCPRIM_400000_NS6detail17trampoline_kernelINS0_14default_configENS1_25transform_config_selectorIjLb1EEEZNS1_14transform_implILb1ES3_S5_PjS7_NS0_8identityIjEEEE10hipError_tT2_T3_mT4_P12ihipStream_tbEUlT_E_NS1_11comp_targetILNS1_3genE4ELNS1_11target_archE910ELNS1_3gpuE8ELNS1_3repE0EEENS1_30default_config_static_selectorELNS0_4arch9wavefront6targetE1EEEvT1_: ; @_ZN7rocprim17ROCPRIM_400000_NS6detail17trampoline_kernelINS0_14default_configENS1_25transform_config_selectorIjLb1EEEZNS1_14transform_implILb1ES3_S5_PjS7_NS0_8identityIjEEEE10hipError_tT2_T3_mT4_P12ihipStream_tbEUlT_E_NS1_11comp_targetILNS1_3genE4ELNS1_11target_archE910ELNS1_3gpuE8ELNS1_3repE0EEENS1_30default_config_static_selectorELNS0_4arch9wavefront6targetE1EEEvT1_
; %bb.0:
	s_load_dwordx8 s[8:15], s[4:5], 0x0
	s_load_dword s2, s[4:5], 0x28
	s_waitcnt lgkmcnt(0)
	s_lshl_b64 s[0:1], s[10:11], 2
	s_add_u32 s3, s8, s0
	s_addc_u32 s4, s9, s1
	s_add_u32 s13, s14, s0
	s_addc_u32 s14, s15, s1
	s_lshl_b32 s0, s6, 12
	s_mov_b32 s1, 0
	s_add_i32 s2, s2, -1
	s_lshl_b64 s[8:9], s[0:1], 2
	s_add_u32 s10, s3, s8
	s_addc_u32 s11, s4, s9
	s_cmp_lg_u32 s6, s2
	s_mov_b64 s[2:3], -1
	s_cbranch_scc0 .LBB713_2
; %bb.1:
	v_lshlrev_b32_e32 v1, 4, v0
	global_load_dwordx4 v[2:5], v1, s[10:11]
	s_add_u32 s2, s13, s8
	s_addc_u32 s3, s14, s9
	s_waitcnt vmcnt(0)
	global_store_dwordx4 v1, v[2:5], s[2:3]
	s_mov_b64 s[2:3], 0
.LBB713_2:
	s_andn2_b64 vcc, exec, s[2:3]
	s_cbranch_vccnz .LBB713_16
; %bb.3:
	s_sub_i32 s6, s12, s0
	v_cmp_gt_u32_e32 vcc, s6, v0
	v_lshlrev_b32_e32 v1, 2, v0
                                        ; implicit-def: $vgpr2_vgpr3_vgpr4_vgpr5
	s_and_saveexec_b64 s[0:1], vcc
	s_cbranch_execz .LBB713_5
; %bb.4:
	global_load_dword v2, v1, s[10:11]
.LBB713_5:
	s_or_b64 exec, exec, s[0:1]
	v_or_b32_e32 v6, 0x400, v0
	v_cmp_gt_u32_e64 s[4:5], s6, v6
	s_and_saveexec_b64 s[0:1], s[4:5]
	s_cbranch_execz .LBB713_7
; %bb.6:
	v_lshlrev_b32_e32 v3, 2, v6
	global_load_dword v3, v3, s[10:11]
.LBB713_7:
	s_or_b64 exec, exec, s[0:1]
	v_or_b32_e32 v6, 0x800, v0
	v_cmp_gt_u32_e64 s[0:1], s6, v6
	s_and_saveexec_b64 s[2:3], s[0:1]
	s_cbranch_execz .LBB713_9
; %bb.8:
	v_lshlrev_b32_e32 v4, 2, v6
	global_load_dword v4, v4, s[10:11]
.LBB713_9:
	;; [unrolled: 9-line block ×3, first 2 shown]
	s_or_b64 exec, exec, s[6:7]
	s_add_u32 s6, s13, s8
	s_addc_u32 s7, s14, s9
	v_mov_b32_e32 v6, s7
	v_add_co_u32_e64 v0, s[6:7], s6, v1
	v_addc_co_u32_e64 v1, s[6:7], 0, v6, s[6:7]
	s_and_saveexec_b64 s[6:7], vcc
	s_cbranch_execnz .LBB713_17
; %bb.12:
	s_or_b64 exec, exec, s[6:7]
	s_and_saveexec_b64 s[6:7], s[4:5]
	s_cbranch_execnz .LBB713_18
.LBB713_13:
	s_or_b64 exec, exec, s[6:7]
	s_and_saveexec_b64 s[4:5], s[0:1]
	s_cbranch_execnz .LBB713_19
.LBB713_14:
	s_or_b64 exec, exec, s[4:5]
	s_and_saveexec_b64 s[0:1], s[2:3]
	s_cbranch_execz .LBB713_16
.LBB713_15:
	v_add_co_u32_e32 v0, vcc, 0x3000, v0
	s_waitcnt vmcnt(0)
	v_cndmask_b32_e64 v2, v5, v5, s[2:3]
	v_addc_co_u32_e32 v1, vcc, 0, v1, vcc
	global_store_dword v[0:1], v2, off
.LBB713_16:
	s_endpgm
.LBB713_17:
	s_waitcnt vmcnt(0)
	global_store_dword v[0:1], v2, off
	s_or_b64 exec, exec, s[6:7]
	s_and_saveexec_b64 s[6:7], s[4:5]
	s_cbranch_execz .LBB713_13
.LBB713_18:
	v_add_co_u32_e32 v6, vcc, 0x1000, v0
	v_addc_co_u32_e32 v7, vcc, 0, v1, vcc
	s_waitcnt vmcnt(0)
	global_store_dword v[6:7], v3, off
	s_or_b64 exec, exec, s[6:7]
	s_and_saveexec_b64 s[4:5], s[0:1]
	s_cbranch_execz .LBB713_14
.LBB713_19:
	s_waitcnt vmcnt(0)
	v_add_co_u32_e32 v2, vcc, 0x2000, v0
	v_cndmask_b32_e64 v4, v4, v4, s[0:1]
	v_addc_co_u32_e32 v3, vcc, 0, v1, vcc
	global_store_dword v[2:3], v4, off
	s_or_b64 exec, exec, s[4:5]
	s_and_saveexec_b64 s[0:1], s[2:3]
	s_cbranch_execnz .LBB713_15
	s_branch .LBB713_16
	.section	.rodata,"a",@progbits
	.p2align	6, 0x0
	.amdhsa_kernel _ZN7rocprim17ROCPRIM_400000_NS6detail17trampoline_kernelINS0_14default_configENS1_25transform_config_selectorIjLb1EEEZNS1_14transform_implILb1ES3_S5_PjS7_NS0_8identityIjEEEE10hipError_tT2_T3_mT4_P12ihipStream_tbEUlT_E_NS1_11comp_targetILNS1_3genE4ELNS1_11target_archE910ELNS1_3gpuE8ELNS1_3repE0EEENS1_30default_config_static_selectorELNS0_4arch9wavefront6targetE1EEEvT1_
		.amdhsa_group_segment_fixed_size 0
		.amdhsa_private_segment_fixed_size 0
		.amdhsa_kernarg_size 296
		.amdhsa_user_sgpr_count 6
		.amdhsa_user_sgpr_private_segment_buffer 1
		.amdhsa_user_sgpr_dispatch_ptr 0
		.amdhsa_user_sgpr_queue_ptr 0
		.amdhsa_user_sgpr_kernarg_segment_ptr 1
		.amdhsa_user_sgpr_dispatch_id 0
		.amdhsa_user_sgpr_flat_scratch_init 0
		.amdhsa_user_sgpr_kernarg_preload_length 0
		.amdhsa_user_sgpr_kernarg_preload_offset 0
		.amdhsa_user_sgpr_private_segment_size 0
		.amdhsa_uses_dynamic_stack 0
		.amdhsa_system_sgpr_private_segment_wavefront_offset 0
		.amdhsa_system_sgpr_workgroup_id_x 1
		.amdhsa_system_sgpr_workgroup_id_y 0
		.amdhsa_system_sgpr_workgroup_id_z 0
		.amdhsa_system_sgpr_workgroup_info 0
		.amdhsa_system_vgpr_workitem_id 0
		.amdhsa_next_free_vgpr 8
		.amdhsa_next_free_sgpr 16
		.amdhsa_accum_offset 8
		.amdhsa_reserve_vcc 1
		.amdhsa_reserve_flat_scratch 0
		.amdhsa_float_round_mode_32 0
		.amdhsa_float_round_mode_16_64 0
		.amdhsa_float_denorm_mode_32 3
		.amdhsa_float_denorm_mode_16_64 3
		.amdhsa_dx10_clamp 1
		.amdhsa_ieee_mode 1
		.amdhsa_fp16_overflow 0
		.amdhsa_tg_split 0
		.amdhsa_exception_fp_ieee_invalid_op 0
		.amdhsa_exception_fp_denorm_src 0
		.amdhsa_exception_fp_ieee_div_zero 0
		.amdhsa_exception_fp_ieee_overflow 0
		.amdhsa_exception_fp_ieee_underflow 0
		.amdhsa_exception_fp_ieee_inexact 0
		.amdhsa_exception_int_div_zero 0
	.end_amdhsa_kernel
	.section	.text._ZN7rocprim17ROCPRIM_400000_NS6detail17trampoline_kernelINS0_14default_configENS1_25transform_config_selectorIjLb1EEEZNS1_14transform_implILb1ES3_S5_PjS7_NS0_8identityIjEEEE10hipError_tT2_T3_mT4_P12ihipStream_tbEUlT_E_NS1_11comp_targetILNS1_3genE4ELNS1_11target_archE910ELNS1_3gpuE8ELNS1_3repE0EEENS1_30default_config_static_selectorELNS0_4arch9wavefront6targetE1EEEvT1_,"axG",@progbits,_ZN7rocprim17ROCPRIM_400000_NS6detail17trampoline_kernelINS0_14default_configENS1_25transform_config_selectorIjLb1EEEZNS1_14transform_implILb1ES3_S5_PjS7_NS0_8identityIjEEEE10hipError_tT2_T3_mT4_P12ihipStream_tbEUlT_E_NS1_11comp_targetILNS1_3genE4ELNS1_11target_archE910ELNS1_3gpuE8ELNS1_3repE0EEENS1_30default_config_static_selectorELNS0_4arch9wavefront6targetE1EEEvT1_,comdat
.Lfunc_end713:
	.size	_ZN7rocprim17ROCPRIM_400000_NS6detail17trampoline_kernelINS0_14default_configENS1_25transform_config_selectorIjLb1EEEZNS1_14transform_implILb1ES3_S5_PjS7_NS0_8identityIjEEEE10hipError_tT2_T3_mT4_P12ihipStream_tbEUlT_E_NS1_11comp_targetILNS1_3genE4ELNS1_11target_archE910ELNS1_3gpuE8ELNS1_3repE0EEENS1_30default_config_static_selectorELNS0_4arch9wavefront6targetE1EEEvT1_, .Lfunc_end713-_ZN7rocprim17ROCPRIM_400000_NS6detail17trampoline_kernelINS0_14default_configENS1_25transform_config_selectorIjLb1EEEZNS1_14transform_implILb1ES3_S5_PjS7_NS0_8identityIjEEEE10hipError_tT2_T3_mT4_P12ihipStream_tbEUlT_E_NS1_11comp_targetILNS1_3genE4ELNS1_11target_archE910ELNS1_3gpuE8ELNS1_3repE0EEENS1_30default_config_static_selectorELNS0_4arch9wavefront6targetE1EEEvT1_
                                        ; -- End function
	.section	.AMDGPU.csdata,"",@progbits
; Kernel info:
; codeLenInByte = 488
; NumSgprs: 20
; NumVgprs: 8
; NumAgprs: 0
; TotalNumVgprs: 8
; ScratchSize: 0
; MemoryBound: 1
; FloatMode: 240
; IeeeMode: 1
; LDSByteSize: 0 bytes/workgroup (compile time only)
; SGPRBlocks: 2
; VGPRBlocks: 0
; NumSGPRsForWavesPerEU: 20
; NumVGPRsForWavesPerEU: 8
; AccumOffset: 8
; Occupancy: 8
; WaveLimiterHint : 0
; COMPUTE_PGM_RSRC2:SCRATCH_EN: 0
; COMPUTE_PGM_RSRC2:USER_SGPR: 6
; COMPUTE_PGM_RSRC2:TRAP_HANDLER: 0
; COMPUTE_PGM_RSRC2:TGID_X_EN: 1
; COMPUTE_PGM_RSRC2:TGID_Y_EN: 0
; COMPUTE_PGM_RSRC2:TGID_Z_EN: 0
; COMPUTE_PGM_RSRC2:TIDIG_COMP_CNT: 0
; COMPUTE_PGM_RSRC3_GFX90A:ACCUM_OFFSET: 1
; COMPUTE_PGM_RSRC3_GFX90A:TG_SPLIT: 0
	.section	.text._ZN7rocprim17ROCPRIM_400000_NS6detail17trampoline_kernelINS0_14default_configENS1_25transform_config_selectorIjLb1EEEZNS1_14transform_implILb1ES3_S5_PjS7_NS0_8identityIjEEEE10hipError_tT2_T3_mT4_P12ihipStream_tbEUlT_E_NS1_11comp_targetILNS1_3genE3ELNS1_11target_archE908ELNS1_3gpuE7ELNS1_3repE0EEENS1_30default_config_static_selectorELNS0_4arch9wavefront6targetE1EEEvT1_,"axG",@progbits,_ZN7rocprim17ROCPRIM_400000_NS6detail17trampoline_kernelINS0_14default_configENS1_25transform_config_selectorIjLb1EEEZNS1_14transform_implILb1ES3_S5_PjS7_NS0_8identityIjEEEE10hipError_tT2_T3_mT4_P12ihipStream_tbEUlT_E_NS1_11comp_targetILNS1_3genE3ELNS1_11target_archE908ELNS1_3gpuE7ELNS1_3repE0EEENS1_30default_config_static_selectorELNS0_4arch9wavefront6targetE1EEEvT1_,comdat
	.protected	_ZN7rocprim17ROCPRIM_400000_NS6detail17trampoline_kernelINS0_14default_configENS1_25transform_config_selectorIjLb1EEEZNS1_14transform_implILb1ES3_S5_PjS7_NS0_8identityIjEEEE10hipError_tT2_T3_mT4_P12ihipStream_tbEUlT_E_NS1_11comp_targetILNS1_3genE3ELNS1_11target_archE908ELNS1_3gpuE7ELNS1_3repE0EEENS1_30default_config_static_selectorELNS0_4arch9wavefront6targetE1EEEvT1_ ; -- Begin function _ZN7rocprim17ROCPRIM_400000_NS6detail17trampoline_kernelINS0_14default_configENS1_25transform_config_selectorIjLb1EEEZNS1_14transform_implILb1ES3_S5_PjS7_NS0_8identityIjEEEE10hipError_tT2_T3_mT4_P12ihipStream_tbEUlT_E_NS1_11comp_targetILNS1_3genE3ELNS1_11target_archE908ELNS1_3gpuE7ELNS1_3repE0EEENS1_30default_config_static_selectorELNS0_4arch9wavefront6targetE1EEEvT1_
	.globl	_ZN7rocprim17ROCPRIM_400000_NS6detail17trampoline_kernelINS0_14default_configENS1_25transform_config_selectorIjLb1EEEZNS1_14transform_implILb1ES3_S5_PjS7_NS0_8identityIjEEEE10hipError_tT2_T3_mT4_P12ihipStream_tbEUlT_E_NS1_11comp_targetILNS1_3genE3ELNS1_11target_archE908ELNS1_3gpuE7ELNS1_3repE0EEENS1_30default_config_static_selectorELNS0_4arch9wavefront6targetE1EEEvT1_
	.p2align	8
	.type	_ZN7rocprim17ROCPRIM_400000_NS6detail17trampoline_kernelINS0_14default_configENS1_25transform_config_selectorIjLb1EEEZNS1_14transform_implILb1ES3_S5_PjS7_NS0_8identityIjEEEE10hipError_tT2_T3_mT4_P12ihipStream_tbEUlT_E_NS1_11comp_targetILNS1_3genE3ELNS1_11target_archE908ELNS1_3gpuE7ELNS1_3repE0EEENS1_30default_config_static_selectorELNS0_4arch9wavefront6targetE1EEEvT1_,@function
_ZN7rocprim17ROCPRIM_400000_NS6detail17trampoline_kernelINS0_14default_configENS1_25transform_config_selectorIjLb1EEEZNS1_14transform_implILb1ES3_S5_PjS7_NS0_8identityIjEEEE10hipError_tT2_T3_mT4_P12ihipStream_tbEUlT_E_NS1_11comp_targetILNS1_3genE3ELNS1_11target_archE908ELNS1_3gpuE7ELNS1_3repE0EEENS1_30default_config_static_selectorELNS0_4arch9wavefront6targetE1EEEvT1_: ; @_ZN7rocprim17ROCPRIM_400000_NS6detail17trampoline_kernelINS0_14default_configENS1_25transform_config_selectorIjLb1EEEZNS1_14transform_implILb1ES3_S5_PjS7_NS0_8identityIjEEEE10hipError_tT2_T3_mT4_P12ihipStream_tbEUlT_E_NS1_11comp_targetILNS1_3genE3ELNS1_11target_archE908ELNS1_3gpuE7ELNS1_3repE0EEENS1_30default_config_static_selectorELNS0_4arch9wavefront6targetE1EEEvT1_
; %bb.0:
	.section	.rodata,"a",@progbits
	.p2align	6, 0x0
	.amdhsa_kernel _ZN7rocprim17ROCPRIM_400000_NS6detail17trampoline_kernelINS0_14default_configENS1_25transform_config_selectorIjLb1EEEZNS1_14transform_implILb1ES3_S5_PjS7_NS0_8identityIjEEEE10hipError_tT2_T3_mT4_P12ihipStream_tbEUlT_E_NS1_11comp_targetILNS1_3genE3ELNS1_11target_archE908ELNS1_3gpuE7ELNS1_3repE0EEENS1_30default_config_static_selectorELNS0_4arch9wavefront6targetE1EEEvT1_
		.amdhsa_group_segment_fixed_size 0
		.amdhsa_private_segment_fixed_size 0
		.amdhsa_kernarg_size 40
		.amdhsa_user_sgpr_count 6
		.amdhsa_user_sgpr_private_segment_buffer 1
		.amdhsa_user_sgpr_dispatch_ptr 0
		.amdhsa_user_sgpr_queue_ptr 0
		.amdhsa_user_sgpr_kernarg_segment_ptr 1
		.amdhsa_user_sgpr_dispatch_id 0
		.amdhsa_user_sgpr_flat_scratch_init 0
		.amdhsa_user_sgpr_kernarg_preload_length 0
		.amdhsa_user_sgpr_kernarg_preload_offset 0
		.amdhsa_user_sgpr_private_segment_size 0
		.amdhsa_uses_dynamic_stack 0
		.amdhsa_system_sgpr_private_segment_wavefront_offset 0
		.amdhsa_system_sgpr_workgroup_id_x 1
		.amdhsa_system_sgpr_workgroup_id_y 0
		.amdhsa_system_sgpr_workgroup_id_z 0
		.amdhsa_system_sgpr_workgroup_info 0
		.amdhsa_system_vgpr_workitem_id 0
		.amdhsa_next_free_vgpr 1
		.amdhsa_next_free_sgpr 0
		.amdhsa_accum_offset 4
		.amdhsa_reserve_vcc 0
		.amdhsa_reserve_flat_scratch 0
		.amdhsa_float_round_mode_32 0
		.amdhsa_float_round_mode_16_64 0
		.amdhsa_float_denorm_mode_32 3
		.amdhsa_float_denorm_mode_16_64 3
		.amdhsa_dx10_clamp 1
		.amdhsa_ieee_mode 1
		.amdhsa_fp16_overflow 0
		.amdhsa_tg_split 0
		.amdhsa_exception_fp_ieee_invalid_op 0
		.amdhsa_exception_fp_denorm_src 0
		.amdhsa_exception_fp_ieee_div_zero 0
		.amdhsa_exception_fp_ieee_overflow 0
		.amdhsa_exception_fp_ieee_underflow 0
		.amdhsa_exception_fp_ieee_inexact 0
		.amdhsa_exception_int_div_zero 0
	.end_amdhsa_kernel
	.section	.text._ZN7rocprim17ROCPRIM_400000_NS6detail17trampoline_kernelINS0_14default_configENS1_25transform_config_selectorIjLb1EEEZNS1_14transform_implILb1ES3_S5_PjS7_NS0_8identityIjEEEE10hipError_tT2_T3_mT4_P12ihipStream_tbEUlT_E_NS1_11comp_targetILNS1_3genE3ELNS1_11target_archE908ELNS1_3gpuE7ELNS1_3repE0EEENS1_30default_config_static_selectorELNS0_4arch9wavefront6targetE1EEEvT1_,"axG",@progbits,_ZN7rocprim17ROCPRIM_400000_NS6detail17trampoline_kernelINS0_14default_configENS1_25transform_config_selectorIjLb1EEEZNS1_14transform_implILb1ES3_S5_PjS7_NS0_8identityIjEEEE10hipError_tT2_T3_mT4_P12ihipStream_tbEUlT_E_NS1_11comp_targetILNS1_3genE3ELNS1_11target_archE908ELNS1_3gpuE7ELNS1_3repE0EEENS1_30default_config_static_selectorELNS0_4arch9wavefront6targetE1EEEvT1_,comdat
.Lfunc_end714:
	.size	_ZN7rocprim17ROCPRIM_400000_NS6detail17trampoline_kernelINS0_14default_configENS1_25transform_config_selectorIjLb1EEEZNS1_14transform_implILb1ES3_S5_PjS7_NS0_8identityIjEEEE10hipError_tT2_T3_mT4_P12ihipStream_tbEUlT_E_NS1_11comp_targetILNS1_3genE3ELNS1_11target_archE908ELNS1_3gpuE7ELNS1_3repE0EEENS1_30default_config_static_selectorELNS0_4arch9wavefront6targetE1EEEvT1_, .Lfunc_end714-_ZN7rocprim17ROCPRIM_400000_NS6detail17trampoline_kernelINS0_14default_configENS1_25transform_config_selectorIjLb1EEEZNS1_14transform_implILb1ES3_S5_PjS7_NS0_8identityIjEEEE10hipError_tT2_T3_mT4_P12ihipStream_tbEUlT_E_NS1_11comp_targetILNS1_3genE3ELNS1_11target_archE908ELNS1_3gpuE7ELNS1_3repE0EEENS1_30default_config_static_selectorELNS0_4arch9wavefront6targetE1EEEvT1_
                                        ; -- End function
	.section	.AMDGPU.csdata,"",@progbits
; Kernel info:
; codeLenInByte = 0
; NumSgprs: 4
; NumVgprs: 0
; NumAgprs: 0
; TotalNumVgprs: 0
; ScratchSize: 0
; MemoryBound: 0
; FloatMode: 240
; IeeeMode: 1
; LDSByteSize: 0 bytes/workgroup (compile time only)
; SGPRBlocks: 0
; VGPRBlocks: 0
; NumSGPRsForWavesPerEU: 4
; NumVGPRsForWavesPerEU: 1
; AccumOffset: 4
; Occupancy: 8
; WaveLimiterHint : 0
; COMPUTE_PGM_RSRC2:SCRATCH_EN: 0
; COMPUTE_PGM_RSRC2:USER_SGPR: 6
; COMPUTE_PGM_RSRC2:TRAP_HANDLER: 0
; COMPUTE_PGM_RSRC2:TGID_X_EN: 1
; COMPUTE_PGM_RSRC2:TGID_Y_EN: 0
; COMPUTE_PGM_RSRC2:TGID_Z_EN: 0
; COMPUTE_PGM_RSRC2:TIDIG_COMP_CNT: 0
; COMPUTE_PGM_RSRC3_GFX90A:ACCUM_OFFSET: 0
; COMPUTE_PGM_RSRC3_GFX90A:TG_SPLIT: 0
	.section	.text._ZN7rocprim17ROCPRIM_400000_NS6detail17trampoline_kernelINS0_14default_configENS1_25transform_config_selectorIjLb1EEEZNS1_14transform_implILb1ES3_S5_PjS7_NS0_8identityIjEEEE10hipError_tT2_T3_mT4_P12ihipStream_tbEUlT_E_NS1_11comp_targetILNS1_3genE2ELNS1_11target_archE906ELNS1_3gpuE6ELNS1_3repE0EEENS1_30default_config_static_selectorELNS0_4arch9wavefront6targetE1EEEvT1_,"axG",@progbits,_ZN7rocprim17ROCPRIM_400000_NS6detail17trampoline_kernelINS0_14default_configENS1_25transform_config_selectorIjLb1EEEZNS1_14transform_implILb1ES3_S5_PjS7_NS0_8identityIjEEEE10hipError_tT2_T3_mT4_P12ihipStream_tbEUlT_E_NS1_11comp_targetILNS1_3genE2ELNS1_11target_archE906ELNS1_3gpuE6ELNS1_3repE0EEENS1_30default_config_static_selectorELNS0_4arch9wavefront6targetE1EEEvT1_,comdat
	.protected	_ZN7rocprim17ROCPRIM_400000_NS6detail17trampoline_kernelINS0_14default_configENS1_25transform_config_selectorIjLb1EEEZNS1_14transform_implILb1ES3_S5_PjS7_NS0_8identityIjEEEE10hipError_tT2_T3_mT4_P12ihipStream_tbEUlT_E_NS1_11comp_targetILNS1_3genE2ELNS1_11target_archE906ELNS1_3gpuE6ELNS1_3repE0EEENS1_30default_config_static_selectorELNS0_4arch9wavefront6targetE1EEEvT1_ ; -- Begin function _ZN7rocprim17ROCPRIM_400000_NS6detail17trampoline_kernelINS0_14default_configENS1_25transform_config_selectorIjLb1EEEZNS1_14transform_implILb1ES3_S5_PjS7_NS0_8identityIjEEEE10hipError_tT2_T3_mT4_P12ihipStream_tbEUlT_E_NS1_11comp_targetILNS1_3genE2ELNS1_11target_archE906ELNS1_3gpuE6ELNS1_3repE0EEENS1_30default_config_static_selectorELNS0_4arch9wavefront6targetE1EEEvT1_
	.globl	_ZN7rocprim17ROCPRIM_400000_NS6detail17trampoline_kernelINS0_14default_configENS1_25transform_config_selectorIjLb1EEEZNS1_14transform_implILb1ES3_S5_PjS7_NS0_8identityIjEEEE10hipError_tT2_T3_mT4_P12ihipStream_tbEUlT_E_NS1_11comp_targetILNS1_3genE2ELNS1_11target_archE906ELNS1_3gpuE6ELNS1_3repE0EEENS1_30default_config_static_selectorELNS0_4arch9wavefront6targetE1EEEvT1_
	.p2align	8
	.type	_ZN7rocprim17ROCPRIM_400000_NS6detail17trampoline_kernelINS0_14default_configENS1_25transform_config_selectorIjLb1EEEZNS1_14transform_implILb1ES3_S5_PjS7_NS0_8identityIjEEEE10hipError_tT2_T3_mT4_P12ihipStream_tbEUlT_E_NS1_11comp_targetILNS1_3genE2ELNS1_11target_archE906ELNS1_3gpuE6ELNS1_3repE0EEENS1_30default_config_static_selectorELNS0_4arch9wavefront6targetE1EEEvT1_,@function
_ZN7rocprim17ROCPRIM_400000_NS6detail17trampoline_kernelINS0_14default_configENS1_25transform_config_selectorIjLb1EEEZNS1_14transform_implILb1ES3_S5_PjS7_NS0_8identityIjEEEE10hipError_tT2_T3_mT4_P12ihipStream_tbEUlT_E_NS1_11comp_targetILNS1_3genE2ELNS1_11target_archE906ELNS1_3gpuE6ELNS1_3repE0EEENS1_30default_config_static_selectorELNS0_4arch9wavefront6targetE1EEEvT1_: ; @_ZN7rocprim17ROCPRIM_400000_NS6detail17trampoline_kernelINS0_14default_configENS1_25transform_config_selectorIjLb1EEEZNS1_14transform_implILb1ES3_S5_PjS7_NS0_8identityIjEEEE10hipError_tT2_T3_mT4_P12ihipStream_tbEUlT_E_NS1_11comp_targetILNS1_3genE2ELNS1_11target_archE906ELNS1_3gpuE6ELNS1_3repE0EEENS1_30default_config_static_selectorELNS0_4arch9wavefront6targetE1EEEvT1_
; %bb.0:
	.section	.rodata,"a",@progbits
	.p2align	6, 0x0
	.amdhsa_kernel _ZN7rocprim17ROCPRIM_400000_NS6detail17trampoline_kernelINS0_14default_configENS1_25transform_config_selectorIjLb1EEEZNS1_14transform_implILb1ES3_S5_PjS7_NS0_8identityIjEEEE10hipError_tT2_T3_mT4_P12ihipStream_tbEUlT_E_NS1_11comp_targetILNS1_3genE2ELNS1_11target_archE906ELNS1_3gpuE6ELNS1_3repE0EEENS1_30default_config_static_selectorELNS0_4arch9wavefront6targetE1EEEvT1_
		.amdhsa_group_segment_fixed_size 0
		.amdhsa_private_segment_fixed_size 0
		.amdhsa_kernarg_size 40
		.amdhsa_user_sgpr_count 6
		.amdhsa_user_sgpr_private_segment_buffer 1
		.amdhsa_user_sgpr_dispatch_ptr 0
		.amdhsa_user_sgpr_queue_ptr 0
		.amdhsa_user_sgpr_kernarg_segment_ptr 1
		.amdhsa_user_sgpr_dispatch_id 0
		.amdhsa_user_sgpr_flat_scratch_init 0
		.amdhsa_user_sgpr_kernarg_preload_length 0
		.amdhsa_user_sgpr_kernarg_preload_offset 0
		.amdhsa_user_sgpr_private_segment_size 0
		.amdhsa_uses_dynamic_stack 0
		.amdhsa_system_sgpr_private_segment_wavefront_offset 0
		.amdhsa_system_sgpr_workgroup_id_x 1
		.amdhsa_system_sgpr_workgroup_id_y 0
		.amdhsa_system_sgpr_workgroup_id_z 0
		.amdhsa_system_sgpr_workgroup_info 0
		.amdhsa_system_vgpr_workitem_id 0
		.amdhsa_next_free_vgpr 1
		.amdhsa_next_free_sgpr 0
		.amdhsa_accum_offset 4
		.amdhsa_reserve_vcc 0
		.amdhsa_reserve_flat_scratch 0
		.amdhsa_float_round_mode_32 0
		.amdhsa_float_round_mode_16_64 0
		.amdhsa_float_denorm_mode_32 3
		.amdhsa_float_denorm_mode_16_64 3
		.amdhsa_dx10_clamp 1
		.amdhsa_ieee_mode 1
		.amdhsa_fp16_overflow 0
		.amdhsa_tg_split 0
		.amdhsa_exception_fp_ieee_invalid_op 0
		.amdhsa_exception_fp_denorm_src 0
		.amdhsa_exception_fp_ieee_div_zero 0
		.amdhsa_exception_fp_ieee_overflow 0
		.amdhsa_exception_fp_ieee_underflow 0
		.amdhsa_exception_fp_ieee_inexact 0
		.amdhsa_exception_int_div_zero 0
	.end_amdhsa_kernel
	.section	.text._ZN7rocprim17ROCPRIM_400000_NS6detail17trampoline_kernelINS0_14default_configENS1_25transform_config_selectorIjLb1EEEZNS1_14transform_implILb1ES3_S5_PjS7_NS0_8identityIjEEEE10hipError_tT2_T3_mT4_P12ihipStream_tbEUlT_E_NS1_11comp_targetILNS1_3genE2ELNS1_11target_archE906ELNS1_3gpuE6ELNS1_3repE0EEENS1_30default_config_static_selectorELNS0_4arch9wavefront6targetE1EEEvT1_,"axG",@progbits,_ZN7rocprim17ROCPRIM_400000_NS6detail17trampoline_kernelINS0_14default_configENS1_25transform_config_selectorIjLb1EEEZNS1_14transform_implILb1ES3_S5_PjS7_NS0_8identityIjEEEE10hipError_tT2_T3_mT4_P12ihipStream_tbEUlT_E_NS1_11comp_targetILNS1_3genE2ELNS1_11target_archE906ELNS1_3gpuE6ELNS1_3repE0EEENS1_30default_config_static_selectorELNS0_4arch9wavefront6targetE1EEEvT1_,comdat
.Lfunc_end715:
	.size	_ZN7rocprim17ROCPRIM_400000_NS6detail17trampoline_kernelINS0_14default_configENS1_25transform_config_selectorIjLb1EEEZNS1_14transform_implILb1ES3_S5_PjS7_NS0_8identityIjEEEE10hipError_tT2_T3_mT4_P12ihipStream_tbEUlT_E_NS1_11comp_targetILNS1_3genE2ELNS1_11target_archE906ELNS1_3gpuE6ELNS1_3repE0EEENS1_30default_config_static_selectorELNS0_4arch9wavefront6targetE1EEEvT1_, .Lfunc_end715-_ZN7rocprim17ROCPRIM_400000_NS6detail17trampoline_kernelINS0_14default_configENS1_25transform_config_selectorIjLb1EEEZNS1_14transform_implILb1ES3_S5_PjS7_NS0_8identityIjEEEE10hipError_tT2_T3_mT4_P12ihipStream_tbEUlT_E_NS1_11comp_targetILNS1_3genE2ELNS1_11target_archE906ELNS1_3gpuE6ELNS1_3repE0EEENS1_30default_config_static_selectorELNS0_4arch9wavefront6targetE1EEEvT1_
                                        ; -- End function
	.section	.AMDGPU.csdata,"",@progbits
; Kernel info:
; codeLenInByte = 0
; NumSgprs: 4
; NumVgprs: 0
; NumAgprs: 0
; TotalNumVgprs: 0
; ScratchSize: 0
; MemoryBound: 0
; FloatMode: 240
; IeeeMode: 1
; LDSByteSize: 0 bytes/workgroup (compile time only)
; SGPRBlocks: 0
; VGPRBlocks: 0
; NumSGPRsForWavesPerEU: 4
; NumVGPRsForWavesPerEU: 1
; AccumOffset: 4
; Occupancy: 8
; WaveLimiterHint : 0
; COMPUTE_PGM_RSRC2:SCRATCH_EN: 0
; COMPUTE_PGM_RSRC2:USER_SGPR: 6
; COMPUTE_PGM_RSRC2:TRAP_HANDLER: 0
; COMPUTE_PGM_RSRC2:TGID_X_EN: 1
; COMPUTE_PGM_RSRC2:TGID_Y_EN: 0
; COMPUTE_PGM_RSRC2:TGID_Z_EN: 0
; COMPUTE_PGM_RSRC2:TIDIG_COMP_CNT: 0
; COMPUTE_PGM_RSRC3_GFX90A:ACCUM_OFFSET: 0
; COMPUTE_PGM_RSRC3_GFX90A:TG_SPLIT: 0
	.section	.text._ZN7rocprim17ROCPRIM_400000_NS6detail17trampoline_kernelINS0_14default_configENS1_25transform_config_selectorIjLb1EEEZNS1_14transform_implILb1ES3_S5_PjS7_NS0_8identityIjEEEE10hipError_tT2_T3_mT4_P12ihipStream_tbEUlT_E_NS1_11comp_targetILNS1_3genE9ELNS1_11target_archE1100ELNS1_3gpuE3ELNS1_3repE0EEENS1_30default_config_static_selectorELNS0_4arch9wavefront6targetE1EEEvT1_,"axG",@progbits,_ZN7rocprim17ROCPRIM_400000_NS6detail17trampoline_kernelINS0_14default_configENS1_25transform_config_selectorIjLb1EEEZNS1_14transform_implILb1ES3_S5_PjS7_NS0_8identityIjEEEE10hipError_tT2_T3_mT4_P12ihipStream_tbEUlT_E_NS1_11comp_targetILNS1_3genE9ELNS1_11target_archE1100ELNS1_3gpuE3ELNS1_3repE0EEENS1_30default_config_static_selectorELNS0_4arch9wavefront6targetE1EEEvT1_,comdat
	.protected	_ZN7rocprim17ROCPRIM_400000_NS6detail17trampoline_kernelINS0_14default_configENS1_25transform_config_selectorIjLb1EEEZNS1_14transform_implILb1ES3_S5_PjS7_NS0_8identityIjEEEE10hipError_tT2_T3_mT4_P12ihipStream_tbEUlT_E_NS1_11comp_targetILNS1_3genE9ELNS1_11target_archE1100ELNS1_3gpuE3ELNS1_3repE0EEENS1_30default_config_static_selectorELNS0_4arch9wavefront6targetE1EEEvT1_ ; -- Begin function _ZN7rocprim17ROCPRIM_400000_NS6detail17trampoline_kernelINS0_14default_configENS1_25transform_config_selectorIjLb1EEEZNS1_14transform_implILb1ES3_S5_PjS7_NS0_8identityIjEEEE10hipError_tT2_T3_mT4_P12ihipStream_tbEUlT_E_NS1_11comp_targetILNS1_3genE9ELNS1_11target_archE1100ELNS1_3gpuE3ELNS1_3repE0EEENS1_30default_config_static_selectorELNS0_4arch9wavefront6targetE1EEEvT1_
	.globl	_ZN7rocprim17ROCPRIM_400000_NS6detail17trampoline_kernelINS0_14default_configENS1_25transform_config_selectorIjLb1EEEZNS1_14transform_implILb1ES3_S5_PjS7_NS0_8identityIjEEEE10hipError_tT2_T3_mT4_P12ihipStream_tbEUlT_E_NS1_11comp_targetILNS1_3genE9ELNS1_11target_archE1100ELNS1_3gpuE3ELNS1_3repE0EEENS1_30default_config_static_selectorELNS0_4arch9wavefront6targetE1EEEvT1_
	.p2align	8
	.type	_ZN7rocprim17ROCPRIM_400000_NS6detail17trampoline_kernelINS0_14default_configENS1_25transform_config_selectorIjLb1EEEZNS1_14transform_implILb1ES3_S5_PjS7_NS0_8identityIjEEEE10hipError_tT2_T3_mT4_P12ihipStream_tbEUlT_E_NS1_11comp_targetILNS1_3genE9ELNS1_11target_archE1100ELNS1_3gpuE3ELNS1_3repE0EEENS1_30default_config_static_selectorELNS0_4arch9wavefront6targetE1EEEvT1_,@function
_ZN7rocprim17ROCPRIM_400000_NS6detail17trampoline_kernelINS0_14default_configENS1_25transform_config_selectorIjLb1EEEZNS1_14transform_implILb1ES3_S5_PjS7_NS0_8identityIjEEEE10hipError_tT2_T3_mT4_P12ihipStream_tbEUlT_E_NS1_11comp_targetILNS1_3genE9ELNS1_11target_archE1100ELNS1_3gpuE3ELNS1_3repE0EEENS1_30default_config_static_selectorELNS0_4arch9wavefront6targetE1EEEvT1_: ; @_ZN7rocprim17ROCPRIM_400000_NS6detail17trampoline_kernelINS0_14default_configENS1_25transform_config_selectorIjLb1EEEZNS1_14transform_implILb1ES3_S5_PjS7_NS0_8identityIjEEEE10hipError_tT2_T3_mT4_P12ihipStream_tbEUlT_E_NS1_11comp_targetILNS1_3genE9ELNS1_11target_archE1100ELNS1_3gpuE3ELNS1_3repE0EEENS1_30default_config_static_selectorELNS0_4arch9wavefront6targetE1EEEvT1_
; %bb.0:
	.section	.rodata,"a",@progbits
	.p2align	6, 0x0
	.amdhsa_kernel _ZN7rocprim17ROCPRIM_400000_NS6detail17trampoline_kernelINS0_14default_configENS1_25transform_config_selectorIjLb1EEEZNS1_14transform_implILb1ES3_S5_PjS7_NS0_8identityIjEEEE10hipError_tT2_T3_mT4_P12ihipStream_tbEUlT_E_NS1_11comp_targetILNS1_3genE9ELNS1_11target_archE1100ELNS1_3gpuE3ELNS1_3repE0EEENS1_30default_config_static_selectorELNS0_4arch9wavefront6targetE1EEEvT1_
		.amdhsa_group_segment_fixed_size 0
		.amdhsa_private_segment_fixed_size 0
		.amdhsa_kernarg_size 40
		.amdhsa_user_sgpr_count 6
		.amdhsa_user_sgpr_private_segment_buffer 1
		.amdhsa_user_sgpr_dispatch_ptr 0
		.amdhsa_user_sgpr_queue_ptr 0
		.amdhsa_user_sgpr_kernarg_segment_ptr 1
		.amdhsa_user_sgpr_dispatch_id 0
		.amdhsa_user_sgpr_flat_scratch_init 0
		.amdhsa_user_sgpr_kernarg_preload_length 0
		.amdhsa_user_sgpr_kernarg_preload_offset 0
		.amdhsa_user_sgpr_private_segment_size 0
		.amdhsa_uses_dynamic_stack 0
		.amdhsa_system_sgpr_private_segment_wavefront_offset 0
		.amdhsa_system_sgpr_workgroup_id_x 1
		.amdhsa_system_sgpr_workgroup_id_y 0
		.amdhsa_system_sgpr_workgroup_id_z 0
		.amdhsa_system_sgpr_workgroup_info 0
		.amdhsa_system_vgpr_workitem_id 0
		.amdhsa_next_free_vgpr 1
		.amdhsa_next_free_sgpr 0
		.amdhsa_accum_offset 4
		.amdhsa_reserve_vcc 0
		.amdhsa_reserve_flat_scratch 0
		.amdhsa_float_round_mode_32 0
		.amdhsa_float_round_mode_16_64 0
		.amdhsa_float_denorm_mode_32 3
		.amdhsa_float_denorm_mode_16_64 3
		.amdhsa_dx10_clamp 1
		.amdhsa_ieee_mode 1
		.amdhsa_fp16_overflow 0
		.amdhsa_tg_split 0
		.amdhsa_exception_fp_ieee_invalid_op 0
		.amdhsa_exception_fp_denorm_src 0
		.amdhsa_exception_fp_ieee_div_zero 0
		.amdhsa_exception_fp_ieee_overflow 0
		.amdhsa_exception_fp_ieee_underflow 0
		.amdhsa_exception_fp_ieee_inexact 0
		.amdhsa_exception_int_div_zero 0
	.end_amdhsa_kernel
	.section	.text._ZN7rocprim17ROCPRIM_400000_NS6detail17trampoline_kernelINS0_14default_configENS1_25transform_config_selectorIjLb1EEEZNS1_14transform_implILb1ES3_S5_PjS7_NS0_8identityIjEEEE10hipError_tT2_T3_mT4_P12ihipStream_tbEUlT_E_NS1_11comp_targetILNS1_3genE9ELNS1_11target_archE1100ELNS1_3gpuE3ELNS1_3repE0EEENS1_30default_config_static_selectorELNS0_4arch9wavefront6targetE1EEEvT1_,"axG",@progbits,_ZN7rocprim17ROCPRIM_400000_NS6detail17trampoline_kernelINS0_14default_configENS1_25transform_config_selectorIjLb1EEEZNS1_14transform_implILb1ES3_S5_PjS7_NS0_8identityIjEEEE10hipError_tT2_T3_mT4_P12ihipStream_tbEUlT_E_NS1_11comp_targetILNS1_3genE9ELNS1_11target_archE1100ELNS1_3gpuE3ELNS1_3repE0EEENS1_30default_config_static_selectorELNS0_4arch9wavefront6targetE1EEEvT1_,comdat
.Lfunc_end716:
	.size	_ZN7rocprim17ROCPRIM_400000_NS6detail17trampoline_kernelINS0_14default_configENS1_25transform_config_selectorIjLb1EEEZNS1_14transform_implILb1ES3_S5_PjS7_NS0_8identityIjEEEE10hipError_tT2_T3_mT4_P12ihipStream_tbEUlT_E_NS1_11comp_targetILNS1_3genE9ELNS1_11target_archE1100ELNS1_3gpuE3ELNS1_3repE0EEENS1_30default_config_static_selectorELNS0_4arch9wavefront6targetE1EEEvT1_, .Lfunc_end716-_ZN7rocprim17ROCPRIM_400000_NS6detail17trampoline_kernelINS0_14default_configENS1_25transform_config_selectorIjLb1EEEZNS1_14transform_implILb1ES3_S5_PjS7_NS0_8identityIjEEEE10hipError_tT2_T3_mT4_P12ihipStream_tbEUlT_E_NS1_11comp_targetILNS1_3genE9ELNS1_11target_archE1100ELNS1_3gpuE3ELNS1_3repE0EEENS1_30default_config_static_selectorELNS0_4arch9wavefront6targetE1EEEvT1_
                                        ; -- End function
	.section	.AMDGPU.csdata,"",@progbits
; Kernel info:
; codeLenInByte = 0
; NumSgprs: 4
; NumVgprs: 0
; NumAgprs: 0
; TotalNumVgprs: 0
; ScratchSize: 0
; MemoryBound: 0
; FloatMode: 240
; IeeeMode: 1
; LDSByteSize: 0 bytes/workgroup (compile time only)
; SGPRBlocks: 0
; VGPRBlocks: 0
; NumSGPRsForWavesPerEU: 4
; NumVGPRsForWavesPerEU: 1
; AccumOffset: 4
; Occupancy: 8
; WaveLimiterHint : 0
; COMPUTE_PGM_RSRC2:SCRATCH_EN: 0
; COMPUTE_PGM_RSRC2:USER_SGPR: 6
; COMPUTE_PGM_RSRC2:TRAP_HANDLER: 0
; COMPUTE_PGM_RSRC2:TGID_X_EN: 1
; COMPUTE_PGM_RSRC2:TGID_Y_EN: 0
; COMPUTE_PGM_RSRC2:TGID_Z_EN: 0
; COMPUTE_PGM_RSRC2:TIDIG_COMP_CNT: 0
; COMPUTE_PGM_RSRC3_GFX90A:ACCUM_OFFSET: 0
; COMPUTE_PGM_RSRC3_GFX90A:TG_SPLIT: 0
	.section	.text._ZN7rocprim17ROCPRIM_400000_NS6detail17trampoline_kernelINS0_14default_configENS1_25transform_config_selectorIjLb1EEEZNS1_14transform_implILb1ES3_S5_PjS7_NS0_8identityIjEEEE10hipError_tT2_T3_mT4_P12ihipStream_tbEUlT_E_NS1_11comp_targetILNS1_3genE8ELNS1_11target_archE1030ELNS1_3gpuE2ELNS1_3repE0EEENS1_30default_config_static_selectorELNS0_4arch9wavefront6targetE1EEEvT1_,"axG",@progbits,_ZN7rocprim17ROCPRIM_400000_NS6detail17trampoline_kernelINS0_14default_configENS1_25transform_config_selectorIjLb1EEEZNS1_14transform_implILb1ES3_S5_PjS7_NS0_8identityIjEEEE10hipError_tT2_T3_mT4_P12ihipStream_tbEUlT_E_NS1_11comp_targetILNS1_3genE8ELNS1_11target_archE1030ELNS1_3gpuE2ELNS1_3repE0EEENS1_30default_config_static_selectorELNS0_4arch9wavefront6targetE1EEEvT1_,comdat
	.protected	_ZN7rocprim17ROCPRIM_400000_NS6detail17trampoline_kernelINS0_14default_configENS1_25transform_config_selectorIjLb1EEEZNS1_14transform_implILb1ES3_S5_PjS7_NS0_8identityIjEEEE10hipError_tT2_T3_mT4_P12ihipStream_tbEUlT_E_NS1_11comp_targetILNS1_3genE8ELNS1_11target_archE1030ELNS1_3gpuE2ELNS1_3repE0EEENS1_30default_config_static_selectorELNS0_4arch9wavefront6targetE1EEEvT1_ ; -- Begin function _ZN7rocprim17ROCPRIM_400000_NS6detail17trampoline_kernelINS0_14default_configENS1_25transform_config_selectorIjLb1EEEZNS1_14transform_implILb1ES3_S5_PjS7_NS0_8identityIjEEEE10hipError_tT2_T3_mT4_P12ihipStream_tbEUlT_E_NS1_11comp_targetILNS1_3genE8ELNS1_11target_archE1030ELNS1_3gpuE2ELNS1_3repE0EEENS1_30default_config_static_selectorELNS0_4arch9wavefront6targetE1EEEvT1_
	.globl	_ZN7rocprim17ROCPRIM_400000_NS6detail17trampoline_kernelINS0_14default_configENS1_25transform_config_selectorIjLb1EEEZNS1_14transform_implILb1ES3_S5_PjS7_NS0_8identityIjEEEE10hipError_tT2_T3_mT4_P12ihipStream_tbEUlT_E_NS1_11comp_targetILNS1_3genE8ELNS1_11target_archE1030ELNS1_3gpuE2ELNS1_3repE0EEENS1_30default_config_static_selectorELNS0_4arch9wavefront6targetE1EEEvT1_
	.p2align	8
	.type	_ZN7rocprim17ROCPRIM_400000_NS6detail17trampoline_kernelINS0_14default_configENS1_25transform_config_selectorIjLb1EEEZNS1_14transform_implILb1ES3_S5_PjS7_NS0_8identityIjEEEE10hipError_tT2_T3_mT4_P12ihipStream_tbEUlT_E_NS1_11comp_targetILNS1_3genE8ELNS1_11target_archE1030ELNS1_3gpuE2ELNS1_3repE0EEENS1_30default_config_static_selectorELNS0_4arch9wavefront6targetE1EEEvT1_,@function
_ZN7rocprim17ROCPRIM_400000_NS6detail17trampoline_kernelINS0_14default_configENS1_25transform_config_selectorIjLb1EEEZNS1_14transform_implILb1ES3_S5_PjS7_NS0_8identityIjEEEE10hipError_tT2_T3_mT4_P12ihipStream_tbEUlT_E_NS1_11comp_targetILNS1_3genE8ELNS1_11target_archE1030ELNS1_3gpuE2ELNS1_3repE0EEENS1_30default_config_static_selectorELNS0_4arch9wavefront6targetE1EEEvT1_: ; @_ZN7rocprim17ROCPRIM_400000_NS6detail17trampoline_kernelINS0_14default_configENS1_25transform_config_selectorIjLb1EEEZNS1_14transform_implILb1ES3_S5_PjS7_NS0_8identityIjEEEE10hipError_tT2_T3_mT4_P12ihipStream_tbEUlT_E_NS1_11comp_targetILNS1_3genE8ELNS1_11target_archE1030ELNS1_3gpuE2ELNS1_3repE0EEENS1_30default_config_static_selectorELNS0_4arch9wavefront6targetE1EEEvT1_
; %bb.0:
	.section	.rodata,"a",@progbits
	.p2align	6, 0x0
	.amdhsa_kernel _ZN7rocprim17ROCPRIM_400000_NS6detail17trampoline_kernelINS0_14default_configENS1_25transform_config_selectorIjLb1EEEZNS1_14transform_implILb1ES3_S5_PjS7_NS0_8identityIjEEEE10hipError_tT2_T3_mT4_P12ihipStream_tbEUlT_E_NS1_11comp_targetILNS1_3genE8ELNS1_11target_archE1030ELNS1_3gpuE2ELNS1_3repE0EEENS1_30default_config_static_selectorELNS0_4arch9wavefront6targetE1EEEvT1_
		.amdhsa_group_segment_fixed_size 0
		.amdhsa_private_segment_fixed_size 0
		.amdhsa_kernarg_size 40
		.amdhsa_user_sgpr_count 6
		.amdhsa_user_sgpr_private_segment_buffer 1
		.amdhsa_user_sgpr_dispatch_ptr 0
		.amdhsa_user_sgpr_queue_ptr 0
		.amdhsa_user_sgpr_kernarg_segment_ptr 1
		.amdhsa_user_sgpr_dispatch_id 0
		.amdhsa_user_sgpr_flat_scratch_init 0
		.amdhsa_user_sgpr_kernarg_preload_length 0
		.amdhsa_user_sgpr_kernarg_preload_offset 0
		.amdhsa_user_sgpr_private_segment_size 0
		.amdhsa_uses_dynamic_stack 0
		.amdhsa_system_sgpr_private_segment_wavefront_offset 0
		.amdhsa_system_sgpr_workgroup_id_x 1
		.amdhsa_system_sgpr_workgroup_id_y 0
		.amdhsa_system_sgpr_workgroup_id_z 0
		.amdhsa_system_sgpr_workgroup_info 0
		.amdhsa_system_vgpr_workitem_id 0
		.amdhsa_next_free_vgpr 1
		.amdhsa_next_free_sgpr 0
		.amdhsa_accum_offset 4
		.amdhsa_reserve_vcc 0
		.amdhsa_reserve_flat_scratch 0
		.amdhsa_float_round_mode_32 0
		.amdhsa_float_round_mode_16_64 0
		.amdhsa_float_denorm_mode_32 3
		.amdhsa_float_denorm_mode_16_64 3
		.amdhsa_dx10_clamp 1
		.amdhsa_ieee_mode 1
		.amdhsa_fp16_overflow 0
		.amdhsa_tg_split 0
		.amdhsa_exception_fp_ieee_invalid_op 0
		.amdhsa_exception_fp_denorm_src 0
		.amdhsa_exception_fp_ieee_div_zero 0
		.amdhsa_exception_fp_ieee_overflow 0
		.amdhsa_exception_fp_ieee_underflow 0
		.amdhsa_exception_fp_ieee_inexact 0
		.amdhsa_exception_int_div_zero 0
	.end_amdhsa_kernel
	.section	.text._ZN7rocprim17ROCPRIM_400000_NS6detail17trampoline_kernelINS0_14default_configENS1_25transform_config_selectorIjLb1EEEZNS1_14transform_implILb1ES3_S5_PjS7_NS0_8identityIjEEEE10hipError_tT2_T3_mT4_P12ihipStream_tbEUlT_E_NS1_11comp_targetILNS1_3genE8ELNS1_11target_archE1030ELNS1_3gpuE2ELNS1_3repE0EEENS1_30default_config_static_selectorELNS0_4arch9wavefront6targetE1EEEvT1_,"axG",@progbits,_ZN7rocprim17ROCPRIM_400000_NS6detail17trampoline_kernelINS0_14default_configENS1_25transform_config_selectorIjLb1EEEZNS1_14transform_implILb1ES3_S5_PjS7_NS0_8identityIjEEEE10hipError_tT2_T3_mT4_P12ihipStream_tbEUlT_E_NS1_11comp_targetILNS1_3genE8ELNS1_11target_archE1030ELNS1_3gpuE2ELNS1_3repE0EEENS1_30default_config_static_selectorELNS0_4arch9wavefront6targetE1EEEvT1_,comdat
.Lfunc_end717:
	.size	_ZN7rocprim17ROCPRIM_400000_NS6detail17trampoline_kernelINS0_14default_configENS1_25transform_config_selectorIjLb1EEEZNS1_14transform_implILb1ES3_S5_PjS7_NS0_8identityIjEEEE10hipError_tT2_T3_mT4_P12ihipStream_tbEUlT_E_NS1_11comp_targetILNS1_3genE8ELNS1_11target_archE1030ELNS1_3gpuE2ELNS1_3repE0EEENS1_30default_config_static_selectorELNS0_4arch9wavefront6targetE1EEEvT1_, .Lfunc_end717-_ZN7rocprim17ROCPRIM_400000_NS6detail17trampoline_kernelINS0_14default_configENS1_25transform_config_selectorIjLb1EEEZNS1_14transform_implILb1ES3_S5_PjS7_NS0_8identityIjEEEE10hipError_tT2_T3_mT4_P12ihipStream_tbEUlT_E_NS1_11comp_targetILNS1_3genE8ELNS1_11target_archE1030ELNS1_3gpuE2ELNS1_3repE0EEENS1_30default_config_static_selectorELNS0_4arch9wavefront6targetE1EEEvT1_
                                        ; -- End function
	.section	.AMDGPU.csdata,"",@progbits
; Kernel info:
; codeLenInByte = 0
; NumSgprs: 4
; NumVgprs: 0
; NumAgprs: 0
; TotalNumVgprs: 0
; ScratchSize: 0
; MemoryBound: 0
; FloatMode: 240
; IeeeMode: 1
; LDSByteSize: 0 bytes/workgroup (compile time only)
; SGPRBlocks: 0
; VGPRBlocks: 0
; NumSGPRsForWavesPerEU: 4
; NumVGPRsForWavesPerEU: 1
; AccumOffset: 4
; Occupancy: 8
; WaveLimiterHint : 0
; COMPUTE_PGM_RSRC2:SCRATCH_EN: 0
; COMPUTE_PGM_RSRC2:USER_SGPR: 6
; COMPUTE_PGM_RSRC2:TRAP_HANDLER: 0
; COMPUTE_PGM_RSRC2:TGID_X_EN: 1
; COMPUTE_PGM_RSRC2:TGID_Y_EN: 0
; COMPUTE_PGM_RSRC2:TGID_Z_EN: 0
; COMPUTE_PGM_RSRC2:TIDIG_COMP_CNT: 0
; COMPUTE_PGM_RSRC3_GFX90A:ACCUM_OFFSET: 0
; COMPUTE_PGM_RSRC3_GFX90A:TG_SPLIT: 0
	.section	.text._ZN7rocprim17ROCPRIM_400000_NS6detail17trampoline_kernelINS0_14default_configENS1_38merge_sort_block_merge_config_selectorIjNS0_10empty_typeEEEZZNS1_27merge_sort_block_merge_implIS3_PjPS5_jNS1_19radix_merge_compareILb0ELb1EjNS0_19identity_decomposerEEEEE10hipError_tT0_T1_T2_jT3_P12ihipStream_tbPNSt15iterator_traitsISE_E10value_typeEPNSK_ISF_E10value_typeEPSG_NS1_7vsmem_tEENKUlT_SE_SF_SG_E_clIS8_S8_S9_S9_EESD_ST_SE_SF_SG_EUlST_E_NS1_11comp_targetILNS1_3genE0ELNS1_11target_archE4294967295ELNS1_3gpuE0ELNS1_3repE0EEENS1_48merge_mergepath_partition_config_static_selectorELNS0_4arch9wavefront6targetE1EEEvSF_,"axG",@progbits,_ZN7rocprim17ROCPRIM_400000_NS6detail17trampoline_kernelINS0_14default_configENS1_38merge_sort_block_merge_config_selectorIjNS0_10empty_typeEEEZZNS1_27merge_sort_block_merge_implIS3_PjPS5_jNS1_19radix_merge_compareILb0ELb1EjNS0_19identity_decomposerEEEEE10hipError_tT0_T1_T2_jT3_P12ihipStream_tbPNSt15iterator_traitsISE_E10value_typeEPNSK_ISF_E10value_typeEPSG_NS1_7vsmem_tEENKUlT_SE_SF_SG_E_clIS8_S8_S9_S9_EESD_ST_SE_SF_SG_EUlST_E_NS1_11comp_targetILNS1_3genE0ELNS1_11target_archE4294967295ELNS1_3gpuE0ELNS1_3repE0EEENS1_48merge_mergepath_partition_config_static_selectorELNS0_4arch9wavefront6targetE1EEEvSF_,comdat
	.protected	_ZN7rocprim17ROCPRIM_400000_NS6detail17trampoline_kernelINS0_14default_configENS1_38merge_sort_block_merge_config_selectorIjNS0_10empty_typeEEEZZNS1_27merge_sort_block_merge_implIS3_PjPS5_jNS1_19radix_merge_compareILb0ELb1EjNS0_19identity_decomposerEEEEE10hipError_tT0_T1_T2_jT3_P12ihipStream_tbPNSt15iterator_traitsISE_E10value_typeEPNSK_ISF_E10value_typeEPSG_NS1_7vsmem_tEENKUlT_SE_SF_SG_E_clIS8_S8_S9_S9_EESD_ST_SE_SF_SG_EUlST_E_NS1_11comp_targetILNS1_3genE0ELNS1_11target_archE4294967295ELNS1_3gpuE0ELNS1_3repE0EEENS1_48merge_mergepath_partition_config_static_selectorELNS0_4arch9wavefront6targetE1EEEvSF_ ; -- Begin function _ZN7rocprim17ROCPRIM_400000_NS6detail17trampoline_kernelINS0_14default_configENS1_38merge_sort_block_merge_config_selectorIjNS0_10empty_typeEEEZZNS1_27merge_sort_block_merge_implIS3_PjPS5_jNS1_19radix_merge_compareILb0ELb1EjNS0_19identity_decomposerEEEEE10hipError_tT0_T1_T2_jT3_P12ihipStream_tbPNSt15iterator_traitsISE_E10value_typeEPNSK_ISF_E10value_typeEPSG_NS1_7vsmem_tEENKUlT_SE_SF_SG_E_clIS8_S8_S9_S9_EESD_ST_SE_SF_SG_EUlST_E_NS1_11comp_targetILNS1_3genE0ELNS1_11target_archE4294967295ELNS1_3gpuE0ELNS1_3repE0EEENS1_48merge_mergepath_partition_config_static_selectorELNS0_4arch9wavefront6targetE1EEEvSF_
	.globl	_ZN7rocprim17ROCPRIM_400000_NS6detail17trampoline_kernelINS0_14default_configENS1_38merge_sort_block_merge_config_selectorIjNS0_10empty_typeEEEZZNS1_27merge_sort_block_merge_implIS3_PjPS5_jNS1_19radix_merge_compareILb0ELb1EjNS0_19identity_decomposerEEEEE10hipError_tT0_T1_T2_jT3_P12ihipStream_tbPNSt15iterator_traitsISE_E10value_typeEPNSK_ISF_E10value_typeEPSG_NS1_7vsmem_tEENKUlT_SE_SF_SG_E_clIS8_S8_S9_S9_EESD_ST_SE_SF_SG_EUlST_E_NS1_11comp_targetILNS1_3genE0ELNS1_11target_archE4294967295ELNS1_3gpuE0ELNS1_3repE0EEENS1_48merge_mergepath_partition_config_static_selectorELNS0_4arch9wavefront6targetE1EEEvSF_
	.p2align	8
	.type	_ZN7rocprim17ROCPRIM_400000_NS6detail17trampoline_kernelINS0_14default_configENS1_38merge_sort_block_merge_config_selectorIjNS0_10empty_typeEEEZZNS1_27merge_sort_block_merge_implIS3_PjPS5_jNS1_19radix_merge_compareILb0ELb1EjNS0_19identity_decomposerEEEEE10hipError_tT0_T1_T2_jT3_P12ihipStream_tbPNSt15iterator_traitsISE_E10value_typeEPNSK_ISF_E10value_typeEPSG_NS1_7vsmem_tEENKUlT_SE_SF_SG_E_clIS8_S8_S9_S9_EESD_ST_SE_SF_SG_EUlST_E_NS1_11comp_targetILNS1_3genE0ELNS1_11target_archE4294967295ELNS1_3gpuE0ELNS1_3repE0EEENS1_48merge_mergepath_partition_config_static_selectorELNS0_4arch9wavefront6targetE1EEEvSF_,@function
_ZN7rocprim17ROCPRIM_400000_NS6detail17trampoline_kernelINS0_14default_configENS1_38merge_sort_block_merge_config_selectorIjNS0_10empty_typeEEEZZNS1_27merge_sort_block_merge_implIS3_PjPS5_jNS1_19radix_merge_compareILb0ELb1EjNS0_19identity_decomposerEEEEE10hipError_tT0_T1_T2_jT3_P12ihipStream_tbPNSt15iterator_traitsISE_E10value_typeEPNSK_ISF_E10value_typeEPSG_NS1_7vsmem_tEENKUlT_SE_SF_SG_E_clIS8_S8_S9_S9_EESD_ST_SE_SF_SG_EUlST_E_NS1_11comp_targetILNS1_3genE0ELNS1_11target_archE4294967295ELNS1_3gpuE0ELNS1_3repE0EEENS1_48merge_mergepath_partition_config_static_selectorELNS0_4arch9wavefront6targetE1EEEvSF_: ; @_ZN7rocprim17ROCPRIM_400000_NS6detail17trampoline_kernelINS0_14default_configENS1_38merge_sort_block_merge_config_selectorIjNS0_10empty_typeEEEZZNS1_27merge_sort_block_merge_implIS3_PjPS5_jNS1_19radix_merge_compareILb0ELb1EjNS0_19identity_decomposerEEEEE10hipError_tT0_T1_T2_jT3_P12ihipStream_tbPNSt15iterator_traitsISE_E10value_typeEPNSK_ISF_E10value_typeEPSG_NS1_7vsmem_tEENKUlT_SE_SF_SG_E_clIS8_S8_S9_S9_EESD_ST_SE_SF_SG_EUlST_E_NS1_11comp_targetILNS1_3genE0ELNS1_11target_archE4294967295ELNS1_3gpuE0ELNS1_3repE0EEENS1_48merge_mergepath_partition_config_static_selectorELNS0_4arch9wavefront6targetE1EEEvSF_
; %bb.0:
	.section	.rodata,"a",@progbits
	.p2align	6, 0x0
	.amdhsa_kernel _ZN7rocprim17ROCPRIM_400000_NS6detail17trampoline_kernelINS0_14default_configENS1_38merge_sort_block_merge_config_selectorIjNS0_10empty_typeEEEZZNS1_27merge_sort_block_merge_implIS3_PjPS5_jNS1_19radix_merge_compareILb0ELb1EjNS0_19identity_decomposerEEEEE10hipError_tT0_T1_T2_jT3_P12ihipStream_tbPNSt15iterator_traitsISE_E10value_typeEPNSK_ISF_E10value_typeEPSG_NS1_7vsmem_tEENKUlT_SE_SF_SG_E_clIS8_S8_S9_S9_EESD_ST_SE_SF_SG_EUlST_E_NS1_11comp_targetILNS1_3genE0ELNS1_11target_archE4294967295ELNS1_3gpuE0ELNS1_3repE0EEENS1_48merge_mergepath_partition_config_static_selectorELNS0_4arch9wavefront6targetE1EEEvSF_
		.amdhsa_group_segment_fixed_size 0
		.amdhsa_private_segment_fixed_size 0
		.amdhsa_kernarg_size 40
		.amdhsa_user_sgpr_count 6
		.amdhsa_user_sgpr_private_segment_buffer 1
		.amdhsa_user_sgpr_dispatch_ptr 0
		.amdhsa_user_sgpr_queue_ptr 0
		.amdhsa_user_sgpr_kernarg_segment_ptr 1
		.amdhsa_user_sgpr_dispatch_id 0
		.amdhsa_user_sgpr_flat_scratch_init 0
		.amdhsa_user_sgpr_kernarg_preload_length 0
		.amdhsa_user_sgpr_kernarg_preload_offset 0
		.amdhsa_user_sgpr_private_segment_size 0
		.amdhsa_uses_dynamic_stack 0
		.amdhsa_system_sgpr_private_segment_wavefront_offset 0
		.amdhsa_system_sgpr_workgroup_id_x 1
		.amdhsa_system_sgpr_workgroup_id_y 0
		.amdhsa_system_sgpr_workgroup_id_z 0
		.amdhsa_system_sgpr_workgroup_info 0
		.amdhsa_system_vgpr_workitem_id 0
		.amdhsa_next_free_vgpr 1
		.amdhsa_next_free_sgpr 0
		.amdhsa_accum_offset 4
		.amdhsa_reserve_vcc 0
		.amdhsa_reserve_flat_scratch 0
		.amdhsa_float_round_mode_32 0
		.amdhsa_float_round_mode_16_64 0
		.amdhsa_float_denorm_mode_32 3
		.amdhsa_float_denorm_mode_16_64 3
		.amdhsa_dx10_clamp 1
		.amdhsa_ieee_mode 1
		.amdhsa_fp16_overflow 0
		.amdhsa_tg_split 0
		.amdhsa_exception_fp_ieee_invalid_op 0
		.amdhsa_exception_fp_denorm_src 0
		.amdhsa_exception_fp_ieee_div_zero 0
		.amdhsa_exception_fp_ieee_overflow 0
		.amdhsa_exception_fp_ieee_underflow 0
		.amdhsa_exception_fp_ieee_inexact 0
		.amdhsa_exception_int_div_zero 0
	.end_amdhsa_kernel
	.section	.text._ZN7rocprim17ROCPRIM_400000_NS6detail17trampoline_kernelINS0_14default_configENS1_38merge_sort_block_merge_config_selectorIjNS0_10empty_typeEEEZZNS1_27merge_sort_block_merge_implIS3_PjPS5_jNS1_19radix_merge_compareILb0ELb1EjNS0_19identity_decomposerEEEEE10hipError_tT0_T1_T2_jT3_P12ihipStream_tbPNSt15iterator_traitsISE_E10value_typeEPNSK_ISF_E10value_typeEPSG_NS1_7vsmem_tEENKUlT_SE_SF_SG_E_clIS8_S8_S9_S9_EESD_ST_SE_SF_SG_EUlST_E_NS1_11comp_targetILNS1_3genE0ELNS1_11target_archE4294967295ELNS1_3gpuE0ELNS1_3repE0EEENS1_48merge_mergepath_partition_config_static_selectorELNS0_4arch9wavefront6targetE1EEEvSF_,"axG",@progbits,_ZN7rocprim17ROCPRIM_400000_NS6detail17trampoline_kernelINS0_14default_configENS1_38merge_sort_block_merge_config_selectorIjNS0_10empty_typeEEEZZNS1_27merge_sort_block_merge_implIS3_PjPS5_jNS1_19radix_merge_compareILb0ELb1EjNS0_19identity_decomposerEEEEE10hipError_tT0_T1_T2_jT3_P12ihipStream_tbPNSt15iterator_traitsISE_E10value_typeEPNSK_ISF_E10value_typeEPSG_NS1_7vsmem_tEENKUlT_SE_SF_SG_E_clIS8_S8_S9_S9_EESD_ST_SE_SF_SG_EUlST_E_NS1_11comp_targetILNS1_3genE0ELNS1_11target_archE4294967295ELNS1_3gpuE0ELNS1_3repE0EEENS1_48merge_mergepath_partition_config_static_selectorELNS0_4arch9wavefront6targetE1EEEvSF_,comdat
.Lfunc_end718:
	.size	_ZN7rocprim17ROCPRIM_400000_NS6detail17trampoline_kernelINS0_14default_configENS1_38merge_sort_block_merge_config_selectorIjNS0_10empty_typeEEEZZNS1_27merge_sort_block_merge_implIS3_PjPS5_jNS1_19radix_merge_compareILb0ELb1EjNS0_19identity_decomposerEEEEE10hipError_tT0_T1_T2_jT3_P12ihipStream_tbPNSt15iterator_traitsISE_E10value_typeEPNSK_ISF_E10value_typeEPSG_NS1_7vsmem_tEENKUlT_SE_SF_SG_E_clIS8_S8_S9_S9_EESD_ST_SE_SF_SG_EUlST_E_NS1_11comp_targetILNS1_3genE0ELNS1_11target_archE4294967295ELNS1_3gpuE0ELNS1_3repE0EEENS1_48merge_mergepath_partition_config_static_selectorELNS0_4arch9wavefront6targetE1EEEvSF_, .Lfunc_end718-_ZN7rocprim17ROCPRIM_400000_NS6detail17trampoline_kernelINS0_14default_configENS1_38merge_sort_block_merge_config_selectorIjNS0_10empty_typeEEEZZNS1_27merge_sort_block_merge_implIS3_PjPS5_jNS1_19radix_merge_compareILb0ELb1EjNS0_19identity_decomposerEEEEE10hipError_tT0_T1_T2_jT3_P12ihipStream_tbPNSt15iterator_traitsISE_E10value_typeEPNSK_ISF_E10value_typeEPSG_NS1_7vsmem_tEENKUlT_SE_SF_SG_E_clIS8_S8_S9_S9_EESD_ST_SE_SF_SG_EUlST_E_NS1_11comp_targetILNS1_3genE0ELNS1_11target_archE4294967295ELNS1_3gpuE0ELNS1_3repE0EEENS1_48merge_mergepath_partition_config_static_selectorELNS0_4arch9wavefront6targetE1EEEvSF_
                                        ; -- End function
	.section	.AMDGPU.csdata,"",@progbits
; Kernel info:
; codeLenInByte = 0
; NumSgprs: 4
; NumVgprs: 0
; NumAgprs: 0
; TotalNumVgprs: 0
; ScratchSize: 0
; MemoryBound: 0
; FloatMode: 240
; IeeeMode: 1
; LDSByteSize: 0 bytes/workgroup (compile time only)
; SGPRBlocks: 0
; VGPRBlocks: 0
; NumSGPRsForWavesPerEU: 4
; NumVGPRsForWavesPerEU: 1
; AccumOffset: 4
; Occupancy: 8
; WaveLimiterHint : 0
; COMPUTE_PGM_RSRC2:SCRATCH_EN: 0
; COMPUTE_PGM_RSRC2:USER_SGPR: 6
; COMPUTE_PGM_RSRC2:TRAP_HANDLER: 0
; COMPUTE_PGM_RSRC2:TGID_X_EN: 1
; COMPUTE_PGM_RSRC2:TGID_Y_EN: 0
; COMPUTE_PGM_RSRC2:TGID_Z_EN: 0
; COMPUTE_PGM_RSRC2:TIDIG_COMP_CNT: 0
; COMPUTE_PGM_RSRC3_GFX90A:ACCUM_OFFSET: 0
; COMPUTE_PGM_RSRC3_GFX90A:TG_SPLIT: 0
	.section	.text._ZN7rocprim17ROCPRIM_400000_NS6detail17trampoline_kernelINS0_14default_configENS1_38merge_sort_block_merge_config_selectorIjNS0_10empty_typeEEEZZNS1_27merge_sort_block_merge_implIS3_PjPS5_jNS1_19radix_merge_compareILb0ELb1EjNS0_19identity_decomposerEEEEE10hipError_tT0_T1_T2_jT3_P12ihipStream_tbPNSt15iterator_traitsISE_E10value_typeEPNSK_ISF_E10value_typeEPSG_NS1_7vsmem_tEENKUlT_SE_SF_SG_E_clIS8_S8_S9_S9_EESD_ST_SE_SF_SG_EUlST_E_NS1_11comp_targetILNS1_3genE10ELNS1_11target_archE1201ELNS1_3gpuE5ELNS1_3repE0EEENS1_48merge_mergepath_partition_config_static_selectorELNS0_4arch9wavefront6targetE1EEEvSF_,"axG",@progbits,_ZN7rocprim17ROCPRIM_400000_NS6detail17trampoline_kernelINS0_14default_configENS1_38merge_sort_block_merge_config_selectorIjNS0_10empty_typeEEEZZNS1_27merge_sort_block_merge_implIS3_PjPS5_jNS1_19radix_merge_compareILb0ELb1EjNS0_19identity_decomposerEEEEE10hipError_tT0_T1_T2_jT3_P12ihipStream_tbPNSt15iterator_traitsISE_E10value_typeEPNSK_ISF_E10value_typeEPSG_NS1_7vsmem_tEENKUlT_SE_SF_SG_E_clIS8_S8_S9_S9_EESD_ST_SE_SF_SG_EUlST_E_NS1_11comp_targetILNS1_3genE10ELNS1_11target_archE1201ELNS1_3gpuE5ELNS1_3repE0EEENS1_48merge_mergepath_partition_config_static_selectorELNS0_4arch9wavefront6targetE1EEEvSF_,comdat
	.protected	_ZN7rocprim17ROCPRIM_400000_NS6detail17trampoline_kernelINS0_14default_configENS1_38merge_sort_block_merge_config_selectorIjNS0_10empty_typeEEEZZNS1_27merge_sort_block_merge_implIS3_PjPS5_jNS1_19radix_merge_compareILb0ELb1EjNS0_19identity_decomposerEEEEE10hipError_tT0_T1_T2_jT3_P12ihipStream_tbPNSt15iterator_traitsISE_E10value_typeEPNSK_ISF_E10value_typeEPSG_NS1_7vsmem_tEENKUlT_SE_SF_SG_E_clIS8_S8_S9_S9_EESD_ST_SE_SF_SG_EUlST_E_NS1_11comp_targetILNS1_3genE10ELNS1_11target_archE1201ELNS1_3gpuE5ELNS1_3repE0EEENS1_48merge_mergepath_partition_config_static_selectorELNS0_4arch9wavefront6targetE1EEEvSF_ ; -- Begin function _ZN7rocprim17ROCPRIM_400000_NS6detail17trampoline_kernelINS0_14default_configENS1_38merge_sort_block_merge_config_selectorIjNS0_10empty_typeEEEZZNS1_27merge_sort_block_merge_implIS3_PjPS5_jNS1_19radix_merge_compareILb0ELb1EjNS0_19identity_decomposerEEEEE10hipError_tT0_T1_T2_jT3_P12ihipStream_tbPNSt15iterator_traitsISE_E10value_typeEPNSK_ISF_E10value_typeEPSG_NS1_7vsmem_tEENKUlT_SE_SF_SG_E_clIS8_S8_S9_S9_EESD_ST_SE_SF_SG_EUlST_E_NS1_11comp_targetILNS1_3genE10ELNS1_11target_archE1201ELNS1_3gpuE5ELNS1_3repE0EEENS1_48merge_mergepath_partition_config_static_selectorELNS0_4arch9wavefront6targetE1EEEvSF_
	.globl	_ZN7rocprim17ROCPRIM_400000_NS6detail17trampoline_kernelINS0_14default_configENS1_38merge_sort_block_merge_config_selectorIjNS0_10empty_typeEEEZZNS1_27merge_sort_block_merge_implIS3_PjPS5_jNS1_19radix_merge_compareILb0ELb1EjNS0_19identity_decomposerEEEEE10hipError_tT0_T1_T2_jT3_P12ihipStream_tbPNSt15iterator_traitsISE_E10value_typeEPNSK_ISF_E10value_typeEPSG_NS1_7vsmem_tEENKUlT_SE_SF_SG_E_clIS8_S8_S9_S9_EESD_ST_SE_SF_SG_EUlST_E_NS1_11comp_targetILNS1_3genE10ELNS1_11target_archE1201ELNS1_3gpuE5ELNS1_3repE0EEENS1_48merge_mergepath_partition_config_static_selectorELNS0_4arch9wavefront6targetE1EEEvSF_
	.p2align	8
	.type	_ZN7rocprim17ROCPRIM_400000_NS6detail17trampoline_kernelINS0_14default_configENS1_38merge_sort_block_merge_config_selectorIjNS0_10empty_typeEEEZZNS1_27merge_sort_block_merge_implIS3_PjPS5_jNS1_19radix_merge_compareILb0ELb1EjNS0_19identity_decomposerEEEEE10hipError_tT0_T1_T2_jT3_P12ihipStream_tbPNSt15iterator_traitsISE_E10value_typeEPNSK_ISF_E10value_typeEPSG_NS1_7vsmem_tEENKUlT_SE_SF_SG_E_clIS8_S8_S9_S9_EESD_ST_SE_SF_SG_EUlST_E_NS1_11comp_targetILNS1_3genE10ELNS1_11target_archE1201ELNS1_3gpuE5ELNS1_3repE0EEENS1_48merge_mergepath_partition_config_static_selectorELNS0_4arch9wavefront6targetE1EEEvSF_,@function
_ZN7rocprim17ROCPRIM_400000_NS6detail17trampoline_kernelINS0_14default_configENS1_38merge_sort_block_merge_config_selectorIjNS0_10empty_typeEEEZZNS1_27merge_sort_block_merge_implIS3_PjPS5_jNS1_19radix_merge_compareILb0ELb1EjNS0_19identity_decomposerEEEEE10hipError_tT0_T1_T2_jT3_P12ihipStream_tbPNSt15iterator_traitsISE_E10value_typeEPNSK_ISF_E10value_typeEPSG_NS1_7vsmem_tEENKUlT_SE_SF_SG_E_clIS8_S8_S9_S9_EESD_ST_SE_SF_SG_EUlST_E_NS1_11comp_targetILNS1_3genE10ELNS1_11target_archE1201ELNS1_3gpuE5ELNS1_3repE0EEENS1_48merge_mergepath_partition_config_static_selectorELNS0_4arch9wavefront6targetE1EEEvSF_: ; @_ZN7rocprim17ROCPRIM_400000_NS6detail17trampoline_kernelINS0_14default_configENS1_38merge_sort_block_merge_config_selectorIjNS0_10empty_typeEEEZZNS1_27merge_sort_block_merge_implIS3_PjPS5_jNS1_19radix_merge_compareILb0ELb1EjNS0_19identity_decomposerEEEEE10hipError_tT0_T1_T2_jT3_P12ihipStream_tbPNSt15iterator_traitsISE_E10value_typeEPNSK_ISF_E10value_typeEPSG_NS1_7vsmem_tEENKUlT_SE_SF_SG_E_clIS8_S8_S9_S9_EESD_ST_SE_SF_SG_EUlST_E_NS1_11comp_targetILNS1_3genE10ELNS1_11target_archE1201ELNS1_3gpuE5ELNS1_3repE0EEENS1_48merge_mergepath_partition_config_static_selectorELNS0_4arch9wavefront6targetE1EEEvSF_
; %bb.0:
	.section	.rodata,"a",@progbits
	.p2align	6, 0x0
	.amdhsa_kernel _ZN7rocprim17ROCPRIM_400000_NS6detail17trampoline_kernelINS0_14default_configENS1_38merge_sort_block_merge_config_selectorIjNS0_10empty_typeEEEZZNS1_27merge_sort_block_merge_implIS3_PjPS5_jNS1_19radix_merge_compareILb0ELb1EjNS0_19identity_decomposerEEEEE10hipError_tT0_T1_T2_jT3_P12ihipStream_tbPNSt15iterator_traitsISE_E10value_typeEPNSK_ISF_E10value_typeEPSG_NS1_7vsmem_tEENKUlT_SE_SF_SG_E_clIS8_S8_S9_S9_EESD_ST_SE_SF_SG_EUlST_E_NS1_11comp_targetILNS1_3genE10ELNS1_11target_archE1201ELNS1_3gpuE5ELNS1_3repE0EEENS1_48merge_mergepath_partition_config_static_selectorELNS0_4arch9wavefront6targetE1EEEvSF_
		.amdhsa_group_segment_fixed_size 0
		.amdhsa_private_segment_fixed_size 0
		.amdhsa_kernarg_size 40
		.amdhsa_user_sgpr_count 6
		.amdhsa_user_sgpr_private_segment_buffer 1
		.amdhsa_user_sgpr_dispatch_ptr 0
		.amdhsa_user_sgpr_queue_ptr 0
		.amdhsa_user_sgpr_kernarg_segment_ptr 1
		.amdhsa_user_sgpr_dispatch_id 0
		.amdhsa_user_sgpr_flat_scratch_init 0
		.amdhsa_user_sgpr_kernarg_preload_length 0
		.amdhsa_user_sgpr_kernarg_preload_offset 0
		.amdhsa_user_sgpr_private_segment_size 0
		.amdhsa_uses_dynamic_stack 0
		.amdhsa_system_sgpr_private_segment_wavefront_offset 0
		.amdhsa_system_sgpr_workgroup_id_x 1
		.amdhsa_system_sgpr_workgroup_id_y 0
		.amdhsa_system_sgpr_workgroup_id_z 0
		.amdhsa_system_sgpr_workgroup_info 0
		.amdhsa_system_vgpr_workitem_id 0
		.amdhsa_next_free_vgpr 1
		.amdhsa_next_free_sgpr 0
		.amdhsa_accum_offset 4
		.amdhsa_reserve_vcc 0
		.amdhsa_reserve_flat_scratch 0
		.amdhsa_float_round_mode_32 0
		.amdhsa_float_round_mode_16_64 0
		.amdhsa_float_denorm_mode_32 3
		.amdhsa_float_denorm_mode_16_64 3
		.amdhsa_dx10_clamp 1
		.amdhsa_ieee_mode 1
		.amdhsa_fp16_overflow 0
		.amdhsa_tg_split 0
		.amdhsa_exception_fp_ieee_invalid_op 0
		.amdhsa_exception_fp_denorm_src 0
		.amdhsa_exception_fp_ieee_div_zero 0
		.amdhsa_exception_fp_ieee_overflow 0
		.amdhsa_exception_fp_ieee_underflow 0
		.amdhsa_exception_fp_ieee_inexact 0
		.amdhsa_exception_int_div_zero 0
	.end_amdhsa_kernel
	.section	.text._ZN7rocprim17ROCPRIM_400000_NS6detail17trampoline_kernelINS0_14default_configENS1_38merge_sort_block_merge_config_selectorIjNS0_10empty_typeEEEZZNS1_27merge_sort_block_merge_implIS3_PjPS5_jNS1_19radix_merge_compareILb0ELb1EjNS0_19identity_decomposerEEEEE10hipError_tT0_T1_T2_jT3_P12ihipStream_tbPNSt15iterator_traitsISE_E10value_typeEPNSK_ISF_E10value_typeEPSG_NS1_7vsmem_tEENKUlT_SE_SF_SG_E_clIS8_S8_S9_S9_EESD_ST_SE_SF_SG_EUlST_E_NS1_11comp_targetILNS1_3genE10ELNS1_11target_archE1201ELNS1_3gpuE5ELNS1_3repE0EEENS1_48merge_mergepath_partition_config_static_selectorELNS0_4arch9wavefront6targetE1EEEvSF_,"axG",@progbits,_ZN7rocprim17ROCPRIM_400000_NS6detail17trampoline_kernelINS0_14default_configENS1_38merge_sort_block_merge_config_selectorIjNS0_10empty_typeEEEZZNS1_27merge_sort_block_merge_implIS3_PjPS5_jNS1_19radix_merge_compareILb0ELb1EjNS0_19identity_decomposerEEEEE10hipError_tT0_T1_T2_jT3_P12ihipStream_tbPNSt15iterator_traitsISE_E10value_typeEPNSK_ISF_E10value_typeEPSG_NS1_7vsmem_tEENKUlT_SE_SF_SG_E_clIS8_S8_S9_S9_EESD_ST_SE_SF_SG_EUlST_E_NS1_11comp_targetILNS1_3genE10ELNS1_11target_archE1201ELNS1_3gpuE5ELNS1_3repE0EEENS1_48merge_mergepath_partition_config_static_selectorELNS0_4arch9wavefront6targetE1EEEvSF_,comdat
.Lfunc_end719:
	.size	_ZN7rocprim17ROCPRIM_400000_NS6detail17trampoline_kernelINS0_14default_configENS1_38merge_sort_block_merge_config_selectorIjNS0_10empty_typeEEEZZNS1_27merge_sort_block_merge_implIS3_PjPS5_jNS1_19radix_merge_compareILb0ELb1EjNS0_19identity_decomposerEEEEE10hipError_tT0_T1_T2_jT3_P12ihipStream_tbPNSt15iterator_traitsISE_E10value_typeEPNSK_ISF_E10value_typeEPSG_NS1_7vsmem_tEENKUlT_SE_SF_SG_E_clIS8_S8_S9_S9_EESD_ST_SE_SF_SG_EUlST_E_NS1_11comp_targetILNS1_3genE10ELNS1_11target_archE1201ELNS1_3gpuE5ELNS1_3repE0EEENS1_48merge_mergepath_partition_config_static_selectorELNS0_4arch9wavefront6targetE1EEEvSF_, .Lfunc_end719-_ZN7rocprim17ROCPRIM_400000_NS6detail17trampoline_kernelINS0_14default_configENS1_38merge_sort_block_merge_config_selectorIjNS0_10empty_typeEEEZZNS1_27merge_sort_block_merge_implIS3_PjPS5_jNS1_19radix_merge_compareILb0ELb1EjNS0_19identity_decomposerEEEEE10hipError_tT0_T1_T2_jT3_P12ihipStream_tbPNSt15iterator_traitsISE_E10value_typeEPNSK_ISF_E10value_typeEPSG_NS1_7vsmem_tEENKUlT_SE_SF_SG_E_clIS8_S8_S9_S9_EESD_ST_SE_SF_SG_EUlST_E_NS1_11comp_targetILNS1_3genE10ELNS1_11target_archE1201ELNS1_3gpuE5ELNS1_3repE0EEENS1_48merge_mergepath_partition_config_static_selectorELNS0_4arch9wavefront6targetE1EEEvSF_
                                        ; -- End function
	.section	.AMDGPU.csdata,"",@progbits
; Kernel info:
; codeLenInByte = 0
; NumSgprs: 4
; NumVgprs: 0
; NumAgprs: 0
; TotalNumVgprs: 0
; ScratchSize: 0
; MemoryBound: 0
; FloatMode: 240
; IeeeMode: 1
; LDSByteSize: 0 bytes/workgroup (compile time only)
; SGPRBlocks: 0
; VGPRBlocks: 0
; NumSGPRsForWavesPerEU: 4
; NumVGPRsForWavesPerEU: 1
; AccumOffset: 4
; Occupancy: 8
; WaveLimiterHint : 0
; COMPUTE_PGM_RSRC2:SCRATCH_EN: 0
; COMPUTE_PGM_RSRC2:USER_SGPR: 6
; COMPUTE_PGM_RSRC2:TRAP_HANDLER: 0
; COMPUTE_PGM_RSRC2:TGID_X_EN: 1
; COMPUTE_PGM_RSRC2:TGID_Y_EN: 0
; COMPUTE_PGM_RSRC2:TGID_Z_EN: 0
; COMPUTE_PGM_RSRC2:TIDIG_COMP_CNT: 0
; COMPUTE_PGM_RSRC3_GFX90A:ACCUM_OFFSET: 0
; COMPUTE_PGM_RSRC3_GFX90A:TG_SPLIT: 0
	.section	.text._ZN7rocprim17ROCPRIM_400000_NS6detail17trampoline_kernelINS0_14default_configENS1_38merge_sort_block_merge_config_selectorIjNS0_10empty_typeEEEZZNS1_27merge_sort_block_merge_implIS3_PjPS5_jNS1_19radix_merge_compareILb0ELb1EjNS0_19identity_decomposerEEEEE10hipError_tT0_T1_T2_jT3_P12ihipStream_tbPNSt15iterator_traitsISE_E10value_typeEPNSK_ISF_E10value_typeEPSG_NS1_7vsmem_tEENKUlT_SE_SF_SG_E_clIS8_S8_S9_S9_EESD_ST_SE_SF_SG_EUlST_E_NS1_11comp_targetILNS1_3genE5ELNS1_11target_archE942ELNS1_3gpuE9ELNS1_3repE0EEENS1_48merge_mergepath_partition_config_static_selectorELNS0_4arch9wavefront6targetE1EEEvSF_,"axG",@progbits,_ZN7rocprim17ROCPRIM_400000_NS6detail17trampoline_kernelINS0_14default_configENS1_38merge_sort_block_merge_config_selectorIjNS0_10empty_typeEEEZZNS1_27merge_sort_block_merge_implIS3_PjPS5_jNS1_19radix_merge_compareILb0ELb1EjNS0_19identity_decomposerEEEEE10hipError_tT0_T1_T2_jT3_P12ihipStream_tbPNSt15iterator_traitsISE_E10value_typeEPNSK_ISF_E10value_typeEPSG_NS1_7vsmem_tEENKUlT_SE_SF_SG_E_clIS8_S8_S9_S9_EESD_ST_SE_SF_SG_EUlST_E_NS1_11comp_targetILNS1_3genE5ELNS1_11target_archE942ELNS1_3gpuE9ELNS1_3repE0EEENS1_48merge_mergepath_partition_config_static_selectorELNS0_4arch9wavefront6targetE1EEEvSF_,comdat
	.protected	_ZN7rocprim17ROCPRIM_400000_NS6detail17trampoline_kernelINS0_14default_configENS1_38merge_sort_block_merge_config_selectorIjNS0_10empty_typeEEEZZNS1_27merge_sort_block_merge_implIS3_PjPS5_jNS1_19radix_merge_compareILb0ELb1EjNS0_19identity_decomposerEEEEE10hipError_tT0_T1_T2_jT3_P12ihipStream_tbPNSt15iterator_traitsISE_E10value_typeEPNSK_ISF_E10value_typeEPSG_NS1_7vsmem_tEENKUlT_SE_SF_SG_E_clIS8_S8_S9_S9_EESD_ST_SE_SF_SG_EUlST_E_NS1_11comp_targetILNS1_3genE5ELNS1_11target_archE942ELNS1_3gpuE9ELNS1_3repE0EEENS1_48merge_mergepath_partition_config_static_selectorELNS0_4arch9wavefront6targetE1EEEvSF_ ; -- Begin function _ZN7rocprim17ROCPRIM_400000_NS6detail17trampoline_kernelINS0_14default_configENS1_38merge_sort_block_merge_config_selectorIjNS0_10empty_typeEEEZZNS1_27merge_sort_block_merge_implIS3_PjPS5_jNS1_19radix_merge_compareILb0ELb1EjNS0_19identity_decomposerEEEEE10hipError_tT0_T1_T2_jT3_P12ihipStream_tbPNSt15iterator_traitsISE_E10value_typeEPNSK_ISF_E10value_typeEPSG_NS1_7vsmem_tEENKUlT_SE_SF_SG_E_clIS8_S8_S9_S9_EESD_ST_SE_SF_SG_EUlST_E_NS1_11comp_targetILNS1_3genE5ELNS1_11target_archE942ELNS1_3gpuE9ELNS1_3repE0EEENS1_48merge_mergepath_partition_config_static_selectorELNS0_4arch9wavefront6targetE1EEEvSF_
	.globl	_ZN7rocprim17ROCPRIM_400000_NS6detail17trampoline_kernelINS0_14default_configENS1_38merge_sort_block_merge_config_selectorIjNS0_10empty_typeEEEZZNS1_27merge_sort_block_merge_implIS3_PjPS5_jNS1_19radix_merge_compareILb0ELb1EjNS0_19identity_decomposerEEEEE10hipError_tT0_T1_T2_jT3_P12ihipStream_tbPNSt15iterator_traitsISE_E10value_typeEPNSK_ISF_E10value_typeEPSG_NS1_7vsmem_tEENKUlT_SE_SF_SG_E_clIS8_S8_S9_S9_EESD_ST_SE_SF_SG_EUlST_E_NS1_11comp_targetILNS1_3genE5ELNS1_11target_archE942ELNS1_3gpuE9ELNS1_3repE0EEENS1_48merge_mergepath_partition_config_static_selectorELNS0_4arch9wavefront6targetE1EEEvSF_
	.p2align	8
	.type	_ZN7rocprim17ROCPRIM_400000_NS6detail17trampoline_kernelINS0_14default_configENS1_38merge_sort_block_merge_config_selectorIjNS0_10empty_typeEEEZZNS1_27merge_sort_block_merge_implIS3_PjPS5_jNS1_19radix_merge_compareILb0ELb1EjNS0_19identity_decomposerEEEEE10hipError_tT0_T1_T2_jT3_P12ihipStream_tbPNSt15iterator_traitsISE_E10value_typeEPNSK_ISF_E10value_typeEPSG_NS1_7vsmem_tEENKUlT_SE_SF_SG_E_clIS8_S8_S9_S9_EESD_ST_SE_SF_SG_EUlST_E_NS1_11comp_targetILNS1_3genE5ELNS1_11target_archE942ELNS1_3gpuE9ELNS1_3repE0EEENS1_48merge_mergepath_partition_config_static_selectorELNS0_4arch9wavefront6targetE1EEEvSF_,@function
_ZN7rocprim17ROCPRIM_400000_NS6detail17trampoline_kernelINS0_14default_configENS1_38merge_sort_block_merge_config_selectorIjNS0_10empty_typeEEEZZNS1_27merge_sort_block_merge_implIS3_PjPS5_jNS1_19radix_merge_compareILb0ELb1EjNS0_19identity_decomposerEEEEE10hipError_tT0_T1_T2_jT3_P12ihipStream_tbPNSt15iterator_traitsISE_E10value_typeEPNSK_ISF_E10value_typeEPSG_NS1_7vsmem_tEENKUlT_SE_SF_SG_E_clIS8_S8_S9_S9_EESD_ST_SE_SF_SG_EUlST_E_NS1_11comp_targetILNS1_3genE5ELNS1_11target_archE942ELNS1_3gpuE9ELNS1_3repE0EEENS1_48merge_mergepath_partition_config_static_selectorELNS0_4arch9wavefront6targetE1EEEvSF_: ; @_ZN7rocprim17ROCPRIM_400000_NS6detail17trampoline_kernelINS0_14default_configENS1_38merge_sort_block_merge_config_selectorIjNS0_10empty_typeEEEZZNS1_27merge_sort_block_merge_implIS3_PjPS5_jNS1_19radix_merge_compareILb0ELb1EjNS0_19identity_decomposerEEEEE10hipError_tT0_T1_T2_jT3_P12ihipStream_tbPNSt15iterator_traitsISE_E10value_typeEPNSK_ISF_E10value_typeEPSG_NS1_7vsmem_tEENKUlT_SE_SF_SG_E_clIS8_S8_S9_S9_EESD_ST_SE_SF_SG_EUlST_E_NS1_11comp_targetILNS1_3genE5ELNS1_11target_archE942ELNS1_3gpuE9ELNS1_3repE0EEENS1_48merge_mergepath_partition_config_static_selectorELNS0_4arch9wavefront6targetE1EEEvSF_
; %bb.0:
	.section	.rodata,"a",@progbits
	.p2align	6, 0x0
	.amdhsa_kernel _ZN7rocprim17ROCPRIM_400000_NS6detail17trampoline_kernelINS0_14default_configENS1_38merge_sort_block_merge_config_selectorIjNS0_10empty_typeEEEZZNS1_27merge_sort_block_merge_implIS3_PjPS5_jNS1_19radix_merge_compareILb0ELb1EjNS0_19identity_decomposerEEEEE10hipError_tT0_T1_T2_jT3_P12ihipStream_tbPNSt15iterator_traitsISE_E10value_typeEPNSK_ISF_E10value_typeEPSG_NS1_7vsmem_tEENKUlT_SE_SF_SG_E_clIS8_S8_S9_S9_EESD_ST_SE_SF_SG_EUlST_E_NS1_11comp_targetILNS1_3genE5ELNS1_11target_archE942ELNS1_3gpuE9ELNS1_3repE0EEENS1_48merge_mergepath_partition_config_static_selectorELNS0_4arch9wavefront6targetE1EEEvSF_
		.amdhsa_group_segment_fixed_size 0
		.amdhsa_private_segment_fixed_size 0
		.amdhsa_kernarg_size 40
		.amdhsa_user_sgpr_count 6
		.amdhsa_user_sgpr_private_segment_buffer 1
		.amdhsa_user_sgpr_dispatch_ptr 0
		.amdhsa_user_sgpr_queue_ptr 0
		.amdhsa_user_sgpr_kernarg_segment_ptr 1
		.amdhsa_user_sgpr_dispatch_id 0
		.amdhsa_user_sgpr_flat_scratch_init 0
		.amdhsa_user_sgpr_kernarg_preload_length 0
		.amdhsa_user_sgpr_kernarg_preload_offset 0
		.amdhsa_user_sgpr_private_segment_size 0
		.amdhsa_uses_dynamic_stack 0
		.amdhsa_system_sgpr_private_segment_wavefront_offset 0
		.amdhsa_system_sgpr_workgroup_id_x 1
		.amdhsa_system_sgpr_workgroup_id_y 0
		.amdhsa_system_sgpr_workgroup_id_z 0
		.amdhsa_system_sgpr_workgroup_info 0
		.amdhsa_system_vgpr_workitem_id 0
		.amdhsa_next_free_vgpr 1
		.amdhsa_next_free_sgpr 0
		.amdhsa_accum_offset 4
		.amdhsa_reserve_vcc 0
		.amdhsa_reserve_flat_scratch 0
		.amdhsa_float_round_mode_32 0
		.amdhsa_float_round_mode_16_64 0
		.amdhsa_float_denorm_mode_32 3
		.amdhsa_float_denorm_mode_16_64 3
		.amdhsa_dx10_clamp 1
		.amdhsa_ieee_mode 1
		.amdhsa_fp16_overflow 0
		.amdhsa_tg_split 0
		.amdhsa_exception_fp_ieee_invalid_op 0
		.amdhsa_exception_fp_denorm_src 0
		.amdhsa_exception_fp_ieee_div_zero 0
		.amdhsa_exception_fp_ieee_overflow 0
		.amdhsa_exception_fp_ieee_underflow 0
		.amdhsa_exception_fp_ieee_inexact 0
		.amdhsa_exception_int_div_zero 0
	.end_amdhsa_kernel
	.section	.text._ZN7rocprim17ROCPRIM_400000_NS6detail17trampoline_kernelINS0_14default_configENS1_38merge_sort_block_merge_config_selectorIjNS0_10empty_typeEEEZZNS1_27merge_sort_block_merge_implIS3_PjPS5_jNS1_19radix_merge_compareILb0ELb1EjNS0_19identity_decomposerEEEEE10hipError_tT0_T1_T2_jT3_P12ihipStream_tbPNSt15iterator_traitsISE_E10value_typeEPNSK_ISF_E10value_typeEPSG_NS1_7vsmem_tEENKUlT_SE_SF_SG_E_clIS8_S8_S9_S9_EESD_ST_SE_SF_SG_EUlST_E_NS1_11comp_targetILNS1_3genE5ELNS1_11target_archE942ELNS1_3gpuE9ELNS1_3repE0EEENS1_48merge_mergepath_partition_config_static_selectorELNS0_4arch9wavefront6targetE1EEEvSF_,"axG",@progbits,_ZN7rocprim17ROCPRIM_400000_NS6detail17trampoline_kernelINS0_14default_configENS1_38merge_sort_block_merge_config_selectorIjNS0_10empty_typeEEEZZNS1_27merge_sort_block_merge_implIS3_PjPS5_jNS1_19radix_merge_compareILb0ELb1EjNS0_19identity_decomposerEEEEE10hipError_tT0_T1_T2_jT3_P12ihipStream_tbPNSt15iterator_traitsISE_E10value_typeEPNSK_ISF_E10value_typeEPSG_NS1_7vsmem_tEENKUlT_SE_SF_SG_E_clIS8_S8_S9_S9_EESD_ST_SE_SF_SG_EUlST_E_NS1_11comp_targetILNS1_3genE5ELNS1_11target_archE942ELNS1_3gpuE9ELNS1_3repE0EEENS1_48merge_mergepath_partition_config_static_selectorELNS0_4arch9wavefront6targetE1EEEvSF_,comdat
.Lfunc_end720:
	.size	_ZN7rocprim17ROCPRIM_400000_NS6detail17trampoline_kernelINS0_14default_configENS1_38merge_sort_block_merge_config_selectorIjNS0_10empty_typeEEEZZNS1_27merge_sort_block_merge_implIS3_PjPS5_jNS1_19radix_merge_compareILb0ELb1EjNS0_19identity_decomposerEEEEE10hipError_tT0_T1_T2_jT3_P12ihipStream_tbPNSt15iterator_traitsISE_E10value_typeEPNSK_ISF_E10value_typeEPSG_NS1_7vsmem_tEENKUlT_SE_SF_SG_E_clIS8_S8_S9_S9_EESD_ST_SE_SF_SG_EUlST_E_NS1_11comp_targetILNS1_3genE5ELNS1_11target_archE942ELNS1_3gpuE9ELNS1_3repE0EEENS1_48merge_mergepath_partition_config_static_selectorELNS0_4arch9wavefront6targetE1EEEvSF_, .Lfunc_end720-_ZN7rocprim17ROCPRIM_400000_NS6detail17trampoline_kernelINS0_14default_configENS1_38merge_sort_block_merge_config_selectorIjNS0_10empty_typeEEEZZNS1_27merge_sort_block_merge_implIS3_PjPS5_jNS1_19radix_merge_compareILb0ELb1EjNS0_19identity_decomposerEEEEE10hipError_tT0_T1_T2_jT3_P12ihipStream_tbPNSt15iterator_traitsISE_E10value_typeEPNSK_ISF_E10value_typeEPSG_NS1_7vsmem_tEENKUlT_SE_SF_SG_E_clIS8_S8_S9_S9_EESD_ST_SE_SF_SG_EUlST_E_NS1_11comp_targetILNS1_3genE5ELNS1_11target_archE942ELNS1_3gpuE9ELNS1_3repE0EEENS1_48merge_mergepath_partition_config_static_selectorELNS0_4arch9wavefront6targetE1EEEvSF_
                                        ; -- End function
	.section	.AMDGPU.csdata,"",@progbits
; Kernel info:
; codeLenInByte = 0
; NumSgprs: 4
; NumVgprs: 0
; NumAgprs: 0
; TotalNumVgprs: 0
; ScratchSize: 0
; MemoryBound: 0
; FloatMode: 240
; IeeeMode: 1
; LDSByteSize: 0 bytes/workgroup (compile time only)
; SGPRBlocks: 0
; VGPRBlocks: 0
; NumSGPRsForWavesPerEU: 4
; NumVGPRsForWavesPerEU: 1
; AccumOffset: 4
; Occupancy: 8
; WaveLimiterHint : 0
; COMPUTE_PGM_RSRC2:SCRATCH_EN: 0
; COMPUTE_PGM_RSRC2:USER_SGPR: 6
; COMPUTE_PGM_RSRC2:TRAP_HANDLER: 0
; COMPUTE_PGM_RSRC2:TGID_X_EN: 1
; COMPUTE_PGM_RSRC2:TGID_Y_EN: 0
; COMPUTE_PGM_RSRC2:TGID_Z_EN: 0
; COMPUTE_PGM_RSRC2:TIDIG_COMP_CNT: 0
; COMPUTE_PGM_RSRC3_GFX90A:ACCUM_OFFSET: 0
; COMPUTE_PGM_RSRC3_GFX90A:TG_SPLIT: 0
	.section	.text._ZN7rocprim17ROCPRIM_400000_NS6detail17trampoline_kernelINS0_14default_configENS1_38merge_sort_block_merge_config_selectorIjNS0_10empty_typeEEEZZNS1_27merge_sort_block_merge_implIS3_PjPS5_jNS1_19radix_merge_compareILb0ELb1EjNS0_19identity_decomposerEEEEE10hipError_tT0_T1_T2_jT3_P12ihipStream_tbPNSt15iterator_traitsISE_E10value_typeEPNSK_ISF_E10value_typeEPSG_NS1_7vsmem_tEENKUlT_SE_SF_SG_E_clIS8_S8_S9_S9_EESD_ST_SE_SF_SG_EUlST_E_NS1_11comp_targetILNS1_3genE4ELNS1_11target_archE910ELNS1_3gpuE8ELNS1_3repE0EEENS1_48merge_mergepath_partition_config_static_selectorELNS0_4arch9wavefront6targetE1EEEvSF_,"axG",@progbits,_ZN7rocprim17ROCPRIM_400000_NS6detail17trampoline_kernelINS0_14default_configENS1_38merge_sort_block_merge_config_selectorIjNS0_10empty_typeEEEZZNS1_27merge_sort_block_merge_implIS3_PjPS5_jNS1_19radix_merge_compareILb0ELb1EjNS0_19identity_decomposerEEEEE10hipError_tT0_T1_T2_jT3_P12ihipStream_tbPNSt15iterator_traitsISE_E10value_typeEPNSK_ISF_E10value_typeEPSG_NS1_7vsmem_tEENKUlT_SE_SF_SG_E_clIS8_S8_S9_S9_EESD_ST_SE_SF_SG_EUlST_E_NS1_11comp_targetILNS1_3genE4ELNS1_11target_archE910ELNS1_3gpuE8ELNS1_3repE0EEENS1_48merge_mergepath_partition_config_static_selectorELNS0_4arch9wavefront6targetE1EEEvSF_,comdat
	.protected	_ZN7rocprim17ROCPRIM_400000_NS6detail17trampoline_kernelINS0_14default_configENS1_38merge_sort_block_merge_config_selectorIjNS0_10empty_typeEEEZZNS1_27merge_sort_block_merge_implIS3_PjPS5_jNS1_19radix_merge_compareILb0ELb1EjNS0_19identity_decomposerEEEEE10hipError_tT0_T1_T2_jT3_P12ihipStream_tbPNSt15iterator_traitsISE_E10value_typeEPNSK_ISF_E10value_typeEPSG_NS1_7vsmem_tEENKUlT_SE_SF_SG_E_clIS8_S8_S9_S9_EESD_ST_SE_SF_SG_EUlST_E_NS1_11comp_targetILNS1_3genE4ELNS1_11target_archE910ELNS1_3gpuE8ELNS1_3repE0EEENS1_48merge_mergepath_partition_config_static_selectorELNS0_4arch9wavefront6targetE1EEEvSF_ ; -- Begin function _ZN7rocprim17ROCPRIM_400000_NS6detail17trampoline_kernelINS0_14default_configENS1_38merge_sort_block_merge_config_selectorIjNS0_10empty_typeEEEZZNS1_27merge_sort_block_merge_implIS3_PjPS5_jNS1_19radix_merge_compareILb0ELb1EjNS0_19identity_decomposerEEEEE10hipError_tT0_T1_T2_jT3_P12ihipStream_tbPNSt15iterator_traitsISE_E10value_typeEPNSK_ISF_E10value_typeEPSG_NS1_7vsmem_tEENKUlT_SE_SF_SG_E_clIS8_S8_S9_S9_EESD_ST_SE_SF_SG_EUlST_E_NS1_11comp_targetILNS1_3genE4ELNS1_11target_archE910ELNS1_3gpuE8ELNS1_3repE0EEENS1_48merge_mergepath_partition_config_static_selectorELNS0_4arch9wavefront6targetE1EEEvSF_
	.globl	_ZN7rocprim17ROCPRIM_400000_NS6detail17trampoline_kernelINS0_14default_configENS1_38merge_sort_block_merge_config_selectorIjNS0_10empty_typeEEEZZNS1_27merge_sort_block_merge_implIS3_PjPS5_jNS1_19radix_merge_compareILb0ELb1EjNS0_19identity_decomposerEEEEE10hipError_tT0_T1_T2_jT3_P12ihipStream_tbPNSt15iterator_traitsISE_E10value_typeEPNSK_ISF_E10value_typeEPSG_NS1_7vsmem_tEENKUlT_SE_SF_SG_E_clIS8_S8_S9_S9_EESD_ST_SE_SF_SG_EUlST_E_NS1_11comp_targetILNS1_3genE4ELNS1_11target_archE910ELNS1_3gpuE8ELNS1_3repE0EEENS1_48merge_mergepath_partition_config_static_selectorELNS0_4arch9wavefront6targetE1EEEvSF_
	.p2align	8
	.type	_ZN7rocprim17ROCPRIM_400000_NS6detail17trampoline_kernelINS0_14default_configENS1_38merge_sort_block_merge_config_selectorIjNS0_10empty_typeEEEZZNS1_27merge_sort_block_merge_implIS3_PjPS5_jNS1_19radix_merge_compareILb0ELb1EjNS0_19identity_decomposerEEEEE10hipError_tT0_T1_T2_jT3_P12ihipStream_tbPNSt15iterator_traitsISE_E10value_typeEPNSK_ISF_E10value_typeEPSG_NS1_7vsmem_tEENKUlT_SE_SF_SG_E_clIS8_S8_S9_S9_EESD_ST_SE_SF_SG_EUlST_E_NS1_11comp_targetILNS1_3genE4ELNS1_11target_archE910ELNS1_3gpuE8ELNS1_3repE0EEENS1_48merge_mergepath_partition_config_static_selectorELNS0_4arch9wavefront6targetE1EEEvSF_,@function
_ZN7rocprim17ROCPRIM_400000_NS6detail17trampoline_kernelINS0_14default_configENS1_38merge_sort_block_merge_config_selectorIjNS0_10empty_typeEEEZZNS1_27merge_sort_block_merge_implIS3_PjPS5_jNS1_19radix_merge_compareILb0ELb1EjNS0_19identity_decomposerEEEEE10hipError_tT0_T1_T2_jT3_P12ihipStream_tbPNSt15iterator_traitsISE_E10value_typeEPNSK_ISF_E10value_typeEPSG_NS1_7vsmem_tEENKUlT_SE_SF_SG_E_clIS8_S8_S9_S9_EESD_ST_SE_SF_SG_EUlST_E_NS1_11comp_targetILNS1_3genE4ELNS1_11target_archE910ELNS1_3gpuE8ELNS1_3repE0EEENS1_48merge_mergepath_partition_config_static_selectorELNS0_4arch9wavefront6targetE1EEEvSF_: ; @_ZN7rocprim17ROCPRIM_400000_NS6detail17trampoline_kernelINS0_14default_configENS1_38merge_sort_block_merge_config_selectorIjNS0_10empty_typeEEEZZNS1_27merge_sort_block_merge_implIS3_PjPS5_jNS1_19radix_merge_compareILb0ELb1EjNS0_19identity_decomposerEEEEE10hipError_tT0_T1_T2_jT3_P12ihipStream_tbPNSt15iterator_traitsISE_E10value_typeEPNSK_ISF_E10value_typeEPSG_NS1_7vsmem_tEENKUlT_SE_SF_SG_E_clIS8_S8_S9_S9_EESD_ST_SE_SF_SG_EUlST_E_NS1_11comp_targetILNS1_3genE4ELNS1_11target_archE910ELNS1_3gpuE8ELNS1_3repE0EEENS1_48merge_mergepath_partition_config_static_selectorELNS0_4arch9wavefront6targetE1EEEvSF_
; %bb.0:
	s_load_dword s0, s[4:5], 0x0
	v_lshl_or_b32 v0, s6, 7, v0
	s_waitcnt lgkmcnt(0)
	v_cmp_gt_u32_e32 vcc, s0, v0
	s_and_saveexec_b64 s[0:1], vcc
	s_cbranch_execz .LBB721_6
; %bb.1:
	s_load_dwordx2 s[2:3], s[4:5], 0x4
	s_load_dwordx2 s[0:1], s[4:5], 0x20
	s_waitcnt lgkmcnt(0)
	s_lshr_b32 s6, s2, 9
	s_and_b32 s6, s6, 0x7ffffe
	s_add_i32 s7, s6, -1
	s_sub_i32 s6, 0, s6
	v_and_b32_e32 v1, s6, v0
	v_lshlrev_b32_e32 v1, 10, v1
	v_min_u32_e32 v2, s3, v1
	v_add_u32_e32 v1, s2, v1
	v_min_u32_e32 v4, s3, v1
	v_add_u32_e32 v1, s2, v4
	v_and_b32_e32 v3, s7, v0
	v_min_u32_e32 v1, s3, v1
	v_sub_u32_e32 v5, v1, v2
	v_lshlrev_b32_e32 v3, 10, v3
	v_min_u32_e32 v6, v5, v3
	v_sub_u32_e32 v3, v4, v2
	v_sub_u32_e32 v1, v1, v4
	v_sub_u32_e64 v1, v6, v1 clamp
	v_min_u32_e32 v7, v6, v3
	v_cmp_lt_u32_e32 vcc, v1, v7
	s_and_saveexec_b64 s[2:3], vcc
	s_cbranch_execz .LBB721_5
; %bb.2:
	s_load_dwordx2 s[8:9], s[4:5], 0x10
	s_load_dword s6, s[4:5], 0x18
	v_mov_b32_e32 v5, 0
	v_mov_b32_e32 v3, v5
	v_lshlrev_b64 v[8:9], 2, v[2:3]
	s_waitcnt lgkmcnt(0)
	v_mov_b32_e32 v12, s9
	v_add_co_u32_e32 v3, vcc, s8, v8
	v_addc_co_u32_e32 v8, vcc, v12, v9, vcc
	v_lshlrev_b64 v[10:11], 2, v[4:5]
	v_add_co_u32_e32 v9, vcc, s8, v10
	v_addc_co_u32_e32 v10, vcc, v12, v11, vcc
	s_mov_b64 s[4:5], 0
.LBB721_3:                              ; =>This Inner Loop Header: Depth=1
	v_add_u32_e32 v4, v7, v1
	v_lshrrev_b32_e32 v4, 1, v4
	v_lshlrev_b64 v[14:15], 2, v[4:5]
	v_mov_b32_e32 v13, v5
	v_xad_u32 v12, v4, -1, v6
	v_add_co_u32_e32 v14, vcc, v3, v14
	v_addc_co_u32_e32 v15, vcc, v8, v15, vcc
	v_lshlrev_b64 v[12:13], 2, v[12:13]
	v_add_co_u32_e32 v12, vcc, v9, v12
	v_addc_co_u32_e32 v13, vcc, v10, v13, vcc
	global_load_dword v11, v[14:15], off
	global_load_dword v16, v[12:13], off
	v_add_u32_e32 v12, 1, v4
	s_waitcnt vmcnt(1)
	v_and_b32_e32 v11, s6, v11
	s_waitcnt vmcnt(0)
	v_and_b32_e32 v13, s6, v16
	v_cmp_gt_u32_e32 vcc, v11, v13
	v_cndmask_b32_e32 v7, v7, v4, vcc
	v_cndmask_b32_e32 v1, v12, v1, vcc
	v_cmp_ge_u32_e32 vcc, v1, v7
	s_or_b64 s[4:5], vcc, s[4:5]
	s_andn2_b64 exec, exec, s[4:5]
	s_cbranch_execnz .LBB721_3
; %bb.4:
	s_or_b64 exec, exec, s[4:5]
.LBB721_5:
	s_or_b64 exec, exec, s[2:3]
	v_add_u32_e32 v2, v1, v2
	v_mov_b32_e32 v1, 0
	v_lshlrev_b64 v[0:1], 2, v[0:1]
	v_mov_b32_e32 v3, s1
	v_add_co_u32_e32 v0, vcc, s0, v0
	v_addc_co_u32_e32 v1, vcc, v3, v1, vcc
	global_store_dword v[0:1], v2, off
.LBB721_6:
	s_endpgm
	.section	.rodata,"a",@progbits
	.p2align	6, 0x0
	.amdhsa_kernel _ZN7rocprim17ROCPRIM_400000_NS6detail17trampoline_kernelINS0_14default_configENS1_38merge_sort_block_merge_config_selectorIjNS0_10empty_typeEEEZZNS1_27merge_sort_block_merge_implIS3_PjPS5_jNS1_19radix_merge_compareILb0ELb1EjNS0_19identity_decomposerEEEEE10hipError_tT0_T1_T2_jT3_P12ihipStream_tbPNSt15iterator_traitsISE_E10value_typeEPNSK_ISF_E10value_typeEPSG_NS1_7vsmem_tEENKUlT_SE_SF_SG_E_clIS8_S8_S9_S9_EESD_ST_SE_SF_SG_EUlST_E_NS1_11comp_targetILNS1_3genE4ELNS1_11target_archE910ELNS1_3gpuE8ELNS1_3repE0EEENS1_48merge_mergepath_partition_config_static_selectorELNS0_4arch9wavefront6targetE1EEEvSF_
		.amdhsa_group_segment_fixed_size 0
		.amdhsa_private_segment_fixed_size 0
		.amdhsa_kernarg_size 40
		.amdhsa_user_sgpr_count 6
		.amdhsa_user_sgpr_private_segment_buffer 1
		.amdhsa_user_sgpr_dispatch_ptr 0
		.amdhsa_user_sgpr_queue_ptr 0
		.amdhsa_user_sgpr_kernarg_segment_ptr 1
		.amdhsa_user_sgpr_dispatch_id 0
		.amdhsa_user_sgpr_flat_scratch_init 0
		.amdhsa_user_sgpr_kernarg_preload_length 0
		.amdhsa_user_sgpr_kernarg_preload_offset 0
		.amdhsa_user_sgpr_private_segment_size 0
		.amdhsa_uses_dynamic_stack 0
		.amdhsa_system_sgpr_private_segment_wavefront_offset 0
		.amdhsa_system_sgpr_workgroup_id_x 1
		.amdhsa_system_sgpr_workgroup_id_y 0
		.amdhsa_system_sgpr_workgroup_id_z 0
		.amdhsa_system_sgpr_workgroup_info 0
		.amdhsa_system_vgpr_workitem_id 0
		.amdhsa_next_free_vgpr 17
		.amdhsa_next_free_sgpr 10
		.amdhsa_accum_offset 20
		.amdhsa_reserve_vcc 1
		.amdhsa_reserve_flat_scratch 0
		.amdhsa_float_round_mode_32 0
		.amdhsa_float_round_mode_16_64 0
		.amdhsa_float_denorm_mode_32 3
		.amdhsa_float_denorm_mode_16_64 3
		.amdhsa_dx10_clamp 1
		.amdhsa_ieee_mode 1
		.amdhsa_fp16_overflow 0
		.amdhsa_tg_split 0
		.amdhsa_exception_fp_ieee_invalid_op 0
		.amdhsa_exception_fp_denorm_src 0
		.amdhsa_exception_fp_ieee_div_zero 0
		.amdhsa_exception_fp_ieee_overflow 0
		.amdhsa_exception_fp_ieee_underflow 0
		.amdhsa_exception_fp_ieee_inexact 0
		.amdhsa_exception_int_div_zero 0
	.end_amdhsa_kernel
	.section	.text._ZN7rocprim17ROCPRIM_400000_NS6detail17trampoline_kernelINS0_14default_configENS1_38merge_sort_block_merge_config_selectorIjNS0_10empty_typeEEEZZNS1_27merge_sort_block_merge_implIS3_PjPS5_jNS1_19radix_merge_compareILb0ELb1EjNS0_19identity_decomposerEEEEE10hipError_tT0_T1_T2_jT3_P12ihipStream_tbPNSt15iterator_traitsISE_E10value_typeEPNSK_ISF_E10value_typeEPSG_NS1_7vsmem_tEENKUlT_SE_SF_SG_E_clIS8_S8_S9_S9_EESD_ST_SE_SF_SG_EUlST_E_NS1_11comp_targetILNS1_3genE4ELNS1_11target_archE910ELNS1_3gpuE8ELNS1_3repE0EEENS1_48merge_mergepath_partition_config_static_selectorELNS0_4arch9wavefront6targetE1EEEvSF_,"axG",@progbits,_ZN7rocprim17ROCPRIM_400000_NS6detail17trampoline_kernelINS0_14default_configENS1_38merge_sort_block_merge_config_selectorIjNS0_10empty_typeEEEZZNS1_27merge_sort_block_merge_implIS3_PjPS5_jNS1_19radix_merge_compareILb0ELb1EjNS0_19identity_decomposerEEEEE10hipError_tT0_T1_T2_jT3_P12ihipStream_tbPNSt15iterator_traitsISE_E10value_typeEPNSK_ISF_E10value_typeEPSG_NS1_7vsmem_tEENKUlT_SE_SF_SG_E_clIS8_S8_S9_S9_EESD_ST_SE_SF_SG_EUlST_E_NS1_11comp_targetILNS1_3genE4ELNS1_11target_archE910ELNS1_3gpuE8ELNS1_3repE0EEENS1_48merge_mergepath_partition_config_static_selectorELNS0_4arch9wavefront6targetE1EEEvSF_,comdat
.Lfunc_end721:
	.size	_ZN7rocprim17ROCPRIM_400000_NS6detail17trampoline_kernelINS0_14default_configENS1_38merge_sort_block_merge_config_selectorIjNS0_10empty_typeEEEZZNS1_27merge_sort_block_merge_implIS3_PjPS5_jNS1_19radix_merge_compareILb0ELb1EjNS0_19identity_decomposerEEEEE10hipError_tT0_T1_T2_jT3_P12ihipStream_tbPNSt15iterator_traitsISE_E10value_typeEPNSK_ISF_E10value_typeEPSG_NS1_7vsmem_tEENKUlT_SE_SF_SG_E_clIS8_S8_S9_S9_EESD_ST_SE_SF_SG_EUlST_E_NS1_11comp_targetILNS1_3genE4ELNS1_11target_archE910ELNS1_3gpuE8ELNS1_3repE0EEENS1_48merge_mergepath_partition_config_static_selectorELNS0_4arch9wavefront6targetE1EEEvSF_, .Lfunc_end721-_ZN7rocprim17ROCPRIM_400000_NS6detail17trampoline_kernelINS0_14default_configENS1_38merge_sort_block_merge_config_selectorIjNS0_10empty_typeEEEZZNS1_27merge_sort_block_merge_implIS3_PjPS5_jNS1_19radix_merge_compareILb0ELb1EjNS0_19identity_decomposerEEEEE10hipError_tT0_T1_T2_jT3_P12ihipStream_tbPNSt15iterator_traitsISE_E10value_typeEPNSK_ISF_E10value_typeEPSG_NS1_7vsmem_tEENKUlT_SE_SF_SG_E_clIS8_S8_S9_S9_EESD_ST_SE_SF_SG_EUlST_E_NS1_11comp_targetILNS1_3genE4ELNS1_11target_archE910ELNS1_3gpuE8ELNS1_3repE0EEENS1_48merge_mergepath_partition_config_static_selectorELNS0_4arch9wavefront6targetE1EEEvSF_
                                        ; -- End function
	.section	.AMDGPU.csdata,"",@progbits
; Kernel info:
; codeLenInByte = 380
; NumSgprs: 14
; NumVgprs: 17
; NumAgprs: 0
; TotalNumVgprs: 17
; ScratchSize: 0
; MemoryBound: 0
; FloatMode: 240
; IeeeMode: 1
; LDSByteSize: 0 bytes/workgroup (compile time only)
; SGPRBlocks: 1
; VGPRBlocks: 2
; NumSGPRsForWavesPerEU: 14
; NumVGPRsForWavesPerEU: 17
; AccumOffset: 20
; Occupancy: 8
; WaveLimiterHint : 0
; COMPUTE_PGM_RSRC2:SCRATCH_EN: 0
; COMPUTE_PGM_RSRC2:USER_SGPR: 6
; COMPUTE_PGM_RSRC2:TRAP_HANDLER: 0
; COMPUTE_PGM_RSRC2:TGID_X_EN: 1
; COMPUTE_PGM_RSRC2:TGID_Y_EN: 0
; COMPUTE_PGM_RSRC2:TGID_Z_EN: 0
; COMPUTE_PGM_RSRC2:TIDIG_COMP_CNT: 0
; COMPUTE_PGM_RSRC3_GFX90A:ACCUM_OFFSET: 4
; COMPUTE_PGM_RSRC3_GFX90A:TG_SPLIT: 0
	.section	.text._ZN7rocprim17ROCPRIM_400000_NS6detail17trampoline_kernelINS0_14default_configENS1_38merge_sort_block_merge_config_selectorIjNS0_10empty_typeEEEZZNS1_27merge_sort_block_merge_implIS3_PjPS5_jNS1_19radix_merge_compareILb0ELb1EjNS0_19identity_decomposerEEEEE10hipError_tT0_T1_T2_jT3_P12ihipStream_tbPNSt15iterator_traitsISE_E10value_typeEPNSK_ISF_E10value_typeEPSG_NS1_7vsmem_tEENKUlT_SE_SF_SG_E_clIS8_S8_S9_S9_EESD_ST_SE_SF_SG_EUlST_E_NS1_11comp_targetILNS1_3genE3ELNS1_11target_archE908ELNS1_3gpuE7ELNS1_3repE0EEENS1_48merge_mergepath_partition_config_static_selectorELNS0_4arch9wavefront6targetE1EEEvSF_,"axG",@progbits,_ZN7rocprim17ROCPRIM_400000_NS6detail17trampoline_kernelINS0_14default_configENS1_38merge_sort_block_merge_config_selectorIjNS0_10empty_typeEEEZZNS1_27merge_sort_block_merge_implIS3_PjPS5_jNS1_19radix_merge_compareILb0ELb1EjNS0_19identity_decomposerEEEEE10hipError_tT0_T1_T2_jT3_P12ihipStream_tbPNSt15iterator_traitsISE_E10value_typeEPNSK_ISF_E10value_typeEPSG_NS1_7vsmem_tEENKUlT_SE_SF_SG_E_clIS8_S8_S9_S9_EESD_ST_SE_SF_SG_EUlST_E_NS1_11comp_targetILNS1_3genE3ELNS1_11target_archE908ELNS1_3gpuE7ELNS1_3repE0EEENS1_48merge_mergepath_partition_config_static_selectorELNS0_4arch9wavefront6targetE1EEEvSF_,comdat
	.protected	_ZN7rocprim17ROCPRIM_400000_NS6detail17trampoline_kernelINS0_14default_configENS1_38merge_sort_block_merge_config_selectorIjNS0_10empty_typeEEEZZNS1_27merge_sort_block_merge_implIS3_PjPS5_jNS1_19radix_merge_compareILb0ELb1EjNS0_19identity_decomposerEEEEE10hipError_tT0_T1_T2_jT3_P12ihipStream_tbPNSt15iterator_traitsISE_E10value_typeEPNSK_ISF_E10value_typeEPSG_NS1_7vsmem_tEENKUlT_SE_SF_SG_E_clIS8_S8_S9_S9_EESD_ST_SE_SF_SG_EUlST_E_NS1_11comp_targetILNS1_3genE3ELNS1_11target_archE908ELNS1_3gpuE7ELNS1_3repE0EEENS1_48merge_mergepath_partition_config_static_selectorELNS0_4arch9wavefront6targetE1EEEvSF_ ; -- Begin function _ZN7rocprim17ROCPRIM_400000_NS6detail17trampoline_kernelINS0_14default_configENS1_38merge_sort_block_merge_config_selectorIjNS0_10empty_typeEEEZZNS1_27merge_sort_block_merge_implIS3_PjPS5_jNS1_19radix_merge_compareILb0ELb1EjNS0_19identity_decomposerEEEEE10hipError_tT0_T1_T2_jT3_P12ihipStream_tbPNSt15iterator_traitsISE_E10value_typeEPNSK_ISF_E10value_typeEPSG_NS1_7vsmem_tEENKUlT_SE_SF_SG_E_clIS8_S8_S9_S9_EESD_ST_SE_SF_SG_EUlST_E_NS1_11comp_targetILNS1_3genE3ELNS1_11target_archE908ELNS1_3gpuE7ELNS1_3repE0EEENS1_48merge_mergepath_partition_config_static_selectorELNS0_4arch9wavefront6targetE1EEEvSF_
	.globl	_ZN7rocprim17ROCPRIM_400000_NS6detail17trampoline_kernelINS0_14default_configENS1_38merge_sort_block_merge_config_selectorIjNS0_10empty_typeEEEZZNS1_27merge_sort_block_merge_implIS3_PjPS5_jNS1_19radix_merge_compareILb0ELb1EjNS0_19identity_decomposerEEEEE10hipError_tT0_T1_T2_jT3_P12ihipStream_tbPNSt15iterator_traitsISE_E10value_typeEPNSK_ISF_E10value_typeEPSG_NS1_7vsmem_tEENKUlT_SE_SF_SG_E_clIS8_S8_S9_S9_EESD_ST_SE_SF_SG_EUlST_E_NS1_11comp_targetILNS1_3genE3ELNS1_11target_archE908ELNS1_3gpuE7ELNS1_3repE0EEENS1_48merge_mergepath_partition_config_static_selectorELNS0_4arch9wavefront6targetE1EEEvSF_
	.p2align	8
	.type	_ZN7rocprim17ROCPRIM_400000_NS6detail17trampoline_kernelINS0_14default_configENS1_38merge_sort_block_merge_config_selectorIjNS0_10empty_typeEEEZZNS1_27merge_sort_block_merge_implIS3_PjPS5_jNS1_19radix_merge_compareILb0ELb1EjNS0_19identity_decomposerEEEEE10hipError_tT0_T1_T2_jT3_P12ihipStream_tbPNSt15iterator_traitsISE_E10value_typeEPNSK_ISF_E10value_typeEPSG_NS1_7vsmem_tEENKUlT_SE_SF_SG_E_clIS8_S8_S9_S9_EESD_ST_SE_SF_SG_EUlST_E_NS1_11comp_targetILNS1_3genE3ELNS1_11target_archE908ELNS1_3gpuE7ELNS1_3repE0EEENS1_48merge_mergepath_partition_config_static_selectorELNS0_4arch9wavefront6targetE1EEEvSF_,@function
_ZN7rocprim17ROCPRIM_400000_NS6detail17trampoline_kernelINS0_14default_configENS1_38merge_sort_block_merge_config_selectorIjNS0_10empty_typeEEEZZNS1_27merge_sort_block_merge_implIS3_PjPS5_jNS1_19radix_merge_compareILb0ELb1EjNS0_19identity_decomposerEEEEE10hipError_tT0_T1_T2_jT3_P12ihipStream_tbPNSt15iterator_traitsISE_E10value_typeEPNSK_ISF_E10value_typeEPSG_NS1_7vsmem_tEENKUlT_SE_SF_SG_E_clIS8_S8_S9_S9_EESD_ST_SE_SF_SG_EUlST_E_NS1_11comp_targetILNS1_3genE3ELNS1_11target_archE908ELNS1_3gpuE7ELNS1_3repE0EEENS1_48merge_mergepath_partition_config_static_selectorELNS0_4arch9wavefront6targetE1EEEvSF_: ; @_ZN7rocprim17ROCPRIM_400000_NS6detail17trampoline_kernelINS0_14default_configENS1_38merge_sort_block_merge_config_selectorIjNS0_10empty_typeEEEZZNS1_27merge_sort_block_merge_implIS3_PjPS5_jNS1_19radix_merge_compareILb0ELb1EjNS0_19identity_decomposerEEEEE10hipError_tT0_T1_T2_jT3_P12ihipStream_tbPNSt15iterator_traitsISE_E10value_typeEPNSK_ISF_E10value_typeEPSG_NS1_7vsmem_tEENKUlT_SE_SF_SG_E_clIS8_S8_S9_S9_EESD_ST_SE_SF_SG_EUlST_E_NS1_11comp_targetILNS1_3genE3ELNS1_11target_archE908ELNS1_3gpuE7ELNS1_3repE0EEENS1_48merge_mergepath_partition_config_static_selectorELNS0_4arch9wavefront6targetE1EEEvSF_
; %bb.0:
	.section	.rodata,"a",@progbits
	.p2align	6, 0x0
	.amdhsa_kernel _ZN7rocprim17ROCPRIM_400000_NS6detail17trampoline_kernelINS0_14default_configENS1_38merge_sort_block_merge_config_selectorIjNS0_10empty_typeEEEZZNS1_27merge_sort_block_merge_implIS3_PjPS5_jNS1_19radix_merge_compareILb0ELb1EjNS0_19identity_decomposerEEEEE10hipError_tT0_T1_T2_jT3_P12ihipStream_tbPNSt15iterator_traitsISE_E10value_typeEPNSK_ISF_E10value_typeEPSG_NS1_7vsmem_tEENKUlT_SE_SF_SG_E_clIS8_S8_S9_S9_EESD_ST_SE_SF_SG_EUlST_E_NS1_11comp_targetILNS1_3genE3ELNS1_11target_archE908ELNS1_3gpuE7ELNS1_3repE0EEENS1_48merge_mergepath_partition_config_static_selectorELNS0_4arch9wavefront6targetE1EEEvSF_
		.amdhsa_group_segment_fixed_size 0
		.amdhsa_private_segment_fixed_size 0
		.amdhsa_kernarg_size 40
		.amdhsa_user_sgpr_count 6
		.amdhsa_user_sgpr_private_segment_buffer 1
		.amdhsa_user_sgpr_dispatch_ptr 0
		.amdhsa_user_sgpr_queue_ptr 0
		.amdhsa_user_sgpr_kernarg_segment_ptr 1
		.amdhsa_user_sgpr_dispatch_id 0
		.amdhsa_user_sgpr_flat_scratch_init 0
		.amdhsa_user_sgpr_kernarg_preload_length 0
		.amdhsa_user_sgpr_kernarg_preload_offset 0
		.amdhsa_user_sgpr_private_segment_size 0
		.amdhsa_uses_dynamic_stack 0
		.amdhsa_system_sgpr_private_segment_wavefront_offset 0
		.amdhsa_system_sgpr_workgroup_id_x 1
		.amdhsa_system_sgpr_workgroup_id_y 0
		.amdhsa_system_sgpr_workgroup_id_z 0
		.amdhsa_system_sgpr_workgroup_info 0
		.amdhsa_system_vgpr_workitem_id 0
		.amdhsa_next_free_vgpr 1
		.amdhsa_next_free_sgpr 0
		.amdhsa_accum_offset 4
		.amdhsa_reserve_vcc 0
		.amdhsa_reserve_flat_scratch 0
		.amdhsa_float_round_mode_32 0
		.amdhsa_float_round_mode_16_64 0
		.amdhsa_float_denorm_mode_32 3
		.amdhsa_float_denorm_mode_16_64 3
		.amdhsa_dx10_clamp 1
		.amdhsa_ieee_mode 1
		.amdhsa_fp16_overflow 0
		.amdhsa_tg_split 0
		.amdhsa_exception_fp_ieee_invalid_op 0
		.amdhsa_exception_fp_denorm_src 0
		.amdhsa_exception_fp_ieee_div_zero 0
		.amdhsa_exception_fp_ieee_overflow 0
		.amdhsa_exception_fp_ieee_underflow 0
		.amdhsa_exception_fp_ieee_inexact 0
		.amdhsa_exception_int_div_zero 0
	.end_amdhsa_kernel
	.section	.text._ZN7rocprim17ROCPRIM_400000_NS6detail17trampoline_kernelINS0_14default_configENS1_38merge_sort_block_merge_config_selectorIjNS0_10empty_typeEEEZZNS1_27merge_sort_block_merge_implIS3_PjPS5_jNS1_19radix_merge_compareILb0ELb1EjNS0_19identity_decomposerEEEEE10hipError_tT0_T1_T2_jT3_P12ihipStream_tbPNSt15iterator_traitsISE_E10value_typeEPNSK_ISF_E10value_typeEPSG_NS1_7vsmem_tEENKUlT_SE_SF_SG_E_clIS8_S8_S9_S9_EESD_ST_SE_SF_SG_EUlST_E_NS1_11comp_targetILNS1_3genE3ELNS1_11target_archE908ELNS1_3gpuE7ELNS1_3repE0EEENS1_48merge_mergepath_partition_config_static_selectorELNS0_4arch9wavefront6targetE1EEEvSF_,"axG",@progbits,_ZN7rocprim17ROCPRIM_400000_NS6detail17trampoline_kernelINS0_14default_configENS1_38merge_sort_block_merge_config_selectorIjNS0_10empty_typeEEEZZNS1_27merge_sort_block_merge_implIS3_PjPS5_jNS1_19radix_merge_compareILb0ELb1EjNS0_19identity_decomposerEEEEE10hipError_tT0_T1_T2_jT3_P12ihipStream_tbPNSt15iterator_traitsISE_E10value_typeEPNSK_ISF_E10value_typeEPSG_NS1_7vsmem_tEENKUlT_SE_SF_SG_E_clIS8_S8_S9_S9_EESD_ST_SE_SF_SG_EUlST_E_NS1_11comp_targetILNS1_3genE3ELNS1_11target_archE908ELNS1_3gpuE7ELNS1_3repE0EEENS1_48merge_mergepath_partition_config_static_selectorELNS0_4arch9wavefront6targetE1EEEvSF_,comdat
.Lfunc_end722:
	.size	_ZN7rocprim17ROCPRIM_400000_NS6detail17trampoline_kernelINS0_14default_configENS1_38merge_sort_block_merge_config_selectorIjNS0_10empty_typeEEEZZNS1_27merge_sort_block_merge_implIS3_PjPS5_jNS1_19radix_merge_compareILb0ELb1EjNS0_19identity_decomposerEEEEE10hipError_tT0_T1_T2_jT3_P12ihipStream_tbPNSt15iterator_traitsISE_E10value_typeEPNSK_ISF_E10value_typeEPSG_NS1_7vsmem_tEENKUlT_SE_SF_SG_E_clIS8_S8_S9_S9_EESD_ST_SE_SF_SG_EUlST_E_NS1_11comp_targetILNS1_3genE3ELNS1_11target_archE908ELNS1_3gpuE7ELNS1_3repE0EEENS1_48merge_mergepath_partition_config_static_selectorELNS0_4arch9wavefront6targetE1EEEvSF_, .Lfunc_end722-_ZN7rocprim17ROCPRIM_400000_NS6detail17trampoline_kernelINS0_14default_configENS1_38merge_sort_block_merge_config_selectorIjNS0_10empty_typeEEEZZNS1_27merge_sort_block_merge_implIS3_PjPS5_jNS1_19radix_merge_compareILb0ELb1EjNS0_19identity_decomposerEEEEE10hipError_tT0_T1_T2_jT3_P12ihipStream_tbPNSt15iterator_traitsISE_E10value_typeEPNSK_ISF_E10value_typeEPSG_NS1_7vsmem_tEENKUlT_SE_SF_SG_E_clIS8_S8_S9_S9_EESD_ST_SE_SF_SG_EUlST_E_NS1_11comp_targetILNS1_3genE3ELNS1_11target_archE908ELNS1_3gpuE7ELNS1_3repE0EEENS1_48merge_mergepath_partition_config_static_selectorELNS0_4arch9wavefront6targetE1EEEvSF_
                                        ; -- End function
	.section	.AMDGPU.csdata,"",@progbits
; Kernel info:
; codeLenInByte = 0
; NumSgprs: 4
; NumVgprs: 0
; NumAgprs: 0
; TotalNumVgprs: 0
; ScratchSize: 0
; MemoryBound: 0
; FloatMode: 240
; IeeeMode: 1
; LDSByteSize: 0 bytes/workgroup (compile time only)
; SGPRBlocks: 0
; VGPRBlocks: 0
; NumSGPRsForWavesPerEU: 4
; NumVGPRsForWavesPerEU: 1
; AccumOffset: 4
; Occupancy: 8
; WaveLimiterHint : 0
; COMPUTE_PGM_RSRC2:SCRATCH_EN: 0
; COMPUTE_PGM_RSRC2:USER_SGPR: 6
; COMPUTE_PGM_RSRC2:TRAP_HANDLER: 0
; COMPUTE_PGM_RSRC2:TGID_X_EN: 1
; COMPUTE_PGM_RSRC2:TGID_Y_EN: 0
; COMPUTE_PGM_RSRC2:TGID_Z_EN: 0
; COMPUTE_PGM_RSRC2:TIDIG_COMP_CNT: 0
; COMPUTE_PGM_RSRC3_GFX90A:ACCUM_OFFSET: 0
; COMPUTE_PGM_RSRC3_GFX90A:TG_SPLIT: 0
	.section	.text._ZN7rocprim17ROCPRIM_400000_NS6detail17trampoline_kernelINS0_14default_configENS1_38merge_sort_block_merge_config_selectorIjNS0_10empty_typeEEEZZNS1_27merge_sort_block_merge_implIS3_PjPS5_jNS1_19radix_merge_compareILb0ELb1EjNS0_19identity_decomposerEEEEE10hipError_tT0_T1_T2_jT3_P12ihipStream_tbPNSt15iterator_traitsISE_E10value_typeEPNSK_ISF_E10value_typeEPSG_NS1_7vsmem_tEENKUlT_SE_SF_SG_E_clIS8_S8_S9_S9_EESD_ST_SE_SF_SG_EUlST_E_NS1_11comp_targetILNS1_3genE2ELNS1_11target_archE906ELNS1_3gpuE6ELNS1_3repE0EEENS1_48merge_mergepath_partition_config_static_selectorELNS0_4arch9wavefront6targetE1EEEvSF_,"axG",@progbits,_ZN7rocprim17ROCPRIM_400000_NS6detail17trampoline_kernelINS0_14default_configENS1_38merge_sort_block_merge_config_selectorIjNS0_10empty_typeEEEZZNS1_27merge_sort_block_merge_implIS3_PjPS5_jNS1_19radix_merge_compareILb0ELb1EjNS0_19identity_decomposerEEEEE10hipError_tT0_T1_T2_jT3_P12ihipStream_tbPNSt15iterator_traitsISE_E10value_typeEPNSK_ISF_E10value_typeEPSG_NS1_7vsmem_tEENKUlT_SE_SF_SG_E_clIS8_S8_S9_S9_EESD_ST_SE_SF_SG_EUlST_E_NS1_11comp_targetILNS1_3genE2ELNS1_11target_archE906ELNS1_3gpuE6ELNS1_3repE0EEENS1_48merge_mergepath_partition_config_static_selectorELNS0_4arch9wavefront6targetE1EEEvSF_,comdat
	.protected	_ZN7rocprim17ROCPRIM_400000_NS6detail17trampoline_kernelINS0_14default_configENS1_38merge_sort_block_merge_config_selectorIjNS0_10empty_typeEEEZZNS1_27merge_sort_block_merge_implIS3_PjPS5_jNS1_19radix_merge_compareILb0ELb1EjNS0_19identity_decomposerEEEEE10hipError_tT0_T1_T2_jT3_P12ihipStream_tbPNSt15iterator_traitsISE_E10value_typeEPNSK_ISF_E10value_typeEPSG_NS1_7vsmem_tEENKUlT_SE_SF_SG_E_clIS8_S8_S9_S9_EESD_ST_SE_SF_SG_EUlST_E_NS1_11comp_targetILNS1_3genE2ELNS1_11target_archE906ELNS1_3gpuE6ELNS1_3repE0EEENS1_48merge_mergepath_partition_config_static_selectorELNS0_4arch9wavefront6targetE1EEEvSF_ ; -- Begin function _ZN7rocprim17ROCPRIM_400000_NS6detail17trampoline_kernelINS0_14default_configENS1_38merge_sort_block_merge_config_selectorIjNS0_10empty_typeEEEZZNS1_27merge_sort_block_merge_implIS3_PjPS5_jNS1_19radix_merge_compareILb0ELb1EjNS0_19identity_decomposerEEEEE10hipError_tT0_T1_T2_jT3_P12ihipStream_tbPNSt15iterator_traitsISE_E10value_typeEPNSK_ISF_E10value_typeEPSG_NS1_7vsmem_tEENKUlT_SE_SF_SG_E_clIS8_S8_S9_S9_EESD_ST_SE_SF_SG_EUlST_E_NS1_11comp_targetILNS1_3genE2ELNS1_11target_archE906ELNS1_3gpuE6ELNS1_3repE0EEENS1_48merge_mergepath_partition_config_static_selectorELNS0_4arch9wavefront6targetE1EEEvSF_
	.globl	_ZN7rocprim17ROCPRIM_400000_NS6detail17trampoline_kernelINS0_14default_configENS1_38merge_sort_block_merge_config_selectorIjNS0_10empty_typeEEEZZNS1_27merge_sort_block_merge_implIS3_PjPS5_jNS1_19radix_merge_compareILb0ELb1EjNS0_19identity_decomposerEEEEE10hipError_tT0_T1_T2_jT3_P12ihipStream_tbPNSt15iterator_traitsISE_E10value_typeEPNSK_ISF_E10value_typeEPSG_NS1_7vsmem_tEENKUlT_SE_SF_SG_E_clIS8_S8_S9_S9_EESD_ST_SE_SF_SG_EUlST_E_NS1_11comp_targetILNS1_3genE2ELNS1_11target_archE906ELNS1_3gpuE6ELNS1_3repE0EEENS1_48merge_mergepath_partition_config_static_selectorELNS0_4arch9wavefront6targetE1EEEvSF_
	.p2align	8
	.type	_ZN7rocprim17ROCPRIM_400000_NS6detail17trampoline_kernelINS0_14default_configENS1_38merge_sort_block_merge_config_selectorIjNS0_10empty_typeEEEZZNS1_27merge_sort_block_merge_implIS3_PjPS5_jNS1_19radix_merge_compareILb0ELb1EjNS0_19identity_decomposerEEEEE10hipError_tT0_T1_T2_jT3_P12ihipStream_tbPNSt15iterator_traitsISE_E10value_typeEPNSK_ISF_E10value_typeEPSG_NS1_7vsmem_tEENKUlT_SE_SF_SG_E_clIS8_S8_S9_S9_EESD_ST_SE_SF_SG_EUlST_E_NS1_11comp_targetILNS1_3genE2ELNS1_11target_archE906ELNS1_3gpuE6ELNS1_3repE0EEENS1_48merge_mergepath_partition_config_static_selectorELNS0_4arch9wavefront6targetE1EEEvSF_,@function
_ZN7rocprim17ROCPRIM_400000_NS6detail17trampoline_kernelINS0_14default_configENS1_38merge_sort_block_merge_config_selectorIjNS0_10empty_typeEEEZZNS1_27merge_sort_block_merge_implIS3_PjPS5_jNS1_19radix_merge_compareILb0ELb1EjNS0_19identity_decomposerEEEEE10hipError_tT0_T1_T2_jT3_P12ihipStream_tbPNSt15iterator_traitsISE_E10value_typeEPNSK_ISF_E10value_typeEPSG_NS1_7vsmem_tEENKUlT_SE_SF_SG_E_clIS8_S8_S9_S9_EESD_ST_SE_SF_SG_EUlST_E_NS1_11comp_targetILNS1_3genE2ELNS1_11target_archE906ELNS1_3gpuE6ELNS1_3repE0EEENS1_48merge_mergepath_partition_config_static_selectorELNS0_4arch9wavefront6targetE1EEEvSF_: ; @_ZN7rocprim17ROCPRIM_400000_NS6detail17trampoline_kernelINS0_14default_configENS1_38merge_sort_block_merge_config_selectorIjNS0_10empty_typeEEEZZNS1_27merge_sort_block_merge_implIS3_PjPS5_jNS1_19radix_merge_compareILb0ELb1EjNS0_19identity_decomposerEEEEE10hipError_tT0_T1_T2_jT3_P12ihipStream_tbPNSt15iterator_traitsISE_E10value_typeEPNSK_ISF_E10value_typeEPSG_NS1_7vsmem_tEENKUlT_SE_SF_SG_E_clIS8_S8_S9_S9_EESD_ST_SE_SF_SG_EUlST_E_NS1_11comp_targetILNS1_3genE2ELNS1_11target_archE906ELNS1_3gpuE6ELNS1_3repE0EEENS1_48merge_mergepath_partition_config_static_selectorELNS0_4arch9wavefront6targetE1EEEvSF_
; %bb.0:
	.section	.rodata,"a",@progbits
	.p2align	6, 0x0
	.amdhsa_kernel _ZN7rocprim17ROCPRIM_400000_NS6detail17trampoline_kernelINS0_14default_configENS1_38merge_sort_block_merge_config_selectorIjNS0_10empty_typeEEEZZNS1_27merge_sort_block_merge_implIS3_PjPS5_jNS1_19radix_merge_compareILb0ELb1EjNS0_19identity_decomposerEEEEE10hipError_tT0_T1_T2_jT3_P12ihipStream_tbPNSt15iterator_traitsISE_E10value_typeEPNSK_ISF_E10value_typeEPSG_NS1_7vsmem_tEENKUlT_SE_SF_SG_E_clIS8_S8_S9_S9_EESD_ST_SE_SF_SG_EUlST_E_NS1_11comp_targetILNS1_3genE2ELNS1_11target_archE906ELNS1_3gpuE6ELNS1_3repE0EEENS1_48merge_mergepath_partition_config_static_selectorELNS0_4arch9wavefront6targetE1EEEvSF_
		.amdhsa_group_segment_fixed_size 0
		.amdhsa_private_segment_fixed_size 0
		.amdhsa_kernarg_size 40
		.amdhsa_user_sgpr_count 6
		.amdhsa_user_sgpr_private_segment_buffer 1
		.amdhsa_user_sgpr_dispatch_ptr 0
		.amdhsa_user_sgpr_queue_ptr 0
		.amdhsa_user_sgpr_kernarg_segment_ptr 1
		.amdhsa_user_sgpr_dispatch_id 0
		.amdhsa_user_sgpr_flat_scratch_init 0
		.amdhsa_user_sgpr_kernarg_preload_length 0
		.amdhsa_user_sgpr_kernarg_preload_offset 0
		.amdhsa_user_sgpr_private_segment_size 0
		.amdhsa_uses_dynamic_stack 0
		.amdhsa_system_sgpr_private_segment_wavefront_offset 0
		.amdhsa_system_sgpr_workgroup_id_x 1
		.amdhsa_system_sgpr_workgroup_id_y 0
		.amdhsa_system_sgpr_workgroup_id_z 0
		.amdhsa_system_sgpr_workgroup_info 0
		.amdhsa_system_vgpr_workitem_id 0
		.amdhsa_next_free_vgpr 1
		.amdhsa_next_free_sgpr 0
		.amdhsa_accum_offset 4
		.amdhsa_reserve_vcc 0
		.amdhsa_reserve_flat_scratch 0
		.amdhsa_float_round_mode_32 0
		.amdhsa_float_round_mode_16_64 0
		.amdhsa_float_denorm_mode_32 3
		.amdhsa_float_denorm_mode_16_64 3
		.amdhsa_dx10_clamp 1
		.amdhsa_ieee_mode 1
		.amdhsa_fp16_overflow 0
		.amdhsa_tg_split 0
		.amdhsa_exception_fp_ieee_invalid_op 0
		.amdhsa_exception_fp_denorm_src 0
		.amdhsa_exception_fp_ieee_div_zero 0
		.amdhsa_exception_fp_ieee_overflow 0
		.amdhsa_exception_fp_ieee_underflow 0
		.amdhsa_exception_fp_ieee_inexact 0
		.amdhsa_exception_int_div_zero 0
	.end_amdhsa_kernel
	.section	.text._ZN7rocprim17ROCPRIM_400000_NS6detail17trampoline_kernelINS0_14default_configENS1_38merge_sort_block_merge_config_selectorIjNS0_10empty_typeEEEZZNS1_27merge_sort_block_merge_implIS3_PjPS5_jNS1_19radix_merge_compareILb0ELb1EjNS0_19identity_decomposerEEEEE10hipError_tT0_T1_T2_jT3_P12ihipStream_tbPNSt15iterator_traitsISE_E10value_typeEPNSK_ISF_E10value_typeEPSG_NS1_7vsmem_tEENKUlT_SE_SF_SG_E_clIS8_S8_S9_S9_EESD_ST_SE_SF_SG_EUlST_E_NS1_11comp_targetILNS1_3genE2ELNS1_11target_archE906ELNS1_3gpuE6ELNS1_3repE0EEENS1_48merge_mergepath_partition_config_static_selectorELNS0_4arch9wavefront6targetE1EEEvSF_,"axG",@progbits,_ZN7rocprim17ROCPRIM_400000_NS6detail17trampoline_kernelINS0_14default_configENS1_38merge_sort_block_merge_config_selectorIjNS0_10empty_typeEEEZZNS1_27merge_sort_block_merge_implIS3_PjPS5_jNS1_19radix_merge_compareILb0ELb1EjNS0_19identity_decomposerEEEEE10hipError_tT0_T1_T2_jT3_P12ihipStream_tbPNSt15iterator_traitsISE_E10value_typeEPNSK_ISF_E10value_typeEPSG_NS1_7vsmem_tEENKUlT_SE_SF_SG_E_clIS8_S8_S9_S9_EESD_ST_SE_SF_SG_EUlST_E_NS1_11comp_targetILNS1_3genE2ELNS1_11target_archE906ELNS1_3gpuE6ELNS1_3repE0EEENS1_48merge_mergepath_partition_config_static_selectorELNS0_4arch9wavefront6targetE1EEEvSF_,comdat
.Lfunc_end723:
	.size	_ZN7rocprim17ROCPRIM_400000_NS6detail17trampoline_kernelINS0_14default_configENS1_38merge_sort_block_merge_config_selectorIjNS0_10empty_typeEEEZZNS1_27merge_sort_block_merge_implIS3_PjPS5_jNS1_19radix_merge_compareILb0ELb1EjNS0_19identity_decomposerEEEEE10hipError_tT0_T1_T2_jT3_P12ihipStream_tbPNSt15iterator_traitsISE_E10value_typeEPNSK_ISF_E10value_typeEPSG_NS1_7vsmem_tEENKUlT_SE_SF_SG_E_clIS8_S8_S9_S9_EESD_ST_SE_SF_SG_EUlST_E_NS1_11comp_targetILNS1_3genE2ELNS1_11target_archE906ELNS1_3gpuE6ELNS1_3repE0EEENS1_48merge_mergepath_partition_config_static_selectorELNS0_4arch9wavefront6targetE1EEEvSF_, .Lfunc_end723-_ZN7rocprim17ROCPRIM_400000_NS6detail17trampoline_kernelINS0_14default_configENS1_38merge_sort_block_merge_config_selectorIjNS0_10empty_typeEEEZZNS1_27merge_sort_block_merge_implIS3_PjPS5_jNS1_19radix_merge_compareILb0ELb1EjNS0_19identity_decomposerEEEEE10hipError_tT0_T1_T2_jT3_P12ihipStream_tbPNSt15iterator_traitsISE_E10value_typeEPNSK_ISF_E10value_typeEPSG_NS1_7vsmem_tEENKUlT_SE_SF_SG_E_clIS8_S8_S9_S9_EESD_ST_SE_SF_SG_EUlST_E_NS1_11comp_targetILNS1_3genE2ELNS1_11target_archE906ELNS1_3gpuE6ELNS1_3repE0EEENS1_48merge_mergepath_partition_config_static_selectorELNS0_4arch9wavefront6targetE1EEEvSF_
                                        ; -- End function
	.section	.AMDGPU.csdata,"",@progbits
; Kernel info:
; codeLenInByte = 0
; NumSgprs: 4
; NumVgprs: 0
; NumAgprs: 0
; TotalNumVgprs: 0
; ScratchSize: 0
; MemoryBound: 0
; FloatMode: 240
; IeeeMode: 1
; LDSByteSize: 0 bytes/workgroup (compile time only)
; SGPRBlocks: 0
; VGPRBlocks: 0
; NumSGPRsForWavesPerEU: 4
; NumVGPRsForWavesPerEU: 1
; AccumOffset: 4
; Occupancy: 8
; WaveLimiterHint : 0
; COMPUTE_PGM_RSRC2:SCRATCH_EN: 0
; COMPUTE_PGM_RSRC2:USER_SGPR: 6
; COMPUTE_PGM_RSRC2:TRAP_HANDLER: 0
; COMPUTE_PGM_RSRC2:TGID_X_EN: 1
; COMPUTE_PGM_RSRC2:TGID_Y_EN: 0
; COMPUTE_PGM_RSRC2:TGID_Z_EN: 0
; COMPUTE_PGM_RSRC2:TIDIG_COMP_CNT: 0
; COMPUTE_PGM_RSRC3_GFX90A:ACCUM_OFFSET: 0
; COMPUTE_PGM_RSRC3_GFX90A:TG_SPLIT: 0
	.section	.text._ZN7rocprim17ROCPRIM_400000_NS6detail17trampoline_kernelINS0_14default_configENS1_38merge_sort_block_merge_config_selectorIjNS0_10empty_typeEEEZZNS1_27merge_sort_block_merge_implIS3_PjPS5_jNS1_19radix_merge_compareILb0ELb1EjNS0_19identity_decomposerEEEEE10hipError_tT0_T1_T2_jT3_P12ihipStream_tbPNSt15iterator_traitsISE_E10value_typeEPNSK_ISF_E10value_typeEPSG_NS1_7vsmem_tEENKUlT_SE_SF_SG_E_clIS8_S8_S9_S9_EESD_ST_SE_SF_SG_EUlST_E_NS1_11comp_targetILNS1_3genE9ELNS1_11target_archE1100ELNS1_3gpuE3ELNS1_3repE0EEENS1_48merge_mergepath_partition_config_static_selectorELNS0_4arch9wavefront6targetE1EEEvSF_,"axG",@progbits,_ZN7rocprim17ROCPRIM_400000_NS6detail17trampoline_kernelINS0_14default_configENS1_38merge_sort_block_merge_config_selectorIjNS0_10empty_typeEEEZZNS1_27merge_sort_block_merge_implIS3_PjPS5_jNS1_19radix_merge_compareILb0ELb1EjNS0_19identity_decomposerEEEEE10hipError_tT0_T1_T2_jT3_P12ihipStream_tbPNSt15iterator_traitsISE_E10value_typeEPNSK_ISF_E10value_typeEPSG_NS1_7vsmem_tEENKUlT_SE_SF_SG_E_clIS8_S8_S9_S9_EESD_ST_SE_SF_SG_EUlST_E_NS1_11comp_targetILNS1_3genE9ELNS1_11target_archE1100ELNS1_3gpuE3ELNS1_3repE0EEENS1_48merge_mergepath_partition_config_static_selectorELNS0_4arch9wavefront6targetE1EEEvSF_,comdat
	.protected	_ZN7rocprim17ROCPRIM_400000_NS6detail17trampoline_kernelINS0_14default_configENS1_38merge_sort_block_merge_config_selectorIjNS0_10empty_typeEEEZZNS1_27merge_sort_block_merge_implIS3_PjPS5_jNS1_19radix_merge_compareILb0ELb1EjNS0_19identity_decomposerEEEEE10hipError_tT0_T1_T2_jT3_P12ihipStream_tbPNSt15iterator_traitsISE_E10value_typeEPNSK_ISF_E10value_typeEPSG_NS1_7vsmem_tEENKUlT_SE_SF_SG_E_clIS8_S8_S9_S9_EESD_ST_SE_SF_SG_EUlST_E_NS1_11comp_targetILNS1_3genE9ELNS1_11target_archE1100ELNS1_3gpuE3ELNS1_3repE0EEENS1_48merge_mergepath_partition_config_static_selectorELNS0_4arch9wavefront6targetE1EEEvSF_ ; -- Begin function _ZN7rocprim17ROCPRIM_400000_NS6detail17trampoline_kernelINS0_14default_configENS1_38merge_sort_block_merge_config_selectorIjNS0_10empty_typeEEEZZNS1_27merge_sort_block_merge_implIS3_PjPS5_jNS1_19radix_merge_compareILb0ELb1EjNS0_19identity_decomposerEEEEE10hipError_tT0_T1_T2_jT3_P12ihipStream_tbPNSt15iterator_traitsISE_E10value_typeEPNSK_ISF_E10value_typeEPSG_NS1_7vsmem_tEENKUlT_SE_SF_SG_E_clIS8_S8_S9_S9_EESD_ST_SE_SF_SG_EUlST_E_NS1_11comp_targetILNS1_3genE9ELNS1_11target_archE1100ELNS1_3gpuE3ELNS1_3repE0EEENS1_48merge_mergepath_partition_config_static_selectorELNS0_4arch9wavefront6targetE1EEEvSF_
	.globl	_ZN7rocprim17ROCPRIM_400000_NS6detail17trampoline_kernelINS0_14default_configENS1_38merge_sort_block_merge_config_selectorIjNS0_10empty_typeEEEZZNS1_27merge_sort_block_merge_implIS3_PjPS5_jNS1_19radix_merge_compareILb0ELb1EjNS0_19identity_decomposerEEEEE10hipError_tT0_T1_T2_jT3_P12ihipStream_tbPNSt15iterator_traitsISE_E10value_typeEPNSK_ISF_E10value_typeEPSG_NS1_7vsmem_tEENKUlT_SE_SF_SG_E_clIS8_S8_S9_S9_EESD_ST_SE_SF_SG_EUlST_E_NS1_11comp_targetILNS1_3genE9ELNS1_11target_archE1100ELNS1_3gpuE3ELNS1_3repE0EEENS1_48merge_mergepath_partition_config_static_selectorELNS0_4arch9wavefront6targetE1EEEvSF_
	.p2align	8
	.type	_ZN7rocprim17ROCPRIM_400000_NS6detail17trampoline_kernelINS0_14default_configENS1_38merge_sort_block_merge_config_selectorIjNS0_10empty_typeEEEZZNS1_27merge_sort_block_merge_implIS3_PjPS5_jNS1_19radix_merge_compareILb0ELb1EjNS0_19identity_decomposerEEEEE10hipError_tT0_T1_T2_jT3_P12ihipStream_tbPNSt15iterator_traitsISE_E10value_typeEPNSK_ISF_E10value_typeEPSG_NS1_7vsmem_tEENKUlT_SE_SF_SG_E_clIS8_S8_S9_S9_EESD_ST_SE_SF_SG_EUlST_E_NS1_11comp_targetILNS1_3genE9ELNS1_11target_archE1100ELNS1_3gpuE3ELNS1_3repE0EEENS1_48merge_mergepath_partition_config_static_selectorELNS0_4arch9wavefront6targetE1EEEvSF_,@function
_ZN7rocprim17ROCPRIM_400000_NS6detail17trampoline_kernelINS0_14default_configENS1_38merge_sort_block_merge_config_selectorIjNS0_10empty_typeEEEZZNS1_27merge_sort_block_merge_implIS3_PjPS5_jNS1_19radix_merge_compareILb0ELb1EjNS0_19identity_decomposerEEEEE10hipError_tT0_T1_T2_jT3_P12ihipStream_tbPNSt15iterator_traitsISE_E10value_typeEPNSK_ISF_E10value_typeEPSG_NS1_7vsmem_tEENKUlT_SE_SF_SG_E_clIS8_S8_S9_S9_EESD_ST_SE_SF_SG_EUlST_E_NS1_11comp_targetILNS1_3genE9ELNS1_11target_archE1100ELNS1_3gpuE3ELNS1_3repE0EEENS1_48merge_mergepath_partition_config_static_selectorELNS0_4arch9wavefront6targetE1EEEvSF_: ; @_ZN7rocprim17ROCPRIM_400000_NS6detail17trampoline_kernelINS0_14default_configENS1_38merge_sort_block_merge_config_selectorIjNS0_10empty_typeEEEZZNS1_27merge_sort_block_merge_implIS3_PjPS5_jNS1_19radix_merge_compareILb0ELb1EjNS0_19identity_decomposerEEEEE10hipError_tT0_T1_T2_jT3_P12ihipStream_tbPNSt15iterator_traitsISE_E10value_typeEPNSK_ISF_E10value_typeEPSG_NS1_7vsmem_tEENKUlT_SE_SF_SG_E_clIS8_S8_S9_S9_EESD_ST_SE_SF_SG_EUlST_E_NS1_11comp_targetILNS1_3genE9ELNS1_11target_archE1100ELNS1_3gpuE3ELNS1_3repE0EEENS1_48merge_mergepath_partition_config_static_selectorELNS0_4arch9wavefront6targetE1EEEvSF_
; %bb.0:
	.section	.rodata,"a",@progbits
	.p2align	6, 0x0
	.amdhsa_kernel _ZN7rocprim17ROCPRIM_400000_NS6detail17trampoline_kernelINS0_14default_configENS1_38merge_sort_block_merge_config_selectorIjNS0_10empty_typeEEEZZNS1_27merge_sort_block_merge_implIS3_PjPS5_jNS1_19radix_merge_compareILb0ELb1EjNS0_19identity_decomposerEEEEE10hipError_tT0_T1_T2_jT3_P12ihipStream_tbPNSt15iterator_traitsISE_E10value_typeEPNSK_ISF_E10value_typeEPSG_NS1_7vsmem_tEENKUlT_SE_SF_SG_E_clIS8_S8_S9_S9_EESD_ST_SE_SF_SG_EUlST_E_NS1_11comp_targetILNS1_3genE9ELNS1_11target_archE1100ELNS1_3gpuE3ELNS1_3repE0EEENS1_48merge_mergepath_partition_config_static_selectorELNS0_4arch9wavefront6targetE1EEEvSF_
		.amdhsa_group_segment_fixed_size 0
		.amdhsa_private_segment_fixed_size 0
		.amdhsa_kernarg_size 40
		.amdhsa_user_sgpr_count 6
		.amdhsa_user_sgpr_private_segment_buffer 1
		.amdhsa_user_sgpr_dispatch_ptr 0
		.amdhsa_user_sgpr_queue_ptr 0
		.amdhsa_user_sgpr_kernarg_segment_ptr 1
		.amdhsa_user_sgpr_dispatch_id 0
		.amdhsa_user_sgpr_flat_scratch_init 0
		.amdhsa_user_sgpr_kernarg_preload_length 0
		.amdhsa_user_sgpr_kernarg_preload_offset 0
		.amdhsa_user_sgpr_private_segment_size 0
		.amdhsa_uses_dynamic_stack 0
		.amdhsa_system_sgpr_private_segment_wavefront_offset 0
		.amdhsa_system_sgpr_workgroup_id_x 1
		.amdhsa_system_sgpr_workgroup_id_y 0
		.amdhsa_system_sgpr_workgroup_id_z 0
		.amdhsa_system_sgpr_workgroup_info 0
		.amdhsa_system_vgpr_workitem_id 0
		.amdhsa_next_free_vgpr 1
		.amdhsa_next_free_sgpr 0
		.amdhsa_accum_offset 4
		.amdhsa_reserve_vcc 0
		.amdhsa_reserve_flat_scratch 0
		.amdhsa_float_round_mode_32 0
		.amdhsa_float_round_mode_16_64 0
		.amdhsa_float_denorm_mode_32 3
		.amdhsa_float_denorm_mode_16_64 3
		.amdhsa_dx10_clamp 1
		.amdhsa_ieee_mode 1
		.amdhsa_fp16_overflow 0
		.amdhsa_tg_split 0
		.amdhsa_exception_fp_ieee_invalid_op 0
		.amdhsa_exception_fp_denorm_src 0
		.amdhsa_exception_fp_ieee_div_zero 0
		.amdhsa_exception_fp_ieee_overflow 0
		.amdhsa_exception_fp_ieee_underflow 0
		.amdhsa_exception_fp_ieee_inexact 0
		.amdhsa_exception_int_div_zero 0
	.end_amdhsa_kernel
	.section	.text._ZN7rocprim17ROCPRIM_400000_NS6detail17trampoline_kernelINS0_14default_configENS1_38merge_sort_block_merge_config_selectorIjNS0_10empty_typeEEEZZNS1_27merge_sort_block_merge_implIS3_PjPS5_jNS1_19radix_merge_compareILb0ELb1EjNS0_19identity_decomposerEEEEE10hipError_tT0_T1_T2_jT3_P12ihipStream_tbPNSt15iterator_traitsISE_E10value_typeEPNSK_ISF_E10value_typeEPSG_NS1_7vsmem_tEENKUlT_SE_SF_SG_E_clIS8_S8_S9_S9_EESD_ST_SE_SF_SG_EUlST_E_NS1_11comp_targetILNS1_3genE9ELNS1_11target_archE1100ELNS1_3gpuE3ELNS1_3repE0EEENS1_48merge_mergepath_partition_config_static_selectorELNS0_4arch9wavefront6targetE1EEEvSF_,"axG",@progbits,_ZN7rocprim17ROCPRIM_400000_NS6detail17trampoline_kernelINS0_14default_configENS1_38merge_sort_block_merge_config_selectorIjNS0_10empty_typeEEEZZNS1_27merge_sort_block_merge_implIS3_PjPS5_jNS1_19radix_merge_compareILb0ELb1EjNS0_19identity_decomposerEEEEE10hipError_tT0_T1_T2_jT3_P12ihipStream_tbPNSt15iterator_traitsISE_E10value_typeEPNSK_ISF_E10value_typeEPSG_NS1_7vsmem_tEENKUlT_SE_SF_SG_E_clIS8_S8_S9_S9_EESD_ST_SE_SF_SG_EUlST_E_NS1_11comp_targetILNS1_3genE9ELNS1_11target_archE1100ELNS1_3gpuE3ELNS1_3repE0EEENS1_48merge_mergepath_partition_config_static_selectorELNS0_4arch9wavefront6targetE1EEEvSF_,comdat
.Lfunc_end724:
	.size	_ZN7rocprim17ROCPRIM_400000_NS6detail17trampoline_kernelINS0_14default_configENS1_38merge_sort_block_merge_config_selectorIjNS0_10empty_typeEEEZZNS1_27merge_sort_block_merge_implIS3_PjPS5_jNS1_19radix_merge_compareILb0ELb1EjNS0_19identity_decomposerEEEEE10hipError_tT0_T1_T2_jT3_P12ihipStream_tbPNSt15iterator_traitsISE_E10value_typeEPNSK_ISF_E10value_typeEPSG_NS1_7vsmem_tEENKUlT_SE_SF_SG_E_clIS8_S8_S9_S9_EESD_ST_SE_SF_SG_EUlST_E_NS1_11comp_targetILNS1_3genE9ELNS1_11target_archE1100ELNS1_3gpuE3ELNS1_3repE0EEENS1_48merge_mergepath_partition_config_static_selectorELNS0_4arch9wavefront6targetE1EEEvSF_, .Lfunc_end724-_ZN7rocprim17ROCPRIM_400000_NS6detail17trampoline_kernelINS0_14default_configENS1_38merge_sort_block_merge_config_selectorIjNS0_10empty_typeEEEZZNS1_27merge_sort_block_merge_implIS3_PjPS5_jNS1_19radix_merge_compareILb0ELb1EjNS0_19identity_decomposerEEEEE10hipError_tT0_T1_T2_jT3_P12ihipStream_tbPNSt15iterator_traitsISE_E10value_typeEPNSK_ISF_E10value_typeEPSG_NS1_7vsmem_tEENKUlT_SE_SF_SG_E_clIS8_S8_S9_S9_EESD_ST_SE_SF_SG_EUlST_E_NS1_11comp_targetILNS1_3genE9ELNS1_11target_archE1100ELNS1_3gpuE3ELNS1_3repE0EEENS1_48merge_mergepath_partition_config_static_selectorELNS0_4arch9wavefront6targetE1EEEvSF_
                                        ; -- End function
	.section	.AMDGPU.csdata,"",@progbits
; Kernel info:
; codeLenInByte = 0
; NumSgprs: 4
; NumVgprs: 0
; NumAgprs: 0
; TotalNumVgprs: 0
; ScratchSize: 0
; MemoryBound: 0
; FloatMode: 240
; IeeeMode: 1
; LDSByteSize: 0 bytes/workgroup (compile time only)
; SGPRBlocks: 0
; VGPRBlocks: 0
; NumSGPRsForWavesPerEU: 4
; NumVGPRsForWavesPerEU: 1
; AccumOffset: 4
; Occupancy: 8
; WaveLimiterHint : 0
; COMPUTE_PGM_RSRC2:SCRATCH_EN: 0
; COMPUTE_PGM_RSRC2:USER_SGPR: 6
; COMPUTE_PGM_RSRC2:TRAP_HANDLER: 0
; COMPUTE_PGM_RSRC2:TGID_X_EN: 1
; COMPUTE_PGM_RSRC2:TGID_Y_EN: 0
; COMPUTE_PGM_RSRC2:TGID_Z_EN: 0
; COMPUTE_PGM_RSRC2:TIDIG_COMP_CNT: 0
; COMPUTE_PGM_RSRC3_GFX90A:ACCUM_OFFSET: 0
; COMPUTE_PGM_RSRC3_GFX90A:TG_SPLIT: 0
	.section	.text._ZN7rocprim17ROCPRIM_400000_NS6detail17trampoline_kernelINS0_14default_configENS1_38merge_sort_block_merge_config_selectorIjNS0_10empty_typeEEEZZNS1_27merge_sort_block_merge_implIS3_PjPS5_jNS1_19radix_merge_compareILb0ELb1EjNS0_19identity_decomposerEEEEE10hipError_tT0_T1_T2_jT3_P12ihipStream_tbPNSt15iterator_traitsISE_E10value_typeEPNSK_ISF_E10value_typeEPSG_NS1_7vsmem_tEENKUlT_SE_SF_SG_E_clIS8_S8_S9_S9_EESD_ST_SE_SF_SG_EUlST_E_NS1_11comp_targetILNS1_3genE8ELNS1_11target_archE1030ELNS1_3gpuE2ELNS1_3repE0EEENS1_48merge_mergepath_partition_config_static_selectorELNS0_4arch9wavefront6targetE1EEEvSF_,"axG",@progbits,_ZN7rocprim17ROCPRIM_400000_NS6detail17trampoline_kernelINS0_14default_configENS1_38merge_sort_block_merge_config_selectorIjNS0_10empty_typeEEEZZNS1_27merge_sort_block_merge_implIS3_PjPS5_jNS1_19radix_merge_compareILb0ELb1EjNS0_19identity_decomposerEEEEE10hipError_tT0_T1_T2_jT3_P12ihipStream_tbPNSt15iterator_traitsISE_E10value_typeEPNSK_ISF_E10value_typeEPSG_NS1_7vsmem_tEENKUlT_SE_SF_SG_E_clIS8_S8_S9_S9_EESD_ST_SE_SF_SG_EUlST_E_NS1_11comp_targetILNS1_3genE8ELNS1_11target_archE1030ELNS1_3gpuE2ELNS1_3repE0EEENS1_48merge_mergepath_partition_config_static_selectorELNS0_4arch9wavefront6targetE1EEEvSF_,comdat
	.protected	_ZN7rocprim17ROCPRIM_400000_NS6detail17trampoline_kernelINS0_14default_configENS1_38merge_sort_block_merge_config_selectorIjNS0_10empty_typeEEEZZNS1_27merge_sort_block_merge_implIS3_PjPS5_jNS1_19radix_merge_compareILb0ELb1EjNS0_19identity_decomposerEEEEE10hipError_tT0_T1_T2_jT3_P12ihipStream_tbPNSt15iterator_traitsISE_E10value_typeEPNSK_ISF_E10value_typeEPSG_NS1_7vsmem_tEENKUlT_SE_SF_SG_E_clIS8_S8_S9_S9_EESD_ST_SE_SF_SG_EUlST_E_NS1_11comp_targetILNS1_3genE8ELNS1_11target_archE1030ELNS1_3gpuE2ELNS1_3repE0EEENS1_48merge_mergepath_partition_config_static_selectorELNS0_4arch9wavefront6targetE1EEEvSF_ ; -- Begin function _ZN7rocprim17ROCPRIM_400000_NS6detail17trampoline_kernelINS0_14default_configENS1_38merge_sort_block_merge_config_selectorIjNS0_10empty_typeEEEZZNS1_27merge_sort_block_merge_implIS3_PjPS5_jNS1_19radix_merge_compareILb0ELb1EjNS0_19identity_decomposerEEEEE10hipError_tT0_T1_T2_jT3_P12ihipStream_tbPNSt15iterator_traitsISE_E10value_typeEPNSK_ISF_E10value_typeEPSG_NS1_7vsmem_tEENKUlT_SE_SF_SG_E_clIS8_S8_S9_S9_EESD_ST_SE_SF_SG_EUlST_E_NS1_11comp_targetILNS1_3genE8ELNS1_11target_archE1030ELNS1_3gpuE2ELNS1_3repE0EEENS1_48merge_mergepath_partition_config_static_selectorELNS0_4arch9wavefront6targetE1EEEvSF_
	.globl	_ZN7rocprim17ROCPRIM_400000_NS6detail17trampoline_kernelINS0_14default_configENS1_38merge_sort_block_merge_config_selectorIjNS0_10empty_typeEEEZZNS1_27merge_sort_block_merge_implIS3_PjPS5_jNS1_19radix_merge_compareILb0ELb1EjNS0_19identity_decomposerEEEEE10hipError_tT0_T1_T2_jT3_P12ihipStream_tbPNSt15iterator_traitsISE_E10value_typeEPNSK_ISF_E10value_typeEPSG_NS1_7vsmem_tEENKUlT_SE_SF_SG_E_clIS8_S8_S9_S9_EESD_ST_SE_SF_SG_EUlST_E_NS1_11comp_targetILNS1_3genE8ELNS1_11target_archE1030ELNS1_3gpuE2ELNS1_3repE0EEENS1_48merge_mergepath_partition_config_static_selectorELNS0_4arch9wavefront6targetE1EEEvSF_
	.p2align	8
	.type	_ZN7rocprim17ROCPRIM_400000_NS6detail17trampoline_kernelINS0_14default_configENS1_38merge_sort_block_merge_config_selectorIjNS0_10empty_typeEEEZZNS1_27merge_sort_block_merge_implIS3_PjPS5_jNS1_19radix_merge_compareILb0ELb1EjNS0_19identity_decomposerEEEEE10hipError_tT0_T1_T2_jT3_P12ihipStream_tbPNSt15iterator_traitsISE_E10value_typeEPNSK_ISF_E10value_typeEPSG_NS1_7vsmem_tEENKUlT_SE_SF_SG_E_clIS8_S8_S9_S9_EESD_ST_SE_SF_SG_EUlST_E_NS1_11comp_targetILNS1_3genE8ELNS1_11target_archE1030ELNS1_3gpuE2ELNS1_3repE0EEENS1_48merge_mergepath_partition_config_static_selectorELNS0_4arch9wavefront6targetE1EEEvSF_,@function
_ZN7rocprim17ROCPRIM_400000_NS6detail17trampoline_kernelINS0_14default_configENS1_38merge_sort_block_merge_config_selectorIjNS0_10empty_typeEEEZZNS1_27merge_sort_block_merge_implIS3_PjPS5_jNS1_19radix_merge_compareILb0ELb1EjNS0_19identity_decomposerEEEEE10hipError_tT0_T1_T2_jT3_P12ihipStream_tbPNSt15iterator_traitsISE_E10value_typeEPNSK_ISF_E10value_typeEPSG_NS1_7vsmem_tEENKUlT_SE_SF_SG_E_clIS8_S8_S9_S9_EESD_ST_SE_SF_SG_EUlST_E_NS1_11comp_targetILNS1_3genE8ELNS1_11target_archE1030ELNS1_3gpuE2ELNS1_3repE0EEENS1_48merge_mergepath_partition_config_static_selectorELNS0_4arch9wavefront6targetE1EEEvSF_: ; @_ZN7rocprim17ROCPRIM_400000_NS6detail17trampoline_kernelINS0_14default_configENS1_38merge_sort_block_merge_config_selectorIjNS0_10empty_typeEEEZZNS1_27merge_sort_block_merge_implIS3_PjPS5_jNS1_19radix_merge_compareILb0ELb1EjNS0_19identity_decomposerEEEEE10hipError_tT0_T1_T2_jT3_P12ihipStream_tbPNSt15iterator_traitsISE_E10value_typeEPNSK_ISF_E10value_typeEPSG_NS1_7vsmem_tEENKUlT_SE_SF_SG_E_clIS8_S8_S9_S9_EESD_ST_SE_SF_SG_EUlST_E_NS1_11comp_targetILNS1_3genE8ELNS1_11target_archE1030ELNS1_3gpuE2ELNS1_3repE0EEENS1_48merge_mergepath_partition_config_static_selectorELNS0_4arch9wavefront6targetE1EEEvSF_
; %bb.0:
	.section	.rodata,"a",@progbits
	.p2align	6, 0x0
	.amdhsa_kernel _ZN7rocprim17ROCPRIM_400000_NS6detail17trampoline_kernelINS0_14default_configENS1_38merge_sort_block_merge_config_selectorIjNS0_10empty_typeEEEZZNS1_27merge_sort_block_merge_implIS3_PjPS5_jNS1_19radix_merge_compareILb0ELb1EjNS0_19identity_decomposerEEEEE10hipError_tT0_T1_T2_jT3_P12ihipStream_tbPNSt15iterator_traitsISE_E10value_typeEPNSK_ISF_E10value_typeEPSG_NS1_7vsmem_tEENKUlT_SE_SF_SG_E_clIS8_S8_S9_S9_EESD_ST_SE_SF_SG_EUlST_E_NS1_11comp_targetILNS1_3genE8ELNS1_11target_archE1030ELNS1_3gpuE2ELNS1_3repE0EEENS1_48merge_mergepath_partition_config_static_selectorELNS0_4arch9wavefront6targetE1EEEvSF_
		.amdhsa_group_segment_fixed_size 0
		.amdhsa_private_segment_fixed_size 0
		.amdhsa_kernarg_size 40
		.amdhsa_user_sgpr_count 6
		.amdhsa_user_sgpr_private_segment_buffer 1
		.amdhsa_user_sgpr_dispatch_ptr 0
		.amdhsa_user_sgpr_queue_ptr 0
		.amdhsa_user_sgpr_kernarg_segment_ptr 1
		.amdhsa_user_sgpr_dispatch_id 0
		.amdhsa_user_sgpr_flat_scratch_init 0
		.amdhsa_user_sgpr_kernarg_preload_length 0
		.amdhsa_user_sgpr_kernarg_preload_offset 0
		.amdhsa_user_sgpr_private_segment_size 0
		.amdhsa_uses_dynamic_stack 0
		.amdhsa_system_sgpr_private_segment_wavefront_offset 0
		.amdhsa_system_sgpr_workgroup_id_x 1
		.amdhsa_system_sgpr_workgroup_id_y 0
		.amdhsa_system_sgpr_workgroup_id_z 0
		.amdhsa_system_sgpr_workgroup_info 0
		.amdhsa_system_vgpr_workitem_id 0
		.amdhsa_next_free_vgpr 1
		.amdhsa_next_free_sgpr 0
		.amdhsa_accum_offset 4
		.amdhsa_reserve_vcc 0
		.amdhsa_reserve_flat_scratch 0
		.amdhsa_float_round_mode_32 0
		.amdhsa_float_round_mode_16_64 0
		.amdhsa_float_denorm_mode_32 3
		.amdhsa_float_denorm_mode_16_64 3
		.amdhsa_dx10_clamp 1
		.amdhsa_ieee_mode 1
		.amdhsa_fp16_overflow 0
		.amdhsa_tg_split 0
		.amdhsa_exception_fp_ieee_invalid_op 0
		.amdhsa_exception_fp_denorm_src 0
		.amdhsa_exception_fp_ieee_div_zero 0
		.amdhsa_exception_fp_ieee_overflow 0
		.amdhsa_exception_fp_ieee_underflow 0
		.amdhsa_exception_fp_ieee_inexact 0
		.amdhsa_exception_int_div_zero 0
	.end_amdhsa_kernel
	.section	.text._ZN7rocprim17ROCPRIM_400000_NS6detail17trampoline_kernelINS0_14default_configENS1_38merge_sort_block_merge_config_selectorIjNS0_10empty_typeEEEZZNS1_27merge_sort_block_merge_implIS3_PjPS5_jNS1_19radix_merge_compareILb0ELb1EjNS0_19identity_decomposerEEEEE10hipError_tT0_T1_T2_jT3_P12ihipStream_tbPNSt15iterator_traitsISE_E10value_typeEPNSK_ISF_E10value_typeEPSG_NS1_7vsmem_tEENKUlT_SE_SF_SG_E_clIS8_S8_S9_S9_EESD_ST_SE_SF_SG_EUlST_E_NS1_11comp_targetILNS1_3genE8ELNS1_11target_archE1030ELNS1_3gpuE2ELNS1_3repE0EEENS1_48merge_mergepath_partition_config_static_selectorELNS0_4arch9wavefront6targetE1EEEvSF_,"axG",@progbits,_ZN7rocprim17ROCPRIM_400000_NS6detail17trampoline_kernelINS0_14default_configENS1_38merge_sort_block_merge_config_selectorIjNS0_10empty_typeEEEZZNS1_27merge_sort_block_merge_implIS3_PjPS5_jNS1_19radix_merge_compareILb0ELb1EjNS0_19identity_decomposerEEEEE10hipError_tT0_T1_T2_jT3_P12ihipStream_tbPNSt15iterator_traitsISE_E10value_typeEPNSK_ISF_E10value_typeEPSG_NS1_7vsmem_tEENKUlT_SE_SF_SG_E_clIS8_S8_S9_S9_EESD_ST_SE_SF_SG_EUlST_E_NS1_11comp_targetILNS1_3genE8ELNS1_11target_archE1030ELNS1_3gpuE2ELNS1_3repE0EEENS1_48merge_mergepath_partition_config_static_selectorELNS0_4arch9wavefront6targetE1EEEvSF_,comdat
.Lfunc_end725:
	.size	_ZN7rocprim17ROCPRIM_400000_NS6detail17trampoline_kernelINS0_14default_configENS1_38merge_sort_block_merge_config_selectorIjNS0_10empty_typeEEEZZNS1_27merge_sort_block_merge_implIS3_PjPS5_jNS1_19radix_merge_compareILb0ELb1EjNS0_19identity_decomposerEEEEE10hipError_tT0_T1_T2_jT3_P12ihipStream_tbPNSt15iterator_traitsISE_E10value_typeEPNSK_ISF_E10value_typeEPSG_NS1_7vsmem_tEENKUlT_SE_SF_SG_E_clIS8_S8_S9_S9_EESD_ST_SE_SF_SG_EUlST_E_NS1_11comp_targetILNS1_3genE8ELNS1_11target_archE1030ELNS1_3gpuE2ELNS1_3repE0EEENS1_48merge_mergepath_partition_config_static_selectorELNS0_4arch9wavefront6targetE1EEEvSF_, .Lfunc_end725-_ZN7rocprim17ROCPRIM_400000_NS6detail17trampoline_kernelINS0_14default_configENS1_38merge_sort_block_merge_config_selectorIjNS0_10empty_typeEEEZZNS1_27merge_sort_block_merge_implIS3_PjPS5_jNS1_19radix_merge_compareILb0ELb1EjNS0_19identity_decomposerEEEEE10hipError_tT0_T1_T2_jT3_P12ihipStream_tbPNSt15iterator_traitsISE_E10value_typeEPNSK_ISF_E10value_typeEPSG_NS1_7vsmem_tEENKUlT_SE_SF_SG_E_clIS8_S8_S9_S9_EESD_ST_SE_SF_SG_EUlST_E_NS1_11comp_targetILNS1_3genE8ELNS1_11target_archE1030ELNS1_3gpuE2ELNS1_3repE0EEENS1_48merge_mergepath_partition_config_static_selectorELNS0_4arch9wavefront6targetE1EEEvSF_
                                        ; -- End function
	.section	.AMDGPU.csdata,"",@progbits
; Kernel info:
; codeLenInByte = 0
; NumSgprs: 4
; NumVgprs: 0
; NumAgprs: 0
; TotalNumVgprs: 0
; ScratchSize: 0
; MemoryBound: 0
; FloatMode: 240
; IeeeMode: 1
; LDSByteSize: 0 bytes/workgroup (compile time only)
; SGPRBlocks: 0
; VGPRBlocks: 0
; NumSGPRsForWavesPerEU: 4
; NumVGPRsForWavesPerEU: 1
; AccumOffset: 4
; Occupancy: 8
; WaveLimiterHint : 0
; COMPUTE_PGM_RSRC2:SCRATCH_EN: 0
; COMPUTE_PGM_RSRC2:USER_SGPR: 6
; COMPUTE_PGM_RSRC2:TRAP_HANDLER: 0
; COMPUTE_PGM_RSRC2:TGID_X_EN: 1
; COMPUTE_PGM_RSRC2:TGID_Y_EN: 0
; COMPUTE_PGM_RSRC2:TGID_Z_EN: 0
; COMPUTE_PGM_RSRC2:TIDIG_COMP_CNT: 0
; COMPUTE_PGM_RSRC3_GFX90A:ACCUM_OFFSET: 0
; COMPUTE_PGM_RSRC3_GFX90A:TG_SPLIT: 0
	.section	.text._ZN7rocprim17ROCPRIM_400000_NS6detail17trampoline_kernelINS0_14default_configENS1_38merge_sort_block_merge_config_selectorIjNS0_10empty_typeEEEZZNS1_27merge_sort_block_merge_implIS3_PjPS5_jNS1_19radix_merge_compareILb0ELb1EjNS0_19identity_decomposerEEEEE10hipError_tT0_T1_T2_jT3_P12ihipStream_tbPNSt15iterator_traitsISE_E10value_typeEPNSK_ISF_E10value_typeEPSG_NS1_7vsmem_tEENKUlT_SE_SF_SG_E_clIS8_S8_S9_S9_EESD_ST_SE_SF_SG_EUlST_E0_NS1_11comp_targetILNS1_3genE0ELNS1_11target_archE4294967295ELNS1_3gpuE0ELNS1_3repE0EEENS1_38merge_mergepath_config_static_selectorELNS0_4arch9wavefront6targetE1EEEvSF_,"axG",@progbits,_ZN7rocprim17ROCPRIM_400000_NS6detail17trampoline_kernelINS0_14default_configENS1_38merge_sort_block_merge_config_selectorIjNS0_10empty_typeEEEZZNS1_27merge_sort_block_merge_implIS3_PjPS5_jNS1_19radix_merge_compareILb0ELb1EjNS0_19identity_decomposerEEEEE10hipError_tT0_T1_T2_jT3_P12ihipStream_tbPNSt15iterator_traitsISE_E10value_typeEPNSK_ISF_E10value_typeEPSG_NS1_7vsmem_tEENKUlT_SE_SF_SG_E_clIS8_S8_S9_S9_EESD_ST_SE_SF_SG_EUlST_E0_NS1_11comp_targetILNS1_3genE0ELNS1_11target_archE4294967295ELNS1_3gpuE0ELNS1_3repE0EEENS1_38merge_mergepath_config_static_selectorELNS0_4arch9wavefront6targetE1EEEvSF_,comdat
	.protected	_ZN7rocprim17ROCPRIM_400000_NS6detail17trampoline_kernelINS0_14default_configENS1_38merge_sort_block_merge_config_selectorIjNS0_10empty_typeEEEZZNS1_27merge_sort_block_merge_implIS3_PjPS5_jNS1_19radix_merge_compareILb0ELb1EjNS0_19identity_decomposerEEEEE10hipError_tT0_T1_T2_jT3_P12ihipStream_tbPNSt15iterator_traitsISE_E10value_typeEPNSK_ISF_E10value_typeEPSG_NS1_7vsmem_tEENKUlT_SE_SF_SG_E_clIS8_S8_S9_S9_EESD_ST_SE_SF_SG_EUlST_E0_NS1_11comp_targetILNS1_3genE0ELNS1_11target_archE4294967295ELNS1_3gpuE0ELNS1_3repE0EEENS1_38merge_mergepath_config_static_selectorELNS0_4arch9wavefront6targetE1EEEvSF_ ; -- Begin function _ZN7rocprim17ROCPRIM_400000_NS6detail17trampoline_kernelINS0_14default_configENS1_38merge_sort_block_merge_config_selectorIjNS0_10empty_typeEEEZZNS1_27merge_sort_block_merge_implIS3_PjPS5_jNS1_19radix_merge_compareILb0ELb1EjNS0_19identity_decomposerEEEEE10hipError_tT0_T1_T2_jT3_P12ihipStream_tbPNSt15iterator_traitsISE_E10value_typeEPNSK_ISF_E10value_typeEPSG_NS1_7vsmem_tEENKUlT_SE_SF_SG_E_clIS8_S8_S9_S9_EESD_ST_SE_SF_SG_EUlST_E0_NS1_11comp_targetILNS1_3genE0ELNS1_11target_archE4294967295ELNS1_3gpuE0ELNS1_3repE0EEENS1_38merge_mergepath_config_static_selectorELNS0_4arch9wavefront6targetE1EEEvSF_
	.globl	_ZN7rocprim17ROCPRIM_400000_NS6detail17trampoline_kernelINS0_14default_configENS1_38merge_sort_block_merge_config_selectorIjNS0_10empty_typeEEEZZNS1_27merge_sort_block_merge_implIS3_PjPS5_jNS1_19radix_merge_compareILb0ELb1EjNS0_19identity_decomposerEEEEE10hipError_tT0_T1_T2_jT3_P12ihipStream_tbPNSt15iterator_traitsISE_E10value_typeEPNSK_ISF_E10value_typeEPSG_NS1_7vsmem_tEENKUlT_SE_SF_SG_E_clIS8_S8_S9_S9_EESD_ST_SE_SF_SG_EUlST_E0_NS1_11comp_targetILNS1_3genE0ELNS1_11target_archE4294967295ELNS1_3gpuE0ELNS1_3repE0EEENS1_38merge_mergepath_config_static_selectorELNS0_4arch9wavefront6targetE1EEEvSF_
	.p2align	8
	.type	_ZN7rocprim17ROCPRIM_400000_NS6detail17trampoline_kernelINS0_14default_configENS1_38merge_sort_block_merge_config_selectorIjNS0_10empty_typeEEEZZNS1_27merge_sort_block_merge_implIS3_PjPS5_jNS1_19radix_merge_compareILb0ELb1EjNS0_19identity_decomposerEEEEE10hipError_tT0_T1_T2_jT3_P12ihipStream_tbPNSt15iterator_traitsISE_E10value_typeEPNSK_ISF_E10value_typeEPSG_NS1_7vsmem_tEENKUlT_SE_SF_SG_E_clIS8_S8_S9_S9_EESD_ST_SE_SF_SG_EUlST_E0_NS1_11comp_targetILNS1_3genE0ELNS1_11target_archE4294967295ELNS1_3gpuE0ELNS1_3repE0EEENS1_38merge_mergepath_config_static_selectorELNS0_4arch9wavefront6targetE1EEEvSF_,@function
_ZN7rocprim17ROCPRIM_400000_NS6detail17trampoline_kernelINS0_14default_configENS1_38merge_sort_block_merge_config_selectorIjNS0_10empty_typeEEEZZNS1_27merge_sort_block_merge_implIS3_PjPS5_jNS1_19radix_merge_compareILb0ELb1EjNS0_19identity_decomposerEEEEE10hipError_tT0_T1_T2_jT3_P12ihipStream_tbPNSt15iterator_traitsISE_E10value_typeEPNSK_ISF_E10value_typeEPSG_NS1_7vsmem_tEENKUlT_SE_SF_SG_E_clIS8_S8_S9_S9_EESD_ST_SE_SF_SG_EUlST_E0_NS1_11comp_targetILNS1_3genE0ELNS1_11target_archE4294967295ELNS1_3gpuE0ELNS1_3repE0EEENS1_38merge_mergepath_config_static_selectorELNS0_4arch9wavefront6targetE1EEEvSF_: ; @_ZN7rocprim17ROCPRIM_400000_NS6detail17trampoline_kernelINS0_14default_configENS1_38merge_sort_block_merge_config_selectorIjNS0_10empty_typeEEEZZNS1_27merge_sort_block_merge_implIS3_PjPS5_jNS1_19radix_merge_compareILb0ELb1EjNS0_19identity_decomposerEEEEE10hipError_tT0_T1_T2_jT3_P12ihipStream_tbPNSt15iterator_traitsISE_E10value_typeEPNSK_ISF_E10value_typeEPSG_NS1_7vsmem_tEENKUlT_SE_SF_SG_E_clIS8_S8_S9_S9_EESD_ST_SE_SF_SG_EUlST_E0_NS1_11comp_targetILNS1_3genE0ELNS1_11target_archE4294967295ELNS1_3gpuE0ELNS1_3repE0EEENS1_38merge_mergepath_config_static_selectorELNS0_4arch9wavefront6targetE1EEEvSF_
; %bb.0:
	.section	.rodata,"a",@progbits
	.p2align	6, 0x0
	.amdhsa_kernel _ZN7rocprim17ROCPRIM_400000_NS6detail17trampoline_kernelINS0_14default_configENS1_38merge_sort_block_merge_config_selectorIjNS0_10empty_typeEEEZZNS1_27merge_sort_block_merge_implIS3_PjPS5_jNS1_19radix_merge_compareILb0ELb1EjNS0_19identity_decomposerEEEEE10hipError_tT0_T1_T2_jT3_P12ihipStream_tbPNSt15iterator_traitsISE_E10value_typeEPNSK_ISF_E10value_typeEPSG_NS1_7vsmem_tEENKUlT_SE_SF_SG_E_clIS8_S8_S9_S9_EESD_ST_SE_SF_SG_EUlST_E0_NS1_11comp_targetILNS1_3genE0ELNS1_11target_archE4294967295ELNS1_3gpuE0ELNS1_3repE0EEENS1_38merge_mergepath_config_static_selectorELNS0_4arch9wavefront6targetE1EEEvSF_
		.amdhsa_group_segment_fixed_size 0
		.amdhsa_private_segment_fixed_size 0
		.amdhsa_kernarg_size 64
		.amdhsa_user_sgpr_count 6
		.amdhsa_user_sgpr_private_segment_buffer 1
		.amdhsa_user_sgpr_dispatch_ptr 0
		.amdhsa_user_sgpr_queue_ptr 0
		.amdhsa_user_sgpr_kernarg_segment_ptr 1
		.amdhsa_user_sgpr_dispatch_id 0
		.amdhsa_user_sgpr_flat_scratch_init 0
		.amdhsa_user_sgpr_kernarg_preload_length 0
		.amdhsa_user_sgpr_kernarg_preload_offset 0
		.amdhsa_user_sgpr_private_segment_size 0
		.amdhsa_uses_dynamic_stack 0
		.amdhsa_system_sgpr_private_segment_wavefront_offset 0
		.amdhsa_system_sgpr_workgroup_id_x 1
		.amdhsa_system_sgpr_workgroup_id_y 0
		.amdhsa_system_sgpr_workgroup_id_z 0
		.amdhsa_system_sgpr_workgroup_info 0
		.amdhsa_system_vgpr_workitem_id 0
		.amdhsa_next_free_vgpr 1
		.amdhsa_next_free_sgpr 0
		.amdhsa_accum_offset 4
		.amdhsa_reserve_vcc 0
		.amdhsa_reserve_flat_scratch 0
		.amdhsa_float_round_mode_32 0
		.amdhsa_float_round_mode_16_64 0
		.amdhsa_float_denorm_mode_32 3
		.amdhsa_float_denorm_mode_16_64 3
		.amdhsa_dx10_clamp 1
		.amdhsa_ieee_mode 1
		.amdhsa_fp16_overflow 0
		.amdhsa_tg_split 0
		.amdhsa_exception_fp_ieee_invalid_op 0
		.amdhsa_exception_fp_denorm_src 0
		.amdhsa_exception_fp_ieee_div_zero 0
		.amdhsa_exception_fp_ieee_overflow 0
		.amdhsa_exception_fp_ieee_underflow 0
		.amdhsa_exception_fp_ieee_inexact 0
		.amdhsa_exception_int_div_zero 0
	.end_amdhsa_kernel
	.section	.text._ZN7rocprim17ROCPRIM_400000_NS6detail17trampoline_kernelINS0_14default_configENS1_38merge_sort_block_merge_config_selectorIjNS0_10empty_typeEEEZZNS1_27merge_sort_block_merge_implIS3_PjPS5_jNS1_19radix_merge_compareILb0ELb1EjNS0_19identity_decomposerEEEEE10hipError_tT0_T1_T2_jT3_P12ihipStream_tbPNSt15iterator_traitsISE_E10value_typeEPNSK_ISF_E10value_typeEPSG_NS1_7vsmem_tEENKUlT_SE_SF_SG_E_clIS8_S8_S9_S9_EESD_ST_SE_SF_SG_EUlST_E0_NS1_11comp_targetILNS1_3genE0ELNS1_11target_archE4294967295ELNS1_3gpuE0ELNS1_3repE0EEENS1_38merge_mergepath_config_static_selectorELNS0_4arch9wavefront6targetE1EEEvSF_,"axG",@progbits,_ZN7rocprim17ROCPRIM_400000_NS6detail17trampoline_kernelINS0_14default_configENS1_38merge_sort_block_merge_config_selectorIjNS0_10empty_typeEEEZZNS1_27merge_sort_block_merge_implIS3_PjPS5_jNS1_19radix_merge_compareILb0ELb1EjNS0_19identity_decomposerEEEEE10hipError_tT0_T1_T2_jT3_P12ihipStream_tbPNSt15iterator_traitsISE_E10value_typeEPNSK_ISF_E10value_typeEPSG_NS1_7vsmem_tEENKUlT_SE_SF_SG_E_clIS8_S8_S9_S9_EESD_ST_SE_SF_SG_EUlST_E0_NS1_11comp_targetILNS1_3genE0ELNS1_11target_archE4294967295ELNS1_3gpuE0ELNS1_3repE0EEENS1_38merge_mergepath_config_static_selectorELNS0_4arch9wavefront6targetE1EEEvSF_,comdat
.Lfunc_end726:
	.size	_ZN7rocprim17ROCPRIM_400000_NS6detail17trampoline_kernelINS0_14default_configENS1_38merge_sort_block_merge_config_selectorIjNS0_10empty_typeEEEZZNS1_27merge_sort_block_merge_implIS3_PjPS5_jNS1_19radix_merge_compareILb0ELb1EjNS0_19identity_decomposerEEEEE10hipError_tT0_T1_T2_jT3_P12ihipStream_tbPNSt15iterator_traitsISE_E10value_typeEPNSK_ISF_E10value_typeEPSG_NS1_7vsmem_tEENKUlT_SE_SF_SG_E_clIS8_S8_S9_S9_EESD_ST_SE_SF_SG_EUlST_E0_NS1_11comp_targetILNS1_3genE0ELNS1_11target_archE4294967295ELNS1_3gpuE0ELNS1_3repE0EEENS1_38merge_mergepath_config_static_selectorELNS0_4arch9wavefront6targetE1EEEvSF_, .Lfunc_end726-_ZN7rocprim17ROCPRIM_400000_NS6detail17trampoline_kernelINS0_14default_configENS1_38merge_sort_block_merge_config_selectorIjNS0_10empty_typeEEEZZNS1_27merge_sort_block_merge_implIS3_PjPS5_jNS1_19radix_merge_compareILb0ELb1EjNS0_19identity_decomposerEEEEE10hipError_tT0_T1_T2_jT3_P12ihipStream_tbPNSt15iterator_traitsISE_E10value_typeEPNSK_ISF_E10value_typeEPSG_NS1_7vsmem_tEENKUlT_SE_SF_SG_E_clIS8_S8_S9_S9_EESD_ST_SE_SF_SG_EUlST_E0_NS1_11comp_targetILNS1_3genE0ELNS1_11target_archE4294967295ELNS1_3gpuE0ELNS1_3repE0EEENS1_38merge_mergepath_config_static_selectorELNS0_4arch9wavefront6targetE1EEEvSF_
                                        ; -- End function
	.section	.AMDGPU.csdata,"",@progbits
; Kernel info:
; codeLenInByte = 0
; NumSgprs: 4
; NumVgprs: 0
; NumAgprs: 0
; TotalNumVgprs: 0
; ScratchSize: 0
; MemoryBound: 0
; FloatMode: 240
; IeeeMode: 1
; LDSByteSize: 0 bytes/workgroup (compile time only)
; SGPRBlocks: 0
; VGPRBlocks: 0
; NumSGPRsForWavesPerEU: 4
; NumVGPRsForWavesPerEU: 1
; AccumOffset: 4
; Occupancy: 8
; WaveLimiterHint : 0
; COMPUTE_PGM_RSRC2:SCRATCH_EN: 0
; COMPUTE_PGM_RSRC2:USER_SGPR: 6
; COMPUTE_PGM_RSRC2:TRAP_HANDLER: 0
; COMPUTE_PGM_RSRC2:TGID_X_EN: 1
; COMPUTE_PGM_RSRC2:TGID_Y_EN: 0
; COMPUTE_PGM_RSRC2:TGID_Z_EN: 0
; COMPUTE_PGM_RSRC2:TIDIG_COMP_CNT: 0
; COMPUTE_PGM_RSRC3_GFX90A:ACCUM_OFFSET: 0
; COMPUTE_PGM_RSRC3_GFX90A:TG_SPLIT: 0
	.section	.text._ZN7rocprim17ROCPRIM_400000_NS6detail17trampoline_kernelINS0_14default_configENS1_38merge_sort_block_merge_config_selectorIjNS0_10empty_typeEEEZZNS1_27merge_sort_block_merge_implIS3_PjPS5_jNS1_19radix_merge_compareILb0ELb1EjNS0_19identity_decomposerEEEEE10hipError_tT0_T1_T2_jT3_P12ihipStream_tbPNSt15iterator_traitsISE_E10value_typeEPNSK_ISF_E10value_typeEPSG_NS1_7vsmem_tEENKUlT_SE_SF_SG_E_clIS8_S8_S9_S9_EESD_ST_SE_SF_SG_EUlST_E0_NS1_11comp_targetILNS1_3genE10ELNS1_11target_archE1201ELNS1_3gpuE5ELNS1_3repE0EEENS1_38merge_mergepath_config_static_selectorELNS0_4arch9wavefront6targetE1EEEvSF_,"axG",@progbits,_ZN7rocprim17ROCPRIM_400000_NS6detail17trampoline_kernelINS0_14default_configENS1_38merge_sort_block_merge_config_selectorIjNS0_10empty_typeEEEZZNS1_27merge_sort_block_merge_implIS3_PjPS5_jNS1_19radix_merge_compareILb0ELb1EjNS0_19identity_decomposerEEEEE10hipError_tT0_T1_T2_jT3_P12ihipStream_tbPNSt15iterator_traitsISE_E10value_typeEPNSK_ISF_E10value_typeEPSG_NS1_7vsmem_tEENKUlT_SE_SF_SG_E_clIS8_S8_S9_S9_EESD_ST_SE_SF_SG_EUlST_E0_NS1_11comp_targetILNS1_3genE10ELNS1_11target_archE1201ELNS1_3gpuE5ELNS1_3repE0EEENS1_38merge_mergepath_config_static_selectorELNS0_4arch9wavefront6targetE1EEEvSF_,comdat
	.protected	_ZN7rocprim17ROCPRIM_400000_NS6detail17trampoline_kernelINS0_14default_configENS1_38merge_sort_block_merge_config_selectorIjNS0_10empty_typeEEEZZNS1_27merge_sort_block_merge_implIS3_PjPS5_jNS1_19radix_merge_compareILb0ELb1EjNS0_19identity_decomposerEEEEE10hipError_tT0_T1_T2_jT3_P12ihipStream_tbPNSt15iterator_traitsISE_E10value_typeEPNSK_ISF_E10value_typeEPSG_NS1_7vsmem_tEENKUlT_SE_SF_SG_E_clIS8_S8_S9_S9_EESD_ST_SE_SF_SG_EUlST_E0_NS1_11comp_targetILNS1_3genE10ELNS1_11target_archE1201ELNS1_3gpuE5ELNS1_3repE0EEENS1_38merge_mergepath_config_static_selectorELNS0_4arch9wavefront6targetE1EEEvSF_ ; -- Begin function _ZN7rocprim17ROCPRIM_400000_NS6detail17trampoline_kernelINS0_14default_configENS1_38merge_sort_block_merge_config_selectorIjNS0_10empty_typeEEEZZNS1_27merge_sort_block_merge_implIS3_PjPS5_jNS1_19radix_merge_compareILb0ELb1EjNS0_19identity_decomposerEEEEE10hipError_tT0_T1_T2_jT3_P12ihipStream_tbPNSt15iterator_traitsISE_E10value_typeEPNSK_ISF_E10value_typeEPSG_NS1_7vsmem_tEENKUlT_SE_SF_SG_E_clIS8_S8_S9_S9_EESD_ST_SE_SF_SG_EUlST_E0_NS1_11comp_targetILNS1_3genE10ELNS1_11target_archE1201ELNS1_3gpuE5ELNS1_3repE0EEENS1_38merge_mergepath_config_static_selectorELNS0_4arch9wavefront6targetE1EEEvSF_
	.globl	_ZN7rocprim17ROCPRIM_400000_NS6detail17trampoline_kernelINS0_14default_configENS1_38merge_sort_block_merge_config_selectorIjNS0_10empty_typeEEEZZNS1_27merge_sort_block_merge_implIS3_PjPS5_jNS1_19radix_merge_compareILb0ELb1EjNS0_19identity_decomposerEEEEE10hipError_tT0_T1_T2_jT3_P12ihipStream_tbPNSt15iterator_traitsISE_E10value_typeEPNSK_ISF_E10value_typeEPSG_NS1_7vsmem_tEENKUlT_SE_SF_SG_E_clIS8_S8_S9_S9_EESD_ST_SE_SF_SG_EUlST_E0_NS1_11comp_targetILNS1_3genE10ELNS1_11target_archE1201ELNS1_3gpuE5ELNS1_3repE0EEENS1_38merge_mergepath_config_static_selectorELNS0_4arch9wavefront6targetE1EEEvSF_
	.p2align	8
	.type	_ZN7rocprim17ROCPRIM_400000_NS6detail17trampoline_kernelINS0_14default_configENS1_38merge_sort_block_merge_config_selectorIjNS0_10empty_typeEEEZZNS1_27merge_sort_block_merge_implIS3_PjPS5_jNS1_19radix_merge_compareILb0ELb1EjNS0_19identity_decomposerEEEEE10hipError_tT0_T1_T2_jT3_P12ihipStream_tbPNSt15iterator_traitsISE_E10value_typeEPNSK_ISF_E10value_typeEPSG_NS1_7vsmem_tEENKUlT_SE_SF_SG_E_clIS8_S8_S9_S9_EESD_ST_SE_SF_SG_EUlST_E0_NS1_11comp_targetILNS1_3genE10ELNS1_11target_archE1201ELNS1_3gpuE5ELNS1_3repE0EEENS1_38merge_mergepath_config_static_selectorELNS0_4arch9wavefront6targetE1EEEvSF_,@function
_ZN7rocprim17ROCPRIM_400000_NS6detail17trampoline_kernelINS0_14default_configENS1_38merge_sort_block_merge_config_selectorIjNS0_10empty_typeEEEZZNS1_27merge_sort_block_merge_implIS3_PjPS5_jNS1_19radix_merge_compareILb0ELb1EjNS0_19identity_decomposerEEEEE10hipError_tT0_T1_T2_jT3_P12ihipStream_tbPNSt15iterator_traitsISE_E10value_typeEPNSK_ISF_E10value_typeEPSG_NS1_7vsmem_tEENKUlT_SE_SF_SG_E_clIS8_S8_S9_S9_EESD_ST_SE_SF_SG_EUlST_E0_NS1_11comp_targetILNS1_3genE10ELNS1_11target_archE1201ELNS1_3gpuE5ELNS1_3repE0EEENS1_38merge_mergepath_config_static_selectorELNS0_4arch9wavefront6targetE1EEEvSF_: ; @_ZN7rocprim17ROCPRIM_400000_NS6detail17trampoline_kernelINS0_14default_configENS1_38merge_sort_block_merge_config_selectorIjNS0_10empty_typeEEEZZNS1_27merge_sort_block_merge_implIS3_PjPS5_jNS1_19radix_merge_compareILb0ELb1EjNS0_19identity_decomposerEEEEE10hipError_tT0_T1_T2_jT3_P12ihipStream_tbPNSt15iterator_traitsISE_E10value_typeEPNSK_ISF_E10value_typeEPSG_NS1_7vsmem_tEENKUlT_SE_SF_SG_E_clIS8_S8_S9_S9_EESD_ST_SE_SF_SG_EUlST_E0_NS1_11comp_targetILNS1_3genE10ELNS1_11target_archE1201ELNS1_3gpuE5ELNS1_3repE0EEENS1_38merge_mergepath_config_static_selectorELNS0_4arch9wavefront6targetE1EEEvSF_
; %bb.0:
	.section	.rodata,"a",@progbits
	.p2align	6, 0x0
	.amdhsa_kernel _ZN7rocprim17ROCPRIM_400000_NS6detail17trampoline_kernelINS0_14default_configENS1_38merge_sort_block_merge_config_selectorIjNS0_10empty_typeEEEZZNS1_27merge_sort_block_merge_implIS3_PjPS5_jNS1_19radix_merge_compareILb0ELb1EjNS0_19identity_decomposerEEEEE10hipError_tT0_T1_T2_jT3_P12ihipStream_tbPNSt15iterator_traitsISE_E10value_typeEPNSK_ISF_E10value_typeEPSG_NS1_7vsmem_tEENKUlT_SE_SF_SG_E_clIS8_S8_S9_S9_EESD_ST_SE_SF_SG_EUlST_E0_NS1_11comp_targetILNS1_3genE10ELNS1_11target_archE1201ELNS1_3gpuE5ELNS1_3repE0EEENS1_38merge_mergepath_config_static_selectorELNS0_4arch9wavefront6targetE1EEEvSF_
		.amdhsa_group_segment_fixed_size 0
		.amdhsa_private_segment_fixed_size 0
		.amdhsa_kernarg_size 64
		.amdhsa_user_sgpr_count 6
		.amdhsa_user_sgpr_private_segment_buffer 1
		.amdhsa_user_sgpr_dispatch_ptr 0
		.amdhsa_user_sgpr_queue_ptr 0
		.amdhsa_user_sgpr_kernarg_segment_ptr 1
		.amdhsa_user_sgpr_dispatch_id 0
		.amdhsa_user_sgpr_flat_scratch_init 0
		.amdhsa_user_sgpr_kernarg_preload_length 0
		.amdhsa_user_sgpr_kernarg_preload_offset 0
		.amdhsa_user_sgpr_private_segment_size 0
		.amdhsa_uses_dynamic_stack 0
		.amdhsa_system_sgpr_private_segment_wavefront_offset 0
		.amdhsa_system_sgpr_workgroup_id_x 1
		.amdhsa_system_sgpr_workgroup_id_y 0
		.amdhsa_system_sgpr_workgroup_id_z 0
		.amdhsa_system_sgpr_workgroup_info 0
		.amdhsa_system_vgpr_workitem_id 0
		.amdhsa_next_free_vgpr 1
		.amdhsa_next_free_sgpr 0
		.amdhsa_accum_offset 4
		.amdhsa_reserve_vcc 0
		.amdhsa_reserve_flat_scratch 0
		.amdhsa_float_round_mode_32 0
		.amdhsa_float_round_mode_16_64 0
		.amdhsa_float_denorm_mode_32 3
		.amdhsa_float_denorm_mode_16_64 3
		.amdhsa_dx10_clamp 1
		.amdhsa_ieee_mode 1
		.amdhsa_fp16_overflow 0
		.amdhsa_tg_split 0
		.amdhsa_exception_fp_ieee_invalid_op 0
		.amdhsa_exception_fp_denorm_src 0
		.amdhsa_exception_fp_ieee_div_zero 0
		.amdhsa_exception_fp_ieee_overflow 0
		.amdhsa_exception_fp_ieee_underflow 0
		.amdhsa_exception_fp_ieee_inexact 0
		.amdhsa_exception_int_div_zero 0
	.end_amdhsa_kernel
	.section	.text._ZN7rocprim17ROCPRIM_400000_NS6detail17trampoline_kernelINS0_14default_configENS1_38merge_sort_block_merge_config_selectorIjNS0_10empty_typeEEEZZNS1_27merge_sort_block_merge_implIS3_PjPS5_jNS1_19radix_merge_compareILb0ELb1EjNS0_19identity_decomposerEEEEE10hipError_tT0_T1_T2_jT3_P12ihipStream_tbPNSt15iterator_traitsISE_E10value_typeEPNSK_ISF_E10value_typeEPSG_NS1_7vsmem_tEENKUlT_SE_SF_SG_E_clIS8_S8_S9_S9_EESD_ST_SE_SF_SG_EUlST_E0_NS1_11comp_targetILNS1_3genE10ELNS1_11target_archE1201ELNS1_3gpuE5ELNS1_3repE0EEENS1_38merge_mergepath_config_static_selectorELNS0_4arch9wavefront6targetE1EEEvSF_,"axG",@progbits,_ZN7rocprim17ROCPRIM_400000_NS6detail17trampoline_kernelINS0_14default_configENS1_38merge_sort_block_merge_config_selectorIjNS0_10empty_typeEEEZZNS1_27merge_sort_block_merge_implIS3_PjPS5_jNS1_19radix_merge_compareILb0ELb1EjNS0_19identity_decomposerEEEEE10hipError_tT0_T1_T2_jT3_P12ihipStream_tbPNSt15iterator_traitsISE_E10value_typeEPNSK_ISF_E10value_typeEPSG_NS1_7vsmem_tEENKUlT_SE_SF_SG_E_clIS8_S8_S9_S9_EESD_ST_SE_SF_SG_EUlST_E0_NS1_11comp_targetILNS1_3genE10ELNS1_11target_archE1201ELNS1_3gpuE5ELNS1_3repE0EEENS1_38merge_mergepath_config_static_selectorELNS0_4arch9wavefront6targetE1EEEvSF_,comdat
.Lfunc_end727:
	.size	_ZN7rocprim17ROCPRIM_400000_NS6detail17trampoline_kernelINS0_14default_configENS1_38merge_sort_block_merge_config_selectorIjNS0_10empty_typeEEEZZNS1_27merge_sort_block_merge_implIS3_PjPS5_jNS1_19radix_merge_compareILb0ELb1EjNS0_19identity_decomposerEEEEE10hipError_tT0_T1_T2_jT3_P12ihipStream_tbPNSt15iterator_traitsISE_E10value_typeEPNSK_ISF_E10value_typeEPSG_NS1_7vsmem_tEENKUlT_SE_SF_SG_E_clIS8_S8_S9_S9_EESD_ST_SE_SF_SG_EUlST_E0_NS1_11comp_targetILNS1_3genE10ELNS1_11target_archE1201ELNS1_3gpuE5ELNS1_3repE0EEENS1_38merge_mergepath_config_static_selectorELNS0_4arch9wavefront6targetE1EEEvSF_, .Lfunc_end727-_ZN7rocprim17ROCPRIM_400000_NS6detail17trampoline_kernelINS0_14default_configENS1_38merge_sort_block_merge_config_selectorIjNS0_10empty_typeEEEZZNS1_27merge_sort_block_merge_implIS3_PjPS5_jNS1_19radix_merge_compareILb0ELb1EjNS0_19identity_decomposerEEEEE10hipError_tT0_T1_T2_jT3_P12ihipStream_tbPNSt15iterator_traitsISE_E10value_typeEPNSK_ISF_E10value_typeEPSG_NS1_7vsmem_tEENKUlT_SE_SF_SG_E_clIS8_S8_S9_S9_EESD_ST_SE_SF_SG_EUlST_E0_NS1_11comp_targetILNS1_3genE10ELNS1_11target_archE1201ELNS1_3gpuE5ELNS1_3repE0EEENS1_38merge_mergepath_config_static_selectorELNS0_4arch9wavefront6targetE1EEEvSF_
                                        ; -- End function
	.section	.AMDGPU.csdata,"",@progbits
; Kernel info:
; codeLenInByte = 0
; NumSgprs: 4
; NumVgprs: 0
; NumAgprs: 0
; TotalNumVgprs: 0
; ScratchSize: 0
; MemoryBound: 0
; FloatMode: 240
; IeeeMode: 1
; LDSByteSize: 0 bytes/workgroup (compile time only)
; SGPRBlocks: 0
; VGPRBlocks: 0
; NumSGPRsForWavesPerEU: 4
; NumVGPRsForWavesPerEU: 1
; AccumOffset: 4
; Occupancy: 8
; WaveLimiterHint : 0
; COMPUTE_PGM_RSRC2:SCRATCH_EN: 0
; COMPUTE_PGM_RSRC2:USER_SGPR: 6
; COMPUTE_PGM_RSRC2:TRAP_HANDLER: 0
; COMPUTE_PGM_RSRC2:TGID_X_EN: 1
; COMPUTE_PGM_RSRC2:TGID_Y_EN: 0
; COMPUTE_PGM_RSRC2:TGID_Z_EN: 0
; COMPUTE_PGM_RSRC2:TIDIG_COMP_CNT: 0
; COMPUTE_PGM_RSRC3_GFX90A:ACCUM_OFFSET: 0
; COMPUTE_PGM_RSRC3_GFX90A:TG_SPLIT: 0
	.section	.text._ZN7rocprim17ROCPRIM_400000_NS6detail17trampoline_kernelINS0_14default_configENS1_38merge_sort_block_merge_config_selectorIjNS0_10empty_typeEEEZZNS1_27merge_sort_block_merge_implIS3_PjPS5_jNS1_19radix_merge_compareILb0ELb1EjNS0_19identity_decomposerEEEEE10hipError_tT0_T1_T2_jT3_P12ihipStream_tbPNSt15iterator_traitsISE_E10value_typeEPNSK_ISF_E10value_typeEPSG_NS1_7vsmem_tEENKUlT_SE_SF_SG_E_clIS8_S8_S9_S9_EESD_ST_SE_SF_SG_EUlST_E0_NS1_11comp_targetILNS1_3genE5ELNS1_11target_archE942ELNS1_3gpuE9ELNS1_3repE0EEENS1_38merge_mergepath_config_static_selectorELNS0_4arch9wavefront6targetE1EEEvSF_,"axG",@progbits,_ZN7rocprim17ROCPRIM_400000_NS6detail17trampoline_kernelINS0_14default_configENS1_38merge_sort_block_merge_config_selectorIjNS0_10empty_typeEEEZZNS1_27merge_sort_block_merge_implIS3_PjPS5_jNS1_19radix_merge_compareILb0ELb1EjNS0_19identity_decomposerEEEEE10hipError_tT0_T1_T2_jT3_P12ihipStream_tbPNSt15iterator_traitsISE_E10value_typeEPNSK_ISF_E10value_typeEPSG_NS1_7vsmem_tEENKUlT_SE_SF_SG_E_clIS8_S8_S9_S9_EESD_ST_SE_SF_SG_EUlST_E0_NS1_11comp_targetILNS1_3genE5ELNS1_11target_archE942ELNS1_3gpuE9ELNS1_3repE0EEENS1_38merge_mergepath_config_static_selectorELNS0_4arch9wavefront6targetE1EEEvSF_,comdat
	.protected	_ZN7rocprim17ROCPRIM_400000_NS6detail17trampoline_kernelINS0_14default_configENS1_38merge_sort_block_merge_config_selectorIjNS0_10empty_typeEEEZZNS1_27merge_sort_block_merge_implIS3_PjPS5_jNS1_19radix_merge_compareILb0ELb1EjNS0_19identity_decomposerEEEEE10hipError_tT0_T1_T2_jT3_P12ihipStream_tbPNSt15iterator_traitsISE_E10value_typeEPNSK_ISF_E10value_typeEPSG_NS1_7vsmem_tEENKUlT_SE_SF_SG_E_clIS8_S8_S9_S9_EESD_ST_SE_SF_SG_EUlST_E0_NS1_11comp_targetILNS1_3genE5ELNS1_11target_archE942ELNS1_3gpuE9ELNS1_3repE0EEENS1_38merge_mergepath_config_static_selectorELNS0_4arch9wavefront6targetE1EEEvSF_ ; -- Begin function _ZN7rocprim17ROCPRIM_400000_NS6detail17trampoline_kernelINS0_14default_configENS1_38merge_sort_block_merge_config_selectorIjNS0_10empty_typeEEEZZNS1_27merge_sort_block_merge_implIS3_PjPS5_jNS1_19radix_merge_compareILb0ELb1EjNS0_19identity_decomposerEEEEE10hipError_tT0_T1_T2_jT3_P12ihipStream_tbPNSt15iterator_traitsISE_E10value_typeEPNSK_ISF_E10value_typeEPSG_NS1_7vsmem_tEENKUlT_SE_SF_SG_E_clIS8_S8_S9_S9_EESD_ST_SE_SF_SG_EUlST_E0_NS1_11comp_targetILNS1_3genE5ELNS1_11target_archE942ELNS1_3gpuE9ELNS1_3repE0EEENS1_38merge_mergepath_config_static_selectorELNS0_4arch9wavefront6targetE1EEEvSF_
	.globl	_ZN7rocprim17ROCPRIM_400000_NS6detail17trampoline_kernelINS0_14default_configENS1_38merge_sort_block_merge_config_selectorIjNS0_10empty_typeEEEZZNS1_27merge_sort_block_merge_implIS3_PjPS5_jNS1_19radix_merge_compareILb0ELb1EjNS0_19identity_decomposerEEEEE10hipError_tT0_T1_T2_jT3_P12ihipStream_tbPNSt15iterator_traitsISE_E10value_typeEPNSK_ISF_E10value_typeEPSG_NS1_7vsmem_tEENKUlT_SE_SF_SG_E_clIS8_S8_S9_S9_EESD_ST_SE_SF_SG_EUlST_E0_NS1_11comp_targetILNS1_3genE5ELNS1_11target_archE942ELNS1_3gpuE9ELNS1_3repE0EEENS1_38merge_mergepath_config_static_selectorELNS0_4arch9wavefront6targetE1EEEvSF_
	.p2align	8
	.type	_ZN7rocprim17ROCPRIM_400000_NS6detail17trampoline_kernelINS0_14default_configENS1_38merge_sort_block_merge_config_selectorIjNS0_10empty_typeEEEZZNS1_27merge_sort_block_merge_implIS3_PjPS5_jNS1_19radix_merge_compareILb0ELb1EjNS0_19identity_decomposerEEEEE10hipError_tT0_T1_T2_jT3_P12ihipStream_tbPNSt15iterator_traitsISE_E10value_typeEPNSK_ISF_E10value_typeEPSG_NS1_7vsmem_tEENKUlT_SE_SF_SG_E_clIS8_S8_S9_S9_EESD_ST_SE_SF_SG_EUlST_E0_NS1_11comp_targetILNS1_3genE5ELNS1_11target_archE942ELNS1_3gpuE9ELNS1_3repE0EEENS1_38merge_mergepath_config_static_selectorELNS0_4arch9wavefront6targetE1EEEvSF_,@function
_ZN7rocprim17ROCPRIM_400000_NS6detail17trampoline_kernelINS0_14default_configENS1_38merge_sort_block_merge_config_selectorIjNS0_10empty_typeEEEZZNS1_27merge_sort_block_merge_implIS3_PjPS5_jNS1_19radix_merge_compareILb0ELb1EjNS0_19identity_decomposerEEEEE10hipError_tT0_T1_T2_jT3_P12ihipStream_tbPNSt15iterator_traitsISE_E10value_typeEPNSK_ISF_E10value_typeEPSG_NS1_7vsmem_tEENKUlT_SE_SF_SG_E_clIS8_S8_S9_S9_EESD_ST_SE_SF_SG_EUlST_E0_NS1_11comp_targetILNS1_3genE5ELNS1_11target_archE942ELNS1_3gpuE9ELNS1_3repE0EEENS1_38merge_mergepath_config_static_selectorELNS0_4arch9wavefront6targetE1EEEvSF_: ; @_ZN7rocprim17ROCPRIM_400000_NS6detail17trampoline_kernelINS0_14default_configENS1_38merge_sort_block_merge_config_selectorIjNS0_10empty_typeEEEZZNS1_27merge_sort_block_merge_implIS3_PjPS5_jNS1_19radix_merge_compareILb0ELb1EjNS0_19identity_decomposerEEEEE10hipError_tT0_T1_T2_jT3_P12ihipStream_tbPNSt15iterator_traitsISE_E10value_typeEPNSK_ISF_E10value_typeEPSG_NS1_7vsmem_tEENKUlT_SE_SF_SG_E_clIS8_S8_S9_S9_EESD_ST_SE_SF_SG_EUlST_E0_NS1_11comp_targetILNS1_3genE5ELNS1_11target_archE942ELNS1_3gpuE9ELNS1_3repE0EEENS1_38merge_mergepath_config_static_selectorELNS0_4arch9wavefront6targetE1EEEvSF_
; %bb.0:
	.section	.rodata,"a",@progbits
	.p2align	6, 0x0
	.amdhsa_kernel _ZN7rocprim17ROCPRIM_400000_NS6detail17trampoline_kernelINS0_14default_configENS1_38merge_sort_block_merge_config_selectorIjNS0_10empty_typeEEEZZNS1_27merge_sort_block_merge_implIS3_PjPS5_jNS1_19radix_merge_compareILb0ELb1EjNS0_19identity_decomposerEEEEE10hipError_tT0_T1_T2_jT3_P12ihipStream_tbPNSt15iterator_traitsISE_E10value_typeEPNSK_ISF_E10value_typeEPSG_NS1_7vsmem_tEENKUlT_SE_SF_SG_E_clIS8_S8_S9_S9_EESD_ST_SE_SF_SG_EUlST_E0_NS1_11comp_targetILNS1_3genE5ELNS1_11target_archE942ELNS1_3gpuE9ELNS1_3repE0EEENS1_38merge_mergepath_config_static_selectorELNS0_4arch9wavefront6targetE1EEEvSF_
		.amdhsa_group_segment_fixed_size 0
		.amdhsa_private_segment_fixed_size 0
		.amdhsa_kernarg_size 64
		.amdhsa_user_sgpr_count 6
		.amdhsa_user_sgpr_private_segment_buffer 1
		.amdhsa_user_sgpr_dispatch_ptr 0
		.amdhsa_user_sgpr_queue_ptr 0
		.amdhsa_user_sgpr_kernarg_segment_ptr 1
		.amdhsa_user_sgpr_dispatch_id 0
		.amdhsa_user_sgpr_flat_scratch_init 0
		.amdhsa_user_sgpr_kernarg_preload_length 0
		.amdhsa_user_sgpr_kernarg_preload_offset 0
		.amdhsa_user_sgpr_private_segment_size 0
		.amdhsa_uses_dynamic_stack 0
		.amdhsa_system_sgpr_private_segment_wavefront_offset 0
		.amdhsa_system_sgpr_workgroup_id_x 1
		.amdhsa_system_sgpr_workgroup_id_y 0
		.amdhsa_system_sgpr_workgroup_id_z 0
		.amdhsa_system_sgpr_workgroup_info 0
		.amdhsa_system_vgpr_workitem_id 0
		.amdhsa_next_free_vgpr 1
		.amdhsa_next_free_sgpr 0
		.amdhsa_accum_offset 4
		.amdhsa_reserve_vcc 0
		.amdhsa_reserve_flat_scratch 0
		.amdhsa_float_round_mode_32 0
		.amdhsa_float_round_mode_16_64 0
		.amdhsa_float_denorm_mode_32 3
		.amdhsa_float_denorm_mode_16_64 3
		.amdhsa_dx10_clamp 1
		.amdhsa_ieee_mode 1
		.amdhsa_fp16_overflow 0
		.amdhsa_tg_split 0
		.amdhsa_exception_fp_ieee_invalid_op 0
		.amdhsa_exception_fp_denorm_src 0
		.amdhsa_exception_fp_ieee_div_zero 0
		.amdhsa_exception_fp_ieee_overflow 0
		.amdhsa_exception_fp_ieee_underflow 0
		.amdhsa_exception_fp_ieee_inexact 0
		.amdhsa_exception_int_div_zero 0
	.end_amdhsa_kernel
	.section	.text._ZN7rocprim17ROCPRIM_400000_NS6detail17trampoline_kernelINS0_14default_configENS1_38merge_sort_block_merge_config_selectorIjNS0_10empty_typeEEEZZNS1_27merge_sort_block_merge_implIS3_PjPS5_jNS1_19radix_merge_compareILb0ELb1EjNS0_19identity_decomposerEEEEE10hipError_tT0_T1_T2_jT3_P12ihipStream_tbPNSt15iterator_traitsISE_E10value_typeEPNSK_ISF_E10value_typeEPSG_NS1_7vsmem_tEENKUlT_SE_SF_SG_E_clIS8_S8_S9_S9_EESD_ST_SE_SF_SG_EUlST_E0_NS1_11comp_targetILNS1_3genE5ELNS1_11target_archE942ELNS1_3gpuE9ELNS1_3repE0EEENS1_38merge_mergepath_config_static_selectorELNS0_4arch9wavefront6targetE1EEEvSF_,"axG",@progbits,_ZN7rocprim17ROCPRIM_400000_NS6detail17trampoline_kernelINS0_14default_configENS1_38merge_sort_block_merge_config_selectorIjNS0_10empty_typeEEEZZNS1_27merge_sort_block_merge_implIS3_PjPS5_jNS1_19radix_merge_compareILb0ELb1EjNS0_19identity_decomposerEEEEE10hipError_tT0_T1_T2_jT3_P12ihipStream_tbPNSt15iterator_traitsISE_E10value_typeEPNSK_ISF_E10value_typeEPSG_NS1_7vsmem_tEENKUlT_SE_SF_SG_E_clIS8_S8_S9_S9_EESD_ST_SE_SF_SG_EUlST_E0_NS1_11comp_targetILNS1_3genE5ELNS1_11target_archE942ELNS1_3gpuE9ELNS1_3repE0EEENS1_38merge_mergepath_config_static_selectorELNS0_4arch9wavefront6targetE1EEEvSF_,comdat
.Lfunc_end728:
	.size	_ZN7rocprim17ROCPRIM_400000_NS6detail17trampoline_kernelINS0_14default_configENS1_38merge_sort_block_merge_config_selectorIjNS0_10empty_typeEEEZZNS1_27merge_sort_block_merge_implIS3_PjPS5_jNS1_19radix_merge_compareILb0ELb1EjNS0_19identity_decomposerEEEEE10hipError_tT0_T1_T2_jT3_P12ihipStream_tbPNSt15iterator_traitsISE_E10value_typeEPNSK_ISF_E10value_typeEPSG_NS1_7vsmem_tEENKUlT_SE_SF_SG_E_clIS8_S8_S9_S9_EESD_ST_SE_SF_SG_EUlST_E0_NS1_11comp_targetILNS1_3genE5ELNS1_11target_archE942ELNS1_3gpuE9ELNS1_3repE0EEENS1_38merge_mergepath_config_static_selectorELNS0_4arch9wavefront6targetE1EEEvSF_, .Lfunc_end728-_ZN7rocprim17ROCPRIM_400000_NS6detail17trampoline_kernelINS0_14default_configENS1_38merge_sort_block_merge_config_selectorIjNS0_10empty_typeEEEZZNS1_27merge_sort_block_merge_implIS3_PjPS5_jNS1_19radix_merge_compareILb0ELb1EjNS0_19identity_decomposerEEEEE10hipError_tT0_T1_T2_jT3_P12ihipStream_tbPNSt15iterator_traitsISE_E10value_typeEPNSK_ISF_E10value_typeEPSG_NS1_7vsmem_tEENKUlT_SE_SF_SG_E_clIS8_S8_S9_S9_EESD_ST_SE_SF_SG_EUlST_E0_NS1_11comp_targetILNS1_3genE5ELNS1_11target_archE942ELNS1_3gpuE9ELNS1_3repE0EEENS1_38merge_mergepath_config_static_selectorELNS0_4arch9wavefront6targetE1EEEvSF_
                                        ; -- End function
	.section	.AMDGPU.csdata,"",@progbits
; Kernel info:
; codeLenInByte = 0
; NumSgprs: 4
; NumVgprs: 0
; NumAgprs: 0
; TotalNumVgprs: 0
; ScratchSize: 0
; MemoryBound: 0
; FloatMode: 240
; IeeeMode: 1
; LDSByteSize: 0 bytes/workgroup (compile time only)
; SGPRBlocks: 0
; VGPRBlocks: 0
; NumSGPRsForWavesPerEU: 4
; NumVGPRsForWavesPerEU: 1
; AccumOffset: 4
; Occupancy: 8
; WaveLimiterHint : 0
; COMPUTE_PGM_RSRC2:SCRATCH_EN: 0
; COMPUTE_PGM_RSRC2:USER_SGPR: 6
; COMPUTE_PGM_RSRC2:TRAP_HANDLER: 0
; COMPUTE_PGM_RSRC2:TGID_X_EN: 1
; COMPUTE_PGM_RSRC2:TGID_Y_EN: 0
; COMPUTE_PGM_RSRC2:TGID_Z_EN: 0
; COMPUTE_PGM_RSRC2:TIDIG_COMP_CNT: 0
; COMPUTE_PGM_RSRC3_GFX90A:ACCUM_OFFSET: 0
; COMPUTE_PGM_RSRC3_GFX90A:TG_SPLIT: 0
	.section	.text._ZN7rocprim17ROCPRIM_400000_NS6detail17trampoline_kernelINS0_14default_configENS1_38merge_sort_block_merge_config_selectorIjNS0_10empty_typeEEEZZNS1_27merge_sort_block_merge_implIS3_PjPS5_jNS1_19radix_merge_compareILb0ELb1EjNS0_19identity_decomposerEEEEE10hipError_tT0_T1_T2_jT3_P12ihipStream_tbPNSt15iterator_traitsISE_E10value_typeEPNSK_ISF_E10value_typeEPSG_NS1_7vsmem_tEENKUlT_SE_SF_SG_E_clIS8_S8_S9_S9_EESD_ST_SE_SF_SG_EUlST_E0_NS1_11comp_targetILNS1_3genE4ELNS1_11target_archE910ELNS1_3gpuE8ELNS1_3repE0EEENS1_38merge_mergepath_config_static_selectorELNS0_4arch9wavefront6targetE1EEEvSF_,"axG",@progbits,_ZN7rocprim17ROCPRIM_400000_NS6detail17trampoline_kernelINS0_14default_configENS1_38merge_sort_block_merge_config_selectorIjNS0_10empty_typeEEEZZNS1_27merge_sort_block_merge_implIS3_PjPS5_jNS1_19radix_merge_compareILb0ELb1EjNS0_19identity_decomposerEEEEE10hipError_tT0_T1_T2_jT3_P12ihipStream_tbPNSt15iterator_traitsISE_E10value_typeEPNSK_ISF_E10value_typeEPSG_NS1_7vsmem_tEENKUlT_SE_SF_SG_E_clIS8_S8_S9_S9_EESD_ST_SE_SF_SG_EUlST_E0_NS1_11comp_targetILNS1_3genE4ELNS1_11target_archE910ELNS1_3gpuE8ELNS1_3repE0EEENS1_38merge_mergepath_config_static_selectorELNS0_4arch9wavefront6targetE1EEEvSF_,comdat
	.protected	_ZN7rocprim17ROCPRIM_400000_NS6detail17trampoline_kernelINS0_14default_configENS1_38merge_sort_block_merge_config_selectorIjNS0_10empty_typeEEEZZNS1_27merge_sort_block_merge_implIS3_PjPS5_jNS1_19radix_merge_compareILb0ELb1EjNS0_19identity_decomposerEEEEE10hipError_tT0_T1_T2_jT3_P12ihipStream_tbPNSt15iterator_traitsISE_E10value_typeEPNSK_ISF_E10value_typeEPSG_NS1_7vsmem_tEENKUlT_SE_SF_SG_E_clIS8_S8_S9_S9_EESD_ST_SE_SF_SG_EUlST_E0_NS1_11comp_targetILNS1_3genE4ELNS1_11target_archE910ELNS1_3gpuE8ELNS1_3repE0EEENS1_38merge_mergepath_config_static_selectorELNS0_4arch9wavefront6targetE1EEEvSF_ ; -- Begin function _ZN7rocprim17ROCPRIM_400000_NS6detail17trampoline_kernelINS0_14default_configENS1_38merge_sort_block_merge_config_selectorIjNS0_10empty_typeEEEZZNS1_27merge_sort_block_merge_implIS3_PjPS5_jNS1_19radix_merge_compareILb0ELb1EjNS0_19identity_decomposerEEEEE10hipError_tT0_T1_T2_jT3_P12ihipStream_tbPNSt15iterator_traitsISE_E10value_typeEPNSK_ISF_E10value_typeEPSG_NS1_7vsmem_tEENKUlT_SE_SF_SG_E_clIS8_S8_S9_S9_EESD_ST_SE_SF_SG_EUlST_E0_NS1_11comp_targetILNS1_3genE4ELNS1_11target_archE910ELNS1_3gpuE8ELNS1_3repE0EEENS1_38merge_mergepath_config_static_selectorELNS0_4arch9wavefront6targetE1EEEvSF_
	.globl	_ZN7rocprim17ROCPRIM_400000_NS6detail17trampoline_kernelINS0_14default_configENS1_38merge_sort_block_merge_config_selectorIjNS0_10empty_typeEEEZZNS1_27merge_sort_block_merge_implIS3_PjPS5_jNS1_19radix_merge_compareILb0ELb1EjNS0_19identity_decomposerEEEEE10hipError_tT0_T1_T2_jT3_P12ihipStream_tbPNSt15iterator_traitsISE_E10value_typeEPNSK_ISF_E10value_typeEPSG_NS1_7vsmem_tEENKUlT_SE_SF_SG_E_clIS8_S8_S9_S9_EESD_ST_SE_SF_SG_EUlST_E0_NS1_11comp_targetILNS1_3genE4ELNS1_11target_archE910ELNS1_3gpuE8ELNS1_3repE0EEENS1_38merge_mergepath_config_static_selectorELNS0_4arch9wavefront6targetE1EEEvSF_
	.p2align	8
	.type	_ZN7rocprim17ROCPRIM_400000_NS6detail17trampoline_kernelINS0_14default_configENS1_38merge_sort_block_merge_config_selectorIjNS0_10empty_typeEEEZZNS1_27merge_sort_block_merge_implIS3_PjPS5_jNS1_19radix_merge_compareILb0ELb1EjNS0_19identity_decomposerEEEEE10hipError_tT0_T1_T2_jT3_P12ihipStream_tbPNSt15iterator_traitsISE_E10value_typeEPNSK_ISF_E10value_typeEPSG_NS1_7vsmem_tEENKUlT_SE_SF_SG_E_clIS8_S8_S9_S9_EESD_ST_SE_SF_SG_EUlST_E0_NS1_11comp_targetILNS1_3genE4ELNS1_11target_archE910ELNS1_3gpuE8ELNS1_3repE0EEENS1_38merge_mergepath_config_static_selectorELNS0_4arch9wavefront6targetE1EEEvSF_,@function
_ZN7rocprim17ROCPRIM_400000_NS6detail17trampoline_kernelINS0_14default_configENS1_38merge_sort_block_merge_config_selectorIjNS0_10empty_typeEEEZZNS1_27merge_sort_block_merge_implIS3_PjPS5_jNS1_19radix_merge_compareILb0ELb1EjNS0_19identity_decomposerEEEEE10hipError_tT0_T1_T2_jT3_P12ihipStream_tbPNSt15iterator_traitsISE_E10value_typeEPNSK_ISF_E10value_typeEPSG_NS1_7vsmem_tEENKUlT_SE_SF_SG_E_clIS8_S8_S9_S9_EESD_ST_SE_SF_SG_EUlST_E0_NS1_11comp_targetILNS1_3genE4ELNS1_11target_archE910ELNS1_3gpuE8ELNS1_3repE0EEENS1_38merge_mergepath_config_static_selectorELNS0_4arch9wavefront6targetE1EEEvSF_: ; @_ZN7rocprim17ROCPRIM_400000_NS6detail17trampoline_kernelINS0_14default_configENS1_38merge_sort_block_merge_config_selectorIjNS0_10empty_typeEEEZZNS1_27merge_sort_block_merge_implIS3_PjPS5_jNS1_19radix_merge_compareILb0ELb1EjNS0_19identity_decomposerEEEEE10hipError_tT0_T1_T2_jT3_P12ihipStream_tbPNSt15iterator_traitsISE_E10value_typeEPNSK_ISF_E10value_typeEPSG_NS1_7vsmem_tEENKUlT_SE_SF_SG_E_clIS8_S8_S9_S9_EESD_ST_SE_SF_SG_EUlST_E0_NS1_11comp_targetILNS1_3genE4ELNS1_11target_archE910ELNS1_3gpuE8ELNS1_3repE0EEENS1_38merge_mergepath_config_static_selectorELNS0_4arch9wavefront6targetE1EEEvSF_
; %bb.0:
	s_load_dwordx2 s[10:11], s[4:5], 0x40
	s_load_dwordx2 s[16:17], s[4:5], 0x30
	s_add_u32 s0, s4, 64
	s_addc_u32 s1, s5, 0
	s_waitcnt lgkmcnt(0)
	s_mul_i32 s2, s11, s8
	s_add_i32 s2, s2, s7
	s_mul_i32 s2, s2, s10
	s_add_i32 s2, s2, s6
	s_cmp_ge_u32 s2, s16
	s_cbranch_scc1 .LBB729_43
; %bb.1:
	s_load_dwordx2 s[14:15], s[4:5], 0x28
	s_load_dwordx2 s[8:9], s[4:5], 0x38
	;; [unrolled: 1-line block ×3, first 2 shown]
	s_mov_b32 s3, 0
	s_mov_b32 s23, s3
	s_waitcnt lgkmcnt(0)
	s_lshr_b32 s24, s14, 10
	s_cmp_lg_u32 s2, s24
	s_cselect_b64 s[18:19], -1, 0
	s_lshl_b64 s[12:13], s[2:3], 2
	s_add_u32 s8, s8, s12
	s_addc_u32 s9, s9, s13
	s_lshr_b32 s7, s15, 9
	s_and_b32 s7, s7, 0x7ffffe
	s_load_dwordx2 s[8:9], s[8:9], 0x0
	s_sub_i32 s7, 0, s7
	s_and_b32 s11, s2, s7
	s_lshl_b32 s12, s11, 10
	s_lshl_b32 s16, s2, 10
	s_lshl_b32 s11, s11, 11
	s_sub_i32 s13, s16, s12
	s_add_i32 s11, s11, s15
	s_add_i32 s13, s11, s13
	s_waitcnt lgkmcnt(0)
	s_sub_i32 s22, s13, s8
	s_sub_i32 s13, s13, s9
	;; [unrolled: 1-line block ×3, first 2 shown]
	s_min_u32 s22, s14, s22
	s_addk_i32 s13, 0x400
	s_or_b32 s7, s2, s7
	s_min_u32 s12, s14, s11
	s_add_i32 s11, s11, s15
	s_cmp_eq_u32 s7, -1
	s_cselect_b32 s7, s11, s13
	s_cselect_b32 s9, s12, s9
	s_min_u32 s7, s7, s14
	s_sub_i32 s15, s9, s8
	s_mov_b32 s9, s3
	s_sub_i32 s7, s7, s22
	s_lshl_b64 s[8:9], s[8:9], 2
	s_add_u32 s11, s20, s8
	s_addc_u32 s12, s21, s9
	s_lshl_b64 s[8:9], s[22:23], 2
	s_add_u32 s8, s20, s8
	s_addc_u32 s9, s21, s9
	s_cmp_lt_u32 s6, s10
	v_mov_b32_e32 v15, 0
	s_cselect_b32 s3, 12, 18
	global_load_dword v1, v15, s[0:1] offset:14
	s_add_u32 s0, s0, s3
	s_addc_u32 s1, s1, 0
	global_load_ushort v2, v15, s[0:1]
	s_cmp_eq_u32 s2, s24
	s_waitcnt vmcnt(1)
	v_lshrrev_b32_e32 v3, 16, v1
	v_and_b32_e32 v1, 0xffff, v1
	v_mul_lo_u32 v1, v1, v3
	s_waitcnt vmcnt(0)
	v_mul_lo_u32 v16, v1, v2
	v_add_u32_e32 v12, v16, v0
	v_lshlrev_b32_e32 v1, 2, v0
	v_add_u32_e32 v10, v12, v16
	s_cbranch_scc1 .LBB729_3
; %bb.2:
	v_mov_b32_e32 v2, s12
	v_add_co_u32_e32 v4, vcc, s11, v1
	v_subrev_u32_e32 v14, s15, v0
	v_addc_co_u32_e32 v5, vcc, 0, v2, vcc
	v_lshlrev_b64 v[2:3], 2, v[14:15]
	v_mov_b32_e32 v6, s9
	v_add_co_u32_e32 v2, vcc, s8, v2
	v_addc_co_u32_e32 v3, vcc, v6, v3, vcc
	v_cmp_gt_u32_e32 vcc, s15, v0
	v_mov_b32_e32 v13, v15
	v_cndmask_b32_e32 v3, v3, v5, vcc
	v_cndmask_b32_e32 v2, v2, v4, vcc
	v_lshlrev_b64 v[4:5], 2, v[12:13]
	global_load_dword v2, v[2:3], off
	v_mov_b32_e32 v3, s12
	v_add_co_u32_e32 v6, vcc, s11, v4
	v_subrev_u32_e32 v14, s15, v12
	v_addc_co_u32_e32 v3, vcc, v3, v5, vcc
	v_lshlrev_b64 v[4:5], 2, v[14:15]
	v_mov_b32_e32 v7, s9
	v_add_co_u32_e32 v4, vcc, s8, v4
	v_addc_co_u32_e32 v5, vcc, v7, v5, vcc
	v_cmp_gt_u32_e32 vcc, s15, v12
	v_cndmask_b32_e32 v5, v5, v3, vcc
	v_cndmask_b32_e32 v4, v4, v6, vcc
	v_mov_b32_e32 v11, v15
	global_load_dword v3, v[4:5], off
	v_lshlrev_b64 v[4:5], 2, v[10:11]
	v_mov_b32_e32 v6, s12
	v_add_co_u32_e32 v7, vcc, s11, v4
	v_subrev_u32_e32 v14, s15, v10
	v_addc_co_u32_e32 v6, vcc, v6, v5, vcc
	v_lshlrev_b64 v[4:5], 2, v[14:15]
	v_mov_b32_e32 v8, s9
	v_add_co_u32_e32 v4, vcc, s8, v4
	v_addc_co_u32_e32 v5, vcc, v8, v5, vcc
	v_cmp_gt_u32_e32 vcc, s15, v10
	v_add_u32_e32 v14, v10, v16
	v_cndmask_b32_e32 v5, v5, v6, vcc
	v_cndmask_b32_e32 v4, v4, v7, vcc
	v_lshlrev_b64 v[6:7], 2, v[14:15]
	global_load_dword v4, v[4:5], off
	v_mov_b32_e32 v5, s12
	v_add_co_u32_e32 v8, vcc, s11, v6
	v_addc_co_u32_e32 v5, vcc, v5, v7, vcc
	v_subrev_u32_e32 v6, s15, v14
	v_mov_b32_e32 v7, v15
	v_lshlrev_b64 v[6:7], 2, v[6:7]
	v_mov_b32_e32 v9, s9
	v_add_co_u32_e32 v6, vcc, s8, v6
	v_addc_co_u32_e32 v7, vcc, v9, v7, vcc
	v_cmp_gt_u32_e32 vcc, s15, v14
	v_cndmask_b32_e32 v7, v7, v5, vcc
	v_cndmask_b32_e32 v6, v6, v8, vcc
	v_add_u32_e32 v14, v14, v16
	global_load_dword v5, v[6:7], off
	v_lshlrev_b64 v[6:7], 2, v[14:15]
	v_mov_b32_e32 v8, s12
	v_add_co_u32_e32 v9, vcc, s11, v6
	v_addc_co_u32_e32 v8, vcc, v8, v7, vcc
	v_subrev_u32_e32 v6, s15, v14
	v_mov_b32_e32 v7, v15
	v_lshlrev_b64 v[6:7], 2, v[6:7]
	v_mov_b32_e32 v11, s9
	v_add_co_u32_e32 v6, vcc, s8, v6
	v_addc_co_u32_e32 v7, vcc, v11, v7, vcc
	v_cmp_gt_u32_e32 vcc, s15, v14
	v_add_u32_e32 v14, v14, v16
	v_cndmask_b32_e32 v7, v7, v8, vcc
	v_cndmask_b32_e32 v6, v6, v9, vcc
	v_lshlrev_b64 v[8:9], 2, v[14:15]
	global_load_dword v6, v[6:7], off
	v_mov_b32_e32 v7, s12
	v_add_co_u32_e32 v11, vcc, s11, v8
	v_addc_co_u32_e32 v7, vcc, v7, v9, vcc
	v_subrev_u32_e32 v8, s15, v14
	v_mov_b32_e32 v9, v15
	v_lshlrev_b64 v[8:9], 2, v[8:9]
	v_mov_b32_e32 v13, s9
	v_add_co_u32_e32 v8, vcc, s8, v8
	v_addc_co_u32_e32 v9, vcc, v13, v9, vcc
	v_cmp_gt_u32_e32 vcc, s15, v14
	v_cndmask_b32_e32 v9, v9, v7, vcc
	v_cndmask_b32_e32 v8, v8, v11, vcc
	v_add_u32_e32 v14, v14, v16
	global_load_dword v7, v[8:9], off
	v_lshlrev_b64 v[8:9], 2, v[14:15]
	v_mov_b32_e32 v11, s12
	v_add_co_u32_e32 v13, vcc, s11, v8
	v_addc_co_u32_e32 v11, vcc, v11, v9, vcc
	v_subrev_u32_e32 v8, s15, v14
	v_mov_b32_e32 v9, v15
	v_lshlrev_b64 v[8:9], 2, v[8:9]
	v_mov_b32_e32 v17, s9
	v_add_co_u32_e32 v8, vcc, s8, v8
	v_addc_co_u32_e32 v9, vcc, v17, v9, vcc
	v_cmp_gt_u32_e32 vcc, s15, v14
	v_add_u32_e32 v14, v14, v16
	v_cndmask_b32_e32 v9, v9, v11, vcc
	v_cndmask_b32_e32 v8, v8, v13, vcc
	v_lshlrev_b64 v[18:19], 2, v[14:15]
	global_load_dword v8, v[8:9], off
	v_mov_b32_e32 v9, s12
	v_add_co_u32_e32 v11, vcc, s11, v18
	v_addc_co_u32_e32 v9, vcc, v9, v19, vcc
	v_cmp_gt_u32_e32 vcc, s15, v14
	v_subrev_u32_e32 v14, s15, v14
	v_lshlrev_b64 v[14:15], 2, v[14:15]
	v_mov_b32_e32 v13, s9
	v_add_co_u32_e64 v14, s[0:1], s8, v14
	v_addc_co_u32_e64 v13, s[0:1], v13, v15, s[0:1]
	v_cndmask_b32_e32 v15, v13, v9, vcc
	v_cndmask_b32_e32 v14, v14, v11, vcc
	global_load_dword v9, v[14:15], off
	s_add_i32 s24, s7, s15
	s_load_dwordx2 s[20:21], s[4:5], 0x10
	s_cbranch_execz .LBB729_4
	s_branch .LBB729_19
.LBB729_3:
                                        ; implicit-def: $vgpr2_vgpr3_vgpr4_vgpr5_vgpr6_vgpr7_vgpr8_vgpr9
                                        ; implicit-def: $sgpr24
	s_load_dwordx2 s[20:21], s[4:5], 0x10
.LBB729_4:
	s_add_i32 s24, s7, s15
	v_cmp_gt_u32_e32 vcc, s24, v0
                                        ; implicit-def: $vgpr2_vgpr3_vgpr4_vgpr5_vgpr6_vgpr7_vgpr8_vgpr9
	s_and_saveexec_b64 s[0:1], vcc
	s_cbranch_execnz .LBB729_44
; %bb.5:
	s_or_b64 exec, exec, s[0:1]
	v_cmp_gt_u32_e32 vcc, s24, v12
	s_and_saveexec_b64 s[2:3], vcc
	s_cbranch_execnz .LBB729_45
.LBB729_6:
	s_or_b64 exec, exec, s[2:3]
	v_cmp_gt_u32_e32 vcc, s24, v10
	s_and_saveexec_b64 s[0:1], vcc
	s_cbranch_execz .LBB729_8
.LBB729_7:
	v_mov_b32_e32 v11, 0
	v_lshlrev_b64 v[12:13], 2, v[10:11]
	s_waitcnt vmcnt(5)
	v_mov_b32_e32 v4, s12
	v_add_co_u32_e32 v14, vcc, s11, v12
	v_addc_co_u32_e32 v4, vcc, v4, v13, vcc
	v_subrev_u32_e32 v12, s15, v10
	v_mov_b32_e32 v13, v11
	v_lshlrev_b64 v[12:13], 2, v[12:13]
	v_mov_b32_e32 v11, s9
	v_add_co_u32_e32 v12, vcc, s8, v12
	v_addc_co_u32_e32 v11, vcc, v11, v13, vcc
	v_cmp_gt_u32_e32 vcc, s15, v10
	v_cndmask_b32_e32 v13, v11, v4, vcc
	v_cndmask_b32_e32 v12, v12, v14, vcc
	global_load_dword v4, v[12:13], off
.LBB729_8:
	s_or_b64 exec, exec, s[0:1]
	v_add_u32_e32 v10, v10, v16
	v_cmp_gt_u32_e32 vcc, s24, v10
	s_and_saveexec_b64 s[0:1], vcc
	s_cbranch_execz .LBB729_10
; %bb.9:
	v_mov_b32_e32 v11, 0
	v_lshlrev_b64 v[12:13], 2, v[10:11]
	s_waitcnt vmcnt(4)
	v_mov_b32_e32 v5, s12
	v_add_co_u32_e32 v14, vcc, s11, v12
	v_addc_co_u32_e32 v5, vcc, v5, v13, vcc
	v_subrev_u32_e32 v12, s15, v10
	v_mov_b32_e32 v13, v11
	v_lshlrev_b64 v[12:13], 2, v[12:13]
	v_mov_b32_e32 v11, s9
	v_add_co_u32_e32 v12, vcc, s8, v12
	v_addc_co_u32_e32 v11, vcc, v11, v13, vcc
	v_cmp_gt_u32_e32 vcc, s15, v10
	v_cndmask_b32_e32 v13, v11, v5, vcc
	v_cndmask_b32_e32 v12, v12, v14, vcc
	global_load_dword v5, v[12:13], off
.LBB729_10:
	s_or_b64 exec, exec, s[0:1]
	v_add_u32_e32 v10, v10, v16
	v_cmp_gt_u32_e32 vcc, s24, v10
	s_and_saveexec_b64 s[0:1], vcc
	s_cbranch_execz .LBB729_12
; %bb.11:
	v_mov_b32_e32 v11, 0
	v_lshlrev_b64 v[12:13], 2, v[10:11]
	s_waitcnt vmcnt(3)
	v_mov_b32_e32 v6, s12
	v_add_co_u32_e32 v14, vcc, s11, v12
	v_addc_co_u32_e32 v6, vcc, v6, v13, vcc
	v_subrev_u32_e32 v12, s15, v10
	v_mov_b32_e32 v13, v11
	v_lshlrev_b64 v[12:13], 2, v[12:13]
	v_mov_b32_e32 v11, s9
	v_add_co_u32_e32 v12, vcc, s8, v12
	v_addc_co_u32_e32 v11, vcc, v11, v13, vcc
	v_cmp_gt_u32_e32 vcc, s15, v10
	v_cndmask_b32_e32 v13, v11, v6, vcc
	v_cndmask_b32_e32 v12, v12, v14, vcc
	global_load_dword v6, v[12:13], off
.LBB729_12:
	;; [unrolled: 23-line block ×4, first 2 shown]
	s_or_b64 exec, exec, s[0:1]
	v_add_u32_e32 v10, v10, v16
	v_cmp_gt_u32_e32 vcc, s24, v10
	s_and_saveexec_b64 s[2:3], vcc
	s_cbranch_execz .LBB729_18
; %bb.17:
	v_mov_b32_e32 v11, 0
	v_lshlrev_b64 v[12:13], 2, v[10:11]
	s_waitcnt vmcnt(0)
	v_mov_b32_e32 v9, s12
	v_add_co_u32_e32 v12, vcc, s11, v12
	v_addc_co_u32_e32 v9, vcc, v9, v13, vcc
	v_cmp_gt_u32_e32 vcc, s15, v10
	v_subrev_u32_e32 v10, s15, v10
	v_lshlrev_b64 v[10:11], 2, v[10:11]
	v_mov_b32_e32 v13, s9
	v_add_co_u32_e64 v10, s[0:1], s8, v10
	v_addc_co_u32_e64 v11, s[0:1], v13, v11, s[0:1]
	v_cndmask_b32_e32 v11, v11, v9, vcc
	v_cndmask_b32_e32 v10, v10, v12, vcc
	global_load_dword v9, v[10:11], off
.LBB729_18:
	s_or_b64 exec, exec, s[2:3]
.LBB729_19:
	v_lshlrev_b32_e32 v10, 3, v0
	v_min_u32_e32 v12, s24, v10
	v_sub_u32_e64 v11, v12, s7 clamp
	v_min_u32_e32 v13, s15, v12
	v_cmp_lt_u32_e32 vcc, v11, v13
	s_waitcnt vmcnt(0)
	ds_write2st64_b32 v1, v2, v3 offset1:2
	ds_write2st64_b32 v1, v4, v5 offset0:4 offset1:6
	ds_write2st64_b32 v1, v6, v7 offset0:8 offset1:10
	;; [unrolled: 1-line block ×3, first 2 shown]
	s_waitcnt lgkmcnt(0)
	s_barrier
	s_and_saveexec_b64 s[0:1], vcc
	s_cbranch_execz .LBB729_23
; %bb.20:
	v_lshlrev_b32_e32 v14, 2, v12
	v_lshl_add_u32 v14, s15, 2, v14
	s_mov_b64 s[2:3], 0
.LBB729_21:                             ; =>This Inner Loop Header: Depth=1
	v_add_u32_e32 v15, v13, v11
	v_lshrrev_b32_e32 v15, 1, v15
	v_not_b32_e32 v16, v15
	v_lshlrev_b32_e32 v17, 2, v15
	v_lshl_add_u32 v16, v16, 2, v14
	ds_read_b32 v17, v17
	ds_read_b32 v16, v16
	v_add_u32_e32 v18, 1, v15
	s_waitcnt lgkmcnt(1)
	v_and_b32_e32 v17, s17, v17
	s_waitcnt lgkmcnt(0)
	v_and_b32_e32 v16, s17, v16
	v_cmp_gt_u32_e32 vcc, v17, v16
	v_cndmask_b32_e32 v13, v13, v15, vcc
	v_cndmask_b32_e32 v11, v18, v11, vcc
	v_cmp_ge_u32_e32 vcc, v11, v13
	s_or_b64 s[2:3], vcc, s[2:3]
	s_andn2_b64 exec, exec, s[2:3]
	s_cbranch_execnz .LBB729_21
; %bb.22:
	s_or_b64 exec, exec, s[2:3]
.LBB729_23:
	s_or_b64 exec, exec, s[0:1]
	v_sub_u32_e32 v12, v12, v11
	v_add_u32_e32 v12, s15, v12
	v_cmp_ge_u32_e32 vcc, s15, v11
	v_cmp_ge_u32_e64 s[0:1], s24, v12
	s_or_b64 s[0:1], vcc, s[0:1]
	s_and_saveexec_b64 s[22:23], s[0:1]
	s_cbranch_execz .LBB729_29
; %bb.24:
	v_cmp_gt_u32_e32 vcc, s15, v11
                                        ; implicit-def: $vgpr2
	s_and_saveexec_b64 s[0:1], vcc
	s_cbranch_execz .LBB729_26
; %bb.25:
	v_lshlrev_b32_e32 v2, 2, v11
	ds_read_b32 v2, v2
.LBB729_26:
	s_or_b64 exec, exec, s[0:1]
	v_cmp_le_u32_e64 s[0:1], s24, v12
	v_cmp_gt_u32_e64 s[2:3], s24, v12
                                        ; implicit-def: $vgpr3
	s_and_saveexec_b64 s[4:5], s[2:3]
	s_cbranch_execz .LBB729_28
; %bb.27:
	v_lshlrev_b32_e32 v3, 2, v12
	ds_read_b32 v3, v3
.LBB729_28:
	s_or_b64 exec, exec, s[4:5]
	s_waitcnt lgkmcnt(0)
	v_and_b32_e32 v4, s17, v3
	v_and_b32_e32 v5, s17, v2
	v_cmp_le_u32_e64 s[2:3], v5, v4
	s_and_b64 s[2:3], vcc, s[2:3]
	s_or_b64 vcc, s[0:1], s[2:3]
	v_mov_b32_e32 v5, s24
	v_mov_b32_e32 v6, s15
	v_cndmask_b32_e32 v4, v12, v11, vcc
	v_cndmask_b32_e32 v7, v5, v6, vcc
	v_add_u32_e32 v4, 1, v4
	v_add_u32_e32 v7, -1, v7
	v_min_u32_e32 v7, v4, v7
	v_lshlrev_b32_e32 v7, 2, v7
	ds_read_b32 v7, v7
	v_cndmask_b32_e32 v9, v4, v12, vcc
	v_cndmask_b32_e32 v4, v11, v4, vcc
	v_cmp_gt_u32_e64 s[2:3], s15, v4
	v_cmp_le_u32_e64 s[0:1], s24, v9
	s_waitcnt lgkmcnt(0)
	v_cndmask_b32_e32 v8, v7, v3, vcc
	v_cndmask_b32_e32 v7, v2, v7, vcc
	v_and_b32_e32 v11, s17, v8
	v_and_b32_e32 v12, s17, v7
	v_cmp_le_u32_e64 s[4:5], v12, v11
	s_and_b64 s[2:3], s[2:3], s[4:5]
	s_or_b64 s[0:1], s[0:1], s[2:3]
	v_cndmask_b32_e64 v11, v9, v4, s[0:1]
	v_cndmask_b32_e64 v12, v5, v6, s[0:1]
	v_add_u32_e32 v11, 1, v11
	v_add_u32_e32 v12, -1, v12
	v_min_u32_e32 v12, v11, v12
	v_lshlrev_b32_e32 v12, 2, v12
	ds_read_b32 v12, v12
	v_cndmask_b32_e64 v9, v11, v9, s[0:1]
	v_cndmask_b32_e64 v4, v4, v11, s[0:1]
	v_cmp_gt_u32_e64 s[4:5], s15, v4
	v_cmp_le_u32_e64 s[2:3], s24, v9
	s_waitcnt lgkmcnt(0)
	v_cndmask_b32_e64 v13, v12, v8, s[0:1]
	v_cndmask_b32_e64 v12, v7, v12, s[0:1]
	v_and_b32_e32 v11, s17, v13
	v_and_b32_e32 v14, s17, v12
	v_cmp_le_u32_e64 s[6:7], v14, v11
	s_and_b64 s[4:5], s[4:5], s[6:7]
	s_or_b64 s[2:3], s[2:3], s[4:5]
	v_cndmask_b32_e64 v11, v9, v4, s[2:3]
	v_cndmask_b32_e64 v14, v5, v6, s[2:3]
	v_add_u32_e32 v11, 1, v11
	v_add_u32_e32 v14, -1, v14
	v_min_u32_e32 v14, v11, v14
	v_lshlrev_b32_e32 v14, 2, v14
	ds_read_b32 v14, v14
	v_cndmask_b32_e64 v9, v11, v9, s[2:3]
	v_cndmask_b32_e64 v4, v4, v11, s[2:3]
	v_cmp_gt_u32_e64 s[6:7], s15, v4
	v_cmp_le_u32_e64 s[4:5], s24, v9
	s_waitcnt lgkmcnt(0)
	v_cndmask_b32_e64 v15, v14, v13, s[2:3]
	v_cndmask_b32_e64 v14, v12, v14, s[2:3]
	;; [unrolled: 19-line block ×4, first 2 shown]
	v_and_b32_e32 v4, s17, v19
	v_and_b32_e32 v20, s17, v18
	v_cmp_le_u32_e64 s[12:13], v20, v4
	s_and_b64 s[10:11], s[10:11], s[12:13]
	s_or_b64 s[8:9], s[8:9], s[10:11]
	v_cndmask_b32_e64 v4, v9, v11, s[8:9]
	v_cndmask_b32_e64 v20, v5, v6, s[8:9]
	v_add_u32_e32 v21, 1, v4
	v_add_u32_e32 v4, -1, v20
	v_min_u32_e32 v4, v21, v4
	v_lshlrev_b32_e32 v4, 2, v4
	ds_read_b32 v20, v4
	v_cndmask_b32_e64 v4, v13, v12, s[2:3]
	v_cndmask_b32_e32 v2, v3, v2, vcc
	v_cndmask_b32_e64 v3, v8, v7, s[0:1]
	v_cndmask_b32_e64 v11, v11, v21, s[8:9]
	s_waitcnt lgkmcnt(0)
	v_cndmask_b32_e64 v12, v20, v19, s[8:9]
	v_cndmask_b32_e64 v13, v18, v20, s[8:9]
	v_and_b32_e32 v7, s17, v12
	v_and_b32_e32 v8, s17, v13
	v_cndmask_b32_e64 v9, v21, v9, s[8:9]
	v_cmp_gt_u32_e64 s[0:1], s15, v11
	v_cmp_le_u32_e64 s[2:3], v8, v7
	v_cmp_le_u32_e32 vcc, s24, v9
	s_and_b64 s[0:1], s[0:1], s[2:3]
	s_or_b64 vcc, vcc, s[0:1]
	v_cndmask_b32_e32 v7, v9, v11, vcc
	v_cndmask_b32_e32 v5, v5, v6, vcc
	v_add_u32_e32 v20, 1, v7
	v_add_u32_e32 v5, -1, v5
	v_min_u32_e32 v5, v20, v5
	v_lshlrev_b32_e32 v5, 2, v5
	ds_read_b32 v21, v5
	v_cndmask_b32_e32 v8, v12, v13, vcc
	v_cndmask_b32_e32 v9, v20, v9, vcc
	;; [unrolled: 1-line block ×3, first 2 shown]
	v_cmp_gt_u32_e64 s[0:1], s15, v11
	s_waitcnt lgkmcnt(0)
	v_cndmask_b32_e32 v12, v21, v12, vcc
	v_cndmask_b32_e32 v13, v13, v21, vcc
	v_cmp_le_u32_e32 vcc, s24, v9
	v_and_b32_e32 v9, s17, v12
	v_and_b32_e32 v11, s17, v13
	v_cmp_le_u32_e64 s[2:3], v11, v9
	s_and_b64 s[0:1], s[0:1], s[2:3]
	s_or_b64 vcc, vcc, s[0:1]
	v_cndmask_b32_e64 v5, v15, v14, s[4:5]
	v_cndmask_b32_e64 v6, v17, v16, s[6:7]
	;; [unrolled: 1-line block ×3, first 2 shown]
	v_cndmask_b32_e32 v9, v12, v13, vcc
.LBB729_29:
	s_or_b64 exec, exec, s[22:23]
	v_and_b32_e32 v11, 0x7c, v0
	v_lshl_add_u32 v10, v10, 2, v11
	s_barrier
	s_barrier
	ds_write2_b32 v10, v2, v3 offset1:1
	ds_write2_b32 v10, v4, v5 offset0:2 offset1:3
	ds_write2_b32 v10, v6, v7 offset0:4 offset1:5
	;; [unrolled: 1-line block ×3, first 2 shown]
	v_lshrrev_b32_e32 v2, 3, v0
	v_and_b32_e32 v2, 12, v2
	v_or_b32_e32 v10, 0x80, v0
	v_add_u32_e32 v11, v1, v2
	v_lshrrev_b32_e32 v2, 3, v10
	v_and_b32_e32 v2, 28, v2
	v_or_b32_e32 v9, 0x100, v0
	v_add_u32_e32 v12, v1, v2
	;; [unrolled: 4-line block ×5, first 2 shown]
	v_lshrrev_b32_e32 v2, 3, v6
	v_and_b32_e32 v2, 0x5c, v2
	v_or_b32_e32 v5, 0x300, v0
	s_mov_b32 s17, 0
	v_add_u32_e32 v16, v1, v2
	v_lshrrev_b32_e32 v2, 3, v5
	s_lshl_b64 s[0:1], s[16:17], 2
	v_and_b32_e32 v2, 0x6c, v2
	v_or_b32_e32 v4, 0x380, v0
	s_add_u32 s0, s20, s0
	v_add_u32_e32 v17, v1, v2
	v_lshrrev_b32_e32 v2, 3, v4
	s_addc_u32 s1, s21, s1
	v_and_b32_e32 v2, 0x7c, v2
	v_add_u32_e32 v18, v1, v2
	v_mov_b32_e32 v3, s1
	v_add_co_u32_e32 v2, vcc, s0, v1
	v_addc_co_u32_e32 v3, vcc, 0, v3, vcc
	s_and_b64 vcc, exec, s[18:19]
	s_waitcnt lgkmcnt(0)
	s_cbranch_vccz .LBB729_31
; %bb.30:
	s_barrier
	ds_read_b32 v19, v11
	ds_read_b32 v20, v12 offset:512
	ds_read_b32 v21, v13 offset:1024
	;; [unrolled: 1-line block ×7, first 2 shown]
	s_waitcnt lgkmcnt(7)
	global_store_dword v[2:3], v19, off
	s_waitcnt lgkmcnt(6)
	global_store_dword v[2:3], v20, off offset:512
	s_waitcnt lgkmcnt(5)
	global_store_dword v[2:3], v21, off offset:1024
	;; [unrolled: 2-line block ×6, first 2 shown]
	s_mov_b64 s[0:1], -1
	s_cbranch_execz .LBB729_32
	s_branch .LBB729_41
.LBB729_31:
	s_mov_b64 s[0:1], 0
                                        ; implicit-def: $vgpr1
.LBB729_32:
	s_barrier
	s_waitcnt lgkmcnt(0)
	ds_read_b32 v21, v12 offset:512
	ds_read_b32 v20, v13 offset:1024
	;; [unrolled: 1-line block ×7, first 2 shown]
	s_sub_i32 s2, s14, s16
	v_cmp_gt_u32_e32 vcc, s2, v0
	s_and_saveexec_b64 s[0:1], vcc
	s_cbranch_execnz .LBB729_46
; %bb.33:
	s_or_b64 exec, exec, s[0:1]
	v_cmp_gt_u32_e32 vcc, s2, v10
	s_and_saveexec_b64 s[0:1], vcc
	s_cbranch_execnz .LBB729_47
.LBB729_34:
	s_or_b64 exec, exec, s[0:1]
	v_cmp_gt_u32_e32 vcc, s2, v9
	s_and_saveexec_b64 s[0:1], vcc
	s_cbranch_execnz .LBB729_48
.LBB729_35:
	s_or_b64 exec, exec, s[0:1]
	v_cmp_gt_u32_e32 vcc, s2, v8
	s_and_saveexec_b64 s[0:1], vcc
	s_cbranch_execnz .LBB729_49
.LBB729_36:
	s_or_b64 exec, exec, s[0:1]
	v_cmp_gt_u32_e32 vcc, s2, v7
	s_and_saveexec_b64 s[0:1], vcc
	s_cbranch_execnz .LBB729_50
.LBB729_37:
	s_or_b64 exec, exec, s[0:1]
	v_cmp_gt_u32_e32 vcc, s2, v6
	s_and_saveexec_b64 s[0:1], vcc
	s_cbranch_execnz .LBB729_51
.LBB729_38:
	s_or_b64 exec, exec, s[0:1]
	v_cmp_gt_u32_e32 vcc, s2, v5
	s_and_saveexec_b64 s[0:1], vcc
	s_cbranch_execz .LBB729_40
.LBB729_39:
	s_waitcnt lgkmcnt(1)
	global_store_dword v[2:3], v12, off offset:3072
.LBB729_40:
	s_or_b64 exec, exec, s[0:1]
	v_cmp_gt_u32_e64 s[0:1], s2, v4
.LBB729_41:
	s_and_saveexec_b64 s[2:3], s[0:1]
	s_cbranch_execz .LBB729_43
; %bb.42:
	s_waitcnt lgkmcnt(0)
	global_store_dword v[2:3], v1, off offset:3584
.LBB729_43:
	s_endpgm
.LBB729_44:
	s_waitcnt vmcnt(7)
	v_mov_b32_e32 v2, s12
	s_waitcnt vmcnt(5)
	v_add_co_u32_e32 v4, vcc, s11, v1
	v_mov_b32_e32 v3, 0
	s_waitcnt vmcnt(4)
	v_addc_co_u32_e32 v5, vcc, 0, v2, vcc
	v_subrev_u32_e32 v2, s15, v0
	v_lshlrev_b64 v[2:3], 2, v[2:3]
	s_waitcnt vmcnt(3)
	v_mov_b32_e32 v6, s9
	v_add_co_u32_e32 v2, vcc, s8, v2
	v_addc_co_u32_e32 v3, vcc, v6, v3, vcc
	v_cmp_gt_u32_e32 vcc, s15, v0
	v_cndmask_b32_e32 v3, v3, v5, vcc
	v_cndmask_b32_e32 v2, v2, v4, vcc
	global_load_dword v2, v[2:3], off
	s_or_b64 exec, exec, s[0:1]
	v_cmp_gt_u32_e32 vcc, s24, v12
	s_and_saveexec_b64 s[2:3], vcc
	s_cbranch_execz .LBB729_6
.LBB729_45:
	v_mov_b32_e32 v13, 0
	v_lshlrev_b64 v[14:15], 2, v[12:13]
	s_waitcnt vmcnt(6)
	v_mov_b32_e32 v3, s12
	v_add_co_u32_e32 v11, vcc, s11, v14
	v_addc_co_u32_e32 v3, vcc, v3, v15, vcc
	v_cmp_gt_u32_e32 vcc, s15, v12
	v_subrev_u32_e32 v12, s15, v12
	v_lshlrev_b64 v[12:13], 2, v[12:13]
	v_mov_b32_e32 v14, s9
	v_add_co_u32_e64 v12, s[0:1], s8, v12
	v_addc_co_u32_e64 v13, s[0:1], v14, v13, s[0:1]
	v_cndmask_b32_e32 v13, v13, v3, vcc
	v_cndmask_b32_e32 v12, v12, v11, vcc
	global_load_dword v3, v[12:13], off
	s_or_b64 exec, exec, s[2:3]
	v_cmp_gt_u32_e32 vcc, s24, v10
	s_and_saveexec_b64 s[0:1], vcc
	s_cbranch_execnz .LBB729_7
	s_branch .LBB729_8
.LBB729_46:
	ds_read_b32 v0, v11
	s_waitcnt lgkmcnt(0)
	global_store_dword v[2:3], v0, off
	s_or_b64 exec, exec, s[0:1]
	v_cmp_gt_u32_e32 vcc, s2, v10
	s_and_saveexec_b64 s[0:1], vcc
	s_cbranch_execz .LBB729_34
.LBB729_47:
	s_waitcnt lgkmcnt(6)
	global_store_dword v[2:3], v21, off offset:512
	s_or_b64 exec, exec, s[0:1]
	v_cmp_gt_u32_e32 vcc, s2, v9
	s_and_saveexec_b64 s[0:1], vcc
	s_cbranch_execz .LBB729_35
.LBB729_48:
	s_waitcnt lgkmcnt(5)
	global_store_dword v[2:3], v20, off offset:1024
	s_or_b64 exec, exec, s[0:1]
	v_cmp_gt_u32_e32 vcc, s2, v8
	s_and_saveexec_b64 s[0:1], vcc
	s_cbranch_execz .LBB729_36
.LBB729_49:
	s_waitcnt lgkmcnt(4)
	global_store_dword v[2:3], v19, off offset:1536
	s_or_b64 exec, exec, s[0:1]
	v_cmp_gt_u32_e32 vcc, s2, v7
	s_and_saveexec_b64 s[0:1], vcc
	s_cbranch_execz .LBB729_37
.LBB729_50:
	s_waitcnt lgkmcnt(3)
	global_store_dword v[2:3], v14, off offset:2048
	s_or_b64 exec, exec, s[0:1]
	v_cmp_gt_u32_e32 vcc, s2, v6
	s_and_saveexec_b64 s[0:1], vcc
	s_cbranch_execz .LBB729_38
.LBB729_51:
	s_waitcnt lgkmcnt(2)
	global_store_dword v[2:3], v13, off offset:2560
	s_or_b64 exec, exec, s[0:1]
	v_cmp_gt_u32_e32 vcc, s2, v5
	s_and_saveexec_b64 s[0:1], vcc
	s_cbranch_execnz .LBB729_39
	s_branch .LBB729_40
	.section	.rodata,"a",@progbits
	.p2align	6, 0x0
	.amdhsa_kernel _ZN7rocprim17ROCPRIM_400000_NS6detail17trampoline_kernelINS0_14default_configENS1_38merge_sort_block_merge_config_selectorIjNS0_10empty_typeEEEZZNS1_27merge_sort_block_merge_implIS3_PjPS5_jNS1_19radix_merge_compareILb0ELb1EjNS0_19identity_decomposerEEEEE10hipError_tT0_T1_T2_jT3_P12ihipStream_tbPNSt15iterator_traitsISE_E10value_typeEPNSK_ISF_E10value_typeEPSG_NS1_7vsmem_tEENKUlT_SE_SF_SG_E_clIS8_S8_S9_S9_EESD_ST_SE_SF_SG_EUlST_E0_NS1_11comp_targetILNS1_3genE4ELNS1_11target_archE910ELNS1_3gpuE8ELNS1_3repE0EEENS1_38merge_mergepath_config_static_selectorELNS0_4arch9wavefront6targetE1EEEvSF_
		.amdhsa_group_segment_fixed_size 4224
		.amdhsa_private_segment_fixed_size 0
		.amdhsa_kernarg_size 320
		.amdhsa_user_sgpr_count 6
		.amdhsa_user_sgpr_private_segment_buffer 1
		.amdhsa_user_sgpr_dispatch_ptr 0
		.amdhsa_user_sgpr_queue_ptr 0
		.amdhsa_user_sgpr_kernarg_segment_ptr 1
		.amdhsa_user_sgpr_dispatch_id 0
		.amdhsa_user_sgpr_flat_scratch_init 0
		.amdhsa_user_sgpr_kernarg_preload_length 0
		.amdhsa_user_sgpr_kernarg_preload_offset 0
		.amdhsa_user_sgpr_private_segment_size 0
		.amdhsa_uses_dynamic_stack 0
		.amdhsa_system_sgpr_private_segment_wavefront_offset 0
		.amdhsa_system_sgpr_workgroup_id_x 1
		.amdhsa_system_sgpr_workgroup_id_y 1
		.amdhsa_system_sgpr_workgroup_id_z 1
		.amdhsa_system_sgpr_workgroup_info 0
		.amdhsa_system_vgpr_workitem_id 0
		.amdhsa_next_free_vgpr 26
		.amdhsa_next_free_sgpr 25
		.amdhsa_accum_offset 28
		.amdhsa_reserve_vcc 1
		.amdhsa_reserve_flat_scratch 0
		.amdhsa_float_round_mode_32 0
		.amdhsa_float_round_mode_16_64 0
		.amdhsa_float_denorm_mode_32 3
		.amdhsa_float_denorm_mode_16_64 3
		.amdhsa_dx10_clamp 1
		.amdhsa_ieee_mode 1
		.amdhsa_fp16_overflow 0
		.amdhsa_tg_split 0
		.amdhsa_exception_fp_ieee_invalid_op 0
		.amdhsa_exception_fp_denorm_src 0
		.amdhsa_exception_fp_ieee_div_zero 0
		.amdhsa_exception_fp_ieee_overflow 0
		.amdhsa_exception_fp_ieee_underflow 0
		.amdhsa_exception_fp_ieee_inexact 0
		.amdhsa_exception_int_div_zero 0
	.end_amdhsa_kernel
	.section	.text._ZN7rocprim17ROCPRIM_400000_NS6detail17trampoline_kernelINS0_14default_configENS1_38merge_sort_block_merge_config_selectorIjNS0_10empty_typeEEEZZNS1_27merge_sort_block_merge_implIS3_PjPS5_jNS1_19radix_merge_compareILb0ELb1EjNS0_19identity_decomposerEEEEE10hipError_tT0_T1_T2_jT3_P12ihipStream_tbPNSt15iterator_traitsISE_E10value_typeEPNSK_ISF_E10value_typeEPSG_NS1_7vsmem_tEENKUlT_SE_SF_SG_E_clIS8_S8_S9_S9_EESD_ST_SE_SF_SG_EUlST_E0_NS1_11comp_targetILNS1_3genE4ELNS1_11target_archE910ELNS1_3gpuE8ELNS1_3repE0EEENS1_38merge_mergepath_config_static_selectorELNS0_4arch9wavefront6targetE1EEEvSF_,"axG",@progbits,_ZN7rocprim17ROCPRIM_400000_NS6detail17trampoline_kernelINS0_14default_configENS1_38merge_sort_block_merge_config_selectorIjNS0_10empty_typeEEEZZNS1_27merge_sort_block_merge_implIS3_PjPS5_jNS1_19radix_merge_compareILb0ELb1EjNS0_19identity_decomposerEEEEE10hipError_tT0_T1_T2_jT3_P12ihipStream_tbPNSt15iterator_traitsISE_E10value_typeEPNSK_ISF_E10value_typeEPSG_NS1_7vsmem_tEENKUlT_SE_SF_SG_E_clIS8_S8_S9_S9_EESD_ST_SE_SF_SG_EUlST_E0_NS1_11comp_targetILNS1_3genE4ELNS1_11target_archE910ELNS1_3gpuE8ELNS1_3repE0EEENS1_38merge_mergepath_config_static_selectorELNS0_4arch9wavefront6targetE1EEEvSF_,comdat
.Lfunc_end729:
	.size	_ZN7rocprim17ROCPRIM_400000_NS6detail17trampoline_kernelINS0_14default_configENS1_38merge_sort_block_merge_config_selectorIjNS0_10empty_typeEEEZZNS1_27merge_sort_block_merge_implIS3_PjPS5_jNS1_19radix_merge_compareILb0ELb1EjNS0_19identity_decomposerEEEEE10hipError_tT0_T1_T2_jT3_P12ihipStream_tbPNSt15iterator_traitsISE_E10value_typeEPNSK_ISF_E10value_typeEPSG_NS1_7vsmem_tEENKUlT_SE_SF_SG_E_clIS8_S8_S9_S9_EESD_ST_SE_SF_SG_EUlST_E0_NS1_11comp_targetILNS1_3genE4ELNS1_11target_archE910ELNS1_3gpuE8ELNS1_3repE0EEENS1_38merge_mergepath_config_static_selectorELNS0_4arch9wavefront6targetE1EEEvSF_, .Lfunc_end729-_ZN7rocprim17ROCPRIM_400000_NS6detail17trampoline_kernelINS0_14default_configENS1_38merge_sort_block_merge_config_selectorIjNS0_10empty_typeEEEZZNS1_27merge_sort_block_merge_implIS3_PjPS5_jNS1_19radix_merge_compareILb0ELb1EjNS0_19identity_decomposerEEEEE10hipError_tT0_T1_T2_jT3_P12ihipStream_tbPNSt15iterator_traitsISE_E10value_typeEPNSK_ISF_E10value_typeEPSG_NS1_7vsmem_tEENKUlT_SE_SF_SG_E_clIS8_S8_S9_S9_EESD_ST_SE_SF_SG_EUlST_E0_NS1_11comp_targetILNS1_3genE4ELNS1_11target_archE910ELNS1_3gpuE8ELNS1_3repE0EEENS1_38merge_mergepath_config_static_selectorELNS0_4arch9wavefront6targetE1EEEvSF_
                                        ; -- End function
	.section	.AMDGPU.csdata,"",@progbits
; Kernel info:
; codeLenInByte = 3704
; NumSgprs: 29
; NumVgprs: 26
; NumAgprs: 0
; TotalNumVgprs: 26
; ScratchSize: 0
; MemoryBound: 0
; FloatMode: 240
; IeeeMode: 1
; LDSByteSize: 4224 bytes/workgroup (compile time only)
; SGPRBlocks: 3
; VGPRBlocks: 3
; NumSGPRsForWavesPerEU: 29
; NumVGPRsForWavesPerEU: 26
; AccumOffset: 28
; Occupancy: 8
; WaveLimiterHint : 1
; COMPUTE_PGM_RSRC2:SCRATCH_EN: 0
; COMPUTE_PGM_RSRC2:USER_SGPR: 6
; COMPUTE_PGM_RSRC2:TRAP_HANDLER: 0
; COMPUTE_PGM_RSRC2:TGID_X_EN: 1
; COMPUTE_PGM_RSRC2:TGID_Y_EN: 1
; COMPUTE_PGM_RSRC2:TGID_Z_EN: 1
; COMPUTE_PGM_RSRC2:TIDIG_COMP_CNT: 0
; COMPUTE_PGM_RSRC3_GFX90A:ACCUM_OFFSET: 6
; COMPUTE_PGM_RSRC3_GFX90A:TG_SPLIT: 0
	.section	.text._ZN7rocprim17ROCPRIM_400000_NS6detail17trampoline_kernelINS0_14default_configENS1_38merge_sort_block_merge_config_selectorIjNS0_10empty_typeEEEZZNS1_27merge_sort_block_merge_implIS3_PjPS5_jNS1_19radix_merge_compareILb0ELb1EjNS0_19identity_decomposerEEEEE10hipError_tT0_T1_T2_jT3_P12ihipStream_tbPNSt15iterator_traitsISE_E10value_typeEPNSK_ISF_E10value_typeEPSG_NS1_7vsmem_tEENKUlT_SE_SF_SG_E_clIS8_S8_S9_S9_EESD_ST_SE_SF_SG_EUlST_E0_NS1_11comp_targetILNS1_3genE3ELNS1_11target_archE908ELNS1_3gpuE7ELNS1_3repE0EEENS1_38merge_mergepath_config_static_selectorELNS0_4arch9wavefront6targetE1EEEvSF_,"axG",@progbits,_ZN7rocprim17ROCPRIM_400000_NS6detail17trampoline_kernelINS0_14default_configENS1_38merge_sort_block_merge_config_selectorIjNS0_10empty_typeEEEZZNS1_27merge_sort_block_merge_implIS3_PjPS5_jNS1_19radix_merge_compareILb0ELb1EjNS0_19identity_decomposerEEEEE10hipError_tT0_T1_T2_jT3_P12ihipStream_tbPNSt15iterator_traitsISE_E10value_typeEPNSK_ISF_E10value_typeEPSG_NS1_7vsmem_tEENKUlT_SE_SF_SG_E_clIS8_S8_S9_S9_EESD_ST_SE_SF_SG_EUlST_E0_NS1_11comp_targetILNS1_3genE3ELNS1_11target_archE908ELNS1_3gpuE7ELNS1_3repE0EEENS1_38merge_mergepath_config_static_selectorELNS0_4arch9wavefront6targetE1EEEvSF_,comdat
	.protected	_ZN7rocprim17ROCPRIM_400000_NS6detail17trampoline_kernelINS0_14default_configENS1_38merge_sort_block_merge_config_selectorIjNS0_10empty_typeEEEZZNS1_27merge_sort_block_merge_implIS3_PjPS5_jNS1_19radix_merge_compareILb0ELb1EjNS0_19identity_decomposerEEEEE10hipError_tT0_T1_T2_jT3_P12ihipStream_tbPNSt15iterator_traitsISE_E10value_typeEPNSK_ISF_E10value_typeEPSG_NS1_7vsmem_tEENKUlT_SE_SF_SG_E_clIS8_S8_S9_S9_EESD_ST_SE_SF_SG_EUlST_E0_NS1_11comp_targetILNS1_3genE3ELNS1_11target_archE908ELNS1_3gpuE7ELNS1_3repE0EEENS1_38merge_mergepath_config_static_selectorELNS0_4arch9wavefront6targetE1EEEvSF_ ; -- Begin function _ZN7rocprim17ROCPRIM_400000_NS6detail17trampoline_kernelINS0_14default_configENS1_38merge_sort_block_merge_config_selectorIjNS0_10empty_typeEEEZZNS1_27merge_sort_block_merge_implIS3_PjPS5_jNS1_19radix_merge_compareILb0ELb1EjNS0_19identity_decomposerEEEEE10hipError_tT0_T1_T2_jT3_P12ihipStream_tbPNSt15iterator_traitsISE_E10value_typeEPNSK_ISF_E10value_typeEPSG_NS1_7vsmem_tEENKUlT_SE_SF_SG_E_clIS8_S8_S9_S9_EESD_ST_SE_SF_SG_EUlST_E0_NS1_11comp_targetILNS1_3genE3ELNS1_11target_archE908ELNS1_3gpuE7ELNS1_3repE0EEENS1_38merge_mergepath_config_static_selectorELNS0_4arch9wavefront6targetE1EEEvSF_
	.globl	_ZN7rocprim17ROCPRIM_400000_NS6detail17trampoline_kernelINS0_14default_configENS1_38merge_sort_block_merge_config_selectorIjNS0_10empty_typeEEEZZNS1_27merge_sort_block_merge_implIS3_PjPS5_jNS1_19radix_merge_compareILb0ELb1EjNS0_19identity_decomposerEEEEE10hipError_tT0_T1_T2_jT3_P12ihipStream_tbPNSt15iterator_traitsISE_E10value_typeEPNSK_ISF_E10value_typeEPSG_NS1_7vsmem_tEENKUlT_SE_SF_SG_E_clIS8_S8_S9_S9_EESD_ST_SE_SF_SG_EUlST_E0_NS1_11comp_targetILNS1_3genE3ELNS1_11target_archE908ELNS1_3gpuE7ELNS1_3repE0EEENS1_38merge_mergepath_config_static_selectorELNS0_4arch9wavefront6targetE1EEEvSF_
	.p2align	8
	.type	_ZN7rocprim17ROCPRIM_400000_NS6detail17trampoline_kernelINS0_14default_configENS1_38merge_sort_block_merge_config_selectorIjNS0_10empty_typeEEEZZNS1_27merge_sort_block_merge_implIS3_PjPS5_jNS1_19radix_merge_compareILb0ELb1EjNS0_19identity_decomposerEEEEE10hipError_tT0_T1_T2_jT3_P12ihipStream_tbPNSt15iterator_traitsISE_E10value_typeEPNSK_ISF_E10value_typeEPSG_NS1_7vsmem_tEENKUlT_SE_SF_SG_E_clIS8_S8_S9_S9_EESD_ST_SE_SF_SG_EUlST_E0_NS1_11comp_targetILNS1_3genE3ELNS1_11target_archE908ELNS1_3gpuE7ELNS1_3repE0EEENS1_38merge_mergepath_config_static_selectorELNS0_4arch9wavefront6targetE1EEEvSF_,@function
_ZN7rocprim17ROCPRIM_400000_NS6detail17trampoline_kernelINS0_14default_configENS1_38merge_sort_block_merge_config_selectorIjNS0_10empty_typeEEEZZNS1_27merge_sort_block_merge_implIS3_PjPS5_jNS1_19radix_merge_compareILb0ELb1EjNS0_19identity_decomposerEEEEE10hipError_tT0_T1_T2_jT3_P12ihipStream_tbPNSt15iterator_traitsISE_E10value_typeEPNSK_ISF_E10value_typeEPSG_NS1_7vsmem_tEENKUlT_SE_SF_SG_E_clIS8_S8_S9_S9_EESD_ST_SE_SF_SG_EUlST_E0_NS1_11comp_targetILNS1_3genE3ELNS1_11target_archE908ELNS1_3gpuE7ELNS1_3repE0EEENS1_38merge_mergepath_config_static_selectorELNS0_4arch9wavefront6targetE1EEEvSF_: ; @_ZN7rocprim17ROCPRIM_400000_NS6detail17trampoline_kernelINS0_14default_configENS1_38merge_sort_block_merge_config_selectorIjNS0_10empty_typeEEEZZNS1_27merge_sort_block_merge_implIS3_PjPS5_jNS1_19radix_merge_compareILb0ELb1EjNS0_19identity_decomposerEEEEE10hipError_tT0_T1_T2_jT3_P12ihipStream_tbPNSt15iterator_traitsISE_E10value_typeEPNSK_ISF_E10value_typeEPSG_NS1_7vsmem_tEENKUlT_SE_SF_SG_E_clIS8_S8_S9_S9_EESD_ST_SE_SF_SG_EUlST_E0_NS1_11comp_targetILNS1_3genE3ELNS1_11target_archE908ELNS1_3gpuE7ELNS1_3repE0EEENS1_38merge_mergepath_config_static_selectorELNS0_4arch9wavefront6targetE1EEEvSF_
; %bb.0:
	.section	.rodata,"a",@progbits
	.p2align	6, 0x0
	.amdhsa_kernel _ZN7rocprim17ROCPRIM_400000_NS6detail17trampoline_kernelINS0_14default_configENS1_38merge_sort_block_merge_config_selectorIjNS0_10empty_typeEEEZZNS1_27merge_sort_block_merge_implIS3_PjPS5_jNS1_19radix_merge_compareILb0ELb1EjNS0_19identity_decomposerEEEEE10hipError_tT0_T1_T2_jT3_P12ihipStream_tbPNSt15iterator_traitsISE_E10value_typeEPNSK_ISF_E10value_typeEPSG_NS1_7vsmem_tEENKUlT_SE_SF_SG_E_clIS8_S8_S9_S9_EESD_ST_SE_SF_SG_EUlST_E0_NS1_11comp_targetILNS1_3genE3ELNS1_11target_archE908ELNS1_3gpuE7ELNS1_3repE0EEENS1_38merge_mergepath_config_static_selectorELNS0_4arch9wavefront6targetE1EEEvSF_
		.amdhsa_group_segment_fixed_size 0
		.amdhsa_private_segment_fixed_size 0
		.amdhsa_kernarg_size 64
		.amdhsa_user_sgpr_count 6
		.amdhsa_user_sgpr_private_segment_buffer 1
		.amdhsa_user_sgpr_dispatch_ptr 0
		.amdhsa_user_sgpr_queue_ptr 0
		.amdhsa_user_sgpr_kernarg_segment_ptr 1
		.amdhsa_user_sgpr_dispatch_id 0
		.amdhsa_user_sgpr_flat_scratch_init 0
		.amdhsa_user_sgpr_kernarg_preload_length 0
		.amdhsa_user_sgpr_kernarg_preload_offset 0
		.amdhsa_user_sgpr_private_segment_size 0
		.amdhsa_uses_dynamic_stack 0
		.amdhsa_system_sgpr_private_segment_wavefront_offset 0
		.amdhsa_system_sgpr_workgroup_id_x 1
		.amdhsa_system_sgpr_workgroup_id_y 0
		.amdhsa_system_sgpr_workgroup_id_z 0
		.amdhsa_system_sgpr_workgroup_info 0
		.amdhsa_system_vgpr_workitem_id 0
		.amdhsa_next_free_vgpr 1
		.amdhsa_next_free_sgpr 0
		.amdhsa_accum_offset 4
		.amdhsa_reserve_vcc 0
		.amdhsa_reserve_flat_scratch 0
		.amdhsa_float_round_mode_32 0
		.amdhsa_float_round_mode_16_64 0
		.amdhsa_float_denorm_mode_32 3
		.amdhsa_float_denorm_mode_16_64 3
		.amdhsa_dx10_clamp 1
		.amdhsa_ieee_mode 1
		.amdhsa_fp16_overflow 0
		.amdhsa_tg_split 0
		.amdhsa_exception_fp_ieee_invalid_op 0
		.amdhsa_exception_fp_denorm_src 0
		.amdhsa_exception_fp_ieee_div_zero 0
		.amdhsa_exception_fp_ieee_overflow 0
		.amdhsa_exception_fp_ieee_underflow 0
		.amdhsa_exception_fp_ieee_inexact 0
		.amdhsa_exception_int_div_zero 0
	.end_amdhsa_kernel
	.section	.text._ZN7rocprim17ROCPRIM_400000_NS6detail17trampoline_kernelINS0_14default_configENS1_38merge_sort_block_merge_config_selectorIjNS0_10empty_typeEEEZZNS1_27merge_sort_block_merge_implIS3_PjPS5_jNS1_19radix_merge_compareILb0ELb1EjNS0_19identity_decomposerEEEEE10hipError_tT0_T1_T2_jT3_P12ihipStream_tbPNSt15iterator_traitsISE_E10value_typeEPNSK_ISF_E10value_typeEPSG_NS1_7vsmem_tEENKUlT_SE_SF_SG_E_clIS8_S8_S9_S9_EESD_ST_SE_SF_SG_EUlST_E0_NS1_11comp_targetILNS1_3genE3ELNS1_11target_archE908ELNS1_3gpuE7ELNS1_3repE0EEENS1_38merge_mergepath_config_static_selectorELNS0_4arch9wavefront6targetE1EEEvSF_,"axG",@progbits,_ZN7rocprim17ROCPRIM_400000_NS6detail17trampoline_kernelINS0_14default_configENS1_38merge_sort_block_merge_config_selectorIjNS0_10empty_typeEEEZZNS1_27merge_sort_block_merge_implIS3_PjPS5_jNS1_19radix_merge_compareILb0ELb1EjNS0_19identity_decomposerEEEEE10hipError_tT0_T1_T2_jT3_P12ihipStream_tbPNSt15iterator_traitsISE_E10value_typeEPNSK_ISF_E10value_typeEPSG_NS1_7vsmem_tEENKUlT_SE_SF_SG_E_clIS8_S8_S9_S9_EESD_ST_SE_SF_SG_EUlST_E0_NS1_11comp_targetILNS1_3genE3ELNS1_11target_archE908ELNS1_3gpuE7ELNS1_3repE0EEENS1_38merge_mergepath_config_static_selectorELNS0_4arch9wavefront6targetE1EEEvSF_,comdat
.Lfunc_end730:
	.size	_ZN7rocprim17ROCPRIM_400000_NS6detail17trampoline_kernelINS0_14default_configENS1_38merge_sort_block_merge_config_selectorIjNS0_10empty_typeEEEZZNS1_27merge_sort_block_merge_implIS3_PjPS5_jNS1_19radix_merge_compareILb0ELb1EjNS0_19identity_decomposerEEEEE10hipError_tT0_T1_T2_jT3_P12ihipStream_tbPNSt15iterator_traitsISE_E10value_typeEPNSK_ISF_E10value_typeEPSG_NS1_7vsmem_tEENKUlT_SE_SF_SG_E_clIS8_S8_S9_S9_EESD_ST_SE_SF_SG_EUlST_E0_NS1_11comp_targetILNS1_3genE3ELNS1_11target_archE908ELNS1_3gpuE7ELNS1_3repE0EEENS1_38merge_mergepath_config_static_selectorELNS0_4arch9wavefront6targetE1EEEvSF_, .Lfunc_end730-_ZN7rocprim17ROCPRIM_400000_NS6detail17trampoline_kernelINS0_14default_configENS1_38merge_sort_block_merge_config_selectorIjNS0_10empty_typeEEEZZNS1_27merge_sort_block_merge_implIS3_PjPS5_jNS1_19radix_merge_compareILb0ELb1EjNS0_19identity_decomposerEEEEE10hipError_tT0_T1_T2_jT3_P12ihipStream_tbPNSt15iterator_traitsISE_E10value_typeEPNSK_ISF_E10value_typeEPSG_NS1_7vsmem_tEENKUlT_SE_SF_SG_E_clIS8_S8_S9_S9_EESD_ST_SE_SF_SG_EUlST_E0_NS1_11comp_targetILNS1_3genE3ELNS1_11target_archE908ELNS1_3gpuE7ELNS1_3repE0EEENS1_38merge_mergepath_config_static_selectorELNS0_4arch9wavefront6targetE1EEEvSF_
                                        ; -- End function
	.section	.AMDGPU.csdata,"",@progbits
; Kernel info:
; codeLenInByte = 0
; NumSgprs: 4
; NumVgprs: 0
; NumAgprs: 0
; TotalNumVgprs: 0
; ScratchSize: 0
; MemoryBound: 0
; FloatMode: 240
; IeeeMode: 1
; LDSByteSize: 0 bytes/workgroup (compile time only)
; SGPRBlocks: 0
; VGPRBlocks: 0
; NumSGPRsForWavesPerEU: 4
; NumVGPRsForWavesPerEU: 1
; AccumOffset: 4
; Occupancy: 8
; WaveLimiterHint : 0
; COMPUTE_PGM_RSRC2:SCRATCH_EN: 0
; COMPUTE_PGM_RSRC2:USER_SGPR: 6
; COMPUTE_PGM_RSRC2:TRAP_HANDLER: 0
; COMPUTE_PGM_RSRC2:TGID_X_EN: 1
; COMPUTE_PGM_RSRC2:TGID_Y_EN: 0
; COMPUTE_PGM_RSRC2:TGID_Z_EN: 0
; COMPUTE_PGM_RSRC2:TIDIG_COMP_CNT: 0
; COMPUTE_PGM_RSRC3_GFX90A:ACCUM_OFFSET: 0
; COMPUTE_PGM_RSRC3_GFX90A:TG_SPLIT: 0
	.section	.text._ZN7rocprim17ROCPRIM_400000_NS6detail17trampoline_kernelINS0_14default_configENS1_38merge_sort_block_merge_config_selectorIjNS0_10empty_typeEEEZZNS1_27merge_sort_block_merge_implIS3_PjPS5_jNS1_19radix_merge_compareILb0ELb1EjNS0_19identity_decomposerEEEEE10hipError_tT0_T1_T2_jT3_P12ihipStream_tbPNSt15iterator_traitsISE_E10value_typeEPNSK_ISF_E10value_typeEPSG_NS1_7vsmem_tEENKUlT_SE_SF_SG_E_clIS8_S8_S9_S9_EESD_ST_SE_SF_SG_EUlST_E0_NS1_11comp_targetILNS1_3genE2ELNS1_11target_archE906ELNS1_3gpuE6ELNS1_3repE0EEENS1_38merge_mergepath_config_static_selectorELNS0_4arch9wavefront6targetE1EEEvSF_,"axG",@progbits,_ZN7rocprim17ROCPRIM_400000_NS6detail17trampoline_kernelINS0_14default_configENS1_38merge_sort_block_merge_config_selectorIjNS0_10empty_typeEEEZZNS1_27merge_sort_block_merge_implIS3_PjPS5_jNS1_19radix_merge_compareILb0ELb1EjNS0_19identity_decomposerEEEEE10hipError_tT0_T1_T2_jT3_P12ihipStream_tbPNSt15iterator_traitsISE_E10value_typeEPNSK_ISF_E10value_typeEPSG_NS1_7vsmem_tEENKUlT_SE_SF_SG_E_clIS8_S8_S9_S9_EESD_ST_SE_SF_SG_EUlST_E0_NS1_11comp_targetILNS1_3genE2ELNS1_11target_archE906ELNS1_3gpuE6ELNS1_3repE0EEENS1_38merge_mergepath_config_static_selectorELNS0_4arch9wavefront6targetE1EEEvSF_,comdat
	.protected	_ZN7rocprim17ROCPRIM_400000_NS6detail17trampoline_kernelINS0_14default_configENS1_38merge_sort_block_merge_config_selectorIjNS0_10empty_typeEEEZZNS1_27merge_sort_block_merge_implIS3_PjPS5_jNS1_19radix_merge_compareILb0ELb1EjNS0_19identity_decomposerEEEEE10hipError_tT0_T1_T2_jT3_P12ihipStream_tbPNSt15iterator_traitsISE_E10value_typeEPNSK_ISF_E10value_typeEPSG_NS1_7vsmem_tEENKUlT_SE_SF_SG_E_clIS8_S8_S9_S9_EESD_ST_SE_SF_SG_EUlST_E0_NS1_11comp_targetILNS1_3genE2ELNS1_11target_archE906ELNS1_3gpuE6ELNS1_3repE0EEENS1_38merge_mergepath_config_static_selectorELNS0_4arch9wavefront6targetE1EEEvSF_ ; -- Begin function _ZN7rocprim17ROCPRIM_400000_NS6detail17trampoline_kernelINS0_14default_configENS1_38merge_sort_block_merge_config_selectorIjNS0_10empty_typeEEEZZNS1_27merge_sort_block_merge_implIS3_PjPS5_jNS1_19radix_merge_compareILb0ELb1EjNS0_19identity_decomposerEEEEE10hipError_tT0_T1_T2_jT3_P12ihipStream_tbPNSt15iterator_traitsISE_E10value_typeEPNSK_ISF_E10value_typeEPSG_NS1_7vsmem_tEENKUlT_SE_SF_SG_E_clIS8_S8_S9_S9_EESD_ST_SE_SF_SG_EUlST_E0_NS1_11comp_targetILNS1_3genE2ELNS1_11target_archE906ELNS1_3gpuE6ELNS1_3repE0EEENS1_38merge_mergepath_config_static_selectorELNS0_4arch9wavefront6targetE1EEEvSF_
	.globl	_ZN7rocprim17ROCPRIM_400000_NS6detail17trampoline_kernelINS0_14default_configENS1_38merge_sort_block_merge_config_selectorIjNS0_10empty_typeEEEZZNS1_27merge_sort_block_merge_implIS3_PjPS5_jNS1_19radix_merge_compareILb0ELb1EjNS0_19identity_decomposerEEEEE10hipError_tT0_T1_T2_jT3_P12ihipStream_tbPNSt15iterator_traitsISE_E10value_typeEPNSK_ISF_E10value_typeEPSG_NS1_7vsmem_tEENKUlT_SE_SF_SG_E_clIS8_S8_S9_S9_EESD_ST_SE_SF_SG_EUlST_E0_NS1_11comp_targetILNS1_3genE2ELNS1_11target_archE906ELNS1_3gpuE6ELNS1_3repE0EEENS1_38merge_mergepath_config_static_selectorELNS0_4arch9wavefront6targetE1EEEvSF_
	.p2align	8
	.type	_ZN7rocprim17ROCPRIM_400000_NS6detail17trampoline_kernelINS0_14default_configENS1_38merge_sort_block_merge_config_selectorIjNS0_10empty_typeEEEZZNS1_27merge_sort_block_merge_implIS3_PjPS5_jNS1_19radix_merge_compareILb0ELb1EjNS0_19identity_decomposerEEEEE10hipError_tT0_T1_T2_jT3_P12ihipStream_tbPNSt15iterator_traitsISE_E10value_typeEPNSK_ISF_E10value_typeEPSG_NS1_7vsmem_tEENKUlT_SE_SF_SG_E_clIS8_S8_S9_S9_EESD_ST_SE_SF_SG_EUlST_E0_NS1_11comp_targetILNS1_3genE2ELNS1_11target_archE906ELNS1_3gpuE6ELNS1_3repE0EEENS1_38merge_mergepath_config_static_selectorELNS0_4arch9wavefront6targetE1EEEvSF_,@function
_ZN7rocprim17ROCPRIM_400000_NS6detail17trampoline_kernelINS0_14default_configENS1_38merge_sort_block_merge_config_selectorIjNS0_10empty_typeEEEZZNS1_27merge_sort_block_merge_implIS3_PjPS5_jNS1_19radix_merge_compareILb0ELb1EjNS0_19identity_decomposerEEEEE10hipError_tT0_T1_T2_jT3_P12ihipStream_tbPNSt15iterator_traitsISE_E10value_typeEPNSK_ISF_E10value_typeEPSG_NS1_7vsmem_tEENKUlT_SE_SF_SG_E_clIS8_S8_S9_S9_EESD_ST_SE_SF_SG_EUlST_E0_NS1_11comp_targetILNS1_3genE2ELNS1_11target_archE906ELNS1_3gpuE6ELNS1_3repE0EEENS1_38merge_mergepath_config_static_selectorELNS0_4arch9wavefront6targetE1EEEvSF_: ; @_ZN7rocprim17ROCPRIM_400000_NS6detail17trampoline_kernelINS0_14default_configENS1_38merge_sort_block_merge_config_selectorIjNS0_10empty_typeEEEZZNS1_27merge_sort_block_merge_implIS3_PjPS5_jNS1_19radix_merge_compareILb0ELb1EjNS0_19identity_decomposerEEEEE10hipError_tT0_T1_T2_jT3_P12ihipStream_tbPNSt15iterator_traitsISE_E10value_typeEPNSK_ISF_E10value_typeEPSG_NS1_7vsmem_tEENKUlT_SE_SF_SG_E_clIS8_S8_S9_S9_EESD_ST_SE_SF_SG_EUlST_E0_NS1_11comp_targetILNS1_3genE2ELNS1_11target_archE906ELNS1_3gpuE6ELNS1_3repE0EEENS1_38merge_mergepath_config_static_selectorELNS0_4arch9wavefront6targetE1EEEvSF_
; %bb.0:
	.section	.rodata,"a",@progbits
	.p2align	6, 0x0
	.amdhsa_kernel _ZN7rocprim17ROCPRIM_400000_NS6detail17trampoline_kernelINS0_14default_configENS1_38merge_sort_block_merge_config_selectorIjNS0_10empty_typeEEEZZNS1_27merge_sort_block_merge_implIS3_PjPS5_jNS1_19radix_merge_compareILb0ELb1EjNS0_19identity_decomposerEEEEE10hipError_tT0_T1_T2_jT3_P12ihipStream_tbPNSt15iterator_traitsISE_E10value_typeEPNSK_ISF_E10value_typeEPSG_NS1_7vsmem_tEENKUlT_SE_SF_SG_E_clIS8_S8_S9_S9_EESD_ST_SE_SF_SG_EUlST_E0_NS1_11comp_targetILNS1_3genE2ELNS1_11target_archE906ELNS1_3gpuE6ELNS1_3repE0EEENS1_38merge_mergepath_config_static_selectorELNS0_4arch9wavefront6targetE1EEEvSF_
		.amdhsa_group_segment_fixed_size 0
		.amdhsa_private_segment_fixed_size 0
		.amdhsa_kernarg_size 64
		.amdhsa_user_sgpr_count 6
		.amdhsa_user_sgpr_private_segment_buffer 1
		.amdhsa_user_sgpr_dispatch_ptr 0
		.amdhsa_user_sgpr_queue_ptr 0
		.amdhsa_user_sgpr_kernarg_segment_ptr 1
		.amdhsa_user_sgpr_dispatch_id 0
		.amdhsa_user_sgpr_flat_scratch_init 0
		.amdhsa_user_sgpr_kernarg_preload_length 0
		.amdhsa_user_sgpr_kernarg_preload_offset 0
		.amdhsa_user_sgpr_private_segment_size 0
		.amdhsa_uses_dynamic_stack 0
		.amdhsa_system_sgpr_private_segment_wavefront_offset 0
		.amdhsa_system_sgpr_workgroup_id_x 1
		.amdhsa_system_sgpr_workgroup_id_y 0
		.amdhsa_system_sgpr_workgroup_id_z 0
		.amdhsa_system_sgpr_workgroup_info 0
		.amdhsa_system_vgpr_workitem_id 0
		.amdhsa_next_free_vgpr 1
		.amdhsa_next_free_sgpr 0
		.amdhsa_accum_offset 4
		.amdhsa_reserve_vcc 0
		.amdhsa_reserve_flat_scratch 0
		.amdhsa_float_round_mode_32 0
		.amdhsa_float_round_mode_16_64 0
		.amdhsa_float_denorm_mode_32 3
		.amdhsa_float_denorm_mode_16_64 3
		.amdhsa_dx10_clamp 1
		.amdhsa_ieee_mode 1
		.amdhsa_fp16_overflow 0
		.amdhsa_tg_split 0
		.amdhsa_exception_fp_ieee_invalid_op 0
		.amdhsa_exception_fp_denorm_src 0
		.amdhsa_exception_fp_ieee_div_zero 0
		.amdhsa_exception_fp_ieee_overflow 0
		.amdhsa_exception_fp_ieee_underflow 0
		.amdhsa_exception_fp_ieee_inexact 0
		.amdhsa_exception_int_div_zero 0
	.end_amdhsa_kernel
	.section	.text._ZN7rocprim17ROCPRIM_400000_NS6detail17trampoline_kernelINS0_14default_configENS1_38merge_sort_block_merge_config_selectorIjNS0_10empty_typeEEEZZNS1_27merge_sort_block_merge_implIS3_PjPS5_jNS1_19radix_merge_compareILb0ELb1EjNS0_19identity_decomposerEEEEE10hipError_tT0_T1_T2_jT3_P12ihipStream_tbPNSt15iterator_traitsISE_E10value_typeEPNSK_ISF_E10value_typeEPSG_NS1_7vsmem_tEENKUlT_SE_SF_SG_E_clIS8_S8_S9_S9_EESD_ST_SE_SF_SG_EUlST_E0_NS1_11comp_targetILNS1_3genE2ELNS1_11target_archE906ELNS1_3gpuE6ELNS1_3repE0EEENS1_38merge_mergepath_config_static_selectorELNS0_4arch9wavefront6targetE1EEEvSF_,"axG",@progbits,_ZN7rocprim17ROCPRIM_400000_NS6detail17trampoline_kernelINS0_14default_configENS1_38merge_sort_block_merge_config_selectorIjNS0_10empty_typeEEEZZNS1_27merge_sort_block_merge_implIS3_PjPS5_jNS1_19radix_merge_compareILb0ELb1EjNS0_19identity_decomposerEEEEE10hipError_tT0_T1_T2_jT3_P12ihipStream_tbPNSt15iterator_traitsISE_E10value_typeEPNSK_ISF_E10value_typeEPSG_NS1_7vsmem_tEENKUlT_SE_SF_SG_E_clIS8_S8_S9_S9_EESD_ST_SE_SF_SG_EUlST_E0_NS1_11comp_targetILNS1_3genE2ELNS1_11target_archE906ELNS1_3gpuE6ELNS1_3repE0EEENS1_38merge_mergepath_config_static_selectorELNS0_4arch9wavefront6targetE1EEEvSF_,comdat
.Lfunc_end731:
	.size	_ZN7rocprim17ROCPRIM_400000_NS6detail17trampoline_kernelINS0_14default_configENS1_38merge_sort_block_merge_config_selectorIjNS0_10empty_typeEEEZZNS1_27merge_sort_block_merge_implIS3_PjPS5_jNS1_19radix_merge_compareILb0ELb1EjNS0_19identity_decomposerEEEEE10hipError_tT0_T1_T2_jT3_P12ihipStream_tbPNSt15iterator_traitsISE_E10value_typeEPNSK_ISF_E10value_typeEPSG_NS1_7vsmem_tEENKUlT_SE_SF_SG_E_clIS8_S8_S9_S9_EESD_ST_SE_SF_SG_EUlST_E0_NS1_11comp_targetILNS1_3genE2ELNS1_11target_archE906ELNS1_3gpuE6ELNS1_3repE0EEENS1_38merge_mergepath_config_static_selectorELNS0_4arch9wavefront6targetE1EEEvSF_, .Lfunc_end731-_ZN7rocprim17ROCPRIM_400000_NS6detail17trampoline_kernelINS0_14default_configENS1_38merge_sort_block_merge_config_selectorIjNS0_10empty_typeEEEZZNS1_27merge_sort_block_merge_implIS3_PjPS5_jNS1_19radix_merge_compareILb0ELb1EjNS0_19identity_decomposerEEEEE10hipError_tT0_T1_T2_jT3_P12ihipStream_tbPNSt15iterator_traitsISE_E10value_typeEPNSK_ISF_E10value_typeEPSG_NS1_7vsmem_tEENKUlT_SE_SF_SG_E_clIS8_S8_S9_S9_EESD_ST_SE_SF_SG_EUlST_E0_NS1_11comp_targetILNS1_3genE2ELNS1_11target_archE906ELNS1_3gpuE6ELNS1_3repE0EEENS1_38merge_mergepath_config_static_selectorELNS0_4arch9wavefront6targetE1EEEvSF_
                                        ; -- End function
	.section	.AMDGPU.csdata,"",@progbits
; Kernel info:
; codeLenInByte = 0
; NumSgprs: 4
; NumVgprs: 0
; NumAgprs: 0
; TotalNumVgprs: 0
; ScratchSize: 0
; MemoryBound: 0
; FloatMode: 240
; IeeeMode: 1
; LDSByteSize: 0 bytes/workgroup (compile time only)
; SGPRBlocks: 0
; VGPRBlocks: 0
; NumSGPRsForWavesPerEU: 4
; NumVGPRsForWavesPerEU: 1
; AccumOffset: 4
; Occupancy: 8
; WaveLimiterHint : 0
; COMPUTE_PGM_RSRC2:SCRATCH_EN: 0
; COMPUTE_PGM_RSRC2:USER_SGPR: 6
; COMPUTE_PGM_RSRC2:TRAP_HANDLER: 0
; COMPUTE_PGM_RSRC2:TGID_X_EN: 1
; COMPUTE_PGM_RSRC2:TGID_Y_EN: 0
; COMPUTE_PGM_RSRC2:TGID_Z_EN: 0
; COMPUTE_PGM_RSRC2:TIDIG_COMP_CNT: 0
; COMPUTE_PGM_RSRC3_GFX90A:ACCUM_OFFSET: 0
; COMPUTE_PGM_RSRC3_GFX90A:TG_SPLIT: 0
	.section	.text._ZN7rocprim17ROCPRIM_400000_NS6detail17trampoline_kernelINS0_14default_configENS1_38merge_sort_block_merge_config_selectorIjNS0_10empty_typeEEEZZNS1_27merge_sort_block_merge_implIS3_PjPS5_jNS1_19radix_merge_compareILb0ELb1EjNS0_19identity_decomposerEEEEE10hipError_tT0_T1_T2_jT3_P12ihipStream_tbPNSt15iterator_traitsISE_E10value_typeEPNSK_ISF_E10value_typeEPSG_NS1_7vsmem_tEENKUlT_SE_SF_SG_E_clIS8_S8_S9_S9_EESD_ST_SE_SF_SG_EUlST_E0_NS1_11comp_targetILNS1_3genE9ELNS1_11target_archE1100ELNS1_3gpuE3ELNS1_3repE0EEENS1_38merge_mergepath_config_static_selectorELNS0_4arch9wavefront6targetE1EEEvSF_,"axG",@progbits,_ZN7rocprim17ROCPRIM_400000_NS6detail17trampoline_kernelINS0_14default_configENS1_38merge_sort_block_merge_config_selectorIjNS0_10empty_typeEEEZZNS1_27merge_sort_block_merge_implIS3_PjPS5_jNS1_19radix_merge_compareILb0ELb1EjNS0_19identity_decomposerEEEEE10hipError_tT0_T1_T2_jT3_P12ihipStream_tbPNSt15iterator_traitsISE_E10value_typeEPNSK_ISF_E10value_typeEPSG_NS1_7vsmem_tEENKUlT_SE_SF_SG_E_clIS8_S8_S9_S9_EESD_ST_SE_SF_SG_EUlST_E0_NS1_11comp_targetILNS1_3genE9ELNS1_11target_archE1100ELNS1_3gpuE3ELNS1_3repE0EEENS1_38merge_mergepath_config_static_selectorELNS0_4arch9wavefront6targetE1EEEvSF_,comdat
	.protected	_ZN7rocprim17ROCPRIM_400000_NS6detail17trampoline_kernelINS0_14default_configENS1_38merge_sort_block_merge_config_selectorIjNS0_10empty_typeEEEZZNS1_27merge_sort_block_merge_implIS3_PjPS5_jNS1_19radix_merge_compareILb0ELb1EjNS0_19identity_decomposerEEEEE10hipError_tT0_T1_T2_jT3_P12ihipStream_tbPNSt15iterator_traitsISE_E10value_typeEPNSK_ISF_E10value_typeEPSG_NS1_7vsmem_tEENKUlT_SE_SF_SG_E_clIS8_S8_S9_S9_EESD_ST_SE_SF_SG_EUlST_E0_NS1_11comp_targetILNS1_3genE9ELNS1_11target_archE1100ELNS1_3gpuE3ELNS1_3repE0EEENS1_38merge_mergepath_config_static_selectorELNS0_4arch9wavefront6targetE1EEEvSF_ ; -- Begin function _ZN7rocprim17ROCPRIM_400000_NS6detail17trampoline_kernelINS0_14default_configENS1_38merge_sort_block_merge_config_selectorIjNS0_10empty_typeEEEZZNS1_27merge_sort_block_merge_implIS3_PjPS5_jNS1_19radix_merge_compareILb0ELb1EjNS0_19identity_decomposerEEEEE10hipError_tT0_T1_T2_jT3_P12ihipStream_tbPNSt15iterator_traitsISE_E10value_typeEPNSK_ISF_E10value_typeEPSG_NS1_7vsmem_tEENKUlT_SE_SF_SG_E_clIS8_S8_S9_S9_EESD_ST_SE_SF_SG_EUlST_E0_NS1_11comp_targetILNS1_3genE9ELNS1_11target_archE1100ELNS1_3gpuE3ELNS1_3repE0EEENS1_38merge_mergepath_config_static_selectorELNS0_4arch9wavefront6targetE1EEEvSF_
	.globl	_ZN7rocprim17ROCPRIM_400000_NS6detail17trampoline_kernelINS0_14default_configENS1_38merge_sort_block_merge_config_selectorIjNS0_10empty_typeEEEZZNS1_27merge_sort_block_merge_implIS3_PjPS5_jNS1_19radix_merge_compareILb0ELb1EjNS0_19identity_decomposerEEEEE10hipError_tT0_T1_T2_jT3_P12ihipStream_tbPNSt15iterator_traitsISE_E10value_typeEPNSK_ISF_E10value_typeEPSG_NS1_7vsmem_tEENKUlT_SE_SF_SG_E_clIS8_S8_S9_S9_EESD_ST_SE_SF_SG_EUlST_E0_NS1_11comp_targetILNS1_3genE9ELNS1_11target_archE1100ELNS1_3gpuE3ELNS1_3repE0EEENS1_38merge_mergepath_config_static_selectorELNS0_4arch9wavefront6targetE1EEEvSF_
	.p2align	8
	.type	_ZN7rocprim17ROCPRIM_400000_NS6detail17trampoline_kernelINS0_14default_configENS1_38merge_sort_block_merge_config_selectorIjNS0_10empty_typeEEEZZNS1_27merge_sort_block_merge_implIS3_PjPS5_jNS1_19radix_merge_compareILb0ELb1EjNS0_19identity_decomposerEEEEE10hipError_tT0_T1_T2_jT3_P12ihipStream_tbPNSt15iterator_traitsISE_E10value_typeEPNSK_ISF_E10value_typeEPSG_NS1_7vsmem_tEENKUlT_SE_SF_SG_E_clIS8_S8_S9_S9_EESD_ST_SE_SF_SG_EUlST_E0_NS1_11comp_targetILNS1_3genE9ELNS1_11target_archE1100ELNS1_3gpuE3ELNS1_3repE0EEENS1_38merge_mergepath_config_static_selectorELNS0_4arch9wavefront6targetE1EEEvSF_,@function
_ZN7rocprim17ROCPRIM_400000_NS6detail17trampoline_kernelINS0_14default_configENS1_38merge_sort_block_merge_config_selectorIjNS0_10empty_typeEEEZZNS1_27merge_sort_block_merge_implIS3_PjPS5_jNS1_19radix_merge_compareILb0ELb1EjNS0_19identity_decomposerEEEEE10hipError_tT0_T1_T2_jT3_P12ihipStream_tbPNSt15iterator_traitsISE_E10value_typeEPNSK_ISF_E10value_typeEPSG_NS1_7vsmem_tEENKUlT_SE_SF_SG_E_clIS8_S8_S9_S9_EESD_ST_SE_SF_SG_EUlST_E0_NS1_11comp_targetILNS1_3genE9ELNS1_11target_archE1100ELNS1_3gpuE3ELNS1_3repE0EEENS1_38merge_mergepath_config_static_selectorELNS0_4arch9wavefront6targetE1EEEvSF_: ; @_ZN7rocprim17ROCPRIM_400000_NS6detail17trampoline_kernelINS0_14default_configENS1_38merge_sort_block_merge_config_selectorIjNS0_10empty_typeEEEZZNS1_27merge_sort_block_merge_implIS3_PjPS5_jNS1_19radix_merge_compareILb0ELb1EjNS0_19identity_decomposerEEEEE10hipError_tT0_T1_T2_jT3_P12ihipStream_tbPNSt15iterator_traitsISE_E10value_typeEPNSK_ISF_E10value_typeEPSG_NS1_7vsmem_tEENKUlT_SE_SF_SG_E_clIS8_S8_S9_S9_EESD_ST_SE_SF_SG_EUlST_E0_NS1_11comp_targetILNS1_3genE9ELNS1_11target_archE1100ELNS1_3gpuE3ELNS1_3repE0EEENS1_38merge_mergepath_config_static_selectorELNS0_4arch9wavefront6targetE1EEEvSF_
; %bb.0:
	.section	.rodata,"a",@progbits
	.p2align	6, 0x0
	.amdhsa_kernel _ZN7rocprim17ROCPRIM_400000_NS6detail17trampoline_kernelINS0_14default_configENS1_38merge_sort_block_merge_config_selectorIjNS0_10empty_typeEEEZZNS1_27merge_sort_block_merge_implIS3_PjPS5_jNS1_19radix_merge_compareILb0ELb1EjNS0_19identity_decomposerEEEEE10hipError_tT0_T1_T2_jT3_P12ihipStream_tbPNSt15iterator_traitsISE_E10value_typeEPNSK_ISF_E10value_typeEPSG_NS1_7vsmem_tEENKUlT_SE_SF_SG_E_clIS8_S8_S9_S9_EESD_ST_SE_SF_SG_EUlST_E0_NS1_11comp_targetILNS1_3genE9ELNS1_11target_archE1100ELNS1_3gpuE3ELNS1_3repE0EEENS1_38merge_mergepath_config_static_selectorELNS0_4arch9wavefront6targetE1EEEvSF_
		.amdhsa_group_segment_fixed_size 0
		.amdhsa_private_segment_fixed_size 0
		.amdhsa_kernarg_size 64
		.amdhsa_user_sgpr_count 6
		.amdhsa_user_sgpr_private_segment_buffer 1
		.amdhsa_user_sgpr_dispatch_ptr 0
		.amdhsa_user_sgpr_queue_ptr 0
		.amdhsa_user_sgpr_kernarg_segment_ptr 1
		.amdhsa_user_sgpr_dispatch_id 0
		.amdhsa_user_sgpr_flat_scratch_init 0
		.amdhsa_user_sgpr_kernarg_preload_length 0
		.amdhsa_user_sgpr_kernarg_preload_offset 0
		.amdhsa_user_sgpr_private_segment_size 0
		.amdhsa_uses_dynamic_stack 0
		.amdhsa_system_sgpr_private_segment_wavefront_offset 0
		.amdhsa_system_sgpr_workgroup_id_x 1
		.amdhsa_system_sgpr_workgroup_id_y 0
		.amdhsa_system_sgpr_workgroup_id_z 0
		.amdhsa_system_sgpr_workgroup_info 0
		.amdhsa_system_vgpr_workitem_id 0
		.amdhsa_next_free_vgpr 1
		.amdhsa_next_free_sgpr 0
		.amdhsa_accum_offset 4
		.amdhsa_reserve_vcc 0
		.amdhsa_reserve_flat_scratch 0
		.amdhsa_float_round_mode_32 0
		.amdhsa_float_round_mode_16_64 0
		.amdhsa_float_denorm_mode_32 3
		.amdhsa_float_denorm_mode_16_64 3
		.amdhsa_dx10_clamp 1
		.amdhsa_ieee_mode 1
		.amdhsa_fp16_overflow 0
		.amdhsa_tg_split 0
		.amdhsa_exception_fp_ieee_invalid_op 0
		.amdhsa_exception_fp_denorm_src 0
		.amdhsa_exception_fp_ieee_div_zero 0
		.amdhsa_exception_fp_ieee_overflow 0
		.amdhsa_exception_fp_ieee_underflow 0
		.amdhsa_exception_fp_ieee_inexact 0
		.amdhsa_exception_int_div_zero 0
	.end_amdhsa_kernel
	.section	.text._ZN7rocprim17ROCPRIM_400000_NS6detail17trampoline_kernelINS0_14default_configENS1_38merge_sort_block_merge_config_selectorIjNS0_10empty_typeEEEZZNS1_27merge_sort_block_merge_implIS3_PjPS5_jNS1_19radix_merge_compareILb0ELb1EjNS0_19identity_decomposerEEEEE10hipError_tT0_T1_T2_jT3_P12ihipStream_tbPNSt15iterator_traitsISE_E10value_typeEPNSK_ISF_E10value_typeEPSG_NS1_7vsmem_tEENKUlT_SE_SF_SG_E_clIS8_S8_S9_S9_EESD_ST_SE_SF_SG_EUlST_E0_NS1_11comp_targetILNS1_3genE9ELNS1_11target_archE1100ELNS1_3gpuE3ELNS1_3repE0EEENS1_38merge_mergepath_config_static_selectorELNS0_4arch9wavefront6targetE1EEEvSF_,"axG",@progbits,_ZN7rocprim17ROCPRIM_400000_NS6detail17trampoline_kernelINS0_14default_configENS1_38merge_sort_block_merge_config_selectorIjNS0_10empty_typeEEEZZNS1_27merge_sort_block_merge_implIS3_PjPS5_jNS1_19radix_merge_compareILb0ELb1EjNS0_19identity_decomposerEEEEE10hipError_tT0_T1_T2_jT3_P12ihipStream_tbPNSt15iterator_traitsISE_E10value_typeEPNSK_ISF_E10value_typeEPSG_NS1_7vsmem_tEENKUlT_SE_SF_SG_E_clIS8_S8_S9_S9_EESD_ST_SE_SF_SG_EUlST_E0_NS1_11comp_targetILNS1_3genE9ELNS1_11target_archE1100ELNS1_3gpuE3ELNS1_3repE0EEENS1_38merge_mergepath_config_static_selectorELNS0_4arch9wavefront6targetE1EEEvSF_,comdat
.Lfunc_end732:
	.size	_ZN7rocprim17ROCPRIM_400000_NS6detail17trampoline_kernelINS0_14default_configENS1_38merge_sort_block_merge_config_selectorIjNS0_10empty_typeEEEZZNS1_27merge_sort_block_merge_implIS3_PjPS5_jNS1_19radix_merge_compareILb0ELb1EjNS0_19identity_decomposerEEEEE10hipError_tT0_T1_T2_jT3_P12ihipStream_tbPNSt15iterator_traitsISE_E10value_typeEPNSK_ISF_E10value_typeEPSG_NS1_7vsmem_tEENKUlT_SE_SF_SG_E_clIS8_S8_S9_S9_EESD_ST_SE_SF_SG_EUlST_E0_NS1_11comp_targetILNS1_3genE9ELNS1_11target_archE1100ELNS1_3gpuE3ELNS1_3repE0EEENS1_38merge_mergepath_config_static_selectorELNS0_4arch9wavefront6targetE1EEEvSF_, .Lfunc_end732-_ZN7rocprim17ROCPRIM_400000_NS6detail17trampoline_kernelINS0_14default_configENS1_38merge_sort_block_merge_config_selectorIjNS0_10empty_typeEEEZZNS1_27merge_sort_block_merge_implIS3_PjPS5_jNS1_19radix_merge_compareILb0ELb1EjNS0_19identity_decomposerEEEEE10hipError_tT0_T1_T2_jT3_P12ihipStream_tbPNSt15iterator_traitsISE_E10value_typeEPNSK_ISF_E10value_typeEPSG_NS1_7vsmem_tEENKUlT_SE_SF_SG_E_clIS8_S8_S9_S9_EESD_ST_SE_SF_SG_EUlST_E0_NS1_11comp_targetILNS1_3genE9ELNS1_11target_archE1100ELNS1_3gpuE3ELNS1_3repE0EEENS1_38merge_mergepath_config_static_selectorELNS0_4arch9wavefront6targetE1EEEvSF_
                                        ; -- End function
	.section	.AMDGPU.csdata,"",@progbits
; Kernel info:
; codeLenInByte = 0
; NumSgprs: 4
; NumVgprs: 0
; NumAgprs: 0
; TotalNumVgprs: 0
; ScratchSize: 0
; MemoryBound: 0
; FloatMode: 240
; IeeeMode: 1
; LDSByteSize: 0 bytes/workgroup (compile time only)
; SGPRBlocks: 0
; VGPRBlocks: 0
; NumSGPRsForWavesPerEU: 4
; NumVGPRsForWavesPerEU: 1
; AccumOffset: 4
; Occupancy: 8
; WaveLimiterHint : 0
; COMPUTE_PGM_RSRC2:SCRATCH_EN: 0
; COMPUTE_PGM_RSRC2:USER_SGPR: 6
; COMPUTE_PGM_RSRC2:TRAP_HANDLER: 0
; COMPUTE_PGM_RSRC2:TGID_X_EN: 1
; COMPUTE_PGM_RSRC2:TGID_Y_EN: 0
; COMPUTE_PGM_RSRC2:TGID_Z_EN: 0
; COMPUTE_PGM_RSRC2:TIDIG_COMP_CNT: 0
; COMPUTE_PGM_RSRC3_GFX90A:ACCUM_OFFSET: 0
; COMPUTE_PGM_RSRC3_GFX90A:TG_SPLIT: 0
	.section	.text._ZN7rocprim17ROCPRIM_400000_NS6detail17trampoline_kernelINS0_14default_configENS1_38merge_sort_block_merge_config_selectorIjNS0_10empty_typeEEEZZNS1_27merge_sort_block_merge_implIS3_PjPS5_jNS1_19radix_merge_compareILb0ELb1EjNS0_19identity_decomposerEEEEE10hipError_tT0_T1_T2_jT3_P12ihipStream_tbPNSt15iterator_traitsISE_E10value_typeEPNSK_ISF_E10value_typeEPSG_NS1_7vsmem_tEENKUlT_SE_SF_SG_E_clIS8_S8_S9_S9_EESD_ST_SE_SF_SG_EUlST_E0_NS1_11comp_targetILNS1_3genE8ELNS1_11target_archE1030ELNS1_3gpuE2ELNS1_3repE0EEENS1_38merge_mergepath_config_static_selectorELNS0_4arch9wavefront6targetE1EEEvSF_,"axG",@progbits,_ZN7rocprim17ROCPRIM_400000_NS6detail17trampoline_kernelINS0_14default_configENS1_38merge_sort_block_merge_config_selectorIjNS0_10empty_typeEEEZZNS1_27merge_sort_block_merge_implIS3_PjPS5_jNS1_19radix_merge_compareILb0ELb1EjNS0_19identity_decomposerEEEEE10hipError_tT0_T1_T2_jT3_P12ihipStream_tbPNSt15iterator_traitsISE_E10value_typeEPNSK_ISF_E10value_typeEPSG_NS1_7vsmem_tEENKUlT_SE_SF_SG_E_clIS8_S8_S9_S9_EESD_ST_SE_SF_SG_EUlST_E0_NS1_11comp_targetILNS1_3genE8ELNS1_11target_archE1030ELNS1_3gpuE2ELNS1_3repE0EEENS1_38merge_mergepath_config_static_selectorELNS0_4arch9wavefront6targetE1EEEvSF_,comdat
	.protected	_ZN7rocprim17ROCPRIM_400000_NS6detail17trampoline_kernelINS0_14default_configENS1_38merge_sort_block_merge_config_selectorIjNS0_10empty_typeEEEZZNS1_27merge_sort_block_merge_implIS3_PjPS5_jNS1_19radix_merge_compareILb0ELb1EjNS0_19identity_decomposerEEEEE10hipError_tT0_T1_T2_jT3_P12ihipStream_tbPNSt15iterator_traitsISE_E10value_typeEPNSK_ISF_E10value_typeEPSG_NS1_7vsmem_tEENKUlT_SE_SF_SG_E_clIS8_S8_S9_S9_EESD_ST_SE_SF_SG_EUlST_E0_NS1_11comp_targetILNS1_3genE8ELNS1_11target_archE1030ELNS1_3gpuE2ELNS1_3repE0EEENS1_38merge_mergepath_config_static_selectorELNS0_4arch9wavefront6targetE1EEEvSF_ ; -- Begin function _ZN7rocprim17ROCPRIM_400000_NS6detail17trampoline_kernelINS0_14default_configENS1_38merge_sort_block_merge_config_selectorIjNS0_10empty_typeEEEZZNS1_27merge_sort_block_merge_implIS3_PjPS5_jNS1_19radix_merge_compareILb0ELb1EjNS0_19identity_decomposerEEEEE10hipError_tT0_T1_T2_jT3_P12ihipStream_tbPNSt15iterator_traitsISE_E10value_typeEPNSK_ISF_E10value_typeEPSG_NS1_7vsmem_tEENKUlT_SE_SF_SG_E_clIS8_S8_S9_S9_EESD_ST_SE_SF_SG_EUlST_E0_NS1_11comp_targetILNS1_3genE8ELNS1_11target_archE1030ELNS1_3gpuE2ELNS1_3repE0EEENS1_38merge_mergepath_config_static_selectorELNS0_4arch9wavefront6targetE1EEEvSF_
	.globl	_ZN7rocprim17ROCPRIM_400000_NS6detail17trampoline_kernelINS0_14default_configENS1_38merge_sort_block_merge_config_selectorIjNS0_10empty_typeEEEZZNS1_27merge_sort_block_merge_implIS3_PjPS5_jNS1_19radix_merge_compareILb0ELb1EjNS0_19identity_decomposerEEEEE10hipError_tT0_T1_T2_jT3_P12ihipStream_tbPNSt15iterator_traitsISE_E10value_typeEPNSK_ISF_E10value_typeEPSG_NS1_7vsmem_tEENKUlT_SE_SF_SG_E_clIS8_S8_S9_S9_EESD_ST_SE_SF_SG_EUlST_E0_NS1_11comp_targetILNS1_3genE8ELNS1_11target_archE1030ELNS1_3gpuE2ELNS1_3repE0EEENS1_38merge_mergepath_config_static_selectorELNS0_4arch9wavefront6targetE1EEEvSF_
	.p2align	8
	.type	_ZN7rocprim17ROCPRIM_400000_NS6detail17trampoline_kernelINS0_14default_configENS1_38merge_sort_block_merge_config_selectorIjNS0_10empty_typeEEEZZNS1_27merge_sort_block_merge_implIS3_PjPS5_jNS1_19radix_merge_compareILb0ELb1EjNS0_19identity_decomposerEEEEE10hipError_tT0_T1_T2_jT3_P12ihipStream_tbPNSt15iterator_traitsISE_E10value_typeEPNSK_ISF_E10value_typeEPSG_NS1_7vsmem_tEENKUlT_SE_SF_SG_E_clIS8_S8_S9_S9_EESD_ST_SE_SF_SG_EUlST_E0_NS1_11comp_targetILNS1_3genE8ELNS1_11target_archE1030ELNS1_3gpuE2ELNS1_3repE0EEENS1_38merge_mergepath_config_static_selectorELNS0_4arch9wavefront6targetE1EEEvSF_,@function
_ZN7rocprim17ROCPRIM_400000_NS6detail17trampoline_kernelINS0_14default_configENS1_38merge_sort_block_merge_config_selectorIjNS0_10empty_typeEEEZZNS1_27merge_sort_block_merge_implIS3_PjPS5_jNS1_19radix_merge_compareILb0ELb1EjNS0_19identity_decomposerEEEEE10hipError_tT0_T1_T2_jT3_P12ihipStream_tbPNSt15iterator_traitsISE_E10value_typeEPNSK_ISF_E10value_typeEPSG_NS1_7vsmem_tEENKUlT_SE_SF_SG_E_clIS8_S8_S9_S9_EESD_ST_SE_SF_SG_EUlST_E0_NS1_11comp_targetILNS1_3genE8ELNS1_11target_archE1030ELNS1_3gpuE2ELNS1_3repE0EEENS1_38merge_mergepath_config_static_selectorELNS0_4arch9wavefront6targetE1EEEvSF_: ; @_ZN7rocprim17ROCPRIM_400000_NS6detail17trampoline_kernelINS0_14default_configENS1_38merge_sort_block_merge_config_selectorIjNS0_10empty_typeEEEZZNS1_27merge_sort_block_merge_implIS3_PjPS5_jNS1_19radix_merge_compareILb0ELb1EjNS0_19identity_decomposerEEEEE10hipError_tT0_T1_T2_jT3_P12ihipStream_tbPNSt15iterator_traitsISE_E10value_typeEPNSK_ISF_E10value_typeEPSG_NS1_7vsmem_tEENKUlT_SE_SF_SG_E_clIS8_S8_S9_S9_EESD_ST_SE_SF_SG_EUlST_E0_NS1_11comp_targetILNS1_3genE8ELNS1_11target_archE1030ELNS1_3gpuE2ELNS1_3repE0EEENS1_38merge_mergepath_config_static_selectorELNS0_4arch9wavefront6targetE1EEEvSF_
; %bb.0:
	.section	.rodata,"a",@progbits
	.p2align	6, 0x0
	.amdhsa_kernel _ZN7rocprim17ROCPRIM_400000_NS6detail17trampoline_kernelINS0_14default_configENS1_38merge_sort_block_merge_config_selectorIjNS0_10empty_typeEEEZZNS1_27merge_sort_block_merge_implIS3_PjPS5_jNS1_19radix_merge_compareILb0ELb1EjNS0_19identity_decomposerEEEEE10hipError_tT0_T1_T2_jT3_P12ihipStream_tbPNSt15iterator_traitsISE_E10value_typeEPNSK_ISF_E10value_typeEPSG_NS1_7vsmem_tEENKUlT_SE_SF_SG_E_clIS8_S8_S9_S9_EESD_ST_SE_SF_SG_EUlST_E0_NS1_11comp_targetILNS1_3genE8ELNS1_11target_archE1030ELNS1_3gpuE2ELNS1_3repE0EEENS1_38merge_mergepath_config_static_selectorELNS0_4arch9wavefront6targetE1EEEvSF_
		.amdhsa_group_segment_fixed_size 0
		.amdhsa_private_segment_fixed_size 0
		.amdhsa_kernarg_size 64
		.amdhsa_user_sgpr_count 6
		.amdhsa_user_sgpr_private_segment_buffer 1
		.amdhsa_user_sgpr_dispatch_ptr 0
		.amdhsa_user_sgpr_queue_ptr 0
		.amdhsa_user_sgpr_kernarg_segment_ptr 1
		.amdhsa_user_sgpr_dispatch_id 0
		.amdhsa_user_sgpr_flat_scratch_init 0
		.amdhsa_user_sgpr_kernarg_preload_length 0
		.amdhsa_user_sgpr_kernarg_preload_offset 0
		.amdhsa_user_sgpr_private_segment_size 0
		.amdhsa_uses_dynamic_stack 0
		.amdhsa_system_sgpr_private_segment_wavefront_offset 0
		.amdhsa_system_sgpr_workgroup_id_x 1
		.amdhsa_system_sgpr_workgroup_id_y 0
		.amdhsa_system_sgpr_workgroup_id_z 0
		.amdhsa_system_sgpr_workgroup_info 0
		.amdhsa_system_vgpr_workitem_id 0
		.amdhsa_next_free_vgpr 1
		.amdhsa_next_free_sgpr 0
		.amdhsa_accum_offset 4
		.amdhsa_reserve_vcc 0
		.amdhsa_reserve_flat_scratch 0
		.amdhsa_float_round_mode_32 0
		.amdhsa_float_round_mode_16_64 0
		.amdhsa_float_denorm_mode_32 3
		.amdhsa_float_denorm_mode_16_64 3
		.amdhsa_dx10_clamp 1
		.amdhsa_ieee_mode 1
		.amdhsa_fp16_overflow 0
		.amdhsa_tg_split 0
		.amdhsa_exception_fp_ieee_invalid_op 0
		.amdhsa_exception_fp_denorm_src 0
		.amdhsa_exception_fp_ieee_div_zero 0
		.amdhsa_exception_fp_ieee_overflow 0
		.amdhsa_exception_fp_ieee_underflow 0
		.amdhsa_exception_fp_ieee_inexact 0
		.amdhsa_exception_int_div_zero 0
	.end_amdhsa_kernel
	.section	.text._ZN7rocprim17ROCPRIM_400000_NS6detail17trampoline_kernelINS0_14default_configENS1_38merge_sort_block_merge_config_selectorIjNS0_10empty_typeEEEZZNS1_27merge_sort_block_merge_implIS3_PjPS5_jNS1_19radix_merge_compareILb0ELb1EjNS0_19identity_decomposerEEEEE10hipError_tT0_T1_T2_jT3_P12ihipStream_tbPNSt15iterator_traitsISE_E10value_typeEPNSK_ISF_E10value_typeEPSG_NS1_7vsmem_tEENKUlT_SE_SF_SG_E_clIS8_S8_S9_S9_EESD_ST_SE_SF_SG_EUlST_E0_NS1_11comp_targetILNS1_3genE8ELNS1_11target_archE1030ELNS1_3gpuE2ELNS1_3repE0EEENS1_38merge_mergepath_config_static_selectorELNS0_4arch9wavefront6targetE1EEEvSF_,"axG",@progbits,_ZN7rocprim17ROCPRIM_400000_NS6detail17trampoline_kernelINS0_14default_configENS1_38merge_sort_block_merge_config_selectorIjNS0_10empty_typeEEEZZNS1_27merge_sort_block_merge_implIS3_PjPS5_jNS1_19radix_merge_compareILb0ELb1EjNS0_19identity_decomposerEEEEE10hipError_tT0_T1_T2_jT3_P12ihipStream_tbPNSt15iterator_traitsISE_E10value_typeEPNSK_ISF_E10value_typeEPSG_NS1_7vsmem_tEENKUlT_SE_SF_SG_E_clIS8_S8_S9_S9_EESD_ST_SE_SF_SG_EUlST_E0_NS1_11comp_targetILNS1_3genE8ELNS1_11target_archE1030ELNS1_3gpuE2ELNS1_3repE0EEENS1_38merge_mergepath_config_static_selectorELNS0_4arch9wavefront6targetE1EEEvSF_,comdat
.Lfunc_end733:
	.size	_ZN7rocprim17ROCPRIM_400000_NS6detail17trampoline_kernelINS0_14default_configENS1_38merge_sort_block_merge_config_selectorIjNS0_10empty_typeEEEZZNS1_27merge_sort_block_merge_implIS3_PjPS5_jNS1_19radix_merge_compareILb0ELb1EjNS0_19identity_decomposerEEEEE10hipError_tT0_T1_T2_jT3_P12ihipStream_tbPNSt15iterator_traitsISE_E10value_typeEPNSK_ISF_E10value_typeEPSG_NS1_7vsmem_tEENKUlT_SE_SF_SG_E_clIS8_S8_S9_S9_EESD_ST_SE_SF_SG_EUlST_E0_NS1_11comp_targetILNS1_3genE8ELNS1_11target_archE1030ELNS1_3gpuE2ELNS1_3repE0EEENS1_38merge_mergepath_config_static_selectorELNS0_4arch9wavefront6targetE1EEEvSF_, .Lfunc_end733-_ZN7rocprim17ROCPRIM_400000_NS6detail17trampoline_kernelINS0_14default_configENS1_38merge_sort_block_merge_config_selectorIjNS0_10empty_typeEEEZZNS1_27merge_sort_block_merge_implIS3_PjPS5_jNS1_19radix_merge_compareILb0ELb1EjNS0_19identity_decomposerEEEEE10hipError_tT0_T1_T2_jT3_P12ihipStream_tbPNSt15iterator_traitsISE_E10value_typeEPNSK_ISF_E10value_typeEPSG_NS1_7vsmem_tEENKUlT_SE_SF_SG_E_clIS8_S8_S9_S9_EESD_ST_SE_SF_SG_EUlST_E0_NS1_11comp_targetILNS1_3genE8ELNS1_11target_archE1030ELNS1_3gpuE2ELNS1_3repE0EEENS1_38merge_mergepath_config_static_selectorELNS0_4arch9wavefront6targetE1EEEvSF_
                                        ; -- End function
	.section	.AMDGPU.csdata,"",@progbits
; Kernel info:
; codeLenInByte = 0
; NumSgprs: 4
; NumVgprs: 0
; NumAgprs: 0
; TotalNumVgprs: 0
; ScratchSize: 0
; MemoryBound: 0
; FloatMode: 240
; IeeeMode: 1
; LDSByteSize: 0 bytes/workgroup (compile time only)
; SGPRBlocks: 0
; VGPRBlocks: 0
; NumSGPRsForWavesPerEU: 4
; NumVGPRsForWavesPerEU: 1
; AccumOffset: 4
; Occupancy: 8
; WaveLimiterHint : 0
; COMPUTE_PGM_RSRC2:SCRATCH_EN: 0
; COMPUTE_PGM_RSRC2:USER_SGPR: 6
; COMPUTE_PGM_RSRC2:TRAP_HANDLER: 0
; COMPUTE_PGM_RSRC2:TGID_X_EN: 1
; COMPUTE_PGM_RSRC2:TGID_Y_EN: 0
; COMPUTE_PGM_RSRC2:TGID_Z_EN: 0
; COMPUTE_PGM_RSRC2:TIDIG_COMP_CNT: 0
; COMPUTE_PGM_RSRC3_GFX90A:ACCUM_OFFSET: 0
; COMPUTE_PGM_RSRC3_GFX90A:TG_SPLIT: 0
	.section	.text._ZN7rocprim17ROCPRIM_400000_NS6detail17trampoline_kernelINS0_14default_configENS1_38merge_sort_block_merge_config_selectorIjNS0_10empty_typeEEEZZNS1_27merge_sort_block_merge_implIS3_PjPS5_jNS1_19radix_merge_compareILb0ELb1EjNS0_19identity_decomposerEEEEE10hipError_tT0_T1_T2_jT3_P12ihipStream_tbPNSt15iterator_traitsISE_E10value_typeEPNSK_ISF_E10value_typeEPSG_NS1_7vsmem_tEENKUlT_SE_SF_SG_E_clIS8_S8_S9_S9_EESD_ST_SE_SF_SG_EUlST_E1_NS1_11comp_targetILNS1_3genE0ELNS1_11target_archE4294967295ELNS1_3gpuE0ELNS1_3repE0EEENS1_36merge_oddeven_config_static_selectorELNS0_4arch9wavefront6targetE1EEEvSF_,"axG",@progbits,_ZN7rocprim17ROCPRIM_400000_NS6detail17trampoline_kernelINS0_14default_configENS1_38merge_sort_block_merge_config_selectorIjNS0_10empty_typeEEEZZNS1_27merge_sort_block_merge_implIS3_PjPS5_jNS1_19radix_merge_compareILb0ELb1EjNS0_19identity_decomposerEEEEE10hipError_tT0_T1_T2_jT3_P12ihipStream_tbPNSt15iterator_traitsISE_E10value_typeEPNSK_ISF_E10value_typeEPSG_NS1_7vsmem_tEENKUlT_SE_SF_SG_E_clIS8_S8_S9_S9_EESD_ST_SE_SF_SG_EUlST_E1_NS1_11comp_targetILNS1_3genE0ELNS1_11target_archE4294967295ELNS1_3gpuE0ELNS1_3repE0EEENS1_36merge_oddeven_config_static_selectorELNS0_4arch9wavefront6targetE1EEEvSF_,comdat
	.protected	_ZN7rocprim17ROCPRIM_400000_NS6detail17trampoline_kernelINS0_14default_configENS1_38merge_sort_block_merge_config_selectorIjNS0_10empty_typeEEEZZNS1_27merge_sort_block_merge_implIS3_PjPS5_jNS1_19radix_merge_compareILb0ELb1EjNS0_19identity_decomposerEEEEE10hipError_tT0_T1_T2_jT3_P12ihipStream_tbPNSt15iterator_traitsISE_E10value_typeEPNSK_ISF_E10value_typeEPSG_NS1_7vsmem_tEENKUlT_SE_SF_SG_E_clIS8_S8_S9_S9_EESD_ST_SE_SF_SG_EUlST_E1_NS1_11comp_targetILNS1_3genE0ELNS1_11target_archE4294967295ELNS1_3gpuE0ELNS1_3repE0EEENS1_36merge_oddeven_config_static_selectorELNS0_4arch9wavefront6targetE1EEEvSF_ ; -- Begin function _ZN7rocprim17ROCPRIM_400000_NS6detail17trampoline_kernelINS0_14default_configENS1_38merge_sort_block_merge_config_selectorIjNS0_10empty_typeEEEZZNS1_27merge_sort_block_merge_implIS3_PjPS5_jNS1_19radix_merge_compareILb0ELb1EjNS0_19identity_decomposerEEEEE10hipError_tT0_T1_T2_jT3_P12ihipStream_tbPNSt15iterator_traitsISE_E10value_typeEPNSK_ISF_E10value_typeEPSG_NS1_7vsmem_tEENKUlT_SE_SF_SG_E_clIS8_S8_S9_S9_EESD_ST_SE_SF_SG_EUlST_E1_NS1_11comp_targetILNS1_3genE0ELNS1_11target_archE4294967295ELNS1_3gpuE0ELNS1_3repE0EEENS1_36merge_oddeven_config_static_selectorELNS0_4arch9wavefront6targetE1EEEvSF_
	.globl	_ZN7rocprim17ROCPRIM_400000_NS6detail17trampoline_kernelINS0_14default_configENS1_38merge_sort_block_merge_config_selectorIjNS0_10empty_typeEEEZZNS1_27merge_sort_block_merge_implIS3_PjPS5_jNS1_19radix_merge_compareILb0ELb1EjNS0_19identity_decomposerEEEEE10hipError_tT0_T1_T2_jT3_P12ihipStream_tbPNSt15iterator_traitsISE_E10value_typeEPNSK_ISF_E10value_typeEPSG_NS1_7vsmem_tEENKUlT_SE_SF_SG_E_clIS8_S8_S9_S9_EESD_ST_SE_SF_SG_EUlST_E1_NS1_11comp_targetILNS1_3genE0ELNS1_11target_archE4294967295ELNS1_3gpuE0ELNS1_3repE0EEENS1_36merge_oddeven_config_static_selectorELNS0_4arch9wavefront6targetE1EEEvSF_
	.p2align	8
	.type	_ZN7rocprim17ROCPRIM_400000_NS6detail17trampoline_kernelINS0_14default_configENS1_38merge_sort_block_merge_config_selectorIjNS0_10empty_typeEEEZZNS1_27merge_sort_block_merge_implIS3_PjPS5_jNS1_19radix_merge_compareILb0ELb1EjNS0_19identity_decomposerEEEEE10hipError_tT0_T1_T2_jT3_P12ihipStream_tbPNSt15iterator_traitsISE_E10value_typeEPNSK_ISF_E10value_typeEPSG_NS1_7vsmem_tEENKUlT_SE_SF_SG_E_clIS8_S8_S9_S9_EESD_ST_SE_SF_SG_EUlST_E1_NS1_11comp_targetILNS1_3genE0ELNS1_11target_archE4294967295ELNS1_3gpuE0ELNS1_3repE0EEENS1_36merge_oddeven_config_static_selectorELNS0_4arch9wavefront6targetE1EEEvSF_,@function
_ZN7rocprim17ROCPRIM_400000_NS6detail17trampoline_kernelINS0_14default_configENS1_38merge_sort_block_merge_config_selectorIjNS0_10empty_typeEEEZZNS1_27merge_sort_block_merge_implIS3_PjPS5_jNS1_19radix_merge_compareILb0ELb1EjNS0_19identity_decomposerEEEEE10hipError_tT0_T1_T2_jT3_P12ihipStream_tbPNSt15iterator_traitsISE_E10value_typeEPNSK_ISF_E10value_typeEPSG_NS1_7vsmem_tEENKUlT_SE_SF_SG_E_clIS8_S8_S9_S9_EESD_ST_SE_SF_SG_EUlST_E1_NS1_11comp_targetILNS1_3genE0ELNS1_11target_archE4294967295ELNS1_3gpuE0ELNS1_3repE0EEENS1_36merge_oddeven_config_static_selectorELNS0_4arch9wavefront6targetE1EEEvSF_: ; @_ZN7rocprim17ROCPRIM_400000_NS6detail17trampoline_kernelINS0_14default_configENS1_38merge_sort_block_merge_config_selectorIjNS0_10empty_typeEEEZZNS1_27merge_sort_block_merge_implIS3_PjPS5_jNS1_19radix_merge_compareILb0ELb1EjNS0_19identity_decomposerEEEEE10hipError_tT0_T1_T2_jT3_P12ihipStream_tbPNSt15iterator_traitsISE_E10value_typeEPNSK_ISF_E10value_typeEPSG_NS1_7vsmem_tEENKUlT_SE_SF_SG_E_clIS8_S8_S9_S9_EESD_ST_SE_SF_SG_EUlST_E1_NS1_11comp_targetILNS1_3genE0ELNS1_11target_archE4294967295ELNS1_3gpuE0ELNS1_3repE0EEENS1_36merge_oddeven_config_static_selectorELNS0_4arch9wavefront6targetE1EEEvSF_
; %bb.0:
	.section	.rodata,"a",@progbits
	.p2align	6, 0x0
	.amdhsa_kernel _ZN7rocprim17ROCPRIM_400000_NS6detail17trampoline_kernelINS0_14default_configENS1_38merge_sort_block_merge_config_selectorIjNS0_10empty_typeEEEZZNS1_27merge_sort_block_merge_implIS3_PjPS5_jNS1_19radix_merge_compareILb0ELb1EjNS0_19identity_decomposerEEEEE10hipError_tT0_T1_T2_jT3_P12ihipStream_tbPNSt15iterator_traitsISE_E10value_typeEPNSK_ISF_E10value_typeEPSG_NS1_7vsmem_tEENKUlT_SE_SF_SG_E_clIS8_S8_S9_S9_EESD_ST_SE_SF_SG_EUlST_E1_NS1_11comp_targetILNS1_3genE0ELNS1_11target_archE4294967295ELNS1_3gpuE0ELNS1_3repE0EEENS1_36merge_oddeven_config_static_selectorELNS0_4arch9wavefront6targetE1EEEvSF_
		.amdhsa_group_segment_fixed_size 0
		.amdhsa_private_segment_fixed_size 0
		.amdhsa_kernarg_size 48
		.amdhsa_user_sgpr_count 6
		.amdhsa_user_sgpr_private_segment_buffer 1
		.amdhsa_user_sgpr_dispatch_ptr 0
		.amdhsa_user_sgpr_queue_ptr 0
		.amdhsa_user_sgpr_kernarg_segment_ptr 1
		.amdhsa_user_sgpr_dispatch_id 0
		.amdhsa_user_sgpr_flat_scratch_init 0
		.amdhsa_user_sgpr_kernarg_preload_length 0
		.amdhsa_user_sgpr_kernarg_preload_offset 0
		.amdhsa_user_sgpr_private_segment_size 0
		.amdhsa_uses_dynamic_stack 0
		.amdhsa_system_sgpr_private_segment_wavefront_offset 0
		.amdhsa_system_sgpr_workgroup_id_x 1
		.amdhsa_system_sgpr_workgroup_id_y 0
		.amdhsa_system_sgpr_workgroup_id_z 0
		.amdhsa_system_sgpr_workgroup_info 0
		.amdhsa_system_vgpr_workitem_id 0
		.amdhsa_next_free_vgpr 1
		.amdhsa_next_free_sgpr 0
		.amdhsa_accum_offset 4
		.amdhsa_reserve_vcc 0
		.amdhsa_reserve_flat_scratch 0
		.amdhsa_float_round_mode_32 0
		.amdhsa_float_round_mode_16_64 0
		.amdhsa_float_denorm_mode_32 3
		.amdhsa_float_denorm_mode_16_64 3
		.amdhsa_dx10_clamp 1
		.amdhsa_ieee_mode 1
		.amdhsa_fp16_overflow 0
		.amdhsa_tg_split 0
		.amdhsa_exception_fp_ieee_invalid_op 0
		.amdhsa_exception_fp_denorm_src 0
		.amdhsa_exception_fp_ieee_div_zero 0
		.amdhsa_exception_fp_ieee_overflow 0
		.amdhsa_exception_fp_ieee_underflow 0
		.amdhsa_exception_fp_ieee_inexact 0
		.amdhsa_exception_int_div_zero 0
	.end_amdhsa_kernel
	.section	.text._ZN7rocprim17ROCPRIM_400000_NS6detail17trampoline_kernelINS0_14default_configENS1_38merge_sort_block_merge_config_selectorIjNS0_10empty_typeEEEZZNS1_27merge_sort_block_merge_implIS3_PjPS5_jNS1_19radix_merge_compareILb0ELb1EjNS0_19identity_decomposerEEEEE10hipError_tT0_T1_T2_jT3_P12ihipStream_tbPNSt15iterator_traitsISE_E10value_typeEPNSK_ISF_E10value_typeEPSG_NS1_7vsmem_tEENKUlT_SE_SF_SG_E_clIS8_S8_S9_S9_EESD_ST_SE_SF_SG_EUlST_E1_NS1_11comp_targetILNS1_3genE0ELNS1_11target_archE4294967295ELNS1_3gpuE0ELNS1_3repE0EEENS1_36merge_oddeven_config_static_selectorELNS0_4arch9wavefront6targetE1EEEvSF_,"axG",@progbits,_ZN7rocprim17ROCPRIM_400000_NS6detail17trampoline_kernelINS0_14default_configENS1_38merge_sort_block_merge_config_selectorIjNS0_10empty_typeEEEZZNS1_27merge_sort_block_merge_implIS3_PjPS5_jNS1_19radix_merge_compareILb0ELb1EjNS0_19identity_decomposerEEEEE10hipError_tT0_T1_T2_jT3_P12ihipStream_tbPNSt15iterator_traitsISE_E10value_typeEPNSK_ISF_E10value_typeEPSG_NS1_7vsmem_tEENKUlT_SE_SF_SG_E_clIS8_S8_S9_S9_EESD_ST_SE_SF_SG_EUlST_E1_NS1_11comp_targetILNS1_3genE0ELNS1_11target_archE4294967295ELNS1_3gpuE0ELNS1_3repE0EEENS1_36merge_oddeven_config_static_selectorELNS0_4arch9wavefront6targetE1EEEvSF_,comdat
.Lfunc_end734:
	.size	_ZN7rocprim17ROCPRIM_400000_NS6detail17trampoline_kernelINS0_14default_configENS1_38merge_sort_block_merge_config_selectorIjNS0_10empty_typeEEEZZNS1_27merge_sort_block_merge_implIS3_PjPS5_jNS1_19radix_merge_compareILb0ELb1EjNS0_19identity_decomposerEEEEE10hipError_tT0_T1_T2_jT3_P12ihipStream_tbPNSt15iterator_traitsISE_E10value_typeEPNSK_ISF_E10value_typeEPSG_NS1_7vsmem_tEENKUlT_SE_SF_SG_E_clIS8_S8_S9_S9_EESD_ST_SE_SF_SG_EUlST_E1_NS1_11comp_targetILNS1_3genE0ELNS1_11target_archE4294967295ELNS1_3gpuE0ELNS1_3repE0EEENS1_36merge_oddeven_config_static_selectorELNS0_4arch9wavefront6targetE1EEEvSF_, .Lfunc_end734-_ZN7rocprim17ROCPRIM_400000_NS6detail17trampoline_kernelINS0_14default_configENS1_38merge_sort_block_merge_config_selectorIjNS0_10empty_typeEEEZZNS1_27merge_sort_block_merge_implIS3_PjPS5_jNS1_19radix_merge_compareILb0ELb1EjNS0_19identity_decomposerEEEEE10hipError_tT0_T1_T2_jT3_P12ihipStream_tbPNSt15iterator_traitsISE_E10value_typeEPNSK_ISF_E10value_typeEPSG_NS1_7vsmem_tEENKUlT_SE_SF_SG_E_clIS8_S8_S9_S9_EESD_ST_SE_SF_SG_EUlST_E1_NS1_11comp_targetILNS1_3genE0ELNS1_11target_archE4294967295ELNS1_3gpuE0ELNS1_3repE0EEENS1_36merge_oddeven_config_static_selectorELNS0_4arch9wavefront6targetE1EEEvSF_
                                        ; -- End function
	.section	.AMDGPU.csdata,"",@progbits
; Kernel info:
; codeLenInByte = 0
; NumSgprs: 4
; NumVgprs: 0
; NumAgprs: 0
; TotalNumVgprs: 0
; ScratchSize: 0
; MemoryBound: 0
; FloatMode: 240
; IeeeMode: 1
; LDSByteSize: 0 bytes/workgroup (compile time only)
; SGPRBlocks: 0
; VGPRBlocks: 0
; NumSGPRsForWavesPerEU: 4
; NumVGPRsForWavesPerEU: 1
; AccumOffset: 4
; Occupancy: 8
; WaveLimiterHint : 0
; COMPUTE_PGM_RSRC2:SCRATCH_EN: 0
; COMPUTE_PGM_RSRC2:USER_SGPR: 6
; COMPUTE_PGM_RSRC2:TRAP_HANDLER: 0
; COMPUTE_PGM_RSRC2:TGID_X_EN: 1
; COMPUTE_PGM_RSRC2:TGID_Y_EN: 0
; COMPUTE_PGM_RSRC2:TGID_Z_EN: 0
; COMPUTE_PGM_RSRC2:TIDIG_COMP_CNT: 0
; COMPUTE_PGM_RSRC3_GFX90A:ACCUM_OFFSET: 0
; COMPUTE_PGM_RSRC3_GFX90A:TG_SPLIT: 0
	.section	.text._ZN7rocprim17ROCPRIM_400000_NS6detail17trampoline_kernelINS0_14default_configENS1_38merge_sort_block_merge_config_selectorIjNS0_10empty_typeEEEZZNS1_27merge_sort_block_merge_implIS3_PjPS5_jNS1_19radix_merge_compareILb0ELb1EjNS0_19identity_decomposerEEEEE10hipError_tT0_T1_T2_jT3_P12ihipStream_tbPNSt15iterator_traitsISE_E10value_typeEPNSK_ISF_E10value_typeEPSG_NS1_7vsmem_tEENKUlT_SE_SF_SG_E_clIS8_S8_S9_S9_EESD_ST_SE_SF_SG_EUlST_E1_NS1_11comp_targetILNS1_3genE10ELNS1_11target_archE1201ELNS1_3gpuE5ELNS1_3repE0EEENS1_36merge_oddeven_config_static_selectorELNS0_4arch9wavefront6targetE1EEEvSF_,"axG",@progbits,_ZN7rocprim17ROCPRIM_400000_NS6detail17trampoline_kernelINS0_14default_configENS1_38merge_sort_block_merge_config_selectorIjNS0_10empty_typeEEEZZNS1_27merge_sort_block_merge_implIS3_PjPS5_jNS1_19radix_merge_compareILb0ELb1EjNS0_19identity_decomposerEEEEE10hipError_tT0_T1_T2_jT3_P12ihipStream_tbPNSt15iterator_traitsISE_E10value_typeEPNSK_ISF_E10value_typeEPSG_NS1_7vsmem_tEENKUlT_SE_SF_SG_E_clIS8_S8_S9_S9_EESD_ST_SE_SF_SG_EUlST_E1_NS1_11comp_targetILNS1_3genE10ELNS1_11target_archE1201ELNS1_3gpuE5ELNS1_3repE0EEENS1_36merge_oddeven_config_static_selectorELNS0_4arch9wavefront6targetE1EEEvSF_,comdat
	.protected	_ZN7rocprim17ROCPRIM_400000_NS6detail17trampoline_kernelINS0_14default_configENS1_38merge_sort_block_merge_config_selectorIjNS0_10empty_typeEEEZZNS1_27merge_sort_block_merge_implIS3_PjPS5_jNS1_19radix_merge_compareILb0ELb1EjNS0_19identity_decomposerEEEEE10hipError_tT0_T1_T2_jT3_P12ihipStream_tbPNSt15iterator_traitsISE_E10value_typeEPNSK_ISF_E10value_typeEPSG_NS1_7vsmem_tEENKUlT_SE_SF_SG_E_clIS8_S8_S9_S9_EESD_ST_SE_SF_SG_EUlST_E1_NS1_11comp_targetILNS1_3genE10ELNS1_11target_archE1201ELNS1_3gpuE5ELNS1_3repE0EEENS1_36merge_oddeven_config_static_selectorELNS0_4arch9wavefront6targetE1EEEvSF_ ; -- Begin function _ZN7rocprim17ROCPRIM_400000_NS6detail17trampoline_kernelINS0_14default_configENS1_38merge_sort_block_merge_config_selectorIjNS0_10empty_typeEEEZZNS1_27merge_sort_block_merge_implIS3_PjPS5_jNS1_19radix_merge_compareILb0ELb1EjNS0_19identity_decomposerEEEEE10hipError_tT0_T1_T2_jT3_P12ihipStream_tbPNSt15iterator_traitsISE_E10value_typeEPNSK_ISF_E10value_typeEPSG_NS1_7vsmem_tEENKUlT_SE_SF_SG_E_clIS8_S8_S9_S9_EESD_ST_SE_SF_SG_EUlST_E1_NS1_11comp_targetILNS1_3genE10ELNS1_11target_archE1201ELNS1_3gpuE5ELNS1_3repE0EEENS1_36merge_oddeven_config_static_selectorELNS0_4arch9wavefront6targetE1EEEvSF_
	.globl	_ZN7rocprim17ROCPRIM_400000_NS6detail17trampoline_kernelINS0_14default_configENS1_38merge_sort_block_merge_config_selectorIjNS0_10empty_typeEEEZZNS1_27merge_sort_block_merge_implIS3_PjPS5_jNS1_19radix_merge_compareILb0ELb1EjNS0_19identity_decomposerEEEEE10hipError_tT0_T1_T2_jT3_P12ihipStream_tbPNSt15iterator_traitsISE_E10value_typeEPNSK_ISF_E10value_typeEPSG_NS1_7vsmem_tEENKUlT_SE_SF_SG_E_clIS8_S8_S9_S9_EESD_ST_SE_SF_SG_EUlST_E1_NS1_11comp_targetILNS1_3genE10ELNS1_11target_archE1201ELNS1_3gpuE5ELNS1_3repE0EEENS1_36merge_oddeven_config_static_selectorELNS0_4arch9wavefront6targetE1EEEvSF_
	.p2align	8
	.type	_ZN7rocprim17ROCPRIM_400000_NS6detail17trampoline_kernelINS0_14default_configENS1_38merge_sort_block_merge_config_selectorIjNS0_10empty_typeEEEZZNS1_27merge_sort_block_merge_implIS3_PjPS5_jNS1_19radix_merge_compareILb0ELb1EjNS0_19identity_decomposerEEEEE10hipError_tT0_T1_T2_jT3_P12ihipStream_tbPNSt15iterator_traitsISE_E10value_typeEPNSK_ISF_E10value_typeEPSG_NS1_7vsmem_tEENKUlT_SE_SF_SG_E_clIS8_S8_S9_S9_EESD_ST_SE_SF_SG_EUlST_E1_NS1_11comp_targetILNS1_3genE10ELNS1_11target_archE1201ELNS1_3gpuE5ELNS1_3repE0EEENS1_36merge_oddeven_config_static_selectorELNS0_4arch9wavefront6targetE1EEEvSF_,@function
_ZN7rocprim17ROCPRIM_400000_NS6detail17trampoline_kernelINS0_14default_configENS1_38merge_sort_block_merge_config_selectorIjNS0_10empty_typeEEEZZNS1_27merge_sort_block_merge_implIS3_PjPS5_jNS1_19radix_merge_compareILb0ELb1EjNS0_19identity_decomposerEEEEE10hipError_tT0_T1_T2_jT3_P12ihipStream_tbPNSt15iterator_traitsISE_E10value_typeEPNSK_ISF_E10value_typeEPSG_NS1_7vsmem_tEENKUlT_SE_SF_SG_E_clIS8_S8_S9_S9_EESD_ST_SE_SF_SG_EUlST_E1_NS1_11comp_targetILNS1_3genE10ELNS1_11target_archE1201ELNS1_3gpuE5ELNS1_3repE0EEENS1_36merge_oddeven_config_static_selectorELNS0_4arch9wavefront6targetE1EEEvSF_: ; @_ZN7rocprim17ROCPRIM_400000_NS6detail17trampoline_kernelINS0_14default_configENS1_38merge_sort_block_merge_config_selectorIjNS0_10empty_typeEEEZZNS1_27merge_sort_block_merge_implIS3_PjPS5_jNS1_19radix_merge_compareILb0ELb1EjNS0_19identity_decomposerEEEEE10hipError_tT0_T1_T2_jT3_P12ihipStream_tbPNSt15iterator_traitsISE_E10value_typeEPNSK_ISF_E10value_typeEPSG_NS1_7vsmem_tEENKUlT_SE_SF_SG_E_clIS8_S8_S9_S9_EESD_ST_SE_SF_SG_EUlST_E1_NS1_11comp_targetILNS1_3genE10ELNS1_11target_archE1201ELNS1_3gpuE5ELNS1_3repE0EEENS1_36merge_oddeven_config_static_selectorELNS0_4arch9wavefront6targetE1EEEvSF_
; %bb.0:
	.section	.rodata,"a",@progbits
	.p2align	6, 0x0
	.amdhsa_kernel _ZN7rocprim17ROCPRIM_400000_NS6detail17trampoline_kernelINS0_14default_configENS1_38merge_sort_block_merge_config_selectorIjNS0_10empty_typeEEEZZNS1_27merge_sort_block_merge_implIS3_PjPS5_jNS1_19radix_merge_compareILb0ELb1EjNS0_19identity_decomposerEEEEE10hipError_tT0_T1_T2_jT3_P12ihipStream_tbPNSt15iterator_traitsISE_E10value_typeEPNSK_ISF_E10value_typeEPSG_NS1_7vsmem_tEENKUlT_SE_SF_SG_E_clIS8_S8_S9_S9_EESD_ST_SE_SF_SG_EUlST_E1_NS1_11comp_targetILNS1_3genE10ELNS1_11target_archE1201ELNS1_3gpuE5ELNS1_3repE0EEENS1_36merge_oddeven_config_static_selectorELNS0_4arch9wavefront6targetE1EEEvSF_
		.amdhsa_group_segment_fixed_size 0
		.amdhsa_private_segment_fixed_size 0
		.amdhsa_kernarg_size 48
		.amdhsa_user_sgpr_count 6
		.amdhsa_user_sgpr_private_segment_buffer 1
		.amdhsa_user_sgpr_dispatch_ptr 0
		.amdhsa_user_sgpr_queue_ptr 0
		.amdhsa_user_sgpr_kernarg_segment_ptr 1
		.amdhsa_user_sgpr_dispatch_id 0
		.amdhsa_user_sgpr_flat_scratch_init 0
		.amdhsa_user_sgpr_kernarg_preload_length 0
		.amdhsa_user_sgpr_kernarg_preload_offset 0
		.amdhsa_user_sgpr_private_segment_size 0
		.amdhsa_uses_dynamic_stack 0
		.amdhsa_system_sgpr_private_segment_wavefront_offset 0
		.amdhsa_system_sgpr_workgroup_id_x 1
		.amdhsa_system_sgpr_workgroup_id_y 0
		.amdhsa_system_sgpr_workgroup_id_z 0
		.amdhsa_system_sgpr_workgroup_info 0
		.amdhsa_system_vgpr_workitem_id 0
		.amdhsa_next_free_vgpr 1
		.amdhsa_next_free_sgpr 0
		.amdhsa_accum_offset 4
		.amdhsa_reserve_vcc 0
		.amdhsa_reserve_flat_scratch 0
		.amdhsa_float_round_mode_32 0
		.amdhsa_float_round_mode_16_64 0
		.amdhsa_float_denorm_mode_32 3
		.amdhsa_float_denorm_mode_16_64 3
		.amdhsa_dx10_clamp 1
		.amdhsa_ieee_mode 1
		.amdhsa_fp16_overflow 0
		.amdhsa_tg_split 0
		.amdhsa_exception_fp_ieee_invalid_op 0
		.amdhsa_exception_fp_denorm_src 0
		.amdhsa_exception_fp_ieee_div_zero 0
		.amdhsa_exception_fp_ieee_overflow 0
		.amdhsa_exception_fp_ieee_underflow 0
		.amdhsa_exception_fp_ieee_inexact 0
		.amdhsa_exception_int_div_zero 0
	.end_amdhsa_kernel
	.section	.text._ZN7rocprim17ROCPRIM_400000_NS6detail17trampoline_kernelINS0_14default_configENS1_38merge_sort_block_merge_config_selectorIjNS0_10empty_typeEEEZZNS1_27merge_sort_block_merge_implIS3_PjPS5_jNS1_19radix_merge_compareILb0ELb1EjNS0_19identity_decomposerEEEEE10hipError_tT0_T1_T2_jT3_P12ihipStream_tbPNSt15iterator_traitsISE_E10value_typeEPNSK_ISF_E10value_typeEPSG_NS1_7vsmem_tEENKUlT_SE_SF_SG_E_clIS8_S8_S9_S9_EESD_ST_SE_SF_SG_EUlST_E1_NS1_11comp_targetILNS1_3genE10ELNS1_11target_archE1201ELNS1_3gpuE5ELNS1_3repE0EEENS1_36merge_oddeven_config_static_selectorELNS0_4arch9wavefront6targetE1EEEvSF_,"axG",@progbits,_ZN7rocprim17ROCPRIM_400000_NS6detail17trampoline_kernelINS0_14default_configENS1_38merge_sort_block_merge_config_selectorIjNS0_10empty_typeEEEZZNS1_27merge_sort_block_merge_implIS3_PjPS5_jNS1_19radix_merge_compareILb0ELb1EjNS0_19identity_decomposerEEEEE10hipError_tT0_T1_T2_jT3_P12ihipStream_tbPNSt15iterator_traitsISE_E10value_typeEPNSK_ISF_E10value_typeEPSG_NS1_7vsmem_tEENKUlT_SE_SF_SG_E_clIS8_S8_S9_S9_EESD_ST_SE_SF_SG_EUlST_E1_NS1_11comp_targetILNS1_3genE10ELNS1_11target_archE1201ELNS1_3gpuE5ELNS1_3repE0EEENS1_36merge_oddeven_config_static_selectorELNS0_4arch9wavefront6targetE1EEEvSF_,comdat
.Lfunc_end735:
	.size	_ZN7rocprim17ROCPRIM_400000_NS6detail17trampoline_kernelINS0_14default_configENS1_38merge_sort_block_merge_config_selectorIjNS0_10empty_typeEEEZZNS1_27merge_sort_block_merge_implIS3_PjPS5_jNS1_19radix_merge_compareILb0ELb1EjNS0_19identity_decomposerEEEEE10hipError_tT0_T1_T2_jT3_P12ihipStream_tbPNSt15iterator_traitsISE_E10value_typeEPNSK_ISF_E10value_typeEPSG_NS1_7vsmem_tEENKUlT_SE_SF_SG_E_clIS8_S8_S9_S9_EESD_ST_SE_SF_SG_EUlST_E1_NS1_11comp_targetILNS1_3genE10ELNS1_11target_archE1201ELNS1_3gpuE5ELNS1_3repE0EEENS1_36merge_oddeven_config_static_selectorELNS0_4arch9wavefront6targetE1EEEvSF_, .Lfunc_end735-_ZN7rocprim17ROCPRIM_400000_NS6detail17trampoline_kernelINS0_14default_configENS1_38merge_sort_block_merge_config_selectorIjNS0_10empty_typeEEEZZNS1_27merge_sort_block_merge_implIS3_PjPS5_jNS1_19radix_merge_compareILb0ELb1EjNS0_19identity_decomposerEEEEE10hipError_tT0_T1_T2_jT3_P12ihipStream_tbPNSt15iterator_traitsISE_E10value_typeEPNSK_ISF_E10value_typeEPSG_NS1_7vsmem_tEENKUlT_SE_SF_SG_E_clIS8_S8_S9_S9_EESD_ST_SE_SF_SG_EUlST_E1_NS1_11comp_targetILNS1_3genE10ELNS1_11target_archE1201ELNS1_3gpuE5ELNS1_3repE0EEENS1_36merge_oddeven_config_static_selectorELNS0_4arch9wavefront6targetE1EEEvSF_
                                        ; -- End function
	.section	.AMDGPU.csdata,"",@progbits
; Kernel info:
; codeLenInByte = 0
; NumSgprs: 4
; NumVgprs: 0
; NumAgprs: 0
; TotalNumVgprs: 0
; ScratchSize: 0
; MemoryBound: 0
; FloatMode: 240
; IeeeMode: 1
; LDSByteSize: 0 bytes/workgroup (compile time only)
; SGPRBlocks: 0
; VGPRBlocks: 0
; NumSGPRsForWavesPerEU: 4
; NumVGPRsForWavesPerEU: 1
; AccumOffset: 4
; Occupancy: 8
; WaveLimiterHint : 0
; COMPUTE_PGM_RSRC2:SCRATCH_EN: 0
; COMPUTE_PGM_RSRC2:USER_SGPR: 6
; COMPUTE_PGM_RSRC2:TRAP_HANDLER: 0
; COMPUTE_PGM_RSRC2:TGID_X_EN: 1
; COMPUTE_PGM_RSRC2:TGID_Y_EN: 0
; COMPUTE_PGM_RSRC2:TGID_Z_EN: 0
; COMPUTE_PGM_RSRC2:TIDIG_COMP_CNT: 0
; COMPUTE_PGM_RSRC3_GFX90A:ACCUM_OFFSET: 0
; COMPUTE_PGM_RSRC3_GFX90A:TG_SPLIT: 0
	.section	.text._ZN7rocprim17ROCPRIM_400000_NS6detail17trampoline_kernelINS0_14default_configENS1_38merge_sort_block_merge_config_selectorIjNS0_10empty_typeEEEZZNS1_27merge_sort_block_merge_implIS3_PjPS5_jNS1_19radix_merge_compareILb0ELb1EjNS0_19identity_decomposerEEEEE10hipError_tT0_T1_T2_jT3_P12ihipStream_tbPNSt15iterator_traitsISE_E10value_typeEPNSK_ISF_E10value_typeEPSG_NS1_7vsmem_tEENKUlT_SE_SF_SG_E_clIS8_S8_S9_S9_EESD_ST_SE_SF_SG_EUlST_E1_NS1_11comp_targetILNS1_3genE5ELNS1_11target_archE942ELNS1_3gpuE9ELNS1_3repE0EEENS1_36merge_oddeven_config_static_selectorELNS0_4arch9wavefront6targetE1EEEvSF_,"axG",@progbits,_ZN7rocprim17ROCPRIM_400000_NS6detail17trampoline_kernelINS0_14default_configENS1_38merge_sort_block_merge_config_selectorIjNS0_10empty_typeEEEZZNS1_27merge_sort_block_merge_implIS3_PjPS5_jNS1_19radix_merge_compareILb0ELb1EjNS0_19identity_decomposerEEEEE10hipError_tT0_T1_T2_jT3_P12ihipStream_tbPNSt15iterator_traitsISE_E10value_typeEPNSK_ISF_E10value_typeEPSG_NS1_7vsmem_tEENKUlT_SE_SF_SG_E_clIS8_S8_S9_S9_EESD_ST_SE_SF_SG_EUlST_E1_NS1_11comp_targetILNS1_3genE5ELNS1_11target_archE942ELNS1_3gpuE9ELNS1_3repE0EEENS1_36merge_oddeven_config_static_selectorELNS0_4arch9wavefront6targetE1EEEvSF_,comdat
	.protected	_ZN7rocprim17ROCPRIM_400000_NS6detail17trampoline_kernelINS0_14default_configENS1_38merge_sort_block_merge_config_selectorIjNS0_10empty_typeEEEZZNS1_27merge_sort_block_merge_implIS3_PjPS5_jNS1_19radix_merge_compareILb0ELb1EjNS0_19identity_decomposerEEEEE10hipError_tT0_T1_T2_jT3_P12ihipStream_tbPNSt15iterator_traitsISE_E10value_typeEPNSK_ISF_E10value_typeEPSG_NS1_7vsmem_tEENKUlT_SE_SF_SG_E_clIS8_S8_S9_S9_EESD_ST_SE_SF_SG_EUlST_E1_NS1_11comp_targetILNS1_3genE5ELNS1_11target_archE942ELNS1_3gpuE9ELNS1_3repE0EEENS1_36merge_oddeven_config_static_selectorELNS0_4arch9wavefront6targetE1EEEvSF_ ; -- Begin function _ZN7rocprim17ROCPRIM_400000_NS6detail17trampoline_kernelINS0_14default_configENS1_38merge_sort_block_merge_config_selectorIjNS0_10empty_typeEEEZZNS1_27merge_sort_block_merge_implIS3_PjPS5_jNS1_19radix_merge_compareILb0ELb1EjNS0_19identity_decomposerEEEEE10hipError_tT0_T1_T2_jT3_P12ihipStream_tbPNSt15iterator_traitsISE_E10value_typeEPNSK_ISF_E10value_typeEPSG_NS1_7vsmem_tEENKUlT_SE_SF_SG_E_clIS8_S8_S9_S9_EESD_ST_SE_SF_SG_EUlST_E1_NS1_11comp_targetILNS1_3genE5ELNS1_11target_archE942ELNS1_3gpuE9ELNS1_3repE0EEENS1_36merge_oddeven_config_static_selectorELNS0_4arch9wavefront6targetE1EEEvSF_
	.globl	_ZN7rocprim17ROCPRIM_400000_NS6detail17trampoline_kernelINS0_14default_configENS1_38merge_sort_block_merge_config_selectorIjNS0_10empty_typeEEEZZNS1_27merge_sort_block_merge_implIS3_PjPS5_jNS1_19radix_merge_compareILb0ELb1EjNS0_19identity_decomposerEEEEE10hipError_tT0_T1_T2_jT3_P12ihipStream_tbPNSt15iterator_traitsISE_E10value_typeEPNSK_ISF_E10value_typeEPSG_NS1_7vsmem_tEENKUlT_SE_SF_SG_E_clIS8_S8_S9_S9_EESD_ST_SE_SF_SG_EUlST_E1_NS1_11comp_targetILNS1_3genE5ELNS1_11target_archE942ELNS1_3gpuE9ELNS1_3repE0EEENS1_36merge_oddeven_config_static_selectorELNS0_4arch9wavefront6targetE1EEEvSF_
	.p2align	8
	.type	_ZN7rocprim17ROCPRIM_400000_NS6detail17trampoline_kernelINS0_14default_configENS1_38merge_sort_block_merge_config_selectorIjNS0_10empty_typeEEEZZNS1_27merge_sort_block_merge_implIS3_PjPS5_jNS1_19radix_merge_compareILb0ELb1EjNS0_19identity_decomposerEEEEE10hipError_tT0_T1_T2_jT3_P12ihipStream_tbPNSt15iterator_traitsISE_E10value_typeEPNSK_ISF_E10value_typeEPSG_NS1_7vsmem_tEENKUlT_SE_SF_SG_E_clIS8_S8_S9_S9_EESD_ST_SE_SF_SG_EUlST_E1_NS1_11comp_targetILNS1_3genE5ELNS1_11target_archE942ELNS1_3gpuE9ELNS1_3repE0EEENS1_36merge_oddeven_config_static_selectorELNS0_4arch9wavefront6targetE1EEEvSF_,@function
_ZN7rocprim17ROCPRIM_400000_NS6detail17trampoline_kernelINS0_14default_configENS1_38merge_sort_block_merge_config_selectorIjNS0_10empty_typeEEEZZNS1_27merge_sort_block_merge_implIS3_PjPS5_jNS1_19radix_merge_compareILb0ELb1EjNS0_19identity_decomposerEEEEE10hipError_tT0_T1_T2_jT3_P12ihipStream_tbPNSt15iterator_traitsISE_E10value_typeEPNSK_ISF_E10value_typeEPSG_NS1_7vsmem_tEENKUlT_SE_SF_SG_E_clIS8_S8_S9_S9_EESD_ST_SE_SF_SG_EUlST_E1_NS1_11comp_targetILNS1_3genE5ELNS1_11target_archE942ELNS1_3gpuE9ELNS1_3repE0EEENS1_36merge_oddeven_config_static_selectorELNS0_4arch9wavefront6targetE1EEEvSF_: ; @_ZN7rocprim17ROCPRIM_400000_NS6detail17trampoline_kernelINS0_14default_configENS1_38merge_sort_block_merge_config_selectorIjNS0_10empty_typeEEEZZNS1_27merge_sort_block_merge_implIS3_PjPS5_jNS1_19radix_merge_compareILb0ELb1EjNS0_19identity_decomposerEEEEE10hipError_tT0_T1_T2_jT3_P12ihipStream_tbPNSt15iterator_traitsISE_E10value_typeEPNSK_ISF_E10value_typeEPSG_NS1_7vsmem_tEENKUlT_SE_SF_SG_E_clIS8_S8_S9_S9_EESD_ST_SE_SF_SG_EUlST_E1_NS1_11comp_targetILNS1_3genE5ELNS1_11target_archE942ELNS1_3gpuE9ELNS1_3repE0EEENS1_36merge_oddeven_config_static_selectorELNS0_4arch9wavefront6targetE1EEEvSF_
; %bb.0:
	.section	.rodata,"a",@progbits
	.p2align	6, 0x0
	.amdhsa_kernel _ZN7rocprim17ROCPRIM_400000_NS6detail17trampoline_kernelINS0_14default_configENS1_38merge_sort_block_merge_config_selectorIjNS0_10empty_typeEEEZZNS1_27merge_sort_block_merge_implIS3_PjPS5_jNS1_19radix_merge_compareILb0ELb1EjNS0_19identity_decomposerEEEEE10hipError_tT0_T1_T2_jT3_P12ihipStream_tbPNSt15iterator_traitsISE_E10value_typeEPNSK_ISF_E10value_typeEPSG_NS1_7vsmem_tEENKUlT_SE_SF_SG_E_clIS8_S8_S9_S9_EESD_ST_SE_SF_SG_EUlST_E1_NS1_11comp_targetILNS1_3genE5ELNS1_11target_archE942ELNS1_3gpuE9ELNS1_3repE0EEENS1_36merge_oddeven_config_static_selectorELNS0_4arch9wavefront6targetE1EEEvSF_
		.amdhsa_group_segment_fixed_size 0
		.amdhsa_private_segment_fixed_size 0
		.amdhsa_kernarg_size 48
		.amdhsa_user_sgpr_count 6
		.amdhsa_user_sgpr_private_segment_buffer 1
		.amdhsa_user_sgpr_dispatch_ptr 0
		.amdhsa_user_sgpr_queue_ptr 0
		.amdhsa_user_sgpr_kernarg_segment_ptr 1
		.amdhsa_user_sgpr_dispatch_id 0
		.amdhsa_user_sgpr_flat_scratch_init 0
		.amdhsa_user_sgpr_kernarg_preload_length 0
		.amdhsa_user_sgpr_kernarg_preload_offset 0
		.amdhsa_user_sgpr_private_segment_size 0
		.amdhsa_uses_dynamic_stack 0
		.amdhsa_system_sgpr_private_segment_wavefront_offset 0
		.amdhsa_system_sgpr_workgroup_id_x 1
		.amdhsa_system_sgpr_workgroup_id_y 0
		.amdhsa_system_sgpr_workgroup_id_z 0
		.amdhsa_system_sgpr_workgroup_info 0
		.amdhsa_system_vgpr_workitem_id 0
		.amdhsa_next_free_vgpr 1
		.amdhsa_next_free_sgpr 0
		.amdhsa_accum_offset 4
		.amdhsa_reserve_vcc 0
		.amdhsa_reserve_flat_scratch 0
		.amdhsa_float_round_mode_32 0
		.amdhsa_float_round_mode_16_64 0
		.amdhsa_float_denorm_mode_32 3
		.amdhsa_float_denorm_mode_16_64 3
		.amdhsa_dx10_clamp 1
		.amdhsa_ieee_mode 1
		.amdhsa_fp16_overflow 0
		.amdhsa_tg_split 0
		.amdhsa_exception_fp_ieee_invalid_op 0
		.amdhsa_exception_fp_denorm_src 0
		.amdhsa_exception_fp_ieee_div_zero 0
		.amdhsa_exception_fp_ieee_overflow 0
		.amdhsa_exception_fp_ieee_underflow 0
		.amdhsa_exception_fp_ieee_inexact 0
		.amdhsa_exception_int_div_zero 0
	.end_amdhsa_kernel
	.section	.text._ZN7rocprim17ROCPRIM_400000_NS6detail17trampoline_kernelINS0_14default_configENS1_38merge_sort_block_merge_config_selectorIjNS0_10empty_typeEEEZZNS1_27merge_sort_block_merge_implIS3_PjPS5_jNS1_19radix_merge_compareILb0ELb1EjNS0_19identity_decomposerEEEEE10hipError_tT0_T1_T2_jT3_P12ihipStream_tbPNSt15iterator_traitsISE_E10value_typeEPNSK_ISF_E10value_typeEPSG_NS1_7vsmem_tEENKUlT_SE_SF_SG_E_clIS8_S8_S9_S9_EESD_ST_SE_SF_SG_EUlST_E1_NS1_11comp_targetILNS1_3genE5ELNS1_11target_archE942ELNS1_3gpuE9ELNS1_3repE0EEENS1_36merge_oddeven_config_static_selectorELNS0_4arch9wavefront6targetE1EEEvSF_,"axG",@progbits,_ZN7rocprim17ROCPRIM_400000_NS6detail17trampoline_kernelINS0_14default_configENS1_38merge_sort_block_merge_config_selectorIjNS0_10empty_typeEEEZZNS1_27merge_sort_block_merge_implIS3_PjPS5_jNS1_19radix_merge_compareILb0ELb1EjNS0_19identity_decomposerEEEEE10hipError_tT0_T1_T2_jT3_P12ihipStream_tbPNSt15iterator_traitsISE_E10value_typeEPNSK_ISF_E10value_typeEPSG_NS1_7vsmem_tEENKUlT_SE_SF_SG_E_clIS8_S8_S9_S9_EESD_ST_SE_SF_SG_EUlST_E1_NS1_11comp_targetILNS1_3genE5ELNS1_11target_archE942ELNS1_3gpuE9ELNS1_3repE0EEENS1_36merge_oddeven_config_static_selectorELNS0_4arch9wavefront6targetE1EEEvSF_,comdat
.Lfunc_end736:
	.size	_ZN7rocprim17ROCPRIM_400000_NS6detail17trampoline_kernelINS0_14default_configENS1_38merge_sort_block_merge_config_selectorIjNS0_10empty_typeEEEZZNS1_27merge_sort_block_merge_implIS3_PjPS5_jNS1_19radix_merge_compareILb0ELb1EjNS0_19identity_decomposerEEEEE10hipError_tT0_T1_T2_jT3_P12ihipStream_tbPNSt15iterator_traitsISE_E10value_typeEPNSK_ISF_E10value_typeEPSG_NS1_7vsmem_tEENKUlT_SE_SF_SG_E_clIS8_S8_S9_S9_EESD_ST_SE_SF_SG_EUlST_E1_NS1_11comp_targetILNS1_3genE5ELNS1_11target_archE942ELNS1_3gpuE9ELNS1_3repE0EEENS1_36merge_oddeven_config_static_selectorELNS0_4arch9wavefront6targetE1EEEvSF_, .Lfunc_end736-_ZN7rocprim17ROCPRIM_400000_NS6detail17trampoline_kernelINS0_14default_configENS1_38merge_sort_block_merge_config_selectorIjNS0_10empty_typeEEEZZNS1_27merge_sort_block_merge_implIS3_PjPS5_jNS1_19radix_merge_compareILb0ELb1EjNS0_19identity_decomposerEEEEE10hipError_tT0_T1_T2_jT3_P12ihipStream_tbPNSt15iterator_traitsISE_E10value_typeEPNSK_ISF_E10value_typeEPSG_NS1_7vsmem_tEENKUlT_SE_SF_SG_E_clIS8_S8_S9_S9_EESD_ST_SE_SF_SG_EUlST_E1_NS1_11comp_targetILNS1_3genE5ELNS1_11target_archE942ELNS1_3gpuE9ELNS1_3repE0EEENS1_36merge_oddeven_config_static_selectorELNS0_4arch9wavefront6targetE1EEEvSF_
                                        ; -- End function
	.section	.AMDGPU.csdata,"",@progbits
; Kernel info:
; codeLenInByte = 0
; NumSgprs: 4
; NumVgprs: 0
; NumAgprs: 0
; TotalNumVgprs: 0
; ScratchSize: 0
; MemoryBound: 0
; FloatMode: 240
; IeeeMode: 1
; LDSByteSize: 0 bytes/workgroup (compile time only)
; SGPRBlocks: 0
; VGPRBlocks: 0
; NumSGPRsForWavesPerEU: 4
; NumVGPRsForWavesPerEU: 1
; AccumOffset: 4
; Occupancy: 8
; WaveLimiterHint : 0
; COMPUTE_PGM_RSRC2:SCRATCH_EN: 0
; COMPUTE_PGM_RSRC2:USER_SGPR: 6
; COMPUTE_PGM_RSRC2:TRAP_HANDLER: 0
; COMPUTE_PGM_RSRC2:TGID_X_EN: 1
; COMPUTE_PGM_RSRC2:TGID_Y_EN: 0
; COMPUTE_PGM_RSRC2:TGID_Z_EN: 0
; COMPUTE_PGM_RSRC2:TIDIG_COMP_CNT: 0
; COMPUTE_PGM_RSRC3_GFX90A:ACCUM_OFFSET: 0
; COMPUTE_PGM_RSRC3_GFX90A:TG_SPLIT: 0
	.section	.text._ZN7rocprim17ROCPRIM_400000_NS6detail17trampoline_kernelINS0_14default_configENS1_38merge_sort_block_merge_config_selectorIjNS0_10empty_typeEEEZZNS1_27merge_sort_block_merge_implIS3_PjPS5_jNS1_19radix_merge_compareILb0ELb1EjNS0_19identity_decomposerEEEEE10hipError_tT0_T1_T2_jT3_P12ihipStream_tbPNSt15iterator_traitsISE_E10value_typeEPNSK_ISF_E10value_typeEPSG_NS1_7vsmem_tEENKUlT_SE_SF_SG_E_clIS8_S8_S9_S9_EESD_ST_SE_SF_SG_EUlST_E1_NS1_11comp_targetILNS1_3genE4ELNS1_11target_archE910ELNS1_3gpuE8ELNS1_3repE0EEENS1_36merge_oddeven_config_static_selectorELNS0_4arch9wavefront6targetE1EEEvSF_,"axG",@progbits,_ZN7rocprim17ROCPRIM_400000_NS6detail17trampoline_kernelINS0_14default_configENS1_38merge_sort_block_merge_config_selectorIjNS0_10empty_typeEEEZZNS1_27merge_sort_block_merge_implIS3_PjPS5_jNS1_19radix_merge_compareILb0ELb1EjNS0_19identity_decomposerEEEEE10hipError_tT0_T1_T2_jT3_P12ihipStream_tbPNSt15iterator_traitsISE_E10value_typeEPNSK_ISF_E10value_typeEPSG_NS1_7vsmem_tEENKUlT_SE_SF_SG_E_clIS8_S8_S9_S9_EESD_ST_SE_SF_SG_EUlST_E1_NS1_11comp_targetILNS1_3genE4ELNS1_11target_archE910ELNS1_3gpuE8ELNS1_3repE0EEENS1_36merge_oddeven_config_static_selectorELNS0_4arch9wavefront6targetE1EEEvSF_,comdat
	.protected	_ZN7rocprim17ROCPRIM_400000_NS6detail17trampoline_kernelINS0_14default_configENS1_38merge_sort_block_merge_config_selectorIjNS0_10empty_typeEEEZZNS1_27merge_sort_block_merge_implIS3_PjPS5_jNS1_19radix_merge_compareILb0ELb1EjNS0_19identity_decomposerEEEEE10hipError_tT0_T1_T2_jT3_P12ihipStream_tbPNSt15iterator_traitsISE_E10value_typeEPNSK_ISF_E10value_typeEPSG_NS1_7vsmem_tEENKUlT_SE_SF_SG_E_clIS8_S8_S9_S9_EESD_ST_SE_SF_SG_EUlST_E1_NS1_11comp_targetILNS1_3genE4ELNS1_11target_archE910ELNS1_3gpuE8ELNS1_3repE0EEENS1_36merge_oddeven_config_static_selectorELNS0_4arch9wavefront6targetE1EEEvSF_ ; -- Begin function _ZN7rocprim17ROCPRIM_400000_NS6detail17trampoline_kernelINS0_14default_configENS1_38merge_sort_block_merge_config_selectorIjNS0_10empty_typeEEEZZNS1_27merge_sort_block_merge_implIS3_PjPS5_jNS1_19radix_merge_compareILb0ELb1EjNS0_19identity_decomposerEEEEE10hipError_tT0_T1_T2_jT3_P12ihipStream_tbPNSt15iterator_traitsISE_E10value_typeEPNSK_ISF_E10value_typeEPSG_NS1_7vsmem_tEENKUlT_SE_SF_SG_E_clIS8_S8_S9_S9_EESD_ST_SE_SF_SG_EUlST_E1_NS1_11comp_targetILNS1_3genE4ELNS1_11target_archE910ELNS1_3gpuE8ELNS1_3repE0EEENS1_36merge_oddeven_config_static_selectorELNS0_4arch9wavefront6targetE1EEEvSF_
	.globl	_ZN7rocprim17ROCPRIM_400000_NS6detail17trampoline_kernelINS0_14default_configENS1_38merge_sort_block_merge_config_selectorIjNS0_10empty_typeEEEZZNS1_27merge_sort_block_merge_implIS3_PjPS5_jNS1_19radix_merge_compareILb0ELb1EjNS0_19identity_decomposerEEEEE10hipError_tT0_T1_T2_jT3_P12ihipStream_tbPNSt15iterator_traitsISE_E10value_typeEPNSK_ISF_E10value_typeEPSG_NS1_7vsmem_tEENKUlT_SE_SF_SG_E_clIS8_S8_S9_S9_EESD_ST_SE_SF_SG_EUlST_E1_NS1_11comp_targetILNS1_3genE4ELNS1_11target_archE910ELNS1_3gpuE8ELNS1_3repE0EEENS1_36merge_oddeven_config_static_selectorELNS0_4arch9wavefront6targetE1EEEvSF_
	.p2align	8
	.type	_ZN7rocprim17ROCPRIM_400000_NS6detail17trampoline_kernelINS0_14default_configENS1_38merge_sort_block_merge_config_selectorIjNS0_10empty_typeEEEZZNS1_27merge_sort_block_merge_implIS3_PjPS5_jNS1_19radix_merge_compareILb0ELb1EjNS0_19identity_decomposerEEEEE10hipError_tT0_T1_T2_jT3_P12ihipStream_tbPNSt15iterator_traitsISE_E10value_typeEPNSK_ISF_E10value_typeEPSG_NS1_7vsmem_tEENKUlT_SE_SF_SG_E_clIS8_S8_S9_S9_EESD_ST_SE_SF_SG_EUlST_E1_NS1_11comp_targetILNS1_3genE4ELNS1_11target_archE910ELNS1_3gpuE8ELNS1_3repE0EEENS1_36merge_oddeven_config_static_selectorELNS0_4arch9wavefront6targetE1EEEvSF_,@function
_ZN7rocprim17ROCPRIM_400000_NS6detail17trampoline_kernelINS0_14default_configENS1_38merge_sort_block_merge_config_selectorIjNS0_10empty_typeEEEZZNS1_27merge_sort_block_merge_implIS3_PjPS5_jNS1_19radix_merge_compareILb0ELb1EjNS0_19identity_decomposerEEEEE10hipError_tT0_T1_T2_jT3_P12ihipStream_tbPNSt15iterator_traitsISE_E10value_typeEPNSK_ISF_E10value_typeEPSG_NS1_7vsmem_tEENKUlT_SE_SF_SG_E_clIS8_S8_S9_S9_EESD_ST_SE_SF_SG_EUlST_E1_NS1_11comp_targetILNS1_3genE4ELNS1_11target_archE910ELNS1_3gpuE8ELNS1_3repE0EEENS1_36merge_oddeven_config_static_selectorELNS0_4arch9wavefront6targetE1EEEvSF_: ; @_ZN7rocprim17ROCPRIM_400000_NS6detail17trampoline_kernelINS0_14default_configENS1_38merge_sort_block_merge_config_selectorIjNS0_10empty_typeEEEZZNS1_27merge_sort_block_merge_implIS3_PjPS5_jNS1_19radix_merge_compareILb0ELb1EjNS0_19identity_decomposerEEEEE10hipError_tT0_T1_T2_jT3_P12ihipStream_tbPNSt15iterator_traitsISE_E10value_typeEPNSK_ISF_E10value_typeEPSG_NS1_7vsmem_tEENKUlT_SE_SF_SG_E_clIS8_S8_S9_S9_EESD_ST_SE_SF_SG_EUlST_E1_NS1_11comp_targetILNS1_3genE4ELNS1_11target_archE910ELNS1_3gpuE8ELNS1_3repE0EEENS1_36merge_oddeven_config_static_selectorELNS0_4arch9wavefront6targetE1EEEvSF_
; %bb.0:
	s_load_dword s18, s[4:5], 0x20
	s_waitcnt lgkmcnt(0)
	s_lshr_b32 s0, s18, 8
	s_cmp_lg_u32 s6, s0
	s_cselect_b64 s[14:15], -1, 0
	s_cmp_eq_u32 s6, s0
	s_cselect_b64 s[12:13], -1, 0
	s_lshl_b32 s16, s6, 8
	s_sub_i32 s0, s18, s16
	v_cmp_gt_u32_e64 s[2:3], s0, v0
	s_or_b64 s[0:1], s[14:15], s[2:3]
	s_and_saveexec_b64 s[8:9], s[0:1]
	s_cbranch_execz .LBB737_20
; %bb.1:
	s_load_dwordx4 s[8:11], s[4:5], 0x0
	s_load_dword s19, s[4:5], 0x24
	s_mov_b32 s17, 0
	s_lshl_b64 s[0:1], s[16:17], 2
	v_lshlrev_b32_e32 v1, 2, v0
	s_waitcnt lgkmcnt(0)
	s_add_u32 s0, s8, s0
	s_addc_u32 s1, s9, s1
	global_load_dword v2, v1, s[0:1]
	s_lshr_b32 s0, s19, 8
	s_sub_i32 s1, 0, s0
	s_and_b32 s1, s6, s1
	s_and_b32 s0, s1, s0
	s_lshl_b32 s20, s1, 8
	s_sub_i32 s17, 0, s19
	s_cmp_eq_u32 s0, 0
	s_cselect_b64 s[0:1], -1, 0
	s_and_b64 s[6:7], s[0:1], exec
	s_cselect_b32 s17, s19, s17
	s_add_i32 s17, s17, s20
	s_cmp_lt_u32 s17, s18
	v_add_u32_e32 v0, s16, v0
	s_cbranch_scc1 .LBB737_3
; %bb.2:
	v_cmp_gt_u32_e32 vcc, s18, v0
	s_or_b64 s[6:7], vcc, s[14:15]
	s_and_b64 s[6:7], s[6:7], exec
	s_cbranch_execz .LBB737_4
	s_branch .LBB737_18
.LBB737_3:
	s_mov_b64 s[6:7], 0
.LBB737_4:
	s_load_dword s14, s[4:5], 0x28
	s_min_u32 s15, s17, s18
	s_add_i32 s4, s15, s19
	s_min_u32 s16, s4, s18
	s_min_u32 s4, s20, s15
	s_add_i32 s20, s20, s15
	v_subrev_u32_e32 v0, s20, v0
	v_add_u32_e32 v3, s4, v0
	s_and_b64 vcc, exec, s[12:13]
	s_cbranch_vccz .LBB737_12
; %bb.5:
                                        ; implicit-def: $vgpr0
	s_and_saveexec_b64 s[4:5], s[2:3]
	s_cbranch_execz .LBB737_11
; %bb.6:
	s_cmp_ge_u32 s17, s16
	v_mov_b32_e32 v4, s15
	s_cbranch_scc1 .LBB737_10
; %bb.7:
	s_waitcnt vmcnt(0) lgkmcnt(0)
	v_and_b32_e32 v5, s14, v2
	s_mov_b64 s[2:3], 0
	v_mov_b32_e32 v6, s16
	v_mov_b32_e32 v4, s15
	;; [unrolled: 1-line block ×4, first 2 shown]
.LBB737_8:                              ; =>This Inner Loop Header: Depth=1
	v_add_u32_e32 v0, v4, v6
	v_lshrrev_b32_e32 v0, 1, v0
	v_lshlrev_b64 v[8:9], 2, v[0:1]
	v_add_co_u32_e32 v8, vcc, s8, v8
	v_addc_co_u32_e32 v9, vcc, v7, v9, vcc
	global_load_dword v8, v[8:9], off
	v_add_u32_e32 v9, 1, v0
	s_waitcnt vmcnt(0)
	v_and_b32_e32 v8, s14, v8
	v_cmp_gt_u32_e32 vcc, v5, v8
	v_cndmask_b32_e64 v10, 0, 1, vcc
	v_cmp_le_u32_e32 vcc, v8, v5
	v_cndmask_b32_e64 v8, 0, 1, vcc
	v_cndmask_b32_e64 v8, v8, v10, s[0:1]
	v_and_b32_e32 v8, 1, v8
	v_cmp_eq_u32_e32 vcc, 1, v8
	v_cndmask_b32_e32 v6, v0, v6, vcc
	v_cndmask_b32_e32 v4, v4, v9, vcc
	v_cmp_ge_u32_e32 vcc, v4, v6
	s_or_b64 s[2:3], vcc, s[2:3]
	s_andn2_b64 exec, exec, s[2:3]
	s_cbranch_execnz .LBB737_8
; %bb.9:
	s_or_b64 exec, exec, s[2:3]
.LBB737_10:
	v_add_u32_e32 v0, v4, v3
	s_or_b64 s[6:7], s[6:7], exec
.LBB737_11:
	s_or_b64 exec, exec, s[4:5]
	s_branch .LBB737_18
.LBB737_12:
                                        ; implicit-def: $vgpr0
	s_cbranch_execz .LBB737_18
; %bb.13:
	s_cmp_ge_u32 s17, s16
	v_mov_b32_e32 v4, s15
	s_cbranch_scc1 .LBB737_17
; %bb.14:
	s_waitcnt vmcnt(0) lgkmcnt(0)
	v_and_b32_e32 v5, s14, v2
	s_mov_b64 s[2:3], 0
	v_mov_b32_e32 v6, s16
	v_mov_b32_e32 v4, s15
	;; [unrolled: 1-line block ×4, first 2 shown]
.LBB737_15:                             ; =>This Inner Loop Header: Depth=1
	v_add_u32_e32 v0, v4, v6
	v_lshrrev_b32_e32 v0, 1, v0
	v_lshlrev_b64 v[8:9], 2, v[0:1]
	v_add_co_u32_e32 v8, vcc, s8, v8
	v_addc_co_u32_e32 v9, vcc, v7, v9, vcc
	global_load_dword v8, v[8:9], off
	v_add_u32_e32 v9, 1, v0
	s_waitcnt vmcnt(0)
	v_and_b32_e32 v8, s14, v8
	v_cmp_gt_u32_e32 vcc, v5, v8
	v_cndmask_b32_e64 v10, 0, 1, vcc
	v_cmp_le_u32_e32 vcc, v8, v5
	v_cndmask_b32_e64 v8, 0, 1, vcc
	v_cndmask_b32_e64 v8, v8, v10, s[0:1]
	v_and_b32_e32 v8, 1, v8
	v_cmp_eq_u32_e32 vcc, 1, v8
	v_cndmask_b32_e32 v6, v0, v6, vcc
	v_cndmask_b32_e32 v4, v4, v9, vcc
	v_cmp_ge_u32_e32 vcc, v4, v6
	s_or_b64 s[2:3], vcc, s[2:3]
	s_andn2_b64 exec, exec, s[2:3]
	s_cbranch_execnz .LBB737_15
; %bb.16:
	s_or_b64 exec, exec, s[2:3]
.LBB737_17:
	v_add_u32_e32 v0, v4, v3
	s_mov_b64 s[6:7], -1
.LBB737_18:
	s_and_b64 exec, exec, s[6:7]
	s_cbranch_execz .LBB737_20
; %bb.19:
	v_mov_b32_e32 v1, 0
	v_lshlrev_b64 v[0:1], 2, v[0:1]
	v_mov_b32_e32 v3, s11
	v_add_co_u32_e32 v0, vcc, s10, v0
	v_addc_co_u32_e32 v1, vcc, v3, v1, vcc
	s_waitcnt vmcnt(0)
	global_store_dword v[0:1], v2, off
.LBB737_20:
	s_endpgm
	.section	.rodata,"a",@progbits
	.p2align	6, 0x0
	.amdhsa_kernel _ZN7rocprim17ROCPRIM_400000_NS6detail17trampoline_kernelINS0_14default_configENS1_38merge_sort_block_merge_config_selectorIjNS0_10empty_typeEEEZZNS1_27merge_sort_block_merge_implIS3_PjPS5_jNS1_19radix_merge_compareILb0ELb1EjNS0_19identity_decomposerEEEEE10hipError_tT0_T1_T2_jT3_P12ihipStream_tbPNSt15iterator_traitsISE_E10value_typeEPNSK_ISF_E10value_typeEPSG_NS1_7vsmem_tEENKUlT_SE_SF_SG_E_clIS8_S8_S9_S9_EESD_ST_SE_SF_SG_EUlST_E1_NS1_11comp_targetILNS1_3genE4ELNS1_11target_archE910ELNS1_3gpuE8ELNS1_3repE0EEENS1_36merge_oddeven_config_static_selectorELNS0_4arch9wavefront6targetE1EEEvSF_
		.amdhsa_group_segment_fixed_size 0
		.amdhsa_private_segment_fixed_size 0
		.amdhsa_kernarg_size 48
		.amdhsa_user_sgpr_count 6
		.amdhsa_user_sgpr_private_segment_buffer 1
		.amdhsa_user_sgpr_dispatch_ptr 0
		.amdhsa_user_sgpr_queue_ptr 0
		.amdhsa_user_sgpr_kernarg_segment_ptr 1
		.amdhsa_user_sgpr_dispatch_id 0
		.amdhsa_user_sgpr_flat_scratch_init 0
		.amdhsa_user_sgpr_kernarg_preload_length 0
		.amdhsa_user_sgpr_kernarg_preload_offset 0
		.amdhsa_user_sgpr_private_segment_size 0
		.amdhsa_uses_dynamic_stack 0
		.amdhsa_system_sgpr_private_segment_wavefront_offset 0
		.amdhsa_system_sgpr_workgroup_id_x 1
		.amdhsa_system_sgpr_workgroup_id_y 0
		.amdhsa_system_sgpr_workgroup_id_z 0
		.amdhsa_system_sgpr_workgroup_info 0
		.amdhsa_system_vgpr_workitem_id 0
		.amdhsa_next_free_vgpr 11
		.amdhsa_next_free_sgpr 21
		.amdhsa_accum_offset 12
		.amdhsa_reserve_vcc 1
		.amdhsa_reserve_flat_scratch 0
		.amdhsa_float_round_mode_32 0
		.amdhsa_float_round_mode_16_64 0
		.amdhsa_float_denorm_mode_32 3
		.amdhsa_float_denorm_mode_16_64 3
		.amdhsa_dx10_clamp 1
		.amdhsa_ieee_mode 1
		.amdhsa_fp16_overflow 0
		.amdhsa_tg_split 0
		.amdhsa_exception_fp_ieee_invalid_op 0
		.amdhsa_exception_fp_denorm_src 0
		.amdhsa_exception_fp_ieee_div_zero 0
		.amdhsa_exception_fp_ieee_overflow 0
		.amdhsa_exception_fp_ieee_underflow 0
		.amdhsa_exception_fp_ieee_inexact 0
		.amdhsa_exception_int_div_zero 0
	.end_amdhsa_kernel
	.section	.text._ZN7rocprim17ROCPRIM_400000_NS6detail17trampoline_kernelINS0_14default_configENS1_38merge_sort_block_merge_config_selectorIjNS0_10empty_typeEEEZZNS1_27merge_sort_block_merge_implIS3_PjPS5_jNS1_19radix_merge_compareILb0ELb1EjNS0_19identity_decomposerEEEEE10hipError_tT0_T1_T2_jT3_P12ihipStream_tbPNSt15iterator_traitsISE_E10value_typeEPNSK_ISF_E10value_typeEPSG_NS1_7vsmem_tEENKUlT_SE_SF_SG_E_clIS8_S8_S9_S9_EESD_ST_SE_SF_SG_EUlST_E1_NS1_11comp_targetILNS1_3genE4ELNS1_11target_archE910ELNS1_3gpuE8ELNS1_3repE0EEENS1_36merge_oddeven_config_static_selectorELNS0_4arch9wavefront6targetE1EEEvSF_,"axG",@progbits,_ZN7rocprim17ROCPRIM_400000_NS6detail17trampoline_kernelINS0_14default_configENS1_38merge_sort_block_merge_config_selectorIjNS0_10empty_typeEEEZZNS1_27merge_sort_block_merge_implIS3_PjPS5_jNS1_19radix_merge_compareILb0ELb1EjNS0_19identity_decomposerEEEEE10hipError_tT0_T1_T2_jT3_P12ihipStream_tbPNSt15iterator_traitsISE_E10value_typeEPNSK_ISF_E10value_typeEPSG_NS1_7vsmem_tEENKUlT_SE_SF_SG_E_clIS8_S8_S9_S9_EESD_ST_SE_SF_SG_EUlST_E1_NS1_11comp_targetILNS1_3genE4ELNS1_11target_archE910ELNS1_3gpuE8ELNS1_3repE0EEENS1_36merge_oddeven_config_static_selectorELNS0_4arch9wavefront6targetE1EEEvSF_,comdat
.Lfunc_end737:
	.size	_ZN7rocprim17ROCPRIM_400000_NS6detail17trampoline_kernelINS0_14default_configENS1_38merge_sort_block_merge_config_selectorIjNS0_10empty_typeEEEZZNS1_27merge_sort_block_merge_implIS3_PjPS5_jNS1_19radix_merge_compareILb0ELb1EjNS0_19identity_decomposerEEEEE10hipError_tT0_T1_T2_jT3_P12ihipStream_tbPNSt15iterator_traitsISE_E10value_typeEPNSK_ISF_E10value_typeEPSG_NS1_7vsmem_tEENKUlT_SE_SF_SG_E_clIS8_S8_S9_S9_EESD_ST_SE_SF_SG_EUlST_E1_NS1_11comp_targetILNS1_3genE4ELNS1_11target_archE910ELNS1_3gpuE8ELNS1_3repE0EEENS1_36merge_oddeven_config_static_selectorELNS0_4arch9wavefront6targetE1EEEvSF_, .Lfunc_end737-_ZN7rocprim17ROCPRIM_400000_NS6detail17trampoline_kernelINS0_14default_configENS1_38merge_sort_block_merge_config_selectorIjNS0_10empty_typeEEEZZNS1_27merge_sort_block_merge_implIS3_PjPS5_jNS1_19radix_merge_compareILb0ELb1EjNS0_19identity_decomposerEEEEE10hipError_tT0_T1_T2_jT3_P12ihipStream_tbPNSt15iterator_traitsISE_E10value_typeEPNSK_ISF_E10value_typeEPSG_NS1_7vsmem_tEENKUlT_SE_SF_SG_E_clIS8_S8_S9_S9_EESD_ST_SE_SF_SG_EUlST_E1_NS1_11comp_targetILNS1_3genE4ELNS1_11target_archE910ELNS1_3gpuE8ELNS1_3repE0EEENS1_36merge_oddeven_config_static_selectorELNS0_4arch9wavefront6targetE1EEEvSF_
                                        ; -- End function
	.section	.AMDGPU.csdata,"",@progbits
; Kernel info:
; codeLenInByte = 620
; NumSgprs: 25
; NumVgprs: 11
; NumAgprs: 0
; TotalNumVgprs: 11
; ScratchSize: 0
; MemoryBound: 0
; FloatMode: 240
; IeeeMode: 1
; LDSByteSize: 0 bytes/workgroup (compile time only)
; SGPRBlocks: 3
; VGPRBlocks: 1
; NumSGPRsForWavesPerEU: 25
; NumVGPRsForWavesPerEU: 11
; AccumOffset: 12
; Occupancy: 8
; WaveLimiterHint : 0
; COMPUTE_PGM_RSRC2:SCRATCH_EN: 0
; COMPUTE_PGM_RSRC2:USER_SGPR: 6
; COMPUTE_PGM_RSRC2:TRAP_HANDLER: 0
; COMPUTE_PGM_RSRC2:TGID_X_EN: 1
; COMPUTE_PGM_RSRC2:TGID_Y_EN: 0
; COMPUTE_PGM_RSRC2:TGID_Z_EN: 0
; COMPUTE_PGM_RSRC2:TIDIG_COMP_CNT: 0
; COMPUTE_PGM_RSRC3_GFX90A:ACCUM_OFFSET: 2
; COMPUTE_PGM_RSRC3_GFX90A:TG_SPLIT: 0
	.section	.text._ZN7rocprim17ROCPRIM_400000_NS6detail17trampoline_kernelINS0_14default_configENS1_38merge_sort_block_merge_config_selectorIjNS0_10empty_typeEEEZZNS1_27merge_sort_block_merge_implIS3_PjPS5_jNS1_19radix_merge_compareILb0ELb1EjNS0_19identity_decomposerEEEEE10hipError_tT0_T1_T2_jT3_P12ihipStream_tbPNSt15iterator_traitsISE_E10value_typeEPNSK_ISF_E10value_typeEPSG_NS1_7vsmem_tEENKUlT_SE_SF_SG_E_clIS8_S8_S9_S9_EESD_ST_SE_SF_SG_EUlST_E1_NS1_11comp_targetILNS1_3genE3ELNS1_11target_archE908ELNS1_3gpuE7ELNS1_3repE0EEENS1_36merge_oddeven_config_static_selectorELNS0_4arch9wavefront6targetE1EEEvSF_,"axG",@progbits,_ZN7rocprim17ROCPRIM_400000_NS6detail17trampoline_kernelINS0_14default_configENS1_38merge_sort_block_merge_config_selectorIjNS0_10empty_typeEEEZZNS1_27merge_sort_block_merge_implIS3_PjPS5_jNS1_19radix_merge_compareILb0ELb1EjNS0_19identity_decomposerEEEEE10hipError_tT0_T1_T2_jT3_P12ihipStream_tbPNSt15iterator_traitsISE_E10value_typeEPNSK_ISF_E10value_typeEPSG_NS1_7vsmem_tEENKUlT_SE_SF_SG_E_clIS8_S8_S9_S9_EESD_ST_SE_SF_SG_EUlST_E1_NS1_11comp_targetILNS1_3genE3ELNS1_11target_archE908ELNS1_3gpuE7ELNS1_3repE0EEENS1_36merge_oddeven_config_static_selectorELNS0_4arch9wavefront6targetE1EEEvSF_,comdat
	.protected	_ZN7rocprim17ROCPRIM_400000_NS6detail17trampoline_kernelINS0_14default_configENS1_38merge_sort_block_merge_config_selectorIjNS0_10empty_typeEEEZZNS1_27merge_sort_block_merge_implIS3_PjPS5_jNS1_19radix_merge_compareILb0ELb1EjNS0_19identity_decomposerEEEEE10hipError_tT0_T1_T2_jT3_P12ihipStream_tbPNSt15iterator_traitsISE_E10value_typeEPNSK_ISF_E10value_typeEPSG_NS1_7vsmem_tEENKUlT_SE_SF_SG_E_clIS8_S8_S9_S9_EESD_ST_SE_SF_SG_EUlST_E1_NS1_11comp_targetILNS1_3genE3ELNS1_11target_archE908ELNS1_3gpuE7ELNS1_3repE0EEENS1_36merge_oddeven_config_static_selectorELNS0_4arch9wavefront6targetE1EEEvSF_ ; -- Begin function _ZN7rocprim17ROCPRIM_400000_NS6detail17trampoline_kernelINS0_14default_configENS1_38merge_sort_block_merge_config_selectorIjNS0_10empty_typeEEEZZNS1_27merge_sort_block_merge_implIS3_PjPS5_jNS1_19radix_merge_compareILb0ELb1EjNS0_19identity_decomposerEEEEE10hipError_tT0_T1_T2_jT3_P12ihipStream_tbPNSt15iterator_traitsISE_E10value_typeEPNSK_ISF_E10value_typeEPSG_NS1_7vsmem_tEENKUlT_SE_SF_SG_E_clIS8_S8_S9_S9_EESD_ST_SE_SF_SG_EUlST_E1_NS1_11comp_targetILNS1_3genE3ELNS1_11target_archE908ELNS1_3gpuE7ELNS1_3repE0EEENS1_36merge_oddeven_config_static_selectorELNS0_4arch9wavefront6targetE1EEEvSF_
	.globl	_ZN7rocprim17ROCPRIM_400000_NS6detail17trampoline_kernelINS0_14default_configENS1_38merge_sort_block_merge_config_selectorIjNS0_10empty_typeEEEZZNS1_27merge_sort_block_merge_implIS3_PjPS5_jNS1_19radix_merge_compareILb0ELb1EjNS0_19identity_decomposerEEEEE10hipError_tT0_T1_T2_jT3_P12ihipStream_tbPNSt15iterator_traitsISE_E10value_typeEPNSK_ISF_E10value_typeEPSG_NS1_7vsmem_tEENKUlT_SE_SF_SG_E_clIS8_S8_S9_S9_EESD_ST_SE_SF_SG_EUlST_E1_NS1_11comp_targetILNS1_3genE3ELNS1_11target_archE908ELNS1_3gpuE7ELNS1_3repE0EEENS1_36merge_oddeven_config_static_selectorELNS0_4arch9wavefront6targetE1EEEvSF_
	.p2align	8
	.type	_ZN7rocprim17ROCPRIM_400000_NS6detail17trampoline_kernelINS0_14default_configENS1_38merge_sort_block_merge_config_selectorIjNS0_10empty_typeEEEZZNS1_27merge_sort_block_merge_implIS3_PjPS5_jNS1_19radix_merge_compareILb0ELb1EjNS0_19identity_decomposerEEEEE10hipError_tT0_T1_T2_jT3_P12ihipStream_tbPNSt15iterator_traitsISE_E10value_typeEPNSK_ISF_E10value_typeEPSG_NS1_7vsmem_tEENKUlT_SE_SF_SG_E_clIS8_S8_S9_S9_EESD_ST_SE_SF_SG_EUlST_E1_NS1_11comp_targetILNS1_3genE3ELNS1_11target_archE908ELNS1_3gpuE7ELNS1_3repE0EEENS1_36merge_oddeven_config_static_selectorELNS0_4arch9wavefront6targetE1EEEvSF_,@function
_ZN7rocprim17ROCPRIM_400000_NS6detail17trampoline_kernelINS0_14default_configENS1_38merge_sort_block_merge_config_selectorIjNS0_10empty_typeEEEZZNS1_27merge_sort_block_merge_implIS3_PjPS5_jNS1_19radix_merge_compareILb0ELb1EjNS0_19identity_decomposerEEEEE10hipError_tT0_T1_T2_jT3_P12ihipStream_tbPNSt15iterator_traitsISE_E10value_typeEPNSK_ISF_E10value_typeEPSG_NS1_7vsmem_tEENKUlT_SE_SF_SG_E_clIS8_S8_S9_S9_EESD_ST_SE_SF_SG_EUlST_E1_NS1_11comp_targetILNS1_3genE3ELNS1_11target_archE908ELNS1_3gpuE7ELNS1_3repE0EEENS1_36merge_oddeven_config_static_selectorELNS0_4arch9wavefront6targetE1EEEvSF_: ; @_ZN7rocprim17ROCPRIM_400000_NS6detail17trampoline_kernelINS0_14default_configENS1_38merge_sort_block_merge_config_selectorIjNS0_10empty_typeEEEZZNS1_27merge_sort_block_merge_implIS3_PjPS5_jNS1_19radix_merge_compareILb0ELb1EjNS0_19identity_decomposerEEEEE10hipError_tT0_T1_T2_jT3_P12ihipStream_tbPNSt15iterator_traitsISE_E10value_typeEPNSK_ISF_E10value_typeEPSG_NS1_7vsmem_tEENKUlT_SE_SF_SG_E_clIS8_S8_S9_S9_EESD_ST_SE_SF_SG_EUlST_E1_NS1_11comp_targetILNS1_3genE3ELNS1_11target_archE908ELNS1_3gpuE7ELNS1_3repE0EEENS1_36merge_oddeven_config_static_selectorELNS0_4arch9wavefront6targetE1EEEvSF_
; %bb.0:
	.section	.rodata,"a",@progbits
	.p2align	6, 0x0
	.amdhsa_kernel _ZN7rocprim17ROCPRIM_400000_NS6detail17trampoline_kernelINS0_14default_configENS1_38merge_sort_block_merge_config_selectorIjNS0_10empty_typeEEEZZNS1_27merge_sort_block_merge_implIS3_PjPS5_jNS1_19radix_merge_compareILb0ELb1EjNS0_19identity_decomposerEEEEE10hipError_tT0_T1_T2_jT3_P12ihipStream_tbPNSt15iterator_traitsISE_E10value_typeEPNSK_ISF_E10value_typeEPSG_NS1_7vsmem_tEENKUlT_SE_SF_SG_E_clIS8_S8_S9_S9_EESD_ST_SE_SF_SG_EUlST_E1_NS1_11comp_targetILNS1_3genE3ELNS1_11target_archE908ELNS1_3gpuE7ELNS1_3repE0EEENS1_36merge_oddeven_config_static_selectorELNS0_4arch9wavefront6targetE1EEEvSF_
		.amdhsa_group_segment_fixed_size 0
		.amdhsa_private_segment_fixed_size 0
		.amdhsa_kernarg_size 48
		.amdhsa_user_sgpr_count 6
		.amdhsa_user_sgpr_private_segment_buffer 1
		.amdhsa_user_sgpr_dispatch_ptr 0
		.amdhsa_user_sgpr_queue_ptr 0
		.amdhsa_user_sgpr_kernarg_segment_ptr 1
		.amdhsa_user_sgpr_dispatch_id 0
		.amdhsa_user_sgpr_flat_scratch_init 0
		.amdhsa_user_sgpr_kernarg_preload_length 0
		.amdhsa_user_sgpr_kernarg_preload_offset 0
		.amdhsa_user_sgpr_private_segment_size 0
		.amdhsa_uses_dynamic_stack 0
		.amdhsa_system_sgpr_private_segment_wavefront_offset 0
		.amdhsa_system_sgpr_workgroup_id_x 1
		.amdhsa_system_sgpr_workgroup_id_y 0
		.amdhsa_system_sgpr_workgroup_id_z 0
		.amdhsa_system_sgpr_workgroup_info 0
		.amdhsa_system_vgpr_workitem_id 0
		.amdhsa_next_free_vgpr 1
		.amdhsa_next_free_sgpr 0
		.amdhsa_accum_offset 4
		.amdhsa_reserve_vcc 0
		.amdhsa_reserve_flat_scratch 0
		.amdhsa_float_round_mode_32 0
		.amdhsa_float_round_mode_16_64 0
		.amdhsa_float_denorm_mode_32 3
		.amdhsa_float_denorm_mode_16_64 3
		.amdhsa_dx10_clamp 1
		.amdhsa_ieee_mode 1
		.amdhsa_fp16_overflow 0
		.amdhsa_tg_split 0
		.amdhsa_exception_fp_ieee_invalid_op 0
		.amdhsa_exception_fp_denorm_src 0
		.amdhsa_exception_fp_ieee_div_zero 0
		.amdhsa_exception_fp_ieee_overflow 0
		.amdhsa_exception_fp_ieee_underflow 0
		.amdhsa_exception_fp_ieee_inexact 0
		.amdhsa_exception_int_div_zero 0
	.end_amdhsa_kernel
	.section	.text._ZN7rocprim17ROCPRIM_400000_NS6detail17trampoline_kernelINS0_14default_configENS1_38merge_sort_block_merge_config_selectorIjNS0_10empty_typeEEEZZNS1_27merge_sort_block_merge_implIS3_PjPS5_jNS1_19radix_merge_compareILb0ELb1EjNS0_19identity_decomposerEEEEE10hipError_tT0_T1_T2_jT3_P12ihipStream_tbPNSt15iterator_traitsISE_E10value_typeEPNSK_ISF_E10value_typeEPSG_NS1_7vsmem_tEENKUlT_SE_SF_SG_E_clIS8_S8_S9_S9_EESD_ST_SE_SF_SG_EUlST_E1_NS1_11comp_targetILNS1_3genE3ELNS1_11target_archE908ELNS1_3gpuE7ELNS1_3repE0EEENS1_36merge_oddeven_config_static_selectorELNS0_4arch9wavefront6targetE1EEEvSF_,"axG",@progbits,_ZN7rocprim17ROCPRIM_400000_NS6detail17trampoline_kernelINS0_14default_configENS1_38merge_sort_block_merge_config_selectorIjNS0_10empty_typeEEEZZNS1_27merge_sort_block_merge_implIS3_PjPS5_jNS1_19radix_merge_compareILb0ELb1EjNS0_19identity_decomposerEEEEE10hipError_tT0_T1_T2_jT3_P12ihipStream_tbPNSt15iterator_traitsISE_E10value_typeEPNSK_ISF_E10value_typeEPSG_NS1_7vsmem_tEENKUlT_SE_SF_SG_E_clIS8_S8_S9_S9_EESD_ST_SE_SF_SG_EUlST_E1_NS1_11comp_targetILNS1_3genE3ELNS1_11target_archE908ELNS1_3gpuE7ELNS1_3repE0EEENS1_36merge_oddeven_config_static_selectorELNS0_4arch9wavefront6targetE1EEEvSF_,comdat
.Lfunc_end738:
	.size	_ZN7rocprim17ROCPRIM_400000_NS6detail17trampoline_kernelINS0_14default_configENS1_38merge_sort_block_merge_config_selectorIjNS0_10empty_typeEEEZZNS1_27merge_sort_block_merge_implIS3_PjPS5_jNS1_19radix_merge_compareILb0ELb1EjNS0_19identity_decomposerEEEEE10hipError_tT0_T1_T2_jT3_P12ihipStream_tbPNSt15iterator_traitsISE_E10value_typeEPNSK_ISF_E10value_typeEPSG_NS1_7vsmem_tEENKUlT_SE_SF_SG_E_clIS8_S8_S9_S9_EESD_ST_SE_SF_SG_EUlST_E1_NS1_11comp_targetILNS1_3genE3ELNS1_11target_archE908ELNS1_3gpuE7ELNS1_3repE0EEENS1_36merge_oddeven_config_static_selectorELNS0_4arch9wavefront6targetE1EEEvSF_, .Lfunc_end738-_ZN7rocprim17ROCPRIM_400000_NS6detail17trampoline_kernelINS0_14default_configENS1_38merge_sort_block_merge_config_selectorIjNS0_10empty_typeEEEZZNS1_27merge_sort_block_merge_implIS3_PjPS5_jNS1_19radix_merge_compareILb0ELb1EjNS0_19identity_decomposerEEEEE10hipError_tT0_T1_T2_jT3_P12ihipStream_tbPNSt15iterator_traitsISE_E10value_typeEPNSK_ISF_E10value_typeEPSG_NS1_7vsmem_tEENKUlT_SE_SF_SG_E_clIS8_S8_S9_S9_EESD_ST_SE_SF_SG_EUlST_E1_NS1_11comp_targetILNS1_3genE3ELNS1_11target_archE908ELNS1_3gpuE7ELNS1_3repE0EEENS1_36merge_oddeven_config_static_selectorELNS0_4arch9wavefront6targetE1EEEvSF_
                                        ; -- End function
	.section	.AMDGPU.csdata,"",@progbits
; Kernel info:
; codeLenInByte = 0
; NumSgprs: 4
; NumVgprs: 0
; NumAgprs: 0
; TotalNumVgprs: 0
; ScratchSize: 0
; MemoryBound: 0
; FloatMode: 240
; IeeeMode: 1
; LDSByteSize: 0 bytes/workgroup (compile time only)
; SGPRBlocks: 0
; VGPRBlocks: 0
; NumSGPRsForWavesPerEU: 4
; NumVGPRsForWavesPerEU: 1
; AccumOffset: 4
; Occupancy: 8
; WaveLimiterHint : 0
; COMPUTE_PGM_RSRC2:SCRATCH_EN: 0
; COMPUTE_PGM_RSRC2:USER_SGPR: 6
; COMPUTE_PGM_RSRC2:TRAP_HANDLER: 0
; COMPUTE_PGM_RSRC2:TGID_X_EN: 1
; COMPUTE_PGM_RSRC2:TGID_Y_EN: 0
; COMPUTE_PGM_RSRC2:TGID_Z_EN: 0
; COMPUTE_PGM_RSRC2:TIDIG_COMP_CNT: 0
; COMPUTE_PGM_RSRC3_GFX90A:ACCUM_OFFSET: 0
; COMPUTE_PGM_RSRC3_GFX90A:TG_SPLIT: 0
	.section	.text._ZN7rocprim17ROCPRIM_400000_NS6detail17trampoline_kernelINS0_14default_configENS1_38merge_sort_block_merge_config_selectorIjNS0_10empty_typeEEEZZNS1_27merge_sort_block_merge_implIS3_PjPS5_jNS1_19radix_merge_compareILb0ELb1EjNS0_19identity_decomposerEEEEE10hipError_tT0_T1_T2_jT3_P12ihipStream_tbPNSt15iterator_traitsISE_E10value_typeEPNSK_ISF_E10value_typeEPSG_NS1_7vsmem_tEENKUlT_SE_SF_SG_E_clIS8_S8_S9_S9_EESD_ST_SE_SF_SG_EUlST_E1_NS1_11comp_targetILNS1_3genE2ELNS1_11target_archE906ELNS1_3gpuE6ELNS1_3repE0EEENS1_36merge_oddeven_config_static_selectorELNS0_4arch9wavefront6targetE1EEEvSF_,"axG",@progbits,_ZN7rocprim17ROCPRIM_400000_NS6detail17trampoline_kernelINS0_14default_configENS1_38merge_sort_block_merge_config_selectorIjNS0_10empty_typeEEEZZNS1_27merge_sort_block_merge_implIS3_PjPS5_jNS1_19radix_merge_compareILb0ELb1EjNS0_19identity_decomposerEEEEE10hipError_tT0_T1_T2_jT3_P12ihipStream_tbPNSt15iterator_traitsISE_E10value_typeEPNSK_ISF_E10value_typeEPSG_NS1_7vsmem_tEENKUlT_SE_SF_SG_E_clIS8_S8_S9_S9_EESD_ST_SE_SF_SG_EUlST_E1_NS1_11comp_targetILNS1_3genE2ELNS1_11target_archE906ELNS1_3gpuE6ELNS1_3repE0EEENS1_36merge_oddeven_config_static_selectorELNS0_4arch9wavefront6targetE1EEEvSF_,comdat
	.protected	_ZN7rocprim17ROCPRIM_400000_NS6detail17trampoline_kernelINS0_14default_configENS1_38merge_sort_block_merge_config_selectorIjNS0_10empty_typeEEEZZNS1_27merge_sort_block_merge_implIS3_PjPS5_jNS1_19radix_merge_compareILb0ELb1EjNS0_19identity_decomposerEEEEE10hipError_tT0_T1_T2_jT3_P12ihipStream_tbPNSt15iterator_traitsISE_E10value_typeEPNSK_ISF_E10value_typeEPSG_NS1_7vsmem_tEENKUlT_SE_SF_SG_E_clIS8_S8_S9_S9_EESD_ST_SE_SF_SG_EUlST_E1_NS1_11comp_targetILNS1_3genE2ELNS1_11target_archE906ELNS1_3gpuE6ELNS1_3repE0EEENS1_36merge_oddeven_config_static_selectorELNS0_4arch9wavefront6targetE1EEEvSF_ ; -- Begin function _ZN7rocprim17ROCPRIM_400000_NS6detail17trampoline_kernelINS0_14default_configENS1_38merge_sort_block_merge_config_selectorIjNS0_10empty_typeEEEZZNS1_27merge_sort_block_merge_implIS3_PjPS5_jNS1_19radix_merge_compareILb0ELb1EjNS0_19identity_decomposerEEEEE10hipError_tT0_T1_T2_jT3_P12ihipStream_tbPNSt15iterator_traitsISE_E10value_typeEPNSK_ISF_E10value_typeEPSG_NS1_7vsmem_tEENKUlT_SE_SF_SG_E_clIS8_S8_S9_S9_EESD_ST_SE_SF_SG_EUlST_E1_NS1_11comp_targetILNS1_3genE2ELNS1_11target_archE906ELNS1_3gpuE6ELNS1_3repE0EEENS1_36merge_oddeven_config_static_selectorELNS0_4arch9wavefront6targetE1EEEvSF_
	.globl	_ZN7rocprim17ROCPRIM_400000_NS6detail17trampoline_kernelINS0_14default_configENS1_38merge_sort_block_merge_config_selectorIjNS0_10empty_typeEEEZZNS1_27merge_sort_block_merge_implIS3_PjPS5_jNS1_19radix_merge_compareILb0ELb1EjNS0_19identity_decomposerEEEEE10hipError_tT0_T1_T2_jT3_P12ihipStream_tbPNSt15iterator_traitsISE_E10value_typeEPNSK_ISF_E10value_typeEPSG_NS1_7vsmem_tEENKUlT_SE_SF_SG_E_clIS8_S8_S9_S9_EESD_ST_SE_SF_SG_EUlST_E1_NS1_11comp_targetILNS1_3genE2ELNS1_11target_archE906ELNS1_3gpuE6ELNS1_3repE0EEENS1_36merge_oddeven_config_static_selectorELNS0_4arch9wavefront6targetE1EEEvSF_
	.p2align	8
	.type	_ZN7rocprim17ROCPRIM_400000_NS6detail17trampoline_kernelINS0_14default_configENS1_38merge_sort_block_merge_config_selectorIjNS0_10empty_typeEEEZZNS1_27merge_sort_block_merge_implIS3_PjPS5_jNS1_19radix_merge_compareILb0ELb1EjNS0_19identity_decomposerEEEEE10hipError_tT0_T1_T2_jT3_P12ihipStream_tbPNSt15iterator_traitsISE_E10value_typeEPNSK_ISF_E10value_typeEPSG_NS1_7vsmem_tEENKUlT_SE_SF_SG_E_clIS8_S8_S9_S9_EESD_ST_SE_SF_SG_EUlST_E1_NS1_11comp_targetILNS1_3genE2ELNS1_11target_archE906ELNS1_3gpuE6ELNS1_3repE0EEENS1_36merge_oddeven_config_static_selectorELNS0_4arch9wavefront6targetE1EEEvSF_,@function
_ZN7rocprim17ROCPRIM_400000_NS6detail17trampoline_kernelINS0_14default_configENS1_38merge_sort_block_merge_config_selectorIjNS0_10empty_typeEEEZZNS1_27merge_sort_block_merge_implIS3_PjPS5_jNS1_19radix_merge_compareILb0ELb1EjNS0_19identity_decomposerEEEEE10hipError_tT0_T1_T2_jT3_P12ihipStream_tbPNSt15iterator_traitsISE_E10value_typeEPNSK_ISF_E10value_typeEPSG_NS1_7vsmem_tEENKUlT_SE_SF_SG_E_clIS8_S8_S9_S9_EESD_ST_SE_SF_SG_EUlST_E1_NS1_11comp_targetILNS1_3genE2ELNS1_11target_archE906ELNS1_3gpuE6ELNS1_3repE0EEENS1_36merge_oddeven_config_static_selectorELNS0_4arch9wavefront6targetE1EEEvSF_: ; @_ZN7rocprim17ROCPRIM_400000_NS6detail17trampoline_kernelINS0_14default_configENS1_38merge_sort_block_merge_config_selectorIjNS0_10empty_typeEEEZZNS1_27merge_sort_block_merge_implIS3_PjPS5_jNS1_19radix_merge_compareILb0ELb1EjNS0_19identity_decomposerEEEEE10hipError_tT0_T1_T2_jT3_P12ihipStream_tbPNSt15iterator_traitsISE_E10value_typeEPNSK_ISF_E10value_typeEPSG_NS1_7vsmem_tEENKUlT_SE_SF_SG_E_clIS8_S8_S9_S9_EESD_ST_SE_SF_SG_EUlST_E1_NS1_11comp_targetILNS1_3genE2ELNS1_11target_archE906ELNS1_3gpuE6ELNS1_3repE0EEENS1_36merge_oddeven_config_static_selectorELNS0_4arch9wavefront6targetE1EEEvSF_
; %bb.0:
	.section	.rodata,"a",@progbits
	.p2align	6, 0x0
	.amdhsa_kernel _ZN7rocprim17ROCPRIM_400000_NS6detail17trampoline_kernelINS0_14default_configENS1_38merge_sort_block_merge_config_selectorIjNS0_10empty_typeEEEZZNS1_27merge_sort_block_merge_implIS3_PjPS5_jNS1_19radix_merge_compareILb0ELb1EjNS0_19identity_decomposerEEEEE10hipError_tT0_T1_T2_jT3_P12ihipStream_tbPNSt15iterator_traitsISE_E10value_typeEPNSK_ISF_E10value_typeEPSG_NS1_7vsmem_tEENKUlT_SE_SF_SG_E_clIS8_S8_S9_S9_EESD_ST_SE_SF_SG_EUlST_E1_NS1_11comp_targetILNS1_3genE2ELNS1_11target_archE906ELNS1_3gpuE6ELNS1_3repE0EEENS1_36merge_oddeven_config_static_selectorELNS0_4arch9wavefront6targetE1EEEvSF_
		.amdhsa_group_segment_fixed_size 0
		.amdhsa_private_segment_fixed_size 0
		.amdhsa_kernarg_size 48
		.amdhsa_user_sgpr_count 6
		.amdhsa_user_sgpr_private_segment_buffer 1
		.amdhsa_user_sgpr_dispatch_ptr 0
		.amdhsa_user_sgpr_queue_ptr 0
		.amdhsa_user_sgpr_kernarg_segment_ptr 1
		.amdhsa_user_sgpr_dispatch_id 0
		.amdhsa_user_sgpr_flat_scratch_init 0
		.amdhsa_user_sgpr_kernarg_preload_length 0
		.amdhsa_user_sgpr_kernarg_preload_offset 0
		.amdhsa_user_sgpr_private_segment_size 0
		.amdhsa_uses_dynamic_stack 0
		.amdhsa_system_sgpr_private_segment_wavefront_offset 0
		.amdhsa_system_sgpr_workgroup_id_x 1
		.amdhsa_system_sgpr_workgroup_id_y 0
		.amdhsa_system_sgpr_workgroup_id_z 0
		.amdhsa_system_sgpr_workgroup_info 0
		.amdhsa_system_vgpr_workitem_id 0
		.amdhsa_next_free_vgpr 1
		.amdhsa_next_free_sgpr 0
		.amdhsa_accum_offset 4
		.amdhsa_reserve_vcc 0
		.amdhsa_reserve_flat_scratch 0
		.amdhsa_float_round_mode_32 0
		.amdhsa_float_round_mode_16_64 0
		.amdhsa_float_denorm_mode_32 3
		.amdhsa_float_denorm_mode_16_64 3
		.amdhsa_dx10_clamp 1
		.amdhsa_ieee_mode 1
		.amdhsa_fp16_overflow 0
		.amdhsa_tg_split 0
		.amdhsa_exception_fp_ieee_invalid_op 0
		.amdhsa_exception_fp_denorm_src 0
		.amdhsa_exception_fp_ieee_div_zero 0
		.amdhsa_exception_fp_ieee_overflow 0
		.amdhsa_exception_fp_ieee_underflow 0
		.amdhsa_exception_fp_ieee_inexact 0
		.amdhsa_exception_int_div_zero 0
	.end_amdhsa_kernel
	.section	.text._ZN7rocprim17ROCPRIM_400000_NS6detail17trampoline_kernelINS0_14default_configENS1_38merge_sort_block_merge_config_selectorIjNS0_10empty_typeEEEZZNS1_27merge_sort_block_merge_implIS3_PjPS5_jNS1_19radix_merge_compareILb0ELb1EjNS0_19identity_decomposerEEEEE10hipError_tT0_T1_T2_jT3_P12ihipStream_tbPNSt15iterator_traitsISE_E10value_typeEPNSK_ISF_E10value_typeEPSG_NS1_7vsmem_tEENKUlT_SE_SF_SG_E_clIS8_S8_S9_S9_EESD_ST_SE_SF_SG_EUlST_E1_NS1_11comp_targetILNS1_3genE2ELNS1_11target_archE906ELNS1_3gpuE6ELNS1_3repE0EEENS1_36merge_oddeven_config_static_selectorELNS0_4arch9wavefront6targetE1EEEvSF_,"axG",@progbits,_ZN7rocprim17ROCPRIM_400000_NS6detail17trampoline_kernelINS0_14default_configENS1_38merge_sort_block_merge_config_selectorIjNS0_10empty_typeEEEZZNS1_27merge_sort_block_merge_implIS3_PjPS5_jNS1_19radix_merge_compareILb0ELb1EjNS0_19identity_decomposerEEEEE10hipError_tT0_T1_T2_jT3_P12ihipStream_tbPNSt15iterator_traitsISE_E10value_typeEPNSK_ISF_E10value_typeEPSG_NS1_7vsmem_tEENKUlT_SE_SF_SG_E_clIS8_S8_S9_S9_EESD_ST_SE_SF_SG_EUlST_E1_NS1_11comp_targetILNS1_3genE2ELNS1_11target_archE906ELNS1_3gpuE6ELNS1_3repE0EEENS1_36merge_oddeven_config_static_selectorELNS0_4arch9wavefront6targetE1EEEvSF_,comdat
.Lfunc_end739:
	.size	_ZN7rocprim17ROCPRIM_400000_NS6detail17trampoline_kernelINS0_14default_configENS1_38merge_sort_block_merge_config_selectorIjNS0_10empty_typeEEEZZNS1_27merge_sort_block_merge_implIS3_PjPS5_jNS1_19radix_merge_compareILb0ELb1EjNS0_19identity_decomposerEEEEE10hipError_tT0_T1_T2_jT3_P12ihipStream_tbPNSt15iterator_traitsISE_E10value_typeEPNSK_ISF_E10value_typeEPSG_NS1_7vsmem_tEENKUlT_SE_SF_SG_E_clIS8_S8_S9_S9_EESD_ST_SE_SF_SG_EUlST_E1_NS1_11comp_targetILNS1_3genE2ELNS1_11target_archE906ELNS1_3gpuE6ELNS1_3repE0EEENS1_36merge_oddeven_config_static_selectorELNS0_4arch9wavefront6targetE1EEEvSF_, .Lfunc_end739-_ZN7rocprim17ROCPRIM_400000_NS6detail17trampoline_kernelINS0_14default_configENS1_38merge_sort_block_merge_config_selectorIjNS0_10empty_typeEEEZZNS1_27merge_sort_block_merge_implIS3_PjPS5_jNS1_19radix_merge_compareILb0ELb1EjNS0_19identity_decomposerEEEEE10hipError_tT0_T1_T2_jT3_P12ihipStream_tbPNSt15iterator_traitsISE_E10value_typeEPNSK_ISF_E10value_typeEPSG_NS1_7vsmem_tEENKUlT_SE_SF_SG_E_clIS8_S8_S9_S9_EESD_ST_SE_SF_SG_EUlST_E1_NS1_11comp_targetILNS1_3genE2ELNS1_11target_archE906ELNS1_3gpuE6ELNS1_3repE0EEENS1_36merge_oddeven_config_static_selectorELNS0_4arch9wavefront6targetE1EEEvSF_
                                        ; -- End function
	.section	.AMDGPU.csdata,"",@progbits
; Kernel info:
; codeLenInByte = 0
; NumSgprs: 4
; NumVgprs: 0
; NumAgprs: 0
; TotalNumVgprs: 0
; ScratchSize: 0
; MemoryBound: 0
; FloatMode: 240
; IeeeMode: 1
; LDSByteSize: 0 bytes/workgroup (compile time only)
; SGPRBlocks: 0
; VGPRBlocks: 0
; NumSGPRsForWavesPerEU: 4
; NumVGPRsForWavesPerEU: 1
; AccumOffset: 4
; Occupancy: 8
; WaveLimiterHint : 0
; COMPUTE_PGM_RSRC2:SCRATCH_EN: 0
; COMPUTE_PGM_RSRC2:USER_SGPR: 6
; COMPUTE_PGM_RSRC2:TRAP_HANDLER: 0
; COMPUTE_PGM_RSRC2:TGID_X_EN: 1
; COMPUTE_PGM_RSRC2:TGID_Y_EN: 0
; COMPUTE_PGM_RSRC2:TGID_Z_EN: 0
; COMPUTE_PGM_RSRC2:TIDIG_COMP_CNT: 0
; COMPUTE_PGM_RSRC3_GFX90A:ACCUM_OFFSET: 0
; COMPUTE_PGM_RSRC3_GFX90A:TG_SPLIT: 0
	.section	.text._ZN7rocprim17ROCPRIM_400000_NS6detail17trampoline_kernelINS0_14default_configENS1_38merge_sort_block_merge_config_selectorIjNS0_10empty_typeEEEZZNS1_27merge_sort_block_merge_implIS3_PjPS5_jNS1_19radix_merge_compareILb0ELb1EjNS0_19identity_decomposerEEEEE10hipError_tT0_T1_T2_jT3_P12ihipStream_tbPNSt15iterator_traitsISE_E10value_typeEPNSK_ISF_E10value_typeEPSG_NS1_7vsmem_tEENKUlT_SE_SF_SG_E_clIS8_S8_S9_S9_EESD_ST_SE_SF_SG_EUlST_E1_NS1_11comp_targetILNS1_3genE9ELNS1_11target_archE1100ELNS1_3gpuE3ELNS1_3repE0EEENS1_36merge_oddeven_config_static_selectorELNS0_4arch9wavefront6targetE1EEEvSF_,"axG",@progbits,_ZN7rocprim17ROCPRIM_400000_NS6detail17trampoline_kernelINS0_14default_configENS1_38merge_sort_block_merge_config_selectorIjNS0_10empty_typeEEEZZNS1_27merge_sort_block_merge_implIS3_PjPS5_jNS1_19radix_merge_compareILb0ELb1EjNS0_19identity_decomposerEEEEE10hipError_tT0_T1_T2_jT3_P12ihipStream_tbPNSt15iterator_traitsISE_E10value_typeEPNSK_ISF_E10value_typeEPSG_NS1_7vsmem_tEENKUlT_SE_SF_SG_E_clIS8_S8_S9_S9_EESD_ST_SE_SF_SG_EUlST_E1_NS1_11comp_targetILNS1_3genE9ELNS1_11target_archE1100ELNS1_3gpuE3ELNS1_3repE0EEENS1_36merge_oddeven_config_static_selectorELNS0_4arch9wavefront6targetE1EEEvSF_,comdat
	.protected	_ZN7rocprim17ROCPRIM_400000_NS6detail17trampoline_kernelINS0_14default_configENS1_38merge_sort_block_merge_config_selectorIjNS0_10empty_typeEEEZZNS1_27merge_sort_block_merge_implIS3_PjPS5_jNS1_19radix_merge_compareILb0ELb1EjNS0_19identity_decomposerEEEEE10hipError_tT0_T1_T2_jT3_P12ihipStream_tbPNSt15iterator_traitsISE_E10value_typeEPNSK_ISF_E10value_typeEPSG_NS1_7vsmem_tEENKUlT_SE_SF_SG_E_clIS8_S8_S9_S9_EESD_ST_SE_SF_SG_EUlST_E1_NS1_11comp_targetILNS1_3genE9ELNS1_11target_archE1100ELNS1_3gpuE3ELNS1_3repE0EEENS1_36merge_oddeven_config_static_selectorELNS0_4arch9wavefront6targetE1EEEvSF_ ; -- Begin function _ZN7rocprim17ROCPRIM_400000_NS6detail17trampoline_kernelINS0_14default_configENS1_38merge_sort_block_merge_config_selectorIjNS0_10empty_typeEEEZZNS1_27merge_sort_block_merge_implIS3_PjPS5_jNS1_19radix_merge_compareILb0ELb1EjNS0_19identity_decomposerEEEEE10hipError_tT0_T1_T2_jT3_P12ihipStream_tbPNSt15iterator_traitsISE_E10value_typeEPNSK_ISF_E10value_typeEPSG_NS1_7vsmem_tEENKUlT_SE_SF_SG_E_clIS8_S8_S9_S9_EESD_ST_SE_SF_SG_EUlST_E1_NS1_11comp_targetILNS1_3genE9ELNS1_11target_archE1100ELNS1_3gpuE3ELNS1_3repE0EEENS1_36merge_oddeven_config_static_selectorELNS0_4arch9wavefront6targetE1EEEvSF_
	.globl	_ZN7rocprim17ROCPRIM_400000_NS6detail17trampoline_kernelINS0_14default_configENS1_38merge_sort_block_merge_config_selectorIjNS0_10empty_typeEEEZZNS1_27merge_sort_block_merge_implIS3_PjPS5_jNS1_19radix_merge_compareILb0ELb1EjNS0_19identity_decomposerEEEEE10hipError_tT0_T1_T2_jT3_P12ihipStream_tbPNSt15iterator_traitsISE_E10value_typeEPNSK_ISF_E10value_typeEPSG_NS1_7vsmem_tEENKUlT_SE_SF_SG_E_clIS8_S8_S9_S9_EESD_ST_SE_SF_SG_EUlST_E1_NS1_11comp_targetILNS1_3genE9ELNS1_11target_archE1100ELNS1_3gpuE3ELNS1_3repE0EEENS1_36merge_oddeven_config_static_selectorELNS0_4arch9wavefront6targetE1EEEvSF_
	.p2align	8
	.type	_ZN7rocprim17ROCPRIM_400000_NS6detail17trampoline_kernelINS0_14default_configENS1_38merge_sort_block_merge_config_selectorIjNS0_10empty_typeEEEZZNS1_27merge_sort_block_merge_implIS3_PjPS5_jNS1_19radix_merge_compareILb0ELb1EjNS0_19identity_decomposerEEEEE10hipError_tT0_T1_T2_jT3_P12ihipStream_tbPNSt15iterator_traitsISE_E10value_typeEPNSK_ISF_E10value_typeEPSG_NS1_7vsmem_tEENKUlT_SE_SF_SG_E_clIS8_S8_S9_S9_EESD_ST_SE_SF_SG_EUlST_E1_NS1_11comp_targetILNS1_3genE9ELNS1_11target_archE1100ELNS1_3gpuE3ELNS1_3repE0EEENS1_36merge_oddeven_config_static_selectorELNS0_4arch9wavefront6targetE1EEEvSF_,@function
_ZN7rocprim17ROCPRIM_400000_NS6detail17trampoline_kernelINS0_14default_configENS1_38merge_sort_block_merge_config_selectorIjNS0_10empty_typeEEEZZNS1_27merge_sort_block_merge_implIS3_PjPS5_jNS1_19radix_merge_compareILb0ELb1EjNS0_19identity_decomposerEEEEE10hipError_tT0_T1_T2_jT3_P12ihipStream_tbPNSt15iterator_traitsISE_E10value_typeEPNSK_ISF_E10value_typeEPSG_NS1_7vsmem_tEENKUlT_SE_SF_SG_E_clIS8_S8_S9_S9_EESD_ST_SE_SF_SG_EUlST_E1_NS1_11comp_targetILNS1_3genE9ELNS1_11target_archE1100ELNS1_3gpuE3ELNS1_3repE0EEENS1_36merge_oddeven_config_static_selectorELNS0_4arch9wavefront6targetE1EEEvSF_: ; @_ZN7rocprim17ROCPRIM_400000_NS6detail17trampoline_kernelINS0_14default_configENS1_38merge_sort_block_merge_config_selectorIjNS0_10empty_typeEEEZZNS1_27merge_sort_block_merge_implIS3_PjPS5_jNS1_19radix_merge_compareILb0ELb1EjNS0_19identity_decomposerEEEEE10hipError_tT0_T1_T2_jT3_P12ihipStream_tbPNSt15iterator_traitsISE_E10value_typeEPNSK_ISF_E10value_typeEPSG_NS1_7vsmem_tEENKUlT_SE_SF_SG_E_clIS8_S8_S9_S9_EESD_ST_SE_SF_SG_EUlST_E1_NS1_11comp_targetILNS1_3genE9ELNS1_11target_archE1100ELNS1_3gpuE3ELNS1_3repE0EEENS1_36merge_oddeven_config_static_selectorELNS0_4arch9wavefront6targetE1EEEvSF_
; %bb.0:
	.section	.rodata,"a",@progbits
	.p2align	6, 0x0
	.amdhsa_kernel _ZN7rocprim17ROCPRIM_400000_NS6detail17trampoline_kernelINS0_14default_configENS1_38merge_sort_block_merge_config_selectorIjNS0_10empty_typeEEEZZNS1_27merge_sort_block_merge_implIS3_PjPS5_jNS1_19radix_merge_compareILb0ELb1EjNS0_19identity_decomposerEEEEE10hipError_tT0_T1_T2_jT3_P12ihipStream_tbPNSt15iterator_traitsISE_E10value_typeEPNSK_ISF_E10value_typeEPSG_NS1_7vsmem_tEENKUlT_SE_SF_SG_E_clIS8_S8_S9_S9_EESD_ST_SE_SF_SG_EUlST_E1_NS1_11comp_targetILNS1_3genE9ELNS1_11target_archE1100ELNS1_3gpuE3ELNS1_3repE0EEENS1_36merge_oddeven_config_static_selectorELNS0_4arch9wavefront6targetE1EEEvSF_
		.amdhsa_group_segment_fixed_size 0
		.amdhsa_private_segment_fixed_size 0
		.amdhsa_kernarg_size 48
		.amdhsa_user_sgpr_count 6
		.amdhsa_user_sgpr_private_segment_buffer 1
		.amdhsa_user_sgpr_dispatch_ptr 0
		.amdhsa_user_sgpr_queue_ptr 0
		.amdhsa_user_sgpr_kernarg_segment_ptr 1
		.amdhsa_user_sgpr_dispatch_id 0
		.amdhsa_user_sgpr_flat_scratch_init 0
		.amdhsa_user_sgpr_kernarg_preload_length 0
		.amdhsa_user_sgpr_kernarg_preload_offset 0
		.amdhsa_user_sgpr_private_segment_size 0
		.amdhsa_uses_dynamic_stack 0
		.amdhsa_system_sgpr_private_segment_wavefront_offset 0
		.amdhsa_system_sgpr_workgroup_id_x 1
		.amdhsa_system_sgpr_workgroup_id_y 0
		.amdhsa_system_sgpr_workgroup_id_z 0
		.amdhsa_system_sgpr_workgroup_info 0
		.amdhsa_system_vgpr_workitem_id 0
		.amdhsa_next_free_vgpr 1
		.amdhsa_next_free_sgpr 0
		.amdhsa_accum_offset 4
		.amdhsa_reserve_vcc 0
		.amdhsa_reserve_flat_scratch 0
		.amdhsa_float_round_mode_32 0
		.amdhsa_float_round_mode_16_64 0
		.amdhsa_float_denorm_mode_32 3
		.amdhsa_float_denorm_mode_16_64 3
		.amdhsa_dx10_clamp 1
		.amdhsa_ieee_mode 1
		.amdhsa_fp16_overflow 0
		.amdhsa_tg_split 0
		.amdhsa_exception_fp_ieee_invalid_op 0
		.amdhsa_exception_fp_denorm_src 0
		.amdhsa_exception_fp_ieee_div_zero 0
		.amdhsa_exception_fp_ieee_overflow 0
		.amdhsa_exception_fp_ieee_underflow 0
		.amdhsa_exception_fp_ieee_inexact 0
		.amdhsa_exception_int_div_zero 0
	.end_amdhsa_kernel
	.section	.text._ZN7rocprim17ROCPRIM_400000_NS6detail17trampoline_kernelINS0_14default_configENS1_38merge_sort_block_merge_config_selectorIjNS0_10empty_typeEEEZZNS1_27merge_sort_block_merge_implIS3_PjPS5_jNS1_19radix_merge_compareILb0ELb1EjNS0_19identity_decomposerEEEEE10hipError_tT0_T1_T2_jT3_P12ihipStream_tbPNSt15iterator_traitsISE_E10value_typeEPNSK_ISF_E10value_typeEPSG_NS1_7vsmem_tEENKUlT_SE_SF_SG_E_clIS8_S8_S9_S9_EESD_ST_SE_SF_SG_EUlST_E1_NS1_11comp_targetILNS1_3genE9ELNS1_11target_archE1100ELNS1_3gpuE3ELNS1_3repE0EEENS1_36merge_oddeven_config_static_selectorELNS0_4arch9wavefront6targetE1EEEvSF_,"axG",@progbits,_ZN7rocprim17ROCPRIM_400000_NS6detail17trampoline_kernelINS0_14default_configENS1_38merge_sort_block_merge_config_selectorIjNS0_10empty_typeEEEZZNS1_27merge_sort_block_merge_implIS3_PjPS5_jNS1_19radix_merge_compareILb0ELb1EjNS0_19identity_decomposerEEEEE10hipError_tT0_T1_T2_jT3_P12ihipStream_tbPNSt15iterator_traitsISE_E10value_typeEPNSK_ISF_E10value_typeEPSG_NS1_7vsmem_tEENKUlT_SE_SF_SG_E_clIS8_S8_S9_S9_EESD_ST_SE_SF_SG_EUlST_E1_NS1_11comp_targetILNS1_3genE9ELNS1_11target_archE1100ELNS1_3gpuE3ELNS1_3repE0EEENS1_36merge_oddeven_config_static_selectorELNS0_4arch9wavefront6targetE1EEEvSF_,comdat
.Lfunc_end740:
	.size	_ZN7rocprim17ROCPRIM_400000_NS6detail17trampoline_kernelINS0_14default_configENS1_38merge_sort_block_merge_config_selectorIjNS0_10empty_typeEEEZZNS1_27merge_sort_block_merge_implIS3_PjPS5_jNS1_19radix_merge_compareILb0ELb1EjNS0_19identity_decomposerEEEEE10hipError_tT0_T1_T2_jT3_P12ihipStream_tbPNSt15iterator_traitsISE_E10value_typeEPNSK_ISF_E10value_typeEPSG_NS1_7vsmem_tEENKUlT_SE_SF_SG_E_clIS8_S8_S9_S9_EESD_ST_SE_SF_SG_EUlST_E1_NS1_11comp_targetILNS1_3genE9ELNS1_11target_archE1100ELNS1_3gpuE3ELNS1_3repE0EEENS1_36merge_oddeven_config_static_selectorELNS0_4arch9wavefront6targetE1EEEvSF_, .Lfunc_end740-_ZN7rocprim17ROCPRIM_400000_NS6detail17trampoline_kernelINS0_14default_configENS1_38merge_sort_block_merge_config_selectorIjNS0_10empty_typeEEEZZNS1_27merge_sort_block_merge_implIS3_PjPS5_jNS1_19radix_merge_compareILb0ELb1EjNS0_19identity_decomposerEEEEE10hipError_tT0_T1_T2_jT3_P12ihipStream_tbPNSt15iterator_traitsISE_E10value_typeEPNSK_ISF_E10value_typeEPSG_NS1_7vsmem_tEENKUlT_SE_SF_SG_E_clIS8_S8_S9_S9_EESD_ST_SE_SF_SG_EUlST_E1_NS1_11comp_targetILNS1_3genE9ELNS1_11target_archE1100ELNS1_3gpuE3ELNS1_3repE0EEENS1_36merge_oddeven_config_static_selectorELNS0_4arch9wavefront6targetE1EEEvSF_
                                        ; -- End function
	.section	.AMDGPU.csdata,"",@progbits
; Kernel info:
; codeLenInByte = 0
; NumSgprs: 4
; NumVgprs: 0
; NumAgprs: 0
; TotalNumVgprs: 0
; ScratchSize: 0
; MemoryBound: 0
; FloatMode: 240
; IeeeMode: 1
; LDSByteSize: 0 bytes/workgroup (compile time only)
; SGPRBlocks: 0
; VGPRBlocks: 0
; NumSGPRsForWavesPerEU: 4
; NumVGPRsForWavesPerEU: 1
; AccumOffset: 4
; Occupancy: 8
; WaveLimiterHint : 0
; COMPUTE_PGM_RSRC2:SCRATCH_EN: 0
; COMPUTE_PGM_RSRC2:USER_SGPR: 6
; COMPUTE_PGM_RSRC2:TRAP_HANDLER: 0
; COMPUTE_PGM_RSRC2:TGID_X_EN: 1
; COMPUTE_PGM_RSRC2:TGID_Y_EN: 0
; COMPUTE_PGM_RSRC2:TGID_Z_EN: 0
; COMPUTE_PGM_RSRC2:TIDIG_COMP_CNT: 0
; COMPUTE_PGM_RSRC3_GFX90A:ACCUM_OFFSET: 0
; COMPUTE_PGM_RSRC3_GFX90A:TG_SPLIT: 0
	.section	.text._ZN7rocprim17ROCPRIM_400000_NS6detail17trampoline_kernelINS0_14default_configENS1_38merge_sort_block_merge_config_selectorIjNS0_10empty_typeEEEZZNS1_27merge_sort_block_merge_implIS3_PjPS5_jNS1_19radix_merge_compareILb0ELb1EjNS0_19identity_decomposerEEEEE10hipError_tT0_T1_T2_jT3_P12ihipStream_tbPNSt15iterator_traitsISE_E10value_typeEPNSK_ISF_E10value_typeEPSG_NS1_7vsmem_tEENKUlT_SE_SF_SG_E_clIS8_S8_S9_S9_EESD_ST_SE_SF_SG_EUlST_E1_NS1_11comp_targetILNS1_3genE8ELNS1_11target_archE1030ELNS1_3gpuE2ELNS1_3repE0EEENS1_36merge_oddeven_config_static_selectorELNS0_4arch9wavefront6targetE1EEEvSF_,"axG",@progbits,_ZN7rocprim17ROCPRIM_400000_NS6detail17trampoline_kernelINS0_14default_configENS1_38merge_sort_block_merge_config_selectorIjNS0_10empty_typeEEEZZNS1_27merge_sort_block_merge_implIS3_PjPS5_jNS1_19radix_merge_compareILb0ELb1EjNS0_19identity_decomposerEEEEE10hipError_tT0_T1_T2_jT3_P12ihipStream_tbPNSt15iterator_traitsISE_E10value_typeEPNSK_ISF_E10value_typeEPSG_NS1_7vsmem_tEENKUlT_SE_SF_SG_E_clIS8_S8_S9_S9_EESD_ST_SE_SF_SG_EUlST_E1_NS1_11comp_targetILNS1_3genE8ELNS1_11target_archE1030ELNS1_3gpuE2ELNS1_3repE0EEENS1_36merge_oddeven_config_static_selectorELNS0_4arch9wavefront6targetE1EEEvSF_,comdat
	.protected	_ZN7rocprim17ROCPRIM_400000_NS6detail17trampoline_kernelINS0_14default_configENS1_38merge_sort_block_merge_config_selectorIjNS0_10empty_typeEEEZZNS1_27merge_sort_block_merge_implIS3_PjPS5_jNS1_19radix_merge_compareILb0ELb1EjNS0_19identity_decomposerEEEEE10hipError_tT0_T1_T2_jT3_P12ihipStream_tbPNSt15iterator_traitsISE_E10value_typeEPNSK_ISF_E10value_typeEPSG_NS1_7vsmem_tEENKUlT_SE_SF_SG_E_clIS8_S8_S9_S9_EESD_ST_SE_SF_SG_EUlST_E1_NS1_11comp_targetILNS1_3genE8ELNS1_11target_archE1030ELNS1_3gpuE2ELNS1_3repE0EEENS1_36merge_oddeven_config_static_selectorELNS0_4arch9wavefront6targetE1EEEvSF_ ; -- Begin function _ZN7rocprim17ROCPRIM_400000_NS6detail17trampoline_kernelINS0_14default_configENS1_38merge_sort_block_merge_config_selectorIjNS0_10empty_typeEEEZZNS1_27merge_sort_block_merge_implIS3_PjPS5_jNS1_19radix_merge_compareILb0ELb1EjNS0_19identity_decomposerEEEEE10hipError_tT0_T1_T2_jT3_P12ihipStream_tbPNSt15iterator_traitsISE_E10value_typeEPNSK_ISF_E10value_typeEPSG_NS1_7vsmem_tEENKUlT_SE_SF_SG_E_clIS8_S8_S9_S9_EESD_ST_SE_SF_SG_EUlST_E1_NS1_11comp_targetILNS1_3genE8ELNS1_11target_archE1030ELNS1_3gpuE2ELNS1_3repE0EEENS1_36merge_oddeven_config_static_selectorELNS0_4arch9wavefront6targetE1EEEvSF_
	.globl	_ZN7rocprim17ROCPRIM_400000_NS6detail17trampoline_kernelINS0_14default_configENS1_38merge_sort_block_merge_config_selectorIjNS0_10empty_typeEEEZZNS1_27merge_sort_block_merge_implIS3_PjPS5_jNS1_19radix_merge_compareILb0ELb1EjNS0_19identity_decomposerEEEEE10hipError_tT0_T1_T2_jT3_P12ihipStream_tbPNSt15iterator_traitsISE_E10value_typeEPNSK_ISF_E10value_typeEPSG_NS1_7vsmem_tEENKUlT_SE_SF_SG_E_clIS8_S8_S9_S9_EESD_ST_SE_SF_SG_EUlST_E1_NS1_11comp_targetILNS1_3genE8ELNS1_11target_archE1030ELNS1_3gpuE2ELNS1_3repE0EEENS1_36merge_oddeven_config_static_selectorELNS0_4arch9wavefront6targetE1EEEvSF_
	.p2align	8
	.type	_ZN7rocprim17ROCPRIM_400000_NS6detail17trampoline_kernelINS0_14default_configENS1_38merge_sort_block_merge_config_selectorIjNS0_10empty_typeEEEZZNS1_27merge_sort_block_merge_implIS3_PjPS5_jNS1_19radix_merge_compareILb0ELb1EjNS0_19identity_decomposerEEEEE10hipError_tT0_T1_T2_jT3_P12ihipStream_tbPNSt15iterator_traitsISE_E10value_typeEPNSK_ISF_E10value_typeEPSG_NS1_7vsmem_tEENKUlT_SE_SF_SG_E_clIS8_S8_S9_S9_EESD_ST_SE_SF_SG_EUlST_E1_NS1_11comp_targetILNS1_3genE8ELNS1_11target_archE1030ELNS1_3gpuE2ELNS1_3repE0EEENS1_36merge_oddeven_config_static_selectorELNS0_4arch9wavefront6targetE1EEEvSF_,@function
_ZN7rocprim17ROCPRIM_400000_NS6detail17trampoline_kernelINS0_14default_configENS1_38merge_sort_block_merge_config_selectorIjNS0_10empty_typeEEEZZNS1_27merge_sort_block_merge_implIS3_PjPS5_jNS1_19radix_merge_compareILb0ELb1EjNS0_19identity_decomposerEEEEE10hipError_tT0_T1_T2_jT3_P12ihipStream_tbPNSt15iterator_traitsISE_E10value_typeEPNSK_ISF_E10value_typeEPSG_NS1_7vsmem_tEENKUlT_SE_SF_SG_E_clIS8_S8_S9_S9_EESD_ST_SE_SF_SG_EUlST_E1_NS1_11comp_targetILNS1_3genE8ELNS1_11target_archE1030ELNS1_3gpuE2ELNS1_3repE0EEENS1_36merge_oddeven_config_static_selectorELNS0_4arch9wavefront6targetE1EEEvSF_: ; @_ZN7rocprim17ROCPRIM_400000_NS6detail17trampoline_kernelINS0_14default_configENS1_38merge_sort_block_merge_config_selectorIjNS0_10empty_typeEEEZZNS1_27merge_sort_block_merge_implIS3_PjPS5_jNS1_19radix_merge_compareILb0ELb1EjNS0_19identity_decomposerEEEEE10hipError_tT0_T1_T2_jT3_P12ihipStream_tbPNSt15iterator_traitsISE_E10value_typeEPNSK_ISF_E10value_typeEPSG_NS1_7vsmem_tEENKUlT_SE_SF_SG_E_clIS8_S8_S9_S9_EESD_ST_SE_SF_SG_EUlST_E1_NS1_11comp_targetILNS1_3genE8ELNS1_11target_archE1030ELNS1_3gpuE2ELNS1_3repE0EEENS1_36merge_oddeven_config_static_selectorELNS0_4arch9wavefront6targetE1EEEvSF_
; %bb.0:
	.section	.rodata,"a",@progbits
	.p2align	6, 0x0
	.amdhsa_kernel _ZN7rocprim17ROCPRIM_400000_NS6detail17trampoline_kernelINS0_14default_configENS1_38merge_sort_block_merge_config_selectorIjNS0_10empty_typeEEEZZNS1_27merge_sort_block_merge_implIS3_PjPS5_jNS1_19radix_merge_compareILb0ELb1EjNS0_19identity_decomposerEEEEE10hipError_tT0_T1_T2_jT3_P12ihipStream_tbPNSt15iterator_traitsISE_E10value_typeEPNSK_ISF_E10value_typeEPSG_NS1_7vsmem_tEENKUlT_SE_SF_SG_E_clIS8_S8_S9_S9_EESD_ST_SE_SF_SG_EUlST_E1_NS1_11comp_targetILNS1_3genE8ELNS1_11target_archE1030ELNS1_3gpuE2ELNS1_3repE0EEENS1_36merge_oddeven_config_static_selectorELNS0_4arch9wavefront6targetE1EEEvSF_
		.amdhsa_group_segment_fixed_size 0
		.amdhsa_private_segment_fixed_size 0
		.amdhsa_kernarg_size 48
		.amdhsa_user_sgpr_count 6
		.amdhsa_user_sgpr_private_segment_buffer 1
		.amdhsa_user_sgpr_dispatch_ptr 0
		.amdhsa_user_sgpr_queue_ptr 0
		.amdhsa_user_sgpr_kernarg_segment_ptr 1
		.amdhsa_user_sgpr_dispatch_id 0
		.amdhsa_user_sgpr_flat_scratch_init 0
		.amdhsa_user_sgpr_kernarg_preload_length 0
		.amdhsa_user_sgpr_kernarg_preload_offset 0
		.amdhsa_user_sgpr_private_segment_size 0
		.amdhsa_uses_dynamic_stack 0
		.amdhsa_system_sgpr_private_segment_wavefront_offset 0
		.amdhsa_system_sgpr_workgroup_id_x 1
		.amdhsa_system_sgpr_workgroup_id_y 0
		.amdhsa_system_sgpr_workgroup_id_z 0
		.amdhsa_system_sgpr_workgroup_info 0
		.amdhsa_system_vgpr_workitem_id 0
		.amdhsa_next_free_vgpr 1
		.amdhsa_next_free_sgpr 0
		.amdhsa_accum_offset 4
		.amdhsa_reserve_vcc 0
		.amdhsa_reserve_flat_scratch 0
		.amdhsa_float_round_mode_32 0
		.amdhsa_float_round_mode_16_64 0
		.amdhsa_float_denorm_mode_32 3
		.amdhsa_float_denorm_mode_16_64 3
		.amdhsa_dx10_clamp 1
		.amdhsa_ieee_mode 1
		.amdhsa_fp16_overflow 0
		.amdhsa_tg_split 0
		.amdhsa_exception_fp_ieee_invalid_op 0
		.amdhsa_exception_fp_denorm_src 0
		.amdhsa_exception_fp_ieee_div_zero 0
		.amdhsa_exception_fp_ieee_overflow 0
		.amdhsa_exception_fp_ieee_underflow 0
		.amdhsa_exception_fp_ieee_inexact 0
		.amdhsa_exception_int_div_zero 0
	.end_amdhsa_kernel
	.section	.text._ZN7rocprim17ROCPRIM_400000_NS6detail17trampoline_kernelINS0_14default_configENS1_38merge_sort_block_merge_config_selectorIjNS0_10empty_typeEEEZZNS1_27merge_sort_block_merge_implIS3_PjPS5_jNS1_19radix_merge_compareILb0ELb1EjNS0_19identity_decomposerEEEEE10hipError_tT0_T1_T2_jT3_P12ihipStream_tbPNSt15iterator_traitsISE_E10value_typeEPNSK_ISF_E10value_typeEPSG_NS1_7vsmem_tEENKUlT_SE_SF_SG_E_clIS8_S8_S9_S9_EESD_ST_SE_SF_SG_EUlST_E1_NS1_11comp_targetILNS1_3genE8ELNS1_11target_archE1030ELNS1_3gpuE2ELNS1_3repE0EEENS1_36merge_oddeven_config_static_selectorELNS0_4arch9wavefront6targetE1EEEvSF_,"axG",@progbits,_ZN7rocprim17ROCPRIM_400000_NS6detail17trampoline_kernelINS0_14default_configENS1_38merge_sort_block_merge_config_selectorIjNS0_10empty_typeEEEZZNS1_27merge_sort_block_merge_implIS3_PjPS5_jNS1_19radix_merge_compareILb0ELb1EjNS0_19identity_decomposerEEEEE10hipError_tT0_T1_T2_jT3_P12ihipStream_tbPNSt15iterator_traitsISE_E10value_typeEPNSK_ISF_E10value_typeEPSG_NS1_7vsmem_tEENKUlT_SE_SF_SG_E_clIS8_S8_S9_S9_EESD_ST_SE_SF_SG_EUlST_E1_NS1_11comp_targetILNS1_3genE8ELNS1_11target_archE1030ELNS1_3gpuE2ELNS1_3repE0EEENS1_36merge_oddeven_config_static_selectorELNS0_4arch9wavefront6targetE1EEEvSF_,comdat
.Lfunc_end741:
	.size	_ZN7rocprim17ROCPRIM_400000_NS6detail17trampoline_kernelINS0_14default_configENS1_38merge_sort_block_merge_config_selectorIjNS0_10empty_typeEEEZZNS1_27merge_sort_block_merge_implIS3_PjPS5_jNS1_19radix_merge_compareILb0ELb1EjNS0_19identity_decomposerEEEEE10hipError_tT0_T1_T2_jT3_P12ihipStream_tbPNSt15iterator_traitsISE_E10value_typeEPNSK_ISF_E10value_typeEPSG_NS1_7vsmem_tEENKUlT_SE_SF_SG_E_clIS8_S8_S9_S9_EESD_ST_SE_SF_SG_EUlST_E1_NS1_11comp_targetILNS1_3genE8ELNS1_11target_archE1030ELNS1_3gpuE2ELNS1_3repE0EEENS1_36merge_oddeven_config_static_selectorELNS0_4arch9wavefront6targetE1EEEvSF_, .Lfunc_end741-_ZN7rocprim17ROCPRIM_400000_NS6detail17trampoline_kernelINS0_14default_configENS1_38merge_sort_block_merge_config_selectorIjNS0_10empty_typeEEEZZNS1_27merge_sort_block_merge_implIS3_PjPS5_jNS1_19radix_merge_compareILb0ELb1EjNS0_19identity_decomposerEEEEE10hipError_tT0_T1_T2_jT3_P12ihipStream_tbPNSt15iterator_traitsISE_E10value_typeEPNSK_ISF_E10value_typeEPSG_NS1_7vsmem_tEENKUlT_SE_SF_SG_E_clIS8_S8_S9_S9_EESD_ST_SE_SF_SG_EUlST_E1_NS1_11comp_targetILNS1_3genE8ELNS1_11target_archE1030ELNS1_3gpuE2ELNS1_3repE0EEENS1_36merge_oddeven_config_static_selectorELNS0_4arch9wavefront6targetE1EEEvSF_
                                        ; -- End function
	.section	.AMDGPU.csdata,"",@progbits
; Kernel info:
; codeLenInByte = 0
; NumSgprs: 4
; NumVgprs: 0
; NumAgprs: 0
; TotalNumVgprs: 0
; ScratchSize: 0
; MemoryBound: 0
; FloatMode: 240
; IeeeMode: 1
; LDSByteSize: 0 bytes/workgroup (compile time only)
; SGPRBlocks: 0
; VGPRBlocks: 0
; NumSGPRsForWavesPerEU: 4
; NumVGPRsForWavesPerEU: 1
; AccumOffset: 4
; Occupancy: 8
; WaveLimiterHint : 0
; COMPUTE_PGM_RSRC2:SCRATCH_EN: 0
; COMPUTE_PGM_RSRC2:USER_SGPR: 6
; COMPUTE_PGM_RSRC2:TRAP_HANDLER: 0
; COMPUTE_PGM_RSRC2:TGID_X_EN: 1
; COMPUTE_PGM_RSRC2:TGID_Y_EN: 0
; COMPUTE_PGM_RSRC2:TGID_Z_EN: 0
; COMPUTE_PGM_RSRC2:TIDIG_COMP_CNT: 0
; COMPUTE_PGM_RSRC3_GFX90A:ACCUM_OFFSET: 0
; COMPUTE_PGM_RSRC3_GFX90A:TG_SPLIT: 0
	.section	.text._ZN7rocprim17ROCPRIM_400000_NS6detail17trampoline_kernelINS0_14default_configENS1_35radix_sort_onesweep_config_selectorIjNS0_10empty_typeEEEZNS1_34radix_sort_onesweep_global_offsetsIS3_Lb0EPjPS5_mNS0_19identity_decomposerEEE10hipError_tT1_T2_PT3_SE_jT4_jjP12ihipStream_tbEUlT_E_NS1_11comp_targetILNS1_3genE0ELNS1_11target_archE4294967295ELNS1_3gpuE0ELNS1_3repE0EEENS1_52radix_sort_onesweep_histogram_config_static_selectorELNS0_4arch9wavefront6targetE1EEEvSC_,"axG",@progbits,_ZN7rocprim17ROCPRIM_400000_NS6detail17trampoline_kernelINS0_14default_configENS1_35radix_sort_onesweep_config_selectorIjNS0_10empty_typeEEEZNS1_34radix_sort_onesweep_global_offsetsIS3_Lb0EPjPS5_mNS0_19identity_decomposerEEE10hipError_tT1_T2_PT3_SE_jT4_jjP12ihipStream_tbEUlT_E_NS1_11comp_targetILNS1_3genE0ELNS1_11target_archE4294967295ELNS1_3gpuE0ELNS1_3repE0EEENS1_52radix_sort_onesweep_histogram_config_static_selectorELNS0_4arch9wavefront6targetE1EEEvSC_,comdat
	.protected	_ZN7rocprim17ROCPRIM_400000_NS6detail17trampoline_kernelINS0_14default_configENS1_35radix_sort_onesweep_config_selectorIjNS0_10empty_typeEEEZNS1_34radix_sort_onesweep_global_offsetsIS3_Lb0EPjPS5_mNS0_19identity_decomposerEEE10hipError_tT1_T2_PT3_SE_jT4_jjP12ihipStream_tbEUlT_E_NS1_11comp_targetILNS1_3genE0ELNS1_11target_archE4294967295ELNS1_3gpuE0ELNS1_3repE0EEENS1_52radix_sort_onesweep_histogram_config_static_selectorELNS0_4arch9wavefront6targetE1EEEvSC_ ; -- Begin function _ZN7rocprim17ROCPRIM_400000_NS6detail17trampoline_kernelINS0_14default_configENS1_35radix_sort_onesweep_config_selectorIjNS0_10empty_typeEEEZNS1_34radix_sort_onesweep_global_offsetsIS3_Lb0EPjPS5_mNS0_19identity_decomposerEEE10hipError_tT1_T2_PT3_SE_jT4_jjP12ihipStream_tbEUlT_E_NS1_11comp_targetILNS1_3genE0ELNS1_11target_archE4294967295ELNS1_3gpuE0ELNS1_3repE0EEENS1_52radix_sort_onesweep_histogram_config_static_selectorELNS0_4arch9wavefront6targetE1EEEvSC_
	.globl	_ZN7rocprim17ROCPRIM_400000_NS6detail17trampoline_kernelINS0_14default_configENS1_35radix_sort_onesweep_config_selectorIjNS0_10empty_typeEEEZNS1_34radix_sort_onesweep_global_offsetsIS3_Lb0EPjPS5_mNS0_19identity_decomposerEEE10hipError_tT1_T2_PT3_SE_jT4_jjP12ihipStream_tbEUlT_E_NS1_11comp_targetILNS1_3genE0ELNS1_11target_archE4294967295ELNS1_3gpuE0ELNS1_3repE0EEENS1_52radix_sort_onesweep_histogram_config_static_selectorELNS0_4arch9wavefront6targetE1EEEvSC_
	.p2align	8
	.type	_ZN7rocprim17ROCPRIM_400000_NS6detail17trampoline_kernelINS0_14default_configENS1_35radix_sort_onesweep_config_selectorIjNS0_10empty_typeEEEZNS1_34radix_sort_onesweep_global_offsetsIS3_Lb0EPjPS5_mNS0_19identity_decomposerEEE10hipError_tT1_T2_PT3_SE_jT4_jjP12ihipStream_tbEUlT_E_NS1_11comp_targetILNS1_3genE0ELNS1_11target_archE4294967295ELNS1_3gpuE0ELNS1_3repE0EEENS1_52radix_sort_onesweep_histogram_config_static_selectorELNS0_4arch9wavefront6targetE1EEEvSC_,@function
_ZN7rocprim17ROCPRIM_400000_NS6detail17trampoline_kernelINS0_14default_configENS1_35radix_sort_onesweep_config_selectorIjNS0_10empty_typeEEEZNS1_34radix_sort_onesweep_global_offsetsIS3_Lb0EPjPS5_mNS0_19identity_decomposerEEE10hipError_tT1_T2_PT3_SE_jT4_jjP12ihipStream_tbEUlT_E_NS1_11comp_targetILNS1_3genE0ELNS1_11target_archE4294967295ELNS1_3gpuE0ELNS1_3repE0EEENS1_52radix_sort_onesweep_histogram_config_static_selectorELNS0_4arch9wavefront6targetE1EEEvSC_: ; @_ZN7rocprim17ROCPRIM_400000_NS6detail17trampoline_kernelINS0_14default_configENS1_35radix_sort_onesweep_config_selectorIjNS0_10empty_typeEEEZNS1_34radix_sort_onesweep_global_offsetsIS3_Lb0EPjPS5_mNS0_19identity_decomposerEEE10hipError_tT1_T2_PT3_SE_jT4_jjP12ihipStream_tbEUlT_E_NS1_11comp_targetILNS1_3genE0ELNS1_11target_archE4294967295ELNS1_3gpuE0ELNS1_3repE0EEENS1_52radix_sort_onesweep_histogram_config_static_selectorELNS0_4arch9wavefront6targetE1EEEvSC_
; %bb.0:
	.section	.rodata,"a",@progbits
	.p2align	6, 0x0
	.amdhsa_kernel _ZN7rocprim17ROCPRIM_400000_NS6detail17trampoline_kernelINS0_14default_configENS1_35radix_sort_onesweep_config_selectorIjNS0_10empty_typeEEEZNS1_34radix_sort_onesweep_global_offsetsIS3_Lb0EPjPS5_mNS0_19identity_decomposerEEE10hipError_tT1_T2_PT3_SE_jT4_jjP12ihipStream_tbEUlT_E_NS1_11comp_targetILNS1_3genE0ELNS1_11target_archE4294967295ELNS1_3gpuE0ELNS1_3repE0EEENS1_52radix_sort_onesweep_histogram_config_static_selectorELNS0_4arch9wavefront6targetE1EEEvSC_
		.amdhsa_group_segment_fixed_size 0
		.amdhsa_private_segment_fixed_size 0
		.amdhsa_kernarg_size 48
		.amdhsa_user_sgpr_count 6
		.amdhsa_user_sgpr_private_segment_buffer 1
		.amdhsa_user_sgpr_dispatch_ptr 0
		.amdhsa_user_sgpr_queue_ptr 0
		.amdhsa_user_sgpr_kernarg_segment_ptr 1
		.amdhsa_user_sgpr_dispatch_id 0
		.amdhsa_user_sgpr_flat_scratch_init 0
		.amdhsa_user_sgpr_kernarg_preload_length 0
		.amdhsa_user_sgpr_kernarg_preload_offset 0
		.amdhsa_user_sgpr_private_segment_size 0
		.amdhsa_uses_dynamic_stack 0
		.amdhsa_system_sgpr_private_segment_wavefront_offset 0
		.amdhsa_system_sgpr_workgroup_id_x 1
		.amdhsa_system_sgpr_workgroup_id_y 0
		.amdhsa_system_sgpr_workgroup_id_z 0
		.amdhsa_system_sgpr_workgroup_info 0
		.amdhsa_system_vgpr_workitem_id 0
		.amdhsa_next_free_vgpr 1
		.amdhsa_next_free_sgpr 0
		.amdhsa_accum_offset 4
		.amdhsa_reserve_vcc 0
		.amdhsa_reserve_flat_scratch 0
		.amdhsa_float_round_mode_32 0
		.amdhsa_float_round_mode_16_64 0
		.amdhsa_float_denorm_mode_32 3
		.amdhsa_float_denorm_mode_16_64 3
		.amdhsa_dx10_clamp 1
		.amdhsa_ieee_mode 1
		.amdhsa_fp16_overflow 0
		.amdhsa_tg_split 0
		.amdhsa_exception_fp_ieee_invalid_op 0
		.amdhsa_exception_fp_denorm_src 0
		.amdhsa_exception_fp_ieee_div_zero 0
		.amdhsa_exception_fp_ieee_overflow 0
		.amdhsa_exception_fp_ieee_underflow 0
		.amdhsa_exception_fp_ieee_inexact 0
		.amdhsa_exception_int_div_zero 0
	.end_amdhsa_kernel
	.section	.text._ZN7rocprim17ROCPRIM_400000_NS6detail17trampoline_kernelINS0_14default_configENS1_35radix_sort_onesweep_config_selectorIjNS0_10empty_typeEEEZNS1_34radix_sort_onesweep_global_offsetsIS3_Lb0EPjPS5_mNS0_19identity_decomposerEEE10hipError_tT1_T2_PT3_SE_jT4_jjP12ihipStream_tbEUlT_E_NS1_11comp_targetILNS1_3genE0ELNS1_11target_archE4294967295ELNS1_3gpuE0ELNS1_3repE0EEENS1_52radix_sort_onesweep_histogram_config_static_selectorELNS0_4arch9wavefront6targetE1EEEvSC_,"axG",@progbits,_ZN7rocprim17ROCPRIM_400000_NS6detail17trampoline_kernelINS0_14default_configENS1_35radix_sort_onesweep_config_selectorIjNS0_10empty_typeEEEZNS1_34radix_sort_onesweep_global_offsetsIS3_Lb0EPjPS5_mNS0_19identity_decomposerEEE10hipError_tT1_T2_PT3_SE_jT4_jjP12ihipStream_tbEUlT_E_NS1_11comp_targetILNS1_3genE0ELNS1_11target_archE4294967295ELNS1_3gpuE0ELNS1_3repE0EEENS1_52radix_sort_onesweep_histogram_config_static_selectorELNS0_4arch9wavefront6targetE1EEEvSC_,comdat
.Lfunc_end742:
	.size	_ZN7rocprim17ROCPRIM_400000_NS6detail17trampoline_kernelINS0_14default_configENS1_35radix_sort_onesweep_config_selectorIjNS0_10empty_typeEEEZNS1_34radix_sort_onesweep_global_offsetsIS3_Lb0EPjPS5_mNS0_19identity_decomposerEEE10hipError_tT1_T2_PT3_SE_jT4_jjP12ihipStream_tbEUlT_E_NS1_11comp_targetILNS1_3genE0ELNS1_11target_archE4294967295ELNS1_3gpuE0ELNS1_3repE0EEENS1_52radix_sort_onesweep_histogram_config_static_selectorELNS0_4arch9wavefront6targetE1EEEvSC_, .Lfunc_end742-_ZN7rocprim17ROCPRIM_400000_NS6detail17trampoline_kernelINS0_14default_configENS1_35radix_sort_onesweep_config_selectorIjNS0_10empty_typeEEEZNS1_34radix_sort_onesweep_global_offsetsIS3_Lb0EPjPS5_mNS0_19identity_decomposerEEE10hipError_tT1_T2_PT3_SE_jT4_jjP12ihipStream_tbEUlT_E_NS1_11comp_targetILNS1_3genE0ELNS1_11target_archE4294967295ELNS1_3gpuE0ELNS1_3repE0EEENS1_52radix_sort_onesweep_histogram_config_static_selectorELNS0_4arch9wavefront6targetE1EEEvSC_
                                        ; -- End function
	.section	.AMDGPU.csdata,"",@progbits
; Kernel info:
; codeLenInByte = 0
; NumSgprs: 4
; NumVgprs: 0
; NumAgprs: 0
; TotalNumVgprs: 0
; ScratchSize: 0
; MemoryBound: 0
; FloatMode: 240
; IeeeMode: 1
; LDSByteSize: 0 bytes/workgroup (compile time only)
; SGPRBlocks: 0
; VGPRBlocks: 0
; NumSGPRsForWavesPerEU: 4
; NumVGPRsForWavesPerEU: 1
; AccumOffset: 4
; Occupancy: 8
; WaveLimiterHint : 0
; COMPUTE_PGM_RSRC2:SCRATCH_EN: 0
; COMPUTE_PGM_RSRC2:USER_SGPR: 6
; COMPUTE_PGM_RSRC2:TRAP_HANDLER: 0
; COMPUTE_PGM_RSRC2:TGID_X_EN: 1
; COMPUTE_PGM_RSRC2:TGID_Y_EN: 0
; COMPUTE_PGM_RSRC2:TGID_Z_EN: 0
; COMPUTE_PGM_RSRC2:TIDIG_COMP_CNT: 0
; COMPUTE_PGM_RSRC3_GFX90A:ACCUM_OFFSET: 0
; COMPUTE_PGM_RSRC3_GFX90A:TG_SPLIT: 0
	.section	.text._ZN7rocprim17ROCPRIM_400000_NS6detail17trampoline_kernelINS0_14default_configENS1_35radix_sort_onesweep_config_selectorIjNS0_10empty_typeEEEZNS1_34radix_sort_onesweep_global_offsetsIS3_Lb0EPjPS5_mNS0_19identity_decomposerEEE10hipError_tT1_T2_PT3_SE_jT4_jjP12ihipStream_tbEUlT_E_NS1_11comp_targetILNS1_3genE6ELNS1_11target_archE950ELNS1_3gpuE13ELNS1_3repE0EEENS1_52radix_sort_onesweep_histogram_config_static_selectorELNS0_4arch9wavefront6targetE1EEEvSC_,"axG",@progbits,_ZN7rocprim17ROCPRIM_400000_NS6detail17trampoline_kernelINS0_14default_configENS1_35radix_sort_onesweep_config_selectorIjNS0_10empty_typeEEEZNS1_34radix_sort_onesweep_global_offsetsIS3_Lb0EPjPS5_mNS0_19identity_decomposerEEE10hipError_tT1_T2_PT3_SE_jT4_jjP12ihipStream_tbEUlT_E_NS1_11comp_targetILNS1_3genE6ELNS1_11target_archE950ELNS1_3gpuE13ELNS1_3repE0EEENS1_52radix_sort_onesweep_histogram_config_static_selectorELNS0_4arch9wavefront6targetE1EEEvSC_,comdat
	.protected	_ZN7rocprim17ROCPRIM_400000_NS6detail17trampoline_kernelINS0_14default_configENS1_35radix_sort_onesweep_config_selectorIjNS0_10empty_typeEEEZNS1_34radix_sort_onesweep_global_offsetsIS3_Lb0EPjPS5_mNS0_19identity_decomposerEEE10hipError_tT1_T2_PT3_SE_jT4_jjP12ihipStream_tbEUlT_E_NS1_11comp_targetILNS1_3genE6ELNS1_11target_archE950ELNS1_3gpuE13ELNS1_3repE0EEENS1_52radix_sort_onesweep_histogram_config_static_selectorELNS0_4arch9wavefront6targetE1EEEvSC_ ; -- Begin function _ZN7rocprim17ROCPRIM_400000_NS6detail17trampoline_kernelINS0_14default_configENS1_35radix_sort_onesweep_config_selectorIjNS0_10empty_typeEEEZNS1_34radix_sort_onesweep_global_offsetsIS3_Lb0EPjPS5_mNS0_19identity_decomposerEEE10hipError_tT1_T2_PT3_SE_jT4_jjP12ihipStream_tbEUlT_E_NS1_11comp_targetILNS1_3genE6ELNS1_11target_archE950ELNS1_3gpuE13ELNS1_3repE0EEENS1_52radix_sort_onesweep_histogram_config_static_selectorELNS0_4arch9wavefront6targetE1EEEvSC_
	.globl	_ZN7rocprim17ROCPRIM_400000_NS6detail17trampoline_kernelINS0_14default_configENS1_35radix_sort_onesweep_config_selectorIjNS0_10empty_typeEEEZNS1_34radix_sort_onesweep_global_offsetsIS3_Lb0EPjPS5_mNS0_19identity_decomposerEEE10hipError_tT1_T2_PT3_SE_jT4_jjP12ihipStream_tbEUlT_E_NS1_11comp_targetILNS1_3genE6ELNS1_11target_archE950ELNS1_3gpuE13ELNS1_3repE0EEENS1_52radix_sort_onesweep_histogram_config_static_selectorELNS0_4arch9wavefront6targetE1EEEvSC_
	.p2align	8
	.type	_ZN7rocprim17ROCPRIM_400000_NS6detail17trampoline_kernelINS0_14default_configENS1_35radix_sort_onesweep_config_selectorIjNS0_10empty_typeEEEZNS1_34radix_sort_onesweep_global_offsetsIS3_Lb0EPjPS5_mNS0_19identity_decomposerEEE10hipError_tT1_T2_PT3_SE_jT4_jjP12ihipStream_tbEUlT_E_NS1_11comp_targetILNS1_3genE6ELNS1_11target_archE950ELNS1_3gpuE13ELNS1_3repE0EEENS1_52radix_sort_onesweep_histogram_config_static_selectorELNS0_4arch9wavefront6targetE1EEEvSC_,@function
_ZN7rocprim17ROCPRIM_400000_NS6detail17trampoline_kernelINS0_14default_configENS1_35radix_sort_onesweep_config_selectorIjNS0_10empty_typeEEEZNS1_34radix_sort_onesweep_global_offsetsIS3_Lb0EPjPS5_mNS0_19identity_decomposerEEE10hipError_tT1_T2_PT3_SE_jT4_jjP12ihipStream_tbEUlT_E_NS1_11comp_targetILNS1_3genE6ELNS1_11target_archE950ELNS1_3gpuE13ELNS1_3repE0EEENS1_52radix_sort_onesweep_histogram_config_static_selectorELNS0_4arch9wavefront6targetE1EEEvSC_: ; @_ZN7rocprim17ROCPRIM_400000_NS6detail17trampoline_kernelINS0_14default_configENS1_35radix_sort_onesweep_config_selectorIjNS0_10empty_typeEEEZNS1_34radix_sort_onesweep_global_offsetsIS3_Lb0EPjPS5_mNS0_19identity_decomposerEEE10hipError_tT1_T2_PT3_SE_jT4_jjP12ihipStream_tbEUlT_E_NS1_11comp_targetILNS1_3genE6ELNS1_11target_archE950ELNS1_3gpuE13ELNS1_3repE0EEENS1_52radix_sort_onesweep_histogram_config_static_selectorELNS0_4arch9wavefront6targetE1EEEvSC_
; %bb.0:
	.section	.rodata,"a",@progbits
	.p2align	6, 0x0
	.amdhsa_kernel _ZN7rocprim17ROCPRIM_400000_NS6detail17trampoline_kernelINS0_14default_configENS1_35radix_sort_onesweep_config_selectorIjNS0_10empty_typeEEEZNS1_34radix_sort_onesweep_global_offsetsIS3_Lb0EPjPS5_mNS0_19identity_decomposerEEE10hipError_tT1_T2_PT3_SE_jT4_jjP12ihipStream_tbEUlT_E_NS1_11comp_targetILNS1_3genE6ELNS1_11target_archE950ELNS1_3gpuE13ELNS1_3repE0EEENS1_52radix_sort_onesweep_histogram_config_static_selectorELNS0_4arch9wavefront6targetE1EEEvSC_
		.amdhsa_group_segment_fixed_size 0
		.amdhsa_private_segment_fixed_size 0
		.amdhsa_kernarg_size 48
		.amdhsa_user_sgpr_count 6
		.amdhsa_user_sgpr_private_segment_buffer 1
		.amdhsa_user_sgpr_dispatch_ptr 0
		.amdhsa_user_sgpr_queue_ptr 0
		.amdhsa_user_sgpr_kernarg_segment_ptr 1
		.amdhsa_user_sgpr_dispatch_id 0
		.amdhsa_user_sgpr_flat_scratch_init 0
		.amdhsa_user_sgpr_kernarg_preload_length 0
		.amdhsa_user_sgpr_kernarg_preload_offset 0
		.amdhsa_user_sgpr_private_segment_size 0
		.amdhsa_uses_dynamic_stack 0
		.amdhsa_system_sgpr_private_segment_wavefront_offset 0
		.amdhsa_system_sgpr_workgroup_id_x 1
		.amdhsa_system_sgpr_workgroup_id_y 0
		.amdhsa_system_sgpr_workgroup_id_z 0
		.amdhsa_system_sgpr_workgroup_info 0
		.amdhsa_system_vgpr_workitem_id 0
		.amdhsa_next_free_vgpr 1
		.amdhsa_next_free_sgpr 0
		.amdhsa_accum_offset 4
		.amdhsa_reserve_vcc 0
		.amdhsa_reserve_flat_scratch 0
		.amdhsa_float_round_mode_32 0
		.amdhsa_float_round_mode_16_64 0
		.amdhsa_float_denorm_mode_32 3
		.amdhsa_float_denorm_mode_16_64 3
		.amdhsa_dx10_clamp 1
		.amdhsa_ieee_mode 1
		.amdhsa_fp16_overflow 0
		.amdhsa_tg_split 0
		.amdhsa_exception_fp_ieee_invalid_op 0
		.amdhsa_exception_fp_denorm_src 0
		.amdhsa_exception_fp_ieee_div_zero 0
		.amdhsa_exception_fp_ieee_overflow 0
		.amdhsa_exception_fp_ieee_underflow 0
		.amdhsa_exception_fp_ieee_inexact 0
		.amdhsa_exception_int_div_zero 0
	.end_amdhsa_kernel
	.section	.text._ZN7rocprim17ROCPRIM_400000_NS6detail17trampoline_kernelINS0_14default_configENS1_35radix_sort_onesweep_config_selectorIjNS0_10empty_typeEEEZNS1_34radix_sort_onesweep_global_offsetsIS3_Lb0EPjPS5_mNS0_19identity_decomposerEEE10hipError_tT1_T2_PT3_SE_jT4_jjP12ihipStream_tbEUlT_E_NS1_11comp_targetILNS1_3genE6ELNS1_11target_archE950ELNS1_3gpuE13ELNS1_3repE0EEENS1_52radix_sort_onesweep_histogram_config_static_selectorELNS0_4arch9wavefront6targetE1EEEvSC_,"axG",@progbits,_ZN7rocprim17ROCPRIM_400000_NS6detail17trampoline_kernelINS0_14default_configENS1_35radix_sort_onesweep_config_selectorIjNS0_10empty_typeEEEZNS1_34radix_sort_onesweep_global_offsetsIS3_Lb0EPjPS5_mNS0_19identity_decomposerEEE10hipError_tT1_T2_PT3_SE_jT4_jjP12ihipStream_tbEUlT_E_NS1_11comp_targetILNS1_3genE6ELNS1_11target_archE950ELNS1_3gpuE13ELNS1_3repE0EEENS1_52radix_sort_onesweep_histogram_config_static_selectorELNS0_4arch9wavefront6targetE1EEEvSC_,comdat
.Lfunc_end743:
	.size	_ZN7rocprim17ROCPRIM_400000_NS6detail17trampoline_kernelINS0_14default_configENS1_35radix_sort_onesweep_config_selectorIjNS0_10empty_typeEEEZNS1_34radix_sort_onesweep_global_offsetsIS3_Lb0EPjPS5_mNS0_19identity_decomposerEEE10hipError_tT1_T2_PT3_SE_jT4_jjP12ihipStream_tbEUlT_E_NS1_11comp_targetILNS1_3genE6ELNS1_11target_archE950ELNS1_3gpuE13ELNS1_3repE0EEENS1_52radix_sort_onesweep_histogram_config_static_selectorELNS0_4arch9wavefront6targetE1EEEvSC_, .Lfunc_end743-_ZN7rocprim17ROCPRIM_400000_NS6detail17trampoline_kernelINS0_14default_configENS1_35radix_sort_onesweep_config_selectorIjNS0_10empty_typeEEEZNS1_34radix_sort_onesweep_global_offsetsIS3_Lb0EPjPS5_mNS0_19identity_decomposerEEE10hipError_tT1_T2_PT3_SE_jT4_jjP12ihipStream_tbEUlT_E_NS1_11comp_targetILNS1_3genE6ELNS1_11target_archE950ELNS1_3gpuE13ELNS1_3repE0EEENS1_52radix_sort_onesweep_histogram_config_static_selectorELNS0_4arch9wavefront6targetE1EEEvSC_
                                        ; -- End function
	.section	.AMDGPU.csdata,"",@progbits
; Kernel info:
; codeLenInByte = 0
; NumSgprs: 4
; NumVgprs: 0
; NumAgprs: 0
; TotalNumVgprs: 0
; ScratchSize: 0
; MemoryBound: 0
; FloatMode: 240
; IeeeMode: 1
; LDSByteSize: 0 bytes/workgroup (compile time only)
; SGPRBlocks: 0
; VGPRBlocks: 0
; NumSGPRsForWavesPerEU: 4
; NumVGPRsForWavesPerEU: 1
; AccumOffset: 4
; Occupancy: 8
; WaveLimiterHint : 0
; COMPUTE_PGM_RSRC2:SCRATCH_EN: 0
; COMPUTE_PGM_RSRC2:USER_SGPR: 6
; COMPUTE_PGM_RSRC2:TRAP_HANDLER: 0
; COMPUTE_PGM_RSRC2:TGID_X_EN: 1
; COMPUTE_PGM_RSRC2:TGID_Y_EN: 0
; COMPUTE_PGM_RSRC2:TGID_Z_EN: 0
; COMPUTE_PGM_RSRC2:TIDIG_COMP_CNT: 0
; COMPUTE_PGM_RSRC3_GFX90A:ACCUM_OFFSET: 0
; COMPUTE_PGM_RSRC3_GFX90A:TG_SPLIT: 0
	.section	.text._ZN7rocprim17ROCPRIM_400000_NS6detail17trampoline_kernelINS0_14default_configENS1_35radix_sort_onesweep_config_selectorIjNS0_10empty_typeEEEZNS1_34radix_sort_onesweep_global_offsetsIS3_Lb0EPjPS5_mNS0_19identity_decomposerEEE10hipError_tT1_T2_PT3_SE_jT4_jjP12ihipStream_tbEUlT_E_NS1_11comp_targetILNS1_3genE5ELNS1_11target_archE942ELNS1_3gpuE9ELNS1_3repE0EEENS1_52radix_sort_onesweep_histogram_config_static_selectorELNS0_4arch9wavefront6targetE1EEEvSC_,"axG",@progbits,_ZN7rocprim17ROCPRIM_400000_NS6detail17trampoline_kernelINS0_14default_configENS1_35radix_sort_onesweep_config_selectorIjNS0_10empty_typeEEEZNS1_34radix_sort_onesweep_global_offsetsIS3_Lb0EPjPS5_mNS0_19identity_decomposerEEE10hipError_tT1_T2_PT3_SE_jT4_jjP12ihipStream_tbEUlT_E_NS1_11comp_targetILNS1_3genE5ELNS1_11target_archE942ELNS1_3gpuE9ELNS1_3repE0EEENS1_52radix_sort_onesweep_histogram_config_static_selectorELNS0_4arch9wavefront6targetE1EEEvSC_,comdat
	.protected	_ZN7rocprim17ROCPRIM_400000_NS6detail17trampoline_kernelINS0_14default_configENS1_35radix_sort_onesweep_config_selectorIjNS0_10empty_typeEEEZNS1_34radix_sort_onesweep_global_offsetsIS3_Lb0EPjPS5_mNS0_19identity_decomposerEEE10hipError_tT1_T2_PT3_SE_jT4_jjP12ihipStream_tbEUlT_E_NS1_11comp_targetILNS1_3genE5ELNS1_11target_archE942ELNS1_3gpuE9ELNS1_3repE0EEENS1_52radix_sort_onesweep_histogram_config_static_selectorELNS0_4arch9wavefront6targetE1EEEvSC_ ; -- Begin function _ZN7rocprim17ROCPRIM_400000_NS6detail17trampoline_kernelINS0_14default_configENS1_35radix_sort_onesweep_config_selectorIjNS0_10empty_typeEEEZNS1_34radix_sort_onesweep_global_offsetsIS3_Lb0EPjPS5_mNS0_19identity_decomposerEEE10hipError_tT1_T2_PT3_SE_jT4_jjP12ihipStream_tbEUlT_E_NS1_11comp_targetILNS1_3genE5ELNS1_11target_archE942ELNS1_3gpuE9ELNS1_3repE0EEENS1_52radix_sort_onesweep_histogram_config_static_selectorELNS0_4arch9wavefront6targetE1EEEvSC_
	.globl	_ZN7rocprim17ROCPRIM_400000_NS6detail17trampoline_kernelINS0_14default_configENS1_35radix_sort_onesweep_config_selectorIjNS0_10empty_typeEEEZNS1_34radix_sort_onesweep_global_offsetsIS3_Lb0EPjPS5_mNS0_19identity_decomposerEEE10hipError_tT1_T2_PT3_SE_jT4_jjP12ihipStream_tbEUlT_E_NS1_11comp_targetILNS1_3genE5ELNS1_11target_archE942ELNS1_3gpuE9ELNS1_3repE0EEENS1_52radix_sort_onesweep_histogram_config_static_selectorELNS0_4arch9wavefront6targetE1EEEvSC_
	.p2align	8
	.type	_ZN7rocprim17ROCPRIM_400000_NS6detail17trampoline_kernelINS0_14default_configENS1_35radix_sort_onesweep_config_selectorIjNS0_10empty_typeEEEZNS1_34radix_sort_onesweep_global_offsetsIS3_Lb0EPjPS5_mNS0_19identity_decomposerEEE10hipError_tT1_T2_PT3_SE_jT4_jjP12ihipStream_tbEUlT_E_NS1_11comp_targetILNS1_3genE5ELNS1_11target_archE942ELNS1_3gpuE9ELNS1_3repE0EEENS1_52radix_sort_onesweep_histogram_config_static_selectorELNS0_4arch9wavefront6targetE1EEEvSC_,@function
_ZN7rocprim17ROCPRIM_400000_NS6detail17trampoline_kernelINS0_14default_configENS1_35radix_sort_onesweep_config_selectorIjNS0_10empty_typeEEEZNS1_34radix_sort_onesweep_global_offsetsIS3_Lb0EPjPS5_mNS0_19identity_decomposerEEE10hipError_tT1_T2_PT3_SE_jT4_jjP12ihipStream_tbEUlT_E_NS1_11comp_targetILNS1_3genE5ELNS1_11target_archE942ELNS1_3gpuE9ELNS1_3repE0EEENS1_52radix_sort_onesweep_histogram_config_static_selectorELNS0_4arch9wavefront6targetE1EEEvSC_: ; @_ZN7rocprim17ROCPRIM_400000_NS6detail17trampoline_kernelINS0_14default_configENS1_35radix_sort_onesweep_config_selectorIjNS0_10empty_typeEEEZNS1_34radix_sort_onesweep_global_offsetsIS3_Lb0EPjPS5_mNS0_19identity_decomposerEEE10hipError_tT1_T2_PT3_SE_jT4_jjP12ihipStream_tbEUlT_E_NS1_11comp_targetILNS1_3genE5ELNS1_11target_archE942ELNS1_3gpuE9ELNS1_3repE0EEENS1_52radix_sort_onesweep_histogram_config_static_selectorELNS0_4arch9wavefront6targetE1EEEvSC_
; %bb.0:
	.section	.rodata,"a",@progbits
	.p2align	6, 0x0
	.amdhsa_kernel _ZN7rocprim17ROCPRIM_400000_NS6detail17trampoline_kernelINS0_14default_configENS1_35radix_sort_onesweep_config_selectorIjNS0_10empty_typeEEEZNS1_34radix_sort_onesweep_global_offsetsIS3_Lb0EPjPS5_mNS0_19identity_decomposerEEE10hipError_tT1_T2_PT3_SE_jT4_jjP12ihipStream_tbEUlT_E_NS1_11comp_targetILNS1_3genE5ELNS1_11target_archE942ELNS1_3gpuE9ELNS1_3repE0EEENS1_52radix_sort_onesweep_histogram_config_static_selectorELNS0_4arch9wavefront6targetE1EEEvSC_
		.amdhsa_group_segment_fixed_size 0
		.amdhsa_private_segment_fixed_size 0
		.amdhsa_kernarg_size 48
		.amdhsa_user_sgpr_count 6
		.amdhsa_user_sgpr_private_segment_buffer 1
		.amdhsa_user_sgpr_dispatch_ptr 0
		.amdhsa_user_sgpr_queue_ptr 0
		.amdhsa_user_sgpr_kernarg_segment_ptr 1
		.amdhsa_user_sgpr_dispatch_id 0
		.amdhsa_user_sgpr_flat_scratch_init 0
		.amdhsa_user_sgpr_kernarg_preload_length 0
		.amdhsa_user_sgpr_kernarg_preload_offset 0
		.amdhsa_user_sgpr_private_segment_size 0
		.amdhsa_uses_dynamic_stack 0
		.amdhsa_system_sgpr_private_segment_wavefront_offset 0
		.amdhsa_system_sgpr_workgroup_id_x 1
		.amdhsa_system_sgpr_workgroup_id_y 0
		.amdhsa_system_sgpr_workgroup_id_z 0
		.amdhsa_system_sgpr_workgroup_info 0
		.amdhsa_system_vgpr_workitem_id 0
		.amdhsa_next_free_vgpr 1
		.amdhsa_next_free_sgpr 0
		.amdhsa_accum_offset 4
		.amdhsa_reserve_vcc 0
		.amdhsa_reserve_flat_scratch 0
		.amdhsa_float_round_mode_32 0
		.amdhsa_float_round_mode_16_64 0
		.amdhsa_float_denorm_mode_32 3
		.amdhsa_float_denorm_mode_16_64 3
		.amdhsa_dx10_clamp 1
		.amdhsa_ieee_mode 1
		.amdhsa_fp16_overflow 0
		.amdhsa_tg_split 0
		.amdhsa_exception_fp_ieee_invalid_op 0
		.amdhsa_exception_fp_denorm_src 0
		.amdhsa_exception_fp_ieee_div_zero 0
		.amdhsa_exception_fp_ieee_overflow 0
		.amdhsa_exception_fp_ieee_underflow 0
		.amdhsa_exception_fp_ieee_inexact 0
		.amdhsa_exception_int_div_zero 0
	.end_amdhsa_kernel
	.section	.text._ZN7rocprim17ROCPRIM_400000_NS6detail17trampoline_kernelINS0_14default_configENS1_35radix_sort_onesweep_config_selectorIjNS0_10empty_typeEEEZNS1_34radix_sort_onesweep_global_offsetsIS3_Lb0EPjPS5_mNS0_19identity_decomposerEEE10hipError_tT1_T2_PT3_SE_jT4_jjP12ihipStream_tbEUlT_E_NS1_11comp_targetILNS1_3genE5ELNS1_11target_archE942ELNS1_3gpuE9ELNS1_3repE0EEENS1_52radix_sort_onesweep_histogram_config_static_selectorELNS0_4arch9wavefront6targetE1EEEvSC_,"axG",@progbits,_ZN7rocprim17ROCPRIM_400000_NS6detail17trampoline_kernelINS0_14default_configENS1_35radix_sort_onesweep_config_selectorIjNS0_10empty_typeEEEZNS1_34radix_sort_onesweep_global_offsetsIS3_Lb0EPjPS5_mNS0_19identity_decomposerEEE10hipError_tT1_T2_PT3_SE_jT4_jjP12ihipStream_tbEUlT_E_NS1_11comp_targetILNS1_3genE5ELNS1_11target_archE942ELNS1_3gpuE9ELNS1_3repE0EEENS1_52radix_sort_onesweep_histogram_config_static_selectorELNS0_4arch9wavefront6targetE1EEEvSC_,comdat
.Lfunc_end744:
	.size	_ZN7rocprim17ROCPRIM_400000_NS6detail17trampoline_kernelINS0_14default_configENS1_35radix_sort_onesweep_config_selectorIjNS0_10empty_typeEEEZNS1_34radix_sort_onesweep_global_offsetsIS3_Lb0EPjPS5_mNS0_19identity_decomposerEEE10hipError_tT1_T2_PT3_SE_jT4_jjP12ihipStream_tbEUlT_E_NS1_11comp_targetILNS1_3genE5ELNS1_11target_archE942ELNS1_3gpuE9ELNS1_3repE0EEENS1_52radix_sort_onesweep_histogram_config_static_selectorELNS0_4arch9wavefront6targetE1EEEvSC_, .Lfunc_end744-_ZN7rocprim17ROCPRIM_400000_NS6detail17trampoline_kernelINS0_14default_configENS1_35radix_sort_onesweep_config_selectorIjNS0_10empty_typeEEEZNS1_34radix_sort_onesweep_global_offsetsIS3_Lb0EPjPS5_mNS0_19identity_decomposerEEE10hipError_tT1_T2_PT3_SE_jT4_jjP12ihipStream_tbEUlT_E_NS1_11comp_targetILNS1_3genE5ELNS1_11target_archE942ELNS1_3gpuE9ELNS1_3repE0EEENS1_52radix_sort_onesweep_histogram_config_static_selectorELNS0_4arch9wavefront6targetE1EEEvSC_
                                        ; -- End function
	.section	.AMDGPU.csdata,"",@progbits
; Kernel info:
; codeLenInByte = 0
; NumSgprs: 4
; NumVgprs: 0
; NumAgprs: 0
; TotalNumVgprs: 0
; ScratchSize: 0
; MemoryBound: 0
; FloatMode: 240
; IeeeMode: 1
; LDSByteSize: 0 bytes/workgroup (compile time only)
; SGPRBlocks: 0
; VGPRBlocks: 0
; NumSGPRsForWavesPerEU: 4
; NumVGPRsForWavesPerEU: 1
; AccumOffset: 4
; Occupancy: 8
; WaveLimiterHint : 0
; COMPUTE_PGM_RSRC2:SCRATCH_EN: 0
; COMPUTE_PGM_RSRC2:USER_SGPR: 6
; COMPUTE_PGM_RSRC2:TRAP_HANDLER: 0
; COMPUTE_PGM_RSRC2:TGID_X_EN: 1
; COMPUTE_PGM_RSRC2:TGID_Y_EN: 0
; COMPUTE_PGM_RSRC2:TGID_Z_EN: 0
; COMPUTE_PGM_RSRC2:TIDIG_COMP_CNT: 0
; COMPUTE_PGM_RSRC3_GFX90A:ACCUM_OFFSET: 0
; COMPUTE_PGM_RSRC3_GFX90A:TG_SPLIT: 0
	.section	.text._ZN7rocprim17ROCPRIM_400000_NS6detail17trampoline_kernelINS0_14default_configENS1_35radix_sort_onesweep_config_selectorIjNS0_10empty_typeEEEZNS1_34radix_sort_onesweep_global_offsetsIS3_Lb0EPjPS5_mNS0_19identity_decomposerEEE10hipError_tT1_T2_PT3_SE_jT4_jjP12ihipStream_tbEUlT_E_NS1_11comp_targetILNS1_3genE2ELNS1_11target_archE906ELNS1_3gpuE6ELNS1_3repE0EEENS1_52radix_sort_onesweep_histogram_config_static_selectorELNS0_4arch9wavefront6targetE1EEEvSC_,"axG",@progbits,_ZN7rocprim17ROCPRIM_400000_NS6detail17trampoline_kernelINS0_14default_configENS1_35radix_sort_onesweep_config_selectorIjNS0_10empty_typeEEEZNS1_34radix_sort_onesweep_global_offsetsIS3_Lb0EPjPS5_mNS0_19identity_decomposerEEE10hipError_tT1_T2_PT3_SE_jT4_jjP12ihipStream_tbEUlT_E_NS1_11comp_targetILNS1_3genE2ELNS1_11target_archE906ELNS1_3gpuE6ELNS1_3repE0EEENS1_52radix_sort_onesweep_histogram_config_static_selectorELNS0_4arch9wavefront6targetE1EEEvSC_,comdat
	.protected	_ZN7rocprim17ROCPRIM_400000_NS6detail17trampoline_kernelINS0_14default_configENS1_35radix_sort_onesweep_config_selectorIjNS0_10empty_typeEEEZNS1_34radix_sort_onesweep_global_offsetsIS3_Lb0EPjPS5_mNS0_19identity_decomposerEEE10hipError_tT1_T2_PT3_SE_jT4_jjP12ihipStream_tbEUlT_E_NS1_11comp_targetILNS1_3genE2ELNS1_11target_archE906ELNS1_3gpuE6ELNS1_3repE0EEENS1_52radix_sort_onesweep_histogram_config_static_selectorELNS0_4arch9wavefront6targetE1EEEvSC_ ; -- Begin function _ZN7rocprim17ROCPRIM_400000_NS6detail17trampoline_kernelINS0_14default_configENS1_35radix_sort_onesweep_config_selectorIjNS0_10empty_typeEEEZNS1_34radix_sort_onesweep_global_offsetsIS3_Lb0EPjPS5_mNS0_19identity_decomposerEEE10hipError_tT1_T2_PT3_SE_jT4_jjP12ihipStream_tbEUlT_E_NS1_11comp_targetILNS1_3genE2ELNS1_11target_archE906ELNS1_3gpuE6ELNS1_3repE0EEENS1_52radix_sort_onesweep_histogram_config_static_selectorELNS0_4arch9wavefront6targetE1EEEvSC_
	.globl	_ZN7rocprim17ROCPRIM_400000_NS6detail17trampoline_kernelINS0_14default_configENS1_35radix_sort_onesweep_config_selectorIjNS0_10empty_typeEEEZNS1_34radix_sort_onesweep_global_offsetsIS3_Lb0EPjPS5_mNS0_19identity_decomposerEEE10hipError_tT1_T2_PT3_SE_jT4_jjP12ihipStream_tbEUlT_E_NS1_11comp_targetILNS1_3genE2ELNS1_11target_archE906ELNS1_3gpuE6ELNS1_3repE0EEENS1_52radix_sort_onesweep_histogram_config_static_selectorELNS0_4arch9wavefront6targetE1EEEvSC_
	.p2align	8
	.type	_ZN7rocprim17ROCPRIM_400000_NS6detail17trampoline_kernelINS0_14default_configENS1_35radix_sort_onesweep_config_selectorIjNS0_10empty_typeEEEZNS1_34radix_sort_onesweep_global_offsetsIS3_Lb0EPjPS5_mNS0_19identity_decomposerEEE10hipError_tT1_T2_PT3_SE_jT4_jjP12ihipStream_tbEUlT_E_NS1_11comp_targetILNS1_3genE2ELNS1_11target_archE906ELNS1_3gpuE6ELNS1_3repE0EEENS1_52radix_sort_onesweep_histogram_config_static_selectorELNS0_4arch9wavefront6targetE1EEEvSC_,@function
_ZN7rocprim17ROCPRIM_400000_NS6detail17trampoline_kernelINS0_14default_configENS1_35radix_sort_onesweep_config_selectorIjNS0_10empty_typeEEEZNS1_34radix_sort_onesweep_global_offsetsIS3_Lb0EPjPS5_mNS0_19identity_decomposerEEE10hipError_tT1_T2_PT3_SE_jT4_jjP12ihipStream_tbEUlT_E_NS1_11comp_targetILNS1_3genE2ELNS1_11target_archE906ELNS1_3gpuE6ELNS1_3repE0EEENS1_52radix_sort_onesweep_histogram_config_static_selectorELNS0_4arch9wavefront6targetE1EEEvSC_: ; @_ZN7rocprim17ROCPRIM_400000_NS6detail17trampoline_kernelINS0_14default_configENS1_35radix_sort_onesweep_config_selectorIjNS0_10empty_typeEEEZNS1_34radix_sort_onesweep_global_offsetsIS3_Lb0EPjPS5_mNS0_19identity_decomposerEEE10hipError_tT1_T2_PT3_SE_jT4_jjP12ihipStream_tbEUlT_E_NS1_11comp_targetILNS1_3genE2ELNS1_11target_archE906ELNS1_3gpuE6ELNS1_3repE0EEENS1_52radix_sort_onesweep_histogram_config_static_selectorELNS0_4arch9wavefront6targetE1EEEvSC_
; %bb.0:
	.section	.rodata,"a",@progbits
	.p2align	6, 0x0
	.amdhsa_kernel _ZN7rocprim17ROCPRIM_400000_NS6detail17trampoline_kernelINS0_14default_configENS1_35radix_sort_onesweep_config_selectorIjNS0_10empty_typeEEEZNS1_34radix_sort_onesweep_global_offsetsIS3_Lb0EPjPS5_mNS0_19identity_decomposerEEE10hipError_tT1_T2_PT3_SE_jT4_jjP12ihipStream_tbEUlT_E_NS1_11comp_targetILNS1_3genE2ELNS1_11target_archE906ELNS1_3gpuE6ELNS1_3repE0EEENS1_52radix_sort_onesweep_histogram_config_static_selectorELNS0_4arch9wavefront6targetE1EEEvSC_
		.amdhsa_group_segment_fixed_size 0
		.amdhsa_private_segment_fixed_size 0
		.amdhsa_kernarg_size 48
		.amdhsa_user_sgpr_count 6
		.amdhsa_user_sgpr_private_segment_buffer 1
		.amdhsa_user_sgpr_dispatch_ptr 0
		.amdhsa_user_sgpr_queue_ptr 0
		.amdhsa_user_sgpr_kernarg_segment_ptr 1
		.amdhsa_user_sgpr_dispatch_id 0
		.amdhsa_user_sgpr_flat_scratch_init 0
		.amdhsa_user_sgpr_kernarg_preload_length 0
		.amdhsa_user_sgpr_kernarg_preload_offset 0
		.amdhsa_user_sgpr_private_segment_size 0
		.amdhsa_uses_dynamic_stack 0
		.amdhsa_system_sgpr_private_segment_wavefront_offset 0
		.amdhsa_system_sgpr_workgroup_id_x 1
		.amdhsa_system_sgpr_workgroup_id_y 0
		.amdhsa_system_sgpr_workgroup_id_z 0
		.amdhsa_system_sgpr_workgroup_info 0
		.amdhsa_system_vgpr_workitem_id 0
		.amdhsa_next_free_vgpr 1
		.amdhsa_next_free_sgpr 0
		.amdhsa_accum_offset 4
		.amdhsa_reserve_vcc 0
		.amdhsa_reserve_flat_scratch 0
		.amdhsa_float_round_mode_32 0
		.amdhsa_float_round_mode_16_64 0
		.amdhsa_float_denorm_mode_32 3
		.amdhsa_float_denorm_mode_16_64 3
		.amdhsa_dx10_clamp 1
		.amdhsa_ieee_mode 1
		.amdhsa_fp16_overflow 0
		.amdhsa_tg_split 0
		.amdhsa_exception_fp_ieee_invalid_op 0
		.amdhsa_exception_fp_denorm_src 0
		.amdhsa_exception_fp_ieee_div_zero 0
		.amdhsa_exception_fp_ieee_overflow 0
		.amdhsa_exception_fp_ieee_underflow 0
		.amdhsa_exception_fp_ieee_inexact 0
		.amdhsa_exception_int_div_zero 0
	.end_amdhsa_kernel
	.section	.text._ZN7rocprim17ROCPRIM_400000_NS6detail17trampoline_kernelINS0_14default_configENS1_35radix_sort_onesweep_config_selectorIjNS0_10empty_typeEEEZNS1_34radix_sort_onesweep_global_offsetsIS3_Lb0EPjPS5_mNS0_19identity_decomposerEEE10hipError_tT1_T2_PT3_SE_jT4_jjP12ihipStream_tbEUlT_E_NS1_11comp_targetILNS1_3genE2ELNS1_11target_archE906ELNS1_3gpuE6ELNS1_3repE0EEENS1_52radix_sort_onesweep_histogram_config_static_selectorELNS0_4arch9wavefront6targetE1EEEvSC_,"axG",@progbits,_ZN7rocprim17ROCPRIM_400000_NS6detail17trampoline_kernelINS0_14default_configENS1_35radix_sort_onesweep_config_selectorIjNS0_10empty_typeEEEZNS1_34radix_sort_onesweep_global_offsetsIS3_Lb0EPjPS5_mNS0_19identity_decomposerEEE10hipError_tT1_T2_PT3_SE_jT4_jjP12ihipStream_tbEUlT_E_NS1_11comp_targetILNS1_3genE2ELNS1_11target_archE906ELNS1_3gpuE6ELNS1_3repE0EEENS1_52radix_sort_onesweep_histogram_config_static_selectorELNS0_4arch9wavefront6targetE1EEEvSC_,comdat
.Lfunc_end745:
	.size	_ZN7rocprim17ROCPRIM_400000_NS6detail17trampoline_kernelINS0_14default_configENS1_35radix_sort_onesweep_config_selectorIjNS0_10empty_typeEEEZNS1_34radix_sort_onesweep_global_offsetsIS3_Lb0EPjPS5_mNS0_19identity_decomposerEEE10hipError_tT1_T2_PT3_SE_jT4_jjP12ihipStream_tbEUlT_E_NS1_11comp_targetILNS1_3genE2ELNS1_11target_archE906ELNS1_3gpuE6ELNS1_3repE0EEENS1_52radix_sort_onesweep_histogram_config_static_selectorELNS0_4arch9wavefront6targetE1EEEvSC_, .Lfunc_end745-_ZN7rocprim17ROCPRIM_400000_NS6detail17trampoline_kernelINS0_14default_configENS1_35radix_sort_onesweep_config_selectorIjNS0_10empty_typeEEEZNS1_34radix_sort_onesweep_global_offsetsIS3_Lb0EPjPS5_mNS0_19identity_decomposerEEE10hipError_tT1_T2_PT3_SE_jT4_jjP12ihipStream_tbEUlT_E_NS1_11comp_targetILNS1_3genE2ELNS1_11target_archE906ELNS1_3gpuE6ELNS1_3repE0EEENS1_52radix_sort_onesweep_histogram_config_static_selectorELNS0_4arch9wavefront6targetE1EEEvSC_
                                        ; -- End function
	.section	.AMDGPU.csdata,"",@progbits
; Kernel info:
; codeLenInByte = 0
; NumSgprs: 4
; NumVgprs: 0
; NumAgprs: 0
; TotalNumVgprs: 0
; ScratchSize: 0
; MemoryBound: 0
; FloatMode: 240
; IeeeMode: 1
; LDSByteSize: 0 bytes/workgroup (compile time only)
; SGPRBlocks: 0
; VGPRBlocks: 0
; NumSGPRsForWavesPerEU: 4
; NumVGPRsForWavesPerEU: 1
; AccumOffset: 4
; Occupancy: 8
; WaveLimiterHint : 0
; COMPUTE_PGM_RSRC2:SCRATCH_EN: 0
; COMPUTE_PGM_RSRC2:USER_SGPR: 6
; COMPUTE_PGM_RSRC2:TRAP_HANDLER: 0
; COMPUTE_PGM_RSRC2:TGID_X_EN: 1
; COMPUTE_PGM_RSRC2:TGID_Y_EN: 0
; COMPUTE_PGM_RSRC2:TGID_Z_EN: 0
; COMPUTE_PGM_RSRC2:TIDIG_COMP_CNT: 0
; COMPUTE_PGM_RSRC3_GFX90A:ACCUM_OFFSET: 0
; COMPUTE_PGM_RSRC3_GFX90A:TG_SPLIT: 0
	.section	.text._ZN7rocprim17ROCPRIM_400000_NS6detail17trampoline_kernelINS0_14default_configENS1_35radix_sort_onesweep_config_selectorIjNS0_10empty_typeEEEZNS1_34radix_sort_onesweep_global_offsetsIS3_Lb0EPjPS5_mNS0_19identity_decomposerEEE10hipError_tT1_T2_PT3_SE_jT4_jjP12ihipStream_tbEUlT_E_NS1_11comp_targetILNS1_3genE4ELNS1_11target_archE910ELNS1_3gpuE8ELNS1_3repE0EEENS1_52radix_sort_onesweep_histogram_config_static_selectorELNS0_4arch9wavefront6targetE1EEEvSC_,"axG",@progbits,_ZN7rocprim17ROCPRIM_400000_NS6detail17trampoline_kernelINS0_14default_configENS1_35radix_sort_onesweep_config_selectorIjNS0_10empty_typeEEEZNS1_34radix_sort_onesweep_global_offsetsIS3_Lb0EPjPS5_mNS0_19identity_decomposerEEE10hipError_tT1_T2_PT3_SE_jT4_jjP12ihipStream_tbEUlT_E_NS1_11comp_targetILNS1_3genE4ELNS1_11target_archE910ELNS1_3gpuE8ELNS1_3repE0EEENS1_52radix_sort_onesweep_histogram_config_static_selectorELNS0_4arch9wavefront6targetE1EEEvSC_,comdat
	.protected	_ZN7rocprim17ROCPRIM_400000_NS6detail17trampoline_kernelINS0_14default_configENS1_35radix_sort_onesweep_config_selectorIjNS0_10empty_typeEEEZNS1_34radix_sort_onesweep_global_offsetsIS3_Lb0EPjPS5_mNS0_19identity_decomposerEEE10hipError_tT1_T2_PT3_SE_jT4_jjP12ihipStream_tbEUlT_E_NS1_11comp_targetILNS1_3genE4ELNS1_11target_archE910ELNS1_3gpuE8ELNS1_3repE0EEENS1_52radix_sort_onesweep_histogram_config_static_selectorELNS0_4arch9wavefront6targetE1EEEvSC_ ; -- Begin function _ZN7rocprim17ROCPRIM_400000_NS6detail17trampoline_kernelINS0_14default_configENS1_35radix_sort_onesweep_config_selectorIjNS0_10empty_typeEEEZNS1_34radix_sort_onesweep_global_offsetsIS3_Lb0EPjPS5_mNS0_19identity_decomposerEEE10hipError_tT1_T2_PT3_SE_jT4_jjP12ihipStream_tbEUlT_E_NS1_11comp_targetILNS1_3genE4ELNS1_11target_archE910ELNS1_3gpuE8ELNS1_3repE0EEENS1_52radix_sort_onesweep_histogram_config_static_selectorELNS0_4arch9wavefront6targetE1EEEvSC_
	.globl	_ZN7rocprim17ROCPRIM_400000_NS6detail17trampoline_kernelINS0_14default_configENS1_35radix_sort_onesweep_config_selectorIjNS0_10empty_typeEEEZNS1_34radix_sort_onesweep_global_offsetsIS3_Lb0EPjPS5_mNS0_19identity_decomposerEEE10hipError_tT1_T2_PT3_SE_jT4_jjP12ihipStream_tbEUlT_E_NS1_11comp_targetILNS1_3genE4ELNS1_11target_archE910ELNS1_3gpuE8ELNS1_3repE0EEENS1_52radix_sort_onesweep_histogram_config_static_selectorELNS0_4arch9wavefront6targetE1EEEvSC_
	.p2align	8
	.type	_ZN7rocprim17ROCPRIM_400000_NS6detail17trampoline_kernelINS0_14default_configENS1_35radix_sort_onesweep_config_selectorIjNS0_10empty_typeEEEZNS1_34radix_sort_onesweep_global_offsetsIS3_Lb0EPjPS5_mNS0_19identity_decomposerEEE10hipError_tT1_T2_PT3_SE_jT4_jjP12ihipStream_tbEUlT_E_NS1_11comp_targetILNS1_3genE4ELNS1_11target_archE910ELNS1_3gpuE8ELNS1_3repE0EEENS1_52radix_sort_onesweep_histogram_config_static_selectorELNS0_4arch9wavefront6targetE1EEEvSC_,@function
_ZN7rocprim17ROCPRIM_400000_NS6detail17trampoline_kernelINS0_14default_configENS1_35radix_sort_onesweep_config_selectorIjNS0_10empty_typeEEEZNS1_34radix_sort_onesweep_global_offsetsIS3_Lb0EPjPS5_mNS0_19identity_decomposerEEE10hipError_tT1_T2_PT3_SE_jT4_jjP12ihipStream_tbEUlT_E_NS1_11comp_targetILNS1_3genE4ELNS1_11target_archE910ELNS1_3gpuE8ELNS1_3repE0EEENS1_52radix_sort_onesweep_histogram_config_static_selectorELNS0_4arch9wavefront6targetE1EEEvSC_: ; @_ZN7rocprim17ROCPRIM_400000_NS6detail17trampoline_kernelINS0_14default_configENS1_35radix_sort_onesweep_config_selectorIjNS0_10empty_typeEEEZNS1_34radix_sort_onesweep_global_offsetsIS3_Lb0EPjPS5_mNS0_19identity_decomposerEEE10hipError_tT1_T2_PT3_SE_jT4_jjP12ihipStream_tbEUlT_E_NS1_11comp_targetILNS1_3genE4ELNS1_11target_archE910ELNS1_3gpuE8ELNS1_3repE0EEENS1_52radix_sort_onesweep_histogram_config_static_selectorELNS0_4arch9wavefront6targetE1EEEvSC_
; %bb.0:
	s_load_dwordx2 s[10:11], s[4:5], 0x18
	s_load_dwordx4 s[0:3], s[4:5], 0x0
	s_load_dwordx2 s[8:9], s[4:5], 0x24
	v_mov_b32_e32 v2, s6
	v_mov_b32_e32 v3, 0
	s_mul_hi_u32 s7, s6, 0xc000
	s_mul_i32 s6, s6, 0xc000
	s_waitcnt lgkmcnt(0)
	v_cmp_le_u64_e32 vcc, s[10:11], v[2:3]
	s_add_u32 s6, s0, s6
	s_addc_u32 s7, s1, s7
	s_mov_b64 s[0:1], -1
	s_cbranch_vccz .LBB746_235
; %bb.1:
	s_load_dword s16, s[4:5], 0x10
	s_mul_i32 s0, s10, 0xffffd000
                                        ; implicit-def: $vgpr23
	s_waitcnt lgkmcnt(0)
	s_add_i32 s16, s16, s0
	v_cmp_gt_u32_e32 vcc, s16, v0
	s_and_saveexec_b64 s[0:1], vcc
	s_cbranch_execz .LBB746_3
; %bb.2:
	v_lshlrev_b32_e32 v1, 2, v0
	global_load_dword v23, v1, s[6:7]
.LBB746_3:
	s_or_b64 exec, exec, s[0:1]
	v_or_b32_e32 v24, 0x400, v0
	v_cmp_gt_u32_e32 vcc, s16, v24
                                        ; implicit-def: $vgpr22
	s_and_saveexec_b64 s[0:1], vcc
	s_cbranch_execz .LBB746_5
; %bb.4:
	v_lshlrev_b32_e32 v1, 2, v24
	global_load_dword v22, v1, s[6:7]
.LBB746_5:
	s_or_b64 exec, exec, s[0:1]
	v_or_b32_e32 v21, 0x800, v0
	v_cmp_gt_u32_e32 vcc, s16, v21
                                        ; implicit-def: $vgpr20
	s_and_saveexec_b64 s[0:1], vcc
	s_cbranch_execz .LBB746_7
; %bb.6:
	v_lshlrev_b32_e32 v1, 2, v21
	global_load_dword v20, v1, s[6:7]
.LBB746_7:
	s_or_b64 exec, exec, s[0:1]
	v_or_b32_e32 v19, 0xc00, v0
	v_cmp_gt_u32_e32 vcc, s16, v19
                                        ; implicit-def: $vgpr18
	s_and_saveexec_b64 s[0:1], vcc
	s_cbranch_execz .LBB746_9
; %bb.8:
	v_lshlrev_b32_e32 v1, 2, v19
	global_load_dword v18, v1, s[6:7]
.LBB746_9:
	s_or_b64 exec, exec, s[0:1]
	v_or_b32_e32 v17, 0x1000, v0
	v_cmp_gt_u32_e32 vcc, s16, v17
                                        ; implicit-def: $vgpr16
	s_and_saveexec_b64 s[0:1], vcc
	s_cbranch_execz .LBB746_11
; %bb.10:
	v_lshlrev_b32_e32 v1, 2, v17
	global_load_dword v16, v1, s[6:7]
.LBB746_11:
	s_or_b64 exec, exec, s[0:1]
	v_or_b32_e32 v15, 0x1400, v0
	v_cmp_gt_u32_e32 vcc, s16, v15
                                        ; implicit-def: $vgpr14
	s_and_saveexec_b64 s[0:1], vcc
	s_cbranch_execz .LBB746_13
; %bb.12:
	v_lshlrev_b32_e32 v1, 2, v15
	global_load_dword v14, v1, s[6:7]
.LBB746_13:
	s_or_b64 exec, exec, s[0:1]
	v_or_b32_e32 v13, 0x1800, v0
	v_cmp_gt_u32_e32 vcc, s16, v13
                                        ; implicit-def: $vgpr12
	s_and_saveexec_b64 s[0:1], vcc
	s_cbranch_execz .LBB746_15
; %bb.14:
	v_lshlrev_b32_e32 v1, 2, v13
	global_load_dword v12, v1, s[6:7]
.LBB746_15:
	s_or_b64 exec, exec, s[0:1]
	v_or_b32_e32 v11, 0x1c00, v0
	v_cmp_gt_u32_e32 vcc, s16, v11
                                        ; implicit-def: $vgpr10
	s_and_saveexec_b64 s[0:1], vcc
	s_cbranch_execz .LBB746_17
; %bb.16:
	v_lshlrev_b32_e32 v1, 2, v11
	global_load_dword v10, v1, s[6:7]
.LBB746_17:
	s_or_b64 exec, exec, s[0:1]
	v_or_b32_e32 v9, 0x2000, v0
	v_cmp_gt_u32_e32 vcc, s16, v9
                                        ; implicit-def: $vgpr8
	s_and_saveexec_b64 s[0:1], vcc
	s_cbranch_execz .LBB746_19
; %bb.18:
	v_lshlrev_b32_e32 v1, 2, v9
	global_load_dword v8, v1, s[6:7]
.LBB746_19:
	s_or_b64 exec, exec, s[0:1]
	v_or_b32_e32 v7, 0x2400, v0
	v_cmp_gt_u32_e32 vcc, s16, v7
                                        ; implicit-def: $vgpr6
	s_and_saveexec_b64 s[0:1], vcc
	s_cbranch_execz .LBB746_21
; %bb.20:
	v_lshlrev_b32_e32 v1, 2, v7
	global_load_dword v6, v1, s[6:7]
.LBB746_21:
	s_or_b64 exec, exec, s[0:1]
	v_or_b32_e32 v5, 0x2800, v0
	v_cmp_gt_u32_e32 vcc, s16, v5
                                        ; implicit-def: $vgpr4
	s_and_saveexec_b64 s[0:1], vcc
	s_cbranch_execz .LBB746_23
; %bb.22:
	v_lshlrev_b32_e32 v1, 2, v5
	global_load_dword v4, v1, s[6:7]
.LBB746_23:
	s_or_b64 exec, exec, s[0:1]
	v_or_b32_e32 v3, 0x2c00, v0
	v_cmp_gt_u32_e32 vcc, s16, v3
                                        ; implicit-def: $vgpr1
	s_and_saveexec_b64 s[0:1], vcc
	s_cbranch_execz .LBB746_25
; %bb.24:
	v_lshlrev_b32_e32 v1, 2, v3
	global_load_dword v1, v1, s[6:7]
.LBB746_25:
	s_or_b64 exec, exec, s[0:1]
	s_cmp_le_u32 s9, s8
	s_cselect_b64 s[4:5], -1, 0
	v_cmp_le_u32_e32 vcc, s16, v0
	s_and_b64 s[0:1], s[4:5], exec
	v_lshlrev_b32_e32 v25, 2, v0
	v_mov_b32_e32 v26, 0
	s_cselect_b32 s17, 8, 10
	s_or_b64 s[0:1], s[4:5], vcc
	v_and_b32_e32 v2, 3, v0
	ds_write2st64_b32 v25, v26, v26 offset1:16
	ds_write2st64_b32 v25, v26, v26 offset0:32 offset1:48
	s_xor_b64 s[10:11], s[0:1], -1
	v_mov_b32_e32 v25, s17
	s_waitcnt lgkmcnt(0)
	s_barrier
	s_and_saveexec_b64 s[0:1], s[10:11]
	s_cbranch_execz .LBB746_27
; %bb.26:
	s_sub_i32 s10, s9, s8
	s_min_u32 s10, s10, 8
	s_waitcnt vmcnt(0)
	v_lshrrev_b32_e32 v25, s8, v23
	v_bfe_u32 v25, v25, 0, s10
	v_lshlrev_b32_e32 v26, 2, v2
	v_lshl_or_b32 v25, v25, 4, v26
	v_mov_b32_e32 v26, 1
	ds_add_u32 v25, v26
	v_mov_b32_e32 v25, 0
.LBB746_27:
	s_or_b64 exec, exec, s[0:1]
	v_cmp_gt_i32_e64 s[0:1], 10, v25
	s_mov_b64 s[12:13], -1
	s_and_saveexec_b64 s[10:11], s[0:1]
; %bb.28:
	v_cmp_eq_u32_e64 s[0:1], 0, v25
	s_orn2_b64 s[12:13], s[0:1], exec
; %bb.29:
	s_or_b64 exec, exec, s[10:11]
	s_and_saveexec_b64 s[10:11], s[12:13]
	s_cbranch_execz .LBB746_42
; %bb.30:
	s_add_i32 s12, s8, 8
	s_cmp_le_u32 s9, s12
	s_cselect_b64 s[0:1], -1, 0
	s_and_b64 s[14:15], s[0:1], exec
	s_cselect_b32 s13, 8, 10
	s_or_b64 s[0:1], s[0:1], vcc
	s_xor_b64 s[14:15], s[0:1], -1
	v_mov_b32_e32 v25, s13
	s_and_saveexec_b64 s[0:1], s[14:15]
	s_cbranch_execz .LBB746_32
; %bb.31:
	s_sub_i32 s13, s9, s12
	s_min_u32 s13, s13, 8
	s_waitcnt vmcnt(0)
	v_lshrrev_b32_e32 v25, s12, v23
	v_bfe_u32 v25, v25, 0, s13
	v_lshlrev_b32_e32 v26, 2, v2
	v_lshl_or_b32 v25, v25, 4, v26
	v_mov_b32_e32 v26, 1
	ds_add_u32 v25, v26 offset:4096
	v_mov_b32_e32 v25, 0
.LBB746_32:
	s_or_b64 exec, exec, s[0:1]
	v_cmp_gt_i32_e64 s[0:1], 10, v25
	s_mov_b64 s[12:13], -1
	s_and_saveexec_b64 s[14:15], s[0:1]
; %bb.33:
	v_cmp_eq_u32_e64 s[0:1], 0, v25
	s_orn2_b64 s[12:13], s[0:1], exec
; %bb.34:
	s_or_b64 exec, exec, s[14:15]
	s_and_b64 exec, exec, s[12:13]
	s_cbranch_execz .LBB746_42
; %bb.35:
	s_add_i32 s12, s8, 16
	s_cmp_le_u32 s9, s12
	s_cselect_b64 s[0:1], -1, 0
	s_and_b64 s[14:15], s[0:1], exec
	s_cselect_b32 s13, 8, 10
	s_or_b64 s[0:1], s[0:1], vcc
	s_xor_b64 s[14:15], s[0:1], -1
	v_mov_b32_e32 v25, s13
	s_and_saveexec_b64 s[0:1], s[14:15]
	s_cbranch_execz .LBB746_37
; %bb.36:
	s_sub_i32 s13, s9, s12
	s_min_u32 s13, s13, 8
	s_waitcnt vmcnt(0)
	v_lshrrev_b32_e32 v25, s12, v23
	v_bfe_u32 v25, v25, 0, s13
	v_lshlrev_b32_e32 v26, 2, v2
	v_lshl_or_b32 v25, v25, 4, v26
	v_mov_b32_e32 v26, 1
	ds_add_u32 v25, v26 offset:8192
	v_mov_b32_e32 v25, 0
.LBB746_37:
	s_or_b64 exec, exec, s[0:1]
	v_cmp_gt_i32_e64 s[0:1], 10, v25
	s_mov_b64 s[12:13], -1
	s_and_saveexec_b64 s[14:15], s[0:1]
; %bb.38:
	v_cmp_eq_u32_e64 s[0:1], 0, v25
	s_orn2_b64 s[12:13], s[0:1], exec
; %bb.39:
	s_or_b64 exec, exec, s[14:15]
	s_and_b64 exec, exec, s[12:13]
	s_cbranch_execz .LBB746_42
; %bb.40:
	s_add_i32 s0, s8, 24
	s_cmp_gt_u32 s9, s0
	s_cselect_b64 s[12:13], -1, 0
	s_xor_b64 s[14:15], vcc, -1
	s_and_b64 s[12:13], s[12:13], s[14:15]
	s_and_b64 exec, exec, s[12:13]
	s_cbranch_execz .LBB746_42
; %bb.41:
	s_sub_i32 s1, s9, s0
	s_min_u32 s1, s1, 8
	s_waitcnt vmcnt(0)
	v_lshrrev_b32_e32 v23, s0, v23
	v_bfe_u32 v23, v23, 0, s1
	v_lshlrev_b32_e32 v25, 2, v2
	v_lshl_or_b32 v23, v23, 4, v25
	v_mov_b32_e32 v25, 1
	ds_add_u32 v23, v25 offset:12288
.LBB746_42:
	s_or_b64 exec, exec, s[10:11]
	v_cmp_le_u32_e32 vcc, s16, v24
	s_or_b64 s[0:1], s[4:5], vcc
	s_xor_b64 s[10:11], s[0:1], -1
	s_waitcnt vmcnt(0)
	v_mov_b32_e32 v23, s17
	s_and_saveexec_b64 s[0:1], s[10:11]
	s_cbranch_execz .LBB746_44
; %bb.43:
	s_sub_i32 s10, s9, s8
	s_min_u32 s10, s10, 8
	v_lshrrev_b32_e32 v23, s8, v22
	v_bfe_u32 v23, v23, 0, s10
	v_lshlrev_b32_e32 v24, 2, v2
	v_lshl_or_b32 v23, v23, 4, v24
	v_mov_b32_e32 v24, 1
	ds_add_u32 v23, v24
	v_mov_b32_e32 v23, 0
.LBB746_44:
	s_or_b64 exec, exec, s[0:1]
	v_cmp_gt_i32_e64 s[0:1], 10, v23
	s_mov_b64 s[12:13], -1
	s_and_saveexec_b64 s[10:11], s[0:1]
; %bb.45:
	v_cmp_eq_u32_e64 s[0:1], 0, v23
	s_orn2_b64 s[12:13], s[0:1], exec
; %bb.46:
	s_or_b64 exec, exec, s[10:11]
	s_and_saveexec_b64 s[10:11], s[12:13]
	s_cbranch_execz .LBB746_59
; %bb.47:
	s_add_i32 s12, s8, 8
	s_cmp_le_u32 s9, s12
	s_cselect_b64 s[0:1], -1, 0
	s_and_b64 s[14:15], s[0:1], exec
	s_cselect_b32 s13, 8, 10
	s_or_b64 s[0:1], s[0:1], vcc
	s_xor_b64 s[14:15], s[0:1], -1
	v_mov_b32_e32 v23, s13
	s_and_saveexec_b64 s[0:1], s[14:15]
	s_cbranch_execz .LBB746_49
; %bb.48:
	s_sub_i32 s13, s9, s12
	s_min_u32 s13, s13, 8
	v_lshrrev_b32_e32 v23, s12, v22
	v_bfe_u32 v23, v23, 0, s13
	v_lshlrev_b32_e32 v24, 2, v2
	v_lshl_or_b32 v23, v23, 4, v24
	v_mov_b32_e32 v24, 1
	ds_add_u32 v23, v24 offset:4096
	v_mov_b32_e32 v23, 0
.LBB746_49:
	s_or_b64 exec, exec, s[0:1]
	v_cmp_gt_i32_e64 s[0:1], 10, v23
	s_mov_b64 s[12:13], -1
	s_and_saveexec_b64 s[14:15], s[0:1]
; %bb.50:
	v_cmp_eq_u32_e64 s[0:1], 0, v23
	s_orn2_b64 s[12:13], s[0:1], exec
; %bb.51:
	s_or_b64 exec, exec, s[14:15]
	s_and_b64 exec, exec, s[12:13]
	s_cbranch_execz .LBB746_59
; %bb.52:
	s_add_i32 s12, s8, 16
	s_cmp_le_u32 s9, s12
	s_cselect_b64 s[0:1], -1, 0
	s_and_b64 s[14:15], s[0:1], exec
	s_cselect_b32 s13, 8, 10
	s_or_b64 s[0:1], s[0:1], vcc
	s_xor_b64 s[14:15], s[0:1], -1
	v_mov_b32_e32 v23, s13
	s_and_saveexec_b64 s[0:1], s[14:15]
	s_cbranch_execz .LBB746_54
; %bb.53:
	s_sub_i32 s13, s9, s12
	s_min_u32 s13, s13, 8
	v_lshrrev_b32_e32 v23, s12, v22
	v_bfe_u32 v23, v23, 0, s13
	v_lshlrev_b32_e32 v24, 2, v2
	v_lshl_or_b32 v23, v23, 4, v24
	v_mov_b32_e32 v24, 1
	ds_add_u32 v23, v24 offset:8192
	v_mov_b32_e32 v23, 0
.LBB746_54:
	s_or_b64 exec, exec, s[0:1]
	v_cmp_gt_i32_e64 s[0:1], 10, v23
	s_mov_b64 s[12:13], -1
	s_and_saveexec_b64 s[14:15], s[0:1]
; %bb.55:
	v_cmp_eq_u32_e64 s[0:1], 0, v23
	s_orn2_b64 s[12:13], s[0:1], exec
; %bb.56:
	s_or_b64 exec, exec, s[14:15]
	s_and_b64 exec, exec, s[12:13]
	s_cbranch_execz .LBB746_59
; %bb.57:
	s_add_i32 s0, s8, 24
	s_cmp_gt_u32 s9, s0
	s_cselect_b64 s[12:13], -1, 0
	s_xor_b64 s[14:15], vcc, -1
	s_and_b64 s[12:13], s[12:13], s[14:15]
	s_and_b64 exec, exec, s[12:13]
	s_cbranch_execz .LBB746_59
; %bb.58:
	s_sub_i32 s1, s9, s0
	s_min_u32 s1, s1, 8
	v_lshrrev_b32_e32 v22, s0, v22
	v_bfe_u32 v22, v22, 0, s1
	v_lshlrev_b32_e32 v23, 2, v2
	v_lshl_or_b32 v22, v22, 4, v23
	v_mov_b32_e32 v23, 1
	ds_add_u32 v22, v23 offset:12288
.LBB746_59:
	s_or_b64 exec, exec, s[10:11]
	v_cmp_le_u32_e32 vcc, s16, v21
	s_or_b64 s[0:1], s[4:5], vcc
	s_xor_b64 s[10:11], s[0:1], -1
	v_mov_b32_e32 v21, s17
	s_and_saveexec_b64 s[0:1], s[10:11]
	s_cbranch_execz .LBB746_61
; %bb.60:
	s_sub_i32 s10, s9, s8
	s_min_u32 s10, s10, 8
	v_lshrrev_b32_e32 v21, s8, v20
	v_bfe_u32 v21, v21, 0, s10
	v_lshlrev_b32_e32 v22, 2, v2
	v_lshl_or_b32 v21, v21, 4, v22
	v_mov_b32_e32 v22, 1
	ds_add_u32 v21, v22
	v_mov_b32_e32 v21, 0
.LBB746_61:
	s_or_b64 exec, exec, s[0:1]
	v_cmp_gt_i32_e64 s[0:1], 10, v21
	s_mov_b64 s[12:13], -1
	s_and_saveexec_b64 s[10:11], s[0:1]
; %bb.62:
	v_cmp_eq_u32_e64 s[0:1], 0, v21
	s_orn2_b64 s[12:13], s[0:1], exec
; %bb.63:
	s_or_b64 exec, exec, s[10:11]
	s_and_saveexec_b64 s[10:11], s[12:13]
	s_cbranch_execz .LBB746_76
; %bb.64:
	s_add_i32 s12, s8, 8
	s_cmp_le_u32 s9, s12
	s_cselect_b64 s[0:1], -1, 0
	s_and_b64 s[14:15], s[0:1], exec
	s_cselect_b32 s13, 8, 10
	s_or_b64 s[0:1], s[0:1], vcc
	s_xor_b64 s[14:15], s[0:1], -1
	v_mov_b32_e32 v21, s13
	s_and_saveexec_b64 s[0:1], s[14:15]
	s_cbranch_execz .LBB746_66
; %bb.65:
	s_sub_i32 s13, s9, s12
	s_min_u32 s13, s13, 8
	v_lshrrev_b32_e32 v21, s12, v20
	v_bfe_u32 v21, v21, 0, s13
	v_lshlrev_b32_e32 v22, 2, v2
	v_lshl_or_b32 v21, v21, 4, v22
	v_mov_b32_e32 v22, 1
	ds_add_u32 v21, v22 offset:4096
	v_mov_b32_e32 v21, 0
.LBB746_66:
	s_or_b64 exec, exec, s[0:1]
	v_cmp_gt_i32_e64 s[0:1], 10, v21
	s_mov_b64 s[12:13], -1
	s_and_saveexec_b64 s[14:15], s[0:1]
; %bb.67:
	v_cmp_eq_u32_e64 s[0:1], 0, v21
	s_orn2_b64 s[12:13], s[0:1], exec
; %bb.68:
	s_or_b64 exec, exec, s[14:15]
	s_and_b64 exec, exec, s[12:13]
	s_cbranch_execz .LBB746_76
; %bb.69:
	s_add_i32 s12, s8, 16
	s_cmp_le_u32 s9, s12
	s_cselect_b64 s[0:1], -1, 0
	s_and_b64 s[14:15], s[0:1], exec
	s_cselect_b32 s13, 8, 10
	s_or_b64 s[0:1], s[0:1], vcc
	s_xor_b64 s[14:15], s[0:1], -1
	v_mov_b32_e32 v21, s13
	s_and_saveexec_b64 s[0:1], s[14:15]
	s_cbranch_execz .LBB746_71
; %bb.70:
	s_sub_i32 s13, s9, s12
	s_min_u32 s13, s13, 8
	v_lshrrev_b32_e32 v21, s12, v20
	v_bfe_u32 v21, v21, 0, s13
	v_lshlrev_b32_e32 v22, 2, v2
	v_lshl_or_b32 v21, v21, 4, v22
	v_mov_b32_e32 v22, 1
	ds_add_u32 v21, v22 offset:8192
	v_mov_b32_e32 v21, 0
.LBB746_71:
	s_or_b64 exec, exec, s[0:1]
	v_cmp_gt_i32_e64 s[0:1], 10, v21
	s_mov_b64 s[12:13], -1
	s_and_saveexec_b64 s[14:15], s[0:1]
; %bb.72:
	v_cmp_eq_u32_e64 s[0:1], 0, v21
	s_orn2_b64 s[12:13], s[0:1], exec
; %bb.73:
	s_or_b64 exec, exec, s[14:15]
	s_and_b64 exec, exec, s[12:13]
	s_cbranch_execz .LBB746_76
; %bb.74:
	s_add_i32 s0, s8, 24
	s_cmp_gt_u32 s9, s0
	s_cselect_b64 s[12:13], -1, 0
	s_xor_b64 s[14:15], vcc, -1
	s_and_b64 s[12:13], s[12:13], s[14:15]
	s_and_b64 exec, exec, s[12:13]
	s_cbranch_execz .LBB746_76
; %bb.75:
	s_sub_i32 s1, s9, s0
	s_min_u32 s1, s1, 8
	v_lshrrev_b32_e32 v20, s0, v20
	v_bfe_u32 v20, v20, 0, s1
	v_lshlrev_b32_e32 v21, 2, v2
	v_lshl_or_b32 v20, v20, 4, v21
	v_mov_b32_e32 v21, 1
	ds_add_u32 v20, v21 offset:12288
.LBB746_76:
	s_or_b64 exec, exec, s[10:11]
	v_cmp_le_u32_e32 vcc, s16, v19
	s_or_b64 s[0:1], s[4:5], vcc
	s_xor_b64 s[10:11], s[0:1], -1
	v_mov_b32_e32 v19, s17
	s_and_saveexec_b64 s[0:1], s[10:11]
	s_cbranch_execz .LBB746_78
; %bb.77:
	s_sub_i32 s10, s9, s8
	s_min_u32 s10, s10, 8
	v_lshrrev_b32_e32 v19, s8, v18
	v_bfe_u32 v19, v19, 0, s10
	v_lshlrev_b32_e32 v20, 2, v2
	v_lshl_or_b32 v19, v19, 4, v20
	v_mov_b32_e32 v20, 1
	ds_add_u32 v19, v20
	v_mov_b32_e32 v19, 0
.LBB746_78:
	s_or_b64 exec, exec, s[0:1]
	v_cmp_gt_i32_e64 s[0:1], 10, v19
	s_mov_b64 s[12:13], -1
	s_and_saveexec_b64 s[10:11], s[0:1]
; %bb.79:
	v_cmp_eq_u32_e64 s[0:1], 0, v19
	s_orn2_b64 s[12:13], s[0:1], exec
; %bb.80:
	s_or_b64 exec, exec, s[10:11]
	s_and_saveexec_b64 s[10:11], s[12:13]
	s_cbranch_execz .LBB746_93
; %bb.81:
	s_add_i32 s12, s8, 8
	s_cmp_le_u32 s9, s12
	s_cselect_b64 s[0:1], -1, 0
	s_and_b64 s[14:15], s[0:1], exec
	s_cselect_b32 s13, 8, 10
	s_or_b64 s[0:1], s[0:1], vcc
	s_xor_b64 s[14:15], s[0:1], -1
	v_mov_b32_e32 v19, s13
	s_and_saveexec_b64 s[0:1], s[14:15]
	s_cbranch_execz .LBB746_83
; %bb.82:
	s_sub_i32 s13, s9, s12
	s_min_u32 s13, s13, 8
	v_lshrrev_b32_e32 v19, s12, v18
	v_bfe_u32 v19, v19, 0, s13
	v_lshlrev_b32_e32 v20, 2, v2
	v_lshl_or_b32 v19, v19, 4, v20
	v_mov_b32_e32 v20, 1
	ds_add_u32 v19, v20 offset:4096
	v_mov_b32_e32 v19, 0
.LBB746_83:
	s_or_b64 exec, exec, s[0:1]
	v_cmp_gt_i32_e64 s[0:1], 10, v19
	s_mov_b64 s[12:13], -1
	s_and_saveexec_b64 s[14:15], s[0:1]
; %bb.84:
	v_cmp_eq_u32_e64 s[0:1], 0, v19
	s_orn2_b64 s[12:13], s[0:1], exec
; %bb.85:
	s_or_b64 exec, exec, s[14:15]
	s_and_b64 exec, exec, s[12:13]
	s_cbranch_execz .LBB746_93
; %bb.86:
	s_add_i32 s12, s8, 16
	s_cmp_le_u32 s9, s12
	s_cselect_b64 s[0:1], -1, 0
	s_and_b64 s[14:15], s[0:1], exec
	s_cselect_b32 s13, 8, 10
	s_or_b64 s[0:1], s[0:1], vcc
	s_xor_b64 s[14:15], s[0:1], -1
	v_mov_b32_e32 v19, s13
	s_and_saveexec_b64 s[0:1], s[14:15]
	s_cbranch_execz .LBB746_88
; %bb.87:
	s_sub_i32 s13, s9, s12
	s_min_u32 s13, s13, 8
	v_lshrrev_b32_e32 v19, s12, v18
	v_bfe_u32 v19, v19, 0, s13
	v_lshlrev_b32_e32 v20, 2, v2
	v_lshl_or_b32 v19, v19, 4, v20
	v_mov_b32_e32 v20, 1
	ds_add_u32 v19, v20 offset:8192
	v_mov_b32_e32 v19, 0
.LBB746_88:
	s_or_b64 exec, exec, s[0:1]
	v_cmp_gt_i32_e64 s[0:1], 10, v19
	s_mov_b64 s[12:13], -1
	s_and_saveexec_b64 s[14:15], s[0:1]
; %bb.89:
	v_cmp_eq_u32_e64 s[0:1], 0, v19
	s_orn2_b64 s[12:13], s[0:1], exec
; %bb.90:
	s_or_b64 exec, exec, s[14:15]
	s_and_b64 exec, exec, s[12:13]
	s_cbranch_execz .LBB746_93
; %bb.91:
	s_add_i32 s0, s8, 24
	s_cmp_gt_u32 s9, s0
	s_cselect_b64 s[12:13], -1, 0
	s_xor_b64 s[14:15], vcc, -1
	s_and_b64 s[12:13], s[12:13], s[14:15]
	s_and_b64 exec, exec, s[12:13]
	s_cbranch_execz .LBB746_93
; %bb.92:
	s_sub_i32 s1, s9, s0
	s_min_u32 s1, s1, 8
	v_lshrrev_b32_e32 v18, s0, v18
	v_bfe_u32 v18, v18, 0, s1
	v_lshlrev_b32_e32 v19, 2, v2
	v_lshl_or_b32 v18, v18, 4, v19
	v_mov_b32_e32 v19, 1
	ds_add_u32 v18, v19 offset:12288
.LBB746_93:
	s_or_b64 exec, exec, s[10:11]
	v_cmp_le_u32_e32 vcc, s16, v17
	s_or_b64 s[0:1], s[4:5], vcc
	s_xor_b64 s[10:11], s[0:1], -1
	v_mov_b32_e32 v17, s17
	s_and_saveexec_b64 s[0:1], s[10:11]
	s_cbranch_execz .LBB746_95
; %bb.94:
	s_sub_i32 s10, s9, s8
	s_min_u32 s10, s10, 8
	v_lshrrev_b32_e32 v17, s8, v16
	v_bfe_u32 v17, v17, 0, s10
	v_lshlrev_b32_e32 v18, 2, v2
	v_lshl_or_b32 v17, v17, 4, v18
	v_mov_b32_e32 v18, 1
	ds_add_u32 v17, v18
	v_mov_b32_e32 v17, 0
.LBB746_95:
	s_or_b64 exec, exec, s[0:1]
	v_cmp_gt_i32_e64 s[0:1], 10, v17
	s_mov_b64 s[12:13], -1
	s_and_saveexec_b64 s[10:11], s[0:1]
; %bb.96:
	v_cmp_eq_u32_e64 s[0:1], 0, v17
	s_orn2_b64 s[12:13], s[0:1], exec
; %bb.97:
	s_or_b64 exec, exec, s[10:11]
	s_and_saveexec_b64 s[10:11], s[12:13]
	s_cbranch_execz .LBB746_110
; %bb.98:
	s_add_i32 s12, s8, 8
	s_cmp_le_u32 s9, s12
	s_cselect_b64 s[0:1], -1, 0
	s_and_b64 s[14:15], s[0:1], exec
	s_cselect_b32 s13, 8, 10
	s_or_b64 s[0:1], s[0:1], vcc
	s_xor_b64 s[14:15], s[0:1], -1
	v_mov_b32_e32 v17, s13
	s_and_saveexec_b64 s[0:1], s[14:15]
	s_cbranch_execz .LBB746_100
; %bb.99:
	s_sub_i32 s13, s9, s12
	s_min_u32 s13, s13, 8
	v_lshrrev_b32_e32 v17, s12, v16
	v_bfe_u32 v17, v17, 0, s13
	v_lshlrev_b32_e32 v18, 2, v2
	v_lshl_or_b32 v17, v17, 4, v18
	v_mov_b32_e32 v18, 1
	ds_add_u32 v17, v18 offset:4096
	v_mov_b32_e32 v17, 0
.LBB746_100:
	s_or_b64 exec, exec, s[0:1]
	v_cmp_gt_i32_e64 s[0:1], 10, v17
	s_mov_b64 s[12:13], -1
	s_and_saveexec_b64 s[14:15], s[0:1]
; %bb.101:
	v_cmp_eq_u32_e64 s[0:1], 0, v17
	s_orn2_b64 s[12:13], s[0:1], exec
; %bb.102:
	s_or_b64 exec, exec, s[14:15]
	s_and_b64 exec, exec, s[12:13]
	s_cbranch_execz .LBB746_110
; %bb.103:
	s_add_i32 s12, s8, 16
	s_cmp_le_u32 s9, s12
	s_cselect_b64 s[0:1], -1, 0
	s_and_b64 s[14:15], s[0:1], exec
	s_cselect_b32 s13, 8, 10
	s_or_b64 s[0:1], s[0:1], vcc
	s_xor_b64 s[14:15], s[0:1], -1
	v_mov_b32_e32 v17, s13
	s_and_saveexec_b64 s[0:1], s[14:15]
	s_cbranch_execz .LBB746_105
; %bb.104:
	s_sub_i32 s13, s9, s12
	s_min_u32 s13, s13, 8
	v_lshrrev_b32_e32 v17, s12, v16
	v_bfe_u32 v17, v17, 0, s13
	v_lshlrev_b32_e32 v18, 2, v2
	v_lshl_or_b32 v17, v17, 4, v18
	v_mov_b32_e32 v18, 1
	ds_add_u32 v17, v18 offset:8192
	v_mov_b32_e32 v17, 0
.LBB746_105:
	s_or_b64 exec, exec, s[0:1]
	v_cmp_gt_i32_e64 s[0:1], 10, v17
	s_mov_b64 s[12:13], -1
	s_and_saveexec_b64 s[14:15], s[0:1]
; %bb.106:
	v_cmp_eq_u32_e64 s[0:1], 0, v17
	s_orn2_b64 s[12:13], s[0:1], exec
; %bb.107:
	s_or_b64 exec, exec, s[14:15]
	s_and_b64 exec, exec, s[12:13]
	s_cbranch_execz .LBB746_110
; %bb.108:
	s_add_i32 s0, s8, 24
	s_cmp_gt_u32 s9, s0
	s_cselect_b64 s[12:13], -1, 0
	s_xor_b64 s[14:15], vcc, -1
	s_and_b64 s[12:13], s[12:13], s[14:15]
	s_and_b64 exec, exec, s[12:13]
	s_cbranch_execz .LBB746_110
; %bb.109:
	s_sub_i32 s1, s9, s0
	s_min_u32 s1, s1, 8
	v_lshrrev_b32_e32 v16, s0, v16
	v_bfe_u32 v16, v16, 0, s1
	v_lshlrev_b32_e32 v17, 2, v2
	v_lshl_or_b32 v16, v16, 4, v17
	v_mov_b32_e32 v17, 1
	ds_add_u32 v16, v17 offset:12288
.LBB746_110:
	s_or_b64 exec, exec, s[10:11]
	v_cmp_le_u32_e32 vcc, s16, v15
	s_or_b64 s[0:1], s[4:5], vcc
	s_xor_b64 s[10:11], s[0:1], -1
	v_mov_b32_e32 v15, s17
	s_and_saveexec_b64 s[0:1], s[10:11]
	s_cbranch_execz .LBB746_112
; %bb.111:
	s_sub_i32 s10, s9, s8
	s_min_u32 s10, s10, 8
	v_lshrrev_b32_e32 v15, s8, v14
	v_bfe_u32 v15, v15, 0, s10
	v_lshlrev_b32_e32 v16, 2, v2
	v_lshl_or_b32 v15, v15, 4, v16
	v_mov_b32_e32 v16, 1
	ds_add_u32 v15, v16
	v_mov_b32_e32 v15, 0
.LBB746_112:
	s_or_b64 exec, exec, s[0:1]
	v_cmp_gt_i32_e64 s[0:1], 10, v15
	s_mov_b64 s[12:13], -1
	s_and_saveexec_b64 s[10:11], s[0:1]
; %bb.113:
	v_cmp_eq_u32_e64 s[0:1], 0, v15
	s_orn2_b64 s[12:13], s[0:1], exec
; %bb.114:
	s_or_b64 exec, exec, s[10:11]
	s_and_saveexec_b64 s[10:11], s[12:13]
	s_cbranch_execz .LBB746_127
; %bb.115:
	s_add_i32 s12, s8, 8
	s_cmp_le_u32 s9, s12
	s_cselect_b64 s[0:1], -1, 0
	s_and_b64 s[14:15], s[0:1], exec
	s_cselect_b32 s13, 8, 10
	s_or_b64 s[0:1], s[0:1], vcc
	s_xor_b64 s[14:15], s[0:1], -1
	v_mov_b32_e32 v15, s13
	s_and_saveexec_b64 s[0:1], s[14:15]
	s_cbranch_execz .LBB746_117
; %bb.116:
	s_sub_i32 s13, s9, s12
	s_min_u32 s13, s13, 8
	v_lshrrev_b32_e32 v15, s12, v14
	v_bfe_u32 v15, v15, 0, s13
	v_lshlrev_b32_e32 v16, 2, v2
	v_lshl_or_b32 v15, v15, 4, v16
	v_mov_b32_e32 v16, 1
	ds_add_u32 v15, v16 offset:4096
	v_mov_b32_e32 v15, 0
.LBB746_117:
	s_or_b64 exec, exec, s[0:1]
	v_cmp_gt_i32_e64 s[0:1], 10, v15
	s_mov_b64 s[12:13], -1
	s_and_saveexec_b64 s[14:15], s[0:1]
; %bb.118:
	v_cmp_eq_u32_e64 s[0:1], 0, v15
	s_orn2_b64 s[12:13], s[0:1], exec
; %bb.119:
	s_or_b64 exec, exec, s[14:15]
	s_and_b64 exec, exec, s[12:13]
	s_cbranch_execz .LBB746_127
; %bb.120:
	s_add_i32 s12, s8, 16
	s_cmp_le_u32 s9, s12
	s_cselect_b64 s[0:1], -1, 0
	s_and_b64 s[14:15], s[0:1], exec
	s_cselect_b32 s13, 8, 10
	s_or_b64 s[0:1], s[0:1], vcc
	s_xor_b64 s[14:15], s[0:1], -1
	v_mov_b32_e32 v15, s13
	s_and_saveexec_b64 s[0:1], s[14:15]
	s_cbranch_execz .LBB746_122
; %bb.121:
	s_sub_i32 s13, s9, s12
	s_min_u32 s13, s13, 8
	v_lshrrev_b32_e32 v15, s12, v14
	v_bfe_u32 v15, v15, 0, s13
	v_lshlrev_b32_e32 v16, 2, v2
	v_lshl_or_b32 v15, v15, 4, v16
	v_mov_b32_e32 v16, 1
	ds_add_u32 v15, v16 offset:8192
	v_mov_b32_e32 v15, 0
.LBB746_122:
	s_or_b64 exec, exec, s[0:1]
	v_cmp_gt_i32_e64 s[0:1], 10, v15
	s_mov_b64 s[12:13], -1
	s_and_saveexec_b64 s[14:15], s[0:1]
; %bb.123:
	v_cmp_eq_u32_e64 s[0:1], 0, v15
	s_orn2_b64 s[12:13], s[0:1], exec
; %bb.124:
	s_or_b64 exec, exec, s[14:15]
	s_and_b64 exec, exec, s[12:13]
	s_cbranch_execz .LBB746_127
; %bb.125:
	s_add_i32 s0, s8, 24
	s_cmp_gt_u32 s9, s0
	s_cselect_b64 s[12:13], -1, 0
	s_xor_b64 s[14:15], vcc, -1
	s_and_b64 s[12:13], s[12:13], s[14:15]
	s_and_b64 exec, exec, s[12:13]
	s_cbranch_execz .LBB746_127
; %bb.126:
	s_sub_i32 s1, s9, s0
	s_min_u32 s1, s1, 8
	v_lshrrev_b32_e32 v14, s0, v14
	v_bfe_u32 v14, v14, 0, s1
	v_lshlrev_b32_e32 v15, 2, v2
	v_lshl_or_b32 v14, v14, 4, v15
	v_mov_b32_e32 v15, 1
	ds_add_u32 v14, v15 offset:12288
.LBB746_127:
	s_or_b64 exec, exec, s[10:11]
	v_cmp_le_u32_e32 vcc, s16, v13
	s_or_b64 s[0:1], s[4:5], vcc
	s_xor_b64 s[10:11], s[0:1], -1
	v_mov_b32_e32 v13, s17
	s_and_saveexec_b64 s[0:1], s[10:11]
	s_cbranch_execz .LBB746_129
; %bb.128:
	s_sub_i32 s10, s9, s8
	s_min_u32 s10, s10, 8
	v_lshrrev_b32_e32 v13, s8, v12
	v_bfe_u32 v13, v13, 0, s10
	v_lshlrev_b32_e32 v14, 2, v2
	v_lshl_or_b32 v13, v13, 4, v14
	v_mov_b32_e32 v14, 1
	ds_add_u32 v13, v14
	v_mov_b32_e32 v13, 0
.LBB746_129:
	s_or_b64 exec, exec, s[0:1]
	v_cmp_gt_i32_e64 s[0:1], 10, v13
	s_mov_b64 s[12:13], -1
	s_and_saveexec_b64 s[10:11], s[0:1]
; %bb.130:
	v_cmp_eq_u32_e64 s[0:1], 0, v13
	s_orn2_b64 s[12:13], s[0:1], exec
; %bb.131:
	s_or_b64 exec, exec, s[10:11]
	s_and_saveexec_b64 s[10:11], s[12:13]
	s_cbranch_execz .LBB746_144
; %bb.132:
	s_add_i32 s12, s8, 8
	s_cmp_le_u32 s9, s12
	s_cselect_b64 s[0:1], -1, 0
	s_and_b64 s[14:15], s[0:1], exec
	s_cselect_b32 s13, 8, 10
	s_or_b64 s[0:1], s[0:1], vcc
	s_xor_b64 s[14:15], s[0:1], -1
	v_mov_b32_e32 v13, s13
	s_and_saveexec_b64 s[0:1], s[14:15]
	s_cbranch_execz .LBB746_134
; %bb.133:
	s_sub_i32 s13, s9, s12
	s_min_u32 s13, s13, 8
	v_lshrrev_b32_e32 v13, s12, v12
	v_bfe_u32 v13, v13, 0, s13
	v_lshlrev_b32_e32 v14, 2, v2
	v_lshl_or_b32 v13, v13, 4, v14
	v_mov_b32_e32 v14, 1
	ds_add_u32 v13, v14 offset:4096
	v_mov_b32_e32 v13, 0
.LBB746_134:
	s_or_b64 exec, exec, s[0:1]
	v_cmp_gt_i32_e64 s[0:1], 10, v13
	s_mov_b64 s[12:13], -1
	s_and_saveexec_b64 s[14:15], s[0:1]
; %bb.135:
	v_cmp_eq_u32_e64 s[0:1], 0, v13
	s_orn2_b64 s[12:13], s[0:1], exec
; %bb.136:
	s_or_b64 exec, exec, s[14:15]
	s_and_b64 exec, exec, s[12:13]
	s_cbranch_execz .LBB746_144
; %bb.137:
	s_add_i32 s12, s8, 16
	s_cmp_le_u32 s9, s12
	s_cselect_b64 s[0:1], -1, 0
	s_and_b64 s[14:15], s[0:1], exec
	s_cselect_b32 s13, 8, 10
	s_or_b64 s[0:1], s[0:1], vcc
	s_xor_b64 s[14:15], s[0:1], -1
	v_mov_b32_e32 v13, s13
	s_and_saveexec_b64 s[0:1], s[14:15]
	s_cbranch_execz .LBB746_139
; %bb.138:
	s_sub_i32 s13, s9, s12
	s_min_u32 s13, s13, 8
	v_lshrrev_b32_e32 v13, s12, v12
	v_bfe_u32 v13, v13, 0, s13
	v_lshlrev_b32_e32 v14, 2, v2
	v_lshl_or_b32 v13, v13, 4, v14
	v_mov_b32_e32 v14, 1
	ds_add_u32 v13, v14 offset:8192
	v_mov_b32_e32 v13, 0
.LBB746_139:
	s_or_b64 exec, exec, s[0:1]
	v_cmp_gt_i32_e64 s[0:1], 10, v13
	s_mov_b64 s[12:13], -1
	s_and_saveexec_b64 s[14:15], s[0:1]
; %bb.140:
	v_cmp_eq_u32_e64 s[0:1], 0, v13
	s_orn2_b64 s[12:13], s[0:1], exec
; %bb.141:
	s_or_b64 exec, exec, s[14:15]
	s_and_b64 exec, exec, s[12:13]
	s_cbranch_execz .LBB746_144
; %bb.142:
	s_add_i32 s0, s8, 24
	s_cmp_gt_u32 s9, s0
	s_cselect_b64 s[12:13], -1, 0
	s_xor_b64 s[14:15], vcc, -1
	s_and_b64 s[12:13], s[12:13], s[14:15]
	s_and_b64 exec, exec, s[12:13]
	s_cbranch_execz .LBB746_144
; %bb.143:
	s_sub_i32 s1, s9, s0
	s_min_u32 s1, s1, 8
	v_lshrrev_b32_e32 v12, s0, v12
	v_bfe_u32 v12, v12, 0, s1
	v_lshlrev_b32_e32 v13, 2, v2
	v_lshl_or_b32 v12, v12, 4, v13
	v_mov_b32_e32 v13, 1
	ds_add_u32 v12, v13 offset:12288
.LBB746_144:
	s_or_b64 exec, exec, s[10:11]
	v_cmp_le_u32_e32 vcc, s16, v11
	s_or_b64 s[0:1], s[4:5], vcc
	s_xor_b64 s[10:11], s[0:1], -1
	v_mov_b32_e32 v11, s17
	s_and_saveexec_b64 s[0:1], s[10:11]
	s_cbranch_execz .LBB746_146
; %bb.145:
	s_sub_i32 s10, s9, s8
	s_min_u32 s10, s10, 8
	v_lshrrev_b32_e32 v11, s8, v10
	v_bfe_u32 v11, v11, 0, s10
	v_lshlrev_b32_e32 v12, 2, v2
	v_lshl_or_b32 v11, v11, 4, v12
	v_mov_b32_e32 v12, 1
	ds_add_u32 v11, v12
	v_mov_b32_e32 v11, 0
.LBB746_146:
	s_or_b64 exec, exec, s[0:1]
	v_cmp_gt_i32_e64 s[0:1], 10, v11
	s_mov_b64 s[12:13], -1
	s_and_saveexec_b64 s[10:11], s[0:1]
; %bb.147:
	v_cmp_eq_u32_e64 s[0:1], 0, v11
	s_orn2_b64 s[12:13], s[0:1], exec
; %bb.148:
	s_or_b64 exec, exec, s[10:11]
	s_and_saveexec_b64 s[10:11], s[12:13]
	s_cbranch_execz .LBB746_161
; %bb.149:
	s_add_i32 s12, s8, 8
	s_cmp_le_u32 s9, s12
	s_cselect_b64 s[0:1], -1, 0
	s_and_b64 s[14:15], s[0:1], exec
	s_cselect_b32 s13, 8, 10
	s_or_b64 s[0:1], s[0:1], vcc
	s_xor_b64 s[14:15], s[0:1], -1
	v_mov_b32_e32 v11, s13
	s_and_saveexec_b64 s[0:1], s[14:15]
	s_cbranch_execz .LBB746_151
; %bb.150:
	s_sub_i32 s13, s9, s12
	s_min_u32 s13, s13, 8
	v_lshrrev_b32_e32 v11, s12, v10
	v_bfe_u32 v11, v11, 0, s13
	v_lshlrev_b32_e32 v12, 2, v2
	v_lshl_or_b32 v11, v11, 4, v12
	v_mov_b32_e32 v12, 1
	ds_add_u32 v11, v12 offset:4096
	v_mov_b32_e32 v11, 0
.LBB746_151:
	s_or_b64 exec, exec, s[0:1]
	v_cmp_gt_i32_e64 s[0:1], 10, v11
	s_mov_b64 s[12:13], -1
	s_and_saveexec_b64 s[14:15], s[0:1]
; %bb.152:
	v_cmp_eq_u32_e64 s[0:1], 0, v11
	s_orn2_b64 s[12:13], s[0:1], exec
; %bb.153:
	s_or_b64 exec, exec, s[14:15]
	s_and_b64 exec, exec, s[12:13]
	s_cbranch_execz .LBB746_161
; %bb.154:
	s_add_i32 s12, s8, 16
	s_cmp_le_u32 s9, s12
	s_cselect_b64 s[0:1], -1, 0
	s_and_b64 s[14:15], s[0:1], exec
	s_cselect_b32 s13, 8, 10
	s_or_b64 s[0:1], s[0:1], vcc
	s_xor_b64 s[14:15], s[0:1], -1
	v_mov_b32_e32 v11, s13
	s_and_saveexec_b64 s[0:1], s[14:15]
	s_cbranch_execz .LBB746_156
; %bb.155:
	s_sub_i32 s13, s9, s12
	s_min_u32 s13, s13, 8
	v_lshrrev_b32_e32 v11, s12, v10
	v_bfe_u32 v11, v11, 0, s13
	v_lshlrev_b32_e32 v12, 2, v2
	v_lshl_or_b32 v11, v11, 4, v12
	v_mov_b32_e32 v12, 1
	ds_add_u32 v11, v12 offset:8192
	v_mov_b32_e32 v11, 0
.LBB746_156:
	s_or_b64 exec, exec, s[0:1]
	v_cmp_gt_i32_e64 s[0:1], 10, v11
	s_mov_b64 s[12:13], -1
	s_and_saveexec_b64 s[14:15], s[0:1]
; %bb.157:
	v_cmp_eq_u32_e64 s[0:1], 0, v11
	s_orn2_b64 s[12:13], s[0:1], exec
; %bb.158:
	s_or_b64 exec, exec, s[14:15]
	s_and_b64 exec, exec, s[12:13]
	s_cbranch_execz .LBB746_161
; %bb.159:
	s_add_i32 s0, s8, 24
	s_cmp_gt_u32 s9, s0
	s_cselect_b64 s[12:13], -1, 0
	s_xor_b64 s[14:15], vcc, -1
	s_and_b64 s[12:13], s[12:13], s[14:15]
	s_and_b64 exec, exec, s[12:13]
	s_cbranch_execz .LBB746_161
; %bb.160:
	s_sub_i32 s1, s9, s0
	s_min_u32 s1, s1, 8
	v_lshrrev_b32_e32 v10, s0, v10
	v_bfe_u32 v10, v10, 0, s1
	v_lshlrev_b32_e32 v11, 2, v2
	v_lshl_or_b32 v10, v10, 4, v11
	v_mov_b32_e32 v11, 1
	ds_add_u32 v10, v11 offset:12288
.LBB746_161:
	s_or_b64 exec, exec, s[10:11]
	v_cmp_le_u32_e32 vcc, s16, v9
	s_or_b64 s[0:1], s[4:5], vcc
	s_xor_b64 s[10:11], s[0:1], -1
	v_mov_b32_e32 v9, s17
	s_and_saveexec_b64 s[0:1], s[10:11]
	s_cbranch_execz .LBB746_163
; %bb.162:
	s_sub_i32 s10, s9, s8
	s_min_u32 s10, s10, 8
	v_lshrrev_b32_e32 v9, s8, v8
	v_bfe_u32 v9, v9, 0, s10
	v_lshlrev_b32_e32 v10, 2, v2
	v_lshl_or_b32 v9, v9, 4, v10
	v_mov_b32_e32 v10, 1
	ds_add_u32 v9, v10
	v_mov_b32_e32 v9, 0
.LBB746_163:
	s_or_b64 exec, exec, s[0:1]
	v_cmp_gt_i32_e64 s[0:1], 10, v9
	s_mov_b64 s[12:13], -1
	s_and_saveexec_b64 s[10:11], s[0:1]
; %bb.164:
	v_cmp_eq_u32_e64 s[0:1], 0, v9
	s_orn2_b64 s[12:13], s[0:1], exec
; %bb.165:
	s_or_b64 exec, exec, s[10:11]
	s_and_saveexec_b64 s[10:11], s[12:13]
	s_cbranch_execz .LBB746_178
; %bb.166:
	s_add_i32 s12, s8, 8
	s_cmp_le_u32 s9, s12
	s_cselect_b64 s[0:1], -1, 0
	s_and_b64 s[14:15], s[0:1], exec
	s_cselect_b32 s13, 8, 10
	s_or_b64 s[0:1], s[0:1], vcc
	s_xor_b64 s[14:15], s[0:1], -1
	v_mov_b32_e32 v9, s13
	s_and_saveexec_b64 s[0:1], s[14:15]
	s_cbranch_execz .LBB746_168
; %bb.167:
	s_sub_i32 s13, s9, s12
	s_min_u32 s13, s13, 8
	v_lshrrev_b32_e32 v9, s12, v8
	v_bfe_u32 v9, v9, 0, s13
	v_lshlrev_b32_e32 v10, 2, v2
	v_lshl_or_b32 v9, v9, 4, v10
	v_mov_b32_e32 v10, 1
	ds_add_u32 v9, v10 offset:4096
	v_mov_b32_e32 v9, 0
.LBB746_168:
	s_or_b64 exec, exec, s[0:1]
	v_cmp_gt_i32_e64 s[0:1], 10, v9
	s_mov_b64 s[12:13], -1
	s_and_saveexec_b64 s[14:15], s[0:1]
; %bb.169:
	v_cmp_eq_u32_e64 s[0:1], 0, v9
	s_orn2_b64 s[12:13], s[0:1], exec
; %bb.170:
	s_or_b64 exec, exec, s[14:15]
	s_and_b64 exec, exec, s[12:13]
	s_cbranch_execz .LBB746_178
; %bb.171:
	s_add_i32 s12, s8, 16
	s_cmp_le_u32 s9, s12
	s_cselect_b64 s[0:1], -1, 0
	s_and_b64 s[14:15], s[0:1], exec
	s_cselect_b32 s13, 8, 10
	s_or_b64 s[0:1], s[0:1], vcc
	s_xor_b64 s[14:15], s[0:1], -1
	v_mov_b32_e32 v9, s13
	s_and_saveexec_b64 s[0:1], s[14:15]
	s_cbranch_execz .LBB746_173
; %bb.172:
	s_sub_i32 s13, s9, s12
	s_min_u32 s13, s13, 8
	v_lshrrev_b32_e32 v9, s12, v8
	v_bfe_u32 v9, v9, 0, s13
	v_lshlrev_b32_e32 v10, 2, v2
	v_lshl_or_b32 v9, v9, 4, v10
	v_mov_b32_e32 v10, 1
	ds_add_u32 v9, v10 offset:8192
	v_mov_b32_e32 v9, 0
.LBB746_173:
	s_or_b64 exec, exec, s[0:1]
	v_cmp_gt_i32_e64 s[0:1], 10, v9
	s_mov_b64 s[12:13], -1
	s_and_saveexec_b64 s[14:15], s[0:1]
; %bb.174:
	v_cmp_eq_u32_e64 s[0:1], 0, v9
	s_orn2_b64 s[12:13], s[0:1], exec
; %bb.175:
	s_or_b64 exec, exec, s[14:15]
	s_and_b64 exec, exec, s[12:13]
	s_cbranch_execz .LBB746_178
; %bb.176:
	s_add_i32 s0, s8, 24
	s_cmp_gt_u32 s9, s0
	s_cselect_b64 s[12:13], -1, 0
	s_xor_b64 s[14:15], vcc, -1
	s_and_b64 s[12:13], s[12:13], s[14:15]
	s_and_b64 exec, exec, s[12:13]
	s_cbranch_execz .LBB746_178
; %bb.177:
	s_sub_i32 s1, s9, s0
	s_min_u32 s1, s1, 8
	v_lshrrev_b32_e32 v8, s0, v8
	v_bfe_u32 v8, v8, 0, s1
	v_lshlrev_b32_e32 v9, 2, v2
	v_lshl_or_b32 v8, v8, 4, v9
	v_mov_b32_e32 v9, 1
	ds_add_u32 v8, v9 offset:12288
.LBB746_178:
	s_or_b64 exec, exec, s[10:11]
	v_cmp_le_u32_e32 vcc, s16, v7
	s_or_b64 s[0:1], s[4:5], vcc
	s_xor_b64 s[10:11], s[0:1], -1
	v_mov_b32_e32 v7, s17
	s_and_saveexec_b64 s[0:1], s[10:11]
	s_cbranch_execz .LBB746_180
; %bb.179:
	s_sub_i32 s10, s9, s8
	s_min_u32 s10, s10, 8
	v_lshrrev_b32_e32 v7, s8, v6
	v_bfe_u32 v7, v7, 0, s10
	v_lshlrev_b32_e32 v8, 2, v2
	v_lshl_or_b32 v7, v7, 4, v8
	v_mov_b32_e32 v8, 1
	ds_add_u32 v7, v8
	v_mov_b32_e32 v7, 0
.LBB746_180:
	s_or_b64 exec, exec, s[0:1]
	v_cmp_gt_i32_e64 s[0:1], 10, v7
	s_mov_b64 s[12:13], -1
	s_and_saveexec_b64 s[10:11], s[0:1]
; %bb.181:
	v_cmp_eq_u32_e64 s[0:1], 0, v7
	s_orn2_b64 s[12:13], s[0:1], exec
; %bb.182:
	s_or_b64 exec, exec, s[10:11]
	s_and_saveexec_b64 s[10:11], s[12:13]
	s_cbranch_execz .LBB746_195
; %bb.183:
	s_add_i32 s12, s8, 8
	s_cmp_le_u32 s9, s12
	s_cselect_b64 s[0:1], -1, 0
	s_and_b64 s[14:15], s[0:1], exec
	s_cselect_b32 s13, 8, 10
	s_or_b64 s[0:1], s[0:1], vcc
	s_xor_b64 s[14:15], s[0:1], -1
	v_mov_b32_e32 v7, s13
	s_and_saveexec_b64 s[0:1], s[14:15]
	s_cbranch_execz .LBB746_185
; %bb.184:
	s_sub_i32 s13, s9, s12
	s_min_u32 s13, s13, 8
	v_lshrrev_b32_e32 v7, s12, v6
	v_bfe_u32 v7, v7, 0, s13
	v_lshlrev_b32_e32 v8, 2, v2
	v_lshl_or_b32 v7, v7, 4, v8
	v_mov_b32_e32 v8, 1
	ds_add_u32 v7, v8 offset:4096
	v_mov_b32_e32 v7, 0
.LBB746_185:
	s_or_b64 exec, exec, s[0:1]
	v_cmp_gt_i32_e64 s[0:1], 10, v7
	s_mov_b64 s[12:13], -1
	s_and_saveexec_b64 s[14:15], s[0:1]
; %bb.186:
	v_cmp_eq_u32_e64 s[0:1], 0, v7
	s_orn2_b64 s[12:13], s[0:1], exec
; %bb.187:
	s_or_b64 exec, exec, s[14:15]
	s_and_b64 exec, exec, s[12:13]
	s_cbranch_execz .LBB746_195
; %bb.188:
	s_add_i32 s12, s8, 16
	s_cmp_le_u32 s9, s12
	s_cselect_b64 s[0:1], -1, 0
	s_and_b64 s[14:15], s[0:1], exec
	s_cselect_b32 s13, 8, 10
	s_or_b64 s[0:1], s[0:1], vcc
	s_xor_b64 s[14:15], s[0:1], -1
	v_mov_b32_e32 v7, s13
	s_and_saveexec_b64 s[0:1], s[14:15]
	s_cbranch_execz .LBB746_190
; %bb.189:
	s_sub_i32 s13, s9, s12
	s_min_u32 s13, s13, 8
	v_lshrrev_b32_e32 v7, s12, v6
	v_bfe_u32 v7, v7, 0, s13
	v_lshlrev_b32_e32 v8, 2, v2
	v_lshl_or_b32 v7, v7, 4, v8
	v_mov_b32_e32 v8, 1
	ds_add_u32 v7, v8 offset:8192
	v_mov_b32_e32 v7, 0
.LBB746_190:
	s_or_b64 exec, exec, s[0:1]
	v_cmp_gt_i32_e64 s[0:1], 10, v7
	s_mov_b64 s[12:13], -1
	s_and_saveexec_b64 s[14:15], s[0:1]
; %bb.191:
	v_cmp_eq_u32_e64 s[0:1], 0, v7
	s_orn2_b64 s[12:13], s[0:1], exec
; %bb.192:
	s_or_b64 exec, exec, s[14:15]
	s_and_b64 exec, exec, s[12:13]
	s_cbranch_execz .LBB746_195
; %bb.193:
	s_add_i32 s0, s8, 24
	s_cmp_gt_u32 s9, s0
	s_cselect_b64 s[12:13], -1, 0
	s_xor_b64 s[14:15], vcc, -1
	s_and_b64 s[12:13], s[12:13], s[14:15]
	s_and_b64 exec, exec, s[12:13]
	s_cbranch_execz .LBB746_195
; %bb.194:
	s_sub_i32 s1, s9, s0
	s_min_u32 s1, s1, 8
	v_lshrrev_b32_e32 v6, s0, v6
	v_bfe_u32 v6, v6, 0, s1
	v_lshlrev_b32_e32 v7, 2, v2
	v_lshl_or_b32 v6, v6, 4, v7
	v_mov_b32_e32 v7, 1
	ds_add_u32 v6, v7 offset:12288
.LBB746_195:
	s_or_b64 exec, exec, s[10:11]
	v_cmp_le_u32_e32 vcc, s16, v5
	s_or_b64 s[0:1], s[4:5], vcc
	s_xor_b64 s[10:11], s[0:1], -1
	v_mov_b32_e32 v5, s17
	s_and_saveexec_b64 s[0:1], s[10:11]
	s_cbranch_execz .LBB746_197
; %bb.196:
	s_sub_i32 s10, s9, s8
	s_min_u32 s10, s10, 8
	v_lshrrev_b32_e32 v5, s8, v4
	v_bfe_u32 v5, v5, 0, s10
	v_lshlrev_b32_e32 v6, 2, v2
	v_lshl_or_b32 v5, v5, 4, v6
	v_mov_b32_e32 v6, 1
	ds_add_u32 v5, v6
	v_mov_b32_e32 v5, 0
.LBB746_197:
	s_or_b64 exec, exec, s[0:1]
	v_cmp_gt_i32_e64 s[0:1], 10, v5
	s_mov_b64 s[12:13], -1
	s_and_saveexec_b64 s[10:11], s[0:1]
; %bb.198:
	v_cmp_eq_u32_e64 s[0:1], 0, v5
	s_orn2_b64 s[12:13], s[0:1], exec
; %bb.199:
	s_or_b64 exec, exec, s[10:11]
	s_and_saveexec_b64 s[10:11], s[12:13]
	s_cbranch_execz .LBB746_212
; %bb.200:
	s_add_i32 s12, s8, 8
	s_cmp_le_u32 s9, s12
	s_cselect_b64 s[0:1], -1, 0
	s_and_b64 s[14:15], s[0:1], exec
	s_cselect_b32 s13, 8, 10
	s_or_b64 s[0:1], s[0:1], vcc
	s_xor_b64 s[14:15], s[0:1], -1
	v_mov_b32_e32 v5, s13
	s_and_saveexec_b64 s[0:1], s[14:15]
	s_cbranch_execz .LBB746_202
; %bb.201:
	s_sub_i32 s13, s9, s12
	s_min_u32 s13, s13, 8
	v_lshrrev_b32_e32 v5, s12, v4
	v_bfe_u32 v5, v5, 0, s13
	v_lshlrev_b32_e32 v6, 2, v2
	v_lshl_or_b32 v5, v5, 4, v6
	v_mov_b32_e32 v6, 1
	ds_add_u32 v5, v6 offset:4096
	v_mov_b32_e32 v5, 0
.LBB746_202:
	s_or_b64 exec, exec, s[0:1]
	v_cmp_gt_i32_e64 s[0:1], 10, v5
	s_mov_b64 s[12:13], -1
	s_and_saveexec_b64 s[14:15], s[0:1]
; %bb.203:
	v_cmp_eq_u32_e64 s[0:1], 0, v5
	s_orn2_b64 s[12:13], s[0:1], exec
; %bb.204:
	s_or_b64 exec, exec, s[14:15]
	s_and_b64 exec, exec, s[12:13]
	s_cbranch_execz .LBB746_212
; %bb.205:
	s_add_i32 s12, s8, 16
	s_cmp_le_u32 s9, s12
	s_cselect_b64 s[0:1], -1, 0
	s_and_b64 s[14:15], s[0:1], exec
	s_cselect_b32 s13, 8, 10
	s_or_b64 s[0:1], s[0:1], vcc
	s_xor_b64 s[14:15], s[0:1], -1
	v_mov_b32_e32 v5, s13
	s_and_saveexec_b64 s[0:1], s[14:15]
	s_cbranch_execz .LBB746_207
; %bb.206:
	s_sub_i32 s13, s9, s12
	s_min_u32 s13, s13, 8
	v_lshrrev_b32_e32 v5, s12, v4
	v_bfe_u32 v5, v5, 0, s13
	v_lshlrev_b32_e32 v6, 2, v2
	v_lshl_or_b32 v5, v5, 4, v6
	v_mov_b32_e32 v6, 1
	ds_add_u32 v5, v6 offset:8192
	v_mov_b32_e32 v5, 0
.LBB746_207:
	s_or_b64 exec, exec, s[0:1]
	v_cmp_gt_i32_e64 s[0:1], 10, v5
	s_mov_b64 s[12:13], -1
	s_and_saveexec_b64 s[14:15], s[0:1]
; %bb.208:
	v_cmp_eq_u32_e64 s[0:1], 0, v5
	s_orn2_b64 s[12:13], s[0:1], exec
; %bb.209:
	s_or_b64 exec, exec, s[14:15]
	s_and_b64 exec, exec, s[12:13]
	s_cbranch_execz .LBB746_212
; %bb.210:
	s_add_i32 s0, s8, 24
	s_cmp_gt_u32 s9, s0
	s_cselect_b64 s[12:13], -1, 0
	s_xor_b64 s[14:15], vcc, -1
	s_and_b64 s[12:13], s[12:13], s[14:15]
	s_and_b64 exec, exec, s[12:13]
	s_cbranch_execz .LBB746_212
; %bb.211:
	s_sub_i32 s1, s9, s0
	s_min_u32 s1, s1, 8
	v_lshrrev_b32_e32 v4, s0, v4
	v_bfe_u32 v4, v4, 0, s1
	v_lshlrev_b32_e32 v5, 2, v2
	v_lshl_or_b32 v4, v4, 4, v5
	v_mov_b32_e32 v5, 1
	ds_add_u32 v4, v5 offset:12288
.LBB746_212:
	s_or_b64 exec, exec, s[10:11]
	v_cmp_le_u32_e32 vcc, s16, v3
	s_or_b64 s[0:1], s[4:5], vcc
	s_xor_b64 s[4:5], s[0:1], -1
	v_mov_b32_e32 v3, s17
	s_and_saveexec_b64 s[0:1], s[4:5]
	s_cbranch_execz .LBB746_214
; %bb.213:
	s_sub_i32 s4, s9, s8
	s_min_u32 s4, s4, 8
	v_lshrrev_b32_e32 v3, s8, v1
	v_bfe_u32 v3, v3, 0, s4
	v_lshlrev_b32_e32 v4, 2, v2
	v_lshl_or_b32 v3, v3, 4, v4
	v_mov_b32_e32 v4, 1
	ds_add_u32 v3, v4
	v_mov_b32_e32 v3, 0
.LBB746_214:
	s_or_b64 exec, exec, s[0:1]
	v_cmp_gt_i32_e64 s[0:1], 10, v3
	s_mov_b64 s[10:11], -1
	s_and_saveexec_b64 s[4:5], s[0:1]
; %bb.215:
	v_cmp_eq_u32_e64 s[0:1], 0, v3
	s_orn2_b64 s[10:11], s[0:1], exec
; %bb.216:
	s_or_b64 exec, exec, s[4:5]
	s_and_saveexec_b64 s[4:5], s[10:11]
	s_cbranch_execz .LBB746_229
; %bb.217:
	s_add_i32 s10, s8, 8
	s_cmp_le_u32 s9, s10
	s_cselect_b64 s[0:1], -1, 0
	s_and_b64 s[12:13], s[0:1], exec
	s_cselect_b32 s11, 8, 10
	s_or_b64 s[0:1], s[0:1], vcc
	s_xor_b64 s[12:13], s[0:1], -1
	v_mov_b32_e32 v3, s11
	s_and_saveexec_b64 s[0:1], s[12:13]
	s_cbranch_execz .LBB746_219
; %bb.218:
	s_sub_i32 s11, s9, s10
	s_min_u32 s11, s11, 8
	v_lshrrev_b32_e32 v3, s10, v1
	v_bfe_u32 v3, v3, 0, s11
	v_lshlrev_b32_e32 v4, 2, v2
	v_lshl_or_b32 v3, v3, 4, v4
	v_mov_b32_e32 v4, 1
	ds_add_u32 v3, v4 offset:4096
	v_mov_b32_e32 v3, 0
.LBB746_219:
	s_or_b64 exec, exec, s[0:1]
	v_cmp_gt_i32_e64 s[0:1], 10, v3
	s_mov_b64 s[10:11], -1
	s_and_saveexec_b64 s[12:13], s[0:1]
; %bb.220:
	v_cmp_eq_u32_e64 s[0:1], 0, v3
	s_orn2_b64 s[10:11], s[0:1], exec
; %bb.221:
	s_or_b64 exec, exec, s[12:13]
	s_and_b64 exec, exec, s[10:11]
	s_cbranch_execz .LBB746_229
; %bb.222:
	s_add_i32 s10, s8, 16
	s_cmp_le_u32 s9, s10
	s_cselect_b64 s[0:1], -1, 0
	s_and_b64 s[12:13], s[0:1], exec
	s_cselect_b32 s11, 8, 10
	s_or_b64 s[0:1], s[0:1], vcc
	s_xor_b64 s[12:13], s[0:1], -1
	v_mov_b32_e32 v3, s11
	s_and_saveexec_b64 s[0:1], s[12:13]
	s_cbranch_execz .LBB746_224
; %bb.223:
	s_sub_i32 s11, s9, s10
	s_min_u32 s11, s11, 8
	v_lshrrev_b32_e32 v3, s10, v1
	v_bfe_u32 v3, v3, 0, s11
	v_lshlrev_b32_e32 v4, 2, v2
	v_lshl_or_b32 v3, v3, 4, v4
	v_mov_b32_e32 v4, 1
	ds_add_u32 v3, v4 offset:8192
	v_mov_b32_e32 v3, 0
.LBB746_224:
	s_or_b64 exec, exec, s[0:1]
	v_cmp_gt_i32_e64 s[0:1], 10, v3
	s_mov_b64 s[10:11], -1
	s_and_saveexec_b64 s[12:13], s[0:1]
; %bb.225:
	v_cmp_eq_u32_e64 s[0:1], 0, v3
	s_orn2_b64 s[10:11], s[0:1], exec
; %bb.226:
	s_or_b64 exec, exec, s[12:13]
	s_and_b64 exec, exec, s[10:11]
	s_cbranch_execz .LBB746_229
; %bb.227:
	s_add_i32 s0, s8, 24
	s_cmp_gt_u32 s9, s0
	s_cselect_b64 s[10:11], -1, 0
	s_xor_b64 s[12:13], vcc, -1
	s_and_b64 s[10:11], s[10:11], s[12:13]
	s_and_b64 exec, exec, s[10:11]
	s_cbranch_execz .LBB746_229
; %bb.228:
	s_sub_i32 s1, s9, s0
	s_min_u32 s1, s1, 8
	v_lshrrev_b32_e32 v1, s0, v1
	v_bfe_u32 v1, v1, 0, s1
	v_lshlrev_b32_e32 v2, 2, v2
	v_lshl_or_b32 v1, v1, 4, v2
	v_mov_b32_e32 v2, 1
	ds_add_u32 v1, v2 offset:12288
.LBB746_229:
	s_or_b64 exec, exec, s[4:5]
	s_cmp_gt_u32 s9, s8
	s_waitcnt lgkmcnt(0)
	s_barrier
	s_cbranch_scc0 .LBB746_234
; %bb.230:
	s_movk_i32 s0, 0x100
	v_cmp_gt_u32_e32 vcc, s0, v0
	v_lshlrev_b32_e32 v1, 4, v0
	v_mov_b32_e32 v3, 0
	v_mov_b32_e32 v2, v0
	s_mov_b32 s10, s8
	s_branch .LBB746_232
.LBB746_231:                            ;   in Loop: Header=BB746_232 Depth=1
	s_or_b64 exec, exec, s[4:5]
	s_add_i32 s10, s10, 8
	v_add_u32_e32 v2, 0x100, v2
	s_cmp_lt_u32 s10, s9
	v_add_u32_e32 v1, 0x1000, v1
	s_cbranch_scc0 .LBB746_234
.LBB746_232:                            ; =>This Inner Loop Header: Depth=1
	s_and_saveexec_b64 s[4:5], vcc
	s_cbranch_execz .LBB746_231
; %bb.233:                              ;   in Loop: Header=BB746_232 Depth=1
	ds_read2_b32 v[4:5], v1 offset1:1
	ds_read2_b32 v[6:7], v1 offset0:2 offset1:3
	v_lshlrev_b64 v[8:9], 3, v[2:3]
	v_mov_b32_e32 v10, s3
	s_waitcnt lgkmcnt(1)
	v_add_u32_e32 v4, v5, v4
	s_waitcnt lgkmcnt(0)
	v_add3_u32 v4, v4, v6, v7
	v_add_co_u32_e64 v6, s[0:1], s2, v8
	v_addc_co_u32_e64 v7, s[0:1], v10, v9, s[0:1]
	v_mov_b32_e32 v5, v3
	global_atomic_add_x2 v[6:7], v[4:5], off
	s_branch .LBB746_231
.LBB746_234:
	s_mov_b64 s[0:1], 0
.LBB746_235:
	s_and_b64 vcc, exec, s[0:1]
	s_cbranch_vccz .LBB746_319
; %bb.236:
	v_lshlrev_b32_e32 v14, 2, v0
	v_mov_b32_e32 v1, s7
	v_add_co_u32_e32 v6, vcc, s6, v14
	v_addc_co_u32_e32 v1, vcc, 0, v1, vcc
	v_add_co_u32_e32 v2, vcc, 0x1000, v6
	v_addc_co_u32_e32 v3, vcc, 0, v1, vcc
	;; [unrolled: 2-line block ×8, first 2 shown]
	global_load_dword v16, v14, s[6:7]
	global_load_dword v15, v[2:3], off
	global_load_dword v13, v[4:5], off
	;; [unrolled: 1-line block ×7, first 2 shown]
	v_add_co_u32_e32 v2, vcc, 0x8000, v6
	v_addc_co_u32_e32 v3, vcc, 0, v1, vcc
	v_add_co_u32_e32 v18, vcc, 0x9000, v6
	v_addc_co_u32_e32 v19, vcc, 0, v1, vcc
	;; [unrolled: 2-line block ×4, first 2 shown]
	global_load_dword v9, v[2:3], off
	global_load_dword v6, v[18:19], off
	;; [unrolled: 1-line block ×4, first 2 shown]
	s_cmp_eq_u32 s8, 0
	s_cselect_b64 s[0:1], -1, 0
	s_cmp_eq_u32 s9, 32
	s_cselect_b64 s[4:5], -1, 0
	s_and_b64 s[4:5], s[0:1], s[4:5]
	s_mov_b64 s[0:1], -1
	s_and_b64 vcc, exec, s[4:5]
	s_cbranch_vccnz .LBB746_316
; %bb.237:
	s_cmp_gt_u32 s9, s8
	s_cselect_b64 s[0:1], -1, 0
	v_mov_b32_e32 v1, 0
	s_and_b64 vcc, exec, s[0:1]
	ds_write2st64_b32 v14, v1, v1 offset1:16
	ds_write2st64_b32 v14, v1, v1 offset0:32 offset1:48
	s_waitcnt lgkmcnt(0)
	s_barrier
	s_cbranch_vccz .LBB746_310
; %bb.238:
	s_sub_i32 s4, s9, s8
	s_min_u32 s4, s4, 8
	s_lshl_b32 s4, -1, s4
	v_and_b32_e32 v1, 3, v0
	s_not_b32 s13, s4
	s_waitcnt vmcnt(11)
	v_lshrrev_b32_e32 v2, s8, v16
	v_and_b32_e32 v3, s13, v2
	v_lshlrev_b32_e32 v2, 2, v1
	v_lshl_or_b32 v3, v3, 4, v2
	v_mov_b32_e32 v17, 1
	ds_add_u32 v3, v17
	s_add_i32 s12, s8, 8
	s_cmp_le_u32 s9, s12
	s_cselect_b64 s[4:5], -1, 0
	s_waitcnt vmcnt(10)
	v_lshrrev_b32_e32 v3, s8, v15
	s_and_b64 vcc, exec, s[4:5]
	v_and_b32_e32 v3, s13, v3
	s_cbranch_vccz .LBB746_240
; %bb.239:
	v_lshl_or_b32 v17, v3, 2, v1
	s_mov_b64 s[6:7], -1
	s_cbranch_execz .LBB746_241
	s_branch .LBB746_248
.LBB746_240:
	s_mov_b64 s[6:7], 0
                                        ; implicit-def: $vgpr17
.LBB746_241:
	s_sub_i32 s10, s9, s12
	s_min_u32 s10, s10, 8
	s_lshl_b32 s10, -1, s10
	s_not_b32 s15, s10
	v_lshrrev_b32_e32 v17, s12, v16
	v_and_b32_e32 v17, s15, v17
	v_lshl_or_b32 v18, v17, 4, v2
	v_mov_b32_e32 v17, 1
	ds_add_u32 v18, v17 offset:4096
	s_add_i32 s14, s8, 16
	s_cmp_gt_u32 s9, s14
	s_cselect_b64 s[10:11], -1, 0
	s_cmp_le_u32 s9, s14
	s_cbranch_scc1 .LBB746_244
; %bb.242:
	s_sub_i32 s16, s9, s14
	s_min_u32 s16, s16, 8
	v_lshrrev_b32_e32 v18, s14, v16
	v_bfe_u32 v18, v18, 0, s16
	v_lshl_or_b32 v18, v18, 4, v2
	ds_add_u32 v18, v17 offset:8192
	s_add_i32 s16, s8, 24
	s_cmp_le_u32 s9, s16
	s_cbranch_scc1 .LBB746_244
; %bb.243:
	s_sub_i32 s17, s9, s16
	s_min_u32 s17, s17, 8
	v_lshrrev_b32_e32 v18, s16, v16
	v_bfe_u32 v18, v18, 0, s17
	v_lshl_or_b32 v18, v18, 4, v2
	v_mov_b32_e32 v19, 1
	ds_add_u32 v18, v19 offset:12288
.LBB746_244:
	v_lshl_or_b32 v3, v3, 4, v2
	ds_add_u32 v3, v17
	v_lshrrev_b32_e32 v3, s12, v15
	v_and_b32_e32 v3, s15, v3
	v_lshl_or_b32 v3, v3, 4, v2
	ds_add_u32 v3, v17 offset:4096
	s_andn2_b64 vcc, exec, s[10:11]
	s_cbranch_vccnz .LBB746_247
; %bb.245:
	s_sub_i32 s10, s9, s14
	s_min_u32 s10, s10, 8
	v_lshrrev_b32_e32 v3, s14, v15
	v_bfe_u32 v3, v3, 0, s10
	v_lshl_or_b32 v3, v3, 4, v2
	v_mov_b32_e32 v17, 1
	ds_add_u32 v3, v17 offset:8192
	s_add_i32 s10, s8, 24
	s_cmp_gt_u32 s9, s10
	s_cbranch_scc0 .LBB746_247
; %bb.246:
	s_sub_i32 s6, s9, s10
	s_min_u32 s6, s6, 8
	v_lshrrev_b32_e32 v3, s10, v15
	v_bfe_u32 v3, v3, 0, s6
	v_lshl_or_b32 v3, v3, 2, v1
	v_add_u32_e32 v17, 0xc00, v3
	s_mov_b64 s[6:7], -1
	s_branch .LBB746_248
.LBB746_247:
                                        ; implicit-def: $vgpr17
.LBB746_248:
	s_and_b64 vcc, exec, s[6:7]
	s_cbranch_vccz .LBB746_250
; %bb.249:
	v_lshlrev_b32_e32 v3, 2, v17
	v_mov_b32_e32 v17, 1
	ds_add_u32 v3, v17
.LBB746_250:
	s_waitcnt vmcnt(9)
	v_lshrrev_b32_e32 v3, s8, v13
	v_and_b32_e32 v3, s13, v3
	v_lshl_or_b32 v3, v3, 4, v2
	v_mov_b32_e32 v17, 1
	ds_add_u32 v3, v17
	s_waitcnt vmcnt(8)
	v_lshrrev_b32_e32 v3, s8, v12
	s_and_b64 vcc, exec, s[4:5]
	v_and_b32_e32 v3, s13, v3
	s_cbranch_vccz .LBB746_252
; %bb.251:
	v_lshl_or_b32 v17, v3, 2, v1
	s_mov_b64 s[6:7], -1
	s_cbranch_execz .LBB746_253
	s_branch .LBB746_260
.LBB746_252:
	s_mov_b64 s[6:7], 0
                                        ; implicit-def: $vgpr17
.LBB746_253:
	s_sub_i32 s10, s9, s12
	s_min_u32 s10, s10, 8
	s_lshl_b32 s10, -1, s10
	s_not_b32 s15, s10
	v_lshrrev_b32_e32 v17, s12, v13
	v_and_b32_e32 v17, s15, v17
	v_lshl_or_b32 v18, v17, 4, v2
	v_mov_b32_e32 v17, 1
	ds_add_u32 v18, v17 offset:4096
	s_add_i32 s14, s8, 16
	s_cmp_gt_u32 s9, s14
	s_cselect_b64 s[10:11], -1, 0
	s_cmp_le_u32 s9, s14
	s_cbranch_scc1 .LBB746_256
; %bb.254:
	s_sub_i32 s16, s9, s14
	s_min_u32 s16, s16, 8
	v_lshrrev_b32_e32 v18, s14, v13
	v_bfe_u32 v18, v18, 0, s16
	v_lshl_or_b32 v18, v18, 4, v2
	ds_add_u32 v18, v17 offset:8192
	s_add_i32 s16, s8, 24
	s_cmp_le_u32 s9, s16
	s_cbranch_scc1 .LBB746_256
; %bb.255:
	s_sub_i32 s17, s9, s16
	s_min_u32 s17, s17, 8
	v_lshrrev_b32_e32 v18, s16, v13
	v_bfe_u32 v18, v18, 0, s17
	v_lshl_or_b32 v18, v18, 4, v2
	v_mov_b32_e32 v19, 1
	ds_add_u32 v18, v19 offset:12288
.LBB746_256:
	v_lshl_or_b32 v3, v3, 4, v2
	ds_add_u32 v3, v17
	v_lshrrev_b32_e32 v3, s12, v12
	v_and_b32_e32 v3, s15, v3
	v_lshl_or_b32 v3, v3, 4, v2
	ds_add_u32 v3, v17 offset:4096
	s_andn2_b64 vcc, exec, s[10:11]
	s_cbranch_vccnz .LBB746_259
; %bb.257:
	s_sub_i32 s10, s9, s14
	s_min_u32 s10, s10, 8
	v_lshrrev_b32_e32 v3, s14, v12
	v_bfe_u32 v3, v3, 0, s10
	v_lshl_or_b32 v3, v3, 4, v2
	v_mov_b32_e32 v17, 1
	ds_add_u32 v3, v17 offset:8192
	s_add_i32 s10, s8, 24
	s_cmp_gt_u32 s9, s10
	s_cbranch_scc0 .LBB746_259
; %bb.258:
	s_sub_i32 s6, s9, s10
	s_min_u32 s6, s6, 8
	v_lshrrev_b32_e32 v3, s10, v12
	v_bfe_u32 v3, v3, 0, s6
	v_lshl_or_b32 v3, v3, 2, v1
	v_add_u32_e32 v17, 0xc00, v3
	s_mov_b64 s[6:7], -1
	s_branch .LBB746_260
.LBB746_259:
                                        ; implicit-def: $vgpr17
.LBB746_260:
	s_and_b64 vcc, exec, s[6:7]
	s_cbranch_vccz .LBB746_262
; %bb.261:
	v_lshlrev_b32_e32 v3, 2, v17
	v_mov_b32_e32 v17, 1
	ds_add_u32 v3, v17
.LBB746_262:
	s_waitcnt vmcnt(7)
	v_lshrrev_b32_e32 v3, s8, v11
	v_and_b32_e32 v3, s13, v3
	v_lshl_or_b32 v3, v3, 4, v2
	v_mov_b32_e32 v17, 1
	ds_add_u32 v3, v17
	s_waitcnt vmcnt(6)
	v_lshrrev_b32_e32 v3, s8, v10
	s_and_b64 vcc, exec, s[4:5]
	v_and_b32_e32 v3, s13, v3
	s_cbranch_vccz .LBB746_264
; %bb.263:
	v_lshl_or_b32 v17, v3, 2, v1
	s_mov_b64 s[6:7], -1
	s_cbranch_execz .LBB746_265
	s_branch .LBB746_272
.LBB746_264:
	s_mov_b64 s[6:7], 0
                                        ; implicit-def: $vgpr17
.LBB746_265:
	s_sub_i32 s10, s9, s12
	s_min_u32 s10, s10, 8
	s_lshl_b32 s10, -1, s10
	s_not_b32 s15, s10
	v_lshrrev_b32_e32 v17, s12, v11
	v_and_b32_e32 v17, s15, v17
	v_lshl_or_b32 v18, v17, 4, v2
	v_mov_b32_e32 v17, 1
	ds_add_u32 v18, v17 offset:4096
	s_add_i32 s14, s8, 16
	s_cmp_gt_u32 s9, s14
	s_cselect_b64 s[10:11], -1, 0
	s_cmp_le_u32 s9, s14
	s_cbranch_scc1 .LBB746_268
; %bb.266:
	s_sub_i32 s16, s9, s14
	s_min_u32 s16, s16, 8
	v_lshrrev_b32_e32 v18, s14, v11
	v_bfe_u32 v18, v18, 0, s16
	v_lshl_or_b32 v18, v18, 4, v2
	ds_add_u32 v18, v17 offset:8192
	s_add_i32 s16, s8, 24
	s_cmp_le_u32 s9, s16
	s_cbranch_scc1 .LBB746_268
; %bb.267:
	s_sub_i32 s17, s9, s16
	s_min_u32 s17, s17, 8
	v_lshrrev_b32_e32 v18, s16, v11
	v_bfe_u32 v18, v18, 0, s17
	v_lshl_or_b32 v18, v18, 4, v2
	v_mov_b32_e32 v19, 1
	ds_add_u32 v18, v19 offset:12288
.LBB746_268:
	v_lshl_or_b32 v3, v3, 4, v2
	ds_add_u32 v3, v17
	v_lshrrev_b32_e32 v3, s12, v10
	v_and_b32_e32 v3, s15, v3
	v_lshl_or_b32 v3, v3, 4, v2
	ds_add_u32 v3, v17 offset:4096
	s_andn2_b64 vcc, exec, s[10:11]
	s_cbranch_vccnz .LBB746_271
; %bb.269:
	s_sub_i32 s10, s9, s14
	s_min_u32 s10, s10, 8
	v_lshrrev_b32_e32 v3, s14, v10
	v_bfe_u32 v3, v3, 0, s10
	v_lshl_or_b32 v3, v3, 4, v2
	v_mov_b32_e32 v17, 1
	ds_add_u32 v3, v17 offset:8192
	s_add_i32 s10, s8, 24
	s_cmp_gt_u32 s9, s10
	s_cbranch_scc0 .LBB746_271
; %bb.270:
	s_sub_i32 s6, s9, s10
	s_min_u32 s6, s6, 8
	v_lshrrev_b32_e32 v3, s10, v10
	v_bfe_u32 v3, v3, 0, s6
	v_lshl_or_b32 v3, v3, 2, v1
	v_add_u32_e32 v17, 0xc00, v3
	s_mov_b64 s[6:7], -1
	s_branch .LBB746_272
.LBB746_271:
                                        ; implicit-def: $vgpr17
.LBB746_272:
	s_and_b64 vcc, exec, s[6:7]
	s_cbranch_vccz .LBB746_274
; %bb.273:
	v_lshlrev_b32_e32 v3, 2, v17
	v_mov_b32_e32 v17, 1
	ds_add_u32 v3, v17
.LBB746_274:
	s_waitcnt vmcnt(5)
	v_lshrrev_b32_e32 v3, s8, v8
	v_and_b32_e32 v3, s13, v3
	v_lshl_or_b32 v3, v3, 4, v2
	v_mov_b32_e32 v17, 1
	ds_add_u32 v3, v17
	s_waitcnt vmcnt(4)
	v_lshrrev_b32_e32 v3, s8, v7
	s_and_b64 vcc, exec, s[4:5]
	v_and_b32_e32 v3, s13, v3
	s_cbranch_vccz .LBB746_276
; %bb.275:
	v_lshl_or_b32 v17, v3, 2, v1
	s_mov_b64 s[6:7], -1
	s_cbranch_execz .LBB746_277
	s_branch .LBB746_284
.LBB746_276:
	s_mov_b64 s[6:7], 0
                                        ; implicit-def: $vgpr17
.LBB746_277:
	s_sub_i32 s10, s9, s12
	s_min_u32 s10, s10, 8
	s_lshl_b32 s10, -1, s10
	s_not_b32 s15, s10
	v_lshrrev_b32_e32 v17, s12, v8
	v_and_b32_e32 v17, s15, v17
	v_lshl_or_b32 v18, v17, 4, v2
	v_mov_b32_e32 v17, 1
	ds_add_u32 v18, v17 offset:4096
	s_add_i32 s14, s8, 16
	s_cmp_gt_u32 s9, s14
	s_cselect_b64 s[10:11], -1, 0
	s_cmp_le_u32 s9, s14
	s_cbranch_scc1 .LBB746_280
; %bb.278:
	s_sub_i32 s16, s9, s14
	s_min_u32 s16, s16, 8
	v_lshrrev_b32_e32 v18, s14, v8
	v_bfe_u32 v18, v18, 0, s16
	v_lshl_or_b32 v18, v18, 4, v2
	ds_add_u32 v18, v17 offset:8192
	s_add_i32 s16, s8, 24
	s_cmp_le_u32 s9, s16
	s_cbranch_scc1 .LBB746_280
; %bb.279:
	s_sub_i32 s17, s9, s16
	s_min_u32 s17, s17, 8
	v_lshrrev_b32_e32 v18, s16, v8
	v_bfe_u32 v18, v18, 0, s17
	v_lshl_or_b32 v18, v18, 4, v2
	v_mov_b32_e32 v19, 1
	ds_add_u32 v18, v19 offset:12288
.LBB746_280:
	v_lshl_or_b32 v3, v3, 4, v2
	ds_add_u32 v3, v17
	v_lshrrev_b32_e32 v3, s12, v7
	v_and_b32_e32 v3, s15, v3
	v_lshl_or_b32 v3, v3, 4, v2
	ds_add_u32 v3, v17 offset:4096
	s_andn2_b64 vcc, exec, s[10:11]
	s_cbranch_vccnz .LBB746_283
; %bb.281:
	s_sub_i32 s10, s9, s14
	s_min_u32 s10, s10, 8
	v_lshrrev_b32_e32 v3, s14, v7
	v_bfe_u32 v3, v3, 0, s10
	v_lshl_or_b32 v3, v3, 4, v2
	v_mov_b32_e32 v17, 1
	ds_add_u32 v3, v17 offset:8192
	s_add_i32 s10, s8, 24
	s_cmp_gt_u32 s9, s10
	s_cbranch_scc0 .LBB746_283
; %bb.282:
	s_sub_i32 s6, s9, s10
	s_min_u32 s6, s6, 8
	v_lshrrev_b32_e32 v3, s10, v7
	v_bfe_u32 v3, v3, 0, s6
	v_lshl_or_b32 v3, v3, 2, v1
	v_add_u32_e32 v17, 0xc00, v3
	s_mov_b64 s[6:7], -1
	s_branch .LBB746_284
.LBB746_283:
                                        ; implicit-def: $vgpr17
.LBB746_284:
	s_and_b64 vcc, exec, s[6:7]
	s_cbranch_vccz .LBB746_286
; %bb.285:
	v_lshlrev_b32_e32 v3, 2, v17
	v_mov_b32_e32 v17, 1
	ds_add_u32 v3, v17
.LBB746_286:
	s_waitcnt vmcnt(3)
	v_lshrrev_b32_e32 v3, s8, v9
	v_and_b32_e32 v3, s13, v3
	v_lshl_or_b32 v3, v3, 4, v2
	v_mov_b32_e32 v17, 1
	ds_add_u32 v3, v17
	s_waitcnt vmcnt(2)
	v_lshrrev_b32_e32 v3, s8, v6
	s_and_b64 vcc, exec, s[4:5]
	v_and_b32_e32 v3, s13, v3
	s_cbranch_vccz .LBB746_288
; %bb.287:
	v_lshl_or_b32 v17, v3, 2, v1
	s_mov_b64 s[6:7], -1
	s_cbranch_execz .LBB746_289
	s_branch .LBB746_296
.LBB746_288:
	s_mov_b64 s[6:7], 0
                                        ; implicit-def: $vgpr17
.LBB746_289:
	s_sub_i32 s10, s9, s12
	s_min_u32 s10, s10, 8
	s_lshl_b32 s10, -1, s10
	s_not_b32 s15, s10
	v_lshrrev_b32_e32 v17, s12, v9
	v_and_b32_e32 v17, s15, v17
	v_lshl_or_b32 v18, v17, 4, v2
	v_mov_b32_e32 v17, 1
	ds_add_u32 v18, v17 offset:4096
	s_add_i32 s14, s8, 16
	s_cmp_gt_u32 s9, s14
	s_cselect_b64 s[10:11], -1, 0
	s_cmp_le_u32 s9, s14
	s_cbranch_scc1 .LBB746_292
; %bb.290:
	s_sub_i32 s16, s9, s14
	s_min_u32 s16, s16, 8
	v_lshrrev_b32_e32 v18, s14, v9
	v_bfe_u32 v18, v18, 0, s16
	v_lshl_or_b32 v18, v18, 4, v2
	ds_add_u32 v18, v17 offset:8192
	s_add_i32 s16, s8, 24
	s_cmp_le_u32 s9, s16
	s_cbranch_scc1 .LBB746_292
; %bb.291:
	s_sub_i32 s17, s9, s16
	s_min_u32 s17, s17, 8
	v_lshrrev_b32_e32 v18, s16, v9
	v_bfe_u32 v18, v18, 0, s17
	v_lshl_or_b32 v18, v18, 4, v2
	v_mov_b32_e32 v19, 1
	ds_add_u32 v18, v19 offset:12288
.LBB746_292:
	v_lshl_or_b32 v3, v3, 4, v2
	ds_add_u32 v3, v17
	v_lshrrev_b32_e32 v3, s12, v6
	v_and_b32_e32 v3, s15, v3
	v_lshl_or_b32 v3, v3, 4, v2
	ds_add_u32 v3, v17 offset:4096
	s_andn2_b64 vcc, exec, s[10:11]
	s_cbranch_vccnz .LBB746_295
; %bb.293:
	s_sub_i32 s10, s9, s14
	s_min_u32 s10, s10, 8
	v_lshrrev_b32_e32 v3, s14, v6
	v_bfe_u32 v3, v3, 0, s10
	v_lshl_or_b32 v3, v3, 4, v2
	v_mov_b32_e32 v17, 1
	ds_add_u32 v3, v17 offset:8192
	s_add_i32 s10, s8, 24
	s_cmp_gt_u32 s9, s10
	s_cbranch_scc0 .LBB746_295
; %bb.294:
	s_sub_i32 s6, s9, s10
	s_min_u32 s6, s6, 8
	v_lshrrev_b32_e32 v3, s10, v6
	v_bfe_u32 v3, v3, 0, s6
	v_lshl_or_b32 v3, v3, 2, v1
	v_add_u32_e32 v17, 0xc00, v3
	s_mov_b64 s[6:7], -1
	s_branch .LBB746_296
.LBB746_295:
                                        ; implicit-def: $vgpr17
.LBB746_296:
	s_and_b64 vcc, exec, s[6:7]
	s_cbranch_vccz .LBB746_298
; %bb.297:
	v_lshlrev_b32_e32 v3, 2, v17
	v_mov_b32_e32 v17, 1
	ds_add_u32 v3, v17
.LBB746_298:
	s_waitcnt vmcnt(1)
	v_lshrrev_b32_e32 v3, s8, v5
	v_and_b32_e32 v3, s13, v3
	v_lshl_or_b32 v3, v3, 4, v2
	v_mov_b32_e32 v17, 1
	ds_add_u32 v3, v17
	s_waitcnt vmcnt(0)
	v_lshrrev_b32_e32 v3, s8, v4
	s_and_b64 vcc, exec, s[4:5]
	v_and_b32_e32 v3, s13, v3
	s_cbranch_vccz .LBB746_300
; %bb.299:
	v_lshl_or_b32 v17, v3, 2, v1
	s_mov_b64 s[4:5], -1
	s_cbranch_execz .LBB746_301
	s_branch .LBB746_308
.LBB746_300:
	s_mov_b64 s[4:5], 0
                                        ; implicit-def: $vgpr17
.LBB746_301:
	s_sub_i32 s6, s9, s12
	s_min_u32 s6, s6, 8
	s_lshl_b32 s6, -1, s6
	s_not_b32 s11, s6
	v_lshrrev_b32_e32 v17, s12, v5
	v_and_b32_e32 v17, s11, v17
	v_lshl_or_b32 v18, v17, 4, v2
	v_mov_b32_e32 v17, 1
	ds_add_u32 v18, v17 offset:4096
	s_add_i32 s10, s8, 16
	s_cmp_gt_u32 s9, s10
	s_cselect_b64 s[6:7], -1, 0
	s_cmp_le_u32 s9, s10
	s_cbranch_scc1 .LBB746_304
; %bb.302:
	s_sub_i32 s13, s9, s10
	s_min_u32 s13, s13, 8
	v_lshrrev_b32_e32 v18, s10, v5
	v_bfe_u32 v18, v18, 0, s13
	v_lshl_or_b32 v18, v18, 4, v2
	ds_add_u32 v18, v17 offset:8192
	s_add_i32 s13, s8, 24
	s_cmp_le_u32 s9, s13
	s_cbranch_scc1 .LBB746_304
; %bb.303:
	v_lshrrev_b32_e32 v18, s13, v5
	s_sub_i32 s13, s9, s13
	s_min_u32 s13, s13, 8
	v_bfe_u32 v18, v18, 0, s13
	v_lshl_or_b32 v18, v18, 4, v2
	v_mov_b32_e32 v19, 1
	ds_add_u32 v18, v19 offset:12288
.LBB746_304:
	v_lshl_or_b32 v3, v3, 4, v2
	ds_add_u32 v3, v17
	v_lshrrev_b32_e32 v3, s12, v4
	v_and_b32_e32 v3, s11, v3
	v_lshl_or_b32 v3, v3, 4, v2
	ds_add_u32 v3, v17 offset:4096
	s_andn2_b64 vcc, exec, s[6:7]
	s_cbranch_vccnz .LBB746_307
; %bb.305:
	s_sub_i32 s6, s9, s10
	s_min_u32 s6, s6, 8
	v_lshrrev_b32_e32 v3, s10, v4
	v_bfe_u32 v3, v3, 0, s6
	v_lshl_or_b32 v2, v3, 4, v2
	v_mov_b32_e32 v3, 1
	ds_add_u32 v2, v3 offset:8192
	s_add_i32 s6, s8, 24
	s_cmp_gt_u32 s9, s6
	s_cbranch_scc0 .LBB746_307
; %bb.306:
	s_sub_i32 s4, s9, s6
	s_min_u32 s4, s4, 8
	v_lshrrev_b32_e32 v2, s6, v4
	v_bfe_u32 v2, v2, 0, s4
	v_lshl_or_b32 v1, v2, 2, v1
	v_add_u32_e32 v17, 0xc00, v1
	s_mov_b64 s[4:5], -1
	s_branch .LBB746_308
.LBB746_307:
                                        ; implicit-def: $vgpr17
.LBB746_308:
	s_and_b64 vcc, exec, s[4:5]
	s_cbranch_vccz .LBB746_310
; %bb.309:
	v_lshlrev_b32_e32 v1, 2, v17
	v_mov_b32_e32 v2, 1
	ds_add_u32 v1, v2
.LBB746_310:
	s_and_b64 vcc, exec, s[0:1]
	s_waitcnt lgkmcnt(0)
	s_barrier
	s_cbranch_vccz .LBB746_315
; %bb.311:
	s_movk_i32 s0, 0x100
	v_cmp_gt_u32_e32 vcc, s0, v0
	v_lshlrev_b32_e32 v1, 4, v0
	v_mov_b32_e32 v3, 0
	v_mov_b32_e32 v2, v0
	s_branch .LBB746_313
.LBB746_312:                            ;   in Loop: Header=BB746_313 Depth=1
	s_or_b64 exec, exec, s[4:5]
	s_add_i32 s8, s8, 8
	v_add_u32_e32 v2, 0x100, v2
	s_cmp_ge_u32 s8, s9
	v_add_u32_e32 v1, 0x1000, v1
	s_cbranch_scc1 .LBB746_315
.LBB746_313:                            ; =>This Inner Loop Header: Depth=1
	s_and_saveexec_b64 s[4:5], vcc
	s_cbranch_execz .LBB746_312
; %bb.314:                              ;   in Loop: Header=BB746_313 Depth=1
	ds_read2_b32 v[18:19], v1 offset1:1
	ds_read2_b32 v[20:21], v1 offset0:2 offset1:3
	v_lshlrev_b64 v[22:23], 3, v[2:3]
	v_mov_b32_e32 v17, s3
	s_waitcnt lgkmcnt(1)
	v_add_u32_e32 v18, v19, v18
	s_waitcnt lgkmcnt(0)
	v_add3_u32 v18, v18, v20, v21
	v_add_co_u32_e64 v20, s[0:1], s2, v22
	v_addc_co_u32_e64 v21, s[0:1], v17, v23, s[0:1]
	v_mov_b32_e32 v19, v3
	global_atomic_add_x2 v[20:21], v[18:19], off
	s_branch .LBB746_312
.LBB746_315:
	s_mov_b64 s[0:1], 0
.LBB746_316:
	s_and_b64 vcc, exec, s[0:1]
	s_cbranch_vccz .LBB746_319
; %bb.317:
	v_and_b32_e32 v2, 3, v0
	s_waitcnt vmcnt(11)
	v_lshlrev_b32_e32 v3, 2, v16
	s_movk_i32 s0, 0x3fc
	v_mov_b32_e32 v1, 0
	v_and_or_b32 v3, v3, s0, v2
	ds_write2st64_b32 v14, v1, v1 offset1:16
	ds_write2st64_b32 v14, v1, v1 offset0:32 offset1:48
	v_lshlrev_b32_e32 v3, 2, v3
	v_mov_b32_e32 v14, 1
	s_waitcnt lgkmcnt(0)
	s_barrier
	ds_add_u32 v3, v14
	v_bfe_u32 v3, v16, 8, 8
	v_lshl_or_b32 v3, v3, 2, v2
	v_lshlrev_b32_e32 v3, 2, v3
	ds_add_u32 v3, v14 offset:4096
	v_bfe_u32 v3, v16, 16, 8
	v_lshl_or_b32 v3, v3, 2, v2
	v_lshlrev_b32_e32 v3, 2, v3
	ds_add_u32 v3, v14 offset:8192
	v_lshrrev_b32_e32 v3, 24, v16
	v_lshl_or_b32 v3, v3, 2, v2
	v_lshlrev_b32_e32 v3, 2, v3
	ds_add_u32 v3, v14 offset:12288
	s_waitcnt vmcnt(10)
	v_lshlrev_b32_e32 v3, 2, v15
	v_and_or_b32 v3, v3, s0, v2
	v_lshlrev_b32_e32 v3, 2, v3
	ds_add_u32 v3, v14
	v_bfe_u32 v3, v15, 8, 8
	v_lshl_or_b32 v3, v3, 2, v2
	v_lshlrev_b32_e32 v3, 2, v3
	ds_add_u32 v3, v14 offset:4096
	v_bfe_u32 v3, v15, 16, 8
	v_lshl_or_b32 v3, v3, 2, v2
	v_lshlrev_b32_e32 v3, 2, v3
	ds_add_u32 v3, v14 offset:8192
	v_lshrrev_b32_e32 v3, 24, v15
	v_lshl_or_b32 v3, v3, 2, v2
	v_lshlrev_b32_e32 v3, 2, v3
	ds_add_u32 v3, v14 offset:12288
	s_waitcnt vmcnt(9)
	v_lshlrev_b32_e32 v3, 2, v13
	v_and_or_b32 v3, v3, s0, v2
	v_lshlrev_b32_e32 v3, 2, v3
	ds_add_u32 v3, v14
	v_bfe_u32 v3, v13, 8, 8
	v_lshl_or_b32 v3, v3, 2, v2
	v_lshlrev_b32_e32 v3, 2, v3
	ds_add_u32 v3, v14 offset:4096
	v_bfe_u32 v3, v13, 16, 8
	v_lshl_or_b32 v3, v3, 2, v2
	v_lshlrev_b32_e32 v3, 2, v3
	ds_add_u32 v3, v14 offset:8192
	v_lshrrev_b32_e32 v3, 24, v13
	v_lshl_or_b32 v3, v3, 2, v2
	v_lshlrev_b32_e32 v3, 2, v3
	ds_add_u32 v3, v14 offset:12288
	s_waitcnt vmcnt(8)
	v_lshlrev_b32_e32 v3, 2, v12
	v_and_or_b32 v3, v3, s0, v2
	v_lshlrev_b32_e32 v3, 2, v3
	ds_add_u32 v3, v14
	v_bfe_u32 v3, v12, 8, 8
	v_lshl_or_b32 v3, v3, 2, v2
	v_lshlrev_b32_e32 v3, 2, v3
	ds_add_u32 v3, v14 offset:4096
	v_bfe_u32 v3, v12, 16, 8
	v_lshl_or_b32 v3, v3, 2, v2
	v_lshlrev_b32_e32 v3, 2, v3
	ds_add_u32 v3, v14 offset:8192
	v_lshrrev_b32_e32 v3, 24, v12
	v_lshl_or_b32 v3, v3, 2, v2
	v_lshlrev_b32_e32 v3, 2, v3
	ds_add_u32 v3, v14 offset:12288
	s_waitcnt vmcnt(7)
	v_lshlrev_b32_e32 v3, 2, v11
	v_and_or_b32 v3, v3, s0, v2
	v_lshlrev_b32_e32 v3, 2, v3
	ds_add_u32 v3, v14
	v_bfe_u32 v3, v11, 8, 8
	v_lshl_or_b32 v3, v3, 2, v2
	v_lshlrev_b32_e32 v3, 2, v3
	ds_add_u32 v3, v14 offset:4096
	v_bfe_u32 v3, v11, 16, 8
	v_lshl_or_b32 v3, v3, 2, v2
	v_lshlrev_b32_e32 v3, 2, v3
	ds_add_u32 v3, v14 offset:8192
	v_lshrrev_b32_e32 v3, 24, v11
	v_lshl_or_b32 v3, v3, 2, v2
	v_lshlrev_b32_e32 v3, 2, v3
	ds_add_u32 v3, v14 offset:12288
	s_waitcnt vmcnt(6)
	v_lshlrev_b32_e32 v3, 2, v10
	v_and_or_b32 v3, v3, s0, v2
	v_lshlrev_b32_e32 v3, 2, v3
	ds_add_u32 v3, v14
	v_bfe_u32 v3, v10, 8, 8
	v_lshl_or_b32 v3, v3, 2, v2
	v_lshlrev_b32_e32 v3, 2, v3
	ds_add_u32 v3, v14 offset:4096
	v_bfe_u32 v3, v10, 16, 8
	v_lshl_or_b32 v3, v3, 2, v2
	v_lshlrev_b32_e32 v3, 2, v3
	ds_add_u32 v3, v14 offset:8192
	v_lshrrev_b32_e32 v3, 24, v10
	v_lshl_or_b32 v3, v3, 2, v2
	v_lshlrev_b32_e32 v3, 2, v3
	ds_add_u32 v3, v14 offset:12288
	s_waitcnt vmcnt(5)
	v_lshlrev_b32_e32 v3, 2, v8
	v_and_or_b32 v3, v3, s0, v2
	v_lshlrev_b32_e32 v3, 2, v3
	ds_add_u32 v3, v14
	v_bfe_u32 v3, v8, 8, 8
	v_lshl_or_b32 v3, v3, 2, v2
	v_lshlrev_b32_e32 v3, 2, v3
	ds_add_u32 v3, v14 offset:4096
	v_bfe_u32 v3, v8, 16, 8
	v_lshl_or_b32 v3, v3, 2, v2
	v_lshlrev_b32_e32 v3, 2, v3
	ds_add_u32 v3, v14 offset:8192
	v_lshrrev_b32_e32 v3, 24, v8
	v_lshl_or_b32 v3, v3, 2, v2
	v_lshlrev_b32_e32 v3, 2, v3
	ds_add_u32 v3, v14 offset:12288
	s_waitcnt vmcnt(4)
	v_lshlrev_b32_e32 v3, 2, v7
	v_and_or_b32 v3, v3, s0, v2
	v_lshlrev_b32_e32 v3, 2, v3
	ds_add_u32 v3, v14
	v_bfe_u32 v3, v7, 8, 8
	v_lshl_or_b32 v3, v3, 2, v2
	v_lshlrev_b32_e32 v3, 2, v3
	ds_add_u32 v3, v14 offset:4096
	v_bfe_u32 v3, v7, 16, 8
	v_lshl_or_b32 v3, v3, 2, v2
	v_lshlrev_b32_e32 v3, 2, v3
	ds_add_u32 v3, v14 offset:8192
	v_lshrrev_b32_e32 v3, 24, v7
	v_lshl_or_b32 v3, v3, 2, v2
	v_lshlrev_b32_e32 v3, 2, v3
	ds_add_u32 v3, v14 offset:12288
	s_waitcnt vmcnt(3)
	v_lshlrev_b32_e32 v3, 2, v9
	v_and_or_b32 v3, v3, s0, v2
	v_lshlrev_b32_e32 v3, 2, v3
	ds_add_u32 v3, v14
	v_bfe_u32 v3, v9, 8, 8
	v_lshl_or_b32 v3, v3, 2, v2
	v_lshlrev_b32_e32 v3, 2, v3
	ds_add_u32 v3, v14 offset:4096
	v_bfe_u32 v3, v9, 16, 8
	v_lshl_or_b32 v3, v3, 2, v2
	v_lshlrev_b32_e32 v3, 2, v3
	ds_add_u32 v3, v14 offset:8192
	v_lshrrev_b32_e32 v3, 24, v9
	v_lshl_or_b32 v3, v3, 2, v2
	v_lshlrev_b32_e32 v3, 2, v3
	ds_add_u32 v3, v14 offset:12288
	s_waitcnt vmcnt(2)
	v_lshlrev_b32_e32 v3, 2, v6
	v_and_or_b32 v3, v3, s0, v2
	v_lshlrev_b32_e32 v3, 2, v3
	ds_add_u32 v3, v14
	v_bfe_u32 v3, v6, 8, 8
	v_lshl_or_b32 v3, v3, 2, v2
	v_lshlrev_b32_e32 v3, 2, v3
	ds_add_u32 v3, v14 offset:4096
	v_bfe_u32 v3, v6, 16, 8
	v_lshl_or_b32 v3, v3, 2, v2
	v_lshlrev_b32_e32 v3, 2, v3
	ds_add_u32 v3, v14 offset:8192
	v_lshrrev_b32_e32 v3, 24, v6
	v_lshl_or_b32 v3, v3, 2, v2
	v_lshlrev_b32_e32 v3, 2, v3
	ds_add_u32 v3, v14 offset:12288
	s_waitcnt vmcnt(1)
	v_lshlrev_b32_e32 v3, 2, v5
	v_and_or_b32 v3, v3, s0, v2
	v_lshlrev_b32_e32 v3, 2, v3
	ds_add_u32 v3, v14
	v_bfe_u32 v3, v5, 8, 8
	v_lshl_or_b32 v3, v3, 2, v2
	v_lshlrev_b32_e32 v3, 2, v3
	ds_add_u32 v3, v14 offset:4096
	v_bfe_u32 v3, v5, 16, 8
	v_lshl_or_b32 v3, v3, 2, v2
	v_lshlrev_b32_e32 v3, 2, v3
	ds_add_u32 v3, v14 offset:8192
	v_lshrrev_b32_e32 v3, 24, v5
	v_lshl_or_b32 v3, v3, 2, v2
	v_lshlrev_b32_e32 v3, 2, v3
	ds_add_u32 v3, v14 offset:12288
	s_waitcnt vmcnt(0)
	v_lshlrev_b32_e32 v3, 2, v4
	v_and_or_b32 v3, v3, s0, v2
	v_lshlrev_b32_e32 v3, 2, v3
	ds_add_u32 v3, v14
	v_bfe_u32 v3, v4, 8, 8
	v_lshl_or_b32 v3, v3, 2, v2
	v_lshlrev_b32_e32 v3, 2, v3
	ds_add_u32 v3, v14 offset:4096
	v_bfe_u32 v3, v4, 16, 8
	v_lshl_or_b32 v3, v3, 2, v2
	v_lshlrev_b32_e32 v3, 2, v3
	ds_add_u32 v3, v14 offset:8192
	v_lshrrev_b32_e32 v3, 24, v4
	v_lshl_or_b32 v2, v3, 2, v2
	v_lshlrev_b32_e32 v2, 2, v2
	ds_add_u32 v2, v14 offset:12288
	s_movk_i32 s0, 0x100
	v_cmp_gt_u32_e32 vcc, s0, v0
	s_waitcnt lgkmcnt(0)
	s_barrier
	s_and_saveexec_b64 s[0:1], vcc
	s_cbranch_execz .LBB746_319
; %bb.318:
	v_lshlrev_b32_e32 v6, 4, v0
	ds_read2_b32 v[2:3], v6 offset1:1
	ds_read2_b32 v[4:5], v6 offset0:2 offset1:3
	v_lshlrev_b32_e32 v7, 3, v0
	v_add_u32_e32 v8, 0x1000, v6
	v_add_u32_e32 v9, 0x1008, v6
	s_waitcnt lgkmcnt(1)
	v_add_u32_e32 v0, v3, v2
	s_waitcnt lgkmcnt(0)
	v_add3_u32 v0, v0, v4, v5
	global_atomic_add_x2 v7, v[0:1], s[2:3]
	ds_read2_b32 v[2:3], v8 offset1:1
	ds_read2_b32 v[4:5], v9 offset1:1
	v_add_u32_e32 v8, 0x2000, v6
	v_add_u32_e32 v9, 0x2008, v6
	s_waitcnt lgkmcnt(1)
	v_add_u32_e32 v0, v3, v2
	s_waitcnt lgkmcnt(0)
	v_add3_u32 v0, v0, v4, v5
	global_atomic_add_x2 v7, v[0:1], s[2:3] offset:2048
	ds_read2_b32 v[2:3], v8 offset1:1
	ds_read2_b32 v[4:5], v9 offset1:1
	v_or_b32_e32 v8, 0x1000, v7
	v_add_u32_e32 v9, 0x3000, v6
	v_add_u32_e32 v6, 0x3008, v6
	s_waitcnt lgkmcnt(1)
	v_add_u32_e32 v0, v3, v2
	s_waitcnt lgkmcnt(0)
	v_add3_u32 v0, v0, v4, v5
	global_atomic_add_x2 v8, v[0:1], s[2:3]
	ds_read2_b32 v[2:3], v9 offset1:1
	ds_read2_b32 v[4:5], v6 offset1:1
	s_waitcnt lgkmcnt(1)
	v_add_u32_e32 v0, v3, v2
	s_waitcnt lgkmcnt(0)
	v_add3_u32 v0, v0, v4, v5
	v_or_b32_e32 v2, 0x1800, v7
	global_atomic_add_x2 v2, v[0:1], s[2:3]
.LBB746_319:
	s_endpgm
	.section	.rodata,"a",@progbits
	.p2align	6, 0x0
	.amdhsa_kernel _ZN7rocprim17ROCPRIM_400000_NS6detail17trampoline_kernelINS0_14default_configENS1_35radix_sort_onesweep_config_selectorIjNS0_10empty_typeEEEZNS1_34radix_sort_onesweep_global_offsetsIS3_Lb0EPjPS5_mNS0_19identity_decomposerEEE10hipError_tT1_T2_PT3_SE_jT4_jjP12ihipStream_tbEUlT_E_NS1_11comp_targetILNS1_3genE4ELNS1_11target_archE910ELNS1_3gpuE8ELNS1_3repE0EEENS1_52radix_sort_onesweep_histogram_config_static_selectorELNS0_4arch9wavefront6targetE1EEEvSC_
		.amdhsa_group_segment_fixed_size 16384
		.amdhsa_private_segment_fixed_size 0
		.amdhsa_kernarg_size 48
		.amdhsa_user_sgpr_count 6
		.amdhsa_user_sgpr_private_segment_buffer 1
		.amdhsa_user_sgpr_dispatch_ptr 0
		.amdhsa_user_sgpr_queue_ptr 0
		.amdhsa_user_sgpr_kernarg_segment_ptr 1
		.amdhsa_user_sgpr_dispatch_id 0
		.amdhsa_user_sgpr_flat_scratch_init 0
		.amdhsa_user_sgpr_kernarg_preload_length 0
		.amdhsa_user_sgpr_kernarg_preload_offset 0
		.amdhsa_user_sgpr_private_segment_size 0
		.amdhsa_uses_dynamic_stack 0
		.amdhsa_system_sgpr_private_segment_wavefront_offset 0
		.amdhsa_system_sgpr_workgroup_id_x 1
		.amdhsa_system_sgpr_workgroup_id_y 0
		.amdhsa_system_sgpr_workgroup_id_z 0
		.amdhsa_system_sgpr_workgroup_info 0
		.amdhsa_system_vgpr_workitem_id 0
		.amdhsa_next_free_vgpr 28
		.amdhsa_next_free_sgpr 18
		.amdhsa_accum_offset 28
		.amdhsa_reserve_vcc 1
		.amdhsa_reserve_flat_scratch 0
		.amdhsa_float_round_mode_32 0
		.amdhsa_float_round_mode_16_64 0
		.amdhsa_float_denorm_mode_32 3
		.amdhsa_float_denorm_mode_16_64 3
		.amdhsa_dx10_clamp 1
		.amdhsa_ieee_mode 1
		.amdhsa_fp16_overflow 0
		.amdhsa_tg_split 0
		.amdhsa_exception_fp_ieee_invalid_op 0
		.amdhsa_exception_fp_denorm_src 0
		.amdhsa_exception_fp_ieee_div_zero 0
		.amdhsa_exception_fp_ieee_overflow 0
		.amdhsa_exception_fp_ieee_underflow 0
		.amdhsa_exception_fp_ieee_inexact 0
		.amdhsa_exception_int_div_zero 0
	.end_amdhsa_kernel
	.section	.text._ZN7rocprim17ROCPRIM_400000_NS6detail17trampoline_kernelINS0_14default_configENS1_35radix_sort_onesweep_config_selectorIjNS0_10empty_typeEEEZNS1_34radix_sort_onesweep_global_offsetsIS3_Lb0EPjPS5_mNS0_19identity_decomposerEEE10hipError_tT1_T2_PT3_SE_jT4_jjP12ihipStream_tbEUlT_E_NS1_11comp_targetILNS1_3genE4ELNS1_11target_archE910ELNS1_3gpuE8ELNS1_3repE0EEENS1_52radix_sort_onesweep_histogram_config_static_selectorELNS0_4arch9wavefront6targetE1EEEvSC_,"axG",@progbits,_ZN7rocprim17ROCPRIM_400000_NS6detail17trampoline_kernelINS0_14default_configENS1_35radix_sort_onesweep_config_selectorIjNS0_10empty_typeEEEZNS1_34radix_sort_onesweep_global_offsetsIS3_Lb0EPjPS5_mNS0_19identity_decomposerEEE10hipError_tT1_T2_PT3_SE_jT4_jjP12ihipStream_tbEUlT_E_NS1_11comp_targetILNS1_3genE4ELNS1_11target_archE910ELNS1_3gpuE8ELNS1_3repE0EEENS1_52radix_sort_onesweep_histogram_config_static_selectorELNS0_4arch9wavefront6targetE1EEEvSC_,comdat
.Lfunc_end746:
	.size	_ZN7rocprim17ROCPRIM_400000_NS6detail17trampoline_kernelINS0_14default_configENS1_35radix_sort_onesweep_config_selectorIjNS0_10empty_typeEEEZNS1_34radix_sort_onesweep_global_offsetsIS3_Lb0EPjPS5_mNS0_19identity_decomposerEEE10hipError_tT1_T2_PT3_SE_jT4_jjP12ihipStream_tbEUlT_E_NS1_11comp_targetILNS1_3genE4ELNS1_11target_archE910ELNS1_3gpuE8ELNS1_3repE0EEENS1_52radix_sort_onesweep_histogram_config_static_selectorELNS0_4arch9wavefront6targetE1EEEvSC_, .Lfunc_end746-_ZN7rocprim17ROCPRIM_400000_NS6detail17trampoline_kernelINS0_14default_configENS1_35radix_sort_onesweep_config_selectorIjNS0_10empty_typeEEEZNS1_34radix_sort_onesweep_global_offsetsIS3_Lb0EPjPS5_mNS0_19identity_decomposerEEE10hipError_tT1_T2_PT3_SE_jT4_jjP12ihipStream_tbEUlT_E_NS1_11comp_targetILNS1_3genE4ELNS1_11target_archE910ELNS1_3gpuE8ELNS1_3repE0EEENS1_52radix_sort_onesweep_histogram_config_static_selectorELNS0_4arch9wavefront6targetE1EEEvSC_
                                        ; -- End function
	.section	.AMDGPU.csdata,"",@progbits
; Kernel info:
; codeLenInByte = 10756
; NumSgprs: 22
; NumVgprs: 28
; NumAgprs: 0
; TotalNumVgprs: 28
; ScratchSize: 0
; MemoryBound: 0
; FloatMode: 240
; IeeeMode: 1
; LDSByteSize: 16384 bytes/workgroup (compile time only)
; SGPRBlocks: 2
; VGPRBlocks: 3
; NumSGPRsForWavesPerEU: 22
; NumVGPRsForWavesPerEU: 28
; AccumOffset: 28
; Occupancy: 8
; WaveLimiterHint : 1
; COMPUTE_PGM_RSRC2:SCRATCH_EN: 0
; COMPUTE_PGM_RSRC2:USER_SGPR: 6
; COMPUTE_PGM_RSRC2:TRAP_HANDLER: 0
; COMPUTE_PGM_RSRC2:TGID_X_EN: 1
; COMPUTE_PGM_RSRC2:TGID_Y_EN: 0
; COMPUTE_PGM_RSRC2:TGID_Z_EN: 0
; COMPUTE_PGM_RSRC2:TIDIG_COMP_CNT: 0
; COMPUTE_PGM_RSRC3_GFX90A:ACCUM_OFFSET: 6
; COMPUTE_PGM_RSRC3_GFX90A:TG_SPLIT: 0
	.section	.text._ZN7rocprim17ROCPRIM_400000_NS6detail17trampoline_kernelINS0_14default_configENS1_35radix_sort_onesweep_config_selectorIjNS0_10empty_typeEEEZNS1_34radix_sort_onesweep_global_offsetsIS3_Lb0EPjPS5_mNS0_19identity_decomposerEEE10hipError_tT1_T2_PT3_SE_jT4_jjP12ihipStream_tbEUlT_E_NS1_11comp_targetILNS1_3genE3ELNS1_11target_archE908ELNS1_3gpuE7ELNS1_3repE0EEENS1_52radix_sort_onesweep_histogram_config_static_selectorELNS0_4arch9wavefront6targetE1EEEvSC_,"axG",@progbits,_ZN7rocprim17ROCPRIM_400000_NS6detail17trampoline_kernelINS0_14default_configENS1_35radix_sort_onesweep_config_selectorIjNS0_10empty_typeEEEZNS1_34radix_sort_onesweep_global_offsetsIS3_Lb0EPjPS5_mNS0_19identity_decomposerEEE10hipError_tT1_T2_PT3_SE_jT4_jjP12ihipStream_tbEUlT_E_NS1_11comp_targetILNS1_3genE3ELNS1_11target_archE908ELNS1_3gpuE7ELNS1_3repE0EEENS1_52radix_sort_onesweep_histogram_config_static_selectorELNS0_4arch9wavefront6targetE1EEEvSC_,comdat
	.protected	_ZN7rocprim17ROCPRIM_400000_NS6detail17trampoline_kernelINS0_14default_configENS1_35radix_sort_onesweep_config_selectorIjNS0_10empty_typeEEEZNS1_34radix_sort_onesweep_global_offsetsIS3_Lb0EPjPS5_mNS0_19identity_decomposerEEE10hipError_tT1_T2_PT3_SE_jT4_jjP12ihipStream_tbEUlT_E_NS1_11comp_targetILNS1_3genE3ELNS1_11target_archE908ELNS1_3gpuE7ELNS1_3repE0EEENS1_52radix_sort_onesweep_histogram_config_static_selectorELNS0_4arch9wavefront6targetE1EEEvSC_ ; -- Begin function _ZN7rocprim17ROCPRIM_400000_NS6detail17trampoline_kernelINS0_14default_configENS1_35radix_sort_onesweep_config_selectorIjNS0_10empty_typeEEEZNS1_34radix_sort_onesweep_global_offsetsIS3_Lb0EPjPS5_mNS0_19identity_decomposerEEE10hipError_tT1_T2_PT3_SE_jT4_jjP12ihipStream_tbEUlT_E_NS1_11comp_targetILNS1_3genE3ELNS1_11target_archE908ELNS1_3gpuE7ELNS1_3repE0EEENS1_52radix_sort_onesweep_histogram_config_static_selectorELNS0_4arch9wavefront6targetE1EEEvSC_
	.globl	_ZN7rocprim17ROCPRIM_400000_NS6detail17trampoline_kernelINS0_14default_configENS1_35radix_sort_onesweep_config_selectorIjNS0_10empty_typeEEEZNS1_34radix_sort_onesweep_global_offsetsIS3_Lb0EPjPS5_mNS0_19identity_decomposerEEE10hipError_tT1_T2_PT3_SE_jT4_jjP12ihipStream_tbEUlT_E_NS1_11comp_targetILNS1_3genE3ELNS1_11target_archE908ELNS1_3gpuE7ELNS1_3repE0EEENS1_52radix_sort_onesweep_histogram_config_static_selectorELNS0_4arch9wavefront6targetE1EEEvSC_
	.p2align	8
	.type	_ZN7rocprim17ROCPRIM_400000_NS6detail17trampoline_kernelINS0_14default_configENS1_35radix_sort_onesweep_config_selectorIjNS0_10empty_typeEEEZNS1_34radix_sort_onesweep_global_offsetsIS3_Lb0EPjPS5_mNS0_19identity_decomposerEEE10hipError_tT1_T2_PT3_SE_jT4_jjP12ihipStream_tbEUlT_E_NS1_11comp_targetILNS1_3genE3ELNS1_11target_archE908ELNS1_3gpuE7ELNS1_3repE0EEENS1_52radix_sort_onesweep_histogram_config_static_selectorELNS0_4arch9wavefront6targetE1EEEvSC_,@function
_ZN7rocprim17ROCPRIM_400000_NS6detail17trampoline_kernelINS0_14default_configENS1_35radix_sort_onesweep_config_selectorIjNS0_10empty_typeEEEZNS1_34radix_sort_onesweep_global_offsetsIS3_Lb0EPjPS5_mNS0_19identity_decomposerEEE10hipError_tT1_T2_PT3_SE_jT4_jjP12ihipStream_tbEUlT_E_NS1_11comp_targetILNS1_3genE3ELNS1_11target_archE908ELNS1_3gpuE7ELNS1_3repE0EEENS1_52radix_sort_onesweep_histogram_config_static_selectorELNS0_4arch9wavefront6targetE1EEEvSC_: ; @_ZN7rocprim17ROCPRIM_400000_NS6detail17trampoline_kernelINS0_14default_configENS1_35radix_sort_onesweep_config_selectorIjNS0_10empty_typeEEEZNS1_34radix_sort_onesweep_global_offsetsIS3_Lb0EPjPS5_mNS0_19identity_decomposerEEE10hipError_tT1_T2_PT3_SE_jT4_jjP12ihipStream_tbEUlT_E_NS1_11comp_targetILNS1_3genE3ELNS1_11target_archE908ELNS1_3gpuE7ELNS1_3repE0EEENS1_52radix_sort_onesweep_histogram_config_static_selectorELNS0_4arch9wavefront6targetE1EEEvSC_
; %bb.0:
	.section	.rodata,"a",@progbits
	.p2align	6, 0x0
	.amdhsa_kernel _ZN7rocprim17ROCPRIM_400000_NS6detail17trampoline_kernelINS0_14default_configENS1_35radix_sort_onesweep_config_selectorIjNS0_10empty_typeEEEZNS1_34radix_sort_onesweep_global_offsetsIS3_Lb0EPjPS5_mNS0_19identity_decomposerEEE10hipError_tT1_T2_PT3_SE_jT4_jjP12ihipStream_tbEUlT_E_NS1_11comp_targetILNS1_3genE3ELNS1_11target_archE908ELNS1_3gpuE7ELNS1_3repE0EEENS1_52radix_sort_onesweep_histogram_config_static_selectorELNS0_4arch9wavefront6targetE1EEEvSC_
		.amdhsa_group_segment_fixed_size 0
		.amdhsa_private_segment_fixed_size 0
		.amdhsa_kernarg_size 48
		.amdhsa_user_sgpr_count 6
		.amdhsa_user_sgpr_private_segment_buffer 1
		.amdhsa_user_sgpr_dispatch_ptr 0
		.amdhsa_user_sgpr_queue_ptr 0
		.amdhsa_user_sgpr_kernarg_segment_ptr 1
		.amdhsa_user_sgpr_dispatch_id 0
		.amdhsa_user_sgpr_flat_scratch_init 0
		.amdhsa_user_sgpr_kernarg_preload_length 0
		.amdhsa_user_sgpr_kernarg_preload_offset 0
		.amdhsa_user_sgpr_private_segment_size 0
		.amdhsa_uses_dynamic_stack 0
		.amdhsa_system_sgpr_private_segment_wavefront_offset 0
		.amdhsa_system_sgpr_workgroup_id_x 1
		.amdhsa_system_sgpr_workgroup_id_y 0
		.amdhsa_system_sgpr_workgroup_id_z 0
		.amdhsa_system_sgpr_workgroup_info 0
		.amdhsa_system_vgpr_workitem_id 0
		.amdhsa_next_free_vgpr 1
		.amdhsa_next_free_sgpr 0
		.amdhsa_accum_offset 4
		.amdhsa_reserve_vcc 0
		.amdhsa_reserve_flat_scratch 0
		.amdhsa_float_round_mode_32 0
		.amdhsa_float_round_mode_16_64 0
		.amdhsa_float_denorm_mode_32 3
		.amdhsa_float_denorm_mode_16_64 3
		.amdhsa_dx10_clamp 1
		.amdhsa_ieee_mode 1
		.amdhsa_fp16_overflow 0
		.amdhsa_tg_split 0
		.amdhsa_exception_fp_ieee_invalid_op 0
		.amdhsa_exception_fp_denorm_src 0
		.amdhsa_exception_fp_ieee_div_zero 0
		.amdhsa_exception_fp_ieee_overflow 0
		.amdhsa_exception_fp_ieee_underflow 0
		.amdhsa_exception_fp_ieee_inexact 0
		.amdhsa_exception_int_div_zero 0
	.end_amdhsa_kernel
	.section	.text._ZN7rocprim17ROCPRIM_400000_NS6detail17trampoline_kernelINS0_14default_configENS1_35radix_sort_onesweep_config_selectorIjNS0_10empty_typeEEEZNS1_34radix_sort_onesweep_global_offsetsIS3_Lb0EPjPS5_mNS0_19identity_decomposerEEE10hipError_tT1_T2_PT3_SE_jT4_jjP12ihipStream_tbEUlT_E_NS1_11comp_targetILNS1_3genE3ELNS1_11target_archE908ELNS1_3gpuE7ELNS1_3repE0EEENS1_52radix_sort_onesweep_histogram_config_static_selectorELNS0_4arch9wavefront6targetE1EEEvSC_,"axG",@progbits,_ZN7rocprim17ROCPRIM_400000_NS6detail17trampoline_kernelINS0_14default_configENS1_35radix_sort_onesweep_config_selectorIjNS0_10empty_typeEEEZNS1_34radix_sort_onesweep_global_offsetsIS3_Lb0EPjPS5_mNS0_19identity_decomposerEEE10hipError_tT1_T2_PT3_SE_jT4_jjP12ihipStream_tbEUlT_E_NS1_11comp_targetILNS1_3genE3ELNS1_11target_archE908ELNS1_3gpuE7ELNS1_3repE0EEENS1_52radix_sort_onesweep_histogram_config_static_selectorELNS0_4arch9wavefront6targetE1EEEvSC_,comdat
.Lfunc_end747:
	.size	_ZN7rocprim17ROCPRIM_400000_NS6detail17trampoline_kernelINS0_14default_configENS1_35radix_sort_onesweep_config_selectorIjNS0_10empty_typeEEEZNS1_34radix_sort_onesweep_global_offsetsIS3_Lb0EPjPS5_mNS0_19identity_decomposerEEE10hipError_tT1_T2_PT3_SE_jT4_jjP12ihipStream_tbEUlT_E_NS1_11comp_targetILNS1_3genE3ELNS1_11target_archE908ELNS1_3gpuE7ELNS1_3repE0EEENS1_52radix_sort_onesweep_histogram_config_static_selectorELNS0_4arch9wavefront6targetE1EEEvSC_, .Lfunc_end747-_ZN7rocprim17ROCPRIM_400000_NS6detail17trampoline_kernelINS0_14default_configENS1_35radix_sort_onesweep_config_selectorIjNS0_10empty_typeEEEZNS1_34radix_sort_onesweep_global_offsetsIS3_Lb0EPjPS5_mNS0_19identity_decomposerEEE10hipError_tT1_T2_PT3_SE_jT4_jjP12ihipStream_tbEUlT_E_NS1_11comp_targetILNS1_3genE3ELNS1_11target_archE908ELNS1_3gpuE7ELNS1_3repE0EEENS1_52radix_sort_onesweep_histogram_config_static_selectorELNS0_4arch9wavefront6targetE1EEEvSC_
                                        ; -- End function
	.section	.AMDGPU.csdata,"",@progbits
; Kernel info:
; codeLenInByte = 0
; NumSgprs: 4
; NumVgprs: 0
; NumAgprs: 0
; TotalNumVgprs: 0
; ScratchSize: 0
; MemoryBound: 0
; FloatMode: 240
; IeeeMode: 1
; LDSByteSize: 0 bytes/workgroup (compile time only)
; SGPRBlocks: 0
; VGPRBlocks: 0
; NumSGPRsForWavesPerEU: 4
; NumVGPRsForWavesPerEU: 1
; AccumOffset: 4
; Occupancy: 8
; WaveLimiterHint : 0
; COMPUTE_PGM_RSRC2:SCRATCH_EN: 0
; COMPUTE_PGM_RSRC2:USER_SGPR: 6
; COMPUTE_PGM_RSRC2:TRAP_HANDLER: 0
; COMPUTE_PGM_RSRC2:TGID_X_EN: 1
; COMPUTE_PGM_RSRC2:TGID_Y_EN: 0
; COMPUTE_PGM_RSRC2:TGID_Z_EN: 0
; COMPUTE_PGM_RSRC2:TIDIG_COMP_CNT: 0
; COMPUTE_PGM_RSRC3_GFX90A:ACCUM_OFFSET: 0
; COMPUTE_PGM_RSRC3_GFX90A:TG_SPLIT: 0
	.section	.text._ZN7rocprim17ROCPRIM_400000_NS6detail17trampoline_kernelINS0_14default_configENS1_35radix_sort_onesweep_config_selectorIjNS0_10empty_typeEEEZNS1_34radix_sort_onesweep_global_offsetsIS3_Lb0EPjPS5_mNS0_19identity_decomposerEEE10hipError_tT1_T2_PT3_SE_jT4_jjP12ihipStream_tbEUlT_E_NS1_11comp_targetILNS1_3genE10ELNS1_11target_archE1201ELNS1_3gpuE5ELNS1_3repE0EEENS1_52radix_sort_onesweep_histogram_config_static_selectorELNS0_4arch9wavefront6targetE1EEEvSC_,"axG",@progbits,_ZN7rocprim17ROCPRIM_400000_NS6detail17trampoline_kernelINS0_14default_configENS1_35radix_sort_onesweep_config_selectorIjNS0_10empty_typeEEEZNS1_34radix_sort_onesweep_global_offsetsIS3_Lb0EPjPS5_mNS0_19identity_decomposerEEE10hipError_tT1_T2_PT3_SE_jT4_jjP12ihipStream_tbEUlT_E_NS1_11comp_targetILNS1_3genE10ELNS1_11target_archE1201ELNS1_3gpuE5ELNS1_3repE0EEENS1_52radix_sort_onesweep_histogram_config_static_selectorELNS0_4arch9wavefront6targetE1EEEvSC_,comdat
	.protected	_ZN7rocprim17ROCPRIM_400000_NS6detail17trampoline_kernelINS0_14default_configENS1_35radix_sort_onesweep_config_selectorIjNS0_10empty_typeEEEZNS1_34radix_sort_onesweep_global_offsetsIS3_Lb0EPjPS5_mNS0_19identity_decomposerEEE10hipError_tT1_T2_PT3_SE_jT4_jjP12ihipStream_tbEUlT_E_NS1_11comp_targetILNS1_3genE10ELNS1_11target_archE1201ELNS1_3gpuE5ELNS1_3repE0EEENS1_52radix_sort_onesweep_histogram_config_static_selectorELNS0_4arch9wavefront6targetE1EEEvSC_ ; -- Begin function _ZN7rocprim17ROCPRIM_400000_NS6detail17trampoline_kernelINS0_14default_configENS1_35radix_sort_onesweep_config_selectorIjNS0_10empty_typeEEEZNS1_34radix_sort_onesweep_global_offsetsIS3_Lb0EPjPS5_mNS0_19identity_decomposerEEE10hipError_tT1_T2_PT3_SE_jT4_jjP12ihipStream_tbEUlT_E_NS1_11comp_targetILNS1_3genE10ELNS1_11target_archE1201ELNS1_3gpuE5ELNS1_3repE0EEENS1_52radix_sort_onesweep_histogram_config_static_selectorELNS0_4arch9wavefront6targetE1EEEvSC_
	.globl	_ZN7rocprim17ROCPRIM_400000_NS6detail17trampoline_kernelINS0_14default_configENS1_35radix_sort_onesweep_config_selectorIjNS0_10empty_typeEEEZNS1_34radix_sort_onesweep_global_offsetsIS3_Lb0EPjPS5_mNS0_19identity_decomposerEEE10hipError_tT1_T2_PT3_SE_jT4_jjP12ihipStream_tbEUlT_E_NS1_11comp_targetILNS1_3genE10ELNS1_11target_archE1201ELNS1_3gpuE5ELNS1_3repE0EEENS1_52radix_sort_onesweep_histogram_config_static_selectorELNS0_4arch9wavefront6targetE1EEEvSC_
	.p2align	8
	.type	_ZN7rocprim17ROCPRIM_400000_NS6detail17trampoline_kernelINS0_14default_configENS1_35radix_sort_onesweep_config_selectorIjNS0_10empty_typeEEEZNS1_34radix_sort_onesweep_global_offsetsIS3_Lb0EPjPS5_mNS0_19identity_decomposerEEE10hipError_tT1_T2_PT3_SE_jT4_jjP12ihipStream_tbEUlT_E_NS1_11comp_targetILNS1_3genE10ELNS1_11target_archE1201ELNS1_3gpuE5ELNS1_3repE0EEENS1_52radix_sort_onesweep_histogram_config_static_selectorELNS0_4arch9wavefront6targetE1EEEvSC_,@function
_ZN7rocprim17ROCPRIM_400000_NS6detail17trampoline_kernelINS0_14default_configENS1_35radix_sort_onesweep_config_selectorIjNS0_10empty_typeEEEZNS1_34radix_sort_onesweep_global_offsetsIS3_Lb0EPjPS5_mNS0_19identity_decomposerEEE10hipError_tT1_T2_PT3_SE_jT4_jjP12ihipStream_tbEUlT_E_NS1_11comp_targetILNS1_3genE10ELNS1_11target_archE1201ELNS1_3gpuE5ELNS1_3repE0EEENS1_52radix_sort_onesweep_histogram_config_static_selectorELNS0_4arch9wavefront6targetE1EEEvSC_: ; @_ZN7rocprim17ROCPRIM_400000_NS6detail17trampoline_kernelINS0_14default_configENS1_35radix_sort_onesweep_config_selectorIjNS0_10empty_typeEEEZNS1_34radix_sort_onesweep_global_offsetsIS3_Lb0EPjPS5_mNS0_19identity_decomposerEEE10hipError_tT1_T2_PT3_SE_jT4_jjP12ihipStream_tbEUlT_E_NS1_11comp_targetILNS1_3genE10ELNS1_11target_archE1201ELNS1_3gpuE5ELNS1_3repE0EEENS1_52radix_sort_onesweep_histogram_config_static_selectorELNS0_4arch9wavefront6targetE1EEEvSC_
; %bb.0:
	.section	.rodata,"a",@progbits
	.p2align	6, 0x0
	.amdhsa_kernel _ZN7rocprim17ROCPRIM_400000_NS6detail17trampoline_kernelINS0_14default_configENS1_35radix_sort_onesweep_config_selectorIjNS0_10empty_typeEEEZNS1_34radix_sort_onesweep_global_offsetsIS3_Lb0EPjPS5_mNS0_19identity_decomposerEEE10hipError_tT1_T2_PT3_SE_jT4_jjP12ihipStream_tbEUlT_E_NS1_11comp_targetILNS1_3genE10ELNS1_11target_archE1201ELNS1_3gpuE5ELNS1_3repE0EEENS1_52radix_sort_onesweep_histogram_config_static_selectorELNS0_4arch9wavefront6targetE1EEEvSC_
		.amdhsa_group_segment_fixed_size 0
		.amdhsa_private_segment_fixed_size 0
		.amdhsa_kernarg_size 48
		.amdhsa_user_sgpr_count 6
		.amdhsa_user_sgpr_private_segment_buffer 1
		.amdhsa_user_sgpr_dispatch_ptr 0
		.amdhsa_user_sgpr_queue_ptr 0
		.amdhsa_user_sgpr_kernarg_segment_ptr 1
		.amdhsa_user_sgpr_dispatch_id 0
		.amdhsa_user_sgpr_flat_scratch_init 0
		.amdhsa_user_sgpr_kernarg_preload_length 0
		.amdhsa_user_sgpr_kernarg_preload_offset 0
		.amdhsa_user_sgpr_private_segment_size 0
		.amdhsa_uses_dynamic_stack 0
		.amdhsa_system_sgpr_private_segment_wavefront_offset 0
		.amdhsa_system_sgpr_workgroup_id_x 1
		.amdhsa_system_sgpr_workgroup_id_y 0
		.amdhsa_system_sgpr_workgroup_id_z 0
		.amdhsa_system_sgpr_workgroup_info 0
		.amdhsa_system_vgpr_workitem_id 0
		.amdhsa_next_free_vgpr 1
		.amdhsa_next_free_sgpr 0
		.amdhsa_accum_offset 4
		.amdhsa_reserve_vcc 0
		.amdhsa_reserve_flat_scratch 0
		.amdhsa_float_round_mode_32 0
		.amdhsa_float_round_mode_16_64 0
		.amdhsa_float_denorm_mode_32 3
		.amdhsa_float_denorm_mode_16_64 3
		.amdhsa_dx10_clamp 1
		.amdhsa_ieee_mode 1
		.amdhsa_fp16_overflow 0
		.amdhsa_tg_split 0
		.amdhsa_exception_fp_ieee_invalid_op 0
		.amdhsa_exception_fp_denorm_src 0
		.amdhsa_exception_fp_ieee_div_zero 0
		.amdhsa_exception_fp_ieee_overflow 0
		.amdhsa_exception_fp_ieee_underflow 0
		.amdhsa_exception_fp_ieee_inexact 0
		.amdhsa_exception_int_div_zero 0
	.end_amdhsa_kernel
	.section	.text._ZN7rocprim17ROCPRIM_400000_NS6detail17trampoline_kernelINS0_14default_configENS1_35radix_sort_onesweep_config_selectorIjNS0_10empty_typeEEEZNS1_34radix_sort_onesweep_global_offsetsIS3_Lb0EPjPS5_mNS0_19identity_decomposerEEE10hipError_tT1_T2_PT3_SE_jT4_jjP12ihipStream_tbEUlT_E_NS1_11comp_targetILNS1_3genE10ELNS1_11target_archE1201ELNS1_3gpuE5ELNS1_3repE0EEENS1_52radix_sort_onesweep_histogram_config_static_selectorELNS0_4arch9wavefront6targetE1EEEvSC_,"axG",@progbits,_ZN7rocprim17ROCPRIM_400000_NS6detail17trampoline_kernelINS0_14default_configENS1_35radix_sort_onesweep_config_selectorIjNS0_10empty_typeEEEZNS1_34radix_sort_onesweep_global_offsetsIS3_Lb0EPjPS5_mNS0_19identity_decomposerEEE10hipError_tT1_T2_PT3_SE_jT4_jjP12ihipStream_tbEUlT_E_NS1_11comp_targetILNS1_3genE10ELNS1_11target_archE1201ELNS1_3gpuE5ELNS1_3repE0EEENS1_52radix_sort_onesweep_histogram_config_static_selectorELNS0_4arch9wavefront6targetE1EEEvSC_,comdat
.Lfunc_end748:
	.size	_ZN7rocprim17ROCPRIM_400000_NS6detail17trampoline_kernelINS0_14default_configENS1_35radix_sort_onesweep_config_selectorIjNS0_10empty_typeEEEZNS1_34radix_sort_onesweep_global_offsetsIS3_Lb0EPjPS5_mNS0_19identity_decomposerEEE10hipError_tT1_T2_PT3_SE_jT4_jjP12ihipStream_tbEUlT_E_NS1_11comp_targetILNS1_3genE10ELNS1_11target_archE1201ELNS1_3gpuE5ELNS1_3repE0EEENS1_52radix_sort_onesweep_histogram_config_static_selectorELNS0_4arch9wavefront6targetE1EEEvSC_, .Lfunc_end748-_ZN7rocprim17ROCPRIM_400000_NS6detail17trampoline_kernelINS0_14default_configENS1_35radix_sort_onesweep_config_selectorIjNS0_10empty_typeEEEZNS1_34radix_sort_onesweep_global_offsetsIS3_Lb0EPjPS5_mNS0_19identity_decomposerEEE10hipError_tT1_T2_PT3_SE_jT4_jjP12ihipStream_tbEUlT_E_NS1_11comp_targetILNS1_3genE10ELNS1_11target_archE1201ELNS1_3gpuE5ELNS1_3repE0EEENS1_52radix_sort_onesweep_histogram_config_static_selectorELNS0_4arch9wavefront6targetE1EEEvSC_
                                        ; -- End function
	.section	.AMDGPU.csdata,"",@progbits
; Kernel info:
; codeLenInByte = 0
; NumSgprs: 4
; NumVgprs: 0
; NumAgprs: 0
; TotalNumVgprs: 0
; ScratchSize: 0
; MemoryBound: 0
; FloatMode: 240
; IeeeMode: 1
; LDSByteSize: 0 bytes/workgroup (compile time only)
; SGPRBlocks: 0
; VGPRBlocks: 0
; NumSGPRsForWavesPerEU: 4
; NumVGPRsForWavesPerEU: 1
; AccumOffset: 4
; Occupancy: 8
; WaveLimiterHint : 0
; COMPUTE_PGM_RSRC2:SCRATCH_EN: 0
; COMPUTE_PGM_RSRC2:USER_SGPR: 6
; COMPUTE_PGM_RSRC2:TRAP_HANDLER: 0
; COMPUTE_PGM_RSRC2:TGID_X_EN: 1
; COMPUTE_PGM_RSRC2:TGID_Y_EN: 0
; COMPUTE_PGM_RSRC2:TGID_Z_EN: 0
; COMPUTE_PGM_RSRC2:TIDIG_COMP_CNT: 0
; COMPUTE_PGM_RSRC3_GFX90A:ACCUM_OFFSET: 0
; COMPUTE_PGM_RSRC3_GFX90A:TG_SPLIT: 0
	.section	.text._ZN7rocprim17ROCPRIM_400000_NS6detail17trampoline_kernelINS0_14default_configENS1_35radix_sort_onesweep_config_selectorIjNS0_10empty_typeEEEZNS1_34radix_sort_onesweep_global_offsetsIS3_Lb0EPjPS5_mNS0_19identity_decomposerEEE10hipError_tT1_T2_PT3_SE_jT4_jjP12ihipStream_tbEUlT_E_NS1_11comp_targetILNS1_3genE9ELNS1_11target_archE1100ELNS1_3gpuE3ELNS1_3repE0EEENS1_52radix_sort_onesweep_histogram_config_static_selectorELNS0_4arch9wavefront6targetE1EEEvSC_,"axG",@progbits,_ZN7rocprim17ROCPRIM_400000_NS6detail17trampoline_kernelINS0_14default_configENS1_35radix_sort_onesweep_config_selectorIjNS0_10empty_typeEEEZNS1_34radix_sort_onesweep_global_offsetsIS3_Lb0EPjPS5_mNS0_19identity_decomposerEEE10hipError_tT1_T2_PT3_SE_jT4_jjP12ihipStream_tbEUlT_E_NS1_11comp_targetILNS1_3genE9ELNS1_11target_archE1100ELNS1_3gpuE3ELNS1_3repE0EEENS1_52radix_sort_onesweep_histogram_config_static_selectorELNS0_4arch9wavefront6targetE1EEEvSC_,comdat
	.protected	_ZN7rocprim17ROCPRIM_400000_NS6detail17trampoline_kernelINS0_14default_configENS1_35radix_sort_onesweep_config_selectorIjNS0_10empty_typeEEEZNS1_34radix_sort_onesweep_global_offsetsIS3_Lb0EPjPS5_mNS0_19identity_decomposerEEE10hipError_tT1_T2_PT3_SE_jT4_jjP12ihipStream_tbEUlT_E_NS1_11comp_targetILNS1_3genE9ELNS1_11target_archE1100ELNS1_3gpuE3ELNS1_3repE0EEENS1_52radix_sort_onesweep_histogram_config_static_selectorELNS0_4arch9wavefront6targetE1EEEvSC_ ; -- Begin function _ZN7rocprim17ROCPRIM_400000_NS6detail17trampoline_kernelINS0_14default_configENS1_35radix_sort_onesweep_config_selectorIjNS0_10empty_typeEEEZNS1_34radix_sort_onesweep_global_offsetsIS3_Lb0EPjPS5_mNS0_19identity_decomposerEEE10hipError_tT1_T2_PT3_SE_jT4_jjP12ihipStream_tbEUlT_E_NS1_11comp_targetILNS1_3genE9ELNS1_11target_archE1100ELNS1_3gpuE3ELNS1_3repE0EEENS1_52radix_sort_onesweep_histogram_config_static_selectorELNS0_4arch9wavefront6targetE1EEEvSC_
	.globl	_ZN7rocprim17ROCPRIM_400000_NS6detail17trampoline_kernelINS0_14default_configENS1_35radix_sort_onesweep_config_selectorIjNS0_10empty_typeEEEZNS1_34radix_sort_onesweep_global_offsetsIS3_Lb0EPjPS5_mNS0_19identity_decomposerEEE10hipError_tT1_T2_PT3_SE_jT4_jjP12ihipStream_tbEUlT_E_NS1_11comp_targetILNS1_3genE9ELNS1_11target_archE1100ELNS1_3gpuE3ELNS1_3repE0EEENS1_52radix_sort_onesweep_histogram_config_static_selectorELNS0_4arch9wavefront6targetE1EEEvSC_
	.p2align	8
	.type	_ZN7rocprim17ROCPRIM_400000_NS6detail17trampoline_kernelINS0_14default_configENS1_35radix_sort_onesweep_config_selectorIjNS0_10empty_typeEEEZNS1_34radix_sort_onesweep_global_offsetsIS3_Lb0EPjPS5_mNS0_19identity_decomposerEEE10hipError_tT1_T2_PT3_SE_jT4_jjP12ihipStream_tbEUlT_E_NS1_11comp_targetILNS1_3genE9ELNS1_11target_archE1100ELNS1_3gpuE3ELNS1_3repE0EEENS1_52radix_sort_onesweep_histogram_config_static_selectorELNS0_4arch9wavefront6targetE1EEEvSC_,@function
_ZN7rocprim17ROCPRIM_400000_NS6detail17trampoline_kernelINS0_14default_configENS1_35radix_sort_onesweep_config_selectorIjNS0_10empty_typeEEEZNS1_34radix_sort_onesweep_global_offsetsIS3_Lb0EPjPS5_mNS0_19identity_decomposerEEE10hipError_tT1_T2_PT3_SE_jT4_jjP12ihipStream_tbEUlT_E_NS1_11comp_targetILNS1_3genE9ELNS1_11target_archE1100ELNS1_3gpuE3ELNS1_3repE0EEENS1_52radix_sort_onesweep_histogram_config_static_selectorELNS0_4arch9wavefront6targetE1EEEvSC_: ; @_ZN7rocprim17ROCPRIM_400000_NS6detail17trampoline_kernelINS0_14default_configENS1_35radix_sort_onesweep_config_selectorIjNS0_10empty_typeEEEZNS1_34radix_sort_onesweep_global_offsetsIS3_Lb0EPjPS5_mNS0_19identity_decomposerEEE10hipError_tT1_T2_PT3_SE_jT4_jjP12ihipStream_tbEUlT_E_NS1_11comp_targetILNS1_3genE9ELNS1_11target_archE1100ELNS1_3gpuE3ELNS1_3repE0EEENS1_52radix_sort_onesweep_histogram_config_static_selectorELNS0_4arch9wavefront6targetE1EEEvSC_
; %bb.0:
	.section	.rodata,"a",@progbits
	.p2align	6, 0x0
	.amdhsa_kernel _ZN7rocprim17ROCPRIM_400000_NS6detail17trampoline_kernelINS0_14default_configENS1_35radix_sort_onesweep_config_selectorIjNS0_10empty_typeEEEZNS1_34radix_sort_onesweep_global_offsetsIS3_Lb0EPjPS5_mNS0_19identity_decomposerEEE10hipError_tT1_T2_PT3_SE_jT4_jjP12ihipStream_tbEUlT_E_NS1_11comp_targetILNS1_3genE9ELNS1_11target_archE1100ELNS1_3gpuE3ELNS1_3repE0EEENS1_52radix_sort_onesweep_histogram_config_static_selectorELNS0_4arch9wavefront6targetE1EEEvSC_
		.amdhsa_group_segment_fixed_size 0
		.amdhsa_private_segment_fixed_size 0
		.amdhsa_kernarg_size 48
		.amdhsa_user_sgpr_count 6
		.amdhsa_user_sgpr_private_segment_buffer 1
		.amdhsa_user_sgpr_dispatch_ptr 0
		.amdhsa_user_sgpr_queue_ptr 0
		.amdhsa_user_sgpr_kernarg_segment_ptr 1
		.amdhsa_user_sgpr_dispatch_id 0
		.amdhsa_user_sgpr_flat_scratch_init 0
		.amdhsa_user_sgpr_kernarg_preload_length 0
		.amdhsa_user_sgpr_kernarg_preload_offset 0
		.amdhsa_user_sgpr_private_segment_size 0
		.amdhsa_uses_dynamic_stack 0
		.amdhsa_system_sgpr_private_segment_wavefront_offset 0
		.amdhsa_system_sgpr_workgroup_id_x 1
		.amdhsa_system_sgpr_workgroup_id_y 0
		.amdhsa_system_sgpr_workgroup_id_z 0
		.amdhsa_system_sgpr_workgroup_info 0
		.amdhsa_system_vgpr_workitem_id 0
		.amdhsa_next_free_vgpr 1
		.amdhsa_next_free_sgpr 0
		.amdhsa_accum_offset 4
		.amdhsa_reserve_vcc 0
		.amdhsa_reserve_flat_scratch 0
		.amdhsa_float_round_mode_32 0
		.amdhsa_float_round_mode_16_64 0
		.amdhsa_float_denorm_mode_32 3
		.amdhsa_float_denorm_mode_16_64 3
		.amdhsa_dx10_clamp 1
		.amdhsa_ieee_mode 1
		.amdhsa_fp16_overflow 0
		.amdhsa_tg_split 0
		.amdhsa_exception_fp_ieee_invalid_op 0
		.amdhsa_exception_fp_denorm_src 0
		.amdhsa_exception_fp_ieee_div_zero 0
		.amdhsa_exception_fp_ieee_overflow 0
		.amdhsa_exception_fp_ieee_underflow 0
		.amdhsa_exception_fp_ieee_inexact 0
		.amdhsa_exception_int_div_zero 0
	.end_amdhsa_kernel
	.section	.text._ZN7rocprim17ROCPRIM_400000_NS6detail17trampoline_kernelINS0_14default_configENS1_35radix_sort_onesweep_config_selectorIjNS0_10empty_typeEEEZNS1_34radix_sort_onesweep_global_offsetsIS3_Lb0EPjPS5_mNS0_19identity_decomposerEEE10hipError_tT1_T2_PT3_SE_jT4_jjP12ihipStream_tbEUlT_E_NS1_11comp_targetILNS1_3genE9ELNS1_11target_archE1100ELNS1_3gpuE3ELNS1_3repE0EEENS1_52radix_sort_onesweep_histogram_config_static_selectorELNS0_4arch9wavefront6targetE1EEEvSC_,"axG",@progbits,_ZN7rocprim17ROCPRIM_400000_NS6detail17trampoline_kernelINS0_14default_configENS1_35radix_sort_onesweep_config_selectorIjNS0_10empty_typeEEEZNS1_34radix_sort_onesweep_global_offsetsIS3_Lb0EPjPS5_mNS0_19identity_decomposerEEE10hipError_tT1_T2_PT3_SE_jT4_jjP12ihipStream_tbEUlT_E_NS1_11comp_targetILNS1_3genE9ELNS1_11target_archE1100ELNS1_3gpuE3ELNS1_3repE0EEENS1_52radix_sort_onesweep_histogram_config_static_selectorELNS0_4arch9wavefront6targetE1EEEvSC_,comdat
.Lfunc_end749:
	.size	_ZN7rocprim17ROCPRIM_400000_NS6detail17trampoline_kernelINS0_14default_configENS1_35radix_sort_onesweep_config_selectorIjNS0_10empty_typeEEEZNS1_34radix_sort_onesweep_global_offsetsIS3_Lb0EPjPS5_mNS0_19identity_decomposerEEE10hipError_tT1_T2_PT3_SE_jT4_jjP12ihipStream_tbEUlT_E_NS1_11comp_targetILNS1_3genE9ELNS1_11target_archE1100ELNS1_3gpuE3ELNS1_3repE0EEENS1_52radix_sort_onesweep_histogram_config_static_selectorELNS0_4arch9wavefront6targetE1EEEvSC_, .Lfunc_end749-_ZN7rocprim17ROCPRIM_400000_NS6detail17trampoline_kernelINS0_14default_configENS1_35radix_sort_onesweep_config_selectorIjNS0_10empty_typeEEEZNS1_34radix_sort_onesweep_global_offsetsIS3_Lb0EPjPS5_mNS0_19identity_decomposerEEE10hipError_tT1_T2_PT3_SE_jT4_jjP12ihipStream_tbEUlT_E_NS1_11comp_targetILNS1_3genE9ELNS1_11target_archE1100ELNS1_3gpuE3ELNS1_3repE0EEENS1_52radix_sort_onesweep_histogram_config_static_selectorELNS0_4arch9wavefront6targetE1EEEvSC_
                                        ; -- End function
	.section	.AMDGPU.csdata,"",@progbits
; Kernel info:
; codeLenInByte = 0
; NumSgprs: 4
; NumVgprs: 0
; NumAgprs: 0
; TotalNumVgprs: 0
; ScratchSize: 0
; MemoryBound: 0
; FloatMode: 240
; IeeeMode: 1
; LDSByteSize: 0 bytes/workgroup (compile time only)
; SGPRBlocks: 0
; VGPRBlocks: 0
; NumSGPRsForWavesPerEU: 4
; NumVGPRsForWavesPerEU: 1
; AccumOffset: 4
; Occupancy: 8
; WaveLimiterHint : 0
; COMPUTE_PGM_RSRC2:SCRATCH_EN: 0
; COMPUTE_PGM_RSRC2:USER_SGPR: 6
; COMPUTE_PGM_RSRC2:TRAP_HANDLER: 0
; COMPUTE_PGM_RSRC2:TGID_X_EN: 1
; COMPUTE_PGM_RSRC2:TGID_Y_EN: 0
; COMPUTE_PGM_RSRC2:TGID_Z_EN: 0
; COMPUTE_PGM_RSRC2:TIDIG_COMP_CNT: 0
; COMPUTE_PGM_RSRC3_GFX90A:ACCUM_OFFSET: 0
; COMPUTE_PGM_RSRC3_GFX90A:TG_SPLIT: 0
	.section	.text._ZN7rocprim17ROCPRIM_400000_NS6detail17trampoline_kernelINS0_14default_configENS1_35radix_sort_onesweep_config_selectorIjNS0_10empty_typeEEEZNS1_34radix_sort_onesweep_global_offsetsIS3_Lb0EPjPS5_mNS0_19identity_decomposerEEE10hipError_tT1_T2_PT3_SE_jT4_jjP12ihipStream_tbEUlT_E_NS1_11comp_targetILNS1_3genE8ELNS1_11target_archE1030ELNS1_3gpuE2ELNS1_3repE0EEENS1_52radix_sort_onesweep_histogram_config_static_selectorELNS0_4arch9wavefront6targetE1EEEvSC_,"axG",@progbits,_ZN7rocprim17ROCPRIM_400000_NS6detail17trampoline_kernelINS0_14default_configENS1_35radix_sort_onesweep_config_selectorIjNS0_10empty_typeEEEZNS1_34radix_sort_onesweep_global_offsetsIS3_Lb0EPjPS5_mNS0_19identity_decomposerEEE10hipError_tT1_T2_PT3_SE_jT4_jjP12ihipStream_tbEUlT_E_NS1_11comp_targetILNS1_3genE8ELNS1_11target_archE1030ELNS1_3gpuE2ELNS1_3repE0EEENS1_52radix_sort_onesweep_histogram_config_static_selectorELNS0_4arch9wavefront6targetE1EEEvSC_,comdat
	.protected	_ZN7rocprim17ROCPRIM_400000_NS6detail17trampoline_kernelINS0_14default_configENS1_35radix_sort_onesweep_config_selectorIjNS0_10empty_typeEEEZNS1_34radix_sort_onesweep_global_offsetsIS3_Lb0EPjPS5_mNS0_19identity_decomposerEEE10hipError_tT1_T2_PT3_SE_jT4_jjP12ihipStream_tbEUlT_E_NS1_11comp_targetILNS1_3genE8ELNS1_11target_archE1030ELNS1_3gpuE2ELNS1_3repE0EEENS1_52radix_sort_onesweep_histogram_config_static_selectorELNS0_4arch9wavefront6targetE1EEEvSC_ ; -- Begin function _ZN7rocprim17ROCPRIM_400000_NS6detail17trampoline_kernelINS0_14default_configENS1_35radix_sort_onesweep_config_selectorIjNS0_10empty_typeEEEZNS1_34radix_sort_onesweep_global_offsetsIS3_Lb0EPjPS5_mNS0_19identity_decomposerEEE10hipError_tT1_T2_PT3_SE_jT4_jjP12ihipStream_tbEUlT_E_NS1_11comp_targetILNS1_3genE8ELNS1_11target_archE1030ELNS1_3gpuE2ELNS1_3repE0EEENS1_52radix_sort_onesweep_histogram_config_static_selectorELNS0_4arch9wavefront6targetE1EEEvSC_
	.globl	_ZN7rocprim17ROCPRIM_400000_NS6detail17trampoline_kernelINS0_14default_configENS1_35radix_sort_onesweep_config_selectorIjNS0_10empty_typeEEEZNS1_34radix_sort_onesweep_global_offsetsIS3_Lb0EPjPS5_mNS0_19identity_decomposerEEE10hipError_tT1_T2_PT3_SE_jT4_jjP12ihipStream_tbEUlT_E_NS1_11comp_targetILNS1_3genE8ELNS1_11target_archE1030ELNS1_3gpuE2ELNS1_3repE0EEENS1_52radix_sort_onesweep_histogram_config_static_selectorELNS0_4arch9wavefront6targetE1EEEvSC_
	.p2align	8
	.type	_ZN7rocprim17ROCPRIM_400000_NS6detail17trampoline_kernelINS0_14default_configENS1_35radix_sort_onesweep_config_selectorIjNS0_10empty_typeEEEZNS1_34radix_sort_onesweep_global_offsetsIS3_Lb0EPjPS5_mNS0_19identity_decomposerEEE10hipError_tT1_T2_PT3_SE_jT4_jjP12ihipStream_tbEUlT_E_NS1_11comp_targetILNS1_3genE8ELNS1_11target_archE1030ELNS1_3gpuE2ELNS1_3repE0EEENS1_52radix_sort_onesweep_histogram_config_static_selectorELNS0_4arch9wavefront6targetE1EEEvSC_,@function
_ZN7rocprim17ROCPRIM_400000_NS6detail17trampoline_kernelINS0_14default_configENS1_35radix_sort_onesweep_config_selectorIjNS0_10empty_typeEEEZNS1_34radix_sort_onesweep_global_offsetsIS3_Lb0EPjPS5_mNS0_19identity_decomposerEEE10hipError_tT1_T2_PT3_SE_jT4_jjP12ihipStream_tbEUlT_E_NS1_11comp_targetILNS1_3genE8ELNS1_11target_archE1030ELNS1_3gpuE2ELNS1_3repE0EEENS1_52radix_sort_onesweep_histogram_config_static_selectorELNS0_4arch9wavefront6targetE1EEEvSC_: ; @_ZN7rocprim17ROCPRIM_400000_NS6detail17trampoline_kernelINS0_14default_configENS1_35radix_sort_onesweep_config_selectorIjNS0_10empty_typeEEEZNS1_34radix_sort_onesweep_global_offsetsIS3_Lb0EPjPS5_mNS0_19identity_decomposerEEE10hipError_tT1_T2_PT3_SE_jT4_jjP12ihipStream_tbEUlT_E_NS1_11comp_targetILNS1_3genE8ELNS1_11target_archE1030ELNS1_3gpuE2ELNS1_3repE0EEENS1_52radix_sort_onesweep_histogram_config_static_selectorELNS0_4arch9wavefront6targetE1EEEvSC_
; %bb.0:
	.section	.rodata,"a",@progbits
	.p2align	6, 0x0
	.amdhsa_kernel _ZN7rocprim17ROCPRIM_400000_NS6detail17trampoline_kernelINS0_14default_configENS1_35radix_sort_onesweep_config_selectorIjNS0_10empty_typeEEEZNS1_34radix_sort_onesweep_global_offsetsIS3_Lb0EPjPS5_mNS0_19identity_decomposerEEE10hipError_tT1_T2_PT3_SE_jT4_jjP12ihipStream_tbEUlT_E_NS1_11comp_targetILNS1_3genE8ELNS1_11target_archE1030ELNS1_3gpuE2ELNS1_3repE0EEENS1_52radix_sort_onesweep_histogram_config_static_selectorELNS0_4arch9wavefront6targetE1EEEvSC_
		.amdhsa_group_segment_fixed_size 0
		.amdhsa_private_segment_fixed_size 0
		.amdhsa_kernarg_size 48
		.amdhsa_user_sgpr_count 6
		.amdhsa_user_sgpr_private_segment_buffer 1
		.amdhsa_user_sgpr_dispatch_ptr 0
		.amdhsa_user_sgpr_queue_ptr 0
		.amdhsa_user_sgpr_kernarg_segment_ptr 1
		.amdhsa_user_sgpr_dispatch_id 0
		.amdhsa_user_sgpr_flat_scratch_init 0
		.amdhsa_user_sgpr_kernarg_preload_length 0
		.amdhsa_user_sgpr_kernarg_preload_offset 0
		.amdhsa_user_sgpr_private_segment_size 0
		.amdhsa_uses_dynamic_stack 0
		.amdhsa_system_sgpr_private_segment_wavefront_offset 0
		.amdhsa_system_sgpr_workgroup_id_x 1
		.amdhsa_system_sgpr_workgroup_id_y 0
		.amdhsa_system_sgpr_workgroup_id_z 0
		.amdhsa_system_sgpr_workgroup_info 0
		.amdhsa_system_vgpr_workitem_id 0
		.amdhsa_next_free_vgpr 1
		.amdhsa_next_free_sgpr 0
		.amdhsa_accum_offset 4
		.amdhsa_reserve_vcc 0
		.amdhsa_reserve_flat_scratch 0
		.amdhsa_float_round_mode_32 0
		.amdhsa_float_round_mode_16_64 0
		.amdhsa_float_denorm_mode_32 3
		.amdhsa_float_denorm_mode_16_64 3
		.amdhsa_dx10_clamp 1
		.amdhsa_ieee_mode 1
		.amdhsa_fp16_overflow 0
		.amdhsa_tg_split 0
		.amdhsa_exception_fp_ieee_invalid_op 0
		.amdhsa_exception_fp_denorm_src 0
		.amdhsa_exception_fp_ieee_div_zero 0
		.amdhsa_exception_fp_ieee_overflow 0
		.amdhsa_exception_fp_ieee_underflow 0
		.amdhsa_exception_fp_ieee_inexact 0
		.amdhsa_exception_int_div_zero 0
	.end_amdhsa_kernel
	.section	.text._ZN7rocprim17ROCPRIM_400000_NS6detail17trampoline_kernelINS0_14default_configENS1_35radix_sort_onesweep_config_selectorIjNS0_10empty_typeEEEZNS1_34radix_sort_onesweep_global_offsetsIS3_Lb0EPjPS5_mNS0_19identity_decomposerEEE10hipError_tT1_T2_PT3_SE_jT4_jjP12ihipStream_tbEUlT_E_NS1_11comp_targetILNS1_3genE8ELNS1_11target_archE1030ELNS1_3gpuE2ELNS1_3repE0EEENS1_52radix_sort_onesweep_histogram_config_static_selectorELNS0_4arch9wavefront6targetE1EEEvSC_,"axG",@progbits,_ZN7rocprim17ROCPRIM_400000_NS6detail17trampoline_kernelINS0_14default_configENS1_35radix_sort_onesweep_config_selectorIjNS0_10empty_typeEEEZNS1_34radix_sort_onesweep_global_offsetsIS3_Lb0EPjPS5_mNS0_19identity_decomposerEEE10hipError_tT1_T2_PT3_SE_jT4_jjP12ihipStream_tbEUlT_E_NS1_11comp_targetILNS1_3genE8ELNS1_11target_archE1030ELNS1_3gpuE2ELNS1_3repE0EEENS1_52radix_sort_onesweep_histogram_config_static_selectorELNS0_4arch9wavefront6targetE1EEEvSC_,comdat
.Lfunc_end750:
	.size	_ZN7rocprim17ROCPRIM_400000_NS6detail17trampoline_kernelINS0_14default_configENS1_35radix_sort_onesweep_config_selectorIjNS0_10empty_typeEEEZNS1_34radix_sort_onesweep_global_offsetsIS3_Lb0EPjPS5_mNS0_19identity_decomposerEEE10hipError_tT1_T2_PT3_SE_jT4_jjP12ihipStream_tbEUlT_E_NS1_11comp_targetILNS1_3genE8ELNS1_11target_archE1030ELNS1_3gpuE2ELNS1_3repE0EEENS1_52radix_sort_onesweep_histogram_config_static_selectorELNS0_4arch9wavefront6targetE1EEEvSC_, .Lfunc_end750-_ZN7rocprim17ROCPRIM_400000_NS6detail17trampoline_kernelINS0_14default_configENS1_35radix_sort_onesweep_config_selectorIjNS0_10empty_typeEEEZNS1_34radix_sort_onesweep_global_offsetsIS3_Lb0EPjPS5_mNS0_19identity_decomposerEEE10hipError_tT1_T2_PT3_SE_jT4_jjP12ihipStream_tbEUlT_E_NS1_11comp_targetILNS1_3genE8ELNS1_11target_archE1030ELNS1_3gpuE2ELNS1_3repE0EEENS1_52radix_sort_onesweep_histogram_config_static_selectorELNS0_4arch9wavefront6targetE1EEEvSC_
                                        ; -- End function
	.section	.AMDGPU.csdata,"",@progbits
; Kernel info:
; codeLenInByte = 0
; NumSgprs: 4
; NumVgprs: 0
; NumAgprs: 0
; TotalNumVgprs: 0
; ScratchSize: 0
; MemoryBound: 0
; FloatMode: 240
; IeeeMode: 1
; LDSByteSize: 0 bytes/workgroup (compile time only)
; SGPRBlocks: 0
; VGPRBlocks: 0
; NumSGPRsForWavesPerEU: 4
; NumVGPRsForWavesPerEU: 1
; AccumOffset: 4
; Occupancy: 8
; WaveLimiterHint : 0
; COMPUTE_PGM_RSRC2:SCRATCH_EN: 0
; COMPUTE_PGM_RSRC2:USER_SGPR: 6
; COMPUTE_PGM_RSRC2:TRAP_HANDLER: 0
; COMPUTE_PGM_RSRC2:TGID_X_EN: 1
; COMPUTE_PGM_RSRC2:TGID_Y_EN: 0
; COMPUTE_PGM_RSRC2:TGID_Z_EN: 0
; COMPUTE_PGM_RSRC2:TIDIG_COMP_CNT: 0
; COMPUTE_PGM_RSRC3_GFX90A:ACCUM_OFFSET: 0
; COMPUTE_PGM_RSRC3_GFX90A:TG_SPLIT: 0
	.section	.text._ZN7rocprim17ROCPRIM_400000_NS6detail17trampoline_kernelINS0_14default_configENS1_35radix_sort_onesweep_config_selectorIjNS0_10empty_typeEEEZNS1_34radix_sort_onesweep_global_offsetsIS3_Lb0EPjPS5_mNS0_19identity_decomposerEEE10hipError_tT1_T2_PT3_SE_jT4_jjP12ihipStream_tbEUlT_E0_NS1_11comp_targetILNS1_3genE0ELNS1_11target_archE4294967295ELNS1_3gpuE0ELNS1_3repE0EEENS1_52radix_sort_onesweep_histogram_config_static_selectorELNS0_4arch9wavefront6targetE1EEEvSC_,"axG",@progbits,_ZN7rocprim17ROCPRIM_400000_NS6detail17trampoline_kernelINS0_14default_configENS1_35radix_sort_onesweep_config_selectorIjNS0_10empty_typeEEEZNS1_34radix_sort_onesweep_global_offsetsIS3_Lb0EPjPS5_mNS0_19identity_decomposerEEE10hipError_tT1_T2_PT3_SE_jT4_jjP12ihipStream_tbEUlT_E0_NS1_11comp_targetILNS1_3genE0ELNS1_11target_archE4294967295ELNS1_3gpuE0ELNS1_3repE0EEENS1_52radix_sort_onesweep_histogram_config_static_selectorELNS0_4arch9wavefront6targetE1EEEvSC_,comdat
	.protected	_ZN7rocprim17ROCPRIM_400000_NS6detail17trampoline_kernelINS0_14default_configENS1_35radix_sort_onesweep_config_selectorIjNS0_10empty_typeEEEZNS1_34radix_sort_onesweep_global_offsetsIS3_Lb0EPjPS5_mNS0_19identity_decomposerEEE10hipError_tT1_T2_PT3_SE_jT4_jjP12ihipStream_tbEUlT_E0_NS1_11comp_targetILNS1_3genE0ELNS1_11target_archE4294967295ELNS1_3gpuE0ELNS1_3repE0EEENS1_52radix_sort_onesweep_histogram_config_static_selectorELNS0_4arch9wavefront6targetE1EEEvSC_ ; -- Begin function _ZN7rocprim17ROCPRIM_400000_NS6detail17trampoline_kernelINS0_14default_configENS1_35radix_sort_onesweep_config_selectorIjNS0_10empty_typeEEEZNS1_34radix_sort_onesweep_global_offsetsIS3_Lb0EPjPS5_mNS0_19identity_decomposerEEE10hipError_tT1_T2_PT3_SE_jT4_jjP12ihipStream_tbEUlT_E0_NS1_11comp_targetILNS1_3genE0ELNS1_11target_archE4294967295ELNS1_3gpuE0ELNS1_3repE0EEENS1_52radix_sort_onesweep_histogram_config_static_selectorELNS0_4arch9wavefront6targetE1EEEvSC_
	.globl	_ZN7rocprim17ROCPRIM_400000_NS6detail17trampoline_kernelINS0_14default_configENS1_35radix_sort_onesweep_config_selectorIjNS0_10empty_typeEEEZNS1_34radix_sort_onesweep_global_offsetsIS3_Lb0EPjPS5_mNS0_19identity_decomposerEEE10hipError_tT1_T2_PT3_SE_jT4_jjP12ihipStream_tbEUlT_E0_NS1_11comp_targetILNS1_3genE0ELNS1_11target_archE4294967295ELNS1_3gpuE0ELNS1_3repE0EEENS1_52radix_sort_onesweep_histogram_config_static_selectorELNS0_4arch9wavefront6targetE1EEEvSC_
	.p2align	8
	.type	_ZN7rocprim17ROCPRIM_400000_NS6detail17trampoline_kernelINS0_14default_configENS1_35radix_sort_onesweep_config_selectorIjNS0_10empty_typeEEEZNS1_34radix_sort_onesweep_global_offsetsIS3_Lb0EPjPS5_mNS0_19identity_decomposerEEE10hipError_tT1_T2_PT3_SE_jT4_jjP12ihipStream_tbEUlT_E0_NS1_11comp_targetILNS1_3genE0ELNS1_11target_archE4294967295ELNS1_3gpuE0ELNS1_3repE0EEENS1_52radix_sort_onesweep_histogram_config_static_selectorELNS0_4arch9wavefront6targetE1EEEvSC_,@function
_ZN7rocprim17ROCPRIM_400000_NS6detail17trampoline_kernelINS0_14default_configENS1_35radix_sort_onesweep_config_selectorIjNS0_10empty_typeEEEZNS1_34radix_sort_onesweep_global_offsetsIS3_Lb0EPjPS5_mNS0_19identity_decomposerEEE10hipError_tT1_T2_PT3_SE_jT4_jjP12ihipStream_tbEUlT_E0_NS1_11comp_targetILNS1_3genE0ELNS1_11target_archE4294967295ELNS1_3gpuE0ELNS1_3repE0EEENS1_52radix_sort_onesweep_histogram_config_static_selectorELNS0_4arch9wavefront6targetE1EEEvSC_: ; @_ZN7rocprim17ROCPRIM_400000_NS6detail17trampoline_kernelINS0_14default_configENS1_35radix_sort_onesweep_config_selectorIjNS0_10empty_typeEEEZNS1_34radix_sort_onesweep_global_offsetsIS3_Lb0EPjPS5_mNS0_19identity_decomposerEEE10hipError_tT1_T2_PT3_SE_jT4_jjP12ihipStream_tbEUlT_E0_NS1_11comp_targetILNS1_3genE0ELNS1_11target_archE4294967295ELNS1_3gpuE0ELNS1_3repE0EEENS1_52radix_sort_onesweep_histogram_config_static_selectorELNS0_4arch9wavefront6targetE1EEEvSC_
; %bb.0:
	.section	.rodata,"a",@progbits
	.p2align	6, 0x0
	.amdhsa_kernel _ZN7rocprim17ROCPRIM_400000_NS6detail17trampoline_kernelINS0_14default_configENS1_35radix_sort_onesweep_config_selectorIjNS0_10empty_typeEEEZNS1_34radix_sort_onesweep_global_offsetsIS3_Lb0EPjPS5_mNS0_19identity_decomposerEEE10hipError_tT1_T2_PT3_SE_jT4_jjP12ihipStream_tbEUlT_E0_NS1_11comp_targetILNS1_3genE0ELNS1_11target_archE4294967295ELNS1_3gpuE0ELNS1_3repE0EEENS1_52radix_sort_onesweep_histogram_config_static_selectorELNS0_4arch9wavefront6targetE1EEEvSC_
		.amdhsa_group_segment_fixed_size 0
		.amdhsa_private_segment_fixed_size 0
		.amdhsa_kernarg_size 8
		.amdhsa_user_sgpr_count 6
		.amdhsa_user_sgpr_private_segment_buffer 1
		.amdhsa_user_sgpr_dispatch_ptr 0
		.amdhsa_user_sgpr_queue_ptr 0
		.amdhsa_user_sgpr_kernarg_segment_ptr 1
		.amdhsa_user_sgpr_dispatch_id 0
		.amdhsa_user_sgpr_flat_scratch_init 0
		.amdhsa_user_sgpr_kernarg_preload_length 0
		.amdhsa_user_sgpr_kernarg_preload_offset 0
		.amdhsa_user_sgpr_private_segment_size 0
		.amdhsa_uses_dynamic_stack 0
		.amdhsa_system_sgpr_private_segment_wavefront_offset 0
		.amdhsa_system_sgpr_workgroup_id_x 1
		.amdhsa_system_sgpr_workgroup_id_y 0
		.amdhsa_system_sgpr_workgroup_id_z 0
		.amdhsa_system_sgpr_workgroup_info 0
		.amdhsa_system_vgpr_workitem_id 0
		.amdhsa_next_free_vgpr 1
		.amdhsa_next_free_sgpr 0
		.amdhsa_accum_offset 4
		.amdhsa_reserve_vcc 0
		.amdhsa_reserve_flat_scratch 0
		.amdhsa_float_round_mode_32 0
		.amdhsa_float_round_mode_16_64 0
		.amdhsa_float_denorm_mode_32 3
		.amdhsa_float_denorm_mode_16_64 3
		.amdhsa_dx10_clamp 1
		.amdhsa_ieee_mode 1
		.amdhsa_fp16_overflow 0
		.amdhsa_tg_split 0
		.amdhsa_exception_fp_ieee_invalid_op 0
		.amdhsa_exception_fp_denorm_src 0
		.amdhsa_exception_fp_ieee_div_zero 0
		.amdhsa_exception_fp_ieee_overflow 0
		.amdhsa_exception_fp_ieee_underflow 0
		.amdhsa_exception_fp_ieee_inexact 0
		.amdhsa_exception_int_div_zero 0
	.end_amdhsa_kernel
	.section	.text._ZN7rocprim17ROCPRIM_400000_NS6detail17trampoline_kernelINS0_14default_configENS1_35radix_sort_onesweep_config_selectorIjNS0_10empty_typeEEEZNS1_34radix_sort_onesweep_global_offsetsIS3_Lb0EPjPS5_mNS0_19identity_decomposerEEE10hipError_tT1_T2_PT3_SE_jT4_jjP12ihipStream_tbEUlT_E0_NS1_11comp_targetILNS1_3genE0ELNS1_11target_archE4294967295ELNS1_3gpuE0ELNS1_3repE0EEENS1_52radix_sort_onesweep_histogram_config_static_selectorELNS0_4arch9wavefront6targetE1EEEvSC_,"axG",@progbits,_ZN7rocprim17ROCPRIM_400000_NS6detail17trampoline_kernelINS0_14default_configENS1_35radix_sort_onesweep_config_selectorIjNS0_10empty_typeEEEZNS1_34radix_sort_onesweep_global_offsetsIS3_Lb0EPjPS5_mNS0_19identity_decomposerEEE10hipError_tT1_T2_PT3_SE_jT4_jjP12ihipStream_tbEUlT_E0_NS1_11comp_targetILNS1_3genE0ELNS1_11target_archE4294967295ELNS1_3gpuE0ELNS1_3repE0EEENS1_52radix_sort_onesweep_histogram_config_static_selectorELNS0_4arch9wavefront6targetE1EEEvSC_,comdat
.Lfunc_end751:
	.size	_ZN7rocprim17ROCPRIM_400000_NS6detail17trampoline_kernelINS0_14default_configENS1_35radix_sort_onesweep_config_selectorIjNS0_10empty_typeEEEZNS1_34radix_sort_onesweep_global_offsetsIS3_Lb0EPjPS5_mNS0_19identity_decomposerEEE10hipError_tT1_T2_PT3_SE_jT4_jjP12ihipStream_tbEUlT_E0_NS1_11comp_targetILNS1_3genE0ELNS1_11target_archE4294967295ELNS1_3gpuE0ELNS1_3repE0EEENS1_52radix_sort_onesweep_histogram_config_static_selectorELNS0_4arch9wavefront6targetE1EEEvSC_, .Lfunc_end751-_ZN7rocprim17ROCPRIM_400000_NS6detail17trampoline_kernelINS0_14default_configENS1_35radix_sort_onesweep_config_selectorIjNS0_10empty_typeEEEZNS1_34radix_sort_onesweep_global_offsetsIS3_Lb0EPjPS5_mNS0_19identity_decomposerEEE10hipError_tT1_T2_PT3_SE_jT4_jjP12ihipStream_tbEUlT_E0_NS1_11comp_targetILNS1_3genE0ELNS1_11target_archE4294967295ELNS1_3gpuE0ELNS1_3repE0EEENS1_52radix_sort_onesweep_histogram_config_static_selectorELNS0_4arch9wavefront6targetE1EEEvSC_
                                        ; -- End function
	.section	.AMDGPU.csdata,"",@progbits
; Kernel info:
; codeLenInByte = 0
; NumSgprs: 4
; NumVgprs: 0
; NumAgprs: 0
; TotalNumVgprs: 0
; ScratchSize: 0
; MemoryBound: 0
; FloatMode: 240
; IeeeMode: 1
; LDSByteSize: 0 bytes/workgroup (compile time only)
; SGPRBlocks: 0
; VGPRBlocks: 0
; NumSGPRsForWavesPerEU: 4
; NumVGPRsForWavesPerEU: 1
; AccumOffset: 4
; Occupancy: 8
; WaveLimiterHint : 0
; COMPUTE_PGM_RSRC2:SCRATCH_EN: 0
; COMPUTE_PGM_RSRC2:USER_SGPR: 6
; COMPUTE_PGM_RSRC2:TRAP_HANDLER: 0
; COMPUTE_PGM_RSRC2:TGID_X_EN: 1
; COMPUTE_PGM_RSRC2:TGID_Y_EN: 0
; COMPUTE_PGM_RSRC2:TGID_Z_EN: 0
; COMPUTE_PGM_RSRC2:TIDIG_COMP_CNT: 0
; COMPUTE_PGM_RSRC3_GFX90A:ACCUM_OFFSET: 0
; COMPUTE_PGM_RSRC3_GFX90A:TG_SPLIT: 0
	.section	.text._ZN7rocprim17ROCPRIM_400000_NS6detail17trampoline_kernelINS0_14default_configENS1_35radix_sort_onesweep_config_selectorIjNS0_10empty_typeEEEZNS1_34radix_sort_onesweep_global_offsetsIS3_Lb0EPjPS5_mNS0_19identity_decomposerEEE10hipError_tT1_T2_PT3_SE_jT4_jjP12ihipStream_tbEUlT_E0_NS1_11comp_targetILNS1_3genE6ELNS1_11target_archE950ELNS1_3gpuE13ELNS1_3repE0EEENS1_52radix_sort_onesweep_histogram_config_static_selectorELNS0_4arch9wavefront6targetE1EEEvSC_,"axG",@progbits,_ZN7rocprim17ROCPRIM_400000_NS6detail17trampoline_kernelINS0_14default_configENS1_35radix_sort_onesweep_config_selectorIjNS0_10empty_typeEEEZNS1_34radix_sort_onesweep_global_offsetsIS3_Lb0EPjPS5_mNS0_19identity_decomposerEEE10hipError_tT1_T2_PT3_SE_jT4_jjP12ihipStream_tbEUlT_E0_NS1_11comp_targetILNS1_3genE6ELNS1_11target_archE950ELNS1_3gpuE13ELNS1_3repE0EEENS1_52radix_sort_onesweep_histogram_config_static_selectorELNS0_4arch9wavefront6targetE1EEEvSC_,comdat
	.protected	_ZN7rocprim17ROCPRIM_400000_NS6detail17trampoline_kernelINS0_14default_configENS1_35radix_sort_onesweep_config_selectorIjNS0_10empty_typeEEEZNS1_34radix_sort_onesweep_global_offsetsIS3_Lb0EPjPS5_mNS0_19identity_decomposerEEE10hipError_tT1_T2_PT3_SE_jT4_jjP12ihipStream_tbEUlT_E0_NS1_11comp_targetILNS1_3genE6ELNS1_11target_archE950ELNS1_3gpuE13ELNS1_3repE0EEENS1_52radix_sort_onesweep_histogram_config_static_selectorELNS0_4arch9wavefront6targetE1EEEvSC_ ; -- Begin function _ZN7rocprim17ROCPRIM_400000_NS6detail17trampoline_kernelINS0_14default_configENS1_35radix_sort_onesweep_config_selectorIjNS0_10empty_typeEEEZNS1_34radix_sort_onesweep_global_offsetsIS3_Lb0EPjPS5_mNS0_19identity_decomposerEEE10hipError_tT1_T2_PT3_SE_jT4_jjP12ihipStream_tbEUlT_E0_NS1_11comp_targetILNS1_3genE6ELNS1_11target_archE950ELNS1_3gpuE13ELNS1_3repE0EEENS1_52radix_sort_onesweep_histogram_config_static_selectorELNS0_4arch9wavefront6targetE1EEEvSC_
	.globl	_ZN7rocprim17ROCPRIM_400000_NS6detail17trampoline_kernelINS0_14default_configENS1_35radix_sort_onesweep_config_selectorIjNS0_10empty_typeEEEZNS1_34radix_sort_onesweep_global_offsetsIS3_Lb0EPjPS5_mNS0_19identity_decomposerEEE10hipError_tT1_T2_PT3_SE_jT4_jjP12ihipStream_tbEUlT_E0_NS1_11comp_targetILNS1_3genE6ELNS1_11target_archE950ELNS1_3gpuE13ELNS1_3repE0EEENS1_52radix_sort_onesweep_histogram_config_static_selectorELNS0_4arch9wavefront6targetE1EEEvSC_
	.p2align	8
	.type	_ZN7rocprim17ROCPRIM_400000_NS6detail17trampoline_kernelINS0_14default_configENS1_35radix_sort_onesweep_config_selectorIjNS0_10empty_typeEEEZNS1_34radix_sort_onesweep_global_offsetsIS3_Lb0EPjPS5_mNS0_19identity_decomposerEEE10hipError_tT1_T2_PT3_SE_jT4_jjP12ihipStream_tbEUlT_E0_NS1_11comp_targetILNS1_3genE6ELNS1_11target_archE950ELNS1_3gpuE13ELNS1_3repE0EEENS1_52radix_sort_onesweep_histogram_config_static_selectorELNS0_4arch9wavefront6targetE1EEEvSC_,@function
_ZN7rocprim17ROCPRIM_400000_NS6detail17trampoline_kernelINS0_14default_configENS1_35radix_sort_onesweep_config_selectorIjNS0_10empty_typeEEEZNS1_34radix_sort_onesweep_global_offsetsIS3_Lb0EPjPS5_mNS0_19identity_decomposerEEE10hipError_tT1_T2_PT3_SE_jT4_jjP12ihipStream_tbEUlT_E0_NS1_11comp_targetILNS1_3genE6ELNS1_11target_archE950ELNS1_3gpuE13ELNS1_3repE0EEENS1_52radix_sort_onesweep_histogram_config_static_selectorELNS0_4arch9wavefront6targetE1EEEvSC_: ; @_ZN7rocprim17ROCPRIM_400000_NS6detail17trampoline_kernelINS0_14default_configENS1_35radix_sort_onesweep_config_selectorIjNS0_10empty_typeEEEZNS1_34radix_sort_onesweep_global_offsetsIS3_Lb0EPjPS5_mNS0_19identity_decomposerEEE10hipError_tT1_T2_PT3_SE_jT4_jjP12ihipStream_tbEUlT_E0_NS1_11comp_targetILNS1_3genE6ELNS1_11target_archE950ELNS1_3gpuE13ELNS1_3repE0EEENS1_52radix_sort_onesweep_histogram_config_static_selectorELNS0_4arch9wavefront6targetE1EEEvSC_
; %bb.0:
	.section	.rodata,"a",@progbits
	.p2align	6, 0x0
	.amdhsa_kernel _ZN7rocprim17ROCPRIM_400000_NS6detail17trampoline_kernelINS0_14default_configENS1_35radix_sort_onesweep_config_selectorIjNS0_10empty_typeEEEZNS1_34radix_sort_onesweep_global_offsetsIS3_Lb0EPjPS5_mNS0_19identity_decomposerEEE10hipError_tT1_T2_PT3_SE_jT4_jjP12ihipStream_tbEUlT_E0_NS1_11comp_targetILNS1_3genE6ELNS1_11target_archE950ELNS1_3gpuE13ELNS1_3repE0EEENS1_52radix_sort_onesweep_histogram_config_static_selectorELNS0_4arch9wavefront6targetE1EEEvSC_
		.amdhsa_group_segment_fixed_size 0
		.amdhsa_private_segment_fixed_size 0
		.amdhsa_kernarg_size 8
		.amdhsa_user_sgpr_count 6
		.amdhsa_user_sgpr_private_segment_buffer 1
		.amdhsa_user_sgpr_dispatch_ptr 0
		.amdhsa_user_sgpr_queue_ptr 0
		.amdhsa_user_sgpr_kernarg_segment_ptr 1
		.amdhsa_user_sgpr_dispatch_id 0
		.amdhsa_user_sgpr_flat_scratch_init 0
		.amdhsa_user_sgpr_kernarg_preload_length 0
		.amdhsa_user_sgpr_kernarg_preload_offset 0
		.amdhsa_user_sgpr_private_segment_size 0
		.amdhsa_uses_dynamic_stack 0
		.amdhsa_system_sgpr_private_segment_wavefront_offset 0
		.amdhsa_system_sgpr_workgroup_id_x 1
		.amdhsa_system_sgpr_workgroup_id_y 0
		.amdhsa_system_sgpr_workgroup_id_z 0
		.amdhsa_system_sgpr_workgroup_info 0
		.amdhsa_system_vgpr_workitem_id 0
		.amdhsa_next_free_vgpr 1
		.amdhsa_next_free_sgpr 0
		.amdhsa_accum_offset 4
		.amdhsa_reserve_vcc 0
		.amdhsa_reserve_flat_scratch 0
		.amdhsa_float_round_mode_32 0
		.amdhsa_float_round_mode_16_64 0
		.amdhsa_float_denorm_mode_32 3
		.amdhsa_float_denorm_mode_16_64 3
		.amdhsa_dx10_clamp 1
		.amdhsa_ieee_mode 1
		.amdhsa_fp16_overflow 0
		.amdhsa_tg_split 0
		.amdhsa_exception_fp_ieee_invalid_op 0
		.amdhsa_exception_fp_denorm_src 0
		.amdhsa_exception_fp_ieee_div_zero 0
		.amdhsa_exception_fp_ieee_overflow 0
		.amdhsa_exception_fp_ieee_underflow 0
		.amdhsa_exception_fp_ieee_inexact 0
		.amdhsa_exception_int_div_zero 0
	.end_amdhsa_kernel
	.section	.text._ZN7rocprim17ROCPRIM_400000_NS6detail17trampoline_kernelINS0_14default_configENS1_35radix_sort_onesweep_config_selectorIjNS0_10empty_typeEEEZNS1_34radix_sort_onesweep_global_offsetsIS3_Lb0EPjPS5_mNS0_19identity_decomposerEEE10hipError_tT1_T2_PT3_SE_jT4_jjP12ihipStream_tbEUlT_E0_NS1_11comp_targetILNS1_3genE6ELNS1_11target_archE950ELNS1_3gpuE13ELNS1_3repE0EEENS1_52radix_sort_onesweep_histogram_config_static_selectorELNS0_4arch9wavefront6targetE1EEEvSC_,"axG",@progbits,_ZN7rocprim17ROCPRIM_400000_NS6detail17trampoline_kernelINS0_14default_configENS1_35radix_sort_onesweep_config_selectorIjNS0_10empty_typeEEEZNS1_34radix_sort_onesweep_global_offsetsIS3_Lb0EPjPS5_mNS0_19identity_decomposerEEE10hipError_tT1_T2_PT3_SE_jT4_jjP12ihipStream_tbEUlT_E0_NS1_11comp_targetILNS1_3genE6ELNS1_11target_archE950ELNS1_3gpuE13ELNS1_3repE0EEENS1_52radix_sort_onesweep_histogram_config_static_selectorELNS0_4arch9wavefront6targetE1EEEvSC_,comdat
.Lfunc_end752:
	.size	_ZN7rocprim17ROCPRIM_400000_NS6detail17trampoline_kernelINS0_14default_configENS1_35radix_sort_onesweep_config_selectorIjNS0_10empty_typeEEEZNS1_34radix_sort_onesweep_global_offsetsIS3_Lb0EPjPS5_mNS0_19identity_decomposerEEE10hipError_tT1_T2_PT3_SE_jT4_jjP12ihipStream_tbEUlT_E0_NS1_11comp_targetILNS1_3genE6ELNS1_11target_archE950ELNS1_3gpuE13ELNS1_3repE0EEENS1_52radix_sort_onesweep_histogram_config_static_selectorELNS0_4arch9wavefront6targetE1EEEvSC_, .Lfunc_end752-_ZN7rocprim17ROCPRIM_400000_NS6detail17trampoline_kernelINS0_14default_configENS1_35radix_sort_onesweep_config_selectorIjNS0_10empty_typeEEEZNS1_34radix_sort_onesweep_global_offsetsIS3_Lb0EPjPS5_mNS0_19identity_decomposerEEE10hipError_tT1_T2_PT3_SE_jT4_jjP12ihipStream_tbEUlT_E0_NS1_11comp_targetILNS1_3genE6ELNS1_11target_archE950ELNS1_3gpuE13ELNS1_3repE0EEENS1_52radix_sort_onesweep_histogram_config_static_selectorELNS0_4arch9wavefront6targetE1EEEvSC_
                                        ; -- End function
	.section	.AMDGPU.csdata,"",@progbits
; Kernel info:
; codeLenInByte = 0
; NumSgprs: 4
; NumVgprs: 0
; NumAgprs: 0
; TotalNumVgprs: 0
; ScratchSize: 0
; MemoryBound: 0
; FloatMode: 240
; IeeeMode: 1
; LDSByteSize: 0 bytes/workgroup (compile time only)
; SGPRBlocks: 0
; VGPRBlocks: 0
; NumSGPRsForWavesPerEU: 4
; NumVGPRsForWavesPerEU: 1
; AccumOffset: 4
; Occupancy: 8
; WaveLimiterHint : 0
; COMPUTE_PGM_RSRC2:SCRATCH_EN: 0
; COMPUTE_PGM_RSRC2:USER_SGPR: 6
; COMPUTE_PGM_RSRC2:TRAP_HANDLER: 0
; COMPUTE_PGM_RSRC2:TGID_X_EN: 1
; COMPUTE_PGM_RSRC2:TGID_Y_EN: 0
; COMPUTE_PGM_RSRC2:TGID_Z_EN: 0
; COMPUTE_PGM_RSRC2:TIDIG_COMP_CNT: 0
; COMPUTE_PGM_RSRC3_GFX90A:ACCUM_OFFSET: 0
; COMPUTE_PGM_RSRC3_GFX90A:TG_SPLIT: 0
	.section	.text._ZN7rocprim17ROCPRIM_400000_NS6detail17trampoline_kernelINS0_14default_configENS1_35radix_sort_onesweep_config_selectorIjNS0_10empty_typeEEEZNS1_34radix_sort_onesweep_global_offsetsIS3_Lb0EPjPS5_mNS0_19identity_decomposerEEE10hipError_tT1_T2_PT3_SE_jT4_jjP12ihipStream_tbEUlT_E0_NS1_11comp_targetILNS1_3genE5ELNS1_11target_archE942ELNS1_3gpuE9ELNS1_3repE0EEENS1_52radix_sort_onesweep_histogram_config_static_selectorELNS0_4arch9wavefront6targetE1EEEvSC_,"axG",@progbits,_ZN7rocprim17ROCPRIM_400000_NS6detail17trampoline_kernelINS0_14default_configENS1_35radix_sort_onesweep_config_selectorIjNS0_10empty_typeEEEZNS1_34radix_sort_onesweep_global_offsetsIS3_Lb0EPjPS5_mNS0_19identity_decomposerEEE10hipError_tT1_T2_PT3_SE_jT4_jjP12ihipStream_tbEUlT_E0_NS1_11comp_targetILNS1_3genE5ELNS1_11target_archE942ELNS1_3gpuE9ELNS1_3repE0EEENS1_52radix_sort_onesweep_histogram_config_static_selectorELNS0_4arch9wavefront6targetE1EEEvSC_,comdat
	.protected	_ZN7rocprim17ROCPRIM_400000_NS6detail17trampoline_kernelINS0_14default_configENS1_35radix_sort_onesweep_config_selectorIjNS0_10empty_typeEEEZNS1_34radix_sort_onesweep_global_offsetsIS3_Lb0EPjPS5_mNS0_19identity_decomposerEEE10hipError_tT1_T2_PT3_SE_jT4_jjP12ihipStream_tbEUlT_E0_NS1_11comp_targetILNS1_3genE5ELNS1_11target_archE942ELNS1_3gpuE9ELNS1_3repE0EEENS1_52radix_sort_onesweep_histogram_config_static_selectorELNS0_4arch9wavefront6targetE1EEEvSC_ ; -- Begin function _ZN7rocprim17ROCPRIM_400000_NS6detail17trampoline_kernelINS0_14default_configENS1_35radix_sort_onesweep_config_selectorIjNS0_10empty_typeEEEZNS1_34radix_sort_onesweep_global_offsetsIS3_Lb0EPjPS5_mNS0_19identity_decomposerEEE10hipError_tT1_T2_PT3_SE_jT4_jjP12ihipStream_tbEUlT_E0_NS1_11comp_targetILNS1_3genE5ELNS1_11target_archE942ELNS1_3gpuE9ELNS1_3repE0EEENS1_52radix_sort_onesweep_histogram_config_static_selectorELNS0_4arch9wavefront6targetE1EEEvSC_
	.globl	_ZN7rocprim17ROCPRIM_400000_NS6detail17trampoline_kernelINS0_14default_configENS1_35radix_sort_onesweep_config_selectorIjNS0_10empty_typeEEEZNS1_34radix_sort_onesweep_global_offsetsIS3_Lb0EPjPS5_mNS0_19identity_decomposerEEE10hipError_tT1_T2_PT3_SE_jT4_jjP12ihipStream_tbEUlT_E0_NS1_11comp_targetILNS1_3genE5ELNS1_11target_archE942ELNS1_3gpuE9ELNS1_3repE0EEENS1_52radix_sort_onesweep_histogram_config_static_selectorELNS0_4arch9wavefront6targetE1EEEvSC_
	.p2align	8
	.type	_ZN7rocprim17ROCPRIM_400000_NS6detail17trampoline_kernelINS0_14default_configENS1_35radix_sort_onesweep_config_selectorIjNS0_10empty_typeEEEZNS1_34radix_sort_onesweep_global_offsetsIS3_Lb0EPjPS5_mNS0_19identity_decomposerEEE10hipError_tT1_T2_PT3_SE_jT4_jjP12ihipStream_tbEUlT_E0_NS1_11comp_targetILNS1_3genE5ELNS1_11target_archE942ELNS1_3gpuE9ELNS1_3repE0EEENS1_52radix_sort_onesweep_histogram_config_static_selectorELNS0_4arch9wavefront6targetE1EEEvSC_,@function
_ZN7rocprim17ROCPRIM_400000_NS6detail17trampoline_kernelINS0_14default_configENS1_35radix_sort_onesweep_config_selectorIjNS0_10empty_typeEEEZNS1_34radix_sort_onesweep_global_offsetsIS3_Lb0EPjPS5_mNS0_19identity_decomposerEEE10hipError_tT1_T2_PT3_SE_jT4_jjP12ihipStream_tbEUlT_E0_NS1_11comp_targetILNS1_3genE5ELNS1_11target_archE942ELNS1_3gpuE9ELNS1_3repE0EEENS1_52radix_sort_onesweep_histogram_config_static_selectorELNS0_4arch9wavefront6targetE1EEEvSC_: ; @_ZN7rocprim17ROCPRIM_400000_NS6detail17trampoline_kernelINS0_14default_configENS1_35radix_sort_onesweep_config_selectorIjNS0_10empty_typeEEEZNS1_34radix_sort_onesweep_global_offsetsIS3_Lb0EPjPS5_mNS0_19identity_decomposerEEE10hipError_tT1_T2_PT3_SE_jT4_jjP12ihipStream_tbEUlT_E0_NS1_11comp_targetILNS1_3genE5ELNS1_11target_archE942ELNS1_3gpuE9ELNS1_3repE0EEENS1_52radix_sort_onesweep_histogram_config_static_selectorELNS0_4arch9wavefront6targetE1EEEvSC_
; %bb.0:
	.section	.rodata,"a",@progbits
	.p2align	6, 0x0
	.amdhsa_kernel _ZN7rocprim17ROCPRIM_400000_NS6detail17trampoline_kernelINS0_14default_configENS1_35radix_sort_onesweep_config_selectorIjNS0_10empty_typeEEEZNS1_34radix_sort_onesweep_global_offsetsIS3_Lb0EPjPS5_mNS0_19identity_decomposerEEE10hipError_tT1_T2_PT3_SE_jT4_jjP12ihipStream_tbEUlT_E0_NS1_11comp_targetILNS1_3genE5ELNS1_11target_archE942ELNS1_3gpuE9ELNS1_3repE0EEENS1_52radix_sort_onesweep_histogram_config_static_selectorELNS0_4arch9wavefront6targetE1EEEvSC_
		.amdhsa_group_segment_fixed_size 0
		.amdhsa_private_segment_fixed_size 0
		.amdhsa_kernarg_size 8
		.amdhsa_user_sgpr_count 6
		.amdhsa_user_sgpr_private_segment_buffer 1
		.amdhsa_user_sgpr_dispatch_ptr 0
		.amdhsa_user_sgpr_queue_ptr 0
		.amdhsa_user_sgpr_kernarg_segment_ptr 1
		.amdhsa_user_sgpr_dispatch_id 0
		.amdhsa_user_sgpr_flat_scratch_init 0
		.amdhsa_user_sgpr_kernarg_preload_length 0
		.amdhsa_user_sgpr_kernarg_preload_offset 0
		.amdhsa_user_sgpr_private_segment_size 0
		.amdhsa_uses_dynamic_stack 0
		.amdhsa_system_sgpr_private_segment_wavefront_offset 0
		.amdhsa_system_sgpr_workgroup_id_x 1
		.amdhsa_system_sgpr_workgroup_id_y 0
		.amdhsa_system_sgpr_workgroup_id_z 0
		.amdhsa_system_sgpr_workgroup_info 0
		.amdhsa_system_vgpr_workitem_id 0
		.amdhsa_next_free_vgpr 1
		.amdhsa_next_free_sgpr 0
		.amdhsa_accum_offset 4
		.amdhsa_reserve_vcc 0
		.amdhsa_reserve_flat_scratch 0
		.amdhsa_float_round_mode_32 0
		.amdhsa_float_round_mode_16_64 0
		.amdhsa_float_denorm_mode_32 3
		.amdhsa_float_denorm_mode_16_64 3
		.amdhsa_dx10_clamp 1
		.amdhsa_ieee_mode 1
		.amdhsa_fp16_overflow 0
		.amdhsa_tg_split 0
		.amdhsa_exception_fp_ieee_invalid_op 0
		.amdhsa_exception_fp_denorm_src 0
		.amdhsa_exception_fp_ieee_div_zero 0
		.amdhsa_exception_fp_ieee_overflow 0
		.amdhsa_exception_fp_ieee_underflow 0
		.amdhsa_exception_fp_ieee_inexact 0
		.amdhsa_exception_int_div_zero 0
	.end_amdhsa_kernel
	.section	.text._ZN7rocprim17ROCPRIM_400000_NS6detail17trampoline_kernelINS0_14default_configENS1_35radix_sort_onesweep_config_selectorIjNS0_10empty_typeEEEZNS1_34radix_sort_onesweep_global_offsetsIS3_Lb0EPjPS5_mNS0_19identity_decomposerEEE10hipError_tT1_T2_PT3_SE_jT4_jjP12ihipStream_tbEUlT_E0_NS1_11comp_targetILNS1_3genE5ELNS1_11target_archE942ELNS1_3gpuE9ELNS1_3repE0EEENS1_52radix_sort_onesweep_histogram_config_static_selectorELNS0_4arch9wavefront6targetE1EEEvSC_,"axG",@progbits,_ZN7rocprim17ROCPRIM_400000_NS6detail17trampoline_kernelINS0_14default_configENS1_35radix_sort_onesweep_config_selectorIjNS0_10empty_typeEEEZNS1_34radix_sort_onesweep_global_offsetsIS3_Lb0EPjPS5_mNS0_19identity_decomposerEEE10hipError_tT1_T2_PT3_SE_jT4_jjP12ihipStream_tbEUlT_E0_NS1_11comp_targetILNS1_3genE5ELNS1_11target_archE942ELNS1_3gpuE9ELNS1_3repE0EEENS1_52radix_sort_onesweep_histogram_config_static_selectorELNS0_4arch9wavefront6targetE1EEEvSC_,comdat
.Lfunc_end753:
	.size	_ZN7rocprim17ROCPRIM_400000_NS6detail17trampoline_kernelINS0_14default_configENS1_35radix_sort_onesweep_config_selectorIjNS0_10empty_typeEEEZNS1_34radix_sort_onesweep_global_offsetsIS3_Lb0EPjPS5_mNS0_19identity_decomposerEEE10hipError_tT1_T2_PT3_SE_jT4_jjP12ihipStream_tbEUlT_E0_NS1_11comp_targetILNS1_3genE5ELNS1_11target_archE942ELNS1_3gpuE9ELNS1_3repE0EEENS1_52radix_sort_onesweep_histogram_config_static_selectorELNS0_4arch9wavefront6targetE1EEEvSC_, .Lfunc_end753-_ZN7rocprim17ROCPRIM_400000_NS6detail17trampoline_kernelINS0_14default_configENS1_35radix_sort_onesweep_config_selectorIjNS0_10empty_typeEEEZNS1_34radix_sort_onesweep_global_offsetsIS3_Lb0EPjPS5_mNS0_19identity_decomposerEEE10hipError_tT1_T2_PT3_SE_jT4_jjP12ihipStream_tbEUlT_E0_NS1_11comp_targetILNS1_3genE5ELNS1_11target_archE942ELNS1_3gpuE9ELNS1_3repE0EEENS1_52radix_sort_onesweep_histogram_config_static_selectorELNS0_4arch9wavefront6targetE1EEEvSC_
                                        ; -- End function
	.section	.AMDGPU.csdata,"",@progbits
; Kernel info:
; codeLenInByte = 0
; NumSgprs: 4
; NumVgprs: 0
; NumAgprs: 0
; TotalNumVgprs: 0
; ScratchSize: 0
; MemoryBound: 0
; FloatMode: 240
; IeeeMode: 1
; LDSByteSize: 0 bytes/workgroup (compile time only)
; SGPRBlocks: 0
; VGPRBlocks: 0
; NumSGPRsForWavesPerEU: 4
; NumVGPRsForWavesPerEU: 1
; AccumOffset: 4
; Occupancy: 8
; WaveLimiterHint : 0
; COMPUTE_PGM_RSRC2:SCRATCH_EN: 0
; COMPUTE_PGM_RSRC2:USER_SGPR: 6
; COMPUTE_PGM_RSRC2:TRAP_HANDLER: 0
; COMPUTE_PGM_RSRC2:TGID_X_EN: 1
; COMPUTE_PGM_RSRC2:TGID_Y_EN: 0
; COMPUTE_PGM_RSRC2:TGID_Z_EN: 0
; COMPUTE_PGM_RSRC2:TIDIG_COMP_CNT: 0
; COMPUTE_PGM_RSRC3_GFX90A:ACCUM_OFFSET: 0
; COMPUTE_PGM_RSRC3_GFX90A:TG_SPLIT: 0
	.section	.text._ZN7rocprim17ROCPRIM_400000_NS6detail17trampoline_kernelINS0_14default_configENS1_35radix_sort_onesweep_config_selectorIjNS0_10empty_typeEEEZNS1_34radix_sort_onesweep_global_offsetsIS3_Lb0EPjPS5_mNS0_19identity_decomposerEEE10hipError_tT1_T2_PT3_SE_jT4_jjP12ihipStream_tbEUlT_E0_NS1_11comp_targetILNS1_3genE2ELNS1_11target_archE906ELNS1_3gpuE6ELNS1_3repE0EEENS1_52radix_sort_onesweep_histogram_config_static_selectorELNS0_4arch9wavefront6targetE1EEEvSC_,"axG",@progbits,_ZN7rocprim17ROCPRIM_400000_NS6detail17trampoline_kernelINS0_14default_configENS1_35radix_sort_onesweep_config_selectorIjNS0_10empty_typeEEEZNS1_34radix_sort_onesweep_global_offsetsIS3_Lb0EPjPS5_mNS0_19identity_decomposerEEE10hipError_tT1_T2_PT3_SE_jT4_jjP12ihipStream_tbEUlT_E0_NS1_11comp_targetILNS1_3genE2ELNS1_11target_archE906ELNS1_3gpuE6ELNS1_3repE0EEENS1_52radix_sort_onesweep_histogram_config_static_selectorELNS0_4arch9wavefront6targetE1EEEvSC_,comdat
	.protected	_ZN7rocprim17ROCPRIM_400000_NS6detail17trampoline_kernelINS0_14default_configENS1_35radix_sort_onesweep_config_selectorIjNS0_10empty_typeEEEZNS1_34radix_sort_onesweep_global_offsetsIS3_Lb0EPjPS5_mNS0_19identity_decomposerEEE10hipError_tT1_T2_PT3_SE_jT4_jjP12ihipStream_tbEUlT_E0_NS1_11comp_targetILNS1_3genE2ELNS1_11target_archE906ELNS1_3gpuE6ELNS1_3repE0EEENS1_52radix_sort_onesweep_histogram_config_static_selectorELNS0_4arch9wavefront6targetE1EEEvSC_ ; -- Begin function _ZN7rocprim17ROCPRIM_400000_NS6detail17trampoline_kernelINS0_14default_configENS1_35radix_sort_onesweep_config_selectorIjNS0_10empty_typeEEEZNS1_34radix_sort_onesweep_global_offsetsIS3_Lb0EPjPS5_mNS0_19identity_decomposerEEE10hipError_tT1_T2_PT3_SE_jT4_jjP12ihipStream_tbEUlT_E0_NS1_11comp_targetILNS1_3genE2ELNS1_11target_archE906ELNS1_3gpuE6ELNS1_3repE0EEENS1_52radix_sort_onesweep_histogram_config_static_selectorELNS0_4arch9wavefront6targetE1EEEvSC_
	.globl	_ZN7rocprim17ROCPRIM_400000_NS6detail17trampoline_kernelINS0_14default_configENS1_35radix_sort_onesweep_config_selectorIjNS0_10empty_typeEEEZNS1_34radix_sort_onesweep_global_offsetsIS3_Lb0EPjPS5_mNS0_19identity_decomposerEEE10hipError_tT1_T2_PT3_SE_jT4_jjP12ihipStream_tbEUlT_E0_NS1_11comp_targetILNS1_3genE2ELNS1_11target_archE906ELNS1_3gpuE6ELNS1_3repE0EEENS1_52radix_sort_onesweep_histogram_config_static_selectorELNS0_4arch9wavefront6targetE1EEEvSC_
	.p2align	8
	.type	_ZN7rocprim17ROCPRIM_400000_NS6detail17trampoline_kernelINS0_14default_configENS1_35radix_sort_onesweep_config_selectorIjNS0_10empty_typeEEEZNS1_34radix_sort_onesweep_global_offsetsIS3_Lb0EPjPS5_mNS0_19identity_decomposerEEE10hipError_tT1_T2_PT3_SE_jT4_jjP12ihipStream_tbEUlT_E0_NS1_11comp_targetILNS1_3genE2ELNS1_11target_archE906ELNS1_3gpuE6ELNS1_3repE0EEENS1_52radix_sort_onesweep_histogram_config_static_selectorELNS0_4arch9wavefront6targetE1EEEvSC_,@function
_ZN7rocprim17ROCPRIM_400000_NS6detail17trampoline_kernelINS0_14default_configENS1_35radix_sort_onesweep_config_selectorIjNS0_10empty_typeEEEZNS1_34radix_sort_onesweep_global_offsetsIS3_Lb0EPjPS5_mNS0_19identity_decomposerEEE10hipError_tT1_T2_PT3_SE_jT4_jjP12ihipStream_tbEUlT_E0_NS1_11comp_targetILNS1_3genE2ELNS1_11target_archE906ELNS1_3gpuE6ELNS1_3repE0EEENS1_52radix_sort_onesweep_histogram_config_static_selectorELNS0_4arch9wavefront6targetE1EEEvSC_: ; @_ZN7rocprim17ROCPRIM_400000_NS6detail17trampoline_kernelINS0_14default_configENS1_35radix_sort_onesweep_config_selectorIjNS0_10empty_typeEEEZNS1_34radix_sort_onesweep_global_offsetsIS3_Lb0EPjPS5_mNS0_19identity_decomposerEEE10hipError_tT1_T2_PT3_SE_jT4_jjP12ihipStream_tbEUlT_E0_NS1_11comp_targetILNS1_3genE2ELNS1_11target_archE906ELNS1_3gpuE6ELNS1_3repE0EEENS1_52radix_sort_onesweep_histogram_config_static_selectorELNS0_4arch9wavefront6targetE1EEEvSC_
; %bb.0:
	.section	.rodata,"a",@progbits
	.p2align	6, 0x0
	.amdhsa_kernel _ZN7rocprim17ROCPRIM_400000_NS6detail17trampoline_kernelINS0_14default_configENS1_35radix_sort_onesweep_config_selectorIjNS0_10empty_typeEEEZNS1_34radix_sort_onesweep_global_offsetsIS3_Lb0EPjPS5_mNS0_19identity_decomposerEEE10hipError_tT1_T2_PT3_SE_jT4_jjP12ihipStream_tbEUlT_E0_NS1_11comp_targetILNS1_3genE2ELNS1_11target_archE906ELNS1_3gpuE6ELNS1_3repE0EEENS1_52radix_sort_onesweep_histogram_config_static_selectorELNS0_4arch9wavefront6targetE1EEEvSC_
		.amdhsa_group_segment_fixed_size 0
		.amdhsa_private_segment_fixed_size 0
		.amdhsa_kernarg_size 8
		.amdhsa_user_sgpr_count 6
		.amdhsa_user_sgpr_private_segment_buffer 1
		.amdhsa_user_sgpr_dispatch_ptr 0
		.amdhsa_user_sgpr_queue_ptr 0
		.amdhsa_user_sgpr_kernarg_segment_ptr 1
		.amdhsa_user_sgpr_dispatch_id 0
		.amdhsa_user_sgpr_flat_scratch_init 0
		.amdhsa_user_sgpr_kernarg_preload_length 0
		.amdhsa_user_sgpr_kernarg_preload_offset 0
		.amdhsa_user_sgpr_private_segment_size 0
		.amdhsa_uses_dynamic_stack 0
		.amdhsa_system_sgpr_private_segment_wavefront_offset 0
		.amdhsa_system_sgpr_workgroup_id_x 1
		.amdhsa_system_sgpr_workgroup_id_y 0
		.amdhsa_system_sgpr_workgroup_id_z 0
		.amdhsa_system_sgpr_workgroup_info 0
		.amdhsa_system_vgpr_workitem_id 0
		.amdhsa_next_free_vgpr 1
		.amdhsa_next_free_sgpr 0
		.amdhsa_accum_offset 4
		.amdhsa_reserve_vcc 0
		.amdhsa_reserve_flat_scratch 0
		.amdhsa_float_round_mode_32 0
		.amdhsa_float_round_mode_16_64 0
		.amdhsa_float_denorm_mode_32 3
		.amdhsa_float_denorm_mode_16_64 3
		.amdhsa_dx10_clamp 1
		.amdhsa_ieee_mode 1
		.amdhsa_fp16_overflow 0
		.amdhsa_tg_split 0
		.amdhsa_exception_fp_ieee_invalid_op 0
		.amdhsa_exception_fp_denorm_src 0
		.amdhsa_exception_fp_ieee_div_zero 0
		.amdhsa_exception_fp_ieee_overflow 0
		.amdhsa_exception_fp_ieee_underflow 0
		.amdhsa_exception_fp_ieee_inexact 0
		.amdhsa_exception_int_div_zero 0
	.end_amdhsa_kernel
	.section	.text._ZN7rocprim17ROCPRIM_400000_NS6detail17trampoline_kernelINS0_14default_configENS1_35radix_sort_onesweep_config_selectorIjNS0_10empty_typeEEEZNS1_34radix_sort_onesweep_global_offsetsIS3_Lb0EPjPS5_mNS0_19identity_decomposerEEE10hipError_tT1_T2_PT3_SE_jT4_jjP12ihipStream_tbEUlT_E0_NS1_11comp_targetILNS1_3genE2ELNS1_11target_archE906ELNS1_3gpuE6ELNS1_3repE0EEENS1_52radix_sort_onesweep_histogram_config_static_selectorELNS0_4arch9wavefront6targetE1EEEvSC_,"axG",@progbits,_ZN7rocprim17ROCPRIM_400000_NS6detail17trampoline_kernelINS0_14default_configENS1_35radix_sort_onesweep_config_selectorIjNS0_10empty_typeEEEZNS1_34radix_sort_onesweep_global_offsetsIS3_Lb0EPjPS5_mNS0_19identity_decomposerEEE10hipError_tT1_T2_PT3_SE_jT4_jjP12ihipStream_tbEUlT_E0_NS1_11comp_targetILNS1_3genE2ELNS1_11target_archE906ELNS1_3gpuE6ELNS1_3repE0EEENS1_52radix_sort_onesweep_histogram_config_static_selectorELNS0_4arch9wavefront6targetE1EEEvSC_,comdat
.Lfunc_end754:
	.size	_ZN7rocprim17ROCPRIM_400000_NS6detail17trampoline_kernelINS0_14default_configENS1_35radix_sort_onesweep_config_selectorIjNS0_10empty_typeEEEZNS1_34radix_sort_onesweep_global_offsetsIS3_Lb0EPjPS5_mNS0_19identity_decomposerEEE10hipError_tT1_T2_PT3_SE_jT4_jjP12ihipStream_tbEUlT_E0_NS1_11comp_targetILNS1_3genE2ELNS1_11target_archE906ELNS1_3gpuE6ELNS1_3repE0EEENS1_52radix_sort_onesweep_histogram_config_static_selectorELNS0_4arch9wavefront6targetE1EEEvSC_, .Lfunc_end754-_ZN7rocprim17ROCPRIM_400000_NS6detail17trampoline_kernelINS0_14default_configENS1_35radix_sort_onesweep_config_selectorIjNS0_10empty_typeEEEZNS1_34radix_sort_onesweep_global_offsetsIS3_Lb0EPjPS5_mNS0_19identity_decomposerEEE10hipError_tT1_T2_PT3_SE_jT4_jjP12ihipStream_tbEUlT_E0_NS1_11comp_targetILNS1_3genE2ELNS1_11target_archE906ELNS1_3gpuE6ELNS1_3repE0EEENS1_52radix_sort_onesweep_histogram_config_static_selectorELNS0_4arch9wavefront6targetE1EEEvSC_
                                        ; -- End function
	.section	.AMDGPU.csdata,"",@progbits
; Kernel info:
; codeLenInByte = 0
; NumSgprs: 4
; NumVgprs: 0
; NumAgprs: 0
; TotalNumVgprs: 0
; ScratchSize: 0
; MemoryBound: 0
; FloatMode: 240
; IeeeMode: 1
; LDSByteSize: 0 bytes/workgroup (compile time only)
; SGPRBlocks: 0
; VGPRBlocks: 0
; NumSGPRsForWavesPerEU: 4
; NumVGPRsForWavesPerEU: 1
; AccumOffset: 4
; Occupancy: 8
; WaveLimiterHint : 0
; COMPUTE_PGM_RSRC2:SCRATCH_EN: 0
; COMPUTE_PGM_RSRC2:USER_SGPR: 6
; COMPUTE_PGM_RSRC2:TRAP_HANDLER: 0
; COMPUTE_PGM_RSRC2:TGID_X_EN: 1
; COMPUTE_PGM_RSRC2:TGID_Y_EN: 0
; COMPUTE_PGM_RSRC2:TGID_Z_EN: 0
; COMPUTE_PGM_RSRC2:TIDIG_COMP_CNT: 0
; COMPUTE_PGM_RSRC3_GFX90A:ACCUM_OFFSET: 0
; COMPUTE_PGM_RSRC3_GFX90A:TG_SPLIT: 0
	.section	.text._ZN7rocprim17ROCPRIM_400000_NS6detail17trampoline_kernelINS0_14default_configENS1_35radix_sort_onesweep_config_selectorIjNS0_10empty_typeEEEZNS1_34radix_sort_onesweep_global_offsetsIS3_Lb0EPjPS5_mNS0_19identity_decomposerEEE10hipError_tT1_T2_PT3_SE_jT4_jjP12ihipStream_tbEUlT_E0_NS1_11comp_targetILNS1_3genE4ELNS1_11target_archE910ELNS1_3gpuE8ELNS1_3repE0EEENS1_52radix_sort_onesweep_histogram_config_static_selectorELNS0_4arch9wavefront6targetE1EEEvSC_,"axG",@progbits,_ZN7rocprim17ROCPRIM_400000_NS6detail17trampoline_kernelINS0_14default_configENS1_35radix_sort_onesweep_config_selectorIjNS0_10empty_typeEEEZNS1_34radix_sort_onesweep_global_offsetsIS3_Lb0EPjPS5_mNS0_19identity_decomposerEEE10hipError_tT1_T2_PT3_SE_jT4_jjP12ihipStream_tbEUlT_E0_NS1_11comp_targetILNS1_3genE4ELNS1_11target_archE910ELNS1_3gpuE8ELNS1_3repE0EEENS1_52radix_sort_onesweep_histogram_config_static_selectorELNS0_4arch9wavefront6targetE1EEEvSC_,comdat
	.protected	_ZN7rocprim17ROCPRIM_400000_NS6detail17trampoline_kernelINS0_14default_configENS1_35radix_sort_onesweep_config_selectorIjNS0_10empty_typeEEEZNS1_34radix_sort_onesweep_global_offsetsIS3_Lb0EPjPS5_mNS0_19identity_decomposerEEE10hipError_tT1_T2_PT3_SE_jT4_jjP12ihipStream_tbEUlT_E0_NS1_11comp_targetILNS1_3genE4ELNS1_11target_archE910ELNS1_3gpuE8ELNS1_3repE0EEENS1_52radix_sort_onesweep_histogram_config_static_selectorELNS0_4arch9wavefront6targetE1EEEvSC_ ; -- Begin function _ZN7rocprim17ROCPRIM_400000_NS6detail17trampoline_kernelINS0_14default_configENS1_35radix_sort_onesweep_config_selectorIjNS0_10empty_typeEEEZNS1_34radix_sort_onesweep_global_offsetsIS3_Lb0EPjPS5_mNS0_19identity_decomposerEEE10hipError_tT1_T2_PT3_SE_jT4_jjP12ihipStream_tbEUlT_E0_NS1_11comp_targetILNS1_3genE4ELNS1_11target_archE910ELNS1_3gpuE8ELNS1_3repE0EEENS1_52radix_sort_onesweep_histogram_config_static_selectorELNS0_4arch9wavefront6targetE1EEEvSC_
	.globl	_ZN7rocprim17ROCPRIM_400000_NS6detail17trampoline_kernelINS0_14default_configENS1_35radix_sort_onesweep_config_selectorIjNS0_10empty_typeEEEZNS1_34radix_sort_onesweep_global_offsetsIS3_Lb0EPjPS5_mNS0_19identity_decomposerEEE10hipError_tT1_T2_PT3_SE_jT4_jjP12ihipStream_tbEUlT_E0_NS1_11comp_targetILNS1_3genE4ELNS1_11target_archE910ELNS1_3gpuE8ELNS1_3repE0EEENS1_52radix_sort_onesweep_histogram_config_static_selectorELNS0_4arch9wavefront6targetE1EEEvSC_
	.p2align	8
	.type	_ZN7rocprim17ROCPRIM_400000_NS6detail17trampoline_kernelINS0_14default_configENS1_35radix_sort_onesweep_config_selectorIjNS0_10empty_typeEEEZNS1_34radix_sort_onesweep_global_offsetsIS3_Lb0EPjPS5_mNS0_19identity_decomposerEEE10hipError_tT1_T2_PT3_SE_jT4_jjP12ihipStream_tbEUlT_E0_NS1_11comp_targetILNS1_3genE4ELNS1_11target_archE910ELNS1_3gpuE8ELNS1_3repE0EEENS1_52radix_sort_onesweep_histogram_config_static_selectorELNS0_4arch9wavefront6targetE1EEEvSC_,@function
_ZN7rocprim17ROCPRIM_400000_NS6detail17trampoline_kernelINS0_14default_configENS1_35radix_sort_onesweep_config_selectorIjNS0_10empty_typeEEEZNS1_34radix_sort_onesweep_global_offsetsIS3_Lb0EPjPS5_mNS0_19identity_decomposerEEE10hipError_tT1_T2_PT3_SE_jT4_jjP12ihipStream_tbEUlT_E0_NS1_11comp_targetILNS1_3genE4ELNS1_11target_archE910ELNS1_3gpuE8ELNS1_3repE0EEENS1_52radix_sort_onesweep_histogram_config_static_selectorELNS0_4arch9wavefront6targetE1EEEvSC_: ; @_ZN7rocprim17ROCPRIM_400000_NS6detail17trampoline_kernelINS0_14default_configENS1_35radix_sort_onesweep_config_selectorIjNS0_10empty_typeEEEZNS1_34radix_sort_onesweep_global_offsetsIS3_Lb0EPjPS5_mNS0_19identity_decomposerEEE10hipError_tT1_T2_PT3_SE_jT4_jjP12ihipStream_tbEUlT_E0_NS1_11comp_targetILNS1_3genE4ELNS1_11target_archE910ELNS1_3gpuE8ELNS1_3repE0EEENS1_52radix_sort_onesweep_histogram_config_static_selectorELNS0_4arch9wavefront6targetE1EEEvSC_
; %bb.0:
	s_load_dwordx2 s[0:1], s[4:5], 0x0
	s_lshl_b32 s2, s6, 8
	s_mov_b32 s3, 0
	s_lshl_b64 s[2:3], s[2:3], 3
	v_lshlrev_b32_e32 v5, 3, v0
	s_waitcnt lgkmcnt(0)
	s_add_u32 s14, s0, s2
	s_movk_i32 s0, 0x100
	s_addc_u32 s15, s1, s3
	v_cmp_gt_u32_e32 vcc, s0, v0
                                        ; implicit-def: $vgpr2_vgpr3
	s_and_saveexec_b64 s[0:1], vcc
	s_cbranch_execz .LBB755_2
; %bb.1:
	global_load_dwordx2 v[2:3], v5, s[14:15]
.LBB755_2:
	s_or_b64 exec, exec, s[0:1]
	s_waitcnt vmcnt(0)
	v_mov_b32_dpp v4, v2 row_shr:1 row_mask:0xf bank_mask:0xf
	v_add_co_u32_e64 v4, s[0:1], v2, v4
	v_mbcnt_lo_u32_b32 v1, -1, 0
	v_addc_co_u32_e64 v8, s[0:1], 0, v3, s[0:1]
	v_mbcnt_hi_u32_b32 v6, -1, v1
	v_mov_b32_dpp v7, v3 row_shr:1 row_mask:0xf bank_mask:0xf
	v_add_co_u32_e64 v9, s[0:1], 0, v4
	v_and_b32_e32 v1, 15, v6
	v_addc_co_u32_e64 v7, s[0:1], v7, v8, s[0:1]
	v_cmp_eq_u32_e64 s[0:1], 0, v1
	v_cndmask_b32_e64 v4, v4, v2, s[0:1]
	v_cndmask_b32_e64 v7, v7, v3, s[0:1]
	v_cndmask_b32_e64 v8, v9, v2, s[0:1]
	v_mov_b32_dpp v9, v4 row_shr:2 row_mask:0xf bank_mask:0xf
	v_mov_b32_dpp v10, v7 row_shr:2 row_mask:0xf bank_mask:0xf
	v_add_co_u32_e64 v9, s[2:3], v9, v8
	v_cmp_lt_u32_e64 s[4:5], 1, v1
	v_addc_co_u32_e64 v10, s[2:3], v10, v7, s[2:3]
	v_cndmask_b32_e64 v4, v4, v9, s[4:5]
	v_cndmask_b32_e64 v7, v7, v10, s[4:5]
	v_cndmask_b32_e64 v8, v8, v9, s[4:5]
	v_mov_b32_dpp v9, v4 row_shr:4 row_mask:0xf bank_mask:0xf
	v_mov_b32_dpp v10, v7 row_shr:4 row_mask:0xf bank_mask:0xf
	v_add_co_u32_e64 v9, s[2:3], v9, v8
	v_cmp_lt_u32_e64 s[6:7], 3, v1
	v_addc_co_u32_e64 v10, s[2:3], v10, v7, s[2:3]
	v_cndmask_b32_e64 v4, v4, v9, s[6:7]
	v_cndmask_b32_e64 v7, v7, v10, s[6:7]
	v_cndmask_b32_e64 v8, v8, v9, s[6:7]
	v_mov_b32_dpp v9, v4 row_shr:8 row_mask:0xf bank_mask:0xf
	v_mov_b32_dpp v10, v7 row_shr:8 row_mask:0xf bank_mask:0xf
	v_add_co_u32_e64 v9, s[2:3], v9, v8
	v_cmp_lt_u32_e64 s[8:9], 7, v1
	v_addc_co_u32_e64 v10, s[2:3], v10, v7, s[2:3]
	v_cndmask_b32_e64 v11, v4, v9, s[8:9]
	v_cndmask_b32_e64 v1, v7, v10, s[8:9]
	;; [unrolled: 1-line block ×3, first 2 shown]
	v_mov_b32_dpp v7, v11 row_bcast:15 row_mask:0xf bank_mask:0xf
	v_mov_b32_dpp v8, v1 row_bcast:15 row_mask:0xf bank_mask:0xf
	v_and_b32_e32 v10, 16, v6
	v_add_co_u32_e64 v7, s[2:3], v7, v4
	v_addc_co_u32_e64 v9, s[2:3], v8, v1, s[2:3]
	v_cmp_eq_u32_e64 s[10:11], 0, v10
	v_cndmask_b32_e64 v10, v9, v1, s[10:11]
	v_cndmask_b32_e64 v8, v7, v11, s[10:11]
	v_cmp_eq_u32_e64 s[2:3], 0, v6
	v_mov_b32_dpp v10, v10 row_bcast:31 row_mask:0xf bank_mask:0xf
	v_mov_b32_dpp v8, v8 row_bcast:31 row_mask:0xf bank_mask:0xf
	v_cmp_ne_u32_e64 s[12:13], 0, v6
	s_and_saveexec_b64 s[16:17], s[12:13]
; %bb.3:
	v_cndmask_b32_e64 v1, v9, v1, s[10:11]
	v_cndmask_b32_e64 v2, v7, v4, s[10:11]
	v_cmp_lt_u32_e64 s[10:11], 31, v6
	v_cndmask_b32_e64 v4, 0, v8, s[10:11]
	v_cndmask_b32_e64 v3, 0, v10, s[10:11]
	v_add_co_u32_e64 v2, s[10:11], v4, v2
	v_addc_co_u32_e64 v3, s[10:11], v3, v1, s[10:11]
; %bb.4:
	s_or_b64 exec, exec, s[16:17]
	v_and_b32_e32 v1, 63, v0
	v_lshrrev_b32_e32 v4, 6, v0
	v_cmp_eq_u32_e64 s[10:11], 63, v1
	s_and_saveexec_b64 s[12:13], s[10:11]
	s_cbranch_execz .LBB755_6
; %bb.5:
	v_lshlrev_b32_e32 v1, 3, v4
	ds_write_b64 v1, v[2:3]
.LBB755_6:
	s_or_b64 exec, exec, s[12:13]
	v_cmp_gt_u32_e64 s[10:11], 16, v0
	s_waitcnt lgkmcnt(0)
	s_barrier
	s_and_saveexec_b64 s[12:13], s[10:11]
	s_cbranch_execz .LBB755_8
; %bb.7:
	ds_read_b64 v[8:9], v5
	s_waitcnt lgkmcnt(0)
	s_nop 0
	v_mov_b32_dpp v1, v8 row_shr:1 row_mask:0xf bank_mask:0xf
	v_add_co_u32_e64 v1, s[10:11], v8, v1
	v_addc_co_u32_e64 v10, s[10:11], 0, v9, s[10:11]
	v_mov_b32_dpp v7, v9 row_shr:1 row_mask:0xf bank_mask:0xf
	v_add_co_u32_e64 v11, s[10:11], 0, v1
	v_addc_co_u32_e64 v7, s[10:11], v7, v10, s[10:11]
	v_cndmask_b32_e64 v1, v1, v8, s[0:1]
	v_cndmask_b32_e64 v7, v7, v9, s[0:1]
	v_cndmask_b32_e64 v10, v11, v8, s[0:1]
	v_mov_b32_dpp v11, v1 row_shr:2 row_mask:0xf bank_mask:0xf
	v_mov_b32_dpp v12, v7 row_shr:2 row_mask:0xf bank_mask:0xf
	v_add_co_u32_e64 v11, s[10:11], v11, v10
	v_addc_co_u32_e64 v12, s[10:11], v12, v7, s[10:11]
	v_cndmask_b32_e64 v1, v1, v11, s[4:5]
	v_cndmask_b32_e64 v7, v7, v12, s[4:5]
	v_cndmask_b32_e64 v10, v10, v11, s[4:5]
	v_mov_b32_dpp v11, v1 row_shr:4 row_mask:0xf bank_mask:0xf
	;; [unrolled: 7-line block ×3, first 2 shown]
	v_mov_b32_dpp v12, v7 row_shr:8 row_mask:0xf bank_mask:0xf
	v_cndmask_b32_e64 v1, 0, v1, s[8:9]
	v_cndmask_b32_e64 v11, 0, v12, s[8:9]
	v_add_co_u32_e64 v1, s[4:5], v1, v10
	v_addc_co_u32_e64 v7, s[4:5], v11, v7, s[4:5]
	v_cndmask_b32_e64 v9, v7, v9, s[0:1]
	v_cndmask_b32_e64 v8, v1, v8, s[0:1]
	ds_write_b64 v5, v[8:9]
.LBB755_8:
	s_or_b64 exec, exec, s[12:13]
	v_cmp_lt_u32_e64 s[0:1], 63, v0
	v_pk_mov_b32 v[0:1], 0, 0
	s_waitcnt lgkmcnt(0)
	s_barrier
	s_and_saveexec_b64 s[4:5], s[0:1]
	s_cbranch_execz .LBB755_10
; %bb.9:
	v_lshl_add_u32 v0, v4, 3, -8
	ds_read_b64 v[0:1], v0
.LBB755_10:
	s_or_b64 exec, exec, s[4:5]
	s_waitcnt lgkmcnt(0)
	v_add_co_u32_e64 v2, s[0:1], v0, v2
	v_addc_co_u32_e64 v3, s[0:1], v1, v3, s[0:1]
	v_add_u32_e32 v4, -1, v6
	v_and_b32_e32 v7, 64, v6
	v_cmp_lt_i32_e64 s[0:1], v4, v7
	v_cndmask_b32_e64 v4, v4, v6, s[0:1]
	v_lshlrev_b32_e32 v4, 2, v4
	ds_bpermute_b32 v2, v4, v2
	ds_bpermute_b32 v3, v4, v3
	s_and_saveexec_b64 s[0:1], vcc
	s_cbranch_execz .LBB755_12
; %bb.11:
	s_waitcnt lgkmcnt(0)
	v_cndmask_b32_e64 v1, v3, v1, s[2:3]
	v_cndmask_b32_e64 v0, v2, v0, s[2:3]
	global_store_dwordx2 v5, v[0:1], s[14:15]
.LBB755_12:
	s_endpgm
	.section	.rodata,"a",@progbits
	.p2align	6, 0x0
	.amdhsa_kernel _ZN7rocprim17ROCPRIM_400000_NS6detail17trampoline_kernelINS0_14default_configENS1_35radix_sort_onesweep_config_selectorIjNS0_10empty_typeEEEZNS1_34radix_sort_onesweep_global_offsetsIS3_Lb0EPjPS5_mNS0_19identity_decomposerEEE10hipError_tT1_T2_PT3_SE_jT4_jjP12ihipStream_tbEUlT_E0_NS1_11comp_targetILNS1_3genE4ELNS1_11target_archE910ELNS1_3gpuE8ELNS1_3repE0EEENS1_52radix_sort_onesweep_histogram_config_static_selectorELNS0_4arch9wavefront6targetE1EEEvSC_
		.amdhsa_group_segment_fixed_size 128
		.amdhsa_private_segment_fixed_size 0
		.amdhsa_kernarg_size 8
		.amdhsa_user_sgpr_count 6
		.amdhsa_user_sgpr_private_segment_buffer 1
		.amdhsa_user_sgpr_dispatch_ptr 0
		.amdhsa_user_sgpr_queue_ptr 0
		.amdhsa_user_sgpr_kernarg_segment_ptr 1
		.amdhsa_user_sgpr_dispatch_id 0
		.amdhsa_user_sgpr_flat_scratch_init 0
		.amdhsa_user_sgpr_kernarg_preload_length 0
		.amdhsa_user_sgpr_kernarg_preload_offset 0
		.amdhsa_user_sgpr_private_segment_size 0
		.amdhsa_uses_dynamic_stack 0
		.amdhsa_system_sgpr_private_segment_wavefront_offset 0
		.amdhsa_system_sgpr_workgroup_id_x 1
		.amdhsa_system_sgpr_workgroup_id_y 0
		.amdhsa_system_sgpr_workgroup_id_z 0
		.amdhsa_system_sgpr_workgroup_info 0
		.amdhsa_system_vgpr_workitem_id 0
		.amdhsa_next_free_vgpr 13
		.amdhsa_next_free_sgpr 18
		.amdhsa_accum_offset 16
		.amdhsa_reserve_vcc 1
		.amdhsa_reserve_flat_scratch 0
		.amdhsa_float_round_mode_32 0
		.amdhsa_float_round_mode_16_64 0
		.amdhsa_float_denorm_mode_32 3
		.amdhsa_float_denorm_mode_16_64 3
		.amdhsa_dx10_clamp 1
		.amdhsa_ieee_mode 1
		.amdhsa_fp16_overflow 0
		.amdhsa_tg_split 0
		.amdhsa_exception_fp_ieee_invalid_op 0
		.amdhsa_exception_fp_denorm_src 0
		.amdhsa_exception_fp_ieee_div_zero 0
		.amdhsa_exception_fp_ieee_overflow 0
		.amdhsa_exception_fp_ieee_underflow 0
		.amdhsa_exception_fp_ieee_inexact 0
		.amdhsa_exception_int_div_zero 0
	.end_amdhsa_kernel
	.section	.text._ZN7rocprim17ROCPRIM_400000_NS6detail17trampoline_kernelINS0_14default_configENS1_35radix_sort_onesweep_config_selectorIjNS0_10empty_typeEEEZNS1_34radix_sort_onesweep_global_offsetsIS3_Lb0EPjPS5_mNS0_19identity_decomposerEEE10hipError_tT1_T2_PT3_SE_jT4_jjP12ihipStream_tbEUlT_E0_NS1_11comp_targetILNS1_3genE4ELNS1_11target_archE910ELNS1_3gpuE8ELNS1_3repE0EEENS1_52radix_sort_onesweep_histogram_config_static_selectorELNS0_4arch9wavefront6targetE1EEEvSC_,"axG",@progbits,_ZN7rocprim17ROCPRIM_400000_NS6detail17trampoline_kernelINS0_14default_configENS1_35radix_sort_onesweep_config_selectorIjNS0_10empty_typeEEEZNS1_34radix_sort_onesweep_global_offsetsIS3_Lb0EPjPS5_mNS0_19identity_decomposerEEE10hipError_tT1_T2_PT3_SE_jT4_jjP12ihipStream_tbEUlT_E0_NS1_11comp_targetILNS1_3genE4ELNS1_11target_archE910ELNS1_3gpuE8ELNS1_3repE0EEENS1_52radix_sort_onesweep_histogram_config_static_selectorELNS0_4arch9wavefront6targetE1EEEvSC_,comdat
.Lfunc_end755:
	.size	_ZN7rocprim17ROCPRIM_400000_NS6detail17trampoline_kernelINS0_14default_configENS1_35radix_sort_onesweep_config_selectorIjNS0_10empty_typeEEEZNS1_34radix_sort_onesweep_global_offsetsIS3_Lb0EPjPS5_mNS0_19identity_decomposerEEE10hipError_tT1_T2_PT3_SE_jT4_jjP12ihipStream_tbEUlT_E0_NS1_11comp_targetILNS1_3genE4ELNS1_11target_archE910ELNS1_3gpuE8ELNS1_3repE0EEENS1_52radix_sort_onesweep_histogram_config_static_selectorELNS0_4arch9wavefront6targetE1EEEvSC_, .Lfunc_end755-_ZN7rocprim17ROCPRIM_400000_NS6detail17trampoline_kernelINS0_14default_configENS1_35radix_sort_onesweep_config_selectorIjNS0_10empty_typeEEEZNS1_34radix_sort_onesweep_global_offsetsIS3_Lb0EPjPS5_mNS0_19identity_decomposerEEE10hipError_tT1_T2_PT3_SE_jT4_jjP12ihipStream_tbEUlT_E0_NS1_11comp_targetILNS1_3genE4ELNS1_11target_archE910ELNS1_3gpuE8ELNS1_3repE0EEENS1_52radix_sort_onesweep_histogram_config_static_selectorELNS0_4arch9wavefront6targetE1EEEvSC_
                                        ; -- End function
	.section	.AMDGPU.csdata,"",@progbits
; Kernel info:
; codeLenInByte = 1012
; NumSgprs: 22
; NumVgprs: 13
; NumAgprs: 0
; TotalNumVgprs: 13
; ScratchSize: 0
; MemoryBound: 0
; FloatMode: 240
; IeeeMode: 1
; LDSByteSize: 128 bytes/workgroup (compile time only)
; SGPRBlocks: 2
; VGPRBlocks: 1
; NumSGPRsForWavesPerEU: 22
; NumVGPRsForWavesPerEU: 13
; AccumOffset: 16
; Occupancy: 8
; WaveLimiterHint : 0
; COMPUTE_PGM_RSRC2:SCRATCH_EN: 0
; COMPUTE_PGM_RSRC2:USER_SGPR: 6
; COMPUTE_PGM_RSRC2:TRAP_HANDLER: 0
; COMPUTE_PGM_RSRC2:TGID_X_EN: 1
; COMPUTE_PGM_RSRC2:TGID_Y_EN: 0
; COMPUTE_PGM_RSRC2:TGID_Z_EN: 0
; COMPUTE_PGM_RSRC2:TIDIG_COMP_CNT: 0
; COMPUTE_PGM_RSRC3_GFX90A:ACCUM_OFFSET: 3
; COMPUTE_PGM_RSRC3_GFX90A:TG_SPLIT: 0
	.section	.text._ZN7rocprim17ROCPRIM_400000_NS6detail17trampoline_kernelINS0_14default_configENS1_35radix_sort_onesweep_config_selectorIjNS0_10empty_typeEEEZNS1_34radix_sort_onesweep_global_offsetsIS3_Lb0EPjPS5_mNS0_19identity_decomposerEEE10hipError_tT1_T2_PT3_SE_jT4_jjP12ihipStream_tbEUlT_E0_NS1_11comp_targetILNS1_3genE3ELNS1_11target_archE908ELNS1_3gpuE7ELNS1_3repE0EEENS1_52radix_sort_onesweep_histogram_config_static_selectorELNS0_4arch9wavefront6targetE1EEEvSC_,"axG",@progbits,_ZN7rocprim17ROCPRIM_400000_NS6detail17trampoline_kernelINS0_14default_configENS1_35radix_sort_onesweep_config_selectorIjNS0_10empty_typeEEEZNS1_34radix_sort_onesweep_global_offsetsIS3_Lb0EPjPS5_mNS0_19identity_decomposerEEE10hipError_tT1_T2_PT3_SE_jT4_jjP12ihipStream_tbEUlT_E0_NS1_11comp_targetILNS1_3genE3ELNS1_11target_archE908ELNS1_3gpuE7ELNS1_3repE0EEENS1_52radix_sort_onesweep_histogram_config_static_selectorELNS0_4arch9wavefront6targetE1EEEvSC_,comdat
	.protected	_ZN7rocprim17ROCPRIM_400000_NS6detail17trampoline_kernelINS0_14default_configENS1_35radix_sort_onesweep_config_selectorIjNS0_10empty_typeEEEZNS1_34radix_sort_onesweep_global_offsetsIS3_Lb0EPjPS5_mNS0_19identity_decomposerEEE10hipError_tT1_T2_PT3_SE_jT4_jjP12ihipStream_tbEUlT_E0_NS1_11comp_targetILNS1_3genE3ELNS1_11target_archE908ELNS1_3gpuE7ELNS1_3repE0EEENS1_52radix_sort_onesweep_histogram_config_static_selectorELNS0_4arch9wavefront6targetE1EEEvSC_ ; -- Begin function _ZN7rocprim17ROCPRIM_400000_NS6detail17trampoline_kernelINS0_14default_configENS1_35radix_sort_onesweep_config_selectorIjNS0_10empty_typeEEEZNS1_34radix_sort_onesweep_global_offsetsIS3_Lb0EPjPS5_mNS0_19identity_decomposerEEE10hipError_tT1_T2_PT3_SE_jT4_jjP12ihipStream_tbEUlT_E0_NS1_11comp_targetILNS1_3genE3ELNS1_11target_archE908ELNS1_3gpuE7ELNS1_3repE0EEENS1_52radix_sort_onesweep_histogram_config_static_selectorELNS0_4arch9wavefront6targetE1EEEvSC_
	.globl	_ZN7rocprim17ROCPRIM_400000_NS6detail17trampoline_kernelINS0_14default_configENS1_35radix_sort_onesweep_config_selectorIjNS0_10empty_typeEEEZNS1_34radix_sort_onesweep_global_offsetsIS3_Lb0EPjPS5_mNS0_19identity_decomposerEEE10hipError_tT1_T2_PT3_SE_jT4_jjP12ihipStream_tbEUlT_E0_NS1_11comp_targetILNS1_3genE3ELNS1_11target_archE908ELNS1_3gpuE7ELNS1_3repE0EEENS1_52radix_sort_onesweep_histogram_config_static_selectorELNS0_4arch9wavefront6targetE1EEEvSC_
	.p2align	8
	.type	_ZN7rocprim17ROCPRIM_400000_NS6detail17trampoline_kernelINS0_14default_configENS1_35radix_sort_onesweep_config_selectorIjNS0_10empty_typeEEEZNS1_34radix_sort_onesweep_global_offsetsIS3_Lb0EPjPS5_mNS0_19identity_decomposerEEE10hipError_tT1_T2_PT3_SE_jT4_jjP12ihipStream_tbEUlT_E0_NS1_11comp_targetILNS1_3genE3ELNS1_11target_archE908ELNS1_3gpuE7ELNS1_3repE0EEENS1_52radix_sort_onesweep_histogram_config_static_selectorELNS0_4arch9wavefront6targetE1EEEvSC_,@function
_ZN7rocprim17ROCPRIM_400000_NS6detail17trampoline_kernelINS0_14default_configENS1_35radix_sort_onesweep_config_selectorIjNS0_10empty_typeEEEZNS1_34radix_sort_onesweep_global_offsetsIS3_Lb0EPjPS5_mNS0_19identity_decomposerEEE10hipError_tT1_T2_PT3_SE_jT4_jjP12ihipStream_tbEUlT_E0_NS1_11comp_targetILNS1_3genE3ELNS1_11target_archE908ELNS1_3gpuE7ELNS1_3repE0EEENS1_52radix_sort_onesweep_histogram_config_static_selectorELNS0_4arch9wavefront6targetE1EEEvSC_: ; @_ZN7rocprim17ROCPRIM_400000_NS6detail17trampoline_kernelINS0_14default_configENS1_35radix_sort_onesweep_config_selectorIjNS0_10empty_typeEEEZNS1_34radix_sort_onesweep_global_offsetsIS3_Lb0EPjPS5_mNS0_19identity_decomposerEEE10hipError_tT1_T2_PT3_SE_jT4_jjP12ihipStream_tbEUlT_E0_NS1_11comp_targetILNS1_3genE3ELNS1_11target_archE908ELNS1_3gpuE7ELNS1_3repE0EEENS1_52radix_sort_onesweep_histogram_config_static_selectorELNS0_4arch9wavefront6targetE1EEEvSC_
; %bb.0:
	.section	.rodata,"a",@progbits
	.p2align	6, 0x0
	.amdhsa_kernel _ZN7rocprim17ROCPRIM_400000_NS6detail17trampoline_kernelINS0_14default_configENS1_35radix_sort_onesweep_config_selectorIjNS0_10empty_typeEEEZNS1_34radix_sort_onesweep_global_offsetsIS3_Lb0EPjPS5_mNS0_19identity_decomposerEEE10hipError_tT1_T2_PT3_SE_jT4_jjP12ihipStream_tbEUlT_E0_NS1_11comp_targetILNS1_3genE3ELNS1_11target_archE908ELNS1_3gpuE7ELNS1_3repE0EEENS1_52radix_sort_onesweep_histogram_config_static_selectorELNS0_4arch9wavefront6targetE1EEEvSC_
		.amdhsa_group_segment_fixed_size 0
		.amdhsa_private_segment_fixed_size 0
		.amdhsa_kernarg_size 8
		.amdhsa_user_sgpr_count 6
		.amdhsa_user_sgpr_private_segment_buffer 1
		.amdhsa_user_sgpr_dispatch_ptr 0
		.amdhsa_user_sgpr_queue_ptr 0
		.amdhsa_user_sgpr_kernarg_segment_ptr 1
		.amdhsa_user_sgpr_dispatch_id 0
		.amdhsa_user_sgpr_flat_scratch_init 0
		.amdhsa_user_sgpr_kernarg_preload_length 0
		.amdhsa_user_sgpr_kernarg_preload_offset 0
		.amdhsa_user_sgpr_private_segment_size 0
		.amdhsa_uses_dynamic_stack 0
		.amdhsa_system_sgpr_private_segment_wavefront_offset 0
		.amdhsa_system_sgpr_workgroup_id_x 1
		.amdhsa_system_sgpr_workgroup_id_y 0
		.amdhsa_system_sgpr_workgroup_id_z 0
		.amdhsa_system_sgpr_workgroup_info 0
		.amdhsa_system_vgpr_workitem_id 0
		.amdhsa_next_free_vgpr 1
		.amdhsa_next_free_sgpr 0
		.amdhsa_accum_offset 4
		.amdhsa_reserve_vcc 0
		.amdhsa_reserve_flat_scratch 0
		.amdhsa_float_round_mode_32 0
		.amdhsa_float_round_mode_16_64 0
		.amdhsa_float_denorm_mode_32 3
		.amdhsa_float_denorm_mode_16_64 3
		.amdhsa_dx10_clamp 1
		.amdhsa_ieee_mode 1
		.amdhsa_fp16_overflow 0
		.amdhsa_tg_split 0
		.amdhsa_exception_fp_ieee_invalid_op 0
		.amdhsa_exception_fp_denorm_src 0
		.amdhsa_exception_fp_ieee_div_zero 0
		.amdhsa_exception_fp_ieee_overflow 0
		.amdhsa_exception_fp_ieee_underflow 0
		.amdhsa_exception_fp_ieee_inexact 0
		.amdhsa_exception_int_div_zero 0
	.end_amdhsa_kernel
	.section	.text._ZN7rocprim17ROCPRIM_400000_NS6detail17trampoline_kernelINS0_14default_configENS1_35radix_sort_onesweep_config_selectorIjNS0_10empty_typeEEEZNS1_34radix_sort_onesweep_global_offsetsIS3_Lb0EPjPS5_mNS0_19identity_decomposerEEE10hipError_tT1_T2_PT3_SE_jT4_jjP12ihipStream_tbEUlT_E0_NS1_11comp_targetILNS1_3genE3ELNS1_11target_archE908ELNS1_3gpuE7ELNS1_3repE0EEENS1_52radix_sort_onesweep_histogram_config_static_selectorELNS0_4arch9wavefront6targetE1EEEvSC_,"axG",@progbits,_ZN7rocprim17ROCPRIM_400000_NS6detail17trampoline_kernelINS0_14default_configENS1_35radix_sort_onesweep_config_selectorIjNS0_10empty_typeEEEZNS1_34radix_sort_onesweep_global_offsetsIS3_Lb0EPjPS5_mNS0_19identity_decomposerEEE10hipError_tT1_T2_PT3_SE_jT4_jjP12ihipStream_tbEUlT_E0_NS1_11comp_targetILNS1_3genE3ELNS1_11target_archE908ELNS1_3gpuE7ELNS1_3repE0EEENS1_52radix_sort_onesweep_histogram_config_static_selectorELNS0_4arch9wavefront6targetE1EEEvSC_,comdat
.Lfunc_end756:
	.size	_ZN7rocprim17ROCPRIM_400000_NS6detail17trampoline_kernelINS0_14default_configENS1_35radix_sort_onesweep_config_selectorIjNS0_10empty_typeEEEZNS1_34radix_sort_onesweep_global_offsetsIS3_Lb0EPjPS5_mNS0_19identity_decomposerEEE10hipError_tT1_T2_PT3_SE_jT4_jjP12ihipStream_tbEUlT_E0_NS1_11comp_targetILNS1_3genE3ELNS1_11target_archE908ELNS1_3gpuE7ELNS1_3repE0EEENS1_52radix_sort_onesweep_histogram_config_static_selectorELNS0_4arch9wavefront6targetE1EEEvSC_, .Lfunc_end756-_ZN7rocprim17ROCPRIM_400000_NS6detail17trampoline_kernelINS0_14default_configENS1_35radix_sort_onesweep_config_selectorIjNS0_10empty_typeEEEZNS1_34radix_sort_onesweep_global_offsetsIS3_Lb0EPjPS5_mNS0_19identity_decomposerEEE10hipError_tT1_T2_PT3_SE_jT4_jjP12ihipStream_tbEUlT_E0_NS1_11comp_targetILNS1_3genE3ELNS1_11target_archE908ELNS1_3gpuE7ELNS1_3repE0EEENS1_52radix_sort_onesweep_histogram_config_static_selectorELNS0_4arch9wavefront6targetE1EEEvSC_
                                        ; -- End function
	.section	.AMDGPU.csdata,"",@progbits
; Kernel info:
; codeLenInByte = 0
; NumSgprs: 4
; NumVgprs: 0
; NumAgprs: 0
; TotalNumVgprs: 0
; ScratchSize: 0
; MemoryBound: 0
; FloatMode: 240
; IeeeMode: 1
; LDSByteSize: 0 bytes/workgroup (compile time only)
; SGPRBlocks: 0
; VGPRBlocks: 0
; NumSGPRsForWavesPerEU: 4
; NumVGPRsForWavesPerEU: 1
; AccumOffset: 4
; Occupancy: 8
; WaveLimiterHint : 0
; COMPUTE_PGM_RSRC2:SCRATCH_EN: 0
; COMPUTE_PGM_RSRC2:USER_SGPR: 6
; COMPUTE_PGM_RSRC2:TRAP_HANDLER: 0
; COMPUTE_PGM_RSRC2:TGID_X_EN: 1
; COMPUTE_PGM_RSRC2:TGID_Y_EN: 0
; COMPUTE_PGM_RSRC2:TGID_Z_EN: 0
; COMPUTE_PGM_RSRC2:TIDIG_COMP_CNT: 0
; COMPUTE_PGM_RSRC3_GFX90A:ACCUM_OFFSET: 0
; COMPUTE_PGM_RSRC3_GFX90A:TG_SPLIT: 0
	.section	.text._ZN7rocprim17ROCPRIM_400000_NS6detail17trampoline_kernelINS0_14default_configENS1_35radix_sort_onesweep_config_selectorIjNS0_10empty_typeEEEZNS1_34radix_sort_onesweep_global_offsetsIS3_Lb0EPjPS5_mNS0_19identity_decomposerEEE10hipError_tT1_T2_PT3_SE_jT4_jjP12ihipStream_tbEUlT_E0_NS1_11comp_targetILNS1_3genE10ELNS1_11target_archE1201ELNS1_3gpuE5ELNS1_3repE0EEENS1_52radix_sort_onesweep_histogram_config_static_selectorELNS0_4arch9wavefront6targetE1EEEvSC_,"axG",@progbits,_ZN7rocprim17ROCPRIM_400000_NS6detail17trampoline_kernelINS0_14default_configENS1_35radix_sort_onesweep_config_selectorIjNS0_10empty_typeEEEZNS1_34radix_sort_onesweep_global_offsetsIS3_Lb0EPjPS5_mNS0_19identity_decomposerEEE10hipError_tT1_T2_PT3_SE_jT4_jjP12ihipStream_tbEUlT_E0_NS1_11comp_targetILNS1_3genE10ELNS1_11target_archE1201ELNS1_3gpuE5ELNS1_3repE0EEENS1_52radix_sort_onesweep_histogram_config_static_selectorELNS0_4arch9wavefront6targetE1EEEvSC_,comdat
	.protected	_ZN7rocprim17ROCPRIM_400000_NS6detail17trampoline_kernelINS0_14default_configENS1_35radix_sort_onesweep_config_selectorIjNS0_10empty_typeEEEZNS1_34radix_sort_onesweep_global_offsetsIS3_Lb0EPjPS5_mNS0_19identity_decomposerEEE10hipError_tT1_T2_PT3_SE_jT4_jjP12ihipStream_tbEUlT_E0_NS1_11comp_targetILNS1_3genE10ELNS1_11target_archE1201ELNS1_3gpuE5ELNS1_3repE0EEENS1_52radix_sort_onesweep_histogram_config_static_selectorELNS0_4arch9wavefront6targetE1EEEvSC_ ; -- Begin function _ZN7rocprim17ROCPRIM_400000_NS6detail17trampoline_kernelINS0_14default_configENS1_35radix_sort_onesweep_config_selectorIjNS0_10empty_typeEEEZNS1_34radix_sort_onesweep_global_offsetsIS3_Lb0EPjPS5_mNS0_19identity_decomposerEEE10hipError_tT1_T2_PT3_SE_jT4_jjP12ihipStream_tbEUlT_E0_NS1_11comp_targetILNS1_3genE10ELNS1_11target_archE1201ELNS1_3gpuE5ELNS1_3repE0EEENS1_52radix_sort_onesweep_histogram_config_static_selectorELNS0_4arch9wavefront6targetE1EEEvSC_
	.globl	_ZN7rocprim17ROCPRIM_400000_NS6detail17trampoline_kernelINS0_14default_configENS1_35radix_sort_onesweep_config_selectorIjNS0_10empty_typeEEEZNS1_34radix_sort_onesweep_global_offsetsIS3_Lb0EPjPS5_mNS0_19identity_decomposerEEE10hipError_tT1_T2_PT3_SE_jT4_jjP12ihipStream_tbEUlT_E0_NS1_11comp_targetILNS1_3genE10ELNS1_11target_archE1201ELNS1_3gpuE5ELNS1_3repE0EEENS1_52radix_sort_onesweep_histogram_config_static_selectorELNS0_4arch9wavefront6targetE1EEEvSC_
	.p2align	8
	.type	_ZN7rocprim17ROCPRIM_400000_NS6detail17trampoline_kernelINS0_14default_configENS1_35radix_sort_onesweep_config_selectorIjNS0_10empty_typeEEEZNS1_34radix_sort_onesweep_global_offsetsIS3_Lb0EPjPS5_mNS0_19identity_decomposerEEE10hipError_tT1_T2_PT3_SE_jT4_jjP12ihipStream_tbEUlT_E0_NS1_11comp_targetILNS1_3genE10ELNS1_11target_archE1201ELNS1_3gpuE5ELNS1_3repE0EEENS1_52radix_sort_onesweep_histogram_config_static_selectorELNS0_4arch9wavefront6targetE1EEEvSC_,@function
_ZN7rocprim17ROCPRIM_400000_NS6detail17trampoline_kernelINS0_14default_configENS1_35radix_sort_onesweep_config_selectorIjNS0_10empty_typeEEEZNS1_34radix_sort_onesweep_global_offsetsIS3_Lb0EPjPS5_mNS0_19identity_decomposerEEE10hipError_tT1_T2_PT3_SE_jT4_jjP12ihipStream_tbEUlT_E0_NS1_11comp_targetILNS1_3genE10ELNS1_11target_archE1201ELNS1_3gpuE5ELNS1_3repE0EEENS1_52radix_sort_onesweep_histogram_config_static_selectorELNS0_4arch9wavefront6targetE1EEEvSC_: ; @_ZN7rocprim17ROCPRIM_400000_NS6detail17trampoline_kernelINS0_14default_configENS1_35radix_sort_onesweep_config_selectorIjNS0_10empty_typeEEEZNS1_34radix_sort_onesweep_global_offsetsIS3_Lb0EPjPS5_mNS0_19identity_decomposerEEE10hipError_tT1_T2_PT3_SE_jT4_jjP12ihipStream_tbEUlT_E0_NS1_11comp_targetILNS1_3genE10ELNS1_11target_archE1201ELNS1_3gpuE5ELNS1_3repE0EEENS1_52radix_sort_onesweep_histogram_config_static_selectorELNS0_4arch9wavefront6targetE1EEEvSC_
; %bb.0:
	.section	.rodata,"a",@progbits
	.p2align	6, 0x0
	.amdhsa_kernel _ZN7rocprim17ROCPRIM_400000_NS6detail17trampoline_kernelINS0_14default_configENS1_35radix_sort_onesweep_config_selectorIjNS0_10empty_typeEEEZNS1_34radix_sort_onesweep_global_offsetsIS3_Lb0EPjPS5_mNS0_19identity_decomposerEEE10hipError_tT1_T2_PT3_SE_jT4_jjP12ihipStream_tbEUlT_E0_NS1_11comp_targetILNS1_3genE10ELNS1_11target_archE1201ELNS1_3gpuE5ELNS1_3repE0EEENS1_52radix_sort_onesweep_histogram_config_static_selectorELNS0_4arch9wavefront6targetE1EEEvSC_
		.amdhsa_group_segment_fixed_size 0
		.amdhsa_private_segment_fixed_size 0
		.amdhsa_kernarg_size 8
		.amdhsa_user_sgpr_count 6
		.amdhsa_user_sgpr_private_segment_buffer 1
		.amdhsa_user_sgpr_dispatch_ptr 0
		.amdhsa_user_sgpr_queue_ptr 0
		.amdhsa_user_sgpr_kernarg_segment_ptr 1
		.amdhsa_user_sgpr_dispatch_id 0
		.amdhsa_user_sgpr_flat_scratch_init 0
		.amdhsa_user_sgpr_kernarg_preload_length 0
		.amdhsa_user_sgpr_kernarg_preload_offset 0
		.amdhsa_user_sgpr_private_segment_size 0
		.amdhsa_uses_dynamic_stack 0
		.amdhsa_system_sgpr_private_segment_wavefront_offset 0
		.amdhsa_system_sgpr_workgroup_id_x 1
		.amdhsa_system_sgpr_workgroup_id_y 0
		.amdhsa_system_sgpr_workgroup_id_z 0
		.amdhsa_system_sgpr_workgroup_info 0
		.amdhsa_system_vgpr_workitem_id 0
		.amdhsa_next_free_vgpr 1
		.amdhsa_next_free_sgpr 0
		.amdhsa_accum_offset 4
		.amdhsa_reserve_vcc 0
		.amdhsa_reserve_flat_scratch 0
		.amdhsa_float_round_mode_32 0
		.amdhsa_float_round_mode_16_64 0
		.amdhsa_float_denorm_mode_32 3
		.amdhsa_float_denorm_mode_16_64 3
		.amdhsa_dx10_clamp 1
		.amdhsa_ieee_mode 1
		.amdhsa_fp16_overflow 0
		.amdhsa_tg_split 0
		.amdhsa_exception_fp_ieee_invalid_op 0
		.amdhsa_exception_fp_denorm_src 0
		.amdhsa_exception_fp_ieee_div_zero 0
		.amdhsa_exception_fp_ieee_overflow 0
		.amdhsa_exception_fp_ieee_underflow 0
		.amdhsa_exception_fp_ieee_inexact 0
		.amdhsa_exception_int_div_zero 0
	.end_amdhsa_kernel
	.section	.text._ZN7rocprim17ROCPRIM_400000_NS6detail17trampoline_kernelINS0_14default_configENS1_35radix_sort_onesweep_config_selectorIjNS0_10empty_typeEEEZNS1_34radix_sort_onesweep_global_offsetsIS3_Lb0EPjPS5_mNS0_19identity_decomposerEEE10hipError_tT1_T2_PT3_SE_jT4_jjP12ihipStream_tbEUlT_E0_NS1_11comp_targetILNS1_3genE10ELNS1_11target_archE1201ELNS1_3gpuE5ELNS1_3repE0EEENS1_52radix_sort_onesweep_histogram_config_static_selectorELNS0_4arch9wavefront6targetE1EEEvSC_,"axG",@progbits,_ZN7rocprim17ROCPRIM_400000_NS6detail17trampoline_kernelINS0_14default_configENS1_35radix_sort_onesweep_config_selectorIjNS0_10empty_typeEEEZNS1_34radix_sort_onesweep_global_offsetsIS3_Lb0EPjPS5_mNS0_19identity_decomposerEEE10hipError_tT1_T2_PT3_SE_jT4_jjP12ihipStream_tbEUlT_E0_NS1_11comp_targetILNS1_3genE10ELNS1_11target_archE1201ELNS1_3gpuE5ELNS1_3repE0EEENS1_52radix_sort_onesweep_histogram_config_static_selectorELNS0_4arch9wavefront6targetE1EEEvSC_,comdat
.Lfunc_end757:
	.size	_ZN7rocprim17ROCPRIM_400000_NS6detail17trampoline_kernelINS0_14default_configENS1_35radix_sort_onesweep_config_selectorIjNS0_10empty_typeEEEZNS1_34radix_sort_onesweep_global_offsetsIS3_Lb0EPjPS5_mNS0_19identity_decomposerEEE10hipError_tT1_T2_PT3_SE_jT4_jjP12ihipStream_tbEUlT_E0_NS1_11comp_targetILNS1_3genE10ELNS1_11target_archE1201ELNS1_3gpuE5ELNS1_3repE0EEENS1_52radix_sort_onesweep_histogram_config_static_selectorELNS0_4arch9wavefront6targetE1EEEvSC_, .Lfunc_end757-_ZN7rocprim17ROCPRIM_400000_NS6detail17trampoline_kernelINS0_14default_configENS1_35radix_sort_onesweep_config_selectorIjNS0_10empty_typeEEEZNS1_34radix_sort_onesweep_global_offsetsIS3_Lb0EPjPS5_mNS0_19identity_decomposerEEE10hipError_tT1_T2_PT3_SE_jT4_jjP12ihipStream_tbEUlT_E0_NS1_11comp_targetILNS1_3genE10ELNS1_11target_archE1201ELNS1_3gpuE5ELNS1_3repE0EEENS1_52radix_sort_onesweep_histogram_config_static_selectorELNS0_4arch9wavefront6targetE1EEEvSC_
                                        ; -- End function
	.section	.AMDGPU.csdata,"",@progbits
; Kernel info:
; codeLenInByte = 0
; NumSgprs: 4
; NumVgprs: 0
; NumAgprs: 0
; TotalNumVgprs: 0
; ScratchSize: 0
; MemoryBound: 0
; FloatMode: 240
; IeeeMode: 1
; LDSByteSize: 0 bytes/workgroup (compile time only)
; SGPRBlocks: 0
; VGPRBlocks: 0
; NumSGPRsForWavesPerEU: 4
; NumVGPRsForWavesPerEU: 1
; AccumOffset: 4
; Occupancy: 8
; WaveLimiterHint : 0
; COMPUTE_PGM_RSRC2:SCRATCH_EN: 0
; COMPUTE_PGM_RSRC2:USER_SGPR: 6
; COMPUTE_PGM_RSRC2:TRAP_HANDLER: 0
; COMPUTE_PGM_RSRC2:TGID_X_EN: 1
; COMPUTE_PGM_RSRC2:TGID_Y_EN: 0
; COMPUTE_PGM_RSRC2:TGID_Z_EN: 0
; COMPUTE_PGM_RSRC2:TIDIG_COMP_CNT: 0
; COMPUTE_PGM_RSRC3_GFX90A:ACCUM_OFFSET: 0
; COMPUTE_PGM_RSRC3_GFX90A:TG_SPLIT: 0
	.section	.text._ZN7rocprim17ROCPRIM_400000_NS6detail17trampoline_kernelINS0_14default_configENS1_35radix_sort_onesweep_config_selectorIjNS0_10empty_typeEEEZNS1_34radix_sort_onesweep_global_offsetsIS3_Lb0EPjPS5_mNS0_19identity_decomposerEEE10hipError_tT1_T2_PT3_SE_jT4_jjP12ihipStream_tbEUlT_E0_NS1_11comp_targetILNS1_3genE9ELNS1_11target_archE1100ELNS1_3gpuE3ELNS1_3repE0EEENS1_52radix_sort_onesweep_histogram_config_static_selectorELNS0_4arch9wavefront6targetE1EEEvSC_,"axG",@progbits,_ZN7rocprim17ROCPRIM_400000_NS6detail17trampoline_kernelINS0_14default_configENS1_35radix_sort_onesweep_config_selectorIjNS0_10empty_typeEEEZNS1_34radix_sort_onesweep_global_offsetsIS3_Lb0EPjPS5_mNS0_19identity_decomposerEEE10hipError_tT1_T2_PT3_SE_jT4_jjP12ihipStream_tbEUlT_E0_NS1_11comp_targetILNS1_3genE9ELNS1_11target_archE1100ELNS1_3gpuE3ELNS1_3repE0EEENS1_52radix_sort_onesweep_histogram_config_static_selectorELNS0_4arch9wavefront6targetE1EEEvSC_,comdat
	.protected	_ZN7rocprim17ROCPRIM_400000_NS6detail17trampoline_kernelINS0_14default_configENS1_35radix_sort_onesweep_config_selectorIjNS0_10empty_typeEEEZNS1_34radix_sort_onesweep_global_offsetsIS3_Lb0EPjPS5_mNS0_19identity_decomposerEEE10hipError_tT1_T2_PT3_SE_jT4_jjP12ihipStream_tbEUlT_E0_NS1_11comp_targetILNS1_3genE9ELNS1_11target_archE1100ELNS1_3gpuE3ELNS1_3repE0EEENS1_52radix_sort_onesweep_histogram_config_static_selectorELNS0_4arch9wavefront6targetE1EEEvSC_ ; -- Begin function _ZN7rocprim17ROCPRIM_400000_NS6detail17trampoline_kernelINS0_14default_configENS1_35radix_sort_onesweep_config_selectorIjNS0_10empty_typeEEEZNS1_34radix_sort_onesweep_global_offsetsIS3_Lb0EPjPS5_mNS0_19identity_decomposerEEE10hipError_tT1_T2_PT3_SE_jT4_jjP12ihipStream_tbEUlT_E0_NS1_11comp_targetILNS1_3genE9ELNS1_11target_archE1100ELNS1_3gpuE3ELNS1_3repE0EEENS1_52radix_sort_onesweep_histogram_config_static_selectorELNS0_4arch9wavefront6targetE1EEEvSC_
	.globl	_ZN7rocprim17ROCPRIM_400000_NS6detail17trampoline_kernelINS0_14default_configENS1_35radix_sort_onesweep_config_selectorIjNS0_10empty_typeEEEZNS1_34radix_sort_onesweep_global_offsetsIS3_Lb0EPjPS5_mNS0_19identity_decomposerEEE10hipError_tT1_T2_PT3_SE_jT4_jjP12ihipStream_tbEUlT_E0_NS1_11comp_targetILNS1_3genE9ELNS1_11target_archE1100ELNS1_3gpuE3ELNS1_3repE0EEENS1_52radix_sort_onesweep_histogram_config_static_selectorELNS0_4arch9wavefront6targetE1EEEvSC_
	.p2align	8
	.type	_ZN7rocprim17ROCPRIM_400000_NS6detail17trampoline_kernelINS0_14default_configENS1_35radix_sort_onesweep_config_selectorIjNS0_10empty_typeEEEZNS1_34radix_sort_onesweep_global_offsetsIS3_Lb0EPjPS5_mNS0_19identity_decomposerEEE10hipError_tT1_T2_PT3_SE_jT4_jjP12ihipStream_tbEUlT_E0_NS1_11comp_targetILNS1_3genE9ELNS1_11target_archE1100ELNS1_3gpuE3ELNS1_3repE0EEENS1_52radix_sort_onesweep_histogram_config_static_selectorELNS0_4arch9wavefront6targetE1EEEvSC_,@function
_ZN7rocprim17ROCPRIM_400000_NS6detail17trampoline_kernelINS0_14default_configENS1_35radix_sort_onesweep_config_selectorIjNS0_10empty_typeEEEZNS1_34radix_sort_onesweep_global_offsetsIS3_Lb0EPjPS5_mNS0_19identity_decomposerEEE10hipError_tT1_T2_PT3_SE_jT4_jjP12ihipStream_tbEUlT_E0_NS1_11comp_targetILNS1_3genE9ELNS1_11target_archE1100ELNS1_3gpuE3ELNS1_3repE0EEENS1_52radix_sort_onesweep_histogram_config_static_selectorELNS0_4arch9wavefront6targetE1EEEvSC_: ; @_ZN7rocprim17ROCPRIM_400000_NS6detail17trampoline_kernelINS0_14default_configENS1_35radix_sort_onesweep_config_selectorIjNS0_10empty_typeEEEZNS1_34radix_sort_onesweep_global_offsetsIS3_Lb0EPjPS5_mNS0_19identity_decomposerEEE10hipError_tT1_T2_PT3_SE_jT4_jjP12ihipStream_tbEUlT_E0_NS1_11comp_targetILNS1_3genE9ELNS1_11target_archE1100ELNS1_3gpuE3ELNS1_3repE0EEENS1_52radix_sort_onesweep_histogram_config_static_selectorELNS0_4arch9wavefront6targetE1EEEvSC_
; %bb.0:
	.section	.rodata,"a",@progbits
	.p2align	6, 0x0
	.amdhsa_kernel _ZN7rocprim17ROCPRIM_400000_NS6detail17trampoline_kernelINS0_14default_configENS1_35radix_sort_onesweep_config_selectorIjNS0_10empty_typeEEEZNS1_34radix_sort_onesweep_global_offsetsIS3_Lb0EPjPS5_mNS0_19identity_decomposerEEE10hipError_tT1_T2_PT3_SE_jT4_jjP12ihipStream_tbEUlT_E0_NS1_11comp_targetILNS1_3genE9ELNS1_11target_archE1100ELNS1_3gpuE3ELNS1_3repE0EEENS1_52radix_sort_onesweep_histogram_config_static_selectorELNS0_4arch9wavefront6targetE1EEEvSC_
		.amdhsa_group_segment_fixed_size 0
		.amdhsa_private_segment_fixed_size 0
		.amdhsa_kernarg_size 8
		.amdhsa_user_sgpr_count 6
		.amdhsa_user_sgpr_private_segment_buffer 1
		.amdhsa_user_sgpr_dispatch_ptr 0
		.amdhsa_user_sgpr_queue_ptr 0
		.amdhsa_user_sgpr_kernarg_segment_ptr 1
		.amdhsa_user_sgpr_dispatch_id 0
		.amdhsa_user_sgpr_flat_scratch_init 0
		.amdhsa_user_sgpr_kernarg_preload_length 0
		.amdhsa_user_sgpr_kernarg_preload_offset 0
		.amdhsa_user_sgpr_private_segment_size 0
		.amdhsa_uses_dynamic_stack 0
		.amdhsa_system_sgpr_private_segment_wavefront_offset 0
		.amdhsa_system_sgpr_workgroup_id_x 1
		.amdhsa_system_sgpr_workgroup_id_y 0
		.amdhsa_system_sgpr_workgroup_id_z 0
		.amdhsa_system_sgpr_workgroup_info 0
		.amdhsa_system_vgpr_workitem_id 0
		.amdhsa_next_free_vgpr 1
		.amdhsa_next_free_sgpr 0
		.amdhsa_accum_offset 4
		.amdhsa_reserve_vcc 0
		.amdhsa_reserve_flat_scratch 0
		.amdhsa_float_round_mode_32 0
		.amdhsa_float_round_mode_16_64 0
		.amdhsa_float_denorm_mode_32 3
		.amdhsa_float_denorm_mode_16_64 3
		.amdhsa_dx10_clamp 1
		.amdhsa_ieee_mode 1
		.amdhsa_fp16_overflow 0
		.amdhsa_tg_split 0
		.amdhsa_exception_fp_ieee_invalid_op 0
		.amdhsa_exception_fp_denorm_src 0
		.amdhsa_exception_fp_ieee_div_zero 0
		.amdhsa_exception_fp_ieee_overflow 0
		.amdhsa_exception_fp_ieee_underflow 0
		.amdhsa_exception_fp_ieee_inexact 0
		.amdhsa_exception_int_div_zero 0
	.end_amdhsa_kernel
	.section	.text._ZN7rocprim17ROCPRIM_400000_NS6detail17trampoline_kernelINS0_14default_configENS1_35radix_sort_onesweep_config_selectorIjNS0_10empty_typeEEEZNS1_34radix_sort_onesweep_global_offsetsIS3_Lb0EPjPS5_mNS0_19identity_decomposerEEE10hipError_tT1_T2_PT3_SE_jT4_jjP12ihipStream_tbEUlT_E0_NS1_11comp_targetILNS1_3genE9ELNS1_11target_archE1100ELNS1_3gpuE3ELNS1_3repE0EEENS1_52radix_sort_onesweep_histogram_config_static_selectorELNS0_4arch9wavefront6targetE1EEEvSC_,"axG",@progbits,_ZN7rocprim17ROCPRIM_400000_NS6detail17trampoline_kernelINS0_14default_configENS1_35radix_sort_onesweep_config_selectorIjNS0_10empty_typeEEEZNS1_34radix_sort_onesweep_global_offsetsIS3_Lb0EPjPS5_mNS0_19identity_decomposerEEE10hipError_tT1_T2_PT3_SE_jT4_jjP12ihipStream_tbEUlT_E0_NS1_11comp_targetILNS1_3genE9ELNS1_11target_archE1100ELNS1_3gpuE3ELNS1_3repE0EEENS1_52radix_sort_onesweep_histogram_config_static_selectorELNS0_4arch9wavefront6targetE1EEEvSC_,comdat
.Lfunc_end758:
	.size	_ZN7rocprim17ROCPRIM_400000_NS6detail17trampoline_kernelINS0_14default_configENS1_35radix_sort_onesweep_config_selectorIjNS0_10empty_typeEEEZNS1_34radix_sort_onesweep_global_offsetsIS3_Lb0EPjPS5_mNS0_19identity_decomposerEEE10hipError_tT1_T2_PT3_SE_jT4_jjP12ihipStream_tbEUlT_E0_NS1_11comp_targetILNS1_3genE9ELNS1_11target_archE1100ELNS1_3gpuE3ELNS1_3repE0EEENS1_52radix_sort_onesweep_histogram_config_static_selectorELNS0_4arch9wavefront6targetE1EEEvSC_, .Lfunc_end758-_ZN7rocprim17ROCPRIM_400000_NS6detail17trampoline_kernelINS0_14default_configENS1_35radix_sort_onesweep_config_selectorIjNS0_10empty_typeEEEZNS1_34radix_sort_onesweep_global_offsetsIS3_Lb0EPjPS5_mNS0_19identity_decomposerEEE10hipError_tT1_T2_PT3_SE_jT4_jjP12ihipStream_tbEUlT_E0_NS1_11comp_targetILNS1_3genE9ELNS1_11target_archE1100ELNS1_3gpuE3ELNS1_3repE0EEENS1_52radix_sort_onesweep_histogram_config_static_selectorELNS0_4arch9wavefront6targetE1EEEvSC_
                                        ; -- End function
	.section	.AMDGPU.csdata,"",@progbits
; Kernel info:
; codeLenInByte = 0
; NumSgprs: 4
; NumVgprs: 0
; NumAgprs: 0
; TotalNumVgprs: 0
; ScratchSize: 0
; MemoryBound: 0
; FloatMode: 240
; IeeeMode: 1
; LDSByteSize: 0 bytes/workgroup (compile time only)
; SGPRBlocks: 0
; VGPRBlocks: 0
; NumSGPRsForWavesPerEU: 4
; NumVGPRsForWavesPerEU: 1
; AccumOffset: 4
; Occupancy: 8
; WaveLimiterHint : 0
; COMPUTE_PGM_RSRC2:SCRATCH_EN: 0
; COMPUTE_PGM_RSRC2:USER_SGPR: 6
; COMPUTE_PGM_RSRC2:TRAP_HANDLER: 0
; COMPUTE_PGM_RSRC2:TGID_X_EN: 1
; COMPUTE_PGM_RSRC2:TGID_Y_EN: 0
; COMPUTE_PGM_RSRC2:TGID_Z_EN: 0
; COMPUTE_PGM_RSRC2:TIDIG_COMP_CNT: 0
; COMPUTE_PGM_RSRC3_GFX90A:ACCUM_OFFSET: 0
; COMPUTE_PGM_RSRC3_GFX90A:TG_SPLIT: 0
	.section	.text._ZN7rocprim17ROCPRIM_400000_NS6detail17trampoline_kernelINS0_14default_configENS1_35radix_sort_onesweep_config_selectorIjNS0_10empty_typeEEEZNS1_34radix_sort_onesweep_global_offsetsIS3_Lb0EPjPS5_mNS0_19identity_decomposerEEE10hipError_tT1_T2_PT3_SE_jT4_jjP12ihipStream_tbEUlT_E0_NS1_11comp_targetILNS1_3genE8ELNS1_11target_archE1030ELNS1_3gpuE2ELNS1_3repE0EEENS1_52radix_sort_onesweep_histogram_config_static_selectorELNS0_4arch9wavefront6targetE1EEEvSC_,"axG",@progbits,_ZN7rocprim17ROCPRIM_400000_NS6detail17trampoline_kernelINS0_14default_configENS1_35radix_sort_onesweep_config_selectorIjNS0_10empty_typeEEEZNS1_34radix_sort_onesweep_global_offsetsIS3_Lb0EPjPS5_mNS0_19identity_decomposerEEE10hipError_tT1_T2_PT3_SE_jT4_jjP12ihipStream_tbEUlT_E0_NS1_11comp_targetILNS1_3genE8ELNS1_11target_archE1030ELNS1_3gpuE2ELNS1_3repE0EEENS1_52radix_sort_onesweep_histogram_config_static_selectorELNS0_4arch9wavefront6targetE1EEEvSC_,comdat
	.protected	_ZN7rocprim17ROCPRIM_400000_NS6detail17trampoline_kernelINS0_14default_configENS1_35radix_sort_onesweep_config_selectorIjNS0_10empty_typeEEEZNS1_34radix_sort_onesweep_global_offsetsIS3_Lb0EPjPS5_mNS0_19identity_decomposerEEE10hipError_tT1_T2_PT3_SE_jT4_jjP12ihipStream_tbEUlT_E0_NS1_11comp_targetILNS1_3genE8ELNS1_11target_archE1030ELNS1_3gpuE2ELNS1_3repE0EEENS1_52radix_sort_onesweep_histogram_config_static_selectorELNS0_4arch9wavefront6targetE1EEEvSC_ ; -- Begin function _ZN7rocprim17ROCPRIM_400000_NS6detail17trampoline_kernelINS0_14default_configENS1_35radix_sort_onesweep_config_selectorIjNS0_10empty_typeEEEZNS1_34radix_sort_onesweep_global_offsetsIS3_Lb0EPjPS5_mNS0_19identity_decomposerEEE10hipError_tT1_T2_PT3_SE_jT4_jjP12ihipStream_tbEUlT_E0_NS1_11comp_targetILNS1_3genE8ELNS1_11target_archE1030ELNS1_3gpuE2ELNS1_3repE0EEENS1_52radix_sort_onesweep_histogram_config_static_selectorELNS0_4arch9wavefront6targetE1EEEvSC_
	.globl	_ZN7rocprim17ROCPRIM_400000_NS6detail17trampoline_kernelINS0_14default_configENS1_35radix_sort_onesweep_config_selectorIjNS0_10empty_typeEEEZNS1_34radix_sort_onesweep_global_offsetsIS3_Lb0EPjPS5_mNS0_19identity_decomposerEEE10hipError_tT1_T2_PT3_SE_jT4_jjP12ihipStream_tbEUlT_E0_NS1_11comp_targetILNS1_3genE8ELNS1_11target_archE1030ELNS1_3gpuE2ELNS1_3repE0EEENS1_52radix_sort_onesweep_histogram_config_static_selectorELNS0_4arch9wavefront6targetE1EEEvSC_
	.p2align	8
	.type	_ZN7rocprim17ROCPRIM_400000_NS6detail17trampoline_kernelINS0_14default_configENS1_35radix_sort_onesweep_config_selectorIjNS0_10empty_typeEEEZNS1_34radix_sort_onesweep_global_offsetsIS3_Lb0EPjPS5_mNS0_19identity_decomposerEEE10hipError_tT1_T2_PT3_SE_jT4_jjP12ihipStream_tbEUlT_E0_NS1_11comp_targetILNS1_3genE8ELNS1_11target_archE1030ELNS1_3gpuE2ELNS1_3repE0EEENS1_52radix_sort_onesweep_histogram_config_static_selectorELNS0_4arch9wavefront6targetE1EEEvSC_,@function
_ZN7rocprim17ROCPRIM_400000_NS6detail17trampoline_kernelINS0_14default_configENS1_35radix_sort_onesweep_config_selectorIjNS0_10empty_typeEEEZNS1_34radix_sort_onesweep_global_offsetsIS3_Lb0EPjPS5_mNS0_19identity_decomposerEEE10hipError_tT1_T2_PT3_SE_jT4_jjP12ihipStream_tbEUlT_E0_NS1_11comp_targetILNS1_3genE8ELNS1_11target_archE1030ELNS1_3gpuE2ELNS1_3repE0EEENS1_52radix_sort_onesweep_histogram_config_static_selectorELNS0_4arch9wavefront6targetE1EEEvSC_: ; @_ZN7rocprim17ROCPRIM_400000_NS6detail17trampoline_kernelINS0_14default_configENS1_35radix_sort_onesweep_config_selectorIjNS0_10empty_typeEEEZNS1_34radix_sort_onesweep_global_offsetsIS3_Lb0EPjPS5_mNS0_19identity_decomposerEEE10hipError_tT1_T2_PT3_SE_jT4_jjP12ihipStream_tbEUlT_E0_NS1_11comp_targetILNS1_3genE8ELNS1_11target_archE1030ELNS1_3gpuE2ELNS1_3repE0EEENS1_52radix_sort_onesweep_histogram_config_static_selectorELNS0_4arch9wavefront6targetE1EEEvSC_
; %bb.0:
	.section	.rodata,"a",@progbits
	.p2align	6, 0x0
	.amdhsa_kernel _ZN7rocprim17ROCPRIM_400000_NS6detail17trampoline_kernelINS0_14default_configENS1_35radix_sort_onesweep_config_selectorIjNS0_10empty_typeEEEZNS1_34radix_sort_onesweep_global_offsetsIS3_Lb0EPjPS5_mNS0_19identity_decomposerEEE10hipError_tT1_T2_PT3_SE_jT4_jjP12ihipStream_tbEUlT_E0_NS1_11comp_targetILNS1_3genE8ELNS1_11target_archE1030ELNS1_3gpuE2ELNS1_3repE0EEENS1_52radix_sort_onesweep_histogram_config_static_selectorELNS0_4arch9wavefront6targetE1EEEvSC_
		.amdhsa_group_segment_fixed_size 0
		.amdhsa_private_segment_fixed_size 0
		.amdhsa_kernarg_size 8
		.amdhsa_user_sgpr_count 6
		.amdhsa_user_sgpr_private_segment_buffer 1
		.amdhsa_user_sgpr_dispatch_ptr 0
		.amdhsa_user_sgpr_queue_ptr 0
		.amdhsa_user_sgpr_kernarg_segment_ptr 1
		.amdhsa_user_sgpr_dispatch_id 0
		.amdhsa_user_sgpr_flat_scratch_init 0
		.amdhsa_user_sgpr_kernarg_preload_length 0
		.amdhsa_user_sgpr_kernarg_preload_offset 0
		.amdhsa_user_sgpr_private_segment_size 0
		.amdhsa_uses_dynamic_stack 0
		.amdhsa_system_sgpr_private_segment_wavefront_offset 0
		.amdhsa_system_sgpr_workgroup_id_x 1
		.amdhsa_system_sgpr_workgroup_id_y 0
		.amdhsa_system_sgpr_workgroup_id_z 0
		.amdhsa_system_sgpr_workgroup_info 0
		.amdhsa_system_vgpr_workitem_id 0
		.amdhsa_next_free_vgpr 1
		.amdhsa_next_free_sgpr 0
		.amdhsa_accum_offset 4
		.amdhsa_reserve_vcc 0
		.amdhsa_reserve_flat_scratch 0
		.amdhsa_float_round_mode_32 0
		.amdhsa_float_round_mode_16_64 0
		.amdhsa_float_denorm_mode_32 3
		.amdhsa_float_denorm_mode_16_64 3
		.amdhsa_dx10_clamp 1
		.amdhsa_ieee_mode 1
		.amdhsa_fp16_overflow 0
		.amdhsa_tg_split 0
		.amdhsa_exception_fp_ieee_invalid_op 0
		.amdhsa_exception_fp_denorm_src 0
		.amdhsa_exception_fp_ieee_div_zero 0
		.amdhsa_exception_fp_ieee_overflow 0
		.amdhsa_exception_fp_ieee_underflow 0
		.amdhsa_exception_fp_ieee_inexact 0
		.amdhsa_exception_int_div_zero 0
	.end_amdhsa_kernel
	.section	.text._ZN7rocprim17ROCPRIM_400000_NS6detail17trampoline_kernelINS0_14default_configENS1_35radix_sort_onesweep_config_selectorIjNS0_10empty_typeEEEZNS1_34radix_sort_onesweep_global_offsetsIS3_Lb0EPjPS5_mNS0_19identity_decomposerEEE10hipError_tT1_T2_PT3_SE_jT4_jjP12ihipStream_tbEUlT_E0_NS1_11comp_targetILNS1_3genE8ELNS1_11target_archE1030ELNS1_3gpuE2ELNS1_3repE0EEENS1_52radix_sort_onesweep_histogram_config_static_selectorELNS0_4arch9wavefront6targetE1EEEvSC_,"axG",@progbits,_ZN7rocprim17ROCPRIM_400000_NS6detail17trampoline_kernelINS0_14default_configENS1_35radix_sort_onesweep_config_selectorIjNS0_10empty_typeEEEZNS1_34radix_sort_onesweep_global_offsetsIS3_Lb0EPjPS5_mNS0_19identity_decomposerEEE10hipError_tT1_T2_PT3_SE_jT4_jjP12ihipStream_tbEUlT_E0_NS1_11comp_targetILNS1_3genE8ELNS1_11target_archE1030ELNS1_3gpuE2ELNS1_3repE0EEENS1_52radix_sort_onesweep_histogram_config_static_selectorELNS0_4arch9wavefront6targetE1EEEvSC_,comdat
.Lfunc_end759:
	.size	_ZN7rocprim17ROCPRIM_400000_NS6detail17trampoline_kernelINS0_14default_configENS1_35radix_sort_onesweep_config_selectorIjNS0_10empty_typeEEEZNS1_34radix_sort_onesweep_global_offsetsIS3_Lb0EPjPS5_mNS0_19identity_decomposerEEE10hipError_tT1_T2_PT3_SE_jT4_jjP12ihipStream_tbEUlT_E0_NS1_11comp_targetILNS1_3genE8ELNS1_11target_archE1030ELNS1_3gpuE2ELNS1_3repE0EEENS1_52radix_sort_onesweep_histogram_config_static_selectorELNS0_4arch9wavefront6targetE1EEEvSC_, .Lfunc_end759-_ZN7rocprim17ROCPRIM_400000_NS6detail17trampoline_kernelINS0_14default_configENS1_35radix_sort_onesweep_config_selectorIjNS0_10empty_typeEEEZNS1_34radix_sort_onesweep_global_offsetsIS3_Lb0EPjPS5_mNS0_19identity_decomposerEEE10hipError_tT1_T2_PT3_SE_jT4_jjP12ihipStream_tbEUlT_E0_NS1_11comp_targetILNS1_3genE8ELNS1_11target_archE1030ELNS1_3gpuE2ELNS1_3repE0EEENS1_52radix_sort_onesweep_histogram_config_static_selectorELNS0_4arch9wavefront6targetE1EEEvSC_
                                        ; -- End function
	.section	.AMDGPU.csdata,"",@progbits
; Kernel info:
; codeLenInByte = 0
; NumSgprs: 4
; NumVgprs: 0
; NumAgprs: 0
; TotalNumVgprs: 0
; ScratchSize: 0
; MemoryBound: 0
; FloatMode: 240
; IeeeMode: 1
; LDSByteSize: 0 bytes/workgroup (compile time only)
; SGPRBlocks: 0
; VGPRBlocks: 0
; NumSGPRsForWavesPerEU: 4
; NumVGPRsForWavesPerEU: 1
; AccumOffset: 4
; Occupancy: 8
; WaveLimiterHint : 0
; COMPUTE_PGM_RSRC2:SCRATCH_EN: 0
; COMPUTE_PGM_RSRC2:USER_SGPR: 6
; COMPUTE_PGM_RSRC2:TRAP_HANDLER: 0
; COMPUTE_PGM_RSRC2:TGID_X_EN: 1
; COMPUTE_PGM_RSRC2:TGID_Y_EN: 0
; COMPUTE_PGM_RSRC2:TGID_Z_EN: 0
; COMPUTE_PGM_RSRC2:TIDIG_COMP_CNT: 0
; COMPUTE_PGM_RSRC3_GFX90A:ACCUM_OFFSET: 0
; COMPUTE_PGM_RSRC3_GFX90A:TG_SPLIT: 0
	.section	.text._ZN7rocprim17ROCPRIM_400000_NS6detail17trampoline_kernelINS0_14default_configENS1_35radix_sort_onesweep_config_selectorIjNS0_10empty_typeEEEZZNS1_29radix_sort_onesweep_iterationIS3_Lb0EPjS8_PS5_S9_mNS0_19identity_decomposerENS1_16block_id_wrapperIjLb1EEEEE10hipError_tT1_PNSt15iterator_traitsISE_E10value_typeET2_T3_PNSF_ISK_E10value_typeET4_T5_PSP_SQ_PNS1_23onesweep_lookback_stateEbbT6_jjT7_P12ihipStream_tbENKUlT_T0_SE_SJ_E_clIS8_S8_S9_S9_EEDaSX_SY_SE_SJ_EUlSX_E_NS1_11comp_targetILNS1_3genE0ELNS1_11target_archE4294967295ELNS1_3gpuE0ELNS1_3repE0EEENS1_47radix_sort_onesweep_sort_config_static_selectorELNS0_4arch9wavefront6targetE1EEEvSE_,"axG",@progbits,_ZN7rocprim17ROCPRIM_400000_NS6detail17trampoline_kernelINS0_14default_configENS1_35radix_sort_onesweep_config_selectorIjNS0_10empty_typeEEEZZNS1_29radix_sort_onesweep_iterationIS3_Lb0EPjS8_PS5_S9_mNS0_19identity_decomposerENS1_16block_id_wrapperIjLb1EEEEE10hipError_tT1_PNSt15iterator_traitsISE_E10value_typeET2_T3_PNSF_ISK_E10value_typeET4_T5_PSP_SQ_PNS1_23onesweep_lookback_stateEbbT6_jjT7_P12ihipStream_tbENKUlT_T0_SE_SJ_E_clIS8_S8_S9_S9_EEDaSX_SY_SE_SJ_EUlSX_E_NS1_11comp_targetILNS1_3genE0ELNS1_11target_archE4294967295ELNS1_3gpuE0ELNS1_3repE0EEENS1_47radix_sort_onesweep_sort_config_static_selectorELNS0_4arch9wavefront6targetE1EEEvSE_,comdat
	.protected	_ZN7rocprim17ROCPRIM_400000_NS6detail17trampoline_kernelINS0_14default_configENS1_35radix_sort_onesweep_config_selectorIjNS0_10empty_typeEEEZZNS1_29radix_sort_onesweep_iterationIS3_Lb0EPjS8_PS5_S9_mNS0_19identity_decomposerENS1_16block_id_wrapperIjLb1EEEEE10hipError_tT1_PNSt15iterator_traitsISE_E10value_typeET2_T3_PNSF_ISK_E10value_typeET4_T5_PSP_SQ_PNS1_23onesweep_lookback_stateEbbT6_jjT7_P12ihipStream_tbENKUlT_T0_SE_SJ_E_clIS8_S8_S9_S9_EEDaSX_SY_SE_SJ_EUlSX_E_NS1_11comp_targetILNS1_3genE0ELNS1_11target_archE4294967295ELNS1_3gpuE0ELNS1_3repE0EEENS1_47radix_sort_onesweep_sort_config_static_selectorELNS0_4arch9wavefront6targetE1EEEvSE_ ; -- Begin function _ZN7rocprim17ROCPRIM_400000_NS6detail17trampoline_kernelINS0_14default_configENS1_35radix_sort_onesweep_config_selectorIjNS0_10empty_typeEEEZZNS1_29radix_sort_onesweep_iterationIS3_Lb0EPjS8_PS5_S9_mNS0_19identity_decomposerENS1_16block_id_wrapperIjLb1EEEEE10hipError_tT1_PNSt15iterator_traitsISE_E10value_typeET2_T3_PNSF_ISK_E10value_typeET4_T5_PSP_SQ_PNS1_23onesweep_lookback_stateEbbT6_jjT7_P12ihipStream_tbENKUlT_T0_SE_SJ_E_clIS8_S8_S9_S9_EEDaSX_SY_SE_SJ_EUlSX_E_NS1_11comp_targetILNS1_3genE0ELNS1_11target_archE4294967295ELNS1_3gpuE0ELNS1_3repE0EEENS1_47radix_sort_onesweep_sort_config_static_selectorELNS0_4arch9wavefront6targetE1EEEvSE_
	.globl	_ZN7rocprim17ROCPRIM_400000_NS6detail17trampoline_kernelINS0_14default_configENS1_35radix_sort_onesweep_config_selectorIjNS0_10empty_typeEEEZZNS1_29radix_sort_onesweep_iterationIS3_Lb0EPjS8_PS5_S9_mNS0_19identity_decomposerENS1_16block_id_wrapperIjLb1EEEEE10hipError_tT1_PNSt15iterator_traitsISE_E10value_typeET2_T3_PNSF_ISK_E10value_typeET4_T5_PSP_SQ_PNS1_23onesweep_lookback_stateEbbT6_jjT7_P12ihipStream_tbENKUlT_T0_SE_SJ_E_clIS8_S8_S9_S9_EEDaSX_SY_SE_SJ_EUlSX_E_NS1_11comp_targetILNS1_3genE0ELNS1_11target_archE4294967295ELNS1_3gpuE0ELNS1_3repE0EEENS1_47radix_sort_onesweep_sort_config_static_selectorELNS0_4arch9wavefront6targetE1EEEvSE_
	.p2align	8
	.type	_ZN7rocprim17ROCPRIM_400000_NS6detail17trampoline_kernelINS0_14default_configENS1_35radix_sort_onesweep_config_selectorIjNS0_10empty_typeEEEZZNS1_29radix_sort_onesweep_iterationIS3_Lb0EPjS8_PS5_S9_mNS0_19identity_decomposerENS1_16block_id_wrapperIjLb1EEEEE10hipError_tT1_PNSt15iterator_traitsISE_E10value_typeET2_T3_PNSF_ISK_E10value_typeET4_T5_PSP_SQ_PNS1_23onesweep_lookback_stateEbbT6_jjT7_P12ihipStream_tbENKUlT_T0_SE_SJ_E_clIS8_S8_S9_S9_EEDaSX_SY_SE_SJ_EUlSX_E_NS1_11comp_targetILNS1_3genE0ELNS1_11target_archE4294967295ELNS1_3gpuE0ELNS1_3repE0EEENS1_47radix_sort_onesweep_sort_config_static_selectorELNS0_4arch9wavefront6targetE1EEEvSE_,@function
_ZN7rocprim17ROCPRIM_400000_NS6detail17trampoline_kernelINS0_14default_configENS1_35radix_sort_onesweep_config_selectorIjNS0_10empty_typeEEEZZNS1_29radix_sort_onesweep_iterationIS3_Lb0EPjS8_PS5_S9_mNS0_19identity_decomposerENS1_16block_id_wrapperIjLb1EEEEE10hipError_tT1_PNSt15iterator_traitsISE_E10value_typeET2_T3_PNSF_ISK_E10value_typeET4_T5_PSP_SQ_PNS1_23onesweep_lookback_stateEbbT6_jjT7_P12ihipStream_tbENKUlT_T0_SE_SJ_E_clIS8_S8_S9_S9_EEDaSX_SY_SE_SJ_EUlSX_E_NS1_11comp_targetILNS1_3genE0ELNS1_11target_archE4294967295ELNS1_3gpuE0ELNS1_3repE0EEENS1_47radix_sort_onesweep_sort_config_static_selectorELNS0_4arch9wavefront6targetE1EEEvSE_: ; @_ZN7rocprim17ROCPRIM_400000_NS6detail17trampoline_kernelINS0_14default_configENS1_35radix_sort_onesweep_config_selectorIjNS0_10empty_typeEEEZZNS1_29radix_sort_onesweep_iterationIS3_Lb0EPjS8_PS5_S9_mNS0_19identity_decomposerENS1_16block_id_wrapperIjLb1EEEEE10hipError_tT1_PNSt15iterator_traitsISE_E10value_typeET2_T3_PNSF_ISK_E10value_typeET4_T5_PSP_SQ_PNS1_23onesweep_lookback_stateEbbT6_jjT7_P12ihipStream_tbENKUlT_T0_SE_SJ_E_clIS8_S8_S9_S9_EEDaSX_SY_SE_SJ_EUlSX_E_NS1_11comp_targetILNS1_3genE0ELNS1_11target_archE4294967295ELNS1_3gpuE0ELNS1_3repE0EEENS1_47radix_sort_onesweep_sort_config_static_selectorELNS0_4arch9wavefront6targetE1EEEvSE_
; %bb.0:
	.section	.rodata,"a",@progbits
	.p2align	6, 0x0
	.amdhsa_kernel _ZN7rocprim17ROCPRIM_400000_NS6detail17trampoline_kernelINS0_14default_configENS1_35radix_sort_onesweep_config_selectorIjNS0_10empty_typeEEEZZNS1_29radix_sort_onesweep_iterationIS3_Lb0EPjS8_PS5_S9_mNS0_19identity_decomposerENS1_16block_id_wrapperIjLb1EEEEE10hipError_tT1_PNSt15iterator_traitsISE_E10value_typeET2_T3_PNSF_ISK_E10value_typeET4_T5_PSP_SQ_PNS1_23onesweep_lookback_stateEbbT6_jjT7_P12ihipStream_tbENKUlT_T0_SE_SJ_E_clIS8_S8_S9_S9_EEDaSX_SY_SE_SJ_EUlSX_E_NS1_11comp_targetILNS1_3genE0ELNS1_11target_archE4294967295ELNS1_3gpuE0ELNS1_3repE0EEENS1_47radix_sort_onesweep_sort_config_static_selectorELNS0_4arch9wavefront6targetE1EEEvSE_
		.amdhsa_group_segment_fixed_size 0
		.amdhsa_private_segment_fixed_size 0
		.amdhsa_kernarg_size 88
		.amdhsa_user_sgpr_count 6
		.amdhsa_user_sgpr_private_segment_buffer 1
		.amdhsa_user_sgpr_dispatch_ptr 0
		.amdhsa_user_sgpr_queue_ptr 0
		.amdhsa_user_sgpr_kernarg_segment_ptr 1
		.amdhsa_user_sgpr_dispatch_id 0
		.amdhsa_user_sgpr_flat_scratch_init 0
		.amdhsa_user_sgpr_kernarg_preload_length 0
		.amdhsa_user_sgpr_kernarg_preload_offset 0
		.amdhsa_user_sgpr_private_segment_size 0
		.amdhsa_uses_dynamic_stack 0
		.amdhsa_system_sgpr_private_segment_wavefront_offset 0
		.amdhsa_system_sgpr_workgroup_id_x 1
		.amdhsa_system_sgpr_workgroup_id_y 0
		.amdhsa_system_sgpr_workgroup_id_z 0
		.amdhsa_system_sgpr_workgroup_info 0
		.amdhsa_system_vgpr_workitem_id 0
		.amdhsa_next_free_vgpr 1
		.amdhsa_next_free_sgpr 0
		.amdhsa_accum_offset 4
		.amdhsa_reserve_vcc 0
		.amdhsa_reserve_flat_scratch 0
		.amdhsa_float_round_mode_32 0
		.amdhsa_float_round_mode_16_64 0
		.amdhsa_float_denorm_mode_32 3
		.amdhsa_float_denorm_mode_16_64 3
		.amdhsa_dx10_clamp 1
		.amdhsa_ieee_mode 1
		.amdhsa_fp16_overflow 0
		.amdhsa_tg_split 0
		.amdhsa_exception_fp_ieee_invalid_op 0
		.amdhsa_exception_fp_denorm_src 0
		.amdhsa_exception_fp_ieee_div_zero 0
		.amdhsa_exception_fp_ieee_overflow 0
		.amdhsa_exception_fp_ieee_underflow 0
		.amdhsa_exception_fp_ieee_inexact 0
		.amdhsa_exception_int_div_zero 0
	.end_amdhsa_kernel
	.section	.text._ZN7rocprim17ROCPRIM_400000_NS6detail17trampoline_kernelINS0_14default_configENS1_35radix_sort_onesweep_config_selectorIjNS0_10empty_typeEEEZZNS1_29radix_sort_onesweep_iterationIS3_Lb0EPjS8_PS5_S9_mNS0_19identity_decomposerENS1_16block_id_wrapperIjLb1EEEEE10hipError_tT1_PNSt15iterator_traitsISE_E10value_typeET2_T3_PNSF_ISK_E10value_typeET4_T5_PSP_SQ_PNS1_23onesweep_lookback_stateEbbT6_jjT7_P12ihipStream_tbENKUlT_T0_SE_SJ_E_clIS8_S8_S9_S9_EEDaSX_SY_SE_SJ_EUlSX_E_NS1_11comp_targetILNS1_3genE0ELNS1_11target_archE4294967295ELNS1_3gpuE0ELNS1_3repE0EEENS1_47radix_sort_onesweep_sort_config_static_selectorELNS0_4arch9wavefront6targetE1EEEvSE_,"axG",@progbits,_ZN7rocprim17ROCPRIM_400000_NS6detail17trampoline_kernelINS0_14default_configENS1_35radix_sort_onesweep_config_selectorIjNS0_10empty_typeEEEZZNS1_29radix_sort_onesweep_iterationIS3_Lb0EPjS8_PS5_S9_mNS0_19identity_decomposerENS1_16block_id_wrapperIjLb1EEEEE10hipError_tT1_PNSt15iterator_traitsISE_E10value_typeET2_T3_PNSF_ISK_E10value_typeET4_T5_PSP_SQ_PNS1_23onesweep_lookback_stateEbbT6_jjT7_P12ihipStream_tbENKUlT_T0_SE_SJ_E_clIS8_S8_S9_S9_EEDaSX_SY_SE_SJ_EUlSX_E_NS1_11comp_targetILNS1_3genE0ELNS1_11target_archE4294967295ELNS1_3gpuE0ELNS1_3repE0EEENS1_47radix_sort_onesweep_sort_config_static_selectorELNS0_4arch9wavefront6targetE1EEEvSE_,comdat
.Lfunc_end760:
	.size	_ZN7rocprim17ROCPRIM_400000_NS6detail17trampoline_kernelINS0_14default_configENS1_35radix_sort_onesweep_config_selectorIjNS0_10empty_typeEEEZZNS1_29radix_sort_onesweep_iterationIS3_Lb0EPjS8_PS5_S9_mNS0_19identity_decomposerENS1_16block_id_wrapperIjLb1EEEEE10hipError_tT1_PNSt15iterator_traitsISE_E10value_typeET2_T3_PNSF_ISK_E10value_typeET4_T5_PSP_SQ_PNS1_23onesweep_lookback_stateEbbT6_jjT7_P12ihipStream_tbENKUlT_T0_SE_SJ_E_clIS8_S8_S9_S9_EEDaSX_SY_SE_SJ_EUlSX_E_NS1_11comp_targetILNS1_3genE0ELNS1_11target_archE4294967295ELNS1_3gpuE0ELNS1_3repE0EEENS1_47radix_sort_onesweep_sort_config_static_selectorELNS0_4arch9wavefront6targetE1EEEvSE_, .Lfunc_end760-_ZN7rocprim17ROCPRIM_400000_NS6detail17trampoline_kernelINS0_14default_configENS1_35radix_sort_onesweep_config_selectorIjNS0_10empty_typeEEEZZNS1_29radix_sort_onesweep_iterationIS3_Lb0EPjS8_PS5_S9_mNS0_19identity_decomposerENS1_16block_id_wrapperIjLb1EEEEE10hipError_tT1_PNSt15iterator_traitsISE_E10value_typeET2_T3_PNSF_ISK_E10value_typeET4_T5_PSP_SQ_PNS1_23onesweep_lookback_stateEbbT6_jjT7_P12ihipStream_tbENKUlT_T0_SE_SJ_E_clIS8_S8_S9_S9_EEDaSX_SY_SE_SJ_EUlSX_E_NS1_11comp_targetILNS1_3genE0ELNS1_11target_archE4294967295ELNS1_3gpuE0ELNS1_3repE0EEENS1_47radix_sort_onesweep_sort_config_static_selectorELNS0_4arch9wavefront6targetE1EEEvSE_
                                        ; -- End function
	.section	.AMDGPU.csdata,"",@progbits
; Kernel info:
; codeLenInByte = 0
; NumSgprs: 4
; NumVgprs: 0
; NumAgprs: 0
; TotalNumVgprs: 0
; ScratchSize: 0
; MemoryBound: 0
; FloatMode: 240
; IeeeMode: 1
; LDSByteSize: 0 bytes/workgroup (compile time only)
; SGPRBlocks: 0
; VGPRBlocks: 0
; NumSGPRsForWavesPerEU: 4
; NumVGPRsForWavesPerEU: 1
; AccumOffset: 4
; Occupancy: 8
; WaveLimiterHint : 0
; COMPUTE_PGM_RSRC2:SCRATCH_EN: 0
; COMPUTE_PGM_RSRC2:USER_SGPR: 6
; COMPUTE_PGM_RSRC2:TRAP_HANDLER: 0
; COMPUTE_PGM_RSRC2:TGID_X_EN: 1
; COMPUTE_PGM_RSRC2:TGID_Y_EN: 0
; COMPUTE_PGM_RSRC2:TGID_Z_EN: 0
; COMPUTE_PGM_RSRC2:TIDIG_COMP_CNT: 0
; COMPUTE_PGM_RSRC3_GFX90A:ACCUM_OFFSET: 0
; COMPUTE_PGM_RSRC3_GFX90A:TG_SPLIT: 0
	.section	.text._ZN7rocprim17ROCPRIM_400000_NS6detail17trampoline_kernelINS0_14default_configENS1_35radix_sort_onesweep_config_selectorIjNS0_10empty_typeEEEZZNS1_29radix_sort_onesweep_iterationIS3_Lb0EPjS8_PS5_S9_mNS0_19identity_decomposerENS1_16block_id_wrapperIjLb1EEEEE10hipError_tT1_PNSt15iterator_traitsISE_E10value_typeET2_T3_PNSF_ISK_E10value_typeET4_T5_PSP_SQ_PNS1_23onesweep_lookback_stateEbbT6_jjT7_P12ihipStream_tbENKUlT_T0_SE_SJ_E_clIS8_S8_S9_S9_EEDaSX_SY_SE_SJ_EUlSX_E_NS1_11comp_targetILNS1_3genE6ELNS1_11target_archE950ELNS1_3gpuE13ELNS1_3repE0EEENS1_47radix_sort_onesweep_sort_config_static_selectorELNS0_4arch9wavefront6targetE1EEEvSE_,"axG",@progbits,_ZN7rocprim17ROCPRIM_400000_NS6detail17trampoline_kernelINS0_14default_configENS1_35radix_sort_onesweep_config_selectorIjNS0_10empty_typeEEEZZNS1_29radix_sort_onesweep_iterationIS3_Lb0EPjS8_PS5_S9_mNS0_19identity_decomposerENS1_16block_id_wrapperIjLb1EEEEE10hipError_tT1_PNSt15iterator_traitsISE_E10value_typeET2_T3_PNSF_ISK_E10value_typeET4_T5_PSP_SQ_PNS1_23onesweep_lookback_stateEbbT6_jjT7_P12ihipStream_tbENKUlT_T0_SE_SJ_E_clIS8_S8_S9_S9_EEDaSX_SY_SE_SJ_EUlSX_E_NS1_11comp_targetILNS1_3genE6ELNS1_11target_archE950ELNS1_3gpuE13ELNS1_3repE0EEENS1_47radix_sort_onesweep_sort_config_static_selectorELNS0_4arch9wavefront6targetE1EEEvSE_,comdat
	.protected	_ZN7rocprim17ROCPRIM_400000_NS6detail17trampoline_kernelINS0_14default_configENS1_35radix_sort_onesweep_config_selectorIjNS0_10empty_typeEEEZZNS1_29radix_sort_onesweep_iterationIS3_Lb0EPjS8_PS5_S9_mNS0_19identity_decomposerENS1_16block_id_wrapperIjLb1EEEEE10hipError_tT1_PNSt15iterator_traitsISE_E10value_typeET2_T3_PNSF_ISK_E10value_typeET4_T5_PSP_SQ_PNS1_23onesweep_lookback_stateEbbT6_jjT7_P12ihipStream_tbENKUlT_T0_SE_SJ_E_clIS8_S8_S9_S9_EEDaSX_SY_SE_SJ_EUlSX_E_NS1_11comp_targetILNS1_3genE6ELNS1_11target_archE950ELNS1_3gpuE13ELNS1_3repE0EEENS1_47radix_sort_onesweep_sort_config_static_selectorELNS0_4arch9wavefront6targetE1EEEvSE_ ; -- Begin function _ZN7rocprim17ROCPRIM_400000_NS6detail17trampoline_kernelINS0_14default_configENS1_35radix_sort_onesweep_config_selectorIjNS0_10empty_typeEEEZZNS1_29radix_sort_onesweep_iterationIS3_Lb0EPjS8_PS5_S9_mNS0_19identity_decomposerENS1_16block_id_wrapperIjLb1EEEEE10hipError_tT1_PNSt15iterator_traitsISE_E10value_typeET2_T3_PNSF_ISK_E10value_typeET4_T5_PSP_SQ_PNS1_23onesweep_lookback_stateEbbT6_jjT7_P12ihipStream_tbENKUlT_T0_SE_SJ_E_clIS8_S8_S9_S9_EEDaSX_SY_SE_SJ_EUlSX_E_NS1_11comp_targetILNS1_3genE6ELNS1_11target_archE950ELNS1_3gpuE13ELNS1_3repE0EEENS1_47radix_sort_onesweep_sort_config_static_selectorELNS0_4arch9wavefront6targetE1EEEvSE_
	.globl	_ZN7rocprim17ROCPRIM_400000_NS6detail17trampoline_kernelINS0_14default_configENS1_35radix_sort_onesweep_config_selectorIjNS0_10empty_typeEEEZZNS1_29radix_sort_onesweep_iterationIS3_Lb0EPjS8_PS5_S9_mNS0_19identity_decomposerENS1_16block_id_wrapperIjLb1EEEEE10hipError_tT1_PNSt15iterator_traitsISE_E10value_typeET2_T3_PNSF_ISK_E10value_typeET4_T5_PSP_SQ_PNS1_23onesweep_lookback_stateEbbT6_jjT7_P12ihipStream_tbENKUlT_T0_SE_SJ_E_clIS8_S8_S9_S9_EEDaSX_SY_SE_SJ_EUlSX_E_NS1_11comp_targetILNS1_3genE6ELNS1_11target_archE950ELNS1_3gpuE13ELNS1_3repE0EEENS1_47radix_sort_onesweep_sort_config_static_selectorELNS0_4arch9wavefront6targetE1EEEvSE_
	.p2align	8
	.type	_ZN7rocprim17ROCPRIM_400000_NS6detail17trampoline_kernelINS0_14default_configENS1_35radix_sort_onesweep_config_selectorIjNS0_10empty_typeEEEZZNS1_29radix_sort_onesweep_iterationIS3_Lb0EPjS8_PS5_S9_mNS0_19identity_decomposerENS1_16block_id_wrapperIjLb1EEEEE10hipError_tT1_PNSt15iterator_traitsISE_E10value_typeET2_T3_PNSF_ISK_E10value_typeET4_T5_PSP_SQ_PNS1_23onesweep_lookback_stateEbbT6_jjT7_P12ihipStream_tbENKUlT_T0_SE_SJ_E_clIS8_S8_S9_S9_EEDaSX_SY_SE_SJ_EUlSX_E_NS1_11comp_targetILNS1_3genE6ELNS1_11target_archE950ELNS1_3gpuE13ELNS1_3repE0EEENS1_47radix_sort_onesweep_sort_config_static_selectorELNS0_4arch9wavefront6targetE1EEEvSE_,@function
_ZN7rocprim17ROCPRIM_400000_NS6detail17trampoline_kernelINS0_14default_configENS1_35radix_sort_onesweep_config_selectorIjNS0_10empty_typeEEEZZNS1_29radix_sort_onesweep_iterationIS3_Lb0EPjS8_PS5_S9_mNS0_19identity_decomposerENS1_16block_id_wrapperIjLb1EEEEE10hipError_tT1_PNSt15iterator_traitsISE_E10value_typeET2_T3_PNSF_ISK_E10value_typeET4_T5_PSP_SQ_PNS1_23onesweep_lookback_stateEbbT6_jjT7_P12ihipStream_tbENKUlT_T0_SE_SJ_E_clIS8_S8_S9_S9_EEDaSX_SY_SE_SJ_EUlSX_E_NS1_11comp_targetILNS1_3genE6ELNS1_11target_archE950ELNS1_3gpuE13ELNS1_3repE0EEENS1_47radix_sort_onesweep_sort_config_static_selectorELNS0_4arch9wavefront6targetE1EEEvSE_: ; @_ZN7rocprim17ROCPRIM_400000_NS6detail17trampoline_kernelINS0_14default_configENS1_35radix_sort_onesweep_config_selectorIjNS0_10empty_typeEEEZZNS1_29radix_sort_onesweep_iterationIS3_Lb0EPjS8_PS5_S9_mNS0_19identity_decomposerENS1_16block_id_wrapperIjLb1EEEEE10hipError_tT1_PNSt15iterator_traitsISE_E10value_typeET2_T3_PNSF_ISK_E10value_typeET4_T5_PSP_SQ_PNS1_23onesweep_lookback_stateEbbT6_jjT7_P12ihipStream_tbENKUlT_T0_SE_SJ_E_clIS8_S8_S9_S9_EEDaSX_SY_SE_SJ_EUlSX_E_NS1_11comp_targetILNS1_3genE6ELNS1_11target_archE950ELNS1_3gpuE13ELNS1_3repE0EEENS1_47radix_sort_onesweep_sort_config_static_selectorELNS0_4arch9wavefront6targetE1EEEvSE_
; %bb.0:
	.section	.rodata,"a",@progbits
	.p2align	6, 0x0
	.amdhsa_kernel _ZN7rocprim17ROCPRIM_400000_NS6detail17trampoline_kernelINS0_14default_configENS1_35radix_sort_onesweep_config_selectorIjNS0_10empty_typeEEEZZNS1_29radix_sort_onesweep_iterationIS3_Lb0EPjS8_PS5_S9_mNS0_19identity_decomposerENS1_16block_id_wrapperIjLb1EEEEE10hipError_tT1_PNSt15iterator_traitsISE_E10value_typeET2_T3_PNSF_ISK_E10value_typeET4_T5_PSP_SQ_PNS1_23onesweep_lookback_stateEbbT6_jjT7_P12ihipStream_tbENKUlT_T0_SE_SJ_E_clIS8_S8_S9_S9_EEDaSX_SY_SE_SJ_EUlSX_E_NS1_11comp_targetILNS1_3genE6ELNS1_11target_archE950ELNS1_3gpuE13ELNS1_3repE0EEENS1_47radix_sort_onesweep_sort_config_static_selectorELNS0_4arch9wavefront6targetE1EEEvSE_
		.amdhsa_group_segment_fixed_size 0
		.amdhsa_private_segment_fixed_size 0
		.amdhsa_kernarg_size 88
		.amdhsa_user_sgpr_count 6
		.amdhsa_user_sgpr_private_segment_buffer 1
		.amdhsa_user_sgpr_dispatch_ptr 0
		.amdhsa_user_sgpr_queue_ptr 0
		.amdhsa_user_sgpr_kernarg_segment_ptr 1
		.amdhsa_user_sgpr_dispatch_id 0
		.amdhsa_user_sgpr_flat_scratch_init 0
		.amdhsa_user_sgpr_kernarg_preload_length 0
		.amdhsa_user_sgpr_kernarg_preload_offset 0
		.amdhsa_user_sgpr_private_segment_size 0
		.amdhsa_uses_dynamic_stack 0
		.amdhsa_system_sgpr_private_segment_wavefront_offset 0
		.amdhsa_system_sgpr_workgroup_id_x 1
		.amdhsa_system_sgpr_workgroup_id_y 0
		.amdhsa_system_sgpr_workgroup_id_z 0
		.amdhsa_system_sgpr_workgroup_info 0
		.amdhsa_system_vgpr_workitem_id 0
		.amdhsa_next_free_vgpr 1
		.amdhsa_next_free_sgpr 0
		.amdhsa_accum_offset 4
		.amdhsa_reserve_vcc 0
		.amdhsa_reserve_flat_scratch 0
		.amdhsa_float_round_mode_32 0
		.amdhsa_float_round_mode_16_64 0
		.amdhsa_float_denorm_mode_32 3
		.amdhsa_float_denorm_mode_16_64 3
		.amdhsa_dx10_clamp 1
		.amdhsa_ieee_mode 1
		.amdhsa_fp16_overflow 0
		.amdhsa_tg_split 0
		.amdhsa_exception_fp_ieee_invalid_op 0
		.amdhsa_exception_fp_denorm_src 0
		.amdhsa_exception_fp_ieee_div_zero 0
		.amdhsa_exception_fp_ieee_overflow 0
		.amdhsa_exception_fp_ieee_underflow 0
		.amdhsa_exception_fp_ieee_inexact 0
		.amdhsa_exception_int_div_zero 0
	.end_amdhsa_kernel
	.section	.text._ZN7rocprim17ROCPRIM_400000_NS6detail17trampoline_kernelINS0_14default_configENS1_35radix_sort_onesweep_config_selectorIjNS0_10empty_typeEEEZZNS1_29radix_sort_onesweep_iterationIS3_Lb0EPjS8_PS5_S9_mNS0_19identity_decomposerENS1_16block_id_wrapperIjLb1EEEEE10hipError_tT1_PNSt15iterator_traitsISE_E10value_typeET2_T3_PNSF_ISK_E10value_typeET4_T5_PSP_SQ_PNS1_23onesweep_lookback_stateEbbT6_jjT7_P12ihipStream_tbENKUlT_T0_SE_SJ_E_clIS8_S8_S9_S9_EEDaSX_SY_SE_SJ_EUlSX_E_NS1_11comp_targetILNS1_3genE6ELNS1_11target_archE950ELNS1_3gpuE13ELNS1_3repE0EEENS1_47radix_sort_onesweep_sort_config_static_selectorELNS0_4arch9wavefront6targetE1EEEvSE_,"axG",@progbits,_ZN7rocprim17ROCPRIM_400000_NS6detail17trampoline_kernelINS0_14default_configENS1_35radix_sort_onesweep_config_selectorIjNS0_10empty_typeEEEZZNS1_29radix_sort_onesweep_iterationIS3_Lb0EPjS8_PS5_S9_mNS0_19identity_decomposerENS1_16block_id_wrapperIjLb1EEEEE10hipError_tT1_PNSt15iterator_traitsISE_E10value_typeET2_T3_PNSF_ISK_E10value_typeET4_T5_PSP_SQ_PNS1_23onesweep_lookback_stateEbbT6_jjT7_P12ihipStream_tbENKUlT_T0_SE_SJ_E_clIS8_S8_S9_S9_EEDaSX_SY_SE_SJ_EUlSX_E_NS1_11comp_targetILNS1_3genE6ELNS1_11target_archE950ELNS1_3gpuE13ELNS1_3repE0EEENS1_47radix_sort_onesweep_sort_config_static_selectorELNS0_4arch9wavefront6targetE1EEEvSE_,comdat
.Lfunc_end761:
	.size	_ZN7rocprim17ROCPRIM_400000_NS6detail17trampoline_kernelINS0_14default_configENS1_35radix_sort_onesweep_config_selectorIjNS0_10empty_typeEEEZZNS1_29radix_sort_onesweep_iterationIS3_Lb0EPjS8_PS5_S9_mNS0_19identity_decomposerENS1_16block_id_wrapperIjLb1EEEEE10hipError_tT1_PNSt15iterator_traitsISE_E10value_typeET2_T3_PNSF_ISK_E10value_typeET4_T5_PSP_SQ_PNS1_23onesweep_lookback_stateEbbT6_jjT7_P12ihipStream_tbENKUlT_T0_SE_SJ_E_clIS8_S8_S9_S9_EEDaSX_SY_SE_SJ_EUlSX_E_NS1_11comp_targetILNS1_3genE6ELNS1_11target_archE950ELNS1_3gpuE13ELNS1_3repE0EEENS1_47radix_sort_onesweep_sort_config_static_selectorELNS0_4arch9wavefront6targetE1EEEvSE_, .Lfunc_end761-_ZN7rocprim17ROCPRIM_400000_NS6detail17trampoline_kernelINS0_14default_configENS1_35radix_sort_onesweep_config_selectorIjNS0_10empty_typeEEEZZNS1_29radix_sort_onesweep_iterationIS3_Lb0EPjS8_PS5_S9_mNS0_19identity_decomposerENS1_16block_id_wrapperIjLb1EEEEE10hipError_tT1_PNSt15iterator_traitsISE_E10value_typeET2_T3_PNSF_ISK_E10value_typeET4_T5_PSP_SQ_PNS1_23onesweep_lookback_stateEbbT6_jjT7_P12ihipStream_tbENKUlT_T0_SE_SJ_E_clIS8_S8_S9_S9_EEDaSX_SY_SE_SJ_EUlSX_E_NS1_11comp_targetILNS1_3genE6ELNS1_11target_archE950ELNS1_3gpuE13ELNS1_3repE0EEENS1_47radix_sort_onesweep_sort_config_static_selectorELNS0_4arch9wavefront6targetE1EEEvSE_
                                        ; -- End function
	.section	.AMDGPU.csdata,"",@progbits
; Kernel info:
; codeLenInByte = 0
; NumSgprs: 4
; NumVgprs: 0
; NumAgprs: 0
; TotalNumVgprs: 0
; ScratchSize: 0
; MemoryBound: 0
; FloatMode: 240
; IeeeMode: 1
; LDSByteSize: 0 bytes/workgroup (compile time only)
; SGPRBlocks: 0
; VGPRBlocks: 0
; NumSGPRsForWavesPerEU: 4
; NumVGPRsForWavesPerEU: 1
; AccumOffset: 4
; Occupancy: 8
; WaveLimiterHint : 0
; COMPUTE_PGM_RSRC2:SCRATCH_EN: 0
; COMPUTE_PGM_RSRC2:USER_SGPR: 6
; COMPUTE_PGM_RSRC2:TRAP_HANDLER: 0
; COMPUTE_PGM_RSRC2:TGID_X_EN: 1
; COMPUTE_PGM_RSRC2:TGID_Y_EN: 0
; COMPUTE_PGM_RSRC2:TGID_Z_EN: 0
; COMPUTE_PGM_RSRC2:TIDIG_COMP_CNT: 0
; COMPUTE_PGM_RSRC3_GFX90A:ACCUM_OFFSET: 0
; COMPUTE_PGM_RSRC3_GFX90A:TG_SPLIT: 0
	.section	.text._ZN7rocprim17ROCPRIM_400000_NS6detail17trampoline_kernelINS0_14default_configENS1_35radix_sort_onesweep_config_selectorIjNS0_10empty_typeEEEZZNS1_29radix_sort_onesweep_iterationIS3_Lb0EPjS8_PS5_S9_mNS0_19identity_decomposerENS1_16block_id_wrapperIjLb1EEEEE10hipError_tT1_PNSt15iterator_traitsISE_E10value_typeET2_T3_PNSF_ISK_E10value_typeET4_T5_PSP_SQ_PNS1_23onesweep_lookback_stateEbbT6_jjT7_P12ihipStream_tbENKUlT_T0_SE_SJ_E_clIS8_S8_S9_S9_EEDaSX_SY_SE_SJ_EUlSX_E_NS1_11comp_targetILNS1_3genE5ELNS1_11target_archE942ELNS1_3gpuE9ELNS1_3repE0EEENS1_47radix_sort_onesweep_sort_config_static_selectorELNS0_4arch9wavefront6targetE1EEEvSE_,"axG",@progbits,_ZN7rocprim17ROCPRIM_400000_NS6detail17trampoline_kernelINS0_14default_configENS1_35radix_sort_onesweep_config_selectorIjNS0_10empty_typeEEEZZNS1_29radix_sort_onesweep_iterationIS3_Lb0EPjS8_PS5_S9_mNS0_19identity_decomposerENS1_16block_id_wrapperIjLb1EEEEE10hipError_tT1_PNSt15iterator_traitsISE_E10value_typeET2_T3_PNSF_ISK_E10value_typeET4_T5_PSP_SQ_PNS1_23onesweep_lookback_stateEbbT6_jjT7_P12ihipStream_tbENKUlT_T0_SE_SJ_E_clIS8_S8_S9_S9_EEDaSX_SY_SE_SJ_EUlSX_E_NS1_11comp_targetILNS1_3genE5ELNS1_11target_archE942ELNS1_3gpuE9ELNS1_3repE0EEENS1_47radix_sort_onesweep_sort_config_static_selectorELNS0_4arch9wavefront6targetE1EEEvSE_,comdat
	.protected	_ZN7rocprim17ROCPRIM_400000_NS6detail17trampoline_kernelINS0_14default_configENS1_35radix_sort_onesweep_config_selectorIjNS0_10empty_typeEEEZZNS1_29radix_sort_onesweep_iterationIS3_Lb0EPjS8_PS5_S9_mNS0_19identity_decomposerENS1_16block_id_wrapperIjLb1EEEEE10hipError_tT1_PNSt15iterator_traitsISE_E10value_typeET2_T3_PNSF_ISK_E10value_typeET4_T5_PSP_SQ_PNS1_23onesweep_lookback_stateEbbT6_jjT7_P12ihipStream_tbENKUlT_T0_SE_SJ_E_clIS8_S8_S9_S9_EEDaSX_SY_SE_SJ_EUlSX_E_NS1_11comp_targetILNS1_3genE5ELNS1_11target_archE942ELNS1_3gpuE9ELNS1_3repE0EEENS1_47radix_sort_onesweep_sort_config_static_selectorELNS0_4arch9wavefront6targetE1EEEvSE_ ; -- Begin function _ZN7rocprim17ROCPRIM_400000_NS6detail17trampoline_kernelINS0_14default_configENS1_35radix_sort_onesweep_config_selectorIjNS0_10empty_typeEEEZZNS1_29radix_sort_onesweep_iterationIS3_Lb0EPjS8_PS5_S9_mNS0_19identity_decomposerENS1_16block_id_wrapperIjLb1EEEEE10hipError_tT1_PNSt15iterator_traitsISE_E10value_typeET2_T3_PNSF_ISK_E10value_typeET4_T5_PSP_SQ_PNS1_23onesweep_lookback_stateEbbT6_jjT7_P12ihipStream_tbENKUlT_T0_SE_SJ_E_clIS8_S8_S9_S9_EEDaSX_SY_SE_SJ_EUlSX_E_NS1_11comp_targetILNS1_3genE5ELNS1_11target_archE942ELNS1_3gpuE9ELNS1_3repE0EEENS1_47radix_sort_onesweep_sort_config_static_selectorELNS0_4arch9wavefront6targetE1EEEvSE_
	.globl	_ZN7rocprim17ROCPRIM_400000_NS6detail17trampoline_kernelINS0_14default_configENS1_35radix_sort_onesweep_config_selectorIjNS0_10empty_typeEEEZZNS1_29radix_sort_onesweep_iterationIS3_Lb0EPjS8_PS5_S9_mNS0_19identity_decomposerENS1_16block_id_wrapperIjLb1EEEEE10hipError_tT1_PNSt15iterator_traitsISE_E10value_typeET2_T3_PNSF_ISK_E10value_typeET4_T5_PSP_SQ_PNS1_23onesweep_lookback_stateEbbT6_jjT7_P12ihipStream_tbENKUlT_T0_SE_SJ_E_clIS8_S8_S9_S9_EEDaSX_SY_SE_SJ_EUlSX_E_NS1_11comp_targetILNS1_3genE5ELNS1_11target_archE942ELNS1_3gpuE9ELNS1_3repE0EEENS1_47radix_sort_onesweep_sort_config_static_selectorELNS0_4arch9wavefront6targetE1EEEvSE_
	.p2align	8
	.type	_ZN7rocprim17ROCPRIM_400000_NS6detail17trampoline_kernelINS0_14default_configENS1_35radix_sort_onesweep_config_selectorIjNS0_10empty_typeEEEZZNS1_29radix_sort_onesweep_iterationIS3_Lb0EPjS8_PS5_S9_mNS0_19identity_decomposerENS1_16block_id_wrapperIjLb1EEEEE10hipError_tT1_PNSt15iterator_traitsISE_E10value_typeET2_T3_PNSF_ISK_E10value_typeET4_T5_PSP_SQ_PNS1_23onesweep_lookback_stateEbbT6_jjT7_P12ihipStream_tbENKUlT_T0_SE_SJ_E_clIS8_S8_S9_S9_EEDaSX_SY_SE_SJ_EUlSX_E_NS1_11comp_targetILNS1_3genE5ELNS1_11target_archE942ELNS1_3gpuE9ELNS1_3repE0EEENS1_47radix_sort_onesweep_sort_config_static_selectorELNS0_4arch9wavefront6targetE1EEEvSE_,@function
_ZN7rocprim17ROCPRIM_400000_NS6detail17trampoline_kernelINS0_14default_configENS1_35radix_sort_onesweep_config_selectorIjNS0_10empty_typeEEEZZNS1_29radix_sort_onesweep_iterationIS3_Lb0EPjS8_PS5_S9_mNS0_19identity_decomposerENS1_16block_id_wrapperIjLb1EEEEE10hipError_tT1_PNSt15iterator_traitsISE_E10value_typeET2_T3_PNSF_ISK_E10value_typeET4_T5_PSP_SQ_PNS1_23onesweep_lookback_stateEbbT6_jjT7_P12ihipStream_tbENKUlT_T0_SE_SJ_E_clIS8_S8_S9_S9_EEDaSX_SY_SE_SJ_EUlSX_E_NS1_11comp_targetILNS1_3genE5ELNS1_11target_archE942ELNS1_3gpuE9ELNS1_3repE0EEENS1_47radix_sort_onesweep_sort_config_static_selectorELNS0_4arch9wavefront6targetE1EEEvSE_: ; @_ZN7rocprim17ROCPRIM_400000_NS6detail17trampoline_kernelINS0_14default_configENS1_35radix_sort_onesweep_config_selectorIjNS0_10empty_typeEEEZZNS1_29radix_sort_onesweep_iterationIS3_Lb0EPjS8_PS5_S9_mNS0_19identity_decomposerENS1_16block_id_wrapperIjLb1EEEEE10hipError_tT1_PNSt15iterator_traitsISE_E10value_typeET2_T3_PNSF_ISK_E10value_typeET4_T5_PSP_SQ_PNS1_23onesweep_lookback_stateEbbT6_jjT7_P12ihipStream_tbENKUlT_T0_SE_SJ_E_clIS8_S8_S9_S9_EEDaSX_SY_SE_SJ_EUlSX_E_NS1_11comp_targetILNS1_3genE5ELNS1_11target_archE942ELNS1_3gpuE9ELNS1_3repE0EEENS1_47radix_sort_onesweep_sort_config_static_selectorELNS0_4arch9wavefront6targetE1EEEvSE_
; %bb.0:
	.section	.rodata,"a",@progbits
	.p2align	6, 0x0
	.amdhsa_kernel _ZN7rocprim17ROCPRIM_400000_NS6detail17trampoline_kernelINS0_14default_configENS1_35radix_sort_onesweep_config_selectorIjNS0_10empty_typeEEEZZNS1_29radix_sort_onesweep_iterationIS3_Lb0EPjS8_PS5_S9_mNS0_19identity_decomposerENS1_16block_id_wrapperIjLb1EEEEE10hipError_tT1_PNSt15iterator_traitsISE_E10value_typeET2_T3_PNSF_ISK_E10value_typeET4_T5_PSP_SQ_PNS1_23onesweep_lookback_stateEbbT6_jjT7_P12ihipStream_tbENKUlT_T0_SE_SJ_E_clIS8_S8_S9_S9_EEDaSX_SY_SE_SJ_EUlSX_E_NS1_11comp_targetILNS1_3genE5ELNS1_11target_archE942ELNS1_3gpuE9ELNS1_3repE0EEENS1_47radix_sort_onesweep_sort_config_static_selectorELNS0_4arch9wavefront6targetE1EEEvSE_
		.amdhsa_group_segment_fixed_size 0
		.amdhsa_private_segment_fixed_size 0
		.amdhsa_kernarg_size 88
		.amdhsa_user_sgpr_count 6
		.amdhsa_user_sgpr_private_segment_buffer 1
		.amdhsa_user_sgpr_dispatch_ptr 0
		.amdhsa_user_sgpr_queue_ptr 0
		.amdhsa_user_sgpr_kernarg_segment_ptr 1
		.amdhsa_user_sgpr_dispatch_id 0
		.amdhsa_user_sgpr_flat_scratch_init 0
		.amdhsa_user_sgpr_kernarg_preload_length 0
		.amdhsa_user_sgpr_kernarg_preload_offset 0
		.amdhsa_user_sgpr_private_segment_size 0
		.amdhsa_uses_dynamic_stack 0
		.amdhsa_system_sgpr_private_segment_wavefront_offset 0
		.amdhsa_system_sgpr_workgroup_id_x 1
		.amdhsa_system_sgpr_workgroup_id_y 0
		.amdhsa_system_sgpr_workgroup_id_z 0
		.amdhsa_system_sgpr_workgroup_info 0
		.amdhsa_system_vgpr_workitem_id 0
		.amdhsa_next_free_vgpr 1
		.amdhsa_next_free_sgpr 0
		.amdhsa_accum_offset 4
		.amdhsa_reserve_vcc 0
		.amdhsa_reserve_flat_scratch 0
		.amdhsa_float_round_mode_32 0
		.amdhsa_float_round_mode_16_64 0
		.amdhsa_float_denorm_mode_32 3
		.amdhsa_float_denorm_mode_16_64 3
		.amdhsa_dx10_clamp 1
		.amdhsa_ieee_mode 1
		.amdhsa_fp16_overflow 0
		.amdhsa_tg_split 0
		.amdhsa_exception_fp_ieee_invalid_op 0
		.amdhsa_exception_fp_denorm_src 0
		.amdhsa_exception_fp_ieee_div_zero 0
		.amdhsa_exception_fp_ieee_overflow 0
		.amdhsa_exception_fp_ieee_underflow 0
		.amdhsa_exception_fp_ieee_inexact 0
		.amdhsa_exception_int_div_zero 0
	.end_amdhsa_kernel
	.section	.text._ZN7rocprim17ROCPRIM_400000_NS6detail17trampoline_kernelINS0_14default_configENS1_35radix_sort_onesweep_config_selectorIjNS0_10empty_typeEEEZZNS1_29radix_sort_onesweep_iterationIS3_Lb0EPjS8_PS5_S9_mNS0_19identity_decomposerENS1_16block_id_wrapperIjLb1EEEEE10hipError_tT1_PNSt15iterator_traitsISE_E10value_typeET2_T3_PNSF_ISK_E10value_typeET4_T5_PSP_SQ_PNS1_23onesweep_lookback_stateEbbT6_jjT7_P12ihipStream_tbENKUlT_T0_SE_SJ_E_clIS8_S8_S9_S9_EEDaSX_SY_SE_SJ_EUlSX_E_NS1_11comp_targetILNS1_3genE5ELNS1_11target_archE942ELNS1_3gpuE9ELNS1_3repE0EEENS1_47radix_sort_onesweep_sort_config_static_selectorELNS0_4arch9wavefront6targetE1EEEvSE_,"axG",@progbits,_ZN7rocprim17ROCPRIM_400000_NS6detail17trampoline_kernelINS0_14default_configENS1_35radix_sort_onesweep_config_selectorIjNS0_10empty_typeEEEZZNS1_29radix_sort_onesweep_iterationIS3_Lb0EPjS8_PS5_S9_mNS0_19identity_decomposerENS1_16block_id_wrapperIjLb1EEEEE10hipError_tT1_PNSt15iterator_traitsISE_E10value_typeET2_T3_PNSF_ISK_E10value_typeET4_T5_PSP_SQ_PNS1_23onesweep_lookback_stateEbbT6_jjT7_P12ihipStream_tbENKUlT_T0_SE_SJ_E_clIS8_S8_S9_S9_EEDaSX_SY_SE_SJ_EUlSX_E_NS1_11comp_targetILNS1_3genE5ELNS1_11target_archE942ELNS1_3gpuE9ELNS1_3repE0EEENS1_47radix_sort_onesweep_sort_config_static_selectorELNS0_4arch9wavefront6targetE1EEEvSE_,comdat
.Lfunc_end762:
	.size	_ZN7rocprim17ROCPRIM_400000_NS6detail17trampoline_kernelINS0_14default_configENS1_35radix_sort_onesweep_config_selectorIjNS0_10empty_typeEEEZZNS1_29radix_sort_onesweep_iterationIS3_Lb0EPjS8_PS5_S9_mNS0_19identity_decomposerENS1_16block_id_wrapperIjLb1EEEEE10hipError_tT1_PNSt15iterator_traitsISE_E10value_typeET2_T3_PNSF_ISK_E10value_typeET4_T5_PSP_SQ_PNS1_23onesweep_lookback_stateEbbT6_jjT7_P12ihipStream_tbENKUlT_T0_SE_SJ_E_clIS8_S8_S9_S9_EEDaSX_SY_SE_SJ_EUlSX_E_NS1_11comp_targetILNS1_3genE5ELNS1_11target_archE942ELNS1_3gpuE9ELNS1_3repE0EEENS1_47radix_sort_onesweep_sort_config_static_selectorELNS0_4arch9wavefront6targetE1EEEvSE_, .Lfunc_end762-_ZN7rocprim17ROCPRIM_400000_NS6detail17trampoline_kernelINS0_14default_configENS1_35radix_sort_onesweep_config_selectorIjNS0_10empty_typeEEEZZNS1_29radix_sort_onesweep_iterationIS3_Lb0EPjS8_PS5_S9_mNS0_19identity_decomposerENS1_16block_id_wrapperIjLb1EEEEE10hipError_tT1_PNSt15iterator_traitsISE_E10value_typeET2_T3_PNSF_ISK_E10value_typeET4_T5_PSP_SQ_PNS1_23onesweep_lookback_stateEbbT6_jjT7_P12ihipStream_tbENKUlT_T0_SE_SJ_E_clIS8_S8_S9_S9_EEDaSX_SY_SE_SJ_EUlSX_E_NS1_11comp_targetILNS1_3genE5ELNS1_11target_archE942ELNS1_3gpuE9ELNS1_3repE0EEENS1_47radix_sort_onesweep_sort_config_static_selectorELNS0_4arch9wavefront6targetE1EEEvSE_
                                        ; -- End function
	.section	.AMDGPU.csdata,"",@progbits
; Kernel info:
; codeLenInByte = 0
; NumSgprs: 4
; NumVgprs: 0
; NumAgprs: 0
; TotalNumVgprs: 0
; ScratchSize: 0
; MemoryBound: 0
; FloatMode: 240
; IeeeMode: 1
; LDSByteSize: 0 bytes/workgroup (compile time only)
; SGPRBlocks: 0
; VGPRBlocks: 0
; NumSGPRsForWavesPerEU: 4
; NumVGPRsForWavesPerEU: 1
; AccumOffset: 4
; Occupancy: 8
; WaveLimiterHint : 0
; COMPUTE_PGM_RSRC2:SCRATCH_EN: 0
; COMPUTE_PGM_RSRC2:USER_SGPR: 6
; COMPUTE_PGM_RSRC2:TRAP_HANDLER: 0
; COMPUTE_PGM_RSRC2:TGID_X_EN: 1
; COMPUTE_PGM_RSRC2:TGID_Y_EN: 0
; COMPUTE_PGM_RSRC2:TGID_Z_EN: 0
; COMPUTE_PGM_RSRC2:TIDIG_COMP_CNT: 0
; COMPUTE_PGM_RSRC3_GFX90A:ACCUM_OFFSET: 0
; COMPUTE_PGM_RSRC3_GFX90A:TG_SPLIT: 0
	.section	.text._ZN7rocprim17ROCPRIM_400000_NS6detail17trampoline_kernelINS0_14default_configENS1_35radix_sort_onesweep_config_selectorIjNS0_10empty_typeEEEZZNS1_29radix_sort_onesweep_iterationIS3_Lb0EPjS8_PS5_S9_mNS0_19identity_decomposerENS1_16block_id_wrapperIjLb1EEEEE10hipError_tT1_PNSt15iterator_traitsISE_E10value_typeET2_T3_PNSF_ISK_E10value_typeET4_T5_PSP_SQ_PNS1_23onesweep_lookback_stateEbbT6_jjT7_P12ihipStream_tbENKUlT_T0_SE_SJ_E_clIS8_S8_S9_S9_EEDaSX_SY_SE_SJ_EUlSX_E_NS1_11comp_targetILNS1_3genE2ELNS1_11target_archE906ELNS1_3gpuE6ELNS1_3repE0EEENS1_47radix_sort_onesweep_sort_config_static_selectorELNS0_4arch9wavefront6targetE1EEEvSE_,"axG",@progbits,_ZN7rocprim17ROCPRIM_400000_NS6detail17trampoline_kernelINS0_14default_configENS1_35radix_sort_onesweep_config_selectorIjNS0_10empty_typeEEEZZNS1_29radix_sort_onesweep_iterationIS3_Lb0EPjS8_PS5_S9_mNS0_19identity_decomposerENS1_16block_id_wrapperIjLb1EEEEE10hipError_tT1_PNSt15iterator_traitsISE_E10value_typeET2_T3_PNSF_ISK_E10value_typeET4_T5_PSP_SQ_PNS1_23onesweep_lookback_stateEbbT6_jjT7_P12ihipStream_tbENKUlT_T0_SE_SJ_E_clIS8_S8_S9_S9_EEDaSX_SY_SE_SJ_EUlSX_E_NS1_11comp_targetILNS1_3genE2ELNS1_11target_archE906ELNS1_3gpuE6ELNS1_3repE0EEENS1_47radix_sort_onesweep_sort_config_static_selectorELNS0_4arch9wavefront6targetE1EEEvSE_,comdat
	.protected	_ZN7rocprim17ROCPRIM_400000_NS6detail17trampoline_kernelINS0_14default_configENS1_35radix_sort_onesweep_config_selectorIjNS0_10empty_typeEEEZZNS1_29radix_sort_onesweep_iterationIS3_Lb0EPjS8_PS5_S9_mNS0_19identity_decomposerENS1_16block_id_wrapperIjLb1EEEEE10hipError_tT1_PNSt15iterator_traitsISE_E10value_typeET2_T3_PNSF_ISK_E10value_typeET4_T5_PSP_SQ_PNS1_23onesweep_lookback_stateEbbT6_jjT7_P12ihipStream_tbENKUlT_T0_SE_SJ_E_clIS8_S8_S9_S9_EEDaSX_SY_SE_SJ_EUlSX_E_NS1_11comp_targetILNS1_3genE2ELNS1_11target_archE906ELNS1_3gpuE6ELNS1_3repE0EEENS1_47radix_sort_onesweep_sort_config_static_selectorELNS0_4arch9wavefront6targetE1EEEvSE_ ; -- Begin function _ZN7rocprim17ROCPRIM_400000_NS6detail17trampoline_kernelINS0_14default_configENS1_35radix_sort_onesweep_config_selectorIjNS0_10empty_typeEEEZZNS1_29radix_sort_onesweep_iterationIS3_Lb0EPjS8_PS5_S9_mNS0_19identity_decomposerENS1_16block_id_wrapperIjLb1EEEEE10hipError_tT1_PNSt15iterator_traitsISE_E10value_typeET2_T3_PNSF_ISK_E10value_typeET4_T5_PSP_SQ_PNS1_23onesweep_lookback_stateEbbT6_jjT7_P12ihipStream_tbENKUlT_T0_SE_SJ_E_clIS8_S8_S9_S9_EEDaSX_SY_SE_SJ_EUlSX_E_NS1_11comp_targetILNS1_3genE2ELNS1_11target_archE906ELNS1_3gpuE6ELNS1_3repE0EEENS1_47radix_sort_onesweep_sort_config_static_selectorELNS0_4arch9wavefront6targetE1EEEvSE_
	.globl	_ZN7rocprim17ROCPRIM_400000_NS6detail17trampoline_kernelINS0_14default_configENS1_35radix_sort_onesweep_config_selectorIjNS0_10empty_typeEEEZZNS1_29radix_sort_onesweep_iterationIS3_Lb0EPjS8_PS5_S9_mNS0_19identity_decomposerENS1_16block_id_wrapperIjLb1EEEEE10hipError_tT1_PNSt15iterator_traitsISE_E10value_typeET2_T3_PNSF_ISK_E10value_typeET4_T5_PSP_SQ_PNS1_23onesweep_lookback_stateEbbT6_jjT7_P12ihipStream_tbENKUlT_T0_SE_SJ_E_clIS8_S8_S9_S9_EEDaSX_SY_SE_SJ_EUlSX_E_NS1_11comp_targetILNS1_3genE2ELNS1_11target_archE906ELNS1_3gpuE6ELNS1_3repE0EEENS1_47radix_sort_onesweep_sort_config_static_selectorELNS0_4arch9wavefront6targetE1EEEvSE_
	.p2align	8
	.type	_ZN7rocprim17ROCPRIM_400000_NS6detail17trampoline_kernelINS0_14default_configENS1_35radix_sort_onesweep_config_selectorIjNS0_10empty_typeEEEZZNS1_29radix_sort_onesweep_iterationIS3_Lb0EPjS8_PS5_S9_mNS0_19identity_decomposerENS1_16block_id_wrapperIjLb1EEEEE10hipError_tT1_PNSt15iterator_traitsISE_E10value_typeET2_T3_PNSF_ISK_E10value_typeET4_T5_PSP_SQ_PNS1_23onesweep_lookback_stateEbbT6_jjT7_P12ihipStream_tbENKUlT_T0_SE_SJ_E_clIS8_S8_S9_S9_EEDaSX_SY_SE_SJ_EUlSX_E_NS1_11comp_targetILNS1_3genE2ELNS1_11target_archE906ELNS1_3gpuE6ELNS1_3repE0EEENS1_47radix_sort_onesweep_sort_config_static_selectorELNS0_4arch9wavefront6targetE1EEEvSE_,@function
_ZN7rocprim17ROCPRIM_400000_NS6detail17trampoline_kernelINS0_14default_configENS1_35radix_sort_onesweep_config_selectorIjNS0_10empty_typeEEEZZNS1_29radix_sort_onesweep_iterationIS3_Lb0EPjS8_PS5_S9_mNS0_19identity_decomposerENS1_16block_id_wrapperIjLb1EEEEE10hipError_tT1_PNSt15iterator_traitsISE_E10value_typeET2_T3_PNSF_ISK_E10value_typeET4_T5_PSP_SQ_PNS1_23onesweep_lookback_stateEbbT6_jjT7_P12ihipStream_tbENKUlT_T0_SE_SJ_E_clIS8_S8_S9_S9_EEDaSX_SY_SE_SJ_EUlSX_E_NS1_11comp_targetILNS1_3genE2ELNS1_11target_archE906ELNS1_3gpuE6ELNS1_3repE0EEENS1_47radix_sort_onesweep_sort_config_static_selectorELNS0_4arch9wavefront6targetE1EEEvSE_: ; @_ZN7rocprim17ROCPRIM_400000_NS6detail17trampoline_kernelINS0_14default_configENS1_35radix_sort_onesweep_config_selectorIjNS0_10empty_typeEEEZZNS1_29radix_sort_onesweep_iterationIS3_Lb0EPjS8_PS5_S9_mNS0_19identity_decomposerENS1_16block_id_wrapperIjLb1EEEEE10hipError_tT1_PNSt15iterator_traitsISE_E10value_typeET2_T3_PNSF_ISK_E10value_typeET4_T5_PSP_SQ_PNS1_23onesweep_lookback_stateEbbT6_jjT7_P12ihipStream_tbENKUlT_T0_SE_SJ_E_clIS8_S8_S9_S9_EEDaSX_SY_SE_SJ_EUlSX_E_NS1_11comp_targetILNS1_3genE2ELNS1_11target_archE906ELNS1_3gpuE6ELNS1_3repE0EEENS1_47radix_sort_onesweep_sort_config_static_selectorELNS0_4arch9wavefront6targetE1EEEvSE_
; %bb.0:
	.section	.rodata,"a",@progbits
	.p2align	6, 0x0
	.amdhsa_kernel _ZN7rocprim17ROCPRIM_400000_NS6detail17trampoline_kernelINS0_14default_configENS1_35radix_sort_onesweep_config_selectorIjNS0_10empty_typeEEEZZNS1_29radix_sort_onesweep_iterationIS3_Lb0EPjS8_PS5_S9_mNS0_19identity_decomposerENS1_16block_id_wrapperIjLb1EEEEE10hipError_tT1_PNSt15iterator_traitsISE_E10value_typeET2_T3_PNSF_ISK_E10value_typeET4_T5_PSP_SQ_PNS1_23onesweep_lookback_stateEbbT6_jjT7_P12ihipStream_tbENKUlT_T0_SE_SJ_E_clIS8_S8_S9_S9_EEDaSX_SY_SE_SJ_EUlSX_E_NS1_11comp_targetILNS1_3genE2ELNS1_11target_archE906ELNS1_3gpuE6ELNS1_3repE0EEENS1_47radix_sort_onesweep_sort_config_static_selectorELNS0_4arch9wavefront6targetE1EEEvSE_
		.amdhsa_group_segment_fixed_size 0
		.amdhsa_private_segment_fixed_size 0
		.amdhsa_kernarg_size 88
		.amdhsa_user_sgpr_count 6
		.amdhsa_user_sgpr_private_segment_buffer 1
		.amdhsa_user_sgpr_dispatch_ptr 0
		.amdhsa_user_sgpr_queue_ptr 0
		.amdhsa_user_sgpr_kernarg_segment_ptr 1
		.amdhsa_user_sgpr_dispatch_id 0
		.amdhsa_user_sgpr_flat_scratch_init 0
		.amdhsa_user_sgpr_kernarg_preload_length 0
		.amdhsa_user_sgpr_kernarg_preload_offset 0
		.amdhsa_user_sgpr_private_segment_size 0
		.amdhsa_uses_dynamic_stack 0
		.amdhsa_system_sgpr_private_segment_wavefront_offset 0
		.amdhsa_system_sgpr_workgroup_id_x 1
		.amdhsa_system_sgpr_workgroup_id_y 0
		.amdhsa_system_sgpr_workgroup_id_z 0
		.amdhsa_system_sgpr_workgroup_info 0
		.amdhsa_system_vgpr_workitem_id 0
		.amdhsa_next_free_vgpr 1
		.amdhsa_next_free_sgpr 0
		.amdhsa_accum_offset 4
		.amdhsa_reserve_vcc 0
		.amdhsa_reserve_flat_scratch 0
		.amdhsa_float_round_mode_32 0
		.amdhsa_float_round_mode_16_64 0
		.amdhsa_float_denorm_mode_32 3
		.amdhsa_float_denorm_mode_16_64 3
		.amdhsa_dx10_clamp 1
		.amdhsa_ieee_mode 1
		.amdhsa_fp16_overflow 0
		.amdhsa_tg_split 0
		.amdhsa_exception_fp_ieee_invalid_op 0
		.amdhsa_exception_fp_denorm_src 0
		.amdhsa_exception_fp_ieee_div_zero 0
		.amdhsa_exception_fp_ieee_overflow 0
		.amdhsa_exception_fp_ieee_underflow 0
		.amdhsa_exception_fp_ieee_inexact 0
		.amdhsa_exception_int_div_zero 0
	.end_amdhsa_kernel
	.section	.text._ZN7rocprim17ROCPRIM_400000_NS6detail17trampoline_kernelINS0_14default_configENS1_35radix_sort_onesweep_config_selectorIjNS0_10empty_typeEEEZZNS1_29radix_sort_onesweep_iterationIS3_Lb0EPjS8_PS5_S9_mNS0_19identity_decomposerENS1_16block_id_wrapperIjLb1EEEEE10hipError_tT1_PNSt15iterator_traitsISE_E10value_typeET2_T3_PNSF_ISK_E10value_typeET4_T5_PSP_SQ_PNS1_23onesweep_lookback_stateEbbT6_jjT7_P12ihipStream_tbENKUlT_T0_SE_SJ_E_clIS8_S8_S9_S9_EEDaSX_SY_SE_SJ_EUlSX_E_NS1_11comp_targetILNS1_3genE2ELNS1_11target_archE906ELNS1_3gpuE6ELNS1_3repE0EEENS1_47radix_sort_onesweep_sort_config_static_selectorELNS0_4arch9wavefront6targetE1EEEvSE_,"axG",@progbits,_ZN7rocprim17ROCPRIM_400000_NS6detail17trampoline_kernelINS0_14default_configENS1_35radix_sort_onesweep_config_selectorIjNS0_10empty_typeEEEZZNS1_29radix_sort_onesweep_iterationIS3_Lb0EPjS8_PS5_S9_mNS0_19identity_decomposerENS1_16block_id_wrapperIjLb1EEEEE10hipError_tT1_PNSt15iterator_traitsISE_E10value_typeET2_T3_PNSF_ISK_E10value_typeET4_T5_PSP_SQ_PNS1_23onesweep_lookback_stateEbbT6_jjT7_P12ihipStream_tbENKUlT_T0_SE_SJ_E_clIS8_S8_S9_S9_EEDaSX_SY_SE_SJ_EUlSX_E_NS1_11comp_targetILNS1_3genE2ELNS1_11target_archE906ELNS1_3gpuE6ELNS1_3repE0EEENS1_47radix_sort_onesweep_sort_config_static_selectorELNS0_4arch9wavefront6targetE1EEEvSE_,comdat
.Lfunc_end763:
	.size	_ZN7rocprim17ROCPRIM_400000_NS6detail17trampoline_kernelINS0_14default_configENS1_35radix_sort_onesweep_config_selectorIjNS0_10empty_typeEEEZZNS1_29radix_sort_onesweep_iterationIS3_Lb0EPjS8_PS5_S9_mNS0_19identity_decomposerENS1_16block_id_wrapperIjLb1EEEEE10hipError_tT1_PNSt15iterator_traitsISE_E10value_typeET2_T3_PNSF_ISK_E10value_typeET4_T5_PSP_SQ_PNS1_23onesweep_lookback_stateEbbT6_jjT7_P12ihipStream_tbENKUlT_T0_SE_SJ_E_clIS8_S8_S9_S9_EEDaSX_SY_SE_SJ_EUlSX_E_NS1_11comp_targetILNS1_3genE2ELNS1_11target_archE906ELNS1_3gpuE6ELNS1_3repE0EEENS1_47radix_sort_onesweep_sort_config_static_selectorELNS0_4arch9wavefront6targetE1EEEvSE_, .Lfunc_end763-_ZN7rocprim17ROCPRIM_400000_NS6detail17trampoline_kernelINS0_14default_configENS1_35radix_sort_onesweep_config_selectorIjNS0_10empty_typeEEEZZNS1_29radix_sort_onesweep_iterationIS3_Lb0EPjS8_PS5_S9_mNS0_19identity_decomposerENS1_16block_id_wrapperIjLb1EEEEE10hipError_tT1_PNSt15iterator_traitsISE_E10value_typeET2_T3_PNSF_ISK_E10value_typeET4_T5_PSP_SQ_PNS1_23onesweep_lookback_stateEbbT6_jjT7_P12ihipStream_tbENKUlT_T0_SE_SJ_E_clIS8_S8_S9_S9_EEDaSX_SY_SE_SJ_EUlSX_E_NS1_11comp_targetILNS1_3genE2ELNS1_11target_archE906ELNS1_3gpuE6ELNS1_3repE0EEENS1_47radix_sort_onesweep_sort_config_static_selectorELNS0_4arch9wavefront6targetE1EEEvSE_
                                        ; -- End function
	.section	.AMDGPU.csdata,"",@progbits
; Kernel info:
; codeLenInByte = 0
; NumSgprs: 4
; NumVgprs: 0
; NumAgprs: 0
; TotalNumVgprs: 0
; ScratchSize: 0
; MemoryBound: 0
; FloatMode: 240
; IeeeMode: 1
; LDSByteSize: 0 bytes/workgroup (compile time only)
; SGPRBlocks: 0
; VGPRBlocks: 0
; NumSGPRsForWavesPerEU: 4
; NumVGPRsForWavesPerEU: 1
; AccumOffset: 4
; Occupancy: 8
; WaveLimiterHint : 0
; COMPUTE_PGM_RSRC2:SCRATCH_EN: 0
; COMPUTE_PGM_RSRC2:USER_SGPR: 6
; COMPUTE_PGM_RSRC2:TRAP_HANDLER: 0
; COMPUTE_PGM_RSRC2:TGID_X_EN: 1
; COMPUTE_PGM_RSRC2:TGID_Y_EN: 0
; COMPUTE_PGM_RSRC2:TGID_Z_EN: 0
; COMPUTE_PGM_RSRC2:TIDIG_COMP_CNT: 0
; COMPUTE_PGM_RSRC3_GFX90A:ACCUM_OFFSET: 0
; COMPUTE_PGM_RSRC3_GFX90A:TG_SPLIT: 0
	.section	.text._ZN7rocprim17ROCPRIM_400000_NS6detail17trampoline_kernelINS0_14default_configENS1_35radix_sort_onesweep_config_selectorIjNS0_10empty_typeEEEZZNS1_29radix_sort_onesweep_iterationIS3_Lb0EPjS8_PS5_S9_mNS0_19identity_decomposerENS1_16block_id_wrapperIjLb1EEEEE10hipError_tT1_PNSt15iterator_traitsISE_E10value_typeET2_T3_PNSF_ISK_E10value_typeET4_T5_PSP_SQ_PNS1_23onesweep_lookback_stateEbbT6_jjT7_P12ihipStream_tbENKUlT_T0_SE_SJ_E_clIS8_S8_S9_S9_EEDaSX_SY_SE_SJ_EUlSX_E_NS1_11comp_targetILNS1_3genE4ELNS1_11target_archE910ELNS1_3gpuE8ELNS1_3repE0EEENS1_47radix_sort_onesweep_sort_config_static_selectorELNS0_4arch9wavefront6targetE1EEEvSE_,"axG",@progbits,_ZN7rocprim17ROCPRIM_400000_NS6detail17trampoline_kernelINS0_14default_configENS1_35radix_sort_onesweep_config_selectorIjNS0_10empty_typeEEEZZNS1_29radix_sort_onesweep_iterationIS3_Lb0EPjS8_PS5_S9_mNS0_19identity_decomposerENS1_16block_id_wrapperIjLb1EEEEE10hipError_tT1_PNSt15iterator_traitsISE_E10value_typeET2_T3_PNSF_ISK_E10value_typeET4_T5_PSP_SQ_PNS1_23onesweep_lookback_stateEbbT6_jjT7_P12ihipStream_tbENKUlT_T0_SE_SJ_E_clIS8_S8_S9_S9_EEDaSX_SY_SE_SJ_EUlSX_E_NS1_11comp_targetILNS1_3genE4ELNS1_11target_archE910ELNS1_3gpuE8ELNS1_3repE0EEENS1_47radix_sort_onesweep_sort_config_static_selectorELNS0_4arch9wavefront6targetE1EEEvSE_,comdat
	.protected	_ZN7rocprim17ROCPRIM_400000_NS6detail17trampoline_kernelINS0_14default_configENS1_35radix_sort_onesweep_config_selectorIjNS0_10empty_typeEEEZZNS1_29radix_sort_onesweep_iterationIS3_Lb0EPjS8_PS5_S9_mNS0_19identity_decomposerENS1_16block_id_wrapperIjLb1EEEEE10hipError_tT1_PNSt15iterator_traitsISE_E10value_typeET2_T3_PNSF_ISK_E10value_typeET4_T5_PSP_SQ_PNS1_23onesweep_lookback_stateEbbT6_jjT7_P12ihipStream_tbENKUlT_T0_SE_SJ_E_clIS8_S8_S9_S9_EEDaSX_SY_SE_SJ_EUlSX_E_NS1_11comp_targetILNS1_3genE4ELNS1_11target_archE910ELNS1_3gpuE8ELNS1_3repE0EEENS1_47radix_sort_onesweep_sort_config_static_selectorELNS0_4arch9wavefront6targetE1EEEvSE_ ; -- Begin function _ZN7rocprim17ROCPRIM_400000_NS6detail17trampoline_kernelINS0_14default_configENS1_35radix_sort_onesweep_config_selectorIjNS0_10empty_typeEEEZZNS1_29radix_sort_onesweep_iterationIS3_Lb0EPjS8_PS5_S9_mNS0_19identity_decomposerENS1_16block_id_wrapperIjLb1EEEEE10hipError_tT1_PNSt15iterator_traitsISE_E10value_typeET2_T3_PNSF_ISK_E10value_typeET4_T5_PSP_SQ_PNS1_23onesweep_lookback_stateEbbT6_jjT7_P12ihipStream_tbENKUlT_T0_SE_SJ_E_clIS8_S8_S9_S9_EEDaSX_SY_SE_SJ_EUlSX_E_NS1_11comp_targetILNS1_3genE4ELNS1_11target_archE910ELNS1_3gpuE8ELNS1_3repE0EEENS1_47radix_sort_onesweep_sort_config_static_selectorELNS0_4arch9wavefront6targetE1EEEvSE_
	.globl	_ZN7rocprim17ROCPRIM_400000_NS6detail17trampoline_kernelINS0_14default_configENS1_35radix_sort_onesweep_config_selectorIjNS0_10empty_typeEEEZZNS1_29radix_sort_onesweep_iterationIS3_Lb0EPjS8_PS5_S9_mNS0_19identity_decomposerENS1_16block_id_wrapperIjLb1EEEEE10hipError_tT1_PNSt15iterator_traitsISE_E10value_typeET2_T3_PNSF_ISK_E10value_typeET4_T5_PSP_SQ_PNS1_23onesweep_lookback_stateEbbT6_jjT7_P12ihipStream_tbENKUlT_T0_SE_SJ_E_clIS8_S8_S9_S9_EEDaSX_SY_SE_SJ_EUlSX_E_NS1_11comp_targetILNS1_3genE4ELNS1_11target_archE910ELNS1_3gpuE8ELNS1_3repE0EEENS1_47radix_sort_onesweep_sort_config_static_selectorELNS0_4arch9wavefront6targetE1EEEvSE_
	.p2align	8
	.type	_ZN7rocprim17ROCPRIM_400000_NS6detail17trampoline_kernelINS0_14default_configENS1_35radix_sort_onesweep_config_selectorIjNS0_10empty_typeEEEZZNS1_29radix_sort_onesweep_iterationIS3_Lb0EPjS8_PS5_S9_mNS0_19identity_decomposerENS1_16block_id_wrapperIjLb1EEEEE10hipError_tT1_PNSt15iterator_traitsISE_E10value_typeET2_T3_PNSF_ISK_E10value_typeET4_T5_PSP_SQ_PNS1_23onesweep_lookback_stateEbbT6_jjT7_P12ihipStream_tbENKUlT_T0_SE_SJ_E_clIS8_S8_S9_S9_EEDaSX_SY_SE_SJ_EUlSX_E_NS1_11comp_targetILNS1_3genE4ELNS1_11target_archE910ELNS1_3gpuE8ELNS1_3repE0EEENS1_47radix_sort_onesweep_sort_config_static_selectorELNS0_4arch9wavefront6targetE1EEEvSE_,@function
_ZN7rocprim17ROCPRIM_400000_NS6detail17trampoline_kernelINS0_14default_configENS1_35radix_sort_onesweep_config_selectorIjNS0_10empty_typeEEEZZNS1_29radix_sort_onesweep_iterationIS3_Lb0EPjS8_PS5_S9_mNS0_19identity_decomposerENS1_16block_id_wrapperIjLb1EEEEE10hipError_tT1_PNSt15iterator_traitsISE_E10value_typeET2_T3_PNSF_ISK_E10value_typeET4_T5_PSP_SQ_PNS1_23onesweep_lookback_stateEbbT6_jjT7_P12ihipStream_tbENKUlT_T0_SE_SJ_E_clIS8_S8_S9_S9_EEDaSX_SY_SE_SJ_EUlSX_E_NS1_11comp_targetILNS1_3genE4ELNS1_11target_archE910ELNS1_3gpuE8ELNS1_3repE0EEENS1_47radix_sort_onesweep_sort_config_static_selectorELNS0_4arch9wavefront6targetE1EEEvSE_: ; @_ZN7rocprim17ROCPRIM_400000_NS6detail17trampoline_kernelINS0_14default_configENS1_35radix_sort_onesweep_config_selectorIjNS0_10empty_typeEEEZZNS1_29radix_sort_onesweep_iterationIS3_Lb0EPjS8_PS5_S9_mNS0_19identity_decomposerENS1_16block_id_wrapperIjLb1EEEEE10hipError_tT1_PNSt15iterator_traitsISE_E10value_typeET2_T3_PNSF_ISK_E10value_typeET4_T5_PSP_SQ_PNS1_23onesweep_lookback_stateEbbT6_jjT7_P12ihipStream_tbENKUlT_T0_SE_SJ_E_clIS8_S8_S9_S9_EEDaSX_SY_SE_SJ_EUlSX_E_NS1_11comp_targetILNS1_3genE4ELNS1_11target_archE910ELNS1_3gpuE8ELNS1_3repE0EEENS1_47radix_sort_onesweep_sort_config_static_selectorELNS0_4arch9wavefront6targetE1EEEvSE_
; %bb.0:
	s_load_dwordx4 s[16:19], s[4:5], 0x28
	s_load_dwordx2 s[14:15], s[4:5], 0x38
	s_load_dwordx4 s[20:23], s[4:5], 0x44
	v_and_b32_e32 v2, 0x3ff, v0
	v_cmp_eq_u32_e64 s[0:1], 0, v2
	s_and_saveexec_b64 s[2:3], s[0:1]
	s_cbranch_execz .LBB764_4
; %bb.1:
	s_mov_b64 s[10:11], exec
	v_mbcnt_lo_u32_b32 v1, s10, 0
	v_mbcnt_hi_u32_b32 v1, s11, v1
	v_cmp_eq_u32_e32 vcc, 0, v1
                                        ; implicit-def: $vgpr3
	s_and_saveexec_b64 s[8:9], vcc
	s_cbranch_execz .LBB764_3
; %bb.2:
	s_load_dwordx2 s[12:13], s[4:5], 0x50
	s_bcnt1_i32_b64 s7, s[10:11]
	v_mov_b32_e32 v3, 0
	v_mov_b32_e32 v4, s7
	s_waitcnt lgkmcnt(0)
	global_atomic_add v3, v3, v4, s[12:13] glc
.LBB764_3:
	s_or_b64 exec, exec, s[8:9]
	s_waitcnt vmcnt(0)
	v_readfirstlane_b32 s7, v3
	v_add_u32_e32 v1, s7, v1
	v_mov_b32_e32 v3, 0
	ds_write_b32 v3, v1 offset:20544
.LBB764_4:
	s_or_b64 exec, exec, s[2:3]
	v_mov_b32_e32 v1, 0
	s_load_dwordx4 s[24:27], s[4:5], 0x0
	s_load_dword s2, s[4:5], 0x20
	s_waitcnt lgkmcnt(0)
	s_barrier
	ds_read_b32 v1, v1 offset:20544
	v_mbcnt_lo_u32_b32 v12, -1, 0
	s_waitcnt lgkmcnt(0)
	s_barrier
	v_readfirstlane_b32 s30, v1
	v_cmp_le_u32_e32 vcc, s22, v1
	s_mul_i32 s28, s30, 0x3000
	s_cbranch_vccz .LBB764_85
; %bb.5:
	s_mul_i32 s7, s22, 0xffffd000
	s_mov_b32 s29, 0
	s_add_i32 s7, s7, s2
	s_lshl_b64 s[2:3], s[28:29], 2
	v_mbcnt_hi_u32_b32 v1, -1, v12
	s_add_u32 s2, s24, s2
	v_and_b32_e32 v3, 63, v1
	v_and_b32_e32 v4, 0x3c0, v2
	s_addc_u32 s3, s25, s3
	v_mul_u32_u24_e32 v6, 12, v4
	v_lshlrev_b32_e32 v4, 2, v3
	v_mov_b32_e32 v5, s3
	v_add_co_u32_e32 v4, vcc, s2, v4
	v_addc_co_u32_e32 v5, vcc, 0, v5, vcc
	v_lshlrev_b32_e32 v7, 2, v6
	v_add_co_u32_e32 v4, vcc, v4, v7
	v_addc_co_u32_e32 v5, vcc, 0, v5, vcc
	v_or_b32_e32 v3, v3, v6
	v_cmp_gt_u32_e32 vcc, s7, v3
	v_mov_b32_e32 v13, -1
	v_mov_b32_e32 v14, -1
	s_and_saveexec_b64 s[2:3], vcc
	s_cbranch_execz .LBB764_7
; %bb.6:
	global_load_dword v14, v[4:5], off
.LBB764_7:
	s_or_b64 exec, exec, s[2:3]
	v_or_b32_e32 v6, 64, v3
	v_cmp_gt_u32_e32 vcc, s7, v6
	v_mov_b32_e32 v15, -1
	s_and_saveexec_b64 s[2:3], vcc
	s_cbranch_execz .LBB764_9
; %bb.8:
	global_load_dword v15, v[4:5], off offset:256
.LBB764_9:
	s_or_b64 exec, exec, s[2:3]
	v_or_b32_e32 v6, 0x80, v3
	v_cmp_gt_u32_e32 vcc, s7, v6
	s_and_saveexec_b64 s[2:3], vcc
	s_cbranch_execz .LBB764_11
; %bb.10:
	global_load_dword v13, v[4:5], off offset:512
.LBB764_11:
	s_or_b64 exec, exec, s[2:3]
	v_or_b32_e32 v6, 0xc0, v3
	v_cmp_gt_u32_e32 vcc, s7, v6
	v_mov_b32_e32 v16, -1
	v_mov_b32_e32 v17, -1
	s_and_saveexec_b64 s[2:3], vcc
	s_cbranch_execz .LBB764_13
; %bb.12:
	global_load_dword v17, v[4:5], off offset:768
.LBB764_13:
	s_or_b64 exec, exec, s[2:3]
	v_add_u32_e32 v6, 0x100, v3
	v_cmp_gt_u32_e32 vcc, s7, v6
	s_and_saveexec_b64 s[2:3], vcc
	s_cbranch_execz .LBB764_15
; %bb.14:
	global_load_dword v16, v[4:5], off offset:1024
.LBB764_15:
	s_or_b64 exec, exec, s[2:3]
	v_add_u32_e32 v6, 0x140, v3
	v_cmp_gt_u32_e32 vcc, s7, v6
	v_mov_b32_e32 v18, -1
	v_mov_b32_e32 v19, -1
	s_and_saveexec_b64 s[2:3], vcc
	s_cbranch_execz .LBB764_17
; %bb.16:
	global_load_dword v19, v[4:5], off offset:1280
.LBB764_17:
	s_or_b64 exec, exec, s[2:3]
	v_add_u32_e32 v6, 0x180, v3
	v_cmp_gt_u32_e32 vcc, s7, v6
	s_and_saveexec_b64 s[2:3], vcc
	s_cbranch_execz .LBB764_19
; %bb.18:
	global_load_dword v18, v[4:5], off offset:1536
.LBB764_19:
	s_or_b64 exec, exec, s[2:3]
	v_add_u32_e32 v6, 0x1c0, v3
	;; [unrolled: 18-line block ×4, first 2 shown]
	v_cmp_gt_u32_e32 vcc, s7, v3
	v_mov_b32_e32 v24, -1
	s_and_saveexec_b64 s[2:3], vcc
	s_cbranch_execz .LBB764_29
; %bb.28:
	global_load_dword v24, v[4:5], off offset:2816
.LBB764_29:
	s_or_b64 exec, exec, s[2:3]
	s_load_dword s2, s[4:5], 0x64
	s_load_dword s29, s[4:5], 0x58
	s_add_u32 s3, s4, 0x58
	s_addc_u32 s8, s5, 0
	v_mov_b32_e32 v4, 0
	s_waitcnt lgkmcnt(0)
	s_lshr_b32 s9, s2, 16
	s_cmp_lt_u32 s6, s29
	s_cselect_b32 s2, 12, 18
	s_add_u32 s2, s3, s2
	s_addc_u32 s3, s8, 0
	global_load_ushort v6, v4, s[2:3]
	s_lshl_b32 s2, -1, s21
	s_waitcnt vmcnt(1)
	v_lshrrev_b32_e32 v8, s20, v14
	s_not_b32 s31, s2
	v_and_b32_e32 v8, s31, v8
	v_and_b32_e32 v10, 1, v8
	v_bfe_u32 v5, v0, 10, 10
	v_bfe_u32 v7, v0, 20, 10
	v_add_co_u32_e32 v11, vcc, -1, v10
	v_mad_u32_u24 v7, v7, s9, v5
	v_lshlrev_b32_e32 v5, 30, v8
	v_addc_co_u32_e64 v25, s[2:3], 0, -1, vcc
	v_cmp_ne_u32_e32 vcc, 0, v10
	v_cmp_gt_i64_e64 s[2:3], 0, v[4:5]
	v_not_b32_e32 v10, v5
	v_lshlrev_b32_e32 v5, 29, v8
	v_xor_b32_e32 v25, vcc_hi, v25
	v_xor_b32_e32 v11, vcc_lo, v11
	v_ashrrev_i32_e32 v10, 31, v10
	v_cmp_gt_i64_e32 vcc, 0, v[4:5]
	v_not_b32_e32 v26, v5
	v_lshlrev_b32_e32 v5, 28, v8
	v_and_b32_e32 v25, exec_hi, v25
	v_and_b32_e32 v11, exec_lo, v11
	v_xor_b32_e32 v27, s3, v10
	v_xor_b32_e32 v10, s2, v10
	v_ashrrev_i32_e32 v26, 31, v26
	v_cmp_gt_i64_e64 s[2:3], 0, v[4:5]
	v_not_b32_e32 v28, v5
	v_lshlrev_b32_e32 v5, 27, v8
	v_and_b32_e32 v25, v25, v27
	v_and_b32_e32 v10, v11, v10
	v_xor_b32_e32 v11, vcc_hi, v26
	v_xor_b32_e32 v26, vcc_lo, v26
	v_ashrrev_i32_e32 v27, 31, v28
	v_cmp_gt_i64_e32 vcc, 0, v[4:5]
	v_not_b32_e32 v28, v5
	v_lshlrev_b32_e32 v5, 26, v8
	v_and_b32_e32 v11, v25, v11
	v_and_b32_e32 v10, v10, v26
	v_xor_b32_e32 v25, s3, v27
	v_xor_b32_e32 v26, s2, v27
	v_ashrrev_i32_e32 v27, 31, v28
	v_cmp_gt_i64_e64 s[2:3], 0, v[4:5]
	v_not_b32_e32 v28, v5
	v_lshlrev_b32_e32 v5, 25, v8
	v_mul_u32_u24_e32 v3, 5, v2
	v_and_b32_e32 v11, v11, v25
	v_and_b32_e32 v10, v10, v26
	v_xor_b32_e32 v25, vcc_hi, v27
	v_xor_b32_e32 v26, vcc_lo, v27
	v_ashrrev_i32_e32 v27, 31, v28
	v_cmp_gt_i64_e32 vcc, 0, v[4:5]
	v_not_b32_e32 v28, v5
	v_lshlrev_b32_e32 v5, 24, v8
	v_lshlrev_b32_e32 v3, 2, v3
	v_lshl_add_u32 v9, v8, 4, v8
	v_and_b32_e32 v8, v11, v25
	v_and_b32_e32 v10, v10, v26
	v_xor_b32_e32 v11, s3, v27
	v_xor_b32_e32 v25, s2, v27
	v_ashrrev_i32_e32 v26, 31, v28
	v_cmp_gt_i64_e64 s[2:3], 0, v[4:5]
	v_not_b32_e32 v5, v5
	v_and_b32_e32 v8, v8, v11
	v_and_b32_e32 v10, v10, v25
	v_xor_b32_e32 v11, vcc_hi, v26
	v_xor_b32_e32 v25, vcc_lo, v26
	v_ashrrev_i32_e32 v5, 31, v5
	v_and_b32_e32 v26, v8, v11
	v_and_b32_e32 v10, v10, v25
	ds_write2_b32 v3, v4, v4 offset0:16 offset1:17
	ds_write2_b32 v3, v4, v4 offset0:18 offset1:19
	ds_write_b32 v3, v4 offset:80
	s_waitcnt lgkmcnt(0)
	s_barrier
	s_waitcnt lgkmcnt(0)
	; wave barrier
	s_waitcnt vmcnt(0)
	v_mad_u64_u32 v[6:7], s[8:9], v7, v6, v[2:3]
	v_lshrrev_b32_e32 v11, 6, v6
	v_xor_b32_e32 v6, s3, v5
	v_xor_b32_e32 v5, s2, v5
	v_and_b32_e32 v7, v26, v6
	v_and_b32_e32 v6, v10, v5
	v_mbcnt_lo_u32_b32 v5, v6, 0
	v_mbcnt_hi_u32_b32 v25, v7, v5
	v_cmp_eq_u32_e32 vcc, 0, v25
	v_cmp_ne_u64_e64 s[2:3], 0, v[6:7]
	v_add_lshl_u32 v8, v11, v9, 2
	s_and_b64 s[8:9], s[2:3], vcc
	s_and_saveexec_b64 s[2:3], s[8:9]
	s_cbranch_execz .LBB764_31
; %bb.30:
	v_bcnt_u32_b32 v5, v6, 0
	v_bcnt_u32_b32 v5, v7, v5
	ds_write_b32 v8, v5 offset:64
.LBB764_31:
	s_or_b64 exec, exec, s[2:3]
	v_lshrrev_b32_e32 v5, s20, v15
	v_and_b32_e32 v6, s31, v5
	v_lshl_add_u32 v5, v6, 4, v6
	v_add_lshl_u32 v9, v11, v5, 2
	v_and_b32_e32 v5, 1, v6
	v_add_co_u32_e32 v7, vcc, -1, v5
	v_addc_co_u32_e64 v10, s[2:3], 0, -1, vcc
	v_cmp_ne_u32_e32 vcc, 0, v5
	v_xor_b32_e32 v5, vcc_hi, v10
	v_and_b32_e32 v10, exec_hi, v5
	v_lshlrev_b32_e32 v5, 30, v6
	v_xor_b32_e32 v7, vcc_lo, v7
	v_cmp_gt_i64_e32 vcc, 0, v[4:5]
	v_not_b32_e32 v5, v5
	v_ashrrev_i32_e32 v5, 31, v5
	v_and_b32_e32 v7, exec_lo, v7
	v_xor_b32_e32 v27, vcc_hi, v5
	v_xor_b32_e32 v5, vcc_lo, v5
	v_and_b32_e32 v7, v7, v5
	v_lshlrev_b32_e32 v5, 29, v6
	v_cmp_gt_i64_e32 vcc, 0, v[4:5]
	v_not_b32_e32 v5, v5
	v_ashrrev_i32_e32 v5, 31, v5
	v_and_b32_e32 v10, v10, v27
	v_xor_b32_e32 v27, vcc_hi, v5
	v_xor_b32_e32 v5, vcc_lo, v5
	v_and_b32_e32 v7, v7, v5
	v_lshlrev_b32_e32 v5, 28, v6
	v_cmp_gt_i64_e32 vcc, 0, v[4:5]
	v_not_b32_e32 v5, v5
	v_ashrrev_i32_e32 v5, 31, v5
	v_and_b32_e32 v10, v10, v27
	;; [unrolled: 8-line block ×5, first 2 shown]
	v_xor_b32_e32 v27, vcc_hi, v5
	v_xor_b32_e32 v5, vcc_lo, v5
	v_and_b32_e32 v7, v7, v5
	v_lshlrev_b32_e32 v5, 24, v6
	v_cmp_gt_i64_e32 vcc, 0, v[4:5]
	v_not_b32_e32 v4, v5
	v_ashrrev_i32_e32 v4, 31, v4
	v_xor_b32_e32 v5, vcc_hi, v4
	v_xor_b32_e32 v4, vcc_lo, v4
	; wave barrier
	ds_read_b32 v26, v9 offset:64
	v_and_b32_e32 v10, v10, v27
	v_and_b32_e32 v4, v7, v4
	;; [unrolled: 1-line block ×3, first 2 shown]
	v_mbcnt_lo_u32_b32 v6, v4, 0
	v_mbcnt_hi_u32_b32 v27, v5, v6
	v_cmp_eq_u32_e32 vcc, 0, v27
	v_cmp_ne_u64_e64 s[2:3], 0, v[4:5]
	s_and_b64 s[8:9], s[2:3], vcc
	; wave barrier
	s_and_saveexec_b64 s[2:3], s[8:9]
	s_cbranch_execz .LBB764_33
; %bb.32:
	v_bcnt_u32_b32 v4, v4, 0
	v_bcnt_u32_b32 v4, v5, v4
	s_waitcnt lgkmcnt(0)
	v_add_u32_e32 v4, v26, v4
	ds_write_b32 v9, v4 offset:64
.LBB764_33:
	s_or_b64 exec, exec, s[2:3]
	v_lshrrev_b32_e32 v4, s20, v13
	v_and_b32_e32 v6, s31, v4
	v_and_b32_e32 v5, 1, v6
	v_add_co_u32_e32 v7, vcc, -1, v5
	v_addc_co_u32_e64 v29, s[2:3], 0, -1, vcc
	v_cmp_ne_u32_e32 vcc, 0, v5
	v_lshl_add_u32 v4, v6, 4, v6
	v_xor_b32_e32 v5, vcc_hi, v29
	v_add_lshl_u32 v10, v11, v4, 2
	v_mov_b32_e32 v4, 0
	v_and_b32_e32 v29, exec_hi, v5
	v_lshlrev_b32_e32 v5, 30, v6
	v_xor_b32_e32 v7, vcc_lo, v7
	v_cmp_gt_i64_e32 vcc, 0, v[4:5]
	v_not_b32_e32 v5, v5
	v_ashrrev_i32_e32 v5, 31, v5
	v_and_b32_e32 v7, exec_lo, v7
	v_xor_b32_e32 v30, vcc_hi, v5
	v_xor_b32_e32 v5, vcc_lo, v5
	v_and_b32_e32 v7, v7, v5
	v_lshlrev_b32_e32 v5, 29, v6
	v_cmp_gt_i64_e32 vcc, 0, v[4:5]
	v_not_b32_e32 v5, v5
	v_ashrrev_i32_e32 v5, 31, v5
	v_and_b32_e32 v29, v29, v30
	v_xor_b32_e32 v30, vcc_hi, v5
	v_xor_b32_e32 v5, vcc_lo, v5
	v_and_b32_e32 v7, v7, v5
	v_lshlrev_b32_e32 v5, 28, v6
	v_cmp_gt_i64_e32 vcc, 0, v[4:5]
	v_not_b32_e32 v5, v5
	v_ashrrev_i32_e32 v5, 31, v5
	v_and_b32_e32 v29, v29, v30
	;; [unrolled: 8-line block ×5, first 2 shown]
	v_xor_b32_e32 v30, vcc_hi, v5
	v_xor_b32_e32 v5, vcc_lo, v5
	v_and_b32_e32 v29, v29, v30
	v_and_b32_e32 v30, v7, v5
	v_lshlrev_b32_e32 v5, 24, v6
	v_cmp_gt_i64_e32 vcc, 0, v[4:5]
	v_not_b32_e32 v5, v5
	v_ashrrev_i32_e32 v5, 31, v5
	v_xor_b32_e32 v6, vcc_hi, v5
	v_xor_b32_e32 v5, vcc_lo, v5
	; wave barrier
	ds_read_b32 v28, v10 offset:64
	v_and_b32_e32 v7, v29, v6
	v_and_b32_e32 v6, v30, v5
	v_mbcnt_lo_u32_b32 v5, v6, 0
	v_mbcnt_hi_u32_b32 v29, v7, v5
	v_cmp_eq_u32_e32 vcc, 0, v29
	v_cmp_ne_u64_e64 s[2:3], 0, v[6:7]
	s_and_b64 s[8:9], s[2:3], vcc
	; wave barrier
	s_and_saveexec_b64 s[2:3], s[8:9]
	s_cbranch_execz .LBB764_35
; %bb.34:
	v_bcnt_u32_b32 v5, v6, 0
	v_bcnt_u32_b32 v5, v7, v5
	s_waitcnt lgkmcnt(0)
	v_add_u32_e32 v5, v28, v5
	ds_write_b32 v10, v5 offset:64
.LBB764_35:
	s_or_b64 exec, exec, s[2:3]
	v_lshrrev_b32_e32 v5, s20, v17
	v_and_b32_e32 v6, s31, v5
	v_lshl_add_u32 v5, v6, 4, v6
	v_add_lshl_u32 v34, v11, v5, 2
	v_and_b32_e32 v5, 1, v6
	v_add_co_u32_e32 v7, vcc, -1, v5
	v_addc_co_u32_e64 v31, s[2:3], 0, -1, vcc
	v_cmp_ne_u32_e32 vcc, 0, v5
	v_xor_b32_e32 v5, vcc_hi, v31
	v_and_b32_e32 v31, exec_hi, v5
	v_lshlrev_b32_e32 v5, 30, v6
	v_xor_b32_e32 v7, vcc_lo, v7
	v_cmp_gt_i64_e32 vcc, 0, v[4:5]
	v_not_b32_e32 v5, v5
	v_ashrrev_i32_e32 v5, 31, v5
	v_and_b32_e32 v7, exec_lo, v7
	v_xor_b32_e32 v32, vcc_hi, v5
	v_xor_b32_e32 v5, vcc_lo, v5
	v_and_b32_e32 v7, v7, v5
	v_lshlrev_b32_e32 v5, 29, v6
	v_cmp_gt_i64_e32 vcc, 0, v[4:5]
	v_not_b32_e32 v5, v5
	v_ashrrev_i32_e32 v5, 31, v5
	v_and_b32_e32 v31, v31, v32
	v_xor_b32_e32 v32, vcc_hi, v5
	v_xor_b32_e32 v5, vcc_lo, v5
	v_and_b32_e32 v7, v7, v5
	v_lshlrev_b32_e32 v5, 28, v6
	v_cmp_gt_i64_e32 vcc, 0, v[4:5]
	v_not_b32_e32 v5, v5
	v_ashrrev_i32_e32 v5, 31, v5
	v_and_b32_e32 v31, v31, v32
	;; [unrolled: 8-line block ×5, first 2 shown]
	v_xor_b32_e32 v32, vcc_hi, v5
	v_xor_b32_e32 v5, vcc_lo, v5
	v_and_b32_e32 v7, v7, v5
	v_lshlrev_b32_e32 v5, 24, v6
	v_cmp_gt_i64_e32 vcc, 0, v[4:5]
	v_not_b32_e32 v4, v5
	v_ashrrev_i32_e32 v4, 31, v4
	v_xor_b32_e32 v5, vcc_hi, v4
	v_xor_b32_e32 v4, vcc_lo, v4
	; wave barrier
	ds_read_b32 v30, v34 offset:64
	v_and_b32_e32 v31, v31, v32
	v_and_b32_e32 v4, v7, v4
	;; [unrolled: 1-line block ×3, first 2 shown]
	v_mbcnt_lo_u32_b32 v6, v4, 0
	v_mbcnt_hi_u32_b32 v31, v5, v6
	v_cmp_eq_u32_e32 vcc, 0, v31
	v_cmp_ne_u64_e64 s[2:3], 0, v[4:5]
	s_and_b64 s[8:9], s[2:3], vcc
	; wave barrier
	s_and_saveexec_b64 s[2:3], s[8:9]
	s_cbranch_execz .LBB764_37
; %bb.36:
	v_bcnt_u32_b32 v4, v4, 0
	v_bcnt_u32_b32 v4, v5, v4
	s_waitcnt lgkmcnt(0)
	v_add_u32_e32 v4, v30, v4
	ds_write_b32 v34, v4 offset:64
.LBB764_37:
	s_or_b64 exec, exec, s[2:3]
	v_lshrrev_b32_e32 v4, s20, v16
	v_and_b32_e32 v6, s31, v4
	v_and_b32_e32 v5, 1, v6
	v_add_co_u32_e32 v7, vcc, -1, v5
	v_addc_co_u32_e64 v33, s[2:3], 0, -1, vcc
	v_cmp_ne_u32_e32 vcc, 0, v5
	v_lshl_add_u32 v4, v6, 4, v6
	v_xor_b32_e32 v5, vcc_hi, v33
	v_add_lshl_u32 v37, v11, v4, 2
	v_mov_b32_e32 v4, 0
	v_and_b32_e32 v33, exec_hi, v5
	v_lshlrev_b32_e32 v5, 30, v6
	v_xor_b32_e32 v7, vcc_lo, v7
	v_cmp_gt_i64_e32 vcc, 0, v[4:5]
	v_not_b32_e32 v5, v5
	v_ashrrev_i32_e32 v5, 31, v5
	v_and_b32_e32 v7, exec_lo, v7
	v_xor_b32_e32 v35, vcc_hi, v5
	v_xor_b32_e32 v5, vcc_lo, v5
	v_and_b32_e32 v7, v7, v5
	v_lshlrev_b32_e32 v5, 29, v6
	v_cmp_gt_i64_e32 vcc, 0, v[4:5]
	v_not_b32_e32 v5, v5
	v_ashrrev_i32_e32 v5, 31, v5
	v_and_b32_e32 v33, v33, v35
	v_xor_b32_e32 v35, vcc_hi, v5
	v_xor_b32_e32 v5, vcc_lo, v5
	v_and_b32_e32 v7, v7, v5
	v_lshlrev_b32_e32 v5, 28, v6
	v_cmp_gt_i64_e32 vcc, 0, v[4:5]
	v_not_b32_e32 v5, v5
	v_ashrrev_i32_e32 v5, 31, v5
	v_and_b32_e32 v33, v33, v35
	;; [unrolled: 8-line block ×5, first 2 shown]
	v_xor_b32_e32 v35, vcc_hi, v5
	v_xor_b32_e32 v5, vcc_lo, v5
	v_and_b32_e32 v33, v33, v35
	v_and_b32_e32 v35, v7, v5
	v_lshlrev_b32_e32 v5, 24, v6
	v_cmp_gt_i64_e32 vcc, 0, v[4:5]
	v_not_b32_e32 v5, v5
	v_ashrrev_i32_e32 v5, 31, v5
	v_xor_b32_e32 v6, vcc_hi, v5
	v_xor_b32_e32 v5, vcc_lo, v5
	; wave barrier
	ds_read_b32 v32, v37 offset:64
	v_and_b32_e32 v7, v33, v6
	v_and_b32_e32 v6, v35, v5
	v_mbcnt_lo_u32_b32 v5, v6, 0
	v_mbcnt_hi_u32_b32 v33, v7, v5
	v_cmp_eq_u32_e32 vcc, 0, v33
	v_cmp_ne_u64_e64 s[2:3], 0, v[6:7]
	s_and_b64 s[8:9], s[2:3], vcc
	; wave barrier
	s_and_saveexec_b64 s[2:3], s[8:9]
	s_cbranch_execz .LBB764_39
; %bb.38:
	v_bcnt_u32_b32 v5, v6, 0
	v_bcnt_u32_b32 v5, v7, v5
	s_waitcnt lgkmcnt(0)
	v_add_u32_e32 v5, v32, v5
	ds_write_b32 v37, v5 offset:64
.LBB764_39:
	s_or_b64 exec, exec, s[2:3]
	v_lshrrev_b32_e32 v5, s20, v19
	v_and_b32_e32 v6, s31, v5
	v_lshl_add_u32 v5, v6, 4, v6
	v_add_lshl_u32 v40, v11, v5, 2
	v_and_b32_e32 v5, 1, v6
	v_add_co_u32_e32 v7, vcc, -1, v5
	v_addc_co_u32_e64 v36, s[2:3], 0, -1, vcc
	v_cmp_ne_u32_e32 vcc, 0, v5
	v_xor_b32_e32 v5, vcc_hi, v36
	v_and_b32_e32 v36, exec_hi, v5
	v_lshlrev_b32_e32 v5, 30, v6
	v_xor_b32_e32 v7, vcc_lo, v7
	v_cmp_gt_i64_e32 vcc, 0, v[4:5]
	v_not_b32_e32 v5, v5
	v_ashrrev_i32_e32 v5, 31, v5
	v_and_b32_e32 v7, exec_lo, v7
	v_xor_b32_e32 v38, vcc_hi, v5
	v_xor_b32_e32 v5, vcc_lo, v5
	v_and_b32_e32 v7, v7, v5
	v_lshlrev_b32_e32 v5, 29, v6
	v_cmp_gt_i64_e32 vcc, 0, v[4:5]
	v_not_b32_e32 v5, v5
	v_ashrrev_i32_e32 v5, 31, v5
	v_and_b32_e32 v36, v36, v38
	v_xor_b32_e32 v38, vcc_hi, v5
	v_xor_b32_e32 v5, vcc_lo, v5
	v_and_b32_e32 v7, v7, v5
	v_lshlrev_b32_e32 v5, 28, v6
	v_cmp_gt_i64_e32 vcc, 0, v[4:5]
	v_not_b32_e32 v5, v5
	v_ashrrev_i32_e32 v5, 31, v5
	v_and_b32_e32 v36, v36, v38
	;; [unrolled: 8-line block ×5, first 2 shown]
	v_xor_b32_e32 v38, vcc_hi, v5
	v_xor_b32_e32 v5, vcc_lo, v5
	v_and_b32_e32 v7, v7, v5
	v_lshlrev_b32_e32 v5, 24, v6
	v_cmp_gt_i64_e32 vcc, 0, v[4:5]
	v_not_b32_e32 v4, v5
	v_ashrrev_i32_e32 v4, 31, v4
	v_xor_b32_e32 v5, vcc_hi, v4
	v_xor_b32_e32 v4, vcc_lo, v4
	; wave barrier
	ds_read_b32 v35, v40 offset:64
	v_and_b32_e32 v36, v36, v38
	v_and_b32_e32 v4, v7, v4
	;; [unrolled: 1-line block ×3, first 2 shown]
	v_mbcnt_lo_u32_b32 v6, v4, 0
	v_mbcnt_hi_u32_b32 v36, v5, v6
	v_cmp_eq_u32_e32 vcc, 0, v36
	v_cmp_ne_u64_e64 s[2:3], 0, v[4:5]
	s_and_b64 s[8:9], s[2:3], vcc
	; wave barrier
	s_and_saveexec_b64 s[2:3], s[8:9]
	s_cbranch_execz .LBB764_41
; %bb.40:
	v_bcnt_u32_b32 v4, v4, 0
	v_bcnt_u32_b32 v4, v5, v4
	s_waitcnt lgkmcnt(0)
	v_add_u32_e32 v4, v35, v4
	ds_write_b32 v40, v4 offset:64
.LBB764_41:
	s_or_b64 exec, exec, s[2:3]
	v_lshrrev_b32_e32 v4, s20, v18
	v_and_b32_e32 v6, s31, v4
	v_and_b32_e32 v5, 1, v6
	v_add_co_u32_e32 v7, vcc, -1, v5
	v_addc_co_u32_e64 v39, s[2:3], 0, -1, vcc
	v_cmp_ne_u32_e32 vcc, 0, v5
	v_lshl_add_u32 v4, v6, 4, v6
	v_xor_b32_e32 v5, vcc_hi, v39
	v_add_lshl_u32 v43, v11, v4, 2
	v_mov_b32_e32 v4, 0
	v_and_b32_e32 v39, exec_hi, v5
	v_lshlrev_b32_e32 v5, 30, v6
	v_xor_b32_e32 v7, vcc_lo, v7
	v_cmp_gt_i64_e32 vcc, 0, v[4:5]
	v_not_b32_e32 v5, v5
	v_ashrrev_i32_e32 v5, 31, v5
	v_and_b32_e32 v7, exec_lo, v7
	v_xor_b32_e32 v41, vcc_hi, v5
	v_xor_b32_e32 v5, vcc_lo, v5
	v_and_b32_e32 v7, v7, v5
	v_lshlrev_b32_e32 v5, 29, v6
	v_cmp_gt_i64_e32 vcc, 0, v[4:5]
	v_not_b32_e32 v5, v5
	v_ashrrev_i32_e32 v5, 31, v5
	v_and_b32_e32 v39, v39, v41
	v_xor_b32_e32 v41, vcc_hi, v5
	v_xor_b32_e32 v5, vcc_lo, v5
	v_and_b32_e32 v7, v7, v5
	v_lshlrev_b32_e32 v5, 28, v6
	v_cmp_gt_i64_e32 vcc, 0, v[4:5]
	v_not_b32_e32 v5, v5
	v_ashrrev_i32_e32 v5, 31, v5
	v_and_b32_e32 v39, v39, v41
	;; [unrolled: 8-line block ×5, first 2 shown]
	v_xor_b32_e32 v41, vcc_hi, v5
	v_xor_b32_e32 v5, vcc_lo, v5
	v_and_b32_e32 v39, v39, v41
	v_and_b32_e32 v41, v7, v5
	v_lshlrev_b32_e32 v5, 24, v6
	v_cmp_gt_i64_e32 vcc, 0, v[4:5]
	v_not_b32_e32 v5, v5
	v_ashrrev_i32_e32 v5, 31, v5
	v_xor_b32_e32 v6, vcc_hi, v5
	v_xor_b32_e32 v5, vcc_lo, v5
	; wave barrier
	ds_read_b32 v38, v43 offset:64
	v_and_b32_e32 v7, v39, v6
	v_and_b32_e32 v6, v41, v5
	v_mbcnt_lo_u32_b32 v5, v6, 0
	v_mbcnt_hi_u32_b32 v39, v7, v5
	v_cmp_eq_u32_e32 vcc, 0, v39
	v_cmp_ne_u64_e64 s[2:3], 0, v[6:7]
	s_and_b64 s[8:9], s[2:3], vcc
	; wave barrier
	s_and_saveexec_b64 s[2:3], s[8:9]
	s_cbranch_execz .LBB764_43
; %bb.42:
	v_bcnt_u32_b32 v5, v6, 0
	v_bcnt_u32_b32 v5, v7, v5
	s_waitcnt lgkmcnt(0)
	v_add_u32_e32 v5, v38, v5
	ds_write_b32 v43, v5 offset:64
.LBB764_43:
	s_or_b64 exec, exec, s[2:3]
	v_lshrrev_b32_e32 v5, s20, v21
	v_and_b32_e32 v6, s31, v5
	v_lshl_add_u32 v5, v6, 4, v6
	v_add_lshl_u32 v46, v11, v5, 2
	v_and_b32_e32 v5, 1, v6
	v_add_co_u32_e32 v7, vcc, -1, v5
	v_addc_co_u32_e64 v42, s[2:3], 0, -1, vcc
	v_cmp_ne_u32_e32 vcc, 0, v5
	v_xor_b32_e32 v5, vcc_hi, v42
	v_and_b32_e32 v42, exec_hi, v5
	v_lshlrev_b32_e32 v5, 30, v6
	v_xor_b32_e32 v7, vcc_lo, v7
	v_cmp_gt_i64_e32 vcc, 0, v[4:5]
	v_not_b32_e32 v5, v5
	v_ashrrev_i32_e32 v5, 31, v5
	v_and_b32_e32 v7, exec_lo, v7
	v_xor_b32_e32 v44, vcc_hi, v5
	v_xor_b32_e32 v5, vcc_lo, v5
	v_and_b32_e32 v7, v7, v5
	v_lshlrev_b32_e32 v5, 29, v6
	v_cmp_gt_i64_e32 vcc, 0, v[4:5]
	v_not_b32_e32 v5, v5
	v_ashrrev_i32_e32 v5, 31, v5
	v_and_b32_e32 v42, v42, v44
	v_xor_b32_e32 v44, vcc_hi, v5
	v_xor_b32_e32 v5, vcc_lo, v5
	v_and_b32_e32 v7, v7, v5
	v_lshlrev_b32_e32 v5, 28, v6
	v_cmp_gt_i64_e32 vcc, 0, v[4:5]
	v_not_b32_e32 v5, v5
	v_ashrrev_i32_e32 v5, 31, v5
	v_and_b32_e32 v42, v42, v44
	;; [unrolled: 8-line block ×5, first 2 shown]
	v_xor_b32_e32 v44, vcc_hi, v5
	v_xor_b32_e32 v5, vcc_lo, v5
	v_and_b32_e32 v7, v7, v5
	v_lshlrev_b32_e32 v5, 24, v6
	v_cmp_gt_i64_e32 vcc, 0, v[4:5]
	v_not_b32_e32 v4, v5
	v_ashrrev_i32_e32 v4, 31, v4
	v_xor_b32_e32 v5, vcc_hi, v4
	v_xor_b32_e32 v4, vcc_lo, v4
	; wave barrier
	ds_read_b32 v41, v46 offset:64
	v_and_b32_e32 v42, v42, v44
	v_and_b32_e32 v4, v7, v4
	;; [unrolled: 1-line block ×3, first 2 shown]
	v_mbcnt_lo_u32_b32 v6, v4, 0
	v_mbcnt_hi_u32_b32 v42, v5, v6
	v_cmp_eq_u32_e32 vcc, 0, v42
	v_cmp_ne_u64_e64 s[2:3], 0, v[4:5]
	s_and_b64 s[8:9], s[2:3], vcc
	; wave barrier
	s_and_saveexec_b64 s[2:3], s[8:9]
	s_cbranch_execz .LBB764_45
; %bb.44:
	v_bcnt_u32_b32 v4, v4, 0
	v_bcnt_u32_b32 v4, v5, v4
	s_waitcnt lgkmcnt(0)
	v_add_u32_e32 v4, v41, v4
	ds_write_b32 v46, v4 offset:64
.LBB764_45:
	s_or_b64 exec, exec, s[2:3]
	v_lshrrev_b32_e32 v4, s20, v20
	v_and_b32_e32 v6, s31, v4
	v_and_b32_e32 v5, 1, v6
	v_add_co_u32_e32 v7, vcc, -1, v5
	v_addc_co_u32_e64 v45, s[2:3], 0, -1, vcc
	v_cmp_ne_u32_e32 vcc, 0, v5
	v_lshl_add_u32 v4, v6, 4, v6
	v_xor_b32_e32 v5, vcc_hi, v45
	v_add_lshl_u32 v49, v11, v4, 2
	v_mov_b32_e32 v4, 0
	v_and_b32_e32 v45, exec_hi, v5
	v_lshlrev_b32_e32 v5, 30, v6
	v_xor_b32_e32 v7, vcc_lo, v7
	v_cmp_gt_i64_e32 vcc, 0, v[4:5]
	v_not_b32_e32 v5, v5
	v_ashrrev_i32_e32 v5, 31, v5
	v_and_b32_e32 v7, exec_lo, v7
	v_xor_b32_e32 v47, vcc_hi, v5
	v_xor_b32_e32 v5, vcc_lo, v5
	v_and_b32_e32 v7, v7, v5
	v_lshlrev_b32_e32 v5, 29, v6
	v_cmp_gt_i64_e32 vcc, 0, v[4:5]
	v_not_b32_e32 v5, v5
	v_ashrrev_i32_e32 v5, 31, v5
	v_and_b32_e32 v45, v45, v47
	v_xor_b32_e32 v47, vcc_hi, v5
	v_xor_b32_e32 v5, vcc_lo, v5
	v_and_b32_e32 v7, v7, v5
	v_lshlrev_b32_e32 v5, 28, v6
	v_cmp_gt_i64_e32 vcc, 0, v[4:5]
	v_not_b32_e32 v5, v5
	v_ashrrev_i32_e32 v5, 31, v5
	v_and_b32_e32 v45, v45, v47
	;; [unrolled: 8-line block ×5, first 2 shown]
	v_xor_b32_e32 v47, vcc_hi, v5
	v_xor_b32_e32 v5, vcc_lo, v5
	v_and_b32_e32 v45, v45, v47
	v_and_b32_e32 v47, v7, v5
	v_lshlrev_b32_e32 v5, 24, v6
	v_cmp_gt_i64_e32 vcc, 0, v[4:5]
	v_not_b32_e32 v5, v5
	v_ashrrev_i32_e32 v5, 31, v5
	v_xor_b32_e32 v6, vcc_hi, v5
	v_xor_b32_e32 v5, vcc_lo, v5
	; wave barrier
	ds_read_b32 v44, v49 offset:64
	v_and_b32_e32 v7, v45, v6
	v_and_b32_e32 v6, v47, v5
	v_mbcnt_lo_u32_b32 v5, v6, 0
	v_mbcnt_hi_u32_b32 v45, v7, v5
	v_cmp_eq_u32_e32 vcc, 0, v45
	v_cmp_ne_u64_e64 s[2:3], 0, v[6:7]
	s_and_b64 s[8:9], s[2:3], vcc
	; wave barrier
	s_and_saveexec_b64 s[2:3], s[8:9]
	s_cbranch_execz .LBB764_47
; %bb.46:
	v_bcnt_u32_b32 v5, v6, 0
	v_bcnt_u32_b32 v5, v7, v5
	s_waitcnt lgkmcnt(0)
	v_add_u32_e32 v5, v44, v5
	ds_write_b32 v49, v5 offset:64
.LBB764_47:
	s_or_b64 exec, exec, s[2:3]
	v_lshrrev_b32_e32 v5, s20, v23
	v_and_b32_e32 v6, s31, v5
	v_lshl_add_u32 v5, v6, 4, v6
	v_add_lshl_u32 v52, v11, v5, 2
	v_and_b32_e32 v5, 1, v6
	v_add_co_u32_e32 v7, vcc, -1, v5
	v_addc_co_u32_e64 v48, s[2:3], 0, -1, vcc
	v_cmp_ne_u32_e32 vcc, 0, v5
	v_xor_b32_e32 v5, vcc_hi, v48
	v_and_b32_e32 v48, exec_hi, v5
	v_lshlrev_b32_e32 v5, 30, v6
	v_xor_b32_e32 v7, vcc_lo, v7
	v_cmp_gt_i64_e32 vcc, 0, v[4:5]
	v_not_b32_e32 v5, v5
	v_ashrrev_i32_e32 v5, 31, v5
	v_and_b32_e32 v7, exec_lo, v7
	v_xor_b32_e32 v50, vcc_hi, v5
	v_xor_b32_e32 v5, vcc_lo, v5
	v_and_b32_e32 v7, v7, v5
	v_lshlrev_b32_e32 v5, 29, v6
	v_cmp_gt_i64_e32 vcc, 0, v[4:5]
	v_not_b32_e32 v5, v5
	v_ashrrev_i32_e32 v5, 31, v5
	v_and_b32_e32 v48, v48, v50
	v_xor_b32_e32 v50, vcc_hi, v5
	v_xor_b32_e32 v5, vcc_lo, v5
	v_and_b32_e32 v7, v7, v5
	v_lshlrev_b32_e32 v5, 28, v6
	v_cmp_gt_i64_e32 vcc, 0, v[4:5]
	v_not_b32_e32 v5, v5
	v_ashrrev_i32_e32 v5, 31, v5
	v_and_b32_e32 v48, v48, v50
	;; [unrolled: 8-line block ×5, first 2 shown]
	v_xor_b32_e32 v50, vcc_hi, v5
	v_xor_b32_e32 v5, vcc_lo, v5
	v_and_b32_e32 v7, v7, v5
	v_lshlrev_b32_e32 v5, 24, v6
	v_cmp_gt_i64_e32 vcc, 0, v[4:5]
	v_not_b32_e32 v4, v5
	v_ashrrev_i32_e32 v4, 31, v4
	v_xor_b32_e32 v5, vcc_hi, v4
	v_xor_b32_e32 v4, vcc_lo, v4
	; wave barrier
	ds_read_b32 v47, v52 offset:64
	v_and_b32_e32 v48, v48, v50
	v_and_b32_e32 v4, v7, v4
	v_and_b32_e32 v5, v48, v5
	v_mbcnt_lo_u32_b32 v6, v4, 0
	v_mbcnt_hi_u32_b32 v48, v5, v6
	v_cmp_eq_u32_e32 vcc, 0, v48
	v_cmp_ne_u64_e64 s[2:3], 0, v[4:5]
	s_and_b64 s[8:9], s[2:3], vcc
	; wave barrier
	s_and_saveexec_b64 s[2:3], s[8:9]
	s_cbranch_execz .LBB764_49
; %bb.48:
	v_bcnt_u32_b32 v4, v4, 0
	v_bcnt_u32_b32 v4, v5, v4
	s_waitcnt lgkmcnt(0)
	v_add_u32_e32 v4, v47, v4
	ds_write_b32 v52, v4 offset:64
.LBB764_49:
	s_or_b64 exec, exec, s[2:3]
	v_lshrrev_b32_e32 v4, s20, v22
	v_and_b32_e32 v6, s31, v4
	v_and_b32_e32 v5, 1, v6
	v_add_co_u32_e32 v7, vcc, -1, v5
	v_addc_co_u32_e64 v51, s[2:3], 0, -1, vcc
	v_cmp_ne_u32_e32 vcc, 0, v5
	v_lshl_add_u32 v4, v6, 4, v6
	v_xor_b32_e32 v5, vcc_hi, v51
	v_add_lshl_u32 v55, v11, v4, 2
	v_mov_b32_e32 v4, 0
	v_and_b32_e32 v51, exec_hi, v5
	v_lshlrev_b32_e32 v5, 30, v6
	v_xor_b32_e32 v7, vcc_lo, v7
	v_cmp_gt_i64_e32 vcc, 0, v[4:5]
	v_not_b32_e32 v5, v5
	v_ashrrev_i32_e32 v5, 31, v5
	v_and_b32_e32 v7, exec_lo, v7
	v_xor_b32_e32 v53, vcc_hi, v5
	v_xor_b32_e32 v5, vcc_lo, v5
	v_and_b32_e32 v7, v7, v5
	v_lshlrev_b32_e32 v5, 29, v6
	v_cmp_gt_i64_e32 vcc, 0, v[4:5]
	v_not_b32_e32 v5, v5
	v_ashrrev_i32_e32 v5, 31, v5
	v_and_b32_e32 v51, v51, v53
	v_xor_b32_e32 v53, vcc_hi, v5
	v_xor_b32_e32 v5, vcc_lo, v5
	v_and_b32_e32 v7, v7, v5
	v_lshlrev_b32_e32 v5, 28, v6
	v_cmp_gt_i64_e32 vcc, 0, v[4:5]
	v_not_b32_e32 v5, v5
	v_ashrrev_i32_e32 v5, 31, v5
	v_and_b32_e32 v51, v51, v53
	;; [unrolled: 8-line block ×5, first 2 shown]
	v_xor_b32_e32 v53, vcc_hi, v5
	v_xor_b32_e32 v5, vcc_lo, v5
	v_and_b32_e32 v51, v51, v53
	v_and_b32_e32 v53, v7, v5
	v_lshlrev_b32_e32 v5, 24, v6
	v_cmp_gt_i64_e32 vcc, 0, v[4:5]
	v_not_b32_e32 v5, v5
	v_ashrrev_i32_e32 v5, 31, v5
	v_xor_b32_e32 v6, vcc_hi, v5
	v_xor_b32_e32 v5, vcc_lo, v5
	; wave barrier
	ds_read_b32 v50, v55 offset:64
	v_and_b32_e32 v7, v51, v6
	v_and_b32_e32 v6, v53, v5
	v_mbcnt_lo_u32_b32 v5, v6, 0
	v_mbcnt_hi_u32_b32 v51, v7, v5
	v_cmp_eq_u32_e32 vcc, 0, v51
	v_cmp_ne_u64_e64 s[2:3], 0, v[6:7]
	s_and_b64 s[8:9], s[2:3], vcc
	; wave barrier
	s_and_saveexec_b64 s[2:3], s[8:9]
	s_cbranch_execz .LBB764_51
; %bb.50:
	v_bcnt_u32_b32 v5, v6, 0
	v_bcnt_u32_b32 v5, v7, v5
	s_waitcnt lgkmcnt(0)
	v_add_u32_e32 v5, v50, v5
	ds_write_b32 v55, v5 offset:64
.LBB764_51:
	s_or_b64 exec, exec, s[2:3]
	v_lshrrev_b32_e32 v5, s20, v24
	v_and_b32_e32 v6, s31, v5
	v_lshl_add_u32 v5, v6, 4, v6
	v_add_lshl_u32 v11, v11, v5, 2
	v_and_b32_e32 v5, 1, v6
	v_add_co_u32_e32 v7, vcc, -1, v5
	v_addc_co_u32_e64 v54, s[2:3], 0, -1, vcc
	v_cmp_ne_u32_e32 vcc, 0, v5
	v_xor_b32_e32 v5, vcc_hi, v54
	v_and_b32_e32 v54, exec_hi, v5
	v_lshlrev_b32_e32 v5, 30, v6
	v_xor_b32_e32 v7, vcc_lo, v7
	v_cmp_gt_i64_e32 vcc, 0, v[4:5]
	v_not_b32_e32 v5, v5
	v_ashrrev_i32_e32 v5, 31, v5
	v_and_b32_e32 v7, exec_lo, v7
	v_xor_b32_e32 v57, vcc_hi, v5
	v_xor_b32_e32 v5, vcc_lo, v5
	v_and_b32_e32 v7, v7, v5
	v_lshlrev_b32_e32 v5, 29, v6
	v_cmp_gt_i64_e32 vcc, 0, v[4:5]
	v_not_b32_e32 v5, v5
	v_ashrrev_i32_e32 v5, 31, v5
	v_and_b32_e32 v54, v54, v57
	v_xor_b32_e32 v57, vcc_hi, v5
	v_xor_b32_e32 v5, vcc_lo, v5
	v_and_b32_e32 v7, v7, v5
	v_lshlrev_b32_e32 v5, 28, v6
	v_cmp_gt_i64_e32 vcc, 0, v[4:5]
	v_not_b32_e32 v5, v5
	v_ashrrev_i32_e32 v5, 31, v5
	v_and_b32_e32 v54, v54, v57
	;; [unrolled: 8-line block ×5, first 2 shown]
	v_xor_b32_e32 v57, vcc_hi, v5
	v_xor_b32_e32 v5, vcc_lo, v5
	v_and_b32_e32 v7, v7, v5
	v_lshlrev_b32_e32 v5, 24, v6
	v_cmp_gt_i64_e32 vcc, 0, v[4:5]
	v_not_b32_e32 v4, v5
	v_ashrrev_i32_e32 v4, 31, v4
	v_xor_b32_e32 v5, vcc_hi, v4
	v_xor_b32_e32 v4, vcc_lo, v4
	; wave barrier
	ds_read_b32 v53, v11 offset:64
	v_and_b32_e32 v54, v54, v57
	v_and_b32_e32 v4, v7, v4
	;; [unrolled: 1-line block ×3, first 2 shown]
	v_mbcnt_lo_u32_b32 v6, v4, 0
	v_mbcnt_hi_u32_b32 v54, v5, v6
	v_cmp_eq_u32_e32 vcc, 0, v54
	v_cmp_ne_u64_e64 s[2:3], 0, v[4:5]
	v_add_u32_e32 v56, 64, v3
	s_and_b64 s[8:9], s[2:3], vcc
	; wave barrier
	s_and_saveexec_b64 s[2:3], s[8:9]
	s_cbranch_execz .LBB764_53
; %bb.52:
	v_bcnt_u32_b32 v4, v4, 0
	v_bcnt_u32_b32 v4, v5, v4
	s_waitcnt lgkmcnt(0)
	v_add_u32_e32 v4, v53, v4
	ds_write_b32 v11, v4 offset:64
.LBB764_53:
	s_or_b64 exec, exec, s[2:3]
	; wave barrier
	s_waitcnt lgkmcnt(0)
	s_barrier
	ds_read2_b32 v[6:7], v3 offset0:16 offset1:17
	ds_read2_b32 v[4:5], v56 offset0:2 offset1:3
	ds_read_b32 v57, v56 offset:16
	v_cmp_lt_u32_e64 s[12:13], 31, v1
	s_waitcnt lgkmcnt(1)
	v_add3_u32 v58, v7, v6, v4
	s_waitcnt lgkmcnt(0)
	v_add3_u32 v57, v58, v5, v57
	v_and_b32_e32 v58, 15, v1
	v_cmp_eq_u32_e32 vcc, 0, v58
	v_mov_b32_dpp v59, v57 row_shr:1 row_mask:0xf bank_mask:0xf
	v_cndmask_b32_e64 v59, v59, 0, vcc
	v_add_u32_e32 v57, v59, v57
	v_cmp_lt_u32_e64 s[2:3], 1, v58
	v_cmp_lt_u32_e64 s[10:11], 3, v58
	v_mov_b32_dpp v59, v57 row_shr:2 row_mask:0xf bank_mask:0xf
	v_cndmask_b32_e64 v59, 0, v59, s[2:3]
	v_add_u32_e32 v57, v57, v59
	v_cmp_lt_u32_e64 s[8:9], 7, v58
	s_nop 0
	v_mov_b32_dpp v59, v57 row_shr:4 row_mask:0xf bank_mask:0xf
	v_cndmask_b32_e64 v59, 0, v59, s[10:11]
	v_add_u32_e32 v57, v57, v59
	s_nop 1
	v_mov_b32_dpp v59, v57 row_shr:8 row_mask:0xf bank_mask:0xf
	v_cndmask_b32_e64 v58, 0, v59, s[8:9]
	v_add_u32_e32 v57, v57, v58
	v_bfe_i32 v59, v1, 4, 1
	s_nop 0
	v_mov_b32_dpp v58, v57 row_bcast:15 row_mask:0xf bank_mask:0xf
	v_and_b32_e32 v58, v59, v58
	v_add_u32_e32 v57, v57, v58
	v_and_b32_e32 v59, 63, v2
	s_nop 0
	v_mov_b32_dpp v58, v57 row_bcast:31 row_mask:0xf bank_mask:0xf
	v_cndmask_b32_e64 v58, 0, v58, s[12:13]
	v_add_u32_e32 v57, v57, v58
	v_lshrrev_b32_e32 v58, 6, v2
	v_cmp_eq_u32_e64 s[12:13], 63, v59
	s_and_saveexec_b64 s[22:23], s[12:13]
	s_cbranch_execz .LBB764_55
; %bb.54:
	v_lshlrev_b32_e32 v59, 2, v58
	ds_write_b32 v59, v57
.LBB764_55:
	s_or_b64 exec, exec, s[22:23]
	v_cmp_gt_u32_e64 s[12:13], 16, v2
	s_waitcnt lgkmcnt(0)
	s_barrier
	s_and_saveexec_b64 s[22:23], s[12:13]
	s_cbranch_execz .LBB764_57
; %bb.56:
	v_lshlrev_b32_e32 v59, 2, v2
	ds_read_b32 v60, v59
	s_waitcnt lgkmcnt(0)
	s_nop 0
	v_mov_b32_dpp v61, v60 row_shr:1 row_mask:0xf bank_mask:0xf
	v_cndmask_b32_e64 v61, v61, 0, vcc
	v_add_u32_e32 v60, v61, v60
	s_nop 1
	v_mov_b32_dpp v61, v60 row_shr:2 row_mask:0xf bank_mask:0xf
	v_cndmask_b32_e64 v61, 0, v61, s[2:3]
	v_add_u32_e32 v60, v60, v61
	s_nop 1
	v_mov_b32_dpp v61, v60 row_shr:4 row_mask:0xf bank_mask:0xf
	v_cndmask_b32_e64 v61, 0, v61, s[10:11]
	;; [unrolled: 4-line block ×3, first 2 shown]
	v_add_u32_e32 v60, v60, v61
	ds_write_b32 v59, v60
.LBB764_57:
	s_or_b64 exec, exec, s[22:23]
	v_cmp_lt_u32_e32 vcc, 63, v2
	v_mov_b32_e32 v59, 0
	s_waitcnt lgkmcnt(0)
	s_barrier
	s_and_saveexec_b64 s[2:3], vcc
	s_cbranch_execz .LBB764_59
; %bb.58:
	v_lshl_add_u32 v58, v58, 2, -4
	ds_read_b32 v59, v58
.LBB764_59:
	s_or_b64 exec, exec, s[2:3]
	v_add_u32_e32 v58, -1, v1
	v_and_b32_e32 v60, 64, v1
	v_cmp_lt_i32_e32 vcc, v58, v60
	v_cndmask_b32_e32 v58, v58, v1, vcc
	s_waitcnt lgkmcnt(0)
	v_add_u32_e32 v57, v59, v57
	v_lshlrev_b32_e32 v58, 2, v58
	ds_bpermute_b32 v57, v58, v57
	v_cmp_eq_u32_e32 vcc, 0, v1
	s_movk_i32 s8, 0xff
	s_movk_i32 s2, 0x100
	v_cmp_gt_u32_e64 s[2:3], s2, v2
	s_waitcnt lgkmcnt(0)
	v_cndmask_b32_e32 v1, v57, v59, vcc
	v_cndmask_b32_e64 v1, v1, 0, s[0:1]
	v_add_u32_e32 v6, v1, v6
	v_add_u32_e32 v7, v6, v7
	;; [unrolled: 1-line block ×4, first 2 shown]
	ds_write2_b32 v3, v1, v6 offset0:16 offset1:17
	ds_write2_b32 v56, v7, v4 offset0:2 offset1:3
	ds_write_b32 v56, v5 offset:16
	s_waitcnt lgkmcnt(0)
	s_barrier
	ds_read_b32 v58, v8 offset:64
	ds_read_b32 v1, v9 offset:64
	;; [unrolled: 1-line block ×12, first 2 shown]
	v_cmp_lt_u32_e32 vcc, s8, v2
	v_pk_mov_b32 v[4:5], 0, 0
                                        ; implicit-def: $vgpr40
	s_and_saveexec_b64 s[10:11], s[2:3]
	s_cbranch_execz .LBB764_63
; %bb.60:
	v_mul_u32_u24_e32 v3, 17, v2
	v_lshlrev_b32_e32 v5, 2, v3
	ds_read_b32 v4, v5 offset:64
	v_cmp_ne_u32_e64 s[8:9], s8, v2
	v_mov_b32_e32 v3, 0x3000
	s_and_saveexec_b64 s[12:13], s[8:9]
	s_cbranch_execz .LBB764_62
; %bb.61:
	ds_read_b32 v3, v5 offset:132
.LBB764_62:
	s_or_b64 exec, exec, s[12:13]
	s_waitcnt lgkmcnt(0)
	v_sub_u32_e32 v40, v3, v4
	v_mov_b32_e32 v5, 0
.LBB764_63:
	s_or_b64 exec, exec, s[10:11]
	s_waitcnt lgkmcnt(0)
	s_barrier
	s_and_saveexec_b64 s[8:9], vcc
	s_xor_b64 s[8:9], exec, s[8:9]
; %bb.64:
	v_mov_b32_e32 v3, 0
; %bb.65:
	s_andn2_saveexec_b64 s[8:9], s[8:9]
	s_cbranch_execz .LBB764_75
; %bb.66:
	v_lshl_or_b32 v6, s30, 8, v2
	v_mov_b32_e32 v7, 0
	v_lshlrev_b64 v[8:9], 2, v[6:7]
	v_mov_b32_e32 v3, s15
	v_add_co_u32_e32 v8, vcc, s14, v8
	v_addc_co_u32_e32 v9, vcc, v3, v9, vcc
	v_or_b32_e32 v6, 2.0, v40
	s_mov_b64 s[10:11], 0
	s_brev_b32 s33, 1
	s_mov_b32 s34, s30
	v_mov_b32_e32 v60, 0
	global_store_dword v[8:9], v6, off
                                        ; implicit-def: $sgpr12_sgpr13
	s_branch .LBB764_68
.LBB764_67:                             ;   in Loop: Header=BB764_68 Depth=1
	s_or_b64 exec, exec, s[12:13]
	v_and_b32_e32 v10, 0x3fffffff, v61
	v_add_u32_e32 v60, v10, v60
	v_cmp_eq_u32_e64 s[12:13], s33, v6
	s_and_b64 s[22:23], exec, s[12:13]
	s_or_b64 s[10:11], s[22:23], s[10:11]
	s_andn2_b64 exec, exec, s[10:11]
	s_cbranch_execz .LBB764_74
.LBB764_68:                             ; =>This Loop Header: Depth=1
                                        ;     Child Loop BB764_71 Depth 2
	s_or_b64 s[12:13], s[12:13], exec
	s_cmp_eq_u32 s34, 0
	s_cbranch_scc1 .LBB764_73
; %bb.69:                               ;   in Loop: Header=BB764_68 Depth=1
	s_add_i32 s34, s34, -1
	v_lshl_or_b32 v6, s34, 8, v2
	v_lshlrev_b64 v[10:11], 2, v[6:7]
	v_add_co_u32_e32 v10, vcc, s14, v10
	v_addc_co_u32_e32 v11, vcc, v3, v11, vcc
	global_load_dword v61, v[10:11], off glc
	s_waitcnt vmcnt(0)
	v_and_b32_e32 v6, -2.0, v61
	v_cmp_eq_u32_e32 vcc, 0, v6
	s_and_saveexec_b64 s[12:13], vcc
	s_cbranch_execz .LBB764_67
; %bb.70:                               ;   in Loop: Header=BB764_68 Depth=1
	s_mov_b64 s[22:23], 0
.LBB764_71:                             ;   Parent Loop BB764_68 Depth=1
                                        ; =>  This Inner Loop Header: Depth=2
	global_load_dword v61, v[10:11], off glc
	s_waitcnt vmcnt(0)
	v_and_b32_e32 v6, -2.0, v61
	v_cmp_ne_u32_e32 vcc, 0, v6
	s_or_b64 s[22:23], vcc, s[22:23]
	s_andn2_b64 exec, exec, s[22:23]
	s_cbranch_execnz .LBB764_71
; %bb.72:                               ;   in Loop: Header=BB764_68 Depth=1
	s_or_b64 exec, exec, s[22:23]
	s_branch .LBB764_67
.LBB764_73:                             ;   in Loop: Header=BB764_68 Depth=1
                                        ; implicit-def: $sgpr34
	s_and_b64 s[22:23], exec, s[12:13]
	s_or_b64 s[10:11], s[22:23], s[10:11]
	s_andn2_b64 exec, exec, s[10:11]
	s_cbranch_execnz .LBB764_68
.LBB764_74:
	s_or_b64 exec, exec, s[10:11]
	v_add_u32_e32 v3, v60, v40
	v_or_b32_e32 v3, 0x80000000, v3
	global_store_dword v[8:9], v3, off
	v_lshlrev_b32_e32 v8, 3, v2
	global_load_dwordx2 v[6:7], v8, s[16:17]
	v_sub_co_u32_e32 v9, vcc, v60, v4
	v_subb_co_u32_e32 v10, vcc, 0, v5, vcc
	v_mov_b32_e32 v3, 0
	s_waitcnt vmcnt(0)
	v_add_co_u32_e32 v6, vcc, v9, v6
	v_addc_co_u32_e32 v7, vcc, v10, v7, vcc
	ds_write_b64 v8, v[6:7]
.LBB764_75:
	s_or_b64 exec, exec, s[8:9]
	v_add3_u32 v35, v36, v57, v35
	v_add3_u32 v32, v33, v37, v32
	v_lshlrev_b64 v[36:37], 2, v[2:3]
	v_lshlrev_b32_e32 v8, 2, v2
	v_add3_u32 v26, v27, v1, v26
	v_mov_b32_e32 v1, s27
	v_add_co_u32_e32 v6, vcc, s26, v36
	v_add_u32_e32 v7, v58, v25
	v_add_u32_e32 v9, 0x800, v8
	v_add3_u32 v10, v54, v59, v53
	v_add3_u32 v11, v51, v55, v50
	;; [unrolled: 1-line block ×8, first 2 shown]
	v_addc_co_u32_e32 v1, vcc, v1, v37, vcc
	s_mov_b32 s10, 0
	v_mov_b32_e32 v27, v2
	s_branch .LBB764_77
.LBB764_76:                             ;   in Loop: Header=BB764_77 Depth=1
	s_or_b64 exec, exec, s[8:9]
	s_addk_i32 s10, 0xf000
	v_add_co_u32_e32 v6, vcc, 0x4000, v6
	v_addc_co_u32_e32 v1, vcc, 0, v1, vcc
	s_cmpk_eq_i32 s10, 0xd000
	v_add_u32_e32 v27, 0x1000, v27
	s_barrier
	s_cbranch_scc1 .LBB764_86
.LBB764_77:                             ; =>This Inner Loop Header: Depth=1
	v_add_u32_e32 v29, s10, v7
	v_min_u32_e32 v29, 0x1000, v29
	v_lshlrev_b32_e32 v29, 2, v29
	ds_write_b32 v29, v14 offset:2048
	v_add_u32_e32 v29, s10, v26
	v_min_u32_e32 v29, 0x1000, v29
	v_lshlrev_b32_e32 v29, 2, v29
	ds_write_b32 v29, v15 offset:2048
	;; [unrolled: 4-line block ×11, first 2 shown]
	v_add_u32_e32 v29, s10, v10
	v_min_u32_e32 v29, 0x1000, v29
	v_lshlrev_b32_e32 v29, 2, v29
	v_cmp_gt_u32_e32 vcc, s7, v27
	ds_write_b32 v29, v24 offset:2048
	s_waitcnt lgkmcnt(0)
	s_barrier
	s_and_saveexec_b64 s[8:9], vcc
	s_cbranch_execz .LBB764_79
; %bb.78:                               ;   in Loop: Header=BB764_77 Depth=1
	ds_read_b32 v29, v8 offset:2048
	s_waitcnt lgkmcnt(0)
	v_lshrrev_b32_e32 v31, s20, v29
	v_and_b32_e32 v31, s31, v31
	v_lshlrev_b32_e32 v31, 3, v31
	ds_read_b64 v[36:37], v31
	s_waitcnt lgkmcnt(0)
	v_lshlrev_b64 v[36:37], 2, v[36:37]
	v_add_co_u32_e32 v36, vcc, v6, v36
	v_addc_co_u32_e32 v37, vcc, v1, v37, vcc
	global_store_dword v[36:37], v29, off
.LBB764_79:                             ;   in Loop: Header=BB764_77 Depth=1
	s_or_b64 exec, exec, s[8:9]
	v_add_u32_e32 v29, 0x400, v27
	v_cmp_gt_u32_e32 vcc, s7, v29
	s_and_saveexec_b64 s[8:9], vcc
	s_cbranch_execz .LBB764_81
; %bb.80:                               ;   in Loop: Header=BB764_77 Depth=1
	ds_read_b32 v29, v9 offset:4096
	s_waitcnt lgkmcnt(0)
	v_lshrrev_b32_e32 v31, s20, v29
	v_and_b32_e32 v31, s31, v31
	v_lshlrev_b32_e32 v31, 3, v31
	ds_read_b64 v[36:37], v31
	s_waitcnt lgkmcnt(0)
	v_lshlrev_b64 v[36:37], 2, v[36:37]
	v_add_co_u32_e32 v31, vcc, v6, v36
	v_addc_co_u32_e32 v33, vcc, v1, v37, vcc
	v_add_co_u32_e32 v36, vcc, 0x1000, v31
	v_addc_co_u32_e32 v37, vcc, 0, v33, vcc
	global_store_dword v[36:37], v29, off
.LBB764_81:                             ;   in Loop: Header=BB764_77 Depth=1
	s_or_b64 exec, exec, s[8:9]
	v_add_u32_e32 v29, 0x800, v27
	v_cmp_gt_u32_e32 vcc, s7, v29
	s_and_saveexec_b64 s[8:9], vcc
	s_cbranch_execz .LBB764_83
; %bb.82:                               ;   in Loop: Header=BB764_77 Depth=1
	ds_read_b32 v29, v9 offset:8192
	s_waitcnt lgkmcnt(0)
	v_lshrrev_b32_e32 v31, s20, v29
	v_and_b32_e32 v31, s31, v31
	v_lshlrev_b32_e32 v31, 3, v31
	ds_read_b64 v[36:37], v31
	s_waitcnt lgkmcnt(0)
	v_lshlrev_b64 v[36:37], 2, v[36:37]
	v_add_co_u32_e32 v31, vcc, v6, v36
	v_addc_co_u32_e32 v33, vcc, v1, v37, vcc
	v_add_co_u32_e32 v36, vcc, 0x2000, v31
	v_addc_co_u32_e32 v37, vcc, 0, v33, vcc
	global_store_dword v[36:37], v29, off
.LBB764_83:                             ;   in Loop: Header=BB764_77 Depth=1
	s_or_b64 exec, exec, s[8:9]
	v_add_u32_e32 v29, 0xc00, v27
	v_cmp_gt_u32_e32 vcc, s7, v29
	s_and_saveexec_b64 s[8:9], vcc
	s_cbranch_execz .LBB764_76
; %bb.84:                               ;   in Loop: Header=BB764_77 Depth=1
	ds_read_b32 v29, v9 offset:12288
	s_waitcnt lgkmcnt(0)
	v_lshrrev_b32_e32 v31, s20, v29
	v_and_b32_e32 v31, s31, v31
	v_lshlrev_b32_e32 v31, 3, v31
	ds_read_b64 v[36:37], v31
	s_waitcnt lgkmcnt(0)
	v_lshlrev_b64 v[36:37], 2, v[36:37]
	v_add_co_u32_e32 v31, vcc, v6, v36
	v_addc_co_u32_e32 v33, vcc, v1, v37, vcc
	v_add_co_u32_e32 v36, vcc, 0x3000, v31
	v_addc_co_u32_e32 v37, vcc, 0, v33, vcc
	global_store_dword v[36:37], v29, off
	s_branch .LBB764_76
.LBB764_85:
	s_mov_b64 s[2:3], 0
                                        ; implicit-def: $vgpr4_vgpr5
                                        ; implicit-def: $vgpr40
	s_cbranch_execnz .LBB764_87
	s_branch .LBB764_136
.LBB764_86:
	s_add_i32 s29, s29, -1
	s_cmp_eq_u32 s29, s30
	s_cselect_b64 s[8:9], -1, 0
	s_and_b64 s[2:3], s[2:3], s[8:9]
	s_branch .LBB764_136
.LBB764_87:
	s_mov_b32 s29, 0
	v_mbcnt_hi_u32_b32 v3, -1, v12
	s_lshl_b64 s[2:3], s[28:29], 2
	v_and_b32_e32 v1, 63, v3
	s_add_u32 s2, s24, s2
	v_lshlrev_b32_e32 v1, 2, v1
	v_add_co_u32_e32 v1, vcc, s2, v1
	s_load_dword s12, s[4:5], 0x58
	s_load_dword s2, s[4:5], 0x64
	s_addc_u32 s3, s25, s3
	v_and_b32_e32 v5, 0x3c0, v2
	v_mul_u32_u24_e32 v5, 12, v5
	v_mov_b32_e32 v6, s3
	s_add_u32 s3, s4, 0x58
	v_addc_co_u32_e32 v6, vcc, 0, v6, vcc
	v_lshlrev_b32_e32 v5, 2, v5
	s_addc_u32 s4, s5, 0
	s_waitcnt lgkmcnt(0)
	s_lshr_b32 s5, s2, 16
	v_add_co_u32_e32 v8, vcc, v1, v5
	s_cmp_lt_u32 s6, s12
	v_addc_co_u32_e32 v9, vcc, 0, v6, vcc
	s_cselect_b32 s2, 12, 18
	global_load_dword v10, v[8:9], off
	s_add_u32 s2, s3, s2
	v_mov_b32_e32 v4, 0
	s_addc_u32 s3, s4, 0
	global_load_ushort v1, v4, s[2:3]
	v_mul_u32_u24_e32 v6, 5, v2
	v_lshlrev_b32_e32 v6, 2, v6
	ds_write2_b32 v6, v4, v4 offset0:16 offset1:17
	ds_write2_b32 v6, v4, v4 offset0:18 offset1:19
	ds_write_b32 v6, v4 offset:80
	global_load_dword v11, v[8:9], off offset:256
	global_load_dword v12, v[8:9], off offset:512
	;; [unrolled: 1-line block ×11, first 2 shown]
	v_bfe_u32 v5, v0, 10, 10
	v_bfe_u32 v0, v0, 20, 10
	s_lshl_b32 s2, -1, s21
	v_mad_u32_u24 v0, v0, s5, v5
	s_not_b32 s13, s2
	s_waitcnt lgkmcnt(0)
	s_barrier
	s_waitcnt lgkmcnt(0)
	; wave barrier
	s_waitcnt vmcnt(12)
	v_lshrrev_b32_e32 v5, s20, v10
	v_and_b32_e32 v8, s13, v5
	v_and_b32_e32 v9, 1, v8
	v_lshlrev_b32_e32 v5, 30, v8
	s_waitcnt vmcnt(11)
	v_mad_u64_u32 v[0:1], s[2:3], v0, v1, v[2:3]
	v_add_co_u32_e32 v1, vcc, -1, v9
	v_addc_co_u32_e64 v22, s[2:3], 0, -1, vcc
	v_cmp_ne_u32_e32 vcc, 0, v9
	v_cmp_gt_i64_e64 s[2:3], 0, v[4:5]
	v_not_b32_e32 v9, v5
	v_lshlrev_b32_e32 v5, 29, v8
	v_lshrrev_b32_e32 v30, 6, v0
	v_xor_b32_e32 v0, vcc_hi, v22
	v_xor_b32_e32 v1, vcc_lo, v1
	v_ashrrev_i32_e32 v9, 31, v9
	v_cmp_gt_i64_e32 vcc, 0, v[4:5]
	v_not_b32_e32 v22, v5
	v_lshlrev_b32_e32 v5, 28, v8
	v_and_b32_e32 v0, exec_hi, v0
	v_and_b32_e32 v1, exec_lo, v1
	v_xor_b32_e32 v23, s3, v9
	v_xor_b32_e32 v9, s2, v9
	v_ashrrev_i32_e32 v22, 31, v22
	v_cmp_gt_i64_e64 s[2:3], 0, v[4:5]
	v_not_b32_e32 v5, v5
	v_and_b32_e32 v0, v0, v23
	v_and_b32_e32 v1, v1, v9
	v_xor_b32_e32 v9, vcc_hi, v22
	v_xor_b32_e32 v22, vcc_lo, v22
	v_ashrrev_i32_e32 v5, 31, v5
	v_and_b32_e32 v0, v0, v9
	v_and_b32_e32 v1, v1, v22
	v_xor_b32_e32 v9, s3, v5
	v_xor_b32_e32 v5, s2, v5
	v_and_b32_e32 v1, v1, v5
	v_lshlrev_b32_e32 v5, 27, v8
	v_cmp_gt_i64_e32 vcc, 0, v[4:5]
	v_not_b32_e32 v5, v5
	v_ashrrev_i32_e32 v5, 31, v5
	v_and_b32_e32 v0, v0, v9
	v_xor_b32_e32 v9, vcc_hi, v5
	v_xor_b32_e32 v5, vcc_lo, v5
	v_and_b32_e32 v1, v1, v5
	v_lshlrev_b32_e32 v5, 26, v8
	v_cmp_gt_i64_e32 vcc, 0, v[4:5]
	v_not_b32_e32 v5, v5
	v_ashrrev_i32_e32 v5, 31, v5
	v_and_b32_e32 v0, v0, v9
	v_xor_b32_e32 v9, vcc_hi, v5
	v_xor_b32_e32 v5, vcc_lo, v5
	v_and_b32_e32 v1, v1, v5
	v_lshlrev_b32_e32 v5, 25, v8
	v_cmp_gt_i64_e32 vcc, 0, v[4:5]
	v_not_b32_e32 v5, v5
	v_ashrrev_i32_e32 v5, 31, v5
	v_and_b32_e32 v0, v0, v9
	v_xor_b32_e32 v9, vcc_hi, v5
	v_xor_b32_e32 v5, vcc_lo, v5
	v_and_b32_e32 v0, v0, v9
	v_and_b32_e32 v9, v1, v5
	v_lshlrev_b32_e32 v5, 24, v8
	v_not_b32_e32 v1, v5
	v_cmp_gt_i64_e32 vcc, 0, v[4:5]
	v_ashrrev_i32_e32 v1, 31, v1
	v_lshl_add_u32 v7, v8, 4, v8
	v_xor_b32_e32 v5, vcc_hi, v1
	v_xor_b32_e32 v8, vcc_lo, v1
	v_and_b32_e32 v1, v0, v5
	v_and_b32_e32 v0, v9, v8
	v_mbcnt_lo_u32_b32 v5, v0, 0
	v_mbcnt_hi_u32_b32 v22, v1, v5
	v_cmp_eq_u32_e32 vcc, 0, v22
	v_cmp_ne_u64_e64 s[2:3], 0, v[0:1]
	v_add_lshl_u32 v7, v30, v7, 2
	s_and_b64 s[4:5], s[2:3], vcc
	s_and_saveexec_b64 s[2:3], s[4:5]
	s_cbranch_execz .LBB764_89
; %bb.88:
	v_bcnt_u32_b32 v0, v0, 0
	v_bcnt_u32_b32 v0, v1, v0
	ds_write_b32 v7, v0 offset:64
.LBB764_89:
	s_or_b64 exec, exec, s[2:3]
	s_waitcnt vmcnt(10)
	v_lshrrev_b32_e32 v0, s20, v11
	v_and_b32_e32 v0, s13, v0
	v_lshl_add_u32 v1, v0, 4, v0
	v_add_lshl_u32 v8, v30, v1, 2
	v_and_b32_e32 v1, 1, v0
	v_add_co_u32_e32 v5, vcc, -1, v1
	v_addc_co_u32_e64 v9, s[2:3], 0, -1, vcc
	v_cmp_ne_u32_e32 vcc, 0, v1
	v_xor_b32_e32 v5, vcc_lo, v5
	v_xor_b32_e32 v1, vcc_hi, v9
	v_and_b32_e32 v9, exec_lo, v5
	v_lshlrev_b32_e32 v5, 30, v0
	v_cmp_gt_i64_e32 vcc, 0, v[4:5]
	v_not_b32_e32 v5, v5
	v_ashrrev_i32_e32 v5, 31, v5
	v_xor_b32_e32 v24, vcc_hi, v5
	v_xor_b32_e32 v5, vcc_lo, v5
	v_and_b32_e32 v9, v9, v5
	v_lshlrev_b32_e32 v5, 29, v0
	v_cmp_gt_i64_e32 vcc, 0, v[4:5]
	v_not_b32_e32 v5, v5
	v_and_b32_e32 v1, exec_hi, v1
	v_ashrrev_i32_e32 v5, 31, v5
	v_and_b32_e32 v1, v1, v24
	v_xor_b32_e32 v24, vcc_hi, v5
	v_xor_b32_e32 v5, vcc_lo, v5
	v_and_b32_e32 v9, v9, v5
	v_lshlrev_b32_e32 v5, 28, v0
	v_cmp_gt_i64_e32 vcc, 0, v[4:5]
	v_not_b32_e32 v5, v5
	v_ashrrev_i32_e32 v5, 31, v5
	v_and_b32_e32 v1, v1, v24
	v_xor_b32_e32 v24, vcc_hi, v5
	v_xor_b32_e32 v5, vcc_lo, v5
	v_and_b32_e32 v9, v9, v5
	v_lshlrev_b32_e32 v5, 27, v0
	v_cmp_gt_i64_e32 vcc, 0, v[4:5]
	v_not_b32_e32 v5, v5
	;; [unrolled: 8-line block ×4, first 2 shown]
	v_ashrrev_i32_e32 v5, 31, v5
	v_and_b32_e32 v1, v1, v24
	v_xor_b32_e32 v24, vcc_hi, v5
	v_xor_b32_e32 v5, vcc_lo, v5
	v_and_b32_e32 v9, v9, v5
	v_lshlrev_b32_e32 v5, 24, v0
	v_not_b32_e32 v0, v5
	v_cmp_gt_i64_e32 vcc, 0, v[4:5]
	v_ashrrev_i32_e32 v0, 31, v0
	v_xor_b32_e32 v4, vcc_hi, v0
	v_xor_b32_e32 v0, vcc_lo, v0
	; wave barrier
	ds_read_b32 v23, v8 offset:64
	v_and_b32_e32 v1, v1, v24
	v_and_b32_e32 v0, v9, v0
	;; [unrolled: 1-line block ×3, first 2 shown]
	v_mbcnt_lo_u32_b32 v4, v0, 0
	v_mbcnt_hi_u32_b32 v24, v1, v4
	v_cmp_eq_u32_e32 vcc, 0, v24
	v_cmp_ne_u64_e64 s[2:3], 0, v[0:1]
	s_and_b64 s[4:5], s[2:3], vcc
	; wave barrier
	s_and_saveexec_b64 s[2:3], s[4:5]
	s_cbranch_execz .LBB764_91
; %bb.90:
	v_bcnt_u32_b32 v0, v0, 0
	v_bcnt_u32_b32 v0, v1, v0
	s_waitcnt lgkmcnt(0)
	v_add_u32_e32 v0, v23, v0
	ds_write_b32 v8, v0 offset:64
.LBB764_91:
	s_or_b64 exec, exec, s[2:3]
	s_waitcnt vmcnt(9)
	v_lshrrev_b32_e32 v0, s20, v12
	v_and_b32_e32 v4, s13, v0
	v_and_b32_e32 v1, 1, v4
	v_add_co_u32_e32 v5, vcc, -1, v1
	v_addc_co_u32_e64 v26, s[2:3], 0, -1, vcc
	v_cmp_ne_u32_e32 vcc, 0, v1
	v_lshl_add_u32 v0, v4, 4, v4
	v_xor_b32_e32 v1, vcc_hi, v26
	v_add_lshl_u32 v9, v30, v0, 2
	v_mov_b32_e32 v0, 0
	v_and_b32_e32 v26, exec_hi, v1
	v_lshlrev_b32_e32 v1, 30, v4
	v_xor_b32_e32 v5, vcc_lo, v5
	v_cmp_gt_i64_e32 vcc, 0, v[0:1]
	v_not_b32_e32 v1, v1
	v_ashrrev_i32_e32 v1, 31, v1
	v_and_b32_e32 v5, exec_lo, v5
	v_xor_b32_e32 v27, vcc_hi, v1
	v_xor_b32_e32 v1, vcc_lo, v1
	v_and_b32_e32 v5, v5, v1
	v_lshlrev_b32_e32 v1, 29, v4
	v_cmp_gt_i64_e32 vcc, 0, v[0:1]
	v_not_b32_e32 v1, v1
	v_ashrrev_i32_e32 v1, 31, v1
	v_and_b32_e32 v26, v26, v27
	v_xor_b32_e32 v27, vcc_hi, v1
	v_xor_b32_e32 v1, vcc_lo, v1
	v_and_b32_e32 v5, v5, v1
	v_lshlrev_b32_e32 v1, 28, v4
	v_cmp_gt_i64_e32 vcc, 0, v[0:1]
	v_not_b32_e32 v1, v1
	v_ashrrev_i32_e32 v1, 31, v1
	v_and_b32_e32 v26, v26, v27
	;; [unrolled: 8-line block ×5, first 2 shown]
	v_xor_b32_e32 v27, vcc_hi, v1
	v_xor_b32_e32 v1, vcc_lo, v1
	v_and_b32_e32 v26, v26, v27
	v_and_b32_e32 v27, v5, v1
	v_lshlrev_b32_e32 v1, 24, v4
	v_cmp_gt_i64_e32 vcc, 0, v[0:1]
	v_not_b32_e32 v1, v1
	v_ashrrev_i32_e32 v1, 31, v1
	v_xor_b32_e32 v4, vcc_hi, v1
	v_xor_b32_e32 v1, vcc_lo, v1
	; wave barrier
	ds_read_b32 v25, v9 offset:64
	v_and_b32_e32 v5, v26, v4
	v_and_b32_e32 v4, v27, v1
	v_mbcnt_lo_u32_b32 v1, v4, 0
	v_mbcnt_hi_u32_b32 v26, v5, v1
	v_cmp_eq_u32_e32 vcc, 0, v26
	v_cmp_ne_u64_e64 s[2:3], 0, v[4:5]
	s_and_b64 s[4:5], s[2:3], vcc
	; wave barrier
	s_and_saveexec_b64 s[2:3], s[4:5]
	s_cbranch_execz .LBB764_93
; %bb.92:
	v_bcnt_u32_b32 v1, v4, 0
	v_bcnt_u32_b32 v1, v5, v1
	s_waitcnt lgkmcnt(0)
	v_add_u32_e32 v1, v25, v1
	ds_write_b32 v9, v1 offset:64
.LBB764_93:
	s_or_b64 exec, exec, s[2:3]
	s_waitcnt vmcnt(8)
	v_lshrrev_b32_e32 v1, s20, v13
	v_and_b32_e32 v4, s13, v1
	v_lshl_add_u32 v1, v4, 4, v4
	v_add_lshl_u32 v32, v30, v1, 2
	v_and_b32_e32 v1, 1, v4
	v_add_co_u32_e32 v5, vcc, -1, v1
	v_addc_co_u32_e64 v28, s[2:3], 0, -1, vcc
	v_cmp_ne_u32_e32 vcc, 0, v1
	v_xor_b32_e32 v1, vcc_hi, v28
	v_and_b32_e32 v28, exec_hi, v1
	v_lshlrev_b32_e32 v1, 30, v4
	v_xor_b32_e32 v5, vcc_lo, v5
	v_cmp_gt_i64_e32 vcc, 0, v[0:1]
	v_not_b32_e32 v1, v1
	v_ashrrev_i32_e32 v1, 31, v1
	v_and_b32_e32 v5, exec_lo, v5
	v_xor_b32_e32 v29, vcc_hi, v1
	v_xor_b32_e32 v1, vcc_lo, v1
	v_and_b32_e32 v5, v5, v1
	v_lshlrev_b32_e32 v1, 29, v4
	v_cmp_gt_i64_e32 vcc, 0, v[0:1]
	v_not_b32_e32 v1, v1
	v_ashrrev_i32_e32 v1, 31, v1
	v_and_b32_e32 v28, v28, v29
	v_xor_b32_e32 v29, vcc_hi, v1
	v_xor_b32_e32 v1, vcc_lo, v1
	v_and_b32_e32 v5, v5, v1
	v_lshlrev_b32_e32 v1, 28, v4
	v_cmp_gt_i64_e32 vcc, 0, v[0:1]
	v_not_b32_e32 v1, v1
	v_ashrrev_i32_e32 v1, 31, v1
	v_and_b32_e32 v28, v28, v29
	;; [unrolled: 8-line block ×5, first 2 shown]
	v_xor_b32_e32 v29, vcc_hi, v1
	v_xor_b32_e32 v1, vcc_lo, v1
	v_and_b32_e32 v5, v5, v1
	v_lshlrev_b32_e32 v1, 24, v4
	v_cmp_gt_i64_e32 vcc, 0, v[0:1]
	v_not_b32_e32 v0, v1
	v_ashrrev_i32_e32 v0, 31, v0
	v_xor_b32_e32 v1, vcc_hi, v0
	v_xor_b32_e32 v0, vcc_lo, v0
	; wave barrier
	ds_read_b32 v27, v32 offset:64
	v_and_b32_e32 v28, v28, v29
	v_and_b32_e32 v0, v5, v0
	;; [unrolled: 1-line block ×3, first 2 shown]
	v_mbcnt_lo_u32_b32 v4, v0, 0
	v_mbcnt_hi_u32_b32 v28, v1, v4
	v_cmp_eq_u32_e32 vcc, 0, v28
	v_cmp_ne_u64_e64 s[2:3], 0, v[0:1]
	s_and_b64 s[4:5], s[2:3], vcc
	; wave barrier
	s_and_saveexec_b64 s[2:3], s[4:5]
	s_cbranch_execz .LBB764_95
; %bb.94:
	v_bcnt_u32_b32 v0, v0, 0
	v_bcnt_u32_b32 v0, v1, v0
	s_waitcnt lgkmcnt(0)
	v_add_u32_e32 v0, v27, v0
	ds_write_b32 v32, v0 offset:64
.LBB764_95:
	s_or_b64 exec, exec, s[2:3]
	s_waitcnt vmcnt(7)
	v_lshrrev_b32_e32 v0, s20, v14
	v_and_b32_e32 v4, s13, v0
	v_and_b32_e32 v1, 1, v4
	v_add_co_u32_e32 v5, vcc, -1, v1
	v_addc_co_u32_e64 v31, s[2:3], 0, -1, vcc
	v_cmp_ne_u32_e32 vcc, 0, v1
	v_lshl_add_u32 v0, v4, 4, v4
	v_xor_b32_e32 v1, vcc_hi, v31
	v_add_lshl_u32 v35, v30, v0, 2
	v_mov_b32_e32 v0, 0
	v_and_b32_e32 v31, exec_hi, v1
	v_lshlrev_b32_e32 v1, 30, v4
	v_xor_b32_e32 v5, vcc_lo, v5
	v_cmp_gt_i64_e32 vcc, 0, v[0:1]
	v_not_b32_e32 v1, v1
	v_ashrrev_i32_e32 v1, 31, v1
	v_and_b32_e32 v5, exec_lo, v5
	v_xor_b32_e32 v33, vcc_hi, v1
	v_xor_b32_e32 v1, vcc_lo, v1
	v_and_b32_e32 v5, v5, v1
	v_lshlrev_b32_e32 v1, 29, v4
	v_cmp_gt_i64_e32 vcc, 0, v[0:1]
	v_not_b32_e32 v1, v1
	v_ashrrev_i32_e32 v1, 31, v1
	v_and_b32_e32 v31, v31, v33
	v_xor_b32_e32 v33, vcc_hi, v1
	v_xor_b32_e32 v1, vcc_lo, v1
	v_and_b32_e32 v5, v5, v1
	v_lshlrev_b32_e32 v1, 28, v4
	v_cmp_gt_i64_e32 vcc, 0, v[0:1]
	v_not_b32_e32 v1, v1
	v_ashrrev_i32_e32 v1, 31, v1
	v_and_b32_e32 v31, v31, v33
	;; [unrolled: 8-line block ×5, first 2 shown]
	v_xor_b32_e32 v33, vcc_hi, v1
	v_xor_b32_e32 v1, vcc_lo, v1
	v_and_b32_e32 v31, v31, v33
	v_and_b32_e32 v33, v5, v1
	v_lshlrev_b32_e32 v1, 24, v4
	v_cmp_gt_i64_e32 vcc, 0, v[0:1]
	v_not_b32_e32 v1, v1
	v_ashrrev_i32_e32 v1, 31, v1
	v_xor_b32_e32 v4, vcc_hi, v1
	v_xor_b32_e32 v1, vcc_lo, v1
	; wave barrier
	ds_read_b32 v29, v35 offset:64
	v_and_b32_e32 v5, v31, v4
	v_and_b32_e32 v4, v33, v1
	v_mbcnt_lo_u32_b32 v1, v4, 0
	v_mbcnt_hi_u32_b32 v31, v5, v1
	v_cmp_eq_u32_e32 vcc, 0, v31
	v_cmp_ne_u64_e64 s[2:3], 0, v[4:5]
	s_and_b64 s[4:5], s[2:3], vcc
	; wave barrier
	s_and_saveexec_b64 s[2:3], s[4:5]
	s_cbranch_execz .LBB764_97
; %bb.96:
	v_bcnt_u32_b32 v1, v4, 0
	v_bcnt_u32_b32 v1, v5, v1
	s_waitcnt lgkmcnt(0)
	v_add_u32_e32 v1, v29, v1
	ds_write_b32 v35, v1 offset:64
.LBB764_97:
	s_or_b64 exec, exec, s[2:3]
	s_waitcnt vmcnt(6)
	v_lshrrev_b32_e32 v1, s20, v15
	v_and_b32_e32 v4, s13, v1
	v_lshl_add_u32 v1, v4, 4, v4
	v_add_lshl_u32 v38, v30, v1, 2
	v_and_b32_e32 v1, 1, v4
	v_add_co_u32_e32 v5, vcc, -1, v1
	v_addc_co_u32_e64 v34, s[2:3], 0, -1, vcc
	v_cmp_ne_u32_e32 vcc, 0, v1
	v_xor_b32_e32 v1, vcc_hi, v34
	v_and_b32_e32 v34, exec_hi, v1
	v_lshlrev_b32_e32 v1, 30, v4
	v_xor_b32_e32 v5, vcc_lo, v5
	v_cmp_gt_i64_e32 vcc, 0, v[0:1]
	v_not_b32_e32 v1, v1
	v_ashrrev_i32_e32 v1, 31, v1
	v_and_b32_e32 v5, exec_lo, v5
	v_xor_b32_e32 v36, vcc_hi, v1
	v_xor_b32_e32 v1, vcc_lo, v1
	v_and_b32_e32 v5, v5, v1
	v_lshlrev_b32_e32 v1, 29, v4
	v_cmp_gt_i64_e32 vcc, 0, v[0:1]
	v_not_b32_e32 v1, v1
	v_ashrrev_i32_e32 v1, 31, v1
	v_and_b32_e32 v34, v34, v36
	v_xor_b32_e32 v36, vcc_hi, v1
	v_xor_b32_e32 v1, vcc_lo, v1
	v_and_b32_e32 v5, v5, v1
	v_lshlrev_b32_e32 v1, 28, v4
	v_cmp_gt_i64_e32 vcc, 0, v[0:1]
	v_not_b32_e32 v1, v1
	v_ashrrev_i32_e32 v1, 31, v1
	v_and_b32_e32 v34, v34, v36
	;; [unrolled: 8-line block ×5, first 2 shown]
	v_xor_b32_e32 v36, vcc_hi, v1
	v_xor_b32_e32 v1, vcc_lo, v1
	v_and_b32_e32 v5, v5, v1
	v_lshlrev_b32_e32 v1, 24, v4
	v_cmp_gt_i64_e32 vcc, 0, v[0:1]
	v_not_b32_e32 v0, v1
	v_ashrrev_i32_e32 v0, 31, v0
	v_xor_b32_e32 v1, vcc_hi, v0
	v_xor_b32_e32 v0, vcc_lo, v0
	; wave barrier
	ds_read_b32 v33, v38 offset:64
	v_and_b32_e32 v34, v34, v36
	v_and_b32_e32 v0, v5, v0
	;; [unrolled: 1-line block ×3, first 2 shown]
	v_mbcnt_lo_u32_b32 v4, v0, 0
	v_mbcnt_hi_u32_b32 v34, v1, v4
	v_cmp_eq_u32_e32 vcc, 0, v34
	v_cmp_ne_u64_e64 s[2:3], 0, v[0:1]
	s_and_b64 s[4:5], s[2:3], vcc
	; wave barrier
	s_and_saveexec_b64 s[2:3], s[4:5]
	s_cbranch_execz .LBB764_99
; %bb.98:
	v_bcnt_u32_b32 v0, v0, 0
	v_bcnt_u32_b32 v0, v1, v0
	s_waitcnt lgkmcnt(0)
	v_add_u32_e32 v0, v33, v0
	ds_write_b32 v38, v0 offset:64
.LBB764_99:
	s_or_b64 exec, exec, s[2:3]
	s_waitcnt vmcnt(5)
	v_lshrrev_b32_e32 v0, s20, v16
	v_and_b32_e32 v4, s13, v0
	v_and_b32_e32 v1, 1, v4
	v_add_co_u32_e32 v5, vcc, -1, v1
	v_addc_co_u32_e64 v37, s[2:3], 0, -1, vcc
	v_cmp_ne_u32_e32 vcc, 0, v1
	v_lshl_add_u32 v0, v4, 4, v4
	v_xor_b32_e32 v1, vcc_hi, v37
	v_add_lshl_u32 v40, v30, v0, 2
	v_mov_b32_e32 v0, 0
	v_and_b32_e32 v37, exec_hi, v1
	v_lshlrev_b32_e32 v1, 30, v4
	v_xor_b32_e32 v5, vcc_lo, v5
	v_cmp_gt_i64_e32 vcc, 0, v[0:1]
	v_not_b32_e32 v1, v1
	v_ashrrev_i32_e32 v1, 31, v1
	v_and_b32_e32 v5, exec_lo, v5
	v_xor_b32_e32 v39, vcc_hi, v1
	v_xor_b32_e32 v1, vcc_lo, v1
	v_and_b32_e32 v5, v5, v1
	v_lshlrev_b32_e32 v1, 29, v4
	v_cmp_gt_i64_e32 vcc, 0, v[0:1]
	v_not_b32_e32 v1, v1
	v_ashrrev_i32_e32 v1, 31, v1
	v_and_b32_e32 v37, v37, v39
	v_xor_b32_e32 v39, vcc_hi, v1
	v_xor_b32_e32 v1, vcc_lo, v1
	v_and_b32_e32 v5, v5, v1
	v_lshlrev_b32_e32 v1, 28, v4
	v_cmp_gt_i64_e32 vcc, 0, v[0:1]
	v_not_b32_e32 v1, v1
	v_ashrrev_i32_e32 v1, 31, v1
	v_and_b32_e32 v37, v37, v39
	;; [unrolled: 8-line block ×5, first 2 shown]
	v_xor_b32_e32 v39, vcc_hi, v1
	v_xor_b32_e32 v1, vcc_lo, v1
	v_and_b32_e32 v37, v37, v39
	v_and_b32_e32 v39, v5, v1
	v_lshlrev_b32_e32 v1, 24, v4
	v_cmp_gt_i64_e32 vcc, 0, v[0:1]
	v_not_b32_e32 v1, v1
	v_ashrrev_i32_e32 v1, 31, v1
	v_xor_b32_e32 v4, vcc_hi, v1
	v_xor_b32_e32 v1, vcc_lo, v1
	; wave barrier
	ds_read_b32 v36, v40 offset:64
	v_and_b32_e32 v5, v37, v4
	v_and_b32_e32 v4, v39, v1
	v_mbcnt_lo_u32_b32 v1, v4, 0
	v_mbcnt_hi_u32_b32 v37, v5, v1
	v_cmp_eq_u32_e32 vcc, 0, v37
	v_cmp_ne_u64_e64 s[2:3], 0, v[4:5]
	s_and_b64 s[4:5], s[2:3], vcc
	; wave barrier
	s_and_saveexec_b64 s[2:3], s[4:5]
	s_cbranch_execz .LBB764_101
; %bb.100:
	v_bcnt_u32_b32 v1, v4, 0
	v_bcnt_u32_b32 v1, v5, v1
	s_waitcnt lgkmcnt(0)
	v_add_u32_e32 v1, v36, v1
	ds_write_b32 v40, v1 offset:64
.LBB764_101:
	s_or_b64 exec, exec, s[2:3]
	s_waitcnt vmcnt(4)
	v_lshrrev_b32_e32 v1, s20, v17
	v_and_b32_e32 v4, s13, v1
	v_lshl_add_u32 v1, v4, 4, v4
	v_add_lshl_u32 v44, v30, v1, 2
	v_and_b32_e32 v1, 1, v4
	v_add_co_u32_e32 v5, vcc, -1, v1
	v_addc_co_u32_e64 v41, s[2:3], 0, -1, vcc
	v_cmp_ne_u32_e32 vcc, 0, v1
	v_xor_b32_e32 v1, vcc_hi, v41
	v_and_b32_e32 v41, exec_hi, v1
	v_lshlrev_b32_e32 v1, 30, v4
	v_xor_b32_e32 v5, vcc_lo, v5
	v_cmp_gt_i64_e32 vcc, 0, v[0:1]
	v_not_b32_e32 v1, v1
	v_ashrrev_i32_e32 v1, 31, v1
	v_and_b32_e32 v5, exec_lo, v5
	v_xor_b32_e32 v42, vcc_hi, v1
	v_xor_b32_e32 v1, vcc_lo, v1
	v_and_b32_e32 v5, v5, v1
	v_lshlrev_b32_e32 v1, 29, v4
	v_cmp_gt_i64_e32 vcc, 0, v[0:1]
	v_not_b32_e32 v1, v1
	v_ashrrev_i32_e32 v1, 31, v1
	v_and_b32_e32 v41, v41, v42
	v_xor_b32_e32 v42, vcc_hi, v1
	v_xor_b32_e32 v1, vcc_lo, v1
	v_and_b32_e32 v5, v5, v1
	v_lshlrev_b32_e32 v1, 28, v4
	v_cmp_gt_i64_e32 vcc, 0, v[0:1]
	v_not_b32_e32 v1, v1
	v_ashrrev_i32_e32 v1, 31, v1
	v_and_b32_e32 v41, v41, v42
	;; [unrolled: 8-line block ×5, first 2 shown]
	v_xor_b32_e32 v42, vcc_hi, v1
	v_xor_b32_e32 v1, vcc_lo, v1
	v_and_b32_e32 v5, v5, v1
	v_lshlrev_b32_e32 v1, 24, v4
	v_cmp_gt_i64_e32 vcc, 0, v[0:1]
	v_not_b32_e32 v0, v1
	v_ashrrev_i32_e32 v0, 31, v0
	v_xor_b32_e32 v1, vcc_hi, v0
	v_xor_b32_e32 v0, vcc_lo, v0
	; wave barrier
	ds_read_b32 v39, v44 offset:64
	v_and_b32_e32 v41, v41, v42
	v_and_b32_e32 v0, v5, v0
	;; [unrolled: 1-line block ×3, first 2 shown]
	v_mbcnt_lo_u32_b32 v4, v0, 0
	v_mbcnt_hi_u32_b32 v41, v1, v4
	v_cmp_eq_u32_e32 vcc, 0, v41
	v_cmp_ne_u64_e64 s[2:3], 0, v[0:1]
	s_and_b64 s[4:5], s[2:3], vcc
	; wave barrier
	s_and_saveexec_b64 s[2:3], s[4:5]
	s_cbranch_execz .LBB764_103
; %bb.102:
	v_bcnt_u32_b32 v0, v0, 0
	v_bcnt_u32_b32 v0, v1, v0
	s_waitcnt lgkmcnt(0)
	v_add_u32_e32 v0, v39, v0
	ds_write_b32 v44, v0 offset:64
.LBB764_103:
	s_or_b64 exec, exec, s[2:3]
	s_waitcnt vmcnt(3)
	v_lshrrev_b32_e32 v0, s20, v18
	v_and_b32_e32 v4, s13, v0
	v_and_b32_e32 v1, 1, v4
	v_add_co_u32_e32 v5, vcc, -1, v1
	v_addc_co_u32_e64 v43, s[2:3], 0, -1, vcc
	v_cmp_ne_u32_e32 vcc, 0, v1
	v_lshl_add_u32 v0, v4, 4, v4
	v_xor_b32_e32 v1, vcc_hi, v43
	v_add_lshl_u32 v47, v30, v0, 2
	v_mov_b32_e32 v0, 0
	v_and_b32_e32 v43, exec_hi, v1
	v_lshlrev_b32_e32 v1, 30, v4
	v_xor_b32_e32 v5, vcc_lo, v5
	v_cmp_gt_i64_e32 vcc, 0, v[0:1]
	v_not_b32_e32 v1, v1
	v_ashrrev_i32_e32 v1, 31, v1
	v_and_b32_e32 v5, exec_lo, v5
	v_xor_b32_e32 v45, vcc_hi, v1
	v_xor_b32_e32 v1, vcc_lo, v1
	v_and_b32_e32 v5, v5, v1
	v_lshlrev_b32_e32 v1, 29, v4
	v_cmp_gt_i64_e32 vcc, 0, v[0:1]
	v_not_b32_e32 v1, v1
	v_ashrrev_i32_e32 v1, 31, v1
	v_and_b32_e32 v43, v43, v45
	v_xor_b32_e32 v45, vcc_hi, v1
	v_xor_b32_e32 v1, vcc_lo, v1
	v_and_b32_e32 v5, v5, v1
	v_lshlrev_b32_e32 v1, 28, v4
	v_cmp_gt_i64_e32 vcc, 0, v[0:1]
	v_not_b32_e32 v1, v1
	v_ashrrev_i32_e32 v1, 31, v1
	v_and_b32_e32 v43, v43, v45
	;; [unrolled: 8-line block ×5, first 2 shown]
	v_xor_b32_e32 v45, vcc_hi, v1
	v_xor_b32_e32 v1, vcc_lo, v1
	v_and_b32_e32 v43, v43, v45
	v_and_b32_e32 v45, v5, v1
	v_lshlrev_b32_e32 v1, 24, v4
	v_cmp_gt_i64_e32 vcc, 0, v[0:1]
	v_not_b32_e32 v1, v1
	v_ashrrev_i32_e32 v1, 31, v1
	v_xor_b32_e32 v4, vcc_hi, v1
	v_xor_b32_e32 v1, vcc_lo, v1
	; wave barrier
	ds_read_b32 v42, v47 offset:64
	v_and_b32_e32 v5, v43, v4
	v_and_b32_e32 v4, v45, v1
	v_mbcnt_lo_u32_b32 v1, v4, 0
	v_mbcnt_hi_u32_b32 v43, v5, v1
	v_cmp_eq_u32_e32 vcc, 0, v43
	v_cmp_ne_u64_e64 s[2:3], 0, v[4:5]
	s_and_b64 s[4:5], s[2:3], vcc
	; wave barrier
	s_and_saveexec_b64 s[2:3], s[4:5]
	s_cbranch_execz .LBB764_105
; %bb.104:
	v_bcnt_u32_b32 v1, v4, 0
	v_bcnt_u32_b32 v1, v5, v1
	s_waitcnt lgkmcnt(0)
	v_add_u32_e32 v1, v42, v1
	ds_write_b32 v47, v1 offset:64
.LBB764_105:
	s_or_b64 exec, exec, s[2:3]
	s_waitcnt vmcnt(2)
	v_lshrrev_b32_e32 v1, s20, v19
	v_and_b32_e32 v4, s13, v1
	v_lshl_add_u32 v1, v4, 4, v4
	v_add_lshl_u32 v50, v30, v1, 2
	v_and_b32_e32 v1, 1, v4
	v_add_co_u32_e32 v5, vcc, -1, v1
	v_addc_co_u32_e64 v46, s[2:3], 0, -1, vcc
	v_cmp_ne_u32_e32 vcc, 0, v1
	v_xor_b32_e32 v1, vcc_hi, v46
	v_and_b32_e32 v46, exec_hi, v1
	v_lshlrev_b32_e32 v1, 30, v4
	v_xor_b32_e32 v5, vcc_lo, v5
	v_cmp_gt_i64_e32 vcc, 0, v[0:1]
	v_not_b32_e32 v1, v1
	v_ashrrev_i32_e32 v1, 31, v1
	v_and_b32_e32 v5, exec_lo, v5
	v_xor_b32_e32 v48, vcc_hi, v1
	v_xor_b32_e32 v1, vcc_lo, v1
	v_and_b32_e32 v5, v5, v1
	v_lshlrev_b32_e32 v1, 29, v4
	v_cmp_gt_i64_e32 vcc, 0, v[0:1]
	v_not_b32_e32 v1, v1
	v_ashrrev_i32_e32 v1, 31, v1
	v_and_b32_e32 v46, v46, v48
	v_xor_b32_e32 v48, vcc_hi, v1
	v_xor_b32_e32 v1, vcc_lo, v1
	v_and_b32_e32 v5, v5, v1
	v_lshlrev_b32_e32 v1, 28, v4
	v_cmp_gt_i64_e32 vcc, 0, v[0:1]
	v_not_b32_e32 v1, v1
	v_ashrrev_i32_e32 v1, 31, v1
	v_and_b32_e32 v46, v46, v48
	;; [unrolled: 8-line block ×5, first 2 shown]
	v_xor_b32_e32 v48, vcc_hi, v1
	v_xor_b32_e32 v1, vcc_lo, v1
	v_and_b32_e32 v5, v5, v1
	v_lshlrev_b32_e32 v1, 24, v4
	v_cmp_gt_i64_e32 vcc, 0, v[0:1]
	v_not_b32_e32 v0, v1
	v_ashrrev_i32_e32 v0, 31, v0
	v_xor_b32_e32 v1, vcc_hi, v0
	v_xor_b32_e32 v0, vcc_lo, v0
	; wave barrier
	ds_read_b32 v45, v50 offset:64
	v_and_b32_e32 v46, v46, v48
	v_and_b32_e32 v0, v5, v0
	;; [unrolled: 1-line block ×3, first 2 shown]
	v_mbcnt_lo_u32_b32 v4, v0, 0
	v_mbcnt_hi_u32_b32 v46, v1, v4
	v_cmp_eq_u32_e32 vcc, 0, v46
	v_cmp_ne_u64_e64 s[2:3], 0, v[0:1]
	s_and_b64 s[4:5], s[2:3], vcc
	; wave barrier
	s_and_saveexec_b64 s[2:3], s[4:5]
	s_cbranch_execz .LBB764_107
; %bb.106:
	v_bcnt_u32_b32 v0, v0, 0
	v_bcnt_u32_b32 v0, v1, v0
	s_waitcnt lgkmcnt(0)
	v_add_u32_e32 v0, v45, v0
	ds_write_b32 v50, v0 offset:64
.LBB764_107:
	s_or_b64 exec, exec, s[2:3]
	s_waitcnt vmcnt(1)
	v_lshrrev_b32_e32 v0, s20, v20
	v_and_b32_e32 v4, s13, v0
	v_and_b32_e32 v1, 1, v4
	v_add_co_u32_e32 v5, vcc, -1, v1
	v_addc_co_u32_e64 v49, s[2:3], 0, -1, vcc
	v_cmp_ne_u32_e32 vcc, 0, v1
	v_lshl_add_u32 v0, v4, 4, v4
	v_xor_b32_e32 v1, vcc_hi, v49
	v_add_lshl_u32 v53, v30, v0, 2
	v_mov_b32_e32 v0, 0
	v_and_b32_e32 v49, exec_hi, v1
	v_lshlrev_b32_e32 v1, 30, v4
	v_xor_b32_e32 v5, vcc_lo, v5
	v_cmp_gt_i64_e32 vcc, 0, v[0:1]
	v_not_b32_e32 v1, v1
	v_ashrrev_i32_e32 v1, 31, v1
	v_and_b32_e32 v5, exec_lo, v5
	v_xor_b32_e32 v51, vcc_hi, v1
	v_xor_b32_e32 v1, vcc_lo, v1
	v_and_b32_e32 v5, v5, v1
	v_lshlrev_b32_e32 v1, 29, v4
	v_cmp_gt_i64_e32 vcc, 0, v[0:1]
	v_not_b32_e32 v1, v1
	v_ashrrev_i32_e32 v1, 31, v1
	v_and_b32_e32 v49, v49, v51
	v_xor_b32_e32 v51, vcc_hi, v1
	v_xor_b32_e32 v1, vcc_lo, v1
	v_and_b32_e32 v5, v5, v1
	v_lshlrev_b32_e32 v1, 28, v4
	v_cmp_gt_i64_e32 vcc, 0, v[0:1]
	v_not_b32_e32 v1, v1
	v_ashrrev_i32_e32 v1, 31, v1
	v_and_b32_e32 v49, v49, v51
	;; [unrolled: 8-line block ×5, first 2 shown]
	v_xor_b32_e32 v51, vcc_hi, v1
	v_xor_b32_e32 v1, vcc_lo, v1
	v_and_b32_e32 v49, v49, v51
	v_and_b32_e32 v51, v5, v1
	v_lshlrev_b32_e32 v1, 24, v4
	v_cmp_gt_i64_e32 vcc, 0, v[0:1]
	v_not_b32_e32 v1, v1
	v_ashrrev_i32_e32 v1, 31, v1
	v_xor_b32_e32 v4, vcc_hi, v1
	v_xor_b32_e32 v1, vcc_lo, v1
	; wave barrier
	ds_read_b32 v48, v53 offset:64
	v_and_b32_e32 v5, v49, v4
	v_and_b32_e32 v4, v51, v1
	v_mbcnt_lo_u32_b32 v1, v4, 0
	v_mbcnt_hi_u32_b32 v49, v5, v1
	v_cmp_eq_u32_e32 vcc, 0, v49
	v_cmp_ne_u64_e64 s[2:3], 0, v[4:5]
	s_and_b64 s[4:5], s[2:3], vcc
	; wave barrier
	s_and_saveexec_b64 s[2:3], s[4:5]
	s_cbranch_execz .LBB764_109
; %bb.108:
	v_bcnt_u32_b32 v1, v4, 0
	v_bcnt_u32_b32 v1, v5, v1
	s_waitcnt lgkmcnt(0)
	v_add_u32_e32 v1, v48, v1
	ds_write_b32 v53, v1 offset:64
.LBB764_109:
	s_or_b64 exec, exec, s[2:3]
	s_waitcnt vmcnt(0)
	v_lshrrev_b32_e32 v1, s20, v21
	v_and_b32_e32 v4, s13, v1
	v_lshl_add_u32 v1, v4, 4, v4
	v_add_lshl_u32 v54, v30, v1, 2
	v_and_b32_e32 v1, 1, v4
	v_add_co_u32_e32 v5, vcc, -1, v1
	v_addc_co_u32_e64 v30, s[2:3], 0, -1, vcc
	v_cmp_ne_u32_e32 vcc, 0, v1
	v_xor_b32_e32 v1, vcc_hi, v30
	v_and_b32_e32 v30, exec_hi, v1
	v_lshlrev_b32_e32 v1, 30, v4
	v_xor_b32_e32 v5, vcc_lo, v5
	v_cmp_gt_i64_e32 vcc, 0, v[0:1]
	v_not_b32_e32 v1, v1
	v_ashrrev_i32_e32 v1, 31, v1
	v_and_b32_e32 v5, exec_lo, v5
	v_xor_b32_e32 v52, vcc_hi, v1
	v_xor_b32_e32 v1, vcc_lo, v1
	v_and_b32_e32 v5, v5, v1
	v_lshlrev_b32_e32 v1, 29, v4
	v_cmp_gt_i64_e32 vcc, 0, v[0:1]
	v_not_b32_e32 v1, v1
	v_ashrrev_i32_e32 v1, 31, v1
	v_and_b32_e32 v30, v30, v52
	v_xor_b32_e32 v52, vcc_hi, v1
	v_xor_b32_e32 v1, vcc_lo, v1
	v_and_b32_e32 v5, v5, v1
	v_lshlrev_b32_e32 v1, 28, v4
	v_cmp_gt_i64_e32 vcc, 0, v[0:1]
	v_not_b32_e32 v1, v1
	v_ashrrev_i32_e32 v1, 31, v1
	v_and_b32_e32 v30, v30, v52
	;; [unrolled: 8-line block ×5, first 2 shown]
	v_xor_b32_e32 v52, vcc_hi, v1
	v_xor_b32_e32 v1, vcc_lo, v1
	v_and_b32_e32 v5, v5, v1
	v_lshlrev_b32_e32 v1, 24, v4
	v_cmp_gt_i64_e32 vcc, 0, v[0:1]
	v_not_b32_e32 v0, v1
	v_ashrrev_i32_e32 v0, 31, v0
	v_xor_b32_e32 v1, vcc_hi, v0
	v_xor_b32_e32 v0, vcc_lo, v0
	; wave barrier
	ds_read_b32 v51, v54 offset:64
	v_and_b32_e32 v30, v30, v52
	v_and_b32_e32 v0, v5, v0
	;; [unrolled: 1-line block ×3, first 2 shown]
	v_mbcnt_lo_u32_b32 v4, v0, 0
	v_mbcnt_hi_u32_b32 v52, v1, v4
	v_cmp_eq_u32_e32 vcc, 0, v52
	v_cmp_ne_u64_e64 s[2:3], 0, v[0:1]
	v_add_u32_e32 v55, 64, v6
	s_and_b64 s[4:5], s[2:3], vcc
	; wave barrier
	s_and_saveexec_b64 s[2:3], s[4:5]
	s_cbranch_execz .LBB764_111
; %bb.110:
	v_bcnt_u32_b32 v0, v0, 0
	v_bcnt_u32_b32 v0, v1, v0
	s_waitcnt lgkmcnt(0)
	v_add_u32_e32 v0, v51, v0
	ds_write_b32 v54, v0 offset:64
.LBB764_111:
	s_or_b64 exec, exec, s[2:3]
	; wave barrier
	s_waitcnt lgkmcnt(0)
	s_barrier
	ds_read2_b32 v[4:5], v6 offset0:16 offset1:17
	ds_read2_b32 v[0:1], v55 offset0:2 offset1:3
	ds_read_b32 v30, v55 offset:16
	v_cmp_lt_u32_e64 s[8:9], 31, v3
	s_waitcnt lgkmcnt(1)
	v_add3_u32 v56, v5, v4, v0
	s_waitcnt lgkmcnt(0)
	v_add3_u32 v30, v56, v1, v30
	v_and_b32_e32 v56, 15, v3
	v_cmp_eq_u32_e32 vcc, 0, v56
	v_mov_b32_dpp v57, v30 row_shr:1 row_mask:0xf bank_mask:0xf
	v_cndmask_b32_e64 v57, v57, 0, vcc
	v_add_u32_e32 v30, v57, v30
	v_cmp_lt_u32_e64 s[2:3], 1, v56
	v_cmp_lt_u32_e64 s[4:5], 3, v56
	v_mov_b32_dpp v57, v30 row_shr:2 row_mask:0xf bank_mask:0xf
	v_cndmask_b32_e64 v57, 0, v57, s[2:3]
	v_add_u32_e32 v30, v30, v57
	v_cmp_lt_u32_e64 s[6:7], 7, v56
	s_nop 0
	v_mov_b32_dpp v57, v30 row_shr:4 row_mask:0xf bank_mask:0xf
	v_cndmask_b32_e64 v57, 0, v57, s[4:5]
	v_add_u32_e32 v30, v30, v57
	s_nop 1
	v_mov_b32_dpp v57, v30 row_shr:8 row_mask:0xf bank_mask:0xf
	v_cndmask_b32_e64 v56, 0, v57, s[6:7]
	v_add_u32_e32 v30, v30, v56
	v_bfe_i32 v57, v3, 4, 1
	s_nop 0
	v_mov_b32_dpp v56, v30 row_bcast:15 row_mask:0xf bank_mask:0xf
	v_and_b32_e32 v56, v57, v56
	v_add_u32_e32 v30, v30, v56
	v_lshrrev_b32_e32 v57, 6, v2
	s_nop 0
	v_mov_b32_dpp v56, v30 row_bcast:31 row_mask:0xf bank_mask:0xf
	v_cndmask_b32_e64 v56, 0, v56, s[8:9]
	v_add_u32_e32 v56, v30, v56
	v_and_b32_e32 v30, 63, v2
	v_cmp_eq_u32_e64 s[8:9], 63, v30
	s_and_saveexec_b64 s[10:11], s[8:9]
	s_cbranch_execz .LBB764_113
; %bb.112:
	v_lshlrev_b32_e32 v30, 2, v57
	ds_write_b32 v30, v56
.LBB764_113:
	s_or_b64 exec, exec, s[10:11]
	v_cmp_gt_u32_e64 s[8:9], 16, v2
	v_lshlrev_b32_e32 v30, 2, v2
	s_waitcnt lgkmcnt(0)
	s_barrier
	s_and_saveexec_b64 s[10:11], s[8:9]
	s_cbranch_execz .LBB764_115
; %bb.114:
	ds_read_b32 v58, v30
	s_waitcnt lgkmcnt(0)
	s_nop 0
	v_mov_b32_dpp v59, v58 row_shr:1 row_mask:0xf bank_mask:0xf
	v_cndmask_b32_e64 v59, v59, 0, vcc
	v_add_u32_e32 v58, v59, v58
	s_nop 1
	v_mov_b32_dpp v59, v58 row_shr:2 row_mask:0xf bank_mask:0xf
	v_cndmask_b32_e64 v59, 0, v59, s[2:3]
	v_add_u32_e32 v58, v58, v59
	s_nop 1
	v_mov_b32_dpp v59, v58 row_shr:4 row_mask:0xf bank_mask:0xf
	v_cndmask_b32_e64 v59, 0, v59, s[4:5]
	;; [unrolled: 4-line block ×3, first 2 shown]
	v_add_u32_e32 v58, v58, v59
	ds_write_b32 v30, v58
.LBB764_115:
	s_or_b64 exec, exec, s[10:11]
	v_cmp_lt_u32_e32 vcc, 63, v2
	v_mov_b32_e32 v58, 0
	s_waitcnt lgkmcnt(0)
	s_barrier
	s_and_saveexec_b64 s[2:3], vcc
	s_cbranch_execz .LBB764_117
; %bb.116:
	v_lshl_add_u32 v57, v57, 2, -4
	ds_read_b32 v58, v57
.LBB764_117:
	s_or_b64 exec, exec, s[2:3]
	v_add_u32_e32 v57, -1, v3
	v_and_b32_e32 v59, 64, v3
	v_cmp_lt_i32_e32 vcc, v57, v59
	v_cndmask_b32_e32 v57, v57, v3, vcc
	s_waitcnt lgkmcnt(0)
	v_add_u32_e32 v56, v58, v56
	v_lshlrev_b32_e32 v57, 2, v57
	ds_bpermute_b32 v56, v57, v56
	v_cmp_eq_u32_e32 vcc, 0, v3
	s_movk_i32 s2, 0xff
	s_waitcnt lgkmcnt(0)
	v_cndmask_b32_e32 v3, v56, v58, vcc
	v_cndmask_b32_e64 v3, v3, 0, s[0:1]
	v_add_u32_e32 v4, v3, v4
	v_add_u32_e32 v5, v4, v5
	;; [unrolled: 1-line block ×4, first 2 shown]
	ds_write2_b32 v6, v3, v4 offset0:16 offset1:17
	ds_write2_b32 v55, v5, v0 offset0:2 offset1:3
	ds_write_b32 v55, v1 offset:16
	s_waitcnt lgkmcnt(0)
	s_barrier
	ds_read_b32 v60, v7 offset:64
	ds_read_b32 v55, v8 offset:64
	ds_read_b32 v56, v9 offset:64
	ds_read_b32 v57, v32 offset:64
	ds_read_b32 v58, v35 offset:64
	ds_read_b32 v38, v38 offset:64
	ds_read_b32 v59, v40 offset:64
	ds_read_b32 v35, v44 offset:64
	ds_read_b32 v32, v47 offset:64
	ds_read_b32 v44, v50 offset:64
	ds_read_b32 v47, v53 offset:64
	ds_read_b32 v50, v54 offset:64
	s_movk_i32 s0, 0x100
	v_cmp_lt_u32_e32 vcc, s2, v2
	v_cmp_gt_u32_e64 s[0:1], s0, v2
	v_pk_mov_b32 v[4:5], 0, 0
                                        ; implicit-def: $vgpr40
	s_and_saveexec_b64 s[4:5], s[0:1]
	s_cbranch_execz .LBB764_121
; %bb.118:
	v_mul_u32_u24_e32 v0, 17, v2
	v_lshlrev_b32_e32 v1, 2, v0
	ds_read_b32 v4, v1 offset:64
	v_cmp_ne_u32_e64 s[2:3], s2, v2
	v_mov_b32_e32 v0, 0x3000
	s_and_saveexec_b64 s[6:7], s[2:3]
	s_cbranch_execz .LBB764_120
; %bb.119:
	ds_read_b32 v0, v1 offset:132
.LBB764_120:
	s_or_b64 exec, exec, s[6:7]
	s_waitcnt lgkmcnt(0)
	v_sub_u32_e32 v40, v0, v4
	v_mov_b32_e32 v5, 0
.LBB764_121:
	s_or_b64 exec, exec, s[4:5]
	s_waitcnt lgkmcnt(0)
	s_barrier
	s_and_saveexec_b64 s[2:3], vcc
	s_xor_b64 s[2:3], exec, s[2:3]
; %bb.122:
	v_mov_b32_e32 v3, 0
; %bb.123:
	s_andn2_saveexec_b64 s[2:3], s[2:3]
	s_cbranch_execz .LBB764_133
; %bb.124:
	v_lshl_or_b32 v0, s30, 8, v2
	v_mov_b32_e32 v1, 0
	v_lshlrev_b64 v[6:7], 2, v[0:1]
	v_mov_b32_e32 v3, s15
	v_add_co_u32_e32 v6, vcc, s14, v6
	v_addc_co_u32_e32 v7, vcc, v3, v7, vcc
	v_or_b32_e32 v0, 2.0, v40
	s_mov_b64 s[4:5], 0
	s_brev_b32 s10, 1
	s_mov_b32 s11, s30
	v_mov_b32_e32 v53, 0
	global_store_dword v[6:7], v0, off
                                        ; implicit-def: $sgpr6_sgpr7
	s_branch .LBB764_127
.LBB764_125:                            ;   in Loop: Header=BB764_127 Depth=1
	s_or_b64 exec, exec, s[8:9]
.LBB764_126:                            ;   in Loop: Header=BB764_127 Depth=1
	s_or_b64 exec, exec, s[6:7]
	v_and_b32_e32 v8, 0x3fffffff, v54
	v_add_u32_e32 v53, v8, v53
	v_cmp_eq_u32_e64 s[6:7], s10, v0
	s_and_b64 s[8:9], exec, s[6:7]
	s_or_b64 s[4:5], s[8:9], s[4:5]
	s_andn2_b64 exec, exec, s[4:5]
	s_cbranch_execz .LBB764_132
.LBB764_127:                            ; =>This Loop Header: Depth=1
                                        ;     Child Loop BB764_130 Depth 2
	s_or_b64 s[6:7], s[6:7], exec
	s_cmp_eq_u32 s11, 0
	s_cbranch_scc1 .LBB764_131
; %bb.128:                              ;   in Loop: Header=BB764_127 Depth=1
	s_add_i32 s11, s11, -1
	v_lshl_or_b32 v0, s11, 8, v2
	v_lshlrev_b64 v[8:9], 2, v[0:1]
	v_add_co_u32_e32 v8, vcc, s14, v8
	v_addc_co_u32_e32 v9, vcc, v3, v9, vcc
	global_load_dword v54, v[8:9], off glc
	s_waitcnt vmcnt(0)
	v_and_b32_e32 v0, -2.0, v54
	v_cmp_eq_u32_e32 vcc, 0, v0
	s_and_saveexec_b64 s[6:7], vcc
	s_cbranch_execz .LBB764_126
; %bb.129:                              ;   in Loop: Header=BB764_127 Depth=1
	s_mov_b64 s[8:9], 0
.LBB764_130:                            ;   Parent Loop BB764_127 Depth=1
                                        ; =>  This Inner Loop Header: Depth=2
	global_load_dword v54, v[8:9], off glc
	s_waitcnt vmcnt(0)
	v_and_b32_e32 v0, -2.0, v54
	v_cmp_ne_u32_e32 vcc, 0, v0
	s_or_b64 s[8:9], vcc, s[8:9]
	s_andn2_b64 exec, exec, s[8:9]
	s_cbranch_execnz .LBB764_130
	s_branch .LBB764_125
.LBB764_131:                            ;   in Loop: Header=BB764_127 Depth=1
                                        ; implicit-def: $sgpr11
	s_and_b64 s[8:9], exec, s[6:7]
	s_or_b64 s[4:5], s[8:9], s[4:5]
	s_andn2_b64 exec, exec, s[4:5]
	s_cbranch_execnz .LBB764_127
.LBB764_132:
	s_or_b64 exec, exec, s[4:5]
	v_add_u32_e32 v0, v53, v40
	v_or_b32_e32 v0, 0x80000000, v0
	global_store_dword v[6:7], v0, off
	v_lshlrev_b32_e32 v6, 3, v2
	global_load_dwordx2 v[0:1], v6, s[16:17]
	v_sub_co_u32_e32 v7, vcc, v53, v4
	v_subb_co_u32_e32 v8, vcc, 0, v5, vcc
	v_mov_b32_e32 v3, 0
	s_waitcnt vmcnt(0)
	v_add_co_u32_e32 v0, vcc, v7, v0
	v_addc_co_u32_e32 v1, vcc, v8, v1, vcc
	ds_write_b64 v6, v[0:1]
.LBB764_133:
	s_or_b64 exec, exec, s[2:3]
	v_lshlrev_b64 v[0:1], 2, v[2:3]
	v_add3_u32 v23, v24, v55, v23
	v_mov_b32_e32 v24, s27
	v_add_co_u32_e32 v0, vcc, s26, v0
	v_add_u32_e32 v6, v60, v22
	v_add_u32_e32 v7, 0x800, v30
	v_add3_u32 v8, v52, v50, v51
	v_add3_u32 v9, v49, v47, v48
	;; [unrolled: 1-line block ×10, first 2 shown]
	v_addc_co_u32_e32 v1, vcc, v24, v1, vcc
	s_mov_b32 s2, 0
	s_movk_i32 s3, 0x1000
	s_movk_i32 s4, 0x2000
.LBB764_134:                            ; =>This Inner Loop Header: Depth=1
	v_add_u32_e32 v24, s2, v6
	v_add_u32_e32 v38, s2, v36
	;; [unrolled: 1-line block ×12, first 2 shown]
	v_min_u32_e32 v24, 0x1000, v24
	v_min_u32_e32 v38, 0x1000, v38
	;; [unrolled: 1-line block ×12, first 2 shown]
	v_lshlrev_b32_e32 v24, 2, v24
	v_lshlrev_b32_e32 v38, 2, v38
	;; [unrolled: 1-line block ×12, first 2 shown]
	ds_write_b32 v24, v10 offset:2048
	ds_write_b32 v26, v11 offset:2048
	;; [unrolled: 1-line block ×12, first 2 shown]
	s_waitcnt lgkmcnt(0)
	s_barrier
	ds_read_b32 v24, v30 offset:2048
	ds_read2st64_b32 v[38:39], v7 offset0:16 offset1:32
	s_addk_i32 s2, 0xf000
	s_cmpk_lg_i32 s2, 0xd000
	s_waitcnt lgkmcnt(1)
	v_lshrrev_b32_e32 v26, s20, v24
	s_waitcnt lgkmcnt(0)
	v_lshrrev_b32_e32 v28, s20, v38
	v_lshrrev_b32_e32 v31, s20, v39
	v_and_b32_e32 v26, s13, v26
	v_and_b32_e32 v28, s13, v28
	;; [unrolled: 1-line block ×3, first 2 shown]
	v_lshlrev_b32_e32 v26, 3, v26
	v_lshlrev_b32_e32 v28, 3, v28
	v_lshlrev_b32_e32 v31, 3, v31
	ds_read_b64 v[42:43], v26
	ds_read_b64 v[44:45], v28
	;; [unrolled: 1-line block ×3, first 2 shown]
	ds_read_b32 v26, v7 offset:12288
	s_waitcnt lgkmcnt(3)
	v_lshlrev_b64 v[42:43], 2, v[42:43]
	v_add_co_u32_e32 v42, vcc, v0, v42
	s_waitcnt lgkmcnt(2)
	v_lshlrev_b64 v[44:45], 2, v[44:45]
	v_addc_co_u32_e32 v43, vcc, v1, v43, vcc
	v_add_co_u32_e32 v31, vcc, v0, v44
	s_waitcnt lgkmcnt(1)
	v_lshlrev_b64 v[46:47], 2, v[46:47]
	v_addc_co_u32_e32 v34, vcc, v1, v45, vcc
	v_add_co_u32_e32 v37, vcc, v0, v46
	s_waitcnt lgkmcnt(0)
	v_lshrrev_b32_e32 v28, s20, v26
	v_addc_co_u32_e32 v41, vcc, v1, v47, vcc
	v_and_b32_e32 v28, s13, v28
	global_store_dword v[42:43], v24, off
	v_add_co_u32_e32 v42, vcc, s3, v31
	v_addc_co_u32_e32 v43, vcc, 0, v34, vcc
	v_lshlrev_b32_e32 v24, 3, v28
	global_store_dword v[42:43], v38, off
	ds_read_b64 v[42:43], v24
	v_add_co_u32_e32 v44, vcc, s4, v37
	v_addc_co_u32_e32 v45, vcc, 0, v41, vcc
	global_store_dword v[44:45], v39, off
	s_waitcnt lgkmcnt(0)
	v_lshlrev_b64 v[38:39], 2, v[42:43]
	v_add_co_u32_e32 v24, vcc, v0, v38
	v_addc_co_u32_e32 v28, vcc, v1, v39, vcc
	v_add_co_u32_e32 v38, vcc, 0x3000, v24
	v_addc_co_u32_e32 v39, vcc, 0, v28, vcc
	;; [unrolled: 2-line block ×3, first 2 shown]
	global_store_dword v[38:39], v26, off
	s_barrier
	s_cbranch_scc1 .LBB764_134
; %bb.135:
	s_add_i32 s12, s12, -1
	s_cmp_eq_u32 s12, s30
	s_cselect_b64 s[2:3], -1, 0
	s_and_b64 s[2:3], s[0:1], s[2:3]
.LBB764_136:
	s_and_saveexec_b64 s[0:1], s[2:3]
	s_cbranch_execnz .LBB764_138
; %bb.137:
	s_endpgm
.LBB764_138:
	v_lshlrev_b32_e32 v6, 3, v2
	v_lshlrev_b64 v[0:1], 3, v[2:3]
	ds_read_b64 v[2:3], v6
	v_add_co_u32_e32 v4, vcc, v4, v40
	v_addc_co_u32_e32 v5, vcc, 0, v5, vcc
	v_mov_b32_e32 v7, s19
	v_add_co_u32_e32 v0, vcc, s18, v0
	v_addc_co_u32_e32 v1, vcc, v7, v1, vcc
	s_waitcnt lgkmcnt(0)
	v_add_co_u32_e32 v2, vcc, v4, v2
	v_addc_co_u32_e32 v3, vcc, v5, v3, vcc
	global_store_dwordx2 v[0:1], v[2:3], off
	s_endpgm
	.section	.rodata,"a",@progbits
	.p2align	6, 0x0
	.amdhsa_kernel _ZN7rocprim17ROCPRIM_400000_NS6detail17trampoline_kernelINS0_14default_configENS1_35radix_sort_onesweep_config_selectorIjNS0_10empty_typeEEEZZNS1_29radix_sort_onesweep_iterationIS3_Lb0EPjS8_PS5_S9_mNS0_19identity_decomposerENS1_16block_id_wrapperIjLb1EEEEE10hipError_tT1_PNSt15iterator_traitsISE_E10value_typeET2_T3_PNSF_ISK_E10value_typeET4_T5_PSP_SQ_PNS1_23onesweep_lookback_stateEbbT6_jjT7_P12ihipStream_tbENKUlT_T0_SE_SJ_E_clIS8_S8_S9_S9_EEDaSX_SY_SE_SJ_EUlSX_E_NS1_11comp_targetILNS1_3genE4ELNS1_11target_archE910ELNS1_3gpuE8ELNS1_3repE0EEENS1_47radix_sort_onesweep_sort_config_static_selectorELNS0_4arch9wavefront6targetE1EEEvSE_
		.amdhsa_group_segment_fixed_size 20552
		.amdhsa_private_segment_fixed_size 0
		.amdhsa_kernarg_size 344
		.amdhsa_user_sgpr_count 6
		.amdhsa_user_sgpr_private_segment_buffer 1
		.amdhsa_user_sgpr_dispatch_ptr 0
		.amdhsa_user_sgpr_queue_ptr 0
		.amdhsa_user_sgpr_kernarg_segment_ptr 1
		.amdhsa_user_sgpr_dispatch_id 0
		.amdhsa_user_sgpr_flat_scratch_init 0
		.amdhsa_user_sgpr_kernarg_preload_length 0
		.amdhsa_user_sgpr_kernarg_preload_offset 0
		.amdhsa_user_sgpr_private_segment_size 0
		.amdhsa_uses_dynamic_stack 0
		.amdhsa_system_sgpr_private_segment_wavefront_offset 0
		.amdhsa_system_sgpr_workgroup_id_x 1
		.amdhsa_system_sgpr_workgroup_id_y 0
		.amdhsa_system_sgpr_workgroup_id_z 0
		.amdhsa_system_sgpr_workgroup_info 0
		.amdhsa_system_vgpr_workitem_id 2
		.amdhsa_next_free_vgpr 62
		.amdhsa_next_free_sgpr 35
		.amdhsa_accum_offset 64
		.amdhsa_reserve_vcc 1
		.amdhsa_reserve_flat_scratch 0
		.amdhsa_float_round_mode_32 0
		.amdhsa_float_round_mode_16_64 0
		.amdhsa_float_denorm_mode_32 3
		.amdhsa_float_denorm_mode_16_64 3
		.amdhsa_dx10_clamp 1
		.amdhsa_ieee_mode 1
		.amdhsa_fp16_overflow 0
		.amdhsa_tg_split 0
		.amdhsa_exception_fp_ieee_invalid_op 0
		.amdhsa_exception_fp_denorm_src 0
		.amdhsa_exception_fp_ieee_div_zero 0
		.amdhsa_exception_fp_ieee_overflow 0
		.amdhsa_exception_fp_ieee_underflow 0
		.amdhsa_exception_fp_ieee_inexact 0
		.amdhsa_exception_int_div_zero 0
	.end_amdhsa_kernel
	.section	.text._ZN7rocprim17ROCPRIM_400000_NS6detail17trampoline_kernelINS0_14default_configENS1_35radix_sort_onesweep_config_selectorIjNS0_10empty_typeEEEZZNS1_29radix_sort_onesweep_iterationIS3_Lb0EPjS8_PS5_S9_mNS0_19identity_decomposerENS1_16block_id_wrapperIjLb1EEEEE10hipError_tT1_PNSt15iterator_traitsISE_E10value_typeET2_T3_PNSF_ISK_E10value_typeET4_T5_PSP_SQ_PNS1_23onesweep_lookback_stateEbbT6_jjT7_P12ihipStream_tbENKUlT_T0_SE_SJ_E_clIS8_S8_S9_S9_EEDaSX_SY_SE_SJ_EUlSX_E_NS1_11comp_targetILNS1_3genE4ELNS1_11target_archE910ELNS1_3gpuE8ELNS1_3repE0EEENS1_47radix_sort_onesweep_sort_config_static_selectorELNS0_4arch9wavefront6targetE1EEEvSE_,"axG",@progbits,_ZN7rocprim17ROCPRIM_400000_NS6detail17trampoline_kernelINS0_14default_configENS1_35radix_sort_onesweep_config_selectorIjNS0_10empty_typeEEEZZNS1_29radix_sort_onesweep_iterationIS3_Lb0EPjS8_PS5_S9_mNS0_19identity_decomposerENS1_16block_id_wrapperIjLb1EEEEE10hipError_tT1_PNSt15iterator_traitsISE_E10value_typeET2_T3_PNSF_ISK_E10value_typeET4_T5_PSP_SQ_PNS1_23onesweep_lookback_stateEbbT6_jjT7_P12ihipStream_tbENKUlT_T0_SE_SJ_E_clIS8_S8_S9_S9_EEDaSX_SY_SE_SJ_EUlSX_E_NS1_11comp_targetILNS1_3genE4ELNS1_11target_archE910ELNS1_3gpuE8ELNS1_3repE0EEENS1_47radix_sort_onesweep_sort_config_static_selectorELNS0_4arch9wavefront6targetE1EEEvSE_,comdat
.Lfunc_end764:
	.size	_ZN7rocprim17ROCPRIM_400000_NS6detail17trampoline_kernelINS0_14default_configENS1_35radix_sort_onesweep_config_selectorIjNS0_10empty_typeEEEZZNS1_29radix_sort_onesweep_iterationIS3_Lb0EPjS8_PS5_S9_mNS0_19identity_decomposerENS1_16block_id_wrapperIjLb1EEEEE10hipError_tT1_PNSt15iterator_traitsISE_E10value_typeET2_T3_PNSF_ISK_E10value_typeET4_T5_PSP_SQ_PNS1_23onesweep_lookback_stateEbbT6_jjT7_P12ihipStream_tbENKUlT_T0_SE_SJ_E_clIS8_S8_S9_S9_EEDaSX_SY_SE_SJ_EUlSX_E_NS1_11comp_targetILNS1_3genE4ELNS1_11target_archE910ELNS1_3gpuE8ELNS1_3repE0EEENS1_47radix_sort_onesweep_sort_config_static_selectorELNS0_4arch9wavefront6targetE1EEEvSE_, .Lfunc_end764-_ZN7rocprim17ROCPRIM_400000_NS6detail17trampoline_kernelINS0_14default_configENS1_35radix_sort_onesweep_config_selectorIjNS0_10empty_typeEEEZZNS1_29radix_sort_onesweep_iterationIS3_Lb0EPjS8_PS5_S9_mNS0_19identity_decomposerENS1_16block_id_wrapperIjLb1EEEEE10hipError_tT1_PNSt15iterator_traitsISE_E10value_typeET2_T3_PNSF_ISK_E10value_typeET4_T5_PSP_SQ_PNS1_23onesweep_lookback_stateEbbT6_jjT7_P12ihipStream_tbENKUlT_T0_SE_SJ_E_clIS8_S8_S9_S9_EEDaSX_SY_SE_SJ_EUlSX_E_NS1_11comp_targetILNS1_3genE4ELNS1_11target_archE910ELNS1_3gpuE8ELNS1_3repE0EEENS1_47radix_sort_onesweep_sort_config_static_selectorELNS0_4arch9wavefront6targetE1EEEvSE_
                                        ; -- End function
	.section	.AMDGPU.csdata,"",@progbits
; Kernel info:
; codeLenInByte = 14000
; NumSgprs: 39
; NumVgprs: 62
; NumAgprs: 0
; TotalNumVgprs: 62
; ScratchSize: 0
; MemoryBound: 0
; FloatMode: 240
; IeeeMode: 1
; LDSByteSize: 20552 bytes/workgroup (compile time only)
; SGPRBlocks: 4
; VGPRBlocks: 7
; NumSGPRsForWavesPerEU: 39
; NumVGPRsForWavesPerEU: 62
; AccumOffset: 64
; Occupancy: 8
; WaveLimiterHint : 1
; COMPUTE_PGM_RSRC2:SCRATCH_EN: 0
; COMPUTE_PGM_RSRC2:USER_SGPR: 6
; COMPUTE_PGM_RSRC2:TRAP_HANDLER: 0
; COMPUTE_PGM_RSRC2:TGID_X_EN: 1
; COMPUTE_PGM_RSRC2:TGID_Y_EN: 0
; COMPUTE_PGM_RSRC2:TGID_Z_EN: 0
; COMPUTE_PGM_RSRC2:TIDIG_COMP_CNT: 2
; COMPUTE_PGM_RSRC3_GFX90A:ACCUM_OFFSET: 15
; COMPUTE_PGM_RSRC3_GFX90A:TG_SPLIT: 0
	.section	.text._ZN7rocprim17ROCPRIM_400000_NS6detail17trampoline_kernelINS0_14default_configENS1_35radix_sort_onesweep_config_selectorIjNS0_10empty_typeEEEZZNS1_29radix_sort_onesweep_iterationIS3_Lb0EPjS8_PS5_S9_mNS0_19identity_decomposerENS1_16block_id_wrapperIjLb1EEEEE10hipError_tT1_PNSt15iterator_traitsISE_E10value_typeET2_T3_PNSF_ISK_E10value_typeET4_T5_PSP_SQ_PNS1_23onesweep_lookback_stateEbbT6_jjT7_P12ihipStream_tbENKUlT_T0_SE_SJ_E_clIS8_S8_S9_S9_EEDaSX_SY_SE_SJ_EUlSX_E_NS1_11comp_targetILNS1_3genE3ELNS1_11target_archE908ELNS1_3gpuE7ELNS1_3repE0EEENS1_47radix_sort_onesweep_sort_config_static_selectorELNS0_4arch9wavefront6targetE1EEEvSE_,"axG",@progbits,_ZN7rocprim17ROCPRIM_400000_NS6detail17trampoline_kernelINS0_14default_configENS1_35radix_sort_onesweep_config_selectorIjNS0_10empty_typeEEEZZNS1_29radix_sort_onesweep_iterationIS3_Lb0EPjS8_PS5_S9_mNS0_19identity_decomposerENS1_16block_id_wrapperIjLb1EEEEE10hipError_tT1_PNSt15iterator_traitsISE_E10value_typeET2_T3_PNSF_ISK_E10value_typeET4_T5_PSP_SQ_PNS1_23onesweep_lookback_stateEbbT6_jjT7_P12ihipStream_tbENKUlT_T0_SE_SJ_E_clIS8_S8_S9_S9_EEDaSX_SY_SE_SJ_EUlSX_E_NS1_11comp_targetILNS1_3genE3ELNS1_11target_archE908ELNS1_3gpuE7ELNS1_3repE0EEENS1_47radix_sort_onesweep_sort_config_static_selectorELNS0_4arch9wavefront6targetE1EEEvSE_,comdat
	.protected	_ZN7rocprim17ROCPRIM_400000_NS6detail17trampoline_kernelINS0_14default_configENS1_35radix_sort_onesweep_config_selectorIjNS0_10empty_typeEEEZZNS1_29radix_sort_onesweep_iterationIS3_Lb0EPjS8_PS5_S9_mNS0_19identity_decomposerENS1_16block_id_wrapperIjLb1EEEEE10hipError_tT1_PNSt15iterator_traitsISE_E10value_typeET2_T3_PNSF_ISK_E10value_typeET4_T5_PSP_SQ_PNS1_23onesweep_lookback_stateEbbT6_jjT7_P12ihipStream_tbENKUlT_T0_SE_SJ_E_clIS8_S8_S9_S9_EEDaSX_SY_SE_SJ_EUlSX_E_NS1_11comp_targetILNS1_3genE3ELNS1_11target_archE908ELNS1_3gpuE7ELNS1_3repE0EEENS1_47radix_sort_onesweep_sort_config_static_selectorELNS0_4arch9wavefront6targetE1EEEvSE_ ; -- Begin function _ZN7rocprim17ROCPRIM_400000_NS6detail17trampoline_kernelINS0_14default_configENS1_35radix_sort_onesweep_config_selectorIjNS0_10empty_typeEEEZZNS1_29radix_sort_onesweep_iterationIS3_Lb0EPjS8_PS5_S9_mNS0_19identity_decomposerENS1_16block_id_wrapperIjLb1EEEEE10hipError_tT1_PNSt15iterator_traitsISE_E10value_typeET2_T3_PNSF_ISK_E10value_typeET4_T5_PSP_SQ_PNS1_23onesweep_lookback_stateEbbT6_jjT7_P12ihipStream_tbENKUlT_T0_SE_SJ_E_clIS8_S8_S9_S9_EEDaSX_SY_SE_SJ_EUlSX_E_NS1_11comp_targetILNS1_3genE3ELNS1_11target_archE908ELNS1_3gpuE7ELNS1_3repE0EEENS1_47radix_sort_onesweep_sort_config_static_selectorELNS0_4arch9wavefront6targetE1EEEvSE_
	.globl	_ZN7rocprim17ROCPRIM_400000_NS6detail17trampoline_kernelINS0_14default_configENS1_35radix_sort_onesweep_config_selectorIjNS0_10empty_typeEEEZZNS1_29radix_sort_onesweep_iterationIS3_Lb0EPjS8_PS5_S9_mNS0_19identity_decomposerENS1_16block_id_wrapperIjLb1EEEEE10hipError_tT1_PNSt15iterator_traitsISE_E10value_typeET2_T3_PNSF_ISK_E10value_typeET4_T5_PSP_SQ_PNS1_23onesweep_lookback_stateEbbT6_jjT7_P12ihipStream_tbENKUlT_T0_SE_SJ_E_clIS8_S8_S9_S9_EEDaSX_SY_SE_SJ_EUlSX_E_NS1_11comp_targetILNS1_3genE3ELNS1_11target_archE908ELNS1_3gpuE7ELNS1_3repE0EEENS1_47radix_sort_onesweep_sort_config_static_selectorELNS0_4arch9wavefront6targetE1EEEvSE_
	.p2align	8
	.type	_ZN7rocprim17ROCPRIM_400000_NS6detail17trampoline_kernelINS0_14default_configENS1_35radix_sort_onesweep_config_selectorIjNS0_10empty_typeEEEZZNS1_29radix_sort_onesweep_iterationIS3_Lb0EPjS8_PS5_S9_mNS0_19identity_decomposerENS1_16block_id_wrapperIjLb1EEEEE10hipError_tT1_PNSt15iterator_traitsISE_E10value_typeET2_T3_PNSF_ISK_E10value_typeET4_T5_PSP_SQ_PNS1_23onesweep_lookback_stateEbbT6_jjT7_P12ihipStream_tbENKUlT_T0_SE_SJ_E_clIS8_S8_S9_S9_EEDaSX_SY_SE_SJ_EUlSX_E_NS1_11comp_targetILNS1_3genE3ELNS1_11target_archE908ELNS1_3gpuE7ELNS1_3repE0EEENS1_47radix_sort_onesweep_sort_config_static_selectorELNS0_4arch9wavefront6targetE1EEEvSE_,@function
_ZN7rocprim17ROCPRIM_400000_NS6detail17trampoline_kernelINS0_14default_configENS1_35radix_sort_onesweep_config_selectorIjNS0_10empty_typeEEEZZNS1_29radix_sort_onesweep_iterationIS3_Lb0EPjS8_PS5_S9_mNS0_19identity_decomposerENS1_16block_id_wrapperIjLb1EEEEE10hipError_tT1_PNSt15iterator_traitsISE_E10value_typeET2_T3_PNSF_ISK_E10value_typeET4_T5_PSP_SQ_PNS1_23onesweep_lookback_stateEbbT6_jjT7_P12ihipStream_tbENKUlT_T0_SE_SJ_E_clIS8_S8_S9_S9_EEDaSX_SY_SE_SJ_EUlSX_E_NS1_11comp_targetILNS1_3genE3ELNS1_11target_archE908ELNS1_3gpuE7ELNS1_3repE0EEENS1_47radix_sort_onesweep_sort_config_static_selectorELNS0_4arch9wavefront6targetE1EEEvSE_: ; @_ZN7rocprim17ROCPRIM_400000_NS6detail17trampoline_kernelINS0_14default_configENS1_35radix_sort_onesweep_config_selectorIjNS0_10empty_typeEEEZZNS1_29radix_sort_onesweep_iterationIS3_Lb0EPjS8_PS5_S9_mNS0_19identity_decomposerENS1_16block_id_wrapperIjLb1EEEEE10hipError_tT1_PNSt15iterator_traitsISE_E10value_typeET2_T3_PNSF_ISK_E10value_typeET4_T5_PSP_SQ_PNS1_23onesweep_lookback_stateEbbT6_jjT7_P12ihipStream_tbENKUlT_T0_SE_SJ_E_clIS8_S8_S9_S9_EEDaSX_SY_SE_SJ_EUlSX_E_NS1_11comp_targetILNS1_3genE3ELNS1_11target_archE908ELNS1_3gpuE7ELNS1_3repE0EEENS1_47radix_sort_onesweep_sort_config_static_selectorELNS0_4arch9wavefront6targetE1EEEvSE_
; %bb.0:
	.section	.rodata,"a",@progbits
	.p2align	6, 0x0
	.amdhsa_kernel _ZN7rocprim17ROCPRIM_400000_NS6detail17trampoline_kernelINS0_14default_configENS1_35radix_sort_onesweep_config_selectorIjNS0_10empty_typeEEEZZNS1_29radix_sort_onesweep_iterationIS3_Lb0EPjS8_PS5_S9_mNS0_19identity_decomposerENS1_16block_id_wrapperIjLb1EEEEE10hipError_tT1_PNSt15iterator_traitsISE_E10value_typeET2_T3_PNSF_ISK_E10value_typeET4_T5_PSP_SQ_PNS1_23onesweep_lookback_stateEbbT6_jjT7_P12ihipStream_tbENKUlT_T0_SE_SJ_E_clIS8_S8_S9_S9_EEDaSX_SY_SE_SJ_EUlSX_E_NS1_11comp_targetILNS1_3genE3ELNS1_11target_archE908ELNS1_3gpuE7ELNS1_3repE0EEENS1_47radix_sort_onesweep_sort_config_static_selectorELNS0_4arch9wavefront6targetE1EEEvSE_
		.amdhsa_group_segment_fixed_size 0
		.amdhsa_private_segment_fixed_size 0
		.amdhsa_kernarg_size 88
		.amdhsa_user_sgpr_count 6
		.amdhsa_user_sgpr_private_segment_buffer 1
		.amdhsa_user_sgpr_dispatch_ptr 0
		.amdhsa_user_sgpr_queue_ptr 0
		.amdhsa_user_sgpr_kernarg_segment_ptr 1
		.amdhsa_user_sgpr_dispatch_id 0
		.amdhsa_user_sgpr_flat_scratch_init 0
		.amdhsa_user_sgpr_kernarg_preload_length 0
		.amdhsa_user_sgpr_kernarg_preload_offset 0
		.amdhsa_user_sgpr_private_segment_size 0
		.amdhsa_uses_dynamic_stack 0
		.amdhsa_system_sgpr_private_segment_wavefront_offset 0
		.amdhsa_system_sgpr_workgroup_id_x 1
		.amdhsa_system_sgpr_workgroup_id_y 0
		.amdhsa_system_sgpr_workgroup_id_z 0
		.amdhsa_system_sgpr_workgroup_info 0
		.amdhsa_system_vgpr_workitem_id 0
		.amdhsa_next_free_vgpr 1
		.amdhsa_next_free_sgpr 0
		.amdhsa_accum_offset 4
		.amdhsa_reserve_vcc 0
		.amdhsa_reserve_flat_scratch 0
		.amdhsa_float_round_mode_32 0
		.amdhsa_float_round_mode_16_64 0
		.amdhsa_float_denorm_mode_32 3
		.amdhsa_float_denorm_mode_16_64 3
		.amdhsa_dx10_clamp 1
		.amdhsa_ieee_mode 1
		.amdhsa_fp16_overflow 0
		.amdhsa_tg_split 0
		.amdhsa_exception_fp_ieee_invalid_op 0
		.amdhsa_exception_fp_denorm_src 0
		.amdhsa_exception_fp_ieee_div_zero 0
		.amdhsa_exception_fp_ieee_overflow 0
		.amdhsa_exception_fp_ieee_underflow 0
		.amdhsa_exception_fp_ieee_inexact 0
		.amdhsa_exception_int_div_zero 0
	.end_amdhsa_kernel
	.section	.text._ZN7rocprim17ROCPRIM_400000_NS6detail17trampoline_kernelINS0_14default_configENS1_35radix_sort_onesweep_config_selectorIjNS0_10empty_typeEEEZZNS1_29radix_sort_onesweep_iterationIS3_Lb0EPjS8_PS5_S9_mNS0_19identity_decomposerENS1_16block_id_wrapperIjLb1EEEEE10hipError_tT1_PNSt15iterator_traitsISE_E10value_typeET2_T3_PNSF_ISK_E10value_typeET4_T5_PSP_SQ_PNS1_23onesweep_lookback_stateEbbT6_jjT7_P12ihipStream_tbENKUlT_T0_SE_SJ_E_clIS8_S8_S9_S9_EEDaSX_SY_SE_SJ_EUlSX_E_NS1_11comp_targetILNS1_3genE3ELNS1_11target_archE908ELNS1_3gpuE7ELNS1_3repE0EEENS1_47radix_sort_onesweep_sort_config_static_selectorELNS0_4arch9wavefront6targetE1EEEvSE_,"axG",@progbits,_ZN7rocprim17ROCPRIM_400000_NS6detail17trampoline_kernelINS0_14default_configENS1_35radix_sort_onesweep_config_selectorIjNS0_10empty_typeEEEZZNS1_29radix_sort_onesweep_iterationIS3_Lb0EPjS8_PS5_S9_mNS0_19identity_decomposerENS1_16block_id_wrapperIjLb1EEEEE10hipError_tT1_PNSt15iterator_traitsISE_E10value_typeET2_T3_PNSF_ISK_E10value_typeET4_T5_PSP_SQ_PNS1_23onesweep_lookback_stateEbbT6_jjT7_P12ihipStream_tbENKUlT_T0_SE_SJ_E_clIS8_S8_S9_S9_EEDaSX_SY_SE_SJ_EUlSX_E_NS1_11comp_targetILNS1_3genE3ELNS1_11target_archE908ELNS1_3gpuE7ELNS1_3repE0EEENS1_47radix_sort_onesweep_sort_config_static_selectorELNS0_4arch9wavefront6targetE1EEEvSE_,comdat
.Lfunc_end765:
	.size	_ZN7rocprim17ROCPRIM_400000_NS6detail17trampoline_kernelINS0_14default_configENS1_35radix_sort_onesweep_config_selectorIjNS0_10empty_typeEEEZZNS1_29radix_sort_onesweep_iterationIS3_Lb0EPjS8_PS5_S9_mNS0_19identity_decomposerENS1_16block_id_wrapperIjLb1EEEEE10hipError_tT1_PNSt15iterator_traitsISE_E10value_typeET2_T3_PNSF_ISK_E10value_typeET4_T5_PSP_SQ_PNS1_23onesweep_lookback_stateEbbT6_jjT7_P12ihipStream_tbENKUlT_T0_SE_SJ_E_clIS8_S8_S9_S9_EEDaSX_SY_SE_SJ_EUlSX_E_NS1_11comp_targetILNS1_3genE3ELNS1_11target_archE908ELNS1_3gpuE7ELNS1_3repE0EEENS1_47radix_sort_onesweep_sort_config_static_selectorELNS0_4arch9wavefront6targetE1EEEvSE_, .Lfunc_end765-_ZN7rocprim17ROCPRIM_400000_NS6detail17trampoline_kernelINS0_14default_configENS1_35radix_sort_onesweep_config_selectorIjNS0_10empty_typeEEEZZNS1_29radix_sort_onesweep_iterationIS3_Lb0EPjS8_PS5_S9_mNS0_19identity_decomposerENS1_16block_id_wrapperIjLb1EEEEE10hipError_tT1_PNSt15iterator_traitsISE_E10value_typeET2_T3_PNSF_ISK_E10value_typeET4_T5_PSP_SQ_PNS1_23onesweep_lookback_stateEbbT6_jjT7_P12ihipStream_tbENKUlT_T0_SE_SJ_E_clIS8_S8_S9_S9_EEDaSX_SY_SE_SJ_EUlSX_E_NS1_11comp_targetILNS1_3genE3ELNS1_11target_archE908ELNS1_3gpuE7ELNS1_3repE0EEENS1_47radix_sort_onesweep_sort_config_static_selectorELNS0_4arch9wavefront6targetE1EEEvSE_
                                        ; -- End function
	.section	.AMDGPU.csdata,"",@progbits
; Kernel info:
; codeLenInByte = 0
; NumSgprs: 4
; NumVgprs: 0
; NumAgprs: 0
; TotalNumVgprs: 0
; ScratchSize: 0
; MemoryBound: 0
; FloatMode: 240
; IeeeMode: 1
; LDSByteSize: 0 bytes/workgroup (compile time only)
; SGPRBlocks: 0
; VGPRBlocks: 0
; NumSGPRsForWavesPerEU: 4
; NumVGPRsForWavesPerEU: 1
; AccumOffset: 4
; Occupancy: 8
; WaveLimiterHint : 0
; COMPUTE_PGM_RSRC2:SCRATCH_EN: 0
; COMPUTE_PGM_RSRC2:USER_SGPR: 6
; COMPUTE_PGM_RSRC2:TRAP_HANDLER: 0
; COMPUTE_PGM_RSRC2:TGID_X_EN: 1
; COMPUTE_PGM_RSRC2:TGID_Y_EN: 0
; COMPUTE_PGM_RSRC2:TGID_Z_EN: 0
; COMPUTE_PGM_RSRC2:TIDIG_COMP_CNT: 0
; COMPUTE_PGM_RSRC3_GFX90A:ACCUM_OFFSET: 0
; COMPUTE_PGM_RSRC3_GFX90A:TG_SPLIT: 0
	.section	.text._ZN7rocprim17ROCPRIM_400000_NS6detail17trampoline_kernelINS0_14default_configENS1_35radix_sort_onesweep_config_selectorIjNS0_10empty_typeEEEZZNS1_29radix_sort_onesweep_iterationIS3_Lb0EPjS8_PS5_S9_mNS0_19identity_decomposerENS1_16block_id_wrapperIjLb1EEEEE10hipError_tT1_PNSt15iterator_traitsISE_E10value_typeET2_T3_PNSF_ISK_E10value_typeET4_T5_PSP_SQ_PNS1_23onesweep_lookback_stateEbbT6_jjT7_P12ihipStream_tbENKUlT_T0_SE_SJ_E_clIS8_S8_S9_S9_EEDaSX_SY_SE_SJ_EUlSX_E_NS1_11comp_targetILNS1_3genE10ELNS1_11target_archE1201ELNS1_3gpuE5ELNS1_3repE0EEENS1_47radix_sort_onesweep_sort_config_static_selectorELNS0_4arch9wavefront6targetE1EEEvSE_,"axG",@progbits,_ZN7rocprim17ROCPRIM_400000_NS6detail17trampoline_kernelINS0_14default_configENS1_35radix_sort_onesweep_config_selectorIjNS0_10empty_typeEEEZZNS1_29radix_sort_onesweep_iterationIS3_Lb0EPjS8_PS5_S9_mNS0_19identity_decomposerENS1_16block_id_wrapperIjLb1EEEEE10hipError_tT1_PNSt15iterator_traitsISE_E10value_typeET2_T3_PNSF_ISK_E10value_typeET4_T5_PSP_SQ_PNS1_23onesweep_lookback_stateEbbT6_jjT7_P12ihipStream_tbENKUlT_T0_SE_SJ_E_clIS8_S8_S9_S9_EEDaSX_SY_SE_SJ_EUlSX_E_NS1_11comp_targetILNS1_3genE10ELNS1_11target_archE1201ELNS1_3gpuE5ELNS1_3repE0EEENS1_47radix_sort_onesweep_sort_config_static_selectorELNS0_4arch9wavefront6targetE1EEEvSE_,comdat
	.protected	_ZN7rocprim17ROCPRIM_400000_NS6detail17trampoline_kernelINS0_14default_configENS1_35radix_sort_onesweep_config_selectorIjNS0_10empty_typeEEEZZNS1_29radix_sort_onesweep_iterationIS3_Lb0EPjS8_PS5_S9_mNS0_19identity_decomposerENS1_16block_id_wrapperIjLb1EEEEE10hipError_tT1_PNSt15iterator_traitsISE_E10value_typeET2_T3_PNSF_ISK_E10value_typeET4_T5_PSP_SQ_PNS1_23onesweep_lookback_stateEbbT6_jjT7_P12ihipStream_tbENKUlT_T0_SE_SJ_E_clIS8_S8_S9_S9_EEDaSX_SY_SE_SJ_EUlSX_E_NS1_11comp_targetILNS1_3genE10ELNS1_11target_archE1201ELNS1_3gpuE5ELNS1_3repE0EEENS1_47radix_sort_onesweep_sort_config_static_selectorELNS0_4arch9wavefront6targetE1EEEvSE_ ; -- Begin function _ZN7rocprim17ROCPRIM_400000_NS6detail17trampoline_kernelINS0_14default_configENS1_35radix_sort_onesweep_config_selectorIjNS0_10empty_typeEEEZZNS1_29radix_sort_onesweep_iterationIS3_Lb0EPjS8_PS5_S9_mNS0_19identity_decomposerENS1_16block_id_wrapperIjLb1EEEEE10hipError_tT1_PNSt15iterator_traitsISE_E10value_typeET2_T3_PNSF_ISK_E10value_typeET4_T5_PSP_SQ_PNS1_23onesweep_lookback_stateEbbT6_jjT7_P12ihipStream_tbENKUlT_T0_SE_SJ_E_clIS8_S8_S9_S9_EEDaSX_SY_SE_SJ_EUlSX_E_NS1_11comp_targetILNS1_3genE10ELNS1_11target_archE1201ELNS1_3gpuE5ELNS1_3repE0EEENS1_47radix_sort_onesweep_sort_config_static_selectorELNS0_4arch9wavefront6targetE1EEEvSE_
	.globl	_ZN7rocprim17ROCPRIM_400000_NS6detail17trampoline_kernelINS0_14default_configENS1_35radix_sort_onesweep_config_selectorIjNS0_10empty_typeEEEZZNS1_29radix_sort_onesweep_iterationIS3_Lb0EPjS8_PS5_S9_mNS0_19identity_decomposerENS1_16block_id_wrapperIjLb1EEEEE10hipError_tT1_PNSt15iterator_traitsISE_E10value_typeET2_T3_PNSF_ISK_E10value_typeET4_T5_PSP_SQ_PNS1_23onesweep_lookback_stateEbbT6_jjT7_P12ihipStream_tbENKUlT_T0_SE_SJ_E_clIS8_S8_S9_S9_EEDaSX_SY_SE_SJ_EUlSX_E_NS1_11comp_targetILNS1_3genE10ELNS1_11target_archE1201ELNS1_3gpuE5ELNS1_3repE0EEENS1_47radix_sort_onesweep_sort_config_static_selectorELNS0_4arch9wavefront6targetE1EEEvSE_
	.p2align	8
	.type	_ZN7rocprim17ROCPRIM_400000_NS6detail17trampoline_kernelINS0_14default_configENS1_35radix_sort_onesweep_config_selectorIjNS0_10empty_typeEEEZZNS1_29radix_sort_onesweep_iterationIS3_Lb0EPjS8_PS5_S9_mNS0_19identity_decomposerENS1_16block_id_wrapperIjLb1EEEEE10hipError_tT1_PNSt15iterator_traitsISE_E10value_typeET2_T3_PNSF_ISK_E10value_typeET4_T5_PSP_SQ_PNS1_23onesweep_lookback_stateEbbT6_jjT7_P12ihipStream_tbENKUlT_T0_SE_SJ_E_clIS8_S8_S9_S9_EEDaSX_SY_SE_SJ_EUlSX_E_NS1_11comp_targetILNS1_3genE10ELNS1_11target_archE1201ELNS1_3gpuE5ELNS1_3repE0EEENS1_47radix_sort_onesweep_sort_config_static_selectorELNS0_4arch9wavefront6targetE1EEEvSE_,@function
_ZN7rocprim17ROCPRIM_400000_NS6detail17trampoline_kernelINS0_14default_configENS1_35radix_sort_onesweep_config_selectorIjNS0_10empty_typeEEEZZNS1_29radix_sort_onesweep_iterationIS3_Lb0EPjS8_PS5_S9_mNS0_19identity_decomposerENS1_16block_id_wrapperIjLb1EEEEE10hipError_tT1_PNSt15iterator_traitsISE_E10value_typeET2_T3_PNSF_ISK_E10value_typeET4_T5_PSP_SQ_PNS1_23onesweep_lookback_stateEbbT6_jjT7_P12ihipStream_tbENKUlT_T0_SE_SJ_E_clIS8_S8_S9_S9_EEDaSX_SY_SE_SJ_EUlSX_E_NS1_11comp_targetILNS1_3genE10ELNS1_11target_archE1201ELNS1_3gpuE5ELNS1_3repE0EEENS1_47radix_sort_onesweep_sort_config_static_selectorELNS0_4arch9wavefront6targetE1EEEvSE_: ; @_ZN7rocprim17ROCPRIM_400000_NS6detail17trampoline_kernelINS0_14default_configENS1_35radix_sort_onesweep_config_selectorIjNS0_10empty_typeEEEZZNS1_29radix_sort_onesweep_iterationIS3_Lb0EPjS8_PS5_S9_mNS0_19identity_decomposerENS1_16block_id_wrapperIjLb1EEEEE10hipError_tT1_PNSt15iterator_traitsISE_E10value_typeET2_T3_PNSF_ISK_E10value_typeET4_T5_PSP_SQ_PNS1_23onesweep_lookback_stateEbbT6_jjT7_P12ihipStream_tbENKUlT_T0_SE_SJ_E_clIS8_S8_S9_S9_EEDaSX_SY_SE_SJ_EUlSX_E_NS1_11comp_targetILNS1_3genE10ELNS1_11target_archE1201ELNS1_3gpuE5ELNS1_3repE0EEENS1_47radix_sort_onesweep_sort_config_static_selectorELNS0_4arch9wavefront6targetE1EEEvSE_
; %bb.0:
	.section	.rodata,"a",@progbits
	.p2align	6, 0x0
	.amdhsa_kernel _ZN7rocprim17ROCPRIM_400000_NS6detail17trampoline_kernelINS0_14default_configENS1_35radix_sort_onesweep_config_selectorIjNS0_10empty_typeEEEZZNS1_29radix_sort_onesweep_iterationIS3_Lb0EPjS8_PS5_S9_mNS0_19identity_decomposerENS1_16block_id_wrapperIjLb1EEEEE10hipError_tT1_PNSt15iterator_traitsISE_E10value_typeET2_T3_PNSF_ISK_E10value_typeET4_T5_PSP_SQ_PNS1_23onesweep_lookback_stateEbbT6_jjT7_P12ihipStream_tbENKUlT_T0_SE_SJ_E_clIS8_S8_S9_S9_EEDaSX_SY_SE_SJ_EUlSX_E_NS1_11comp_targetILNS1_3genE10ELNS1_11target_archE1201ELNS1_3gpuE5ELNS1_3repE0EEENS1_47radix_sort_onesweep_sort_config_static_selectorELNS0_4arch9wavefront6targetE1EEEvSE_
		.amdhsa_group_segment_fixed_size 0
		.amdhsa_private_segment_fixed_size 0
		.amdhsa_kernarg_size 88
		.amdhsa_user_sgpr_count 6
		.amdhsa_user_sgpr_private_segment_buffer 1
		.amdhsa_user_sgpr_dispatch_ptr 0
		.amdhsa_user_sgpr_queue_ptr 0
		.amdhsa_user_sgpr_kernarg_segment_ptr 1
		.amdhsa_user_sgpr_dispatch_id 0
		.amdhsa_user_sgpr_flat_scratch_init 0
		.amdhsa_user_sgpr_kernarg_preload_length 0
		.amdhsa_user_sgpr_kernarg_preload_offset 0
		.amdhsa_user_sgpr_private_segment_size 0
		.amdhsa_uses_dynamic_stack 0
		.amdhsa_system_sgpr_private_segment_wavefront_offset 0
		.amdhsa_system_sgpr_workgroup_id_x 1
		.amdhsa_system_sgpr_workgroup_id_y 0
		.amdhsa_system_sgpr_workgroup_id_z 0
		.amdhsa_system_sgpr_workgroup_info 0
		.amdhsa_system_vgpr_workitem_id 0
		.amdhsa_next_free_vgpr 1
		.amdhsa_next_free_sgpr 0
		.amdhsa_accum_offset 4
		.amdhsa_reserve_vcc 0
		.amdhsa_reserve_flat_scratch 0
		.amdhsa_float_round_mode_32 0
		.amdhsa_float_round_mode_16_64 0
		.amdhsa_float_denorm_mode_32 3
		.amdhsa_float_denorm_mode_16_64 3
		.amdhsa_dx10_clamp 1
		.amdhsa_ieee_mode 1
		.amdhsa_fp16_overflow 0
		.amdhsa_tg_split 0
		.amdhsa_exception_fp_ieee_invalid_op 0
		.amdhsa_exception_fp_denorm_src 0
		.amdhsa_exception_fp_ieee_div_zero 0
		.amdhsa_exception_fp_ieee_overflow 0
		.amdhsa_exception_fp_ieee_underflow 0
		.amdhsa_exception_fp_ieee_inexact 0
		.amdhsa_exception_int_div_zero 0
	.end_amdhsa_kernel
	.section	.text._ZN7rocprim17ROCPRIM_400000_NS6detail17trampoline_kernelINS0_14default_configENS1_35radix_sort_onesweep_config_selectorIjNS0_10empty_typeEEEZZNS1_29radix_sort_onesweep_iterationIS3_Lb0EPjS8_PS5_S9_mNS0_19identity_decomposerENS1_16block_id_wrapperIjLb1EEEEE10hipError_tT1_PNSt15iterator_traitsISE_E10value_typeET2_T3_PNSF_ISK_E10value_typeET4_T5_PSP_SQ_PNS1_23onesweep_lookback_stateEbbT6_jjT7_P12ihipStream_tbENKUlT_T0_SE_SJ_E_clIS8_S8_S9_S9_EEDaSX_SY_SE_SJ_EUlSX_E_NS1_11comp_targetILNS1_3genE10ELNS1_11target_archE1201ELNS1_3gpuE5ELNS1_3repE0EEENS1_47radix_sort_onesweep_sort_config_static_selectorELNS0_4arch9wavefront6targetE1EEEvSE_,"axG",@progbits,_ZN7rocprim17ROCPRIM_400000_NS6detail17trampoline_kernelINS0_14default_configENS1_35radix_sort_onesweep_config_selectorIjNS0_10empty_typeEEEZZNS1_29radix_sort_onesweep_iterationIS3_Lb0EPjS8_PS5_S9_mNS0_19identity_decomposerENS1_16block_id_wrapperIjLb1EEEEE10hipError_tT1_PNSt15iterator_traitsISE_E10value_typeET2_T3_PNSF_ISK_E10value_typeET4_T5_PSP_SQ_PNS1_23onesweep_lookback_stateEbbT6_jjT7_P12ihipStream_tbENKUlT_T0_SE_SJ_E_clIS8_S8_S9_S9_EEDaSX_SY_SE_SJ_EUlSX_E_NS1_11comp_targetILNS1_3genE10ELNS1_11target_archE1201ELNS1_3gpuE5ELNS1_3repE0EEENS1_47radix_sort_onesweep_sort_config_static_selectorELNS0_4arch9wavefront6targetE1EEEvSE_,comdat
.Lfunc_end766:
	.size	_ZN7rocprim17ROCPRIM_400000_NS6detail17trampoline_kernelINS0_14default_configENS1_35radix_sort_onesweep_config_selectorIjNS0_10empty_typeEEEZZNS1_29radix_sort_onesweep_iterationIS3_Lb0EPjS8_PS5_S9_mNS0_19identity_decomposerENS1_16block_id_wrapperIjLb1EEEEE10hipError_tT1_PNSt15iterator_traitsISE_E10value_typeET2_T3_PNSF_ISK_E10value_typeET4_T5_PSP_SQ_PNS1_23onesweep_lookback_stateEbbT6_jjT7_P12ihipStream_tbENKUlT_T0_SE_SJ_E_clIS8_S8_S9_S9_EEDaSX_SY_SE_SJ_EUlSX_E_NS1_11comp_targetILNS1_3genE10ELNS1_11target_archE1201ELNS1_3gpuE5ELNS1_3repE0EEENS1_47radix_sort_onesweep_sort_config_static_selectorELNS0_4arch9wavefront6targetE1EEEvSE_, .Lfunc_end766-_ZN7rocprim17ROCPRIM_400000_NS6detail17trampoline_kernelINS0_14default_configENS1_35radix_sort_onesweep_config_selectorIjNS0_10empty_typeEEEZZNS1_29radix_sort_onesweep_iterationIS3_Lb0EPjS8_PS5_S9_mNS0_19identity_decomposerENS1_16block_id_wrapperIjLb1EEEEE10hipError_tT1_PNSt15iterator_traitsISE_E10value_typeET2_T3_PNSF_ISK_E10value_typeET4_T5_PSP_SQ_PNS1_23onesweep_lookback_stateEbbT6_jjT7_P12ihipStream_tbENKUlT_T0_SE_SJ_E_clIS8_S8_S9_S9_EEDaSX_SY_SE_SJ_EUlSX_E_NS1_11comp_targetILNS1_3genE10ELNS1_11target_archE1201ELNS1_3gpuE5ELNS1_3repE0EEENS1_47radix_sort_onesweep_sort_config_static_selectorELNS0_4arch9wavefront6targetE1EEEvSE_
                                        ; -- End function
	.section	.AMDGPU.csdata,"",@progbits
; Kernel info:
; codeLenInByte = 0
; NumSgprs: 4
; NumVgprs: 0
; NumAgprs: 0
; TotalNumVgprs: 0
; ScratchSize: 0
; MemoryBound: 0
; FloatMode: 240
; IeeeMode: 1
; LDSByteSize: 0 bytes/workgroup (compile time only)
; SGPRBlocks: 0
; VGPRBlocks: 0
; NumSGPRsForWavesPerEU: 4
; NumVGPRsForWavesPerEU: 1
; AccumOffset: 4
; Occupancy: 8
; WaveLimiterHint : 0
; COMPUTE_PGM_RSRC2:SCRATCH_EN: 0
; COMPUTE_PGM_RSRC2:USER_SGPR: 6
; COMPUTE_PGM_RSRC2:TRAP_HANDLER: 0
; COMPUTE_PGM_RSRC2:TGID_X_EN: 1
; COMPUTE_PGM_RSRC2:TGID_Y_EN: 0
; COMPUTE_PGM_RSRC2:TGID_Z_EN: 0
; COMPUTE_PGM_RSRC2:TIDIG_COMP_CNT: 0
; COMPUTE_PGM_RSRC3_GFX90A:ACCUM_OFFSET: 0
; COMPUTE_PGM_RSRC3_GFX90A:TG_SPLIT: 0
	.section	.text._ZN7rocprim17ROCPRIM_400000_NS6detail17trampoline_kernelINS0_14default_configENS1_35radix_sort_onesweep_config_selectorIjNS0_10empty_typeEEEZZNS1_29radix_sort_onesweep_iterationIS3_Lb0EPjS8_PS5_S9_mNS0_19identity_decomposerENS1_16block_id_wrapperIjLb1EEEEE10hipError_tT1_PNSt15iterator_traitsISE_E10value_typeET2_T3_PNSF_ISK_E10value_typeET4_T5_PSP_SQ_PNS1_23onesweep_lookback_stateEbbT6_jjT7_P12ihipStream_tbENKUlT_T0_SE_SJ_E_clIS8_S8_S9_S9_EEDaSX_SY_SE_SJ_EUlSX_E_NS1_11comp_targetILNS1_3genE9ELNS1_11target_archE1100ELNS1_3gpuE3ELNS1_3repE0EEENS1_47radix_sort_onesweep_sort_config_static_selectorELNS0_4arch9wavefront6targetE1EEEvSE_,"axG",@progbits,_ZN7rocprim17ROCPRIM_400000_NS6detail17trampoline_kernelINS0_14default_configENS1_35radix_sort_onesweep_config_selectorIjNS0_10empty_typeEEEZZNS1_29radix_sort_onesweep_iterationIS3_Lb0EPjS8_PS5_S9_mNS0_19identity_decomposerENS1_16block_id_wrapperIjLb1EEEEE10hipError_tT1_PNSt15iterator_traitsISE_E10value_typeET2_T3_PNSF_ISK_E10value_typeET4_T5_PSP_SQ_PNS1_23onesweep_lookback_stateEbbT6_jjT7_P12ihipStream_tbENKUlT_T0_SE_SJ_E_clIS8_S8_S9_S9_EEDaSX_SY_SE_SJ_EUlSX_E_NS1_11comp_targetILNS1_3genE9ELNS1_11target_archE1100ELNS1_3gpuE3ELNS1_3repE0EEENS1_47radix_sort_onesweep_sort_config_static_selectorELNS0_4arch9wavefront6targetE1EEEvSE_,comdat
	.protected	_ZN7rocprim17ROCPRIM_400000_NS6detail17trampoline_kernelINS0_14default_configENS1_35radix_sort_onesweep_config_selectorIjNS0_10empty_typeEEEZZNS1_29radix_sort_onesweep_iterationIS3_Lb0EPjS8_PS5_S9_mNS0_19identity_decomposerENS1_16block_id_wrapperIjLb1EEEEE10hipError_tT1_PNSt15iterator_traitsISE_E10value_typeET2_T3_PNSF_ISK_E10value_typeET4_T5_PSP_SQ_PNS1_23onesweep_lookback_stateEbbT6_jjT7_P12ihipStream_tbENKUlT_T0_SE_SJ_E_clIS8_S8_S9_S9_EEDaSX_SY_SE_SJ_EUlSX_E_NS1_11comp_targetILNS1_3genE9ELNS1_11target_archE1100ELNS1_3gpuE3ELNS1_3repE0EEENS1_47radix_sort_onesweep_sort_config_static_selectorELNS0_4arch9wavefront6targetE1EEEvSE_ ; -- Begin function _ZN7rocprim17ROCPRIM_400000_NS6detail17trampoline_kernelINS0_14default_configENS1_35radix_sort_onesweep_config_selectorIjNS0_10empty_typeEEEZZNS1_29radix_sort_onesweep_iterationIS3_Lb0EPjS8_PS5_S9_mNS0_19identity_decomposerENS1_16block_id_wrapperIjLb1EEEEE10hipError_tT1_PNSt15iterator_traitsISE_E10value_typeET2_T3_PNSF_ISK_E10value_typeET4_T5_PSP_SQ_PNS1_23onesweep_lookback_stateEbbT6_jjT7_P12ihipStream_tbENKUlT_T0_SE_SJ_E_clIS8_S8_S9_S9_EEDaSX_SY_SE_SJ_EUlSX_E_NS1_11comp_targetILNS1_3genE9ELNS1_11target_archE1100ELNS1_3gpuE3ELNS1_3repE0EEENS1_47radix_sort_onesweep_sort_config_static_selectorELNS0_4arch9wavefront6targetE1EEEvSE_
	.globl	_ZN7rocprim17ROCPRIM_400000_NS6detail17trampoline_kernelINS0_14default_configENS1_35radix_sort_onesweep_config_selectorIjNS0_10empty_typeEEEZZNS1_29radix_sort_onesweep_iterationIS3_Lb0EPjS8_PS5_S9_mNS0_19identity_decomposerENS1_16block_id_wrapperIjLb1EEEEE10hipError_tT1_PNSt15iterator_traitsISE_E10value_typeET2_T3_PNSF_ISK_E10value_typeET4_T5_PSP_SQ_PNS1_23onesweep_lookback_stateEbbT6_jjT7_P12ihipStream_tbENKUlT_T0_SE_SJ_E_clIS8_S8_S9_S9_EEDaSX_SY_SE_SJ_EUlSX_E_NS1_11comp_targetILNS1_3genE9ELNS1_11target_archE1100ELNS1_3gpuE3ELNS1_3repE0EEENS1_47radix_sort_onesweep_sort_config_static_selectorELNS0_4arch9wavefront6targetE1EEEvSE_
	.p2align	8
	.type	_ZN7rocprim17ROCPRIM_400000_NS6detail17trampoline_kernelINS0_14default_configENS1_35radix_sort_onesweep_config_selectorIjNS0_10empty_typeEEEZZNS1_29radix_sort_onesweep_iterationIS3_Lb0EPjS8_PS5_S9_mNS0_19identity_decomposerENS1_16block_id_wrapperIjLb1EEEEE10hipError_tT1_PNSt15iterator_traitsISE_E10value_typeET2_T3_PNSF_ISK_E10value_typeET4_T5_PSP_SQ_PNS1_23onesweep_lookback_stateEbbT6_jjT7_P12ihipStream_tbENKUlT_T0_SE_SJ_E_clIS8_S8_S9_S9_EEDaSX_SY_SE_SJ_EUlSX_E_NS1_11comp_targetILNS1_3genE9ELNS1_11target_archE1100ELNS1_3gpuE3ELNS1_3repE0EEENS1_47radix_sort_onesweep_sort_config_static_selectorELNS0_4arch9wavefront6targetE1EEEvSE_,@function
_ZN7rocprim17ROCPRIM_400000_NS6detail17trampoline_kernelINS0_14default_configENS1_35radix_sort_onesweep_config_selectorIjNS0_10empty_typeEEEZZNS1_29radix_sort_onesweep_iterationIS3_Lb0EPjS8_PS5_S9_mNS0_19identity_decomposerENS1_16block_id_wrapperIjLb1EEEEE10hipError_tT1_PNSt15iterator_traitsISE_E10value_typeET2_T3_PNSF_ISK_E10value_typeET4_T5_PSP_SQ_PNS1_23onesweep_lookback_stateEbbT6_jjT7_P12ihipStream_tbENKUlT_T0_SE_SJ_E_clIS8_S8_S9_S9_EEDaSX_SY_SE_SJ_EUlSX_E_NS1_11comp_targetILNS1_3genE9ELNS1_11target_archE1100ELNS1_3gpuE3ELNS1_3repE0EEENS1_47radix_sort_onesweep_sort_config_static_selectorELNS0_4arch9wavefront6targetE1EEEvSE_: ; @_ZN7rocprim17ROCPRIM_400000_NS6detail17trampoline_kernelINS0_14default_configENS1_35radix_sort_onesweep_config_selectorIjNS0_10empty_typeEEEZZNS1_29radix_sort_onesweep_iterationIS3_Lb0EPjS8_PS5_S9_mNS0_19identity_decomposerENS1_16block_id_wrapperIjLb1EEEEE10hipError_tT1_PNSt15iterator_traitsISE_E10value_typeET2_T3_PNSF_ISK_E10value_typeET4_T5_PSP_SQ_PNS1_23onesweep_lookback_stateEbbT6_jjT7_P12ihipStream_tbENKUlT_T0_SE_SJ_E_clIS8_S8_S9_S9_EEDaSX_SY_SE_SJ_EUlSX_E_NS1_11comp_targetILNS1_3genE9ELNS1_11target_archE1100ELNS1_3gpuE3ELNS1_3repE0EEENS1_47radix_sort_onesweep_sort_config_static_selectorELNS0_4arch9wavefront6targetE1EEEvSE_
; %bb.0:
	.section	.rodata,"a",@progbits
	.p2align	6, 0x0
	.amdhsa_kernel _ZN7rocprim17ROCPRIM_400000_NS6detail17trampoline_kernelINS0_14default_configENS1_35radix_sort_onesweep_config_selectorIjNS0_10empty_typeEEEZZNS1_29radix_sort_onesweep_iterationIS3_Lb0EPjS8_PS5_S9_mNS0_19identity_decomposerENS1_16block_id_wrapperIjLb1EEEEE10hipError_tT1_PNSt15iterator_traitsISE_E10value_typeET2_T3_PNSF_ISK_E10value_typeET4_T5_PSP_SQ_PNS1_23onesweep_lookback_stateEbbT6_jjT7_P12ihipStream_tbENKUlT_T0_SE_SJ_E_clIS8_S8_S9_S9_EEDaSX_SY_SE_SJ_EUlSX_E_NS1_11comp_targetILNS1_3genE9ELNS1_11target_archE1100ELNS1_3gpuE3ELNS1_3repE0EEENS1_47radix_sort_onesweep_sort_config_static_selectorELNS0_4arch9wavefront6targetE1EEEvSE_
		.amdhsa_group_segment_fixed_size 0
		.amdhsa_private_segment_fixed_size 0
		.amdhsa_kernarg_size 88
		.amdhsa_user_sgpr_count 6
		.amdhsa_user_sgpr_private_segment_buffer 1
		.amdhsa_user_sgpr_dispatch_ptr 0
		.amdhsa_user_sgpr_queue_ptr 0
		.amdhsa_user_sgpr_kernarg_segment_ptr 1
		.amdhsa_user_sgpr_dispatch_id 0
		.amdhsa_user_sgpr_flat_scratch_init 0
		.amdhsa_user_sgpr_kernarg_preload_length 0
		.amdhsa_user_sgpr_kernarg_preload_offset 0
		.amdhsa_user_sgpr_private_segment_size 0
		.amdhsa_uses_dynamic_stack 0
		.amdhsa_system_sgpr_private_segment_wavefront_offset 0
		.amdhsa_system_sgpr_workgroup_id_x 1
		.amdhsa_system_sgpr_workgroup_id_y 0
		.amdhsa_system_sgpr_workgroup_id_z 0
		.amdhsa_system_sgpr_workgroup_info 0
		.amdhsa_system_vgpr_workitem_id 0
		.amdhsa_next_free_vgpr 1
		.amdhsa_next_free_sgpr 0
		.amdhsa_accum_offset 4
		.amdhsa_reserve_vcc 0
		.amdhsa_reserve_flat_scratch 0
		.amdhsa_float_round_mode_32 0
		.amdhsa_float_round_mode_16_64 0
		.amdhsa_float_denorm_mode_32 3
		.amdhsa_float_denorm_mode_16_64 3
		.amdhsa_dx10_clamp 1
		.amdhsa_ieee_mode 1
		.amdhsa_fp16_overflow 0
		.amdhsa_tg_split 0
		.amdhsa_exception_fp_ieee_invalid_op 0
		.amdhsa_exception_fp_denorm_src 0
		.amdhsa_exception_fp_ieee_div_zero 0
		.amdhsa_exception_fp_ieee_overflow 0
		.amdhsa_exception_fp_ieee_underflow 0
		.amdhsa_exception_fp_ieee_inexact 0
		.amdhsa_exception_int_div_zero 0
	.end_amdhsa_kernel
	.section	.text._ZN7rocprim17ROCPRIM_400000_NS6detail17trampoline_kernelINS0_14default_configENS1_35radix_sort_onesweep_config_selectorIjNS0_10empty_typeEEEZZNS1_29radix_sort_onesweep_iterationIS3_Lb0EPjS8_PS5_S9_mNS0_19identity_decomposerENS1_16block_id_wrapperIjLb1EEEEE10hipError_tT1_PNSt15iterator_traitsISE_E10value_typeET2_T3_PNSF_ISK_E10value_typeET4_T5_PSP_SQ_PNS1_23onesweep_lookback_stateEbbT6_jjT7_P12ihipStream_tbENKUlT_T0_SE_SJ_E_clIS8_S8_S9_S9_EEDaSX_SY_SE_SJ_EUlSX_E_NS1_11comp_targetILNS1_3genE9ELNS1_11target_archE1100ELNS1_3gpuE3ELNS1_3repE0EEENS1_47radix_sort_onesweep_sort_config_static_selectorELNS0_4arch9wavefront6targetE1EEEvSE_,"axG",@progbits,_ZN7rocprim17ROCPRIM_400000_NS6detail17trampoline_kernelINS0_14default_configENS1_35radix_sort_onesweep_config_selectorIjNS0_10empty_typeEEEZZNS1_29radix_sort_onesweep_iterationIS3_Lb0EPjS8_PS5_S9_mNS0_19identity_decomposerENS1_16block_id_wrapperIjLb1EEEEE10hipError_tT1_PNSt15iterator_traitsISE_E10value_typeET2_T3_PNSF_ISK_E10value_typeET4_T5_PSP_SQ_PNS1_23onesweep_lookback_stateEbbT6_jjT7_P12ihipStream_tbENKUlT_T0_SE_SJ_E_clIS8_S8_S9_S9_EEDaSX_SY_SE_SJ_EUlSX_E_NS1_11comp_targetILNS1_3genE9ELNS1_11target_archE1100ELNS1_3gpuE3ELNS1_3repE0EEENS1_47radix_sort_onesweep_sort_config_static_selectorELNS0_4arch9wavefront6targetE1EEEvSE_,comdat
.Lfunc_end767:
	.size	_ZN7rocprim17ROCPRIM_400000_NS6detail17trampoline_kernelINS0_14default_configENS1_35radix_sort_onesweep_config_selectorIjNS0_10empty_typeEEEZZNS1_29radix_sort_onesweep_iterationIS3_Lb0EPjS8_PS5_S9_mNS0_19identity_decomposerENS1_16block_id_wrapperIjLb1EEEEE10hipError_tT1_PNSt15iterator_traitsISE_E10value_typeET2_T3_PNSF_ISK_E10value_typeET4_T5_PSP_SQ_PNS1_23onesweep_lookback_stateEbbT6_jjT7_P12ihipStream_tbENKUlT_T0_SE_SJ_E_clIS8_S8_S9_S9_EEDaSX_SY_SE_SJ_EUlSX_E_NS1_11comp_targetILNS1_3genE9ELNS1_11target_archE1100ELNS1_3gpuE3ELNS1_3repE0EEENS1_47radix_sort_onesweep_sort_config_static_selectorELNS0_4arch9wavefront6targetE1EEEvSE_, .Lfunc_end767-_ZN7rocprim17ROCPRIM_400000_NS6detail17trampoline_kernelINS0_14default_configENS1_35radix_sort_onesweep_config_selectorIjNS0_10empty_typeEEEZZNS1_29radix_sort_onesweep_iterationIS3_Lb0EPjS8_PS5_S9_mNS0_19identity_decomposerENS1_16block_id_wrapperIjLb1EEEEE10hipError_tT1_PNSt15iterator_traitsISE_E10value_typeET2_T3_PNSF_ISK_E10value_typeET4_T5_PSP_SQ_PNS1_23onesweep_lookback_stateEbbT6_jjT7_P12ihipStream_tbENKUlT_T0_SE_SJ_E_clIS8_S8_S9_S9_EEDaSX_SY_SE_SJ_EUlSX_E_NS1_11comp_targetILNS1_3genE9ELNS1_11target_archE1100ELNS1_3gpuE3ELNS1_3repE0EEENS1_47radix_sort_onesweep_sort_config_static_selectorELNS0_4arch9wavefront6targetE1EEEvSE_
                                        ; -- End function
	.section	.AMDGPU.csdata,"",@progbits
; Kernel info:
; codeLenInByte = 0
; NumSgprs: 4
; NumVgprs: 0
; NumAgprs: 0
; TotalNumVgprs: 0
; ScratchSize: 0
; MemoryBound: 0
; FloatMode: 240
; IeeeMode: 1
; LDSByteSize: 0 bytes/workgroup (compile time only)
; SGPRBlocks: 0
; VGPRBlocks: 0
; NumSGPRsForWavesPerEU: 4
; NumVGPRsForWavesPerEU: 1
; AccumOffset: 4
; Occupancy: 8
; WaveLimiterHint : 0
; COMPUTE_PGM_RSRC2:SCRATCH_EN: 0
; COMPUTE_PGM_RSRC2:USER_SGPR: 6
; COMPUTE_PGM_RSRC2:TRAP_HANDLER: 0
; COMPUTE_PGM_RSRC2:TGID_X_EN: 1
; COMPUTE_PGM_RSRC2:TGID_Y_EN: 0
; COMPUTE_PGM_RSRC2:TGID_Z_EN: 0
; COMPUTE_PGM_RSRC2:TIDIG_COMP_CNT: 0
; COMPUTE_PGM_RSRC3_GFX90A:ACCUM_OFFSET: 0
; COMPUTE_PGM_RSRC3_GFX90A:TG_SPLIT: 0
	.section	.text._ZN7rocprim17ROCPRIM_400000_NS6detail17trampoline_kernelINS0_14default_configENS1_35radix_sort_onesweep_config_selectorIjNS0_10empty_typeEEEZZNS1_29radix_sort_onesweep_iterationIS3_Lb0EPjS8_PS5_S9_mNS0_19identity_decomposerENS1_16block_id_wrapperIjLb1EEEEE10hipError_tT1_PNSt15iterator_traitsISE_E10value_typeET2_T3_PNSF_ISK_E10value_typeET4_T5_PSP_SQ_PNS1_23onesweep_lookback_stateEbbT6_jjT7_P12ihipStream_tbENKUlT_T0_SE_SJ_E_clIS8_S8_S9_S9_EEDaSX_SY_SE_SJ_EUlSX_E_NS1_11comp_targetILNS1_3genE8ELNS1_11target_archE1030ELNS1_3gpuE2ELNS1_3repE0EEENS1_47radix_sort_onesweep_sort_config_static_selectorELNS0_4arch9wavefront6targetE1EEEvSE_,"axG",@progbits,_ZN7rocprim17ROCPRIM_400000_NS6detail17trampoline_kernelINS0_14default_configENS1_35radix_sort_onesweep_config_selectorIjNS0_10empty_typeEEEZZNS1_29radix_sort_onesweep_iterationIS3_Lb0EPjS8_PS5_S9_mNS0_19identity_decomposerENS1_16block_id_wrapperIjLb1EEEEE10hipError_tT1_PNSt15iterator_traitsISE_E10value_typeET2_T3_PNSF_ISK_E10value_typeET4_T5_PSP_SQ_PNS1_23onesweep_lookback_stateEbbT6_jjT7_P12ihipStream_tbENKUlT_T0_SE_SJ_E_clIS8_S8_S9_S9_EEDaSX_SY_SE_SJ_EUlSX_E_NS1_11comp_targetILNS1_3genE8ELNS1_11target_archE1030ELNS1_3gpuE2ELNS1_3repE0EEENS1_47radix_sort_onesweep_sort_config_static_selectorELNS0_4arch9wavefront6targetE1EEEvSE_,comdat
	.protected	_ZN7rocprim17ROCPRIM_400000_NS6detail17trampoline_kernelINS0_14default_configENS1_35radix_sort_onesweep_config_selectorIjNS0_10empty_typeEEEZZNS1_29radix_sort_onesweep_iterationIS3_Lb0EPjS8_PS5_S9_mNS0_19identity_decomposerENS1_16block_id_wrapperIjLb1EEEEE10hipError_tT1_PNSt15iterator_traitsISE_E10value_typeET2_T3_PNSF_ISK_E10value_typeET4_T5_PSP_SQ_PNS1_23onesweep_lookback_stateEbbT6_jjT7_P12ihipStream_tbENKUlT_T0_SE_SJ_E_clIS8_S8_S9_S9_EEDaSX_SY_SE_SJ_EUlSX_E_NS1_11comp_targetILNS1_3genE8ELNS1_11target_archE1030ELNS1_3gpuE2ELNS1_3repE0EEENS1_47radix_sort_onesweep_sort_config_static_selectorELNS0_4arch9wavefront6targetE1EEEvSE_ ; -- Begin function _ZN7rocprim17ROCPRIM_400000_NS6detail17trampoline_kernelINS0_14default_configENS1_35radix_sort_onesweep_config_selectorIjNS0_10empty_typeEEEZZNS1_29radix_sort_onesweep_iterationIS3_Lb0EPjS8_PS5_S9_mNS0_19identity_decomposerENS1_16block_id_wrapperIjLb1EEEEE10hipError_tT1_PNSt15iterator_traitsISE_E10value_typeET2_T3_PNSF_ISK_E10value_typeET4_T5_PSP_SQ_PNS1_23onesweep_lookback_stateEbbT6_jjT7_P12ihipStream_tbENKUlT_T0_SE_SJ_E_clIS8_S8_S9_S9_EEDaSX_SY_SE_SJ_EUlSX_E_NS1_11comp_targetILNS1_3genE8ELNS1_11target_archE1030ELNS1_3gpuE2ELNS1_3repE0EEENS1_47radix_sort_onesweep_sort_config_static_selectorELNS0_4arch9wavefront6targetE1EEEvSE_
	.globl	_ZN7rocprim17ROCPRIM_400000_NS6detail17trampoline_kernelINS0_14default_configENS1_35radix_sort_onesweep_config_selectorIjNS0_10empty_typeEEEZZNS1_29radix_sort_onesweep_iterationIS3_Lb0EPjS8_PS5_S9_mNS0_19identity_decomposerENS1_16block_id_wrapperIjLb1EEEEE10hipError_tT1_PNSt15iterator_traitsISE_E10value_typeET2_T3_PNSF_ISK_E10value_typeET4_T5_PSP_SQ_PNS1_23onesweep_lookback_stateEbbT6_jjT7_P12ihipStream_tbENKUlT_T0_SE_SJ_E_clIS8_S8_S9_S9_EEDaSX_SY_SE_SJ_EUlSX_E_NS1_11comp_targetILNS1_3genE8ELNS1_11target_archE1030ELNS1_3gpuE2ELNS1_3repE0EEENS1_47radix_sort_onesweep_sort_config_static_selectorELNS0_4arch9wavefront6targetE1EEEvSE_
	.p2align	8
	.type	_ZN7rocprim17ROCPRIM_400000_NS6detail17trampoline_kernelINS0_14default_configENS1_35radix_sort_onesweep_config_selectorIjNS0_10empty_typeEEEZZNS1_29radix_sort_onesweep_iterationIS3_Lb0EPjS8_PS5_S9_mNS0_19identity_decomposerENS1_16block_id_wrapperIjLb1EEEEE10hipError_tT1_PNSt15iterator_traitsISE_E10value_typeET2_T3_PNSF_ISK_E10value_typeET4_T5_PSP_SQ_PNS1_23onesweep_lookback_stateEbbT6_jjT7_P12ihipStream_tbENKUlT_T0_SE_SJ_E_clIS8_S8_S9_S9_EEDaSX_SY_SE_SJ_EUlSX_E_NS1_11comp_targetILNS1_3genE8ELNS1_11target_archE1030ELNS1_3gpuE2ELNS1_3repE0EEENS1_47radix_sort_onesweep_sort_config_static_selectorELNS0_4arch9wavefront6targetE1EEEvSE_,@function
_ZN7rocprim17ROCPRIM_400000_NS6detail17trampoline_kernelINS0_14default_configENS1_35radix_sort_onesweep_config_selectorIjNS0_10empty_typeEEEZZNS1_29radix_sort_onesweep_iterationIS3_Lb0EPjS8_PS5_S9_mNS0_19identity_decomposerENS1_16block_id_wrapperIjLb1EEEEE10hipError_tT1_PNSt15iterator_traitsISE_E10value_typeET2_T3_PNSF_ISK_E10value_typeET4_T5_PSP_SQ_PNS1_23onesweep_lookback_stateEbbT6_jjT7_P12ihipStream_tbENKUlT_T0_SE_SJ_E_clIS8_S8_S9_S9_EEDaSX_SY_SE_SJ_EUlSX_E_NS1_11comp_targetILNS1_3genE8ELNS1_11target_archE1030ELNS1_3gpuE2ELNS1_3repE0EEENS1_47radix_sort_onesweep_sort_config_static_selectorELNS0_4arch9wavefront6targetE1EEEvSE_: ; @_ZN7rocprim17ROCPRIM_400000_NS6detail17trampoline_kernelINS0_14default_configENS1_35radix_sort_onesweep_config_selectorIjNS0_10empty_typeEEEZZNS1_29radix_sort_onesweep_iterationIS3_Lb0EPjS8_PS5_S9_mNS0_19identity_decomposerENS1_16block_id_wrapperIjLb1EEEEE10hipError_tT1_PNSt15iterator_traitsISE_E10value_typeET2_T3_PNSF_ISK_E10value_typeET4_T5_PSP_SQ_PNS1_23onesweep_lookback_stateEbbT6_jjT7_P12ihipStream_tbENKUlT_T0_SE_SJ_E_clIS8_S8_S9_S9_EEDaSX_SY_SE_SJ_EUlSX_E_NS1_11comp_targetILNS1_3genE8ELNS1_11target_archE1030ELNS1_3gpuE2ELNS1_3repE0EEENS1_47radix_sort_onesweep_sort_config_static_selectorELNS0_4arch9wavefront6targetE1EEEvSE_
; %bb.0:
	.section	.rodata,"a",@progbits
	.p2align	6, 0x0
	.amdhsa_kernel _ZN7rocprim17ROCPRIM_400000_NS6detail17trampoline_kernelINS0_14default_configENS1_35radix_sort_onesweep_config_selectorIjNS0_10empty_typeEEEZZNS1_29radix_sort_onesweep_iterationIS3_Lb0EPjS8_PS5_S9_mNS0_19identity_decomposerENS1_16block_id_wrapperIjLb1EEEEE10hipError_tT1_PNSt15iterator_traitsISE_E10value_typeET2_T3_PNSF_ISK_E10value_typeET4_T5_PSP_SQ_PNS1_23onesweep_lookback_stateEbbT6_jjT7_P12ihipStream_tbENKUlT_T0_SE_SJ_E_clIS8_S8_S9_S9_EEDaSX_SY_SE_SJ_EUlSX_E_NS1_11comp_targetILNS1_3genE8ELNS1_11target_archE1030ELNS1_3gpuE2ELNS1_3repE0EEENS1_47radix_sort_onesweep_sort_config_static_selectorELNS0_4arch9wavefront6targetE1EEEvSE_
		.amdhsa_group_segment_fixed_size 0
		.amdhsa_private_segment_fixed_size 0
		.amdhsa_kernarg_size 88
		.amdhsa_user_sgpr_count 6
		.amdhsa_user_sgpr_private_segment_buffer 1
		.amdhsa_user_sgpr_dispatch_ptr 0
		.amdhsa_user_sgpr_queue_ptr 0
		.amdhsa_user_sgpr_kernarg_segment_ptr 1
		.amdhsa_user_sgpr_dispatch_id 0
		.amdhsa_user_sgpr_flat_scratch_init 0
		.amdhsa_user_sgpr_kernarg_preload_length 0
		.amdhsa_user_sgpr_kernarg_preload_offset 0
		.amdhsa_user_sgpr_private_segment_size 0
		.amdhsa_uses_dynamic_stack 0
		.amdhsa_system_sgpr_private_segment_wavefront_offset 0
		.amdhsa_system_sgpr_workgroup_id_x 1
		.amdhsa_system_sgpr_workgroup_id_y 0
		.amdhsa_system_sgpr_workgroup_id_z 0
		.amdhsa_system_sgpr_workgroup_info 0
		.amdhsa_system_vgpr_workitem_id 0
		.amdhsa_next_free_vgpr 1
		.amdhsa_next_free_sgpr 0
		.amdhsa_accum_offset 4
		.amdhsa_reserve_vcc 0
		.amdhsa_reserve_flat_scratch 0
		.amdhsa_float_round_mode_32 0
		.amdhsa_float_round_mode_16_64 0
		.amdhsa_float_denorm_mode_32 3
		.amdhsa_float_denorm_mode_16_64 3
		.amdhsa_dx10_clamp 1
		.amdhsa_ieee_mode 1
		.amdhsa_fp16_overflow 0
		.amdhsa_tg_split 0
		.amdhsa_exception_fp_ieee_invalid_op 0
		.amdhsa_exception_fp_denorm_src 0
		.amdhsa_exception_fp_ieee_div_zero 0
		.amdhsa_exception_fp_ieee_overflow 0
		.amdhsa_exception_fp_ieee_underflow 0
		.amdhsa_exception_fp_ieee_inexact 0
		.amdhsa_exception_int_div_zero 0
	.end_amdhsa_kernel
	.section	.text._ZN7rocprim17ROCPRIM_400000_NS6detail17trampoline_kernelINS0_14default_configENS1_35radix_sort_onesweep_config_selectorIjNS0_10empty_typeEEEZZNS1_29radix_sort_onesweep_iterationIS3_Lb0EPjS8_PS5_S9_mNS0_19identity_decomposerENS1_16block_id_wrapperIjLb1EEEEE10hipError_tT1_PNSt15iterator_traitsISE_E10value_typeET2_T3_PNSF_ISK_E10value_typeET4_T5_PSP_SQ_PNS1_23onesweep_lookback_stateEbbT6_jjT7_P12ihipStream_tbENKUlT_T0_SE_SJ_E_clIS8_S8_S9_S9_EEDaSX_SY_SE_SJ_EUlSX_E_NS1_11comp_targetILNS1_3genE8ELNS1_11target_archE1030ELNS1_3gpuE2ELNS1_3repE0EEENS1_47radix_sort_onesweep_sort_config_static_selectorELNS0_4arch9wavefront6targetE1EEEvSE_,"axG",@progbits,_ZN7rocprim17ROCPRIM_400000_NS6detail17trampoline_kernelINS0_14default_configENS1_35radix_sort_onesweep_config_selectorIjNS0_10empty_typeEEEZZNS1_29radix_sort_onesweep_iterationIS3_Lb0EPjS8_PS5_S9_mNS0_19identity_decomposerENS1_16block_id_wrapperIjLb1EEEEE10hipError_tT1_PNSt15iterator_traitsISE_E10value_typeET2_T3_PNSF_ISK_E10value_typeET4_T5_PSP_SQ_PNS1_23onesweep_lookback_stateEbbT6_jjT7_P12ihipStream_tbENKUlT_T0_SE_SJ_E_clIS8_S8_S9_S9_EEDaSX_SY_SE_SJ_EUlSX_E_NS1_11comp_targetILNS1_3genE8ELNS1_11target_archE1030ELNS1_3gpuE2ELNS1_3repE0EEENS1_47radix_sort_onesweep_sort_config_static_selectorELNS0_4arch9wavefront6targetE1EEEvSE_,comdat
.Lfunc_end768:
	.size	_ZN7rocprim17ROCPRIM_400000_NS6detail17trampoline_kernelINS0_14default_configENS1_35radix_sort_onesweep_config_selectorIjNS0_10empty_typeEEEZZNS1_29radix_sort_onesweep_iterationIS3_Lb0EPjS8_PS5_S9_mNS0_19identity_decomposerENS1_16block_id_wrapperIjLb1EEEEE10hipError_tT1_PNSt15iterator_traitsISE_E10value_typeET2_T3_PNSF_ISK_E10value_typeET4_T5_PSP_SQ_PNS1_23onesweep_lookback_stateEbbT6_jjT7_P12ihipStream_tbENKUlT_T0_SE_SJ_E_clIS8_S8_S9_S9_EEDaSX_SY_SE_SJ_EUlSX_E_NS1_11comp_targetILNS1_3genE8ELNS1_11target_archE1030ELNS1_3gpuE2ELNS1_3repE0EEENS1_47radix_sort_onesweep_sort_config_static_selectorELNS0_4arch9wavefront6targetE1EEEvSE_, .Lfunc_end768-_ZN7rocprim17ROCPRIM_400000_NS6detail17trampoline_kernelINS0_14default_configENS1_35radix_sort_onesweep_config_selectorIjNS0_10empty_typeEEEZZNS1_29radix_sort_onesweep_iterationIS3_Lb0EPjS8_PS5_S9_mNS0_19identity_decomposerENS1_16block_id_wrapperIjLb1EEEEE10hipError_tT1_PNSt15iterator_traitsISE_E10value_typeET2_T3_PNSF_ISK_E10value_typeET4_T5_PSP_SQ_PNS1_23onesweep_lookback_stateEbbT6_jjT7_P12ihipStream_tbENKUlT_T0_SE_SJ_E_clIS8_S8_S9_S9_EEDaSX_SY_SE_SJ_EUlSX_E_NS1_11comp_targetILNS1_3genE8ELNS1_11target_archE1030ELNS1_3gpuE2ELNS1_3repE0EEENS1_47radix_sort_onesweep_sort_config_static_selectorELNS0_4arch9wavefront6targetE1EEEvSE_
                                        ; -- End function
	.section	.AMDGPU.csdata,"",@progbits
; Kernel info:
; codeLenInByte = 0
; NumSgprs: 4
; NumVgprs: 0
; NumAgprs: 0
; TotalNumVgprs: 0
; ScratchSize: 0
; MemoryBound: 0
; FloatMode: 240
; IeeeMode: 1
; LDSByteSize: 0 bytes/workgroup (compile time only)
; SGPRBlocks: 0
; VGPRBlocks: 0
; NumSGPRsForWavesPerEU: 4
; NumVGPRsForWavesPerEU: 1
; AccumOffset: 4
; Occupancy: 8
; WaveLimiterHint : 0
; COMPUTE_PGM_RSRC2:SCRATCH_EN: 0
; COMPUTE_PGM_RSRC2:USER_SGPR: 6
; COMPUTE_PGM_RSRC2:TRAP_HANDLER: 0
; COMPUTE_PGM_RSRC2:TGID_X_EN: 1
; COMPUTE_PGM_RSRC2:TGID_Y_EN: 0
; COMPUTE_PGM_RSRC2:TGID_Z_EN: 0
; COMPUTE_PGM_RSRC2:TIDIG_COMP_CNT: 0
; COMPUTE_PGM_RSRC3_GFX90A:ACCUM_OFFSET: 0
; COMPUTE_PGM_RSRC3_GFX90A:TG_SPLIT: 0
	.section	.text._ZN7rocprim17ROCPRIM_400000_NS6detail17trampoline_kernelINS0_14default_configENS1_35radix_sort_onesweep_config_selectorIjNS0_10empty_typeEEEZZNS1_29radix_sort_onesweep_iterationIS3_Lb0EPjS8_PS5_S9_mNS0_19identity_decomposerENS1_16block_id_wrapperIjLb0EEEEE10hipError_tT1_PNSt15iterator_traitsISE_E10value_typeET2_T3_PNSF_ISK_E10value_typeET4_T5_PSP_SQ_PNS1_23onesweep_lookback_stateEbbT6_jjT7_P12ihipStream_tbENKUlT_T0_SE_SJ_E_clIS8_S8_S9_S9_EEDaSX_SY_SE_SJ_EUlSX_E_NS1_11comp_targetILNS1_3genE0ELNS1_11target_archE4294967295ELNS1_3gpuE0ELNS1_3repE0EEENS1_47radix_sort_onesweep_sort_config_static_selectorELNS0_4arch9wavefront6targetE1EEEvSE_,"axG",@progbits,_ZN7rocprim17ROCPRIM_400000_NS6detail17trampoline_kernelINS0_14default_configENS1_35radix_sort_onesweep_config_selectorIjNS0_10empty_typeEEEZZNS1_29radix_sort_onesweep_iterationIS3_Lb0EPjS8_PS5_S9_mNS0_19identity_decomposerENS1_16block_id_wrapperIjLb0EEEEE10hipError_tT1_PNSt15iterator_traitsISE_E10value_typeET2_T3_PNSF_ISK_E10value_typeET4_T5_PSP_SQ_PNS1_23onesweep_lookback_stateEbbT6_jjT7_P12ihipStream_tbENKUlT_T0_SE_SJ_E_clIS8_S8_S9_S9_EEDaSX_SY_SE_SJ_EUlSX_E_NS1_11comp_targetILNS1_3genE0ELNS1_11target_archE4294967295ELNS1_3gpuE0ELNS1_3repE0EEENS1_47radix_sort_onesweep_sort_config_static_selectorELNS0_4arch9wavefront6targetE1EEEvSE_,comdat
	.protected	_ZN7rocprim17ROCPRIM_400000_NS6detail17trampoline_kernelINS0_14default_configENS1_35radix_sort_onesweep_config_selectorIjNS0_10empty_typeEEEZZNS1_29radix_sort_onesweep_iterationIS3_Lb0EPjS8_PS5_S9_mNS0_19identity_decomposerENS1_16block_id_wrapperIjLb0EEEEE10hipError_tT1_PNSt15iterator_traitsISE_E10value_typeET2_T3_PNSF_ISK_E10value_typeET4_T5_PSP_SQ_PNS1_23onesweep_lookback_stateEbbT6_jjT7_P12ihipStream_tbENKUlT_T0_SE_SJ_E_clIS8_S8_S9_S9_EEDaSX_SY_SE_SJ_EUlSX_E_NS1_11comp_targetILNS1_3genE0ELNS1_11target_archE4294967295ELNS1_3gpuE0ELNS1_3repE0EEENS1_47radix_sort_onesweep_sort_config_static_selectorELNS0_4arch9wavefront6targetE1EEEvSE_ ; -- Begin function _ZN7rocprim17ROCPRIM_400000_NS6detail17trampoline_kernelINS0_14default_configENS1_35radix_sort_onesweep_config_selectorIjNS0_10empty_typeEEEZZNS1_29radix_sort_onesweep_iterationIS3_Lb0EPjS8_PS5_S9_mNS0_19identity_decomposerENS1_16block_id_wrapperIjLb0EEEEE10hipError_tT1_PNSt15iterator_traitsISE_E10value_typeET2_T3_PNSF_ISK_E10value_typeET4_T5_PSP_SQ_PNS1_23onesweep_lookback_stateEbbT6_jjT7_P12ihipStream_tbENKUlT_T0_SE_SJ_E_clIS8_S8_S9_S9_EEDaSX_SY_SE_SJ_EUlSX_E_NS1_11comp_targetILNS1_3genE0ELNS1_11target_archE4294967295ELNS1_3gpuE0ELNS1_3repE0EEENS1_47radix_sort_onesweep_sort_config_static_selectorELNS0_4arch9wavefront6targetE1EEEvSE_
	.globl	_ZN7rocprim17ROCPRIM_400000_NS6detail17trampoline_kernelINS0_14default_configENS1_35radix_sort_onesweep_config_selectorIjNS0_10empty_typeEEEZZNS1_29radix_sort_onesweep_iterationIS3_Lb0EPjS8_PS5_S9_mNS0_19identity_decomposerENS1_16block_id_wrapperIjLb0EEEEE10hipError_tT1_PNSt15iterator_traitsISE_E10value_typeET2_T3_PNSF_ISK_E10value_typeET4_T5_PSP_SQ_PNS1_23onesweep_lookback_stateEbbT6_jjT7_P12ihipStream_tbENKUlT_T0_SE_SJ_E_clIS8_S8_S9_S9_EEDaSX_SY_SE_SJ_EUlSX_E_NS1_11comp_targetILNS1_3genE0ELNS1_11target_archE4294967295ELNS1_3gpuE0ELNS1_3repE0EEENS1_47radix_sort_onesweep_sort_config_static_selectorELNS0_4arch9wavefront6targetE1EEEvSE_
	.p2align	8
	.type	_ZN7rocprim17ROCPRIM_400000_NS6detail17trampoline_kernelINS0_14default_configENS1_35radix_sort_onesweep_config_selectorIjNS0_10empty_typeEEEZZNS1_29radix_sort_onesweep_iterationIS3_Lb0EPjS8_PS5_S9_mNS0_19identity_decomposerENS1_16block_id_wrapperIjLb0EEEEE10hipError_tT1_PNSt15iterator_traitsISE_E10value_typeET2_T3_PNSF_ISK_E10value_typeET4_T5_PSP_SQ_PNS1_23onesweep_lookback_stateEbbT6_jjT7_P12ihipStream_tbENKUlT_T0_SE_SJ_E_clIS8_S8_S9_S9_EEDaSX_SY_SE_SJ_EUlSX_E_NS1_11comp_targetILNS1_3genE0ELNS1_11target_archE4294967295ELNS1_3gpuE0ELNS1_3repE0EEENS1_47radix_sort_onesweep_sort_config_static_selectorELNS0_4arch9wavefront6targetE1EEEvSE_,@function
_ZN7rocprim17ROCPRIM_400000_NS6detail17trampoline_kernelINS0_14default_configENS1_35radix_sort_onesweep_config_selectorIjNS0_10empty_typeEEEZZNS1_29radix_sort_onesweep_iterationIS3_Lb0EPjS8_PS5_S9_mNS0_19identity_decomposerENS1_16block_id_wrapperIjLb0EEEEE10hipError_tT1_PNSt15iterator_traitsISE_E10value_typeET2_T3_PNSF_ISK_E10value_typeET4_T5_PSP_SQ_PNS1_23onesweep_lookback_stateEbbT6_jjT7_P12ihipStream_tbENKUlT_T0_SE_SJ_E_clIS8_S8_S9_S9_EEDaSX_SY_SE_SJ_EUlSX_E_NS1_11comp_targetILNS1_3genE0ELNS1_11target_archE4294967295ELNS1_3gpuE0ELNS1_3repE0EEENS1_47radix_sort_onesweep_sort_config_static_selectorELNS0_4arch9wavefront6targetE1EEEvSE_: ; @_ZN7rocprim17ROCPRIM_400000_NS6detail17trampoline_kernelINS0_14default_configENS1_35radix_sort_onesweep_config_selectorIjNS0_10empty_typeEEEZZNS1_29radix_sort_onesweep_iterationIS3_Lb0EPjS8_PS5_S9_mNS0_19identity_decomposerENS1_16block_id_wrapperIjLb0EEEEE10hipError_tT1_PNSt15iterator_traitsISE_E10value_typeET2_T3_PNSF_ISK_E10value_typeET4_T5_PSP_SQ_PNS1_23onesweep_lookback_stateEbbT6_jjT7_P12ihipStream_tbENKUlT_T0_SE_SJ_E_clIS8_S8_S9_S9_EEDaSX_SY_SE_SJ_EUlSX_E_NS1_11comp_targetILNS1_3genE0ELNS1_11target_archE4294967295ELNS1_3gpuE0ELNS1_3repE0EEENS1_47radix_sort_onesweep_sort_config_static_selectorELNS0_4arch9wavefront6targetE1EEEvSE_
; %bb.0:
	.section	.rodata,"a",@progbits
	.p2align	6, 0x0
	.amdhsa_kernel _ZN7rocprim17ROCPRIM_400000_NS6detail17trampoline_kernelINS0_14default_configENS1_35radix_sort_onesweep_config_selectorIjNS0_10empty_typeEEEZZNS1_29radix_sort_onesweep_iterationIS3_Lb0EPjS8_PS5_S9_mNS0_19identity_decomposerENS1_16block_id_wrapperIjLb0EEEEE10hipError_tT1_PNSt15iterator_traitsISE_E10value_typeET2_T3_PNSF_ISK_E10value_typeET4_T5_PSP_SQ_PNS1_23onesweep_lookback_stateEbbT6_jjT7_P12ihipStream_tbENKUlT_T0_SE_SJ_E_clIS8_S8_S9_S9_EEDaSX_SY_SE_SJ_EUlSX_E_NS1_11comp_targetILNS1_3genE0ELNS1_11target_archE4294967295ELNS1_3gpuE0ELNS1_3repE0EEENS1_47radix_sort_onesweep_sort_config_static_selectorELNS0_4arch9wavefront6targetE1EEEvSE_
		.amdhsa_group_segment_fixed_size 0
		.amdhsa_private_segment_fixed_size 0
		.amdhsa_kernarg_size 88
		.amdhsa_user_sgpr_count 6
		.amdhsa_user_sgpr_private_segment_buffer 1
		.amdhsa_user_sgpr_dispatch_ptr 0
		.amdhsa_user_sgpr_queue_ptr 0
		.amdhsa_user_sgpr_kernarg_segment_ptr 1
		.amdhsa_user_sgpr_dispatch_id 0
		.amdhsa_user_sgpr_flat_scratch_init 0
		.amdhsa_user_sgpr_kernarg_preload_length 0
		.amdhsa_user_sgpr_kernarg_preload_offset 0
		.amdhsa_user_sgpr_private_segment_size 0
		.amdhsa_uses_dynamic_stack 0
		.amdhsa_system_sgpr_private_segment_wavefront_offset 0
		.amdhsa_system_sgpr_workgroup_id_x 1
		.amdhsa_system_sgpr_workgroup_id_y 0
		.amdhsa_system_sgpr_workgroup_id_z 0
		.amdhsa_system_sgpr_workgroup_info 0
		.amdhsa_system_vgpr_workitem_id 0
		.amdhsa_next_free_vgpr 1
		.amdhsa_next_free_sgpr 0
		.amdhsa_accum_offset 4
		.amdhsa_reserve_vcc 0
		.amdhsa_reserve_flat_scratch 0
		.amdhsa_float_round_mode_32 0
		.amdhsa_float_round_mode_16_64 0
		.amdhsa_float_denorm_mode_32 3
		.amdhsa_float_denorm_mode_16_64 3
		.amdhsa_dx10_clamp 1
		.amdhsa_ieee_mode 1
		.amdhsa_fp16_overflow 0
		.amdhsa_tg_split 0
		.amdhsa_exception_fp_ieee_invalid_op 0
		.amdhsa_exception_fp_denorm_src 0
		.amdhsa_exception_fp_ieee_div_zero 0
		.amdhsa_exception_fp_ieee_overflow 0
		.amdhsa_exception_fp_ieee_underflow 0
		.amdhsa_exception_fp_ieee_inexact 0
		.amdhsa_exception_int_div_zero 0
	.end_amdhsa_kernel
	.section	.text._ZN7rocprim17ROCPRIM_400000_NS6detail17trampoline_kernelINS0_14default_configENS1_35radix_sort_onesweep_config_selectorIjNS0_10empty_typeEEEZZNS1_29radix_sort_onesweep_iterationIS3_Lb0EPjS8_PS5_S9_mNS0_19identity_decomposerENS1_16block_id_wrapperIjLb0EEEEE10hipError_tT1_PNSt15iterator_traitsISE_E10value_typeET2_T3_PNSF_ISK_E10value_typeET4_T5_PSP_SQ_PNS1_23onesweep_lookback_stateEbbT6_jjT7_P12ihipStream_tbENKUlT_T0_SE_SJ_E_clIS8_S8_S9_S9_EEDaSX_SY_SE_SJ_EUlSX_E_NS1_11comp_targetILNS1_3genE0ELNS1_11target_archE4294967295ELNS1_3gpuE0ELNS1_3repE0EEENS1_47radix_sort_onesweep_sort_config_static_selectorELNS0_4arch9wavefront6targetE1EEEvSE_,"axG",@progbits,_ZN7rocprim17ROCPRIM_400000_NS6detail17trampoline_kernelINS0_14default_configENS1_35radix_sort_onesweep_config_selectorIjNS0_10empty_typeEEEZZNS1_29radix_sort_onesweep_iterationIS3_Lb0EPjS8_PS5_S9_mNS0_19identity_decomposerENS1_16block_id_wrapperIjLb0EEEEE10hipError_tT1_PNSt15iterator_traitsISE_E10value_typeET2_T3_PNSF_ISK_E10value_typeET4_T5_PSP_SQ_PNS1_23onesweep_lookback_stateEbbT6_jjT7_P12ihipStream_tbENKUlT_T0_SE_SJ_E_clIS8_S8_S9_S9_EEDaSX_SY_SE_SJ_EUlSX_E_NS1_11comp_targetILNS1_3genE0ELNS1_11target_archE4294967295ELNS1_3gpuE0ELNS1_3repE0EEENS1_47radix_sort_onesweep_sort_config_static_selectorELNS0_4arch9wavefront6targetE1EEEvSE_,comdat
.Lfunc_end769:
	.size	_ZN7rocprim17ROCPRIM_400000_NS6detail17trampoline_kernelINS0_14default_configENS1_35radix_sort_onesweep_config_selectorIjNS0_10empty_typeEEEZZNS1_29radix_sort_onesweep_iterationIS3_Lb0EPjS8_PS5_S9_mNS0_19identity_decomposerENS1_16block_id_wrapperIjLb0EEEEE10hipError_tT1_PNSt15iterator_traitsISE_E10value_typeET2_T3_PNSF_ISK_E10value_typeET4_T5_PSP_SQ_PNS1_23onesweep_lookback_stateEbbT6_jjT7_P12ihipStream_tbENKUlT_T0_SE_SJ_E_clIS8_S8_S9_S9_EEDaSX_SY_SE_SJ_EUlSX_E_NS1_11comp_targetILNS1_3genE0ELNS1_11target_archE4294967295ELNS1_3gpuE0ELNS1_3repE0EEENS1_47radix_sort_onesweep_sort_config_static_selectorELNS0_4arch9wavefront6targetE1EEEvSE_, .Lfunc_end769-_ZN7rocprim17ROCPRIM_400000_NS6detail17trampoline_kernelINS0_14default_configENS1_35radix_sort_onesweep_config_selectorIjNS0_10empty_typeEEEZZNS1_29radix_sort_onesweep_iterationIS3_Lb0EPjS8_PS5_S9_mNS0_19identity_decomposerENS1_16block_id_wrapperIjLb0EEEEE10hipError_tT1_PNSt15iterator_traitsISE_E10value_typeET2_T3_PNSF_ISK_E10value_typeET4_T5_PSP_SQ_PNS1_23onesweep_lookback_stateEbbT6_jjT7_P12ihipStream_tbENKUlT_T0_SE_SJ_E_clIS8_S8_S9_S9_EEDaSX_SY_SE_SJ_EUlSX_E_NS1_11comp_targetILNS1_3genE0ELNS1_11target_archE4294967295ELNS1_3gpuE0ELNS1_3repE0EEENS1_47radix_sort_onesweep_sort_config_static_selectorELNS0_4arch9wavefront6targetE1EEEvSE_
                                        ; -- End function
	.section	.AMDGPU.csdata,"",@progbits
; Kernel info:
; codeLenInByte = 0
; NumSgprs: 4
; NumVgprs: 0
; NumAgprs: 0
; TotalNumVgprs: 0
; ScratchSize: 0
; MemoryBound: 0
; FloatMode: 240
; IeeeMode: 1
; LDSByteSize: 0 bytes/workgroup (compile time only)
; SGPRBlocks: 0
; VGPRBlocks: 0
; NumSGPRsForWavesPerEU: 4
; NumVGPRsForWavesPerEU: 1
; AccumOffset: 4
; Occupancy: 8
; WaveLimiterHint : 0
; COMPUTE_PGM_RSRC2:SCRATCH_EN: 0
; COMPUTE_PGM_RSRC2:USER_SGPR: 6
; COMPUTE_PGM_RSRC2:TRAP_HANDLER: 0
; COMPUTE_PGM_RSRC2:TGID_X_EN: 1
; COMPUTE_PGM_RSRC2:TGID_Y_EN: 0
; COMPUTE_PGM_RSRC2:TGID_Z_EN: 0
; COMPUTE_PGM_RSRC2:TIDIG_COMP_CNT: 0
; COMPUTE_PGM_RSRC3_GFX90A:ACCUM_OFFSET: 0
; COMPUTE_PGM_RSRC3_GFX90A:TG_SPLIT: 0
	.section	.text._ZN7rocprim17ROCPRIM_400000_NS6detail17trampoline_kernelINS0_14default_configENS1_35radix_sort_onesweep_config_selectorIjNS0_10empty_typeEEEZZNS1_29radix_sort_onesweep_iterationIS3_Lb0EPjS8_PS5_S9_mNS0_19identity_decomposerENS1_16block_id_wrapperIjLb0EEEEE10hipError_tT1_PNSt15iterator_traitsISE_E10value_typeET2_T3_PNSF_ISK_E10value_typeET4_T5_PSP_SQ_PNS1_23onesweep_lookback_stateEbbT6_jjT7_P12ihipStream_tbENKUlT_T0_SE_SJ_E_clIS8_S8_S9_S9_EEDaSX_SY_SE_SJ_EUlSX_E_NS1_11comp_targetILNS1_3genE6ELNS1_11target_archE950ELNS1_3gpuE13ELNS1_3repE0EEENS1_47radix_sort_onesweep_sort_config_static_selectorELNS0_4arch9wavefront6targetE1EEEvSE_,"axG",@progbits,_ZN7rocprim17ROCPRIM_400000_NS6detail17trampoline_kernelINS0_14default_configENS1_35radix_sort_onesweep_config_selectorIjNS0_10empty_typeEEEZZNS1_29radix_sort_onesweep_iterationIS3_Lb0EPjS8_PS5_S9_mNS0_19identity_decomposerENS1_16block_id_wrapperIjLb0EEEEE10hipError_tT1_PNSt15iterator_traitsISE_E10value_typeET2_T3_PNSF_ISK_E10value_typeET4_T5_PSP_SQ_PNS1_23onesweep_lookback_stateEbbT6_jjT7_P12ihipStream_tbENKUlT_T0_SE_SJ_E_clIS8_S8_S9_S9_EEDaSX_SY_SE_SJ_EUlSX_E_NS1_11comp_targetILNS1_3genE6ELNS1_11target_archE950ELNS1_3gpuE13ELNS1_3repE0EEENS1_47radix_sort_onesweep_sort_config_static_selectorELNS0_4arch9wavefront6targetE1EEEvSE_,comdat
	.protected	_ZN7rocprim17ROCPRIM_400000_NS6detail17trampoline_kernelINS0_14default_configENS1_35radix_sort_onesweep_config_selectorIjNS0_10empty_typeEEEZZNS1_29radix_sort_onesweep_iterationIS3_Lb0EPjS8_PS5_S9_mNS0_19identity_decomposerENS1_16block_id_wrapperIjLb0EEEEE10hipError_tT1_PNSt15iterator_traitsISE_E10value_typeET2_T3_PNSF_ISK_E10value_typeET4_T5_PSP_SQ_PNS1_23onesweep_lookback_stateEbbT6_jjT7_P12ihipStream_tbENKUlT_T0_SE_SJ_E_clIS8_S8_S9_S9_EEDaSX_SY_SE_SJ_EUlSX_E_NS1_11comp_targetILNS1_3genE6ELNS1_11target_archE950ELNS1_3gpuE13ELNS1_3repE0EEENS1_47radix_sort_onesweep_sort_config_static_selectorELNS0_4arch9wavefront6targetE1EEEvSE_ ; -- Begin function _ZN7rocprim17ROCPRIM_400000_NS6detail17trampoline_kernelINS0_14default_configENS1_35radix_sort_onesweep_config_selectorIjNS0_10empty_typeEEEZZNS1_29radix_sort_onesweep_iterationIS3_Lb0EPjS8_PS5_S9_mNS0_19identity_decomposerENS1_16block_id_wrapperIjLb0EEEEE10hipError_tT1_PNSt15iterator_traitsISE_E10value_typeET2_T3_PNSF_ISK_E10value_typeET4_T5_PSP_SQ_PNS1_23onesweep_lookback_stateEbbT6_jjT7_P12ihipStream_tbENKUlT_T0_SE_SJ_E_clIS8_S8_S9_S9_EEDaSX_SY_SE_SJ_EUlSX_E_NS1_11comp_targetILNS1_3genE6ELNS1_11target_archE950ELNS1_3gpuE13ELNS1_3repE0EEENS1_47radix_sort_onesweep_sort_config_static_selectorELNS0_4arch9wavefront6targetE1EEEvSE_
	.globl	_ZN7rocprim17ROCPRIM_400000_NS6detail17trampoline_kernelINS0_14default_configENS1_35radix_sort_onesweep_config_selectorIjNS0_10empty_typeEEEZZNS1_29radix_sort_onesweep_iterationIS3_Lb0EPjS8_PS5_S9_mNS0_19identity_decomposerENS1_16block_id_wrapperIjLb0EEEEE10hipError_tT1_PNSt15iterator_traitsISE_E10value_typeET2_T3_PNSF_ISK_E10value_typeET4_T5_PSP_SQ_PNS1_23onesweep_lookback_stateEbbT6_jjT7_P12ihipStream_tbENKUlT_T0_SE_SJ_E_clIS8_S8_S9_S9_EEDaSX_SY_SE_SJ_EUlSX_E_NS1_11comp_targetILNS1_3genE6ELNS1_11target_archE950ELNS1_3gpuE13ELNS1_3repE0EEENS1_47radix_sort_onesweep_sort_config_static_selectorELNS0_4arch9wavefront6targetE1EEEvSE_
	.p2align	8
	.type	_ZN7rocprim17ROCPRIM_400000_NS6detail17trampoline_kernelINS0_14default_configENS1_35radix_sort_onesweep_config_selectorIjNS0_10empty_typeEEEZZNS1_29radix_sort_onesweep_iterationIS3_Lb0EPjS8_PS5_S9_mNS0_19identity_decomposerENS1_16block_id_wrapperIjLb0EEEEE10hipError_tT1_PNSt15iterator_traitsISE_E10value_typeET2_T3_PNSF_ISK_E10value_typeET4_T5_PSP_SQ_PNS1_23onesweep_lookback_stateEbbT6_jjT7_P12ihipStream_tbENKUlT_T0_SE_SJ_E_clIS8_S8_S9_S9_EEDaSX_SY_SE_SJ_EUlSX_E_NS1_11comp_targetILNS1_3genE6ELNS1_11target_archE950ELNS1_3gpuE13ELNS1_3repE0EEENS1_47radix_sort_onesweep_sort_config_static_selectorELNS0_4arch9wavefront6targetE1EEEvSE_,@function
_ZN7rocprim17ROCPRIM_400000_NS6detail17trampoline_kernelINS0_14default_configENS1_35radix_sort_onesweep_config_selectorIjNS0_10empty_typeEEEZZNS1_29radix_sort_onesweep_iterationIS3_Lb0EPjS8_PS5_S9_mNS0_19identity_decomposerENS1_16block_id_wrapperIjLb0EEEEE10hipError_tT1_PNSt15iterator_traitsISE_E10value_typeET2_T3_PNSF_ISK_E10value_typeET4_T5_PSP_SQ_PNS1_23onesweep_lookback_stateEbbT6_jjT7_P12ihipStream_tbENKUlT_T0_SE_SJ_E_clIS8_S8_S9_S9_EEDaSX_SY_SE_SJ_EUlSX_E_NS1_11comp_targetILNS1_3genE6ELNS1_11target_archE950ELNS1_3gpuE13ELNS1_3repE0EEENS1_47radix_sort_onesweep_sort_config_static_selectorELNS0_4arch9wavefront6targetE1EEEvSE_: ; @_ZN7rocprim17ROCPRIM_400000_NS6detail17trampoline_kernelINS0_14default_configENS1_35radix_sort_onesweep_config_selectorIjNS0_10empty_typeEEEZZNS1_29radix_sort_onesweep_iterationIS3_Lb0EPjS8_PS5_S9_mNS0_19identity_decomposerENS1_16block_id_wrapperIjLb0EEEEE10hipError_tT1_PNSt15iterator_traitsISE_E10value_typeET2_T3_PNSF_ISK_E10value_typeET4_T5_PSP_SQ_PNS1_23onesweep_lookback_stateEbbT6_jjT7_P12ihipStream_tbENKUlT_T0_SE_SJ_E_clIS8_S8_S9_S9_EEDaSX_SY_SE_SJ_EUlSX_E_NS1_11comp_targetILNS1_3genE6ELNS1_11target_archE950ELNS1_3gpuE13ELNS1_3repE0EEENS1_47radix_sort_onesweep_sort_config_static_selectorELNS0_4arch9wavefront6targetE1EEEvSE_
; %bb.0:
	.section	.rodata,"a",@progbits
	.p2align	6, 0x0
	.amdhsa_kernel _ZN7rocprim17ROCPRIM_400000_NS6detail17trampoline_kernelINS0_14default_configENS1_35radix_sort_onesweep_config_selectorIjNS0_10empty_typeEEEZZNS1_29radix_sort_onesweep_iterationIS3_Lb0EPjS8_PS5_S9_mNS0_19identity_decomposerENS1_16block_id_wrapperIjLb0EEEEE10hipError_tT1_PNSt15iterator_traitsISE_E10value_typeET2_T3_PNSF_ISK_E10value_typeET4_T5_PSP_SQ_PNS1_23onesweep_lookback_stateEbbT6_jjT7_P12ihipStream_tbENKUlT_T0_SE_SJ_E_clIS8_S8_S9_S9_EEDaSX_SY_SE_SJ_EUlSX_E_NS1_11comp_targetILNS1_3genE6ELNS1_11target_archE950ELNS1_3gpuE13ELNS1_3repE0EEENS1_47radix_sort_onesweep_sort_config_static_selectorELNS0_4arch9wavefront6targetE1EEEvSE_
		.amdhsa_group_segment_fixed_size 0
		.amdhsa_private_segment_fixed_size 0
		.amdhsa_kernarg_size 88
		.amdhsa_user_sgpr_count 6
		.amdhsa_user_sgpr_private_segment_buffer 1
		.amdhsa_user_sgpr_dispatch_ptr 0
		.amdhsa_user_sgpr_queue_ptr 0
		.amdhsa_user_sgpr_kernarg_segment_ptr 1
		.amdhsa_user_sgpr_dispatch_id 0
		.amdhsa_user_sgpr_flat_scratch_init 0
		.amdhsa_user_sgpr_kernarg_preload_length 0
		.amdhsa_user_sgpr_kernarg_preload_offset 0
		.amdhsa_user_sgpr_private_segment_size 0
		.amdhsa_uses_dynamic_stack 0
		.amdhsa_system_sgpr_private_segment_wavefront_offset 0
		.amdhsa_system_sgpr_workgroup_id_x 1
		.amdhsa_system_sgpr_workgroup_id_y 0
		.amdhsa_system_sgpr_workgroup_id_z 0
		.amdhsa_system_sgpr_workgroup_info 0
		.amdhsa_system_vgpr_workitem_id 0
		.amdhsa_next_free_vgpr 1
		.amdhsa_next_free_sgpr 0
		.amdhsa_accum_offset 4
		.amdhsa_reserve_vcc 0
		.amdhsa_reserve_flat_scratch 0
		.amdhsa_float_round_mode_32 0
		.amdhsa_float_round_mode_16_64 0
		.amdhsa_float_denorm_mode_32 3
		.amdhsa_float_denorm_mode_16_64 3
		.amdhsa_dx10_clamp 1
		.amdhsa_ieee_mode 1
		.amdhsa_fp16_overflow 0
		.amdhsa_tg_split 0
		.amdhsa_exception_fp_ieee_invalid_op 0
		.amdhsa_exception_fp_denorm_src 0
		.amdhsa_exception_fp_ieee_div_zero 0
		.amdhsa_exception_fp_ieee_overflow 0
		.amdhsa_exception_fp_ieee_underflow 0
		.amdhsa_exception_fp_ieee_inexact 0
		.amdhsa_exception_int_div_zero 0
	.end_amdhsa_kernel
	.section	.text._ZN7rocprim17ROCPRIM_400000_NS6detail17trampoline_kernelINS0_14default_configENS1_35radix_sort_onesweep_config_selectorIjNS0_10empty_typeEEEZZNS1_29radix_sort_onesweep_iterationIS3_Lb0EPjS8_PS5_S9_mNS0_19identity_decomposerENS1_16block_id_wrapperIjLb0EEEEE10hipError_tT1_PNSt15iterator_traitsISE_E10value_typeET2_T3_PNSF_ISK_E10value_typeET4_T5_PSP_SQ_PNS1_23onesweep_lookback_stateEbbT6_jjT7_P12ihipStream_tbENKUlT_T0_SE_SJ_E_clIS8_S8_S9_S9_EEDaSX_SY_SE_SJ_EUlSX_E_NS1_11comp_targetILNS1_3genE6ELNS1_11target_archE950ELNS1_3gpuE13ELNS1_3repE0EEENS1_47radix_sort_onesweep_sort_config_static_selectorELNS0_4arch9wavefront6targetE1EEEvSE_,"axG",@progbits,_ZN7rocprim17ROCPRIM_400000_NS6detail17trampoline_kernelINS0_14default_configENS1_35radix_sort_onesweep_config_selectorIjNS0_10empty_typeEEEZZNS1_29radix_sort_onesweep_iterationIS3_Lb0EPjS8_PS5_S9_mNS0_19identity_decomposerENS1_16block_id_wrapperIjLb0EEEEE10hipError_tT1_PNSt15iterator_traitsISE_E10value_typeET2_T3_PNSF_ISK_E10value_typeET4_T5_PSP_SQ_PNS1_23onesweep_lookback_stateEbbT6_jjT7_P12ihipStream_tbENKUlT_T0_SE_SJ_E_clIS8_S8_S9_S9_EEDaSX_SY_SE_SJ_EUlSX_E_NS1_11comp_targetILNS1_3genE6ELNS1_11target_archE950ELNS1_3gpuE13ELNS1_3repE0EEENS1_47radix_sort_onesweep_sort_config_static_selectorELNS0_4arch9wavefront6targetE1EEEvSE_,comdat
.Lfunc_end770:
	.size	_ZN7rocprim17ROCPRIM_400000_NS6detail17trampoline_kernelINS0_14default_configENS1_35radix_sort_onesweep_config_selectorIjNS0_10empty_typeEEEZZNS1_29radix_sort_onesweep_iterationIS3_Lb0EPjS8_PS5_S9_mNS0_19identity_decomposerENS1_16block_id_wrapperIjLb0EEEEE10hipError_tT1_PNSt15iterator_traitsISE_E10value_typeET2_T3_PNSF_ISK_E10value_typeET4_T5_PSP_SQ_PNS1_23onesweep_lookback_stateEbbT6_jjT7_P12ihipStream_tbENKUlT_T0_SE_SJ_E_clIS8_S8_S9_S9_EEDaSX_SY_SE_SJ_EUlSX_E_NS1_11comp_targetILNS1_3genE6ELNS1_11target_archE950ELNS1_3gpuE13ELNS1_3repE0EEENS1_47radix_sort_onesweep_sort_config_static_selectorELNS0_4arch9wavefront6targetE1EEEvSE_, .Lfunc_end770-_ZN7rocprim17ROCPRIM_400000_NS6detail17trampoline_kernelINS0_14default_configENS1_35radix_sort_onesweep_config_selectorIjNS0_10empty_typeEEEZZNS1_29radix_sort_onesweep_iterationIS3_Lb0EPjS8_PS5_S9_mNS0_19identity_decomposerENS1_16block_id_wrapperIjLb0EEEEE10hipError_tT1_PNSt15iterator_traitsISE_E10value_typeET2_T3_PNSF_ISK_E10value_typeET4_T5_PSP_SQ_PNS1_23onesweep_lookback_stateEbbT6_jjT7_P12ihipStream_tbENKUlT_T0_SE_SJ_E_clIS8_S8_S9_S9_EEDaSX_SY_SE_SJ_EUlSX_E_NS1_11comp_targetILNS1_3genE6ELNS1_11target_archE950ELNS1_3gpuE13ELNS1_3repE0EEENS1_47radix_sort_onesweep_sort_config_static_selectorELNS0_4arch9wavefront6targetE1EEEvSE_
                                        ; -- End function
	.section	.AMDGPU.csdata,"",@progbits
; Kernel info:
; codeLenInByte = 0
; NumSgprs: 4
; NumVgprs: 0
; NumAgprs: 0
; TotalNumVgprs: 0
; ScratchSize: 0
; MemoryBound: 0
; FloatMode: 240
; IeeeMode: 1
; LDSByteSize: 0 bytes/workgroup (compile time only)
; SGPRBlocks: 0
; VGPRBlocks: 0
; NumSGPRsForWavesPerEU: 4
; NumVGPRsForWavesPerEU: 1
; AccumOffset: 4
; Occupancy: 8
; WaveLimiterHint : 0
; COMPUTE_PGM_RSRC2:SCRATCH_EN: 0
; COMPUTE_PGM_RSRC2:USER_SGPR: 6
; COMPUTE_PGM_RSRC2:TRAP_HANDLER: 0
; COMPUTE_PGM_RSRC2:TGID_X_EN: 1
; COMPUTE_PGM_RSRC2:TGID_Y_EN: 0
; COMPUTE_PGM_RSRC2:TGID_Z_EN: 0
; COMPUTE_PGM_RSRC2:TIDIG_COMP_CNT: 0
; COMPUTE_PGM_RSRC3_GFX90A:ACCUM_OFFSET: 0
; COMPUTE_PGM_RSRC3_GFX90A:TG_SPLIT: 0
	.section	.text._ZN7rocprim17ROCPRIM_400000_NS6detail17trampoline_kernelINS0_14default_configENS1_35radix_sort_onesweep_config_selectorIjNS0_10empty_typeEEEZZNS1_29radix_sort_onesweep_iterationIS3_Lb0EPjS8_PS5_S9_mNS0_19identity_decomposerENS1_16block_id_wrapperIjLb0EEEEE10hipError_tT1_PNSt15iterator_traitsISE_E10value_typeET2_T3_PNSF_ISK_E10value_typeET4_T5_PSP_SQ_PNS1_23onesweep_lookback_stateEbbT6_jjT7_P12ihipStream_tbENKUlT_T0_SE_SJ_E_clIS8_S8_S9_S9_EEDaSX_SY_SE_SJ_EUlSX_E_NS1_11comp_targetILNS1_3genE5ELNS1_11target_archE942ELNS1_3gpuE9ELNS1_3repE0EEENS1_47radix_sort_onesweep_sort_config_static_selectorELNS0_4arch9wavefront6targetE1EEEvSE_,"axG",@progbits,_ZN7rocprim17ROCPRIM_400000_NS6detail17trampoline_kernelINS0_14default_configENS1_35radix_sort_onesweep_config_selectorIjNS0_10empty_typeEEEZZNS1_29radix_sort_onesweep_iterationIS3_Lb0EPjS8_PS5_S9_mNS0_19identity_decomposerENS1_16block_id_wrapperIjLb0EEEEE10hipError_tT1_PNSt15iterator_traitsISE_E10value_typeET2_T3_PNSF_ISK_E10value_typeET4_T5_PSP_SQ_PNS1_23onesweep_lookback_stateEbbT6_jjT7_P12ihipStream_tbENKUlT_T0_SE_SJ_E_clIS8_S8_S9_S9_EEDaSX_SY_SE_SJ_EUlSX_E_NS1_11comp_targetILNS1_3genE5ELNS1_11target_archE942ELNS1_3gpuE9ELNS1_3repE0EEENS1_47radix_sort_onesweep_sort_config_static_selectorELNS0_4arch9wavefront6targetE1EEEvSE_,comdat
	.protected	_ZN7rocprim17ROCPRIM_400000_NS6detail17trampoline_kernelINS0_14default_configENS1_35radix_sort_onesweep_config_selectorIjNS0_10empty_typeEEEZZNS1_29radix_sort_onesweep_iterationIS3_Lb0EPjS8_PS5_S9_mNS0_19identity_decomposerENS1_16block_id_wrapperIjLb0EEEEE10hipError_tT1_PNSt15iterator_traitsISE_E10value_typeET2_T3_PNSF_ISK_E10value_typeET4_T5_PSP_SQ_PNS1_23onesweep_lookback_stateEbbT6_jjT7_P12ihipStream_tbENKUlT_T0_SE_SJ_E_clIS8_S8_S9_S9_EEDaSX_SY_SE_SJ_EUlSX_E_NS1_11comp_targetILNS1_3genE5ELNS1_11target_archE942ELNS1_3gpuE9ELNS1_3repE0EEENS1_47radix_sort_onesweep_sort_config_static_selectorELNS0_4arch9wavefront6targetE1EEEvSE_ ; -- Begin function _ZN7rocprim17ROCPRIM_400000_NS6detail17trampoline_kernelINS0_14default_configENS1_35radix_sort_onesweep_config_selectorIjNS0_10empty_typeEEEZZNS1_29radix_sort_onesweep_iterationIS3_Lb0EPjS8_PS5_S9_mNS0_19identity_decomposerENS1_16block_id_wrapperIjLb0EEEEE10hipError_tT1_PNSt15iterator_traitsISE_E10value_typeET2_T3_PNSF_ISK_E10value_typeET4_T5_PSP_SQ_PNS1_23onesweep_lookback_stateEbbT6_jjT7_P12ihipStream_tbENKUlT_T0_SE_SJ_E_clIS8_S8_S9_S9_EEDaSX_SY_SE_SJ_EUlSX_E_NS1_11comp_targetILNS1_3genE5ELNS1_11target_archE942ELNS1_3gpuE9ELNS1_3repE0EEENS1_47radix_sort_onesweep_sort_config_static_selectorELNS0_4arch9wavefront6targetE1EEEvSE_
	.globl	_ZN7rocprim17ROCPRIM_400000_NS6detail17trampoline_kernelINS0_14default_configENS1_35radix_sort_onesweep_config_selectorIjNS0_10empty_typeEEEZZNS1_29radix_sort_onesweep_iterationIS3_Lb0EPjS8_PS5_S9_mNS0_19identity_decomposerENS1_16block_id_wrapperIjLb0EEEEE10hipError_tT1_PNSt15iterator_traitsISE_E10value_typeET2_T3_PNSF_ISK_E10value_typeET4_T5_PSP_SQ_PNS1_23onesweep_lookback_stateEbbT6_jjT7_P12ihipStream_tbENKUlT_T0_SE_SJ_E_clIS8_S8_S9_S9_EEDaSX_SY_SE_SJ_EUlSX_E_NS1_11comp_targetILNS1_3genE5ELNS1_11target_archE942ELNS1_3gpuE9ELNS1_3repE0EEENS1_47radix_sort_onesweep_sort_config_static_selectorELNS0_4arch9wavefront6targetE1EEEvSE_
	.p2align	8
	.type	_ZN7rocprim17ROCPRIM_400000_NS6detail17trampoline_kernelINS0_14default_configENS1_35radix_sort_onesweep_config_selectorIjNS0_10empty_typeEEEZZNS1_29radix_sort_onesweep_iterationIS3_Lb0EPjS8_PS5_S9_mNS0_19identity_decomposerENS1_16block_id_wrapperIjLb0EEEEE10hipError_tT1_PNSt15iterator_traitsISE_E10value_typeET2_T3_PNSF_ISK_E10value_typeET4_T5_PSP_SQ_PNS1_23onesweep_lookback_stateEbbT6_jjT7_P12ihipStream_tbENKUlT_T0_SE_SJ_E_clIS8_S8_S9_S9_EEDaSX_SY_SE_SJ_EUlSX_E_NS1_11comp_targetILNS1_3genE5ELNS1_11target_archE942ELNS1_3gpuE9ELNS1_3repE0EEENS1_47radix_sort_onesweep_sort_config_static_selectorELNS0_4arch9wavefront6targetE1EEEvSE_,@function
_ZN7rocprim17ROCPRIM_400000_NS6detail17trampoline_kernelINS0_14default_configENS1_35radix_sort_onesweep_config_selectorIjNS0_10empty_typeEEEZZNS1_29radix_sort_onesweep_iterationIS3_Lb0EPjS8_PS5_S9_mNS0_19identity_decomposerENS1_16block_id_wrapperIjLb0EEEEE10hipError_tT1_PNSt15iterator_traitsISE_E10value_typeET2_T3_PNSF_ISK_E10value_typeET4_T5_PSP_SQ_PNS1_23onesweep_lookback_stateEbbT6_jjT7_P12ihipStream_tbENKUlT_T0_SE_SJ_E_clIS8_S8_S9_S9_EEDaSX_SY_SE_SJ_EUlSX_E_NS1_11comp_targetILNS1_3genE5ELNS1_11target_archE942ELNS1_3gpuE9ELNS1_3repE0EEENS1_47radix_sort_onesweep_sort_config_static_selectorELNS0_4arch9wavefront6targetE1EEEvSE_: ; @_ZN7rocprim17ROCPRIM_400000_NS6detail17trampoline_kernelINS0_14default_configENS1_35radix_sort_onesweep_config_selectorIjNS0_10empty_typeEEEZZNS1_29radix_sort_onesweep_iterationIS3_Lb0EPjS8_PS5_S9_mNS0_19identity_decomposerENS1_16block_id_wrapperIjLb0EEEEE10hipError_tT1_PNSt15iterator_traitsISE_E10value_typeET2_T3_PNSF_ISK_E10value_typeET4_T5_PSP_SQ_PNS1_23onesweep_lookback_stateEbbT6_jjT7_P12ihipStream_tbENKUlT_T0_SE_SJ_E_clIS8_S8_S9_S9_EEDaSX_SY_SE_SJ_EUlSX_E_NS1_11comp_targetILNS1_3genE5ELNS1_11target_archE942ELNS1_3gpuE9ELNS1_3repE0EEENS1_47radix_sort_onesweep_sort_config_static_selectorELNS0_4arch9wavefront6targetE1EEEvSE_
; %bb.0:
	.section	.rodata,"a",@progbits
	.p2align	6, 0x0
	.amdhsa_kernel _ZN7rocprim17ROCPRIM_400000_NS6detail17trampoline_kernelINS0_14default_configENS1_35radix_sort_onesweep_config_selectorIjNS0_10empty_typeEEEZZNS1_29radix_sort_onesweep_iterationIS3_Lb0EPjS8_PS5_S9_mNS0_19identity_decomposerENS1_16block_id_wrapperIjLb0EEEEE10hipError_tT1_PNSt15iterator_traitsISE_E10value_typeET2_T3_PNSF_ISK_E10value_typeET4_T5_PSP_SQ_PNS1_23onesweep_lookback_stateEbbT6_jjT7_P12ihipStream_tbENKUlT_T0_SE_SJ_E_clIS8_S8_S9_S9_EEDaSX_SY_SE_SJ_EUlSX_E_NS1_11comp_targetILNS1_3genE5ELNS1_11target_archE942ELNS1_3gpuE9ELNS1_3repE0EEENS1_47radix_sort_onesweep_sort_config_static_selectorELNS0_4arch9wavefront6targetE1EEEvSE_
		.amdhsa_group_segment_fixed_size 0
		.amdhsa_private_segment_fixed_size 0
		.amdhsa_kernarg_size 88
		.amdhsa_user_sgpr_count 6
		.amdhsa_user_sgpr_private_segment_buffer 1
		.amdhsa_user_sgpr_dispatch_ptr 0
		.amdhsa_user_sgpr_queue_ptr 0
		.amdhsa_user_sgpr_kernarg_segment_ptr 1
		.amdhsa_user_sgpr_dispatch_id 0
		.amdhsa_user_sgpr_flat_scratch_init 0
		.amdhsa_user_sgpr_kernarg_preload_length 0
		.amdhsa_user_sgpr_kernarg_preload_offset 0
		.amdhsa_user_sgpr_private_segment_size 0
		.amdhsa_uses_dynamic_stack 0
		.amdhsa_system_sgpr_private_segment_wavefront_offset 0
		.amdhsa_system_sgpr_workgroup_id_x 1
		.amdhsa_system_sgpr_workgroup_id_y 0
		.amdhsa_system_sgpr_workgroup_id_z 0
		.amdhsa_system_sgpr_workgroup_info 0
		.amdhsa_system_vgpr_workitem_id 0
		.amdhsa_next_free_vgpr 1
		.amdhsa_next_free_sgpr 0
		.amdhsa_accum_offset 4
		.amdhsa_reserve_vcc 0
		.amdhsa_reserve_flat_scratch 0
		.amdhsa_float_round_mode_32 0
		.amdhsa_float_round_mode_16_64 0
		.amdhsa_float_denorm_mode_32 3
		.amdhsa_float_denorm_mode_16_64 3
		.amdhsa_dx10_clamp 1
		.amdhsa_ieee_mode 1
		.amdhsa_fp16_overflow 0
		.amdhsa_tg_split 0
		.amdhsa_exception_fp_ieee_invalid_op 0
		.amdhsa_exception_fp_denorm_src 0
		.amdhsa_exception_fp_ieee_div_zero 0
		.amdhsa_exception_fp_ieee_overflow 0
		.amdhsa_exception_fp_ieee_underflow 0
		.amdhsa_exception_fp_ieee_inexact 0
		.amdhsa_exception_int_div_zero 0
	.end_amdhsa_kernel
	.section	.text._ZN7rocprim17ROCPRIM_400000_NS6detail17trampoline_kernelINS0_14default_configENS1_35radix_sort_onesweep_config_selectorIjNS0_10empty_typeEEEZZNS1_29radix_sort_onesweep_iterationIS3_Lb0EPjS8_PS5_S9_mNS0_19identity_decomposerENS1_16block_id_wrapperIjLb0EEEEE10hipError_tT1_PNSt15iterator_traitsISE_E10value_typeET2_T3_PNSF_ISK_E10value_typeET4_T5_PSP_SQ_PNS1_23onesweep_lookback_stateEbbT6_jjT7_P12ihipStream_tbENKUlT_T0_SE_SJ_E_clIS8_S8_S9_S9_EEDaSX_SY_SE_SJ_EUlSX_E_NS1_11comp_targetILNS1_3genE5ELNS1_11target_archE942ELNS1_3gpuE9ELNS1_3repE0EEENS1_47radix_sort_onesweep_sort_config_static_selectorELNS0_4arch9wavefront6targetE1EEEvSE_,"axG",@progbits,_ZN7rocprim17ROCPRIM_400000_NS6detail17trampoline_kernelINS0_14default_configENS1_35radix_sort_onesweep_config_selectorIjNS0_10empty_typeEEEZZNS1_29radix_sort_onesweep_iterationIS3_Lb0EPjS8_PS5_S9_mNS0_19identity_decomposerENS1_16block_id_wrapperIjLb0EEEEE10hipError_tT1_PNSt15iterator_traitsISE_E10value_typeET2_T3_PNSF_ISK_E10value_typeET4_T5_PSP_SQ_PNS1_23onesweep_lookback_stateEbbT6_jjT7_P12ihipStream_tbENKUlT_T0_SE_SJ_E_clIS8_S8_S9_S9_EEDaSX_SY_SE_SJ_EUlSX_E_NS1_11comp_targetILNS1_3genE5ELNS1_11target_archE942ELNS1_3gpuE9ELNS1_3repE0EEENS1_47radix_sort_onesweep_sort_config_static_selectorELNS0_4arch9wavefront6targetE1EEEvSE_,comdat
.Lfunc_end771:
	.size	_ZN7rocprim17ROCPRIM_400000_NS6detail17trampoline_kernelINS0_14default_configENS1_35radix_sort_onesweep_config_selectorIjNS0_10empty_typeEEEZZNS1_29radix_sort_onesweep_iterationIS3_Lb0EPjS8_PS5_S9_mNS0_19identity_decomposerENS1_16block_id_wrapperIjLb0EEEEE10hipError_tT1_PNSt15iterator_traitsISE_E10value_typeET2_T3_PNSF_ISK_E10value_typeET4_T5_PSP_SQ_PNS1_23onesweep_lookback_stateEbbT6_jjT7_P12ihipStream_tbENKUlT_T0_SE_SJ_E_clIS8_S8_S9_S9_EEDaSX_SY_SE_SJ_EUlSX_E_NS1_11comp_targetILNS1_3genE5ELNS1_11target_archE942ELNS1_3gpuE9ELNS1_3repE0EEENS1_47radix_sort_onesweep_sort_config_static_selectorELNS0_4arch9wavefront6targetE1EEEvSE_, .Lfunc_end771-_ZN7rocprim17ROCPRIM_400000_NS6detail17trampoline_kernelINS0_14default_configENS1_35radix_sort_onesweep_config_selectorIjNS0_10empty_typeEEEZZNS1_29radix_sort_onesweep_iterationIS3_Lb0EPjS8_PS5_S9_mNS0_19identity_decomposerENS1_16block_id_wrapperIjLb0EEEEE10hipError_tT1_PNSt15iterator_traitsISE_E10value_typeET2_T3_PNSF_ISK_E10value_typeET4_T5_PSP_SQ_PNS1_23onesweep_lookback_stateEbbT6_jjT7_P12ihipStream_tbENKUlT_T0_SE_SJ_E_clIS8_S8_S9_S9_EEDaSX_SY_SE_SJ_EUlSX_E_NS1_11comp_targetILNS1_3genE5ELNS1_11target_archE942ELNS1_3gpuE9ELNS1_3repE0EEENS1_47radix_sort_onesweep_sort_config_static_selectorELNS0_4arch9wavefront6targetE1EEEvSE_
                                        ; -- End function
	.section	.AMDGPU.csdata,"",@progbits
; Kernel info:
; codeLenInByte = 0
; NumSgprs: 4
; NumVgprs: 0
; NumAgprs: 0
; TotalNumVgprs: 0
; ScratchSize: 0
; MemoryBound: 0
; FloatMode: 240
; IeeeMode: 1
; LDSByteSize: 0 bytes/workgroup (compile time only)
; SGPRBlocks: 0
; VGPRBlocks: 0
; NumSGPRsForWavesPerEU: 4
; NumVGPRsForWavesPerEU: 1
; AccumOffset: 4
; Occupancy: 8
; WaveLimiterHint : 0
; COMPUTE_PGM_RSRC2:SCRATCH_EN: 0
; COMPUTE_PGM_RSRC2:USER_SGPR: 6
; COMPUTE_PGM_RSRC2:TRAP_HANDLER: 0
; COMPUTE_PGM_RSRC2:TGID_X_EN: 1
; COMPUTE_PGM_RSRC2:TGID_Y_EN: 0
; COMPUTE_PGM_RSRC2:TGID_Z_EN: 0
; COMPUTE_PGM_RSRC2:TIDIG_COMP_CNT: 0
; COMPUTE_PGM_RSRC3_GFX90A:ACCUM_OFFSET: 0
; COMPUTE_PGM_RSRC3_GFX90A:TG_SPLIT: 0
	.section	.text._ZN7rocprim17ROCPRIM_400000_NS6detail17trampoline_kernelINS0_14default_configENS1_35radix_sort_onesweep_config_selectorIjNS0_10empty_typeEEEZZNS1_29radix_sort_onesweep_iterationIS3_Lb0EPjS8_PS5_S9_mNS0_19identity_decomposerENS1_16block_id_wrapperIjLb0EEEEE10hipError_tT1_PNSt15iterator_traitsISE_E10value_typeET2_T3_PNSF_ISK_E10value_typeET4_T5_PSP_SQ_PNS1_23onesweep_lookback_stateEbbT6_jjT7_P12ihipStream_tbENKUlT_T0_SE_SJ_E_clIS8_S8_S9_S9_EEDaSX_SY_SE_SJ_EUlSX_E_NS1_11comp_targetILNS1_3genE2ELNS1_11target_archE906ELNS1_3gpuE6ELNS1_3repE0EEENS1_47radix_sort_onesweep_sort_config_static_selectorELNS0_4arch9wavefront6targetE1EEEvSE_,"axG",@progbits,_ZN7rocprim17ROCPRIM_400000_NS6detail17trampoline_kernelINS0_14default_configENS1_35radix_sort_onesweep_config_selectorIjNS0_10empty_typeEEEZZNS1_29radix_sort_onesweep_iterationIS3_Lb0EPjS8_PS5_S9_mNS0_19identity_decomposerENS1_16block_id_wrapperIjLb0EEEEE10hipError_tT1_PNSt15iterator_traitsISE_E10value_typeET2_T3_PNSF_ISK_E10value_typeET4_T5_PSP_SQ_PNS1_23onesweep_lookback_stateEbbT6_jjT7_P12ihipStream_tbENKUlT_T0_SE_SJ_E_clIS8_S8_S9_S9_EEDaSX_SY_SE_SJ_EUlSX_E_NS1_11comp_targetILNS1_3genE2ELNS1_11target_archE906ELNS1_3gpuE6ELNS1_3repE0EEENS1_47radix_sort_onesweep_sort_config_static_selectorELNS0_4arch9wavefront6targetE1EEEvSE_,comdat
	.protected	_ZN7rocprim17ROCPRIM_400000_NS6detail17trampoline_kernelINS0_14default_configENS1_35radix_sort_onesweep_config_selectorIjNS0_10empty_typeEEEZZNS1_29radix_sort_onesweep_iterationIS3_Lb0EPjS8_PS5_S9_mNS0_19identity_decomposerENS1_16block_id_wrapperIjLb0EEEEE10hipError_tT1_PNSt15iterator_traitsISE_E10value_typeET2_T3_PNSF_ISK_E10value_typeET4_T5_PSP_SQ_PNS1_23onesweep_lookback_stateEbbT6_jjT7_P12ihipStream_tbENKUlT_T0_SE_SJ_E_clIS8_S8_S9_S9_EEDaSX_SY_SE_SJ_EUlSX_E_NS1_11comp_targetILNS1_3genE2ELNS1_11target_archE906ELNS1_3gpuE6ELNS1_3repE0EEENS1_47radix_sort_onesweep_sort_config_static_selectorELNS0_4arch9wavefront6targetE1EEEvSE_ ; -- Begin function _ZN7rocprim17ROCPRIM_400000_NS6detail17trampoline_kernelINS0_14default_configENS1_35radix_sort_onesweep_config_selectorIjNS0_10empty_typeEEEZZNS1_29radix_sort_onesweep_iterationIS3_Lb0EPjS8_PS5_S9_mNS0_19identity_decomposerENS1_16block_id_wrapperIjLb0EEEEE10hipError_tT1_PNSt15iterator_traitsISE_E10value_typeET2_T3_PNSF_ISK_E10value_typeET4_T5_PSP_SQ_PNS1_23onesweep_lookback_stateEbbT6_jjT7_P12ihipStream_tbENKUlT_T0_SE_SJ_E_clIS8_S8_S9_S9_EEDaSX_SY_SE_SJ_EUlSX_E_NS1_11comp_targetILNS1_3genE2ELNS1_11target_archE906ELNS1_3gpuE6ELNS1_3repE0EEENS1_47radix_sort_onesweep_sort_config_static_selectorELNS0_4arch9wavefront6targetE1EEEvSE_
	.globl	_ZN7rocprim17ROCPRIM_400000_NS6detail17trampoline_kernelINS0_14default_configENS1_35radix_sort_onesweep_config_selectorIjNS0_10empty_typeEEEZZNS1_29radix_sort_onesweep_iterationIS3_Lb0EPjS8_PS5_S9_mNS0_19identity_decomposerENS1_16block_id_wrapperIjLb0EEEEE10hipError_tT1_PNSt15iterator_traitsISE_E10value_typeET2_T3_PNSF_ISK_E10value_typeET4_T5_PSP_SQ_PNS1_23onesweep_lookback_stateEbbT6_jjT7_P12ihipStream_tbENKUlT_T0_SE_SJ_E_clIS8_S8_S9_S9_EEDaSX_SY_SE_SJ_EUlSX_E_NS1_11comp_targetILNS1_3genE2ELNS1_11target_archE906ELNS1_3gpuE6ELNS1_3repE0EEENS1_47radix_sort_onesweep_sort_config_static_selectorELNS0_4arch9wavefront6targetE1EEEvSE_
	.p2align	8
	.type	_ZN7rocprim17ROCPRIM_400000_NS6detail17trampoline_kernelINS0_14default_configENS1_35radix_sort_onesweep_config_selectorIjNS0_10empty_typeEEEZZNS1_29radix_sort_onesweep_iterationIS3_Lb0EPjS8_PS5_S9_mNS0_19identity_decomposerENS1_16block_id_wrapperIjLb0EEEEE10hipError_tT1_PNSt15iterator_traitsISE_E10value_typeET2_T3_PNSF_ISK_E10value_typeET4_T5_PSP_SQ_PNS1_23onesweep_lookback_stateEbbT6_jjT7_P12ihipStream_tbENKUlT_T0_SE_SJ_E_clIS8_S8_S9_S9_EEDaSX_SY_SE_SJ_EUlSX_E_NS1_11comp_targetILNS1_3genE2ELNS1_11target_archE906ELNS1_3gpuE6ELNS1_3repE0EEENS1_47radix_sort_onesweep_sort_config_static_selectorELNS0_4arch9wavefront6targetE1EEEvSE_,@function
_ZN7rocprim17ROCPRIM_400000_NS6detail17trampoline_kernelINS0_14default_configENS1_35radix_sort_onesweep_config_selectorIjNS0_10empty_typeEEEZZNS1_29radix_sort_onesweep_iterationIS3_Lb0EPjS8_PS5_S9_mNS0_19identity_decomposerENS1_16block_id_wrapperIjLb0EEEEE10hipError_tT1_PNSt15iterator_traitsISE_E10value_typeET2_T3_PNSF_ISK_E10value_typeET4_T5_PSP_SQ_PNS1_23onesweep_lookback_stateEbbT6_jjT7_P12ihipStream_tbENKUlT_T0_SE_SJ_E_clIS8_S8_S9_S9_EEDaSX_SY_SE_SJ_EUlSX_E_NS1_11comp_targetILNS1_3genE2ELNS1_11target_archE906ELNS1_3gpuE6ELNS1_3repE0EEENS1_47radix_sort_onesweep_sort_config_static_selectorELNS0_4arch9wavefront6targetE1EEEvSE_: ; @_ZN7rocprim17ROCPRIM_400000_NS6detail17trampoline_kernelINS0_14default_configENS1_35radix_sort_onesweep_config_selectorIjNS0_10empty_typeEEEZZNS1_29radix_sort_onesweep_iterationIS3_Lb0EPjS8_PS5_S9_mNS0_19identity_decomposerENS1_16block_id_wrapperIjLb0EEEEE10hipError_tT1_PNSt15iterator_traitsISE_E10value_typeET2_T3_PNSF_ISK_E10value_typeET4_T5_PSP_SQ_PNS1_23onesweep_lookback_stateEbbT6_jjT7_P12ihipStream_tbENKUlT_T0_SE_SJ_E_clIS8_S8_S9_S9_EEDaSX_SY_SE_SJ_EUlSX_E_NS1_11comp_targetILNS1_3genE2ELNS1_11target_archE906ELNS1_3gpuE6ELNS1_3repE0EEENS1_47radix_sort_onesweep_sort_config_static_selectorELNS0_4arch9wavefront6targetE1EEEvSE_
; %bb.0:
	.section	.rodata,"a",@progbits
	.p2align	6, 0x0
	.amdhsa_kernel _ZN7rocprim17ROCPRIM_400000_NS6detail17trampoline_kernelINS0_14default_configENS1_35radix_sort_onesweep_config_selectorIjNS0_10empty_typeEEEZZNS1_29radix_sort_onesweep_iterationIS3_Lb0EPjS8_PS5_S9_mNS0_19identity_decomposerENS1_16block_id_wrapperIjLb0EEEEE10hipError_tT1_PNSt15iterator_traitsISE_E10value_typeET2_T3_PNSF_ISK_E10value_typeET4_T5_PSP_SQ_PNS1_23onesweep_lookback_stateEbbT6_jjT7_P12ihipStream_tbENKUlT_T0_SE_SJ_E_clIS8_S8_S9_S9_EEDaSX_SY_SE_SJ_EUlSX_E_NS1_11comp_targetILNS1_3genE2ELNS1_11target_archE906ELNS1_3gpuE6ELNS1_3repE0EEENS1_47radix_sort_onesweep_sort_config_static_selectorELNS0_4arch9wavefront6targetE1EEEvSE_
		.amdhsa_group_segment_fixed_size 0
		.amdhsa_private_segment_fixed_size 0
		.amdhsa_kernarg_size 88
		.amdhsa_user_sgpr_count 6
		.amdhsa_user_sgpr_private_segment_buffer 1
		.amdhsa_user_sgpr_dispatch_ptr 0
		.amdhsa_user_sgpr_queue_ptr 0
		.amdhsa_user_sgpr_kernarg_segment_ptr 1
		.amdhsa_user_sgpr_dispatch_id 0
		.amdhsa_user_sgpr_flat_scratch_init 0
		.amdhsa_user_sgpr_kernarg_preload_length 0
		.amdhsa_user_sgpr_kernarg_preload_offset 0
		.amdhsa_user_sgpr_private_segment_size 0
		.amdhsa_uses_dynamic_stack 0
		.amdhsa_system_sgpr_private_segment_wavefront_offset 0
		.amdhsa_system_sgpr_workgroup_id_x 1
		.amdhsa_system_sgpr_workgroup_id_y 0
		.amdhsa_system_sgpr_workgroup_id_z 0
		.amdhsa_system_sgpr_workgroup_info 0
		.amdhsa_system_vgpr_workitem_id 0
		.amdhsa_next_free_vgpr 1
		.amdhsa_next_free_sgpr 0
		.amdhsa_accum_offset 4
		.amdhsa_reserve_vcc 0
		.amdhsa_reserve_flat_scratch 0
		.amdhsa_float_round_mode_32 0
		.amdhsa_float_round_mode_16_64 0
		.amdhsa_float_denorm_mode_32 3
		.amdhsa_float_denorm_mode_16_64 3
		.amdhsa_dx10_clamp 1
		.amdhsa_ieee_mode 1
		.amdhsa_fp16_overflow 0
		.amdhsa_tg_split 0
		.amdhsa_exception_fp_ieee_invalid_op 0
		.amdhsa_exception_fp_denorm_src 0
		.amdhsa_exception_fp_ieee_div_zero 0
		.amdhsa_exception_fp_ieee_overflow 0
		.amdhsa_exception_fp_ieee_underflow 0
		.amdhsa_exception_fp_ieee_inexact 0
		.amdhsa_exception_int_div_zero 0
	.end_amdhsa_kernel
	.section	.text._ZN7rocprim17ROCPRIM_400000_NS6detail17trampoline_kernelINS0_14default_configENS1_35radix_sort_onesweep_config_selectorIjNS0_10empty_typeEEEZZNS1_29radix_sort_onesweep_iterationIS3_Lb0EPjS8_PS5_S9_mNS0_19identity_decomposerENS1_16block_id_wrapperIjLb0EEEEE10hipError_tT1_PNSt15iterator_traitsISE_E10value_typeET2_T3_PNSF_ISK_E10value_typeET4_T5_PSP_SQ_PNS1_23onesweep_lookback_stateEbbT6_jjT7_P12ihipStream_tbENKUlT_T0_SE_SJ_E_clIS8_S8_S9_S9_EEDaSX_SY_SE_SJ_EUlSX_E_NS1_11comp_targetILNS1_3genE2ELNS1_11target_archE906ELNS1_3gpuE6ELNS1_3repE0EEENS1_47radix_sort_onesweep_sort_config_static_selectorELNS0_4arch9wavefront6targetE1EEEvSE_,"axG",@progbits,_ZN7rocprim17ROCPRIM_400000_NS6detail17trampoline_kernelINS0_14default_configENS1_35radix_sort_onesweep_config_selectorIjNS0_10empty_typeEEEZZNS1_29radix_sort_onesweep_iterationIS3_Lb0EPjS8_PS5_S9_mNS0_19identity_decomposerENS1_16block_id_wrapperIjLb0EEEEE10hipError_tT1_PNSt15iterator_traitsISE_E10value_typeET2_T3_PNSF_ISK_E10value_typeET4_T5_PSP_SQ_PNS1_23onesweep_lookback_stateEbbT6_jjT7_P12ihipStream_tbENKUlT_T0_SE_SJ_E_clIS8_S8_S9_S9_EEDaSX_SY_SE_SJ_EUlSX_E_NS1_11comp_targetILNS1_3genE2ELNS1_11target_archE906ELNS1_3gpuE6ELNS1_3repE0EEENS1_47radix_sort_onesweep_sort_config_static_selectorELNS0_4arch9wavefront6targetE1EEEvSE_,comdat
.Lfunc_end772:
	.size	_ZN7rocprim17ROCPRIM_400000_NS6detail17trampoline_kernelINS0_14default_configENS1_35radix_sort_onesweep_config_selectorIjNS0_10empty_typeEEEZZNS1_29radix_sort_onesweep_iterationIS3_Lb0EPjS8_PS5_S9_mNS0_19identity_decomposerENS1_16block_id_wrapperIjLb0EEEEE10hipError_tT1_PNSt15iterator_traitsISE_E10value_typeET2_T3_PNSF_ISK_E10value_typeET4_T5_PSP_SQ_PNS1_23onesweep_lookback_stateEbbT6_jjT7_P12ihipStream_tbENKUlT_T0_SE_SJ_E_clIS8_S8_S9_S9_EEDaSX_SY_SE_SJ_EUlSX_E_NS1_11comp_targetILNS1_3genE2ELNS1_11target_archE906ELNS1_3gpuE6ELNS1_3repE0EEENS1_47radix_sort_onesweep_sort_config_static_selectorELNS0_4arch9wavefront6targetE1EEEvSE_, .Lfunc_end772-_ZN7rocprim17ROCPRIM_400000_NS6detail17trampoline_kernelINS0_14default_configENS1_35radix_sort_onesweep_config_selectorIjNS0_10empty_typeEEEZZNS1_29radix_sort_onesweep_iterationIS3_Lb0EPjS8_PS5_S9_mNS0_19identity_decomposerENS1_16block_id_wrapperIjLb0EEEEE10hipError_tT1_PNSt15iterator_traitsISE_E10value_typeET2_T3_PNSF_ISK_E10value_typeET4_T5_PSP_SQ_PNS1_23onesweep_lookback_stateEbbT6_jjT7_P12ihipStream_tbENKUlT_T0_SE_SJ_E_clIS8_S8_S9_S9_EEDaSX_SY_SE_SJ_EUlSX_E_NS1_11comp_targetILNS1_3genE2ELNS1_11target_archE906ELNS1_3gpuE6ELNS1_3repE0EEENS1_47radix_sort_onesweep_sort_config_static_selectorELNS0_4arch9wavefront6targetE1EEEvSE_
                                        ; -- End function
	.section	.AMDGPU.csdata,"",@progbits
; Kernel info:
; codeLenInByte = 0
; NumSgprs: 4
; NumVgprs: 0
; NumAgprs: 0
; TotalNumVgprs: 0
; ScratchSize: 0
; MemoryBound: 0
; FloatMode: 240
; IeeeMode: 1
; LDSByteSize: 0 bytes/workgroup (compile time only)
; SGPRBlocks: 0
; VGPRBlocks: 0
; NumSGPRsForWavesPerEU: 4
; NumVGPRsForWavesPerEU: 1
; AccumOffset: 4
; Occupancy: 8
; WaveLimiterHint : 0
; COMPUTE_PGM_RSRC2:SCRATCH_EN: 0
; COMPUTE_PGM_RSRC2:USER_SGPR: 6
; COMPUTE_PGM_RSRC2:TRAP_HANDLER: 0
; COMPUTE_PGM_RSRC2:TGID_X_EN: 1
; COMPUTE_PGM_RSRC2:TGID_Y_EN: 0
; COMPUTE_PGM_RSRC2:TGID_Z_EN: 0
; COMPUTE_PGM_RSRC2:TIDIG_COMP_CNT: 0
; COMPUTE_PGM_RSRC3_GFX90A:ACCUM_OFFSET: 0
; COMPUTE_PGM_RSRC3_GFX90A:TG_SPLIT: 0
	.section	.text._ZN7rocprim17ROCPRIM_400000_NS6detail17trampoline_kernelINS0_14default_configENS1_35radix_sort_onesweep_config_selectorIjNS0_10empty_typeEEEZZNS1_29radix_sort_onesweep_iterationIS3_Lb0EPjS8_PS5_S9_mNS0_19identity_decomposerENS1_16block_id_wrapperIjLb0EEEEE10hipError_tT1_PNSt15iterator_traitsISE_E10value_typeET2_T3_PNSF_ISK_E10value_typeET4_T5_PSP_SQ_PNS1_23onesweep_lookback_stateEbbT6_jjT7_P12ihipStream_tbENKUlT_T0_SE_SJ_E_clIS8_S8_S9_S9_EEDaSX_SY_SE_SJ_EUlSX_E_NS1_11comp_targetILNS1_3genE4ELNS1_11target_archE910ELNS1_3gpuE8ELNS1_3repE0EEENS1_47radix_sort_onesweep_sort_config_static_selectorELNS0_4arch9wavefront6targetE1EEEvSE_,"axG",@progbits,_ZN7rocprim17ROCPRIM_400000_NS6detail17trampoline_kernelINS0_14default_configENS1_35radix_sort_onesweep_config_selectorIjNS0_10empty_typeEEEZZNS1_29radix_sort_onesweep_iterationIS3_Lb0EPjS8_PS5_S9_mNS0_19identity_decomposerENS1_16block_id_wrapperIjLb0EEEEE10hipError_tT1_PNSt15iterator_traitsISE_E10value_typeET2_T3_PNSF_ISK_E10value_typeET4_T5_PSP_SQ_PNS1_23onesweep_lookback_stateEbbT6_jjT7_P12ihipStream_tbENKUlT_T0_SE_SJ_E_clIS8_S8_S9_S9_EEDaSX_SY_SE_SJ_EUlSX_E_NS1_11comp_targetILNS1_3genE4ELNS1_11target_archE910ELNS1_3gpuE8ELNS1_3repE0EEENS1_47radix_sort_onesweep_sort_config_static_selectorELNS0_4arch9wavefront6targetE1EEEvSE_,comdat
	.protected	_ZN7rocprim17ROCPRIM_400000_NS6detail17trampoline_kernelINS0_14default_configENS1_35radix_sort_onesweep_config_selectorIjNS0_10empty_typeEEEZZNS1_29radix_sort_onesweep_iterationIS3_Lb0EPjS8_PS5_S9_mNS0_19identity_decomposerENS1_16block_id_wrapperIjLb0EEEEE10hipError_tT1_PNSt15iterator_traitsISE_E10value_typeET2_T3_PNSF_ISK_E10value_typeET4_T5_PSP_SQ_PNS1_23onesweep_lookback_stateEbbT6_jjT7_P12ihipStream_tbENKUlT_T0_SE_SJ_E_clIS8_S8_S9_S9_EEDaSX_SY_SE_SJ_EUlSX_E_NS1_11comp_targetILNS1_3genE4ELNS1_11target_archE910ELNS1_3gpuE8ELNS1_3repE0EEENS1_47radix_sort_onesweep_sort_config_static_selectorELNS0_4arch9wavefront6targetE1EEEvSE_ ; -- Begin function _ZN7rocprim17ROCPRIM_400000_NS6detail17trampoline_kernelINS0_14default_configENS1_35radix_sort_onesweep_config_selectorIjNS0_10empty_typeEEEZZNS1_29radix_sort_onesweep_iterationIS3_Lb0EPjS8_PS5_S9_mNS0_19identity_decomposerENS1_16block_id_wrapperIjLb0EEEEE10hipError_tT1_PNSt15iterator_traitsISE_E10value_typeET2_T3_PNSF_ISK_E10value_typeET4_T5_PSP_SQ_PNS1_23onesweep_lookback_stateEbbT6_jjT7_P12ihipStream_tbENKUlT_T0_SE_SJ_E_clIS8_S8_S9_S9_EEDaSX_SY_SE_SJ_EUlSX_E_NS1_11comp_targetILNS1_3genE4ELNS1_11target_archE910ELNS1_3gpuE8ELNS1_3repE0EEENS1_47radix_sort_onesweep_sort_config_static_selectorELNS0_4arch9wavefront6targetE1EEEvSE_
	.globl	_ZN7rocprim17ROCPRIM_400000_NS6detail17trampoline_kernelINS0_14default_configENS1_35radix_sort_onesweep_config_selectorIjNS0_10empty_typeEEEZZNS1_29radix_sort_onesweep_iterationIS3_Lb0EPjS8_PS5_S9_mNS0_19identity_decomposerENS1_16block_id_wrapperIjLb0EEEEE10hipError_tT1_PNSt15iterator_traitsISE_E10value_typeET2_T3_PNSF_ISK_E10value_typeET4_T5_PSP_SQ_PNS1_23onesweep_lookback_stateEbbT6_jjT7_P12ihipStream_tbENKUlT_T0_SE_SJ_E_clIS8_S8_S9_S9_EEDaSX_SY_SE_SJ_EUlSX_E_NS1_11comp_targetILNS1_3genE4ELNS1_11target_archE910ELNS1_3gpuE8ELNS1_3repE0EEENS1_47radix_sort_onesweep_sort_config_static_selectorELNS0_4arch9wavefront6targetE1EEEvSE_
	.p2align	8
	.type	_ZN7rocprim17ROCPRIM_400000_NS6detail17trampoline_kernelINS0_14default_configENS1_35radix_sort_onesweep_config_selectorIjNS0_10empty_typeEEEZZNS1_29radix_sort_onesweep_iterationIS3_Lb0EPjS8_PS5_S9_mNS0_19identity_decomposerENS1_16block_id_wrapperIjLb0EEEEE10hipError_tT1_PNSt15iterator_traitsISE_E10value_typeET2_T3_PNSF_ISK_E10value_typeET4_T5_PSP_SQ_PNS1_23onesweep_lookback_stateEbbT6_jjT7_P12ihipStream_tbENKUlT_T0_SE_SJ_E_clIS8_S8_S9_S9_EEDaSX_SY_SE_SJ_EUlSX_E_NS1_11comp_targetILNS1_3genE4ELNS1_11target_archE910ELNS1_3gpuE8ELNS1_3repE0EEENS1_47radix_sort_onesweep_sort_config_static_selectorELNS0_4arch9wavefront6targetE1EEEvSE_,@function
_ZN7rocprim17ROCPRIM_400000_NS6detail17trampoline_kernelINS0_14default_configENS1_35radix_sort_onesweep_config_selectorIjNS0_10empty_typeEEEZZNS1_29radix_sort_onesweep_iterationIS3_Lb0EPjS8_PS5_S9_mNS0_19identity_decomposerENS1_16block_id_wrapperIjLb0EEEEE10hipError_tT1_PNSt15iterator_traitsISE_E10value_typeET2_T3_PNSF_ISK_E10value_typeET4_T5_PSP_SQ_PNS1_23onesweep_lookback_stateEbbT6_jjT7_P12ihipStream_tbENKUlT_T0_SE_SJ_E_clIS8_S8_S9_S9_EEDaSX_SY_SE_SJ_EUlSX_E_NS1_11comp_targetILNS1_3genE4ELNS1_11target_archE910ELNS1_3gpuE8ELNS1_3repE0EEENS1_47radix_sort_onesweep_sort_config_static_selectorELNS0_4arch9wavefront6targetE1EEEvSE_: ; @_ZN7rocprim17ROCPRIM_400000_NS6detail17trampoline_kernelINS0_14default_configENS1_35radix_sort_onesweep_config_selectorIjNS0_10empty_typeEEEZZNS1_29radix_sort_onesweep_iterationIS3_Lb0EPjS8_PS5_S9_mNS0_19identity_decomposerENS1_16block_id_wrapperIjLb0EEEEE10hipError_tT1_PNSt15iterator_traitsISE_E10value_typeET2_T3_PNSF_ISK_E10value_typeET4_T5_PSP_SQ_PNS1_23onesweep_lookback_stateEbbT6_jjT7_P12ihipStream_tbENKUlT_T0_SE_SJ_E_clIS8_S8_S9_S9_EEDaSX_SY_SE_SJ_EUlSX_E_NS1_11comp_targetILNS1_3genE4ELNS1_11target_archE910ELNS1_3gpuE8ELNS1_3repE0EEENS1_47radix_sort_onesweep_sort_config_static_selectorELNS0_4arch9wavefront6targetE1EEEvSE_
; %bb.0:
	s_load_dwordx4 s[16:19], s[4:5], 0x44
	s_load_dwordx2 s[24:25], s[4:5], 0x38
	s_load_dwordx4 s[20:23], s[4:5], 0x0
	s_load_dwordx4 s[12:15], s[4:5], 0x28
	s_mul_i32 s26, s6, 0x3000
	s_waitcnt lgkmcnt(0)
	s_cmp_ge_u32 s6, s18
	v_mbcnt_lo_u32_b32 v12, -1, 0
	s_cbranch_scc0 .LBB773_81
; %bb.1:
	s_load_dword s7, s[4:5], 0x20
	s_mul_i32 s2, s18, 0xffffd000
	s_mov_b32 s27, 0
	v_and_b32_e32 v2, 0x3ff, v0
	s_lshl_b64 s[0:1], s[26:27], 2
	s_waitcnt lgkmcnt(0)
	s_add_i32 s7, s7, s2
	v_mbcnt_hi_u32_b32 v1, -1, v12
	s_add_u32 s0, s20, s0
	v_and_b32_e32 v3, 63, v1
	v_and_b32_e32 v4, 0x3c0, v2
	s_addc_u32 s1, s21, s1
	v_mul_u32_u24_e32 v6, 12, v4
	v_lshlrev_b32_e32 v4, 2, v3
	v_mov_b32_e32 v5, s1
	v_add_co_u32_e32 v4, vcc, s0, v4
	v_addc_co_u32_e32 v5, vcc, 0, v5, vcc
	v_lshlrev_b32_e32 v7, 2, v6
	v_add_co_u32_e32 v4, vcc, v4, v7
	v_addc_co_u32_e32 v5, vcc, 0, v5, vcc
	v_or_b32_e32 v3, v3, v6
	v_cmp_gt_u32_e32 vcc, s7, v3
	v_mov_b32_e32 v13, -1
	v_mov_b32_e32 v14, -1
	s_and_saveexec_b64 s[0:1], vcc
	s_cbranch_execz .LBB773_3
; %bb.2:
	global_load_dword v14, v[4:5], off
.LBB773_3:
	s_or_b64 exec, exec, s[0:1]
	v_or_b32_e32 v6, 64, v3
	v_cmp_gt_u32_e32 vcc, s7, v6
	v_mov_b32_e32 v15, -1
	s_and_saveexec_b64 s[0:1], vcc
	s_cbranch_execz .LBB773_5
; %bb.4:
	global_load_dword v15, v[4:5], off offset:256
.LBB773_5:
	s_or_b64 exec, exec, s[0:1]
	v_or_b32_e32 v6, 0x80, v3
	v_cmp_gt_u32_e32 vcc, s7, v6
	s_and_saveexec_b64 s[0:1], vcc
	s_cbranch_execz .LBB773_7
; %bb.6:
	global_load_dword v13, v[4:5], off offset:512
.LBB773_7:
	s_or_b64 exec, exec, s[0:1]
	v_or_b32_e32 v6, 0xc0, v3
	v_cmp_gt_u32_e32 vcc, s7, v6
	v_mov_b32_e32 v16, -1
	v_mov_b32_e32 v17, -1
	s_and_saveexec_b64 s[0:1], vcc
	s_cbranch_execz .LBB773_9
; %bb.8:
	global_load_dword v17, v[4:5], off offset:768
.LBB773_9:
	s_or_b64 exec, exec, s[0:1]
	v_add_u32_e32 v6, 0x100, v3
	v_cmp_gt_u32_e32 vcc, s7, v6
	s_and_saveexec_b64 s[0:1], vcc
	s_cbranch_execz .LBB773_11
; %bb.10:
	global_load_dword v16, v[4:5], off offset:1024
.LBB773_11:
	s_or_b64 exec, exec, s[0:1]
	v_add_u32_e32 v6, 0x140, v3
	v_cmp_gt_u32_e32 vcc, s7, v6
	v_mov_b32_e32 v18, -1
	v_mov_b32_e32 v19, -1
	s_and_saveexec_b64 s[0:1], vcc
	s_cbranch_execz .LBB773_13
; %bb.12:
	global_load_dword v19, v[4:5], off offset:1280
.LBB773_13:
	s_or_b64 exec, exec, s[0:1]
	v_add_u32_e32 v6, 0x180, v3
	v_cmp_gt_u32_e32 vcc, s7, v6
	s_and_saveexec_b64 s[0:1], vcc
	s_cbranch_execz .LBB773_15
; %bb.14:
	global_load_dword v18, v[4:5], off offset:1536
.LBB773_15:
	s_or_b64 exec, exec, s[0:1]
	v_add_u32_e32 v6, 0x1c0, v3
	v_cmp_gt_u32_e32 vcc, s7, v6
	v_mov_b32_e32 v20, -1
	v_mov_b32_e32 v21, -1
	s_and_saveexec_b64 s[0:1], vcc
	s_cbranch_execz .LBB773_17
; %bb.16:
	global_load_dword v21, v[4:5], off offset:1792
.LBB773_17:
	s_or_b64 exec, exec, s[0:1]
	v_add_u32_e32 v6, 0x200, v3
	v_cmp_gt_u32_e32 vcc, s7, v6
	s_and_saveexec_b64 s[0:1], vcc
	s_cbranch_execz .LBB773_19
; %bb.18:
	global_load_dword v20, v[4:5], off offset:2048
.LBB773_19:
	s_or_b64 exec, exec, s[0:1]
	v_add_u32_e32 v6, 0x240, v3
	v_cmp_gt_u32_e32 vcc, s7, v6
	v_mov_b32_e32 v22, -1
	v_mov_b32_e32 v23, -1
	s_and_saveexec_b64 s[0:1], vcc
	s_cbranch_execz .LBB773_21
; %bb.20:
	global_load_dword v23, v[4:5], off offset:2304
.LBB773_21:
	s_or_b64 exec, exec, s[0:1]
	v_add_u32_e32 v6, 0x280, v3
	v_cmp_gt_u32_e32 vcc, s7, v6
	s_and_saveexec_b64 s[0:1], vcc
	s_cbranch_execz .LBB773_23
; %bb.22:
	global_load_dword v22, v[4:5], off offset:2560
.LBB773_23:
	s_or_b64 exec, exec, s[0:1]
	v_add_u32_e32 v3, 0x2c0, v3
	v_cmp_gt_u32_e32 vcc, s7, v3
	v_mov_b32_e32 v24, -1
	s_and_saveexec_b64 s[0:1], vcc
	s_cbranch_execz .LBB773_25
; %bb.24:
	global_load_dword v24, v[4:5], off offset:2816
.LBB773_25:
	s_or_b64 exec, exec, s[0:1]
	s_load_dword s0, s[4:5], 0x64
	s_load_dword s27, s[4:5], 0x58
	s_add_u32 s1, s4, 0x58
	s_addc_u32 s2, s5, 0
	v_mov_b32_e32 v4, 0
	s_waitcnt lgkmcnt(0)
	s_lshr_b32 s3, s0, 16
	s_cmp_lt_u32 s6, s27
	s_cselect_b32 s0, 12, 18
	s_add_u32 s0, s1, s0
	s_addc_u32 s1, s2, 0
	global_load_ushort v6, v4, s[0:1]
	s_lshl_b32 s0, -1, s17
	s_waitcnt vmcnt(1)
	v_lshrrev_b32_e32 v8, s16, v14
	s_not_b32 s28, s0
	v_and_b32_e32 v8, s28, v8
	v_and_b32_e32 v10, 1, v8
	v_bfe_u32 v5, v0, 10, 10
	v_bfe_u32 v7, v0, 20, 10
	v_add_co_u32_e32 v11, vcc, -1, v10
	v_mad_u32_u24 v7, v7, s3, v5
	v_lshlrev_b32_e32 v5, 30, v8
	v_addc_co_u32_e64 v25, s[0:1], 0, -1, vcc
	v_cmp_ne_u32_e32 vcc, 0, v10
	v_cmp_gt_i64_e64 s[0:1], 0, v[4:5]
	v_not_b32_e32 v10, v5
	v_lshlrev_b32_e32 v5, 29, v8
	v_xor_b32_e32 v25, vcc_hi, v25
	v_xor_b32_e32 v11, vcc_lo, v11
	v_ashrrev_i32_e32 v10, 31, v10
	v_cmp_gt_i64_e32 vcc, 0, v[4:5]
	v_not_b32_e32 v26, v5
	v_lshlrev_b32_e32 v5, 28, v8
	v_and_b32_e32 v25, exec_hi, v25
	v_and_b32_e32 v11, exec_lo, v11
	v_xor_b32_e32 v27, s1, v10
	v_xor_b32_e32 v10, s0, v10
	v_ashrrev_i32_e32 v26, 31, v26
	v_cmp_gt_i64_e64 s[0:1], 0, v[4:5]
	v_not_b32_e32 v28, v5
	v_lshlrev_b32_e32 v5, 27, v8
	v_and_b32_e32 v25, v25, v27
	v_and_b32_e32 v10, v11, v10
	v_xor_b32_e32 v11, vcc_hi, v26
	v_xor_b32_e32 v26, vcc_lo, v26
	v_ashrrev_i32_e32 v27, 31, v28
	v_cmp_gt_i64_e32 vcc, 0, v[4:5]
	v_not_b32_e32 v28, v5
	v_lshlrev_b32_e32 v5, 26, v8
	v_and_b32_e32 v11, v25, v11
	v_and_b32_e32 v10, v10, v26
	v_xor_b32_e32 v25, s1, v27
	v_xor_b32_e32 v26, s0, v27
	v_ashrrev_i32_e32 v27, 31, v28
	v_cmp_gt_i64_e64 s[0:1], 0, v[4:5]
	v_not_b32_e32 v28, v5
	v_lshlrev_b32_e32 v5, 25, v8
	v_mul_u32_u24_e32 v3, 5, v2
	v_and_b32_e32 v11, v11, v25
	v_and_b32_e32 v10, v10, v26
	v_xor_b32_e32 v25, vcc_hi, v27
	v_xor_b32_e32 v26, vcc_lo, v27
	v_ashrrev_i32_e32 v27, 31, v28
	v_cmp_gt_i64_e32 vcc, 0, v[4:5]
	v_not_b32_e32 v28, v5
	v_lshlrev_b32_e32 v5, 24, v8
	v_lshlrev_b32_e32 v3, 2, v3
	v_lshl_add_u32 v9, v8, 4, v8
	v_and_b32_e32 v8, v11, v25
	v_and_b32_e32 v10, v10, v26
	v_xor_b32_e32 v11, s1, v27
	v_xor_b32_e32 v25, s0, v27
	v_ashrrev_i32_e32 v26, 31, v28
	v_cmp_gt_i64_e64 s[0:1], 0, v[4:5]
	v_not_b32_e32 v5, v5
	v_and_b32_e32 v8, v8, v11
	v_and_b32_e32 v10, v10, v25
	v_xor_b32_e32 v11, vcc_hi, v26
	v_xor_b32_e32 v25, vcc_lo, v26
	v_ashrrev_i32_e32 v5, 31, v5
	v_and_b32_e32 v26, v8, v11
	v_and_b32_e32 v10, v10, v25
	ds_write2_b32 v3, v4, v4 offset0:16 offset1:17
	ds_write2_b32 v3, v4, v4 offset0:18 offset1:19
	ds_write_b32 v3, v4 offset:80
	s_waitcnt lgkmcnt(0)
	s_barrier
	s_waitcnt lgkmcnt(0)
	; wave barrier
	s_waitcnt vmcnt(0)
	v_mad_u64_u32 v[6:7], s[2:3], v7, v6, v[2:3]
	v_lshrrev_b32_e32 v11, 6, v6
	v_xor_b32_e32 v6, s1, v5
	v_xor_b32_e32 v5, s0, v5
	v_and_b32_e32 v7, v26, v6
	v_and_b32_e32 v6, v10, v5
	v_mbcnt_lo_u32_b32 v5, v6, 0
	v_mbcnt_hi_u32_b32 v25, v7, v5
	v_cmp_eq_u32_e32 vcc, 0, v25
	v_cmp_ne_u64_e64 s[0:1], 0, v[6:7]
	v_add_lshl_u32 v8, v11, v9, 2
	s_and_b64 s[2:3], s[0:1], vcc
	s_and_saveexec_b64 s[0:1], s[2:3]
	s_cbranch_execz .LBB773_27
; %bb.26:
	v_bcnt_u32_b32 v5, v6, 0
	v_bcnt_u32_b32 v5, v7, v5
	ds_write_b32 v8, v5 offset:64
.LBB773_27:
	s_or_b64 exec, exec, s[0:1]
	v_lshrrev_b32_e32 v5, s16, v15
	v_and_b32_e32 v6, s28, v5
	v_lshl_add_u32 v5, v6, 4, v6
	v_add_lshl_u32 v9, v11, v5, 2
	v_and_b32_e32 v5, 1, v6
	v_add_co_u32_e32 v7, vcc, -1, v5
	v_addc_co_u32_e64 v10, s[0:1], 0, -1, vcc
	v_cmp_ne_u32_e32 vcc, 0, v5
	v_xor_b32_e32 v5, vcc_hi, v10
	v_and_b32_e32 v10, exec_hi, v5
	v_lshlrev_b32_e32 v5, 30, v6
	v_xor_b32_e32 v7, vcc_lo, v7
	v_cmp_gt_i64_e32 vcc, 0, v[4:5]
	v_not_b32_e32 v5, v5
	v_ashrrev_i32_e32 v5, 31, v5
	v_and_b32_e32 v7, exec_lo, v7
	v_xor_b32_e32 v27, vcc_hi, v5
	v_xor_b32_e32 v5, vcc_lo, v5
	v_and_b32_e32 v7, v7, v5
	v_lshlrev_b32_e32 v5, 29, v6
	v_cmp_gt_i64_e32 vcc, 0, v[4:5]
	v_not_b32_e32 v5, v5
	v_ashrrev_i32_e32 v5, 31, v5
	v_and_b32_e32 v10, v10, v27
	v_xor_b32_e32 v27, vcc_hi, v5
	v_xor_b32_e32 v5, vcc_lo, v5
	v_and_b32_e32 v7, v7, v5
	v_lshlrev_b32_e32 v5, 28, v6
	v_cmp_gt_i64_e32 vcc, 0, v[4:5]
	v_not_b32_e32 v5, v5
	v_ashrrev_i32_e32 v5, 31, v5
	v_and_b32_e32 v10, v10, v27
	;; [unrolled: 8-line block ×5, first 2 shown]
	v_xor_b32_e32 v27, vcc_hi, v5
	v_xor_b32_e32 v5, vcc_lo, v5
	v_and_b32_e32 v7, v7, v5
	v_lshlrev_b32_e32 v5, 24, v6
	v_cmp_gt_i64_e32 vcc, 0, v[4:5]
	v_not_b32_e32 v4, v5
	v_ashrrev_i32_e32 v4, 31, v4
	v_xor_b32_e32 v5, vcc_hi, v4
	v_xor_b32_e32 v4, vcc_lo, v4
	; wave barrier
	ds_read_b32 v26, v9 offset:64
	v_and_b32_e32 v10, v10, v27
	v_and_b32_e32 v4, v7, v4
	;; [unrolled: 1-line block ×3, first 2 shown]
	v_mbcnt_lo_u32_b32 v6, v4, 0
	v_mbcnt_hi_u32_b32 v27, v5, v6
	v_cmp_eq_u32_e32 vcc, 0, v27
	v_cmp_ne_u64_e64 s[0:1], 0, v[4:5]
	s_and_b64 s[2:3], s[0:1], vcc
	; wave barrier
	s_and_saveexec_b64 s[0:1], s[2:3]
	s_cbranch_execz .LBB773_29
; %bb.28:
	v_bcnt_u32_b32 v4, v4, 0
	v_bcnt_u32_b32 v4, v5, v4
	s_waitcnt lgkmcnt(0)
	v_add_u32_e32 v4, v26, v4
	ds_write_b32 v9, v4 offset:64
.LBB773_29:
	s_or_b64 exec, exec, s[0:1]
	v_lshrrev_b32_e32 v4, s16, v13
	v_and_b32_e32 v6, s28, v4
	v_and_b32_e32 v5, 1, v6
	v_add_co_u32_e32 v7, vcc, -1, v5
	v_addc_co_u32_e64 v29, s[0:1], 0, -1, vcc
	v_cmp_ne_u32_e32 vcc, 0, v5
	v_lshl_add_u32 v4, v6, 4, v6
	v_xor_b32_e32 v5, vcc_hi, v29
	v_add_lshl_u32 v10, v11, v4, 2
	v_mov_b32_e32 v4, 0
	v_and_b32_e32 v29, exec_hi, v5
	v_lshlrev_b32_e32 v5, 30, v6
	v_xor_b32_e32 v7, vcc_lo, v7
	v_cmp_gt_i64_e32 vcc, 0, v[4:5]
	v_not_b32_e32 v5, v5
	v_ashrrev_i32_e32 v5, 31, v5
	v_and_b32_e32 v7, exec_lo, v7
	v_xor_b32_e32 v30, vcc_hi, v5
	v_xor_b32_e32 v5, vcc_lo, v5
	v_and_b32_e32 v7, v7, v5
	v_lshlrev_b32_e32 v5, 29, v6
	v_cmp_gt_i64_e32 vcc, 0, v[4:5]
	v_not_b32_e32 v5, v5
	v_ashrrev_i32_e32 v5, 31, v5
	v_and_b32_e32 v29, v29, v30
	v_xor_b32_e32 v30, vcc_hi, v5
	v_xor_b32_e32 v5, vcc_lo, v5
	v_and_b32_e32 v7, v7, v5
	v_lshlrev_b32_e32 v5, 28, v6
	v_cmp_gt_i64_e32 vcc, 0, v[4:5]
	v_not_b32_e32 v5, v5
	v_ashrrev_i32_e32 v5, 31, v5
	v_and_b32_e32 v29, v29, v30
	v_xor_b32_e32 v30, vcc_hi, v5
	v_xor_b32_e32 v5, vcc_lo, v5
	v_and_b32_e32 v7, v7, v5
	v_lshlrev_b32_e32 v5, 27, v6
	v_cmp_gt_i64_e32 vcc, 0, v[4:5]
	v_not_b32_e32 v5, v5
	v_ashrrev_i32_e32 v5, 31, v5
	v_and_b32_e32 v29, v29, v30
	v_xor_b32_e32 v30, vcc_hi, v5
	v_xor_b32_e32 v5, vcc_lo, v5
	v_and_b32_e32 v7, v7, v5
	v_lshlrev_b32_e32 v5, 26, v6
	v_cmp_gt_i64_e32 vcc, 0, v[4:5]
	v_not_b32_e32 v5, v5
	v_ashrrev_i32_e32 v5, 31, v5
	v_and_b32_e32 v29, v29, v30
	v_xor_b32_e32 v30, vcc_hi, v5
	v_xor_b32_e32 v5, vcc_lo, v5
	v_and_b32_e32 v7, v7, v5
	v_lshlrev_b32_e32 v5, 25, v6
	v_cmp_gt_i64_e32 vcc, 0, v[4:5]
	v_not_b32_e32 v5, v5
	v_ashrrev_i32_e32 v5, 31, v5
	v_and_b32_e32 v29, v29, v30
	v_xor_b32_e32 v30, vcc_hi, v5
	v_xor_b32_e32 v5, vcc_lo, v5
	v_and_b32_e32 v29, v29, v30
	v_and_b32_e32 v30, v7, v5
	v_lshlrev_b32_e32 v5, 24, v6
	v_cmp_gt_i64_e32 vcc, 0, v[4:5]
	v_not_b32_e32 v5, v5
	v_ashrrev_i32_e32 v5, 31, v5
	v_xor_b32_e32 v6, vcc_hi, v5
	v_xor_b32_e32 v5, vcc_lo, v5
	; wave barrier
	ds_read_b32 v28, v10 offset:64
	v_and_b32_e32 v7, v29, v6
	v_and_b32_e32 v6, v30, v5
	v_mbcnt_lo_u32_b32 v5, v6, 0
	v_mbcnt_hi_u32_b32 v29, v7, v5
	v_cmp_eq_u32_e32 vcc, 0, v29
	v_cmp_ne_u64_e64 s[0:1], 0, v[6:7]
	s_and_b64 s[2:3], s[0:1], vcc
	; wave barrier
	s_and_saveexec_b64 s[0:1], s[2:3]
	s_cbranch_execz .LBB773_31
; %bb.30:
	v_bcnt_u32_b32 v5, v6, 0
	v_bcnt_u32_b32 v5, v7, v5
	s_waitcnt lgkmcnt(0)
	v_add_u32_e32 v5, v28, v5
	ds_write_b32 v10, v5 offset:64
.LBB773_31:
	s_or_b64 exec, exec, s[0:1]
	v_lshrrev_b32_e32 v5, s16, v17
	v_and_b32_e32 v6, s28, v5
	v_lshl_add_u32 v5, v6, 4, v6
	v_add_lshl_u32 v34, v11, v5, 2
	v_and_b32_e32 v5, 1, v6
	v_add_co_u32_e32 v7, vcc, -1, v5
	v_addc_co_u32_e64 v31, s[0:1], 0, -1, vcc
	v_cmp_ne_u32_e32 vcc, 0, v5
	v_xor_b32_e32 v5, vcc_hi, v31
	v_and_b32_e32 v31, exec_hi, v5
	v_lshlrev_b32_e32 v5, 30, v6
	v_xor_b32_e32 v7, vcc_lo, v7
	v_cmp_gt_i64_e32 vcc, 0, v[4:5]
	v_not_b32_e32 v5, v5
	v_ashrrev_i32_e32 v5, 31, v5
	v_and_b32_e32 v7, exec_lo, v7
	v_xor_b32_e32 v32, vcc_hi, v5
	v_xor_b32_e32 v5, vcc_lo, v5
	v_and_b32_e32 v7, v7, v5
	v_lshlrev_b32_e32 v5, 29, v6
	v_cmp_gt_i64_e32 vcc, 0, v[4:5]
	v_not_b32_e32 v5, v5
	v_ashrrev_i32_e32 v5, 31, v5
	v_and_b32_e32 v31, v31, v32
	v_xor_b32_e32 v32, vcc_hi, v5
	v_xor_b32_e32 v5, vcc_lo, v5
	v_and_b32_e32 v7, v7, v5
	v_lshlrev_b32_e32 v5, 28, v6
	v_cmp_gt_i64_e32 vcc, 0, v[4:5]
	v_not_b32_e32 v5, v5
	v_ashrrev_i32_e32 v5, 31, v5
	v_and_b32_e32 v31, v31, v32
	;; [unrolled: 8-line block ×5, first 2 shown]
	v_xor_b32_e32 v32, vcc_hi, v5
	v_xor_b32_e32 v5, vcc_lo, v5
	v_and_b32_e32 v7, v7, v5
	v_lshlrev_b32_e32 v5, 24, v6
	v_cmp_gt_i64_e32 vcc, 0, v[4:5]
	v_not_b32_e32 v4, v5
	v_ashrrev_i32_e32 v4, 31, v4
	v_xor_b32_e32 v5, vcc_hi, v4
	v_xor_b32_e32 v4, vcc_lo, v4
	; wave barrier
	ds_read_b32 v30, v34 offset:64
	v_and_b32_e32 v31, v31, v32
	v_and_b32_e32 v4, v7, v4
	;; [unrolled: 1-line block ×3, first 2 shown]
	v_mbcnt_lo_u32_b32 v6, v4, 0
	v_mbcnt_hi_u32_b32 v31, v5, v6
	v_cmp_eq_u32_e32 vcc, 0, v31
	v_cmp_ne_u64_e64 s[0:1], 0, v[4:5]
	s_and_b64 s[2:3], s[0:1], vcc
	; wave barrier
	s_and_saveexec_b64 s[0:1], s[2:3]
	s_cbranch_execz .LBB773_33
; %bb.32:
	v_bcnt_u32_b32 v4, v4, 0
	v_bcnt_u32_b32 v4, v5, v4
	s_waitcnt lgkmcnt(0)
	v_add_u32_e32 v4, v30, v4
	ds_write_b32 v34, v4 offset:64
.LBB773_33:
	s_or_b64 exec, exec, s[0:1]
	v_lshrrev_b32_e32 v4, s16, v16
	v_and_b32_e32 v6, s28, v4
	v_and_b32_e32 v5, 1, v6
	v_add_co_u32_e32 v7, vcc, -1, v5
	v_addc_co_u32_e64 v33, s[0:1], 0, -1, vcc
	v_cmp_ne_u32_e32 vcc, 0, v5
	v_lshl_add_u32 v4, v6, 4, v6
	v_xor_b32_e32 v5, vcc_hi, v33
	v_add_lshl_u32 v37, v11, v4, 2
	v_mov_b32_e32 v4, 0
	v_and_b32_e32 v33, exec_hi, v5
	v_lshlrev_b32_e32 v5, 30, v6
	v_xor_b32_e32 v7, vcc_lo, v7
	v_cmp_gt_i64_e32 vcc, 0, v[4:5]
	v_not_b32_e32 v5, v5
	v_ashrrev_i32_e32 v5, 31, v5
	v_and_b32_e32 v7, exec_lo, v7
	v_xor_b32_e32 v35, vcc_hi, v5
	v_xor_b32_e32 v5, vcc_lo, v5
	v_and_b32_e32 v7, v7, v5
	v_lshlrev_b32_e32 v5, 29, v6
	v_cmp_gt_i64_e32 vcc, 0, v[4:5]
	v_not_b32_e32 v5, v5
	v_ashrrev_i32_e32 v5, 31, v5
	v_and_b32_e32 v33, v33, v35
	v_xor_b32_e32 v35, vcc_hi, v5
	v_xor_b32_e32 v5, vcc_lo, v5
	v_and_b32_e32 v7, v7, v5
	v_lshlrev_b32_e32 v5, 28, v6
	v_cmp_gt_i64_e32 vcc, 0, v[4:5]
	v_not_b32_e32 v5, v5
	v_ashrrev_i32_e32 v5, 31, v5
	v_and_b32_e32 v33, v33, v35
	v_xor_b32_e32 v35, vcc_hi, v5
	v_xor_b32_e32 v5, vcc_lo, v5
	v_and_b32_e32 v7, v7, v5
	v_lshlrev_b32_e32 v5, 27, v6
	v_cmp_gt_i64_e32 vcc, 0, v[4:5]
	v_not_b32_e32 v5, v5
	v_ashrrev_i32_e32 v5, 31, v5
	v_and_b32_e32 v33, v33, v35
	v_xor_b32_e32 v35, vcc_hi, v5
	v_xor_b32_e32 v5, vcc_lo, v5
	v_and_b32_e32 v7, v7, v5
	v_lshlrev_b32_e32 v5, 26, v6
	v_cmp_gt_i64_e32 vcc, 0, v[4:5]
	v_not_b32_e32 v5, v5
	v_ashrrev_i32_e32 v5, 31, v5
	v_and_b32_e32 v33, v33, v35
	v_xor_b32_e32 v35, vcc_hi, v5
	v_xor_b32_e32 v5, vcc_lo, v5
	v_and_b32_e32 v7, v7, v5
	v_lshlrev_b32_e32 v5, 25, v6
	v_cmp_gt_i64_e32 vcc, 0, v[4:5]
	v_not_b32_e32 v5, v5
	v_ashrrev_i32_e32 v5, 31, v5
	v_and_b32_e32 v33, v33, v35
	v_xor_b32_e32 v35, vcc_hi, v5
	v_xor_b32_e32 v5, vcc_lo, v5
	v_and_b32_e32 v33, v33, v35
	v_and_b32_e32 v35, v7, v5
	v_lshlrev_b32_e32 v5, 24, v6
	v_cmp_gt_i64_e32 vcc, 0, v[4:5]
	v_not_b32_e32 v5, v5
	v_ashrrev_i32_e32 v5, 31, v5
	v_xor_b32_e32 v6, vcc_hi, v5
	v_xor_b32_e32 v5, vcc_lo, v5
	; wave barrier
	ds_read_b32 v32, v37 offset:64
	v_and_b32_e32 v7, v33, v6
	v_and_b32_e32 v6, v35, v5
	v_mbcnt_lo_u32_b32 v5, v6, 0
	v_mbcnt_hi_u32_b32 v33, v7, v5
	v_cmp_eq_u32_e32 vcc, 0, v33
	v_cmp_ne_u64_e64 s[0:1], 0, v[6:7]
	s_and_b64 s[2:3], s[0:1], vcc
	; wave barrier
	s_and_saveexec_b64 s[0:1], s[2:3]
	s_cbranch_execz .LBB773_35
; %bb.34:
	v_bcnt_u32_b32 v5, v6, 0
	v_bcnt_u32_b32 v5, v7, v5
	s_waitcnt lgkmcnt(0)
	v_add_u32_e32 v5, v32, v5
	ds_write_b32 v37, v5 offset:64
.LBB773_35:
	s_or_b64 exec, exec, s[0:1]
	v_lshrrev_b32_e32 v5, s16, v19
	v_and_b32_e32 v6, s28, v5
	v_lshl_add_u32 v5, v6, 4, v6
	v_add_lshl_u32 v40, v11, v5, 2
	v_and_b32_e32 v5, 1, v6
	v_add_co_u32_e32 v7, vcc, -1, v5
	v_addc_co_u32_e64 v36, s[0:1], 0, -1, vcc
	v_cmp_ne_u32_e32 vcc, 0, v5
	v_xor_b32_e32 v5, vcc_hi, v36
	v_and_b32_e32 v36, exec_hi, v5
	v_lshlrev_b32_e32 v5, 30, v6
	v_xor_b32_e32 v7, vcc_lo, v7
	v_cmp_gt_i64_e32 vcc, 0, v[4:5]
	v_not_b32_e32 v5, v5
	v_ashrrev_i32_e32 v5, 31, v5
	v_and_b32_e32 v7, exec_lo, v7
	v_xor_b32_e32 v38, vcc_hi, v5
	v_xor_b32_e32 v5, vcc_lo, v5
	v_and_b32_e32 v7, v7, v5
	v_lshlrev_b32_e32 v5, 29, v6
	v_cmp_gt_i64_e32 vcc, 0, v[4:5]
	v_not_b32_e32 v5, v5
	v_ashrrev_i32_e32 v5, 31, v5
	v_and_b32_e32 v36, v36, v38
	v_xor_b32_e32 v38, vcc_hi, v5
	v_xor_b32_e32 v5, vcc_lo, v5
	v_and_b32_e32 v7, v7, v5
	v_lshlrev_b32_e32 v5, 28, v6
	v_cmp_gt_i64_e32 vcc, 0, v[4:5]
	v_not_b32_e32 v5, v5
	v_ashrrev_i32_e32 v5, 31, v5
	v_and_b32_e32 v36, v36, v38
	;; [unrolled: 8-line block ×5, first 2 shown]
	v_xor_b32_e32 v38, vcc_hi, v5
	v_xor_b32_e32 v5, vcc_lo, v5
	v_and_b32_e32 v7, v7, v5
	v_lshlrev_b32_e32 v5, 24, v6
	v_cmp_gt_i64_e32 vcc, 0, v[4:5]
	v_not_b32_e32 v4, v5
	v_ashrrev_i32_e32 v4, 31, v4
	v_xor_b32_e32 v5, vcc_hi, v4
	v_xor_b32_e32 v4, vcc_lo, v4
	; wave barrier
	ds_read_b32 v35, v40 offset:64
	v_and_b32_e32 v36, v36, v38
	v_and_b32_e32 v4, v7, v4
	;; [unrolled: 1-line block ×3, first 2 shown]
	v_mbcnt_lo_u32_b32 v6, v4, 0
	v_mbcnt_hi_u32_b32 v36, v5, v6
	v_cmp_eq_u32_e32 vcc, 0, v36
	v_cmp_ne_u64_e64 s[0:1], 0, v[4:5]
	s_and_b64 s[2:3], s[0:1], vcc
	; wave barrier
	s_and_saveexec_b64 s[0:1], s[2:3]
	s_cbranch_execz .LBB773_37
; %bb.36:
	v_bcnt_u32_b32 v4, v4, 0
	v_bcnt_u32_b32 v4, v5, v4
	s_waitcnt lgkmcnt(0)
	v_add_u32_e32 v4, v35, v4
	ds_write_b32 v40, v4 offset:64
.LBB773_37:
	s_or_b64 exec, exec, s[0:1]
	v_lshrrev_b32_e32 v4, s16, v18
	v_and_b32_e32 v6, s28, v4
	v_and_b32_e32 v5, 1, v6
	v_add_co_u32_e32 v7, vcc, -1, v5
	v_addc_co_u32_e64 v39, s[0:1], 0, -1, vcc
	v_cmp_ne_u32_e32 vcc, 0, v5
	v_lshl_add_u32 v4, v6, 4, v6
	v_xor_b32_e32 v5, vcc_hi, v39
	v_add_lshl_u32 v43, v11, v4, 2
	v_mov_b32_e32 v4, 0
	v_and_b32_e32 v39, exec_hi, v5
	v_lshlrev_b32_e32 v5, 30, v6
	v_xor_b32_e32 v7, vcc_lo, v7
	v_cmp_gt_i64_e32 vcc, 0, v[4:5]
	v_not_b32_e32 v5, v5
	v_ashrrev_i32_e32 v5, 31, v5
	v_and_b32_e32 v7, exec_lo, v7
	v_xor_b32_e32 v41, vcc_hi, v5
	v_xor_b32_e32 v5, vcc_lo, v5
	v_and_b32_e32 v7, v7, v5
	v_lshlrev_b32_e32 v5, 29, v6
	v_cmp_gt_i64_e32 vcc, 0, v[4:5]
	v_not_b32_e32 v5, v5
	v_ashrrev_i32_e32 v5, 31, v5
	v_and_b32_e32 v39, v39, v41
	v_xor_b32_e32 v41, vcc_hi, v5
	v_xor_b32_e32 v5, vcc_lo, v5
	v_and_b32_e32 v7, v7, v5
	v_lshlrev_b32_e32 v5, 28, v6
	v_cmp_gt_i64_e32 vcc, 0, v[4:5]
	v_not_b32_e32 v5, v5
	v_ashrrev_i32_e32 v5, 31, v5
	v_and_b32_e32 v39, v39, v41
	;; [unrolled: 8-line block ×5, first 2 shown]
	v_xor_b32_e32 v41, vcc_hi, v5
	v_xor_b32_e32 v5, vcc_lo, v5
	v_and_b32_e32 v39, v39, v41
	v_and_b32_e32 v41, v7, v5
	v_lshlrev_b32_e32 v5, 24, v6
	v_cmp_gt_i64_e32 vcc, 0, v[4:5]
	v_not_b32_e32 v5, v5
	v_ashrrev_i32_e32 v5, 31, v5
	v_xor_b32_e32 v6, vcc_hi, v5
	v_xor_b32_e32 v5, vcc_lo, v5
	; wave barrier
	ds_read_b32 v38, v43 offset:64
	v_and_b32_e32 v7, v39, v6
	v_and_b32_e32 v6, v41, v5
	v_mbcnt_lo_u32_b32 v5, v6, 0
	v_mbcnt_hi_u32_b32 v39, v7, v5
	v_cmp_eq_u32_e32 vcc, 0, v39
	v_cmp_ne_u64_e64 s[0:1], 0, v[6:7]
	s_and_b64 s[2:3], s[0:1], vcc
	; wave barrier
	s_and_saveexec_b64 s[0:1], s[2:3]
	s_cbranch_execz .LBB773_39
; %bb.38:
	v_bcnt_u32_b32 v5, v6, 0
	v_bcnt_u32_b32 v5, v7, v5
	s_waitcnt lgkmcnt(0)
	v_add_u32_e32 v5, v38, v5
	ds_write_b32 v43, v5 offset:64
.LBB773_39:
	s_or_b64 exec, exec, s[0:1]
	v_lshrrev_b32_e32 v5, s16, v21
	v_and_b32_e32 v6, s28, v5
	v_lshl_add_u32 v5, v6, 4, v6
	v_add_lshl_u32 v46, v11, v5, 2
	v_and_b32_e32 v5, 1, v6
	v_add_co_u32_e32 v7, vcc, -1, v5
	v_addc_co_u32_e64 v42, s[0:1], 0, -1, vcc
	v_cmp_ne_u32_e32 vcc, 0, v5
	v_xor_b32_e32 v5, vcc_hi, v42
	v_and_b32_e32 v42, exec_hi, v5
	v_lshlrev_b32_e32 v5, 30, v6
	v_xor_b32_e32 v7, vcc_lo, v7
	v_cmp_gt_i64_e32 vcc, 0, v[4:5]
	v_not_b32_e32 v5, v5
	v_ashrrev_i32_e32 v5, 31, v5
	v_and_b32_e32 v7, exec_lo, v7
	v_xor_b32_e32 v44, vcc_hi, v5
	v_xor_b32_e32 v5, vcc_lo, v5
	v_and_b32_e32 v7, v7, v5
	v_lshlrev_b32_e32 v5, 29, v6
	v_cmp_gt_i64_e32 vcc, 0, v[4:5]
	v_not_b32_e32 v5, v5
	v_ashrrev_i32_e32 v5, 31, v5
	v_and_b32_e32 v42, v42, v44
	v_xor_b32_e32 v44, vcc_hi, v5
	v_xor_b32_e32 v5, vcc_lo, v5
	v_and_b32_e32 v7, v7, v5
	v_lshlrev_b32_e32 v5, 28, v6
	v_cmp_gt_i64_e32 vcc, 0, v[4:5]
	v_not_b32_e32 v5, v5
	v_ashrrev_i32_e32 v5, 31, v5
	v_and_b32_e32 v42, v42, v44
	;; [unrolled: 8-line block ×5, first 2 shown]
	v_xor_b32_e32 v44, vcc_hi, v5
	v_xor_b32_e32 v5, vcc_lo, v5
	v_and_b32_e32 v7, v7, v5
	v_lshlrev_b32_e32 v5, 24, v6
	v_cmp_gt_i64_e32 vcc, 0, v[4:5]
	v_not_b32_e32 v4, v5
	v_ashrrev_i32_e32 v4, 31, v4
	v_xor_b32_e32 v5, vcc_hi, v4
	v_xor_b32_e32 v4, vcc_lo, v4
	; wave barrier
	ds_read_b32 v41, v46 offset:64
	v_and_b32_e32 v42, v42, v44
	v_and_b32_e32 v4, v7, v4
	;; [unrolled: 1-line block ×3, first 2 shown]
	v_mbcnt_lo_u32_b32 v6, v4, 0
	v_mbcnt_hi_u32_b32 v42, v5, v6
	v_cmp_eq_u32_e32 vcc, 0, v42
	v_cmp_ne_u64_e64 s[0:1], 0, v[4:5]
	s_and_b64 s[2:3], s[0:1], vcc
	; wave barrier
	s_and_saveexec_b64 s[0:1], s[2:3]
	s_cbranch_execz .LBB773_41
; %bb.40:
	v_bcnt_u32_b32 v4, v4, 0
	v_bcnt_u32_b32 v4, v5, v4
	s_waitcnt lgkmcnt(0)
	v_add_u32_e32 v4, v41, v4
	ds_write_b32 v46, v4 offset:64
.LBB773_41:
	s_or_b64 exec, exec, s[0:1]
	v_lshrrev_b32_e32 v4, s16, v20
	v_and_b32_e32 v6, s28, v4
	v_and_b32_e32 v5, 1, v6
	v_add_co_u32_e32 v7, vcc, -1, v5
	v_addc_co_u32_e64 v45, s[0:1], 0, -1, vcc
	v_cmp_ne_u32_e32 vcc, 0, v5
	v_lshl_add_u32 v4, v6, 4, v6
	v_xor_b32_e32 v5, vcc_hi, v45
	v_add_lshl_u32 v49, v11, v4, 2
	v_mov_b32_e32 v4, 0
	v_and_b32_e32 v45, exec_hi, v5
	v_lshlrev_b32_e32 v5, 30, v6
	v_xor_b32_e32 v7, vcc_lo, v7
	v_cmp_gt_i64_e32 vcc, 0, v[4:5]
	v_not_b32_e32 v5, v5
	v_ashrrev_i32_e32 v5, 31, v5
	v_and_b32_e32 v7, exec_lo, v7
	v_xor_b32_e32 v47, vcc_hi, v5
	v_xor_b32_e32 v5, vcc_lo, v5
	v_and_b32_e32 v7, v7, v5
	v_lshlrev_b32_e32 v5, 29, v6
	v_cmp_gt_i64_e32 vcc, 0, v[4:5]
	v_not_b32_e32 v5, v5
	v_ashrrev_i32_e32 v5, 31, v5
	v_and_b32_e32 v45, v45, v47
	v_xor_b32_e32 v47, vcc_hi, v5
	v_xor_b32_e32 v5, vcc_lo, v5
	v_and_b32_e32 v7, v7, v5
	v_lshlrev_b32_e32 v5, 28, v6
	v_cmp_gt_i64_e32 vcc, 0, v[4:5]
	v_not_b32_e32 v5, v5
	v_ashrrev_i32_e32 v5, 31, v5
	v_and_b32_e32 v45, v45, v47
	;; [unrolled: 8-line block ×5, first 2 shown]
	v_xor_b32_e32 v47, vcc_hi, v5
	v_xor_b32_e32 v5, vcc_lo, v5
	v_and_b32_e32 v45, v45, v47
	v_and_b32_e32 v47, v7, v5
	v_lshlrev_b32_e32 v5, 24, v6
	v_cmp_gt_i64_e32 vcc, 0, v[4:5]
	v_not_b32_e32 v5, v5
	v_ashrrev_i32_e32 v5, 31, v5
	v_xor_b32_e32 v6, vcc_hi, v5
	v_xor_b32_e32 v5, vcc_lo, v5
	; wave barrier
	ds_read_b32 v44, v49 offset:64
	v_and_b32_e32 v7, v45, v6
	v_and_b32_e32 v6, v47, v5
	v_mbcnt_lo_u32_b32 v5, v6, 0
	v_mbcnt_hi_u32_b32 v45, v7, v5
	v_cmp_eq_u32_e32 vcc, 0, v45
	v_cmp_ne_u64_e64 s[0:1], 0, v[6:7]
	s_and_b64 s[2:3], s[0:1], vcc
	; wave barrier
	s_and_saveexec_b64 s[0:1], s[2:3]
	s_cbranch_execz .LBB773_43
; %bb.42:
	v_bcnt_u32_b32 v5, v6, 0
	v_bcnt_u32_b32 v5, v7, v5
	s_waitcnt lgkmcnt(0)
	v_add_u32_e32 v5, v44, v5
	ds_write_b32 v49, v5 offset:64
.LBB773_43:
	s_or_b64 exec, exec, s[0:1]
	v_lshrrev_b32_e32 v5, s16, v23
	v_and_b32_e32 v6, s28, v5
	v_lshl_add_u32 v5, v6, 4, v6
	v_add_lshl_u32 v53, v11, v5, 2
	v_and_b32_e32 v5, 1, v6
	v_add_co_u32_e32 v7, vcc, -1, v5
	v_addc_co_u32_e64 v48, s[0:1], 0, -1, vcc
	v_cmp_ne_u32_e32 vcc, 0, v5
	v_xor_b32_e32 v5, vcc_hi, v48
	v_and_b32_e32 v48, exec_hi, v5
	v_lshlrev_b32_e32 v5, 30, v6
	v_xor_b32_e32 v7, vcc_lo, v7
	v_cmp_gt_i64_e32 vcc, 0, v[4:5]
	v_not_b32_e32 v5, v5
	v_ashrrev_i32_e32 v5, 31, v5
	v_and_b32_e32 v7, exec_lo, v7
	v_xor_b32_e32 v50, vcc_hi, v5
	v_xor_b32_e32 v5, vcc_lo, v5
	v_and_b32_e32 v7, v7, v5
	v_lshlrev_b32_e32 v5, 29, v6
	v_cmp_gt_i64_e32 vcc, 0, v[4:5]
	v_not_b32_e32 v5, v5
	v_ashrrev_i32_e32 v5, 31, v5
	v_and_b32_e32 v48, v48, v50
	v_xor_b32_e32 v50, vcc_hi, v5
	v_xor_b32_e32 v5, vcc_lo, v5
	v_and_b32_e32 v7, v7, v5
	v_lshlrev_b32_e32 v5, 28, v6
	v_cmp_gt_i64_e32 vcc, 0, v[4:5]
	v_not_b32_e32 v5, v5
	v_ashrrev_i32_e32 v5, 31, v5
	v_and_b32_e32 v48, v48, v50
	;; [unrolled: 8-line block ×5, first 2 shown]
	v_xor_b32_e32 v50, vcc_hi, v5
	v_xor_b32_e32 v5, vcc_lo, v5
	v_and_b32_e32 v7, v7, v5
	v_lshlrev_b32_e32 v5, 24, v6
	v_cmp_gt_i64_e32 vcc, 0, v[4:5]
	v_not_b32_e32 v4, v5
	v_ashrrev_i32_e32 v4, 31, v4
	v_xor_b32_e32 v5, vcc_hi, v4
	v_xor_b32_e32 v4, vcc_lo, v4
	; wave barrier
	ds_read_b32 v47, v53 offset:64
	v_and_b32_e32 v48, v48, v50
	v_and_b32_e32 v4, v7, v4
	;; [unrolled: 1-line block ×3, first 2 shown]
	v_mbcnt_lo_u32_b32 v6, v4, 0
	v_mbcnt_hi_u32_b32 v48, v5, v6
	v_cmp_eq_u32_e32 vcc, 0, v48
	v_cmp_ne_u64_e64 s[0:1], 0, v[4:5]
	s_and_b64 s[2:3], s[0:1], vcc
	; wave barrier
	s_and_saveexec_b64 s[0:1], s[2:3]
	s_cbranch_execz .LBB773_45
; %bb.44:
	v_bcnt_u32_b32 v4, v4, 0
	v_bcnt_u32_b32 v4, v5, v4
	s_waitcnt lgkmcnt(0)
	v_add_u32_e32 v4, v47, v4
	ds_write_b32 v53, v4 offset:64
.LBB773_45:
	s_or_b64 exec, exec, s[0:1]
	v_lshrrev_b32_e32 v4, s16, v22
	v_and_b32_e32 v6, s28, v4
	v_and_b32_e32 v5, 1, v6
	v_add_co_u32_e32 v7, vcc, -1, v5
	v_addc_co_u32_e64 v51, s[0:1], 0, -1, vcc
	v_cmp_ne_u32_e32 vcc, 0, v5
	v_lshl_add_u32 v4, v6, 4, v6
	v_xor_b32_e32 v5, vcc_hi, v51
	v_add_lshl_u32 v56, v11, v4, 2
	v_mov_b32_e32 v4, 0
	v_and_b32_e32 v51, exec_hi, v5
	v_lshlrev_b32_e32 v5, 30, v6
	v_xor_b32_e32 v7, vcc_lo, v7
	v_cmp_gt_i64_e32 vcc, 0, v[4:5]
	v_not_b32_e32 v5, v5
	v_ashrrev_i32_e32 v5, 31, v5
	v_and_b32_e32 v7, exec_lo, v7
	v_xor_b32_e32 v52, vcc_hi, v5
	v_xor_b32_e32 v5, vcc_lo, v5
	v_and_b32_e32 v7, v7, v5
	v_lshlrev_b32_e32 v5, 29, v6
	v_cmp_gt_i64_e32 vcc, 0, v[4:5]
	v_not_b32_e32 v5, v5
	v_ashrrev_i32_e32 v5, 31, v5
	v_and_b32_e32 v51, v51, v52
	v_xor_b32_e32 v52, vcc_hi, v5
	v_xor_b32_e32 v5, vcc_lo, v5
	v_and_b32_e32 v7, v7, v5
	v_lshlrev_b32_e32 v5, 28, v6
	v_cmp_gt_i64_e32 vcc, 0, v[4:5]
	v_not_b32_e32 v5, v5
	v_ashrrev_i32_e32 v5, 31, v5
	v_and_b32_e32 v51, v51, v52
	;; [unrolled: 8-line block ×5, first 2 shown]
	v_xor_b32_e32 v52, vcc_hi, v5
	v_xor_b32_e32 v5, vcc_lo, v5
	v_and_b32_e32 v51, v51, v52
	v_and_b32_e32 v52, v7, v5
	v_lshlrev_b32_e32 v5, 24, v6
	v_cmp_gt_i64_e32 vcc, 0, v[4:5]
	v_not_b32_e32 v5, v5
	v_ashrrev_i32_e32 v5, 31, v5
	v_xor_b32_e32 v6, vcc_hi, v5
	v_xor_b32_e32 v5, vcc_lo, v5
	; wave barrier
	ds_read_b32 v50, v56 offset:64
	v_and_b32_e32 v7, v51, v6
	v_and_b32_e32 v6, v52, v5
	v_mbcnt_lo_u32_b32 v5, v6, 0
	v_mbcnt_hi_u32_b32 v52, v7, v5
	v_cmp_eq_u32_e32 vcc, 0, v52
	v_cmp_ne_u64_e64 s[0:1], 0, v[6:7]
	s_and_b64 s[2:3], s[0:1], vcc
	; wave barrier
	s_and_saveexec_b64 s[0:1], s[2:3]
	s_cbranch_execz .LBB773_47
; %bb.46:
	v_bcnt_u32_b32 v5, v6, 0
	v_bcnt_u32_b32 v5, v7, v5
	s_waitcnt lgkmcnt(0)
	v_add_u32_e32 v5, v50, v5
	ds_write_b32 v56, v5 offset:64
.LBB773_47:
	s_or_b64 exec, exec, s[0:1]
	v_lshrrev_b32_e32 v5, s16, v24
	v_and_b32_e32 v6, s28, v5
	v_lshl_add_u32 v5, v6, 4, v6
	v_add_lshl_u32 v11, v11, v5, 2
	v_and_b32_e32 v5, 1, v6
	v_add_co_u32_e32 v7, vcc, -1, v5
	v_addc_co_u32_e64 v51, s[0:1], 0, -1, vcc
	v_cmp_ne_u32_e32 vcc, 0, v5
	v_xor_b32_e32 v5, vcc_hi, v51
	v_and_b32_e32 v51, exec_hi, v5
	v_lshlrev_b32_e32 v5, 30, v6
	v_xor_b32_e32 v7, vcc_lo, v7
	v_cmp_gt_i64_e32 vcc, 0, v[4:5]
	v_not_b32_e32 v5, v5
	v_ashrrev_i32_e32 v5, 31, v5
	v_and_b32_e32 v7, exec_lo, v7
	v_xor_b32_e32 v55, vcc_hi, v5
	v_xor_b32_e32 v5, vcc_lo, v5
	v_and_b32_e32 v7, v7, v5
	v_lshlrev_b32_e32 v5, 29, v6
	v_cmp_gt_i64_e32 vcc, 0, v[4:5]
	v_not_b32_e32 v5, v5
	v_ashrrev_i32_e32 v5, 31, v5
	v_and_b32_e32 v51, v51, v55
	v_xor_b32_e32 v55, vcc_hi, v5
	v_xor_b32_e32 v5, vcc_lo, v5
	v_and_b32_e32 v7, v7, v5
	v_lshlrev_b32_e32 v5, 28, v6
	v_cmp_gt_i64_e32 vcc, 0, v[4:5]
	v_not_b32_e32 v5, v5
	v_ashrrev_i32_e32 v5, 31, v5
	v_and_b32_e32 v51, v51, v55
	;; [unrolled: 8-line block ×5, first 2 shown]
	v_xor_b32_e32 v55, vcc_hi, v5
	v_xor_b32_e32 v5, vcc_lo, v5
	v_and_b32_e32 v7, v7, v5
	v_lshlrev_b32_e32 v5, 24, v6
	v_cmp_gt_i64_e32 vcc, 0, v[4:5]
	v_not_b32_e32 v4, v5
	v_ashrrev_i32_e32 v4, 31, v4
	v_xor_b32_e32 v5, vcc_hi, v4
	v_xor_b32_e32 v4, vcc_lo, v4
	; wave barrier
	ds_read_b32 v54, v11 offset:64
	v_and_b32_e32 v51, v51, v55
	v_and_b32_e32 v4, v7, v4
	;; [unrolled: 1-line block ×3, first 2 shown]
	v_mbcnt_lo_u32_b32 v6, v4, 0
	v_mbcnt_hi_u32_b32 v55, v5, v6
	v_cmp_eq_u32_e32 vcc, 0, v55
	v_cmp_ne_u64_e64 s[0:1], 0, v[4:5]
	v_add_u32_e32 v57, 64, v3
	s_and_b64 s[2:3], s[0:1], vcc
	; wave barrier
	s_and_saveexec_b64 s[0:1], s[2:3]
	s_cbranch_execz .LBB773_49
; %bb.48:
	v_bcnt_u32_b32 v4, v4, 0
	v_bcnt_u32_b32 v4, v5, v4
	s_waitcnt lgkmcnt(0)
	v_add_u32_e32 v4, v54, v4
	ds_write_b32 v11, v4 offset:64
.LBB773_49:
	s_or_b64 exec, exec, s[0:1]
	; wave barrier
	s_waitcnt lgkmcnt(0)
	s_barrier
	ds_read2_b32 v[6:7], v3 offset0:16 offset1:17
	ds_read2_b32 v[4:5], v57 offset0:2 offset1:3
	ds_read_b32 v51, v57 offset:16
	v_cmp_lt_u32_e64 s[10:11], 31, v1
	s_waitcnt lgkmcnt(1)
	v_add3_u32 v58, v7, v6, v4
	s_waitcnt lgkmcnt(0)
	v_add3_u32 v51, v58, v5, v51
	v_and_b32_e32 v58, 15, v1
	v_cmp_eq_u32_e32 vcc, 0, v58
	v_mov_b32_dpp v59, v51 row_shr:1 row_mask:0xf bank_mask:0xf
	v_cndmask_b32_e64 v59, v59, 0, vcc
	v_add_u32_e32 v51, v59, v51
	v_cmp_lt_u32_e64 s[0:1], 1, v58
	v_cmp_lt_u32_e64 s[2:3], 3, v58
	v_mov_b32_dpp v59, v51 row_shr:2 row_mask:0xf bank_mask:0xf
	v_cndmask_b32_e64 v59, 0, v59, s[0:1]
	v_add_u32_e32 v51, v51, v59
	v_cmp_lt_u32_e64 s[8:9], 7, v58
	s_nop 0
	v_mov_b32_dpp v59, v51 row_shr:4 row_mask:0xf bank_mask:0xf
	v_cndmask_b32_e64 v59, 0, v59, s[2:3]
	v_add_u32_e32 v51, v51, v59
	s_nop 1
	v_mov_b32_dpp v59, v51 row_shr:8 row_mask:0xf bank_mask:0xf
	v_cndmask_b32_e64 v58, 0, v59, s[8:9]
	v_add_u32_e32 v51, v51, v58
	v_bfe_i32 v59, v1, 4, 1
	s_nop 0
	v_mov_b32_dpp v58, v51 row_bcast:15 row_mask:0xf bank_mask:0xf
	v_and_b32_e32 v58, v59, v58
	v_add_u32_e32 v51, v51, v58
	v_lshrrev_b32_e32 v59, 6, v2
	s_nop 0
	v_mov_b32_dpp v58, v51 row_bcast:31 row_mask:0xf bank_mask:0xf
	v_cndmask_b32_e64 v58, 0, v58, s[10:11]
	v_add_u32_e32 v58, v51, v58
	v_and_b32_e32 v51, 63, v2
	v_cmp_eq_u32_e64 s[10:11], 63, v51
	s_and_saveexec_b64 s[18:19], s[10:11]
	s_cbranch_execz .LBB773_51
; %bb.50:
	v_lshlrev_b32_e32 v51, 2, v59
	ds_write_b32 v51, v58
.LBB773_51:
	s_or_b64 exec, exec, s[18:19]
	v_cmp_gt_u32_e64 s[10:11], 16, v2
	v_lshlrev_b32_e32 v51, 2, v2
	s_waitcnt lgkmcnt(0)
	s_barrier
	s_and_saveexec_b64 s[18:19], s[10:11]
	s_cbranch_execz .LBB773_53
; %bb.52:
	ds_read_b32 v60, v51
	s_waitcnt lgkmcnt(0)
	s_nop 0
	v_mov_b32_dpp v61, v60 row_shr:1 row_mask:0xf bank_mask:0xf
	v_cndmask_b32_e64 v61, v61, 0, vcc
	v_add_u32_e32 v60, v61, v60
	s_nop 1
	v_mov_b32_dpp v61, v60 row_shr:2 row_mask:0xf bank_mask:0xf
	v_cndmask_b32_e64 v61, 0, v61, s[0:1]
	v_add_u32_e32 v60, v60, v61
	s_nop 1
	v_mov_b32_dpp v61, v60 row_shr:4 row_mask:0xf bank_mask:0xf
	v_cndmask_b32_e64 v61, 0, v61, s[2:3]
	;; [unrolled: 4-line block ×3, first 2 shown]
	v_add_u32_e32 v60, v60, v61
	ds_write_b32 v51, v60
.LBB773_53:
	s_or_b64 exec, exec, s[18:19]
	v_cmp_lt_u32_e32 vcc, 63, v2
	v_mov_b32_e32 v60, 0
	s_waitcnt lgkmcnt(0)
	s_barrier
	s_and_saveexec_b64 s[0:1], vcc
	s_cbranch_execz .LBB773_55
; %bb.54:
	v_lshl_add_u32 v59, v59, 2, -4
	ds_read_b32 v60, v59
.LBB773_55:
	s_or_b64 exec, exec, s[0:1]
	v_add_u32_e32 v59, -1, v1
	v_and_b32_e32 v61, 64, v1
	v_cmp_lt_i32_e32 vcc, v59, v61
	v_cndmask_b32_e32 v59, v59, v1, vcc
	s_waitcnt lgkmcnt(0)
	v_add_u32_e32 v58, v60, v58
	v_lshlrev_b32_e32 v59, 2, v59
	ds_bpermute_b32 v58, v59, v58
	v_cmp_eq_u32_e32 vcc, 0, v1
	s_movk_i32 s2, 0xff
	s_movk_i32 s0, 0x100
	v_cmp_gt_u32_e64 s[0:1], s0, v2
	s_waitcnt lgkmcnt(0)
	v_cndmask_b32_e32 v1, v58, v60, vcc
	v_cmp_ne_u32_e32 vcc, 0, v2
	v_cndmask_b32_e32 v1, 0, v1, vcc
	v_add_u32_e32 v6, v1, v6
	v_add_u32_e32 v7, v6, v7
	;; [unrolled: 1-line block ×4, first 2 shown]
	ds_write2_b32 v3, v1, v6 offset0:16 offset1:17
	ds_write2_b32 v57, v7, v4 offset0:2 offset1:3
	ds_write_b32 v57, v5 offset:16
	s_waitcnt lgkmcnt(0)
	s_barrier
	ds_read_b32 v59, v8 offset:64
	ds_read_b32 v1, v9 offset:64
	ds_read_b32 v57, v10 offset:64
	ds_read_b32 v34, v34 offset:64
	ds_read_b32 v37, v37 offset:64
	ds_read_b32 v58, v40 offset:64
	ds_read_b32 v43, v43 offset:64
	ds_read_b32 v46, v46 offset:64
	ds_read_b32 v49, v49 offset:64
	ds_read_b32 v53, v53 offset:64
	ds_read_b32 v56, v56 offset:64
	ds_read_b32 v60, v11 offset:64
	v_cmp_lt_u32_e32 vcc, s2, v2
	v_pk_mov_b32 v[4:5], 0, 0
                                        ; implicit-def: $vgpr40
	s_and_saveexec_b64 s[8:9], s[0:1]
	s_cbranch_execz .LBB773_59
; %bb.56:
	v_mul_u32_u24_e32 v3, 17, v2
	v_lshlrev_b32_e32 v5, 2, v3
	ds_read_b32 v4, v5 offset:64
	v_cmp_ne_u32_e64 s[2:3], s2, v2
	v_mov_b32_e32 v3, 0x3000
	s_and_saveexec_b64 s[10:11], s[2:3]
	s_cbranch_execz .LBB773_58
; %bb.57:
	ds_read_b32 v3, v5 offset:132
.LBB773_58:
	s_or_b64 exec, exec, s[10:11]
	s_waitcnt lgkmcnt(0)
	v_sub_u32_e32 v40, v3, v4
	v_mov_b32_e32 v5, 0
.LBB773_59:
	s_or_b64 exec, exec, s[8:9]
	s_waitcnt lgkmcnt(0)
	s_barrier
	s_and_saveexec_b64 s[2:3], vcc
	s_xor_b64 s[2:3], exec, s[2:3]
; %bb.60:
	v_mov_b32_e32 v3, 0
; %bb.61:
	s_andn2_saveexec_b64 s[2:3], s[2:3]
	s_cbranch_execz .LBB773_71
; %bb.62:
	v_lshl_or_b32 v6, s6, 8, v2
	v_mov_b32_e32 v7, 0
	v_lshlrev_b64 v[8:9], 2, v[6:7]
	v_mov_b32_e32 v3, s25
	v_add_co_u32_e32 v8, vcc, s24, v8
	v_addc_co_u32_e32 v9, vcc, v3, v9, vcc
	v_or_b32_e32 v6, 2.0, v40
	s_mov_b64 s[8:9], 0
	s_brev_b32 s29, 1
	s_mov_b32 s30, s6
	v_mov_b32_e32 v61, 0
	global_store_dword v[8:9], v6, off
                                        ; implicit-def: $sgpr10_sgpr11
	s_branch .LBB773_64
.LBB773_63:                             ;   in Loop: Header=BB773_64 Depth=1
	s_or_b64 exec, exec, s[10:11]
	v_and_b32_e32 v10, 0x3fffffff, v62
	v_add_u32_e32 v61, v10, v61
	v_cmp_eq_u32_e64 s[10:11], s29, v6
	s_and_b64 s[18:19], exec, s[10:11]
	s_or_b64 s[8:9], s[18:19], s[8:9]
	s_andn2_b64 exec, exec, s[8:9]
	s_cbranch_execz .LBB773_70
.LBB773_64:                             ; =>This Loop Header: Depth=1
                                        ;     Child Loop BB773_67 Depth 2
	s_or_b64 s[10:11], s[10:11], exec
	s_cmp_eq_u32 s30, 0
	s_cbranch_scc1 .LBB773_69
; %bb.65:                               ;   in Loop: Header=BB773_64 Depth=1
	s_add_i32 s30, s30, -1
	v_lshl_or_b32 v6, s30, 8, v2
	v_lshlrev_b64 v[10:11], 2, v[6:7]
	v_add_co_u32_e32 v10, vcc, s24, v10
	v_addc_co_u32_e32 v11, vcc, v3, v11, vcc
	global_load_dword v62, v[10:11], off glc
	s_waitcnt vmcnt(0)
	v_and_b32_e32 v6, -2.0, v62
	v_cmp_eq_u32_e32 vcc, 0, v6
	s_and_saveexec_b64 s[10:11], vcc
	s_cbranch_execz .LBB773_63
; %bb.66:                               ;   in Loop: Header=BB773_64 Depth=1
	s_mov_b64 s[18:19], 0
.LBB773_67:                             ;   Parent Loop BB773_64 Depth=1
                                        ; =>  This Inner Loop Header: Depth=2
	global_load_dword v62, v[10:11], off glc
	s_waitcnt vmcnt(0)
	v_and_b32_e32 v6, -2.0, v62
	v_cmp_ne_u32_e32 vcc, 0, v6
	s_or_b64 s[18:19], vcc, s[18:19]
	s_andn2_b64 exec, exec, s[18:19]
	s_cbranch_execnz .LBB773_67
; %bb.68:                               ;   in Loop: Header=BB773_64 Depth=1
	s_or_b64 exec, exec, s[18:19]
	s_branch .LBB773_63
.LBB773_69:                             ;   in Loop: Header=BB773_64 Depth=1
                                        ; implicit-def: $sgpr30
	s_and_b64 s[18:19], exec, s[10:11]
	s_or_b64 s[8:9], s[18:19], s[8:9]
	s_andn2_b64 exec, exec, s[8:9]
	s_cbranch_execnz .LBB773_64
.LBB773_70:
	s_or_b64 exec, exec, s[8:9]
	v_add_u32_e32 v3, v61, v40
	v_or_b32_e32 v3, 0x80000000, v3
	global_store_dword v[8:9], v3, off
	v_lshlrev_b32_e32 v8, 3, v2
	global_load_dwordx2 v[6:7], v8, s[12:13]
	v_sub_co_u32_e32 v9, vcc, v61, v4
	v_subb_co_u32_e32 v10, vcc, 0, v5, vcc
	v_mov_b32_e32 v3, 0
	s_waitcnt vmcnt(0)
	v_add_co_u32_e32 v6, vcc, v9, v6
	v_addc_co_u32_e32 v7, vcc, v10, v7, vcc
	ds_write_b64 v8, v[6:7]
.LBB773_71:
	s_or_b64 exec, exec, s[2:3]
	v_add3_u32 v35, v36, v58, v35
	v_add3_u32 v32, v33, v37, v32
	v_lshlrev_b64 v[36:37], 2, v[2:3]
	v_add3_u32 v26, v27, v1, v26
	v_mov_b32_e32 v1, s23
	v_add_co_u32_e32 v6, vcc, s22, v36
	v_add_u32_e32 v7, v59, v25
	v_add_u32_e32 v8, 0x800, v51
	v_add3_u32 v9, v55, v60, v54
	v_add3_u32 v10, v52, v56, v50
	;; [unrolled: 1-line block ×8, first 2 shown]
	v_addc_co_u32_e32 v1, vcc, v1, v37, vcc
	s_mov_b32 s8, 0
	s_mov_b32 s9, 0
	s_branch .LBB773_73
.LBB773_72:                             ;   in Loop: Header=BB773_73 Depth=1
	s_or_b64 exec, exec, s[2:3]
	s_addk_i32 s9, 0x1000
	s_addk_i32 s8, 0xf000
	v_add_co_u32_e32 v6, vcc, 0x4000, v6
	s_cmpk_eq_i32 s8, 0xd000
	v_addc_co_u32_e32 v1, vcc, 0, v1, vcc
	s_barrier
	s_cbranch_scc1 .LBB773_82
.LBB773_73:                             ; =>This Inner Loop Header: Depth=1
	v_add_u32_e32 v27, s8, v7
	v_min_u32_e32 v27, 0x1000, v27
	v_lshlrev_b32_e32 v27, 2, v27
	ds_write_b32 v27, v14 offset:2048
	v_add_u32_e32 v27, s8, v26
	v_min_u32_e32 v27, 0x1000, v27
	v_lshlrev_b32_e32 v27, 2, v27
	ds_write_b32 v27, v15 offset:2048
	;; [unrolled: 4-line block ×12, first 2 shown]
	v_add_u32_e32 v27, s9, v2
	v_cmp_gt_u32_e32 vcc, s7, v27
	s_waitcnt lgkmcnt(0)
	s_barrier
	s_and_saveexec_b64 s[2:3], vcc
	s_cbranch_execz .LBB773_75
; %bb.74:                               ;   in Loop: Header=BB773_73 Depth=1
	ds_read_b32 v29, v51 offset:2048
	s_waitcnt lgkmcnt(0)
	v_lshrrev_b32_e32 v31, s16, v29
	v_and_b32_e32 v31, s28, v31
	v_lshlrev_b32_e32 v31, 3, v31
	ds_read_b64 v[36:37], v31
	s_waitcnt lgkmcnt(0)
	v_lshlrev_b64 v[36:37], 2, v[36:37]
	v_add_co_u32_e32 v36, vcc, v6, v36
	v_addc_co_u32_e32 v37, vcc, v1, v37, vcc
	global_store_dword v[36:37], v29, off
.LBB773_75:                             ;   in Loop: Header=BB773_73 Depth=1
	s_or_b64 exec, exec, s[2:3]
	v_add_u32_e32 v29, 0x400, v27
	v_cmp_gt_u32_e32 vcc, s7, v29
	s_and_saveexec_b64 s[2:3], vcc
	s_cbranch_execz .LBB773_77
; %bb.76:                               ;   in Loop: Header=BB773_73 Depth=1
	ds_read_b32 v29, v8 offset:4096
	s_waitcnt lgkmcnt(0)
	v_lshrrev_b32_e32 v31, s16, v29
	v_and_b32_e32 v31, s28, v31
	v_lshlrev_b32_e32 v31, 3, v31
	ds_read_b64 v[36:37], v31
	s_waitcnt lgkmcnt(0)
	v_lshlrev_b64 v[36:37], 2, v[36:37]
	v_add_co_u32_e32 v31, vcc, v6, v36
	v_addc_co_u32_e32 v33, vcc, v1, v37, vcc
	v_add_co_u32_e32 v36, vcc, 0x1000, v31
	v_addc_co_u32_e32 v37, vcc, 0, v33, vcc
	global_store_dword v[36:37], v29, off
.LBB773_77:                             ;   in Loop: Header=BB773_73 Depth=1
	s_or_b64 exec, exec, s[2:3]
	v_add_u32_e32 v29, 0x800, v27
	v_cmp_gt_u32_e32 vcc, s7, v29
	s_and_saveexec_b64 s[2:3], vcc
	s_cbranch_execz .LBB773_79
; %bb.78:                               ;   in Loop: Header=BB773_73 Depth=1
	ds_read_b32 v29, v8 offset:8192
	s_waitcnt lgkmcnt(0)
	v_lshrrev_b32_e32 v31, s16, v29
	v_and_b32_e32 v31, s28, v31
	v_lshlrev_b32_e32 v31, 3, v31
	ds_read_b64 v[36:37], v31
	s_waitcnt lgkmcnt(0)
	v_lshlrev_b64 v[36:37], 2, v[36:37]
	v_add_co_u32_e32 v31, vcc, v6, v36
	v_addc_co_u32_e32 v33, vcc, v1, v37, vcc
	v_add_co_u32_e32 v36, vcc, 0x2000, v31
	v_addc_co_u32_e32 v37, vcc, 0, v33, vcc
	global_store_dword v[36:37], v29, off
.LBB773_79:                             ;   in Loop: Header=BB773_73 Depth=1
	s_or_b64 exec, exec, s[2:3]
	v_add_u32_e32 v27, 0xc00, v27
	v_cmp_gt_u32_e32 vcc, s7, v27
	s_and_saveexec_b64 s[2:3], vcc
	s_cbranch_execz .LBB773_72
; %bb.80:                               ;   in Loop: Header=BB773_73 Depth=1
	ds_read_b32 v27, v8 offset:12288
	s_waitcnt lgkmcnt(0)
	v_lshrrev_b32_e32 v29, s16, v27
	v_and_b32_e32 v29, s28, v29
	v_lshlrev_b32_e32 v29, 3, v29
	ds_read_b64 v[36:37], v29
	s_waitcnt lgkmcnt(0)
	v_lshlrev_b64 v[36:37], 2, v[36:37]
	v_add_co_u32_e32 v29, vcc, v6, v36
	v_addc_co_u32_e32 v31, vcc, v1, v37, vcc
	v_add_co_u32_e32 v36, vcc, 0x3000, v29
	v_addc_co_u32_e32 v37, vcc, 0, v31, vcc
	global_store_dword v[36:37], v27, off
	s_branch .LBB773_72
.LBB773_81:
	s_mov_b64 s[0:1], 0
                                        ; implicit-def: $vgpr2
                                        ; implicit-def: $vgpr4_vgpr5
                                        ; implicit-def: $vgpr40
	s_cbranch_execnz .LBB773_83
	s_branch .LBB773_132
.LBB773_82:
	s_add_i32 s27, s27, -1
	s_cmp_eq_u32 s27, s6
	s_cselect_b64 s[2:3], -1, 0
	s_and_b64 s[0:1], s[0:1], s[2:3]
	s_branch .LBB773_132
.LBB773_83:
	s_mov_b32 s27, 0
	v_mbcnt_hi_u32_b32 v3, -1, v12
	s_lshl_b64 s[0:1], s[26:27], 2
	v_and_b32_e32 v1, 63, v3
	s_add_u32 s0, s20, s0
	v_lshlrev_b32_e32 v1, 2, v1
	v_add_co_u32_e32 v1, vcc, s0, v1
	s_load_dword s7, s[4:5], 0x58
	s_load_dword s0, s[4:5], 0x64
	v_and_b32_e32 v2, 0x3ff, v0
	s_addc_u32 s1, s21, s1
	v_and_b32_e32 v5, 0x3c0, v2
	v_mul_u32_u24_e32 v5, 12, v5
	v_mov_b32_e32 v6, s1
	s_add_u32 s1, s4, 0x58
	v_addc_co_u32_e32 v6, vcc, 0, v6, vcc
	v_lshlrev_b32_e32 v5, 2, v5
	s_addc_u32 s2, s5, 0
	s_waitcnt lgkmcnt(0)
	s_lshr_b32 s3, s0, 16
	v_add_co_u32_e32 v8, vcc, v1, v5
	s_cmp_lt_u32 s6, s7
	v_addc_co_u32_e32 v9, vcc, 0, v6, vcc
	s_cselect_b32 s0, 12, 18
	global_load_dword v10, v[8:9], off
	s_add_u32 s0, s1, s0
	v_mov_b32_e32 v4, 0
	s_addc_u32 s1, s2, 0
	global_load_ushort v1, v4, s[0:1]
	v_mul_u32_u24_e32 v6, 5, v2
	v_lshlrev_b32_e32 v6, 2, v6
	ds_write2_b32 v6, v4, v4 offset0:16 offset1:17
	ds_write2_b32 v6, v4, v4 offset0:18 offset1:19
	ds_write_b32 v6, v4 offset:80
	global_load_dword v11, v[8:9], off offset:256
	global_load_dword v12, v[8:9], off offset:512
	;; [unrolled: 1-line block ×11, first 2 shown]
	v_bfe_u32 v5, v0, 10, 10
	v_bfe_u32 v0, v0, 20, 10
	s_lshl_b32 s0, -1, s17
	v_mad_u32_u24 v0, v0, s3, v5
	s_not_b32 s17, s0
	s_waitcnt lgkmcnt(0)
	s_barrier
	s_waitcnt lgkmcnt(0)
	; wave barrier
	s_waitcnt vmcnt(12)
	v_lshrrev_b32_e32 v5, s16, v10
	v_and_b32_e32 v8, s17, v5
	v_and_b32_e32 v9, 1, v8
	v_lshlrev_b32_e32 v5, 30, v8
	s_waitcnt vmcnt(11)
	v_mad_u64_u32 v[0:1], s[0:1], v0, v1, v[2:3]
	v_add_co_u32_e32 v1, vcc, -1, v9
	v_addc_co_u32_e64 v22, s[0:1], 0, -1, vcc
	v_cmp_ne_u32_e32 vcc, 0, v9
	v_cmp_gt_i64_e64 s[0:1], 0, v[4:5]
	v_not_b32_e32 v9, v5
	v_lshlrev_b32_e32 v5, 29, v8
	v_lshrrev_b32_e32 v30, 6, v0
	v_xor_b32_e32 v0, vcc_hi, v22
	v_xor_b32_e32 v1, vcc_lo, v1
	v_ashrrev_i32_e32 v9, 31, v9
	v_cmp_gt_i64_e32 vcc, 0, v[4:5]
	v_not_b32_e32 v22, v5
	v_lshlrev_b32_e32 v5, 28, v8
	v_and_b32_e32 v0, exec_hi, v0
	v_and_b32_e32 v1, exec_lo, v1
	v_xor_b32_e32 v23, s1, v9
	v_xor_b32_e32 v9, s0, v9
	v_ashrrev_i32_e32 v22, 31, v22
	v_cmp_gt_i64_e64 s[0:1], 0, v[4:5]
	v_not_b32_e32 v5, v5
	v_and_b32_e32 v0, v0, v23
	v_and_b32_e32 v1, v1, v9
	v_xor_b32_e32 v9, vcc_hi, v22
	v_xor_b32_e32 v22, vcc_lo, v22
	v_ashrrev_i32_e32 v5, 31, v5
	v_and_b32_e32 v0, v0, v9
	v_and_b32_e32 v1, v1, v22
	v_xor_b32_e32 v9, s1, v5
	v_xor_b32_e32 v5, s0, v5
	v_and_b32_e32 v1, v1, v5
	v_lshlrev_b32_e32 v5, 27, v8
	v_cmp_gt_i64_e32 vcc, 0, v[4:5]
	v_not_b32_e32 v5, v5
	v_ashrrev_i32_e32 v5, 31, v5
	v_and_b32_e32 v0, v0, v9
	v_xor_b32_e32 v9, vcc_hi, v5
	v_xor_b32_e32 v5, vcc_lo, v5
	v_and_b32_e32 v1, v1, v5
	v_lshlrev_b32_e32 v5, 26, v8
	v_cmp_gt_i64_e32 vcc, 0, v[4:5]
	v_not_b32_e32 v5, v5
	v_ashrrev_i32_e32 v5, 31, v5
	v_and_b32_e32 v0, v0, v9
	v_xor_b32_e32 v9, vcc_hi, v5
	v_xor_b32_e32 v5, vcc_lo, v5
	;; [unrolled: 8-line block ×3, first 2 shown]
	v_and_b32_e32 v0, v0, v9
	v_and_b32_e32 v9, v1, v5
	v_lshlrev_b32_e32 v5, 24, v8
	v_not_b32_e32 v1, v5
	v_cmp_gt_i64_e32 vcc, 0, v[4:5]
	v_ashrrev_i32_e32 v1, 31, v1
	v_lshl_add_u32 v7, v8, 4, v8
	v_xor_b32_e32 v5, vcc_hi, v1
	v_xor_b32_e32 v8, vcc_lo, v1
	v_and_b32_e32 v1, v0, v5
	v_and_b32_e32 v0, v9, v8
	v_mbcnt_lo_u32_b32 v5, v0, 0
	v_mbcnt_hi_u32_b32 v22, v1, v5
	v_cmp_eq_u32_e32 vcc, 0, v22
	v_cmp_ne_u64_e64 s[0:1], 0, v[0:1]
	v_add_lshl_u32 v7, v30, v7, 2
	s_and_b64 s[2:3], s[0:1], vcc
	s_and_saveexec_b64 s[0:1], s[2:3]
	s_cbranch_execz .LBB773_85
; %bb.84:
	v_bcnt_u32_b32 v0, v0, 0
	v_bcnt_u32_b32 v0, v1, v0
	ds_write_b32 v7, v0 offset:64
.LBB773_85:
	s_or_b64 exec, exec, s[0:1]
	s_waitcnt vmcnt(10)
	v_lshrrev_b32_e32 v0, s16, v11
	v_and_b32_e32 v0, s17, v0
	v_lshl_add_u32 v1, v0, 4, v0
	v_add_lshl_u32 v8, v30, v1, 2
	v_and_b32_e32 v1, 1, v0
	v_add_co_u32_e32 v5, vcc, -1, v1
	v_addc_co_u32_e64 v9, s[0:1], 0, -1, vcc
	v_cmp_ne_u32_e32 vcc, 0, v1
	v_xor_b32_e32 v5, vcc_lo, v5
	v_xor_b32_e32 v1, vcc_hi, v9
	v_and_b32_e32 v9, exec_lo, v5
	v_lshlrev_b32_e32 v5, 30, v0
	v_cmp_gt_i64_e32 vcc, 0, v[4:5]
	v_not_b32_e32 v5, v5
	v_ashrrev_i32_e32 v5, 31, v5
	v_xor_b32_e32 v24, vcc_hi, v5
	v_xor_b32_e32 v5, vcc_lo, v5
	v_and_b32_e32 v9, v9, v5
	v_lshlrev_b32_e32 v5, 29, v0
	v_cmp_gt_i64_e32 vcc, 0, v[4:5]
	v_not_b32_e32 v5, v5
	v_and_b32_e32 v1, exec_hi, v1
	v_ashrrev_i32_e32 v5, 31, v5
	v_and_b32_e32 v1, v1, v24
	v_xor_b32_e32 v24, vcc_hi, v5
	v_xor_b32_e32 v5, vcc_lo, v5
	v_and_b32_e32 v9, v9, v5
	v_lshlrev_b32_e32 v5, 28, v0
	v_cmp_gt_i64_e32 vcc, 0, v[4:5]
	v_not_b32_e32 v5, v5
	v_ashrrev_i32_e32 v5, 31, v5
	v_and_b32_e32 v1, v1, v24
	v_xor_b32_e32 v24, vcc_hi, v5
	v_xor_b32_e32 v5, vcc_lo, v5
	v_and_b32_e32 v9, v9, v5
	v_lshlrev_b32_e32 v5, 27, v0
	v_cmp_gt_i64_e32 vcc, 0, v[4:5]
	v_not_b32_e32 v5, v5
	;; [unrolled: 8-line block ×4, first 2 shown]
	v_ashrrev_i32_e32 v5, 31, v5
	v_and_b32_e32 v1, v1, v24
	v_xor_b32_e32 v24, vcc_hi, v5
	v_xor_b32_e32 v5, vcc_lo, v5
	v_and_b32_e32 v9, v9, v5
	v_lshlrev_b32_e32 v5, 24, v0
	v_not_b32_e32 v0, v5
	v_cmp_gt_i64_e32 vcc, 0, v[4:5]
	v_ashrrev_i32_e32 v0, 31, v0
	v_xor_b32_e32 v4, vcc_hi, v0
	v_xor_b32_e32 v0, vcc_lo, v0
	; wave barrier
	ds_read_b32 v23, v8 offset:64
	v_and_b32_e32 v1, v1, v24
	v_and_b32_e32 v0, v9, v0
	;; [unrolled: 1-line block ×3, first 2 shown]
	v_mbcnt_lo_u32_b32 v4, v0, 0
	v_mbcnt_hi_u32_b32 v24, v1, v4
	v_cmp_eq_u32_e32 vcc, 0, v24
	v_cmp_ne_u64_e64 s[0:1], 0, v[0:1]
	s_and_b64 s[2:3], s[0:1], vcc
	; wave barrier
	s_and_saveexec_b64 s[0:1], s[2:3]
	s_cbranch_execz .LBB773_87
; %bb.86:
	v_bcnt_u32_b32 v0, v0, 0
	v_bcnt_u32_b32 v0, v1, v0
	s_waitcnt lgkmcnt(0)
	v_add_u32_e32 v0, v23, v0
	ds_write_b32 v8, v0 offset:64
.LBB773_87:
	s_or_b64 exec, exec, s[0:1]
	s_waitcnt vmcnt(9)
	v_lshrrev_b32_e32 v0, s16, v12
	v_and_b32_e32 v4, s17, v0
	v_and_b32_e32 v1, 1, v4
	v_add_co_u32_e32 v5, vcc, -1, v1
	v_addc_co_u32_e64 v26, s[0:1], 0, -1, vcc
	v_cmp_ne_u32_e32 vcc, 0, v1
	v_lshl_add_u32 v0, v4, 4, v4
	v_xor_b32_e32 v1, vcc_hi, v26
	v_add_lshl_u32 v9, v30, v0, 2
	v_mov_b32_e32 v0, 0
	v_and_b32_e32 v26, exec_hi, v1
	v_lshlrev_b32_e32 v1, 30, v4
	v_xor_b32_e32 v5, vcc_lo, v5
	v_cmp_gt_i64_e32 vcc, 0, v[0:1]
	v_not_b32_e32 v1, v1
	v_ashrrev_i32_e32 v1, 31, v1
	v_and_b32_e32 v5, exec_lo, v5
	v_xor_b32_e32 v27, vcc_hi, v1
	v_xor_b32_e32 v1, vcc_lo, v1
	v_and_b32_e32 v5, v5, v1
	v_lshlrev_b32_e32 v1, 29, v4
	v_cmp_gt_i64_e32 vcc, 0, v[0:1]
	v_not_b32_e32 v1, v1
	v_ashrrev_i32_e32 v1, 31, v1
	v_and_b32_e32 v26, v26, v27
	v_xor_b32_e32 v27, vcc_hi, v1
	v_xor_b32_e32 v1, vcc_lo, v1
	v_and_b32_e32 v5, v5, v1
	v_lshlrev_b32_e32 v1, 28, v4
	v_cmp_gt_i64_e32 vcc, 0, v[0:1]
	v_not_b32_e32 v1, v1
	v_ashrrev_i32_e32 v1, 31, v1
	v_and_b32_e32 v26, v26, v27
	;; [unrolled: 8-line block ×5, first 2 shown]
	v_xor_b32_e32 v27, vcc_hi, v1
	v_xor_b32_e32 v1, vcc_lo, v1
	v_and_b32_e32 v26, v26, v27
	v_and_b32_e32 v27, v5, v1
	v_lshlrev_b32_e32 v1, 24, v4
	v_cmp_gt_i64_e32 vcc, 0, v[0:1]
	v_not_b32_e32 v1, v1
	v_ashrrev_i32_e32 v1, 31, v1
	v_xor_b32_e32 v4, vcc_hi, v1
	v_xor_b32_e32 v1, vcc_lo, v1
	; wave barrier
	ds_read_b32 v25, v9 offset:64
	v_and_b32_e32 v5, v26, v4
	v_and_b32_e32 v4, v27, v1
	v_mbcnt_lo_u32_b32 v1, v4, 0
	v_mbcnt_hi_u32_b32 v26, v5, v1
	v_cmp_eq_u32_e32 vcc, 0, v26
	v_cmp_ne_u64_e64 s[0:1], 0, v[4:5]
	s_and_b64 s[2:3], s[0:1], vcc
	; wave barrier
	s_and_saveexec_b64 s[0:1], s[2:3]
	s_cbranch_execz .LBB773_89
; %bb.88:
	v_bcnt_u32_b32 v1, v4, 0
	v_bcnt_u32_b32 v1, v5, v1
	s_waitcnt lgkmcnt(0)
	v_add_u32_e32 v1, v25, v1
	ds_write_b32 v9, v1 offset:64
.LBB773_89:
	s_or_b64 exec, exec, s[0:1]
	s_waitcnt vmcnt(8)
	v_lshrrev_b32_e32 v1, s16, v13
	v_and_b32_e32 v4, s17, v1
	v_lshl_add_u32 v1, v4, 4, v4
	v_add_lshl_u32 v32, v30, v1, 2
	v_and_b32_e32 v1, 1, v4
	v_add_co_u32_e32 v5, vcc, -1, v1
	v_addc_co_u32_e64 v28, s[0:1], 0, -1, vcc
	v_cmp_ne_u32_e32 vcc, 0, v1
	v_xor_b32_e32 v1, vcc_hi, v28
	v_and_b32_e32 v28, exec_hi, v1
	v_lshlrev_b32_e32 v1, 30, v4
	v_xor_b32_e32 v5, vcc_lo, v5
	v_cmp_gt_i64_e32 vcc, 0, v[0:1]
	v_not_b32_e32 v1, v1
	v_ashrrev_i32_e32 v1, 31, v1
	v_and_b32_e32 v5, exec_lo, v5
	v_xor_b32_e32 v29, vcc_hi, v1
	v_xor_b32_e32 v1, vcc_lo, v1
	v_and_b32_e32 v5, v5, v1
	v_lshlrev_b32_e32 v1, 29, v4
	v_cmp_gt_i64_e32 vcc, 0, v[0:1]
	v_not_b32_e32 v1, v1
	v_ashrrev_i32_e32 v1, 31, v1
	v_and_b32_e32 v28, v28, v29
	v_xor_b32_e32 v29, vcc_hi, v1
	v_xor_b32_e32 v1, vcc_lo, v1
	v_and_b32_e32 v5, v5, v1
	v_lshlrev_b32_e32 v1, 28, v4
	v_cmp_gt_i64_e32 vcc, 0, v[0:1]
	v_not_b32_e32 v1, v1
	v_ashrrev_i32_e32 v1, 31, v1
	v_and_b32_e32 v28, v28, v29
	;; [unrolled: 8-line block ×5, first 2 shown]
	v_xor_b32_e32 v29, vcc_hi, v1
	v_xor_b32_e32 v1, vcc_lo, v1
	v_and_b32_e32 v5, v5, v1
	v_lshlrev_b32_e32 v1, 24, v4
	v_cmp_gt_i64_e32 vcc, 0, v[0:1]
	v_not_b32_e32 v0, v1
	v_ashrrev_i32_e32 v0, 31, v0
	v_xor_b32_e32 v1, vcc_hi, v0
	v_xor_b32_e32 v0, vcc_lo, v0
	; wave barrier
	ds_read_b32 v27, v32 offset:64
	v_and_b32_e32 v28, v28, v29
	v_and_b32_e32 v0, v5, v0
	;; [unrolled: 1-line block ×3, first 2 shown]
	v_mbcnt_lo_u32_b32 v4, v0, 0
	v_mbcnt_hi_u32_b32 v28, v1, v4
	v_cmp_eq_u32_e32 vcc, 0, v28
	v_cmp_ne_u64_e64 s[0:1], 0, v[0:1]
	s_and_b64 s[2:3], s[0:1], vcc
	; wave barrier
	s_and_saveexec_b64 s[0:1], s[2:3]
	s_cbranch_execz .LBB773_91
; %bb.90:
	v_bcnt_u32_b32 v0, v0, 0
	v_bcnt_u32_b32 v0, v1, v0
	s_waitcnt lgkmcnt(0)
	v_add_u32_e32 v0, v27, v0
	ds_write_b32 v32, v0 offset:64
.LBB773_91:
	s_or_b64 exec, exec, s[0:1]
	s_waitcnt vmcnt(7)
	v_lshrrev_b32_e32 v0, s16, v14
	v_and_b32_e32 v4, s17, v0
	v_and_b32_e32 v1, 1, v4
	v_add_co_u32_e32 v5, vcc, -1, v1
	v_addc_co_u32_e64 v31, s[0:1], 0, -1, vcc
	v_cmp_ne_u32_e32 vcc, 0, v1
	v_lshl_add_u32 v0, v4, 4, v4
	v_xor_b32_e32 v1, vcc_hi, v31
	v_add_lshl_u32 v35, v30, v0, 2
	v_mov_b32_e32 v0, 0
	v_and_b32_e32 v31, exec_hi, v1
	v_lshlrev_b32_e32 v1, 30, v4
	v_xor_b32_e32 v5, vcc_lo, v5
	v_cmp_gt_i64_e32 vcc, 0, v[0:1]
	v_not_b32_e32 v1, v1
	v_ashrrev_i32_e32 v1, 31, v1
	v_and_b32_e32 v5, exec_lo, v5
	v_xor_b32_e32 v33, vcc_hi, v1
	v_xor_b32_e32 v1, vcc_lo, v1
	v_and_b32_e32 v5, v5, v1
	v_lshlrev_b32_e32 v1, 29, v4
	v_cmp_gt_i64_e32 vcc, 0, v[0:1]
	v_not_b32_e32 v1, v1
	v_ashrrev_i32_e32 v1, 31, v1
	v_and_b32_e32 v31, v31, v33
	v_xor_b32_e32 v33, vcc_hi, v1
	v_xor_b32_e32 v1, vcc_lo, v1
	v_and_b32_e32 v5, v5, v1
	v_lshlrev_b32_e32 v1, 28, v4
	v_cmp_gt_i64_e32 vcc, 0, v[0:1]
	v_not_b32_e32 v1, v1
	v_ashrrev_i32_e32 v1, 31, v1
	v_and_b32_e32 v31, v31, v33
	;; [unrolled: 8-line block ×5, first 2 shown]
	v_xor_b32_e32 v33, vcc_hi, v1
	v_xor_b32_e32 v1, vcc_lo, v1
	v_and_b32_e32 v31, v31, v33
	v_and_b32_e32 v33, v5, v1
	v_lshlrev_b32_e32 v1, 24, v4
	v_cmp_gt_i64_e32 vcc, 0, v[0:1]
	v_not_b32_e32 v1, v1
	v_ashrrev_i32_e32 v1, 31, v1
	v_xor_b32_e32 v4, vcc_hi, v1
	v_xor_b32_e32 v1, vcc_lo, v1
	; wave barrier
	ds_read_b32 v29, v35 offset:64
	v_and_b32_e32 v5, v31, v4
	v_and_b32_e32 v4, v33, v1
	v_mbcnt_lo_u32_b32 v1, v4, 0
	v_mbcnt_hi_u32_b32 v31, v5, v1
	v_cmp_eq_u32_e32 vcc, 0, v31
	v_cmp_ne_u64_e64 s[0:1], 0, v[4:5]
	s_and_b64 s[2:3], s[0:1], vcc
	; wave barrier
	s_and_saveexec_b64 s[0:1], s[2:3]
	s_cbranch_execz .LBB773_93
; %bb.92:
	v_bcnt_u32_b32 v1, v4, 0
	v_bcnt_u32_b32 v1, v5, v1
	s_waitcnt lgkmcnt(0)
	v_add_u32_e32 v1, v29, v1
	ds_write_b32 v35, v1 offset:64
.LBB773_93:
	s_or_b64 exec, exec, s[0:1]
	s_waitcnt vmcnt(6)
	v_lshrrev_b32_e32 v1, s16, v15
	v_and_b32_e32 v4, s17, v1
	v_lshl_add_u32 v1, v4, 4, v4
	v_add_lshl_u32 v38, v30, v1, 2
	v_and_b32_e32 v1, 1, v4
	v_add_co_u32_e32 v5, vcc, -1, v1
	v_addc_co_u32_e64 v34, s[0:1], 0, -1, vcc
	v_cmp_ne_u32_e32 vcc, 0, v1
	v_xor_b32_e32 v1, vcc_hi, v34
	v_and_b32_e32 v34, exec_hi, v1
	v_lshlrev_b32_e32 v1, 30, v4
	v_xor_b32_e32 v5, vcc_lo, v5
	v_cmp_gt_i64_e32 vcc, 0, v[0:1]
	v_not_b32_e32 v1, v1
	v_ashrrev_i32_e32 v1, 31, v1
	v_and_b32_e32 v5, exec_lo, v5
	v_xor_b32_e32 v36, vcc_hi, v1
	v_xor_b32_e32 v1, vcc_lo, v1
	v_and_b32_e32 v5, v5, v1
	v_lshlrev_b32_e32 v1, 29, v4
	v_cmp_gt_i64_e32 vcc, 0, v[0:1]
	v_not_b32_e32 v1, v1
	v_ashrrev_i32_e32 v1, 31, v1
	v_and_b32_e32 v34, v34, v36
	v_xor_b32_e32 v36, vcc_hi, v1
	v_xor_b32_e32 v1, vcc_lo, v1
	v_and_b32_e32 v5, v5, v1
	v_lshlrev_b32_e32 v1, 28, v4
	v_cmp_gt_i64_e32 vcc, 0, v[0:1]
	v_not_b32_e32 v1, v1
	v_ashrrev_i32_e32 v1, 31, v1
	v_and_b32_e32 v34, v34, v36
	;; [unrolled: 8-line block ×5, first 2 shown]
	v_xor_b32_e32 v36, vcc_hi, v1
	v_xor_b32_e32 v1, vcc_lo, v1
	v_and_b32_e32 v5, v5, v1
	v_lshlrev_b32_e32 v1, 24, v4
	v_cmp_gt_i64_e32 vcc, 0, v[0:1]
	v_not_b32_e32 v0, v1
	v_ashrrev_i32_e32 v0, 31, v0
	v_xor_b32_e32 v1, vcc_hi, v0
	v_xor_b32_e32 v0, vcc_lo, v0
	; wave barrier
	ds_read_b32 v33, v38 offset:64
	v_and_b32_e32 v34, v34, v36
	v_and_b32_e32 v0, v5, v0
	;; [unrolled: 1-line block ×3, first 2 shown]
	v_mbcnt_lo_u32_b32 v4, v0, 0
	v_mbcnt_hi_u32_b32 v34, v1, v4
	v_cmp_eq_u32_e32 vcc, 0, v34
	v_cmp_ne_u64_e64 s[0:1], 0, v[0:1]
	s_and_b64 s[2:3], s[0:1], vcc
	; wave barrier
	s_and_saveexec_b64 s[0:1], s[2:3]
	s_cbranch_execz .LBB773_95
; %bb.94:
	v_bcnt_u32_b32 v0, v0, 0
	v_bcnt_u32_b32 v0, v1, v0
	s_waitcnt lgkmcnt(0)
	v_add_u32_e32 v0, v33, v0
	ds_write_b32 v38, v0 offset:64
.LBB773_95:
	s_or_b64 exec, exec, s[0:1]
	s_waitcnt vmcnt(5)
	v_lshrrev_b32_e32 v0, s16, v16
	v_and_b32_e32 v4, s17, v0
	v_and_b32_e32 v1, 1, v4
	v_add_co_u32_e32 v5, vcc, -1, v1
	v_addc_co_u32_e64 v37, s[0:1], 0, -1, vcc
	v_cmp_ne_u32_e32 vcc, 0, v1
	v_lshl_add_u32 v0, v4, 4, v4
	v_xor_b32_e32 v1, vcc_hi, v37
	v_add_lshl_u32 v40, v30, v0, 2
	v_mov_b32_e32 v0, 0
	v_and_b32_e32 v37, exec_hi, v1
	v_lshlrev_b32_e32 v1, 30, v4
	v_xor_b32_e32 v5, vcc_lo, v5
	v_cmp_gt_i64_e32 vcc, 0, v[0:1]
	v_not_b32_e32 v1, v1
	v_ashrrev_i32_e32 v1, 31, v1
	v_and_b32_e32 v5, exec_lo, v5
	v_xor_b32_e32 v39, vcc_hi, v1
	v_xor_b32_e32 v1, vcc_lo, v1
	v_and_b32_e32 v5, v5, v1
	v_lshlrev_b32_e32 v1, 29, v4
	v_cmp_gt_i64_e32 vcc, 0, v[0:1]
	v_not_b32_e32 v1, v1
	v_ashrrev_i32_e32 v1, 31, v1
	v_and_b32_e32 v37, v37, v39
	v_xor_b32_e32 v39, vcc_hi, v1
	v_xor_b32_e32 v1, vcc_lo, v1
	v_and_b32_e32 v5, v5, v1
	v_lshlrev_b32_e32 v1, 28, v4
	v_cmp_gt_i64_e32 vcc, 0, v[0:1]
	v_not_b32_e32 v1, v1
	v_ashrrev_i32_e32 v1, 31, v1
	v_and_b32_e32 v37, v37, v39
	;; [unrolled: 8-line block ×5, first 2 shown]
	v_xor_b32_e32 v39, vcc_hi, v1
	v_xor_b32_e32 v1, vcc_lo, v1
	v_and_b32_e32 v37, v37, v39
	v_and_b32_e32 v39, v5, v1
	v_lshlrev_b32_e32 v1, 24, v4
	v_cmp_gt_i64_e32 vcc, 0, v[0:1]
	v_not_b32_e32 v1, v1
	v_ashrrev_i32_e32 v1, 31, v1
	v_xor_b32_e32 v4, vcc_hi, v1
	v_xor_b32_e32 v1, vcc_lo, v1
	; wave barrier
	ds_read_b32 v36, v40 offset:64
	v_and_b32_e32 v5, v37, v4
	v_and_b32_e32 v4, v39, v1
	v_mbcnt_lo_u32_b32 v1, v4, 0
	v_mbcnt_hi_u32_b32 v37, v5, v1
	v_cmp_eq_u32_e32 vcc, 0, v37
	v_cmp_ne_u64_e64 s[0:1], 0, v[4:5]
	s_and_b64 s[2:3], s[0:1], vcc
	; wave barrier
	s_and_saveexec_b64 s[0:1], s[2:3]
	s_cbranch_execz .LBB773_97
; %bb.96:
	v_bcnt_u32_b32 v1, v4, 0
	v_bcnt_u32_b32 v1, v5, v1
	s_waitcnt lgkmcnt(0)
	v_add_u32_e32 v1, v36, v1
	ds_write_b32 v40, v1 offset:64
.LBB773_97:
	s_or_b64 exec, exec, s[0:1]
	s_waitcnt vmcnt(4)
	v_lshrrev_b32_e32 v1, s16, v17
	v_and_b32_e32 v4, s17, v1
	v_lshl_add_u32 v1, v4, 4, v4
	v_add_lshl_u32 v44, v30, v1, 2
	v_and_b32_e32 v1, 1, v4
	v_add_co_u32_e32 v5, vcc, -1, v1
	v_addc_co_u32_e64 v41, s[0:1], 0, -1, vcc
	v_cmp_ne_u32_e32 vcc, 0, v1
	v_xor_b32_e32 v1, vcc_hi, v41
	v_and_b32_e32 v41, exec_hi, v1
	v_lshlrev_b32_e32 v1, 30, v4
	v_xor_b32_e32 v5, vcc_lo, v5
	v_cmp_gt_i64_e32 vcc, 0, v[0:1]
	v_not_b32_e32 v1, v1
	v_ashrrev_i32_e32 v1, 31, v1
	v_and_b32_e32 v5, exec_lo, v5
	v_xor_b32_e32 v42, vcc_hi, v1
	v_xor_b32_e32 v1, vcc_lo, v1
	v_and_b32_e32 v5, v5, v1
	v_lshlrev_b32_e32 v1, 29, v4
	v_cmp_gt_i64_e32 vcc, 0, v[0:1]
	v_not_b32_e32 v1, v1
	v_ashrrev_i32_e32 v1, 31, v1
	v_and_b32_e32 v41, v41, v42
	v_xor_b32_e32 v42, vcc_hi, v1
	v_xor_b32_e32 v1, vcc_lo, v1
	v_and_b32_e32 v5, v5, v1
	v_lshlrev_b32_e32 v1, 28, v4
	v_cmp_gt_i64_e32 vcc, 0, v[0:1]
	v_not_b32_e32 v1, v1
	v_ashrrev_i32_e32 v1, 31, v1
	v_and_b32_e32 v41, v41, v42
	;; [unrolled: 8-line block ×5, first 2 shown]
	v_xor_b32_e32 v42, vcc_hi, v1
	v_xor_b32_e32 v1, vcc_lo, v1
	v_and_b32_e32 v5, v5, v1
	v_lshlrev_b32_e32 v1, 24, v4
	v_cmp_gt_i64_e32 vcc, 0, v[0:1]
	v_not_b32_e32 v0, v1
	v_ashrrev_i32_e32 v0, 31, v0
	v_xor_b32_e32 v1, vcc_hi, v0
	v_xor_b32_e32 v0, vcc_lo, v0
	; wave barrier
	ds_read_b32 v39, v44 offset:64
	v_and_b32_e32 v41, v41, v42
	v_and_b32_e32 v0, v5, v0
	;; [unrolled: 1-line block ×3, first 2 shown]
	v_mbcnt_lo_u32_b32 v4, v0, 0
	v_mbcnt_hi_u32_b32 v41, v1, v4
	v_cmp_eq_u32_e32 vcc, 0, v41
	v_cmp_ne_u64_e64 s[0:1], 0, v[0:1]
	s_and_b64 s[2:3], s[0:1], vcc
	; wave barrier
	s_and_saveexec_b64 s[0:1], s[2:3]
	s_cbranch_execz .LBB773_99
; %bb.98:
	v_bcnt_u32_b32 v0, v0, 0
	v_bcnt_u32_b32 v0, v1, v0
	s_waitcnt lgkmcnt(0)
	v_add_u32_e32 v0, v39, v0
	ds_write_b32 v44, v0 offset:64
.LBB773_99:
	s_or_b64 exec, exec, s[0:1]
	s_waitcnt vmcnt(3)
	v_lshrrev_b32_e32 v0, s16, v18
	v_and_b32_e32 v4, s17, v0
	v_and_b32_e32 v1, 1, v4
	v_add_co_u32_e32 v5, vcc, -1, v1
	v_addc_co_u32_e64 v43, s[0:1], 0, -1, vcc
	v_cmp_ne_u32_e32 vcc, 0, v1
	v_lshl_add_u32 v0, v4, 4, v4
	v_xor_b32_e32 v1, vcc_hi, v43
	v_add_lshl_u32 v47, v30, v0, 2
	v_mov_b32_e32 v0, 0
	v_and_b32_e32 v43, exec_hi, v1
	v_lshlrev_b32_e32 v1, 30, v4
	v_xor_b32_e32 v5, vcc_lo, v5
	v_cmp_gt_i64_e32 vcc, 0, v[0:1]
	v_not_b32_e32 v1, v1
	v_ashrrev_i32_e32 v1, 31, v1
	v_and_b32_e32 v5, exec_lo, v5
	v_xor_b32_e32 v45, vcc_hi, v1
	v_xor_b32_e32 v1, vcc_lo, v1
	v_and_b32_e32 v5, v5, v1
	v_lshlrev_b32_e32 v1, 29, v4
	v_cmp_gt_i64_e32 vcc, 0, v[0:1]
	v_not_b32_e32 v1, v1
	v_ashrrev_i32_e32 v1, 31, v1
	v_and_b32_e32 v43, v43, v45
	v_xor_b32_e32 v45, vcc_hi, v1
	v_xor_b32_e32 v1, vcc_lo, v1
	v_and_b32_e32 v5, v5, v1
	v_lshlrev_b32_e32 v1, 28, v4
	v_cmp_gt_i64_e32 vcc, 0, v[0:1]
	v_not_b32_e32 v1, v1
	v_ashrrev_i32_e32 v1, 31, v1
	v_and_b32_e32 v43, v43, v45
	;; [unrolled: 8-line block ×5, first 2 shown]
	v_xor_b32_e32 v45, vcc_hi, v1
	v_xor_b32_e32 v1, vcc_lo, v1
	v_and_b32_e32 v43, v43, v45
	v_and_b32_e32 v45, v5, v1
	v_lshlrev_b32_e32 v1, 24, v4
	v_cmp_gt_i64_e32 vcc, 0, v[0:1]
	v_not_b32_e32 v1, v1
	v_ashrrev_i32_e32 v1, 31, v1
	v_xor_b32_e32 v4, vcc_hi, v1
	v_xor_b32_e32 v1, vcc_lo, v1
	; wave barrier
	ds_read_b32 v42, v47 offset:64
	v_and_b32_e32 v5, v43, v4
	v_and_b32_e32 v4, v45, v1
	v_mbcnt_lo_u32_b32 v1, v4, 0
	v_mbcnt_hi_u32_b32 v43, v5, v1
	v_cmp_eq_u32_e32 vcc, 0, v43
	v_cmp_ne_u64_e64 s[0:1], 0, v[4:5]
	s_and_b64 s[2:3], s[0:1], vcc
	; wave barrier
	s_and_saveexec_b64 s[0:1], s[2:3]
	s_cbranch_execz .LBB773_101
; %bb.100:
	v_bcnt_u32_b32 v1, v4, 0
	v_bcnt_u32_b32 v1, v5, v1
	s_waitcnt lgkmcnt(0)
	v_add_u32_e32 v1, v42, v1
	ds_write_b32 v47, v1 offset:64
.LBB773_101:
	s_or_b64 exec, exec, s[0:1]
	s_waitcnt vmcnt(2)
	v_lshrrev_b32_e32 v1, s16, v19
	v_and_b32_e32 v4, s17, v1
	v_lshl_add_u32 v1, v4, 4, v4
	v_add_lshl_u32 v50, v30, v1, 2
	v_and_b32_e32 v1, 1, v4
	v_add_co_u32_e32 v5, vcc, -1, v1
	v_addc_co_u32_e64 v46, s[0:1], 0, -1, vcc
	v_cmp_ne_u32_e32 vcc, 0, v1
	v_xor_b32_e32 v1, vcc_hi, v46
	v_and_b32_e32 v46, exec_hi, v1
	v_lshlrev_b32_e32 v1, 30, v4
	v_xor_b32_e32 v5, vcc_lo, v5
	v_cmp_gt_i64_e32 vcc, 0, v[0:1]
	v_not_b32_e32 v1, v1
	v_ashrrev_i32_e32 v1, 31, v1
	v_and_b32_e32 v5, exec_lo, v5
	v_xor_b32_e32 v48, vcc_hi, v1
	v_xor_b32_e32 v1, vcc_lo, v1
	v_and_b32_e32 v5, v5, v1
	v_lshlrev_b32_e32 v1, 29, v4
	v_cmp_gt_i64_e32 vcc, 0, v[0:1]
	v_not_b32_e32 v1, v1
	v_ashrrev_i32_e32 v1, 31, v1
	v_and_b32_e32 v46, v46, v48
	v_xor_b32_e32 v48, vcc_hi, v1
	v_xor_b32_e32 v1, vcc_lo, v1
	v_and_b32_e32 v5, v5, v1
	v_lshlrev_b32_e32 v1, 28, v4
	v_cmp_gt_i64_e32 vcc, 0, v[0:1]
	v_not_b32_e32 v1, v1
	v_ashrrev_i32_e32 v1, 31, v1
	v_and_b32_e32 v46, v46, v48
	;; [unrolled: 8-line block ×5, first 2 shown]
	v_xor_b32_e32 v48, vcc_hi, v1
	v_xor_b32_e32 v1, vcc_lo, v1
	v_and_b32_e32 v5, v5, v1
	v_lshlrev_b32_e32 v1, 24, v4
	v_cmp_gt_i64_e32 vcc, 0, v[0:1]
	v_not_b32_e32 v0, v1
	v_ashrrev_i32_e32 v0, 31, v0
	v_xor_b32_e32 v1, vcc_hi, v0
	v_xor_b32_e32 v0, vcc_lo, v0
	; wave barrier
	ds_read_b32 v45, v50 offset:64
	v_and_b32_e32 v46, v46, v48
	v_and_b32_e32 v0, v5, v0
	;; [unrolled: 1-line block ×3, first 2 shown]
	v_mbcnt_lo_u32_b32 v4, v0, 0
	v_mbcnt_hi_u32_b32 v46, v1, v4
	v_cmp_eq_u32_e32 vcc, 0, v46
	v_cmp_ne_u64_e64 s[0:1], 0, v[0:1]
	s_and_b64 s[2:3], s[0:1], vcc
	; wave barrier
	s_and_saveexec_b64 s[0:1], s[2:3]
	s_cbranch_execz .LBB773_103
; %bb.102:
	v_bcnt_u32_b32 v0, v0, 0
	v_bcnt_u32_b32 v0, v1, v0
	s_waitcnt lgkmcnt(0)
	v_add_u32_e32 v0, v45, v0
	ds_write_b32 v50, v0 offset:64
.LBB773_103:
	s_or_b64 exec, exec, s[0:1]
	s_waitcnt vmcnt(1)
	v_lshrrev_b32_e32 v0, s16, v20
	v_and_b32_e32 v4, s17, v0
	v_and_b32_e32 v1, 1, v4
	v_add_co_u32_e32 v5, vcc, -1, v1
	v_addc_co_u32_e64 v49, s[0:1], 0, -1, vcc
	v_cmp_ne_u32_e32 vcc, 0, v1
	v_lshl_add_u32 v0, v4, 4, v4
	v_xor_b32_e32 v1, vcc_hi, v49
	v_add_lshl_u32 v53, v30, v0, 2
	v_mov_b32_e32 v0, 0
	v_and_b32_e32 v49, exec_hi, v1
	v_lshlrev_b32_e32 v1, 30, v4
	v_xor_b32_e32 v5, vcc_lo, v5
	v_cmp_gt_i64_e32 vcc, 0, v[0:1]
	v_not_b32_e32 v1, v1
	v_ashrrev_i32_e32 v1, 31, v1
	v_and_b32_e32 v5, exec_lo, v5
	v_xor_b32_e32 v51, vcc_hi, v1
	v_xor_b32_e32 v1, vcc_lo, v1
	v_and_b32_e32 v5, v5, v1
	v_lshlrev_b32_e32 v1, 29, v4
	v_cmp_gt_i64_e32 vcc, 0, v[0:1]
	v_not_b32_e32 v1, v1
	v_ashrrev_i32_e32 v1, 31, v1
	v_and_b32_e32 v49, v49, v51
	v_xor_b32_e32 v51, vcc_hi, v1
	v_xor_b32_e32 v1, vcc_lo, v1
	v_and_b32_e32 v5, v5, v1
	v_lshlrev_b32_e32 v1, 28, v4
	v_cmp_gt_i64_e32 vcc, 0, v[0:1]
	v_not_b32_e32 v1, v1
	v_ashrrev_i32_e32 v1, 31, v1
	v_and_b32_e32 v49, v49, v51
	;; [unrolled: 8-line block ×5, first 2 shown]
	v_xor_b32_e32 v51, vcc_hi, v1
	v_xor_b32_e32 v1, vcc_lo, v1
	v_and_b32_e32 v49, v49, v51
	v_and_b32_e32 v51, v5, v1
	v_lshlrev_b32_e32 v1, 24, v4
	v_cmp_gt_i64_e32 vcc, 0, v[0:1]
	v_not_b32_e32 v1, v1
	v_ashrrev_i32_e32 v1, 31, v1
	v_xor_b32_e32 v4, vcc_hi, v1
	v_xor_b32_e32 v1, vcc_lo, v1
	; wave barrier
	ds_read_b32 v48, v53 offset:64
	v_and_b32_e32 v5, v49, v4
	v_and_b32_e32 v4, v51, v1
	v_mbcnt_lo_u32_b32 v1, v4, 0
	v_mbcnt_hi_u32_b32 v49, v5, v1
	v_cmp_eq_u32_e32 vcc, 0, v49
	v_cmp_ne_u64_e64 s[0:1], 0, v[4:5]
	s_and_b64 s[2:3], s[0:1], vcc
	; wave barrier
	s_and_saveexec_b64 s[0:1], s[2:3]
	s_cbranch_execz .LBB773_105
; %bb.104:
	v_bcnt_u32_b32 v1, v4, 0
	v_bcnt_u32_b32 v1, v5, v1
	s_waitcnt lgkmcnt(0)
	v_add_u32_e32 v1, v48, v1
	ds_write_b32 v53, v1 offset:64
.LBB773_105:
	s_or_b64 exec, exec, s[0:1]
	s_waitcnt vmcnt(0)
	v_lshrrev_b32_e32 v1, s16, v21
	v_and_b32_e32 v4, s17, v1
	v_lshl_add_u32 v1, v4, 4, v4
	v_add_lshl_u32 v54, v30, v1, 2
	v_and_b32_e32 v1, 1, v4
	v_add_co_u32_e32 v5, vcc, -1, v1
	v_addc_co_u32_e64 v30, s[0:1], 0, -1, vcc
	v_cmp_ne_u32_e32 vcc, 0, v1
	v_xor_b32_e32 v1, vcc_hi, v30
	v_and_b32_e32 v30, exec_hi, v1
	v_lshlrev_b32_e32 v1, 30, v4
	v_xor_b32_e32 v5, vcc_lo, v5
	v_cmp_gt_i64_e32 vcc, 0, v[0:1]
	v_not_b32_e32 v1, v1
	v_ashrrev_i32_e32 v1, 31, v1
	v_and_b32_e32 v5, exec_lo, v5
	v_xor_b32_e32 v52, vcc_hi, v1
	v_xor_b32_e32 v1, vcc_lo, v1
	v_and_b32_e32 v5, v5, v1
	v_lshlrev_b32_e32 v1, 29, v4
	v_cmp_gt_i64_e32 vcc, 0, v[0:1]
	v_not_b32_e32 v1, v1
	v_ashrrev_i32_e32 v1, 31, v1
	v_and_b32_e32 v30, v30, v52
	v_xor_b32_e32 v52, vcc_hi, v1
	v_xor_b32_e32 v1, vcc_lo, v1
	v_and_b32_e32 v5, v5, v1
	v_lshlrev_b32_e32 v1, 28, v4
	v_cmp_gt_i64_e32 vcc, 0, v[0:1]
	v_not_b32_e32 v1, v1
	v_ashrrev_i32_e32 v1, 31, v1
	v_and_b32_e32 v30, v30, v52
	;; [unrolled: 8-line block ×5, first 2 shown]
	v_xor_b32_e32 v52, vcc_hi, v1
	v_xor_b32_e32 v1, vcc_lo, v1
	v_and_b32_e32 v5, v5, v1
	v_lshlrev_b32_e32 v1, 24, v4
	v_cmp_gt_i64_e32 vcc, 0, v[0:1]
	v_not_b32_e32 v0, v1
	v_ashrrev_i32_e32 v0, 31, v0
	v_xor_b32_e32 v1, vcc_hi, v0
	v_xor_b32_e32 v0, vcc_lo, v0
	; wave barrier
	ds_read_b32 v51, v54 offset:64
	v_and_b32_e32 v30, v30, v52
	v_and_b32_e32 v0, v5, v0
	v_and_b32_e32 v1, v30, v1
	v_mbcnt_lo_u32_b32 v4, v0, 0
	v_mbcnt_hi_u32_b32 v52, v1, v4
	v_cmp_eq_u32_e32 vcc, 0, v52
	v_cmp_ne_u64_e64 s[0:1], 0, v[0:1]
	v_add_u32_e32 v55, 64, v6
	s_and_b64 s[2:3], s[0:1], vcc
	; wave barrier
	s_and_saveexec_b64 s[0:1], s[2:3]
	s_cbranch_execz .LBB773_107
; %bb.106:
	v_bcnt_u32_b32 v0, v0, 0
	v_bcnt_u32_b32 v0, v1, v0
	s_waitcnt lgkmcnt(0)
	v_add_u32_e32 v0, v51, v0
	ds_write_b32 v54, v0 offset:64
.LBB773_107:
	s_or_b64 exec, exec, s[0:1]
	; wave barrier
	s_waitcnt lgkmcnt(0)
	s_barrier
	ds_read2_b32 v[4:5], v6 offset0:16 offset1:17
	ds_read2_b32 v[0:1], v55 offset0:2 offset1:3
	ds_read_b32 v30, v55 offset:16
	v_cmp_lt_u32_e64 s[8:9], 31, v3
	s_waitcnt lgkmcnt(1)
	v_add3_u32 v56, v5, v4, v0
	s_waitcnt lgkmcnt(0)
	v_add3_u32 v30, v56, v1, v30
	v_and_b32_e32 v56, 15, v3
	v_cmp_eq_u32_e32 vcc, 0, v56
	v_mov_b32_dpp v57, v30 row_shr:1 row_mask:0xf bank_mask:0xf
	v_cndmask_b32_e64 v57, v57, 0, vcc
	v_add_u32_e32 v30, v57, v30
	v_cmp_lt_u32_e64 s[0:1], 1, v56
	v_cmp_lt_u32_e64 s[2:3], 3, v56
	v_mov_b32_dpp v57, v30 row_shr:2 row_mask:0xf bank_mask:0xf
	v_cndmask_b32_e64 v57, 0, v57, s[0:1]
	v_add_u32_e32 v30, v30, v57
	v_cmp_lt_u32_e64 s[4:5], 7, v56
	s_nop 0
	v_mov_b32_dpp v57, v30 row_shr:4 row_mask:0xf bank_mask:0xf
	v_cndmask_b32_e64 v57, 0, v57, s[2:3]
	v_add_u32_e32 v30, v30, v57
	s_nop 1
	v_mov_b32_dpp v57, v30 row_shr:8 row_mask:0xf bank_mask:0xf
	v_cndmask_b32_e64 v56, 0, v57, s[4:5]
	v_add_u32_e32 v30, v30, v56
	v_bfe_i32 v57, v3, 4, 1
	s_nop 0
	v_mov_b32_dpp v56, v30 row_bcast:15 row_mask:0xf bank_mask:0xf
	v_and_b32_e32 v56, v57, v56
	v_add_u32_e32 v30, v30, v56
	v_lshrrev_b32_e32 v57, 6, v2
	s_nop 0
	v_mov_b32_dpp v56, v30 row_bcast:31 row_mask:0xf bank_mask:0xf
	v_cndmask_b32_e64 v56, 0, v56, s[8:9]
	v_add_u32_e32 v56, v30, v56
	v_and_b32_e32 v30, 63, v2
	v_cmp_eq_u32_e64 s[8:9], 63, v30
	s_and_saveexec_b64 s[10:11], s[8:9]
	s_cbranch_execz .LBB773_109
; %bb.108:
	v_lshlrev_b32_e32 v30, 2, v57
	ds_write_b32 v30, v56
.LBB773_109:
	s_or_b64 exec, exec, s[10:11]
	v_cmp_gt_u32_e64 s[8:9], 16, v2
	v_lshlrev_b32_e32 v30, 2, v2
	s_waitcnt lgkmcnt(0)
	s_barrier
	s_and_saveexec_b64 s[10:11], s[8:9]
	s_cbranch_execz .LBB773_111
; %bb.110:
	ds_read_b32 v58, v30
	s_waitcnt lgkmcnt(0)
	s_nop 0
	v_mov_b32_dpp v59, v58 row_shr:1 row_mask:0xf bank_mask:0xf
	v_cndmask_b32_e64 v59, v59, 0, vcc
	v_add_u32_e32 v58, v59, v58
	s_nop 1
	v_mov_b32_dpp v59, v58 row_shr:2 row_mask:0xf bank_mask:0xf
	v_cndmask_b32_e64 v59, 0, v59, s[0:1]
	v_add_u32_e32 v58, v58, v59
	s_nop 1
	v_mov_b32_dpp v59, v58 row_shr:4 row_mask:0xf bank_mask:0xf
	v_cndmask_b32_e64 v59, 0, v59, s[2:3]
	;; [unrolled: 4-line block ×3, first 2 shown]
	v_add_u32_e32 v58, v58, v59
	ds_write_b32 v30, v58
.LBB773_111:
	s_or_b64 exec, exec, s[10:11]
	v_cmp_lt_u32_e32 vcc, 63, v2
	v_mov_b32_e32 v58, 0
	s_waitcnt lgkmcnt(0)
	s_barrier
	s_and_saveexec_b64 s[0:1], vcc
	s_cbranch_execz .LBB773_113
; %bb.112:
	v_lshl_add_u32 v57, v57, 2, -4
	ds_read_b32 v58, v57
.LBB773_113:
	s_or_b64 exec, exec, s[0:1]
	v_add_u32_e32 v57, -1, v3
	v_and_b32_e32 v59, 64, v3
	v_cmp_lt_i32_e32 vcc, v57, v59
	v_cndmask_b32_e32 v57, v57, v3, vcc
	s_waitcnt lgkmcnt(0)
	v_add_u32_e32 v56, v58, v56
	v_lshlrev_b32_e32 v57, 2, v57
	ds_bpermute_b32 v56, v57, v56
	v_cmp_eq_u32_e32 vcc, 0, v3
	s_movk_i32 s2, 0xff
	s_movk_i32 s0, 0x100
	v_cmp_gt_u32_e64 s[0:1], s0, v2
	s_waitcnt lgkmcnt(0)
	v_cndmask_b32_e32 v3, v56, v58, vcc
	v_cmp_ne_u32_e32 vcc, 0, v2
	v_cndmask_b32_e32 v3, 0, v3, vcc
	v_add_u32_e32 v4, v3, v4
	v_add_u32_e32 v5, v4, v5
	;; [unrolled: 1-line block ×4, first 2 shown]
	ds_write2_b32 v6, v3, v4 offset0:16 offset1:17
	ds_write2_b32 v55, v5, v0 offset0:2 offset1:3
	ds_write_b32 v55, v1 offset:16
	s_waitcnt lgkmcnt(0)
	s_barrier
	ds_read_b32 v60, v7 offset:64
	ds_read_b32 v55, v8 offset:64
	;; [unrolled: 1-line block ×12, first 2 shown]
	v_cmp_lt_u32_e32 vcc, s2, v2
	v_pk_mov_b32 v[4:5], 0, 0
                                        ; implicit-def: $vgpr40
	s_and_saveexec_b64 s[4:5], s[0:1]
	s_cbranch_execz .LBB773_117
; %bb.114:
	v_mul_u32_u24_e32 v0, 17, v2
	v_lshlrev_b32_e32 v1, 2, v0
	ds_read_b32 v4, v1 offset:64
	v_cmp_ne_u32_e64 s[2:3], s2, v2
	v_mov_b32_e32 v0, 0x3000
	s_and_saveexec_b64 s[8:9], s[2:3]
	s_cbranch_execz .LBB773_116
; %bb.115:
	ds_read_b32 v0, v1 offset:132
.LBB773_116:
	s_or_b64 exec, exec, s[8:9]
	s_waitcnt lgkmcnt(0)
	v_sub_u32_e32 v40, v0, v4
	v_mov_b32_e32 v5, 0
.LBB773_117:
	s_or_b64 exec, exec, s[4:5]
	s_waitcnt lgkmcnt(0)
	s_barrier
	s_and_saveexec_b64 s[2:3], vcc
	s_xor_b64 s[2:3], exec, s[2:3]
; %bb.118:
	v_mov_b32_e32 v3, 0
; %bb.119:
	s_andn2_saveexec_b64 s[2:3], s[2:3]
	s_cbranch_execz .LBB773_129
; %bb.120:
	v_lshl_or_b32 v0, s6, 8, v2
	v_mov_b32_e32 v1, 0
	v_lshlrev_b64 v[6:7], 2, v[0:1]
	v_mov_b32_e32 v3, s25
	v_add_co_u32_e32 v6, vcc, s24, v6
	v_addc_co_u32_e32 v7, vcc, v3, v7, vcc
	v_or_b32_e32 v0, 2.0, v40
	s_mov_b64 s[4:5], 0
	s_brev_b32 s18, 1
	s_mov_b32 s19, s6
	v_mov_b32_e32 v53, 0
	global_store_dword v[6:7], v0, off
                                        ; implicit-def: $sgpr8_sgpr9
	s_branch .LBB773_123
.LBB773_121:                            ;   in Loop: Header=BB773_123 Depth=1
	s_or_b64 exec, exec, s[10:11]
.LBB773_122:                            ;   in Loop: Header=BB773_123 Depth=1
	s_or_b64 exec, exec, s[8:9]
	v_and_b32_e32 v8, 0x3fffffff, v54
	v_add_u32_e32 v53, v8, v53
	v_cmp_eq_u32_e64 s[8:9], s18, v0
	s_and_b64 s[10:11], exec, s[8:9]
	s_or_b64 s[4:5], s[10:11], s[4:5]
	s_andn2_b64 exec, exec, s[4:5]
	s_cbranch_execz .LBB773_128
.LBB773_123:                            ; =>This Loop Header: Depth=1
                                        ;     Child Loop BB773_126 Depth 2
	s_or_b64 s[8:9], s[8:9], exec
	s_cmp_eq_u32 s19, 0
	s_cbranch_scc1 .LBB773_127
; %bb.124:                              ;   in Loop: Header=BB773_123 Depth=1
	s_add_i32 s19, s19, -1
	v_lshl_or_b32 v0, s19, 8, v2
	v_lshlrev_b64 v[8:9], 2, v[0:1]
	v_add_co_u32_e32 v8, vcc, s24, v8
	v_addc_co_u32_e32 v9, vcc, v3, v9, vcc
	global_load_dword v54, v[8:9], off glc
	s_waitcnt vmcnt(0)
	v_and_b32_e32 v0, -2.0, v54
	v_cmp_eq_u32_e32 vcc, 0, v0
	s_and_saveexec_b64 s[8:9], vcc
	s_cbranch_execz .LBB773_122
; %bb.125:                              ;   in Loop: Header=BB773_123 Depth=1
	s_mov_b64 s[10:11], 0
.LBB773_126:                            ;   Parent Loop BB773_123 Depth=1
                                        ; =>  This Inner Loop Header: Depth=2
	global_load_dword v54, v[8:9], off glc
	s_waitcnt vmcnt(0)
	v_and_b32_e32 v0, -2.0, v54
	v_cmp_ne_u32_e32 vcc, 0, v0
	s_or_b64 s[10:11], vcc, s[10:11]
	s_andn2_b64 exec, exec, s[10:11]
	s_cbranch_execnz .LBB773_126
	s_branch .LBB773_121
.LBB773_127:                            ;   in Loop: Header=BB773_123 Depth=1
                                        ; implicit-def: $sgpr19
	s_and_b64 s[10:11], exec, s[8:9]
	s_or_b64 s[4:5], s[10:11], s[4:5]
	s_andn2_b64 exec, exec, s[4:5]
	s_cbranch_execnz .LBB773_123
.LBB773_128:
	s_or_b64 exec, exec, s[4:5]
	v_add_u32_e32 v0, v53, v40
	v_or_b32_e32 v0, 0x80000000, v0
	global_store_dword v[6:7], v0, off
	v_lshlrev_b32_e32 v6, 3, v2
	global_load_dwordx2 v[0:1], v6, s[12:13]
	v_sub_co_u32_e32 v7, vcc, v53, v4
	v_subb_co_u32_e32 v8, vcc, 0, v5, vcc
	v_mov_b32_e32 v3, 0
	s_waitcnt vmcnt(0)
	v_add_co_u32_e32 v0, vcc, v7, v0
	v_addc_co_u32_e32 v1, vcc, v8, v1, vcc
	ds_write_b64 v6, v[0:1]
.LBB773_129:
	s_or_b64 exec, exec, s[2:3]
	v_lshlrev_b64 v[0:1], 2, v[2:3]
	v_add3_u32 v23, v24, v55, v23
	v_mov_b32_e32 v24, s23
	v_add_co_u32_e32 v0, vcc, s22, v0
	v_add_u32_e32 v6, v60, v22
	v_add_u32_e32 v7, 0x800, v30
	v_add3_u32 v8, v52, v50, v51
	v_add3_u32 v9, v49, v47, v48
	;; [unrolled: 1-line block ×10, first 2 shown]
	v_addc_co_u32_e32 v1, vcc, v24, v1, vcc
	s_mov_b32 s2, 0
	s_movk_i32 s3, 0x1000
	s_movk_i32 s4, 0x2000
.LBB773_130:                            ; =>This Inner Loop Header: Depth=1
	v_add_u32_e32 v24, s2, v6
	v_add_u32_e32 v38, s2, v36
	;; [unrolled: 1-line block ×12, first 2 shown]
	v_min_u32_e32 v24, 0x1000, v24
	v_min_u32_e32 v38, 0x1000, v38
	;; [unrolled: 1-line block ×12, first 2 shown]
	v_lshlrev_b32_e32 v24, 2, v24
	v_lshlrev_b32_e32 v38, 2, v38
	;; [unrolled: 1-line block ×12, first 2 shown]
	ds_write_b32 v24, v10 offset:2048
	ds_write_b32 v26, v11 offset:2048
	;; [unrolled: 1-line block ×12, first 2 shown]
	s_waitcnt lgkmcnt(0)
	s_barrier
	ds_read_b32 v24, v30 offset:2048
	ds_read2st64_b32 v[38:39], v7 offset0:16 offset1:32
	s_addk_i32 s2, 0xf000
	s_cmpk_lg_i32 s2, 0xd000
	s_waitcnt lgkmcnt(1)
	v_lshrrev_b32_e32 v26, s16, v24
	s_waitcnt lgkmcnt(0)
	v_lshrrev_b32_e32 v28, s16, v38
	v_lshrrev_b32_e32 v31, s16, v39
	v_and_b32_e32 v26, s17, v26
	v_and_b32_e32 v28, s17, v28
	;; [unrolled: 1-line block ×3, first 2 shown]
	v_lshlrev_b32_e32 v26, 3, v26
	v_lshlrev_b32_e32 v28, 3, v28
	;; [unrolled: 1-line block ×3, first 2 shown]
	ds_read_b64 v[42:43], v26
	ds_read_b64 v[44:45], v28
	;; [unrolled: 1-line block ×3, first 2 shown]
	ds_read_b32 v26, v7 offset:12288
	s_waitcnt lgkmcnt(3)
	v_lshlrev_b64 v[42:43], 2, v[42:43]
	v_add_co_u32_e32 v42, vcc, v0, v42
	s_waitcnt lgkmcnt(2)
	v_lshlrev_b64 v[44:45], 2, v[44:45]
	v_addc_co_u32_e32 v43, vcc, v1, v43, vcc
	v_add_co_u32_e32 v31, vcc, v0, v44
	s_waitcnt lgkmcnt(1)
	v_lshlrev_b64 v[46:47], 2, v[46:47]
	v_addc_co_u32_e32 v34, vcc, v1, v45, vcc
	v_add_co_u32_e32 v37, vcc, v0, v46
	s_waitcnt lgkmcnt(0)
	v_lshrrev_b32_e32 v28, s16, v26
	v_addc_co_u32_e32 v41, vcc, v1, v47, vcc
	v_and_b32_e32 v28, s17, v28
	global_store_dword v[42:43], v24, off
	v_add_co_u32_e32 v42, vcc, s3, v31
	v_addc_co_u32_e32 v43, vcc, 0, v34, vcc
	v_lshlrev_b32_e32 v24, 3, v28
	global_store_dword v[42:43], v38, off
	ds_read_b64 v[42:43], v24
	v_add_co_u32_e32 v44, vcc, s4, v37
	v_addc_co_u32_e32 v45, vcc, 0, v41, vcc
	global_store_dword v[44:45], v39, off
	s_waitcnt lgkmcnt(0)
	v_lshlrev_b64 v[38:39], 2, v[42:43]
	v_add_co_u32_e32 v24, vcc, v0, v38
	v_addc_co_u32_e32 v28, vcc, v1, v39, vcc
	v_add_co_u32_e32 v38, vcc, 0x3000, v24
	v_addc_co_u32_e32 v39, vcc, 0, v28, vcc
	;; [unrolled: 2-line block ×3, first 2 shown]
	global_store_dword v[38:39], v26, off
	s_barrier
	s_cbranch_scc1 .LBB773_130
; %bb.131:
	s_add_i32 s7, s7, -1
	s_cmp_eq_u32 s7, s6
	s_cselect_b64 s[2:3], -1, 0
	s_and_b64 s[0:1], s[0:1], s[2:3]
.LBB773_132:
	s_and_saveexec_b64 s[2:3], s[0:1]
	s_cbranch_execnz .LBB773_134
; %bb.133:
	s_endpgm
.LBB773_134:
	v_lshlrev_b32_e32 v6, 3, v2
	v_lshlrev_b64 v[0:1], 3, v[2:3]
	ds_read_b64 v[2:3], v6
	v_add_co_u32_e32 v4, vcc, v4, v40
	v_addc_co_u32_e32 v5, vcc, 0, v5, vcc
	v_mov_b32_e32 v7, s15
	v_add_co_u32_e32 v0, vcc, s14, v0
	v_addc_co_u32_e32 v1, vcc, v7, v1, vcc
	s_waitcnt lgkmcnt(0)
	v_add_co_u32_e32 v2, vcc, v4, v2
	v_addc_co_u32_e32 v3, vcc, v5, v3, vcc
	global_store_dwordx2 v[0:1], v[2:3], off
	s_endpgm
	.section	.rodata,"a",@progbits
	.p2align	6, 0x0
	.amdhsa_kernel _ZN7rocprim17ROCPRIM_400000_NS6detail17trampoline_kernelINS0_14default_configENS1_35radix_sort_onesweep_config_selectorIjNS0_10empty_typeEEEZZNS1_29radix_sort_onesweep_iterationIS3_Lb0EPjS8_PS5_S9_mNS0_19identity_decomposerENS1_16block_id_wrapperIjLb0EEEEE10hipError_tT1_PNSt15iterator_traitsISE_E10value_typeET2_T3_PNSF_ISK_E10value_typeET4_T5_PSP_SQ_PNS1_23onesweep_lookback_stateEbbT6_jjT7_P12ihipStream_tbENKUlT_T0_SE_SJ_E_clIS8_S8_S9_S9_EEDaSX_SY_SE_SJ_EUlSX_E_NS1_11comp_targetILNS1_3genE4ELNS1_11target_archE910ELNS1_3gpuE8ELNS1_3repE0EEENS1_47radix_sort_onesweep_sort_config_static_selectorELNS0_4arch9wavefront6targetE1EEEvSE_
		.amdhsa_group_segment_fixed_size 20552
		.amdhsa_private_segment_fixed_size 0
		.amdhsa_kernarg_size 344
		.amdhsa_user_sgpr_count 6
		.amdhsa_user_sgpr_private_segment_buffer 1
		.amdhsa_user_sgpr_dispatch_ptr 0
		.amdhsa_user_sgpr_queue_ptr 0
		.amdhsa_user_sgpr_kernarg_segment_ptr 1
		.amdhsa_user_sgpr_dispatch_id 0
		.amdhsa_user_sgpr_flat_scratch_init 0
		.amdhsa_user_sgpr_kernarg_preload_length 0
		.amdhsa_user_sgpr_kernarg_preload_offset 0
		.amdhsa_user_sgpr_private_segment_size 0
		.amdhsa_uses_dynamic_stack 0
		.amdhsa_system_sgpr_private_segment_wavefront_offset 0
		.amdhsa_system_sgpr_workgroup_id_x 1
		.amdhsa_system_sgpr_workgroup_id_y 0
		.amdhsa_system_sgpr_workgroup_id_z 0
		.amdhsa_system_sgpr_workgroup_info 0
		.amdhsa_system_vgpr_workitem_id 2
		.amdhsa_next_free_vgpr 63
		.amdhsa_next_free_sgpr 31
		.amdhsa_accum_offset 64
		.amdhsa_reserve_vcc 1
		.amdhsa_reserve_flat_scratch 0
		.amdhsa_float_round_mode_32 0
		.amdhsa_float_round_mode_16_64 0
		.amdhsa_float_denorm_mode_32 3
		.amdhsa_float_denorm_mode_16_64 3
		.amdhsa_dx10_clamp 1
		.amdhsa_ieee_mode 1
		.amdhsa_fp16_overflow 0
		.amdhsa_tg_split 0
		.amdhsa_exception_fp_ieee_invalid_op 0
		.amdhsa_exception_fp_denorm_src 0
		.amdhsa_exception_fp_ieee_div_zero 0
		.amdhsa_exception_fp_ieee_overflow 0
		.amdhsa_exception_fp_ieee_underflow 0
		.amdhsa_exception_fp_ieee_inexact 0
		.amdhsa_exception_int_div_zero 0
	.end_amdhsa_kernel
	.section	.text._ZN7rocprim17ROCPRIM_400000_NS6detail17trampoline_kernelINS0_14default_configENS1_35radix_sort_onesweep_config_selectorIjNS0_10empty_typeEEEZZNS1_29radix_sort_onesweep_iterationIS3_Lb0EPjS8_PS5_S9_mNS0_19identity_decomposerENS1_16block_id_wrapperIjLb0EEEEE10hipError_tT1_PNSt15iterator_traitsISE_E10value_typeET2_T3_PNSF_ISK_E10value_typeET4_T5_PSP_SQ_PNS1_23onesweep_lookback_stateEbbT6_jjT7_P12ihipStream_tbENKUlT_T0_SE_SJ_E_clIS8_S8_S9_S9_EEDaSX_SY_SE_SJ_EUlSX_E_NS1_11comp_targetILNS1_3genE4ELNS1_11target_archE910ELNS1_3gpuE8ELNS1_3repE0EEENS1_47radix_sort_onesweep_sort_config_static_selectorELNS0_4arch9wavefront6targetE1EEEvSE_,"axG",@progbits,_ZN7rocprim17ROCPRIM_400000_NS6detail17trampoline_kernelINS0_14default_configENS1_35radix_sort_onesweep_config_selectorIjNS0_10empty_typeEEEZZNS1_29radix_sort_onesweep_iterationIS3_Lb0EPjS8_PS5_S9_mNS0_19identity_decomposerENS1_16block_id_wrapperIjLb0EEEEE10hipError_tT1_PNSt15iterator_traitsISE_E10value_typeET2_T3_PNSF_ISK_E10value_typeET4_T5_PSP_SQ_PNS1_23onesweep_lookback_stateEbbT6_jjT7_P12ihipStream_tbENKUlT_T0_SE_SJ_E_clIS8_S8_S9_S9_EEDaSX_SY_SE_SJ_EUlSX_E_NS1_11comp_targetILNS1_3genE4ELNS1_11target_archE910ELNS1_3gpuE8ELNS1_3repE0EEENS1_47radix_sort_onesweep_sort_config_static_selectorELNS0_4arch9wavefront6targetE1EEEvSE_,comdat
.Lfunc_end773:
	.size	_ZN7rocprim17ROCPRIM_400000_NS6detail17trampoline_kernelINS0_14default_configENS1_35radix_sort_onesweep_config_selectorIjNS0_10empty_typeEEEZZNS1_29radix_sort_onesweep_iterationIS3_Lb0EPjS8_PS5_S9_mNS0_19identity_decomposerENS1_16block_id_wrapperIjLb0EEEEE10hipError_tT1_PNSt15iterator_traitsISE_E10value_typeET2_T3_PNSF_ISK_E10value_typeET4_T5_PSP_SQ_PNS1_23onesweep_lookback_stateEbbT6_jjT7_P12ihipStream_tbENKUlT_T0_SE_SJ_E_clIS8_S8_S9_S9_EEDaSX_SY_SE_SJ_EUlSX_E_NS1_11comp_targetILNS1_3genE4ELNS1_11target_archE910ELNS1_3gpuE8ELNS1_3repE0EEENS1_47radix_sort_onesweep_sort_config_static_selectorELNS0_4arch9wavefront6targetE1EEEvSE_, .Lfunc_end773-_ZN7rocprim17ROCPRIM_400000_NS6detail17trampoline_kernelINS0_14default_configENS1_35radix_sort_onesweep_config_selectorIjNS0_10empty_typeEEEZZNS1_29radix_sort_onesweep_iterationIS3_Lb0EPjS8_PS5_S9_mNS0_19identity_decomposerENS1_16block_id_wrapperIjLb0EEEEE10hipError_tT1_PNSt15iterator_traitsISE_E10value_typeET2_T3_PNSF_ISK_E10value_typeET4_T5_PSP_SQ_PNS1_23onesweep_lookback_stateEbbT6_jjT7_P12ihipStream_tbENKUlT_T0_SE_SJ_E_clIS8_S8_S9_S9_EEDaSX_SY_SE_SJ_EUlSX_E_NS1_11comp_targetILNS1_3genE4ELNS1_11target_archE910ELNS1_3gpuE8ELNS1_3repE0EEENS1_47radix_sort_onesweep_sort_config_static_selectorELNS0_4arch9wavefront6targetE1EEEvSE_
                                        ; -- End function
	.section	.AMDGPU.csdata,"",@progbits
; Kernel info:
; codeLenInByte = 13868
; NumSgprs: 35
; NumVgprs: 63
; NumAgprs: 0
; TotalNumVgprs: 63
; ScratchSize: 0
; MemoryBound: 0
; FloatMode: 240
; IeeeMode: 1
; LDSByteSize: 20552 bytes/workgroup (compile time only)
; SGPRBlocks: 4
; VGPRBlocks: 7
; NumSGPRsForWavesPerEU: 35
; NumVGPRsForWavesPerEU: 63
; AccumOffset: 64
; Occupancy: 8
; WaveLimiterHint : 1
; COMPUTE_PGM_RSRC2:SCRATCH_EN: 0
; COMPUTE_PGM_RSRC2:USER_SGPR: 6
; COMPUTE_PGM_RSRC2:TRAP_HANDLER: 0
; COMPUTE_PGM_RSRC2:TGID_X_EN: 1
; COMPUTE_PGM_RSRC2:TGID_Y_EN: 0
; COMPUTE_PGM_RSRC2:TGID_Z_EN: 0
; COMPUTE_PGM_RSRC2:TIDIG_COMP_CNT: 2
; COMPUTE_PGM_RSRC3_GFX90A:ACCUM_OFFSET: 15
; COMPUTE_PGM_RSRC3_GFX90A:TG_SPLIT: 0
	.section	.text._ZN7rocprim17ROCPRIM_400000_NS6detail17trampoline_kernelINS0_14default_configENS1_35radix_sort_onesweep_config_selectorIjNS0_10empty_typeEEEZZNS1_29radix_sort_onesweep_iterationIS3_Lb0EPjS8_PS5_S9_mNS0_19identity_decomposerENS1_16block_id_wrapperIjLb0EEEEE10hipError_tT1_PNSt15iterator_traitsISE_E10value_typeET2_T3_PNSF_ISK_E10value_typeET4_T5_PSP_SQ_PNS1_23onesweep_lookback_stateEbbT6_jjT7_P12ihipStream_tbENKUlT_T0_SE_SJ_E_clIS8_S8_S9_S9_EEDaSX_SY_SE_SJ_EUlSX_E_NS1_11comp_targetILNS1_3genE3ELNS1_11target_archE908ELNS1_3gpuE7ELNS1_3repE0EEENS1_47radix_sort_onesweep_sort_config_static_selectorELNS0_4arch9wavefront6targetE1EEEvSE_,"axG",@progbits,_ZN7rocprim17ROCPRIM_400000_NS6detail17trampoline_kernelINS0_14default_configENS1_35radix_sort_onesweep_config_selectorIjNS0_10empty_typeEEEZZNS1_29radix_sort_onesweep_iterationIS3_Lb0EPjS8_PS5_S9_mNS0_19identity_decomposerENS1_16block_id_wrapperIjLb0EEEEE10hipError_tT1_PNSt15iterator_traitsISE_E10value_typeET2_T3_PNSF_ISK_E10value_typeET4_T5_PSP_SQ_PNS1_23onesweep_lookback_stateEbbT6_jjT7_P12ihipStream_tbENKUlT_T0_SE_SJ_E_clIS8_S8_S9_S9_EEDaSX_SY_SE_SJ_EUlSX_E_NS1_11comp_targetILNS1_3genE3ELNS1_11target_archE908ELNS1_3gpuE7ELNS1_3repE0EEENS1_47radix_sort_onesweep_sort_config_static_selectorELNS0_4arch9wavefront6targetE1EEEvSE_,comdat
	.protected	_ZN7rocprim17ROCPRIM_400000_NS6detail17trampoline_kernelINS0_14default_configENS1_35radix_sort_onesweep_config_selectorIjNS0_10empty_typeEEEZZNS1_29radix_sort_onesweep_iterationIS3_Lb0EPjS8_PS5_S9_mNS0_19identity_decomposerENS1_16block_id_wrapperIjLb0EEEEE10hipError_tT1_PNSt15iterator_traitsISE_E10value_typeET2_T3_PNSF_ISK_E10value_typeET4_T5_PSP_SQ_PNS1_23onesweep_lookback_stateEbbT6_jjT7_P12ihipStream_tbENKUlT_T0_SE_SJ_E_clIS8_S8_S9_S9_EEDaSX_SY_SE_SJ_EUlSX_E_NS1_11comp_targetILNS1_3genE3ELNS1_11target_archE908ELNS1_3gpuE7ELNS1_3repE0EEENS1_47radix_sort_onesweep_sort_config_static_selectorELNS0_4arch9wavefront6targetE1EEEvSE_ ; -- Begin function _ZN7rocprim17ROCPRIM_400000_NS6detail17trampoline_kernelINS0_14default_configENS1_35radix_sort_onesweep_config_selectorIjNS0_10empty_typeEEEZZNS1_29radix_sort_onesweep_iterationIS3_Lb0EPjS8_PS5_S9_mNS0_19identity_decomposerENS1_16block_id_wrapperIjLb0EEEEE10hipError_tT1_PNSt15iterator_traitsISE_E10value_typeET2_T3_PNSF_ISK_E10value_typeET4_T5_PSP_SQ_PNS1_23onesweep_lookback_stateEbbT6_jjT7_P12ihipStream_tbENKUlT_T0_SE_SJ_E_clIS8_S8_S9_S9_EEDaSX_SY_SE_SJ_EUlSX_E_NS1_11comp_targetILNS1_3genE3ELNS1_11target_archE908ELNS1_3gpuE7ELNS1_3repE0EEENS1_47radix_sort_onesweep_sort_config_static_selectorELNS0_4arch9wavefront6targetE1EEEvSE_
	.globl	_ZN7rocprim17ROCPRIM_400000_NS6detail17trampoline_kernelINS0_14default_configENS1_35radix_sort_onesweep_config_selectorIjNS0_10empty_typeEEEZZNS1_29radix_sort_onesweep_iterationIS3_Lb0EPjS8_PS5_S9_mNS0_19identity_decomposerENS1_16block_id_wrapperIjLb0EEEEE10hipError_tT1_PNSt15iterator_traitsISE_E10value_typeET2_T3_PNSF_ISK_E10value_typeET4_T5_PSP_SQ_PNS1_23onesweep_lookback_stateEbbT6_jjT7_P12ihipStream_tbENKUlT_T0_SE_SJ_E_clIS8_S8_S9_S9_EEDaSX_SY_SE_SJ_EUlSX_E_NS1_11comp_targetILNS1_3genE3ELNS1_11target_archE908ELNS1_3gpuE7ELNS1_3repE0EEENS1_47radix_sort_onesweep_sort_config_static_selectorELNS0_4arch9wavefront6targetE1EEEvSE_
	.p2align	8
	.type	_ZN7rocprim17ROCPRIM_400000_NS6detail17trampoline_kernelINS0_14default_configENS1_35radix_sort_onesweep_config_selectorIjNS0_10empty_typeEEEZZNS1_29radix_sort_onesweep_iterationIS3_Lb0EPjS8_PS5_S9_mNS0_19identity_decomposerENS1_16block_id_wrapperIjLb0EEEEE10hipError_tT1_PNSt15iterator_traitsISE_E10value_typeET2_T3_PNSF_ISK_E10value_typeET4_T5_PSP_SQ_PNS1_23onesweep_lookback_stateEbbT6_jjT7_P12ihipStream_tbENKUlT_T0_SE_SJ_E_clIS8_S8_S9_S9_EEDaSX_SY_SE_SJ_EUlSX_E_NS1_11comp_targetILNS1_3genE3ELNS1_11target_archE908ELNS1_3gpuE7ELNS1_3repE0EEENS1_47radix_sort_onesweep_sort_config_static_selectorELNS0_4arch9wavefront6targetE1EEEvSE_,@function
_ZN7rocprim17ROCPRIM_400000_NS6detail17trampoline_kernelINS0_14default_configENS1_35radix_sort_onesweep_config_selectorIjNS0_10empty_typeEEEZZNS1_29radix_sort_onesweep_iterationIS3_Lb0EPjS8_PS5_S9_mNS0_19identity_decomposerENS1_16block_id_wrapperIjLb0EEEEE10hipError_tT1_PNSt15iterator_traitsISE_E10value_typeET2_T3_PNSF_ISK_E10value_typeET4_T5_PSP_SQ_PNS1_23onesweep_lookback_stateEbbT6_jjT7_P12ihipStream_tbENKUlT_T0_SE_SJ_E_clIS8_S8_S9_S9_EEDaSX_SY_SE_SJ_EUlSX_E_NS1_11comp_targetILNS1_3genE3ELNS1_11target_archE908ELNS1_3gpuE7ELNS1_3repE0EEENS1_47radix_sort_onesweep_sort_config_static_selectorELNS0_4arch9wavefront6targetE1EEEvSE_: ; @_ZN7rocprim17ROCPRIM_400000_NS6detail17trampoline_kernelINS0_14default_configENS1_35radix_sort_onesweep_config_selectorIjNS0_10empty_typeEEEZZNS1_29radix_sort_onesweep_iterationIS3_Lb0EPjS8_PS5_S9_mNS0_19identity_decomposerENS1_16block_id_wrapperIjLb0EEEEE10hipError_tT1_PNSt15iterator_traitsISE_E10value_typeET2_T3_PNSF_ISK_E10value_typeET4_T5_PSP_SQ_PNS1_23onesweep_lookback_stateEbbT6_jjT7_P12ihipStream_tbENKUlT_T0_SE_SJ_E_clIS8_S8_S9_S9_EEDaSX_SY_SE_SJ_EUlSX_E_NS1_11comp_targetILNS1_3genE3ELNS1_11target_archE908ELNS1_3gpuE7ELNS1_3repE0EEENS1_47radix_sort_onesweep_sort_config_static_selectorELNS0_4arch9wavefront6targetE1EEEvSE_
; %bb.0:
	.section	.rodata,"a",@progbits
	.p2align	6, 0x0
	.amdhsa_kernel _ZN7rocprim17ROCPRIM_400000_NS6detail17trampoline_kernelINS0_14default_configENS1_35radix_sort_onesweep_config_selectorIjNS0_10empty_typeEEEZZNS1_29radix_sort_onesweep_iterationIS3_Lb0EPjS8_PS5_S9_mNS0_19identity_decomposerENS1_16block_id_wrapperIjLb0EEEEE10hipError_tT1_PNSt15iterator_traitsISE_E10value_typeET2_T3_PNSF_ISK_E10value_typeET4_T5_PSP_SQ_PNS1_23onesweep_lookback_stateEbbT6_jjT7_P12ihipStream_tbENKUlT_T0_SE_SJ_E_clIS8_S8_S9_S9_EEDaSX_SY_SE_SJ_EUlSX_E_NS1_11comp_targetILNS1_3genE3ELNS1_11target_archE908ELNS1_3gpuE7ELNS1_3repE0EEENS1_47radix_sort_onesweep_sort_config_static_selectorELNS0_4arch9wavefront6targetE1EEEvSE_
		.amdhsa_group_segment_fixed_size 0
		.amdhsa_private_segment_fixed_size 0
		.amdhsa_kernarg_size 88
		.amdhsa_user_sgpr_count 6
		.amdhsa_user_sgpr_private_segment_buffer 1
		.amdhsa_user_sgpr_dispatch_ptr 0
		.amdhsa_user_sgpr_queue_ptr 0
		.amdhsa_user_sgpr_kernarg_segment_ptr 1
		.amdhsa_user_sgpr_dispatch_id 0
		.amdhsa_user_sgpr_flat_scratch_init 0
		.amdhsa_user_sgpr_kernarg_preload_length 0
		.amdhsa_user_sgpr_kernarg_preload_offset 0
		.amdhsa_user_sgpr_private_segment_size 0
		.amdhsa_uses_dynamic_stack 0
		.amdhsa_system_sgpr_private_segment_wavefront_offset 0
		.amdhsa_system_sgpr_workgroup_id_x 1
		.amdhsa_system_sgpr_workgroup_id_y 0
		.amdhsa_system_sgpr_workgroup_id_z 0
		.amdhsa_system_sgpr_workgroup_info 0
		.amdhsa_system_vgpr_workitem_id 0
		.amdhsa_next_free_vgpr 1
		.amdhsa_next_free_sgpr 0
		.amdhsa_accum_offset 4
		.amdhsa_reserve_vcc 0
		.amdhsa_reserve_flat_scratch 0
		.amdhsa_float_round_mode_32 0
		.amdhsa_float_round_mode_16_64 0
		.amdhsa_float_denorm_mode_32 3
		.amdhsa_float_denorm_mode_16_64 3
		.amdhsa_dx10_clamp 1
		.amdhsa_ieee_mode 1
		.amdhsa_fp16_overflow 0
		.amdhsa_tg_split 0
		.amdhsa_exception_fp_ieee_invalid_op 0
		.amdhsa_exception_fp_denorm_src 0
		.amdhsa_exception_fp_ieee_div_zero 0
		.amdhsa_exception_fp_ieee_overflow 0
		.amdhsa_exception_fp_ieee_underflow 0
		.amdhsa_exception_fp_ieee_inexact 0
		.amdhsa_exception_int_div_zero 0
	.end_amdhsa_kernel
	.section	.text._ZN7rocprim17ROCPRIM_400000_NS6detail17trampoline_kernelINS0_14default_configENS1_35radix_sort_onesweep_config_selectorIjNS0_10empty_typeEEEZZNS1_29radix_sort_onesweep_iterationIS3_Lb0EPjS8_PS5_S9_mNS0_19identity_decomposerENS1_16block_id_wrapperIjLb0EEEEE10hipError_tT1_PNSt15iterator_traitsISE_E10value_typeET2_T3_PNSF_ISK_E10value_typeET4_T5_PSP_SQ_PNS1_23onesweep_lookback_stateEbbT6_jjT7_P12ihipStream_tbENKUlT_T0_SE_SJ_E_clIS8_S8_S9_S9_EEDaSX_SY_SE_SJ_EUlSX_E_NS1_11comp_targetILNS1_3genE3ELNS1_11target_archE908ELNS1_3gpuE7ELNS1_3repE0EEENS1_47radix_sort_onesweep_sort_config_static_selectorELNS0_4arch9wavefront6targetE1EEEvSE_,"axG",@progbits,_ZN7rocprim17ROCPRIM_400000_NS6detail17trampoline_kernelINS0_14default_configENS1_35radix_sort_onesweep_config_selectorIjNS0_10empty_typeEEEZZNS1_29radix_sort_onesweep_iterationIS3_Lb0EPjS8_PS5_S9_mNS0_19identity_decomposerENS1_16block_id_wrapperIjLb0EEEEE10hipError_tT1_PNSt15iterator_traitsISE_E10value_typeET2_T3_PNSF_ISK_E10value_typeET4_T5_PSP_SQ_PNS1_23onesweep_lookback_stateEbbT6_jjT7_P12ihipStream_tbENKUlT_T0_SE_SJ_E_clIS8_S8_S9_S9_EEDaSX_SY_SE_SJ_EUlSX_E_NS1_11comp_targetILNS1_3genE3ELNS1_11target_archE908ELNS1_3gpuE7ELNS1_3repE0EEENS1_47radix_sort_onesweep_sort_config_static_selectorELNS0_4arch9wavefront6targetE1EEEvSE_,comdat
.Lfunc_end774:
	.size	_ZN7rocprim17ROCPRIM_400000_NS6detail17trampoline_kernelINS0_14default_configENS1_35radix_sort_onesweep_config_selectorIjNS0_10empty_typeEEEZZNS1_29radix_sort_onesweep_iterationIS3_Lb0EPjS8_PS5_S9_mNS0_19identity_decomposerENS1_16block_id_wrapperIjLb0EEEEE10hipError_tT1_PNSt15iterator_traitsISE_E10value_typeET2_T3_PNSF_ISK_E10value_typeET4_T5_PSP_SQ_PNS1_23onesweep_lookback_stateEbbT6_jjT7_P12ihipStream_tbENKUlT_T0_SE_SJ_E_clIS8_S8_S9_S9_EEDaSX_SY_SE_SJ_EUlSX_E_NS1_11comp_targetILNS1_3genE3ELNS1_11target_archE908ELNS1_3gpuE7ELNS1_3repE0EEENS1_47radix_sort_onesweep_sort_config_static_selectorELNS0_4arch9wavefront6targetE1EEEvSE_, .Lfunc_end774-_ZN7rocprim17ROCPRIM_400000_NS6detail17trampoline_kernelINS0_14default_configENS1_35radix_sort_onesweep_config_selectorIjNS0_10empty_typeEEEZZNS1_29radix_sort_onesweep_iterationIS3_Lb0EPjS8_PS5_S9_mNS0_19identity_decomposerENS1_16block_id_wrapperIjLb0EEEEE10hipError_tT1_PNSt15iterator_traitsISE_E10value_typeET2_T3_PNSF_ISK_E10value_typeET4_T5_PSP_SQ_PNS1_23onesweep_lookback_stateEbbT6_jjT7_P12ihipStream_tbENKUlT_T0_SE_SJ_E_clIS8_S8_S9_S9_EEDaSX_SY_SE_SJ_EUlSX_E_NS1_11comp_targetILNS1_3genE3ELNS1_11target_archE908ELNS1_3gpuE7ELNS1_3repE0EEENS1_47radix_sort_onesweep_sort_config_static_selectorELNS0_4arch9wavefront6targetE1EEEvSE_
                                        ; -- End function
	.section	.AMDGPU.csdata,"",@progbits
; Kernel info:
; codeLenInByte = 0
; NumSgprs: 4
; NumVgprs: 0
; NumAgprs: 0
; TotalNumVgprs: 0
; ScratchSize: 0
; MemoryBound: 0
; FloatMode: 240
; IeeeMode: 1
; LDSByteSize: 0 bytes/workgroup (compile time only)
; SGPRBlocks: 0
; VGPRBlocks: 0
; NumSGPRsForWavesPerEU: 4
; NumVGPRsForWavesPerEU: 1
; AccumOffset: 4
; Occupancy: 8
; WaveLimiterHint : 0
; COMPUTE_PGM_RSRC2:SCRATCH_EN: 0
; COMPUTE_PGM_RSRC2:USER_SGPR: 6
; COMPUTE_PGM_RSRC2:TRAP_HANDLER: 0
; COMPUTE_PGM_RSRC2:TGID_X_EN: 1
; COMPUTE_PGM_RSRC2:TGID_Y_EN: 0
; COMPUTE_PGM_RSRC2:TGID_Z_EN: 0
; COMPUTE_PGM_RSRC2:TIDIG_COMP_CNT: 0
; COMPUTE_PGM_RSRC3_GFX90A:ACCUM_OFFSET: 0
; COMPUTE_PGM_RSRC3_GFX90A:TG_SPLIT: 0
	.section	.text._ZN7rocprim17ROCPRIM_400000_NS6detail17trampoline_kernelINS0_14default_configENS1_35radix_sort_onesweep_config_selectorIjNS0_10empty_typeEEEZZNS1_29radix_sort_onesweep_iterationIS3_Lb0EPjS8_PS5_S9_mNS0_19identity_decomposerENS1_16block_id_wrapperIjLb0EEEEE10hipError_tT1_PNSt15iterator_traitsISE_E10value_typeET2_T3_PNSF_ISK_E10value_typeET4_T5_PSP_SQ_PNS1_23onesweep_lookback_stateEbbT6_jjT7_P12ihipStream_tbENKUlT_T0_SE_SJ_E_clIS8_S8_S9_S9_EEDaSX_SY_SE_SJ_EUlSX_E_NS1_11comp_targetILNS1_3genE10ELNS1_11target_archE1201ELNS1_3gpuE5ELNS1_3repE0EEENS1_47radix_sort_onesweep_sort_config_static_selectorELNS0_4arch9wavefront6targetE1EEEvSE_,"axG",@progbits,_ZN7rocprim17ROCPRIM_400000_NS6detail17trampoline_kernelINS0_14default_configENS1_35radix_sort_onesweep_config_selectorIjNS0_10empty_typeEEEZZNS1_29radix_sort_onesweep_iterationIS3_Lb0EPjS8_PS5_S9_mNS0_19identity_decomposerENS1_16block_id_wrapperIjLb0EEEEE10hipError_tT1_PNSt15iterator_traitsISE_E10value_typeET2_T3_PNSF_ISK_E10value_typeET4_T5_PSP_SQ_PNS1_23onesweep_lookback_stateEbbT6_jjT7_P12ihipStream_tbENKUlT_T0_SE_SJ_E_clIS8_S8_S9_S9_EEDaSX_SY_SE_SJ_EUlSX_E_NS1_11comp_targetILNS1_3genE10ELNS1_11target_archE1201ELNS1_3gpuE5ELNS1_3repE0EEENS1_47radix_sort_onesweep_sort_config_static_selectorELNS0_4arch9wavefront6targetE1EEEvSE_,comdat
	.protected	_ZN7rocprim17ROCPRIM_400000_NS6detail17trampoline_kernelINS0_14default_configENS1_35radix_sort_onesweep_config_selectorIjNS0_10empty_typeEEEZZNS1_29radix_sort_onesweep_iterationIS3_Lb0EPjS8_PS5_S9_mNS0_19identity_decomposerENS1_16block_id_wrapperIjLb0EEEEE10hipError_tT1_PNSt15iterator_traitsISE_E10value_typeET2_T3_PNSF_ISK_E10value_typeET4_T5_PSP_SQ_PNS1_23onesweep_lookback_stateEbbT6_jjT7_P12ihipStream_tbENKUlT_T0_SE_SJ_E_clIS8_S8_S9_S9_EEDaSX_SY_SE_SJ_EUlSX_E_NS1_11comp_targetILNS1_3genE10ELNS1_11target_archE1201ELNS1_3gpuE5ELNS1_3repE0EEENS1_47radix_sort_onesweep_sort_config_static_selectorELNS0_4arch9wavefront6targetE1EEEvSE_ ; -- Begin function _ZN7rocprim17ROCPRIM_400000_NS6detail17trampoline_kernelINS0_14default_configENS1_35radix_sort_onesweep_config_selectorIjNS0_10empty_typeEEEZZNS1_29radix_sort_onesweep_iterationIS3_Lb0EPjS8_PS5_S9_mNS0_19identity_decomposerENS1_16block_id_wrapperIjLb0EEEEE10hipError_tT1_PNSt15iterator_traitsISE_E10value_typeET2_T3_PNSF_ISK_E10value_typeET4_T5_PSP_SQ_PNS1_23onesweep_lookback_stateEbbT6_jjT7_P12ihipStream_tbENKUlT_T0_SE_SJ_E_clIS8_S8_S9_S9_EEDaSX_SY_SE_SJ_EUlSX_E_NS1_11comp_targetILNS1_3genE10ELNS1_11target_archE1201ELNS1_3gpuE5ELNS1_3repE0EEENS1_47radix_sort_onesweep_sort_config_static_selectorELNS0_4arch9wavefront6targetE1EEEvSE_
	.globl	_ZN7rocprim17ROCPRIM_400000_NS6detail17trampoline_kernelINS0_14default_configENS1_35radix_sort_onesweep_config_selectorIjNS0_10empty_typeEEEZZNS1_29radix_sort_onesweep_iterationIS3_Lb0EPjS8_PS5_S9_mNS0_19identity_decomposerENS1_16block_id_wrapperIjLb0EEEEE10hipError_tT1_PNSt15iterator_traitsISE_E10value_typeET2_T3_PNSF_ISK_E10value_typeET4_T5_PSP_SQ_PNS1_23onesweep_lookback_stateEbbT6_jjT7_P12ihipStream_tbENKUlT_T0_SE_SJ_E_clIS8_S8_S9_S9_EEDaSX_SY_SE_SJ_EUlSX_E_NS1_11comp_targetILNS1_3genE10ELNS1_11target_archE1201ELNS1_3gpuE5ELNS1_3repE0EEENS1_47radix_sort_onesweep_sort_config_static_selectorELNS0_4arch9wavefront6targetE1EEEvSE_
	.p2align	8
	.type	_ZN7rocprim17ROCPRIM_400000_NS6detail17trampoline_kernelINS0_14default_configENS1_35radix_sort_onesweep_config_selectorIjNS0_10empty_typeEEEZZNS1_29radix_sort_onesweep_iterationIS3_Lb0EPjS8_PS5_S9_mNS0_19identity_decomposerENS1_16block_id_wrapperIjLb0EEEEE10hipError_tT1_PNSt15iterator_traitsISE_E10value_typeET2_T3_PNSF_ISK_E10value_typeET4_T5_PSP_SQ_PNS1_23onesweep_lookback_stateEbbT6_jjT7_P12ihipStream_tbENKUlT_T0_SE_SJ_E_clIS8_S8_S9_S9_EEDaSX_SY_SE_SJ_EUlSX_E_NS1_11comp_targetILNS1_3genE10ELNS1_11target_archE1201ELNS1_3gpuE5ELNS1_3repE0EEENS1_47radix_sort_onesweep_sort_config_static_selectorELNS0_4arch9wavefront6targetE1EEEvSE_,@function
_ZN7rocprim17ROCPRIM_400000_NS6detail17trampoline_kernelINS0_14default_configENS1_35radix_sort_onesweep_config_selectorIjNS0_10empty_typeEEEZZNS1_29radix_sort_onesweep_iterationIS3_Lb0EPjS8_PS5_S9_mNS0_19identity_decomposerENS1_16block_id_wrapperIjLb0EEEEE10hipError_tT1_PNSt15iterator_traitsISE_E10value_typeET2_T3_PNSF_ISK_E10value_typeET4_T5_PSP_SQ_PNS1_23onesweep_lookback_stateEbbT6_jjT7_P12ihipStream_tbENKUlT_T0_SE_SJ_E_clIS8_S8_S9_S9_EEDaSX_SY_SE_SJ_EUlSX_E_NS1_11comp_targetILNS1_3genE10ELNS1_11target_archE1201ELNS1_3gpuE5ELNS1_3repE0EEENS1_47radix_sort_onesweep_sort_config_static_selectorELNS0_4arch9wavefront6targetE1EEEvSE_: ; @_ZN7rocprim17ROCPRIM_400000_NS6detail17trampoline_kernelINS0_14default_configENS1_35radix_sort_onesweep_config_selectorIjNS0_10empty_typeEEEZZNS1_29radix_sort_onesweep_iterationIS3_Lb0EPjS8_PS5_S9_mNS0_19identity_decomposerENS1_16block_id_wrapperIjLb0EEEEE10hipError_tT1_PNSt15iterator_traitsISE_E10value_typeET2_T3_PNSF_ISK_E10value_typeET4_T5_PSP_SQ_PNS1_23onesweep_lookback_stateEbbT6_jjT7_P12ihipStream_tbENKUlT_T0_SE_SJ_E_clIS8_S8_S9_S9_EEDaSX_SY_SE_SJ_EUlSX_E_NS1_11comp_targetILNS1_3genE10ELNS1_11target_archE1201ELNS1_3gpuE5ELNS1_3repE0EEENS1_47radix_sort_onesweep_sort_config_static_selectorELNS0_4arch9wavefront6targetE1EEEvSE_
; %bb.0:
	.section	.rodata,"a",@progbits
	.p2align	6, 0x0
	.amdhsa_kernel _ZN7rocprim17ROCPRIM_400000_NS6detail17trampoline_kernelINS0_14default_configENS1_35radix_sort_onesweep_config_selectorIjNS0_10empty_typeEEEZZNS1_29radix_sort_onesweep_iterationIS3_Lb0EPjS8_PS5_S9_mNS0_19identity_decomposerENS1_16block_id_wrapperIjLb0EEEEE10hipError_tT1_PNSt15iterator_traitsISE_E10value_typeET2_T3_PNSF_ISK_E10value_typeET4_T5_PSP_SQ_PNS1_23onesweep_lookback_stateEbbT6_jjT7_P12ihipStream_tbENKUlT_T0_SE_SJ_E_clIS8_S8_S9_S9_EEDaSX_SY_SE_SJ_EUlSX_E_NS1_11comp_targetILNS1_3genE10ELNS1_11target_archE1201ELNS1_3gpuE5ELNS1_3repE0EEENS1_47radix_sort_onesweep_sort_config_static_selectorELNS0_4arch9wavefront6targetE1EEEvSE_
		.amdhsa_group_segment_fixed_size 0
		.amdhsa_private_segment_fixed_size 0
		.amdhsa_kernarg_size 88
		.amdhsa_user_sgpr_count 6
		.amdhsa_user_sgpr_private_segment_buffer 1
		.amdhsa_user_sgpr_dispatch_ptr 0
		.amdhsa_user_sgpr_queue_ptr 0
		.amdhsa_user_sgpr_kernarg_segment_ptr 1
		.amdhsa_user_sgpr_dispatch_id 0
		.amdhsa_user_sgpr_flat_scratch_init 0
		.amdhsa_user_sgpr_kernarg_preload_length 0
		.amdhsa_user_sgpr_kernarg_preload_offset 0
		.amdhsa_user_sgpr_private_segment_size 0
		.amdhsa_uses_dynamic_stack 0
		.amdhsa_system_sgpr_private_segment_wavefront_offset 0
		.amdhsa_system_sgpr_workgroup_id_x 1
		.amdhsa_system_sgpr_workgroup_id_y 0
		.amdhsa_system_sgpr_workgroup_id_z 0
		.amdhsa_system_sgpr_workgroup_info 0
		.amdhsa_system_vgpr_workitem_id 0
		.amdhsa_next_free_vgpr 1
		.amdhsa_next_free_sgpr 0
		.amdhsa_accum_offset 4
		.amdhsa_reserve_vcc 0
		.amdhsa_reserve_flat_scratch 0
		.amdhsa_float_round_mode_32 0
		.amdhsa_float_round_mode_16_64 0
		.amdhsa_float_denorm_mode_32 3
		.amdhsa_float_denorm_mode_16_64 3
		.amdhsa_dx10_clamp 1
		.amdhsa_ieee_mode 1
		.amdhsa_fp16_overflow 0
		.amdhsa_tg_split 0
		.amdhsa_exception_fp_ieee_invalid_op 0
		.amdhsa_exception_fp_denorm_src 0
		.amdhsa_exception_fp_ieee_div_zero 0
		.amdhsa_exception_fp_ieee_overflow 0
		.amdhsa_exception_fp_ieee_underflow 0
		.amdhsa_exception_fp_ieee_inexact 0
		.amdhsa_exception_int_div_zero 0
	.end_amdhsa_kernel
	.section	.text._ZN7rocprim17ROCPRIM_400000_NS6detail17trampoline_kernelINS0_14default_configENS1_35radix_sort_onesweep_config_selectorIjNS0_10empty_typeEEEZZNS1_29radix_sort_onesweep_iterationIS3_Lb0EPjS8_PS5_S9_mNS0_19identity_decomposerENS1_16block_id_wrapperIjLb0EEEEE10hipError_tT1_PNSt15iterator_traitsISE_E10value_typeET2_T3_PNSF_ISK_E10value_typeET4_T5_PSP_SQ_PNS1_23onesweep_lookback_stateEbbT6_jjT7_P12ihipStream_tbENKUlT_T0_SE_SJ_E_clIS8_S8_S9_S9_EEDaSX_SY_SE_SJ_EUlSX_E_NS1_11comp_targetILNS1_3genE10ELNS1_11target_archE1201ELNS1_3gpuE5ELNS1_3repE0EEENS1_47radix_sort_onesweep_sort_config_static_selectorELNS0_4arch9wavefront6targetE1EEEvSE_,"axG",@progbits,_ZN7rocprim17ROCPRIM_400000_NS6detail17trampoline_kernelINS0_14default_configENS1_35radix_sort_onesweep_config_selectorIjNS0_10empty_typeEEEZZNS1_29radix_sort_onesweep_iterationIS3_Lb0EPjS8_PS5_S9_mNS0_19identity_decomposerENS1_16block_id_wrapperIjLb0EEEEE10hipError_tT1_PNSt15iterator_traitsISE_E10value_typeET2_T3_PNSF_ISK_E10value_typeET4_T5_PSP_SQ_PNS1_23onesweep_lookback_stateEbbT6_jjT7_P12ihipStream_tbENKUlT_T0_SE_SJ_E_clIS8_S8_S9_S9_EEDaSX_SY_SE_SJ_EUlSX_E_NS1_11comp_targetILNS1_3genE10ELNS1_11target_archE1201ELNS1_3gpuE5ELNS1_3repE0EEENS1_47radix_sort_onesweep_sort_config_static_selectorELNS0_4arch9wavefront6targetE1EEEvSE_,comdat
.Lfunc_end775:
	.size	_ZN7rocprim17ROCPRIM_400000_NS6detail17trampoline_kernelINS0_14default_configENS1_35radix_sort_onesweep_config_selectorIjNS0_10empty_typeEEEZZNS1_29radix_sort_onesweep_iterationIS3_Lb0EPjS8_PS5_S9_mNS0_19identity_decomposerENS1_16block_id_wrapperIjLb0EEEEE10hipError_tT1_PNSt15iterator_traitsISE_E10value_typeET2_T3_PNSF_ISK_E10value_typeET4_T5_PSP_SQ_PNS1_23onesweep_lookback_stateEbbT6_jjT7_P12ihipStream_tbENKUlT_T0_SE_SJ_E_clIS8_S8_S9_S9_EEDaSX_SY_SE_SJ_EUlSX_E_NS1_11comp_targetILNS1_3genE10ELNS1_11target_archE1201ELNS1_3gpuE5ELNS1_3repE0EEENS1_47radix_sort_onesweep_sort_config_static_selectorELNS0_4arch9wavefront6targetE1EEEvSE_, .Lfunc_end775-_ZN7rocprim17ROCPRIM_400000_NS6detail17trampoline_kernelINS0_14default_configENS1_35radix_sort_onesweep_config_selectorIjNS0_10empty_typeEEEZZNS1_29radix_sort_onesweep_iterationIS3_Lb0EPjS8_PS5_S9_mNS0_19identity_decomposerENS1_16block_id_wrapperIjLb0EEEEE10hipError_tT1_PNSt15iterator_traitsISE_E10value_typeET2_T3_PNSF_ISK_E10value_typeET4_T5_PSP_SQ_PNS1_23onesweep_lookback_stateEbbT6_jjT7_P12ihipStream_tbENKUlT_T0_SE_SJ_E_clIS8_S8_S9_S9_EEDaSX_SY_SE_SJ_EUlSX_E_NS1_11comp_targetILNS1_3genE10ELNS1_11target_archE1201ELNS1_3gpuE5ELNS1_3repE0EEENS1_47radix_sort_onesweep_sort_config_static_selectorELNS0_4arch9wavefront6targetE1EEEvSE_
                                        ; -- End function
	.section	.AMDGPU.csdata,"",@progbits
; Kernel info:
; codeLenInByte = 0
; NumSgprs: 4
; NumVgprs: 0
; NumAgprs: 0
; TotalNumVgprs: 0
; ScratchSize: 0
; MemoryBound: 0
; FloatMode: 240
; IeeeMode: 1
; LDSByteSize: 0 bytes/workgroup (compile time only)
; SGPRBlocks: 0
; VGPRBlocks: 0
; NumSGPRsForWavesPerEU: 4
; NumVGPRsForWavesPerEU: 1
; AccumOffset: 4
; Occupancy: 8
; WaveLimiterHint : 0
; COMPUTE_PGM_RSRC2:SCRATCH_EN: 0
; COMPUTE_PGM_RSRC2:USER_SGPR: 6
; COMPUTE_PGM_RSRC2:TRAP_HANDLER: 0
; COMPUTE_PGM_RSRC2:TGID_X_EN: 1
; COMPUTE_PGM_RSRC2:TGID_Y_EN: 0
; COMPUTE_PGM_RSRC2:TGID_Z_EN: 0
; COMPUTE_PGM_RSRC2:TIDIG_COMP_CNT: 0
; COMPUTE_PGM_RSRC3_GFX90A:ACCUM_OFFSET: 0
; COMPUTE_PGM_RSRC3_GFX90A:TG_SPLIT: 0
	.section	.text._ZN7rocprim17ROCPRIM_400000_NS6detail17trampoline_kernelINS0_14default_configENS1_35radix_sort_onesweep_config_selectorIjNS0_10empty_typeEEEZZNS1_29radix_sort_onesweep_iterationIS3_Lb0EPjS8_PS5_S9_mNS0_19identity_decomposerENS1_16block_id_wrapperIjLb0EEEEE10hipError_tT1_PNSt15iterator_traitsISE_E10value_typeET2_T3_PNSF_ISK_E10value_typeET4_T5_PSP_SQ_PNS1_23onesweep_lookback_stateEbbT6_jjT7_P12ihipStream_tbENKUlT_T0_SE_SJ_E_clIS8_S8_S9_S9_EEDaSX_SY_SE_SJ_EUlSX_E_NS1_11comp_targetILNS1_3genE9ELNS1_11target_archE1100ELNS1_3gpuE3ELNS1_3repE0EEENS1_47radix_sort_onesweep_sort_config_static_selectorELNS0_4arch9wavefront6targetE1EEEvSE_,"axG",@progbits,_ZN7rocprim17ROCPRIM_400000_NS6detail17trampoline_kernelINS0_14default_configENS1_35radix_sort_onesweep_config_selectorIjNS0_10empty_typeEEEZZNS1_29radix_sort_onesweep_iterationIS3_Lb0EPjS8_PS5_S9_mNS0_19identity_decomposerENS1_16block_id_wrapperIjLb0EEEEE10hipError_tT1_PNSt15iterator_traitsISE_E10value_typeET2_T3_PNSF_ISK_E10value_typeET4_T5_PSP_SQ_PNS1_23onesweep_lookback_stateEbbT6_jjT7_P12ihipStream_tbENKUlT_T0_SE_SJ_E_clIS8_S8_S9_S9_EEDaSX_SY_SE_SJ_EUlSX_E_NS1_11comp_targetILNS1_3genE9ELNS1_11target_archE1100ELNS1_3gpuE3ELNS1_3repE0EEENS1_47radix_sort_onesweep_sort_config_static_selectorELNS0_4arch9wavefront6targetE1EEEvSE_,comdat
	.protected	_ZN7rocprim17ROCPRIM_400000_NS6detail17trampoline_kernelINS0_14default_configENS1_35radix_sort_onesweep_config_selectorIjNS0_10empty_typeEEEZZNS1_29radix_sort_onesweep_iterationIS3_Lb0EPjS8_PS5_S9_mNS0_19identity_decomposerENS1_16block_id_wrapperIjLb0EEEEE10hipError_tT1_PNSt15iterator_traitsISE_E10value_typeET2_T3_PNSF_ISK_E10value_typeET4_T5_PSP_SQ_PNS1_23onesweep_lookback_stateEbbT6_jjT7_P12ihipStream_tbENKUlT_T0_SE_SJ_E_clIS8_S8_S9_S9_EEDaSX_SY_SE_SJ_EUlSX_E_NS1_11comp_targetILNS1_3genE9ELNS1_11target_archE1100ELNS1_3gpuE3ELNS1_3repE0EEENS1_47radix_sort_onesweep_sort_config_static_selectorELNS0_4arch9wavefront6targetE1EEEvSE_ ; -- Begin function _ZN7rocprim17ROCPRIM_400000_NS6detail17trampoline_kernelINS0_14default_configENS1_35radix_sort_onesweep_config_selectorIjNS0_10empty_typeEEEZZNS1_29radix_sort_onesweep_iterationIS3_Lb0EPjS8_PS5_S9_mNS0_19identity_decomposerENS1_16block_id_wrapperIjLb0EEEEE10hipError_tT1_PNSt15iterator_traitsISE_E10value_typeET2_T3_PNSF_ISK_E10value_typeET4_T5_PSP_SQ_PNS1_23onesweep_lookback_stateEbbT6_jjT7_P12ihipStream_tbENKUlT_T0_SE_SJ_E_clIS8_S8_S9_S9_EEDaSX_SY_SE_SJ_EUlSX_E_NS1_11comp_targetILNS1_3genE9ELNS1_11target_archE1100ELNS1_3gpuE3ELNS1_3repE0EEENS1_47radix_sort_onesweep_sort_config_static_selectorELNS0_4arch9wavefront6targetE1EEEvSE_
	.globl	_ZN7rocprim17ROCPRIM_400000_NS6detail17trampoline_kernelINS0_14default_configENS1_35radix_sort_onesweep_config_selectorIjNS0_10empty_typeEEEZZNS1_29radix_sort_onesweep_iterationIS3_Lb0EPjS8_PS5_S9_mNS0_19identity_decomposerENS1_16block_id_wrapperIjLb0EEEEE10hipError_tT1_PNSt15iterator_traitsISE_E10value_typeET2_T3_PNSF_ISK_E10value_typeET4_T5_PSP_SQ_PNS1_23onesweep_lookback_stateEbbT6_jjT7_P12ihipStream_tbENKUlT_T0_SE_SJ_E_clIS8_S8_S9_S9_EEDaSX_SY_SE_SJ_EUlSX_E_NS1_11comp_targetILNS1_3genE9ELNS1_11target_archE1100ELNS1_3gpuE3ELNS1_3repE0EEENS1_47radix_sort_onesweep_sort_config_static_selectorELNS0_4arch9wavefront6targetE1EEEvSE_
	.p2align	8
	.type	_ZN7rocprim17ROCPRIM_400000_NS6detail17trampoline_kernelINS0_14default_configENS1_35radix_sort_onesweep_config_selectorIjNS0_10empty_typeEEEZZNS1_29radix_sort_onesweep_iterationIS3_Lb0EPjS8_PS5_S9_mNS0_19identity_decomposerENS1_16block_id_wrapperIjLb0EEEEE10hipError_tT1_PNSt15iterator_traitsISE_E10value_typeET2_T3_PNSF_ISK_E10value_typeET4_T5_PSP_SQ_PNS1_23onesweep_lookback_stateEbbT6_jjT7_P12ihipStream_tbENKUlT_T0_SE_SJ_E_clIS8_S8_S9_S9_EEDaSX_SY_SE_SJ_EUlSX_E_NS1_11comp_targetILNS1_3genE9ELNS1_11target_archE1100ELNS1_3gpuE3ELNS1_3repE0EEENS1_47radix_sort_onesweep_sort_config_static_selectorELNS0_4arch9wavefront6targetE1EEEvSE_,@function
_ZN7rocprim17ROCPRIM_400000_NS6detail17trampoline_kernelINS0_14default_configENS1_35radix_sort_onesweep_config_selectorIjNS0_10empty_typeEEEZZNS1_29radix_sort_onesweep_iterationIS3_Lb0EPjS8_PS5_S9_mNS0_19identity_decomposerENS1_16block_id_wrapperIjLb0EEEEE10hipError_tT1_PNSt15iterator_traitsISE_E10value_typeET2_T3_PNSF_ISK_E10value_typeET4_T5_PSP_SQ_PNS1_23onesweep_lookback_stateEbbT6_jjT7_P12ihipStream_tbENKUlT_T0_SE_SJ_E_clIS8_S8_S9_S9_EEDaSX_SY_SE_SJ_EUlSX_E_NS1_11comp_targetILNS1_3genE9ELNS1_11target_archE1100ELNS1_3gpuE3ELNS1_3repE0EEENS1_47radix_sort_onesweep_sort_config_static_selectorELNS0_4arch9wavefront6targetE1EEEvSE_: ; @_ZN7rocprim17ROCPRIM_400000_NS6detail17trampoline_kernelINS0_14default_configENS1_35radix_sort_onesweep_config_selectorIjNS0_10empty_typeEEEZZNS1_29radix_sort_onesweep_iterationIS3_Lb0EPjS8_PS5_S9_mNS0_19identity_decomposerENS1_16block_id_wrapperIjLb0EEEEE10hipError_tT1_PNSt15iterator_traitsISE_E10value_typeET2_T3_PNSF_ISK_E10value_typeET4_T5_PSP_SQ_PNS1_23onesweep_lookback_stateEbbT6_jjT7_P12ihipStream_tbENKUlT_T0_SE_SJ_E_clIS8_S8_S9_S9_EEDaSX_SY_SE_SJ_EUlSX_E_NS1_11comp_targetILNS1_3genE9ELNS1_11target_archE1100ELNS1_3gpuE3ELNS1_3repE0EEENS1_47radix_sort_onesweep_sort_config_static_selectorELNS0_4arch9wavefront6targetE1EEEvSE_
; %bb.0:
	.section	.rodata,"a",@progbits
	.p2align	6, 0x0
	.amdhsa_kernel _ZN7rocprim17ROCPRIM_400000_NS6detail17trampoline_kernelINS0_14default_configENS1_35radix_sort_onesweep_config_selectorIjNS0_10empty_typeEEEZZNS1_29radix_sort_onesweep_iterationIS3_Lb0EPjS8_PS5_S9_mNS0_19identity_decomposerENS1_16block_id_wrapperIjLb0EEEEE10hipError_tT1_PNSt15iterator_traitsISE_E10value_typeET2_T3_PNSF_ISK_E10value_typeET4_T5_PSP_SQ_PNS1_23onesweep_lookback_stateEbbT6_jjT7_P12ihipStream_tbENKUlT_T0_SE_SJ_E_clIS8_S8_S9_S9_EEDaSX_SY_SE_SJ_EUlSX_E_NS1_11comp_targetILNS1_3genE9ELNS1_11target_archE1100ELNS1_3gpuE3ELNS1_3repE0EEENS1_47radix_sort_onesweep_sort_config_static_selectorELNS0_4arch9wavefront6targetE1EEEvSE_
		.amdhsa_group_segment_fixed_size 0
		.amdhsa_private_segment_fixed_size 0
		.amdhsa_kernarg_size 88
		.amdhsa_user_sgpr_count 6
		.amdhsa_user_sgpr_private_segment_buffer 1
		.amdhsa_user_sgpr_dispatch_ptr 0
		.amdhsa_user_sgpr_queue_ptr 0
		.amdhsa_user_sgpr_kernarg_segment_ptr 1
		.amdhsa_user_sgpr_dispatch_id 0
		.amdhsa_user_sgpr_flat_scratch_init 0
		.amdhsa_user_sgpr_kernarg_preload_length 0
		.amdhsa_user_sgpr_kernarg_preload_offset 0
		.amdhsa_user_sgpr_private_segment_size 0
		.amdhsa_uses_dynamic_stack 0
		.amdhsa_system_sgpr_private_segment_wavefront_offset 0
		.amdhsa_system_sgpr_workgroup_id_x 1
		.amdhsa_system_sgpr_workgroup_id_y 0
		.amdhsa_system_sgpr_workgroup_id_z 0
		.amdhsa_system_sgpr_workgroup_info 0
		.amdhsa_system_vgpr_workitem_id 0
		.amdhsa_next_free_vgpr 1
		.amdhsa_next_free_sgpr 0
		.amdhsa_accum_offset 4
		.amdhsa_reserve_vcc 0
		.amdhsa_reserve_flat_scratch 0
		.amdhsa_float_round_mode_32 0
		.amdhsa_float_round_mode_16_64 0
		.amdhsa_float_denorm_mode_32 3
		.amdhsa_float_denorm_mode_16_64 3
		.amdhsa_dx10_clamp 1
		.amdhsa_ieee_mode 1
		.amdhsa_fp16_overflow 0
		.amdhsa_tg_split 0
		.amdhsa_exception_fp_ieee_invalid_op 0
		.amdhsa_exception_fp_denorm_src 0
		.amdhsa_exception_fp_ieee_div_zero 0
		.amdhsa_exception_fp_ieee_overflow 0
		.amdhsa_exception_fp_ieee_underflow 0
		.amdhsa_exception_fp_ieee_inexact 0
		.amdhsa_exception_int_div_zero 0
	.end_amdhsa_kernel
	.section	.text._ZN7rocprim17ROCPRIM_400000_NS6detail17trampoline_kernelINS0_14default_configENS1_35radix_sort_onesweep_config_selectorIjNS0_10empty_typeEEEZZNS1_29radix_sort_onesweep_iterationIS3_Lb0EPjS8_PS5_S9_mNS0_19identity_decomposerENS1_16block_id_wrapperIjLb0EEEEE10hipError_tT1_PNSt15iterator_traitsISE_E10value_typeET2_T3_PNSF_ISK_E10value_typeET4_T5_PSP_SQ_PNS1_23onesweep_lookback_stateEbbT6_jjT7_P12ihipStream_tbENKUlT_T0_SE_SJ_E_clIS8_S8_S9_S9_EEDaSX_SY_SE_SJ_EUlSX_E_NS1_11comp_targetILNS1_3genE9ELNS1_11target_archE1100ELNS1_3gpuE3ELNS1_3repE0EEENS1_47radix_sort_onesweep_sort_config_static_selectorELNS0_4arch9wavefront6targetE1EEEvSE_,"axG",@progbits,_ZN7rocprim17ROCPRIM_400000_NS6detail17trampoline_kernelINS0_14default_configENS1_35radix_sort_onesweep_config_selectorIjNS0_10empty_typeEEEZZNS1_29radix_sort_onesweep_iterationIS3_Lb0EPjS8_PS5_S9_mNS0_19identity_decomposerENS1_16block_id_wrapperIjLb0EEEEE10hipError_tT1_PNSt15iterator_traitsISE_E10value_typeET2_T3_PNSF_ISK_E10value_typeET4_T5_PSP_SQ_PNS1_23onesweep_lookback_stateEbbT6_jjT7_P12ihipStream_tbENKUlT_T0_SE_SJ_E_clIS8_S8_S9_S9_EEDaSX_SY_SE_SJ_EUlSX_E_NS1_11comp_targetILNS1_3genE9ELNS1_11target_archE1100ELNS1_3gpuE3ELNS1_3repE0EEENS1_47radix_sort_onesweep_sort_config_static_selectorELNS0_4arch9wavefront6targetE1EEEvSE_,comdat
.Lfunc_end776:
	.size	_ZN7rocprim17ROCPRIM_400000_NS6detail17trampoline_kernelINS0_14default_configENS1_35radix_sort_onesweep_config_selectorIjNS0_10empty_typeEEEZZNS1_29radix_sort_onesweep_iterationIS3_Lb0EPjS8_PS5_S9_mNS0_19identity_decomposerENS1_16block_id_wrapperIjLb0EEEEE10hipError_tT1_PNSt15iterator_traitsISE_E10value_typeET2_T3_PNSF_ISK_E10value_typeET4_T5_PSP_SQ_PNS1_23onesweep_lookback_stateEbbT6_jjT7_P12ihipStream_tbENKUlT_T0_SE_SJ_E_clIS8_S8_S9_S9_EEDaSX_SY_SE_SJ_EUlSX_E_NS1_11comp_targetILNS1_3genE9ELNS1_11target_archE1100ELNS1_3gpuE3ELNS1_3repE0EEENS1_47radix_sort_onesweep_sort_config_static_selectorELNS0_4arch9wavefront6targetE1EEEvSE_, .Lfunc_end776-_ZN7rocprim17ROCPRIM_400000_NS6detail17trampoline_kernelINS0_14default_configENS1_35radix_sort_onesweep_config_selectorIjNS0_10empty_typeEEEZZNS1_29radix_sort_onesweep_iterationIS3_Lb0EPjS8_PS5_S9_mNS0_19identity_decomposerENS1_16block_id_wrapperIjLb0EEEEE10hipError_tT1_PNSt15iterator_traitsISE_E10value_typeET2_T3_PNSF_ISK_E10value_typeET4_T5_PSP_SQ_PNS1_23onesweep_lookback_stateEbbT6_jjT7_P12ihipStream_tbENKUlT_T0_SE_SJ_E_clIS8_S8_S9_S9_EEDaSX_SY_SE_SJ_EUlSX_E_NS1_11comp_targetILNS1_3genE9ELNS1_11target_archE1100ELNS1_3gpuE3ELNS1_3repE0EEENS1_47radix_sort_onesweep_sort_config_static_selectorELNS0_4arch9wavefront6targetE1EEEvSE_
                                        ; -- End function
	.section	.AMDGPU.csdata,"",@progbits
; Kernel info:
; codeLenInByte = 0
; NumSgprs: 4
; NumVgprs: 0
; NumAgprs: 0
; TotalNumVgprs: 0
; ScratchSize: 0
; MemoryBound: 0
; FloatMode: 240
; IeeeMode: 1
; LDSByteSize: 0 bytes/workgroup (compile time only)
; SGPRBlocks: 0
; VGPRBlocks: 0
; NumSGPRsForWavesPerEU: 4
; NumVGPRsForWavesPerEU: 1
; AccumOffset: 4
; Occupancy: 8
; WaveLimiterHint : 0
; COMPUTE_PGM_RSRC2:SCRATCH_EN: 0
; COMPUTE_PGM_RSRC2:USER_SGPR: 6
; COMPUTE_PGM_RSRC2:TRAP_HANDLER: 0
; COMPUTE_PGM_RSRC2:TGID_X_EN: 1
; COMPUTE_PGM_RSRC2:TGID_Y_EN: 0
; COMPUTE_PGM_RSRC2:TGID_Z_EN: 0
; COMPUTE_PGM_RSRC2:TIDIG_COMP_CNT: 0
; COMPUTE_PGM_RSRC3_GFX90A:ACCUM_OFFSET: 0
; COMPUTE_PGM_RSRC3_GFX90A:TG_SPLIT: 0
	.section	.text._ZN7rocprim17ROCPRIM_400000_NS6detail17trampoline_kernelINS0_14default_configENS1_35radix_sort_onesweep_config_selectorIjNS0_10empty_typeEEEZZNS1_29radix_sort_onesweep_iterationIS3_Lb0EPjS8_PS5_S9_mNS0_19identity_decomposerENS1_16block_id_wrapperIjLb0EEEEE10hipError_tT1_PNSt15iterator_traitsISE_E10value_typeET2_T3_PNSF_ISK_E10value_typeET4_T5_PSP_SQ_PNS1_23onesweep_lookback_stateEbbT6_jjT7_P12ihipStream_tbENKUlT_T0_SE_SJ_E_clIS8_S8_S9_S9_EEDaSX_SY_SE_SJ_EUlSX_E_NS1_11comp_targetILNS1_3genE8ELNS1_11target_archE1030ELNS1_3gpuE2ELNS1_3repE0EEENS1_47radix_sort_onesweep_sort_config_static_selectorELNS0_4arch9wavefront6targetE1EEEvSE_,"axG",@progbits,_ZN7rocprim17ROCPRIM_400000_NS6detail17trampoline_kernelINS0_14default_configENS1_35radix_sort_onesweep_config_selectorIjNS0_10empty_typeEEEZZNS1_29radix_sort_onesweep_iterationIS3_Lb0EPjS8_PS5_S9_mNS0_19identity_decomposerENS1_16block_id_wrapperIjLb0EEEEE10hipError_tT1_PNSt15iterator_traitsISE_E10value_typeET2_T3_PNSF_ISK_E10value_typeET4_T5_PSP_SQ_PNS1_23onesweep_lookback_stateEbbT6_jjT7_P12ihipStream_tbENKUlT_T0_SE_SJ_E_clIS8_S8_S9_S9_EEDaSX_SY_SE_SJ_EUlSX_E_NS1_11comp_targetILNS1_3genE8ELNS1_11target_archE1030ELNS1_3gpuE2ELNS1_3repE0EEENS1_47radix_sort_onesweep_sort_config_static_selectorELNS0_4arch9wavefront6targetE1EEEvSE_,comdat
	.protected	_ZN7rocprim17ROCPRIM_400000_NS6detail17trampoline_kernelINS0_14default_configENS1_35radix_sort_onesweep_config_selectorIjNS0_10empty_typeEEEZZNS1_29radix_sort_onesweep_iterationIS3_Lb0EPjS8_PS5_S9_mNS0_19identity_decomposerENS1_16block_id_wrapperIjLb0EEEEE10hipError_tT1_PNSt15iterator_traitsISE_E10value_typeET2_T3_PNSF_ISK_E10value_typeET4_T5_PSP_SQ_PNS1_23onesweep_lookback_stateEbbT6_jjT7_P12ihipStream_tbENKUlT_T0_SE_SJ_E_clIS8_S8_S9_S9_EEDaSX_SY_SE_SJ_EUlSX_E_NS1_11comp_targetILNS1_3genE8ELNS1_11target_archE1030ELNS1_3gpuE2ELNS1_3repE0EEENS1_47radix_sort_onesweep_sort_config_static_selectorELNS0_4arch9wavefront6targetE1EEEvSE_ ; -- Begin function _ZN7rocprim17ROCPRIM_400000_NS6detail17trampoline_kernelINS0_14default_configENS1_35radix_sort_onesweep_config_selectorIjNS0_10empty_typeEEEZZNS1_29radix_sort_onesweep_iterationIS3_Lb0EPjS8_PS5_S9_mNS0_19identity_decomposerENS1_16block_id_wrapperIjLb0EEEEE10hipError_tT1_PNSt15iterator_traitsISE_E10value_typeET2_T3_PNSF_ISK_E10value_typeET4_T5_PSP_SQ_PNS1_23onesweep_lookback_stateEbbT6_jjT7_P12ihipStream_tbENKUlT_T0_SE_SJ_E_clIS8_S8_S9_S9_EEDaSX_SY_SE_SJ_EUlSX_E_NS1_11comp_targetILNS1_3genE8ELNS1_11target_archE1030ELNS1_3gpuE2ELNS1_3repE0EEENS1_47radix_sort_onesweep_sort_config_static_selectorELNS0_4arch9wavefront6targetE1EEEvSE_
	.globl	_ZN7rocprim17ROCPRIM_400000_NS6detail17trampoline_kernelINS0_14default_configENS1_35radix_sort_onesweep_config_selectorIjNS0_10empty_typeEEEZZNS1_29radix_sort_onesweep_iterationIS3_Lb0EPjS8_PS5_S9_mNS0_19identity_decomposerENS1_16block_id_wrapperIjLb0EEEEE10hipError_tT1_PNSt15iterator_traitsISE_E10value_typeET2_T3_PNSF_ISK_E10value_typeET4_T5_PSP_SQ_PNS1_23onesweep_lookback_stateEbbT6_jjT7_P12ihipStream_tbENKUlT_T0_SE_SJ_E_clIS8_S8_S9_S9_EEDaSX_SY_SE_SJ_EUlSX_E_NS1_11comp_targetILNS1_3genE8ELNS1_11target_archE1030ELNS1_3gpuE2ELNS1_3repE0EEENS1_47radix_sort_onesweep_sort_config_static_selectorELNS0_4arch9wavefront6targetE1EEEvSE_
	.p2align	8
	.type	_ZN7rocprim17ROCPRIM_400000_NS6detail17trampoline_kernelINS0_14default_configENS1_35radix_sort_onesweep_config_selectorIjNS0_10empty_typeEEEZZNS1_29radix_sort_onesweep_iterationIS3_Lb0EPjS8_PS5_S9_mNS0_19identity_decomposerENS1_16block_id_wrapperIjLb0EEEEE10hipError_tT1_PNSt15iterator_traitsISE_E10value_typeET2_T3_PNSF_ISK_E10value_typeET4_T5_PSP_SQ_PNS1_23onesweep_lookback_stateEbbT6_jjT7_P12ihipStream_tbENKUlT_T0_SE_SJ_E_clIS8_S8_S9_S9_EEDaSX_SY_SE_SJ_EUlSX_E_NS1_11comp_targetILNS1_3genE8ELNS1_11target_archE1030ELNS1_3gpuE2ELNS1_3repE0EEENS1_47radix_sort_onesweep_sort_config_static_selectorELNS0_4arch9wavefront6targetE1EEEvSE_,@function
_ZN7rocprim17ROCPRIM_400000_NS6detail17trampoline_kernelINS0_14default_configENS1_35radix_sort_onesweep_config_selectorIjNS0_10empty_typeEEEZZNS1_29radix_sort_onesweep_iterationIS3_Lb0EPjS8_PS5_S9_mNS0_19identity_decomposerENS1_16block_id_wrapperIjLb0EEEEE10hipError_tT1_PNSt15iterator_traitsISE_E10value_typeET2_T3_PNSF_ISK_E10value_typeET4_T5_PSP_SQ_PNS1_23onesweep_lookback_stateEbbT6_jjT7_P12ihipStream_tbENKUlT_T0_SE_SJ_E_clIS8_S8_S9_S9_EEDaSX_SY_SE_SJ_EUlSX_E_NS1_11comp_targetILNS1_3genE8ELNS1_11target_archE1030ELNS1_3gpuE2ELNS1_3repE0EEENS1_47radix_sort_onesweep_sort_config_static_selectorELNS0_4arch9wavefront6targetE1EEEvSE_: ; @_ZN7rocprim17ROCPRIM_400000_NS6detail17trampoline_kernelINS0_14default_configENS1_35radix_sort_onesweep_config_selectorIjNS0_10empty_typeEEEZZNS1_29radix_sort_onesweep_iterationIS3_Lb0EPjS8_PS5_S9_mNS0_19identity_decomposerENS1_16block_id_wrapperIjLb0EEEEE10hipError_tT1_PNSt15iterator_traitsISE_E10value_typeET2_T3_PNSF_ISK_E10value_typeET4_T5_PSP_SQ_PNS1_23onesweep_lookback_stateEbbT6_jjT7_P12ihipStream_tbENKUlT_T0_SE_SJ_E_clIS8_S8_S9_S9_EEDaSX_SY_SE_SJ_EUlSX_E_NS1_11comp_targetILNS1_3genE8ELNS1_11target_archE1030ELNS1_3gpuE2ELNS1_3repE0EEENS1_47radix_sort_onesweep_sort_config_static_selectorELNS0_4arch9wavefront6targetE1EEEvSE_
; %bb.0:
	.section	.rodata,"a",@progbits
	.p2align	6, 0x0
	.amdhsa_kernel _ZN7rocprim17ROCPRIM_400000_NS6detail17trampoline_kernelINS0_14default_configENS1_35radix_sort_onesweep_config_selectorIjNS0_10empty_typeEEEZZNS1_29radix_sort_onesweep_iterationIS3_Lb0EPjS8_PS5_S9_mNS0_19identity_decomposerENS1_16block_id_wrapperIjLb0EEEEE10hipError_tT1_PNSt15iterator_traitsISE_E10value_typeET2_T3_PNSF_ISK_E10value_typeET4_T5_PSP_SQ_PNS1_23onesweep_lookback_stateEbbT6_jjT7_P12ihipStream_tbENKUlT_T0_SE_SJ_E_clIS8_S8_S9_S9_EEDaSX_SY_SE_SJ_EUlSX_E_NS1_11comp_targetILNS1_3genE8ELNS1_11target_archE1030ELNS1_3gpuE2ELNS1_3repE0EEENS1_47radix_sort_onesweep_sort_config_static_selectorELNS0_4arch9wavefront6targetE1EEEvSE_
		.amdhsa_group_segment_fixed_size 0
		.amdhsa_private_segment_fixed_size 0
		.amdhsa_kernarg_size 88
		.amdhsa_user_sgpr_count 6
		.amdhsa_user_sgpr_private_segment_buffer 1
		.amdhsa_user_sgpr_dispatch_ptr 0
		.amdhsa_user_sgpr_queue_ptr 0
		.amdhsa_user_sgpr_kernarg_segment_ptr 1
		.amdhsa_user_sgpr_dispatch_id 0
		.amdhsa_user_sgpr_flat_scratch_init 0
		.amdhsa_user_sgpr_kernarg_preload_length 0
		.amdhsa_user_sgpr_kernarg_preload_offset 0
		.amdhsa_user_sgpr_private_segment_size 0
		.amdhsa_uses_dynamic_stack 0
		.amdhsa_system_sgpr_private_segment_wavefront_offset 0
		.amdhsa_system_sgpr_workgroup_id_x 1
		.amdhsa_system_sgpr_workgroup_id_y 0
		.amdhsa_system_sgpr_workgroup_id_z 0
		.amdhsa_system_sgpr_workgroup_info 0
		.amdhsa_system_vgpr_workitem_id 0
		.amdhsa_next_free_vgpr 1
		.amdhsa_next_free_sgpr 0
		.amdhsa_accum_offset 4
		.amdhsa_reserve_vcc 0
		.amdhsa_reserve_flat_scratch 0
		.amdhsa_float_round_mode_32 0
		.amdhsa_float_round_mode_16_64 0
		.amdhsa_float_denorm_mode_32 3
		.amdhsa_float_denorm_mode_16_64 3
		.amdhsa_dx10_clamp 1
		.amdhsa_ieee_mode 1
		.amdhsa_fp16_overflow 0
		.amdhsa_tg_split 0
		.amdhsa_exception_fp_ieee_invalid_op 0
		.amdhsa_exception_fp_denorm_src 0
		.amdhsa_exception_fp_ieee_div_zero 0
		.amdhsa_exception_fp_ieee_overflow 0
		.amdhsa_exception_fp_ieee_underflow 0
		.amdhsa_exception_fp_ieee_inexact 0
		.amdhsa_exception_int_div_zero 0
	.end_amdhsa_kernel
	.section	.text._ZN7rocprim17ROCPRIM_400000_NS6detail17trampoline_kernelINS0_14default_configENS1_35radix_sort_onesweep_config_selectorIjNS0_10empty_typeEEEZZNS1_29radix_sort_onesweep_iterationIS3_Lb0EPjS8_PS5_S9_mNS0_19identity_decomposerENS1_16block_id_wrapperIjLb0EEEEE10hipError_tT1_PNSt15iterator_traitsISE_E10value_typeET2_T3_PNSF_ISK_E10value_typeET4_T5_PSP_SQ_PNS1_23onesweep_lookback_stateEbbT6_jjT7_P12ihipStream_tbENKUlT_T0_SE_SJ_E_clIS8_S8_S9_S9_EEDaSX_SY_SE_SJ_EUlSX_E_NS1_11comp_targetILNS1_3genE8ELNS1_11target_archE1030ELNS1_3gpuE2ELNS1_3repE0EEENS1_47radix_sort_onesweep_sort_config_static_selectorELNS0_4arch9wavefront6targetE1EEEvSE_,"axG",@progbits,_ZN7rocprim17ROCPRIM_400000_NS6detail17trampoline_kernelINS0_14default_configENS1_35radix_sort_onesweep_config_selectorIjNS0_10empty_typeEEEZZNS1_29radix_sort_onesweep_iterationIS3_Lb0EPjS8_PS5_S9_mNS0_19identity_decomposerENS1_16block_id_wrapperIjLb0EEEEE10hipError_tT1_PNSt15iterator_traitsISE_E10value_typeET2_T3_PNSF_ISK_E10value_typeET4_T5_PSP_SQ_PNS1_23onesweep_lookback_stateEbbT6_jjT7_P12ihipStream_tbENKUlT_T0_SE_SJ_E_clIS8_S8_S9_S9_EEDaSX_SY_SE_SJ_EUlSX_E_NS1_11comp_targetILNS1_3genE8ELNS1_11target_archE1030ELNS1_3gpuE2ELNS1_3repE0EEENS1_47radix_sort_onesweep_sort_config_static_selectorELNS0_4arch9wavefront6targetE1EEEvSE_,comdat
.Lfunc_end777:
	.size	_ZN7rocprim17ROCPRIM_400000_NS6detail17trampoline_kernelINS0_14default_configENS1_35radix_sort_onesweep_config_selectorIjNS0_10empty_typeEEEZZNS1_29radix_sort_onesweep_iterationIS3_Lb0EPjS8_PS5_S9_mNS0_19identity_decomposerENS1_16block_id_wrapperIjLb0EEEEE10hipError_tT1_PNSt15iterator_traitsISE_E10value_typeET2_T3_PNSF_ISK_E10value_typeET4_T5_PSP_SQ_PNS1_23onesweep_lookback_stateEbbT6_jjT7_P12ihipStream_tbENKUlT_T0_SE_SJ_E_clIS8_S8_S9_S9_EEDaSX_SY_SE_SJ_EUlSX_E_NS1_11comp_targetILNS1_3genE8ELNS1_11target_archE1030ELNS1_3gpuE2ELNS1_3repE0EEENS1_47radix_sort_onesweep_sort_config_static_selectorELNS0_4arch9wavefront6targetE1EEEvSE_, .Lfunc_end777-_ZN7rocprim17ROCPRIM_400000_NS6detail17trampoline_kernelINS0_14default_configENS1_35radix_sort_onesweep_config_selectorIjNS0_10empty_typeEEEZZNS1_29radix_sort_onesweep_iterationIS3_Lb0EPjS8_PS5_S9_mNS0_19identity_decomposerENS1_16block_id_wrapperIjLb0EEEEE10hipError_tT1_PNSt15iterator_traitsISE_E10value_typeET2_T3_PNSF_ISK_E10value_typeET4_T5_PSP_SQ_PNS1_23onesweep_lookback_stateEbbT6_jjT7_P12ihipStream_tbENKUlT_T0_SE_SJ_E_clIS8_S8_S9_S9_EEDaSX_SY_SE_SJ_EUlSX_E_NS1_11comp_targetILNS1_3genE8ELNS1_11target_archE1030ELNS1_3gpuE2ELNS1_3repE0EEENS1_47radix_sort_onesweep_sort_config_static_selectorELNS0_4arch9wavefront6targetE1EEEvSE_
                                        ; -- End function
	.section	.AMDGPU.csdata,"",@progbits
; Kernel info:
; codeLenInByte = 0
; NumSgprs: 4
; NumVgprs: 0
; NumAgprs: 0
; TotalNumVgprs: 0
; ScratchSize: 0
; MemoryBound: 0
; FloatMode: 240
; IeeeMode: 1
; LDSByteSize: 0 bytes/workgroup (compile time only)
; SGPRBlocks: 0
; VGPRBlocks: 0
; NumSGPRsForWavesPerEU: 4
; NumVGPRsForWavesPerEU: 1
; AccumOffset: 4
; Occupancy: 8
; WaveLimiterHint : 0
; COMPUTE_PGM_RSRC2:SCRATCH_EN: 0
; COMPUTE_PGM_RSRC2:USER_SGPR: 6
; COMPUTE_PGM_RSRC2:TRAP_HANDLER: 0
; COMPUTE_PGM_RSRC2:TGID_X_EN: 1
; COMPUTE_PGM_RSRC2:TGID_Y_EN: 0
; COMPUTE_PGM_RSRC2:TGID_Z_EN: 0
; COMPUTE_PGM_RSRC2:TIDIG_COMP_CNT: 0
; COMPUTE_PGM_RSRC3_GFX90A:ACCUM_OFFSET: 0
; COMPUTE_PGM_RSRC3_GFX90A:TG_SPLIT: 0
	.section	.text._ZN7rocprim17ROCPRIM_400000_NS6detail17trampoline_kernelINS0_13kernel_configILj256ELj4ELj4294967295EEENS1_37radix_sort_block_sort_config_selectorIlNS0_10empty_typeEEEZNS1_21radix_sort_block_sortIS4_Lb0EPlS9_PS6_SA_NS0_19identity_decomposerEEE10hipError_tT1_T2_T3_T4_jRjT5_jjP12ihipStream_tbEUlT_E_NS1_11comp_targetILNS1_3genE0ELNS1_11target_archE4294967295ELNS1_3gpuE0ELNS1_3repE0EEENS1_44radix_sort_block_sort_config_static_selectorELNS0_4arch9wavefront6targetE1EEEvSD_,"axG",@progbits,_ZN7rocprim17ROCPRIM_400000_NS6detail17trampoline_kernelINS0_13kernel_configILj256ELj4ELj4294967295EEENS1_37radix_sort_block_sort_config_selectorIlNS0_10empty_typeEEEZNS1_21radix_sort_block_sortIS4_Lb0EPlS9_PS6_SA_NS0_19identity_decomposerEEE10hipError_tT1_T2_T3_T4_jRjT5_jjP12ihipStream_tbEUlT_E_NS1_11comp_targetILNS1_3genE0ELNS1_11target_archE4294967295ELNS1_3gpuE0ELNS1_3repE0EEENS1_44radix_sort_block_sort_config_static_selectorELNS0_4arch9wavefront6targetE1EEEvSD_,comdat
	.protected	_ZN7rocprim17ROCPRIM_400000_NS6detail17trampoline_kernelINS0_13kernel_configILj256ELj4ELj4294967295EEENS1_37radix_sort_block_sort_config_selectorIlNS0_10empty_typeEEEZNS1_21radix_sort_block_sortIS4_Lb0EPlS9_PS6_SA_NS0_19identity_decomposerEEE10hipError_tT1_T2_T3_T4_jRjT5_jjP12ihipStream_tbEUlT_E_NS1_11comp_targetILNS1_3genE0ELNS1_11target_archE4294967295ELNS1_3gpuE0ELNS1_3repE0EEENS1_44radix_sort_block_sort_config_static_selectorELNS0_4arch9wavefront6targetE1EEEvSD_ ; -- Begin function _ZN7rocprim17ROCPRIM_400000_NS6detail17trampoline_kernelINS0_13kernel_configILj256ELj4ELj4294967295EEENS1_37radix_sort_block_sort_config_selectorIlNS0_10empty_typeEEEZNS1_21radix_sort_block_sortIS4_Lb0EPlS9_PS6_SA_NS0_19identity_decomposerEEE10hipError_tT1_T2_T3_T4_jRjT5_jjP12ihipStream_tbEUlT_E_NS1_11comp_targetILNS1_3genE0ELNS1_11target_archE4294967295ELNS1_3gpuE0ELNS1_3repE0EEENS1_44radix_sort_block_sort_config_static_selectorELNS0_4arch9wavefront6targetE1EEEvSD_
	.globl	_ZN7rocprim17ROCPRIM_400000_NS6detail17trampoline_kernelINS0_13kernel_configILj256ELj4ELj4294967295EEENS1_37radix_sort_block_sort_config_selectorIlNS0_10empty_typeEEEZNS1_21radix_sort_block_sortIS4_Lb0EPlS9_PS6_SA_NS0_19identity_decomposerEEE10hipError_tT1_T2_T3_T4_jRjT5_jjP12ihipStream_tbEUlT_E_NS1_11comp_targetILNS1_3genE0ELNS1_11target_archE4294967295ELNS1_3gpuE0ELNS1_3repE0EEENS1_44radix_sort_block_sort_config_static_selectorELNS0_4arch9wavefront6targetE1EEEvSD_
	.p2align	8
	.type	_ZN7rocprim17ROCPRIM_400000_NS6detail17trampoline_kernelINS0_13kernel_configILj256ELj4ELj4294967295EEENS1_37radix_sort_block_sort_config_selectorIlNS0_10empty_typeEEEZNS1_21radix_sort_block_sortIS4_Lb0EPlS9_PS6_SA_NS0_19identity_decomposerEEE10hipError_tT1_T2_T3_T4_jRjT5_jjP12ihipStream_tbEUlT_E_NS1_11comp_targetILNS1_3genE0ELNS1_11target_archE4294967295ELNS1_3gpuE0ELNS1_3repE0EEENS1_44radix_sort_block_sort_config_static_selectorELNS0_4arch9wavefront6targetE1EEEvSD_,@function
_ZN7rocprim17ROCPRIM_400000_NS6detail17trampoline_kernelINS0_13kernel_configILj256ELj4ELj4294967295EEENS1_37radix_sort_block_sort_config_selectorIlNS0_10empty_typeEEEZNS1_21radix_sort_block_sortIS4_Lb0EPlS9_PS6_SA_NS0_19identity_decomposerEEE10hipError_tT1_T2_T3_T4_jRjT5_jjP12ihipStream_tbEUlT_E_NS1_11comp_targetILNS1_3genE0ELNS1_11target_archE4294967295ELNS1_3gpuE0ELNS1_3repE0EEENS1_44radix_sort_block_sort_config_static_selectorELNS0_4arch9wavefront6targetE1EEEvSD_: ; @_ZN7rocprim17ROCPRIM_400000_NS6detail17trampoline_kernelINS0_13kernel_configILj256ELj4ELj4294967295EEENS1_37radix_sort_block_sort_config_selectorIlNS0_10empty_typeEEEZNS1_21radix_sort_block_sortIS4_Lb0EPlS9_PS6_SA_NS0_19identity_decomposerEEE10hipError_tT1_T2_T3_T4_jRjT5_jjP12ihipStream_tbEUlT_E_NS1_11comp_targetILNS1_3genE0ELNS1_11target_archE4294967295ELNS1_3gpuE0ELNS1_3repE0EEENS1_44radix_sort_block_sort_config_static_selectorELNS0_4arch9wavefront6targetE1EEEvSD_
; %bb.0:
	.section	.rodata,"a",@progbits
	.p2align	6, 0x0
	.amdhsa_kernel _ZN7rocprim17ROCPRIM_400000_NS6detail17trampoline_kernelINS0_13kernel_configILj256ELj4ELj4294967295EEENS1_37radix_sort_block_sort_config_selectorIlNS0_10empty_typeEEEZNS1_21radix_sort_block_sortIS4_Lb0EPlS9_PS6_SA_NS0_19identity_decomposerEEE10hipError_tT1_T2_T3_T4_jRjT5_jjP12ihipStream_tbEUlT_E_NS1_11comp_targetILNS1_3genE0ELNS1_11target_archE4294967295ELNS1_3gpuE0ELNS1_3repE0EEENS1_44radix_sort_block_sort_config_static_selectorELNS0_4arch9wavefront6targetE1EEEvSD_
		.amdhsa_group_segment_fixed_size 0
		.amdhsa_private_segment_fixed_size 0
		.amdhsa_kernarg_size 48
		.amdhsa_user_sgpr_count 6
		.amdhsa_user_sgpr_private_segment_buffer 1
		.amdhsa_user_sgpr_dispatch_ptr 0
		.amdhsa_user_sgpr_queue_ptr 0
		.amdhsa_user_sgpr_kernarg_segment_ptr 1
		.amdhsa_user_sgpr_dispatch_id 0
		.amdhsa_user_sgpr_flat_scratch_init 0
		.amdhsa_user_sgpr_kernarg_preload_length 0
		.amdhsa_user_sgpr_kernarg_preload_offset 0
		.amdhsa_user_sgpr_private_segment_size 0
		.amdhsa_uses_dynamic_stack 0
		.amdhsa_system_sgpr_private_segment_wavefront_offset 0
		.amdhsa_system_sgpr_workgroup_id_x 1
		.amdhsa_system_sgpr_workgroup_id_y 0
		.amdhsa_system_sgpr_workgroup_id_z 0
		.amdhsa_system_sgpr_workgroup_info 0
		.amdhsa_system_vgpr_workitem_id 0
		.amdhsa_next_free_vgpr 1
		.amdhsa_next_free_sgpr 0
		.amdhsa_accum_offset 4
		.amdhsa_reserve_vcc 0
		.amdhsa_reserve_flat_scratch 0
		.amdhsa_float_round_mode_32 0
		.amdhsa_float_round_mode_16_64 0
		.amdhsa_float_denorm_mode_32 3
		.amdhsa_float_denorm_mode_16_64 3
		.amdhsa_dx10_clamp 1
		.amdhsa_ieee_mode 1
		.amdhsa_fp16_overflow 0
		.amdhsa_tg_split 0
		.amdhsa_exception_fp_ieee_invalid_op 0
		.amdhsa_exception_fp_denorm_src 0
		.amdhsa_exception_fp_ieee_div_zero 0
		.amdhsa_exception_fp_ieee_overflow 0
		.amdhsa_exception_fp_ieee_underflow 0
		.amdhsa_exception_fp_ieee_inexact 0
		.amdhsa_exception_int_div_zero 0
	.end_amdhsa_kernel
	.section	.text._ZN7rocprim17ROCPRIM_400000_NS6detail17trampoline_kernelINS0_13kernel_configILj256ELj4ELj4294967295EEENS1_37radix_sort_block_sort_config_selectorIlNS0_10empty_typeEEEZNS1_21radix_sort_block_sortIS4_Lb0EPlS9_PS6_SA_NS0_19identity_decomposerEEE10hipError_tT1_T2_T3_T4_jRjT5_jjP12ihipStream_tbEUlT_E_NS1_11comp_targetILNS1_3genE0ELNS1_11target_archE4294967295ELNS1_3gpuE0ELNS1_3repE0EEENS1_44radix_sort_block_sort_config_static_selectorELNS0_4arch9wavefront6targetE1EEEvSD_,"axG",@progbits,_ZN7rocprim17ROCPRIM_400000_NS6detail17trampoline_kernelINS0_13kernel_configILj256ELj4ELj4294967295EEENS1_37radix_sort_block_sort_config_selectorIlNS0_10empty_typeEEEZNS1_21radix_sort_block_sortIS4_Lb0EPlS9_PS6_SA_NS0_19identity_decomposerEEE10hipError_tT1_T2_T3_T4_jRjT5_jjP12ihipStream_tbEUlT_E_NS1_11comp_targetILNS1_3genE0ELNS1_11target_archE4294967295ELNS1_3gpuE0ELNS1_3repE0EEENS1_44radix_sort_block_sort_config_static_selectorELNS0_4arch9wavefront6targetE1EEEvSD_,comdat
.Lfunc_end778:
	.size	_ZN7rocprim17ROCPRIM_400000_NS6detail17trampoline_kernelINS0_13kernel_configILj256ELj4ELj4294967295EEENS1_37radix_sort_block_sort_config_selectorIlNS0_10empty_typeEEEZNS1_21radix_sort_block_sortIS4_Lb0EPlS9_PS6_SA_NS0_19identity_decomposerEEE10hipError_tT1_T2_T3_T4_jRjT5_jjP12ihipStream_tbEUlT_E_NS1_11comp_targetILNS1_3genE0ELNS1_11target_archE4294967295ELNS1_3gpuE0ELNS1_3repE0EEENS1_44radix_sort_block_sort_config_static_selectorELNS0_4arch9wavefront6targetE1EEEvSD_, .Lfunc_end778-_ZN7rocprim17ROCPRIM_400000_NS6detail17trampoline_kernelINS0_13kernel_configILj256ELj4ELj4294967295EEENS1_37radix_sort_block_sort_config_selectorIlNS0_10empty_typeEEEZNS1_21radix_sort_block_sortIS4_Lb0EPlS9_PS6_SA_NS0_19identity_decomposerEEE10hipError_tT1_T2_T3_T4_jRjT5_jjP12ihipStream_tbEUlT_E_NS1_11comp_targetILNS1_3genE0ELNS1_11target_archE4294967295ELNS1_3gpuE0ELNS1_3repE0EEENS1_44radix_sort_block_sort_config_static_selectorELNS0_4arch9wavefront6targetE1EEEvSD_
                                        ; -- End function
	.section	.AMDGPU.csdata,"",@progbits
; Kernel info:
; codeLenInByte = 0
; NumSgprs: 4
; NumVgprs: 0
; NumAgprs: 0
; TotalNumVgprs: 0
; ScratchSize: 0
; MemoryBound: 0
; FloatMode: 240
; IeeeMode: 1
; LDSByteSize: 0 bytes/workgroup (compile time only)
; SGPRBlocks: 0
; VGPRBlocks: 0
; NumSGPRsForWavesPerEU: 4
; NumVGPRsForWavesPerEU: 1
; AccumOffset: 4
; Occupancy: 8
; WaveLimiterHint : 0
; COMPUTE_PGM_RSRC2:SCRATCH_EN: 0
; COMPUTE_PGM_RSRC2:USER_SGPR: 6
; COMPUTE_PGM_RSRC2:TRAP_HANDLER: 0
; COMPUTE_PGM_RSRC2:TGID_X_EN: 1
; COMPUTE_PGM_RSRC2:TGID_Y_EN: 0
; COMPUTE_PGM_RSRC2:TGID_Z_EN: 0
; COMPUTE_PGM_RSRC2:TIDIG_COMP_CNT: 0
; COMPUTE_PGM_RSRC3_GFX90A:ACCUM_OFFSET: 0
; COMPUTE_PGM_RSRC3_GFX90A:TG_SPLIT: 0
	.section	.text._ZN7rocprim17ROCPRIM_400000_NS6detail17trampoline_kernelINS0_13kernel_configILj256ELj4ELj4294967295EEENS1_37radix_sort_block_sort_config_selectorIlNS0_10empty_typeEEEZNS1_21radix_sort_block_sortIS4_Lb0EPlS9_PS6_SA_NS0_19identity_decomposerEEE10hipError_tT1_T2_T3_T4_jRjT5_jjP12ihipStream_tbEUlT_E_NS1_11comp_targetILNS1_3genE5ELNS1_11target_archE942ELNS1_3gpuE9ELNS1_3repE0EEENS1_44radix_sort_block_sort_config_static_selectorELNS0_4arch9wavefront6targetE1EEEvSD_,"axG",@progbits,_ZN7rocprim17ROCPRIM_400000_NS6detail17trampoline_kernelINS0_13kernel_configILj256ELj4ELj4294967295EEENS1_37radix_sort_block_sort_config_selectorIlNS0_10empty_typeEEEZNS1_21radix_sort_block_sortIS4_Lb0EPlS9_PS6_SA_NS0_19identity_decomposerEEE10hipError_tT1_T2_T3_T4_jRjT5_jjP12ihipStream_tbEUlT_E_NS1_11comp_targetILNS1_3genE5ELNS1_11target_archE942ELNS1_3gpuE9ELNS1_3repE0EEENS1_44radix_sort_block_sort_config_static_selectorELNS0_4arch9wavefront6targetE1EEEvSD_,comdat
	.protected	_ZN7rocprim17ROCPRIM_400000_NS6detail17trampoline_kernelINS0_13kernel_configILj256ELj4ELj4294967295EEENS1_37radix_sort_block_sort_config_selectorIlNS0_10empty_typeEEEZNS1_21radix_sort_block_sortIS4_Lb0EPlS9_PS6_SA_NS0_19identity_decomposerEEE10hipError_tT1_T2_T3_T4_jRjT5_jjP12ihipStream_tbEUlT_E_NS1_11comp_targetILNS1_3genE5ELNS1_11target_archE942ELNS1_3gpuE9ELNS1_3repE0EEENS1_44radix_sort_block_sort_config_static_selectorELNS0_4arch9wavefront6targetE1EEEvSD_ ; -- Begin function _ZN7rocprim17ROCPRIM_400000_NS6detail17trampoline_kernelINS0_13kernel_configILj256ELj4ELj4294967295EEENS1_37radix_sort_block_sort_config_selectorIlNS0_10empty_typeEEEZNS1_21radix_sort_block_sortIS4_Lb0EPlS9_PS6_SA_NS0_19identity_decomposerEEE10hipError_tT1_T2_T3_T4_jRjT5_jjP12ihipStream_tbEUlT_E_NS1_11comp_targetILNS1_3genE5ELNS1_11target_archE942ELNS1_3gpuE9ELNS1_3repE0EEENS1_44radix_sort_block_sort_config_static_selectorELNS0_4arch9wavefront6targetE1EEEvSD_
	.globl	_ZN7rocprim17ROCPRIM_400000_NS6detail17trampoline_kernelINS0_13kernel_configILj256ELj4ELj4294967295EEENS1_37radix_sort_block_sort_config_selectorIlNS0_10empty_typeEEEZNS1_21radix_sort_block_sortIS4_Lb0EPlS9_PS6_SA_NS0_19identity_decomposerEEE10hipError_tT1_T2_T3_T4_jRjT5_jjP12ihipStream_tbEUlT_E_NS1_11comp_targetILNS1_3genE5ELNS1_11target_archE942ELNS1_3gpuE9ELNS1_3repE0EEENS1_44radix_sort_block_sort_config_static_selectorELNS0_4arch9wavefront6targetE1EEEvSD_
	.p2align	8
	.type	_ZN7rocprim17ROCPRIM_400000_NS6detail17trampoline_kernelINS0_13kernel_configILj256ELj4ELj4294967295EEENS1_37radix_sort_block_sort_config_selectorIlNS0_10empty_typeEEEZNS1_21radix_sort_block_sortIS4_Lb0EPlS9_PS6_SA_NS0_19identity_decomposerEEE10hipError_tT1_T2_T3_T4_jRjT5_jjP12ihipStream_tbEUlT_E_NS1_11comp_targetILNS1_3genE5ELNS1_11target_archE942ELNS1_3gpuE9ELNS1_3repE0EEENS1_44radix_sort_block_sort_config_static_selectorELNS0_4arch9wavefront6targetE1EEEvSD_,@function
_ZN7rocprim17ROCPRIM_400000_NS6detail17trampoline_kernelINS0_13kernel_configILj256ELj4ELj4294967295EEENS1_37radix_sort_block_sort_config_selectorIlNS0_10empty_typeEEEZNS1_21radix_sort_block_sortIS4_Lb0EPlS9_PS6_SA_NS0_19identity_decomposerEEE10hipError_tT1_T2_T3_T4_jRjT5_jjP12ihipStream_tbEUlT_E_NS1_11comp_targetILNS1_3genE5ELNS1_11target_archE942ELNS1_3gpuE9ELNS1_3repE0EEENS1_44radix_sort_block_sort_config_static_selectorELNS0_4arch9wavefront6targetE1EEEvSD_: ; @_ZN7rocprim17ROCPRIM_400000_NS6detail17trampoline_kernelINS0_13kernel_configILj256ELj4ELj4294967295EEENS1_37radix_sort_block_sort_config_selectorIlNS0_10empty_typeEEEZNS1_21radix_sort_block_sortIS4_Lb0EPlS9_PS6_SA_NS0_19identity_decomposerEEE10hipError_tT1_T2_T3_T4_jRjT5_jjP12ihipStream_tbEUlT_E_NS1_11comp_targetILNS1_3genE5ELNS1_11target_archE942ELNS1_3gpuE9ELNS1_3repE0EEENS1_44radix_sort_block_sort_config_static_selectorELNS0_4arch9wavefront6targetE1EEEvSD_
; %bb.0:
	.section	.rodata,"a",@progbits
	.p2align	6, 0x0
	.amdhsa_kernel _ZN7rocprim17ROCPRIM_400000_NS6detail17trampoline_kernelINS0_13kernel_configILj256ELj4ELj4294967295EEENS1_37radix_sort_block_sort_config_selectorIlNS0_10empty_typeEEEZNS1_21radix_sort_block_sortIS4_Lb0EPlS9_PS6_SA_NS0_19identity_decomposerEEE10hipError_tT1_T2_T3_T4_jRjT5_jjP12ihipStream_tbEUlT_E_NS1_11comp_targetILNS1_3genE5ELNS1_11target_archE942ELNS1_3gpuE9ELNS1_3repE0EEENS1_44radix_sort_block_sort_config_static_selectorELNS0_4arch9wavefront6targetE1EEEvSD_
		.amdhsa_group_segment_fixed_size 0
		.amdhsa_private_segment_fixed_size 0
		.amdhsa_kernarg_size 48
		.amdhsa_user_sgpr_count 6
		.amdhsa_user_sgpr_private_segment_buffer 1
		.amdhsa_user_sgpr_dispatch_ptr 0
		.amdhsa_user_sgpr_queue_ptr 0
		.amdhsa_user_sgpr_kernarg_segment_ptr 1
		.amdhsa_user_sgpr_dispatch_id 0
		.amdhsa_user_sgpr_flat_scratch_init 0
		.amdhsa_user_sgpr_kernarg_preload_length 0
		.amdhsa_user_sgpr_kernarg_preload_offset 0
		.amdhsa_user_sgpr_private_segment_size 0
		.amdhsa_uses_dynamic_stack 0
		.amdhsa_system_sgpr_private_segment_wavefront_offset 0
		.amdhsa_system_sgpr_workgroup_id_x 1
		.amdhsa_system_sgpr_workgroup_id_y 0
		.amdhsa_system_sgpr_workgroup_id_z 0
		.amdhsa_system_sgpr_workgroup_info 0
		.amdhsa_system_vgpr_workitem_id 0
		.amdhsa_next_free_vgpr 1
		.amdhsa_next_free_sgpr 0
		.amdhsa_accum_offset 4
		.amdhsa_reserve_vcc 0
		.amdhsa_reserve_flat_scratch 0
		.amdhsa_float_round_mode_32 0
		.amdhsa_float_round_mode_16_64 0
		.amdhsa_float_denorm_mode_32 3
		.amdhsa_float_denorm_mode_16_64 3
		.amdhsa_dx10_clamp 1
		.amdhsa_ieee_mode 1
		.amdhsa_fp16_overflow 0
		.amdhsa_tg_split 0
		.amdhsa_exception_fp_ieee_invalid_op 0
		.amdhsa_exception_fp_denorm_src 0
		.amdhsa_exception_fp_ieee_div_zero 0
		.amdhsa_exception_fp_ieee_overflow 0
		.amdhsa_exception_fp_ieee_underflow 0
		.amdhsa_exception_fp_ieee_inexact 0
		.amdhsa_exception_int_div_zero 0
	.end_amdhsa_kernel
	.section	.text._ZN7rocprim17ROCPRIM_400000_NS6detail17trampoline_kernelINS0_13kernel_configILj256ELj4ELj4294967295EEENS1_37radix_sort_block_sort_config_selectorIlNS0_10empty_typeEEEZNS1_21radix_sort_block_sortIS4_Lb0EPlS9_PS6_SA_NS0_19identity_decomposerEEE10hipError_tT1_T2_T3_T4_jRjT5_jjP12ihipStream_tbEUlT_E_NS1_11comp_targetILNS1_3genE5ELNS1_11target_archE942ELNS1_3gpuE9ELNS1_3repE0EEENS1_44radix_sort_block_sort_config_static_selectorELNS0_4arch9wavefront6targetE1EEEvSD_,"axG",@progbits,_ZN7rocprim17ROCPRIM_400000_NS6detail17trampoline_kernelINS0_13kernel_configILj256ELj4ELj4294967295EEENS1_37radix_sort_block_sort_config_selectorIlNS0_10empty_typeEEEZNS1_21radix_sort_block_sortIS4_Lb0EPlS9_PS6_SA_NS0_19identity_decomposerEEE10hipError_tT1_T2_T3_T4_jRjT5_jjP12ihipStream_tbEUlT_E_NS1_11comp_targetILNS1_3genE5ELNS1_11target_archE942ELNS1_3gpuE9ELNS1_3repE0EEENS1_44radix_sort_block_sort_config_static_selectorELNS0_4arch9wavefront6targetE1EEEvSD_,comdat
.Lfunc_end779:
	.size	_ZN7rocprim17ROCPRIM_400000_NS6detail17trampoline_kernelINS0_13kernel_configILj256ELj4ELj4294967295EEENS1_37radix_sort_block_sort_config_selectorIlNS0_10empty_typeEEEZNS1_21radix_sort_block_sortIS4_Lb0EPlS9_PS6_SA_NS0_19identity_decomposerEEE10hipError_tT1_T2_T3_T4_jRjT5_jjP12ihipStream_tbEUlT_E_NS1_11comp_targetILNS1_3genE5ELNS1_11target_archE942ELNS1_3gpuE9ELNS1_3repE0EEENS1_44radix_sort_block_sort_config_static_selectorELNS0_4arch9wavefront6targetE1EEEvSD_, .Lfunc_end779-_ZN7rocprim17ROCPRIM_400000_NS6detail17trampoline_kernelINS0_13kernel_configILj256ELj4ELj4294967295EEENS1_37radix_sort_block_sort_config_selectorIlNS0_10empty_typeEEEZNS1_21radix_sort_block_sortIS4_Lb0EPlS9_PS6_SA_NS0_19identity_decomposerEEE10hipError_tT1_T2_T3_T4_jRjT5_jjP12ihipStream_tbEUlT_E_NS1_11comp_targetILNS1_3genE5ELNS1_11target_archE942ELNS1_3gpuE9ELNS1_3repE0EEENS1_44radix_sort_block_sort_config_static_selectorELNS0_4arch9wavefront6targetE1EEEvSD_
                                        ; -- End function
	.section	.AMDGPU.csdata,"",@progbits
; Kernel info:
; codeLenInByte = 0
; NumSgprs: 4
; NumVgprs: 0
; NumAgprs: 0
; TotalNumVgprs: 0
; ScratchSize: 0
; MemoryBound: 0
; FloatMode: 240
; IeeeMode: 1
; LDSByteSize: 0 bytes/workgroup (compile time only)
; SGPRBlocks: 0
; VGPRBlocks: 0
; NumSGPRsForWavesPerEU: 4
; NumVGPRsForWavesPerEU: 1
; AccumOffset: 4
; Occupancy: 8
; WaveLimiterHint : 0
; COMPUTE_PGM_RSRC2:SCRATCH_EN: 0
; COMPUTE_PGM_RSRC2:USER_SGPR: 6
; COMPUTE_PGM_RSRC2:TRAP_HANDLER: 0
; COMPUTE_PGM_RSRC2:TGID_X_EN: 1
; COMPUTE_PGM_RSRC2:TGID_Y_EN: 0
; COMPUTE_PGM_RSRC2:TGID_Z_EN: 0
; COMPUTE_PGM_RSRC2:TIDIG_COMP_CNT: 0
; COMPUTE_PGM_RSRC3_GFX90A:ACCUM_OFFSET: 0
; COMPUTE_PGM_RSRC3_GFX90A:TG_SPLIT: 0
	.section	.text._ZN7rocprim17ROCPRIM_400000_NS6detail17trampoline_kernelINS0_13kernel_configILj256ELj4ELj4294967295EEENS1_37radix_sort_block_sort_config_selectorIlNS0_10empty_typeEEEZNS1_21radix_sort_block_sortIS4_Lb0EPlS9_PS6_SA_NS0_19identity_decomposerEEE10hipError_tT1_T2_T3_T4_jRjT5_jjP12ihipStream_tbEUlT_E_NS1_11comp_targetILNS1_3genE4ELNS1_11target_archE910ELNS1_3gpuE8ELNS1_3repE0EEENS1_44radix_sort_block_sort_config_static_selectorELNS0_4arch9wavefront6targetE1EEEvSD_,"axG",@progbits,_ZN7rocprim17ROCPRIM_400000_NS6detail17trampoline_kernelINS0_13kernel_configILj256ELj4ELj4294967295EEENS1_37radix_sort_block_sort_config_selectorIlNS0_10empty_typeEEEZNS1_21radix_sort_block_sortIS4_Lb0EPlS9_PS6_SA_NS0_19identity_decomposerEEE10hipError_tT1_T2_T3_T4_jRjT5_jjP12ihipStream_tbEUlT_E_NS1_11comp_targetILNS1_3genE4ELNS1_11target_archE910ELNS1_3gpuE8ELNS1_3repE0EEENS1_44radix_sort_block_sort_config_static_selectorELNS0_4arch9wavefront6targetE1EEEvSD_,comdat
	.protected	_ZN7rocprim17ROCPRIM_400000_NS6detail17trampoline_kernelINS0_13kernel_configILj256ELj4ELj4294967295EEENS1_37radix_sort_block_sort_config_selectorIlNS0_10empty_typeEEEZNS1_21radix_sort_block_sortIS4_Lb0EPlS9_PS6_SA_NS0_19identity_decomposerEEE10hipError_tT1_T2_T3_T4_jRjT5_jjP12ihipStream_tbEUlT_E_NS1_11comp_targetILNS1_3genE4ELNS1_11target_archE910ELNS1_3gpuE8ELNS1_3repE0EEENS1_44radix_sort_block_sort_config_static_selectorELNS0_4arch9wavefront6targetE1EEEvSD_ ; -- Begin function _ZN7rocprim17ROCPRIM_400000_NS6detail17trampoline_kernelINS0_13kernel_configILj256ELj4ELj4294967295EEENS1_37radix_sort_block_sort_config_selectorIlNS0_10empty_typeEEEZNS1_21radix_sort_block_sortIS4_Lb0EPlS9_PS6_SA_NS0_19identity_decomposerEEE10hipError_tT1_T2_T3_T4_jRjT5_jjP12ihipStream_tbEUlT_E_NS1_11comp_targetILNS1_3genE4ELNS1_11target_archE910ELNS1_3gpuE8ELNS1_3repE0EEENS1_44radix_sort_block_sort_config_static_selectorELNS0_4arch9wavefront6targetE1EEEvSD_
	.globl	_ZN7rocprim17ROCPRIM_400000_NS6detail17trampoline_kernelINS0_13kernel_configILj256ELj4ELj4294967295EEENS1_37radix_sort_block_sort_config_selectorIlNS0_10empty_typeEEEZNS1_21radix_sort_block_sortIS4_Lb0EPlS9_PS6_SA_NS0_19identity_decomposerEEE10hipError_tT1_T2_T3_T4_jRjT5_jjP12ihipStream_tbEUlT_E_NS1_11comp_targetILNS1_3genE4ELNS1_11target_archE910ELNS1_3gpuE8ELNS1_3repE0EEENS1_44radix_sort_block_sort_config_static_selectorELNS0_4arch9wavefront6targetE1EEEvSD_
	.p2align	8
	.type	_ZN7rocprim17ROCPRIM_400000_NS6detail17trampoline_kernelINS0_13kernel_configILj256ELj4ELj4294967295EEENS1_37radix_sort_block_sort_config_selectorIlNS0_10empty_typeEEEZNS1_21radix_sort_block_sortIS4_Lb0EPlS9_PS6_SA_NS0_19identity_decomposerEEE10hipError_tT1_T2_T3_T4_jRjT5_jjP12ihipStream_tbEUlT_E_NS1_11comp_targetILNS1_3genE4ELNS1_11target_archE910ELNS1_3gpuE8ELNS1_3repE0EEENS1_44radix_sort_block_sort_config_static_selectorELNS0_4arch9wavefront6targetE1EEEvSD_,@function
_ZN7rocprim17ROCPRIM_400000_NS6detail17trampoline_kernelINS0_13kernel_configILj256ELj4ELj4294967295EEENS1_37radix_sort_block_sort_config_selectorIlNS0_10empty_typeEEEZNS1_21radix_sort_block_sortIS4_Lb0EPlS9_PS6_SA_NS0_19identity_decomposerEEE10hipError_tT1_T2_T3_T4_jRjT5_jjP12ihipStream_tbEUlT_E_NS1_11comp_targetILNS1_3genE4ELNS1_11target_archE910ELNS1_3gpuE8ELNS1_3repE0EEENS1_44radix_sort_block_sort_config_static_selectorELNS0_4arch9wavefront6targetE1EEEvSD_: ; @_ZN7rocprim17ROCPRIM_400000_NS6detail17trampoline_kernelINS0_13kernel_configILj256ELj4ELj4294967295EEENS1_37radix_sort_block_sort_config_selectorIlNS0_10empty_typeEEEZNS1_21radix_sort_block_sortIS4_Lb0EPlS9_PS6_SA_NS0_19identity_decomposerEEE10hipError_tT1_T2_T3_T4_jRjT5_jjP12ihipStream_tbEUlT_E_NS1_11comp_targetILNS1_3genE4ELNS1_11target_archE910ELNS1_3gpuE8ELNS1_3repE0EEENS1_44radix_sort_block_sort_config_static_selectorELNS0_4arch9wavefront6targetE1EEEvSD_
; %bb.0:
	s_load_dword s7, s[4:5], 0x20
	s_load_dwordx4 s[28:31], s[4:5], 0x0
	s_lshl_b32 s0, s6, 10
	s_mov_b32 s1, 0
	v_mbcnt_lo_u32_b32 v1, -1, 0
	s_waitcnt lgkmcnt(0)
	s_lshr_b32 s2, s7, 10
	s_cmp_lg_u32 s6, s2
	s_cselect_b64 s[34:35], -1, 0
	s_lshl_b64 s[36:37], s[0:1], 3
	v_mbcnt_hi_u32_b32 v1, -1, v1
	v_and_b32_e32 v10, 0x3ff, v0
	s_add_u32 s1, s28, s36
	v_and_b32_e32 v14, 63, v1
	s_addc_u32 s3, s29, s37
	v_lshlrev_b32_e32 v11, 2, v10
	v_lshlrev_b32_e32 v2, 3, v14
	v_and_b32_e32 v16, 0x300, v11
	v_mov_b32_e32 v3, s3
	v_add_co_u32_e32 v2, vcc, s1, v2
	v_addc_co_u32_e32 v3, vcc, 0, v3, vcc
	v_lshlrev_b32_e32 v4, 3, v16
	v_add_co_u32_e32 v12, vcc, v2, v4
	s_cmp_eq_u32 s6, s2
	v_addc_co_u32_e32 v13, vcc, 0, v3, vcc
	v_or_b32_e32 v15, v14, v16
	s_cbranch_scc1 .LBB780_2
; %bb.1:
	global_load_dwordx2 v[2:3], v[12:13], off
	global_load_dwordx2 v[4:5], v[12:13], off offset:512
	global_load_dwordx2 v[6:7], v[12:13], off offset:1024
	;; [unrolled: 1-line block ×3, first 2 shown]
	v_or_b32_e32 v18, v14, v16
	v_or_b32_e32 v14, 64, v18
	;; [unrolled: 1-line block ×4, first 2 shown]
	s_load_dwordx2 s[28:29], s[4:5], 0x28
	s_sub_i32 s33, s7, s0
	s_cbranch_execz .LBB780_3
	s_branch .LBB780_12
.LBB780_2:
                                        ; implicit-def: $vgpr2_vgpr3_vgpr4_vgpr5_vgpr6_vgpr7_vgpr8_vgpr9
                                        ; implicit-def: $vgpr18
                                        ; implicit-def: $vgpr14
                                        ; implicit-def: $vgpr16
                                        ; implicit-def: $vgpr17
	s_load_dwordx2 s[28:29], s[4:5], 0x28
	s_sub_i32 s33, s7, s0
.LBB780_3:
	s_brev_b32 s9, -2
	s_mov_b32 s8, -1
	s_mov_b32 s10, s8
	s_mov_b32 s11, s9
	;; [unrolled: 1-line block ×6, first 2 shown]
	s_waitcnt vmcnt(0)
	v_pk_mov_b32 v[2:3], s[8:9], s[8:9] op_sel:[0,1]
	v_cmp_gt_u32_e32 vcc, s33, v15
	v_pk_mov_b32 v[4:5], s[10:11], s[10:11] op_sel:[0,1]
	v_pk_mov_b32 v[6:7], s[12:13], s[12:13] op_sel:[0,1]
	;; [unrolled: 1-line block ×3, first 2 shown]
	s_and_saveexec_b64 s[0:1], vcc
	s_cbranch_execz .LBB780_5
; %bb.4:
	global_load_dwordx2 v[2:3], v[12:13], off
	v_mov_b32_e32 v4, -1
	v_bfrev_b32_e32 v5, -2
	v_mov_b32_e32 v6, v4
	v_mov_b32_e32 v7, v5
	;; [unrolled: 1-line block ×4, first 2 shown]
.LBB780_5:
	s_or_b64 exec, exec, s[0:1]
	v_or_b32_e32 v14, 64, v15
	v_cmp_gt_u32_e32 vcc, s33, v14
	s_and_saveexec_b64 s[0:1], vcc
	s_cbranch_execz .LBB780_7
; %bb.6:
	global_load_dwordx2 v[4:5], v[12:13], off offset:512
.LBB780_7:
	s_or_b64 exec, exec, s[0:1]
	v_or_b32_e32 v16, 0x80, v15
	v_cmp_gt_u32_e32 vcc, s33, v16
	s_and_saveexec_b64 s[0:1], vcc
	s_cbranch_execz .LBB780_9
; %bb.8:
	global_load_dwordx2 v[6:7], v[12:13], off offset:1024
.LBB780_9:
	;; [unrolled: 8-line block ×3, first 2 shown]
	s_or_b64 exec, exec, s[0:1]
	v_mov_b32_e32 v18, v15
.LBB780_12:
	s_load_dword s2, s[4:5], 0x3c
	s_waitcnt lgkmcnt(0)
	s_add_i32 s38, s29, s28
	s_getpc_b64 s[0:1]
	s_add_u32 s0, s0, _ZN7rocprim17ROCPRIM_400000_NS16block_radix_sortIlLj256ELj4ENS0_10empty_typeELj1ELj1ELj0ELNS0_26block_radix_rank_algorithmE1ELNS0_18block_padding_hintE2ELNS0_4arch9wavefront6targetE1EE19radix_bits_per_passE@rel32@lo+4
	s_addc_u32 s1, s1, _ZN7rocprim17ROCPRIM_400000_NS16block_radix_sortIlLj256ELj4ENS0_10empty_typeELj1ELj1ELj0ELNS0_26block_radix_rank_algorithmE1ELNS0_18block_padding_hintE2ELNS0_4arch9wavefront6targetE1EE19radix_bits_per_passE@rel32@hi+12
	s_load_dword s39, s[0:1], 0x0
	v_bfe_u32 v12, v0, 10, 10
	s_lshr_b32 s0, s2, 16
	v_bfe_u32 v0, v0, 20, 10
	s_and_b32 s1, s2, 0xffff
	v_mad_u32_u24 v0, v0, s0, v12
	v_mad_u64_u32 v[12:13], s[0:1], v0, s1, v[10:11]
	v_and_b32_e32 v0, 15, v1
	v_cmp_eq_u32_e64 s[0:1], 0, v0
	v_cmp_lt_u32_e64 s[2:3], 1, v0
	v_cmp_lt_u32_e64 s[4:5], 3, v0
	;; [unrolled: 1-line block ×3, first 2 shown]
	v_and_b32_e32 v0, 16, v1
	v_cmp_eq_u32_e64 s[8:9], 0, v0
	v_and_b32_e32 v0, 0x3c0, v10
	v_min_u32_e32 v0, 0xc0, v0
	v_or_b32_e32 v0, 63, v0
	v_lshrrev_b32_e32 v26, 6, v12
	v_cmp_eq_u32_e64 s[12:13], v0, v10
	v_add_u32_e32 v0, -1, v1
	v_and_b32_e32 v12, 64, v1
	v_cmp_lt_i32_e32 vcc, v0, v12
	v_cndmask_b32_e32 v0, v0, v1, vcc
	s_mov_b32 s26, 0
	v_lshlrev_b32_e32 v27, 2, v0
	v_lshrrev_b32_e32 v0, 4, v10
	v_lshlrev_b32_e32 v11, 2, v11
	v_cmp_lt_u32_e64 s[10:11], 31, v1
	v_cmp_eq_u32_e64 s[18:19], 0, v1
	v_and_b32_e32 v28, 60, v0
	v_mul_i32_i24_e32 v0, -12, v10
	v_and_b32_e32 v1, 3, v1
	s_mov_b32 s27, s26
	s_mov_b32 s40, s26
	;; [unrolled: 1-line block ×3, first 2 shown]
	s_waitcnt vmcnt(0)
	v_xor_b32_e32 v3, 0x80000000, v3
	v_xor_b32_e32 v5, 0x80000000, v5
	;; [unrolled: 1-line block ×4, first 2 shown]
	v_cmp_gt_u32_e64 s[14:15], 4, v10
	v_cmp_lt_u32_e64 s[16:17], 63, v10
	v_cmp_eq_u32_e64 s[20:21], 0, v10
	v_cmp_eq_u32_e64 s[22:23], 0, v1
	v_cmp_lt_u32_e64 s[24:25], 1, v1
	v_add_u32_e32 v29, -4, v28
	v_lshlrev_b32_e32 v30, 3, v18
	v_lshlrev_b32_e32 v31, 3, v14
	;; [unrolled: 1-line block ×4, first 2 shown]
	v_pk_mov_b32 v[12:13], s[26:27], s[26:27] op_sel:[0,1]
	v_pk_mov_b32 v[14:15], s[40:41], s[40:41] op_sel:[0,1]
	v_add_u32_e32 v34, v11, v0
	v_mov_b32_e32 v16, 0
	s_branch .LBB780_14
.LBB780_13:                             ;   in Loop: Header=BB780_14 Depth=1
	s_barrier
	ds_write_b64 v0, v[24:25]
	ds_write_b64 v1, v[22:23]
	;; [unrolled: 1-line block ×4, first 2 shown]
	s_waitcnt lgkmcnt(0)
	s_barrier
	ds_read_b64 v[2:3], v30
	ds_read_b64 v[4:5], v31
	;; [unrolled: 1-line block ×4, first 2 shown]
	s_add_i32 s29, s29, -8
	s_waitcnt lgkmcnt(0)
	s_barrier
	s_cbranch_execz .LBB780_30
.LBB780_14:                             ; =>This Inner Loop Header: Depth=1
	s_waitcnt lgkmcnt(0)
	s_min_u32 s26, s39, s29
	v_pk_mov_b32 v[24:25], v[2:3], v[2:3] op_sel:[0,1]
	s_lshl_b32 s26, -1, s26
	s_not_b32 s40, s26
	v_lshrrev_b64 v[0:1], s28, v[24:25]
	v_and_b32_e32 v0, s40, v0
	v_lshl_add_u32 v1, v0, 2, v26
	v_pk_mov_b32 v[22:23], v[4:5], v[4:5] op_sel:[0,1]
	v_lshl_add_u32 v4, v1, 2, 16
	v_and_b32_e32 v1, 1, v0
	v_add_co_u32_e32 v2, vcc, -1, v1
	v_addc_co_u32_e64 v3, s[26:27], 0, -1, vcc
	v_cmp_ne_u32_e32 vcc, 0, v1
	v_lshlrev_b32_e32 v17, 30, v0
	v_xor_b32_e32 v1, vcc_hi, v3
	v_not_b32_e32 v3, v17
	v_xor_b32_e32 v2, vcc_lo, v2
	v_cmp_gt_i64_e32 vcc, 0, v[16:17]
	v_ashrrev_i32_e32 v3, 31, v3
	v_and_b32_e32 v2, exec_lo, v2
	v_xor_b32_e32 v5, vcc_hi, v3
	v_xor_b32_e32 v3, vcc_lo, v3
	v_lshlrev_b32_e32 v17, 29, v0
	v_and_b32_e32 v2, v2, v3
	v_not_b32_e32 v3, v17
	v_and_b32_e32 v1, exec_hi, v1
	v_cmp_gt_i64_e32 vcc, 0, v[16:17]
	v_ashrrev_i32_e32 v3, 31, v3
	v_and_b32_e32 v1, v1, v5
	v_xor_b32_e32 v5, vcc_hi, v3
	v_xor_b32_e32 v3, vcc_lo, v3
	v_lshlrev_b32_e32 v17, 28, v0
	v_and_b32_e32 v2, v2, v3
	v_not_b32_e32 v3, v17
	v_cmp_gt_i64_e32 vcc, 0, v[16:17]
	v_ashrrev_i32_e32 v3, 31, v3
	v_and_b32_e32 v1, v1, v5
	v_xor_b32_e32 v5, vcc_hi, v3
	v_xor_b32_e32 v3, vcc_lo, v3
	v_lshlrev_b32_e32 v17, 27, v0
	v_and_b32_e32 v2, v2, v3
	v_not_b32_e32 v3, v17
	;; [unrolled: 8-line block ×3, first 2 shown]
	v_cmp_gt_i64_e32 vcc, 0, v[16:17]
	v_ashrrev_i32_e32 v3, 31, v3
	v_and_b32_e32 v1, v1, v5
	v_xor_b32_e32 v5, vcc_hi, v3
	v_xor_b32_e32 v3, vcc_lo, v3
	v_lshlrev_b32_e32 v17, 25, v0
	v_and_b32_e32 v2, v2, v3
	v_cmp_gt_i64_e32 vcc, 0, v[16:17]
	v_not_b32_e32 v3, v17
	v_lshlrev_b32_e32 v17, 24, v0
	v_ashrrev_i32_e32 v3, 31, v3
	v_not_b32_e32 v0, v17
	v_and_b32_e32 v1, v1, v5
	v_xor_b32_e32 v5, vcc_hi, v3
	v_xor_b32_e32 v3, vcc_lo, v3
	v_cmp_gt_i64_e32 vcc, 0, v[16:17]
	v_ashrrev_i32_e32 v0, 31, v0
	v_and_b32_e32 v2, v2, v3
	v_xor_b32_e32 v3, vcc_hi, v0
	v_xor_b32_e32 v0, vcc_lo, v0
	v_and_b32_e32 v1, v1, v5
	v_and_b32_e32 v0, v2, v0
	;; [unrolled: 1-line block ×3, first 2 shown]
	v_mbcnt_lo_u32_b32 v2, v0, 0
	v_mbcnt_hi_u32_b32 v5, v1, v2
	v_cmp_eq_u32_e32 vcc, 0, v5
	v_cmp_ne_u64_e64 s[26:27], 0, v[0:1]
	v_pk_mov_b32 v[18:19], v[8:9], v[8:9] op_sel:[0,1]
	v_pk_mov_b32 v[20:21], v[6:7], v[6:7] op_sel:[0,1]
	s_and_b64 s[42:43], s[26:27], vcc
	ds_write2_b64 v11, v[12:13], v[14:15] offset0:2 offset1:3
	s_waitcnt lgkmcnt(0)
	s_barrier
	s_waitcnt lgkmcnt(0)
	; wave barrier
	s_and_saveexec_b64 s[26:27], s[42:43]
	s_cbranch_execz .LBB780_16
; %bb.15:                               ;   in Loop: Header=BB780_14 Depth=1
	v_bcnt_u32_b32 v0, v0, 0
	v_bcnt_u32_b32 v0, v1, v0
	ds_write_b32 v4, v0
.LBB780_16:                             ;   in Loop: Header=BB780_14 Depth=1
	s_or_b64 exec, exec, s[26:27]
	v_lshrrev_b64 v[0:1], s28, v[22:23]
	v_and_b32_e32 v0, s40, v0
	v_lshlrev_b32_e32 v1, 2, v0
	v_add_lshl_u32 v1, v1, v26, 2
	; wave barrier
	v_add_u32_e32 v7, 16, v1
	ds_read_b32 v6, v1 offset:16
	v_and_b32_e32 v1, 1, v0
	v_add_co_u32_e32 v2, vcc, -1, v1
	v_addc_co_u32_e64 v3, s[26:27], 0, -1, vcc
	v_cmp_ne_u32_e32 vcc, 0, v1
	v_lshlrev_b32_e32 v17, 30, v0
	v_xor_b32_e32 v1, vcc_hi, v3
	v_not_b32_e32 v3, v17
	v_xor_b32_e32 v2, vcc_lo, v2
	v_cmp_gt_i64_e32 vcc, 0, v[16:17]
	v_ashrrev_i32_e32 v3, 31, v3
	v_and_b32_e32 v2, exec_lo, v2
	v_xor_b32_e32 v8, vcc_hi, v3
	v_xor_b32_e32 v3, vcc_lo, v3
	v_lshlrev_b32_e32 v17, 29, v0
	v_and_b32_e32 v2, v2, v3
	v_not_b32_e32 v3, v17
	v_and_b32_e32 v1, exec_hi, v1
	v_cmp_gt_i64_e32 vcc, 0, v[16:17]
	v_ashrrev_i32_e32 v3, 31, v3
	v_and_b32_e32 v1, v1, v8
	v_xor_b32_e32 v8, vcc_hi, v3
	v_xor_b32_e32 v3, vcc_lo, v3
	v_lshlrev_b32_e32 v17, 28, v0
	v_and_b32_e32 v2, v2, v3
	v_not_b32_e32 v3, v17
	v_cmp_gt_i64_e32 vcc, 0, v[16:17]
	v_ashrrev_i32_e32 v3, 31, v3
	v_and_b32_e32 v1, v1, v8
	v_xor_b32_e32 v8, vcc_hi, v3
	v_xor_b32_e32 v3, vcc_lo, v3
	v_lshlrev_b32_e32 v17, 27, v0
	v_and_b32_e32 v2, v2, v3
	v_not_b32_e32 v3, v17
	v_cmp_gt_i64_e32 vcc, 0, v[16:17]
	v_ashrrev_i32_e32 v3, 31, v3
	v_and_b32_e32 v1, v1, v8
	v_xor_b32_e32 v8, vcc_hi, v3
	v_xor_b32_e32 v3, vcc_lo, v3
	v_lshlrev_b32_e32 v17, 26, v0
	v_and_b32_e32 v2, v2, v3
	v_not_b32_e32 v3, v17
	v_cmp_gt_i64_e32 vcc, 0, v[16:17]
	v_ashrrev_i32_e32 v3, 31, v3
	v_and_b32_e32 v1, v1, v8
	v_xor_b32_e32 v8, vcc_hi, v3
	v_xor_b32_e32 v3, vcc_lo, v3
	v_lshlrev_b32_e32 v17, 25, v0
	v_and_b32_e32 v2, v2, v3
	v_cmp_gt_i64_e32 vcc, 0, v[16:17]
	v_not_b32_e32 v3, v17
	v_lshlrev_b32_e32 v17, 24, v0
	v_ashrrev_i32_e32 v3, 31, v3
	v_not_b32_e32 v0, v17
	v_and_b32_e32 v1, v1, v8
	v_xor_b32_e32 v8, vcc_hi, v3
	v_xor_b32_e32 v3, vcc_lo, v3
	v_cmp_gt_i64_e32 vcc, 0, v[16:17]
	v_ashrrev_i32_e32 v0, 31, v0
	v_and_b32_e32 v2, v2, v3
	v_xor_b32_e32 v3, vcc_hi, v0
	v_xor_b32_e32 v0, vcc_lo, v0
	v_and_b32_e32 v1, v1, v8
	v_and_b32_e32 v0, v2, v0
	;; [unrolled: 1-line block ×3, first 2 shown]
	v_mbcnt_lo_u32_b32 v2, v0, 0
	v_mbcnt_hi_u32_b32 v8, v1, v2
	v_cmp_eq_u32_e32 vcc, 0, v8
	v_cmp_ne_u64_e64 s[26:27], 0, v[0:1]
	s_and_b64 s[42:43], s[26:27], vcc
	; wave barrier
	s_and_saveexec_b64 s[26:27], s[42:43]
	s_cbranch_execz .LBB780_18
; %bb.17:                               ;   in Loop: Header=BB780_14 Depth=1
	v_bcnt_u32_b32 v0, v0, 0
	v_bcnt_u32_b32 v0, v1, v0
	s_waitcnt lgkmcnt(0)
	v_add_u32_e32 v0, v6, v0
	ds_write_b32 v7, v0
.LBB780_18:                             ;   in Loop: Header=BB780_14 Depth=1
	s_or_b64 exec, exec, s[26:27]
	v_lshrrev_b64 v[0:1], s28, v[20:21]
	v_and_b32_e32 v0, s40, v0
	v_lshlrev_b32_e32 v1, 2, v0
	v_add_lshl_u32 v1, v1, v26, 2
	; wave barrier
	v_add_u32_e32 v35, 16, v1
	ds_read_b32 v9, v1 offset:16
	v_and_b32_e32 v1, 1, v0
	v_add_co_u32_e32 v2, vcc, -1, v1
	v_addc_co_u32_e64 v3, s[26:27], 0, -1, vcc
	v_cmp_ne_u32_e32 vcc, 0, v1
	v_lshlrev_b32_e32 v17, 30, v0
	v_xor_b32_e32 v1, vcc_hi, v3
	v_not_b32_e32 v3, v17
	v_xor_b32_e32 v2, vcc_lo, v2
	v_cmp_gt_i64_e32 vcc, 0, v[16:17]
	v_ashrrev_i32_e32 v3, 31, v3
	v_and_b32_e32 v1, exec_hi, v1
	v_xor_b32_e32 v17, vcc_hi, v3
	v_and_b32_e32 v2, exec_lo, v2
	v_xor_b32_e32 v3, vcc_lo, v3
	v_and_b32_e32 v1, v1, v17
	v_lshlrev_b32_e32 v17, 29, v0
	v_and_b32_e32 v2, v2, v3
	v_not_b32_e32 v3, v17
	v_cmp_gt_i64_e32 vcc, 0, v[16:17]
	v_ashrrev_i32_e32 v3, 31, v3
	v_xor_b32_e32 v17, vcc_hi, v3
	v_xor_b32_e32 v3, vcc_lo, v3
	v_and_b32_e32 v1, v1, v17
	v_lshlrev_b32_e32 v17, 28, v0
	v_and_b32_e32 v2, v2, v3
	v_not_b32_e32 v3, v17
	v_cmp_gt_i64_e32 vcc, 0, v[16:17]
	v_ashrrev_i32_e32 v3, 31, v3
	v_xor_b32_e32 v17, vcc_hi, v3
	;; [unrolled: 8-line block ×5, first 2 shown]
	v_and_b32_e32 v1, v1, v17
	v_lshlrev_b32_e32 v17, 24, v0
	v_not_b32_e32 v0, v17
	v_xor_b32_e32 v3, vcc_lo, v3
	v_cmp_gt_i64_e32 vcc, 0, v[16:17]
	v_ashrrev_i32_e32 v0, 31, v0
	v_and_b32_e32 v2, v2, v3
	v_xor_b32_e32 v3, vcc_hi, v0
	v_xor_b32_e32 v0, vcc_lo, v0
	v_and_b32_e32 v0, v2, v0
	v_and_b32_e32 v1, v1, v3
	v_mbcnt_lo_u32_b32 v2, v0, 0
	v_mbcnt_hi_u32_b32 v36, v1, v2
	v_cmp_eq_u32_e32 vcc, 0, v36
	v_cmp_ne_u64_e64 s[26:27], 0, v[0:1]
	s_and_b64 s[42:43], s[26:27], vcc
	; wave barrier
	s_and_saveexec_b64 s[26:27], s[42:43]
	s_cbranch_execz .LBB780_20
; %bb.19:                               ;   in Loop: Header=BB780_14 Depth=1
	v_bcnt_u32_b32 v0, v0, 0
	v_bcnt_u32_b32 v0, v1, v0
	s_waitcnt lgkmcnt(0)
	v_add_u32_e32 v0, v9, v0
	ds_write_b32 v35, v0
.LBB780_20:                             ;   in Loop: Header=BB780_14 Depth=1
	s_or_b64 exec, exec, s[26:27]
	v_lshrrev_b64 v[0:1], s28, v[18:19]
	v_and_b32_e32 v0, s40, v0
	v_lshlrev_b32_e32 v1, 2, v0
	v_add_lshl_u32 v1, v1, v26, 2
	; wave barrier
	v_add_u32_e32 v38, 16, v1
	ds_read_b32 v37, v1 offset:16
	v_and_b32_e32 v1, 1, v0
	v_add_co_u32_e32 v2, vcc, -1, v1
	v_addc_co_u32_e64 v3, s[26:27], 0, -1, vcc
	v_cmp_ne_u32_e32 vcc, 0, v1
	v_lshlrev_b32_e32 v17, 30, v0
	v_xor_b32_e32 v1, vcc_hi, v3
	v_not_b32_e32 v3, v17
	v_xor_b32_e32 v2, vcc_lo, v2
	v_cmp_gt_i64_e32 vcc, 0, v[16:17]
	v_ashrrev_i32_e32 v3, 31, v3
	v_and_b32_e32 v1, exec_hi, v1
	v_xor_b32_e32 v17, vcc_hi, v3
	v_and_b32_e32 v2, exec_lo, v2
	v_xor_b32_e32 v3, vcc_lo, v3
	v_and_b32_e32 v1, v1, v17
	v_lshlrev_b32_e32 v17, 29, v0
	v_and_b32_e32 v2, v2, v3
	v_not_b32_e32 v3, v17
	v_cmp_gt_i64_e32 vcc, 0, v[16:17]
	v_ashrrev_i32_e32 v3, 31, v3
	v_xor_b32_e32 v17, vcc_hi, v3
	v_xor_b32_e32 v3, vcc_lo, v3
	v_and_b32_e32 v1, v1, v17
	v_lshlrev_b32_e32 v17, 28, v0
	v_and_b32_e32 v2, v2, v3
	v_not_b32_e32 v3, v17
	v_cmp_gt_i64_e32 vcc, 0, v[16:17]
	v_ashrrev_i32_e32 v3, 31, v3
	v_xor_b32_e32 v17, vcc_hi, v3
	;; [unrolled: 8-line block ×5, first 2 shown]
	v_and_b32_e32 v1, v1, v17
	v_lshlrev_b32_e32 v17, 24, v0
	v_not_b32_e32 v0, v17
	v_xor_b32_e32 v3, vcc_lo, v3
	v_cmp_gt_i64_e32 vcc, 0, v[16:17]
	v_ashrrev_i32_e32 v0, 31, v0
	v_and_b32_e32 v2, v2, v3
	v_xor_b32_e32 v3, vcc_hi, v0
	v_xor_b32_e32 v0, vcc_lo, v0
	v_and_b32_e32 v0, v2, v0
	v_and_b32_e32 v1, v1, v3
	v_mbcnt_lo_u32_b32 v2, v0, 0
	v_mbcnt_hi_u32_b32 v17, v1, v2
	v_cmp_eq_u32_e32 vcc, 0, v17
	v_cmp_ne_u64_e64 s[26:27], 0, v[0:1]
	s_and_b64 s[40:41], s[26:27], vcc
	; wave barrier
	s_and_saveexec_b64 s[26:27], s[40:41]
	s_cbranch_execz .LBB780_22
; %bb.21:                               ;   in Loop: Header=BB780_14 Depth=1
	v_bcnt_u32_b32 v0, v0, 0
	v_bcnt_u32_b32 v0, v1, v0
	s_waitcnt lgkmcnt(0)
	v_add_u32_e32 v0, v37, v0
	ds_write_b32 v38, v0
.LBB780_22:                             ;   in Loop: Header=BB780_14 Depth=1
	s_or_b64 exec, exec, s[26:27]
	; wave barrier
	s_waitcnt lgkmcnt(0)
	s_barrier
	ds_read2_b64 v[0:3], v11 offset0:2 offset1:3
	s_waitcnt lgkmcnt(0)
	v_add_u32_e32 v39, v1, v0
	v_add3_u32 v3, v39, v2, v3
	s_nop 1
	v_mov_b32_dpp v39, v3 row_shr:1 row_mask:0xf bank_mask:0xf
	v_cndmask_b32_e64 v39, v39, 0, s[0:1]
	v_add_u32_e32 v3, v39, v3
	s_nop 1
	v_mov_b32_dpp v39, v3 row_shr:2 row_mask:0xf bank_mask:0xf
	v_cndmask_b32_e64 v39, 0, v39, s[2:3]
	v_add_u32_e32 v3, v3, v39
	;; [unrolled: 4-line block ×4, first 2 shown]
	s_nop 1
	v_mov_b32_dpp v39, v3 row_bcast:15 row_mask:0xf bank_mask:0xf
	v_cndmask_b32_e64 v39, v39, 0, s[8:9]
	v_add_u32_e32 v3, v3, v39
	s_nop 1
	v_mov_b32_dpp v39, v3 row_bcast:31 row_mask:0xf bank_mask:0xf
	v_cndmask_b32_e64 v39, 0, v39, s[10:11]
	v_add_u32_e32 v3, v3, v39
	s_and_saveexec_b64 s[26:27], s[12:13]
	s_cbranch_execz .LBB780_24
; %bb.23:                               ;   in Loop: Header=BB780_14 Depth=1
	ds_write_b32 v28, v3
.LBB780_24:                             ;   in Loop: Header=BB780_14 Depth=1
	s_or_b64 exec, exec, s[26:27]
	s_waitcnt lgkmcnt(0)
	s_barrier
	s_and_saveexec_b64 s[26:27], s[14:15]
	s_cbranch_execz .LBB780_26
; %bb.25:                               ;   in Loop: Header=BB780_14 Depth=1
	ds_read_b32 v39, v34
	s_waitcnt lgkmcnt(0)
	s_nop 0
	v_mov_b32_dpp v40, v39 row_shr:1 row_mask:0xf bank_mask:0xf
	v_cndmask_b32_e64 v40, v40, 0, s[22:23]
	v_add_u32_e32 v39, v40, v39
	s_nop 1
	v_mov_b32_dpp v40, v39 row_shr:2 row_mask:0xf bank_mask:0xf
	v_cndmask_b32_e64 v40, 0, v40, s[24:25]
	v_add_u32_e32 v39, v39, v40
	ds_write_b32 v34, v39
.LBB780_26:                             ;   in Loop: Header=BB780_14 Depth=1
	s_or_b64 exec, exec, s[26:27]
	v_mov_b32_e32 v39, 0
	s_waitcnt lgkmcnt(0)
	s_barrier
	s_and_saveexec_b64 s[26:27], s[16:17]
	s_cbranch_execz .LBB780_28
; %bb.27:                               ;   in Loop: Header=BB780_14 Depth=1
	ds_read_b32 v39, v29
.LBB780_28:                             ;   in Loop: Header=BB780_14 Depth=1
	s_or_b64 exec, exec, s[26:27]
	s_waitcnt lgkmcnt(0)
	v_add_u32_e32 v3, v39, v3
	ds_bpermute_b32 v3, v27, v3
	s_add_i32 s28, s28, 8
	s_cmp_ge_u32 s28, s38
	s_waitcnt lgkmcnt(0)
	v_cndmask_b32_e64 v3, v3, v39, s[18:19]
	v_cndmask_b32_e64 v40, v3, 0, s[20:21]
	v_add_u32_e32 v41, v40, v0
	v_add_u32_e32 v0, v41, v1
	;; [unrolled: 1-line block ×3, first 2 shown]
	ds_write2_b64 v11, v[40:41], v[0:1] offset0:2 offset1:3
	s_waitcnt lgkmcnt(0)
	s_barrier
	ds_read_b32 v0, v4
	ds_read_b32 v1, v7
	;; [unrolled: 1-line block ×4, first 2 shown]
	v_lshlrev_b32_e32 v4, 3, v5
	s_waitcnt lgkmcnt(3)
	v_lshl_add_u32 v0, v0, 3, v4
	v_lshlrev_b32_e32 v4, 3, v8
	v_lshlrev_b32_e32 v5, 3, v6
	s_waitcnt lgkmcnt(2)
	v_lshlrev_b32_e32 v1, 3, v1
	v_add3_u32 v1, v4, v5, v1
	v_lshlrev_b32_e32 v4, 3, v36
	v_lshlrev_b32_e32 v5, 3, v9
	s_waitcnt lgkmcnt(1)
	v_lshlrev_b32_e32 v2, 3, v2
	v_add3_u32 v35, v4, v5, v2
	;; [unrolled: 5-line block ×3, first 2 shown]
	s_cbranch_scc0 .LBB780_13
; %bb.29:
                                        ; implicit-def: $vgpr8_vgpr9
                                        ; implicit-def: $sgpr28
.LBB780_30:
	v_lshlrev_b32_e32 v8, 3, v10
	s_barrier
	ds_write_b64 v0, v[24:25]
	ds_write_b64 v1, v[22:23]
	;; [unrolled: 1-line block ×4, first 2 shown]
	s_waitcnt lgkmcnt(0)
	s_barrier
	ds_read2st64_b64 v[4:7], v8 offset1:4
	ds_read2st64_b64 v[0:3], v8 offset0:8 offset1:12
	s_add_u32 s0, s30, s36
	s_addc_u32 s1, s31, s37
	v_mov_b32_e32 v9, s1
	v_add_co_u32_e64 v8, s[0:1], s0, v8
	s_waitcnt lgkmcnt(1)
	v_xor_b32_e32 v5, 0x80000000, v5
	v_xor_b32_e32 v7, 0x80000000, v7
	s_waitcnt lgkmcnt(0)
	v_xor_b32_e32 v1, 0x80000000, v1
	s_andn2_b64 vcc, exec, s[34:35]
	v_addc_co_u32_e64 v9, s[0:1], 0, v9, s[0:1]
	s_cbranch_vccnz .LBB780_32
; %bb.31:
	v_add_co_u32_e32 v12, vcc, 0x1000, v8
	v_addc_co_u32_e32 v13, vcc, 0, v9, vcc
	s_mov_b64 s[0:1], -1
	global_store_dwordx2 v[8:9], v[4:5], off
	global_store_dwordx2 v[8:9], v[6:7], off offset:2048
	global_store_dwordx2 v[12:13], v[0:1], off
	s_cbranch_execz .LBB780_33
	s_branch .LBB780_40
.LBB780_32:
	s_mov_b64 s[0:1], 0
.LBB780_33:
	v_cmp_gt_u32_e32 vcc, s33, v10
	s_and_saveexec_b64 s[0:1], vcc
	s_cbranch_execz .LBB780_35
; %bb.34:
	global_store_dwordx2 v[8:9], v[4:5], off
.LBB780_35:
	s_or_b64 exec, exec, s[0:1]
	v_add_u32_e32 v4, 0x100, v10
	v_cmp_gt_u32_e32 vcc, s33, v4
	s_and_saveexec_b64 s[0:1], vcc
	s_cbranch_execz .LBB780_37
; %bb.36:
	global_store_dwordx2 v[8:9], v[6:7], off offset:2048
.LBB780_37:
	s_or_b64 exec, exec, s[0:1]
	v_add_u32_e32 v4, 0x200, v10
	v_cmp_gt_u32_e32 vcc, s33, v4
	s_and_saveexec_b64 s[0:1], vcc
	s_cbranch_execz .LBB780_39
; %bb.38:
	v_add_co_u32_e32 v4, vcc, 0x1000, v8
	v_addc_co_u32_e32 v5, vcc, 0, v9, vcc
	global_store_dwordx2 v[4:5], v[0:1], off
.LBB780_39:
	s_or_b64 exec, exec, s[0:1]
	v_add_u32_e32 v0, 0x300, v10
	v_cmp_gt_u32_e64 s[0:1], s33, v0
.LBB780_40:
	s_and_saveexec_b64 s[2:3], s[0:1]
	s_cbranch_execnz .LBB780_42
; %bb.41:
	s_endpgm
.LBB780_42:
	v_add_co_u32_e32 v0, vcc, 0x1000, v8
	v_xor_b32_e32 v3, 0x80000000, v3
	v_addc_co_u32_e32 v1, vcc, 0, v9, vcc
	global_store_dwordx2 v[0:1], v[2:3], off offset:2048
	s_endpgm
	.section	.rodata,"a",@progbits
	.p2align	6, 0x0
	.amdhsa_kernel _ZN7rocprim17ROCPRIM_400000_NS6detail17trampoline_kernelINS0_13kernel_configILj256ELj4ELj4294967295EEENS1_37radix_sort_block_sort_config_selectorIlNS0_10empty_typeEEEZNS1_21radix_sort_block_sortIS4_Lb0EPlS9_PS6_SA_NS0_19identity_decomposerEEE10hipError_tT1_T2_T3_T4_jRjT5_jjP12ihipStream_tbEUlT_E_NS1_11comp_targetILNS1_3genE4ELNS1_11target_archE910ELNS1_3gpuE8ELNS1_3repE0EEENS1_44radix_sort_block_sort_config_static_selectorELNS0_4arch9wavefront6targetE1EEEvSD_
		.amdhsa_group_segment_fixed_size 8192
		.amdhsa_private_segment_fixed_size 0
		.amdhsa_kernarg_size 304
		.amdhsa_user_sgpr_count 6
		.amdhsa_user_sgpr_private_segment_buffer 1
		.amdhsa_user_sgpr_dispatch_ptr 0
		.amdhsa_user_sgpr_queue_ptr 0
		.amdhsa_user_sgpr_kernarg_segment_ptr 1
		.amdhsa_user_sgpr_dispatch_id 0
		.amdhsa_user_sgpr_flat_scratch_init 0
		.amdhsa_user_sgpr_kernarg_preload_length 0
		.amdhsa_user_sgpr_kernarg_preload_offset 0
		.amdhsa_user_sgpr_private_segment_size 0
		.amdhsa_uses_dynamic_stack 0
		.amdhsa_system_sgpr_private_segment_wavefront_offset 0
		.amdhsa_system_sgpr_workgroup_id_x 1
		.amdhsa_system_sgpr_workgroup_id_y 0
		.amdhsa_system_sgpr_workgroup_id_z 0
		.amdhsa_system_sgpr_workgroup_info 0
		.amdhsa_system_vgpr_workitem_id 2
		.amdhsa_next_free_vgpr 42
		.amdhsa_next_free_sgpr 44
		.amdhsa_accum_offset 44
		.amdhsa_reserve_vcc 1
		.amdhsa_reserve_flat_scratch 0
		.amdhsa_float_round_mode_32 0
		.amdhsa_float_round_mode_16_64 0
		.amdhsa_float_denorm_mode_32 3
		.amdhsa_float_denorm_mode_16_64 3
		.amdhsa_dx10_clamp 1
		.amdhsa_ieee_mode 1
		.amdhsa_fp16_overflow 0
		.amdhsa_tg_split 0
		.amdhsa_exception_fp_ieee_invalid_op 0
		.amdhsa_exception_fp_denorm_src 0
		.amdhsa_exception_fp_ieee_div_zero 0
		.amdhsa_exception_fp_ieee_overflow 0
		.amdhsa_exception_fp_ieee_underflow 0
		.amdhsa_exception_fp_ieee_inexact 0
		.amdhsa_exception_int_div_zero 0
	.end_amdhsa_kernel
	.section	.text._ZN7rocprim17ROCPRIM_400000_NS6detail17trampoline_kernelINS0_13kernel_configILj256ELj4ELj4294967295EEENS1_37radix_sort_block_sort_config_selectorIlNS0_10empty_typeEEEZNS1_21radix_sort_block_sortIS4_Lb0EPlS9_PS6_SA_NS0_19identity_decomposerEEE10hipError_tT1_T2_T3_T4_jRjT5_jjP12ihipStream_tbEUlT_E_NS1_11comp_targetILNS1_3genE4ELNS1_11target_archE910ELNS1_3gpuE8ELNS1_3repE0EEENS1_44radix_sort_block_sort_config_static_selectorELNS0_4arch9wavefront6targetE1EEEvSD_,"axG",@progbits,_ZN7rocprim17ROCPRIM_400000_NS6detail17trampoline_kernelINS0_13kernel_configILj256ELj4ELj4294967295EEENS1_37radix_sort_block_sort_config_selectorIlNS0_10empty_typeEEEZNS1_21radix_sort_block_sortIS4_Lb0EPlS9_PS6_SA_NS0_19identity_decomposerEEE10hipError_tT1_T2_T3_T4_jRjT5_jjP12ihipStream_tbEUlT_E_NS1_11comp_targetILNS1_3genE4ELNS1_11target_archE910ELNS1_3gpuE8ELNS1_3repE0EEENS1_44radix_sort_block_sort_config_static_selectorELNS0_4arch9wavefront6targetE1EEEvSD_,comdat
.Lfunc_end780:
	.size	_ZN7rocprim17ROCPRIM_400000_NS6detail17trampoline_kernelINS0_13kernel_configILj256ELj4ELj4294967295EEENS1_37radix_sort_block_sort_config_selectorIlNS0_10empty_typeEEEZNS1_21radix_sort_block_sortIS4_Lb0EPlS9_PS6_SA_NS0_19identity_decomposerEEE10hipError_tT1_T2_T3_T4_jRjT5_jjP12ihipStream_tbEUlT_E_NS1_11comp_targetILNS1_3genE4ELNS1_11target_archE910ELNS1_3gpuE8ELNS1_3repE0EEENS1_44radix_sort_block_sort_config_static_selectorELNS0_4arch9wavefront6targetE1EEEvSD_, .Lfunc_end780-_ZN7rocprim17ROCPRIM_400000_NS6detail17trampoline_kernelINS0_13kernel_configILj256ELj4ELj4294967295EEENS1_37radix_sort_block_sort_config_selectorIlNS0_10empty_typeEEEZNS1_21radix_sort_block_sortIS4_Lb0EPlS9_PS6_SA_NS0_19identity_decomposerEEE10hipError_tT1_T2_T3_T4_jRjT5_jjP12ihipStream_tbEUlT_E_NS1_11comp_targetILNS1_3genE4ELNS1_11target_archE910ELNS1_3gpuE8ELNS1_3repE0EEENS1_44radix_sort_block_sort_config_static_selectorELNS0_4arch9wavefront6targetE1EEEvSD_
                                        ; -- End function
	.section	.AMDGPU.csdata,"",@progbits
; Kernel info:
; codeLenInByte = 3284
; NumSgprs: 48
; NumVgprs: 42
; NumAgprs: 0
; TotalNumVgprs: 42
; ScratchSize: 0
; MemoryBound: 1
; FloatMode: 240
; IeeeMode: 1
; LDSByteSize: 8192 bytes/workgroup (compile time only)
; SGPRBlocks: 5
; VGPRBlocks: 5
; NumSGPRsForWavesPerEU: 48
; NumVGPRsForWavesPerEU: 42
; AccumOffset: 44
; Occupancy: 8
; WaveLimiterHint : 1
; COMPUTE_PGM_RSRC2:SCRATCH_EN: 0
; COMPUTE_PGM_RSRC2:USER_SGPR: 6
; COMPUTE_PGM_RSRC2:TRAP_HANDLER: 0
; COMPUTE_PGM_RSRC2:TGID_X_EN: 1
; COMPUTE_PGM_RSRC2:TGID_Y_EN: 0
; COMPUTE_PGM_RSRC2:TGID_Z_EN: 0
; COMPUTE_PGM_RSRC2:TIDIG_COMP_CNT: 2
; COMPUTE_PGM_RSRC3_GFX90A:ACCUM_OFFSET: 10
; COMPUTE_PGM_RSRC3_GFX90A:TG_SPLIT: 0
	.section	.text._ZN7rocprim17ROCPRIM_400000_NS6detail17trampoline_kernelINS0_13kernel_configILj256ELj4ELj4294967295EEENS1_37radix_sort_block_sort_config_selectorIlNS0_10empty_typeEEEZNS1_21radix_sort_block_sortIS4_Lb0EPlS9_PS6_SA_NS0_19identity_decomposerEEE10hipError_tT1_T2_T3_T4_jRjT5_jjP12ihipStream_tbEUlT_E_NS1_11comp_targetILNS1_3genE3ELNS1_11target_archE908ELNS1_3gpuE7ELNS1_3repE0EEENS1_44radix_sort_block_sort_config_static_selectorELNS0_4arch9wavefront6targetE1EEEvSD_,"axG",@progbits,_ZN7rocprim17ROCPRIM_400000_NS6detail17trampoline_kernelINS0_13kernel_configILj256ELj4ELj4294967295EEENS1_37radix_sort_block_sort_config_selectorIlNS0_10empty_typeEEEZNS1_21radix_sort_block_sortIS4_Lb0EPlS9_PS6_SA_NS0_19identity_decomposerEEE10hipError_tT1_T2_T3_T4_jRjT5_jjP12ihipStream_tbEUlT_E_NS1_11comp_targetILNS1_3genE3ELNS1_11target_archE908ELNS1_3gpuE7ELNS1_3repE0EEENS1_44radix_sort_block_sort_config_static_selectorELNS0_4arch9wavefront6targetE1EEEvSD_,comdat
	.protected	_ZN7rocprim17ROCPRIM_400000_NS6detail17trampoline_kernelINS0_13kernel_configILj256ELj4ELj4294967295EEENS1_37radix_sort_block_sort_config_selectorIlNS0_10empty_typeEEEZNS1_21radix_sort_block_sortIS4_Lb0EPlS9_PS6_SA_NS0_19identity_decomposerEEE10hipError_tT1_T2_T3_T4_jRjT5_jjP12ihipStream_tbEUlT_E_NS1_11comp_targetILNS1_3genE3ELNS1_11target_archE908ELNS1_3gpuE7ELNS1_3repE0EEENS1_44radix_sort_block_sort_config_static_selectorELNS0_4arch9wavefront6targetE1EEEvSD_ ; -- Begin function _ZN7rocprim17ROCPRIM_400000_NS6detail17trampoline_kernelINS0_13kernel_configILj256ELj4ELj4294967295EEENS1_37radix_sort_block_sort_config_selectorIlNS0_10empty_typeEEEZNS1_21radix_sort_block_sortIS4_Lb0EPlS9_PS6_SA_NS0_19identity_decomposerEEE10hipError_tT1_T2_T3_T4_jRjT5_jjP12ihipStream_tbEUlT_E_NS1_11comp_targetILNS1_3genE3ELNS1_11target_archE908ELNS1_3gpuE7ELNS1_3repE0EEENS1_44radix_sort_block_sort_config_static_selectorELNS0_4arch9wavefront6targetE1EEEvSD_
	.globl	_ZN7rocprim17ROCPRIM_400000_NS6detail17trampoline_kernelINS0_13kernel_configILj256ELj4ELj4294967295EEENS1_37radix_sort_block_sort_config_selectorIlNS0_10empty_typeEEEZNS1_21radix_sort_block_sortIS4_Lb0EPlS9_PS6_SA_NS0_19identity_decomposerEEE10hipError_tT1_T2_T3_T4_jRjT5_jjP12ihipStream_tbEUlT_E_NS1_11comp_targetILNS1_3genE3ELNS1_11target_archE908ELNS1_3gpuE7ELNS1_3repE0EEENS1_44radix_sort_block_sort_config_static_selectorELNS0_4arch9wavefront6targetE1EEEvSD_
	.p2align	8
	.type	_ZN7rocprim17ROCPRIM_400000_NS6detail17trampoline_kernelINS0_13kernel_configILj256ELj4ELj4294967295EEENS1_37radix_sort_block_sort_config_selectorIlNS0_10empty_typeEEEZNS1_21radix_sort_block_sortIS4_Lb0EPlS9_PS6_SA_NS0_19identity_decomposerEEE10hipError_tT1_T2_T3_T4_jRjT5_jjP12ihipStream_tbEUlT_E_NS1_11comp_targetILNS1_3genE3ELNS1_11target_archE908ELNS1_3gpuE7ELNS1_3repE0EEENS1_44radix_sort_block_sort_config_static_selectorELNS0_4arch9wavefront6targetE1EEEvSD_,@function
_ZN7rocprim17ROCPRIM_400000_NS6detail17trampoline_kernelINS0_13kernel_configILj256ELj4ELj4294967295EEENS1_37radix_sort_block_sort_config_selectorIlNS0_10empty_typeEEEZNS1_21radix_sort_block_sortIS4_Lb0EPlS9_PS6_SA_NS0_19identity_decomposerEEE10hipError_tT1_T2_T3_T4_jRjT5_jjP12ihipStream_tbEUlT_E_NS1_11comp_targetILNS1_3genE3ELNS1_11target_archE908ELNS1_3gpuE7ELNS1_3repE0EEENS1_44radix_sort_block_sort_config_static_selectorELNS0_4arch9wavefront6targetE1EEEvSD_: ; @_ZN7rocprim17ROCPRIM_400000_NS6detail17trampoline_kernelINS0_13kernel_configILj256ELj4ELj4294967295EEENS1_37radix_sort_block_sort_config_selectorIlNS0_10empty_typeEEEZNS1_21radix_sort_block_sortIS4_Lb0EPlS9_PS6_SA_NS0_19identity_decomposerEEE10hipError_tT1_T2_T3_T4_jRjT5_jjP12ihipStream_tbEUlT_E_NS1_11comp_targetILNS1_3genE3ELNS1_11target_archE908ELNS1_3gpuE7ELNS1_3repE0EEENS1_44radix_sort_block_sort_config_static_selectorELNS0_4arch9wavefront6targetE1EEEvSD_
; %bb.0:
	.section	.rodata,"a",@progbits
	.p2align	6, 0x0
	.amdhsa_kernel _ZN7rocprim17ROCPRIM_400000_NS6detail17trampoline_kernelINS0_13kernel_configILj256ELj4ELj4294967295EEENS1_37radix_sort_block_sort_config_selectorIlNS0_10empty_typeEEEZNS1_21radix_sort_block_sortIS4_Lb0EPlS9_PS6_SA_NS0_19identity_decomposerEEE10hipError_tT1_T2_T3_T4_jRjT5_jjP12ihipStream_tbEUlT_E_NS1_11comp_targetILNS1_3genE3ELNS1_11target_archE908ELNS1_3gpuE7ELNS1_3repE0EEENS1_44radix_sort_block_sort_config_static_selectorELNS0_4arch9wavefront6targetE1EEEvSD_
		.amdhsa_group_segment_fixed_size 0
		.amdhsa_private_segment_fixed_size 0
		.amdhsa_kernarg_size 48
		.amdhsa_user_sgpr_count 6
		.amdhsa_user_sgpr_private_segment_buffer 1
		.amdhsa_user_sgpr_dispatch_ptr 0
		.amdhsa_user_sgpr_queue_ptr 0
		.amdhsa_user_sgpr_kernarg_segment_ptr 1
		.amdhsa_user_sgpr_dispatch_id 0
		.amdhsa_user_sgpr_flat_scratch_init 0
		.amdhsa_user_sgpr_kernarg_preload_length 0
		.amdhsa_user_sgpr_kernarg_preload_offset 0
		.amdhsa_user_sgpr_private_segment_size 0
		.amdhsa_uses_dynamic_stack 0
		.amdhsa_system_sgpr_private_segment_wavefront_offset 0
		.amdhsa_system_sgpr_workgroup_id_x 1
		.amdhsa_system_sgpr_workgroup_id_y 0
		.amdhsa_system_sgpr_workgroup_id_z 0
		.amdhsa_system_sgpr_workgroup_info 0
		.amdhsa_system_vgpr_workitem_id 0
		.amdhsa_next_free_vgpr 1
		.amdhsa_next_free_sgpr 0
		.amdhsa_accum_offset 4
		.amdhsa_reserve_vcc 0
		.amdhsa_reserve_flat_scratch 0
		.amdhsa_float_round_mode_32 0
		.amdhsa_float_round_mode_16_64 0
		.amdhsa_float_denorm_mode_32 3
		.amdhsa_float_denorm_mode_16_64 3
		.amdhsa_dx10_clamp 1
		.amdhsa_ieee_mode 1
		.amdhsa_fp16_overflow 0
		.amdhsa_tg_split 0
		.amdhsa_exception_fp_ieee_invalid_op 0
		.amdhsa_exception_fp_denorm_src 0
		.amdhsa_exception_fp_ieee_div_zero 0
		.amdhsa_exception_fp_ieee_overflow 0
		.amdhsa_exception_fp_ieee_underflow 0
		.amdhsa_exception_fp_ieee_inexact 0
		.amdhsa_exception_int_div_zero 0
	.end_amdhsa_kernel
	.section	.text._ZN7rocprim17ROCPRIM_400000_NS6detail17trampoline_kernelINS0_13kernel_configILj256ELj4ELj4294967295EEENS1_37radix_sort_block_sort_config_selectorIlNS0_10empty_typeEEEZNS1_21radix_sort_block_sortIS4_Lb0EPlS9_PS6_SA_NS0_19identity_decomposerEEE10hipError_tT1_T2_T3_T4_jRjT5_jjP12ihipStream_tbEUlT_E_NS1_11comp_targetILNS1_3genE3ELNS1_11target_archE908ELNS1_3gpuE7ELNS1_3repE0EEENS1_44radix_sort_block_sort_config_static_selectorELNS0_4arch9wavefront6targetE1EEEvSD_,"axG",@progbits,_ZN7rocprim17ROCPRIM_400000_NS6detail17trampoline_kernelINS0_13kernel_configILj256ELj4ELj4294967295EEENS1_37radix_sort_block_sort_config_selectorIlNS0_10empty_typeEEEZNS1_21radix_sort_block_sortIS4_Lb0EPlS9_PS6_SA_NS0_19identity_decomposerEEE10hipError_tT1_T2_T3_T4_jRjT5_jjP12ihipStream_tbEUlT_E_NS1_11comp_targetILNS1_3genE3ELNS1_11target_archE908ELNS1_3gpuE7ELNS1_3repE0EEENS1_44radix_sort_block_sort_config_static_selectorELNS0_4arch9wavefront6targetE1EEEvSD_,comdat
.Lfunc_end781:
	.size	_ZN7rocprim17ROCPRIM_400000_NS6detail17trampoline_kernelINS0_13kernel_configILj256ELj4ELj4294967295EEENS1_37radix_sort_block_sort_config_selectorIlNS0_10empty_typeEEEZNS1_21radix_sort_block_sortIS4_Lb0EPlS9_PS6_SA_NS0_19identity_decomposerEEE10hipError_tT1_T2_T3_T4_jRjT5_jjP12ihipStream_tbEUlT_E_NS1_11comp_targetILNS1_3genE3ELNS1_11target_archE908ELNS1_3gpuE7ELNS1_3repE0EEENS1_44radix_sort_block_sort_config_static_selectorELNS0_4arch9wavefront6targetE1EEEvSD_, .Lfunc_end781-_ZN7rocprim17ROCPRIM_400000_NS6detail17trampoline_kernelINS0_13kernel_configILj256ELj4ELj4294967295EEENS1_37radix_sort_block_sort_config_selectorIlNS0_10empty_typeEEEZNS1_21radix_sort_block_sortIS4_Lb0EPlS9_PS6_SA_NS0_19identity_decomposerEEE10hipError_tT1_T2_T3_T4_jRjT5_jjP12ihipStream_tbEUlT_E_NS1_11comp_targetILNS1_3genE3ELNS1_11target_archE908ELNS1_3gpuE7ELNS1_3repE0EEENS1_44radix_sort_block_sort_config_static_selectorELNS0_4arch9wavefront6targetE1EEEvSD_
                                        ; -- End function
	.section	.AMDGPU.csdata,"",@progbits
; Kernel info:
; codeLenInByte = 0
; NumSgprs: 4
; NumVgprs: 0
; NumAgprs: 0
; TotalNumVgprs: 0
; ScratchSize: 0
; MemoryBound: 0
; FloatMode: 240
; IeeeMode: 1
; LDSByteSize: 0 bytes/workgroup (compile time only)
; SGPRBlocks: 0
; VGPRBlocks: 0
; NumSGPRsForWavesPerEU: 4
; NumVGPRsForWavesPerEU: 1
; AccumOffset: 4
; Occupancy: 8
; WaveLimiterHint : 0
; COMPUTE_PGM_RSRC2:SCRATCH_EN: 0
; COMPUTE_PGM_RSRC2:USER_SGPR: 6
; COMPUTE_PGM_RSRC2:TRAP_HANDLER: 0
; COMPUTE_PGM_RSRC2:TGID_X_EN: 1
; COMPUTE_PGM_RSRC2:TGID_Y_EN: 0
; COMPUTE_PGM_RSRC2:TGID_Z_EN: 0
; COMPUTE_PGM_RSRC2:TIDIG_COMP_CNT: 0
; COMPUTE_PGM_RSRC3_GFX90A:ACCUM_OFFSET: 0
; COMPUTE_PGM_RSRC3_GFX90A:TG_SPLIT: 0
	.section	.text._ZN7rocprim17ROCPRIM_400000_NS6detail17trampoline_kernelINS0_13kernel_configILj256ELj4ELj4294967295EEENS1_37radix_sort_block_sort_config_selectorIlNS0_10empty_typeEEEZNS1_21radix_sort_block_sortIS4_Lb0EPlS9_PS6_SA_NS0_19identity_decomposerEEE10hipError_tT1_T2_T3_T4_jRjT5_jjP12ihipStream_tbEUlT_E_NS1_11comp_targetILNS1_3genE2ELNS1_11target_archE906ELNS1_3gpuE6ELNS1_3repE0EEENS1_44radix_sort_block_sort_config_static_selectorELNS0_4arch9wavefront6targetE1EEEvSD_,"axG",@progbits,_ZN7rocprim17ROCPRIM_400000_NS6detail17trampoline_kernelINS0_13kernel_configILj256ELj4ELj4294967295EEENS1_37radix_sort_block_sort_config_selectorIlNS0_10empty_typeEEEZNS1_21radix_sort_block_sortIS4_Lb0EPlS9_PS6_SA_NS0_19identity_decomposerEEE10hipError_tT1_T2_T3_T4_jRjT5_jjP12ihipStream_tbEUlT_E_NS1_11comp_targetILNS1_3genE2ELNS1_11target_archE906ELNS1_3gpuE6ELNS1_3repE0EEENS1_44radix_sort_block_sort_config_static_selectorELNS0_4arch9wavefront6targetE1EEEvSD_,comdat
	.protected	_ZN7rocprim17ROCPRIM_400000_NS6detail17trampoline_kernelINS0_13kernel_configILj256ELj4ELj4294967295EEENS1_37radix_sort_block_sort_config_selectorIlNS0_10empty_typeEEEZNS1_21radix_sort_block_sortIS4_Lb0EPlS9_PS6_SA_NS0_19identity_decomposerEEE10hipError_tT1_T2_T3_T4_jRjT5_jjP12ihipStream_tbEUlT_E_NS1_11comp_targetILNS1_3genE2ELNS1_11target_archE906ELNS1_3gpuE6ELNS1_3repE0EEENS1_44radix_sort_block_sort_config_static_selectorELNS0_4arch9wavefront6targetE1EEEvSD_ ; -- Begin function _ZN7rocprim17ROCPRIM_400000_NS6detail17trampoline_kernelINS0_13kernel_configILj256ELj4ELj4294967295EEENS1_37radix_sort_block_sort_config_selectorIlNS0_10empty_typeEEEZNS1_21radix_sort_block_sortIS4_Lb0EPlS9_PS6_SA_NS0_19identity_decomposerEEE10hipError_tT1_T2_T3_T4_jRjT5_jjP12ihipStream_tbEUlT_E_NS1_11comp_targetILNS1_3genE2ELNS1_11target_archE906ELNS1_3gpuE6ELNS1_3repE0EEENS1_44radix_sort_block_sort_config_static_selectorELNS0_4arch9wavefront6targetE1EEEvSD_
	.globl	_ZN7rocprim17ROCPRIM_400000_NS6detail17trampoline_kernelINS0_13kernel_configILj256ELj4ELj4294967295EEENS1_37radix_sort_block_sort_config_selectorIlNS0_10empty_typeEEEZNS1_21radix_sort_block_sortIS4_Lb0EPlS9_PS6_SA_NS0_19identity_decomposerEEE10hipError_tT1_T2_T3_T4_jRjT5_jjP12ihipStream_tbEUlT_E_NS1_11comp_targetILNS1_3genE2ELNS1_11target_archE906ELNS1_3gpuE6ELNS1_3repE0EEENS1_44radix_sort_block_sort_config_static_selectorELNS0_4arch9wavefront6targetE1EEEvSD_
	.p2align	8
	.type	_ZN7rocprim17ROCPRIM_400000_NS6detail17trampoline_kernelINS0_13kernel_configILj256ELj4ELj4294967295EEENS1_37radix_sort_block_sort_config_selectorIlNS0_10empty_typeEEEZNS1_21radix_sort_block_sortIS4_Lb0EPlS9_PS6_SA_NS0_19identity_decomposerEEE10hipError_tT1_T2_T3_T4_jRjT5_jjP12ihipStream_tbEUlT_E_NS1_11comp_targetILNS1_3genE2ELNS1_11target_archE906ELNS1_3gpuE6ELNS1_3repE0EEENS1_44radix_sort_block_sort_config_static_selectorELNS0_4arch9wavefront6targetE1EEEvSD_,@function
_ZN7rocprim17ROCPRIM_400000_NS6detail17trampoline_kernelINS0_13kernel_configILj256ELj4ELj4294967295EEENS1_37radix_sort_block_sort_config_selectorIlNS0_10empty_typeEEEZNS1_21radix_sort_block_sortIS4_Lb0EPlS9_PS6_SA_NS0_19identity_decomposerEEE10hipError_tT1_T2_T3_T4_jRjT5_jjP12ihipStream_tbEUlT_E_NS1_11comp_targetILNS1_3genE2ELNS1_11target_archE906ELNS1_3gpuE6ELNS1_3repE0EEENS1_44radix_sort_block_sort_config_static_selectorELNS0_4arch9wavefront6targetE1EEEvSD_: ; @_ZN7rocprim17ROCPRIM_400000_NS6detail17trampoline_kernelINS0_13kernel_configILj256ELj4ELj4294967295EEENS1_37radix_sort_block_sort_config_selectorIlNS0_10empty_typeEEEZNS1_21radix_sort_block_sortIS4_Lb0EPlS9_PS6_SA_NS0_19identity_decomposerEEE10hipError_tT1_T2_T3_T4_jRjT5_jjP12ihipStream_tbEUlT_E_NS1_11comp_targetILNS1_3genE2ELNS1_11target_archE906ELNS1_3gpuE6ELNS1_3repE0EEENS1_44radix_sort_block_sort_config_static_selectorELNS0_4arch9wavefront6targetE1EEEvSD_
; %bb.0:
	.section	.rodata,"a",@progbits
	.p2align	6, 0x0
	.amdhsa_kernel _ZN7rocprim17ROCPRIM_400000_NS6detail17trampoline_kernelINS0_13kernel_configILj256ELj4ELj4294967295EEENS1_37radix_sort_block_sort_config_selectorIlNS0_10empty_typeEEEZNS1_21radix_sort_block_sortIS4_Lb0EPlS9_PS6_SA_NS0_19identity_decomposerEEE10hipError_tT1_T2_T3_T4_jRjT5_jjP12ihipStream_tbEUlT_E_NS1_11comp_targetILNS1_3genE2ELNS1_11target_archE906ELNS1_3gpuE6ELNS1_3repE0EEENS1_44radix_sort_block_sort_config_static_selectorELNS0_4arch9wavefront6targetE1EEEvSD_
		.amdhsa_group_segment_fixed_size 0
		.amdhsa_private_segment_fixed_size 0
		.amdhsa_kernarg_size 48
		.amdhsa_user_sgpr_count 6
		.amdhsa_user_sgpr_private_segment_buffer 1
		.amdhsa_user_sgpr_dispatch_ptr 0
		.amdhsa_user_sgpr_queue_ptr 0
		.amdhsa_user_sgpr_kernarg_segment_ptr 1
		.amdhsa_user_sgpr_dispatch_id 0
		.amdhsa_user_sgpr_flat_scratch_init 0
		.amdhsa_user_sgpr_kernarg_preload_length 0
		.amdhsa_user_sgpr_kernarg_preload_offset 0
		.amdhsa_user_sgpr_private_segment_size 0
		.amdhsa_uses_dynamic_stack 0
		.amdhsa_system_sgpr_private_segment_wavefront_offset 0
		.amdhsa_system_sgpr_workgroup_id_x 1
		.amdhsa_system_sgpr_workgroup_id_y 0
		.amdhsa_system_sgpr_workgroup_id_z 0
		.amdhsa_system_sgpr_workgroup_info 0
		.amdhsa_system_vgpr_workitem_id 0
		.amdhsa_next_free_vgpr 1
		.amdhsa_next_free_sgpr 0
		.amdhsa_accum_offset 4
		.amdhsa_reserve_vcc 0
		.amdhsa_reserve_flat_scratch 0
		.amdhsa_float_round_mode_32 0
		.amdhsa_float_round_mode_16_64 0
		.amdhsa_float_denorm_mode_32 3
		.amdhsa_float_denorm_mode_16_64 3
		.amdhsa_dx10_clamp 1
		.amdhsa_ieee_mode 1
		.amdhsa_fp16_overflow 0
		.amdhsa_tg_split 0
		.amdhsa_exception_fp_ieee_invalid_op 0
		.amdhsa_exception_fp_denorm_src 0
		.amdhsa_exception_fp_ieee_div_zero 0
		.amdhsa_exception_fp_ieee_overflow 0
		.amdhsa_exception_fp_ieee_underflow 0
		.amdhsa_exception_fp_ieee_inexact 0
		.amdhsa_exception_int_div_zero 0
	.end_amdhsa_kernel
	.section	.text._ZN7rocprim17ROCPRIM_400000_NS6detail17trampoline_kernelINS0_13kernel_configILj256ELj4ELj4294967295EEENS1_37radix_sort_block_sort_config_selectorIlNS0_10empty_typeEEEZNS1_21radix_sort_block_sortIS4_Lb0EPlS9_PS6_SA_NS0_19identity_decomposerEEE10hipError_tT1_T2_T3_T4_jRjT5_jjP12ihipStream_tbEUlT_E_NS1_11comp_targetILNS1_3genE2ELNS1_11target_archE906ELNS1_3gpuE6ELNS1_3repE0EEENS1_44radix_sort_block_sort_config_static_selectorELNS0_4arch9wavefront6targetE1EEEvSD_,"axG",@progbits,_ZN7rocprim17ROCPRIM_400000_NS6detail17trampoline_kernelINS0_13kernel_configILj256ELj4ELj4294967295EEENS1_37radix_sort_block_sort_config_selectorIlNS0_10empty_typeEEEZNS1_21radix_sort_block_sortIS4_Lb0EPlS9_PS6_SA_NS0_19identity_decomposerEEE10hipError_tT1_T2_T3_T4_jRjT5_jjP12ihipStream_tbEUlT_E_NS1_11comp_targetILNS1_3genE2ELNS1_11target_archE906ELNS1_3gpuE6ELNS1_3repE0EEENS1_44radix_sort_block_sort_config_static_selectorELNS0_4arch9wavefront6targetE1EEEvSD_,comdat
.Lfunc_end782:
	.size	_ZN7rocprim17ROCPRIM_400000_NS6detail17trampoline_kernelINS0_13kernel_configILj256ELj4ELj4294967295EEENS1_37radix_sort_block_sort_config_selectorIlNS0_10empty_typeEEEZNS1_21radix_sort_block_sortIS4_Lb0EPlS9_PS6_SA_NS0_19identity_decomposerEEE10hipError_tT1_T2_T3_T4_jRjT5_jjP12ihipStream_tbEUlT_E_NS1_11comp_targetILNS1_3genE2ELNS1_11target_archE906ELNS1_3gpuE6ELNS1_3repE0EEENS1_44radix_sort_block_sort_config_static_selectorELNS0_4arch9wavefront6targetE1EEEvSD_, .Lfunc_end782-_ZN7rocprim17ROCPRIM_400000_NS6detail17trampoline_kernelINS0_13kernel_configILj256ELj4ELj4294967295EEENS1_37radix_sort_block_sort_config_selectorIlNS0_10empty_typeEEEZNS1_21radix_sort_block_sortIS4_Lb0EPlS9_PS6_SA_NS0_19identity_decomposerEEE10hipError_tT1_T2_T3_T4_jRjT5_jjP12ihipStream_tbEUlT_E_NS1_11comp_targetILNS1_3genE2ELNS1_11target_archE906ELNS1_3gpuE6ELNS1_3repE0EEENS1_44radix_sort_block_sort_config_static_selectorELNS0_4arch9wavefront6targetE1EEEvSD_
                                        ; -- End function
	.section	.AMDGPU.csdata,"",@progbits
; Kernel info:
; codeLenInByte = 0
; NumSgprs: 4
; NumVgprs: 0
; NumAgprs: 0
; TotalNumVgprs: 0
; ScratchSize: 0
; MemoryBound: 0
; FloatMode: 240
; IeeeMode: 1
; LDSByteSize: 0 bytes/workgroup (compile time only)
; SGPRBlocks: 0
; VGPRBlocks: 0
; NumSGPRsForWavesPerEU: 4
; NumVGPRsForWavesPerEU: 1
; AccumOffset: 4
; Occupancy: 8
; WaveLimiterHint : 0
; COMPUTE_PGM_RSRC2:SCRATCH_EN: 0
; COMPUTE_PGM_RSRC2:USER_SGPR: 6
; COMPUTE_PGM_RSRC2:TRAP_HANDLER: 0
; COMPUTE_PGM_RSRC2:TGID_X_EN: 1
; COMPUTE_PGM_RSRC2:TGID_Y_EN: 0
; COMPUTE_PGM_RSRC2:TGID_Z_EN: 0
; COMPUTE_PGM_RSRC2:TIDIG_COMP_CNT: 0
; COMPUTE_PGM_RSRC3_GFX90A:ACCUM_OFFSET: 0
; COMPUTE_PGM_RSRC3_GFX90A:TG_SPLIT: 0
	.section	.text._ZN7rocprim17ROCPRIM_400000_NS6detail17trampoline_kernelINS0_13kernel_configILj256ELj4ELj4294967295EEENS1_37radix_sort_block_sort_config_selectorIlNS0_10empty_typeEEEZNS1_21radix_sort_block_sortIS4_Lb0EPlS9_PS6_SA_NS0_19identity_decomposerEEE10hipError_tT1_T2_T3_T4_jRjT5_jjP12ihipStream_tbEUlT_E_NS1_11comp_targetILNS1_3genE10ELNS1_11target_archE1201ELNS1_3gpuE5ELNS1_3repE0EEENS1_44radix_sort_block_sort_config_static_selectorELNS0_4arch9wavefront6targetE1EEEvSD_,"axG",@progbits,_ZN7rocprim17ROCPRIM_400000_NS6detail17trampoline_kernelINS0_13kernel_configILj256ELj4ELj4294967295EEENS1_37radix_sort_block_sort_config_selectorIlNS0_10empty_typeEEEZNS1_21radix_sort_block_sortIS4_Lb0EPlS9_PS6_SA_NS0_19identity_decomposerEEE10hipError_tT1_T2_T3_T4_jRjT5_jjP12ihipStream_tbEUlT_E_NS1_11comp_targetILNS1_3genE10ELNS1_11target_archE1201ELNS1_3gpuE5ELNS1_3repE0EEENS1_44radix_sort_block_sort_config_static_selectorELNS0_4arch9wavefront6targetE1EEEvSD_,comdat
	.protected	_ZN7rocprim17ROCPRIM_400000_NS6detail17trampoline_kernelINS0_13kernel_configILj256ELj4ELj4294967295EEENS1_37radix_sort_block_sort_config_selectorIlNS0_10empty_typeEEEZNS1_21radix_sort_block_sortIS4_Lb0EPlS9_PS6_SA_NS0_19identity_decomposerEEE10hipError_tT1_T2_T3_T4_jRjT5_jjP12ihipStream_tbEUlT_E_NS1_11comp_targetILNS1_3genE10ELNS1_11target_archE1201ELNS1_3gpuE5ELNS1_3repE0EEENS1_44radix_sort_block_sort_config_static_selectorELNS0_4arch9wavefront6targetE1EEEvSD_ ; -- Begin function _ZN7rocprim17ROCPRIM_400000_NS6detail17trampoline_kernelINS0_13kernel_configILj256ELj4ELj4294967295EEENS1_37radix_sort_block_sort_config_selectorIlNS0_10empty_typeEEEZNS1_21radix_sort_block_sortIS4_Lb0EPlS9_PS6_SA_NS0_19identity_decomposerEEE10hipError_tT1_T2_T3_T4_jRjT5_jjP12ihipStream_tbEUlT_E_NS1_11comp_targetILNS1_3genE10ELNS1_11target_archE1201ELNS1_3gpuE5ELNS1_3repE0EEENS1_44radix_sort_block_sort_config_static_selectorELNS0_4arch9wavefront6targetE1EEEvSD_
	.globl	_ZN7rocprim17ROCPRIM_400000_NS6detail17trampoline_kernelINS0_13kernel_configILj256ELj4ELj4294967295EEENS1_37radix_sort_block_sort_config_selectorIlNS0_10empty_typeEEEZNS1_21radix_sort_block_sortIS4_Lb0EPlS9_PS6_SA_NS0_19identity_decomposerEEE10hipError_tT1_T2_T3_T4_jRjT5_jjP12ihipStream_tbEUlT_E_NS1_11comp_targetILNS1_3genE10ELNS1_11target_archE1201ELNS1_3gpuE5ELNS1_3repE0EEENS1_44radix_sort_block_sort_config_static_selectorELNS0_4arch9wavefront6targetE1EEEvSD_
	.p2align	8
	.type	_ZN7rocprim17ROCPRIM_400000_NS6detail17trampoline_kernelINS0_13kernel_configILj256ELj4ELj4294967295EEENS1_37radix_sort_block_sort_config_selectorIlNS0_10empty_typeEEEZNS1_21radix_sort_block_sortIS4_Lb0EPlS9_PS6_SA_NS0_19identity_decomposerEEE10hipError_tT1_T2_T3_T4_jRjT5_jjP12ihipStream_tbEUlT_E_NS1_11comp_targetILNS1_3genE10ELNS1_11target_archE1201ELNS1_3gpuE5ELNS1_3repE0EEENS1_44radix_sort_block_sort_config_static_selectorELNS0_4arch9wavefront6targetE1EEEvSD_,@function
_ZN7rocprim17ROCPRIM_400000_NS6detail17trampoline_kernelINS0_13kernel_configILj256ELj4ELj4294967295EEENS1_37radix_sort_block_sort_config_selectorIlNS0_10empty_typeEEEZNS1_21radix_sort_block_sortIS4_Lb0EPlS9_PS6_SA_NS0_19identity_decomposerEEE10hipError_tT1_T2_T3_T4_jRjT5_jjP12ihipStream_tbEUlT_E_NS1_11comp_targetILNS1_3genE10ELNS1_11target_archE1201ELNS1_3gpuE5ELNS1_3repE0EEENS1_44radix_sort_block_sort_config_static_selectorELNS0_4arch9wavefront6targetE1EEEvSD_: ; @_ZN7rocprim17ROCPRIM_400000_NS6detail17trampoline_kernelINS0_13kernel_configILj256ELj4ELj4294967295EEENS1_37radix_sort_block_sort_config_selectorIlNS0_10empty_typeEEEZNS1_21radix_sort_block_sortIS4_Lb0EPlS9_PS6_SA_NS0_19identity_decomposerEEE10hipError_tT1_T2_T3_T4_jRjT5_jjP12ihipStream_tbEUlT_E_NS1_11comp_targetILNS1_3genE10ELNS1_11target_archE1201ELNS1_3gpuE5ELNS1_3repE0EEENS1_44radix_sort_block_sort_config_static_selectorELNS0_4arch9wavefront6targetE1EEEvSD_
; %bb.0:
	.section	.rodata,"a",@progbits
	.p2align	6, 0x0
	.amdhsa_kernel _ZN7rocprim17ROCPRIM_400000_NS6detail17trampoline_kernelINS0_13kernel_configILj256ELj4ELj4294967295EEENS1_37radix_sort_block_sort_config_selectorIlNS0_10empty_typeEEEZNS1_21radix_sort_block_sortIS4_Lb0EPlS9_PS6_SA_NS0_19identity_decomposerEEE10hipError_tT1_T2_T3_T4_jRjT5_jjP12ihipStream_tbEUlT_E_NS1_11comp_targetILNS1_3genE10ELNS1_11target_archE1201ELNS1_3gpuE5ELNS1_3repE0EEENS1_44radix_sort_block_sort_config_static_selectorELNS0_4arch9wavefront6targetE1EEEvSD_
		.amdhsa_group_segment_fixed_size 0
		.amdhsa_private_segment_fixed_size 0
		.amdhsa_kernarg_size 48
		.amdhsa_user_sgpr_count 6
		.amdhsa_user_sgpr_private_segment_buffer 1
		.amdhsa_user_sgpr_dispatch_ptr 0
		.amdhsa_user_sgpr_queue_ptr 0
		.amdhsa_user_sgpr_kernarg_segment_ptr 1
		.amdhsa_user_sgpr_dispatch_id 0
		.amdhsa_user_sgpr_flat_scratch_init 0
		.amdhsa_user_sgpr_kernarg_preload_length 0
		.amdhsa_user_sgpr_kernarg_preload_offset 0
		.amdhsa_user_sgpr_private_segment_size 0
		.amdhsa_uses_dynamic_stack 0
		.amdhsa_system_sgpr_private_segment_wavefront_offset 0
		.amdhsa_system_sgpr_workgroup_id_x 1
		.amdhsa_system_sgpr_workgroup_id_y 0
		.amdhsa_system_sgpr_workgroup_id_z 0
		.amdhsa_system_sgpr_workgroup_info 0
		.amdhsa_system_vgpr_workitem_id 0
		.amdhsa_next_free_vgpr 1
		.amdhsa_next_free_sgpr 0
		.amdhsa_accum_offset 4
		.amdhsa_reserve_vcc 0
		.amdhsa_reserve_flat_scratch 0
		.amdhsa_float_round_mode_32 0
		.amdhsa_float_round_mode_16_64 0
		.amdhsa_float_denorm_mode_32 3
		.amdhsa_float_denorm_mode_16_64 3
		.amdhsa_dx10_clamp 1
		.amdhsa_ieee_mode 1
		.amdhsa_fp16_overflow 0
		.amdhsa_tg_split 0
		.amdhsa_exception_fp_ieee_invalid_op 0
		.amdhsa_exception_fp_denorm_src 0
		.amdhsa_exception_fp_ieee_div_zero 0
		.amdhsa_exception_fp_ieee_overflow 0
		.amdhsa_exception_fp_ieee_underflow 0
		.amdhsa_exception_fp_ieee_inexact 0
		.amdhsa_exception_int_div_zero 0
	.end_amdhsa_kernel
	.section	.text._ZN7rocprim17ROCPRIM_400000_NS6detail17trampoline_kernelINS0_13kernel_configILj256ELj4ELj4294967295EEENS1_37radix_sort_block_sort_config_selectorIlNS0_10empty_typeEEEZNS1_21radix_sort_block_sortIS4_Lb0EPlS9_PS6_SA_NS0_19identity_decomposerEEE10hipError_tT1_T2_T3_T4_jRjT5_jjP12ihipStream_tbEUlT_E_NS1_11comp_targetILNS1_3genE10ELNS1_11target_archE1201ELNS1_3gpuE5ELNS1_3repE0EEENS1_44radix_sort_block_sort_config_static_selectorELNS0_4arch9wavefront6targetE1EEEvSD_,"axG",@progbits,_ZN7rocprim17ROCPRIM_400000_NS6detail17trampoline_kernelINS0_13kernel_configILj256ELj4ELj4294967295EEENS1_37radix_sort_block_sort_config_selectorIlNS0_10empty_typeEEEZNS1_21radix_sort_block_sortIS4_Lb0EPlS9_PS6_SA_NS0_19identity_decomposerEEE10hipError_tT1_T2_T3_T4_jRjT5_jjP12ihipStream_tbEUlT_E_NS1_11comp_targetILNS1_3genE10ELNS1_11target_archE1201ELNS1_3gpuE5ELNS1_3repE0EEENS1_44radix_sort_block_sort_config_static_selectorELNS0_4arch9wavefront6targetE1EEEvSD_,comdat
.Lfunc_end783:
	.size	_ZN7rocprim17ROCPRIM_400000_NS6detail17trampoline_kernelINS0_13kernel_configILj256ELj4ELj4294967295EEENS1_37radix_sort_block_sort_config_selectorIlNS0_10empty_typeEEEZNS1_21radix_sort_block_sortIS4_Lb0EPlS9_PS6_SA_NS0_19identity_decomposerEEE10hipError_tT1_T2_T3_T4_jRjT5_jjP12ihipStream_tbEUlT_E_NS1_11comp_targetILNS1_3genE10ELNS1_11target_archE1201ELNS1_3gpuE5ELNS1_3repE0EEENS1_44radix_sort_block_sort_config_static_selectorELNS0_4arch9wavefront6targetE1EEEvSD_, .Lfunc_end783-_ZN7rocprim17ROCPRIM_400000_NS6detail17trampoline_kernelINS0_13kernel_configILj256ELj4ELj4294967295EEENS1_37radix_sort_block_sort_config_selectorIlNS0_10empty_typeEEEZNS1_21radix_sort_block_sortIS4_Lb0EPlS9_PS6_SA_NS0_19identity_decomposerEEE10hipError_tT1_T2_T3_T4_jRjT5_jjP12ihipStream_tbEUlT_E_NS1_11comp_targetILNS1_3genE10ELNS1_11target_archE1201ELNS1_3gpuE5ELNS1_3repE0EEENS1_44radix_sort_block_sort_config_static_selectorELNS0_4arch9wavefront6targetE1EEEvSD_
                                        ; -- End function
	.section	.AMDGPU.csdata,"",@progbits
; Kernel info:
; codeLenInByte = 0
; NumSgprs: 4
; NumVgprs: 0
; NumAgprs: 0
; TotalNumVgprs: 0
; ScratchSize: 0
; MemoryBound: 0
; FloatMode: 240
; IeeeMode: 1
; LDSByteSize: 0 bytes/workgroup (compile time only)
; SGPRBlocks: 0
; VGPRBlocks: 0
; NumSGPRsForWavesPerEU: 4
; NumVGPRsForWavesPerEU: 1
; AccumOffset: 4
; Occupancy: 8
; WaveLimiterHint : 0
; COMPUTE_PGM_RSRC2:SCRATCH_EN: 0
; COMPUTE_PGM_RSRC2:USER_SGPR: 6
; COMPUTE_PGM_RSRC2:TRAP_HANDLER: 0
; COMPUTE_PGM_RSRC2:TGID_X_EN: 1
; COMPUTE_PGM_RSRC2:TGID_Y_EN: 0
; COMPUTE_PGM_RSRC2:TGID_Z_EN: 0
; COMPUTE_PGM_RSRC2:TIDIG_COMP_CNT: 0
; COMPUTE_PGM_RSRC3_GFX90A:ACCUM_OFFSET: 0
; COMPUTE_PGM_RSRC3_GFX90A:TG_SPLIT: 0
	.section	.text._ZN7rocprim17ROCPRIM_400000_NS6detail17trampoline_kernelINS0_13kernel_configILj256ELj4ELj4294967295EEENS1_37radix_sort_block_sort_config_selectorIlNS0_10empty_typeEEEZNS1_21radix_sort_block_sortIS4_Lb0EPlS9_PS6_SA_NS0_19identity_decomposerEEE10hipError_tT1_T2_T3_T4_jRjT5_jjP12ihipStream_tbEUlT_E_NS1_11comp_targetILNS1_3genE10ELNS1_11target_archE1200ELNS1_3gpuE4ELNS1_3repE0EEENS1_44radix_sort_block_sort_config_static_selectorELNS0_4arch9wavefront6targetE1EEEvSD_,"axG",@progbits,_ZN7rocprim17ROCPRIM_400000_NS6detail17trampoline_kernelINS0_13kernel_configILj256ELj4ELj4294967295EEENS1_37radix_sort_block_sort_config_selectorIlNS0_10empty_typeEEEZNS1_21radix_sort_block_sortIS4_Lb0EPlS9_PS6_SA_NS0_19identity_decomposerEEE10hipError_tT1_T2_T3_T4_jRjT5_jjP12ihipStream_tbEUlT_E_NS1_11comp_targetILNS1_3genE10ELNS1_11target_archE1200ELNS1_3gpuE4ELNS1_3repE0EEENS1_44radix_sort_block_sort_config_static_selectorELNS0_4arch9wavefront6targetE1EEEvSD_,comdat
	.protected	_ZN7rocprim17ROCPRIM_400000_NS6detail17trampoline_kernelINS0_13kernel_configILj256ELj4ELj4294967295EEENS1_37radix_sort_block_sort_config_selectorIlNS0_10empty_typeEEEZNS1_21radix_sort_block_sortIS4_Lb0EPlS9_PS6_SA_NS0_19identity_decomposerEEE10hipError_tT1_T2_T3_T4_jRjT5_jjP12ihipStream_tbEUlT_E_NS1_11comp_targetILNS1_3genE10ELNS1_11target_archE1200ELNS1_3gpuE4ELNS1_3repE0EEENS1_44radix_sort_block_sort_config_static_selectorELNS0_4arch9wavefront6targetE1EEEvSD_ ; -- Begin function _ZN7rocprim17ROCPRIM_400000_NS6detail17trampoline_kernelINS0_13kernel_configILj256ELj4ELj4294967295EEENS1_37radix_sort_block_sort_config_selectorIlNS0_10empty_typeEEEZNS1_21radix_sort_block_sortIS4_Lb0EPlS9_PS6_SA_NS0_19identity_decomposerEEE10hipError_tT1_T2_T3_T4_jRjT5_jjP12ihipStream_tbEUlT_E_NS1_11comp_targetILNS1_3genE10ELNS1_11target_archE1200ELNS1_3gpuE4ELNS1_3repE0EEENS1_44radix_sort_block_sort_config_static_selectorELNS0_4arch9wavefront6targetE1EEEvSD_
	.globl	_ZN7rocprim17ROCPRIM_400000_NS6detail17trampoline_kernelINS0_13kernel_configILj256ELj4ELj4294967295EEENS1_37radix_sort_block_sort_config_selectorIlNS0_10empty_typeEEEZNS1_21radix_sort_block_sortIS4_Lb0EPlS9_PS6_SA_NS0_19identity_decomposerEEE10hipError_tT1_T2_T3_T4_jRjT5_jjP12ihipStream_tbEUlT_E_NS1_11comp_targetILNS1_3genE10ELNS1_11target_archE1200ELNS1_3gpuE4ELNS1_3repE0EEENS1_44radix_sort_block_sort_config_static_selectorELNS0_4arch9wavefront6targetE1EEEvSD_
	.p2align	8
	.type	_ZN7rocprim17ROCPRIM_400000_NS6detail17trampoline_kernelINS0_13kernel_configILj256ELj4ELj4294967295EEENS1_37radix_sort_block_sort_config_selectorIlNS0_10empty_typeEEEZNS1_21radix_sort_block_sortIS4_Lb0EPlS9_PS6_SA_NS0_19identity_decomposerEEE10hipError_tT1_T2_T3_T4_jRjT5_jjP12ihipStream_tbEUlT_E_NS1_11comp_targetILNS1_3genE10ELNS1_11target_archE1200ELNS1_3gpuE4ELNS1_3repE0EEENS1_44radix_sort_block_sort_config_static_selectorELNS0_4arch9wavefront6targetE1EEEvSD_,@function
_ZN7rocprim17ROCPRIM_400000_NS6detail17trampoline_kernelINS0_13kernel_configILj256ELj4ELj4294967295EEENS1_37radix_sort_block_sort_config_selectorIlNS0_10empty_typeEEEZNS1_21radix_sort_block_sortIS4_Lb0EPlS9_PS6_SA_NS0_19identity_decomposerEEE10hipError_tT1_T2_T3_T4_jRjT5_jjP12ihipStream_tbEUlT_E_NS1_11comp_targetILNS1_3genE10ELNS1_11target_archE1200ELNS1_3gpuE4ELNS1_3repE0EEENS1_44radix_sort_block_sort_config_static_selectorELNS0_4arch9wavefront6targetE1EEEvSD_: ; @_ZN7rocprim17ROCPRIM_400000_NS6detail17trampoline_kernelINS0_13kernel_configILj256ELj4ELj4294967295EEENS1_37radix_sort_block_sort_config_selectorIlNS0_10empty_typeEEEZNS1_21radix_sort_block_sortIS4_Lb0EPlS9_PS6_SA_NS0_19identity_decomposerEEE10hipError_tT1_T2_T3_T4_jRjT5_jjP12ihipStream_tbEUlT_E_NS1_11comp_targetILNS1_3genE10ELNS1_11target_archE1200ELNS1_3gpuE4ELNS1_3repE0EEENS1_44radix_sort_block_sort_config_static_selectorELNS0_4arch9wavefront6targetE1EEEvSD_
; %bb.0:
	.section	.rodata,"a",@progbits
	.p2align	6, 0x0
	.amdhsa_kernel _ZN7rocprim17ROCPRIM_400000_NS6detail17trampoline_kernelINS0_13kernel_configILj256ELj4ELj4294967295EEENS1_37radix_sort_block_sort_config_selectorIlNS0_10empty_typeEEEZNS1_21radix_sort_block_sortIS4_Lb0EPlS9_PS6_SA_NS0_19identity_decomposerEEE10hipError_tT1_T2_T3_T4_jRjT5_jjP12ihipStream_tbEUlT_E_NS1_11comp_targetILNS1_3genE10ELNS1_11target_archE1200ELNS1_3gpuE4ELNS1_3repE0EEENS1_44radix_sort_block_sort_config_static_selectorELNS0_4arch9wavefront6targetE1EEEvSD_
		.amdhsa_group_segment_fixed_size 0
		.amdhsa_private_segment_fixed_size 0
		.amdhsa_kernarg_size 48
		.amdhsa_user_sgpr_count 6
		.amdhsa_user_sgpr_private_segment_buffer 1
		.amdhsa_user_sgpr_dispatch_ptr 0
		.amdhsa_user_sgpr_queue_ptr 0
		.amdhsa_user_sgpr_kernarg_segment_ptr 1
		.amdhsa_user_sgpr_dispatch_id 0
		.amdhsa_user_sgpr_flat_scratch_init 0
		.amdhsa_user_sgpr_kernarg_preload_length 0
		.amdhsa_user_sgpr_kernarg_preload_offset 0
		.amdhsa_user_sgpr_private_segment_size 0
		.amdhsa_uses_dynamic_stack 0
		.amdhsa_system_sgpr_private_segment_wavefront_offset 0
		.amdhsa_system_sgpr_workgroup_id_x 1
		.amdhsa_system_sgpr_workgroup_id_y 0
		.amdhsa_system_sgpr_workgroup_id_z 0
		.amdhsa_system_sgpr_workgroup_info 0
		.amdhsa_system_vgpr_workitem_id 0
		.amdhsa_next_free_vgpr 1
		.amdhsa_next_free_sgpr 0
		.amdhsa_accum_offset 4
		.amdhsa_reserve_vcc 0
		.amdhsa_reserve_flat_scratch 0
		.amdhsa_float_round_mode_32 0
		.amdhsa_float_round_mode_16_64 0
		.amdhsa_float_denorm_mode_32 3
		.amdhsa_float_denorm_mode_16_64 3
		.amdhsa_dx10_clamp 1
		.amdhsa_ieee_mode 1
		.amdhsa_fp16_overflow 0
		.amdhsa_tg_split 0
		.amdhsa_exception_fp_ieee_invalid_op 0
		.amdhsa_exception_fp_denorm_src 0
		.amdhsa_exception_fp_ieee_div_zero 0
		.amdhsa_exception_fp_ieee_overflow 0
		.amdhsa_exception_fp_ieee_underflow 0
		.amdhsa_exception_fp_ieee_inexact 0
		.amdhsa_exception_int_div_zero 0
	.end_amdhsa_kernel
	.section	.text._ZN7rocprim17ROCPRIM_400000_NS6detail17trampoline_kernelINS0_13kernel_configILj256ELj4ELj4294967295EEENS1_37radix_sort_block_sort_config_selectorIlNS0_10empty_typeEEEZNS1_21radix_sort_block_sortIS4_Lb0EPlS9_PS6_SA_NS0_19identity_decomposerEEE10hipError_tT1_T2_T3_T4_jRjT5_jjP12ihipStream_tbEUlT_E_NS1_11comp_targetILNS1_3genE10ELNS1_11target_archE1200ELNS1_3gpuE4ELNS1_3repE0EEENS1_44radix_sort_block_sort_config_static_selectorELNS0_4arch9wavefront6targetE1EEEvSD_,"axG",@progbits,_ZN7rocprim17ROCPRIM_400000_NS6detail17trampoline_kernelINS0_13kernel_configILj256ELj4ELj4294967295EEENS1_37radix_sort_block_sort_config_selectorIlNS0_10empty_typeEEEZNS1_21radix_sort_block_sortIS4_Lb0EPlS9_PS6_SA_NS0_19identity_decomposerEEE10hipError_tT1_T2_T3_T4_jRjT5_jjP12ihipStream_tbEUlT_E_NS1_11comp_targetILNS1_3genE10ELNS1_11target_archE1200ELNS1_3gpuE4ELNS1_3repE0EEENS1_44radix_sort_block_sort_config_static_selectorELNS0_4arch9wavefront6targetE1EEEvSD_,comdat
.Lfunc_end784:
	.size	_ZN7rocprim17ROCPRIM_400000_NS6detail17trampoline_kernelINS0_13kernel_configILj256ELj4ELj4294967295EEENS1_37radix_sort_block_sort_config_selectorIlNS0_10empty_typeEEEZNS1_21radix_sort_block_sortIS4_Lb0EPlS9_PS6_SA_NS0_19identity_decomposerEEE10hipError_tT1_T2_T3_T4_jRjT5_jjP12ihipStream_tbEUlT_E_NS1_11comp_targetILNS1_3genE10ELNS1_11target_archE1200ELNS1_3gpuE4ELNS1_3repE0EEENS1_44radix_sort_block_sort_config_static_selectorELNS0_4arch9wavefront6targetE1EEEvSD_, .Lfunc_end784-_ZN7rocprim17ROCPRIM_400000_NS6detail17trampoline_kernelINS0_13kernel_configILj256ELj4ELj4294967295EEENS1_37radix_sort_block_sort_config_selectorIlNS0_10empty_typeEEEZNS1_21radix_sort_block_sortIS4_Lb0EPlS9_PS6_SA_NS0_19identity_decomposerEEE10hipError_tT1_T2_T3_T4_jRjT5_jjP12ihipStream_tbEUlT_E_NS1_11comp_targetILNS1_3genE10ELNS1_11target_archE1200ELNS1_3gpuE4ELNS1_3repE0EEENS1_44radix_sort_block_sort_config_static_selectorELNS0_4arch9wavefront6targetE1EEEvSD_
                                        ; -- End function
	.section	.AMDGPU.csdata,"",@progbits
; Kernel info:
; codeLenInByte = 0
; NumSgprs: 4
; NumVgprs: 0
; NumAgprs: 0
; TotalNumVgprs: 0
; ScratchSize: 0
; MemoryBound: 0
; FloatMode: 240
; IeeeMode: 1
; LDSByteSize: 0 bytes/workgroup (compile time only)
; SGPRBlocks: 0
; VGPRBlocks: 0
; NumSGPRsForWavesPerEU: 4
; NumVGPRsForWavesPerEU: 1
; AccumOffset: 4
; Occupancy: 8
; WaveLimiterHint : 0
; COMPUTE_PGM_RSRC2:SCRATCH_EN: 0
; COMPUTE_PGM_RSRC2:USER_SGPR: 6
; COMPUTE_PGM_RSRC2:TRAP_HANDLER: 0
; COMPUTE_PGM_RSRC2:TGID_X_EN: 1
; COMPUTE_PGM_RSRC2:TGID_Y_EN: 0
; COMPUTE_PGM_RSRC2:TGID_Z_EN: 0
; COMPUTE_PGM_RSRC2:TIDIG_COMP_CNT: 0
; COMPUTE_PGM_RSRC3_GFX90A:ACCUM_OFFSET: 0
; COMPUTE_PGM_RSRC3_GFX90A:TG_SPLIT: 0
	.section	.text._ZN7rocprim17ROCPRIM_400000_NS6detail17trampoline_kernelINS0_13kernel_configILj256ELj4ELj4294967295EEENS1_37radix_sort_block_sort_config_selectorIlNS0_10empty_typeEEEZNS1_21radix_sort_block_sortIS4_Lb0EPlS9_PS6_SA_NS0_19identity_decomposerEEE10hipError_tT1_T2_T3_T4_jRjT5_jjP12ihipStream_tbEUlT_E_NS1_11comp_targetILNS1_3genE9ELNS1_11target_archE1100ELNS1_3gpuE3ELNS1_3repE0EEENS1_44radix_sort_block_sort_config_static_selectorELNS0_4arch9wavefront6targetE1EEEvSD_,"axG",@progbits,_ZN7rocprim17ROCPRIM_400000_NS6detail17trampoline_kernelINS0_13kernel_configILj256ELj4ELj4294967295EEENS1_37radix_sort_block_sort_config_selectorIlNS0_10empty_typeEEEZNS1_21radix_sort_block_sortIS4_Lb0EPlS9_PS6_SA_NS0_19identity_decomposerEEE10hipError_tT1_T2_T3_T4_jRjT5_jjP12ihipStream_tbEUlT_E_NS1_11comp_targetILNS1_3genE9ELNS1_11target_archE1100ELNS1_3gpuE3ELNS1_3repE0EEENS1_44radix_sort_block_sort_config_static_selectorELNS0_4arch9wavefront6targetE1EEEvSD_,comdat
	.protected	_ZN7rocprim17ROCPRIM_400000_NS6detail17trampoline_kernelINS0_13kernel_configILj256ELj4ELj4294967295EEENS1_37radix_sort_block_sort_config_selectorIlNS0_10empty_typeEEEZNS1_21radix_sort_block_sortIS4_Lb0EPlS9_PS6_SA_NS0_19identity_decomposerEEE10hipError_tT1_T2_T3_T4_jRjT5_jjP12ihipStream_tbEUlT_E_NS1_11comp_targetILNS1_3genE9ELNS1_11target_archE1100ELNS1_3gpuE3ELNS1_3repE0EEENS1_44radix_sort_block_sort_config_static_selectorELNS0_4arch9wavefront6targetE1EEEvSD_ ; -- Begin function _ZN7rocprim17ROCPRIM_400000_NS6detail17trampoline_kernelINS0_13kernel_configILj256ELj4ELj4294967295EEENS1_37radix_sort_block_sort_config_selectorIlNS0_10empty_typeEEEZNS1_21radix_sort_block_sortIS4_Lb0EPlS9_PS6_SA_NS0_19identity_decomposerEEE10hipError_tT1_T2_T3_T4_jRjT5_jjP12ihipStream_tbEUlT_E_NS1_11comp_targetILNS1_3genE9ELNS1_11target_archE1100ELNS1_3gpuE3ELNS1_3repE0EEENS1_44radix_sort_block_sort_config_static_selectorELNS0_4arch9wavefront6targetE1EEEvSD_
	.globl	_ZN7rocprim17ROCPRIM_400000_NS6detail17trampoline_kernelINS0_13kernel_configILj256ELj4ELj4294967295EEENS1_37radix_sort_block_sort_config_selectorIlNS0_10empty_typeEEEZNS1_21radix_sort_block_sortIS4_Lb0EPlS9_PS6_SA_NS0_19identity_decomposerEEE10hipError_tT1_T2_T3_T4_jRjT5_jjP12ihipStream_tbEUlT_E_NS1_11comp_targetILNS1_3genE9ELNS1_11target_archE1100ELNS1_3gpuE3ELNS1_3repE0EEENS1_44radix_sort_block_sort_config_static_selectorELNS0_4arch9wavefront6targetE1EEEvSD_
	.p2align	8
	.type	_ZN7rocprim17ROCPRIM_400000_NS6detail17trampoline_kernelINS0_13kernel_configILj256ELj4ELj4294967295EEENS1_37radix_sort_block_sort_config_selectorIlNS0_10empty_typeEEEZNS1_21radix_sort_block_sortIS4_Lb0EPlS9_PS6_SA_NS0_19identity_decomposerEEE10hipError_tT1_T2_T3_T4_jRjT5_jjP12ihipStream_tbEUlT_E_NS1_11comp_targetILNS1_3genE9ELNS1_11target_archE1100ELNS1_3gpuE3ELNS1_3repE0EEENS1_44radix_sort_block_sort_config_static_selectorELNS0_4arch9wavefront6targetE1EEEvSD_,@function
_ZN7rocprim17ROCPRIM_400000_NS6detail17trampoline_kernelINS0_13kernel_configILj256ELj4ELj4294967295EEENS1_37radix_sort_block_sort_config_selectorIlNS0_10empty_typeEEEZNS1_21radix_sort_block_sortIS4_Lb0EPlS9_PS6_SA_NS0_19identity_decomposerEEE10hipError_tT1_T2_T3_T4_jRjT5_jjP12ihipStream_tbEUlT_E_NS1_11comp_targetILNS1_3genE9ELNS1_11target_archE1100ELNS1_3gpuE3ELNS1_3repE0EEENS1_44radix_sort_block_sort_config_static_selectorELNS0_4arch9wavefront6targetE1EEEvSD_: ; @_ZN7rocprim17ROCPRIM_400000_NS6detail17trampoline_kernelINS0_13kernel_configILj256ELj4ELj4294967295EEENS1_37radix_sort_block_sort_config_selectorIlNS0_10empty_typeEEEZNS1_21radix_sort_block_sortIS4_Lb0EPlS9_PS6_SA_NS0_19identity_decomposerEEE10hipError_tT1_T2_T3_T4_jRjT5_jjP12ihipStream_tbEUlT_E_NS1_11comp_targetILNS1_3genE9ELNS1_11target_archE1100ELNS1_3gpuE3ELNS1_3repE0EEENS1_44radix_sort_block_sort_config_static_selectorELNS0_4arch9wavefront6targetE1EEEvSD_
; %bb.0:
	.section	.rodata,"a",@progbits
	.p2align	6, 0x0
	.amdhsa_kernel _ZN7rocprim17ROCPRIM_400000_NS6detail17trampoline_kernelINS0_13kernel_configILj256ELj4ELj4294967295EEENS1_37radix_sort_block_sort_config_selectorIlNS0_10empty_typeEEEZNS1_21radix_sort_block_sortIS4_Lb0EPlS9_PS6_SA_NS0_19identity_decomposerEEE10hipError_tT1_T2_T3_T4_jRjT5_jjP12ihipStream_tbEUlT_E_NS1_11comp_targetILNS1_3genE9ELNS1_11target_archE1100ELNS1_3gpuE3ELNS1_3repE0EEENS1_44radix_sort_block_sort_config_static_selectorELNS0_4arch9wavefront6targetE1EEEvSD_
		.amdhsa_group_segment_fixed_size 0
		.amdhsa_private_segment_fixed_size 0
		.amdhsa_kernarg_size 48
		.amdhsa_user_sgpr_count 6
		.amdhsa_user_sgpr_private_segment_buffer 1
		.amdhsa_user_sgpr_dispatch_ptr 0
		.amdhsa_user_sgpr_queue_ptr 0
		.amdhsa_user_sgpr_kernarg_segment_ptr 1
		.amdhsa_user_sgpr_dispatch_id 0
		.amdhsa_user_sgpr_flat_scratch_init 0
		.amdhsa_user_sgpr_kernarg_preload_length 0
		.amdhsa_user_sgpr_kernarg_preload_offset 0
		.amdhsa_user_sgpr_private_segment_size 0
		.amdhsa_uses_dynamic_stack 0
		.amdhsa_system_sgpr_private_segment_wavefront_offset 0
		.amdhsa_system_sgpr_workgroup_id_x 1
		.amdhsa_system_sgpr_workgroup_id_y 0
		.amdhsa_system_sgpr_workgroup_id_z 0
		.amdhsa_system_sgpr_workgroup_info 0
		.amdhsa_system_vgpr_workitem_id 0
		.amdhsa_next_free_vgpr 1
		.amdhsa_next_free_sgpr 0
		.amdhsa_accum_offset 4
		.amdhsa_reserve_vcc 0
		.amdhsa_reserve_flat_scratch 0
		.amdhsa_float_round_mode_32 0
		.amdhsa_float_round_mode_16_64 0
		.amdhsa_float_denorm_mode_32 3
		.amdhsa_float_denorm_mode_16_64 3
		.amdhsa_dx10_clamp 1
		.amdhsa_ieee_mode 1
		.amdhsa_fp16_overflow 0
		.amdhsa_tg_split 0
		.amdhsa_exception_fp_ieee_invalid_op 0
		.amdhsa_exception_fp_denorm_src 0
		.amdhsa_exception_fp_ieee_div_zero 0
		.amdhsa_exception_fp_ieee_overflow 0
		.amdhsa_exception_fp_ieee_underflow 0
		.amdhsa_exception_fp_ieee_inexact 0
		.amdhsa_exception_int_div_zero 0
	.end_amdhsa_kernel
	.section	.text._ZN7rocprim17ROCPRIM_400000_NS6detail17trampoline_kernelINS0_13kernel_configILj256ELj4ELj4294967295EEENS1_37radix_sort_block_sort_config_selectorIlNS0_10empty_typeEEEZNS1_21radix_sort_block_sortIS4_Lb0EPlS9_PS6_SA_NS0_19identity_decomposerEEE10hipError_tT1_T2_T3_T4_jRjT5_jjP12ihipStream_tbEUlT_E_NS1_11comp_targetILNS1_3genE9ELNS1_11target_archE1100ELNS1_3gpuE3ELNS1_3repE0EEENS1_44radix_sort_block_sort_config_static_selectorELNS0_4arch9wavefront6targetE1EEEvSD_,"axG",@progbits,_ZN7rocprim17ROCPRIM_400000_NS6detail17trampoline_kernelINS0_13kernel_configILj256ELj4ELj4294967295EEENS1_37radix_sort_block_sort_config_selectorIlNS0_10empty_typeEEEZNS1_21radix_sort_block_sortIS4_Lb0EPlS9_PS6_SA_NS0_19identity_decomposerEEE10hipError_tT1_T2_T3_T4_jRjT5_jjP12ihipStream_tbEUlT_E_NS1_11comp_targetILNS1_3genE9ELNS1_11target_archE1100ELNS1_3gpuE3ELNS1_3repE0EEENS1_44radix_sort_block_sort_config_static_selectorELNS0_4arch9wavefront6targetE1EEEvSD_,comdat
.Lfunc_end785:
	.size	_ZN7rocprim17ROCPRIM_400000_NS6detail17trampoline_kernelINS0_13kernel_configILj256ELj4ELj4294967295EEENS1_37radix_sort_block_sort_config_selectorIlNS0_10empty_typeEEEZNS1_21radix_sort_block_sortIS4_Lb0EPlS9_PS6_SA_NS0_19identity_decomposerEEE10hipError_tT1_T2_T3_T4_jRjT5_jjP12ihipStream_tbEUlT_E_NS1_11comp_targetILNS1_3genE9ELNS1_11target_archE1100ELNS1_3gpuE3ELNS1_3repE0EEENS1_44radix_sort_block_sort_config_static_selectorELNS0_4arch9wavefront6targetE1EEEvSD_, .Lfunc_end785-_ZN7rocprim17ROCPRIM_400000_NS6detail17trampoline_kernelINS0_13kernel_configILj256ELj4ELj4294967295EEENS1_37radix_sort_block_sort_config_selectorIlNS0_10empty_typeEEEZNS1_21radix_sort_block_sortIS4_Lb0EPlS9_PS6_SA_NS0_19identity_decomposerEEE10hipError_tT1_T2_T3_T4_jRjT5_jjP12ihipStream_tbEUlT_E_NS1_11comp_targetILNS1_3genE9ELNS1_11target_archE1100ELNS1_3gpuE3ELNS1_3repE0EEENS1_44radix_sort_block_sort_config_static_selectorELNS0_4arch9wavefront6targetE1EEEvSD_
                                        ; -- End function
	.section	.AMDGPU.csdata,"",@progbits
; Kernel info:
; codeLenInByte = 0
; NumSgprs: 4
; NumVgprs: 0
; NumAgprs: 0
; TotalNumVgprs: 0
; ScratchSize: 0
; MemoryBound: 0
; FloatMode: 240
; IeeeMode: 1
; LDSByteSize: 0 bytes/workgroup (compile time only)
; SGPRBlocks: 0
; VGPRBlocks: 0
; NumSGPRsForWavesPerEU: 4
; NumVGPRsForWavesPerEU: 1
; AccumOffset: 4
; Occupancy: 8
; WaveLimiterHint : 0
; COMPUTE_PGM_RSRC2:SCRATCH_EN: 0
; COMPUTE_PGM_RSRC2:USER_SGPR: 6
; COMPUTE_PGM_RSRC2:TRAP_HANDLER: 0
; COMPUTE_PGM_RSRC2:TGID_X_EN: 1
; COMPUTE_PGM_RSRC2:TGID_Y_EN: 0
; COMPUTE_PGM_RSRC2:TGID_Z_EN: 0
; COMPUTE_PGM_RSRC2:TIDIG_COMP_CNT: 0
; COMPUTE_PGM_RSRC3_GFX90A:ACCUM_OFFSET: 0
; COMPUTE_PGM_RSRC3_GFX90A:TG_SPLIT: 0
	.section	.text._ZN7rocprim17ROCPRIM_400000_NS6detail17trampoline_kernelINS0_13kernel_configILj256ELj4ELj4294967295EEENS1_37radix_sort_block_sort_config_selectorIlNS0_10empty_typeEEEZNS1_21radix_sort_block_sortIS4_Lb0EPlS9_PS6_SA_NS0_19identity_decomposerEEE10hipError_tT1_T2_T3_T4_jRjT5_jjP12ihipStream_tbEUlT_E_NS1_11comp_targetILNS1_3genE8ELNS1_11target_archE1030ELNS1_3gpuE2ELNS1_3repE0EEENS1_44radix_sort_block_sort_config_static_selectorELNS0_4arch9wavefront6targetE1EEEvSD_,"axG",@progbits,_ZN7rocprim17ROCPRIM_400000_NS6detail17trampoline_kernelINS0_13kernel_configILj256ELj4ELj4294967295EEENS1_37radix_sort_block_sort_config_selectorIlNS0_10empty_typeEEEZNS1_21radix_sort_block_sortIS4_Lb0EPlS9_PS6_SA_NS0_19identity_decomposerEEE10hipError_tT1_T2_T3_T4_jRjT5_jjP12ihipStream_tbEUlT_E_NS1_11comp_targetILNS1_3genE8ELNS1_11target_archE1030ELNS1_3gpuE2ELNS1_3repE0EEENS1_44radix_sort_block_sort_config_static_selectorELNS0_4arch9wavefront6targetE1EEEvSD_,comdat
	.protected	_ZN7rocprim17ROCPRIM_400000_NS6detail17trampoline_kernelINS0_13kernel_configILj256ELj4ELj4294967295EEENS1_37radix_sort_block_sort_config_selectorIlNS0_10empty_typeEEEZNS1_21radix_sort_block_sortIS4_Lb0EPlS9_PS6_SA_NS0_19identity_decomposerEEE10hipError_tT1_T2_T3_T4_jRjT5_jjP12ihipStream_tbEUlT_E_NS1_11comp_targetILNS1_3genE8ELNS1_11target_archE1030ELNS1_3gpuE2ELNS1_3repE0EEENS1_44radix_sort_block_sort_config_static_selectorELNS0_4arch9wavefront6targetE1EEEvSD_ ; -- Begin function _ZN7rocprim17ROCPRIM_400000_NS6detail17trampoline_kernelINS0_13kernel_configILj256ELj4ELj4294967295EEENS1_37radix_sort_block_sort_config_selectorIlNS0_10empty_typeEEEZNS1_21radix_sort_block_sortIS4_Lb0EPlS9_PS6_SA_NS0_19identity_decomposerEEE10hipError_tT1_T2_T3_T4_jRjT5_jjP12ihipStream_tbEUlT_E_NS1_11comp_targetILNS1_3genE8ELNS1_11target_archE1030ELNS1_3gpuE2ELNS1_3repE0EEENS1_44radix_sort_block_sort_config_static_selectorELNS0_4arch9wavefront6targetE1EEEvSD_
	.globl	_ZN7rocprim17ROCPRIM_400000_NS6detail17trampoline_kernelINS0_13kernel_configILj256ELj4ELj4294967295EEENS1_37radix_sort_block_sort_config_selectorIlNS0_10empty_typeEEEZNS1_21radix_sort_block_sortIS4_Lb0EPlS9_PS6_SA_NS0_19identity_decomposerEEE10hipError_tT1_T2_T3_T4_jRjT5_jjP12ihipStream_tbEUlT_E_NS1_11comp_targetILNS1_3genE8ELNS1_11target_archE1030ELNS1_3gpuE2ELNS1_3repE0EEENS1_44radix_sort_block_sort_config_static_selectorELNS0_4arch9wavefront6targetE1EEEvSD_
	.p2align	8
	.type	_ZN7rocprim17ROCPRIM_400000_NS6detail17trampoline_kernelINS0_13kernel_configILj256ELj4ELj4294967295EEENS1_37radix_sort_block_sort_config_selectorIlNS0_10empty_typeEEEZNS1_21radix_sort_block_sortIS4_Lb0EPlS9_PS6_SA_NS0_19identity_decomposerEEE10hipError_tT1_T2_T3_T4_jRjT5_jjP12ihipStream_tbEUlT_E_NS1_11comp_targetILNS1_3genE8ELNS1_11target_archE1030ELNS1_3gpuE2ELNS1_3repE0EEENS1_44radix_sort_block_sort_config_static_selectorELNS0_4arch9wavefront6targetE1EEEvSD_,@function
_ZN7rocprim17ROCPRIM_400000_NS6detail17trampoline_kernelINS0_13kernel_configILj256ELj4ELj4294967295EEENS1_37radix_sort_block_sort_config_selectorIlNS0_10empty_typeEEEZNS1_21radix_sort_block_sortIS4_Lb0EPlS9_PS6_SA_NS0_19identity_decomposerEEE10hipError_tT1_T2_T3_T4_jRjT5_jjP12ihipStream_tbEUlT_E_NS1_11comp_targetILNS1_3genE8ELNS1_11target_archE1030ELNS1_3gpuE2ELNS1_3repE0EEENS1_44radix_sort_block_sort_config_static_selectorELNS0_4arch9wavefront6targetE1EEEvSD_: ; @_ZN7rocprim17ROCPRIM_400000_NS6detail17trampoline_kernelINS0_13kernel_configILj256ELj4ELj4294967295EEENS1_37radix_sort_block_sort_config_selectorIlNS0_10empty_typeEEEZNS1_21radix_sort_block_sortIS4_Lb0EPlS9_PS6_SA_NS0_19identity_decomposerEEE10hipError_tT1_T2_T3_T4_jRjT5_jjP12ihipStream_tbEUlT_E_NS1_11comp_targetILNS1_3genE8ELNS1_11target_archE1030ELNS1_3gpuE2ELNS1_3repE0EEENS1_44radix_sort_block_sort_config_static_selectorELNS0_4arch9wavefront6targetE1EEEvSD_
; %bb.0:
	.section	.rodata,"a",@progbits
	.p2align	6, 0x0
	.amdhsa_kernel _ZN7rocprim17ROCPRIM_400000_NS6detail17trampoline_kernelINS0_13kernel_configILj256ELj4ELj4294967295EEENS1_37radix_sort_block_sort_config_selectorIlNS0_10empty_typeEEEZNS1_21radix_sort_block_sortIS4_Lb0EPlS9_PS6_SA_NS0_19identity_decomposerEEE10hipError_tT1_T2_T3_T4_jRjT5_jjP12ihipStream_tbEUlT_E_NS1_11comp_targetILNS1_3genE8ELNS1_11target_archE1030ELNS1_3gpuE2ELNS1_3repE0EEENS1_44radix_sort_block_sort_config_static_selectorELNS0_4arch9wavefront6targetE1EEEvSD_
		.amdhsa_group_segment_fixed_size 0
		.amdhsa_private_segment_fixed_size 0
		.amdhsa_kernarg_size 48
		.amdhsa_user_sgpr_count 6
		.amdhsa_user_sgpr_private_segment_buffer 1
		.amdhsa_user_sgpr_dispatch_ptr 0
		.amdhsa_user_sgpr_queue_ptr 0
		.amdhsa_user_sgpr_kernarg_segment_ptr 1
		.amdhsa_user_sgpr_dispatch_id 0
		.amdhsa_user_sgpr_flat_scratch_init 0
		.amdhsa_user_sgpr_kernarg_preload_length 0
		.amdhsa_user_sgpr_kernarg_preload_offset 0
		.amdhsa_user_sgpr_private_segment_size 0
		.amdhsa_uses_dynamic_stack 0
		.amdhsa_system_sgpr_private_segment_wavefront_offset 0
		.amdhsa_system_sgpr_workgroup_id_x 1
		.amdhsa_system_sgpr_workgroup_id_y 0
		.amdhsa_system_sgpr_workgroup_id_z 0
		.amdhsa_system_sgpr_workgroup_info 0
		.amdhsa_system_vgpr_workitem_id 0
		.amdhsa_next_free_vgpr 1
		.amdhsa_next_free_sgpr 0
		.amdhsa_accum_offset 4
		.amdhsa_reserve_vcc 0
		.amdhsa_reserve_flat_scratch 0
		.amdhsa_float_round_mode_32 0
		.amdhsa_float_round_mode_16_64 0
		.amdhsa_float_denorm_mode_32 3
		.amdhsa_float_denorm_mode_16_64 3
		.amdhsa_dx10_clamp 1
		.amdhsa_ieee_mode 1
		.amdhsa_fp16_overflow 0
		.amdhsa_tg_split 0
		.amdhsa_exception_fp_ieee_invalid_op 0
		.amdhsa_exception_fp_denorm_src 0
		.amdhsa_exception_fp_ieee_div_zero 0
		.amdhsa_exception_fp_ieee_overflow 0
		.amdhsa_exception_fp_ieee_underflow 0
		.amdhsa_exception_fp_ieee_inexact 0
		.amdhsa_exception_int_div_zero 0
	.end_amdhsa_kernel
	.section	.text._ZN7rocprim17ROCPRIM_400000_NS6detail17trampoline_kernelINS0_13kernel_configILj256ELj4ELj4294967295EEENS1_37radix_sort_block_sort_config_selectorIlNS0_10empty_typeEEEZNS1_21radix_sort_block_sortIS4_Lb0EPlS9_PS6_SA_NS0_19identity_decomposerEEE10hipError_tT1_T2_T3_T4_jRjT5_jjP12ihipStream_tbEUlT_E_NS1_11comp_targetILNS1_3genE8ELNS1_11target_archE1030ELNS1_3gpuE2ELNS1_3repE0EEENS1_44radix_sort_block_sort_config_static_selectorELNS0_4arch9wavefront6targetE1EEEvSD_,"axG",@progbits,_ZN7rocprim17ROCPRIM_400000_NS6detail17trampoline_kernelINS0_13kernel_configILj256ELj4ELj4294967295EEENS1_37radix_sort_block_sort_config_selectorIlNS0_10empty_typeEEEZNS1_21radix_sort_block_sortIS4_Lb0EPlS9_PS6_SA_NS0_19identity_decomposerEEE10hipError_tT1_T2_T3_T4_jRjT5_jjP12ihipStream_tbEUlT_E_NS1_11comp_targetILNS1_3genE8ELNS1_11target_archE1030ELNS1_3gpuE2ELNS1_3repE0EEENS1_44radix_sort_block_sort_config_static_selectorELNS0_4arch9wavefront6targetE1EEEvSD_,comdat
.Lfunc_end786:
	.size	_ZN7rocprim17ROCPRIM_400000_NS6detail17trampoline_kernelINS0_13kernel_configILj256ELj4ELj4294967295EEENS1_37radix_sort_block_sort_config_selectorIlNS0_10empty_typeEEEZNS1_21radix_sort_block_sortIS4_Lb0EPlS9_PS6_SA_NS0_19identity_decomposerEEE10hipError_tT1_T2_T3_T4_jRjT5_jjP12ihipStream_tbEUlT_E_NS1_11comp_targetILNS1_3genE8ELNS1_11target_archE1030ELNS1_3gpuE2ELNS1_3repE0EEENS1_44radix_sort_block_sort_config_static_selectorELNS0_4arch9wavefront6targetE1EEEvSD_, .Lfunc_end786-_ZN7rocprim17ROCPRIM_400000_NS6detail17trampoline_kernelINS0_13kernel_configILj256ELj4ELj4294967295EEENS1_37radix_sort_block_sort_config_selectorIlNS0_10empty_typeEEEZNS1_21radix_sort_block_sortIS4_Lb0EPlS9_PS6_SA_NS0_19identity_decomposerEEE10hipError_tT1_T2_T3_T4_jRjT5_jjP12ihipStream_tbEUlT_E_NS1_11comp_targetILNS1_3genE8ELNS1_11target_archE1030ELNS1_3gpuE2ELNS1_3repE0EEENS1_44radix_sort_block_sort_config_static_selectorELNS0_4arch9wavefront6targetE1EEEvSD_
                                        ; -- End function
	.section	.AMDGPU.csdata,"",@progbits
; Kernel info:
; codeLenInByte = 0
; NumSgprs: 4
; NumVgprs: 0
; NumAgprs: 0
; TotalNumVgprs: 0
; ScratchSize: 0
; MemoryBound: 0
; FloatMode: 240
; IeeeMode: 1
; LDSByteSize: 0 bytes/workgroup (compile time only)
; SGPRBlocks: 0
; VGPRBlocks: 0
; NumSGPRsForWavesPerEU: 4
; NumVGPRsForWavesPerEU: 1
; AccumOffset: 4
; Occupancy: 8
; WaveLimiterHint : 0
; COMPUTE_PGM_RSRC2:SCRATCH_EN: 0
; COMPUTE_PGM_RSRC2:USER_SGPR: 6
; COMPUTE_PGM_RSRC2:TRAP_HANDLER: 0
; COMPUTE_PGM_RSRC2:TGID_X_EN: 1
; COMPUTE_PGM_RSRC2:TGID_Y_EN: 0
; COMPUTE_PGM_RSRC2:TGID_Z_EN: 0
; COMPUTE_PGM_RSRC2:TIDIG_COMP_CNT: 0
; COMPUTE_PGM_RSRC3_GFX90A:ACCUM_OFFSET: 0
; COMPUTE_PGM_RSRC3_GFX90A:TG_SPLIT: 0
	.section	.text._ZN7rocprim17ROCPRIM_400000_NS6detail44device_merge_sort_compile_time_verifier_archINS1_11comp_targetILNS1_3genE0ELNS1_11target_archE4294967295ELNS1_3gpuE0ELNS1_3repE0EEES8_NS1_28merge_sort_block_sort_configILj256ELj4ELNS0_20block_sort_algorithmE0EEENS0_14default_configENS1_37merge_sort_block_sort_config_selectorIlNS0_10empty_typeEEENS1_38merge_sort_block_merge_config_selectorIlSE_EEEEvv,"axG",@progbits,_ZN7rocprim17ROCPRIM_400000_NS6detail44device_merge_sort_compile_time_verifier_archINS1_11comp_targetILNS1_3genE0ELNS1_11target_archE4294967295ELNS1_3gpuE0ELNS1_3repE0EEES8_NS1_28merge_sort_block_sort_configILj256ELj4ELNS0_20block_sort_algorithmE0EEENS0_14default_configENS1_37merge_sort_block_sort_config_selectorIlNS0_10empty_typeEEENS1_38merge_sort_block_merge_config_selectorIlSE_EEEEvv,comdat
	.protected	_ZN7rocprim17ROCPRIM_400000_NS6detail44device_merge_sort_compile_time_verifier_archINS1_11comp_targetILNS1_3genE0ELNS1_11target_archE4294967295ELNS1_3gpuE0ELNS1_3repE0EEES8_NS1_28merge_sort_block_sort_configILj256ELj4ELNS0_20block_sort_algorithmE0EEENS0_14default_configENS1_37merge_sort_block_sort_config_selectorIlNS0_10empty_typeEEENS1_38merge_sort_block_merge_config_selectorIlSE_EEEEvv ; -- Begin function _ZN7rocprim17ROCPRIM_400000_NS6detail44device_merge_sort_compile_time_verifier_archINS1_11comp_targetILNS1_3genE0ELNS1_11target_archE4294967295ELNS1_3gpuE0ELNS1_3repE0EEES8_NS1_28merge_sort_block_sort_configILj256ELj4ELNS0_20block_sort_algorithmE0EEENS0_14default_configENS1_37merge_sort_block_sort_config_selectorIlNS0_10empty_typeEEENS1_38merge_sort_block_merge_config_selectorIlSE_EEEEvv
	.globl	_ZN7rocprim17ROCPRIM_400000_NS6detail44device_merge_sort_compile_time_verifier_archINS1_11comp_targetILNS1_3genE0ELNS1_11target_archE4294967295ELNS1_3gpuE0ELNS1_3repE0EEES8_NS1_28merge_sort_block_sort_configILj256ELj4ELNS0_20block_sort_algorithmE0EEENS0_14default_configENS1_37merge_sort_block_sort_config_selectorIlNS0_10empty_typeEEENS1_38merge_sort_block_merge_config_selectorIlSE_EEEEvv
	.p2align	8
	.type	_ZN7rocprim17ROCPRIM_400000_NS6detail44device_merge_sort_compile_time_verifier_archINS1_11comp_targetILNS1_3genE0ELNS1_11target_archE4294967295ELNS1_3gpuE0ELNS1_3repE0EEES8_NS1_28merge_sort_block_sort_configILj256ELj4ELNS0_20block_sort_algorithmE0EEENS0_14default_configENS1_37merge_sort_block_sort_config_selectorIlNS0_10empty_typeEEENS1_38merge_sort_block_merge_config_selectorIlSE_EEEEvv,@function
_ZN7rocprim17ROCPRIM_400000_NS6detail44device_merge_sort_compile_time_verifier_archINS1_11comp_targetILNS1_3genE0ELNS1_11target_archE4294967295ELNS1_3gpuE0ELNS1_3repE0EEES8_NS1_28merge_sort_block_sort_configILj256ELj4ELNS0_20block_sort_algorithmE0EEENS0_14default_configENS1_37merge_sort_block_sort_config_selectorIlNS0_10empty_typeEEENS1_38merge_sort_block_merge_config_selectorIlSE_EEEEvv: ; @_ZN7rocprim17ROCPRIM_400000_NS6detail44device_merge_sort_compile_time_verifier_archINS1_11comp_targetILNS1_3genE0ELNS1_11target_archE4294967295ELNS1_3gpuE0ELNS1_3repE0EEES8_NS1_28merge_sort_block_sort_configILj256ELj4ELNS0_20block_sort_algorithmE0EEENS0_14default_configENS1_37merge_sort_block_sort_config_selectorIlNS0_10empty_typeEEENS1_38merge_sort_block_merge_config_selectorIlSE_EEEEvv
; %bb.0:
	s_endpgm
	.section	.rodata,"a",@progbits
	.p2align	6, 0x0
	.amdhsa_kernel _ZN7rocprim17ROCPRIM_400000_NS6detail44device_merge_sort_compile_time_verifier_archINS1_11comp_targetILNS1_3genE0ELNS1_11target_archE4294967295ELNS1_3gpuE0ELNS1_3repE0EEES8_NS1_28merge_sort_block_sort_configILj256ELj4ELNS0_20block_sort_algorithmE0EEENS0_14default_configENS1_37merge_sort_block_sort_config_selectorIlNS0_10empty_typeEEENS1_38merge_sort_block_merge_config_selectorIlSE_EEEEvv
		.amdhsa_group_segment_fixed_size 0
		.amdhsa_private_segment_fixed_size 0
		.amdhsa_kernarg_size 0
		.amdhsa_user_sgpr_count 4
		.amdhsa_user_sgpr_private_segment_buffer 1
		.amdhsa_user_sgpr_dispatch_ptr 0
		.amdhsa_user_sgpr_queue_ptr 0
		.amdhsa_user_sgpr_kernarg_segment_ptr 0
		.amdhsa_user_sgpr_dispatch_id 0
		.amdhsa_user_sgpr_flat_scratch_init 0
		.amdhsa_user_sgpr_kernarg_preload_length 0
		.amdhsa_user_sgpr_kernarg_preload_offset 0
		.amdhsa_user_sgpr_private_segment_size 0
		.amdhsa_uses_dynamic_stack 0
		.amdhsa_system_sgpr_private_segment_wavefront_offset 0
		.amdhsa_system_sgpr_workgroup_id_x 1
		.amdhsa_system_sgpr_workgroup_id_y 0
		.amdhsa_system_sgpr_workgroup_id_z 0
		.amdhsa_system_sgpr_workgroup_info 0
		.amdhsa_system_vgpr_workitem_id 0
		.amdhsa_next_free_vgpr 1
		.amdhsa_next_free_sgpr 0
		.amdhsa_accum_offset 4
		.amdhsa_reserve_vcc 0
		.amdhsa_reserve_flat_scratch 0
		.amdhsa_float_round_mode_32 0
		.amdhsa_float_round_mode_16_64 0
		.amdhsa_float_denorm_mode_32 3
		.amdhsa_float_denorm_mode_16_64 3
		.amdhsa_dx10_clamp 1
		.amdhsa_ieee_mode 1
		.amdhsa_fp16_overflow 0
		.amdhsa_tg_split 0
		.amdhsa_exception_fp_ieee_invalid_op 0
		.amdhsa_exception_fp_denorm_src 0
		.amdhsa_exception_fp_ieee_div_zero 0
		.amdhsa_exception_fp_ieee_overflow 0
		.amdhsa_exception_fp_ieee_underflow 0
		.amdhsa_exception_fp_ieee_inexact 0
		.amdhsa_exception_int_div_zero 0
	.end_amdhsa_kernel
	.section	.text._ZN7rocprim17ROCPRIM_400000_NS6detail44device_merge_sort_compile_time_verifier_archINS1_11comp_targetILNS1_3genE0ELNS1_11target_archE4294967295ELNS1_3gpuE0ELNS1_3repE0EEES8_NS1_28merge_sort_block_sort_configILj256ELj4ELNS0_20block_sort_algorithmE0EEENS0_14default_configENS1_37merge_sort_block_sort_config_selectorIlNS0_10empty_typeEEENS1_38merge_sort_block_merge_config_selectorIlSE_EEEEvv,"axG",@progbits,_ZN7rocprim17ROCPRIM_400000_NS6detail44device_merge_sort_compile_time_verifier_archINS1_11comp_targetILNS1_3genE0ELNS1_11target_archE4294967295ELNS1_3gpuE0ELNS1_3repE0EEES8_NS1_28merge_sort_block_sort_configILj256ELj4ELNS0_20block_sort_algorithmE0EEENS0_14default_configENS1_37merge_sort_block_sort_config_selectorIlNS0_10empty_typeEEENS1_38merge_sort_block_merge_config_selectorIlSE_EEEEvv,comdat
.Lfunc_end787:
	.size	_ZN7rocprim17ROCPRIM_400000_NS6detail44device_merge_sort_compile_time_verifier_archINS1_11comp_targetILNS1_3genE0ELNS1_11target_archE4294967295ELNS1_3gpuE0ELNS1_3repE0EEES8_NS1_28merge_sort_block_sort_configILj256ELj4ELNS0_20block_sort_algorithmE0EEENS0_14default_configENS1_37merge_sort_block_sort_config_selectorIlNS0_10empty_typeEEENS1_38merge_sort_block_merge_config_selectorIlSE_EEEEvv, .Lfunc_end787-_ZN7rocprim17ROCPRIM_400000_NS6detail44device_merge_sort_compile_time_verifier_archINS1_11comp_targetILNS1_3genE0ELNS1_11target_archE4294967295ELNS1_3gpuE0ELNS1_3repE0EEES8_NS1_28merge_sort_block_sort_configILj256ELj4ELNS0_20block_sort_algorithmE0EEENS0_14default_configENS1_37merge_sort_block_sort_config_selectorIlNS0_10empty_typeEEENS1_38merge_sort_block_merge_config_selectorIlSE_EEEEvv
                                        ; -- End function
	.section	.AMDGPU.csdata,"",@progbits
; Kernel info:
; codeLenInByte = 4
; NumSgprs: 4
; NumVgprs: 0
; NumAgprs: 0
; TotalNumVgprs: 0
; ScratchSize: 0
; MemoryBound: 0
; FloatMode: 240
; IeeeMode: 1
; LDSByteSize: 0 bytes/workgroup (compile time only)
; SGPRBlocks: 0
; VGPRBlocks: 0
; NumSGPRsForWavesPerEU: 4
; NumVGPRsForWavesPerEU: 1
; AccumOffset: 4
; Occupancy: 8
; WaveLimiterHint : 0
; COMPUTE_PGM_RSRC2:SCRATCH_EN: 0
; COMPUTE_PGM_RSRC2:USER_SGPR: 4
; COMPUTE_PGM_RSRC2:TRAP_HANDLER: 0
; COMPUTE_PGM_RSRC2:TGID_X_EN: 1
; COMPUTE_PGM_RSRC2:TGID_Y_EN: 0
; COMPUTE_PGM_RSRC2:TGID_Z_EN: 0
; COMPUTE_PGM_RSRC2:TIDIG_COMP_CNT: 0
; COMPUTE_PGM_RSRC3_GFX90A:ACCUM_OFFSET: 0
; COMPUTE_PGM_RSRC3_GFX90A:TG_SPLIT: 0
	.section	.text._ZN7rocprim17ROCPRIM_400000_NS6detail44device_merge_sort_compile_time_verifier_archINS1_11comp_targetILNS1_3genE5ELNS1_11target_archE942ELNS1_3gpuE9ELNS1_3repE0EEES8_NS1_28merge_sort_block_sort_configILj256ELj4ELNS0_20block_sort_algorithmE0EEENS0_14default_configENS1_37merge_sort_block_sort_config_selectorIlNS0_10empty_typeEEENS1_38merge_sort_block_merge_config_selectorIlSE_EEEEvv,"axG",@progbits,_ZN7rocprim17ROCPRIM_400000_NS6detail44device_merge_sort_compile_time_verifier_archINS1_11comp_targetILNS1_3genE5ELNS1_11target_archE942ELNS1_3gpuE9ELNS1_3repE0EEES8_NS1_28merge_sort_block_sort_configILj256ELj4ELNS0_20block_sort_algorithmE0EEENS0_14default_configENS1_37merge_sort_block_sort_config_selectorIlNS0_10empty_typeEEENS1_38merge_sort_block_merge_config_selectorIlSE_EEEEvv,comdat
	.protected	_ZN7rocprim17ROCPRIM_400000_NS6detail44device_merge_sort_compile_time_verifier_archINS1_11comp_targetILNS1_3genE5ELNS1_11target_archE942ELNS1_3gpuE9ELNS1_3repE0EEES8_NS1_28merge_sort_block_sort_configILj256ELj4ELNS0_20block_sort_algorithmE0EEENS0_14default_configENS1_37merge_sort_block_sort_config_selectorIlNS0_10empty_typeEEENS1_38merge_sort_block_merge_config_selectorIlSE_EEEEvv ; -- Begin function _ZN7rocprim17ROCPRIM_400000_NS6detail44device_merge_sort_compile_time_verifier_archINS1_11comp_targetILNS1_3genE5ELNS1_11target_archE942ELNS1_3gpuE9ELNS1_3repE0EEES8_NS1_28merge_sort_block_sort_configILj256ELj4ELNS0_20block_sort_algorithmE0EEENS0_14default_configENS1_37merge_sort_block_sort_config_selectorIlNS0_10empty_typeEEENS1_38merge_sort_block_merge_config_selectorIlSE_EEEEvv
	.globl	_ZN7rocprim17ROCPRIM_400000_NS6detail44device_merge_sort_compile_time_verifier_archINS1_11comp_targetILNS1_3genE5ELNS1_11target_archE942ELNS1_3gpuE9ELNS1_3repE0EEES8_NS1_28merge_sort_block_sort_configILj256ELj4ELNS0_20block_sort_algorithmE0EEENS0_14default_configENS1_37merge_sort_block_sort_config_selectorIlNS0_10empty_typeEEENS1_38merge_sort_block_merge_config_selectorIlSE_EEEEvv
	.p2align	8
	.type	_ZN7rocprim17ROCPRIM_400000_NS6detail44device_merge_sort_compile_time_verifier_archINS1_11comp_targetILNS1_3genE5ELNS1_11target_archE942ELNS1_3gpuE9ELNS1_3repE0EEES8_NS1_28merge_sort_block_sort_configILj256ELj4ELNS0_20block_sort_algorithmE0EEENS0_14default_configENS1_37merge_sort_block_sort_config_selectorIlNS0_10empty_typeEEENS1_38merge_sort_block_merge_config_selectorIlSE_EEEEvv,@function
_ZN7rocprim17ROCPRIM_400000_NS6detail44device_merge_sort_compile_time_verifier_archINS1_11comp_targetILNS1_3genE5ELNS1_11target_archE942ELNS1_3gpuE9ELNS1_3repE0EEES8_NS1_28merge_sort_block_sort_configILj256ELj4ELNS0_20block_sort_algorithmE0EEENS0_14default_configENS1_37merge_sort_block_sort_config_selectorIlNS0_10empty_typeEEENS1_38merge_sort_block_merge_config_selectorIlSE_EEEEvv: ; @_ZN7rocprim17ROCPRIM_400000_NS6detail44device_merge_sort_compile_time_verifier_archINS1_11comp_targetILNS1_3genE5ELNS1_11target_archE942ELNS1_3gpuE9ELNS1_3repE0EEES8_NS1_28merge_sort_block_sort_configILj256ELj4ELNS0_20block_sort_algorithmE0EEENS0_14default_configENS1_37merge_sort_block_sort_config_selectorIlNS0_10empty_typeEEENS1_38merge_sort_block_merge_config_selectorIlSE_EEEEvv
; %bb.0:
	s_endpgm
	.section	.rodata,"a",@progbits
	.p2align	6, 0x0
	.amdhsa_kernel _ZN7rocprim17ROCPRIM_400000_NS6detail44device_merge_sort_compile_time_verifier_archINS1_11comp_targetILNS1_3genE5ELNS1_11target_archE942ELNS1_3gpuE9ELNS1_3repE0EEES8_NS1_28merge_sort_block_sort_configILj256ELj4ELNS0_20block_sort_algorithmE0EEENS0_14default_configENS1_37merge_sort_block_sort_config_selectorIlNS0_10empty_typeEEENS1_38merge_sort_block_merge_config_selectorIlSE_EEEEvv
		.amdhsa_group_segment_fixed_size 0
		.amdhsa_private_segment_fixed_size 0
		.amdhsa_kernarg_size 0
		.amdhsa_user_sgpr_count 4
		.amdhsa_user_sgpr_private_segment_buffer 1
		.amdhsa_user_sgpr_dispatch_ptr 0
		.amdhsa_user_sgpr_queue_ptr 0
		.amdhsa_user_sgpr_kernarg_segment_ptr 0
		.amdhsa_user_sgpr_dispatch_id 0
		.amdhsa_user_sgpr_flat_scratch_init 0
		.amdhsa_user_sgpr_kernarg_preload_length 0
		.amdhsa_user_sgpr_kernarg_preload_offset 0
		.amdhsa_user_sgpr_private_segment_size 0
		.amdhsa_uses_dynamic_stack 0
		.amdhsa_system_sgpr_private_segment_wavefront_offset 0
		.amdhsa_system_sgpr_workgroup_id_x 1
		.amdhsa_system_sgpr_workgroup_id_y 0
		.amdhsa_system_sgpr_workgroup_id_z 0
		.amdhsa_system_sgpr_workgroup_info 0
		.amdhsa_system_vgpr_workitem_id 0
		.amdhsa_next_free_vgpr 1
		.amdhsa_next_free_sgpr 0
		.amdhsa_accum_offset 4
		.amdhsa_reserve_vcc 0
		.amdhsa_reserve_flat_scratch 0
		.amdhsa_float_round_mode_32 0
		.amdhsa_float_round_mode_16_64 0
		.amdhsa_float_denorm_mode_32 3
		.amdhsa_float_denorm_mode_16_64 3
		.amdhsa_dx10_clamp 1
		.amdhsa_ieee_mode 1
		.amdhsa_fp16_overflow 0
		.amdhsa_tg_split 0
		.amdhsa_exception_fp_ieee_invalid_op 0
		.amdhsa_exception_fp_denorm_src 0
		.amdhsa_exception_fp_ieee_div_zero 0
		.amdhsa_exception_fp_ieee_overflow 0
		.amdhsa_exception_fp_ieee_underflow 0
		.amdhsa_exception_fp_ieee_inexact 0
		.amdhsa_exception_int_div_zero 0
	.end_amdhsa_kernel
	.section	.text._ZN7rocprim17ROCPRIM_400000_NS6detail44device_merge_sort_compile_time_verifier_archINS1_11comp_targetILNS1_3genE5ELNS1_11target_archE942ELNS1_3gpuE9ELNS1_3repE0EEES8_NS1_28merge_sort_block_sort_configILj256ELj4ELNS0_20block_sort_algorithmE0EEENS0_14default_configENS1_37merge_sort_block_sort_config_selectorIlNS0_10empty_typeEEENS1_38merge_sort_block_merge_config_selectorIlSE_EEEEvv,"axG",@progbits,_ZN7rocprim17ROCPRIM_400000_NS6detail44device_merge_sort_compile_time_verifier_archINS1_11comp_targetILNS1_3genE5ELNS1_11target_archE942ELNS1_3gpuE9ELNS1_3repE0EEES8_NS1_28merge_sort_block_sort_configILj256ELj4ELNS0_20block_sort_algorithmE0EEENS0_14default_configENS1_37merge_sort_block_sort_config_selectorIlNS0_10empty_typeEEENS1_38merge_sort_block_merge_config_selectorIlSE_EEEEvv,comdat
.Lfunc_end788:
	.size	_ZN7rocprim17ROCPRIM_400000_NS6detail44device_merge_sort_compile_time_verifier_archINS1_11comp_targetILNS1_3genE5ELNS1_11target_archE942ELNS1_3gpuE9ELNS1_3repE0EEES8_NS1_28merge_sort_block_sort_configILj256ELj4ELNS0_20block_sort_algorithmE0EEENS0_14default_configENS1_37merge_sort_block_sort_config_selectorIlNS0_10empty_typeEEENS1_38merge_sort_block_merge_config_selectorIlSE_EEEEvv, .Lfunc_end788-_ZN7rocprim17ROCPRIM_400000_NS6detail44device_merge_sort_compile_time_verifier_archINS1_11comp_targetILNS1_3genE5ELNS1_11target_archE942ELNS1_3gpuE9ELNS1_3repE0EEES8_NS1_28merge_sort_block_sort_configILj256ELj4ELNS0_20block_sort_algorithmE0EEENS0_14default_configENS1_37merge_sort_block_sort_config_selectorIlNS0_10empty_typeEEENS1_38merge_sort_block_merge_config_selectorIlSE_EEEEvv
                                        ; -- End function
	.section	.AMDGPU.csdata,"",@progbits
; Kernel info:
; codeLenInByte = 4
; NumSgprs: 4
; NumVgprs: 0
; NumAgprs: 0
; TotalNumVgprs: 0
; ScratchSize: 0
; MemoryBound: 0
; FloatMode: 240
; IeeeMode: 1
; LDSByteSize: 0 bytes/workgroup (compile time only)
; SGPRBlocks: 0
; VGPRBlocks: 0
; NumSGPRsForWavesPerEU: 4
; NumVGPRsForWavesPerEU: 1
; AccumOffset: 4
; Occupancy: 8
; WaveLimiterHint : 0
; COMPUTE_PGM_RSRC2:SCRATCH_EN: 0
; COMPUTE_PGM_RSRC2:USER_SGPR: 4
; COMPUTE_PGM_RSRC2:TRAP_HANDLER: 0
; COMPUTE_PGM_RSRC2:TGID_X_EN: 1
; COMPUTE_PGM_RSRC2:TGID_Y_EN: 0
; COMPUTE_PGM_RSRC2:TGID_Z_EN: 0
; COMPUTE_PGM_RSRC2:TIDIG_COMP_CNT: 0
; COMPUTE_PGM_RSRC3_GFX90A:ACCUM_OFFSET: 0
; COMPUTE_PGM_RSRC3_GFX90A:TG_SPLIT: 0
	.section	.text._ZN7rocprim17ROCPRIM_400000_NS6detail44device_merge_sort_compile_time_verifier_archINS1_11comp_targetILNS1_3genE4ELNS1_11target_archE910ELNS1_3gpuE8ELNS1_3repE0EEES8_NS1_28merge_sort_block_sort_configILj256ELj4ELNS0_20block_sort_algorithmE0EEENS0_14default_configENS1_37merge_sort_block_sort_config_selectorIlNS0_10empty_typeEEENS1_38merge_sort_block_merge_config_selectorIlSE_EEEEvv,"axG",@progbits,_ZN7rocprim17ROCPRIM_400000_NS6detail44device_merge_sort_compile_time_verifier_archINS1_11comp_targetILNS1_3genE4ELNS1_11target_archE910ELNS1_3gpuE8ELNS1_3repE0EEES8_NS1_28merge_sort_block_sort_configILj256ELj4ELNS0_20block_sort_algorithmE0EEENS0_14default_configENS1_37merge_sort_block_sort_config_selectorIlNS0_10empty_typeEEENS1_38merge_sort_block_merge_config_selectorIlSE_EEEEvv,comdat
	.protected	_ZN7rocprim17ROCPRIM_400000_NS6detail44device_merge_sort_compile_time_verifier_archINS1_11comp_targetILNS1_3genE4ELNS1_11target_archE910ELNS1_3gpuE8ELNS1_3repE0EEES8_NS1_28merge_sort_block_sort_configILj256ELj4ELNS0_20block_sort_algorithmE0EEENS0_14default_configENS1_37merge_sort_block_sort_config_selectorIlNS0_10empty_typeEEENS1_38merge_sort_block_merge_config_selectorIlSE_EEEEvv ; -- Begin function _ZN7rocprim17ROCPRIM_400000_NS6detail44device_merge_sort_compile_time_verifier_archINS1_11comp_targetILNS1_3genE4ELNS1_11target_archE910ELNS1_3gpuE8ELNS1_3repE0EEES8_NS1_28merge_sort_block_sort_configILj256ELj4ELNS0_20block_sort_algorithmE0EEENS0_14default_configENS1_37merge_sort_block_sort_config_selectorIlNS0_10empty_typeEEENS1_38merge_sort_block_merge_config_selectorIlSE_EEEEvv
	.globl	_ZN7rocprim17ROCPRIM_400000_NS6detail44device_merge_sort_compile_time_verifier_archINS1_11comp_targetILNS1_3genE4ELNS1_11target_archE910ELNS1_3gpuE8ELNS1_3repE0EEES8_NS1_28merge_sort_block_sort_configILj256ELj4ELNS0_20block_sort_algorithmE0EEENS0_14default_configENS1_37merge_sort_block_sort_config_selectorIlNS0_10empty_typeEEENS1_38merge_sort_block_merge_config_selectorIlSE_EEEEvv
	.p2align	8
	.type	_ZN7rocprim17ROCPRIM_400000_NS6detail44device_merge_sort_compile_time_verifier_archINS1_11comp_targetILNS1_3genE4ELNS1_11target_archE910ELNS1_3gpuE8ELNS1_3repE0EEES8_NS1_28merge_sort_block_sort_configILj256ELj4ELNS0_20block_sort_algorithmE0EEENS0_14default_configENS1_37merge_sort_block_sort_config_selectorIlNS0_10empty_typeEEENS1_38merge_sort_block_merge_config_selectorIlSE_EEEEvv,@function
_ZN7rocprim17ROCPRIM_400000_NS6detail44device_merge_sort_compile_time_verifier_archINS1_11comp_targetILNS1_3genE4ELNS1_11target_archE910ELNS1_3gpuE8ELNS1_3repE0EEES8_NS1_28merge_sort_block_sort_configILj256ELj4ELNS0_20block_sort_algorithmE0EEENS0_14default_configENS1_37merge_sort_block_sort_config_selectorIlNS0_10empty_typeEEENS1_38merge_sort_block_merge_config_selectorIlSE_EEEEvv: ; @_ZN7rocprim17ROCPRIM_400000_NS6detail44device_merge_sort_compile_time_verifier_archINS1_11comp_targetILNS1_3genE4ELNS1_11target_archE910ELNS1_3gpuE8ELNS1_3repE0EEES8_NS1_28merge_sort_block_sort_configILj256ELj4ELNS0_20block_sort_algorithmE0EEENS0_14default_configENS1_37merge_sort_block_sort_config_selectorIlNS0_10empty_typeEEENS1_38merge_sort_block_merge_config_selectorIlSE_EEEEvv
; %bb.0:
	s_endpgm
	.section	.rodata,"a",@progbits
	.p2align	6, 0x0
	.amdhsa_kernel _ZN7rocprim17ROCPRIM_400000_NS6detail44device_merge_sort_compile_time_verifier_archINS1_11comp_targetILNS1_3genE4ELNS1_11target_archE910ELNS1_3gpuE8ELNS1_3repE0EEES8_NS1_28merge_sort_block_sort_configILj256ELj4ELNS0_20block_sort_algorithmE0EEENS0_14default_configENS1_37merge_sort_block_sort_config_selectorIlNS0_10empty_typeEEENS1_38merge_sort_block_merge_config_selectorIlSE_EEEEvv
		.amdhsa_group_segment_fixed_size 0
		.amdhsa_private_segment_fixed_size 0
		.amdhsa_kernarg_size 0
		.amdhsa_user_sgpr_count 4
		.amdhsa_user_sgpr_private_segment_buffer 1
		.amdhsa_user_sgpr_dispatch_ptr 0
		.amdhsa_user_sgpr_queue_ptr 0
		.amdhsa_user_sgpr_kernarg_segment_ptr 0
		.amdhsa_user_sgpr_dispatch_id 0
		.amdhsa_user_sgpr_flat_scratch_init 0
		.amdhsa_user_sgpr_kernarg_preload_length 0
		.amdhsa_user_sgpr_kernarg_preload_offset 0
		.amdhsa_user_sgpr_private_segment_size 0
		.amdhsa_uses_dynamic_stack 0
		.amdhsa_system_sgpr_private_segment_wavefront_offset 0
		.amdhsa_system_sgpr_workgroup_id_x 1
		.amdhsa_system_sgpr_workgroup_id_y 0
		.amdhsa_system_sgpr_workgroup_id_z 0
		.amdhsa_system_sgpr_workgroup_info 0
		.amdhsa_system_vgpr_workitem_id 0
		.amdhsa_next_free_vgpr 1
		.amdhsa_next_free_sgpr 0
		.amdhsa_accum_offset 4
		.amdhsa_reserve_vcc 0
		.amdhsa_reserve_flat_scratch 0
		.amdhsa_float_round_mode_32 0
		.amdhsa_float_round_mode_16_64 0
		.amdhsa_float_denorm_mode_32 3
		.amdhsa_float_denorm_mode_16_64 3
		.amdhsa_dx10_clamp 1
		.amdhsa_ieee_mode 1
		.amdhsa_fp16_overflow 0
		.amdhsa_tg_split 0
		.amdhsa_exception_fp_ieee_invalid_op 0
		.amdhsa_exception_fp_denorm_src 0
		.amdhsa_exception_fp_ieee_div_zero 0
		.amdhsa_exception_fp_ieee_overflow 0
		.amdhsa_exception_fp_ieee_underflow 0
		.amdhsa_exception_fp_ieee_inexact 0
		.amdhsa_exception_int_div_zero 0
	.end_amdhsa_kernel
	.section	.text._ZN7rocprim17ROCPRIM_400000_NS6detail44device_merge_sort_compile_time_verifier_archINS1_11comp_targetILNS1_3genE4ELNS1_11target_archE910ELNS1_3gpuE8ELNS1_3repE0EEES8_NS1_28merge_sort_block_sort_configILj256ELj4ELNS0_20block_sort_algorithmE0EEENS0_14default_configENS1_37merge_sort_block_sort_config_selectorIlNS0_10empty_typeEEENS1_38merge_sort_block_merge_config_selectorIlSE_EEEEvv,"axG",@progbits,_ZN7rocprim17ROCPRIM_400000_NS6detail44device_merge_sort_compile_time_verifier_archINS1_11comp_targetILNS1_3genE4ELNS1_11target_archE910ELNS1_3gpuE8ELNS1_3repE0EEES8_NS1_28merge_sort_block_sort_configILj256ELj4ELNS0_20block_sort_algorithmE0EEENS0_14default_configENS1_37merge_sort_block_sort_config_selectorIlNS0_10empty_typeEEENS1_38merge_sort_block_merge_config_selectorIlSE_EEEEvv,comdat
.Lfunc_end789:
	.size	_ZN7rocprim17ROCPRIM_400000_NS6detail44device_merge_sort_compile_time_verifier_archINS1_11comp_targetILNS1_3genE4ELNS1_11target_archE910ELNS1_3gpuE8ELNS1_3repE0EEES8_NS1_28merge_sort_block_sort_configILj256ELj4ELNS0_20block_sort_algorithmE0EEENS0_14default_configENS1_37merge_sort_block_sort_config_selectorIlNS0_10empty_typeEEENS1_38merge_sort_block_merge_config_selectorIlSE_EEEEvv, .Lfunc_end789-_ZN7rocprim17ROCPRIM_400000_NS6detail44device_merge_sort_compile_time_verifier_archINS1_11comp_targetILNS1_3genE4ELNS1_11target_archE910ELNS1_3gpuE8ELNS1_3repE0EEES8_NS1_28merge_sort_block_sort_configILj256ELj4ELNS0_20block_sort_algorithmE0EEENS0_14default_configENS1_37merge_sort_block_sort_config_selectorIlNS0_10empty_typeEEENS1_38merge_sort_block_merge_config_selectorIlSE_EEEEvv
                                        ; -- End function
	.section	.AMDGPU.csdata,"",@progbits
; Kernel info:
; codeLenInByte = 4
; NumSgprs: 4
; NumVgprs: 0
; NumAgprs: 0
; TotalNumVgprs: 0
; ScratchSize: 0
; MemoryBound: 0
; FloatMode: 240
; IeeeMode: 1
; LDSByteSize: 0 bytes/workgroup (compile time only)
; SGPRBlocks: 0
; VGPRBlocks: 0
; NumSGPRsForWavesPerEU: 4
; NumVGPRsForWavesPerEU: 1
; AccumOffset: 4
; Occupancy: 8
; WaveLimiterHint : 0
; COMPUTE_PGM_RSRC2:SCRATCH_EN: 0
; COMPUTE_PGM_RSRC2:USER_SGPR: 4
; COMPUTE_PGM_RSRC2:TRAP_HANDLER: 0
; COMPUTE_PGM_RSRC2:TGID_X_EN: 1
; COMPUTE_PGM_RSRC2:TGID_Y_EN: 0
; COMPUTE_PGM_RSRC2:TGID_Z_EN: 0
; COMPUTE_PGM_RSRC2:TIDIG_COMP_CNT: 0
; COMPUTE_PGM_RSRC3_GFX90A:ACCUM_OFFSET: 0
; COMPUTE_PGM_RSRC3_GFX90A:TG_SPLIT: 0
	.section	.text._ZN7rocprim17ROCPRIM_400000_NS6detail44device_merge_sort_compile_time_verifier_archINS1_11comp_targetILNS1_3genE3ELNS1_11target_archE908ELNS1_3gpuE7ELNS1_3repE0EEES8_NS1_28merge_sort_block_sort_configILj256ELj4ELNS0_20block_sort_algorithmE0EEENS0_14default_configENS1_37merge_sort_block_sort_config_selectorIlNS0_10empty_typeEEENS1_38merge_sort_block_merge_config_selectorIlSE_EEEEvv,"axG",@progbits,_ZN7rocprim17ROCPRIM_400000_NS6detail44device_merge_sort_compile_time_verifier_archINS1_11comp_targetILNS1_3genE3ELNS1_11target_archE908ELNS1_3gpuE7ELNS1_3repE0EEES8_NS1_28merge_sort_block_sort_configILj256ELj4ELNS0_20block_sort_algorithmE0EEENS0_14default_configENS1_37merge_sort_block_sort_config_selectorIlNS0_10empty_typeEEENS1_38merge_sort_block_merge_config_selectorIlSE_EEEEvv,comdat
	.protected	_ZN7rocprim17ROCPRIM_400000_NS6detail44device_merge_sort_compile_time_verifier_archINS1_11comp_targetILNS1_3genE3ELNS1_11target_archE908ELNS1_3gpuE7ELNS1_3repE0EEES8_NS1_28merge_sort_block_sort_configILj256ELj4ELNS0_20block_sort_algorithmE0EEENS0_14default_configENS1_37merge_sort_block_sort_config_selectorIlNS0_10empty_typeEEENS1_38merge_sort_block_merge_config_selectorIlSE_EEEEvv ; -- Begin function _ZN7rocprim17ROCPRIM_400000_NS6detail44device_merge_sort_compile_time_verifier_archINS1_11comp_targetILNS1_3genE3ELNS1_11target_archE908ELNS1_3gpuE7ELNS1_3repE0EEES8_NS1_28merge_sort_block_sort_configILj256ELj4ELNS0_20block_sort_algorithmE0EEENS0_14default_configENS1_37merge_sort_block_sort_config_selectorIlNS0_10empty_typeEEENS1_38merge_sort_block_merge_config_selectorIlSE_EEEEvv
	.globl	_ZN7rocprim17ROCPRIM_400000_NS6detail44device_merge_sort_compile_time_verifier_archINS1_11comp_targetILNS1_3genE3ELNS1_11target_archE908ELNS1_3gpuE7ELNS1_3repE0EEES8_NS1_28merge_sort_block_sort_configILj256ELj4ELNS0_20block_sort_algorithmE0EEENS0_14default_configENS1_37merge_sort_block_sort_config_selectorIlNS0_10empty_typeEEENS1_38merge_sort_block_merge_config_selectorIlSE_EEEEvv
	.p2align	8
	.type	_ZN7rocprim17ROCPRIM_400000_NS6detail44device_merge_sort_compile_time_verifier_archINS1_11comp_targetILNS1_3genE3ELNS1_11target_archE908ELNS1_3gpuE7ELNS1_3repE0EEES8_NS1_28merge_sort_block_sort_configILj256ELj4ELNS0_20block_sort_algorithmE0EEENS0_14default_configENS1_37merge_sort_block_sort_config_selectorIlNS0_10empty_typeEEENS1_38merge_sort_block_merge_config_selectorIlSE_EEEEvv,@function
_ZN7rocprim17ROCPRIM_400000_NS6detail44device_merge_sort_compile_time_verifier_archINS1_11comp_targetILNS1_3genE3ELNS1_11target_archE908ELNS1_3gpuE7ELNS1_3repE0EEES8_NS1_28merge_sort_block_sort_configILj256ELj4ELNS0_20block_sort_algorithmE0EEENS0_14default_configENS1_37merge_sort_block_sort_config_selectorIlNS0_10empty_typeEEENS1_38merge_sort_block_merge_config_selectorIlSE_EEEEvv: ; @_ZN7rocprim17ROCPRIM_400000_NS6detail44device_merge_sort_compile_time_verifier_archINS1_11comp_targetILNS1_3genE3ELNS1_11target_archE908ELNS1_3gpuE7ELNS1_3repE0EEES8_NS1_28merge_sort_block_sort_configILj256ELj4ELNS0_20block_sort_algorithmE0EEENS0_14default_configENS1_37merge_sort_block_sort_config_selectorIlNS0_10empty_typeEEENS1_38merge_sort_block_merge_config_selectorIlSE_EEEEvv
; %bb.0:
	s_endpgm
	.section	.rodata,"a",@progbits
	.p2align	6, 0x0
	.amdhsa_kernel _ZN7rocprim17ROCPRIM_400000_NS6detail44device_merge_sort_compile_time_verifier_archINS1_11comp_targetILNS1_3genE3ELNS1_11target_archE908ELNS1_3gpuE7ELNS1_3repE0EEES8_NS1_28merge_sort_block_sort_configILj256ELj4ELNS0_20block_sort_algorithmE0EEENS0_14default_configENS1_37merge_sort_block_sort_config_selectorIlNS0_10empty_typeEEENS1_38merge_sort_block_merge_config_selectorIlSE_EEEEvv
		.amdhsa_group_segment_fixed_size 0
		.amdhsa_private_segment_fixed_size 0
		.amdhsa_kernarg_size 0
		.amdhsa_user_sgpr_count 4
		.amdhsa_user_sgpr_private_segment_buffer 1
		.amdhsa_user_sgpr_dispatch_ptr 0
		.amdhsa_user_sgpr_queue_ptr 0
		.amdhsa_user_sgpr_kernarg_segment_ptr 0
		.amdhsa_user_sgpr_dispatch_id 0
		.amdhsa_user_sgpr_flat_scratch_init 0
		.amdhsa_user_sgpr_kernarg_preload_length 0
		.amdhsa_user_sgpr_kernarg_preload_offset 0
		.amdhsa_user_sgpr_private_segment_size 0
		.amdhsa_uses_dynamic_stack 0
		.amdhsa_system_sgpr_private_segment_wavefront_offset 0
		.amdhsa_system_sgpr_workgroup_id_x 1
		.amdhsa_system_sgpr_workgroup_id_y 0
		.amdhsa_system_sgpr_workgroup_id_z 0
		.amdhsa_system_sgpr_workgroup_info 0
		.amdhsa_system_vgpr_workitem_id 0
		.amdhsa_next_free_vgpr 1
		.amdhsa_next_free_sgpr 0
		.amdhsa_accum_offset 4
		.amdhsa_reserve_vcc 0
		.amdhsa_reserve_flat_scratch 0
		.amdhsa_float_round_mode_32 0
		.amdhsa_float_round_mode_16_64 0
		.amdhsa_float_denorm_mode_32 3
		.amdhsa_float_denorm_mode_16_64 3
		.amdhsa_dx10_clamp 1
		.amdhsa_ieee_mode 1
		.amdhsa_fp16_overflow 0
		.amdhsa_tg_split 0
		.amdhsa_exception_fp_ieee_invalid_op 0
		.amdhsa_exception_fp_denorm_src 0
		.amdhsa_exception_fp_ieee_div_zero 0
		.amdhsa_exception_fp_ieee_overflow 0
		.amdhsa_exception_fp_ieee_underflow 0
		.amdhsa_exception_fp_ieee_inexact 0
		.amdhsa_exception_int_div_zero 0
	.end_amdhsa_kernel
	.section	.text._ZN7rocprim17ROCPRIM_400000_NS6detail44device_merge_sort_compile_time_verifier_archINS1_11comp_targetILNS1_3genE3ELNS1_11target_archE908ELNS1_3gpuE7ELNS1_3repE0EEES8_NS1_28merge_sort_block_sort_configILj256ELj4ELNS0_20block_sort_algorithmE0EEENS0_14default_configENS1_37merge_sort_block_sort_config_selectorIlNS0_10empty_typeEEENS1_38merge_sort_block_merge_config_selectorIlSE_EEEEvv,"axG",@progbits,_ZN7rocprim17ROCPRIM_400000_NS6detail44device_merge_sort_compile_time_verifier_archINS1_11comp_targetILNS1_3genE3ELNS1_11target_archE908ELNS1_3gpuE7ELNS1_3repE0EEES8_NS1_28merge_sort_block_sort_configILj256ELj4ELNS0_20block_sort_algorithmE0EEENS0_14default_configENS1_37merge_sort_block_sort_config_selectorIlNS0_10empty_typeEEENS1_38merge_sort_block_merge_config_selectorIlSE_EEEEvv,comdat
.Lfunc_end790:
	.size	_ZN7rocprim17ROCPRIM_400000_NS6detail44device_merge_sort_compile_time_verifier_archINS1_11comp_targetILNS1_3genE3ELNS1_11target_archE908ELNS1_3gpuE7ELNS1_3repE0EEES8_NS1_28merge_sort_block_sort_configILj256ELj4ELNS0_20block_sort_algorithmE0EEENS0_14default_configENS1_37merge_sort_block_sort_config_selectorIlNS0_10empty_typeEEENS1_38merge_sort_block_merge_config_selectorIlSE_EEEEvv, .Lfunc_end790-_ZN7rocprim17ROCPRIM_400000_NS6detail44device_merge_sort_compile_time_verifier_archINS1_11comp_targetILNS1_3genE3ELNS1_11target_archE908ELNS1_3gpuE7ELNS1_3repE0EEES8_NS1_28merge_sort_block_sort_configILj256ELj4ELNS0_20block_sort_algorithmE0EEENS0_14default_configENS1_37merge_sort_block_sort_config_selectorIlNS0_10empty_typeEEENS1_38merge_sort_block_merge_config_selectorIlSE_EEEEvv
                                        ; -- End function
	.section	.AMDGPU.csdata,"",@progbits
; Kernel info:
; codeLenInByte = 4
; NumSgprs: 4
; NumVgprs: 0
; NumAgprs: 0
; TotalNumVgprs: 0
; ScratchSize: 0
; MemoryBound: 0
; FloatMode: 240
; IeeeMode: 1
; LDSByteSize: 0 bytes/workgroup (compile time only)
; SGPRBlocks: 0
; VGPRBlocks: 0
; NumSGPRsForWavesPerEU: 4
; NumVGPRsForWavesPerEU: 1
; AccumOffset: 4
; Occupancy: 8
; WaveLimiterHint : 0
; COMPUTE_PGM_RSRC2:SCRATCH_EN: 0
; COMPUTE_PGM_RSRC2:USER_SGPR: 4
; COMPUTE_PGM_RSRC2:TRAP_HANDLER: 0
; COMPUTE_PGM_RSRC2:TGID_X_EN: 1
; COMPUTE_PGM_RSRC2:TGID_Y_EN: 0
; COMPUTE_PGM_RSRC2:TGID_Z_EN: 0
; COMPUTE_PGM_RSRC2:TIDIG_COMP_CNT: 0
; COMPUTE_PGM_RSRC3_GFX90A:ACCUM_OFFSET: 0
; COMPUTE_PGM_RSRC3_GFX90A:TG_SPLIT: 0
	.section	.text._ZN7rocprim17ROCPRIM_400000_NS6detail44device_merge_sort_compile_time_verifier_archINS1_11comp_targetILNS1_3genE2ELNS1_11target_archE906ELNS1_3gpuE6ELNS1_3repE0EEES8_NS1_28merge_sort_block_sort_configILj256ELj4ELNS0_20block_sort_algorithmE0EEENS0_14default_configENS1_37merge_sort_block_sort_config_selectorIlNS0_10empty_typeEEENS1_38merge_sort_block_merge_config_selectorIlSE_EEEEvv,"axG",@progbits,_ZN7rocprim17ROCPRIM_400000_NS6detail44device_merge_sort_compile_time_verifier_archINS1_11comp_targetILNS1_3genE2ELNS1_11target_archE906ELNS1_3gpuE6ELNS1_3repE0EEES8_NS1_28merge_sort_block_sort_configILj256ELj4ELNS0_20block_sort_algorithmE0EEENS0_14default_configENS1_37merge_sort_block_sort_config_selectorIlNS0_10empty_typeEEENS1_38merge_sort_block_merge_config_selectorIlSE_EEEEvv,comdat
	.protected	_ZN7rocprim17ROCPRIM_400000_NS6detail44device_merge_sort_compile_time_verifier_archINS1_11comp_targetILNS1_3genE2ELNS1_11target_archE906ELNS1_3gpuE6ELNS1_3repE0EEES8_NS1_28merge_sort_block_sort_configILj256ELj4ELNS0_20block_sort_algorithmE0EEENS0_14default_configENS1_37merge_sort_block_sort_config_selectorIlNS0_10empty_typeEEENS1_38merge_sort_block_merge_config_selectorIlSE_EEEEvv ; -- Begin function _ZN7rocprim17ROCPRIM_400000_NS6detail44device_merge_sort_compile_time_verifier_archINS1_11comp_targetILNS1_3genE2ELNS1_11target_archE906ELNS1_3gpuE6ELNS1_3repE0EEES8_NS1_28merge_sort_block_sort_configILj256ELj4ELNS0_20block_sort_algorithmE0EEENS0_14default_configENS1_37merge_sort_block_sort_config_selectorIlNS0_10empty_typeEEENS1_38merge_sort_block_merge_config_selectorIlSE_EEEEvv
	.globl	_ZN7rocprim17ROCPRIM_400000_NS6detail44device_merge_sort_compile_time_verifier_archINS1_11comp_targetILNS1_3genE2ELNS1_11target_archE906ELNS1_3gpuE6ELNS1_3repE0EEES8_NS1_28merge_sort_block_sort_configILj256ELj4ELNS0_20block_sort_algorithmE0EEENS0_14default_configENS1_37merge_sort_block_sort_config_selectorIlNS0_10empty_typeEEENS1_38merge_sort_block_merge_config_selectorIlSE_EEEEvv
	.p2align	8
	.type	_ZN7rocprim17ROCPRIM_400000_NS6detail44device_merge_sort_compile_time_verifier_archINS1_11comp_targetILNS1_3genE2ELNS1_11target_archE906ELNS1_3gpuE6ELNS1_3repE0EEES8_NS1_28merge_sort_block_sort_configILj256ELj4ELNS0_20block_sort_algorithmE0EEENS0_14default_configENS1_37merge_sort_block_sort_config_selectorIlNS0_10empty_typeEEENS1_38merge_sort_block_merge_config_selectorIlSE_EEEEvv,@function
_ZN7rocprim17ROCPRIM_400000_NS6detail44device_merge_sort_compile_time_verifier_archINS1_11comp_targetILNS1_3genE2ELNS1_11target_archE906ELNS1_3gpuE6ELNS1_3repE0EEES8_NS1_28merge_sort_block_sort_configILj256ELj4ELNS0_20block_sort_algorithmE0EEENS0_14default_configENS1_37merge_sort_block_sort_config_selectorIlNS0_10empty_typeEEENS1_38merge_sort_block_merge_config_selectorIlSE_EEEEvv: ; @_ZN7rocprim17ROCPRIM_400000_NS6detail44device_merge_sort_compile_time_verifier_archINS1_11comp_targetILNS1_3genE2ELNS1_11target_archE906ELNS1_3gpuE6ELNS1_3repE0EEES8_NS1_28merge_sort_block_sort_configILj256ELj4ELNS0_20block_sort_algorithmE0EEENS0_14default_configENS1_37merge_sort_block_sort_config_selectorIlNS0_10empty_typeEEENS1_38merge_sort_block_merge_config_selectorIlSE_EEEEvv
; %bb.0:
	s_endpgm
	.section	.rodata,"a",@progbits
	.p2align	6, 0x0
	.amdhsa_kernel _ZN7rocprim17ROCPRIM_400000_NS6detail44device_merge_sort_compile_time_verifier_archINS1_11comp_targetILNS1_3genE2ELNS1_11target_archE906ELNS1_3gpuE6ELNS1_3repE0EEES8_NS1_28merge_sort_block_sort_configILj256ELj4ELNS0_20block_sort_algorithmE0EEENS0_14default_configENS1_37merge_sort_block_sort_config_selectorIlNS0_10empty_typeEEENS1_38merge_sort_block_merge_config_selectorIlSE_EEEEvv
		.amdhsa_group_segment_fixed_size 0
		.amdhsa_private_segment_fixed_size 0
		.amdhsa_kernarg_size 0
		.amdhsa_user_sgpr_count 4
		.amdhsa_user_sgpr_private_segment_buffer 1
		.amdhsa_user_sgpr_dispatch_ptr 0
		.amdhsa_user_sgpr_queue_ptr 0
		.amdhsa_user_sgpr_kernarg_segment_ptr 0
		.amdhsa_user_sgpr_dispatch_id 0
		.amdhsa_user_sgpr_flat_scratch_init 0
		.amdhsa_user_sgpr_kernarg_preload_length 0
		.amdhsa_user_sgpr_kernarg_preload_offset 0
		.amdhsa_user_sgpr_private_segment_size 0
		.amdhsa_uses_dynamic_stack 0
		.amdhsa_system_sgpr_private_segment_wavefront_offset 0
		.amdhsa_system_sgpr_workgroup_id_x 1
		.amdhsa_system_sgpr_workgroup_id_y 0
		.amdhsa_system_sgpr_workgroup_id_z 0
		.amdhsa_system_sgpr_workgroup_info 0
		.amdhsa_system_vgpr_workitem_id 0
		.amdhsa_next_free_vgpr 1
		.amdhsa_next_free_sgpr 0
		.amdhsa_accum_offset 4
		.amdhsa_reserve_vcc 0
		.amdhsa_reserve_flat_scratch 0
		.amdhsa_float_round_mode_32 0
		.amdhsa_float_round_mode_16_64 0
		.amdhsa_float_denorm_mode_32 3
		.amdhsa_float_denorm_mode_16_64 3
		.amdhsa_dx10_clamp 1
		.amdhsa_ieee_mode 1
		.amdhsa_fp16_overflow 0
		.amdhsa_tg_split 0
		.amdhsa_exception_fp_ieee_invalid_op 0
		.amdhsa_exception_fp_denorm_src 0
		.amdhsa_exception_fp_ieee_div_zero 0
		.amdhsa_exception_fp_ieee_overflow 0
		.amdhsa_exception_fp_ieee_underflow 0
		.amdhsa_exception_fp_ieee_inexact 0
		.amdhsa_exception_int_div_zero 0
	.end_amdhsa_kernel
	.section	.text._ZN7rocprim17ROCPRIM_400000_NS6detail44device_merge_sort_compile_time_verifier_archINS1_11comp_targetILNS1_3genE2ELNS1_11target_archE906ELNS1_3gpuE6ELNS1_3repE0EEES8_NS1_28merge_sort_block_sort_configILj256ELj4ELNS0_20block_sort_algorithmE0EEENS0_14default_configENS1_37merge_sort_block_sort_config_selectorIlNS0_10empty_typeEEENS1_38merge_sort_block_merge_config_selectorIlSE_EEEEvv,"axG",@progbits,_ZN7rocprim17ROCPRIM_400000_NS6detail44device_merge_sort_compile_time_verifier_archINS1_11comp_targetILNS1_3genE2ELNS1_11target_archE906ELNS1_3gpuE6ELNS1_3repE0EEES8_NS1_28merge_sort_block_sort_configILj256ELj4ELNS0_20block_sort_algorithmE0EEENS0_14default_configENS1_37merge_sort_block_sort_config_selectorIlNS0_10empty_typeEEENS1_38merge_sort_block_merge_config_selectorIlSE_EEEEvv,comdat
.Lfunc_end791:
	.size	_ZN7rocprim17ROCPRIM_400000_NS6detail44device_merge_sort_compile_time_verifier_archINS1_11comp_targetILNS1_3genE2ELNS1_11target_archE906ELNS1_3gpuE6ELNS1_3repE0EEES8_NS1_28merge_sort_block_sort_configILj256ELj4ELNS0_20block_sort_algorithmE0EEENS0_14default_configENS1_37merge_sort_block_sort_config_selectorIlNS0_10empty_typeEEENS1_38merge_sort_block_merge_config_selectorIlSE_EEEEvv, .Lfunc_end791-_ZN7rocprim17ROCPRIM_400000_NS6detail44device_merge_sort_compile_time_verifier_archINS1_11comp_targetILNS1_3genE2ELNS1_11target_archE906ELNS1_3gpuE6ELNS1_3repE0EEES8_NS1_28merge_sort_block_sort_configILj256ELj4ELNS0_20block_sort_algorithmE0EEENS0_14default_configENS1_37merge_sort_block_sort_config_selectorIlNS0_10empty_typeEEENS1_38merge_sort_block_merge_config_selectorIlSE_EEEEvv
                                        ; -- End function
	.section	.AMDGPU.csdata,"",@progbits
; Kernel info:
; codeLenInByte = 4
; NumSgprs: 4
; NumVgprs: 0
; NumAgprs: 0
; TotalNumVgprs: 0
; ScratchSize: 0
; MemoryBound: 0
; FloatMode: 240
; IeeeMode: 1
; LDSByteSize: 0 bytes/workgroup (compile time only)
; SGPRBlocks: 0
; VGPRBlocks: 0
; NumSGPRsForWavesPerEU: 4
; NumVGPRsForWavesPerEU: 1
; AccumOffset: 4
; Occupancy: 8
; WaveLimiterHint : 0
; COMPUTE_PGM_RSRC2:SCRATCH_EN: 0
; COMPUTE_PGM_RSRC2:USER_SGPR: 4
; COMPUTE_PGM_RSRC2:TRAP_HANDLER: 0
; COMPUTE_PGM_RSRC2:TGID_X_EN: 1
; COMPUTE_PGM_RSRC2:TGID_Y_EN: 0
; COMPUTE_PGM_RSRC2:TGID_Z_EN: 0
; COMPUTE_PGM_RSRC2:TIDIG_COMP_CNT: 0
; COMPUTE_PGM_RSRC3_GFX90A:ACCUM_OFFSET: 0
; COMPUTE_PGM_RSRC3_GFX90A:TG_SPLIT: 0
	.section	.text._ZN7rocprim17ROCPRIM_400000_NS6detail44device_merge_sort_compile_time_verifier_archINS1_11comp_targetILNS1_3genE10ELNS1_11target_archE1201ELNS1_3gpuE5ELNS1_3repE0EEES8_NS1_28merge_sort_block_sort_configILj256ELj4ELNS0_20block_sort_algorithmE0EEENS0_14default_configENS1_37merge_sort_block_sort_config_selectorIlNS0_10empty_typeEEENS1_38merge_sort_block_merge_config_selectorIlSE_EEEEvv,"axG",@progbits,_ZN7rocprim17ROCPRIM_400000_NS6detail44device_merge_sort_compile_time_verifier_archINS1_11comp_targetILNS1_3genE10ELNS1_11target_archE1201ELNS1_3gpuE5ELNS1_3repE0EEES8_NS1_28merge_sort_block_sort_configILj256ELj4ELNS0_20block_sort_algorithmE0EEENS0_14default_configENS1_37merge_sort_block_sort_config_selectorIlNS0_10empty_typeEEENS1_38merge_sort_block_merge_config_selectorIlSE_EEEEvv,comdat
	.protected	_ZN7rocprim17ROCPRIM_400000_NS6detail44device_merge_sort_compile_time_verifier_archINS1_11comp_targetILNS1_3genE10ELNS1_11target_archE1201ELNS1_3gpuE5ELNS1_3repE0EEES8_NS1_28merge_sort_block_sort_configILj256ELj4ELNS0_20block_sort_algorithmE0EEENS0_14default_configENS1_37merge_sort_block_sort_config_selectorIlNS0_10empty_typeEEENS1_38merge_sort_block_merge_config_selectorIlSE_EEEEvv ; -- Begin function _ZN7rocprim17ROCPRIM_400000_NS6detail44device_merge_sort_compile_time_verifier_archINS1_11comp_targetILNS1_3genE10ELNS1_11target_archE1201ELNS1_3gpuE5ELNS1_3repE0EEES8_NS1_28merge_sort_block_sort_configILj256ELj4ELNS0_20block_sort_algorithmE0EEENS0_14default_configENS1_37merge_sort_block_sort_config_selectorIlNS0_10empty_typeEEENS1_38merge_sort_block_merge_config_selectorIlSE_EEEEvv
	.globl	_ZN7rocprim17ROCPRIM_400000_NS6detail44device_merge_sort_compile_time_verifier_archINS1_11comp_targetILNS1_3genE10ELNS1_11target_archE1201ELNS1_3gpuE5ELNS1_3repE0EEES8_NS1_28merge_sort_block_sort_configILj256ELj4ELNS0_20block_sort_algorithmE0EEENS0_14default_configENS1_37merge_sort_block_sort_config_selectorIlNS0_10empty_typeEEENS1_38merge_sort_block_merge_config_selectorIlSE_EEEEvv
	.p2align	8
	.type	_ZN7rocprim17ROCPRIM_400000_NS6detail44device_merge_sort_compile_time_verifier_archINS1_11comp_targetILNS1_3genE10ELNS1_11target_archE1201ELNS1_3gpuE5ELNS1_3repE0EEES8_NS1_28merge_sort_block_sort_configILj256ELj4ELNS0_20block_sort_algorithmE0EEENS0_14default_configENS1_37merge_sort_block_sort_config_selectorIlNS0_10empty_typeEEENS1_38merge_sort_block_merge_config_selectorIlSE_EEEEvv,@function
_ZN7rocprim17ROCPRIM_400000_NS6detail44device_merge_sort_compile_time_verifier_archINS1_11comp_targetILNS1_3genE10ELNS1_11target_archE1201ELNS1_3gpuE5ELNS1_3repE0EEES8_NS1_28merge_sort_block_sort_configILj256ELj4ELNS0_20block_sort_algorithmE0EEENS0_14default_configENS1_37merge_sort_block_sort_config_selectorIlNS0_10empty_typeEEENS1_38merge_sort_block_merge_config_selectorIlSE_EEEEvv: ; @_ZN7rocprim17ROCPRIM_400000_NS6detail44device_merge_sort_compile_time_verifier_archINS1_11comp_targetILNS1_3genE10ELNS1_11target_archE1201ELNS1_3gpuE5ELNS1_3repE0EEES8_NS1_28merge_sort_block_sort_configILj256ELj4ELNS0_20block_sort_algorithmE0EEENS0_14default_configENS1_37merge_sort_block_sort_config_selectorIlNS0_10empty_typeEEENS1_38merge_sort_block_merge_config_selectorIlSE_EEEEvv
; %bb.0:
	s_endpgm
	.section	.rodata,"a",@progbits
	.p2align	6, 0x0
	.amdhsa_kernel _ZN7rocprim17ROCPRIM_400000_NS6detail44device_merge_sort_compile_time_verifier_archINS1_11comp_targetILNS1_3genE10ELNS1_11target_archE1201ELNS1_3gpuE5ELNS1_3repE0EEES8_NS1_28merge_sort_block_sort_configILj256ELj4ELNS0_20block_sort_algorithmE0EEENS0_14default_configENS1_37merge_sort_block_sort_config_selectorIlNS0_10empty_typeEEENS1_38merge_sort_block_merge_config_selectorIlSE_EEEEvv
		.amdhsa_group_segment_fixed_size 0
		.amdhsa_private_segment_fixed_size 0
		.amdhsa_kernarg_size 0
		.amdhsa_user_sgpr_count 4
		.amdhsa_user_sgpr_private_segment_buffer 1
		.amdhsa_user_sgpr_dispatch_ptr 0
		.amdhsa_user_sgpr_queue_ptr 0
		.amdhsa_user_sgpr_kernarg_segment_ptr 0
		.amdhsa_user_sgpr_dispatch_id 0
		.amdhsa_user_sgpr_flat_scratch_init 0
		.amdhsa_user_sgpr_kernarg_preload_length 0
		.amdhsa_user_sgpr_kernarg_preload_offset 0
		.amdhsa_user_sgpr_private_segment_size 0
		.amdhsa_uses_dynamic_stack 0
		.amdhsa_system_sgpr_private_segment_wavefront_offset 0
		.amdhsa_system_sgpr_workgroup_id_x 1
		.amdhsa_system_sgpr_workgroup_id_y 0
		.amdhsa_system_sgpr_workgroup_id_z 0
		.amdhsa_system_sgpr_workgroup_info 0
		.amdhsa_system_vgpr_workitem_id 0
		.amdhsa_next_free_vgpr 1
		.amdhsa_next_free_sgpr 0
		.amdhsa_accum_offset 4
		.amdhsa_reserve_vcc 0
		.amdhsa_reserve_flat_scratch 0
		.amdhsa_float_round_mode_32 0
		.amdhsa_float_round_mode_16_64 0
		.amdhsa_float_denorm_mode_32 3
		.amdhsa_float_denorm_mode_16_64 3
		.amdhsa_dx10_clamp 1
		.amdhsa_ieee_mode 1
		.amdhsa_fp16_overflow 0
		.amdhsa_tg_split 0
		.amdhsa_exception_fp_ieee_invalid_op 0
		.amdhsa_exception_fp_denorm_src 0
		.amdhsa_exception_fp_ieee_div_zero 0
		.amdhsa_exception_fp_ieee_overflow 0
		.amdhsa_exception_fp_ieee_underflow 0
		.amdhsa_exception_fp_ieee_inexact 0
		.amdhsa_exception_int_div_zero 0
	.end_amdhsa_kernel
	.section	.text._ZN7rocprim17ROCPRIM_400000_NS6detail44device_merge_sort_compile_time_verifier_archINS1_11comp_targetILNS1_3genE10ELNS1_11target_archE1201ELNS1_3gpuE5ELNS1_3repE0EEES8_NS1_28merge_sort_block_sort_configILj256ELj4ELNS0_20block_sort_algorithmE0EEENS0_14default_configENS1_37merge_sort_block_sort_config_selectorIlNS0_10empty_typeEEENS1_38merge_sort_block_merge_config_selectorIlSE_EEEEvv,"axG",@progbits,_ZN7rocprim17ROCPRIM_400000_NS6detail44device_merge_sort_compile_time_verifier_archINS1_11comp_targetILNS1_3genE10ELNS1_11target_archE1201ELNS1_3gpuE5ELNS1_3repE0EEES8_NS1_28merge_sort_block_sort_configILj256ELj4ELNS0_20block_sort_algorithmE0EEENS0_14default_configENS1_37merge_sort_block_sort_config_selectorIlNS0_10empty_typeEEENS1_38merge_sort_block_merge_config_selectorIlSE_EEEEvv,comdat
.Lfunc_end792:
	.size	_ZN7rocprim17ROCPRIM_400000_NS6detail44device_merge_sort_compile_time_verifier_archINS1_11comp_targetILNS1_3genE10ELNS1_11target_archE1201ELNS1_3gpuE5ELNS1_3repE0EEES8_NS1_28merge_sort_block_sort_configILj256ELj4ELNS0_20block_sort_algorithmE0EEENS0_14default_configENS1_37merge_sort_block_sort_config_selectorIlNS0_10empty_typeEEENS1_38merge_sort_block_merge_config_selectorIlSE_EEEEvv, .Lfunc_end792-_ZN7rocprim17ROCPRIM_400000_NS6detail44device_merge_sort_compile_time_verifier_archINS1_11comp_targetILNS1_3genE10ELNS1_11target_archE1201ELNS1_3gpuE5ELNS1_3repE0EEES8_NS1_28merge_sort_block_sort_configILj256ELj4ELNS0_20block_sort_algorithmE0EEENS0_14default_configENS1_37merge_sort_block_sort_config_selectorIlNS0_10empty_typeEEENS1_38merge_sort_block_merge_config_selectorIlSE_EEEEvv
                                        ; -- End function
	.section	.AMDGPU.csdata,"",@progbits
; Kernel info:
; codeLenInByte = 4
; NumSgprs: 4
; NumVgprs: 0
; NumAgprs: 0
; TotalNumVgprs: 0
; ScratchSize: 0
; MemoryBound: 0
; FloatMode: 240
; IeeeMode: 1
; LDSByteSize: 0 bytes/workgroup (compile time only)
; SGPRBlocks: 0
; VGPRBlocks: 0
; NumSGPRsForWavesPerEU: 4
; NumVGPRsForWavesPerEU: 1
; AccumOffset: 4
; Occupancy: 8
; WaveLimiterHint : 0
; COMPUTE_PGM_RSRC2:SCRATCH_EN: 0
; COMPUTE_PGM_RSRC2:USER_SGPR: 4
; COMPUTE_PGM_RSRC2:TRAP_HANDLER: 0
; COMPUTE_PGM_RSRC2:TGID_X_EN: 1
; COMPUTE_PGM_RSRC2:TGID_Y_EN: 0
; COMPUTE_PGM_RSRC2:TGID_Z_EN: 0
; COMPUTE_PGM_RSRC2:TIDIG_COMP_CNT: 0
; COMPUTE_PGM_RSRC3_GFX90A:ACCUM_OFFSET: 0
; COMPUTE_PGM_RSRC3_GFX90A:TG_SPLIT: 0
	.section	.text._ZN7rocprim17ROCPRIM_400000_NS6detail44device_merge_sort_compile_time_verifier_archINS1_11comp_targetILNS1_3genE10ELNS1_11target_archE1200ELNS1_3gpuE4ELNS1_3repE0EEENS3_ILS4_10ELS5_1201ELS6_5ELS7_0EEENS1_28merge_sort_block_sort_configILj256ELj4ELNS0_20block_sort_algorithmE0EEENS0_14default_configENS1_37merge_sort_block_sort_config_selectorIlNS0_10empty_typeEEENS1_38merge_sort_block_merge_config_selectorIlSF_EEEEvv,"axG",@progbits,_ZN7rocprim17ROCPRIM_400000_NS6detail44device_merge_sort_compile_time_verifier_archINS1_11comp_targetILNS1_3genE10ELNS1_11target_archE1200ELNS1_3gpuE4ELNS1_3repE0EEENS3_ILS4_10ELS5_1201ELS6_5ELS7_0EEENS1_28merge_sort_block_sort_configILj256ELj4ELNS0_20block_sort_algorithmE0EEENS0_14default_configENS1_37merge_sort_block_sort_config_selectorIlNS0_10empty_typeEEENS1_38merge_sort_block_merge_config_selectorIlSF_EEEEvv,comdat
	.protected	_ZN7rocprim17ROCPRIM_400000_NS6detail44device_merge_sort_compile_time_verifier_archINS1_11comp_targetILNS1_3genE10ELNS1_11target_archE1200ELNS1_3gpuE4ELNS1_3repE0EEENS3_ILS4_10ELS5_1201ELS6_5ELS7_0EEENS1_28merge_sort_block_sort_configILj256ELj4ELNS0_20block_sort_algorithmE0EEENS0_14default_configENS1_37merge_sort_block_sort_config_selectorIlNS0_10empty_typeEEENS1_38merge_sort_block_merge_config_selectorIlSF_EEEEvv ; -- Begin function _ZN7rocprim17ROCPRIM_400000_NS6detail44device_merge_sort_compile_time_verifier_archINS1_11comp_targetILNS1_3genE10ELNS1_11target_archE1200ELNS1_3gpuE4ELNS1_3repE0EEENS3_ILS4_10ELS5_1201ELS6_5ELS7_0EEENS1_28merge_sort_block_sort_configILj256ELj4ELNS0_20block_sort_algorithmE0EEENS0_14default_configENS1_37merge_sort_block_sort_config_selectorIlNS0_10empty_typeEEENS1_38merge_sort_block_merge_config_selectorIlSF_EEEEvv
	.globl	_ZN7rocprim17ROCPRIM_400000_NS6detail44device_merge_sort_compile_time_verifier_archINS1_11comp_targetILNS1_3genE10ELNS1_11target_archE1200ELNS1_3gpuE4ELNS1_3repE0EEENS3_ILS4_10ELS5_1201ELS6_5ELS7_0EEENS1_28merge_sort_block_sort_configILj256ELj4ELNS0_20block_sort_algorithmE0EEENS0_14default_configENS1_37merge_sort_block_sort_config_selectorIlNS0_10empty_typeEEENS1_38merge_sort_block_merge_config_selectorIlSF_EEEEvv
	.p2align	8
	.type	_ZN7rocprim17ROCPRIM_400000_NS6detail44device_merge_sort_compile_time_verifier_archINS1_11comp_targetILNS1_3genE10ELNS1_11target_archE1200ELNS1_3gpuE4ELNS1_3repE0EEENS3_ILS4_10ELS5_1201ELS6_5ELS7_0EEENS1_28merge_sort_block_sort_configILj256ELj4ELNS0_20block_sort_algorithmE0EEENS0_14default_configENS1_37merge_sort_block_sort_config_selectorIlNS0_10empty_typeEEENS1_38merge_sort_block_merge_config_selectorIlSF_EEEEvv,@function
_ZN7rocprim17ROCPRIM_400000_NS6detail44device_merge_sort_compile_time_verifier_archINS1_11comp_targetILNS1_3genE10ELNS1_11target_archE1200ELNS1_3gpuE4ELNS1_3repE0EEENS3_ILS4_10ELS5_1201ELS6_5ELS7_0EEENS1_28merge_sort_block_sort_configILj256ELj4ELNS0_20block_sort_algorithmE0EEENS0_14default_configENS1_37merge_sort_block_sort_config_selectorIlNS0_10empty_typeEEENS1_38merge_sort_block_merge_config_selectorIlSF_EEEEvv: ; @_ZN7rocprim17ROCPRIM_400000_NS6detail44device_merge_sort_compile_time_verifier_archINS1_11comp_targetILNS1_3genE10ELNS1_11target_archE1200ELNS1_3gpuE4ELNS1_3repE0EEENS3_ILS4_10ELS5_1201ELS6_5ELS7_0EEENS1_28merge_sort_block_sort_configILj256ELj4ELNS0_20block_sort_algorithmE0EEENS0_14default_configENS1_37merge_sort_block_sort_config_selectorIlNS0_10empty_typeEEENS1_38merge_sort_block_merge_config_selectorIlSF_EEEEvv
; %bb.0:
	s_endpgm
	.section	.rodata,"a",@progbits
	.p2align	6, 0x0
	.amdhsa_kernel _ZN7rocprim17ROCPRIM_400000_NS6detail44device_merge_sort_compile_time_verifier_archINS1_11comp_targetILNS1_3genE10ELNS1_11target_archE1200ELNS1_3gpuE4ELNS1_3repE0EEENS3_ILS4_10ELS5_1201ELS6_5ELS7_0EEENS1_28merge_sort_block_sort_configILj256ELj4ELNS0_20block_sort_algorithmE0EEENS0_14default_configENS1_37merge_sort_block_sort_config_selectorIlNS0_10empty_typeEEENS1_38merge_sort_block_merge_config_selectorIlSF_EEEEvv
		.amdhsa_group_segment_fixed_size 0
		.amdhsa_private_segment_fixed_size 0
		.amdhsa_kernarg_size 0
		.amdhsa_user_sgpr_count 4
		.amdhsa_user_sgpr_private_segment_buffer 1
		.amdhsa_user_sgpr_dispatch_ptr 0
		.amdhsa_user_sgpr_queue_ptr 0
		.amdhsa_user_sgpr_kernarg_segment_ptr 0
		.amdhsa_user_sgpr_dispatch_id 0
		.amdhsa_user_sgpr_flat_scratch_init 0
		.amdhsa_user_sgpr_kernarg_preload_length 0
		.amdhsa_user_sgpr_kernarg_preload_offset 0
		.amdhsa_user_sgpr_private_segment_size 0
		.amdhsa_uses_dynamic_stack 0
		.amdhsa_system_sgpr_private_segment_wavefront_offset 0
		.amdhsa_system_sgpr_workgroup_id_x 1
		.amdhsa_system_sgpr_workgroup_id_y 0
		.amdhsa_system_sgpr_workgroup_id_z 0
		.amdhsa_system_sgpr_workgroup_info 0
		.amdhsa_system_vgpr_workitem_id 0
		.amdhsa_next_free_vgpr 1
		.amdhsa_next_free_sgpr 0
		.amdhsa_accum_offset 4
		.amdhsa_reserve_vcc 0
		.amdhsa_reserve_flat_scratch 0
		.amdhsa_float_round_mode_32 0
		.amdhsa_float_round_mode_16_64 0
		.amdhsa_float_denorm_mode_32 3
		.amdhsa_float_denorm_mode_16_64 3
		.amdhsa_dx10_clamp 1
		.amdhsa_ieee_mode 1
		.amdhsa_fp16_overflow 0
		.amdhsa_tg_split 0
		.amdhsa_exception_fp_ieee_invalid_op 0
		.amdhsa_exception_fp_denorm_src 0
		.amdhsa_exception_fp_ieee_div_zero 0
		.amdhsa_exception_fp_ieee_overflow 0
		.amdhsa_exception_fp_ieee_underflow 0
		.amdhsa_exception_fp_ieee_inexact 0
		.amdhsa_exception_int_div_zero 0
	.end_amdhsa_kernel
	.section	.text._ZN7rocprim17ROCPRIM_400000_NS6detail44device_merge_sort_compile_time_verifier_archINS1_11comp_targetILNS1_3genE10ELNS1_11target_archE1200ELNS1_3gpuE4ELNS1_3repE0EEENS3_ILS4_10ELS5_1201ELS6_5ELS7_0EEENS1_28merge_sort_block_sort_configILj256ELj4ELNS0_20block_sort_algorithmE0EEENS0_14default_configENS1_37merge_sort_block_sort_config_selectorIlNS0_10empty_typeEEENS1_38merge_sort_block_merge_config_selectorIlSF_EEEEvv,"axG",@progbits,_ZN7rocprim17ROCPRIM_400000_NS6detail44device_merge_sort_compile_time_verifier_archINS1_11comp_targetILNS1_3genE10ELNS1_11target_archE1200ELNS1_3gpuE4ELNS1_3repE0EEENS3_ILS4_10ELS5_1201ELS6_5ELS7_0EEENS1_28merge_sort_block_sort_configILj256ELj4ELNS0_20block_sort_algorithmE0EEENS0_14default_configENS1_37merge_sort_block_sort_config_selectorIlNS0_10empty_typeEEENS1_38merge_sort_block_merge_config_selectorIlSF_EEEEvv,comdat
.Lfunc_end793:
	.size	_ZN7rocprim17ROCPRIM_400000_NS6detail44device_merge_sort_compile_time_verifier_archINS1_11comp_targetILNS1_3genE10ELNS1_11target_archE1200ELNS1_3gpuE4ELNS1_3repE0EEENS3_ILS4_10ELS5_1201ELS6_5ELS7_0EEENS1_28merge_sort_block_sort_configILj256ELj4ELNS0_20block_sort_algorithmE0EEENS0_14default_configENS1_37merge_sort_block_sort_config_selectorIlNS0_10empty_typeEEENS1_38merge_sort_block_merge_config_selectorIlSF_EEEEvv, .Lfunc_end793-_ZN7rocprim17ROCPRIM_400000_NS6detail44device_merge_sort_compile_time_verifier_archINS1_11comp_targetILNS1_3genE10ELNS1_11target_archE1200ELNS1_3gpuE4ELNS1_3repE0EEENS3_ILS4_10ELS5_1201ELS6_5ELS7_0EEENS1_28merge_sort_block_sort_configILj256ELj4ELNS0_20block_sort_algorithmE0EEENS0_14default_configENS1_37merge_sort_block_sort_config_selectorIlNS0_10empty_typeEEENS1_38merge_sort_block_merge_config_selectorIlSF_EEEEvv
                                        ; -- End function
	.section	.AMDGPU.csdata,"",@progbits
; Kernel info:
; codeLenInByte = 4
; NumSgprs: 4
; NumVgprs: 0
; NumAgprs: 0
; TotalNumVgprs: 0
; ScratchSize: 0
; MemoryBound: 0
; FloatMode: 240
; IeeeMode: 1
; LDSByteSize: 0 bytes/workgroup (compile time only)
; SGPRBlocks: 0
; VGPRBlocks: 0
; NumSGPRsForWavesPerEU: 4
; NumVGPRsForWavesPerEU: 1
; AccumOffset: 4
; Occupancy: 8
; WaveLimiterHint : 0
; COMPUTE_PGM_RSRC2:SCRATCH_EN: 0
; COMPUTE_PGM_RSRC2:USER_SGPR: 4
; COMPUTE_PGM_RSRC2:TRAP_HANDLER: 0
; COMPUTE_PGM_RSRC2:TGID_X_EN: 1
; COMPUTE_PGM_RSRC2:TGID_Y_EN: 0
; COMPUTE_PGM_RSRC2:TGID_Z_EN: 0
; COMPUTE_PGM_RSRC2:TIDIG_COMP_CNT: 0
; COMPUTE_PGM_RSRC3_GFX90A:ACCUM_OFFSET: 0
; COMPUTE_PGM_RSRC3_GFX90A:TG_SPLIT: 0
	.section	.text._ZN7rocprim17ROCPRIM_400000_NS6detail44device_merge_sort_compile_time_verifier_archINS1_11comp_targetILNS1_3genE9ELNS1_11target_archE1100ELNS1_3gpuE3ELNS1_3repE0EEES8_NS1_28merge_sort_block_sort_configILj256ELj4ELNS0_20block_sort_algorithmE0EEENS0_14default_configENS1_37merge_sort_block_sort_config_selectorIlNS0_10empty_typeEEENS1_38merge_sort_block_merge_config_selectorIlSE_EEEEvv,"axG",@progbits,_ZN7rocprim17ROCPRIM_400000_NS6detail44device_merge_sort_compile_time_verifier_archINS1_11comp_targetILNS1_3genE9ELNS1_11target_archE1100ELNS1_3gpuE3ELNS1_3repE0EEES8_NS1_28merge_sort_block_sort_configILj256ELj4ELNS0_20block_sort_algorithmE0EEENS0_14default_configENS1_37merge_sort_block_sort_config_selectorIlNS0_10empty_typeEEENS1_38merge_sort_block_merge_config_selectorIlSE_EEEEvv,comdat
	.protected	_ZN7rocprim17ROCPRIM_400000_NS6detail44device_merge_sort_compile_time_verifier_archINS1_11comp_targetILNS1_3genE9ELNS1_11target_archE1100ELNS1_3gpuE3ELNS1_3repE0EEES8_NS1_28merge_sort_block_sort_configILj256ELj4ELNS0_20block_sort_algorithmE0EEENS0_14default_configENS1_37merge_sort_block_sort_config_selectorIlNS0_10empty_typeEEENS1_38merge_sort_block_merge_config_selectorIlSE_EEEEvv ; -- Begin function _ZN7rocprim17ROCPRIM_400000_NS6detail44device_merge_sort_compile_time_verifier_archINS1_11comp_targetILNS1_3genE9ELNS1_11target_archE1100ELNS1_3gpuE3ELNS1_3repE0EEES8_NS1_28merge_sort_block_sort_configILj256ELj4ELNS0_20block_sort_algorithmE0EEENS0_14default_configENS1_37merge_sort_block_sort_config_selectorIlNS0_10empty_typeEEENS1_38merge_sort_block_merge_config_selectorIlSE_EEEEvv
	.globl	_ZN7rocprim17ROCPRIM_400000_NS6detail44device_merge_sort_compile_time_verifier_archINS1_11comp_targetILNS1_3genE9ELNS1_11target_archE1100ELNS1_3gpuE3ELNS1_3repE0EEES8_NS1_28merge_sort_block_sort_configILj256ELj4ELNS0_20block_sort_algorithmE0EEENS0_14default_configENS1_37merge_sort_block_sort_config_selectorIlNS0_10empty_typeEEENS1_38merge_sort_block_merge_config_selectorIlSE_EEEEvv
	.p2align	8
	.type	_ZN7rocprim17ROCPRIM_400000_NS6detail44device_merge_sort_compile_time_verifier_archINS1_11comp_targetILNS1_3genE9ELNS1_11target_archE1100ELNS1_3gpuE3ELNS1_3repE0EEES8_NS1_28merge_sort_block_sort_configILj256ELj4ELNS0_20block_sort_algorithmE0EEENS0_14default_configENS1_37merge_sort_block_sort_config_selectorIlNS0_10empty_typeEEENS1_38merge_sort_block_merge_config_selectorIlSE_EEEEvv,@function
_ZN7rocprim17ROCPRIM_400000_NS6detail44device_merge_sort_compile_time_verifier_archINS1_11comp_targetILNS1_3genE9ELNS1_11target_archE1100ELNS1_3gpuE3ELNS1_3repE0EEES8_NS1_28merge_sort_block_sort_configILj256ELj4ELNS0_20block_sort_algorithmE0EEENS0_14default_configENS1_37merge_sort_block_sort_config_selectorIlNS0_10empty_typeEEENS1_38merge_sort_block_merge_config_selectorIlSE_EEEEvv: ; @_ZN7rocprim17ROCPRIM_400000_NS6detail44device_merge_sort_compile_time_verifier_archINS1_11comp_targetILNS1_3genE9ELNS1_11target_archE1100ELNS1_3gpuE3ELNS1_3repE0EEES8_NS1_28merge_sort_block_sort_configILj256ELj4ELNS0_20block_sort_algorithmE0EEENS0_14default_configENS1_37merge_sort_block_sort_config_selectorIlNS0_10empty_typeEEENS1_38merge_sort_block_merge_config_selectorIlSE_EEEEvv
; %bb.0:
	s_endpgm
	.section	.rodata,"a",@progbits
	.p2align	6, 0x0
	.amdhsa_kernel _ZN7rocprim17ROCPRIM_400000_NS6detail44device_merge_sort_compile_time_verifier_archINS1_11comp_targetILNS1_3genE9ELNS1_11target_archE1100ELNS1_3gpuE3ELNS1_3repE0EEES8_NS1_28merge_sort_block_sort_configILj256ELj4ELNS0_20block_sort_algorithmE0EEENS0_14default_configENS1_37merge_sort_block_sort_config_selectorIlNS0_10empty_typeEEENS1_38merge_sort_block_merge_config_selectorIlSE_EEEEvv
		.amdhsa_group_segment_fixed_size 0
		.amdhsa_private_segment_fixed_size 0
		.amdhsa_kernarg_size 0
		.amdhsa_user_sgpr_count 4
		.amdhsa_user_sgpr_private_segment_buffer 1
		.amdhsa_user_sgpr_dispatch_ptr 0
		.amdhsa_user_sgpr_queue_ptr 0
		.amdhsa_user_sgpr_kernarg_segment_ptr 0
		.amdhsa_user_sgpr_dispatch_id 0
		.amdhsa_user_sgpr_flat_scratch_init 0
		.amdhsa_user_sgpr_kernarg_preload_length 0
		.amdhsa_user_sgpr_kernarg_preload_offset 0
		.amdhsa_user_sgpr_private_segment_size 0
		.amdhsa_uses_dynamic_stack 0
		.amdhsa_system_sgpr_private_segment_wavefront_offset 0
		.amdhsa_system_sgpr_workgroup_id_x 1
		.amdhsa_system_sgpr_workgroup_id_y 0
		.amdhsa_system_sgpr_workgroup_id_z 0
		.amdhsa_system_sgpr_workgroup_info 0
		.amdhsa_system_vgpr_workitem_id 0
		.amdhsa_next_free_vgpr 1
		.amdhsa_next_free_sgpr 0
		.amdhsa_accum_offset 4
		.amdhsa_reserve_vcc 0
		.amdhsa_reserve_flat_scratch 0
		.amdhsa_float_round_mode_32 0
		.amdhsa_float_round_mode_16_64 0
		.amdhsa_float_denorm_mode_32 3
		.amdhsa_float_denorm_mode_16_64 3
		.amdhsa_dx10_clamp 1
		.amdhsa_ieee_mode 1
		.amdhsa_fp16_overflow 0
		.amdhsa_tg_split 0
		.amdhsa_exception_fp_ieee_invalid_op 0
		.amdhsa_exception_fp_denorm_src 0
		.amdhsa_exception_fp_ieee_div_zero 0
		.amdhsa_exception_fp_ieee_overflow 0
		.amdhsa_exception_fp_ieee_underflow 0
		.amdhsa_exception_fp_ieee_inexact 0
		.amdhsa_exception_int_div_zero 0
	.end_amdhsa_kernel
	.section	.text._ZN7rocprim17ROCPRIM_400000_NS6detail44device_merge_sort_compile_time_verifier_archINS1_11comp_targetILNS1_3genE9ELNS1_11target_archE1100ELNS1_3gpuE3ELNS1_3repE0EEES8_NS1_28merge_sort_block_sort_configILj256ELj4ELNS0_20block_sort_algorithmE0EEENS0_14default_configENS1_37merge_sort_block_sort_config_selectorIlNS0_10empty_typeEEENS1_38merge_sort_block_merge_config_selectorIlSE_EEEEvv,"axG",@progbits,_ZN7rocprim17ROCPRIM_400000_NS6detail44device_merge_sort_compile_time_verifier_archINS1_11comp_targetILNS1_3genE9ELNS1_11target_archE1100ELNS1_3gpuE3ELNS1_3repE0EEES8_NS1_28merge_sort_block_sort_configILj256ELj4ELNS0_20block_sort_algorithmE0EEENS0_14default_configENS1_37merge_sort_block_sort_config_selectorIlNS0_10empty_typeEEENS1_38merge_sort_block_merge_config_selectorIlSE_EEEEvv,comdat
.Lfunc_end794:
	.size	_ZN7rocprim17ROCPRIM_400000_NS6detail44device_merge_sort_compile_time_verifier_archINS1_11comp_targetILNS1_3genE9ELNS1_11target_archE1100ELNS1_3gpuE3ELNS1_3repE0EEES8_NS1_28merge_sort_block_sort_configILj256ELj4ELNS0_20block_sort_algorithmE0EEENS0_14default_configENS1_37merge_sort_block_sort_config_selectorIlNS0_10empty_typeEEENS1_38merge_sort_block_merge_config_selectorIlSE_EEEEvv, .Lfunc_end794-_ZN7rocprim17ROCPRIM_400000_NS6detail44device_merge_sort_compile_time_verifier_archINS1_11comp_targetILNS1_3genE9ELNS1_11target_archE1100ELNS1_3gpuE3ELNS1_3repE0EEES8_NS1_28merge_sort_block_sort_configILj256ELj4ELNS0_20block_sort_algorithmE0EEENS0_14default_configENS1_37merge_sort_block_sort_config_selectorIlNS0_10empty_typeEEENS1_38merge_sort_block_merge_config_selectorIlSE_EEEEvv
                                        ; -- End function
	.section	.AMDGPU.csdata,"",@progbits
; Kernel info:
; codeLenInByte = 4
; NumSgprs: 4
; NumVgprs: 0
; NumAgprs: 0
; TotalNumVgprs: 0
; ScratchSize: 0
; MemoryBound: 0
; FloatMode: 240
; IeeeMode: 1
; LDSByteSize: 0 bytes/workgroup (compile time only)
; SGPRBlocks: 0
; VGPRBlocks: 0
; NumSGPRsForWavesPerEU: 4
; NumVGPRsForWavesPerEU: 1
; AccumOffset: 4
; Occupancy: 8
; WaveLimiterHint : 0
; COMPUTE_PGM_RSRC2:SCRATCH_EN: 0
; COMPUTE_PGM_RSRC2:USER_SGPR: 4
; COMPUTE_PGM_RSRC2:TRAP_HANDLER: 0
; COMPUTE_PGM_RSRC2:TGID_X_EN: 1
; COMPUTE_PGM_RSRC2:TGID_Y_EN: 0
; COMPUTE_PGM_RSRC2:TGID_Z_EN: 0
; COMPUTE_PGM_RSRC2:TIDIG_COMP_CNT: 0
; COMPUTE_PGM_RSRC3_GFX90A:ACCUM_OFFSET: 0
; COMPUTE_PGM_RSRC3_GFX90A:TG_SPLIT: 0
	.section	.text._ZN7rocprim17ROCPRIM_400000_NS6detail44device_merge_sort_compile_time_verifier_archINS1_11comp_targetILNS1_3genE8ELNS1_11target_archE1030ELNS1_3gpuE2ELNS1_3repE0EEES8_NS1_28merge_sort_block_sort_configILj256ELj4ELNS0_20block_sort_algorithmE0EEENS0_14default_configENS1_37merge_sort_block_sort_config_selectorIlNS0_10empty_typeEEENS1_38merge_sort_block_merge_config_selectorIlSE_EEEEvv,"axG",@progbits,_ZN7rocprim17ROCPRIM_400000_NS6detail44device_merge_sort_compile_time_verifier_archINS1_11comp_targetILNS1_3genE8ELNS1_11target_archE1030ELNS1_3gpuE2ELNS1_3repE0EEES8_NS1_28merge_sort_block_sort_configILj256ELj4ELNS0_20block_sort_algorithmE0EEENS0_14default_configENS1_37merge_sort_block_sort_config_selectorIlNS0_10empty_typeEEENS1_38merge_sort_block_merge_config_selectorIlSE_EEEEvv,comdat
	.protected	_ZN7rocprim17ROCPRIM_400000_NS6detail44device_merge_sort_compile_time_verifier_archINS1_11comp_targetILNS1_3genE8ELNS1_11target_archE1030ELNS1_3gpuE2ELNS1_3repE0EEES8_NS1_28merge_sort_block_sort_configILj256ELj4ELNS0_20block_sort_algorithmE0EEENS0_14default_configENS1_37merge_sort_block_sort_config_selectorIlNS0_10empty_typeEEENS1_38merge_sort_block_merge_config_selectorIlSE_EEEEvv ; -- Begin function _ZN7rocprim17ROCPRIM_400000_NS6detail44device_merge_sort_compile_time_verifier_archINS1_11comp_targetILNS1_3genE8ELNS1_11target_archE1030ELNS1_3gpuE2ELNS1_3repE0EEES8_NS1_28merge_sort_block_sort_configILj256ELj4ELNS0_20block_sort_algorithmE0EEENS0_14default_configENS1_37merge_sort_block_sort_config_selectorIlNS0_10empty_typeEEENS1_38merge_sort_block_merge_config_selectorIlSE_EEEEvv
	.globl	_ZN7rocprim17ROCPRIM_400000_NS6detail44device_merge_sort_compile_time_verifier_archINS1_11comp_targetILNS1_3genE8ELNS1_11target_archE1030ELNS1_3gpuE2ELNS1_3repE0EEES8_NS1_28merge_sort_block_sort_configILj256ELj4ELNS0_20block_sort_algorithmE0EEENS0_14default_configENS1_37merge_sort_block_sort_config_selectorIlNS0_10empty_typeEEENS1_38merge_sort_block_merge_config_selectorIlSE_EEEEvv
	.p2align	8
	.type	_ZN7rocprim17ROCPRIM_400000_NS6detail44device_merge_sort_compile_time_verifier_archINS1_11comp_targetILNS1_3genE8ELNS1_11target_archE1030ELNS1_3gpuE2ELNS1_3repE0EEES8_NS1_28merge_sort_block_sort_configILj256ELj4ELNS0_20block_sort_algorithmE0EEENS0_14default_configENS1_37merge_sort_block_sort_config_selectorIlNS0_10empty_typeEEENS1_38merge_sort_block_merge_config_selectorIlSE_EEEEvv,@function
_ZN7rocprim17ROCPRIM_400000_NS6detail44device_merge_sort_compile_time_verifier_archINS1_11comp_targetILNS1_3genE8ELNS1_11target_archE1030ELNS1_3gpuE2ELNS1_3repE0EEES8_NS1_28merge_sort_block_sort_configILj256ELj4ELNS0_20block_sort_algorithmE0EEENS0_14default_configENS1_37merge_sort_block_sort_config_selectorIlNS0_10empty_typeEEENS1_38merge_sort_block_merge_config_selectorIlSE_EEEEvv: ; @_ZN7rocprim17ROCPRIM_400000_NS6detail44device_merge_sort_compile_time_verifier_archINS1_11comp_targetILNS1_3genE8ELNS1_11target_archE1030ELNS1_3gpuE2ELNS1_3repE0EEES8_NS1_28merge_sort_block_sort_configILj256ELj4ELNS0_20block_sort_algorithmE0EEENS0_14default_configENS1_37merge_sort_block_sort_config_selectorIlNS0_10empty_typeEEENS1_38merge_sort_block_merge_config_selectorIlSE_EEEEvv
; %bb.0:
	s_endpgm
	.section	.rodata,"a",@progbits
	.p2align	6, 0x0
	.amdhsa_kernel _ZN7rocprim17ROCPRIM_400000_NS6detail44device_merge_sort_compile_time_verifier_archINS1_11comp_targetILNS1_3genE8ELNS1_11target_archE1030ELNS1_3gpuE2ELNS1_3repE0EEES8_NS1_28merge_sort_block_sort_configILj256ELj4ELNS0_20block_sort_algorithmE0EEENS0_14default_configENS1_37merge_sort_block_sort_config_selectorIlNS0_10empty_typeEEENS1_38merge_sort_block_merge_config_selectorIlSE_EEEEvv
		.amdhsa_group_segment_fixed_size 0
		.amdhsa_private_segment_fixed_size 0
		.amdhsa_kernarg_size 0
		.amdhsa_user_sgpr_count 4
		.amdhsa_user_sgpr_private_segment_buffer 1
		.amdhsa_user_sgpr_dispatch_ptr 0
		.amdhsa_user_sgpr_queue_ptr 0
		.amdhsa_user_sgpr_kernarg_segment_ptr 0
		.amdhsa_user_sgpr_dispatch_id 0
		.amdhsa_user_sgpr_flat_scratch_init 0
		.amdhsa_user_sgpr_kernarg_preload_length 0
		.amdhsa_user_sgpr_kernarg_preload_offset 0
		.amdhsa_user_sgpr_private_segment_size 0
		.amdhsa_uses_dynamic_stack 0
		.amdhsa_system_sgpr_private_segment_wavefront_offset 0
		.amdhsa_system_sgpr_workgroup_id_x 1
		.amdhsa_system_sgpr_workgroup_id_y 0
		.amdhsa_system_sgpr_workgroup_id_z 0
		.amdhsa_system_sgpr_workgroup_info 0
		.amdhsa_system_vgpr_workitem_id 0
		.amdhsa_next_free_vgpr 1
		.amdhsa_next_free_sgpr 0
		.amdhsa_accum_offset 4
		.amdhsa_reserve_vcc 0
		.amdhsa_reserve_flat_scratch 0
		.amdhsa_float_round_mode_32 0
		.amdhsa_float_round_mode_16_64 0
		.amdhsa_float_denorm_mode_32 3
		.amdhsa_float_denorm_mode_16_64 3
		.amdhsa_dx10_clamp 1
		.amdhsa_ieee_mode 1
		.amdhsa_fp16_overflow 0
		.amdhsa_tg_split 0
		.amdhsa_exception_fp_ieee_invalid_op 0
		.amdhsa_exception_fp_denorm_src 0
		.amdhsa_exception_fp_ieee_div_zero 0
		.amdhsa_exception_fp_ieee_overflow 0
		.amdhsa_exception_fp_ieee_underflow 0
		.amdhsa_exception_fp_ieee_inexact 0
		.amdhsa_exception_int_div_zero 0
	.end_amdhsa_kernel
	.section	.text._ZN7rocprim17ROCPRIM_400000_NS6detail44device_merge_sort_compile_time_verifier_archINS1_11comp_targetILNS1_3genE8ELNS1_11target_archE1030ELNS1_3gpuE2ELNS1_3repE0EEES8_NS1_28merge_sort_block_sort_configILj256ELj4ELNS0_20block_sort_algorithmE0EEENS0_14default_configENS1_37merge_sort_block_sort_config_selectorIlNS0_10empty_typeEEENS1_38merge_sort_block_merge_config_selectorIlSE_EEEEvv,"axG",@progbits,_ZN7rocprim17ROCPRIM_400000_NS6detail44device_merge_sort_compile_time_verifier_archINS1_11comp_targetILNS1_3genE8ELNS1_11target_archE1030ELNS1_3gpuE2ELNS1_3repE0EEES8_NS1_28merge_sort_block_sort_configILj256ELj4ELNS0_20block_sort_algorithmE0EEENS0_14default_configENS1_37merge_sort_block_sort_config_selectorIlNS0_10empty_typeEEENS1_38merge_sort_block_merge_config_selectorIlSE_EEEEvv,comdat
.Lfunc_end795:
	.size	_ZN7rocprim17ROCPRIM_400000_NS6detail44device_merge_sort_compile_time_verifier_archINS1_11comp_targetILNS1_3genE8ELNS1_11target_archE1030ELNS1_3gpuE2ELNS1_3repE0EEES8_NS1_28merge_sort_block_sort_configILj256ELj4ELNS0_20block_sort_algorithmE0EEENS0_14default_configENS1_37merge_sort_block_sort_config_selectorIlNS0_10empty_typeEEENS1_38merge_sort_block_merge_config_selectorIlSE_EEEEvv, .Lfunc_end795-_ZN7rocprim17ROCPRIM_400000_NS6detail44device_merge_sort_compile_time_verifier_archINS1_11comp_targetILNS1_3genE8ELNS1_11target_archE1030ELNS1_3gpuE2ELNS1_3repE0EEES8_NS1_28merge_sort_block_sort_configILj256ELj4ELNS0_20block_sort_algorithmE0EEENS0_14default_configENS1_37merge_sort_block_sort_config_selectorIlNS0_10empty_typeEEENS1_38merge_sort_block_merge_config_selectorIlSE_EEEEvv
                                        ; -- End function
	.section	.AMDGPU.csdata,"",@progbits
; Kernel info:
; codeLenInByte = 4
; NumSgprs: 4
; NumVgprs: 0
; NumAgprs: 0
; TotalNumVgprs: 0
; ScratchSize: 0
; MemoryBound: 0
; FloatMode: 240
; IeeeMode: 1
; LDSByteSize: 0 bytes/workgroup (compile time only)
; SGPRBlocks: 0
; VGPRBlocks: 0
; NumSGPRsForWavesPerEU: 4
; NumVGPRsForWavesPerEU: 1
; AccumOffset: 4
; Occupancy: 8
; WaveLimiterHint : 0
; COMPUTE_PGM_RSRC2:SCRATCH_EN: 0
; COMPUTE_PGM_RSRC2:USER_SGPR: 4
; COMPUTE_PGM_RSRC2:TRAP_HANDLER: 0
; COMPUTE_PGM_RSRC2:TGID_X_EN: 1
; COMPUTE_PGM_RSRC2:TGID_Y_EN: 0
; COMPUTE_PGM_RSRC2:TGID_Z_EN: 0
; COMPUTE_PGM_RSRC2:TIDIG_COMP_CNT: 0
; COMPUTE_PGM_RSRC3_GFX90A:ACCUM_OFFSET: 0
; COMPUTE_PGM_RSRC3_GFX90A:TG_SPLIT: 0
	.section	.text._ZN7rocprim17ROCPRIM_400000_NS6detail17trampoline_kernelINS0_14default_configENS1_38merge_sort_block_merge_config_selectorIlNS0_10empty_typeEEEZZNS1_27merge_sort_block_merge_implIS3_PlPS5_jNS1_19radix_merge_compareILb0ELb0ElNS0_19identity_decomposerEEEEE10hipError_tT0_T1_T2_jT3_P12ihipStream_tbPNSt15iterator_traitsISE_E10value_typeEPNSK_ISF_E10value_typeEPSG_NS1_7vsmem_tEENKUlT_SE_SF_SG_E_clIS8_S8_S9_S9_EESD_ST_SE_SF_SG_EUlST_E_NS1_11comp_targetILNS1_3genE0ELNS1_11target_archE4294967295ELNS1_3gpuE0ELNS1_3repE0EEENS1_48merge_mergepath_partition_config_static_selectorELNS0_4arch9wavefront6targetE1EEEvSF_,"axG",@progbits,_ZN7rocprim17ROCPRIM_400000_NS6detail17trampoline_kernelINS0_14default_configENS1_38merge_sort_block_merge_config_selectorIlNS0_10empty_typeEEEZZNS1_27merge_sort_block_merge_implIS3_PlPS5_jNS1_19radix_merge_compareILb0ELb0ElNS0_19identity_decomposerEEEEE10hipError_tT0_T1_T2_jT3_P12ihipStream_tbPNSt15iterator_traitsISE_E10value_typeEPNSK_ISF_E10value_typeEPSG_NS1_7vsmem_tEENKUlT_SE_SF_SG_E_clIS8_S8_S9_S9_EESD_ST_SE_SF_SG_EUlST_E_NS1_11comp_targetILNS1_3genE0ELNS1_11target_archE4294967295ELNS1_3gpuE0ELNS1_3repE0EEENS1_48merge_mergepath_partition_config_static_selectorELNS0_4arch9wavefront6targetE1EEEvSF_,comdat
	.protected	_ZN7rocprim17ROCPRIM_400000_NS6detail17trampoline_kernelINS0_14default_configENS1_38merge_sort_block_merge_config_selectorIlNS0_10empty_typeEEEZZNS1_27merge_sort_block_merge_implIS3_PlPS5_jNS1_19radix_merge_compareILb0ELb0ElNS0_19identity_decomposerEEEEE10hipError_tT0_T1_T2_jT3_P12ihipStream_tbPNSt15iterator_traitsISE_E10value_typeEPNSK_ISF_E10value_typeEPSG_NS1_7vsmem_tEENKUlT_SE_SF_SG_E_clIS8_S8_S9_S9_EESD_ST_SE_SF_SG_EUlST_E_NS1_11comp_targetILNS1_3genE0ELNS1_11target_archE4294967295ELNS1_3gpuE0ELNS1_3repE0EEENS1_48merge_mergepath_partition_config_static_selectorELNS0_4arch9wavefront6targetE1EEEvSF_ ; -- Begin function _ZN7rocprim17ROCPRIM_400000_NS6detail17trampoline_kernelINS0_14default_configENS1_38merge_sort_block_merge_config_selectorIlNS0_10empty_typeEEEZZNS1_27merge_sort_block_merge_implIS3_PlPS5_jNS1_19radix_merge_compareILb0ELb0ElNS0_19identity_decomposerEEEEE10hipError_tT0_T1_T2_jT3_P12ihipStream_tbPNSt15iterator_traitsISE_E10value_typeEPNSK_ISF_E10value_typeEPSG_NS1_7vsmem_tEENKUlT_SE_SF_SG_E_clIS8_S8_S9_S9_EESD_ST_SE_SF_SG_EUlST_E_NS1_11comp_targetILNS1_3genE0ELNS1_11target_archE4294967295ELNS1_3gpuE0ELNS1_3repE0EEENS1_48merge_mergepath_partition_config_static_selectorELNS0_4arch9wavefront6targetE1EEEvSF_
	.globl	_ZN7rocprim17ROCPRIM_400000_NS6detail17trampoline_kernelINS0_14default_configENS1_38merge_sort_block_merge_config_selectorIlNS0_10empty_typeEEEZZNS1_27merge_sort_block_merge_implIS3_PlPS5_jNS1_19radix_merge_compareILb0ELb0ElNS0_19identity_decomposerEEEEE10hipError_tT0_T1_T2_jT3_P12ihipStream_tbPNSt15iterator_traitsISE_E10value_typeEPNSK_ISF_E10value_typeEPSG_NS1_7vsmem_tEENKUlT_SE_SF_SG_E_clIS8_S8_S9_S9_EESD_ST_SE_SF_SG_EUlST_E_NS1_11comp_targetILNS1_3genE0ELNS1_11target_archE4294967295ELNS1_3gpuE0ELNS1_3repE0EEENS1_48merge_mergepath_partition_config_static_selectorELNS0_4arch9wavefront6targetE1EEEvSF_
	.p2align	8
	.type	_ZN7rocprim17ROCPRIM_400000_NS6detail17trampoline_kernelINS0_14default_configENS1_38merge_sort_block_merge_config_selectorIlNS0_10empty_typeEEEZZNS1_27merge_sort_block_merge_implIS3_PlPS5_jNS1_19radix_merge_compareILb0ELb0ElNS0_19identity_decomposerEEEEE10hipError_tT0_T1_T2_jT3_P12ihipStream_tbPNSt15iterator_traitsISE_E10value_typeEPNSK_ISF_E10value_typeEPSG_NS1_7vsmem_tEENKUlT_SE_SF_SG_E_clIS8_S8_S9_S9_EESD_ST_SE_SF_SG_EUlST_E_NS1_11comp_targetILNS1_3genE0ELNS1_11target_archE4294967295ELNS1_3gpuE0ELNS1_3repE0EEENS1_48merge_mergepath_partition_config_static_selectorELNS0_4arch9wavefront6targetE1EEEvSF_,@function
_ZN7rocprim17ROCPRIM_400000_NS6detail17trampoline_kernelINS0_14default_configENS1_38merge_sort_block_merge_config_selectorIlNS0_10empty_typeEEEZZNS1_27merge_sort_block_merge_implIS3_PlPS5_jNS1_19radix_merge_compareILb0ELb0ElNS0_19identity_decomposerEEEEE10hipError_tT0_T1_T2_jT3_P12ihipStream_tbPNSt15iterator_traitsISE_E10value_typeEPNSK_ISF_E10value_typeEPSG_NS1_7vsmem_tEENKUlT_SE_SF_SG_E_clIS8_S8_S9_S9_EESD_ST_SE_SF_SG_EUlST_E_NS1_11comp_targetILNS1_3genE0ELNS1_11target_archE4294967295ELNS1_3gpuE0ELNS1_3repE0EEENS1_48merge_mergepath_partition_config_static_selectorELNS0_4arch9wavefront6targetE1EEEvSF_: ; @_ZN7rocprim17ROCPRIM_400000_NS6detail17trampoline_kernelINS0_14default_configENS1_38merge_sort_block_merge_config_selectorIlNS0_10empty_typeEEEZZNS1_27merge_sort_block_merge_implIS3_PlPS5_jNS1_19radix_merge_compareILb0ELb0ElNS0_19identity_decomposerEEEEE10hipError_tT0_T1_T2_jT3_P12ihipStream_tbPNSt15iterator_traitsISE_E10value_typeEPNSK_ISF_E10value_typeEPSG_NS1_7vsmem_tEENKUlT_SE_SF_SG_E_clIS8_S8_S9_S9_EESD_ST_SE_SF_SG_EUlST_E_NS1_11comp_targetILNS1_3genE0ELNS1_11target_archE4294967295ELNS1_3gpuE0ELNS1_3repE0EEENS1_48merge_mergepath_partition_config_static_selectorELNS0_4arch9wavefront6targetE1EEEvSF_
; %bb.0:
	.section	.rodata,"a",@progbits
	.p2align	6, 0x0
	.amdhsa_kernel _ZN7rocprim17ROCPRIM_400000_NS6detail17trampoline_kernelINS0_14default_configENS1_38merge_sort_block_merge_config_selectorIlNS0_10empty_typeEEEZZNS1_27merge_sort_block_merge_implIS3_PlPS5_jNS1_19radix_merge_compareILb0ELb0ElNS0_19identity_decomposerEEEEE10hipError_tT0_T1_T2_jT3_P12ihipStream_tbPNSt15iterator_traitsISE_E10value_typeEPNSK_ISF_E10value_typeEPSG_NS1_7vsmem_tEENKUlT_SE_SF_SG_E_clIS8_S8_S9_S9_EESD_ST_SE_SF_SG_EUlST_E_NS1_11comp_targetILNS1_3genE0ELNS1_11target_archE4294967295ELNS1_3gpuE0ELNS1_3repE0EEENS1_48merge_mergepath_partition_config_static_selectorELNS0_4arch9wavefront6targetE1EEEvSF_
		.amdhsa_group_segment_fixed_size 0
		.amdhsa_private_segment_fixed_size 0
		.amdhsa_kernarg_size 40
		.amdhsa_user_sgpr_count 6
		.amdhsa_user_sgpr_private_segment_buffer 1
		.amdhsa_user_sgpr_dispatch_ptr 0
		.amdhsa_user_sgpr_queue_ptr 0
		.amdhsa_user_sgpr_kernarg_segment_ptr 1
		.amdhsa_user_sgpr_dispatch_id 0
		.amdhsa_user_sgpr_flat_scratch_init 0
		.amdhsa_user_sgpr_kernarg_preload_length 0
		.amdhsa_user_sgpr_kernarg_preload_offset 0
		.amdhsa_user_sgpr_private_segment_size 0
		.amdhsa_uses_dynamic_stack 0
		.amdhsa_system_sgpr_private_segment_wavefront_offset 0
		.amdhsa_system_sgpr_workgroup_id_x 1
		.amdhsa_system_sgpr_workgroup_id_y 0
		.amdhsa_system_sgpr_workgroup_id_z 0
		.amdhsa_system_sgpr_workgroup_info 0
		.amdhsa_system_vgpr_workitem_id 0
		.amdhsa_next_free_vgpr 1
		.amdhsa_next_free_sgpr 0
		.amdhsa_accum_offset 4
		.amdhsa_reserve_vcc 0
		.amdhsa_reserve_flat_scratch 0
		.amdhsa_float_round_mode_32 0
		.amdhsa_float_round_mode_16_64 0
		.amdhsa_float_denorm_mode_32 3
		.amdhsa_float_denorm_mode_16_64 3
		.amdhsa_dx10_clamp 1
		.amdhsa_ieee_mode 1
		.amdhsa_fp16_overflow 0
		.amdhsa_tg_split 0
		.amdhsa_exception_fp_ieee_invalid_op 0
		.amdhsa_exception_fp_denorm_src 0
		.amdhsa_exception_fp_ieee_div_zero 0
		.amdhsa_exception_fp_ieee_overflow 0
		.amdhsa_exception_fp_ieee_underflow 0
		.amdhsa_exception_fp_ieee_inexact 0
		.amdhsa_exception_int_div_zero 0
	.end_amdhsa_kernel
	.section	.text._ZN7rocprim17ROCPRIM_400000_NS6detail17trampoline_kernelINS0_14default_configENS1_38merge_sort_block_merge_config_selectorIlNS0_10empty_typeEEEZZNS1_27merge_sort_block_merge_implIS3_PlPS5_jNS1_19radix_merge_compareILb0ELb0ElNS0_19identity_decomposerEEEEE10hipError_tT0_T1_T2_jT3_P12ihipStream_tbPNSt15iterator_traitsISE_E10value_typeEPNSK_ISF_E10value_typeEPSG_NS1_7vsmem_tEENKUlT_SE_SF_SG_E_clIS8_S8_S9_S9_EESD_ST_SE_SF_SG_EUlST_E_NS1_11comp_targetILNS1_3genE0ELNS1_11target_archE4294967295ELNS1_3gpuE0ELNS1_3repE0EEENS1_48merge_mergepath_partition_config_static_selectorELNS0_4arch9wavefront6targetE1EEEvSF_,"axG",@progbits,_ZN7rocprim17ROCPRIM_400000_NS6detail17trampoline_kernelINS0_14default_configENS1_38merge_sort_block_merge_config_selectorIlNS0_10empty_typeEEEZZNS1_27merge_sort_block_merge_implIS3_PlPS5_jNS1_19radix_merge_compareILb0ELb0ElNS0_19identity_decomposerEEEEE10hipError_tT0_T1_T2_jT3_P12ihipStream_tbPNSt15iterator_traitsISE_E10value_typeEPNSK_ISF_E10value_typeEPSG_NS1_7vsmem_tEENKUlT_SE_SF_SG_E_clIS8_S8_S9_S9_EESD_ST_SE_SF_SG_EUlST_E_NS1_11comp_targetILNS1_3genE0ELNS1_11target_archE4294967295ELNS1_3gpuE0ELNS1_3repE0EEENS1_48merge_mergepath_partition_config_static_selectorELNS0_4arch9wavefront6targetE1EEEvSF_,comdat
.Lfunc_end796:
	.size	_ZN7rocprim17ROCPRIM_400000_NS6detail17trampoline_kernelINS0_14default_configENS1_38merge_sort_block_merge_config_selectorIlNS0_10empty_typeEEEZZNS1_27merge_sort_block_merge_implIS3_PlPS5_jNS1_19radix_merge_compareILb0ELb0ElNS0_19identity_decomposerEEEEE10hipError_tT0_T1_T2_jT3_P12ihipStream_tbPNSt15iterator_traitsISE_E10value_typeEPNSK_ISF_E10value_typeEPSG_NS1_7vsmem_tEENKUlT_SE_SF_SG_E_clIS8_S8_S9_S9_EESD_ST_SE_SF_SG_EUlST_E_NS1_11comp_targetILNS1_3genE0ELNS1_11target_archE4294967295ELNS1_3gpuE0ELNS1_3repE0EEENS1_48merge_mergepath_partition_config_static_selectorELNS0_4arch9wavefront6targetE1EEEvSF_, .Lfunc_end796-_ZN7rocprim17ROCPRIM_400000_NS6detail17trampoline_kernelINS0_14default_configENS1_38merge_sort_block_merge_config_selectorIlNS0_10empty_typeEEEZZNS1_27merge_sort_block_merge_implIS3_PlPS5_jNS1_19radix_merge_compareILb0ELb0ElNS0_19identity_decomposerEEEEE10hipError_tT0_T1_T2_jT3_P12ihipStream_tbPNSt15iterator_traitsISE_E10value_typeEPNSK_ISF_E10value_typeEPSG_NS1_7vsmem_tEENKUlT_SE_SF_SG_E_clIS8_S8_S9_S9_EESD_ST_SE_SF_SG_EUlST_E_NS1_11comp_targetILNS1_3genE0ELNS1_11target_archE4294967295ELNS1_3gpuE0ELNS1_3repE0EEENS1_48merge_mergepath_partition_config_static_selectorELNS0_4arch9wavefront6targetE1EEEvSF_
                                        ; -- End function
	.section	.AMDGPU.csdata,"",@progbits
; Kernel info:
; codeLenInByte = 0
; NumSgprs: 4
; NumVgprs: 0
; NumAgprs: 0
; TotalNumVgprs: 0
; ScratchSize: 0
; MemoryBound: 0
; FloatMode: 240
; IeeeMode: 1
; LDSByteSize: 0 bytes/workgroup (compile time only)
; SGPRBlocks: 0
; VGPRBlocks: 0
; NumSGPRsForWavesPerEU: 4
; NumVGPRsForWavesPerEU: 1
; AccumOffset: 4
; Occupancy: 8
; WaveLimiterHint : 0
; COMPUTE_PGM_RSRC2:SCRATCH_EN: 0
; COMPUTE_PGM_RSRC2:USER_SGPR: 6
; COMPUTE_PGM_RSRC2:TRAP_HANDLER: 0
; COMPUTE_PGM_RSRC2:TGID_X_EN: 1
; COMPUTE_PGM_RSRC2:TGID_Y_EN: 0
; COMPUTE_PGM_RSRC2:TGID_Z_EN: 0
; COMPUTE_PGM_RSRC2:TIDIG_COMP_CNT: 0
; COMPUTE_PGM_RSRC3_GFX90A:ACCUM_OFFSET: 0
; COMPUTE_PGM_RSRC3_GFX90A:TG_SPLIT: 0
	.section	.text._ZN7rocprim17ROCPRIM_400000_NS6detail17trampoline_kernelINS0_14default_configENS1_38merge_sort_block_merge_config_selectorIlNS0_10empty_typeEEEZZNS1_27merge_sort_block_merge_implIS3_PlPS5_jNS1_19radix_merge_compareILb0ELb0ElNS0_19identity_decomposerEEEEE10hipError_tT0_T1_T2_jT3_P12ihipStream_tbPNSt15iterator_traitsISE_E10value_typeEPNSK_ISF_E10value_typeEPSG_NS1_7vsmem_tEENKUlT_SE_SF_SG_E_clIS8_S8_S9_S9_EESD_ST_SE_SF_SG_EUlST_E_NS1_11comp_targetILNS1_3genE10ELNS1_11target_archE1201ELNS1_3gpuE5ELNS1_3repE0EEENS1_48merge_mergepath_partition_config_static_selectorELNS0_4arch9wavefront6targetE1EEEvSF_,"axG",@progbits,_ZN7rocprim17ROCPRIM_400000_NS6detail17trampoline_kernelINS0_14default_configENS1_38merge_sort_block_merge_config_selectorIlNS0_10empty_typeEEEZZNS1_27merge_sort_block_merge_implIS3_PlPS5_jNS1_19radix_merge_compareILb0ELb0ElNS0_19identity_decomposerEEEEE10hipError_tT0_T1_T2_jT3_P12ihipStream_tbPNSt15iterator_traitsISE_E10value_typeEPNSK_ISF_E10value_typeEPSG_NS1_7vsmem_tEENKUlT_SE_SF_SG_E_clIS8_S8_S9_S9_EESD_ST_SE_SF_SG_EUlST_E_NS1_11comp_targetILNS1_3genE10ELNS1_11target_archE1201ELNS1_3gpuE5ELNS1_3repE0EEENS1_48merge_mergepath_partition_config_static_selectorELNS0_4arch9wavefront6targetE1EEEvSF_,comdat
	.protected	_ZN7rocprim17ROCPRIM_400000_NS6detail17trampoline_kernelINS0_14default_configENS1_38merge_sort_block_merge_config_selectorIlNS0_10empty_typeEEEZZNS1_27merge_sort_block_merge_implIS3_PlPS5_jNS1_19radix_merge_compareILb0ELb0ElNS0_19identity_decomposerEEEEE10hipError_tT0_T1_T2_jT3_P12ihipStream_tbPNSt15iterator_traitsISE_E10value_typeEPNSK_ISF_E10value_typeEPSG_NS1_7vsmem_tEENKUlT_SE_SF_SG_E_clIS8_S8_S9_S9_EESD_ST_SE_SF_SG_EUlST_E_NS1_11comp_targetILNS1_3genE10ELNS1_11target_archE1201ELNS1_3gpuE5ELNS1_3repE0EEENS1_48merge_mergepath_partition_config_static_selectorELNS0_4arch9wavefront6targetE1EEEvSF_ ; -- Begin function _ZN7rocprim17ROCPRIM_400000_NS6detail17trampoline_kernelINS0_14default_configENS1_38merge_sort_block_merge_config_selectorIlNS0_10empty_typeEEEZZNS1_27merge_sort_block_merge_implIS3_PlPS5_jNS1_19radix_merge_compareILb0ELb0ElNS0_19identity_decomposerEEEEE10hipError_tT0_T1_T2_jT3_P12ihipStream_tbPNSt15iterator_traitsISE_E10value_typeEPNSK_ISF_E10value_typeEPSG_NS1_7vsmem_tEENKUlT_SE_SF_SG_E_clIS8_S8_S9_S9_EESD_ST_SE_SF_SG_EUlST_E_NS1_11comp_targetILNS1_3genE10ELNS1_11target_archE1201ELNS1_3gpuE5ELNS1_3repE0EEENS1_48merge_mergepath_partition_config_static_selectorELNS0_4arch9wavefront6targetE1EEEvSF_
	.globl	_ZN7rocprim17ROCPRIM_400000_NS6detail17trampoline_kernelINS0_14default_configENS1_38merge_sort_block_merge_config_selectorIlNS0_10empty_typeEEEZZNS1_27merge_sort_block_merge_implIS3_PlPS5_jNS1_19radix_merge_compareILb0ELb0ElNS0_19identity_decomposerEEEEE10hipError_tT0_T1_T2_jT3_P12ihipStream_tbPNSt15iterator_traitsISE_E10value_typeEPNSK_ISF_E10value_typeEPSG_NS1_7vsmem_tEENKUlT_SE_SF_SG_E_clIS8_S8_S9_S9_EESD_ST_SE_SF_SG_EUlST_E_NS1_11comp_targetILNS1_3genE10ELNS1_11target_archE1201ELNS1_3gpuE5ELNS1_3repE0EEENS1_48merge_mergepath_partition_config_static_selectorELNS0_4arch9wavefront6targetE1EEEvSF_
	.p2align	8
	.type	_ZN7rocprim17ROCPRIM_400000_NS6detail17trampoline_kernelINS0_14default_configENS1_38merge_sort_block_merge_config_selectorIlNS0_10empty_typeEEEZZNS1_27merge_sort_block_merge_implIS3_PlPS5_jNS1_19radix_merge_compareILb0ELb0ElNS0_19identity_decomposerEEEEE10hipError_tT0_T1_T2_jT3_P12ihipStream_tbPNSt15iterator_traitsISE_E10value_typeEPNSK_ISF_E10value_typeEPSG_NS1_7vsmem_tEENKUlT_SE_SF_SG_E_clIS8_S8_S9_S9_EESD_ST_SE_SF_SG_EUlST_E_NS1_11comp_targetILNS1_3genE10ELNS1_11target_archE1201ELNS1_3gpuE5ELNS1_3repE0EEENS1_48merge_mergepath_partition_config_static_selectorELNS0_4arch9wavefront6targetE1EEEvSF_,@function
_ZN7rocprim17ROCPRIM_400000_NS6detail17trampoline_kernelINS0_14default_configENS1_38merge_sort_block_merge_config_selectorIlNS0_10empty_typeEEEZZNS1_27merge_sort_block_merge_implIS3_PlPS5_jNS1_19radix_merge_compareILb0ELb0ElNS0_19identity_decomposerEEEEE10hipError_tT0_T1_T2_jT3_P12ihipStream_tbPNSt15iterator_traitsISE_E10value_typeEPNSK_ISF_E10value_typeEPSG_NS1_7vsmem_tEENKUlT_SE_SF_SG_E_clIS8_S8_S9_S9_EESD_ST_SE_SF_SG_EUlST_E_NS1_11comp_targetILNS1_3genE10ELNS1_11target_archE1201ELNS1_3gpuE5ELNS1_3repE0EEENS1_48merge_mergepath_partition_config_static_selectorELNS0_4arch9wavefront6targetE1EEEvSF_: ; @_ZN7rocprim17ROCPRIM_400000_NS6detail17trampoline_kernelINS0_14default_configENS1_38merge_sort_block_merge_config_selectorIlNS0_10empty_typeEEEZZNS1_27merge_sort_block_merge_implIS3_PlPS5_jNS1_19radix_merge_compareILb0ELb0ElNS0_19identity_decomposerEEEEE10hipError_tT0_T1_T2_jT3_P12ihipStream_tbPNSt15iterator_traitsISE_E10value_typeEPNSK_ISF_E10value_typeEPSG_NS1_7vsmem_tEENKUlT_SE_SF_SG_E_clIS8_S8_S9_S9_EESD_ST_SE_SF_SG_EUlST_E_NS1_11comp_targetILNS1_3genE10ELNS1_11target_archE1201ELNS1_3gpuE5ELNS1_3repE0EEENS1_48merge_mergepath_partition_config_static_selectorELNS0_4arch9wavefront6targetE1EEEvSF_
; %bb.0:
	.section	.rodata,"a",@progbits
	.p2align	6, 0x0
	.amdhsa_kernel _ZN7rocprim17ROCPRIM_400000_NS6detail17trampoline_kernelINS0_14default_configENS1_38merge_sort_block_merge_config_selectorIlNS0_10empty_typeEEEZZNS1_27merge_sort_block_merge_implIS3_PlPS5_jNS1_19radix_merge_compareILb0ELb0ElNS0_19identity_decomposerEEEEE10hipError_tT0_T1_T2_jT3_P12ihipStream_tbPNSt15iterator_traitsISE_E10value_typeEPNSK_ISF_E10value_typeEPSG_NS1_7vsmem_tEENKUlT_SE_SF_SG_E_clIS8_S8_S9_S9_EESD_ST_SE_SF_SG_EUlST_E_NS1_11comp_targetILNS1_3genE10ELNS1_11target_archE1201ELNS1_3gpuE5ELNS1_3repE0EEENS1_48merge_mergepath_partition_config_static_selectorELNS0_4arch9wavefront6targetE1EEEvSF_
		.amdhsa_group_segment_fixed_size 0
		.amdhsa_private_segment_fixed_size 0
		.amdhsa_kernarg_size 40
		.amdhsa_user_sgpr_count 6
		.amdhsa_user_sgpr_private_segment_buffer 1
		.amdhsa_user_sgpr_dispatch_ptr 0
		.amdhsa_user_sgpr_queue_ptr 0
		.amdhsa_user_sgpr_kernarg_segment_ptr 1
		.amdhsa_user_sgpr_dispatch_id 0
		.amdhsa_user_sgpr_flat_scratch_init 0
		.amdhsa_user_sgpr_kernarg_preload_length 0
		.amdhsa_user_sgpr_kernarg_preload_offset 0
		.amdhsa_user_sgpr_private_segment_size 0
		.amdhsa_uses_dynamic_stack 0
		.amdhsa_system_sgpr_private_segment_wavefront_offset 0
		.amdhsa_system_sgpr_workgroup_id_x 1
		.amdhsa_system_sgpr_workgroup_id_y 0
		.amdhsa_system_sgpr_workgroup_id_z 0
		.amdhsa_system_sgpr_workgroup_info 0
		.amdhsa_system_vgpr_workitem_id 0
		.amdhsa_next_free_vgpr 1
		.amdhsa_next_free_sgpr 0
		.amdhsa_accum_offset 4
		.amdhsa_reserve_vcc 0
		.amdhsa_reserve_flat_scratch 0
		.amdhsa_float_round_mode_32 0
		.amdhsa_float_round_mode_16_64 0
		.amdhsa_float_denorm_mode_32 3
		.amdhsa_float_denorm_mode_16_64 3
		.amdhsa_dx10_clamp 1
		.amdhsa_ieee_mode 1
		.amdhsa_fp16_overflow 0
		.amdhsa_tg_split 0
		.amdhsa_exception_fp_ieee_invalid_op 0
		.amdhsa_exception_fp_denorm_src 0
		.amdhsa_exception_fp_ieee_div_zero 0
		.amdhsa_exception_fp_ieee_overflow 0
		.amdhsa_exception_fp_ieee_underflow 0
		.amdhsa_exception_fp_ieee_inexact 0
		.amdhsa_exception_int_div_zero 0
	.end_amdhsa_kernel
	.section	.text._ZN7rocprim17ROCPRIM_400000_NS6detail17trampoline_kernelINS0_14default_configENS1_38merge_sort_block_merge_config_selectorIlNS0_10empty_typeEEEZZNS1_27merge_sort_block_merge_implIS3_PlPS5_jNS1_19radix_merge_compareILb0ELb0ElNS0_19identity_decomposerEEEEE10hipError_tT0_T1_T2_jT3_P12ihipStream_tbPNSt15iterator_traitsISE_E10value_typeEPNSK_ISF_E10value_typeEPSG_NS1_7vsmem_tEENKUlT_SE_SF_SG_E_clIS8_S8_S9_S9_EESD_ST_SE_SF_SG_EUlST_E_NS1_11comp_targetILNS1_3genE10ELNS1_11target_archE1201ELNS1_3gpuE5ELNS1_3repE0EEENS1_48merge_mergepath_partition_config_static_selectorELNS0_4arch9wavefront6targetE1EEEvSF_,"axG",@progbits,_ZN7rocprim17ROCPRIM_400000_NS6detail17trampoline_kernelINS0_14default_configENS1_38merge_sort_block_merge_config_selectorIlNS0_10empty_typeEEEZZNS1_27merge_sort_block_merge_implIS3_PlPS5_jNS1_19radix_merge_compareILb0ELb0ElNS0_19identity_decomposerEEEEE10hipError_tT0_T1_T2_jT3_P12ihipStream_tbPNSt15iterator_traitsISE_E10value_typeEPNSK_ISF_E10value_typeEPSG_NS1_7vsmem_tEENKUlT_SE_SF_SG_E_clIS8_S8_S9_S9_EESD_ST_SE_SF_SG_EUlST_E_NS1_11comp_targetILNS1_3genE10ELNS1_11target_archE1201ELNS1_3gpuE5ELNS1_3repE0EEENS1_48merge_mergepath_partition_config_static_selectorELNS0_4arch9wavefront6targetE1EEEvSF_,comdat
.Lfunc_end797:
	.size	_ZN7rocprim17ROCPRIM_400000_NS6detail17trampoline_kernelINS0_14default_configENS1_38merge_sort_block_merge_config_selectorIlNS0_10empty_typeEEEZZNS1_27merge_sort_block_merge_implIS3_PlPS5_jNS1_19radix_merge_compareILb0ELb0ElNS0_19identity_decomposerEEEEE10hipError_tT0_T1_T2_jT3_P12ihipStream_tbPNSt15iterator_traitsISE_E10value_typeEPNSK_ISF_E10value_typeEPSG_NS1_7vsmem_tEENKUlT_SE_SF_SG_E_clIS8_S8_S9_S9_EESD_ST_SE_SF_SG_EUlST_E_NS1_11comp_targetILNS1_3genE10ELNS1_11target_archE1201ELNS1_3gpuE5ELNS1_3repE0EEENS1_48merge_mergepath_partition_config_static_selectorELNS0_4arch9wavefront6targetE1EEEvSF_, .Lfunc_end797-_ZN7rocprim17ROCPRIM_400000_NS6detail17trampoline_kernelINS0_14default_configENS1_38merge_sort_block_merge_config_selectorIlNS0_10empty_typeEEEZZNS1_27merge_sort_block_merge_implIS3_PlPS5_jNS1_19radix_merge_compareILb0ELb0ElNS0_19identity_decomposerEEEEE10hipError_tT0_T1_T2_jT3_P12ihipStream_tbPNSt15iterator_traitsISE_E10value_typeEPNSK_ISF_E10value_typeEPSG_NS1_7vsmem_tEENKUlT_SE_SF_SG_E_clIS8_S8_S9_S9_EESD_ST_SE_SF_SG_EUlST_E_NS1_11comp_targetILNS1_3genE10ELNS1_11target_archE1201ELNS1_3gpuE5ELNS1_3repE0EEENS1_48merge_mergepath_partition_config_static_selectorELNS0_4arch9wavefront6targetE1EEEvSF_
                                        ; -- End function
	.section	.AMDGPU.csdata,"",@progbits
; Kernel info:
; codeLenInByte = 0
; NumSgprs: 4
; NumVgprs: 0
; NumAgprs: 0
; TotalNumVgprs: 0
; ScratchSize: 0
; MemoryBound: 0
; FloatMode: 240
; IeeeMode: 1
; LDSByteSize: 0 bytes/workgroup (compile time only)
; SGPRBlocks: 0
; VGPRBlocks: 0
; NumSGPRsForWavesPerEU: 4
; NumVGPRsForWavesPerEU: 1
; AccumOffset: 4
; Occupancy: 8
; WaveLimiterHint : 0
; COMPUTE_PGM_RSRC2:SCRATCH_EN: 0
; COMPUTE_PGM_RSRC2:USER_SGPR: 6
; COMPUTE_PGM_RSRC2:TRAP_HANDLER: 0
; COMPUTE_PGM_RSRC2:TGID_X_EN: 1
; COMPUTE_PGM_RSRC2:TGID_Y_EN: 0
; COMPUTE_PGM_RSRC2:TGID_Z_EN: 0
; COMPUTE_PGM_RSRC2:TIDIG_COMP_CNT: 0
; COMPUTE_PGM_RSRC3_GFX90A:ACCUM_OFFSET: 0
; COMPUTE_PGM_RSRC3_GFX90A:TG_SPLIT: 0
	.section	.text._ZN7rocprim17ROCPRIM_400000_NS6detail17trampoline_kernelINS0_14default_configENS1_38merge_sort_block_merge_config_selectorIlNS0_10empty_typeEEEZZNS1_27merge_sort_block_merge_implIS3_PlPS5_jNS1_19radix_merge_compareILb0ELb0ElNS0_19identity_decomposerEEEEE10hipError_tT0_T1_T2_jT3_P12ihipStream_tbPNSt15iterator_traitsISE_E10value_typeEPNSK_ISF_E10value_typeEPSG_NS1_7vsmem_tEENKUlT_SE_SF_SG_E_clIS8_S8_S9_S9_EESD_ST_SE_SF_SG_EUlST_E_NS1_11comp_targetILNS1_3genE5ELNS1_11target_archE942ELNS1_3gpuE9ELNS1_3repE0EEENS1_48merge_mergepath_partition_config_static_selectorELNS0_4arch9wavefront6targetE1EEEvSF_,"axG",@progbits,_ZN7rocprim17ROCPRIM_400000_NS6detail17trampoline_kernelINS0_14default_configENS1_38merge_sort_block_merge_config_selectorIlNS0_10empty_typeEEEZZNS1_27merge_sort_block_merge_implIS3_PlPS5_jNS1_19radix_merge_compareILb0ELb0ElNS0_19identity_decomposerEEEEE10hipError_tT0_T1_T2_jT3_P12ihipStream_tbPNSt15iterator_traitsISE_E10value_typeEPNSK_ISF_E10value_typeEPSG_NS1_7vsmem_tEENKUlT_SE_SF_SG_E_clIS8_S8_S9_S9_EESD_ST_SE_SF_SG_EUlST_E_NS1_11comp_targetILNS1_3genE5ELNS1_11target_archE942ELNS1_3gpuE9ELNS1_3repE0EEENS1_48merge_mergepath_partition_config_static_selectorELNS0_4arch9wavefront6targetE1EEEvSF_,comdat
	.protected	_ZN7rocprim17ROCPRIM_400000_NS6detail17trampoline_kernelINS0_14default_configENS1_38merge_sort_block_merge_config_selectorIlNS0_10empty_typeEEEZZNS1_27merge_sort_block_merge_implIS3_PlPS5_jNS1_19radix_merge_compareILb0ELb0ElNS0_19identity_decomposerEEEEE10hipError_tT0_T1_T2_jT3_P12ihipStream_tbPNSt15iterator_traitsISE_E10value_typeEPNSK_ISF_E10value_typeEPSG_NS1_7vsmem_tEENKUlT_SE_SF_SG_E_clIS8_S8_S9_S9_EESD_ST_SE_SF_SG_EUlST_E_NS1_11comp_targetILNS1_3genE5ELNS1_11target_archE942ELNS1_3gpuE9ELNS1_3repE0EEENS1_48merge_mergepath_partition_config_static_selectorELNS0_4arch9wavefront6targetE1EEEvSF_ ; -- Begin function _ZN7rocprim17ROCPRIM_400000_NS6detail17trampoline_kernelINS0_14default_configENS1_38merge_sort_block_merge_config_selectorIlNS0_10empty_typeEEEZZNS1_27merge_sort_block_merge_implIS3_PlPS5_jNS1_19radix_merge_compareILb0ELb0ElNS0_19identity_decomposerEEEEE10hipError_tT0_T1_T2_jT3_P12ihipStream_tbPNSt15iterator_traitsISE_E10value_typeEPNSK_ISF_E10value_typeEPSG_NS1_7vsmem_tEENKUlT_SE_SF_SG_E_clIS8_S8_S9_S9_EESD_ST_SE_SF_SG_EUlST_E_NS1_11comp_targetILNS1_3genE5ELNS1_11target_archE942ELNS1_3gpuE9ELNS1_3repE0EEENS1_48merge_mergepath_partition_config_static_selectorELNS0_4arch9wavefront6targetE1EEEvSF_
	.globl	_ZN7rocprim17ROCPRIM_400000_NS6detail17trampoline_kernelINS0_14default_configENS1_38merge_sort_block_merge_config_selectorIlNS0_10empty_typeEEEZZNS1_27merge_sort_block_merge_implIS3_PlPS5_jNS1_19radix_merge_compareILb0ELb0ElNS0_19identity_decomposerEEEEE10hipError_tT0_T1_T2_jT3_P12ihipStream_tbPNSt15iterator_traitsISE_E10value_typeEPNSK_ISF_E10value_typeEPSG_NS1_7vsmem_tEENKUlT_SE_SF_SG_E_clIS8_S8_S9_S9_EESD_ST_SE_SF_SG_EUlST_E_NS1_11comp_targetILNS1_3genE5ELNS1_11target_archE942ELNS1_3gpuE9ELNS1_3repE0EEENS1_48merge_mergepath_partition_config_static_selectorELNS0_4arch9wavefront6targetE1EEEvSF_
	.p2align	8
	.type	_ZN7rocprim17ROCPRIM_400000_NS6detail17trampoline_kernelINS0_14default_configENS1_38merge_sort_block_merge_config_selectorIlNS0_10empty_typeEEEZZNS1_27merge_sort_block_merge_implIS3_PlPS5_jNS1_19radix_merge_compareILb0ELb0ElNS0_19identity_decomposerEEEEE10hipError_tT0_T1_T2_jT3_P12ihipStream_tbPNSt15iterator_traitsISE_E10value_typeEPNSK_ISF_E10value_typeEPSG_NS1_7vsmem_tEENKUlT_SE_SF_SG_E_clIS8_S8_S9_S9_EESD_ST_SE_SF_SG_EUlST_E_NS1_11comp_targetILNS1_3genE5ELNS1_11target_archE942ELNS1_3gpuE9ELNS1_3repE0EEENS1_48merge_mergepath_partition_config_static_selectorELNS0_4arch9wavefront6targetE1EEEvSF_,@function
_ZN7rocprim17ROCPRIM_400000_NS6detail17trampoline_kernelINS0_14default_configENS1_38merge_sort_block_merge_config_selectorIlNS0_10empty_typeEEEZZNS1_27merge_sort_block_merge_implIS3_PlPS5_jNS1_19radix_merge_compareILb0ELb0ElNS0_19identity_decomposerEEEEE10hipError_tT0_T1_T2_jT3_P12ihipStream_tbPNSt15iterator_traitsISE_E10value_typeEPNSK_ISF_E10value_typeEPSG_NS1_7vsmem_tEENKUlT_SE_SF_SG_E_clIS8_S8_S9_S9_EESD_ST_SE_SF_SG_EUlST_E_NS1_11comp_targetILNS1_3genE5ELNS1_11target_archE942ELNS1_3gpuE9ELNS1_3repE0EEENS1_48merge_mergepath_partition_config_static_selectorELNS0_4arch9wavefront6targetE1EEEvSF_: ; @_ZN7rocprim17ROCPRIM_400000_NS6detail17trampoline_kernelINS0_14default_configENS1_38merge_sort_block_merge_config_selectorIlNS0_10empty_typeEEEZZNS1_27merge_sort_block_merge_implIS3_PlPS5_jNS1_19radix_merge_compareILb0ELb0ElNS0_19identity_decomposerEEEEE10hipError_tT0_T1_T2_jT3_P12ihipStream_tbPNSt15iterator_traitsISE_E10value_typeEPNSK_ISF_E10value_typeEPSG_NS1_7vsmem_tEENKUlT_SE_SF_SG_E_clIS8_S8_S9_S9_EESD_ST_SE_SF_SG_EUlST_E_NS1_11comp_targetILNS1_3genE5ELNS1_11target_archE942ELNS1_3gpuE9ELNS1_3repE0EEENS1_48merge_mergepath_partition_config_static_selectorELNS0_4arch9wavefront6targetE1EEEvSF_
; %bb.0:
	.section	.rodata,"a",@progbits
	.p2align	6, 0x0
	.amdhsa_kernel _ZN7rocprim17ROCPRIM_400000_NS6detail17trampoline_kernelINS0_14default_configENS1_38merge_sort_block_merge_config_selectorIlNS0_10empty_typeEEEZZNS1_27merge_sort_block_merge_implIS3_PlPS5_jNS1_19radix_merge_compareILb0ELb0ElNS0_19identity_decomposerEEEEE10hipError_tT0_T1_T2_jT3_P12ihipStream_tbPNSt15iterator_traitsISE_E10value_typeEPNSK_ISF_E10value_typeEPSG_NS1_7vsmem_tEENKUlT_SE_SF_SG_E_clIS8_S8_S9_S9_EESD_ST_SE_SF_SG_EUlST_E_NS1_11comp_targetILNS1_3genE5ELNS1_11target_archE942ELNS1_3gpuE9ELNS1_3repE0EEENS1_48merge_mergepath_partition_config_static_selectorELNS0_4arch9wavefront6targetE1EEEvSF_
		.amdhsa_group_segment_fixed_size 0
		.amdhsa_private_segment_fixed_size 0
		.amdhsa_kernarg_size 40
		.amdhsa_user_sgpr_count 6
		.amdhsa_user_sgpr_private_segment_buffer 1
		.amdhsa_user_sgpr_dispatch_ptr 0
		.amdhsa_user_sgpr_queue_ptr 0
		.amdhsa_user_sgpr_kernarg_segment_ptr 1
		.amdhsa_user_sgpr_dispatch_id 0
		.amdhsa_user_sgpr_flat_scratch_init 0
		.amdhsa_user_sgpr_kernarg_preload_length 0
		.amdhsa_user_sgpr_kernarg_preload_offset 0
		.amdhsa_user_sgpr_private_segment_size 0
		.amdhsa_uses_dynamic_stack 0
		.amdhsa_system_sgpr_private_segment_wavefront_offset 0
		.amdhsa_system_sgpr_workgroup_id_x 1
		.amdhsa_system_sgpr_workgroup_id_y 0
		.amdhsa_system_sgpr_workgroup_id_z 0
		.amdhsa_system_sgpr_workgroup_info 0
		.amdhsa_system_vgpr_workitem_id 0
		.amdhsa_next_free_vgpr 1
		.amdhsa_next_free_sgpr 0
		.amdhsa_accum_offset 4
		.amdhsa_reserve_vcc 0
		.amdhsa_reserve_flat_scratch 0
		.amdhsa_float_round_mode_32 0
		.amdhsa_float_round_mode_16_64 0
		.amdhsa_float_denorm_mode_32 3
		.amdhsa_float_denorm_mode_16_64 3
		.amdhsa_dx10_clamp 1
		.amdhsa_ieee_mode 1
		.amdhsa_fp16_overflow 0
		.amdhsa_tg_split 0
		.amdhsa_exception_fp_ieee_invalid_op 0
		.amdhsa_exception_fp_denorm_src 0
		.amdhsa_exception_fp_ieee_div_zero 0
		.amdhsa_exception_fp_ieee_overflow 0
		.amdhsa_exception_fp_ieee_underflow 0
		.amdhsa_exception_fp_ieee_inexact 0
		.amdhsa_exception_int_div_zero 0
	.end_amdhsa_kernel
	.section	.text._ZN7rocprim17ROCPRIM_400000_NS6detail17trampoline_kernelINS0_14default_configENS1_38merge_sort_block_merge_config_selectorIlNS0_10empty_typeEEEZZNS1_27merge_sort_block_merge_implIS3_PlPS5_jNS1_19radix_merge_compareILb0ELb0ElNS0_19identity_decomposerEEEEE10hipError_tT0_T1_T2_jT3_P12ihipStream_tbPNSt15iterator_traitsISE_E10value_typeEPNSK_ISF_E10value_typeEPSG_NS1_7vsmem_tEENKUlT_SE_SF_SG_E_clIS8_S8_S9_S9_EESD_ST_SE_SF_SG_EUlST_E_NS1_11comp_targetILNS1_3genE5ELNS1_11target_archE942ELNS1_3gpuE9ELNS1_3repE0EEENS1_48merge_mergepath_partition_config_static_selectorELNS0_4arch9wavefront6targetE1EEEvSF_,"axG",@progbits,_ZN7rocprim17ROCPRIM_400000_NS6detail17trampoline_kernelINS0_14default_configENS1_38merge_sort_block_merge_config_selectorIlNS0_10empty_typeEEEZZNS1_27merge_sort_block_merge_implIS3_PlPS5_jNS1_19radix_merge_compareILb0ELb0ElNS0_19identity_decomposerEEEEE10hipError_tT0_T1_T2_jT3_P12ihipStream_tbPNSt15iterator_traitsISE_E10value_typeEPNSK_ISF_E10value_typeEPSG_NS1_7vsmem_tEENKUlT_SE_SF_SG_E_clIS8_S8_S9_S9_EESD_ST_SE_SF_SG_EUlST_E_NS1_11comp_targetILNS1_3genE5ELNS1_11target_archE942ELNS1_3gpuE9ELNS1_3repE0EEENS1_48merge_mergepath_partition_config_static_selectorELNS0_4arch9wavefront6targetE1EEEvSF_,comdat
.Lfunc_end798:
	.size	_ZN7rocprim17ROCPRIM_400000_NS6detail17trampoline_kernelINS0_14default_configENS1_38merge_sort_block_merge_config_selectorIlNS0_10empty_typeEEEZZNS1_27merge_sort_block_merge_implIS3_PlPS5_jNS1_19radix_merge_compareILb0ELb0ElNS0_19identity_decomposerEEEEE10hipError_tT0_T1_T2_jT3_P12ihipStream_tbPNSt15iterator_traitsISE_E10value_typeEPNSK_ISF_E10value_typeEPSG_NS1_7vsmem_tEENKUlT_SE_SF_SG_E_clIS8_S8_S9_S9_EESD_ST_SE_SF_SG_EUlST_E_NS1_11comp_targetILNS1_3genE5ELNS1_11target_archE942ELNS1_3gpuE9ELNS1_3repE0EEENS1_48merge_mergepath_partition_config_static_selectorELNS0_4arch9wavefront6targetE1EEEvSF_, .Lfunc_end798-_ZN7rocprim17ROCPRIM_400000_NS6detail17trampoline_kernelINS0_14default_configENS1_38merge_sort_block_merge_config_selectorIlNS0_10empty_typeEEEZZNS1_27merge_sort_block_merge_implIS3_PlPS5_jNS1_19radix_merge_compareILb0ELb0ElNS0_19identity_decomposerEEEEE10hipError_tT0_T1_T2_jT3_P12ihipStream_tbPNSt15iterator_traitsISE_E10value_typeEPNSK_ISF_E10value_typeEPSG_NS1_7vsmem_tEENKUlT_SE_SF_SG_E_clIS8_S8_S9_S9_EESD_ST_SE_SF_SG_EUlST_E_NS1_11comp_targetILNS1_3genE5ELNS1_11target_archE942ELNS1_3gpuE9ELNS1_3repE0EEENS1_48merge_mergepath_partition_config_static_selectorELNS0_4arch9wavefront6targetE1EEEvSF_
                                        ; -- End function
	.section	.AMDGPU.csdata,"",@progbits
; Kernel info:
; codeLenInByte = 0
; NumSgprs: 4
; NumVgprs: 0
; NumAgprs: 0
; TotalNumVgprs: 0
; ScratchSize: 0
; MemoryBound: 0
; FloatMode: 240
; IeeeMode: 1
; LDSByteSize: 0 bytes/workgroup (compile time only)
; SGPRBlocks: 0
; VGPRBlocks: 0
; NumSGPRsForWavesPerEU: 4
; NumVGPRsForWavesPerEU: 1
; AccumOffset: 4
; Occupancy: 8
; WaveLimiterHint : 0
; COMPUTE_PGM_RSRC2:SCRATCH_EN: 0
; COMPUTE_PGM_RSRC2:USER_SGPR: 6
; COMPUTE_PGM_RSRC2:TRAP_HANDLER: 0
; COMPUTE_PGM_RSRC2:TGID_X_EN: 1
; COMPUTE_PGM_RSRC2:TGID_Y_EN: 0
; COMPUTE_PGM_RSRC2:TGID_Z_EN: 0
; COMPUTE_PGM_RSRC2:TIDIG_COMP_CNT: 0
; COMPUTE_PGM_RSRC3_GFX90A:ACCUM_OFFSET: 0
; COMPUTE_PGM_RSRC3_GFX90A:TG_SPLIT: 0
	.section	.text._ZN7rocprim17ROCPRIM_400000_NS6detail17trampoline_kernelINS0_14default_configENS1_38merge_sort_block_merge_config_selectorIlNS0_10empty_typeEEEZZNS1_27merge_sort_block_merge_implIS3_PlPS5_jNS1_19radix_merge_compareILb0ELb0ElNS0_19identity_decomposerEEEEE10hipError_tT0_T1_T2_jT3_P12ihipStream_tbPNSt15iterator_traitsISE_E10value_typeEPNSK_ISF_E10value_typeEPSG_NS1_7vsmem_tEENKUlT_SE_SF_SG_E_clIS8_S8_S9_S9_EESD_ST_SE_SF_SG_EUlST_E_NS1_11comp_targetILNS1_3genE4ELNS1_11target_archE910ELNS1_3gpuE8ELNS1_3repE0EEENS1_48merge_mergepath_partition_config_static_selectorELNS0_4arch9wavefront6targetE1EEEvSF_,"axG",@progbits,_ZN7rocprim17ROCPRIM_400000_NS6detail17trampoline_kernelINS0_14default_configENS1_38merge_sort_block_merge_config_selectorIlNS0_10empty_typeEEEZZNS1_27merge_sort_block_merge_implIS3_PlPS5_jNS1_19radix_merge_compareILb0ELb0ElNS0_19identity_decomposerEEEEE10hipError_tT0_T1_T2_jT3_P12ihipStream_tbPNSt15iterator_traitsISE_E10value_typeEPNSK_ISF_E10value_typeEPSG_NS1_7vsmem_tEENKUlT_SE_SF_SG_E_clIS8_S8_S9_S9_EESD_ST_SE_SF_SG_EUlST_E_NS1_11comp_targetILNS1_3genE4ELNS1_11target_archE910ELNS1_3gpuE8ELNS1_3repE0EEENS1_48merge_mergepath_partition_config_static_selectorELNS0_4arch9wavefront6targetE1EEEvSF_,comdat
	.protected	_ZN7rocprim17ROCPRIM_400000_NS6detail17trampoline_kernelINS0_14default_configENS1_38merge_sort_block_merge_config_selectorIlNS0_10empty_typeEEEZZNS1_27merge_sort_block_merge_implIS3_PlPS5_jNS1_19radix_merge_compareILb0ELb0ElNS0_19identity_decomposerEEEEE10hipError_tT0_T1_T2_jT3_P12ihipStream_tbPNSt15iterator_traitsISE_E10value_typeEPNSK_ISF_E10value_typeEPSG_NS1_7vsmem_tEENKUlT_SE_SF_SG_E_clIS8_S8_S9_S9_EESD_ST_SE_SF_SG_EUlST_E_NS1_11comp_targetILNS1_3genE4ELNS1_11target_archE910ELNS1_3gpuE8ELNS1_3repE0EEENS1_48merge_mergepath_partition_config_static_selectorELNS0_4arch9wavefront6targetE1EEEvSF_ ; -- Begin function _ZN7rocprim17ROCPRIM_400000_NS6detail17trampoline_kernelINS0_14default_configENS1_38merge_sort_block_merge_config_selectorIlNS0_10empty_typeEEEZZNS1_27merge_sort_block_merge_implIS3_PlPS5_jNS1_19radix_merge_compareILb0ELb0ElNS0_19identity_decomposerEEEEE10hipError_tT0_T1_T2_jT3_P12ihipStream_tbPNSt15iterator_traitsISE_E10value_typeEPNSK_ISF_E10value_typeEPSG_NS1_7vsmem_tEENKUlT_SE_SF_SG_E_clIS8_S8_S9_S9_EESD_ST_SE_SF_SG_EUlST_E_NS1_11comp_targetILNS1_3genE4ELNS1_11target_archE910ELNS1_3gpuE8ELNS1_3repE0EEENS1_48merge_mergepath_partition_config_static_selectorELNS0_4arch9wavefront6targetE1EEEvSF_
	.globl	_ZN7rocprim17ROCPRIM_400000_NS6detail17trampoline_kernelINS0_14default_configENS1_38merge_sort_block_merge_config_selectorIlNS0_10empty_typeEEEZZNS1_27merge_sort_block_merge_implIS3_PlPS5_jNS1_19radix_merge_compareILb0ELb0ElNS0_19identity_decomposerEEEEE10hipError_tT0_T1_T2_jT3_P12ihipStream_tbPNSt15iterator_traitsISE_E10value_typeEPNSK_ISF_E10value_typeEPSG_NS1_7vsmem_tEENKUlT_SE_SF_SG_E_clIS8_S8_S9_S9_EESD_ST_SE_SF_SG_EUlST_E_NS1_11comp_targetILNS1_3genE4ELNS1_11target_archE910ELNS1_3gpuE8ELNS1_3repE0EEENS1_48merge_mergepath_partition_config_static_selectorELNS0_4arch9wavefront6targetE1EEEvSF_
	.p2align	8
	.type	_ZN7rocprim17ROCPRIM_400000_NS6detail17trampoline_kernelINS0_14default_configENS1_38merge_sort_block_merge_config_selectorIlNS0_10empty_typeEEEZZNS1_27merge_sort_block_merge_implIS3_PlPS5_jNS1_19radix_merge_compareILb0ELb0ElNS0_19identity_decomposerEEEEE10hipError_tT0_T1_T2_jT3_P12ihipStream_tbPNSt15iterator_traitsISE_E10value_typeEPNSK_ISF_E10value_typeEPSG_NS1_7vsmem_tEENKUlT_SE_SF_SG_E_clIS8_S8_S9_S9_EESD_ST_SE_SF_SG_EUlST_E_NS1_11comp_targetILNS1_3genE4ELNS1_11target_archE910ELNS1_3gpuE8ELNS1_3repE0EEENS1_48merge_mergepath_partition_config_static_selectorELNS0_4arch9wavefront6targetE1EEEvSF_,@function
_ZN7rocprim17ROCPRIM_400000_NS6detail17trampoline_kernelINS0_14default_configENS1_38merge_sort_block_merge_config_selectorIlNS0_10empty_typeEEEZZNS1_27merge_sort_block_merge_implIS3_PlPS5_jNS1_19radix_merge_compareILb0ELb0ElNS0_19identity_decomposerEEEEE10hipError_tT0_T1_T2_jT3_P12ihipStream_tbPNSt15iterator_traitsISE_E10value_typeEPNSK_ISF_E10value_typeEPSG_NS1_7vsmem_tEENKUlT_SE_SF_SG_E_clIS8_S8_S9_S9_EESD_ST_SE_SF_SG_EUlST_E_NS1_11comp_targetILNS1_3genE4ELNS1_11target_archE910ELNS1_3gpuE8ELNS1_3repE0EEENS1_48merge_mergepath_partition_config_static_selectorELNS0_4arch9wavefront6targetE1EEEvSF_: ; @_ZN7rocprim17ROCPRIM_400000_NS6detail17trampoline_kernelINS0_14default_configENS1_38merge_sort_block_merge_config_selectorIlNS0_10empty_typeEEEZZNS1_27merge_sort_block_merge_implIS3_PlPS5_jNS1_19radix_merge_compareILb0ELb0ElNS0_19identity_decomposerEEEEE10hipError_tT0_T1_T2_jT3_P12ihipStream_tbPNSt15iterator_traitsISE_E10value_typeEPNSK_ISF_E10value_typeEPSG_NS1_7vsmem_tEENKUlT_SE_SF_SG_E_clIS8_S8_S9_S9_EESD_ST_SE_SF_SG_EUlST_E_NS1_11comp_targetILNS1_3genE4ELNS1_11target_archE910ELNS1_3gpuE8ELNS1_3repE0EEENS1_48merge_mergepath_partition_config_static_selectorELNS0_4arch9wavefront6targetE1EEEvSF_
; %bb.0:
	s_load_dword s0, s[4:5], 0x0
	v_lshl_or_b32 v0, s6, 7, v0
	s_waitcnt lgkmcnt(0)
	v_cmp_gt_u32_e32 vcc, s0, v0
	s_and_saveexec_b64 s[0:1], vcc
	s_cbranch_execz .LBB799_6
; %bb.1:
	s_load_dwordx2 s[2:3], s[4:5], 0x4
	s_load_dwordx2 s[0:1], s[4:5], 0x20
	s_waitcnt lgkmcnt(0)
	s_lshr_b32 s6, s2, 9
	s_and_b32 s6, s6, 0x7ffffe
	s_add_i32 s7, s6, -1
	s_sub_i32 s6, 0, s6
	v_and_b32_e32 v1, s6, v0
	v_lshlrev_b32_e32 v1, 10, v1
	v_min_u32_e32 v2, s3, v1
	v_add_u32_e32 v1, s2, v1
	v_min_u32_e32 v4, s3, v1
	v_add_u32_e32 v1, s2, v4
	v_and_b32_e32 v3, s7, v0
	v_min_u32_e32 v1, s3, v1
	v_sub_u32_e32 v5, v1, v2
	v_lshlrev_b32_e32 v3, 10, v3
	v_min_u32_e32 v6, v5, v3
	v_sub_u32_e32 v3, v4, v2
	v_sub_u32_e32 v1, v1, v4
	v_sub_u32_e64 v1, v6, v1 clamp
	v_min_u32_e32 v7, v6, v3
	v_cmp_lt_u32_e32 vcc, v1, v7
	s_and_saveexec_b64 s[2:3], vcc
	s_cbranch_execz .LBB799_5
; %bb.2:
	s_load_dwordx2 s[4:5], s[4:5], 0x10
	v_mov_b32_e32 v5, 0
	v_mov_b32_e32 v3, v5
	v_lshlrev_b64 v[8:9], 3, v[2:3]
	v_lshlrev_b64 v[10:11], 3, v[4:5]
	s_waitcnt lgkmcnt(0)
	v_mov_b32_e32 v12, s5
	v_add_co_u32_e32 v3, vcc, s4, v8
	v_addc_co_u32_e32 v8, vcc, v12, v9, vcc
	v_add_co_u32_e32 v9, vcc, s4, v10
	v_addc_co_u32_e32 v10, vcc, v12, v11, vcc
	s_mov_b64 s[4:5], 0
.LBB799_3:                              ; =>This Inner Loop Header: Depth=1
	v_add_u32_e32 v4, v7, v1
	v_lshrrev_b32_e32 v4, 1, v4
	v_lshlrev_b64 v[14:15], 3, v[4:5]
	v_mov_b32_e32 v13, v5
	v_xad_u32 v12, v4, -1, v6
	v_add_co_u32_e32 v14, vcc, v3, v14
	v_addc_co_u32_e32 v15, vcc, v8, v15, vcc
	v_lshlrev_b64 v[12:13], 3, v[12:13]
	v_add_co_u32_e32 v12, vcc, v9, v12
	v_addc_co_u32_e32 v13, vcc, v10, v13, vcc
	global_load_dwordx2 v[16:17], v[14:15], off
	global_load_dwordx2 v[18:19], v[12:13], off
	v_add_u32_e32 v11, 1, v4
	s_waitcnt vmcnt(0)
	v_cmp_gt_i64_e32 vcc, v[16:17], v[18:19]
	v_cndmask_b32_e32 v7, v7, v4, vcc
	v_cndmask_b32_e32 v1, v11, v1, vcc
	v_cmp_ge_u32_e32 vcc, v1, v7
	s_or_b64 s[4:5], vcc, s[4:5]
	s_andn2_b64 exec, exec, s[4:5]
	s_cbranch_execnz .LBB799_3
; %bb.4:
	s_or_b64 exec, exec, s[4:5]
.LBB799_5:
	s_or_b64 exec, exec, s[2:3]
	v_add_u32_e32 v2, v1, v2
	v_mov_b32_e32 v1, 0
	v_lshlrev_b64 v[0:1], 2, v[0:1]
	v_mov_b32_e32 v3, s1
	v_add_co_u32_e32 v0, vcc, s0, v0
	v_addc_co_u32_e32 v1, vcc, v3, v1, vcc
	global_store_dword v[0:1], v2, off
.LBB799_6:
	s_endpgm
	.section	.rodata,"a",@progbits
	.p2align	6, 0x0
	.amdhsa_kernel _ZN7rocprim17ROCPRIM_400000_NS6detail17trampoline_kernelINS0_14default_configENS1_38merge_sort_block_merge_config_selectorIlNS0_10empty_typeEEEZZNS1_27merge_sort_block_merge_implIS3_PlPS5_jNS1_19radix_merge_compareILb0ELb0ElNS0_19identity_decomposerEEEEE10hipError_tT0_T1_T2_jT3_P12ihipStream_tbPNSt15iterator_traitsISE_E10value_typeEPNSK_ISF_E10value_typeEPSG_NS1_7vsmem_tEENKUlT_SE_SF_SG_E_clIS8_S8_S9_S9_EESD_ST_SE_SF_SG_EUlST_E_NS1_11comp_targetILNS1_3genE4ELNS1_11target_archE910ELNS1_3gpuE8ELNS1_3repE0EEENS1_48merge_mergepath_partition_config_static_selectorELNS0_4arch9wavefront6targetE1EEEvSF_
		.amdhsa_group_segment_fixed_size 0
		.amdhsa_private_segment_fixed_size 0
		.amdhsa_kernarg_size 40
		.amdhsa_user_sgpr_count 6
		.amdhsa_user_sgpr_private_segment_buffer 1
		.amdhsa_user_sgpr_dispatch_ptr 0
		.amdhsa_user_sgpr_queue_ptr 0
		.amdhsa_user_sgpr_kernarg_segment_ptr 1
		.amdhsa_user_sgpr_dispatch_id 0
		.amdhsa_user_sgpr_flat_scratch_init 0
		.amdhsa_user_sgpr_kernarg_preload_length 0
		.amdhsa_user_sgpr_kernarg_preload_offset 0
		.amdhsa_user_sgpr_private_segment_size 0
		.amdhsa_uses_dynamic_stack 0
		.amdhsa_system_sgpr_private_segment_wavefront_offset 0
		.amdhsa_system_sgpr_workgroup_id_x 1
		.amdhsa_system_sgpr_workgroup_id_y 0
		.amdhsa_system_sgpr_workgroup_id_z 0
		.amdhsa_system_sgpr_workgroup_info 0
		.amdhsa_system_vgpr_workitem_id 0
		.amdhsa_next_free_vgpr 20
		.amdhsa_next_free_sgpr 8
		.amdhsa_accum_offset 20
		.amdhsa_reserve_vcc 1
		.amdhsa_reserve_flat_scratch 0
		.amdhsa_float_round_mode_32 0
		.amdhsa_float_round_mode_16_64 0
		.amdhsa_float_denorm_mode_32 3
		.amdhsa_float_denorm_mode_16_64 3
		.amdhsa_dx10_clamp 1
		.amdhsa_ieee_mode 1
		.amdhsa_fp16_overflow 0
		.amdhsa_tg_split 0
		.amdhsa_exception_fp_ieee_invalid_op 0
		.amdhsa_exception_fp_denorm_src 0
		.amdhsa_exception_fp_ieee_div_zero 0
		.amdhsa_exception_fp_ieee_overflow 0
		.amdhsa_exception_fp_ieee_underflow 0
		.amdhsa_exception_fp_ieee_inexact 0
		.amdhsa_exception_int_div_zero 0
	.end_amdhsa_kernel
	.section	.text._ZN7rocprim17ROCPRIM_400000_NS6detail17trampoline_kernelINS0_14default_configENS1_38merge_sort_block_merge_config_selectorIlNS0_10empty_typeEEEZZNS1_27merge_sort_block_merge_implIS3_PlPS5_jNS1_19radix_merge_compareILb0ELb0ElNS0_19identity_decomposerEEEEE10hipError_tT0_T1_T2_jT3_P12ihipStream_tbPNSt15iterator_traitsISE_E10value_typeEPNSK_ISF_E10value_typeEPSG_NS1_7vsmem_tEENKUlT_SE_SF_SG_E_clIS8_S8_S9_S9_EESD_ST_SE_SF_SG_EUlST_E_NS1_11comp_targetILNS1_3genE4ELNS1_11target_archE910ELNS1_3gpuE8ELNS1_3repE0EEENS1_48merge_mergepath_partition_config_static_selectorELNS0_4arch9wavefront6targetE1EEEvSF_,"axG",@progbits,_ZN7rocprim17ROCPRIM_400000_NS6detail17trampoline_kernelINS0_14default_configENS1_38merge_sort_block_merge_config_selectorIlNS0_10empty_typeEEEZZNS1_27merge_sort_block_merge_implIS3_PlPS5_jNS1_19radix_merge_compareILb0ELb0ElNS0_19identity_decomposerEEEEE10hipError_tT0_T1_T2_jT3_P12ihipStream_tbPNSt15iterator_traitsISE_E10value_typeEPNSK_ISF_E10value_typeEPSG_NS1_7vsmem_tEENKUlT_SE_SF_SG_E_clIS8_S8_S9_S9_EESD_ST_SE_SF_SG_EUlST_E_NS1_11comp_targetILNS1_3genE4ELNS1_11target_archE910ELNS1_3gpuE8ELNS1_3repE0EEENS1_48merge_mergepath_partition_config_static_selectorELNS0_4arch9wavefront6targetE1EEEvSF_,comdat
.Lfunc_end799:
	.size	_ZN7rocprim17ROCPRIM_400000_NS6detail17trampoline_kernelINS0_14default_configENS1_38merge_sort_block_merge_config_selectorIlNS0_10empty_typeEEEZZNS1_27merge_sort_block_merge_implIS3_PlPS5_jNS1_19radix_merge_compareILb0ELb0ElNS0_19identity_decomposerEEEEE10hipError_tT0_T1_T2_jT3_P12ihipStream_tbPNSt15iterator_traitsISE_E10value_typeEPNSK_ISF_E10value_typeEPSG_NS1_7vsmem_tEENKUlT_SE_SF_SG_E_clIS8_S8_S9_S9_EESD_ST_SE_SF_SG_EUlST_E_NS1_11comp_targetILNS1_3genE4ELNS1_11target_archE910ELNS1_3gpuE8ELNS1_3repE0EEENS1_48merge_mergepath_partition_config_static_selectorELNS0_4arch9wavefront6targetE1EEEvSF_, .Lfunc_end799-_ZN7rocprim17ROCPRIM_400000_NS6detail17trampoline_kernelINS0_14default_configENS1_38merge_sort_block_merge_config_selectorIlNS0_10empty_typeEEEZZNS1_27merge_sort_block_merge_implIS3_PlPS5_jNS1_19radix_merge_compareILb0ELb0ElNS0_19identity_decomposerEEEEE10hipError_tT0_T1_T2_jT3_P12ihipStream_tbPNSt15iterator_traitsISE_E10value_typeEPNSK_ISF_E10value_typeEPSG_NS1_7vsmem_tEENKUlT_SE_SF_SG_E_clIS8_S8_S9_S9_EESD_ST_SE_SF_SG_EUlST_E_NS1_11comp_targetILNS1_3genE4ELNS1_11target_archE910ELNS1_3gpuE8ELNS1_3repE0EEENS1_48merge_mergepath_partition_config_static_selectorELNS0_4arch9wavefront6targetE1EEEvSF_
                                        ; -- End function
	.section	.AMDGPU.csdata,"",@progbits
; Kernel info:
; codeLenInByte = 360
; NumSgprs: 12
; NumVgprs: 20
; NumAgprs: 0
; TotalNumVgprs: 20
; ScratchSize: 0
; MemoryBound: 0
; FloatMode: 240
; IeeeMode: 1
; LDSByteSize: 0 bytes/workgroup (compile time only)
; SGPRBlocks: 1
; VGPRBlocks: 2
; NumSGPRsForWavesPerEU: 12
; NumVGPRsForWavesPerEU: 20
; AccumOffset: 20
; Occupancy: 8
; WaveLimiterHint : 0
; COMPUTE_PGM_RSRC2:SCRATCH_EN: 0
; COMPUTE_PGM_RSRC2:USER_SGPR: 6
; COMPUTE_PGM_RSRC2:TRAP_HANDLER: 0
; COMPUTE_PGM_RSRC2:TGID_X_EN: 1
; COMPUTE_PGM_RSRC2:TGID_Y_EN: 0
; COMPUTE_PGM_RSRC2:TGID_Z_EN: 0
; COMPUTE_PGM_RSRC2:TIDIG_COMP_CNT: 0
; COMPUTE_PGM_RSRC3_GFX90A:ACCUM_OFFSET: 4
; COMPUTE_PGM_RSRC3_GFX90A:TG_SPLIT: 0
	.section	.text._ZN7rocprim17ROCPRIM_400000_NS6detail17trampoline_kernelINS0_14default_configENS1_38merge_sort_block_merge_config_selectorIlNS0_10empty_typeEEEZZNS1_27merge_sort_block_merge_implIS3_PlPS5_jNS1_19radix_merge_compareILb0ELb0ElNS0_19identity_decomposerEEEEE10hipError_tT0_T1_T2_jT3_P12ihipStream_tbPNSt15iterator_traitsISE_E10value_typeEPNSK_ISF_E10value_typeEPSG_NS1_7vsmem_tEENKUlT_SE_SF_SG_E_clIS8_S8_S9_S9_EESD_ST_SE_SF_SG_EUlST_E_NS1_11comp_targetILNS1_3genE3ELNS1_11target_archE908ELNS1_3gpuE7ELNS1_3repE0EEENS1_48merge_mergepath_partition_config_static_selectorELNS0_4arch9wavefront6targetE1EEEvSF_,"axG",@progbits,_ZN7rocprim17ROCPRIM_400000_NS6detail17trampoline_kernelINS0_14default_configENS1_38merge_sort_block_merge_config_selectorIlNS0_10empty_typeEEEZZNS1_27merge_sort_block_merge_implIS3_PlPS5_jNS1_19radix_merge_compareILb0ELb0ElNS0_19identity_decomposerEEEEE10hipError_tT0_T1_T2_jT3_P12ihipStream_tbPNSt15iterator_traitsISE_E10value_typeEPNSK_ISF_E10value_typeEPSG_NS1_7vsmem_tEENKUlT_SE_SF_SG_E_clIS8_S8_S9_S9_EESD_ST_SE_SF_SG_EUlST_E_NS1_11comp_targetILNS1_3genE3ELNS1_11target_archE908ELNS1_3gpuE7ELNS1_3repE0EEENS1_48merge_mergepath_partition_config_static_selectorELNS0_4arch9wavefront6targetE1EEEvSF_,comdat
	.protected	_ZN7rocprim17ROCPRIM_400000_NS6detail17trampoline_kernelINS0_14default_configENS1_38merge_sort_block_merge_config_selectorIlNS0_10empty_typeEEEZZNS1_27merge_sort_block_merge_implIS3_PlPS5_jNS1_19radix_merge_compareILb0ELb0ElNS0_19identity_decomposerEEEEE10hipError_tT0_T1_T2_jT3_P12ihipStream_tbPNSt15iterator_traitsISE_E10value_typeEPNSK_ISF_E10value_typeEPSG_NS1_7vsmem_tEENKUlT_SE_SF_SG_E_clIS8_S8_S9_S9_EESD_ST_SE_SF_SG_EUlST_E_NS1_11comp_targetILNS1_3genE3ELNS1_11target_archE908ELNS1_3gpuE7ELNS1_3repE0EEENS1_48merge_mergepath_partition_config_static_selectorELNS0_4arch9wavefront6targetE1EEEvSF_ ; -- Begin function _ZN7rocprim17ROCPRIM_400000_NS6detail17trampoline_kernelINS0_14default_configENS1_38merge_sort_block_merge_config_selectorIlNS0_10empty_typeEEEZZNS1_27merge_sort_block_merge_implIS3_PlPS5_jNS1_19radix_merge_compareILb0ELb0ElNS0_19identity_decomposerEEEEE10hipError_tT0_T1_T2_jT3_P12ihipStream_tbPNSt15iterator_traitsISE_E10value_typeEPNSK_ISF_E10value_typeEPSG_NS1_7vsmem_tEENKUlT_SE_SF_SG_E_clIS8_S8_S9_S9_EESD_ST_SE_SF_SG_EUlST_E_NS1_11comp_targetILNS1_3genE3ELNS1_11target_archE908ELNS1_3gpuE7ELNS1_3repE0EEENS1_48merge_mergepath_partition_config_static_selectorELNS0_4arch9wavefront6targetE1EEEvSF_
	.globl	_ZN7rocprim17ROCPRIM_400000_NS6detail17trampoline_kernelINS0_14default_configENS1_38merge_sort_block_merge_config_selectorIlNS0_10empty_typeEEEZZNS1_27merge_sort_block_merge_implIS3_PlPS5_jNS1_19radix_merge_compareILb0ELb0ElNS0_19identity_decomposerEEEEE10hipError_tT0_T1_T2_jT3_P12ihipStream_tbPNSt15iterator_traitsISE_E10value_typeEPNSK_ISF_E10value_typeEPSG_NS1_7vsmem_tEENKUlT_SE_SF_SG_E_clIS8_S8_S9_S9_EESD_ST_SE_SF_SG_EUlST_E_NS1_11comp_targetILNS1_3genE3ELNS1_11target_archE908ELNS1_3gpuE7ELNS1_3repE0EEENS1_48merge_mergepath_partition_config_static_selectorELNS0_4arch9wavefront6targetE1EEEvSF_
	.p2align	8
	.type	_ZN7rocprim17ROCPRIM_400000_NS6detail17trampoline_kernelINS0_14default_configENS1_38merge_sort_block_merge_config_selectorIlNS0_10empty_typeEEEZZNS1_27merge_sort_block_merge_implIS3_PlPS5_jNS1_19radix_merge_compareILb0ELb0ElNS0_19identity_decomposerEEEEE10hipError_tT0_T1_T2_jT3_P12ihipStream_tbPNSt15iterator_traitsISE_E10value_typeEPNSK_ISF_E10value_typeEPSG_NS1_7vsmem_tEENKUlT_SE_SF_SG_E_clIS8_S8_S9_S9_EESD_ST_SE_SF_SG_EUlST_E_NS1_11comp_targetILNS1_3genE3ELNS1_11target_archE908ELNS1_3gpuE7ELNS1_3repE0EEENS1_48merge_mergepath_partition_config_static_selectorELNS0_4arch9wavefront6targetE1EEEvSF_,@function
_ZN7rocprim17ROCPRIM_400000_NS6detail17trampoline_kernelINS0_14default_configENS1_38merge_sort_block_merge_config_selectorIlNS0_10empty_typeEEEZZNS1_27merge_sort_block_merge_implIS3_PlPS5_jNS1_19radix_merge_compareILb0ELb0ElNS0_19identity_decomposerEEEEE10hipError_tT0_T1_T2_jT3_P12ihipStream_tbPNSt15iterator_traitsISE_E10value_typeEPNSK_ISF_E10value_typeEPSG_NS1_7vsmem_tEENKUlT_SE_SF_SG_E_clIS8_S8_S9_S9_EESD_ST_SE_SF_SG_EUlST_E_NS1_11comp_targetILNS1_3genE3ELNS1_11target_archE908ELNS1_3gpuE7ELNS1_3repE0EEENS1_48merge_mergepath_partition_config_static_selectorELNS0_4arch9wavefront6targetE1EEEvSF_: ; @_ZN7rocprim17ROCPRIM_400000_NS6detail17trampoline_kernelINS0_14default_configENS1_38merge_sort_block_merge_config_selectorIlNS0_10empty_typeEEEZZNS1_27merge_sort_block_merge_implIS3_PlPS5_jNS1_19radix_merge_compareILb0ELb0ElNS0_19identity_decomposerEEEEE10hipError_tT0_T1_T2_jT3_P12ihipStream_tbPNSt15iterator_traitsISE_E10value_typeEPNSK_ISF_E10value_typeEPSG_NS1_7vsmem_tEENKUlT_SE_SF_SG_E_clIS8_S8_S9_S9_EESD_ST_SE_SF_SG_EUlST_E_NS1_11comp_targetILNS1_3genE3ELNS1_11target_archE908ELNS1_3gpuE7ELNS1_3repE0EEENS1_48merge_mergepath_partition_config_static_selectorELNS0_4arch9wavefront6targetE1EEEvSF_
; %bb.0:
	.section	.rodata,"a",@progbits
	.p2align	6, 0x0
	.amdhsa_kernel _ZN7rocprim17ROCPRIM_400000_NS6detail17trampoline_kernelINS0_14default_configENS1_38merge_sort_block_merge_config_selectorIlNS0_10empty_typeEEEZZNS1_27merge_sort_block_merge_implIS3_PlPS5_jNS1_19radix_merge_compareILb0ELb0ElNS0_19identity_decomposerEEEEE10hipError_tT0_T1_T2_jT3_P12ihipStream_tbPNSt15iterator_traitsISE_E10value_typeEPNSK_ISF_E10value_typeEPSG_NS1_7vsmem_tEENKUlT_SE_SF_SG_E_clIS8_S8_S9_S9_EESD_ST_SE_SF_SG_EUlST_E_NS1_11comp_targetILNS1_3genE3ELNS1_11target_archE908ELNS1_3gpuE7ELNS1_3repE0EEENS1_48merge_mergepath_partition_config_static_selectorELNS0_4arch9wavefront6targetE1EEEvSF_
		.amdhsa_group_segment_fixed_size 0
		.amdhsa_private_segment_fixed_size 0
		.amdhsa_kernarg_size 40
		.amdhsa_user_sgpr_count 6
		.amdhsa_user_sgpr_private_segment_buffer 1
		.amdhsa_user_sgpr_dispatch_ptr 0
		.amdhsa_user_sgpr_queue_ptr 0
		.amdhsa_user_sgpr_kernarg_segment_ptr 1
		.amdhsa_user_sgpr_dispatch_id 0
		.amdhsa_user_sgpr_flat_scratch_init 0
		.amdhsa_user_sgpr_kernarg_preload_length 0
		.amdhsa_user_sgpr_kernarg_preload_offset 0
		.amdhsa_user_sgpr_private_segment_size 0
		.amdhsa_uses_dynamic_stack 0
		.amdhsa_system_sgpr_private_segment_wavefront_offset 0
		.amdhsa_system_sgpr_workgroup_id_x 1
		.amdhsa_system_sgpr_workgroup_id_y 0
		.amdhsa_system_sgpr_workgroup_id_z 0
		.amdhsa_system_sgpr_workgroup_info 0
		.amdhsa_system_vgpr_workitem_id 0
		.amdhsa_next_free_vgpr 1
		.amdhsa_next_free_sgpr 0
		.amdhsa_accum_offset 4
		.amdhsa_reserve_vcc 0
		.amdhsa_reserve_flat_scratch 0
		.amdhsa_float_round_mode_32 0
		.amdhsa_float_round_mode_16_64 0
		.amdhsa_float_denorm_mode_32 3
		.amdhsa_float_denorm_mode_16_64 3
		.amdhsa_dx10_clamp 1
		.amdhsa_ieee_mode 1
		.amdhsa_fp16_overflow 0
		.amdhsa_tg_split 0
		.amdhsa_exception_fp_ieee_invalid_op 0
		.amdhsa_exception_fp_denorm_src 0
		.amdhsa_exception_fp_ieee_div_zero 0
		.amdhsa_exception_fp_ieee_overflow 0
		.amdhsa_exception_fp_ieee_underflow 0
		.amdhsa_exception_fp_ieee_inexact 0
		.amdhsa_exception_int_div_zero 0
	.end_amdhsa_kernel
	.section	.text._ZN7rocprim17ROCPRIM_400000_NS6detail17trampoline_kernelINS0_14default_configENS1_38merge_sort_block_merge_config_selectorIlNS0_10empty_typeEEEZZNS1_27merge_sort_block_merge_implIS3_PlPS5_jNS1_19radix_merge_compareILb0ELb0ElNS0_19identity_decomposerEEEEE10hipError_tT0_T1_T2_jT3_P12ihipStream_tbPNSt15iterator_traitsISE_E10value_typeEPNSK_ISF_E10value_typeEPSG_NS1_7vsmem_tEENKUlT_SE_SF_SG_E_clIS8_S8_S9_S9_EESD_ST_SE_SF_SG_EUlST_E_NS1_11comp_targetILNS1_3genE3ELNS1_11target_archE908ELNS1_3gpuE7ELNS1_3repE0EEENS1_48merge_mergepath_partition_config_static_selectorELNS0_4arch9wavefront6targetE1EEEvSF_,"axG",@progbits,_ZN7rocprim17ROCPRIM_400000_NS6detail17trampoline_kernelINS0_14default_configENS1_38merge_sort_block_merge_config_selectorIlNS0_10empty_typeEEEZZNS1_27merge_sort_block_merge_implIS3_PlPS5_jNS1_19radix_merge_compareILb0ELb0ElNS0_19identity_decomposerEEEEE10hipError_tT0_T1_T2_jT3_P12ihipStream_tbPNSt15iterator_traitsISE_E10value_typeEPNSK_ISF_E10value_typeEPSG_NS1_7vsmem_tEENKUlT_SE_SF_SG_E_clIS8_S8_S9_S9_EESD_ST_SE_SF_SG_EUlST_E_NS1_11comp_targetILNS1_3genE3ELNS1_11target_archE908ELNS1_3gpuE7ELNS1_3repE0EEENS1_48merge_mergepath_partition_config_static_selectorELNS0_4arch9wavefront6targetE1EEEvSF_,comdat
.Lfunc_end800:
	.size	_ZN7rocprim17ROCPRIM_400000_NS6detail17trampoline_kernelINS0_14default_configENS1_38merge_sort_block_merge_config_selectorIlNS0_10empty_typeEEEZZNS1_27merge_sort_block_merge_implIS3_PlPS5_jNS1_19radix_merge_compareILb0ELb0ElNS0_19identity_decomposerEEEEE10hipError_tT0_T1_T2_jT3_P12ihipStream_tbPNSt15iterator_traitsISE_E10value_typeEPNSK_ISF_E10value_typeEPSG_NS1_7vsmem_tEENKUlT_SE_SF_SG_E_clIS8_S8_S9_S9_EESD_ST_SE_SF_SG_EUlST_E_NS1_11comp_targetILNS1_3genE3ELNS1_11target_archE908ELNS1_3gpuE7ELNS1_3repE0EEENS1_48merge_mergepath_partition_config_static_selectorELNS0_4arch9wavefront6targetE1EEEvSF_, .Lfunc_end800-_ZN7rocprim17ROCPRIM_400000_NS6detail17trampoline_kernelINS0_14default_configENS1_38merge_sort_block_merge_config_selectorIlNS0_10empty_typeEEEZZNS1_27merge_sort_block_merge_implIS3_PlPS5_jNS1_19radix_merge_compareILb0ELb0ElNS0_19identity_decomposerEEEEE10hipError_tT0_T1_T2_jT3_P12ihipStream_tbPNSt15iterator_traitsISE_E10value_typeEPNSK_ISF_E10value_typeEPSG_NS1_7vsmem_tEENKUlT_SE_SF_SG_E_clIS8_S8_S9_S9_EESD_ST_SE_SF_SG_EUlST_E_NS1_11comp_targetILNS1_3genE3ELNS1_11target_archE908ELNS1_3gpuE7ELNS1_3repE0EEENS1_48merge_mergepath_partition_config_static_selectorELNS0_4arch9wavefront6targetE1EEEvSF_
                                        ; -- End function
	.section	.AMDGPU.csdata,"",@progbits
; Kernel info:
; codeLenInByte = 0
; NumSgprs: 4
; NumVgprs: 0
; NumAgprs: 0
; TotalNumVgprs: 0
; ScratchSize: 0
; MemoryBound: 0
; FloatMode: 240
; IeeeMode: 1
; LDSByteSize: 0 bytes/workgroup (compile time only)
; SGPRBlocks: 0
; VGPRBlocks: 0
; NumSGPRsForWavesPerEU: 4
; NumVGPRsForWavesPerEU: 1
; AccumOffset: 4
; Occupancy: 8
; WaveLimiterHint : 0
; COMPUTE_PGM_RSRC2:SCRATCH_EN: 0
; COMPUTE_PGM_RSRC2:USER_SGPR: 6
; COMPUTE_PGM_RSRC2:TRAP_HANDLER: 0
; COMPUTE_PGM_RSRC2:TGID_X_EN: 1
; COMPUTE_PGM_RSRC2:TGID_Y_EN: 0
; COMPUTE_PGM_RSRC2:TGID_Z_EN: 0
; COMPUTE_PGM_RSRC2:TIDIG_COMP_CNT: 0
; COMPUTE_PGM_RSRC3_GFX90A:ACCUM_OFFSET: 0
; COMPUTE_PGM_RSRC3_GFX90A:TG_SPLIT: 0
	.section	.text._ZN7rocprim17ROCPRIM_400000_NS6detail17trampoline_kernelINS0_14default_configENS1_38merge_sort_block_merge_config_selectorIlNS0_10empty_typeEEEZZNS1_27merge_sort_block_merge_implIS3_PlPS5_jNS1_19radix_merge_compareILb0ELb0ElNS0_19identity_decomposerEEEEE10hipError_tT0_T1_T2_jT3_P12ihipStream_tbPNSt15iterator_traitsISE_E10value_typeEPNSK_ISF_E10value_typeEPSG_NS1_7vsmem_tEENKUlT_SE_SF_SG_E_clIS8_S8_S9_S9_EESD_ST_SE_SF_SG_EUlST_E_NS1_11comp_targetILNS1_3genE2ELNS1_11target_archE906ELNS1_3gpuE6ELNS1_3repE0EEENS1_48merge_mergepath_partition_config_static_selectorELNS0_4arch9wavefront6targetE1EEEvSF_,"axG",@progbits,_ZN7rocprim17ROCPRIM_400000_NS6detail17trampoline_kernelINS0_14default_configENS1_38merge_sort_block_merge_config_selectorIlNS0_10empty_typeEEEZZNS1_27merge_sort_block_merge_implIS3_PlPS5_jNS1_19radix_merge_compareILb0ELb0ElNS0_19identity_decomposerEEEEE10hipError_tT0_T1_T2_jT3_P12ihipStream_tbPNSt15iterator_traitsISE_E10value_typeEPNSK_ISF_E10value_typeEPSG_NS1_7vsmem_tEENKUlT_SE_SF_SG_E_clIS8_S8_S9_S9_EESD_ST_SE_SF_SG_EUlST_E_NS1_11comp_targetILNS1_3genE2ELNS1_11target_archE906ELNS1_3gpuE6ELNS1_3repE0EEENS1_48merge_mergepath_partition_config_static_selectorELNS0_4arch9wavefront6targetE1EEEvSF_,comdat
	.protected	_ZN7rocprim17ROCPRIM_400000_NS6detail17trampoline_kernelINS0_14default_configENS1_38merge_sort_block_merge_config_selectorIlNS0_10empty_typeEEEZZNS1_27merge_sort_block_merge_implIS3_PlPS5_jNS1_19radix_merge_compareILb0ELb0ElNS0_19identity_decomposerEEEEE10hipError_tT0_T1_T2_jT3_P12ihipStream_tbPNSt15iterator_traitsISE_E10value_typeEPNSK_ISF_E10value_typeEPSG_NS1_7vsmem_tEENKUlT_SE_SF_SG_E_clIS8_S8_S9_S9_EESD_ST_SE_SF_SG_EUlST_E_NS1_11comp_targetILNS1_3genE2ELNS1_11target_archE906ELNS1_3gpuE6ELNS1_3repE0EEENS1_48merge_mergepath_partition_config_static_selectorELNS0_4arch9wavefront6targetE1EEEvSF_ ; -- Begin function _ZN7rocprim17ROCPRIM_400000_NS6detail17trampoline_kernelINS0_14default_configENS1_38merge_sort_block_merge_config_selectorIlNS0_10empty_typeEEEZZNS1_27merge_sort_block_merge_implIS3_PlPS5_jNS1_19radix_merge_compareILb0ELb0ElNS0_19identity_decomposerEEEEE10hipError_tT0_T1_T2_jT3_P12ihipStream_tbPNSt15iterator_traitsISE_E10value_typeEPNSK_ISF_E10value_typeEPSG_NS1_7vsmem_tEENKUlT_SE_SF_SG_E_clIS8_S8_S9_S9_EESD_ST_SE_SF_SG_EUlST_E_NS1_11comp_targetILNS1_3genE2ELNS1_11target_archE906ELNS1_3gpuE6ELNS1_3repE0EEENS1_48merge_mergepath_partition_config_static_selectorELNS0_4arch9wavefront6targetE1EEEvSF_
	.globl	_ZN7rocprim17ROCPRIM_400000_NS6detail17trampoline_kernelINS0_14default_configENS1_38merge_sort_block_merge_config_selectorIlNS0_10empty_typeEEEZZNS1_27merge_sort_block_merge_implIS3_PlPS5_jNS1_19radix_merge_compareILb0ELb0ElNS0_19identity_decomposerEEEEE10hipError_tT0_T1_T2_jT3_P12ihipStream_tbPNSt15iterator_traitsISE_E10value_typeEPNSK_ISF_E10value_typeEPSG_NS1_7vsmem_tEENKUlT_SE_SF_SG_E_clIS8_S8_S9_S9_EESD_ST_SE_SF_SG_EUlST_E_NS1_11comp_targetILNS1_3genE2ELNS1_11target_archE906ELNS1_3gpuE6ELNS1_3repE0EEENS1_48merge_mergepath_partition_config_static_selectorELNS0_4arch9wavefront6targetE1EEEvSF_
	.p2align	8
	.type	_ZN7rocprim17ROCPRIM_400000_NS6detail17trampoline_kernelINS0_14default_configENS1_38merge_sort_block_merge_config_selectorIlNS0_10empty_typeEEEZZNS1_27merge_sort_block_merge_implIS3_PlPS5_jNS1_19radix_merge_compareILb0ELb0ElNS0_19identity_decomposerEEEEE10hipError_tT0_T1_T2_jT3_P12ihipStream_tbPNSt15iterator_traitsISE_E10value_typeEPNSK_ISF_E10value_typeEPSG_NS1_7vsmem_tEENKUlT_SE_SF_SG_E_clIS8_S8_S9_S9_EESD_ST_SE_SF_SG_EUlST_E_NS1_11comp_targetILNS1_3genE2ELNS1_11target_archE906ELNS1_3gpuE6ELNS1_3repE0EEENS1_48merge_mergepath_partition_config_static_selectorELNS0_4arch9wavefront6targetE1EEEvSF_,@function
_ZN7rocprim17ROCPRIM_400000_NS6detail17trampoline_kernelINS0_14default_configENS1_38merge_sort_block_merge_config_selectorIlNS0_10empty_typeEEEZZNS1_27merge_sort_block_merge_implIS3_PlPS5_jNS1_19radix_merge_compareILb0ELb0ElNS0_19identity_decomposerEEEEE10hipError_tT0_T1_T2_jT3_P12ihipStream_tbPNSt15iterator_traitsISE_E10value_typeEPNSK_ISF_E10value_typeEPSG_NS1_7vsmem_tEENKUlT_SE_SF_SG_E_clIS8_S8_S9_S9_EESD_ST_SE_SF_SG_EUlST_E_NS1_11comp_targetILNS1_3genE2ELNS1_11target_archE906ELNS1_3gpuE6ELNS1_3repE0EEENS1_48merge_mergepath_partition_config_static_selectorELNS0_4arch9wavefront6targetE1EEEvSF_: ; @_ZN7rocprim17ROCPRIM_400000_NS6detail17trampoline_kernelINS0_14default_configENS1_38merge_sort_block_merge_config_selectorIlNS0_10empty_typeEEEZZNS1_27merge_sort_block_merge_implIS3_PlPS5_jNS1_19radix_merge_compareILb0ELb0ElNS0_19identity_decomposerEEEEE10hipError_tT0_T1_T2_jT3_P12ihipStream_tbPNSt15iterator_traitsISE_E10value_typeEPNSK_ISF_E10value_typeEPSG_NS1_7vsmem_tEENKUlT_SE_SF_SG_E_clIS8_S8_S9_S9_EESD_ST_SE_SF_SG_EUlST_E_NS1_11comp_targetILNS1_3genE2ELNS1_11target_archE906ELNS1_3gpuE6ELNS1_3repE0EEENS1_48merge_mergepath_partition_config_static_selectorELNS0_4arch9wavefront6targetE1EEEvSF_
; %bb.0:
	.section	.rodata,"a",@progbits
	.p2align	6, 0x0
	.amdhsa_kernel _ZN7rocprim17ROCPRIM_400000_NS6detail17trampoline_kernelINS0_14default_configENS1_38merge_sort_block_merge_config_selectorIlNS0_10empty_typeEEEZZNS1_27merge_sort_block_merge_implIS3_PlPS5_jNS1_19radix_merge_compareILb0ELb0ElNS0_19identity_decomposerEEEEE10hipError_tT0_T1_T2_jT3_P12ihipStream_tbPNSt15iterator_traitsISE_E10value_typeEPNSK_ISF_E10value_typeEPSG_NS1_7vsmem_tEENKUlT_SE_SF_SG_E_clIS8_S8_S9_S9_EESD_ST_SE_SF_SG_EUlST_E_NS1_11comp_targetILNS1_3genE2ELNS1_11target_archE906ELNS1_3gpuE6ELNS1_3repE0EEENS1_48merge_mergepath_partition_config_static_selectorELNS0_4arch9wavefront6targetE1EEEvSF_
		.amdhsa_group_segment_fixed_size 0
		.amdhsa_private_segment_fixed_size 0
		.amdhsa_kernarg_size 40
		.amdhsa_user_sgpr_count 6
		.amdhsa_user_sgpr_private_segment_buffer 1
		.amdhsa_user_sgpr_dispatch_ptr 0
		.amdhsa_user_sgpr_queue_ptr 0
		.amdhsa_user_sgpr_kernarg_segment_ptr 1
		.amdhsa_user_sgpr_dispatch_id 0
		.amdhsa_user_sgpr_flat_scratch_init 0
		.amdhsa_user_sgpr_kernarg_preload_length 0
		.amdhsa_user_sgpr_kernarg_preload_offset 0
		.amdhsa_user_sgpr_private_segment_size 0
		.amdhsa_uses_dynamic_stack 0
		.amdhsa_system_sgpr_private_segment_wavefront_offset 0
		.amdhsa_system_sgpr_workgroup_id_x 1
		.amdhsa_system_sgpr_workgroup_id_y 0
		.amdhsa_system_sgpr_workgroup_id_z 0
		.amdhsa_system_sgpr_workgroup_info 0
		.amdhsa_system_vgpr_workitem_id 0
		.amdhsa_next_free_vgpr 1
		.amdhsa_next_free_sgpr 0
		.amdhsa_accum_offset 4
		.amdhsa_reserve_vcc 0
		.amdhsa_reserve_flat_scratch 0
		.amdhsa_float_round_mode_32 0
		.amdhsa_float_round_mode_16_64 0
		.amdhsa_float_denorm_mode_32 3
		.amdhsa_float_denorm_mode_16_64 3
		.amdhsa_dx10_clamp 1
		.amdhsa_ieee_mode 1
		.amdhsa_fp16_overflow 0
		.amdhsa_tg_split 0
		.amdhsa_exception_fp_ieee_invalid_op 0
		.amdhsa_exception_fp_denorm_src 0
		.amdhsa_exception_fp_ieee_div_zero 0
		.amdhsa_exception_fp_ieee_overflow 0
		.amdhsa_exception_fp_ieee_underflow 0
		.amdhsa_exception_fp_ieee_inexact 0
		.amdhsa_exception_int_div_zero 0
	.end_amdhsa_kernel
	.section	.text._ZN7rocprim17ROCPRIM_400000_NS6detail17trampoline_kernelINS0_14default_configENS1_38merge_sort_block_merge_config_selectorIlNS0_10empty_typeEEEZZNS1_27merge_sort_block_merge_implIS3_PlPS5_jNS1_19radix_merge_compareILb0ELb0ElNS0_19identity_decomposerEEEEE10hipError_tT0_T1_T2_jT3_P12ihipStream_tbPNSt15iterator_traitsISE_E10value_typeEPNSK_ISF_E10value_typeEPSG_NS1_7vsmem_tEENKUlT_SE_SF_SG_E_clIS8_S8_S9_S9_EESD_ST_SE_SF_SG_EUlST_E_NS1_11comp_targetILNS1_3genE2ELNS1_11target_archE906ELNS1_3gpuE6ELNS1_3repE0EEENS1_48merge_mergepath_partition_config_static_selectorELNS0_4arch9wavefront6targetE1EEEvSF_,"axG",@progbits,_ZN7rocprim17ROCPRIM_400000_NS6detail17trampoline_kernelINS0_14default_configENS1_38merge_sort_block_merge_config_selectorIlNS0_10empty_typeEEEZZNS1_27merge_sort_block_merge_implIS3_PlPS5_jNS1_19radix_merge_compareILb0ELb0ElNS0_19identity_decomposerEEEEE10hipError_tT0_T1_T2_jT3_P12ihipStream_tbPNSt15iterator_traitsISE_E10value_typeEPNSK_ISF_E10value_typeEPSG_NS1_7vsmem_tEENKUlT_SE_SF_SG_E_clIS8_S8_S9_S9_EESD_ST_SE_SF_SG_EUlST_E_NS1_11comp_targetILNS1_3genE2ELNS1_11target_archE906ELNS1_3gpuE6ELNS1_3repE0EEENS1_48merge_mergepath_partition_config_static_selectorELNS0_4arch9wavefront6targetE1EEEvSF_,comdat
.Lfunc_end801:
	.size	_ZN7rocprim17ROCPRIM_400000_NS6detail17trampoline_kernelINS0_14default_configENS1_38merge_sort_block_merge_config_selectorIlNS0_10empty_typeEEEZZNS1_27merge_sort_block_merge_implIS3_PlPS5_jNS1_19radix_merge_compareILb0ELb0ElNS0_19identity_decomposerEEEEE10hipError_tT0_T1_T2_jT3_P12ihipStream_tbPNSt15iterator_traitsISE_E10value_typeEPNSK_ISF_E10value_typeEPSG_NS1_7vsmem_tEENKUlT_SE_SF_SG_E_clIS8_S8_S9_S9_EESD_ST_SE_SF_SG_EUlST_E_NS1_11comp_targetILNS1_3genE2ELNS1_11target_archE906ELNS1_3gpuE6ELNS1_3repE0EEENS1_48merge_mergepath_partition_config_static_selectorELNS0_4arch9wavefront6targetE1EEEvSF_, .Lfunc_end801-_ZN7rocprim17ROCPRIM_400000_NS6detail17trampoline_kernelINS0_14default_configENS1_38merge_sort_block_merge_config_selectorIlNS0_10empty_typeEEEZZNS1_27merge_sort_block_merge_implIS3_PlPS5_jNS1_19radix_merge_compareILb0ELb0ElNS0_19identity_decomposerEEEEE10hipError_tT0_T1_T2_jT3_P12ihipStream_tbPNSt15iterator_traitsISE_E10value_typeEPNSK_ISF_E10value_typeEPSG_NS1_7vsmem_tEENKUlT_SE_SF_SG_E_clIS8_S8_S9_S9_EESD_ST_SE_SF_SG_EUlST_E_NS1_11comp_targetILNS1_3genE2ELNS1_11target_archE906ELNS1_3gpuE6ELNS1_3repE0EEENS1_48merge_mergepath_partition_config_static_selectorELNS0_4arch9wavefront6targetE1EEEvSF_
                                        ; -- End function
	.section	.AMDGPU.csdata,"",@progbits
; Kernel info:
; codeLenInByte = 0
; NumSgprs: 4
; NumVgprs: 0
; NumAgprs: 0
; TotalNumVgprs: 0
; ScratchSize: 0
; MemoryBound: 0
; FloatMode: 240
; IeeeMode: 1
; LDSByteSize: 0 bytes/workgroup (compile time only)
; SGPRBlocks: 0
; VGPRBlocks: 0
; NumSGPRsForWavesPerEU: 4
; NumVGPRsForWavesPerEU: 1
; AccumOffset: 4
; Occupancy: 8
; WaveLimiterHint : 0
; COMPUTE_PGM_RSRC2:SCRATCH_EN: 0
; COMPUTE_PGM_RSRC2:USER_SGPR: 6
; COMPUTE_PGM_RSRC2:TRAP_HANDLER: 0
; COMPUTE_PGM_RSRC2:TGID_X_EN: 1
; COMPUTE_PGM_RSRC2:TGID_Y_EN: 0
; COMPUTE_PGM_RSRC2:TGID_Z_EN: 0
; COMPUTE_PGM_RSRC2:TIDIG_COMP_CNT: 0
; COMPUTE_PGM_RSRC3_GFX90A:ACCUM_OFFSET: 0
; COMPUTE_PGM_RSRC3_GFX90A:TG_SPLIT: 0
	.section	.text._ZN7rocprim17ROCPRIM_400000_NS6detail17trampoline_kernelINS0_14default_configENS1_38merge_sort_block_merge_config_selectorIlNS0_10empty_typeEEEZZNS1_27merge_sort_block_merge_implIS3_PlPS5_jNS1_19radix_merge_compareILb0ELb0ElNS0_19identity_decomposerEEEEE10hipError_tT0_T1_T2_jT3_P12ihipStream_tbPNSt15iterator_traitsISE_E10value_typeEPNSK_ISF_E10value_typeEPSG_NS1_7vsmem_tEENKUlT_SE_SF_SG_E_clIS8_S8_S9_S9_EESD_ST_SE_SF_SG_EUlST_E_NS1_11comp_targetILNS1_3genE9ELNS1_11target_archE1100ELNS1_3gpuE3ELNS1_3repE0EEENS1_48merge_mergepath_partition_config_static_selectorELNS0_4arch9wavefront6targetE1EEEvSF_,"axG",@progbits,_ZN7rocprim17ROCPRIM_400000_NS6detail17trampoline_kernelINS0_14default_configENS1_38merge_sort_block_merge_config_selectorIlNS0_10empty_typeEEEZZNS1_27merge_sort_block_merge_implIS3_PlPS5_jNS1_19radix_merge_compareILb0ELb0ElNS0_19identity_decomposerEEEEE10hipError_tT0_T1_T2_jT3_P12ihipStream_tbPNSt15iterator_traitsISE_E10value_typeEPNSK_ISF_E10value_typeEPSG_NS1_7vsmem_tEENKUlT_SE_SF_SG_E_clIS8_S8_S9_S9_EESD_ST_SE_SF_SG_EUlST_E_NS1_11comp_targetILNS1_3genE9ELNS1_11target_archE1100ELNS1_3gpuE3ELNS1_3repE0EEENS1_48merge_mergepath_partition_config_static_selectorELNS0_4arch9wavefront6targetE1EEEvSF_,comdat
	.protected	_ZN7rocprim17ROCPRIM_400000_NS6detail17trampoline_kernelINS0_14default_configENS1_38merge_sort_block_merge_config_selectorIlNS0_10empty_typeEEEZZNS1_27merge_sort_block_merge_implIS3_PlPS5_jNS1_19radix_merge_compareILb0ELb0ElNS0_19identity_decomposerEEEEE10hipError_tT0_T1_T2_jT3_P12ihipStream_tbPNSt15iterator_traitsISE_E10value_typeEPNSK_ISF_E10value_typeEPSG_NS1_7vsmem_tEENKUlT_SE_SF_SG_E_clIS8_S8_S9_S9_EESD_ST_SE_SF_SG_EUlST_E_NS1_11comp_targetILNS1_3genE9ELNS1_11target_archE1100ELNS1_3gpuE3ELNS1_3repE0EEENS1_48merge_mergepath_partition_config_static_selectorELNS0_4arch9wavefront6targetE1EEEvSF_ ; -- Begin function _ZN7rocprim17ROCPRIM_400000_NS6detail17trampoline_kernelINS0_14default_configENS1_38merge_sort_block_merge_config_selectorIlNS0_10empty_typeEEEZZNS1_27merge_sort_block_merge_implIS3_PlPS5_jNS1_19radix_merge_compareILb0ELb0ElNS0_19identity_decomposerEEEEE10hipError_tT0_T1_T2_jT3_P12ihipStream_tbPNSt15iterator_traitsISE_E10value_typeEPNSK_ISF_E10value_typeEPSG_NS1_7vsmem_tEENKUlT_SE_SF_SG_E_clIS8_S8_S9_S9_EESD_ST_SE_SF_SG_EUlST_E_NS1_11comp_targetILNS1_3genE9ELNS1_11target_archE1100ELNS1_3gpuE3ELNS1_3repE0EEENS1_48merge_mergepath_partition_config_static_selectorELNS0_4arch9wavefront6targetE1EEEvSF_
	.globl	_ZN7rocprim17ROCPRIM_400000_NS6detail17trampoline_kernelINS0_14default_configENS1_38merge_sort_block_merge_config_selectorIlNS0_10empty_typeEEEZZNS1_27merge_sort_block_merge_implIS3_PlPS5_jNS1_19radix_merge_compareILb0ELb0ElNS0_19identity_decomposerEEEEE10hipError_tT0_T1_T2_jT3_P12ihipStream_tbPNSt15iterator_traitsISE_E10value_typeEPNSK_ISF_E10value_typeEPSG_NS1_7vsmem_tEENKUlT_SE_SF_SG_E_clIS8_S8_S9_S9_EESD_ST_SE_SF_SG_EUlST_E_NS1_11comp_targetILNS1_3genE9ELNS1_11target_archE1100ELNS1_3gpuE3ELNS1_3repE0EEENS1_48merge_mergepath_partition_config_static_selectorELNS0_4arch9wavefront6targetE1EEEvSF_
	.p2align	8
	.type	_ZN7rocprim17ROCPRIM_400000_NS6detail17trampoline_kernelINS0_14default_configENS1_38merge_sort_block_merge_config_selectorIlNS0_10empty_typeEEEZZNS1_27merge_sort_block_merge_implIS3_PlPS5_jNS1_19radix_merge_compareILb0ELb0ElNS0_19identity_decomposerEEEEE10hipError_tT0_T1_T2_jT3_P12ihipStream_tbPNSt15iterator_traitsISE_E10value_typeEPNSK_ISF_E10value_typeEPSG_NS1_7vsmem_tEENKUlT_SE_SF_SG_E_clIS8_S8_S9_S9_EESD_ST_SE_SF_SG_EUlST_E_NS1_11comp_targetILNS1_3genE9ELNS1_11target_archE1100ELNS1_3gpuE3ELNS1_3repE0EEENS1_48merge_mergepath_partition_config_static_selectorELNS0_4arch9wavefront6targetE1EEEvSF_,@function
_ZN7rocprim17ROCPRIM_400000_NS6detail17trampoline_kernelINS0_14default_configENS1_38merge_sort_block_merge_config_selectorIlNS0_10empty_typeEEEZZNS1_27merge_sort_block_merge_implIS3_PlPS5_jNS1_19radix_merge_compareILb0ELb0ElNS0_19identity_decomposerEEEEE10hipError_tT0_T1_T2_jT3_P12ihipStream_tbPNSt15iterator_traitsISE_E10value_typeEPNSK_ISF_E10value_typeEPSG_NS1_7vsmem_tEENKUlT_SE_SF_SG_E_clIS8_S8_S9_S9_EESD_ST_SE_SF_SG_EUlST_E_NS1_11comp_targetILNS1_3genE9ELNS1_11target_archE1100ELNS1_3gpuE3ELNS1_3repE0EEENS1_48merge_mergepath_partition_config_static_selectorELNS0_4arch9wavefront6targetE1EEEvSF_: ; @_ZN7rocprim17ROCPRIM_400000_NS6detail17trampoline_kernelINS0_14default_configENS1_38merge_sort_block_merge_config_selectorIlNS0_10empty_typeEEEZZNS1_27merge_sort_block_merge_implIS3_PlPS5_jNS1_19radix_merge_compareILb0ELb0ElNS0_19identity_decomposerEEEEE10hipError_tT0_T1_T2_jT3_P12ihipStream_tbPNSt15iterator_traitsISE_E10value_typeEPNSK_ISF_E10value_typeEPSG_NS1_7vsmem_tEENKUlT_SE_SF_SG_E_clIS8_S8_S9_S9_EESD_ST_SE_SF_SG_EUlST_E_NS1_11comp_targetILNS1_3genE9ELNS1_11target_archE1100ELNS1_3gpuE3ELNS1_3repE0EEENS1_48merge_mergepath_partition_config_static_selectorELNS0_4arch9wavefront6targetE1EEEvSF_
; %bb.0:
	.section	.rodata,"a",@progbits
	.p2align	6, 0x0
	.amdhsa_kernel _ZN7rocprim17ROCPRIM_400000_NS6detail17trampoline_kernelINS0_14default_configENS1_38merge_sort_block_merge_config_selectorIlNS0_10empty_typeEEEZZNS1_27merge_sort_block_merge_implIS3_PlPS5_jNS1_19radix_merge_compareILb0ELb0ElNS0_19identity_decomposerEEEEE10hipError_tT0_T1_T2_jT3_P12ihipStream_tbPNSt15iterator_traitsISE_E10value_typeEPNSK_ISF_E10value_typeEPSG_NS1_7vsmem_tEENKUlT_SE_SF_SG_E_clIS8_S8_S9_S9_EESD_ST_SE_SF_SG_EUlST_E_NS1_11comp_targetILNS1_3genE9ELNS1_11target_archE1100ELNS1_3gpuE3ELNS1_3repE0EEENS1_48merge_mergepath_partition_config_static_selectorELNS0_4arch9wavefront6targetE1EEEvSF_
		.amdhsa_group_segment_fixed_size 0
		.amdhsa_private_segment_fixed_size 0
		.amdhsa_kernarg_size 40
		.amdhsa_user_sgpr_count 6
		.amdhsa_user_sgpr_private_segment_buffer 1
		.amdhsa_user_sgpr_dispatch_ptr 0
		.amdhsa_user_sgpr_queue_ptr 0
		.amdhsa_user_sgpr_kernarg_segment_ptr 1
		.amdhsa_user_sgpr_dispatch_id 0
		.amdhsa_user_sgpr_flat_scratch_init 0
		.amdhsa_user_sgpr_kernarg_preload_length 0
		.amdhsa_user_sgpr_kernarg_preload_offset 0
		.amdhsa_user_sgpr_private_segment_size 0
		.amdhsa_uses_dynamic_stack 0
		.amdhsa_system_sgpr_private_segment_wavefront_offset 0
		.amdhsa_system_sgpr_workgroup_id_x 1
		.amdhsa_system_sgpr_workgroup_id_y 0
		.amdhsa_system_sgpr_workgroup_id_z 0
		.amdhsa_system_sgpr_workgroup_info 0
		.amdhsa_system_vgpr_workitem_id 0
		.amdhsa_next_free_vgpr 1
		.amdhsa_next_free_sgpr 0
		.amdhsa_accum_offset 4
		.amdhsa_reserve_vcc 0
		.amdhsa_reserve_flat_scratch 0
		.amdhsa_float_round_mode_32 0
		.amdhsa_float_round_mode_16_64 0
		.amdhsa_float_denorm_mode_32 3
		.amdhsa_float_denorm_mode_16_64 3
		.amdhsa_dx10_clamp 1
		.amdhsa_ieee_mode 1
		.amdhsa_fp16_overflow 0
		.amdhsa_tg_split 0
		.amdhsa_exception_fp_ieee_invalid_op 0
		.amdhsa_exception_fp_denorm_src 0
		.amdhsa_exception_fp_ieee_div_zero 0
		.amdhsa_exception_fp_ieee_overflow 0
		.amdhsa_exception_fp_ieee_underflow 0
		.amdhsa_exception_fp_ieee_inexact 0
		.amdhsa_exception_int_div_zero 0
	.end_amdhsa_kernel
	.section	.text._ZN7rocprim17ROCPRIM_400000_NS6detail17trampoline_kernelINS0_14default_configENS1_38merge_sort_block_merge_config_selectorIlNS0_10empty_typeEEEZZNS1_27merge_sort_block_merge_implIS3_PlPS5_jNS1_19radix_merge_compareILb0ELb0ElNS0_19identity_decomposerEEEEE10hipError_tT0_T1_T2_jT3_P12ihipStream_tbPNSt15iterator_traitsISE_E10value_typeEPNSK_ISF_E10value_typeEPSG_NS1_7vsmem_tEENKUlT_SE_SF_SG_E_clIS8_S8_S9_S9_EESD_ST_SE_SF_SG_EUlST_E_NS1_11comp_targetILNS1_3genE9ELNS1_11target_archE1100ELNS1_3gpuE3ELNS1_3repE0EEENS1_48merge_mergepath_partition_config_static_selectorELNS0_4arch9wavefront6targetE1EEEvSF_,"axG",@progbits,_ZN7rocprim17ROCPRIM_400000_NS6detail17trampoline_kernelINS0_14default_configENS1_38merge_sort_block_merge_config_selectorIlNS0_10empty_typeEEEZZNS1_27merge_sort_block_merge_implIS3_PlPS5_jNS1_19radix_merge_compareILb0ELb0ElNS0_19identity_decomposerEEEEE10hipError_tT0_T1_T2_jT3_P12ihipStream_tbPNSt15iterator_traitsISE_E10value_typeEPNSK_ISF_E10value_typeEPSG_NS1_7vsmem_tEENKUlT_SE_SF_SG_E_clIS8_S8_S9_S9_EESD_ST_SE_SF_SG_EUlST_E_NS1_11comp_targetILNS1_3genE9ELNS1_11target_archE1100ELNS1_3gpuE3ELNS1_3repE0EEENS1_48merge_mergepath_partition_config_static_selectorELNS0_4arch9wavefront6targetE1EEEvSF_,comdat
.Lfunc_end802:
	.size	_ZN7rocprim17ROCPRIM_400000_NS6detail17trampoline_kernelINS0_14default_configENS1_38merge_sort_block_merge_config_selectorIlNS0_10empty_typeEEEZZNS1_27merge_sort_block_merge_implIS3_PlPS5_jNS1_19radix_merge_compareILb0ELb0ElNS0_19identity_decomposerEEEEE10hipError_tT0_T1_T2_jT3_P12ihipStream_tbPNSt15iterator_traitsISE_E10value_typeEPNSK_ISF_E10value_typeEPSG_NS1_7vsmem_tEENKUlT_SE_SF_SG_E_clIS8_S8_S9_S9_EESD_ST_SE_SF_SG_EUlST_E_NS1_11comp_targetILNS1_3genE9ELNS1_11target_archE1100ELNS1_3gpuE3ELNS1_3repE0EEENS1_48merge_mergepath_partition_config_static_selectorELNS0_4arch9wavefront6targetE1EEEvSF_, .Lfunc_end802-_ZN7rocprim17ROCPRIM_400000_NS6detail17trampoline_kernelINS0_14default_configENS1_38merge_sort_block_merge_config_selectorIlNS0_10empty_typeEEEZZNS1_27merge_sort_block_merge_implIS3_PlPS5_jNS1_19radix_merge_compareILb0ELb0ElNS0_19identity_decomposerEEEEE10hipError_tT0_T1_T2_jT3_P12ihipStream_tbPNSt15iterator_traitsISE_E10value_typeEPNSK_ISF_E10value_typeEPSG_NS1_7vsmem_tEENKUlT_SE_SF_SG_E_clIS8_S8_S9_S9_EESD_ST_SE_SF_SG_EUlST_E_NS1_11comp_targetILNS1_3genE9ELNS1_11target_archE1100ELNS1_3gpuE3ELNS1_3repE0EEENS1_48merge_mergepath_partition_config_static_selectorELNS0_4arch9wavefront6targetE1EEEvSF_
                                        ; -- End function
	.section	.AMDGPU.csdata,"",@progbits
; Kernel info:
; codeLenInByte = 0
; NumSgprs: 4
; NumVgprs: 0
; NumAgprs: 0
; TotalNumVgprs: 0
; ScratchSize: 0
; MemoryBound: 0
; FloatMode: 240
; IeeeMode: 1
; LDSByteSize: 0 bytes/workgroup (compile time only)
; SGPRBlocks: 0
; VGPRBlocks: 0
; NumSGPRsForWavesPerEU: 4
; NumVGPRsForWavesPerEU: 1
; AccumOffset: 4
; Occupancy: 8
; WaveLimiterHint : 0
; COMPUTE_PGM_RSRC2:SCRATCH_EN: 0
; COMPUTE_PGM_RSRC2:USER_SGPR: 6
; COMPUTE_PGM_RSRC2:TRAP_HANDLER: 0
; COMPUTE_PGM_RSRC2:TGID_X_EN: 1
; COMPUTE_PGM_RSRC2:TGID_Y_EN: 0
; COMPUTE_PGM_RSRC2:TGID_Z_EN: 0
; COMPUTE_PGM_RSRC2:TIDIG_COMP_CNT: 0
; COMPUTE_PGM_RSRC3_GFX90A:ACCUM_OFFSET: 0
; COMPUTE_PGM_RSRC3_GFX90A:TG_SPLIT: 0
	.section	.text._ZN7rocprim17ROCPRIM_400000_NS6detail17trampoline_kernelINS0_14default_configENS1_38merge_sort_block_merge_config_selectorIlNS0_10empty_typeEEEZZNS1_27merge_sort_block_merge_implIS3_PlPS5_jNS1_19radix_merge_compareILb0ELb0ElNS0_19identity_decomposerEEEEE10hipError_tT0_T1_T2_jT3_P12ihipStream_tbPNSt15iterator_traitsISE_E10value_typeEPNSK_ISF_E10value_typeEPSG_NS1_7vsmem_tEENKUlT_SE_SF_SG_E_clIS8_S8_S9_S9_EESD_ST_SE_SF_SG_EUlST_E_NS1_11comp_targetILNS1_3genE8ELNS1_11target_archE1030ELNS1_3gpuE2ELNS1_3repE0EEENS1_48merge_mergepath_partition_config_static_selectorELNS0_4arch9wavefront6targetE1EEEvSF_,"axG",@progbits,_ZN7rocprim17ROCPRIM_400000_NS6detail17trampoline_kernelINS0_14default_configENS1_38merge_sort_block_merge_config_selectorIlNS0_10empty_typeEEEZZNS1_27merge_sort_block_merge_implIS3_PlPS5_jNS1_19radix_merge_compareILb0ELb0ElNS0_19identity_decomposerEEEEE10hipError_tT0_T1_T2_jT3_P12ihipStream_tbPNSt15iterator_traitsISE_E10value_typeEPNSK_ISF_E10value_typeEPSG_NS1_7vsmem_tEENKUlT_SE_SF_SG_E_clIS8_S8_S9_S9_EESD_ST_SE_SF_SG_EUlST_E_NS1_11comp_targetILNS1_3genE8ELNS1_11target_archE1030ELNS1_3gpuE2ELNS1_3repE0EEENS1_48merge_mergepath_partition_config_static_selectorELNS0_4arch9wavefront6targetE1EEEvSF_,comdat
	.protected	_ZN7rocprim17ROCPRIM_400000_NS6detail17trampoline_kernelINS0_14default_configENS1_38merge_sort_block_merge_config_selectorIlNS0_10empty_typeEEEZZNS1_27merge_sort_block_merge_implIS3_PlPS5_jNS1_19radix_merge_compareILb0ELb0ElNS0_19identity_decomposerEEEEE10hipError_tT0_T1_T2_jT3_P12ihipStream_tbPNSt15iterator_traitsISE_E10value_typeEPNSK_ISF_E10value_typeEPSG_NS1_7vsmem_tEENKUlT_SE_SF_SG_E_clIS8_S8_S9_S9_EESD_ST_SE_SF_SG_EUlST_E_NS1_11comp_targetILNS1_3genE8ELNS1_11target_archE1030ELNS1_3gpuE2ELNS1_3repE0EEENS1_48merge_mergepath_partition_config_static_selectorELNS0_4arch9wavefront6targetE1EEEvSF_ ; -- Begin function _ZN7rocprim17ROCPRIM_400000_NS6detail17trampoline_kernelINS0_14default_configENS1_38merge_sort_block_merge_config_selectorIlNS0_10empty_typeEEEZZNS1_27merge_sort_block_merge_implIS3_PlPS5_jNS1_19radix_merge_compareILb0ELb0ElNS0_19identity_decomposerEEEEE10hipError_tT0_T1_T2_jT3_P12ihipStream_tbPNSt15iterator_traitsISE_E10value_typeEPNSK_ISF_E10value_typeEPSG_NS1_7vsmem_tEENKUlT_SE_SF_SG_E_clIS8_S8_S9_S9_EESD_ST_SE_SF_SG_EUlST_E_NS1_11comp_targetILNS1_3genE8ELNS1_11target_archE1030ELNS1_3gpuE2ELNS1_3repE0EEENS1_48merge_mergepath_partition_config_static_selectorELNS0_4arch9wavefront6targetE1EEEvSF_
	.globl	_ZN7rocprim17ROCPRIM_400000_NS6detail17trampoline_kernelINS0_14default_configENS1_38merge_sort_block_merge_config_selectorIlNS0_10empty_typeEEEZZNS1_27merge_sort_block_merge_implIS3_PlPS5_jNS1_19radix_merge_compareILb0ELb0ElNS0_19identity_decomposerEEEEE10hipError_tT0_T1_T2_jT3_P12ihipStream_tbPNSt15iterator_traitsISE_E10value_typeEPNSK_ISF_E10value_typeEPSG_NS1_7vsmem_tEENKUlT_SE_SF_SG_E_clIS8_S8_S9_S9_EESD_ST_SE_SF_SG_EUlST_E_NS1_11comp_targetILNS1_3genE8ELNS1_11target_archE1030ELNS1_3gpuE2ELNS1_3repE0EEENS1_48merge_mergepath_partition_config_static_selectorELNS0_4arch9wavefront6targetE1EEEvSF_
	.p2align	8
	.type	_ZN7rocprim17ROCPRIM_400000_NS6detail17trampoline_kernelINS0_14default_configENS1_38merge_sort_block_merge_config_selectorIlNS0_10empty_typeEEEZZNS1_27merge_sort_block_merge_implIS3_PlPS5_jNS1_19radix_merge_compareILb0ELb0ElNS0_19identity_decomposerEEEEE10hipError_tT0_T1_T2_jT3_P12ihipStream_tbPNSt15iterator_traitsISE_E10value_typeEPNSK_ISF_E10value_typeEPSG_NS1_7vsmem_tEENKUlT_SE_SF_SG_E_clIS8_S8_S9_S9_EESD_ST_SE_SF_SG_EUlST_E_NS1_11comp_targetILNS1_3genE8ELNS1_11target_archE1030ELNS1_3gpuE2ELNS1_3repE0EEENS1_48merge_mergepath_partition_config_static_selectorELNS0_4arch9wavefront6targetE1EEEvSF_,@function
_ZN7rocprim17ROCPRIM_400000_NS6detail17trampoline_kernelINS0_14default_configENS1_38merge_sort_block_merge_config_selectorIlNS0_10empty_typeEEEZZNS1_27merge_sort_block_merge_implIS3_PlPS5_jNS1_19radix_merge_compareILb0ELb0ElNS0_19identity_decomposerEEEEE10hipError_tT0_T1_T2_jT3_P12ihipStream_tbPNSt15iterator_traitsISE_E10value_typeEPNSK_ISF_E10value_typeEPSG_NS1_7vsmem_tEENKUlT_SE_SF_SG_E_clIS8_S8_S9_S9_EESD_ST_SE_SF_SG_EUlST_E_NS1_11comp_targetILNS1_3genE8ELNS1_11target_archE1030ELNS1_3gpuE2ELNS1_3repE0EEENS1_48merge_mergepath_partition_config_static_selectorELNS0_4arch9wavefront6targetE1EEEvSF_: ; @_ZN7rocprim17ROCPRIM_400000_NS6detail17trampoline_kernelINS0_14default_configENS1_38merge_sort_block_merge_config_selectorIlNS0_10empty_typeEEEZZNS1_27merge_sort_block_merge_implIS3_PlPS5_jNS1_19radix_merge_compareILb0ELb0ElNS0_19identity_decomposerEEEEE10hipError_tT0_T1_T2_jT3_P12ihipStream_tbPNSt15iterator_traitsISE_E10value_typeEPNSK_ISF_E10value_typeEPSG_NS1_7vsmem_tEENKUlT_SE_SF_SG_E_clIS8_S8_S9_S9_EESD_ST_SE_SF_SG_EUlST_E_NS1_11comp_targetILNS1_3genE8ELNS1_11target_archE1030ELNS1_3gpuE2ELNS1_3repE0EEENS1_48merge_mergepath_partition_config_static_selectorELNS0_4arch9wavefront6targetE1EEEvSF_
; %bb.0:
	.section	.rodata,"a",@progbits
	.p2align	6, 0x0
	.amdhsa_kernel _ZN7rocprim17ROCPRIM_400000_NS6detail17trampoline_kernelINS0_14default_configENS1_38merge_sort_block_merge_config_selectorIlNS0_10empty_typeEEEZZNS1_27merge_sort_block_merge_implIS3_PlPS5_jNS1_19radix_merge_compareILb0ELb0ElNS0_19identity_decomposerEEEEE10hipError_tT0_T1_T2_jT3_P12ihipStream_tbPNSt15iterator_traitsISE_E10value_typeEPNSK_ISF_E10value_typeEPSG_NS1_7vsmem_tEENKUlT_SE_SF_SG_E_clIS8_S8_S9_S9_EESD_ST_SE_SF_SG_EUlST_E_NS1_11comp_targetILNS1_3genE8ELNS1_11target_archE1030ELNS1_3gpuE2ELNS1_3repE0EEENS1_48merge_mergepath_partition_config_static_selectorELNS0_4arch9wavefront6targetE1EEEvSF_
		.amdhsa_group_segment_fixed_size 0
		.amdhsa_private_segment_fixed_size 0
		.amdhsa_kernarg_size 40
		.amdhsa_user_sgpr_count 6
		.amdhsa_user_sgpr_private_segment_buffer 1
		.amdhsa_user_sgpr_dispatch_ptr 0
		.amdhsa_user_sgpr_queue_ptr 0
		.amdhsa_user_sgpr_kernarg_segment_ptr 1
		.amdhsa_user_sgpr_dispatch_id 0
		.amdhsa_user_sgpr_flat_scratch_init 0
		.amdhsa_user_sgpr_kernarg_preload_length 0
		.amdhsa_user_sgpr_kernarg_preload_offset 0
		.amdhsa_user_sgpr_private_segment_size 0
		.amdhsa_uses_dynamic_stack 0
		.amdhsa_system_sgpr_private_segment_wavefront_offset 0
		.amdhsa_system_sgpr_workgroup_id_x 1
		.amdhsa_system_sgpr_workgroup_id_y 0
		.amdhsa_system_sgpr_workgroup_id_z 0
		.amdhsa_system_sgpr_workgroup_info 0
		.amdhsa_system_vgpr_workitem_id 0
		.amdhsa_next_free_vgpr 1
		.amdhsa_next_free_sgpr 0
		.amdhsa_accum_offset 4
		.amdhsa_reserve_vcc 0
		.amdhsa_reserve_flat_scratch 0
		.amdhsa_float_round_mode_32 0
		.amdhsa_float_round_mode_16_64 0
		.amdhsa_float_denorm_mode_32 3
		.amdhsa_float_denorm_mode_16_64 3
		.amdhsa_dx10_clamp 1
		.amdhsa_ieee_mode 1
		.amdhsa_fp16_overflow 0
		.amdhsa_tg_split 0
		.amdhsa_exception_fp_ieee_invalid_op 0
		.amdhsa_exception_fp_denorm_src 0
		.amdhsa_exception_fp_ieee_div_zero 0
		.amdhsa_exception_fp_ieee_overflow 0
		.amdhsa_exception_fp_ieee_underflow 0
		.amdhsa_exception_fp_ieee_inexact 0
		.amdhsa_exception_int_div_zero 0
	.end_amdhsa_kernel
	.section	.text._ZN7rocprim17ROCPRIM_400000_NS6detail17trampoline_kernelINS0_14default_configENS1_38merge_sort_block_merge_config_selectorIlNS0_10empty_typeEEEZZNS1_27merge_sort_block_merge_implIS3_PlPS5_jNS1_19radix_merge_compareILb0ELb0ElNS0_19identity_decomposerEEEEE10hipError_tT0_T1_T2_jT3_P12ihipStream_tbPNSt15iterator_traitsISE_E10value_typeEPNSK_ISF_E10value_typeEPSG_NS1_7vsmem_tEENKUlT_SE_SF_SG_E_clIS8_S8_S9_S9_EESD_ST_SE_SF_SG_EUlST_E_NS1_11comp_targetILNS1_3genE8ELNS1_11target_archE1030ELNS1_3gpuE2ELNS1_3repE0EEENS1_48merge_mergepath_partition_config_static_selectorELNS0_4arch9wavefront6targetE1EEEvSF_,"axG",@progbits,_ZN7rocprim17ROCPRIM_400000_NS6detail17trampoline_kernelINS0_14default_configENS1_38merge_sort_block_merge_config_selectorIlNS0_10empty_typeEEEZZNS1_27merge_sort_block_merge_implIS3_PlPS5_jNS1_19radix_merge_compareILb0ELb0ElNS0_19identity_decomposerEEEEE10hipError_tT0_T1_T2_jT3_P12ihipStream_tbPNSt15iterator_traitsISE_E10value_typeEPNSK_ISF_E10value_typeEPSG_NS1_7vsmem_tEENKUlT_SE_SF_SG_E_clIS8_S8_S9_S9_EESD_ST_SE_SF_SG_EUlST_E_NS1_11comp_targetILNS1_3genE8ELNS1_11target_archE1030ELNS1_3gpuE2ELNS1_3repE0EEENS1_48merge_mergepath_partition_config_static_selectorELNS0_4arch9wavefront6targetE1EEEvSF_,comdat
.Lfunc_end803:
	.size	_ZN7rocprim17ROCPRIM_400000_NS6detail17trampoline_kernelINS0_14default_configENS1_38merge_sort_block_merge_config_selectorIlNS0_10empty_typeEEEZZNS1_27merge_sort_block_merge_implIS3_PlPS5_jNS1_19radix_merge_compareILb0ELb0ElNS0_19identity_decomposerEEEEE10hipError_tT0_T1_T2_jT3_P12ihipStream_tbPNSt15iterator_traitsISE_E10value_typeEPNSK_ISF_E10value_typeEPSG_NS1_7vsmem_tEENKUlT_SE_SF_SG_E_clIS8_S8_S9_S9_EESD_ST_SE_SF_SG_EUlST_E_NS1_11comp_targetILNS1_3genE8ELNS1_11target_archE1030ELNS1_3gpuE2ELNS1_3repE0EEENS1_48merge_mergepath_partition_config_static_selectorELNS0_4arch9wavefront6targetE1EEEvSF_, .Lfunc_end803-_ZN7rocprim17ROCPRIM_400000_NS6detail17trampoline_kernelINS0_14default_configENS1_38merge_sort_block_merge_config_selectorIlNS0_10empty_typeEEEZZNS1_27merge_sort_block_merge_implIS3_PlPS5_jNS1_19radix_merge_compareILb0ELb0ElNS0_19identity_decomposerEEEEE10hipError_tT0_T1_T2_jT3_P12ihipStream_tbPNSt15iterator_traitsISE_E10value_typeEPNSK_ISF_E10value_typeEPSG_NS1_7vsmem_tEENKUlT_SE_SF_SG_E_clIS8_S8_S9_S9_EESD_ST_SE_SF_SG_EUlST_E_NS1_11comp_targetILNS1_3genE8ELNS1_11target_archE1030ELNS1_3gpuE2ELNS1_3repE0EEENS1_48merge_mergepath_partition_config_static_selectorELNS0_4arch9wavefront6targetE1EEEvSF_
                                        ; -- End function
	.section	.AMDGPU.csdata,"",@progbits
; Kernel info:
; codeLenInByte = 0
; NumSgprs: 4
; NumVgprs: 0
; NumAgprs: 0
; TotalNumVgprs: 0
; ScratchSize: 0
; MemoryBound: 0
; FloatMode: 240
; IeeeMode: 1
; LDSByteSize: 0 bytes/workgroup (compile time only)
; SGPRBlocks: 0
; VGPRBlocks: 0
; NumSGPRsForWavesPerEU: 4
; NumVGPRsForWavesPerEU: 1
; AccumOffset: 4
; Occupancy: 8
; WaveLimiterHint : 0
; COMPUTE_PGM_RSRC2:SCRATCH_EN: 0
; COMPUTE_PGM_RSRC2:USER_SGPR: 6
; COMPUTE_PGM_RSRC2:TRAP_HANDLER: 0
; COMPUTE_PGM_RSRC2:TGID_X_EN: 1
; COMPUTE_PGM_RSRC2:TGID_Y_EN: 0
; COMPUTE_PGM_RSRC2:TGID_Z_EN: 0
; COMPUTE_PGM_RSRC2:TIDIG_COMP_CNT: 0
; COMPUTE_PGM_RSRC3_GFX90A:ACCUM_OFFSET: 0
; COMPUTE_PGM_RSRC3_GFX90A:TG_SPLIT: 0
	.section	.text._ZN7rocprim17ROCPRIM_400000_NS6detail17trampoline_kernelINS0_14default_configENS1_38merge_sort_block_merge_config_selectorIlNS0_10empty_typeEEEZZNS1_27merge_sort_block_merge_implIS3_PlPS5_jNS1_19radix_merge_compareILb0ELb0ElNS0_19identity_decomposerEEEEE10hipError_tT0_T1_T2_jT3_P12ihipStream_tbPNSt15iterator_traitsISE_E10value_typeEPNSK_ISF_E10value_typeEPSG_NS1_7vsmem_tEENKUlT_SE_SF_SG_E_clIS8_S8_S9_S9_EESD_ST_SE_SF_SG_EUlST_E0_NS1_11comp_targetILNS1_3genE0ELNS1_11target_archE4294967295ELNS1_3gpuE0ELNS1_3repE0EEENS1_38merge_mergepath_config_static_selectorELNS0_4arch9wavefront6targetE1EEEvSF_,"axG",@progbits,_ZN7rocprim17ROCPRIM_400000_NS6detail17trampoline_kernelINS0_14default_configENS1_38merge_sort_block_merge_config_selectorIlNS0_10empty_typeEEEZZNS1_27merge_sort_block_merge_implIS3_PlPS5_jNS1_19radix_merge_compareILb0ELb0ElNS0_19identity_decomposerEEEEE10hipError_tT0_T1_T2_jT3_P12ihipStream_tbPNSt15iterator_traitsISE_E10value_typeEPNSK_ISF_E10value_typeEPSG_NS1_7vsmem_tEENKUlT_SE_SF_SG_E_clIS8_S8_S9_S9_EESD_ST_SE_SF_SG_EUlST_E0_NS1_11comp_targetILNS1_3genE0ELNS1_11target_archE4294967295ELNS1_3gpuE0ELNS1_3repE0EEENS1_38merge_mergepath_config_static_selectorELNS0_4arch9wavefront6targetE1EEEvSF_,comdat
	.protected	_ZN7rocprim17ROCPRIM_400000_NS6detail17trampoline_kernelINS0_14default_configENS1_38merge_sort_block_merge_config_selectorIlNS0_10empty_typeEEEZZNS1_27merge_sort_block_merge_implIS3_PlPS5_jNS1_19radix_merge_compareILb0ELb0ElNS0_19identity_decomposerEEEEE10hipError_tT0_T1_T2_jT3_P12ihipStream_tbPNSt15iterator_traitsISE_E10value_typeEPNSK_ISF_E10value_typeEPSG_NS1_7vsmem_tEENKUlT_SE_SF_SG_E_clIS8_S8_S9_S9_EESD_ST_SE_SF_SG_EUlST_E0_NS1_11comp_targetILNS1_3genE0ELNS1_11target_archE4294967295ELNS1_3gpuE0ELNS1_3repE0EEENS1_38merge_mergepath_config_static_selectorELNS0_4arch9wavefront6targetE1EEEvSF_ ; -- Begin function _ZN7rocprim17ROCPRIM_400000_NS6detail17trampoline_kernelINS0_14default_configENS1_38merge_sort_block_merge_config_selectorIlNS0_10empty_typeEEEZZNS1_27merge_sort_block_merge_implIS3_PlPS5_jNS1_19radix_merge_compareILb0ELb0ElNS0_19identity_decomposerEEEEE10hipError_tT0_T1_T2_jT3_P12ihipStream_tbPNSt15iterator_traitsISE_E10value_typeEPNSK_ISF_E10value_typeEPSG_NS1_7vsmem_tEENKUlT_SE_SF_SG_E_clIS8_S8_S9_S9_EESD_ST_SE_SF_SG_EUlST_E0_NS1_11comp_targetILNS1_3genE0ELNS1_11target_archE4294967295ELNS1_3gpuE0ELNS1_3repE0EEENS1_38merge_mergepath_config_static_selectorELNS0_4arch9wavefront6targetE1EEEvSF_
	.globl	_ZN7rocprim17ROCPRIM_400000_NS6detail17trampoline_kernelINS0_14default_configENS1_38merge_sort_block_merge_config_selectorIlNS0_10empty_typeEEEZZNS1_27merge_sort_block_merge_implIS3_PlPS5_jNS1_19radix_merge_compareILb0ELb0ElNS0_19identity_decomposerEEEEE10hipError_tT0_T1_T2_jT3_P12ihipStream_tbPNSt15iterator_traitsISE_E10value_typeEPNSK_ISF_E10value_typeEPSG_NS1_7vsmem_tEENKUlT_SE_SF_SG_E_clIS8_S8_S9_S9_EESD_ST_SE_SF_SG_EUlST_E0_NS1_11comp_targetILNS1_3genE0ELNS1_11target_archE4294967295ELNS1_3gpuE0ELNS1_3repE0EEENS1_38merge_mergepath_config_static_selectorELNS0_4arch9wavefront6targetE1EEEvSF_
	.p2align	8
	.type	_ZN7rocprim17ROCPRIM_400000_NS6detail17trampoline_kernelINS0_14default_configENS1_38merge_sort_block_merge_config_selectorIlNS0_10empty_typeEEEZZNS1_27merge_sort_block_merge_implIS3_PlPS5_jNS1_19radix_merge_compareILb0ELb0ElNS0_19identity_decomposerEEEEE10hipError_tT0_T1_T2_jT3_P12ihipStream_tbPNSt15iterator_traitsISE_E10value_typeEPNSK_ISF_E10value_typeEPSG_NS1_7vsmem_tEENKUlT_SE_SF_SG_E_clIS8_S8_S9_S9_EESD_ST_SE_SF_SG_EUlST_E0_NS1_11comp_targetILNS1_3genE0ELNS1_11target_archE4294967295ELNS1_3gpuE0ELNS1_3repE0EEENS1_38merge_mergepath_config_static_selectorELNS0_4arch9wavefront6targetE1EEEvSF_,@function
_ZN7rocprim17ROCPRIM_400000_NS6detail17trampoline_kernelINS0_14default_configENS1_38merge_sort_block_merge_config_selectorIlNS0_10empty_typeEEEZZNS1_27merge_sort_block_merge_implIS3_PlPS5_jNS1_19radix_merge_compareILb0ELb0ElNS0_19identity_decomposerEEEEE10hipError_tT0_T1_T2_jT3_P12ihipStream_tbPNSt15iterator_traitsISE_E10value_typeEPNSK_ISF_E10value_typeEPSG_NS1_7vsmem_tEENKUlT_SE_SF_SG_E_clIS8_S8_S9_S9_EESD_ST_SE_SF_SG_EUlST_E0_NS1_11comp_targetILNS1_3genE0ELNS1_11target_archE4294967295ELNS1_3gpuE0ELNS1_3repE0EEENS1_38merge_mergepath_config_static_selectorELNS0_4arch9wavefront6targetE1EEEvSF_: ; @_ZN7rocprim17ROCPRIM_400000_NS6detail17trampoline_kernelINS0_14default_configENS1_38merge_sort_block_merge_config_selectorIlNS0_10empty_typeEEEZZNS1_27merge_sort_block_merge_implIS3_PlPS5_jNS1_19radix_merge_compareILb0ELb0ElNS0_19identity_decomposerEEEEE10hipError_tT0_T1_T2_jT3_P12ihipStream_tbPNSt15iterator_traitsISE_E10value_typeEPNSK_ISF_E10value_typeEPSG_NS1_7vsmem_tEENKUlT_SE_SF_SG_E_clIS8_S8_S9_S9_EESD_ST_SE_SF_SG_EUlST_E0_NS1_11comp_targetILNS1_3genE0ELNS1_11target_archE4294967295ELNS1_3gpuE0ELNS1_3repE0EEENS1_38merge_mergepath_config_static_selectorELNS0_4arch9wavefront6targetE1EEEvSF_
; %bb.0:
	.section	.rodata,"a",@progbits
	.p2align	6, 0x0
	.amdhsa_kernel _ZN7rocprim17ROCPRIM_400000_NS6detail17trampoline_kernelINS0_14default_configENS1_38merge_sort_block_merge_config_selectorIlNS0_10empty_typeEEEZZNS1_27merge_sort_block_merge_implIS3_PlPS5_jNS1_19radix_merge_compareILb0ELb0ElNS0_19identity_decomposerEEEEE10hipError_tT0_T1_T2_jT3_P12ihipStream_tbPNSt15iterator_traitsISE_E10value_typeEPNSK_ISF_E10value_typeEPSG_NS1_7vsmem_tEENKUlT_SE_SF_SG_E_clIS8_S8_S9_S9_EESD_ST_SE_SF_SG_EUlST_E0_NS1_11comp_targetILNS1_3genE0ELNS1_11target_archE4294967295ELNS1_3gpuE0ELNS1_3repE0EEENS1_38merge_mergepath_config_static_selectorELNS0_4arch9wavefront6targetE1EEEvSF_
		.amdhsa_group_segment_fixed_size 0
		.amdhsa_private_segment_fixed_size 0
		.amdhsa_kernarg_size 64
		.amdhsa_user_sgpr_count 6
		.amdhsa_user_sgpr_private_segment_buffer 1
		.amdhsa_user_sgpr_dispatch_ptr 0
		.amdhsa_user_sgpr_queue_ptr 0
		.amdhsa_user_sgpr_kernarg_segment_ptr 1
		.amdhsa_user_sgpr_dispatch_id 0
		.amdhsa_user_sgpr_flat_scratch_init 0
		.amdhsa_user_sgpr_kernarg_preload_length 0
		.amdhsa_user_sgpr_kernarg_preload_offset 0
		.amdhsa_user_sgpr_private_segment_size 0
		.amdhsa_uses_dynamic_stack 0
		.amdhsa_system_sgpr_private_segment_wavefront_offset 0
		.amdhsa_system_sgpr_workgroup_id_x 1
		.amdhsa_system_sgpr_workgroup_id_y 0
		.amdhsa_system_sgpr_workgroup_id_z 0
		.amdhsa_system_sgpr_workgroup_info 0
		.amdhsa_system_vgpr_workitem_id 0
		.amdhsa_next_free_vgpr 1
		.amdhsa_next_free_sgpr 0
		.amdhsa_accum_offset 4
		.amdhsa_reserve_vcc 0
		.amdhsa_reserve_flat_scratch 0
		.amdhsa_float_round_mode_32 0
		.amdhsa_float_round_mode_16_64 0
		.amdhsa_float_denorm_mode_32 3
		.amdhsa_float_denorm_mode_16_64 3
		.amdhsa_dx10_clamp 1
		.amdhsa_ieee_mode 1
		.amdhsa_fp16_overflow 0
		.amdhsa_tg_split 0
		.amdhsa_exception_fp_ieee_invalid_op 0
		.amdhsa_exception_fp_denorm_src 0
		.amdhsa_exception_fp_ieee_div_zero 0
		.amdhsa_exception_fp_ieee_overflow 0
		.amdhsa_exception_fp_ieee_underflow 0
		.amdhsa_exception_fp_ieee_inexact 0
		.amdhsa_exception_int_div_zero 0
	.end_amdhsa_kernel
	.section	.text._ZN7rocprim17ROCPRIM_400000_NS6detail17trampoline_kernelINS0_14default_configENS1_38merge_sort_block_merge_config_selectorIlNS0_10empty_typeEEEZZNS1_27merge_sort_block_merge_implIS3_PlPS5_jNS1_19radix_merge_compareILb0ELb0ElNS0_19identity_decomposerEEEEE10hipError_tT0_T1_T2_jT3_P12ihipStream_tbPNSt15iterator_traitsISE_E10value_typeEPNSK_ISF_E10value_typeEPSG_NS1_7vsmem_tEENKUlT_SE_SF_SG_E_clIS8_S8_S9_S9_EESD_ST_SE_SF_SG_EUlST_E0_NS1_11comp_targetILNS1_3genE0ELNS1_11target_archE4294967295ELNS1_3gpuE0ELNS1_3repE0EEENS1_38merge_mergepath_config_static_selectorELNS0_4arch9wavefront6targetE1EEEvSF_,"axG",@progbits,_ZN7rocprim17ROCPRIM_400000_NS6detail17trampoline_kernelINS0_14default_configENS1_38merge_sort_block_merge_config_selectorIlNS0_10empty_typeEEEZZNS1_27merge_sort_block_merge_implIS3_PlPS5_jNS1_19radix_merge_compareILb0ELb0ElNS0_19identity_decomposerEEEEE10hipError_tT0_T1_T2_jT3_P12ihipStream_tbPNSt15iterator_traitsISE_E10value_typeEPNSK_ISF_E10value_typeEPSG_NS1_7vsmem_tEENKUlT_SE_SF_SG_E_clIS8_S8_S9_S9_EESD_ST_SE_SF_SG_EUlST_E0_NS1_11comp_targetILNS1_3genE0ELNS1_11target_archE4294967295ELNS1_3gpuE0ELNS1_3repE0EEENS1_38merge_mergepath_config_static_selectorELNS0_4arch9wavefront6targetE1EEEvSF_,comdat
.Lfunc_end804:
	.size	_ZN7rocprim17ROCPRIM_400000_NS6detail17trampoline_kernelINS0_14default_configENS1_38merge_sort_block_merge_config_selectorIlNS0_10empty_typeEEEZZNS1_27merge_sort_block_merge_implIS3_PlPS5_jNS1_19radix_merge_compareILb0ELb0ElNS0_19identity_decomposerEEEEE10hipError_tT0_T1_T2_jT3_P12ihipStream_tbPNSt15iterator_traitsISE_E10value_typeEPNSK_ISF_E10value_typeEPSG_NS1_7vsmem_tEENKUlT_SE_SF_SG_E_clIS8_S8_S9_S9_EESD_ST_SE_SF_SG_EUlST_E0_NS1_11comp_targetILNS1_3genE0ELNS1_11target_archE4294967295ELNS1_3gpuE0ELNS1_3repE0EEENS1_38merge_mergepath_config_static_selectorELNS0_4arch9wavefront6targetE1EEEvSF_, .Lfunc_end804-_ZN7rocprim17ROCPRIM_400000_NS6detail17trampoline_kernelINS0_14default_configENS1_38merge_sort_block_merge_config_selectorIlNS0_10empty_typeEEEZZNS1_27merge_sort_block_merge_implIS3_PlPS5_jNS1_19radix_merge_compareILb0ELb0ElNS0_19identity_decomposerEEEEE10hipError_tT0_T1_T2_jT3_P12ihipStream_tbPNSt15iterator_traitsISE_E10value_typeEPNSK_ISF_E10value_typeEPSG_NS1_7vsmem_tEENKUlT_SE_SF_SG_E_clIS8_S8_S9_S9_EESD_ST_SE_SF_SG_EUlST_E0_NS1_11comp_targetILNS1_3genE0ELNS1_11target_archE4294967295ELNS1_3gpuE0ELNS1_3repE0EEENS1_38merge_mergepath_config_static_selectorELNS0_4arch9wavefront6targetE1EEEvSF_
                                        ; -- End function
	.section	.AMDGPU.csdata,"",@progbits
; Kernel info:
; codeLenInByte = 0
; NumSgprs: 4
; NumVgprs: 0
; NumAgprs: 0
; TotalNumVgprs: 0
; ScratchSize: 0
; MemoryBound: 0
; FloatMode: 240
; IeeeMode: 1
; LDSByteSize: 0 bytes/workgroup (compile time only)
; SGPRBlocks: 0
; VGPRBlocks: 0
; NumSGPRsForWavesPerEU: 4
; NumVGPRsForWavesPerEU: 1
; AccumOffset: 4
; Occupancy: 8
; WaveLimiterHint : 0
; COMPUTE_PGM_RSRC2:SCRATCH_EN: 0
; COMPUTE_PGM_RSRC2:USER_SGPR: 6
; COMPUTE_PGM_RSRC2:TRAP_HANDLER: 0
; COMPUTE_PGM_RSRC2:TGID_X_EN: 1
; COMPUTE_PGM_RSRC2:TGID_Y_EN: 0
; COMPUTE_PGM_RSRC2:TGID_Z_EN: 0
; COMPUTE_PGM_RSRC2:TIDIG_COMP_CNT: 0
; COMPUTE_PGM_RSRC3_GFX90A:ACCUM_OFFSET: 0
; COMPUTE_PGM_RSRC3_GFX90A:TG_SPLIT: 0
	.section	.text._ZN7rocprim17ROCPRIM_400000_NS6detail17trampoline_kernelINS0_14default_configENS1_38merge_sort_block_merge_config_selectorIlNS0_10empty_typeEEEZZNS1_27merge_sort_block_merge_implIS3_PlPS5_jNS1_19radix_merge_compareILb0ELb0ElNS0_19identity_decomposerEEEEE10hipError_tT0_T1_T2_jT3_P12ihipStream_tbPNSt15iterator_traitsISE_E10value_typeEPNSK_ISF_E10value_typeEPSG_NS1_7vsmem_tEENKUlT_SE_SF_SG_E_clIS8_S8_S9_S9_EESD_ST_SE_SF_SG_EUlST_E0_NS1_11comp_targetILNS1_3genE10ELNS1_11target_archE1201ELNS1_3gpuE5ELNS1_3repE0EEENS1_38merge_mergepath_config_static_selectorELNS0_4arch9wavefront6targetE1EEEvSF_,"axG",@progbits,_ZN7rocprim17ROCPRIM_400000_NS6detail17trampoline_kernelINS0_14default_configENS1_38merge_sort_block_merge_config_selectorIlNS0_10empty_typeEEEZZNS1_27merge_sort_block_merge_implIS3_PlPS5_jNS1_19radix_merge_compareILb0ELb0ElNS0_19identity_decomposerEEEEE10hipError_tT0_T1_T2_jT3_P12ihipStream_tbPNSt15iterator_traitsISE_E10value_typeEPNSK_ISF_E10value_typeEPSG_NS1_7vsmem_tEENKUlT_SE_SF_SG_E_clIS8_S8_S9_S9_EESD_ST_SE_SF_SG_EUlST_E0_NS1_11comp_targetILNS1_3genE10ELNS1_11target_archE1201ELNS1_3gpuE5ELNS1_3repE0EEENS1_38merge_mergepath_config_static_selectorELNS0_4arch9wavefront6targetE1EEEvSF_,comdat
	.protected	_ZN7rocprim17ROCPRIM_400000_NS6detail17trampoline_kernelINS0_14default_configENS1_38merge_sort_block_merge_config_selectorIlNS0_10empty_typeEEEZZNS1_27merge_sort_block_merge_implIS3_PlPS5_jNS1_19radix_merge_compareILb0ELb0ElNS0_19identity_decomposerEEEEE10hipError_tT0_T1_T2_jT3_P12ihipStream_tbPNSt15iterator_traitsISE_E10value_typeEPNSK_ISF_E10value_typeEPSG_NS1_7vsmem_tEENKUlT_SE_SF_SG_E_clIS8_S8_S9_S9_EESD_ST_SE_SF_SG_EUlST_E0_NS1_11comp_targetILNS1_3genE10ELNS1_11target_archE1201ELNS1_3gpuE5ELNS1_3repE0EEENS1_38merge_mergepath_config_static_selectorELNS0_4arch9wavefront6targetE1EEEvSF_ ; -- Begin function _ZN7rocprim17ROCPRIM_400000_NS6detail17trampoline_kernelINS0_14default_configENS1_38merge_sort_block_merge_config_selectorIlNS0_10empty_typeEEEZZNS1_27merge_sort_block_merge_implIS3_PlPS5_jNS1_19radix_merge_compareILb0ELb0ElNS0_19identity_decomposerEEEEE10hipError_tT0_T1_T2_jT3_P12ihipStream_tbPNSt15iterator_traitsISE_E10value_typeEPNSK_ISF_E10value_typeEPSG_NS1_7vsmem_tEENKUlT_SE_SF_SG_E_clIS8_S8_S9_S9_EESD_ST_SE_SF_SG_EUlST_E0_NS1_11comp_targetILNS1_3genE10ELNS1_11target_archE1201ELNS1_3gpuE5ELNS1_3repE0EEENS1_38merge_mergepath_config_static_selectorELNS0_4arch9wavefront6targetE1EEEvSF_
	.globl	_ZN7rocprim17ROCPRIM_400000_NS6detail17trampoline_kernelINS0_14default_configENS1_38merge_sort_block_merge_config_selectorIlNS0_10empty_typeEEEZZNS1_27merge_sort_block_merge_implIS3_PlPS5_jNS1_19radix_merge_compareILb0ELb0ElNS0_19identity_decomposerEEEEE10hipError_tT0_T1_T2_jT3_P12ihipStream_tbPNSt15iterator_traitsISE_E10value_typeEPNSK_ISF_E10value_typeEPSG_NS1_7vsmem_tEENKUlT_SE_SF_SG_E_clIS8_S8_S9_S9_EESD_ST_SE_SF_SG_EUlST_E0_NS1_11comp_targetILNS1_3genE10ELNS1_11target_archE1201ELNS1_3gpuE5ELNS1_3repE0EEENS1_38merge_mergepath_config_static_selectorELNS0_4arch9wavefront6targetE1EEEvSF_
	.p2align	8
	.type	_ZN7rocprim17ROCPRIM_400000_NS6detail17trampoline_kernelINS0_14default_configENS1_38merge_sort_block_merge_config_selectorIlNS0_10empty_typeEEEZZNS1_27merge_sort_block_merge_implIS3_PlPS5_jNS1_19radix_merge_compareILb0ELb0ElNS0_19identity_decomposerEEEEE10hipError_tT0_T1_T2_jT3_P12ihipStream_tbPNSt15iterator_traitsISE_E10value_typeEPNSK_ISF_E10value_typeEPSG_NS1_7vsmem_tEENKUlT_SE_SF_SG_E_clIS8_S8_S9_S9_EESD_ST_SE_SF_SG_EUlST_E0_NS1_11comp_targetILNS1_3genE10ELNS1_11target_archE1201ELNS1_3gpuE5ELNS1_3repE0EEENS1_38merge_mergepath_config_static_selectorELNS0_4arch9wavefront6targetE1EEEvSF_,@function
_ZN7rocprim17ROCPRIM_400000_NS6detail17trampoline_kernelINS0_14default_configENS1_38merge_sort_block_merge_config_selectorIlNS0_10empty_typeEEEZZNS1_27merge_sort_block_merge_implIS3_PlPS5_jNS1_19radix_merge_compareILb0ELb0ElNS0_19identity_decomposerEEEEE10hipError_tT0_T1_T2_jT3_P12ihipStream_tbPNSt15iterator_traitsISE_E10value_typeEPNSK_ISF_E10value_typeEPSG_NS1_7vsmem_tEENKUlT_SE_SF_SG_E_clIS8_S8_S9_S9_EESD_ST_SE_SF_SG_EUlST_E0_NS1_11comp_targetILNS1_3genE10ELNS1_11target_archE1201ELNS1_3gpuE5ELNS1_3repE0EEENS1_38merge_mergepath_config_static_selectorELNS0_4arch9wavefront6targetE1EEEvSF_: ; @_ZN7rocprim17ROCPRIM_400000_NS6detail17trampoline_kernelINS0_14default_configENS1_38merge_sort_block_merge_config_selectorIlNS0_10empty_typeEEEZZNS1_27merge_sort_block_merge_implIS3_PlPS5_jNS1_19radix_merge_compareILb0ELb0ElNS0_19identity_decomposerEEEEE10hipError_tT0_T1_T2_jT3_P12ihipStream_tbPNSt15iterator_traitsISE_E10value_typeEPNSK_ISF_E10value_typeEPSG_NS1_7vsmem_tEENKUlT_SE_SF_SG_E_clIS8_S8_S9_S9_EESD_ST_SE_SF_SG_EUlST_E0_NS1_11comp_targetILNS1_3genE10ELNS1_11target_archE1201ELNS1_3gpuE5ELNS1_3repE0EEENS1_38merge_mergepath_config_static_selectorELNS0_4arch9wavefront6targetE1EEEvSF_
; %bb.0:
	.section	.rodata,"a",@progbits
	.p2align	6, 0x0
	.amdhsa_kernel _ZN7rocprim17ROCPRIM_400000_NS6detail17trampoline_kernelINS0_14default_configENS1_38merge_sort_block_merge_config_selectorIlNS0_10empty_typeEEEZZNS1_27merge_sort_block_merge_implIS3_PlPS5_jNS1_19radix_merge_compareILb0ELb0ElNS0_19identity_decomposerEEEEE10hipError_tT0_T1_T2_jT3_P12ihipStream_tbPNSt15iterator_traitsISE_E10value_typeEPNSK_ISF_E10value_typeEPSG_NS1_7vsmem_tEENKUlT_SE_SF_SG_E_clIS8_S8_S9_S9_EESD_ST_SE_SF_SG_EUlST_E0_NS1_11comp_targetILNS1_3genE10ELNS1_11target_archE1201ELNS1_3gpuE5ELNS1_3repE0EEENS1_38merge_mergepath_config_static_selectorELNS0_4arch9wavefront6targetE1EEEvSF_
		.amdhsa_group_segment_fixed_size 0
		.amdhsa_private_segment_fixed_size 0
		.amdhsa_kernarg_size 64
		.amdhsa_user_sgpr_count 6
		.amdhsa_user_sgpr_private_segment_buffer 1
		.amdhsa_user_sgpr_dispatch_ptr 0
		.amdhsa_user_sgpr_queue_ptr 0
		.amdhsa_user_sgpr_kernarg_segment_ptr 1
		.amdhsa_user_sgpr_dispatch_id 0
		.amdhsa_user_sgpr_flat_scratch_init 0
		.amdhsa_user_sgpr_kernarg_preload_length 0
		.amdhsa_user_sgpr_kernarg_preload_offset 0
		.amdhsa_user_sgpr_private_segment_size 0
		.amdhsa_uses_dynamic_stack 0
		.amdhsa_system_sgpr_private_segment_wavefront_offset 0
		.amdhsa_system_sgpr_workgroup_id_x 1
		.amdhsa_system_sgpr_workgroup_id_y 0
		.amdhsa_system_sgpr_workgroup_id_z 0
		.amdhsa_system_sgpr_workgroup_info 0
		.amdhsa_system_vgpr_workitem_id 0
		.amdhsa_next_free_vgpr 1
		.amdhsa_next_free_sgpr 0
		.amdhsa_accum_offset 4
		.amdhsa_reserve_vcc 0
		.amdhsa_reserve_flat_scratch 0
		.amdhsa_float_round_mode_32 0
		.amdhsa_float_round_mode_16_64 0
		.amdhsa_float_denorm_mode_32 3
		.amdhsa_float_denorm_mode_16_64 3
		.amdhsa_dx10_clamp 1
		.amdhsa_ieee_mode 1
		.amdhsa_fp16_overflow 0
		.amdhsa_tg_split 0
		.amdhsa_exception_fp_ieee_invalid_op 0
		.amdhsa_exception_fp_denorm_src 0
		.amdhsa_exception_fp_ieee_div_zero 0
		.amdhsa_exception_fp_ieee_overflow 0
		.amdhsa_exception_fp_ieee_underflow 0
		.amdhsa_exception_fp_ieee_inexact 0
		.amdhsa_exception_int_div_zero 0
	.end_amdhsa_kernel
	.section	.text._ZN7rocprim17ROCPRIM_400000_NS6detail17trampoline_kernelINS0_14default_configENS1_38merge_sort_block_merge_config_selectorIlNS0_10empty_typeEEEZZNS1_27merge_sort_block_merge_implIS3_PlPS5_jNS1_19radix_merge_compareILb0ELb0ElNS0_19identity_decomposerEEEEE10hipError_tT0_T1_T2_jT3_P12ihipStream_tbPNSt15iterator_traitsISE_E10value_typeEPNSK_ISF_E10value_typeEPSG_NS1_7vsmem_tEENKUlT_SE_SF_SG_E_clIS8_S8_S9_S9_EESD_ST_SE_SF_SG_EUlST_E0_NS1_11comp_targetILNS1_3genE10ELNS1_11target_archE1201ELNS1_3gpuE5ELNS1_3repE0EEENS1_38merge_mergepath_config_static_selectorELNS0_4arch9wavefront6targetE1EEEvSF_,"axG",@progbits,_ZN7rocprim17ROCPRIM_400000_NS6detail17trampoline_kernelINS0_14default_configENS1_38merge_sort_block_merge_config_selectorIlNS0_10empty_typeEEEZZNS1_27merge_sort_block_merge_implIS3_PlPS5_jNS1_19radix_merge_compareILb0ELb0ElNS0_19identity_decomposerEEEEE10hipError_tT0_T1_T2_jT3_P12ihipStream_tbPNSt15iterator_traitsISE_E10value_typeEPNSK_ISF_E10value_typeEPSG_NS1_7vsmem_tEENKUlT_SE_SF_SG_E_clIS8_S8_S9_S9_EESD_ST_SE_SF_SG_EUlST_E0_NS1_11comp_targetILNS1_3genE10ELNS1_11target_archE1201ELNS1_3gpuE5ELNS1_3repE0EEENS1_38merge_mergepath_config_static_selectorELNS0_4arch9wavefront6targetE1EEEvSF_,comdat
.Lfunc_end805:
	.size	_ZN7rocprim17ROCPRIM_400000_NS6detail17trampoline_kernelINS0_14default_configENS1_38merge_sort_block_merge_config_selectorIlNS0_10empty_typeEEEZZNS1_27merge_sort_block_merge_implIS3_PlPS5_jNS1_19radix_merge_compareILb0ELb0ElNS0_19identity_decomposerEEEEE10hipError_tT0_T1_T2_jT3_P12ihipStream_tbPNSt15iterator_traitsISE_E10value_typeEPNSK_ISF_E10value_typeEPSG_NS1_7vsmem_tEENKUlT_SE_SF_SG_E_clIS8_S8_S9_S9_EESD_ST_SE_SF_SG_EUlST_E0_NS1_11comp_targetILNS1_3genE10ELNS1_11target_archE1201ELNS1_3gpuE5ELNS1_3repE0EEENS1_38merge_mergepath_config_static_selectorELNS0_4arch9wavefront6targetE1EEEvSF_, .Lfunc_end805-_ZN7rocprim17ROCPRIM_400000_NS6detail17trampoline_kernelINS0_14default_configENS1_38merge_sort_block_merge_config_selectorIlNS0_10empty_typeEEEZZNS1_27merge_sort_block_merge_implIS3_PlPS5_jNS1_19radix_merge_compareILb0ELb0ElNS0_19identity_decomposerEEEEE10hipError_tT0_T1_T2_jT3_P12ihipStream_tbPNSt15iterator_traitsISE_E10value_typeEPNSK_ISF_E10value_typeEPSG_NS1_7vsmem_tEENKUlT_SE_SF_SG_E_clIS8_S8_S9_S9_EESD_ST_SE_SF_SG_EUlST_E0_NS1_11comp_targetILNS1_3genE10ELNS1_11target_archE1201ELNS1_3gpuE5ELNS1_3repE0EEENS1_38merge_mergepath_config_static_selectorELNS0_4arch9wavefront6targetE1EEEvSF_
                                        ; -- End function
	.section	.AMDGPU.csdata,"",@progbits
; Kernel info:
; codeLenInByte = 0
; NumSgprs: 4
; NumVgprs: 0
; NumAgprs: 0
; TotalNumVgprs: 0
; ScratchSize: 0
; MemoryBound: 0
; FloatMode: 240
; IeeeMode: 1
; LDSByteSize: 0 bytes/workgroup (compile time only)
; SGPRBlocks: 0
; VGPRBlocks: 0
; NumSGPRsForWavesPerEU: 4
; NumVGPRsForWavesPerEU: 1
; AccumOffset: 4
; Occupancy: 8
; WaveLimiterHint : 0
; COMPUTE_PGM_RSRC2:SCRATCH_EN: 0
; COMPUTE_PGM_RSRC2:USER_SGPR: 6
; COMPUTE_PGM_RSRC2:TRAP_HANDLER: 0
; COMPUTE_PGM_RSRC2:TGID_X_EN: 1
; COMPUTE_PGM_RSRC2:TGID_Y_EN: 0
; COMPUTE_PGM_RSRC2:TGID_Z_EN: 0
; COMPUTE_PGM_RSRC2:TIDIG_COMP_CNT: 0
; COMPUTE_PGM_RSRC3_GFX90A:ACCUM_OFFSET: 0
; COMPUTE_PGM_RSRC3_GFX90A:TG_SPLIT: 0
	.section	.text._ZN7rocprim17ROCPRIM_400000_NS6detail17trampoline_kernelINS0_14default_configENS1_38merge_sort_block_merge_config_selectorIlNS0_10empty_typeEEEZZNS1_27merge_sort_block_merge_implIS3_PlPS5_jNS1_19radix_merge_compareILb0ELb0ElNS0_19identity_decomposerEEEEE10hipError_tT0_T1_T2_jT3_P12ihipStream_tbPNSt15iterator_traitsISE_E10value_typeEPNSK_ISF_E10value_typeEPSG_NS1_7vsmem_tEENKUlT_SE_SF_SG_E_clIS8_S8_S9_S9_EESD_ST_SE_SF_SG_EUlST_E0_NS1_11comp_targetILNS1_3genE5ELNS1_11target_archE942ELNS1_3gpuE9ELNS1_3repE0EEENS1_38merge_mergepath_config_static_selectorELNS0_4arch9wavefront6targetE1EEEvSF_,"axG",@progbits,_ZN7rocprim17ROCPRIM_400000_NS6detail17trampoline_kernelINS0_14default_configENS1_38merge_sort_block_merge_config_selectorIlNS0_10empty_typeEEEZZNS1_27merge_sort_block_merge_implIS3_PlPS5_jNS1_19radix_merge_compareILb0ELb0ElNS0_19identity_decomposerEEEEE10hipError_tT0_T1_T2_jT3_P12ihipStream_tbPNSt15iterator_traitsISE_E10value_typeEPNSK_ISF_E10value_typeEPSG_NS1_7vsmem_tEENKUlT_SE_SF_SG_E_clIS8_S8_S9_S9_EESD_ST_SE_SF_SG_EUlST_E0_NS1_11comp_targetILNS1_3genE5ELNS1_11target_archE942ELNS1_3gpuE9ELNS1_3repE0EEENS1_38merge_mergepath_config_static_selectorELNS0_4arch9wavefront6targetE1EEEvSF_,comdat
	.protected	_ZN7rocprim17ROCPRIM_400000_NS6detail17trampoline_kernelINS0_14default_configENS1_38merge_sort_block_merge_config_selectorIlNS0_10empty_typeEEEZZNS1_27merge_sort_block_merge_implIS3_PlPS5_jNS1_19radix_merge_compareILb0ELb0ElNS0_19identity_decomposerEEEEE10hipError_tT0_T1_T2_jT3_P12ihipStream_tbPNSt15iterator_traitsISE_E10value_typeEPNSK_ISF_E10value_typeEPSG_NS1_7vsmem_tEENKUlT_SE_SF_SG_E_clIS8_S8_S9_S9_EESD_ST_SE_SF_SG_EUlST_E0_NS1_11comp_targetILNS1_3genE5ELNS1_11target_archE942ELNS1_3gpuE9ELNS1_3repE0EEENS1_38merge_mergepath_config_static_selectorELNS0_4arch9wavefront6targetE1EEEvSF_ ; -- Begin function _ZN7rocprim17ROCPRIM_400000_NS6detail17trampoline_kernelINS0_14default_configENS1_38merge_sort_block_merge_config_selectorIlNS0_10empty_typeEEEZZNS1_27merge_sort_block_merge_implIS3_PlPS5_jNS1_19radix_merge_compareILb0ELb0ElNS0_19identity_decomposerEEEEE10hipError_tT0_T1_T2_jT3_P12ihipStream_tbPNSt15iterator_traitsISE_E10value_typeEPNSK_ISF_E10value_typeEPSG_NS1_7vsmem_tEENKUlT_SE_SF_SG_E_clIS8_S8_S9_S9_EESD_ST_SE_SF_SG_EUlST_E0_NS1_11comp_targetILNS1_3genE5ELNS1_11target_archE942ELNS1_3gpuE9ELNS1_3repE0EEENS1_38merge_mergepath_config_static_selectorELNS0_4arch9wavefront6targetE1EEEvSF_
	.globl	_ZN7rocprim17ROCPRIM_400000_NS6detail17trampoline_kernelINS0_14default_configENS1_38merge_sort_block_merge_config_selectorIlNS0_10empty_typeEEEZZNS1_27merge_sort_block_merge_implIS3_PlPS5_jNS1_19radix_merge_compareILb0ELb0ElNS0_19identity_decomposerEEEEE10hipError_tT0_T1_T2_jT3_P12ihipStream_tbPNSt15iterator_traitsISE_E10value_typeEPNSK_ISF_E10value_typeEPSG_NS1_7vsmem_tEENKUlT_SE_SF_SG_E_clIS8_S8_S9_S9_EESD_ST_SE_SF_SG_EUlST_E0_NS1_11comp_targetILNS1_3genE5ELNS1_11target_archE942ELNS1_3gpuE9ELNS1_3repE0EEENS1_38merge_mergepath_config_static_selectorELNS0_4arch9wavefront6targetE1EEEvSF_
	.p2align	8
	.type	_ZN7rocprim17ROCPRIM_400000_NS6detail17trampoline_kernelINS0_14default_configENS1_38merge_sort_block_merge_config_selectorIlNS0_10empty_typeEEEZZNS1_27merge_sort_block_merge_implIS3_PlPS5_jNS1_19radix_merge_compareILb0ELb0ElNS0_19identity_decomposerEEEEE10hipError_tT0_T1_T2_jT3_P12ihipStream_tbPNSt15iterator_traitsISE_E10value_typeEPNSK_ISF_E10value_typeEPSG_NS1_7vsmem_tEENKUlT_SE_SF_SG_E_clIS8_S8_S9_S9_EESD_ST_SE_SF_SG_EUlST_E0_NS1_11comp_targetILNS1_3genE5ELNS1_11target_archE942ELNS1_3gpuE9ELNS1_3repE0EEENS1_38merge_mergepath_config_static_selectorELNS0_4arch9wavefront6targetE1EEEvSF_,@function
_ZN7rocprim17ROCPRIM_400000_NS6detail17trampoline_kernelINS0_14default_configENS1_38merge_sort_block_merge_config_selectorIlNS0_10empty_typeEEEZZNS1_27merge_sort_block_merge_implIS3_PlPS5_jNS1_19radix_merge_compareILb0ELb0ElNS0_19identity_decomposerEEEEE10hipError_tT0_T1_T2_jT3_P12ihipStream_tbPNSt15iterator_traitsISE_E10value_typeEPNSK_ISF_E10value_typeEPSG_NS1_7vsmem_tEENKUlT_SE_SF_SG_E_clIS8_S8_S9_S9_EESD_ST_SE_SF_SG_EUlST_E0_NS1_11comp_targetILNS1_3genE5ELNS1_11target_archE942ELNS1_3gpuE9ELNS1_3repE0EEENS1_38merge_mergepath_config_static_selectorELNS0_4arch9wavefront6targetE1EEEvSF_: ; @_ZN7rocprim17ROCPRIM_400000_NS6detail17trampoline_kernelINS0_14default_configENS1_38merge_sort_block_merge_config_selectorIlNS0_10empty_typeEEEZZNS1_27merge_sort_block_merge_implIS3_PlPS5_jNS1_19radix_merge_compareILb0ELb0ElNS0_19identity_decomposerEEEEE10hipError_tT0_T1_T2_jT3_P12ihipStream_tbPNSt15iterator_traitsISE_E10value_typeEPNSK_ISF_E10value_typeEPSG_NS1_7vsmem_tEENKUlT_SE_SF_SG_E_clIS8_S8_S9_S9_EESD_ST_SE_SF_SG_EUlST_E0_NS1_11comp_targetILNS1_3genE5ELNS1_11target_archE942ELNS1_3gpuE9ELNS1_3repE0EEENS1_38merge_mergepath_config_static_selectorELNS0_4arch9wavefront6targetE1EEEvSF_
; %bb.0:
	.section	.rodata,"a",@progbits
	.p2align	6, 0x0
	.amdhsa_kernel _ZN7rocprim17ROCPRIM_400000_NS6detail17trampoline_kernelINS0_14default_configENS1_38merge_sort_block_merge_config_selectorIlNS0_10empty_typeEEEZZNS1_27merge_sort_block_merge_implIS3_PlPS5_jNS1_19radix_merge_compareILb0ELb0ElNS0_19identity_decomposerEEEEE10hipError_tT0_T1_T2_jT3_P12ihipStream_tbPNSt15iterator_traitsISE_E10value_typeEPNSK_ISF_E10value_typeEPSG_NS1_7vsmem_tEENKUlT_SE_SF_SG_E_clIS8_S8_S9_S9_EESD_ST_SE_SF_SG_EUlST_E0_NS1_11comp_targetILNS1_3genE5ELNS1_11target_archE942ELNS1_3gpuE9ELNS1_3repE0EEENS1_38merge_mergepath_config_static_selectorELNS0_4arch9wavefront6targetE1EEEvSF_
		.amdhsa_group_segment_fixed_size 0
		.amdhsa_private_segment_fixed_size 0
		.amdhsa_kernarg_size 64
		.amdhsa_user_sgpr_count 6
		.amdhsa_user_sgpr_private_segment_buffer 1
		.amdhsa_user_sgpr_dispatch_ptr 0
		.amdhsa_user_sgpr_queue_ptr 0
		.amdhsa_user_sgpr_kernarg_segment_ptr 1
		.amdhsa_user_sgpr_dispatch_id 0
		.amdhsa_user_sgpr_flat_scratch_init 0
		.amdhsa_user_sgpr_kernarg_preload_length 0
		.amdhsa_user_sgpr_kernarg_preload_offset 0
		.amdhsa_user_sgpr_private_segment_size 0
		.amdhsa_uses_dynamic_stack 0
		.amdhsa_system_sgpr_private_segment_wavefront_offset 0
		.amdhsa_system_sgpr_workgroup_id_x 1
		.amdhsa_system_sgpr_workgroup_id_y 0
		.amdhsa_system_sgpr_workgroup_id_z 0
		.amdhsa_system_sgpr_workgroup_info 0
		.amdhsa_system_vgpr_workitem_id 0
		.amdhsa_next_free_vgpr 1
		.amdhsa_next_free_sgpr 0
		.amdhsa_accum_offset 4
		.amdhsa_reserve_vcc 0
		.amdhsa_reserve_flat_scratch 0
		.amdhsa_float_round_mode_32 0
		.amdhsa_float_round_mode_16_64 0
		.amdhsa_float_denorm_mode_32 3
		.amdhsa_float_denorm_mode_16_64 3
		.amdhsa_dx10_clamp 1
		.amdhsa_ieee_mode 1
		.amdhsa_fp16_overflow 0
		.amdhsa_tg_split 0
		.amdhsa_exception_fp_ieee_invalid_op 0
		.amdhsa_exception_fp_denorm_src 0
		.amdhsa_exception_fp_ieee_div_zero 0
		.amdhsa_exception_fp_ieee_overflow 0
		.amdhsa_exception_fp_ieee_underflow 0
		.amdhsa_exception_fp_ieee_inexact 0
		.amdhsa_exception_int_div_zero 0
	.end_amdhsa_kernel
	.section	.text._ZN7rocprim17ROCPRIM_400000_NS6detail17trampoline_kernelINS0_14default_configENS1_38merge_sort_block_merge_config_selectorIlNS0_10empty_typeEEEZZNS1_27merge_sort_block_merge_implIS3_PlPS5_jNS1_19radix_merge_compareILb0ELb0ElNS0_19identity_decomposerEEEEE10hipError_tT0_T1_T2_jT3_P12ihipStream_tbPNSt15iterator_traitsISE_E10value_typeEPNSK_ISF_E10value_typeEPSG_NS1_7vsmem_tEENKUlT_SE_SF_SG_E_clIS8_S8_S9_S9_EESD_ST_SE_SF_SG_EUlST_E0_NS1_11comp_targetILNS1_3genE5ELNS1_11target_archE942ELNS1_3gpuE9ELNS1_3repE0EEENS1_38merge_mergepath_config_static_selectorELNS0_4arch9wavefront6targetE1EEEvSF_,"axG",@progbits,_ZN7rocprim17ROCPRIM_400000_NS6detail17trampoline_kernelINS0_14default_configENS1_38merge_sort_block_merge_config_selectorIlNS0_10empty_typeEEEZZNS1_27merge_sort_block_merge_implIS3_PlPS5_jNS1_19radix_merge_compareILb0ELb0ElNS0_19identity_decomposerEEEEE10hipError_tT0_T1_T2_jT3_P12ihipStream_tbPNSt15iterator_traitsISE_E10value_typeEPNSK_ISF_E10value_typeEPSG_NS1_7vsmem_tEENKUlT_SE_SF_SG_E_clIS8_S8_S9_S9_EESD_ST_SE_SF_SG_EUlST_E0_NS1_11comp_targetILNS1_3genE5ELNS1_11target_archE942ELNS1_3gpuE9ELNS1_3repE0EEENS1_38merge_mergepath_config_static_selectorELNS0_4arch9wavefront6targetE1EEEvSF_,comdat
.Lfunc_end806:
	.size	_ZN7rocprim17ROCPRIM_400000_NS6detail17trampoline_kernelINS0_14default_configENS1_38merge_sort_block_merge_config_selectorIlNS0_10empty_typeEEEZZNS1_27merge_sort_block_merge_implIS3_PlPS5_jNS1_19radix_merge_compareILb0ELb0ElNS0_19identity_decomposerEEEEE10hipError_tT0_T1_T2_jT3_P12ihipStream_tbPNSt15iterator_traitsISE_E10value_typeEPNSK_ISF_E10value_typeEPSG_NS1_7vsmem_tEENKUlT_SE_SF_SG_E_clIS8_S8_S9_S9_EESD_ST_SE_SF_SG_EUlST_E0_NS1_11comp_targetILNS1_3genE5ELNS1_11target_archE942ELNS1_3gpuE9ELNS1_3repE0EEENS1_38merge_mergepath_config_static_selectorELNS0_4arch9wavefront6targetE1EEEvSF_, .Lfunc_end806-_ZN7rocprim17ROCPRIM_400000_NS6detail17trampoline_kernelINS0_14default_configENS1_38merge_sort_block_merge_config_selectorIlNS0_10empty_typeEEEZZNS1_27merge_sort_block_merge_implIS3_PlPS5_jNS1_19radix_merge_compareILb0ELb0ElNS0_19identity_decomposerEEEEE10hipError_tT0_T1_T2_jT3_P12ihipStream_tbPNSt15iterator_traitsISE_E10value_typeEPNSK_ISF_E10value_typeEPSG_NS1_7vsmem_tEENKUlT_SE_SF_SG_E_clIS8_S8_S9_S9_EESD_ST_SE_SF_SG_EUlST_E0_NS1_11comp_targetILNS1_3genE5ELNS1_11target_archE942ELNS1_3gpuE9ELNS1_3repE0EEENS1_38merge_mergepath_config_static_selectorELNS0_4arch9wavefront6targetE1EEEvSF_
                                        ; -- End function
	.section	.AMDGPU.csdata,"",@progbits
; Kernel info:
; codeLenInByte = 0
; NumSgprs: 4
; NumVgprs: 0
; NumAgprs: 0
; TotalNumVgprs: 0
; ScratchSize: 0
; MemoryBound: 0
; FloatMode: 240
; IeeeMode: 1
; LDSByteSize: 0 bytes/workgroup (compile time only)
; SGPRBlocks: 0
; VGPRBlocks: 0
; NumSGPRsForWavesPerEU: 4
; NumVGPRsForWavesPerEU: 1
; AccumOffset: 4
; Occupancy: 8
; WaveLimiterHint : 0
; COMPUTE_PGM_RSRC2:SCRATCH_EN: 0
; COMPUTE_PGM_RSRC2:USER_SGPR: 6
; COMPUTE_PGM_RSRC2:TRAP_HANDLER: 0
; COMPUTE_PGM_RSRC2:TGID_X_EN: 1
; COMPUTE_PGM_RSRC2:TGID_Y_EN: 0
; COMPUTE_PGM_RSRC2:TGID_Z_EN: 0
; COMPUTE_PGM_RSRC2:TIDIG_COMP_CNT: 0
; COMPUTE_PGM_RSRC3_GFX90A:ACCUM_OFFSET: 0
; COMPUTE_PGM_RSRC3_GFX90A:TG_SPLIT: 0
	.section	.text._ZN7rocprim17ROCPRIM_400000_NS6detail17trampoline_kernelINS0_14default_configENS1_38merge_sort_block_merge_config_selectorIlNS0_10empty_typeEEEZZNS1_27merge_sort_block_merge_implIS3_PlPS5_jNS1_19radix_merge_compareILb0ELb0ElNS0_19identity_decomposerEEEEE10hipError_tT0_T1_T2_jT3_P12ihipStream_tbPNSt15iterator_traitsISE_E10value_typeEPNSK_ISF_E10value_typeEPSG_NS1_7vsmem_tEENKUlT_SE_SF_SG_E_clIS8_S8_S9_S9_EESD_ST_SE_SF_SG_EUlST_E0_NS1_11comp_targetILNS1_3genE4ELNS1_11target_archE910ELNS1_3gpuE8ELNS1_3repE0EEENS1_38merge_mergepath_config_static_selectorELNS0_4arch9wavefront6targetE1EEEvSF_,"axG",@progbits,_ZN7rocprim17ROCPRIM_400000_NS6detail17trampoline_kernelINS0_14default_configENS1_38merge_sort_block_merge_config_selectorIlNS0_10empty_typeEEEZZNS1_27merge_sort_block_merge_implIS3_PlPS5_jNS1_19radix_merge_compareILb0ELb0ElNS0_19identity_decomposerEEEEE10hipError_tT0_T1_T2_jT3_P12ihipStream_tbPNSt15iterator_traitsISE_E10value_typeEPNSK_ISF_E10value_typeEPSG_NS1_7vsmem_tEENKUlT_SE_SF_SG_E_clIS8_S8_S9_S9_EESD_ST_SE_SF_SG_EUlST_E0_NS1_11comp_targetILNS1_3genE4ELNS1_11target_archE910ELNS1_3gpuE8ELNS1_3repE0EEENS1_38merge_mergepath_config_static_selectorELNS0_4arch9wavefront6targetE1EEEvSF_,comdat
	.protected	_ZN7rocprim17ROCPRIM_400000_NS6detail17trampoline_kernelINS0_14default_configENS1_38merge_sort_block_merge_config_selectorIlNS0_10empty_typeEEEZZNS1_27merge_sort_block_merge_implIS3_PlPS5_jNS1_19radix_merge_compareILb0ELb0ElNS0_19identity_decomposerEEEEE10hipError_tT0_T1_T2_jT3_P12ihipStream_tbPNSt15iterator_traitsISE_E10value_typeEPNSK_ISF_E10value_typeEPSG_NS1_7vsmem_tEENKUlT_SE_SF_SG_E_clIS8_S8_S9_S9_EESD_ST_SE_SF_SG_EUlST_E0_NS1_11comp_targetILNS1_3genE4ELNS1_11target_archE910ELNS1_3gpuE8ELNS1_3repE0EEENS1_38merge_mergepath_config_static_selectorELNS0_4arch9wavefront6targetE1EEEvSF_ ; -- Begin function _ZN7rocprim17ROCPRIM_400000_NS6detail17trampoline_kernelINS0_14default_configENS1_38merge_sort_block_merge_config_selectorIlNS0_10empty_typeEEEZZNS1_27merge_sort_block_merge_implIS3_PlPS5_jNS1_19radix_merge_compareILb0ELb0ElNS0_19identity_decomposerEEEEE10hipError_tT0_T1_T2_jT3_P12ihipStream_tbPNSt15iterator_traitsISE_E10value_typeEPNSK_ISF_E10value_typeEPSG_NS1_7vsmem_tEENKUlT_SE_SF_SG_E_clIS8_S8_S9_S9_EESD_ST_SE_SF_SG_EUlST_E0_NS1_11comp_targetILNS1_3genE4ELNS1_11target_archE910ELNS1_3gpuE8ELNS1_3repE0EEENS1_38merge_mergepath_config_static_selectorELNS0_4arch9wavefront6targetE1EEEvSF_
	.globl	_ZN7rocprim17ROCPRIM_400000_NS6detail17trampoline_kernelINS0_14default_configENS1_38merge_sort_block_merge_config_selectorIlNS0_10empty_typeEEEZZNS1_27merge_sort_block_merge_implIS3_PlPS5_jNS1_19radix_merge_compareILb0ELb0ElNS0_19identity_decomposerEEEEE10hipError_tT0_T1_T2_jT3_P12ihipStream_tbPNSt15iterator_traitsISE_E10value_typeEPNSK_ISF_E10value_typeEPSG_NS1_7vsmem_tEENKUlT_SE_SF_SG_E_clIS8_S8_S9_S9_EESD_ST_SE_SF_SG_EUlST_E0_NS1_11comp_targetILNS1_3genE4ELNS1_11target_archE910ELNS1_3gpuE8ELNS1_3repE0EEENS1_38merge_mergepath_config_static_selectorELNS0_4arch9wavefront6targetE1EEEvSF_
	.p2align	8
	.type	_ZN7rocprim17ROCPRIM_400000_NS6detail17trampoline_kernelINS0_14default_configENS1_38merge_sort_block_merge_config_selectorIlNS0_10empty_typeEEEZZNS1_27merge_sort_block_merge_implIS3_PlPS5_jNS1_19radix_merge_compareILb0ELb0ElNS0_19identity_decomposerEEEEE10hipError_tT0_T1_T2_jT3_P12ihipStream_tbPNSt15iterator_traitsISE_E10value_typeEPNSK_ISF_E10value_typeEPSG_NS1_7vsmem_tEENKUlT_SE_SF_SG_E_clIS8_S8_S9_S9_EESD_ST_SE_SF_SG_EUlST_E0_NS1_11comp_targetILNS1_3genE4ELNS1_11target_archE910ELNS1_3gpuE8ELNS1_3repE0EEENS1_38merge_mergepath_config_static_selectorELNS0_4arch9wavefront6targetE1EEEvSF_,@function
_ZN7rocprim17ROCPRIM_400000_NS6detail17trampoline_kernelINS0_14default_configENS1_38merge_sort_block_merge_config_selectorIlNS0_10empty_typeEEEZZNS1_27merge_sort_block_merge_implIS3_PlPS5_jNS1_19radix_merge_compareILb0ELb0ElNS0_19identity_decomposerEEEEE10hipError_tT0_T1_T2_jT3_P12ihipStream_tbPNSt15iterator_traitsISE_E10value_typeEPNSK_ISF_E10value_typeEPSG_NS1_7vsmem_tEENKUlT_SE_SF_SG_E_clIS8_S8_S9_S9_EESD_ST_SE_SF_SG_EUlST_E0_NS1_11comp_targetILNS1_3genE4ELNS1_11target_archE910ELNS1_3gpuE8ELNS1_3repE0EEENS1_38merge_mergepath_config_static_selectorELNS0_4arch9wavefront6targetE1EEEvSF_: ; @_ZN7rocprim17ROCPRIM_400000_NS6detail17trampoline_kernelINS0_14default_configENS1_38merge_sort_block_merge_config_selectorIlNS0_10empty_typeEEEZZNS1_27merge_sort_block_merge_implIS3_PlPS5_jNS1_19radix_merge_compareILb0ELb0ElNS0_19identity_decomposerEEEEE10hipError_tT0_T1_T2_jT3_P12ihipStream_tbPNSt15iterator_traitsISE_E10value_typeEPNSK_ISF_E10value_typeEPSG_NS1_7vsmem_tEENKUlT_SE_SF_SG_E_clIS8_S8_S9_S9_EESD_ST_SE_SF_SG_EUlST_E0_NS1_11comp_targetILNS1_3genE4ELNS1_11target_archE910ELNS1_3gpuE8ELNS1_3repE0EEENS1_38merge_mergepath_config_static_selectorELNS0_4arch9wavefront6targetE1EEEvSF_
; %bb.0:
	s_load_dwordx2 s[14:15], s[4:5], 0x40
	s_load_dword s3, s[4:5], 0x30
	s_add_u32 s0, s4, 64
	s_addc_u32 s1, s5, 0
	s_waitcnt lgkmcnt(0)
	s_mul_i32 s2, s15, s8
	s_add_i32 s2, s2, s7
	s_mul_i32 s2, s2, s14
	s_add_i32 s2, s2, s6
	s_cmp_ge_u32 s2, s3
	s_cbranch_scc1 .LBB807_31
; %bb.1:
	s_load_dwordx2 s[8:9], s[4:5], 0x28
	s_load_dwordx2 s[10:11], s[4:5], 0x38
	;; [unrolled: 1-line block ×3, first 2 shown]
	s_mov_b32 s3, 0
	v_mov_b32_e32 v9, 0
	s_waitcnt lgkmcnt(0)
	s_lshr_b32 s7, s8, 10
	s_cmp_lg_u32 s2, s7
	s_cselect_b64 s[12:13], -1, 0
	s_lshl_b64 s[18:19], s[2:3], 2
	s_add_u32 s10, s10, s18
	s_addc_u32 s11, s11, s19
	s_load_dwordx2 s[18:19], s[10:11], 0x0
	s_lshr_b32 s10, s9, 9
	s_and_b32 s10, s10, 0x7ffffe
	s_sub_i32 s11, 0, s10
	s_and_b32 s15, s2, s11
	s_lshl_b32 s21, s15, 10
	s_lshl_b32 s10, s2, 10
	;; [unrolled: 1-line block ×3, first 2 shown]
	s_sub_i32 s20, s10, s21
	s_add_i32 s15, s15, s9
	s_add_i32 s22, s15, s20
	s_waitcnt lgkmcnt(0)
	s_sub_i32 s20, s22, s18
	s_sub_i32 s22, s22, s19
	;; [unrolled: 1-line block ×3, first 2 shown]
	s_min_u32 s20, s8, s20
	s_addk_i32 s22, 0x400
	s_or_b32 s11, s2, s11
	s_min_u32 s21, s8, s15
	s_add_i32 s15, s15, s9
	s_cmp_eq_u32 s11, -1
	s_cselect_b32 s9, s15, s22
	s_cselect_b32 s11, s21, s19
	s_min_u32 s15, s9, s8
	s_mov_b32 s19, s3
	s_sub_i32 s9, s11, s18
	s_sub_i32 s15, s15, s20
	s_lshl_b64 s[18:19], s[18:19], 3
	s_add_u32 s18, s16, s18
	s_mov_b32 s21, s3
	s_addc_u32 s19, s17, s19
	s_lshl_b64 s[20:21], s[20:21], 3
	s_add_u32 s16, s16, s20
	s_addc_u32 s17, s17, s21
	s_cmp_lt_u32 s6, s14
	s_cselect_b32 s3, 12, 18
	global_load_dword v1, v9, s[0:1] offset:14
	s_add_u32 s0, s0, s3
	s_addc_u32 s1, s1, 0
	global_load_ushort v2, v9, s[0:1]
	s_cmp_eq_u32 s2, s7
	s_waitcnt vmcnt(1)
	v_lshrrev_b32_e32 v3, 16, v1
	v_and_b32_e32 v1, 0xffff, v1
	v_mul_lo_u32 v1, v1, v3
	s_waitcnt vmcnt(0)
	v_mul_lo_u32 v14, v1, v2
	v_add_u32_e32 v12, v14, v0
	v_lshlrev_b32_e32 v1, 3, v0
	v_add_u32_e32 v10, v12, v14
	s_cbranch_scc1 .LBB807_3
; %bb.2:
	v_mov_b32_e32 v2, s19
	v_add_co_u32_e32 v4, vcc, s18, v1
	v_subrev_u32_e32 v8, s9, v0
	v_addc_co_u32_e32 v5, vcc, 0, v2, vcc
	v_lshlrev_b64 v[2:3], 3, v[8:9]
	v_mov_b32_e32 v6, s17
	v_add_co_u32_e32 v2, vcc, s16, v2
	v_addc_co_u32_e32 v3, vcc, v6, v3, vcc
	v_cmp_gt_u32_e32 vcc, s9, v0
	v_mov_b32_e32 v13, v9
	v_cndmask_b32_e32 v3, v3, v5, vcc
	v_cndmask_b32_e32 v2, v2, v4, vcc
	v_lshlrev_b64 v[4:5], 3, v[12:13]
	v_mov_b32_e32 v6, s19
	v_add_co_u32_e32 v7, vcc, s18, v4
	v_subrev_u32_e32 v8, s9, v12
	v_addc_co_u32_e32 v6, vcc, v6, v5, vcc
	v_lshlrev_b64 v[4:5], 3, v[8:9]
	v_mov_b32_e32 v8, s17
	v_add_co_u32_e32 v4, vcc, s16, v4
	v_addc_co_u32_e32 v5, vcc, v8, v5, vcc
	v_cmp_gt_u32_e32 vcc, s9, v12
	v_mov_b32_e32 v11, v9
	v_cndmask_b32_e32 v5, v5, v6, vcc
	v_cndmask_b32_e32 v4, v4, v7, vcc
	v_lshlrev_b64 v[6:7], 3, v[10:11]
	v_mov_b32_e32 v8, s19
	v_add_co_u32_e32 v11, vcc, s18, v6
	v_addc_co_u32_e32 v13, vcc, v8, v7, vcc
	v_subrev_u32_e32 v8, s9, v10
	v_lshlrev_b64 v[6:7], 3, v[8:9]
	v_mov_b32_e32 v8, s17
	v_add_co_u32_e32 v6, vcc, s16, v6
	v_addc_co_u32_e32 v7, vcc, v8, v7, vcc
	v_add_u32_e32 v8, v10, v14
	v_cmp_gt_u32_e32 vcc, s9, v10
	v_lshlrev_b64 v[16:17], 3, v[8:9]
	v_cndmask_b32_e32 v7, v7, v13, vcc
	v_cndmask_b32_e32 v6, v6, v11, vcc
	v_mov_b32_e32 v11, s19
	v_add_co_u32_e32 v13, vcc, s18, v16
	v_addc_co_u32_e32 v11, vcc, v11, v17, vcc
	v_cmp_gt_u32_e32 vcc, s9, v8
	v_subrev_u32_e32 v8, s9, v8
	v_lshlrev_b64 v[8:9], 3, v[8:9]
	v_mov_b32_e32 v15, s17
	v_add_co_u32_e64 v8, s[0:1], s16, v8
	v_addc_co_u32_e64 v9, s[0:1], v15, v9, s[0:1]
	v_cndmask_b32_e32 v9, v9, v11, vcc
	v_cndmask_b32_e32 v8, v8, v13, vcc
	global_load_dwordx2 v[2:3], v[2:3], off
	s_add_i32 s11, s15, s9
	global_load_dwordx2 v[4:5], v[4:5], off
	s_nop 0
	global_load_dwordx2 v[6:7], v[6:7], off
	s_nop 0
	global_load_dwordx2 v[8:9], v[8:9], off
	s_load_dwordx2 s[6:7], s[4:5], 0x10
	s_cbranch_execz .LBB807_4
	s_branch .LBB807_11
.LBB807_3:
                                        ; implicit-def: $vgpr2_vgpr3_vgpr4_vgpr5_vgpr6_vgpr7_vgpr8_vgpr9
                                        ; implicit-def: $sgpr11
	s_load_dwordx2 s[6:7], s[4:5], 0x10
.LBB807_4:
	s_add_i32 s11, s15, s9
	v_cmp_gt_u32_e32 vcc, s11, v0
                                        ; implicit-def: $vgpr2_vgpr3_vgpr4_vgpr5_vgpr6_vgpr7_vgpr8_vgpr9
	s_and_saveexec_b64 s[0:1], vcc
	s_cbranch_execnz .LBB807_32
; %bb.5:
	s_or_b64 exec, exec, s[0:1]
	v_cmp_gt_u32_e32 vcc, s11, v12
	s_and_saveexec_b64 s[2:3], vcc
	s_cbranch_execnz .LBB807_33
.LBB807_6:
	s_or_b64 exec, exec, s[2:3]
	v_cmp_gt_u32_e32 vcc, s11, v10
	s_and_saveexec_b64 s[0:1], vcc
	s_cbranch_execz .LBB807_8
.LBB807_7:
	v_mov_b32_e32 v11, 0
	s_waitcnt vmcnt(1)
	v_lshlrev_b64 v[6:7], 3, v[10:11]
	v_mov_b32_e32 v12, s19
	v_add_co_u32_e32 v13, vcc, s18, v6
	v_addc_co_u32_e32 v12, vcc, v12, v7, vcc
	v_subrev_u32_e32 v6, s9, v10
	v_mov_b32_e32 v7, v11
	v_lshlrev_b64 v[6:7], 3, v[6:7]
	v_mov_b32_e32 v11, s17
	v_add_co_u32_e32 v6, vcc, s16, v6
	v_addc_co_u32_e32 v7, vcc, v11, v7, vcc
	v_cmp_gt_u32_e32 vcc, s9, v10
	v_cndmask_b32_e32 v7, v7, v12, vcc
	v_cndmask_b32_e32 v6, v6, v13, vcc
	global_load_dwordx2 v[6:7], v[6:7], off
.LBB807_8:
	s_or_b64 exec, exec, s[0:1]
	v_add_u32_e32 v10, v10, v14
	v_cmp_gt_u32_e32 vcc, s11, v10
	s_and_saveexec_b64 s[2:3], vcc
	s_cbranch_execz .LBB807_10
; %bb.9:
	v_mov_b32_e32 v11, 0
	s_waitcnt vmcnt(0)
	v_lshlrev_b64 v[8:9], 3, v[10:11]
	v_mov_b32_e32 v12, s19
	v_add_co_u32_e32 v13, vcc, s18, v8
	v_addc_co_u32_e32 v12, vcc, v12, v9, vcc
	v_cmp_gt_u32_e32 vcc, s9, v10
	v_subrev_u32_e32 v10, s9, v10
	v_lshlrev_b64 v[8:9], 3, v[10:11]
	v_mov_b32_e32 v10, s17
	v_add_co_u32_e64 v8, s[0:1], s16, v8
	v_addc_co_u32_e64 v9, s[0:1], v10, v9, s[0:1]
	v_cndmask_b32_e32 v9, v9, v12, vcc
	v_cndmask_b32_e32 v8, v8, v13, vcc
	global_load_dwordx2 v[8:9], v[8:9], off
.LBB807_10:
	s_or_b64 exec, exec, s[2:3]
.LBB807_11:
	v_lshlrev_b32_e32 v10, 2, v0
	v_min_u32_e32 v12, s11, v10
	v_sub_u32_e64 v11, v12, s15 clamp
	v_min_u32_e32 v13, s9, v12
	v_cmp_lt_u32_e32 vcc, v11, v13
	s_waitcnt vmcnt(0)
	ds_write2st64_b64 v1, v[2:3], v[4:5] offset1:4
	ds_write2st64_b64 v1, v[6:7], v[8:9] offset0:8 offset1:12
	s_waitcnt lgkmcnt(0)
	s_barrier
	s_and_saveexec_b64 s[0:1], vcc
	s_cbranch_execz .LBB807_15
; %bb.12:
	v_lshlrev_b32_e32 v14, 3, v12
	v_lshl_add_u32 v14, s9, 3, v14
	s_mov_b64 s[2:3], 0
.LBB807_13:                             ; =>This Inner Loop Header: Depth=1
	v_add_u32_e32 v15, v13, v11
	v_lshrrev_b32_e32 v15, 1, v15
	v_not_b32_e32 v16, v15
	v_lshlrev_b32_e32 v17, 3, v15
	v_lshl_add_u32 v18, v16, 3, v14
	ds_read_b64 v[16:17], v17
	ds_read_b64 v[18:19], v18
	v_add_u32_e32 v20, 1, v15
	s_waitcnt lgkmcnt(0)
	v_cmp_gt_i64_e32 vcc, v[16:17], v[18:19]
	v_cndmask_b32_e32 v13, v13, v15, vcc
	v_cndmask_b32_e32 v11, v20, v11, vcc
	v_cmp_ge_u32_e32 vcc, v11, v13
	s_or_b64 s[2:3], vcc, s[2:3]
	s_andn2_b64 exec, exec, s[2:3]
	s_cbranch_execnz .LBB807_13
; %bb.14:
	s_or_b64 exec, exec, s[2:3]
.LBB807_15:
	s_or_b64 exec, exec, s[0:1]
	v_sub_u32_e32 v12, v12, v11
	v_add_u32_e32 v12, s9, v12
	v_cmp_ge_u32_e32 vcc, s9, v11
	v_cmp_ge_u32_e64 s[0:1], s11, v12
	s_or_b64 s[0:1], vcc, s[0:1]
	s_and_saveexec_b64 s[14:15], s[0:1]
	s_cbranch_execz .LBB807_21
; %bb.16:
	v_cmp_gt_u32_e32 vcc, s9, v11
                                        ; implicit-def: $vgpr2_vgpr3
	s_and_saveexec_b64 s[0:1], vcc
	s_cbranch_execz .LBB807_18
; %bb.17:
	v_lshlrev_b32_e32 v2, 3, v11
	ds_read_b64 v[2:3], v2
.LBB807_18:
	s_or_b64 exec, exec, s[0:1]
	v_cmp_le_u32_e64 s[0:1], s11, v12
	v_cmp_gt_u32_e64 s[2:3], s11, v12
                                        ; implicit-def: $vgpr4_vgpr5
	s_and_saveexec_b64 s[4:5], s[2:3]
	s_cbranch_execz .LBB807_20
; %bb.19:
	v_lshlrev_b32_e32 v4, 3, v12
	ds_read_b64 v[4:5], v4
.LBB807_20:
	s_or_b64 exec, exec, s[4:5]
	s_waitcnt lgkmcnt(0)
	v_cmp_le_i64_e64 s[2:3], v[2:3], v[4:5]
	s_and_b64 s[2:3], vcc, s[2:3]
	s_or_b64 vcc, s[0:1], s[2:3]
	v_mov_b32_e32 v16, s11
	v_mov_b32_e32 v17, s9
	v_cndmask_b32_e32 v6, v12, v11, vcc
	v_cndmask_b32_e32 v7, v16, v17, vcc
	v_add_u32_e32 v13, 1, v6
	v_add_u32_e32 v6, -1, v7
	v_min_u32_e32 v6, v13, v6
	v_lshlrev_b32_e32 v6, 3, v6
	ds_read_b64 v[6:7], v6
	v_cndmask_b32_e32 v11, v11, v13, vcc
	v_cndmask_b32_e32 v18, v13, v12, vcc
	v_cmp_gt_u32_e64 s[2:3], s9, v11
	v_cmp_le_u32_e64 s[0:1], s11, v18
	s_waitcnt lgkmcnt(0)
	v_cndmask_b32_e32 v9, v7, v5, vcc
	v_cndmask_b32_e32 v8, v6, v4, vcc
	;; [unrolled: 1-line block ×4, first 2 shown]
	v_cmp_le_i64_e64 s[4:5], v[6:7], v[8:9]
	s_and_b64 s[2:3], s[2:3], s[4:5]
	s_or_b64 s[0:1], s[0:1], s[2:3]
	v_cndmask_b32_e64 v12, v18, v11, s[0:1]
	v_cndmask_b32_e64 v13, v16, v17, s[0:1]
	v_add_u32_e32 v19, 1, v12
	v_add_u32_e32 v12, -1, v13
	v_min_u32_e32 v12, v19, v12
	v_lshlrev_b32_e32 v12, 3, v12
	ds_read_b64 v[12:13], v12
	v_cndmask_b32_e64 v11, v11, v19, s[0:1]
	v_cndmask_b32_e64 v18, v19, v18, s[0:1]
	v_cmp_gt_u32_e64 s[2:3], s9, v11
	v_cndmask_b32_e32 v3, v5, v3, vcc
	s_waitcnt lgkmcnt(0)
	v_cndmask_b32_e64 v15, v13, v9, s[0:1]
	v_cndmask_b32_e64 v14, v12, v8, s[0:1]
	;; [unrolled: 1-line block ×4, first 2 shown]
	v_cmp_le_i64_e64 s[4:5], v[12:13], v[14:15]
	v_cndmask_b32_e32 v2, v4, v2, vcc
	v_cmp_le_u32_e32 vcc, s11, v18
	s_and_b64 s[2:3], s[2:3], s[4:5]
	s_or_b64 vcc, vcc, s[2:3]
	v_cndmask_b32_e32 v4, v18, v11, vcc
	v_cndmask_b32_e32 v5, v16, v17, vcc
	v_add_u32_e32 v19, 1, v4
	v_add_u32_e32 v4, -1, v5
	v_min_u32_e32 v4, v19, v4
	v_lshlrev_b32_e32 v4, 3, v4
	ds_read_b64 v[16:17], v4
	v_cndmask_b32_e64 v5, v9, v7, s[0:1]
	v_cndmask_b32_e64 v4, v8, v6, s[0:1]
	v_cndmask_b32_e32 v7, v15, v13, vcc
	v_cndmask_b32_e32 v6, v14, v12, vcc
	s_waitcnt lgkmcnt(0)
	v_cndmask_b32_e32 v9, v17, v15, vcc
	v_cndmask_b32_e32 v8, v16, v14, vcc
	;; [unrolled: 1-line block ×6, first 2 shown]
	v_cmp_gt_u32_e64 s[0:1], s9, v11
	v_cmp_le_i64_e64 s[2:3], v[12:13], v[8:9]
	v_cmp_le_u32_e32 vcc, s11, v14
	s_and_b64 s[0:1], s[0:1], s[2:3]
	s_or_b64 vcc, vcc, s[0:1]
	v_cndmask_b32_e32 v9, v9, v13, vcc
	v_cndmask_b32_e32 v8, v8, v12, vcc
.LBB807_21:
	s_or_b64 exec, exec, s[14:15]
	v_and_b32_e32 v11, 0xf8, v0
	v_lshl_add_u32 v10, v10, 3, v11
	s_barrier
	s_barrier
	ds_write2_b64 v10, v[2:3], v[4:5] offset1:1
	ds_write2_b64 v10, v[6:7], v[8:9] offset0:2 offset1:3
	v_lshrrev_b32_e32 v2, 2, v0
	v_and_b32_e32 v2, 56, v2
	v_or_b32_e32 v12, 0x100, v0
	v_add_u32_e32 v13, v1, v2
	v_lshrrev_b32_e32 v2, 2, v12
	v_and_b32_e32 v2, 0x78, v2
	v_or_b32_e32 v11, 0x200, v0
	s_mov_b32 s11, 0
	v_add_u32_e32 v6, v1, v2
	v_lshrrev_b32_e32 v2, 2, v11
	s_lshl_b64 s[0:1], s[10:11], 3
	v_and_b32_e32 v2, 0xb8, v2
	v_or_b32_e32 v10, 0x300, v0
	s_add_u32 s0, s6, s0
	v_add_u32_e32 v7, v1, v2
	v_lshrrev_b32_e32 v2, 2, v10
	s_addc_u32 s1, s7, s1
	v_and_b32_e32 v2, 0xf8, v2
	v_add_u32_e32 v14, v1, v2
	v_mov_b32_e32 v3, s1
	v_add_co_u32_e32 v2, vcc, s0, v1
	v_addc_co_u32_e32 v3, vcc, 0, v3, vcc
	s_and_b64 vcc, exec, s[12:13]
	s_waitcnt lgkmcnt(0)
	s_cbranch_vccz .LBB807_23
; %bb.22:
	s_barrier
	ds_read_b64 v[8:9], v13
	ds_read_b64 v[16:17], v6 offset:2048
	ds_read_b64 v[18:19], v7 offset:4096
	;; [unrolled: 1-line block ×3, first 2 shown]
	s_waitcnt lgkmcnt(3)
	global_store_dwordx2 v[2:3], v[8:9], off
	s_waitcnt lgkmcnt(2)
	global_store_dwordx2 v[2:3], v[16:17], off offset:2048
	v_add_co_u32_e32 v8, vcc, 0x1000, v2
	v_addc_co_u32_e32 v9, vcc, 0, v3, vcc
	s_waitcnt lgkmcnt(1)
	global_store_dwordx2 v[8:9], v[18:19], off
	s_mov_b64 s[0:1], -1
	s_cbranch_execz .LBB807_24
	s_branch .LBB807_29
.LBB807_23:
	s_mov_b64 s[0:1], 0
                                        ; implicit-def: $vgpr4_vgpr5
.LBB807_24:
	s_barrier
	s_waitcnt lgkmcnt(0)
	ds_read_b64 v[8:9], v6 offset:2048
	ds_read_b64 v[6:7], v7 offset:4096
	;; [unrolled: 1-line block ×3, first 2 shown]
	s_sub_i32 s2, s8, s10
	v_cmp_gt_u32_e32 vcc, s2, v0
	s_and_saveexec_b64 s[0:1], vcc
	s_cbranch_execnz .LBB807_34
; %bb.25:
	s_or_b64 exec, exec, s[0:1]
	v_cmp_gt_u32_e32 vcc, s2, v12
	s_and_saveexec_b64 s[0:1], vcc
	s_cbranch_execnz .LBB807_35
.LBB807_26:
	s_or_b64 exec, exec, s[0:1]
	v_cmp_gt_u32_e32 vcc, s2, v11
	s_and_saveexec_b64 s[0:1], vcc
	s_cbranch_execz .LBB807_28
.LBB807_27:
	v_add_co_u32_e32 v0, vcc, 0x1000, v2
	v_addc_co_u32_e32 v1, vcc, 0, v3, vcc
	s_waitcnt lgkmcnt(1)
	global_store_dwordx2 v[0:1], v[6:7], off
.LBB807_28:
	s_or_b64 exec, exec, s[0:1]
	v_cmp_gt_u32_e64 s[0:1], s2, v10
.LBB807_29:
	s_and_saveexec_b64 s[2:3], s[0:1]
	s_cbranch_execz .LBB807_31
; %bb.30:
	v_add_co_u32_e32 v0, vcc, 0x1000, v2
	v_addc_co_u32_e32 v1, vcc, 0, v3, vcc
	s_waitcnt lgkmcnt(0)
	global_store_dwordx2 v[0:1], v[4:5], off offset:2048
.LBB807_31:
	s_endpgm
.LBB807_32:
	s_waitcnt vmcnt(3)
	v_mov_b32_e32 v2, s19
	s_waitcnt vmcnt(2)
	v_add_co_u32_e32 v4, vcc, s18, v1
	v_mov_b32_e32 v3, 0
	v_addc_co_u32_e32 v5, vcc, 0, v2, vcc
	v_subrev_u32_e32 v2, s9, v0
	v_lshlrev_b64 v[2:3], 3, v[2:3]
	s_waitcnt vmcnt(1)
	v_mov_b32_e32 v6, s17
	v_add_co_u32_e32 v2, vcc, s16, v2
	v_addc_co_u32_e32 v3, vcc, v6, v3, vcc
	v_cmp_gt_u32_e32 vcc, s9, v0
	v_cndmask_b32_e32 v3, v3, v5, vcc
	v_cndmask_b32_e32 v2, v2, v4, vcc
	global_load_dwordx2 v[2:3], v[2:3], off
	s_or_b64 exec, exec, s[0:1]
	v_cmp_gt_u32_e32 vcc, s11, v12
	s_and_saveexec_b64 s[2:3], vcc
	s_cbranch_execz .LBB807_6
.LBB807_33:
	v_mov_b32_e32 v13, 0
	s_waitcnt vmcnt(2)
	v_lshlrev_b64 v[4:5], 3, v[12:13]
	v_mov_b32_e32 v11, s19
	v_add_co_u32_e32 v15, vcc, s18, v4
	v_addc_co_u32_e32 v11, vcc, v11, v5, vcc
	v_cmp_gt_u32_e32 vcc, s9, v12
	v_subrev_u32_e32 v12, s9, v12
	v_lshlrev_b64 v[4:5], 3, v[12:13]
	v_mov_b32_e32 v12, s17
	v_add_co_u32_e64 v4, s[0:1], s16, v4
	v_addc_co_u32_e64 v5, s[0:1], v12, v5, s[0:1]
	v_cndmask_b32_e32 v5, v5, v11, vcc
	v_cndmask_b32_e32 v4, v4, v15, vcc
	global_load_dwordx2 v[4:5], v[4:5], off
	s_or_b64 exec, exec, s[2:3]
	v_cmp_gt_u32_e32 vcc, s11, v10
	s_and_saveexec_b64 s[0:1], vcc
	s_cbranch_execnz .LBB807_7
	s_branch .LBB807_8
.LBB807_34:
	ds_read_b64 v[0:1], v13
	s_waitcnt lgkmcnt(0)
	global_store_dwordx2 v[2:3], v[0:1], off
	s_or_b64 exec, exec, s[0:1]
	v_cmp_gt_u32_e32 vcc, s2, v12
	s_and_saveexec_b64 s[0:1], vcc
	s_cbranch_execz .LBB807_26
.LBB807_35:
	s_waitcnt lgkmcnt(2)
	global_store_dwordx2 v[2:3], v[8:9], off offset:2048
	s_or_b64 exec, exec, s[0:1]
	v_cmp_gt_u32_e32 vcc, s2, v11
	s_and_saveexec_b64 s[0:1], vcc
	s_cbranch_execnz .LBB807_27
	s_branch .LBB807_28
	.section	.rodata,"a",@progbits
	.p2align	6, 0x0
	.amdhsa_kernel _ZN7rocprim17ROCPRIM_400000_NS6detail17trampoline_kernelINS0_14default_configENS1_38merge_sort_block_merge_config_selectorIlNS0_10empty_typeEEEZZNS1_27merge_sort_block_merge_implIS3_PlPS5_jNS1_19radix_merge_compareILb0ELb0ElNS0_19identity_decomposerEEEEE10hipError_tT0_T1_T2_jT3_P12ihipStream_tbPNSt15iterator_traitsISE_E10value_typeEPNSK_ISF_E10value_typeEPSG_NS1_7vsmem_tEENKUlT_SE_SF_SG_E_clIS8_S8_S9_S9_EESD_ST_SE_SF_SG_EUlST_E0_NS1_11comp_targetILNS1_3genE4ELNS1_11target_archE910ELNS1_3gpuE8ELNS1_3repE0EEENS1_38merge_mergepath_config_static_selectorELNS0_4arch9wavefront6targetE1EEEvSF_
		.amdhsa_group_segment_fixed_size 8448
		.amdhsa_private_segment_fixed_size 0
		.amdhsa_kernarg_size 320
		.amdhsa_user_sgpr_count 6
		.amdhsa_user_sgpr_private_segment_buffer 1
		.amdhsa_user_sgpr_dispatch_ptr 0
		.amdhsa_user_sgpr_queue_ptr 0
		.amdhsa_user_sgpr_kernarg_segment_ptr 1
		.amdhsa_user_sgpr_dispatch_id 0
		.amdhsa_user_sgpr_flat_scratch_init 0
		.amdhsa_user_sgpr_kernarg_preload_length 0
		.amdhsa_user_sgpr_kernarg_preload_offset 0
		.amdhsa_user_sgpr_private_segment_size 0
		.amdhsa_uses_dynamic_stack 0
		.amdhsa_system_sgpr_private_segment_wavefront_offset 0
		.amdhsa_system_sgpr_workgroup_id_x 1
		.amdhsa_system_sgpr_workgroup_id_y 1
		.amdhsa_system_sgpr_workgroup_id_z 1
		.amdhsa_system_sgpr_workgroup_info 0
		.amdhsa_system_vgpr_workitem_id 0
		.amdhsa_next_free_vgpr 21
		.amdhsa_next_free_sgpr 23
		.amdhsa_accum_offset 24
		.amdhsa_reserve_vcc 1
		.amdhsa_reserve_flat_scratch 0
		.amdhsa_float_round_mode_32 0
		.amdhsa_float_round_mode_16_64 0
		.amdhsa_float_denorm_mode_32 3
		.amdhsa_float_denorm_mode_16_64 3
		.amdhsa_dx10_clamp 1
		.amdhsa_ieee_mode 1
		.amdhsa_fp16_overflow 0
		.amdhsa_tg_split 0
		.amdhsa_exception_fp_ieee_invalid_op 0
		.amdhsa_exception_fp_denorm_src 0
		.amdhsa_exception_fp_ieee_div_zero 0
		.amdhsa_exception_fp_ieee_overflow 0
		.amdhsa_exception_fp_ieee_underflow 0
		.amdhsa_exception_fp_ieee_inexact 0
		.amdhsa_exception_int_div_zero 0
	.end_amdhsa_kernel
	.section	.text._ZN7rocprim17ROCPRIM_400000_NS6detail17trampoline_kernelINS0_14default_configENS1_38merge_sort_block_merge_config_selectorIlNS0_10empty_typeEEEZZNS1_27merge_sort_block_merge_implIS3_PlPS5_jNS1_19radix_merge_compareILb0ELb0ElNS0_19identity_decomposerEEEEE10hipError_tT0_T1_T2_jT3_P12ihipStream_tbPNSt15iterator_traitsISE_E10value_typeEPNSK_ISF_E10value_typeEPSG_NS1_7vsmem_tEENKUlT_SE_SF_SG_E_clIS8_S8_S9_S9_EESD_ST_SE_SF_SG_EUlST_E0_NS1_11comp_targetILNS1_3genE4ELNS1_11target_archE910ELNS1_3gpuE8ELNS1_3repE0EEENS1_38merge_mergepath_config_static_selectorELNS0_4arch9wavefront6targetE1EEEvSF_,"axG",@progbits,_ZN7rocprim17ROCPRIM_400000_NS6detail17trampoline_kernelINS0_14default_configENS1_38merge_sort_block_merge_config_selectorIlNS0_10empty_typeEEEZZNS1_27merge_sort_block_merge_implIS3_PlPS5_jNS1_19radix_merge_compareILb0ELb0ElNS0_19identity_decomposerEEEEE10hipError_tT0_T1_T2_jT3_P12ihipStream_tbPNSt15iterator_traitsISE_E10value_typeEPNSK_ISF_E10value_typeEPSG_NS1_7vsmem_tEENKUlT_SE_SF_SG_E_clIS8_S8_S9_S9_EESD_ST_SE_SF_SG_EUlST_E0_NS1_11comp_targetILNS1_3genE4ELNS1_11target_archE910ELNS1_3gpuE8ELNS1_3repE0EEENS1_38merge_mergepath_config_static_selectorELNS0_4arch9wavefront6targetE1EEEvSF_,comdat
.Lfunc_end807:
	.size	_ZN7rocprim17ROCPRIM_400000_NS6detail17trampoline_kernelINS0_14default_configENS1_38merge_sort_block_merge_config_selectorIlNS0_10empty_typeEEEZZNS1_27merge_sort_block_merge_implIS3_PlPS5_jNS1_19radix_merge_compareILb0ELb0ElNS0_19identity_decomposerEEEEE10hipError_tT0_T1_T2_jT3_P12ihipStream_tbPNSt15iterator_traitsISE_E10value_typeEPNSK_ISF_E10value_typeEPSG_NS1_7vsmem_tEENKUlT_SE_SF_SG_E_clIS8_S8_S9_S9_EESD_ST_SE_SF_SG_EUlST_E0_NS1_11comp_targetILNS1_3genE4ELNS1_11target_archE910ELNS1_3gpuE8ELNS1_3repE0EEENS1_38merge_mergepath_config_static_selectorELNS0_4arch9wavefront6targetE1EEEvSF_, .Lfunc_end807-_ZN7rocprim17ROCPRIM_400000_NS6detail17trampoline_kernelINS0_14default_configENS1_38merge_sort_block_merge_config_selectorIlNS0_10empty_typeEEEZZNS1_27merge_sort_block_merge_implIS3_PlPS5_jNS1_19radix_merge_compareILb0ELb0ElNS0_19identity_decomposerEEEEE10hipError_tT0_T1_T2_jT3_P12ihipStream_tbPNSt15iterator_traitsISE_E10value_typeEPNSK_ISF_E10value_typeEPSG_NS1_7vsmem_tEENKUlT_SE_SF_SG_E_clIS8_S8_S9_S9_EESD_ST_SE_SF_SG_EUlST_E0_NS1_11comp_targetILNS1_3genE4ELNS1_11target_archE910ELNS1_3gpuE8ELNS1_3repE0EEENS1_38merge_mergepath_config_static_selectorELNS0_4arch9wavefront6targetE1EEEvSF_
                                        ; -- End function
	.section	.AMDGPU.csdata,"",@progbits
; Kernel info:
; codeLenInByte = 2180
; NumSgprs: 27
; NumVgprs: 21
; NumAgprs: 0
; TotalNumVgprs: 21
; ScratchSize: 0
; MemoryBound: 0
; FloatMode: 240
; IeeeMode: 1
; LDSByteSize: 8448 bytes/workgroup (compile time only)
; SGPRBlocks: 3
; VGPRBlocks: 2
; NumSGPRsForWavesPerEU: 27
; NumVGPRsForWavesPerEU: 21
; AccumOffset: 24
; Occupancy: 7
; WaveLimiterHint : 1
; COMPUTE_PGM_RSRC2:SCRATCH_EN: 0
; COMPUTE_PGM_RSRC2:USER_SGPR: 6
; COMPUTE_PGM_RSRC2:TRAP_HANDLER: 0
; COMPUTE_PGM_RSRC2:TGID_X_EN: 1
; COMPUTE_PGM_RSRC2:TGID_Y_EN: 1
; COMPUTE_PGM_RSRC2:TGID_Z_EN: 1
; COMPUTE_PGM_RSRC2:TIDIG_COMP_CNT: 0
; COMPUTE_PGM_RSRC3_GFX90A:ACCUM_OFFSET: 5
; COMPUTE_PGM_RSRC3_GFX90A:TG_SPLIT: 0
	.section	.text._ZN7rocprim17ROCPRIM_400000_NS6detail17trampoline_kernelINS0_14default_configENS1_38merge_sort_block_merge_config_selectorIlNS0_10empty_typeEEEZZNS1_27merge_sort_block_merge_implIS3_PlPS5_jNS1_19radix_merge_compareILb0ELb0ElNS0_19identity_decomposerEEEEE10hipError_tT0_T1_T2_jT3_P12ihipStream_tbPNSt15iterator_traitsISE_E10value_typeEPNSK_ISF_E10value_typeEPSG_NS1_7vsmem_tEENKUlT_SE_SF_SG_E_clIS8_S8_S9_S9_EESD_ST_SE_SF_SG_EUlST_E0_NS1_11comp_targetILNS1_3genE3ELNS1_11target_archE908ELNS1_3gpuE7ELNS1_3repE0EEENS1_38merge_mergepath_config_static_selectorELNS0_4arch9wavefront6targetE1EEEvSF_,"axG",@progbits,_ZN7rocprim17ROCPRIM_400000_NS6detail17trampoline_kernelINS0_14default_configENS1_38merge_sort_block_merge_config_selectorIlNS0_10empty_typeEEEZZNS1_27merge_sort_block_merge_implIS3_PlPS5_jNS1_19radix_merge_compareILb0ELb0ElNS0_19identity_decomposerEEEEE10hipError_tT0_T1_T2_jT3_P12ihipStream_tbPNSt15iterator_traitsISE_E10value_typeEPNSK_ISF_E10value_typeEPSG_NS1_7vsmem_tEENKUlT_SE_SF_SG_E_clIS8_S8_S9_S9_EESD_ST_SE_SF_SG_EUlST_E0_NS1_11comp_targetILNS1_3genE3ELNS1_11target_archE908ELNS1_3gpuE7ELNS1_3repE0EEENS1_38merge_mergepath_config_static_selectorELNS0_4arch9wavefront6targetE1EEEvSF_,comdat
	.protected	_ZN7rocprim17ROCPRIM_400000_NS6detail17trampoline_kernelINS0_14default_configENS1_38merge_sort_block_merge_config_selectorIlNS0_10empty_typeEEEZZNS1_27merge_sort_block_merge_implIS3_PlPS5_jNS1_19radix_merge_compareILb0ELb0ElNS0_19identity_decomposerEEEEE10hipError_tT0_T1_T2_jT3_P12ihipStream_tbPNSt15iterator_traitsISE_E10value_typeEPNSK_ISF_E10value_typeEPSG_NS1_7vsmem_tEENKUlT_SE_SF_SG_E_clIS8_S8_S9_S9_EESD_ST_SE_SF_SG_EUlST_E0_NS1_11comp_targetILNS1_3genE3ELNS1_11target_archE908ELNS1_3gpuE7ELNS1_3repE0EEENS1_38merge_mergepath_config_static_selectorELNS0_4arch9wavefront6targetE1EEEvSF_ ; -- Begin function _ZN7rocprim17ROCPRIM_400000_NS6detail17trampoline_kernelINS0_14default_configENS1_38merge_sort_block_merge_config_selectorIlNS0_10empty_typeEEEZZNS1_27merge_sort_block_merge_implIS3_PlPS5_jNS1_19radix_merge_compareILb0ELb0ElNS0_19identity_decomposerEEEEE10hipError_tT0_T1_T2_jT3_P12ihipStream_tbPNSt15iterator_traitsISE_E10value_typeEPNSK_ISF_E10value_typeEPSG_NS1_7vsmem_tEENKUlT_SE_SF_SG_E_clIS8_S8_S9_S9_EESD_ST_SE_SF_SG_EUlST_E0_NS1_11comp_targetILNS1_3genE3ELNS1_11target_archE908ELNS1_3gpuE7ELNS1_3repE0EEENS1_38merge_mergepath_config_static_selectorELNS0_4arch9wavefront6targetE1EEEvSF_
	.globl	_ZN7rocprim17ROCPRIM_400000_NS6detail17trampoline_kernelINS0_14default_configENS1_38merge_sort_block_merge_config_selectorIlNS0_10empty_typeEEEZZNS1_27merge_sort_block_merge_implIS3_PlPS5_jNS1_19radix_merge_compareILb0ELb0ElNS0_19identity_decomposerEEEEE10hipError_tT0_T1_T2_jT3_P12ihipStream_tbPNSt15iterator_traitsISE_E10value_typeEPNSK_ISF_E10value_typeEPSG_NS1_7vsmem_tEENKUlT_SE_SF_SG_E_clIS8_S8_S9_S9_EESD_ST_SE_SF_SG_EUlST_E0_NS1_11comp_targetILNS1_3genE3ELNS1_11target_archE908ELNS1_3gpuE7ELNS1_3repE0EEENS1_38merge_mergepath_config_static_selectorELNS0_4arch9wavefront6targetE1EEEvSF_
	.p2align	8
	.type	_ZN7rocprim17ROCPRIM_400000_NS6detail17trampoline_kernelINS0_14default_configENS1_38merge_sort_block_merge_config_selectorIlNS0_10empty_typeEEEZZNS1_27merge_sort_block_merge_implIS3_PlPS5_jNS1_19radix_merge_compareILb0ELb0ElNS0_19identity_decomposerEEEEE10hipError_tT0_T1_T2_jT3_P12ihipStream_tbPNSt15iterator_traitsISE_E10value_typeEPNSK_ISF_E10value_typeEPSG_NS1_7vsmem_tEENKUlT_SE_SF_SG_E_clIS8_S8_S9_S9_EESD_ST_SE_SF_SG_EUlST_E0_NS1_11comp_targetILNS1_3genE3ELNS1_11target_archE908ELNS1_3gpuE7ELNS1_3repE0EEENS1_38merge_mergepath_config_static_selectorELNS0_4arch9wavefront6targetE1EEEvSF_,@function
_ZN7rocprim17ROCPRIM_400000_NS6detail17trampoline_kernelINS0_14default_configENS1_38merge_sort_block_merge_config_selectorIlNS0_10empty_typeEEEZZNS1_27merge_sort_block_merge_implIS3_PlPS5_jNS1_19radix_merge_compareILb0ELb0ElNS0_19identity_decomposerEEEEE10hipError_tT0_T1_T2_jT3_P12ihipStream_tbPNSt15iterator_traitsISE_E10value_typeEPNSK_ISF_E10value_typeEPSG_NS1_7vsmem_tEENKUlT_SE_SF_SG_E_clIS8_S8_S9_S9_EESD_ST_SE_SF_SG_EUlST_E0_NS1_11comp_targetILNS1_3genE3ELNS1_11target_archE908ELNS1_3gpuE7ELNS1_3repE0EEENS1_38merge_mergepath_config_static_selectorELNS0_4arch9wavefront6targetE1EEEvSF_: ; @_ZN7rocprim17ROCPRIM_400000_NS6detail17trampoline_kernelINS0_14default_configENS1_38merge_sort_block_merge_config_selectorIlNS0_10empty_typeEEEZZNS1_27merge_sort_block_merge_implIS3_PlPS5_jNS1_19radix_merge_compareILb0ELb0ElNS0_19identity_decomposerEEEEE10hipError_tT0_T1_T2_jT3_P12ihipStream_tbPNSt15iterator_traitsISE_E10value_typeEPNSK_ISF_E10value_typeEPSG_NS1_7vsmem_tEENKUlT_SE_SF_SG_E_clIS8_S8_S9_S9_EESD_ST_SE_SF_SG_EUlST_E0_NS1_11comp_targetILNS1_3genE3ELNS1_11target_archE908ELNS1_3gpuE7ELNS1_3repE0EEENS1_38merge_mergepath_config_static_selectorELNS0_4arch9wavefront6targetE1EEEvSF_
; %bb.0:
	.section	.rodata,"a",@progbits
	.p2align	6, 0x0
	.amdhsa_kernel _ZN7rocprim17ROCPRIM_400000_NS6detail17trampoline_kernelINS0_14default_configENS1_38merge_sort_block_merge_config_selectorIlNS0_10empty_typeEEEZZNS1_27merge_sort_block_merge_implIS3_PlPS5_jNS1_19radix_merge_compareILb0ELb0ElNS0_19identity_decomposerEEEEE10hipError_tT0_T1_T2_jT3_P12ihipStream_tbPNSt15iterator_traitsISE_E10value_typeEPNSK_ISF_E10value_typeEPSG_NS1_7vsmem_tEENKUlT_SE_SF_SG_E_clIS8_S8_S9_S9_EESD_ST_SE_SF_SG_EUlST_E0_NS1_11comp_targetILNS1_3genE3ELNS1_11target_archE908ELNS1_3gpuE7ELNS1_3repE0EEENS1_38merge_mergepath_config_static_selectorELNS0_4arch9wavefront6targetE1EEEvSF_
		.amdhsa_group_segment_fixed_size 0
		.amdhsa_private_segment_fixed_size 0
		.amdhsa_kernarg_size 64
		.amdhsa_user_sgpr_count 6
		.amdhsa_user_sgpr_private_segment_buffer 1
		.amdhsa_user_sgpr_dispatch_ptr 0
		.amdhsa_user_sgpr_queue_ptr 0
		.amdhsa_user_sgpr_kernarg_segment_ptr 1
		.amdhsa_user_sgpr_dispatch_id 0
		.amdhsa_user_sgpr_flat_scratch_init 0
		.amdhsa_user_sgpr_kernarg_preload_length 0
		.amdhsa_user_sgpr_kernarg_preload_offset 0
		.amdhsa_user_sgpr_private_segment_size 0
		.amdhsa_uses_dynamic_stack 0
		.amdhsa_system_sgpr_private_segment_wavefront_offset 0
		.amdhsa_system_sgpr_workgroup_id_x 1
		.amdhsa_system_sgpr_workgroup_id_y 0
		.amdhsa_system_sgpr_workgroup_id_z 0
		.amdhsa_system_sgpr_workgroup_info 0
		.amdhsa_system_vgpr_workitem_id 0
		.amdhsa_next_free_vgpr 1
		.amdhsa_next_free_sgpr 0
		.amdhsa_accum_offset 4
		.amdhsa_reserve_vcc 0
		.amdhsa_reserve_flat_scratch 0
		.amdhsa_float_round_mode_32 0
		.amdhsa_float_round_mode_16_64 0
		.amdhsa_float_denorm_mode_32 3
		.amdhsa_float_denorm_mode_16_64 3
		.amdhsa_dx10_clamp 1
		.amdhsa_ieee_mode 1
		.amdhsa_fp16_overflow 0
		.amdhsa_tg_split 0
		.amdhsa_exception_fp_ieee_invalid_op 0
		.amdhsa_exception_fp_denorm_src 0
		.amdhsa_exception_fp_ieee_div_zero 0
		.amdhsa_exception_fp_ieee_overflow 0
		.amdhsa_exception_fp_ieee_underflow 0
		.amdhsa_exception_fp_ieee_inexact 0
		.amdhsa_exception_int_div_zero 0
	.end_amdhsa_kernel
	.section	.text._ZN7rocprim17ROCPRIM_400000_NS6detail17trampoline_kernelINS0_14default_configENS1_38merge_sort_block_merge_config_selectorIlNS0_10empty_typeEEEZZNS1_27merge_sort_block_merge_implIS3_PlPS5_jNS1_19radix_merge_compareILb0ELb0ElNS0_19identity_decomposerEEEEE10hipError_tT0_T1_T2_jT3_P12ihipStream_tbPNSt15iterator_traitsISE_E10value_typeEPNSK_ISF_E10value_typeEPSG_NS1_7vsmem_tEENKUlT_SE_SF_SG_E_clIS8_S8_S9_S9_EESD_ST_SE_SF_SG_EUlST_E0_NS1_11comp_targetILNS1_3genE3ELNS1_11target_archE908ELNS1_3gpuE7ELNS1_3repE0EEENS1_38merge_mergepath_config_static_selectorELNS0_4arch9wavefront6targetE1EEEvSF_,"axG",@progbits,_ZN7rocprim17ROCPRIM_400000_NS6detail17trampoline_kernelINS0_14default_configENS1_38merge_sort_block_merge_config_selectorIlNS0_10empty_typeEEEZZNS1_27merge_sort_block_merge_implIS3_PlPS5_jNS1_19radix_merge_compareILb0ELb0ElNS0_19identity_decomposerEEEEE10hipError_tT0_T1_T2_jT3_P12ihipStream_tbPNSt15iterator_traitsISE_E10value_typeEPNSK_ISF_E10value_typeEPSG_NS1_7vsmem_tEENKUlT_SE_SF_SG_E_clIS8_S8_S9_S9_EESD_ST_SE_SF_SG_EUlST_E0_NS1_11comp_targetILNS1_3genE3ELNS1_11target_archE908ELNS1_3gpuE7ELNS1_3repE0EEENS1_38merge_mergepath_config_static_selectorELNS0_4arch9wavefront6targetE1EEEvSF_,comdat
.Lfunc_end808:
	.size	_ZN7rocprim17ROCPRIM_400000_NS6detail17trampoline_kernelINS0_14default_configENS1_38merge_sort_block_merge_config_selectorIlNS0_10empty_typeEEEZZNS1_27merge_sort_block_merge_implIS3_PlPS5_jNS1_19radix_merge_compareILb0ELb0ElNS0_19identity_decomposerEEEEE10hipError_tT0_T1_T2_jT3_P12ihipStream_tbPNSt15iterator_traitsISE_E10value_typeEPNSK_ISF_E10value_typeEPSG_NS1_7vsmem_tEENKUlT_SE_SF_SG_E_clIS8_S8_S9_S9_EESD_ST_SE_SF_SG_EUlST_E0_NS1_11comp_targetILNS1_3genE3ELNS1_11target_archE908ELNS1_3gpuE7ELNS1_3repE0EEENS1_38merge_mergepath_config_static_selectorELNS0_4arch9wavefront6targetE1EEEvSF_, .Lfunc_end808-_ZN7rocprim17ROCPRIM_400000_NS6detail17trampoline_kernelINS0_14default_configENS1_38merge_sort_block_merge_config_selectorIlNS0_10empty_typeEEEZZNS1_27merge_sort_block_merge_implIS3_PlPS5_jNS1_19radix_merge_compareILb0ELb0ElNS0_19identity_decomposerEEEEE10hipError_tT0_T1_T2_jT3_P12ihipStream_tbPNSt15iterator_traitsISE_E10value_typeEPNSK_ISF_E10value_typeEPSG_NS1_7vsmem_tEENKUlT_SE_SF_SG_E_clIS8_S8_S9_S9_EESD_ST_SE_SF_SG_EUlST_E0_NS1_11comp_targetILNS1_3genE3ELNS1_11target_archE908ELNS1_3gpuE7ELNS1_3repE0EEENS1_38merge_mergepath_config_static_selectorELNS0_4arch9wavefront6targetE1EEEvSF_
                                        ; -- End function
	.section	.AMDGPU.csdata,"",@progbits
; Kernel info:
; codeLenInByte = 0
; NumSgprs: 4
; NumVgprs: 0
; NumAgprs: 0
; TotalNumVgprs: 0
; ScratchSize: 0
; MemoryBound: 0
; FloatMode: 240
; IeeeMode: 1
; LDSByteSize: 0 bytes/workgroup (compile time only)
; SGPRBlocks: 0
; VGPRBlocks: 0
; NumSGPRsForWavesPerEU: 4
; NumVGPRsForWavesPerEU: 1
; AccumOffset: 4
; Occupancy: 8
; WaveLimiterHint : 0
; COMPUTE_PGM_RSRC2:SCRATCH_EN: 0
; COMPUTE_PGM_RSRC2:USER_SGPR: 6
; COMPUTE_PGM_RSRC2:TRAP_HANDLER: 0
; COMPUTE_PGM_RSRC2:TGID_X_EN: 1
; COMPUTE_PGM_RSRC2:TGID_Y_EN: 0
; COMPUTE_PGM_RSRC2:TGID_Z_EN: 0
; COMPUTE_PGM_RSRC2:TIDIG_COMP_CNT: 0
; COMPUTE_PGM_RSRC3_GFX90A:ACCUM_OFFSET: 0
; COMPUTE_PGM_RSRC3_GFX90A:TG_SPLIT: 0
	.section	.text._ZN7rocprim17ROCPRIM_400000_NS6detail17trampoline_kernelINS0_14default_configENS1_38merge_sort_block_merge_config_selectorIlNS0_10empty_typeEEEZZNS1_27merge_sort_block_merge_implIS3_PlPS5_jNS1_19radix_merge_compareILb0ELb0ElNS0_19identity_decomposerEEEEE10hipError_tT0_T1_T2_jT3_P12ihipStream_tbPNSt15iterator_traitsISE_E10value_typeEPNSK_ISF_E10value_typeEPSG_NS1_7vsmem_tEENKUlT_SE_SF_SG_E_clIS8_S8_S9_S9_EESD_ST_SE_SF_SG_EUlST_E0_NS1_11comp_targetILNS1_3genE2ELNS1_11target_archE906ELNS1_3gpuE6ELNS1_3repE0EEENS1_38merge_mergepath_config_static_selectorELNS0_4arch9wavefront6targetE1EEEvSF_,"axG",@progbits,_ZN7rocprim17ROCPRIM_400000_NS6detail17trampoline_kernelINS0_14default_configENS1_38merge_sort_block_merge_config_selectorIlNS0_10empty_typeEEEZZNS1_27merge_sort_block_merge_implIS3_PlPS5_jNS1_19radix_merge_compareILb0ELb0ElNS0_19identity_decomposerEEEEE10hipError_tT0_T1_T2_jT3_P12ihipStream_tbPNSt15iterator_traitsISE_E10value_typeEPNSK_ISF_E10value_typeEPSG_NS1_7vsmem_tEENKUlT_SE_SF_SG_E_clIS8_S8_S9_S9_EESD_ST_SE_SF_SG_EUlST_E0_NS1_11comp_targetILNS1_3genE2ELNS1_11target_archE906ELNS1_3gpuE6ELNS1_3repE0EEENS1_38merge_mergepath_config_static_selectorELNS0_4arch9wavefront6targetE1EEEvSF_,comdat
	.protected	_ZN7rocprim17ROCPRIM_400000_NS6detail17trampoline_kernelINS0_14default_configENS1_38merge_sort_block_merge_config_selectorIlNS0_10empty_typeEEEZZNS1_27merge_sort_block_merge_implIS3_PlPS5_jNS1_19radix_merge_compareILb0ELb0ElNS0_19identity_decomposerEEEEE10hipError_tT0_T1_T2_jT3_P12ihipStream_tbPNSt15iterator_traitsISE_E10value_typeEPNSK_ISF_E10value_typeEPSG_NS1_7vsmem_tEENKUlT_SE_SF_SG_E_clIS8_S8_S9_S9_EESD_ST_SE_SF_SG_EUlST_E0_NS1_11comp_targetILNS1_3genE2ELNS1_11target_archE906ELNS1_3gpuE6ELNS1_3repE0EEENS1_38merge_mergepath_config_static_selectorELNS0_4arch9wavefront6targetE1EEEvSF_ ; -- Begin function _ZN7rocprim17ROCPRIM_400000_NS6detail17trampoline_kernelINS0_14default_configENS1_38merge_sort_block_merge_config_selectorIlNS0_10empty_typeEEEZZNS1_27merge_sort_block_merge_implIS3_PlPS5_jNS1_19radix_merge_compareILb0ELb0ElNS0_19identity_decomposerEEEEE10hipError_tT0_T1_T2_jT3_P12ihipStream_tbPNSt15iterator_traitsISE_E10value_typeEPNSK_ISF_E10value_typeEPSG_NS1_7vsmem_tEENKUlT_SE_SF_SG_E_clIS8_S8_S9_S9_EESD_ST_SE_SF_SG_EUlST_E0_NS1_11comp_targetILNS1_3genE2ELNS1_11target_archE906ELNS1_3gpuE6ELNS1_3repE0EEENS1_38merge_mergepath_config_static_selectorELNS0_4arch9wavefront6targetE1EEEvSF_
	.globl	_ZN7rocprim17ROCPRIM_400000_NS6detail17trampoline_kernelINS0_14default_configENS1_38merge_sort_block_merge_config_selectorIlNS0_10empty_typeEEEZZNS1_27merge_sort_block_merge_implIS3_PlPS5_jNS1_19radix_merge_compareILb0ELb0ElNS0_19identity_decomposerEEEEE10hipError_tT0_T1_T2_jT3_P12ihipStream_tbPNSt15iterator_traitsISE_E10value_typeEPNSK_ISF_E10value_typeEPSG_NS1_7vsmem_tEENKUlT_SE_SF_SG_E_clIS8_S8_S9_S9_EESD_ST_SE_SF_SG_EUlST_E0_NS1_11comp_targetILNS1_3genE2ELNS1_11target_archE906ELNS1_3gpuE6ELNS1_3repE0EEENS1_38merge_mergepath_config_static_selectorELNS0_4arch9wavefront6targetE1EEEvSF_
	.p2align	8
	.type	_ZN7rocprim17ROCPRIM_400000_NS6detail17trampoline_kernelINS0_14default_configENS1_38merge_sort_block_merge_config_selectorIlNS0_10empty_typeEEEZZNS1_27merge_sort_block_merge_implIS3_PlPS5_jNS1_19radix_merge_compareILb0ELb0ElNS0_19identity_decomposerEEEEE10hipError_tT0_T1_T2_jT3_P12ihipStream_tbPNSt15iterator_traitsISE_E10value_typeEPNSK_ISF_E10value_typeEPSG_NS1_7vsmem_tEENKUlT_SE_SF_SG_E_clIS8_S8_S9_S9_EESD_ST_SE_SF_SG_EUlST_E0_NS1_11comp_targetILNS1_3genE2ELNS1_11target_archE906ELNS1_3gpuE6ELNS1_3repE0EEENS1_38merge_mergepath_config_static_selectorELNS0_4arch9wavefront6targetE1EEEvSF_,@function
_ZN7rocprim17ROCPRIM_400000_NS6detail17trampoline_kernelINS0_14default_configENS1_38merge_sort_block_merge_config_selectorIlNS0_10empty_typeEEEZZNS1_27merge_sort_block_merge_implIS3_PlPS5_jNS1_19radix_merge_compareILb0ELb0ElNS0_19identity_decomposerEEEEE10hipError_tT0_T1_T2_jT3_P12ihipStream_tbPNSt15iterator_traitsISE_E10value_typeEPNSK_ISF_E10value_typeEPSG_NS1_7vsmem_tEENKUlT_SE_SF_SG_E_clIS8_S8_S9_S9_EESD_ST_SE_SF_SG_EUlST_E0_NS1_11comp_targetILNS1_3genE2ELNS1_11target_archE906ELNS1_3gpuE6ELNS1_3repE0EEENS1_38merge_mergepath_config_static_selectorELNS0_4arch9wavefront6targetE1EEEvSF_: ; @_ZN7rocprim17ROCPRIM_400000_NS6detail17trampoline_kernelINS0_14default_configENS1_38merge_sort_block_merge_config_selectorIlNS0_10empty_typeEEEZZNS1_27merge_sort_block_merge_implIS3_PlPS5_jNS1_19radix_merge_compareILb0ELb0ElNS0_19identity_decomposerEEEEE10hipError_tT0_T1_T2_jT3_P12ihipStream_tbPNSt15iterator_traitsISE_E10value_typeEPNSK_ISF_E10value_typeEPSG_NS1_7vsmem_tEENKUlT_SE_SF_SG_E_clIS8_S8_S9_S9_EESD_ST_SE_SF_SG_EUlST_E0_NS1_11comp_targetILNS1_3genE2ELNS1_11target_archE906ELNS1_3gpuE6ELNS1_3repE0EEENS1_38merge_mergepath_config_static_selectorELNS0_4arch9wavefront6targetE1EEEvSF_
; %bb.0:
	.section	.rodata,"a",@progbits
	.p2align	6, 0x0
	.amdhsa_kernel _ZN7rocprim17ROCPRIM_400000_NS6detail17trampoline_kernelINS0_14default_configENS1_38merge_sort_block_merge_config_selectorIlNS0_10empty_typeEEEZZNS1_27merge_sort_block_merge_implIS3_PlPS5_jNS1_19radix_merge_compareILb0ELb0ElNS0_19identity_decomposerEEEEE10hipError_tT0_T1_T2_jT3_P12ihipStream_tbPNSt15iterator_traitsISE_E10value_typeEPNSK_ISF_E10value_typeEPSG_NS1_7vsmem_tEENKUlT_SE_SF_SG_E_clIS8_S8_S9_S9_EESD_ST_SE_SF_SG_EUlST_E0_NS1_11comp_targetILNS1_3genE2ELNS1_11target_archE906ELNS1_3gpuE6ELNS1_3repE0EEENS1_38merge_mergepath_config_static_selectorELNS0_4arch9wavefront6targetE1EEEvSF_
		.amdhsa_group_segment_fixed_size 0
		.amdhsa_private_segment_fixed_size 0
		.amdhsa_kernarg_size 64
		.amdhsa_user_sgpr_count 6
		.amdhsa_user_sgpr_private_segment_buffer 1
		.amdhsa_user_sgpr_dispatch_ptr 0
		.amdhsa_user_sgpr_queue_ptr 0
		.amdhsa_user_sgpr_kernarg_segment_ptr 1
		.amdhsa_user_sgpr_dispatch_id 0
		.amdhsa_user_sgpr_flat_scratch_init 0
		.amdhsa_user_sgpr_kernarg_preload_length 0
		.amdhsa_user_sgpr_kernarg_preload_offset 0
		.amdhsa_user_sgpr_private_segment_size 0
		.amdhsa_uses_dynamic_stack 0
		.amdhsa_system_sgpr_private_segment_wavefront_offset 0
		.amdhsa_system_sgpr_workgroup_id_x 1
		.amdhsa_system_sgpr_workgroup_id_y 0
		.amdhsa_system_sgpr_workgroup_id_z 0
		.amdhsa_system_sgpr_workgroup_info 0
		.amdhsa_system_vgpr_workitem_id 0
		.amdhsa_next_free_vgpr 1
		.amdhsa_next_free_sgpr 0
		.amdhsa_accum_offset 4
		.amdhsa_reserve_vcc 0
		.amdhsa_reserve_flat_scratch 0
		.amdhsa_float_round_mode_32 0
		.amdhsa_float_round_mode_16_64 0
		.amdhsa_float_denorm_mode_32 3
		.amdhsa_float_denorm_mode_16_64 3
		.amdhsa_dx10_clamp 1
		.amdhsa_ieee_mode 1
		.amdhsa_fp16_overflow 0
		.amdhsa_tg_split 0
		.amdhsa_exception_fp_ieee_invalid_op 0
		.amdhsa_exception_fp_denorm_src 0
		.amdhsa_exception_fp_ieee_div_zero 0
		.amdhsa_exception_fp_ieee_overflow 0
		.amdhsa_exception_fp_ieee_underflow 0
		.amdhsa_exception_fp_ieee_inexact 0
		.amdhsa_exception_int_div_zero 0
	.end_amdhsa_kernel
	.section	.text._ZN7rocprim17ROCPRIM_400000_NS6detail17trampoline_kernelINS0_14default_configENS1_38merge_sort_block_merge_config_selectorIlNS0_10empty_typeEEEZZNS1_27merge_sort_block_merge_implIS3_PlPS5_jNS1_19radix_merge_compareILb0ELb0ElNS0_19identity_decomposerEEEEE10hipError_tT0_T1_T2_jT3_P12ihipStream_tbPNSt15iterator_traitsISE_E10value_typeEPNSK_ISF_E10value_typeEPSG_NS1_7vsmem_tEENKUlT_SE_SF_SG_E_clIS8_S8_S9_S9_EESD_ST_SE_SF_SG_EUlST_E0_NS1_11comp_targetILNS1_3genE2ELNS1_11target_archE906ELNS1_3gpuE6ELNS1_3repE0EEENS1_38merge_mergepath_config_static_selectorELNS0_4arch9wavefront6targetE1EEEvSF_,"axG",@progbits,_ZN7rocprim17ROCPRIM_400000_NS6detail17trampoline_kernelINS0_14default_configENS1_38merge_sort_block_merge_config_selectorIlNS0_10empty_typeEEEZZNS1_27merge_sort_block_merge_implIS3_PlPS5_jNS1_19radix_merge_compareILb0ELb0ElNS0_19identity_decomposerEEEEE10hipError_tT0_T1_T2_jT3_P12ihipStream_tbPNSt15iterator_traitsISE_E10value_typeEPNSK_ISF_E10value_typeEPSG_NS1_7vsmem_tEENKUlT_SE_SF_SG_E_clIS8_S8_S9_S9_EESD_ST_SE_SF_SG_EUlST_E0_NS1_11comp_targetILNS1_3genE2ELNS1_11target_archE906ELNS1_3gpuE6ELNS1_3repE0EEENS1_38merge_mergepath_config_static_selectorELNS0_4arch9wavefront6targetE1EEEvSF_,comdat
.Lfunc_end809:
	.size	_ZN7rocprim17ROCPRIM_400000_NS6detail17trampoline_kernelINS0_14default_configENS1_38merge_sort_block_merge_config_selectorIlNS0_10empty_typeEEEZZNS1_27merge_sort_block_merge_implIS3_PlPS5_jNS1_19radix_merge_compareILb0ELb0ElNS0_19identity_decomposerEEEEE10hipError_tT0_T1_T2_jT3_P12ihipStream_tbPNSt15iterator_traitsISE_E10value_typeEPNSK_ISF_E10value_typeEPSG_NS1_7vsmem_tEENKUlT_SE_SF_SG_E_clIS8_S8_S9_S9_EESD_ST_SE_SF_SG_EUlST_E0_NS1_11comp_targetILNS1_3genE2ELNS1_11target_archE906ELNS1_3gpuE6ELNS1_3repE0EEENS1_38merge_mergepath_config_static_selectorELNS0_4arch9wavefront6targetE1EEEvSF_, .Lfunc_end809-_ZN7rocprim17ROCPRIM_400000_NS6detail17trampoline_kernelINS0_14default_configENS1_38merge_sort_block_merge_config_selectorIlNS0_10empty_typeEEEZZNS1_27merge_sort_block_merge_implIS3_PlPS5_jNS1_19radix_merge_compareILb0ELb0ElNS0_19identity_decomposerEEEEE10hipError_tT0_T1_T2_jT3_P12ihipStream_tbPNSt15iterator_traitsISE_E10value_typeEPNSK_ISF_E10value_typeEPSG_NS1_7vsmem_tEENKUlT_SE_SF_SG_E_clIS8_S8_S9_S9_EESD_ST_SE_SF_SG_EUlST_E0_NS1_11comp_targetILNS1_3genE2ELNS1_11target_archE906ELNS1_3gpuE6ELNS1_3repE0EEENS1_38merge_mergepath_config_static_selectorELNS0_4arch9wavefront6targetE1EEEvSF_
                                        ; -- End function
	.section	.AMDGPU.csdata,"",@progbits
; Kernel info:
; codeLenInByte = 0
; NumSgprs: 4
; NumVgprs: 0
; NumAgprs: 0
; TotalNumVgprs: 0
; ScratchSize: 0
; MemoryBound: 0
; FloatMode: 240
; IeeeMode: 1
; LDSByteSize: 0 bytes/workgroup (compile time only)
; SGPRBlocks: 0
; VGPRBlocks: 0
; NumSGPRsForWavesPerEU: 4
; NumVGPRsForWavesPerEU: 1
; AccumOffset: 4
; Occupancy: 8
; WaveLimiterHint : 0
; COMPUTE_PGM_RSRC2:SCRATCH_EN: 0
; COMPUTE_PGM_RSRC2:USER_SGPR: 6
; COMPUTE_PGM_RSRC2:TRAP_HANDLER: 0
; COMPUTE_PGM_RSRC2:TGID_X_EN: 1
; COMPUTE_PGM_RSRC2:TGID_Y_EN: 0
; COMPUTE_PGM_RSRC2:TGID_Z_EN: 0
; COMPUTE_PGM_RSRC2:TIDIG_COMP_CNT: 0
; COMPUTE_PGM_RSRC3_GFX90A:ACCUM_OFFSET: 0
; COMPUTE_PGM_RSRC3_GFX90A:TG_SPLIT: 0
	.section	.text._ZN7rocprim17ROCPRIM_400000_NS6detail17trampoline_kernelINS0_14default_configENS1_38merge_sort_block_merge_config_selectorIlNS0_10empty_typeEEEZZNS1_27merge_sort_block_merge_implIS3_PlPS5_jNS1_19radix_merge_compareILb0ELb0ElNS0_19identity_decomposerEEEEE10hipError_tT0_T1_T2_jT3_P12ihipStream_tbPNSt15iterator_traitsISE_E10value_typeEPNSK_ISF_E10value_typeEPSG_NS1_7vsmem_tEENKUlT_SE_SF_SG_E_clIS8_S8_S9_S9_EESD_ST_SE_SF_SG_EUlST_E0_NS1_11comp_targetILNS1_3genE9ELNS1_11target_archE1100ELNS1_3gpuE3ELNS1_3repE0EEENS1_38merge_mergepath_config_static_selectorELNS0_4arch9wavefront6targetE1EEEvSF_,"axG",@progbits,_ZN7rocprim17ROCPRIM_400000_NS6detail17trampoline_kernelINS0_14default_configENS1_38merge_sort_block_merge_config_selectorIlNS0_10empty_typeEEEZZNS1_27merge_sort_block_merge_implIS3_PlPS5_jNS1_19radix_merge_compareILb0ELb0ElNS0_19identity_decomposerEEEEE10hipError_tT0_T1_T2_jT3_P12ihipStream_tbPNSt15iterator_traitsISE_E10value_typeEPNSK_ISF_E10value_typeEPSG_NS1_7vsmem_tEENKUlT_SE_SF_SG_E_clIS8_S8_S9_S9_EESD_ST_SE_SF_SG_EUlST_E0_NS1_11comp_targetILNS1_3genE9ELNS1_11target_archE1100ELNS1_3gpuE3ELNS1_3repE0EEENS1_38merge_mergepath_config_static_selectorELNS0_4arch9wavefront6targetE1EEEvSF_,comdat
	.protected	_ZN7rocprim17ROCPRIM_400000_NS6detail17trampoline_kernelINS0_14default_configENS1_38merge_sort_block_merge_config_selectorIlNS0_10empty_typeEEEZZNS1_27merge_sort_block_merge_implIS3_PlPS5_jNS1_19radix_merge_compareILb0ELb0ElNS0_19identity_decomposerEEEEE10hipError_tT0_T1_T2_jT3_P12ihipStream_tbPNSt15iterator_traitsISE_E10value_typeEPNSK_ISF_E10value_typeEPSG_NS1_7vsmem_tEENKUlT_SE_SF_SG_E_clIS8_S8_S9_S9_EESD_ST_SE_SF_SG_EUlST_E0_NS1_11comp_targetILNS1_3genE9ELNS1_11target_archE1100ELNS1_3gpuE3ELNS1_3repE0EEENS1_38merge_mergepath_config_static_selectorELNS0_4arch9wavefront6targetE1EEEvSF_ ; -- Begin function _ZN7rocprim17ROCPRIM_400000_NS6detail17trampoline_kernelINS0_14default_configENS1_38merge_sort_block_merge_config_selectorIlNS0_10empty_typeEEEZZNS1_27merge_sort_block_merge_implIS3_PlPS5_jNS1_19radix_merge_compareILb0ELb0ElNS0_19identity_decomposerEEEEE10hipError_tT0_T1_T2_jT3_P12ihipStream_tbPNSt15iterator_traitsISE_E10value_typeEPNSK_ISF_E10value_typeEPSG_NS1_7vsmem_tEENKUlT_SE_SF_SG_E_clIS8_S8_S9_S9_EESD_ST_SE_SF_SG_EUlST_E0_NS1_11comp_targetILNS1_3genE9ELNS1_11target_archE1100ELNS1_3gpuE3ELNS1_3repE0EEENS1_38merge_mergepath_config_static_selectorELNS0_4arch9wavefront6targetE1EEEvSF_
	.globl	_ZN7rocprim17ROCPRIM_400000_NS6detail17trampoline_kernelINS0_14default_configENS1_38merge_sort_block_merge_config_selectorIlNS0_10empty_typeEEEZZNS1_27merge_sort_block_merge_implIS3_PlPS5_jNS1_19radix_merge_compareILb0ELb0ElNS0_19identity_decomposerEEEEE10hipError_tT0_T1_T2_jT3_P12ihipStream_tbPNSt15iterator_traitsISE_E10value_typeEPNSK_ISF_E10value_typeEPSG_NS1_7vsmem_tEENKUlT_SE_SF_SG_E_clIS8_S8_S9_S9_EESD_ST_SE_SF_SG_EUlST_E0_NS1_11comp_targetILNS1_3genE9ELNS1_11target_archE1100ELNS1_3gpuE3ELNS1_3repE0EEENS1_38merge_mergepath_config_static_selectorELNS0_4arch9wavefront6targetE1EEEvSF_
	.p2align	8
	.type	_ZN7rocprim17ROCPRIM_400000_NS6detail17trampoline_kernelINS0_14default_configENS1_38merge_sort_block_merge_config_selectorIlNS0_10empty_typeEEEZZNS1_27merge_sort_block_merge_implIS3_PlPS5_jNS1_19radix_merge_compareILb0ELb0ElNS0_19identity_decomposerEEEEE10hipError_tT0_T1_T2_jT3_P12ihipStream_tbPNSt15iterator_traitsISE_E10value_typeEPNSK_ISF_E10value_typeEPSG_NS1_7vsmem_tEENKUlT_SE_SF_SG_E_clIS8_S8_S9_S9_EESD_ST_SE_SF_SG_EUlST_E0_NS1_11comp_targetILNS1_3genE9ELNS1_11target_archE1100ELNS1_3gpuE3ELNS1_3repE0EEENS1_38merge_mergepath_config_static_selectorELNS0_4arch9wavefront6targetE1EEEvSF_,@function
_ZN7rocprim17ROCPRIM_400000_NS6detail17trampoline_kernelINS0_14default_configENS1_38merge_sort_block_merge_config_selectorIlNS0_10empty_typeEEEZZNS1_27merge_sort_block_merge_implIS3_PlPS5_jNS1_19radix_merge_compareILb0ELb0ElNS0_19identity_decomposerEEEEE10hipError_tT0_T1_T2_jT3_P12ihipStream_tbPNSt15iterator_traitsISE_E10value_typeEPNSK_ISF_E10value_typeEPSG_NS1_7vsmem_tEENKUlT_SE_SF_SG_E_clIS8_S8_S9_S9_EESD_ST_SE_SF_SG_EUlST_E0_NS1_11comp_targetILNS1_3genE9ELNS1_11target_archE1100ELNS1_3gpuE3ELNS1_3repE0EEENS1_38merge_mergepath_config_static_selectorELNS0_4arch9wavefront6targetE1EEEvSF_: ; @_ZN7rocprim17ROCPRIM_400000_NS6detail17trampoline_kernelINS0_14default_configENS1_38merge_sort_block_merge_config_selectorIlNS0_10empty_typeEEEZZNS1_27merge_sort_block_merge_implIS3_PlPS5_jNS1_19radix_merge_compareILb0ELb0ElNS0_19identity_decomposerEEEEE10hipError_tT0_T1_T2_jT3_P12ihipStream_tbPNSt15iterator_traitsISE_E10value_typeEPNSK_ISF_E10value_typeEPSG_NS1_7vsmem_tEENKUlT_SE_SF_SG_E_clIS8_S8_S9_S9_EESD_ST_SE_SF_SG_EUlST_E0_NS1_11comp_targetILNS1_3genE9ELNS1_11target_archE1100ELNS1_3gpuE3ELNS1_3repE0EEENS1_38merge_mergepath_config_static_selectorELNS0_4arch9wavefront6targetE1EEEvSF_
; %bb.0:
	.section	.rodata,"a",@progbits
	.p2align	6, 0x0
	.amdhsa_kernel _ZN7rocprim17ROCPRIM_400000_NS6detail17trampoline_kernelINS0_14default_configENS1_38merge_sort_block_merge_config_selectorIlNS0_10empty_typeEEEZZNS1_27merge_sort_block_merge_implIS3_PlPS5_jNS1_19radix_merge_compareILb0ELb0ElNS0_19identity_decomposerEEEEE10hipError_tT0_T1_T2_jT3_P12ihipStream_tbPNSt15iterator_traitsISE_E10value_typeEPNSK_ISF_E10value_typeEPSG_NS1_7vsmem_tEENKUlT_SE_SF_SG_E_clIS8_S8_S9_S9_EESD_ST_SE_SF_SG_EUlST_E0_NS1_11comp_targetILNS1_3genE9ELNS1_11target_archE1100ELNS1_3gpuE3ELNS1_3repE0EEENS1_38merge_mergepath_config_static_selectorELNS0_4arch9wavefront6targetE1EEEvSF_
		.amdhsa_group_segment_fixed_size 0
		.amdhsa_private_segment_fixed_size 0
		.amdhsa_kernarg_size 64
		.amdhsa_user_sgpr_count 6
		.amdhsa_user_sgpr_private_segment_buffer 1
		.amdhsa_user_sgpr_dispatch_ptr 0
		.amdhsa_user_sgpr_queue_ptr 0
		.amdhsa_user_sgpr_kernarg_segment_ptr 1
		.amdhsa_user_sgpr_dispatch_id 0
		.amdhsa_user_sgpr_flat_scratch_init 0
		.amdhsa_user_sgpr_kernarg_preload_length 0
		.amdhsa_user_sgpr_kernarg_preload_offset 0
		.amdhsa_user_sgpr_private_segment_size 0
		.amdhsa_uses_dynamic_stack 0
		.amdhsa_system_sgpr_private_segment_wavefront_offset 0
		.amdhsa_system_sgpr_workgroup_id_x 1
		.amdhsa_system_sgpr_workgroup_id_y 0
		.amdhsa_system_sgpr_workgroup_id_z 0
		.amdhsa_system_sgpr_workgroup_info 0
		.amdhsa_system_vgpr_workitem_id 0
		.amdhsa_next_free_vgpr 1
		.amdhsa_next_free_sgpr 0
		.amdhsa_accum_offset 4
		.amdhsa_reserve_vcc 0
		.amdhsa_reserve_flat_scratch 0
		.amdhsa_float_round_mode_32 0
		.amdhsa_float_round_mode_16_64 0
		.amdhsa_float_denorm_mode_32 3
		.amdhsa_float_denorm_mode_16_64 3
		.amdhsa_dx10_clamp 1
		.amdhsa_ieee_mode 1
		.amdhsa_fp16_overflow 0
		.amdhsa_tg_split 0
		.amdhsa_exception_fp_ieee_invalid_op 0
		.amdhsa_exception_fp_denorm_src 0
		.amdhsa_exception_fp_ieee_div_zero 0
		.amdhsa_exception_fp_ieee_overflow 0
		.amdhsa_exception_fp_ieee_underflow 0
		.amdhsa_exception_fp_ieee_inexact 0
		.amdhsa_exception_int_div_zero 0
	.end_amdhsa_kernel
	.section	.text._ZN7rocprim17ROCPRIM_400000_NS6detail17trampoline_kernelINS0_14default_configENS1_38merge_sort_block_merge_config_selectorIlNS0_10empty_typeEEEZZNS1_27merge_sort_block_merge_implIS3_PlPS5_jNS1_19radix_merge_compareILb0ELb0ElNS0_19identity_decomposerEEEEE10hipError_tT0_T1_T2_jT3_P12ihipStream_tbPNSt15iterator_traitsISE_E10value_typeEPNSK_ISF_E10value_typeEPSG_NS1_7vsmem_tEENKUlT_SE_SF_SG_E_clIS8_S8_S9_S9_EESD_ST_SE_SF_SG_EUlST_E0_NS1_11comp_targetILNS1_3genE9ELNS1_11target_archE1100ELNS1_3gpuE3ELNS1_3repE0EEENS1_38merge_mergepath_config_static_selectorELNS0_4arch9wavefront6targetE1EEEvSF_,"axG",@progbits,_ZN7rocprim17ROCPRIM_400000_NS6detail17trampoline_kernelINS0_14default_configENS1_38merge_sort_block_merge_config_selectorIlNS0_10empty_typeEEEZZNS1_27merge_sort_block_merge_implIS3_PlPS5_jNS1_19radix_merge_compareILb0ELb0ElNS0_19identity_decomposerEEEEE10hipError_tT0_T1_T2_jT3_P12ihipStream_tbPNSt15iterator_traitsISE_E10value_typeEPNSK_ISF_E10value_typeEPSG_NS1_7vsmem_tEENKUlT_SE_SF_SG_E_clIS8_S8_S9_S9_EESD_ST_SE_SF_SG_EUlST_E0_NS1_11comp_targetILNS1_3genE9ELNS1_11target_archE1100ELNS1_3gpuE3ELNS1_3repE0EEENS1_38merge_mergepath_config_static_selectorELNS0_4arch9wavefront6targetE1EEEvSF_,comdat
.Lfunc_end810:
	.size	_ZN7rocprim17ROCPRIM_400000_NS6detail17trampoline_kernelINS0_14default_configENS1_38merge_sort_block_merge_config_selectorIlNS0_10empty_typeEEEZZNS1_27merge_sort_block_merge_implIS3_PlPS5_jNS1_19radix_merge_compareILb0ELb0ElNS0_19identity_decomposerEEEEE10hipError_tT0_T1_T2_jT3_P12ihipStream_tbPNSt15iterator_traitsISE_E10value_typeEPNSK_ISF_E10value_typeEPSG_NS1_7vsmem_tEENKUlT_SE_SF_SG_E_clIS8_S8_S9_S9_EESD_ST_SE_SF_SG_EUlST_E0_NS1_11comp_targetILNS1_3genE9ELNS1_11target_archE1100ELNS1_3gpuE3ELNS1_3repE0EEENS1_38merge_mergepath_config_static_selectorELNS0_4arch9wavefront6targetE1EEEvSF_, .Lfunc_end810-_ZN7rocprim17ROCPRIM_400000_NS6detail17trampoline_kernelINS0_14default_configENS1_38merge_sort_block_merge_config_selectorIlNS0_10empty_typeEEEZZNS1_27merge_sort_block_merge_implIS3_PlPS5_jNS1_19radix_merge_compareILb0ELb0ElNS0_19identity_decomposerEEEEE10hipError_tT0_T1_T2_jT3_P12ihipStream_tbPNSt15iterator_traitsISE_E10value_typeEPNSK_ISF_E10value_typeEPSG_NS1_7vsmem_tEENKUlT_SE_SF_SG_E_clIS8_S8_S9_S9_EESD_ST_SE_SF_SG_EUlST_E0_NS1_11comp_targetILNS1_3genE9ELNS1_11target_archE1100ELNS1_3gpuE3ELNS1_3repE0EEENS1_38merge_mergepath_config_static_selectorELNS0_4arch9wavefront6targetE1EEEvSF_
                                        ; -- End function
	.section	.AMDGPU.csdata,"",@progbits
; Kernel info:
; codeLenInByte = 0
; NumSgprs: 4
; NumVgprs: 0
; NumAgprs: 0
; TotalNumVgprs: 0
; ScratchSize: 0
; MemoryBound: 0
; FloatMode: 240
; IeeeMode: 1
; LDSByteSize: 0 bytes/workgroup (compile time only)
; SGPRBlocks: 0
; VGPRBlocks: 0
; NumSGPRsForWavesPerEU: 4
; NumVGPRsForWavesPerEU: 1
; AccumOffset: 4
; Occupancy: 8
; WaveLimiterHint : 0
; COMPUTE_PGM_RSRC2:SCRATCH_EN: 0
; COMPUTE_PGM_RSRC2:USER_SGPR: 6
; COMPUTE_PGM_RSRC2:TRAP_HANDLER: 0
; COMPUTE_PGM_RSRC2:TGID_X_EN: 1
; COMPUTE_PGM_RSRC2:TGID_Y_EN: 0
; COMPUTE_PGM_RSRC2:TGID_Z_EN: 0
; COMPUTE_PGM_RSRC2:TIDIG_COMP_CNT: 0
; COMPUTE_PGM_RSRC3_GFX90A:ACCUM_OFFSET: 0
; COMPUTE_PGM_RSRC3_GFX90A:TG_SPLIT: 0
	.section	.text._ZN7rocprim17ROCPRIM_400000_NS6detail17trampoline_kernelINS0_14default_configENS1_38merge_sort_block_merge_config_selectorIlNS0_10empty_typeEEEZZNS1_27merge_sort_block_merge_implIS3_PlPS5_jNS1_19radix_merge_compareILb0ELb0ElNS0_19identity_decomposerEEEEE10hipError_tT0_T1_T2_jT3_P12ihipStream_tbPNSt15iterator_traitsISE_E10value_typeEPNSK_ISF_E10value_typeEPSG_NS1_7vsmem_tEENKUlT_SE_SF_SG_E_clIS8_S8_S9_S9_EESD_ST_SE_SF_SG_EUlST_E0_NS1_11comp_targetILNS1_3genE8ELNS1_11target_archE1030ELNS1_3gpuE2ELNS1_3repE0EEENS1_38merge_mergepath_config_static_selectorELNS0_4arch9wavefront6targetE1EEEvSF_,"axG",@progbits,_ZN7rocprim17ROCPRIM_400000_NS6detail17trampoline_kernelINS0_14default_configENS1_38merge_sort_block_merge_config_selectorIlNS0_10empty_typeEEEZZNS1_27merge_sort_block_merge_implIS3_PlPS5_jNS1_19radix_merge_compareILb0ELb0ElNS0_19identity_decomposerEEEEE10hipError_tT0_T1_T2_jT3_P12ihipStream_tbPNSt15iterator_traitsISE_E10value_typeEPNSK_ISF_E10value_typeEPSG_NS1_7vsmem_tEENKUlT_SE_SF_SG_E_clIS8_S8_S9_S9_EESD_ST_SE_SF_SG_EUlST_E0_NS1_11comp_targetILNS1_3genE8ELNS1_11target_archE1030ELNS1_3gpuE2ELNS1_3repE0EEENS1_38merge_mergepath_config_static_selectorELNS0_4arch9wavefront6targetE1EEEvSF_,comdat
	.protected	_ZN7rocprim17ROCPRIM_400000_NS6detail17trampoline_kernelINS0_14default_configENS1_38merge_sort_block_merge_config_selectorIlNS0_10empty_typeEEEZZNS1_27merge_sort_block_merge_implIS3_PlPS5_jNS1_19radix_merge_compareILb0ELb0ElNS0_19identity_decomposerEEEEE10hipError_tT0_T1_T2_jT3_P12ihipStream_tbPNSt15iterator_traitsISE_E10value_typeEPNSK_ISF_E10value_typeEPSG_NS1_7vsmem_tEENKUlT_SE_SF_SG_E_clIS8_S8_S9_S9_EESD_ST_SE_SF_SG_EUlST_E0_NS1_11comp_targetILNS1_3genE8ELNS1_11target_archE1030ELNS1_3gpuE2ELNS1_3repE0EEENS1_38merge_mergepath_config_static_selectorELNS0_4arch9wavefront6targetE1EEEvSF_ ; -- Begin function _ZN7rocprim17ROCPRIM_400000_NS6detail17trampoline_kernelINS0_14default_configENS1_38merge_sort_block_merge_config_selectorIlNS0_10empty_typeEEEZZNS1_27merge_sort_block_merge_implIS3_PlPS5_jNS1_19radix_merge_compareILb0ELb0ElNS0_19identity_decomposerEEEEE10hipError_tT0_T1_T2_jT3_P12ihipStream_tbPNSt15iterator_traitsISE_E10value_typeEPNSK_ISF_E10value_typeEPSG_NS1_7vsmem_tEENKUlT_SE_SF_SG_E_clIS8_S8_S9_S9_EESD_ST_SE_SF_SG_EUlST_E0_NS1_11comp_targetILNS1_3genE8ELNS1_11target_archE1030ELNS1_3gpuE2ELNS1_3repE0EEENS1_38merge_mergepath_config_static_selectorELNS0_4arch9wavefront6targetE1EEEvSF_
	.globl	_ZN7rocprim17ROCPRIM_400000_NS6detail17trampoline_kernelINS0_14default_configENS1_38merge_sort_block_merge_config_selectorIlNS0_10empty_typeEEEZZNS1_27merge_sort_block_merge_implIS3_PlPS5_jNS1_19radix_merge_compareILb0ELb0ElNS0_19identity_decomposerEEEEE10hipError_tT0_T1_T2_jT3_P12ihipStream_tbPNSt15iterator_traitsISE_E10value_typeEPNSK_ISF_E10value_typeEPSG_NS1_7vsmem_tEENKUlT_SE_SF_SG_E_clIS8_S8_S9_S9_EESD_ST_SE_SF_SG_EUlST_E0_NS1_11comp_targetILNS1_3genE8ELNS1_11target_archE1030ELNS1_3gpuE2ELNS1_3repE0EEENS1_38merge_mergepath_config_static_selectorELNS0_4arch9wavefront6targetE1EEEvSF_
	.p2align	8
	.type	_ZN7rocprim17ROCPRIM_400000_NS6detail17trampoline_kernelINS0_14default_configENS1_38merge_sort_block_merge_config_selectorIlNS0_10empty_typeEEEZZNS1_27merge_sort_block_merge_implIS3_PlPS5_jNS1_19radix_merge_compareILb0ELb0ElNS0_19identity_decomposerEEEEE10hipError_tT0_T1_T2_jT3_P12ihipStream_tbPNSt15iterator_traitsISE_E10value_typeEPNSK_ISF_E10value_typeEPSG_NS1_7vsmem_tEENKUlT_SE_SF_SG_E_clIS8_S8_S9_S9_EESD_ST_SE_SF_SG_EUlST_E0_NS1_11comp_targetILNS1_3genE8ELNS1_11target_archE1030ELNS1_3gpuE2ELNS1_3repE0EEENS1_38merge_mergepath_config_static_selectorELNS0_4arch9wavefront6targetE1EEEvSF_,@function
_ZN7rocprim17ROCPRIM_400000_NS6detail17trampoline_kernelINS0_14default_configENS1_38merge_sort_block_merge_config_selectorIlNS0_10empty_typeEEEZZNS1_27merge_sort_block_merge_implIS3_PlPS5_jNS1_19radix_merge_compareILb0ELb0ElNS0_19identity_decomposerEEEEE10hipError_tT0_T1_T2_jT3_P12ihipStream_tbPNSt15iterator_traitsISE_E10value_typeEPNSK_ISF_E10value_typeEPSG_NS1_7vsmem_tEENKUlT_SE_SF_SG_E_clIS8_S8_S9_S9_EESD_ST_SE_SF_SG_EUlST_E0_NS1_11comp_targetILNS1_3genE8ELNS1_11target_archE1030ELNS1_3gpuE2ELNS1_3repE0EEENS1_38merge_mergepath_config_static_selectorELNS0_4arch9wavefront6targetE1EEEvSF_: ; @_ZN7rocprim17ROCPRIM_400000_NS6detail17trampoline_kernelINS0_14default_configENS1_38merge_sort_block_merge_config_selectorIlNS0_10empty_typeEEEZZNS1_27merge_sort_block_merge_implIS3_PlPS5_jNS1_19radix_merge_compareILb0ELb0ElNS0_19identity_decomposerEEEEE10hipError_tT0_T1_T2_jT3_P12ihipStream_tbPNSt15iterator_traitsISE_E10value_typeEPNSK_ISF_E10value_typeEPSG_NS1_7vsmem_tEENKUlT_SE_SF_SG_E_clIS8_S8_S9_S9_EESD_ST_SE_SF_SG_EUlST_E0_NS1_11comp_targetILNS1_3genE8ELNS1_11target_archE1030ELNS1_3gpuE2ELNS1_3repE0EEENS1_38merge_mergepath_config_static_selectorELNS0_4arch9wavefront6targetE1EEEvSF_
; %bb.0:
	.section	.rodata,"a",@progbits
	.p2align	6, 0x0
	.amdhsa_kernel _ZN7rocprim17ROCPRIM_400000_NS6detail17trampoline_kernelINS0_14default_configENS1_38merge_sort_block_merge_config_selectorIlNS0_10empty_typeEEEZZNS1_27merge_sort_block_merge_implIS3_PlPS5_jNS1_19radix_merge_compareILb0ELb0ElNS0_19identity_decomposerEEEEE10hipError_tT0_T1_T2_jT3_P12ihipStream_tbPNSt15iterator_traitsISE_E10value_typeEPNSK_ISF_E10value_typeEPSG_NS1_7vsmem_tEENKUlT_SE_SF_SG_E_clIS8_S8_S9_S9_EESD_ST_SE_SF_SG_EUlST_E0_NS1_11comp_targetILNS1_3genE8ELNS1_11target_archE1030ELNS1_3gpuE2ELNS1_3repE0EEENS1_38merge_mergepath_config_static_selectorELNS0_4arch9wavefront6targetE1EEEvSF_
		.amdhsa_group_segment_fixed_size 0
		.amdhsa_private_segment_fixed_size 0
		.amdhsa_kernarg_size 64
		.amdhsa_user_sgpr_count 6
		.amdhsa_user_sgpr_private_segment_buffer 1
		.amdhsa_user_sgpr_dispatch_ptr 0
		.amdhsa_user_sgpr_queue_ptr 0
		.amdhsa_user_sgpr_kernarg_segment_ptr 1
		.amdhsa_user_sgpr_dispatch_id 0
		.amdhsa_user_sgpr_flat_scratch_init 0
		.amdhsa_user_sgpr_kernarg_preload_length 0
		.amdhsa_user_sgpr_kernarg_preload_offset 0
		.amdhsa_user_sgpr_private_segment_size 0
		.amdhsa_uses_dynamic_stack 0
		.amdhsa_system_sgpr_private_segment_wavefront_offset 0
		.amdhsa_system_sgpr_workgroup_id_x 1
		.amdhsa_system_sgpr_workgroup_id_y 0
		.amdhsa_system_sgpr_workgroup_id_z 0
		.amdhsa_system_sgpr_workgroup_info 0
		.amdhsa_system_vgpr_workitem_id 0
		.amdhsa_next_free_vgpr 1
		.amdhsa_next_free_sgpr 0
		.amdhsa_accum_offset 4
		.amdhsa_reserve_vcc 0
		.amdhsa_reserve_flat_scratch 0
		.amdhsa_float_round_mode_32 0
		.amdhsa_float_round_mode_16_64 0
		.amdhsa_float_denorm_mode_32 3
		.amdhsa_float_denorm_mode_16_64 3
		.amdhsa_dx10_clamp 1
		.amdhsa_ieee_mode 1
		.amdhsa_fp16_overflow 0
		.amdhsa_tg_split 0
		.amdhsa_exception_fp_ieee_invalid_op 0
		.amdhsa_exception_fp_denorm_src 0
		.amdhsa_exception_fp_ieee_div_zero 0
		.amdhsa_exception_fp_ieee_overflow 0
		.amdhsa_exception_fp_ieee_underflow 0
		.amdhsa_exception_fp_ieee_inexact 0
		.amdhsa_exception_int_div_zero 0
	.end_amdhsa_kernel
	.section	.text._ZN7rocprim17ROCPRIM_400000_NS6detail17trampoline_kernelINS0_14default_configENS1_38merge_sort_block_merge_config_selectorIlNS0_10empty_typeEEEZZNS1_27merge_sort_block_merge_implIS3_PlPS5_jNS1_19radix_merge_compareILb0ELb0ElNS0_19identity_decomposerEEEEE10hipError_tT0_T1_T2_jT3_P12ihipStream_tbPNSt15iterator_traitsISE_E10value_typeEPNSK_ISF_E10value_typeEPSG_NS1_7vsmem_tEENKUlT_SE_SF_SG_E_clIS8_S8_S9_S9_EESD_ST_SE_SF_SG_EUlST_E0_NS1_11comp_targetILNS1_3genE8ELNS1_11target_archE1030ELNS1_3gpuE2ELNS1_3repE0EEENS1_38merge_mergepath_config_static_selectorELNS0_4arch9wavefront6targetE1EEEvSF_,"axG",@progbits,_ZN7rocprim17ROCPRIM_400000_NS6detail17trampoline_kernelINS0_14default_configENS1_38merge_sort_block_merge_config_selectorIlNS0_10empty_typeEEEZZNS1_27merge_sort_block_merge_implIS3_PlPS5_jNS1_19radix_merge_compareILb0ELb0ElNS0_19identity_decomposerEEEEE10hipError_tT0_T1_T2_jT3_P12ihipStream_tbPNSt15iterator_traitsISE_E10value_typeEPNSK_ISF_E10value_typeEPSG_NS1_7vsmem_tEENKUlT_SE_SF_SG_E_clIS8_S8_S9_S9_EESD_ST_SE_SF_SG_EUlST_E0_NS1_11comp_targetILNS1_3genE8ELNS1_11target_archE1030ELNS1_3gpuE2ELNS1_3repE0EEENS1_38merge_mergepath_config_static_selectorELNS0_4arch9wavefront6targetE1EEEvSF_,comdat
.Lfunc_end811:
	.size	_ZN7rocprim17ROCPRIM_400000_NS6detail17trampoline_kernelINS0_14default_configENS1_38merge_sort_block_merge_config_selectorIlNS0_10empty_typeEEEZZNS1_27merge_sort_block_merge_implIS3_PlPS5_jNS1_19radix_merge_compareILb0ELb0ElNS0_19identity_decomposerEEEEE10hipError_tT0_T1_T2_jT3_P12ihipStream_tbPNSt15iterator_traitsISE_E10value_typeEPNSK_ISF_E10value_typeEPSG_NS1_7vsmem_tEENKUlT_SE_SF_SG_E_clIS8_S8_S9_S9_EESD_ST_SE_SF_SG_EUlST_E0_NS1_11comp_targetILNS1_3genE8ELNS1_11target_archE1030ELNS1_3gpuE2ELNS1_3repE0EEENS1_38merge_mergepath_config_static_selectorELNS0_4arch9wavefront6targetE1EEEvSF_, .Lfunc_end811-_ZN7rocprim17ROCPRIM_400000_NS6detail17trampoline_kernelINS0_14default_configENS1_38merge_sort_block_merge_config_selectorIlNS0_10empty_typeEEEZZNS1_27merge_sort_block_merge_implIS3_PlPS5_jNS1_19radix_merge_compareILb0ELb0ElNS0_19identity_decomposerEEEEE10hipError_tT0_T1_T2_jT3_P12ihipStream_tbPNSt15iterator_traitsISE_E10value_typeEPNSK_ISF_E10value_typeEPSG_NS1_7vsmem_tEENKUlT_SE_SF_SG_E_clIS8_S8_S9_S9_EESD_ST_SE_SF_SG_EUlST_E0_NS1_11comp_targetILNS1_3genE8ELNS1_11target_archE1030ELNS1_3gpuE2ELNS1_3repE0EEENS1_38merge_mergepath_config_static_selectorELNS0_4arch9wavefront6targetE1EEEvSF_
                                        ; -- End function
	.section	.AMDGPU.csdata,"",@progbits
; Kernel info:
; codeLenInByte = 0
; NumSgprs: 4
; NumVgprs: 0
; NumAgprs: 0
; TotalNumVgprs: 0
; ScratchSize: 0
; MemoryBound: 0
; FloatMode: 240
; IeeeMode: 1
; LDSByteSize: 0 bytes/workgroup (compile time only)
; SGPRBlocks: 0
; VGPRBlocks: 0
; NumSGPRsForWavesPerEU: 4
; NumVGPRsForWavesPerEU: 1
; AccumOffset: 4
; Occupancy: 8
; WaveLimiterHint : 0
; COMPUTE_PGM_RSRC2:SCRATCH_EN: 0
; COMPUTE_PGM_RSRC2:USER_SGPR: 6
; COMPUTE_PGM_RSRC2:TRAP_HANDLER: 0
; COMPUTE_PGM_RSRC2:TGID_X_EN: 1
; COMPUTE_PGM_RSRC2:TGID_Y_EN: 0
; COMPUTE_PGM_RSRC2:TGID_Z_EN: 0
; COMPUTE_PGM_RSRC2:TIDIG_COMP_CNT: 0
; COMPUTE_PGM_RSRC3_GFX90A:ACCUM_OFFSET: 0
; COMPUTE_PGM_RSRC3_GFX90A:TG_SPLIT: 0
	.section	.text._ZN7rocprim17ROCPRIM_400000_NS6detail17trampoline_kernelINS0_14default_configENS1_38merge_sort_block_merge_config_selectorIlNS0_10empty_typeEEEZZNS1_27merge_sort_block_merge_implIS3_PlPS5_jNS1_19radix_merge_compareILb0ELb0ElNS0_19identity_decomposerEEEEE10hipError_tT0_T1_T2_jT3_P12ihipStream_tbPNSt15iterator_traitsISE_E10value_typeEPNSK_ISF_E10value_typeEPSG_NS1_7vsmem_tEENKUlT_SE_SF_SG_E_clIS8_S8_S9_S9_EESD_ST_SE_SF_SG_EUlST_E1_NS1_11comp_targetILNS1_3genE0ELNS1_11target_archE4294967295ELNS1_3gpuE0ELNS1_3repE0EEENS1_36merge_oddeven_config_static_selectorELNS0_4arch9wavefront6targetE1EEEvSF_,"axG",@progbits,_ZN7rocprim17ROCPRIM_400000_NS6detail17trampoline_kernelINS0_14default_configENS1_38merge_sort_block_merge_config_selectorIlNS0_10empty_typeEEEZZNS1_27merge_sort_block_merge_implIS3_PlPS5_jNS1_19radix_merge_compareILb0ELb0ElNS0_19identity_decomposerEEEEE10hipError_tT0_T1_T2_jT3_P12ihipStream_tbPNSt15iterator_traitsISE_E10value_typeEPNSK_ISF_E10value_typeEPSG_NS1_7vsmem_tEENKUlT_SE_SF_SG_E_clIS8_S8_S9_S9_EESD_ST_SE_SF_SG_EUlST_E1_NS1_11comp_targetILNS1_3genE0ELNS1_11target_archE4294967295ELNS1_3gpuE0ELNS1_3repE0EEENS1_36merge_oddeven_config_static_selectorELNS0_4arch9wavefront6targetE1EEEvSF_,comdat
	.protected	_ZN7rocprim17ROCPRIM_400000_NS6detail17trampoline_kernelINS0_14default_configENS1_38merge_sort_block_merge_config_selectorIlNS0_10empty_typeEEEZZNS1_27merge_sort_block_merge_implIS3_PlPS5_jNS1_19radix_merge_compareILb0ELb0ElNS0_19identity_decomposerEEEEE10hipError_tT0_T1_T2_jT3_P12ihipStream_tbPNSt15iterator_traitsISE_E10value_typeEPNSK_ISF_E10value_typeEPSG_NS1_7vsmem_tEENKUlT_SE_SF_SG_E_clIS8_S8_S9_S9_EESD_ST_SE_SF_SG_EUlST_E1_NS1_11comp_targetILNS1_3genE0ELNS1_11target_archE4294967295ELNS1_3gpuE0ELNS1_3repE0EEENS1_36merge_oddeven_config_static_selectorELNS0_4arch9wavefront6targetE1EEEvSF_ ; -- Begin function _ZN7rocprim17ROCPRIM_400000_NS6detail17trampoline_kernelINS0_14default_configENS1_38merge_sort_block_merge_config_selectorIlNS0_10empty_typeEEEZZNS1_27merge_sort_block_merge_implIS3_PlPS5_jNS1_19radix_merge_compareILb0ELb0ElNS0_19identity_decomposerEEEEE10hipError_tT0_T1_T2_jT3_P12ihipStream_tbPNSt15iterator_traitsISE_E10value_typeEPNSK_ISF_E10value_typeEPSG_NS1_7vsmem_tEENKUlT_SE_SF_SG_E_clIS8_S8_S9_S9_EESD_ST_SE_SF_SG_EUlST_E1_NS1_11comp_targetILNS1_3genE0ELNS1_11target_archE4294967295ELNS1_3gpuE0ELNS1_3repE0EEENS1_36merge_oddeven_config_static_selectorELNS0_4arch9wavefront6targetE1EEEvSF_
	.globl	_ZN7rocprim17ROCPRIM_400000_NS6detail17trampoline_kernelINS0_14default_configENS1_38merge_sort_block_merge_config_selectorIlNS0_10empty_typeEEEZZNS1_27merge_sort_block_merge_implIS3_PlPS5_jNS1_19radix_merge_compareILb0ELb0ElNS0_19identity_decomposerEEEEE10hipError_tT0_T1_T2_jT3_P12ihipStream_tbPNSt15iterator_traitsISE_E10value_typeEPNSK_ISF_E10value_typeEPSG_NS1_7vsmem_tEENKUlT_SE_SF_SG_E_clIS8_S8_S9_S9_EESD_ST_SE_SF_SG_EUlST_E1_NS1_11comp_targetILNS1_3genE0ELNS1_11target_archE4294967295ELNS1_3gpuE0ELNS1_3repE0EEENS1_36merge_oddeven_config_static_selectorELNS0_4arch9wavefront6targetE1EEEvSF_
	.p2align	8
	.type	_ZN7rocprim17ROCPRIM_400000_NS6detail17trampoline_kernelINS0_14default_configENS1_38merge_sort_block_merge_config_selectorIlNS0_10empty_typeEEEZZNS1_27merge_sort_block_merge_implIS3_PlPS5_jNS1_19radix_merge_compareILb0ELb0ElNS0_19identity_decomposerEEEEE10hipError_tT0_T1_T2_jT3_P12ihipStream_tbPNSt15iterator_traitsISE_E10value_typeEPNSK_ISF_E10value_typeEPSG_NS1_7vsmem_tEENKUlT_SE_SF_SG_E_clIS8_S8_S9_S9_EESD_ST_SE_SF_SG_EUlST_E1_NS1_11comp_targetILNS1_3genE0ELNS1_11target_archE4294967295ELNS1_3gpuE0ELNS1_3repE0EEENS1_36merge_oddeven_config_static_selectorELNS0_4arch9wavefront6targetE1EEEvSF_,@function
_ZN7rocprim17ROCPRIM_400000_NS6detail17trampoline_kernelINS0_14default_configENS1_38merge_sort_block_merge_config_selectorIlNS0_10empty_typeEEEZZNS1_27merge_sort_block_merge_implIS3_PlPS5_jNS1_19radix_merge_compareILb0ELb0ElNS0_19identity_decomposerEEEEE10hipError_tT0_T1_T2_jT3_P12ihipStream_tbPNSt15iterator_traitsISE_E10value_typeEPNSK_ISF_E10value_typeEPSG_NS1_7vsmem_tEENKUlT_SE_SF_SG_E_clIS8_S8_S9_S9_EESD_ST_SE_SF_SG_EUlST_E1_NS1_11comp_targetILNS1_3genE0ELNS1_11target_archE4294967295ELNS1_3gpuE0ELNS1_3repE0EEENS1_36merge_oddeven_config_static_selectorELNS0_4arch9wavefront6targetE1EEEvSF_: ; @_ZN7rocprim17ROCPRIM_400000_NS6detail17trampoline_kernelINS0_14default_configENS1_38merge_sort_block_merge_config_selectorIlNS0_10empty_typeEEEZZNS1_27merge_sort_block_merge_implIS3_PlPS5_jNS1_19radix_merge_compareILb0ELb0ElNS0_19identity_decomposerEEEEE10hipError_tT0_T1_T2_jT3_P12ihipStream_tbPNSt15iterator_traitsISE_E10value_typeEPNSK_ISF_E10value_typeEPSG_NS1_7vsmem_tEENKUlT_SE_SF_SG_E_clIS8_S8_S9_S9_EESD_ST_SE_SF_SG_EUlST_E1_NS1_11comp_targetILNS1_3genE0ELNS1_11target_archE4294967295ELNS1_3gpuE0ELNS1_3repE0EEENS1_36merge_oddeven_config_static_selectorELNS0_4arch9wavefront6targetE1EEEvSF_
; %bb.0:
	.section	.rodata,"a",@progbits
	.p2align	6, 0x0
	.amdhsa_kernel _ZN7rocprim17ROCPRIM_400000_NS6detail17trampoline_kernelINS0_14default_configENS1_38merge_sort_block_merge_config_selectorIlNS0_10empty_typeEEEZZNS1_27merge_sort_block_merge_implIS3_PlPS5_jNS1_19radix_merge_compareILb0ELb0ElNS0_19identity_decomposerEEEEE10hipError_tT0_T1_T2_jT3_P12ihipStream_tbPNSt15iterator_traitsISE_E10value_typeEPNSK_ISF_E10value_typeEPSG_NS1_7vsmem_tEENKUlT_SE_SF_SG_E_clIS8_S8_S9_S9_EESD_ST_SE_SF_SG_EUlST_E1_NS1_11comp_targetILNS1_3genE0ELNS1_11target_archE4294967295ELNS1_3gpuE0ELNS1_3repE0EEENS1_36merge_oddeven_config_static_selectorELNS0_4arch9wavefront6targetE1EEEvSF_
		.amdhsa_group_segment_fixed_size 0
		.amdhsa_private_segment_fixed_size 0
		.amdhsa_kernarg_size 48
		.amdhsa_user_sgpr_count 6
		.amdhsa_user_sgpr_private_segment_buffer 1
		.amdhsa_user_sgpr_dispatch_ptr 0
		.amdhsa_user_sgpr_queue_ptr 0
		.amdhsa_user_sgpr_kernarg_segment_ptr 1
		.amdhsa_user_sgpr_dispatch_id 0
		.amdhsa_user_sgpr_flat_scratch_init 0
		.amdhsa_user_sgpr_kernarg_preload_length 0
		.amdhsa_user_sgpr_kernarg_preload_offset 0
		.amdhsa_user_sgpr_private_segment_size 0
		.amdhsa_uses_dynamic_stack 0
		.amdhsa_system_sgpr_private_segment_wavefront_offset 0
		.amdhsa_system_sgpr_workgroup_id_x 1
		.amdhsa_system_sgpr_workgroup_id_y 0
		.amdhsa_system_sgpr_workgroup_id_z 0
		.amdhsa_system_sgpr_workgroup_info 0
		.amdhsa_system_vgpr_workitem_id 0
		.amdhsa_next_free_vgpr 1
		.amdhsa_next_free_sgpr 0
		.amdhsa_accum_offset 4
		.amdhsa_reserve_vcc 0
		.amdhsa_reserve_flat_scratch 0
		.amdhsa_float_round_mode_32 0
		.amdhsa_float_round_mode_16_64 0
		.amdhsa_float_denorm_mode_32 3
		.amdhsa_float_denorm_mode_16_64 3
		.amdhsa_dx10_clamp 1
		.amdhsa_ieee_mode 1
		.amdhsa_fp16_overflow 0
		.amdhsa_tg_split 0
		.amdhsa_exception_fp_ieee_invalid_op 0
		.amdhsa_exception_fp_denorm_src 0
		.amdhsa_exception_fp_ieee_div_zero 0
		.amdhsa_exception_fp_ieee_overflow 0
		.amdhsa_exception_fp_ieee_underflow 0
		.amdhsa_exception_fp_ieee_inexact 0
		.amdhsa_exception_int_div_zero 0
	.end_amdhsa_kernel
	.section	.text._ZN7rocprim17ROCPRIM_400000_NS6detail17trampoline_kernelINS0_14default_configENS1_38merge_sort_block_merge_config_selectorIlNS0_10empty_typeEEEZZNS1_27merge_sort_block_merge_implIS3_PlPS5_jNS1_19radix_merge_compareILb0ELb0ElNS0_19identity_decomposerEEEEE10hipError_tT0_T1_T2_jT3_P12ihipStream_tbPNSt15iterator_traitsISE_E10value_typeEPNSK_ISF_E10value_typeEPSG_NS1_7vsmem_tEENKUlT_SE_SF_SG_E_clIS8_S8_S9_S9_EESD_ST_SE_SF_SG_EUlST_E1_NS1_11comp_targetILNS1_3genE0ELNS1_11target_archE4294967295ELNS1_3gpuE0ELNS1_3repE0EEENS1_36merge_oddeven_config_static_selectorELNS0_4arch9wavefront6targetE1EEEvSF_,"axG",@progbits,_ZN7rocprim17ROCPRIM_400000_NS6detail17trampoline_kernelINS0_14default_configENS1_38merge_sort_block_merge_config_selectorIlNS0_10empty_typeEEEZZNS1_27merge_sort_block_merge_implIS3_PlPS5_jNS1_19radix_merge_compareILb0ELb0ElNS0_19identity_decomposerEEEEE10hipError_tT0_T1_T2_jT3_P12ihipStream_tbPNSt15iterator_traitsISE_E10value_typeEPNSK_ISF_E10value_typeEPSG_NS1_7vsmem_tEENKUlT_SE_SF_SG_E_clIS8_S8_S9_S9_EESD_ST_SE_SF_SG_EUlST_E1_NS1_11comp_targetILNS1_3genE0ELNS1_11target_archE4294967295ELNS1_3gpuE0ELNS1_3repE0EEENS1_36merge_oddeven_config_static_selectorELNS0_4arch9wavefront6targetE1EEEvSF_,comdat
.Lfunc_end812:
	.size	_ZN7rocprim17ROCPRIM_400000_NS6detail17trampoline_kernelINS0_14default_configENS1_38merge_sort_block_merge_config_selectorIlNS0_10empty_typeEEEZZNS1_27merge_sort_block_merge_implIS3_PlPS5_jNS1_19radix_merge_compareILb0ELb0ElNS0_19identity_decomposerEEEEE10hipError_tT0_T1_T2_jT3_P12ihipStream_tbPNSt15iterator_traitsISE_E10value_typeEPNSK_ISF_E10value_typeEPSG_NS1_7vsmem_tEENKUlT_SE_SF_SG_E_clIS8_S8_S9_S9_EESD_ST_SE_SF_SG_EUlST_E1_NS1_11comp_targetILNS1_3genE0ELNS1_11target_archE4294967295ELNS1_3gpuE0ELNS1_3repE0EEENS1_36merge_oddeven_config_static_selectorELNS0_4arch9wavefront6targetE1EEEvSF_, .Lfunc_end812-_ZN7rocprim17ROCPRIM_400000_NS6detail17trampoline_kernelINS0_14default_configENS1_38merge_sort_block_merge_config_selectorIlNS0_10empty_typeEEEZZNS1_27merge_sort_block_merge_implIS3_PlPS5_jNS1_19radix_merge_compareILb0ELb0ElNS0_19identity_decomposerEEEEE10hipError_tT0_T1_T2_jT3_P12ihipStream_tbPNSt15iterator_traitsISE_E10value_typeEPNSK_ISF_E10value_typeEPSG_NS1_7vsmem_tEENKUlT_SE_SF_SG_E_clIS8_S8_S9_S9_EESD_ST_SE_SF_SG_EUlST_E1_NS1_11comp_targetILNS1_3genE0ELNS1_11target_archE4294967295ELNS1_3gpuE0ELNS1_3repE0EEENS1_36merge_oddeven_config_static_selectorELNS0_4arch9wavefront6targetE1EEEvSF_
                                        ; -- End function
	.section	.AMDGPU.csdata,"",@progbits
; Kernel info:
; codeLenInByte = 0
; NumSgprs: 4
; NumVgprs: 0
; NumAgprs: 0
; TotalNumVgprs: 0
; ScratchSize: 0
; MemoryBound: 0
; FloatMode: 240
; IeeeMode: 1
; LDSByteSize: 0 bytes/workgroup (compile time only)
; SGPRBlocks: 0
; VGPRBlocks: 0
; NumSGPRsForWavesPerEU: 4
; NumVGPRsForWavesPerEU: 1
; AccumOffset: 4
; Occupancy: 8
; WaveLimiterHint : 0
; COMPUTE_PGM_RSRC2:SCRATCH_EN: 0
; COMPUTE_PGM_RSRC2:USER_SGPR: 6
; COMPUTE_PGM_RSRC2:TRAP_HANDLER: 0
; COMPUTE_PGM_RSRC2:TGID_X_EN: 1
; COMPUTE_PGM_RSRC2:TGID_Y_EN: 0
; COMPUTE_PGM_RSRC2:TGID_Z_EN: 0
; COMPUTE_PGM_RSRC2:TIDIG_COMP_CNT: 0
; COMPUTE_PGM_RSRC3_GFX90A:ACCUM_OFFSET: 0
; COMPUTE_PGM_RSRC3_GFX90A:TG_SPLIT: 0
	.section	.text._ZN7rocprim17ROCPRIM_400000_NS6detail17trampoline_kernelINS0_14default_configENS1_38merge_sort_block_merge_config_selectorIlNS0_10empty_typeEEEZZNS1_27merge_sort_block_merge_implIS3_PlPS5_jNS1_19radix_merge_compareILb0ELb0ElNS0_19identity_decomposerEEEEE10hipError_tT0_T1_T2_jT3_P12ihipStream_tbPNSt15iterator_traitsISE_E10value_typeEPNSK_ISF_E10value_typeEPSG_NS1_7vsmem_tEENKUlT_SE_SF_SG_E_clIS8_S8_S9_S9_EESD_ST_SE_SF_SG_EUlST_E1_NS1_11comp_targetILNS1_3genE10ELNS1_11target_archE1201ELNS1_3gpuE5ELNS1_3repE0EEENS1_36merge_oddeven_config_static_selectorELNS0_4arch9wavefront6targetE1EEEvSF_,"axG",@progbits,_ZN7rocprim17ROCPRIM_400000_NS6detail17trampoline_kernelINS0_14default_configENS1_38merge_sort_block_merge_config_selectorIlNS0_10empty_typeEEEZZNS1_27merge_sort_block_merge_implIS3_PlPS5_jNS1_19radix_merge_compareILb0ELb0ElNS0_19identity_decomposerEEEEE10hipError_tT0_T1_T2_jT3_P12ihipStream_tbPNSt15iterator_traitsISE_E10value_typeEPNSK_ISF_E10value_typeEPSG_NS1_7vsmem_tEENKUlT_SE_SF_SG_E_clIS8_S8_S9_S9_EESD_ST_SE_SF_SG_EUlST_E1_NS1_11comp_targetILNS1_3genE10ELNS1_11target_archE1201ELNS1_3gpuE5ELNS1_3repE0EEENS1_36merge_oddeven_config_static_selectorELNS0_4arch9wavefront6targetE1EEEvSF_,comdat
	.protected	_ZN7rocprim17ROCPRIM_400000_NS6detail17trampoline_kernelINS0_14default_configENS1_38merge_sort_block_merge_config_selectorIlNS0_10empty_typeEEEZZNS1_27merge_sort_block_merge_implIS3_PlPS5_jNS1_19radix_merge_compareILb0ELb0ElNS0_19identity_decomposerEEEEE10hipError_tT0_T1_T2_jT3_P12ihipStream_tbPNSt15iterator_traitsISE_E10value_typeEPNSK_ISF_E10value_typeEPSG_NS1_7vsmem_tEENKUlT_SE_SF_SG_E_clIS8_S8_S9_S9_EESD_ST_SE_SF_SG_EUlST_E1_NS1_11comp_targetILNS1_3genE10ELNS1_11target_archE1201ELNS1_3gpuE5ELNS1_3repE0EEENS1_36merge_oddeven_config_static_selectorELNS0_4arch9wavefront6targetE1EEEvSF_ ; -- Begin function _ZN7rocprim17ROCPRIM_400000_NS6detail17trampoline_kernelINS0_14default_configENS1_38merge_sort_block_merge_config_selectorIlNS0_10empty_typeEEEZZNS1_27merge_sort_block_merge_implIS3_PlPS5_jNS1_19radix_merge_compareILb0ELb0ElNS0_19identity_decomposerEEEEE10hipError_tT0_T1_T2_jT3_P12ihipStream_tbPNSt15iterator_traitsISE_E10value_typeEPNSK_ISF_E10value_typeEPSG_NS1_7vsmem_tEENKUlT_SE_SF_SG_E_clIS8_S8_S9_S9_EESD_ST_SE_SF_SG_EUlST_E1_NS1_11comp_targetILNS1_3genE10ELNS1_11target_archE1201ELNS1_3gpuE5ELNS1_3repE0EEENS1_36merge_oddeven_config_static_selectorELNS0_4arch9wavefront6targetE1EEEvSF_
	.globl	_ZN7rocprim17ROCPRIM_400000_NS6detail17trampoline_kernelINS0_14default_configENS1_38merge_sort_block_merge_config_selectorIlNS0_10empty_typeEEEZZNS1_27merge_sort_block_merge_implIS3_PlPS5_jNS1_19radix_merge_compareILb0ELb0ElNS0_19identity_decomposerEEEEE10hipError_tT0_T1_T2_jT3_P12ihipStream_tbPNSt15iterator_traitsISE_E10value_typeEPNSK_ISF_E10value_typeEPSG_NS1_7vsmem_tEENKUlT_SE_SF_SG_E_clIS8_S8_S9_S9_EESD_ST_SE_SF_SG_EUlST_E1_NS1_11comp_targetILNS1_3genE10ELNS1_11target_archE1201ELNS1_3gpuE5ELNS1_3repE0EEENS1_36merge_oddeven_config_static_selectorELNS0_4arch9wavefront6targetE1EEEvSF_
	.p2align	8
	.type	_ZN7rocprim17ROCPRIM_400000_NS6detail17trampoline_kernelINS0_14default_configENS1_38merge_sort_block_merge_config_selectorIlNS0_10empty_typeEEEZZNS1_27merge_sort_block_merge_implIS3_PlPS5_jNS1_19radix_merge_compareILb0ELb0ElNS0_19identity_decomposerEEEEE10hipError_tT0_T1_T2_jT3_P12ihipStream_tbPNSt15iterator_traitsISE_E10value_typeEPNSK_ISF_E10value_typeEPSG_NS1_7vsmem_tEENKUlT_SE_SF_SG_E_clIS8_S8_S9_S9_EESD_ST_SE_SF_SG_EUlST_E1_NS1_11comp_targetILNS1_3genE10ELNS1_11target_archE1201ELNS1_3gpuE5ELNS1_3repE0EEENS1_36merge_oddeven_config_static_selectorELNS0_4arch9wavefront6targetE1EEEvSF_,@function
_ZN7rocprim17ROCPRIM_400000_NS6detail17trampoline_kernelINS0_14default_configENS1_38merge_sort_block_merge_config_selectorIlNS0_10empty_typeEEEZZNS1_27merge_sort_block_merge_implIS3_PlPS5_jNS1_19radix_merge_compareILb0ELb0ElNS0_19identity_decomposerEEEEE10hipError_tT0_T1_T2_jT3_P12ihipStream_tbPNSt15iterator_traitsISE_E10value_typeEPNSK_ISF_E10value_typeEPSG_NS1_7vsmem_tEENKUlT_SE_SF_SG_E_clIS8_S8_S9_S9_EESD_ST_SE_SF_SG_EUlST_E1_NS1_11comp_targetILNS1_3genE10ELNS1_11target_archE1201ELNS1_3gpuE5ELNS1_3repE0EEENS1_36merge_oddeven_config_static_selectorELNS0_4arch9wavefront6targetE1EEEvSF_: ; @_ZN7rocprim17ROCPRIM_400000_NS6detail17trampoline_kernelINS0_14default_configENS1_38merge_sort_block_merge_config_selectorIlNS0_10empty_typeEEEZZNS1_27merge_sort_block_merge_implIS3_PlPS5_jNS1_19radix_merge_compareILb0ELb0ElNS0_19identity_decomposerEEEEE10hipError_tT0_T1_T2_jT3_P12ihipStream_tbPNSt15iterator_traitsISE_E10value_typeEPNSK_ISF_E10value_typeEPSG_NS1_7vsmem_tEENKUlT_SE_SF_SG_E_clIS8_S8_S9_S9_EESD_ST_SE_SF_SG_EUlST_E1_NS1_11comp_targetILNS1_3genE10ELNS1_11target_archE1201ELNS1_3gpuE5ELNS1_3repE0EEENS1_36merge_oddeven_config_static_selectorELNS0_4arch9wavefront6targetE1EEEvSF_
; %bb.0:
	.section	.rodata,"a",@progbits
	.p2align	6, 0x0
	.amdhsa_kernel _ZN7rocprim17ROCPRIM_400000_NS6detail17trampoline_kernelINS0_14default_configENS1_38merge_sort_block_merge_config_selectorIlNS0_10empty_typeEEEZZNS1_27merge_sort_block_merge_implIS3_PlPS5_jNS1_19radix_merge_compareILb0ELb0ElNS0_19identity_decomposerEEEEE10hipError_tT0_T1_T2_jT3_P12ihipStream_tbPNSt15iterator_traitsISE_E10value_typeEPNSK_ISF_E10value_typeEPSG_NS1_7vsmem_tEENKUlT_SE_SF_SG_E_clIS8_S8_S9_S9_EESD_ST_SE_SF_SG_EUlST_E1_NS1_11comp_targetILNS1_3genE10ELNS1_11target_archE1201ELNS1_3gpuE5ELNS1_3repE0EEENS1_36merge_oddeven_config_static_selectorELNS0_4arch9wavefront6targetE1EEEvSF_
		.amdhsa_group_segment_fixed_size 0
		.amdhsa_private_segment_fixed_size 0
		.amdhsa_kernarg_size 48
		.amdhsa_user_sgpr_count 6
		.amdhsa_user_sgpr_private_segment_buffer 1
		.amdhsa_user_sgpr_dispatch_ptr 0
		.amdhsa_user_sgpr_queue_ptr 0
		.amdhsa_user_sgpr_kernarg_segment_ptr 1
		.amdhsa_user_sgpr_dispatch_id 0
		.amdhsa_user_sgpr_flat_scratch_init 0
		.amdhsa_user_sgpr_kernarg_preload_length 0
		.amdhsa_user_sgpr_kernarg_preload_offset 0
		.amdhsa_user_sgpr_private_segment_size 0
		.amdhsa_uses_dynamic_stack 0
		.amdhsa_system_sgpr_private_segment_wavefront_offset 0
		.amdhsa_system_sgpr_workgroup_id_x 1
		.amdhsa_system_sgpr_workgroup_id_y 0
		.amdhsa_system_sgpr_workgroup_id_z 0
		.amdhsa_system_sgpr_workgroup_info 0
		.amdhsa_system_vgpr_workitem_id 0
		.amdhsa_next_free_vgpr 1
		.amdhsa_next_free_sgpr 0
		.amdhsa_accum_offset 4
		.amdhsa_reserve_vcc 0
		.amdhsa_reserve_flat_scratch 0
		.amdhsa_float_round_mode_32 0
		.amdhsa_float_round_mode_16_64 0
		.amdhsa_float_denorm_mode_32 3
		.amdhsa_float_denorm_mode_16_64 3
		.amdhsa_dx10_clamp 1
		.amdhsa_ieee_mode 1
		.amdhsa_fp16_overflow 0
		.amdhsa_tg_split 0
		.amdhsa_exception_fp_ieee_invalid_op 0
		.amdhsa_exception_fp_denorm_src 0
		.amdhsa_exception_fp_ieee_div_zero 0
		.amdhsa_exception_fp_ieee_overflow 0
		.amdhsa_exception_fp_ieee_underflow 0
		.amdhsa_exception_fp_ieee_inexact 0
		.amdhsa_exception_int_div_zero 0
	.end_amdhsa_kernel
	.section	.text._ZN7rocprim17ROCPRIM_400000_NS6detail17trampoline_kernelINS0_14default_configENS1_38merge_sort_block_merge_config_selectorIlNS0_10empty_typeEEEZZNS1_27merge_sort_block_merge_implIS3_PlPS5_jNS1_19radix_merge_compareILb0ELb0ElNS0_19identity_decomposerEEEEE10hipError_tT0_T1_T2_jT3_P12ihipStream_tbPNSt15iterator_traitsISE_E10value_typeEPNSK_ISF_E10value_typeEPSG_NS1_7vsmem_tEENKUlT_SE_SF_SG_E_clIS8_S8_S9_S9_EESD_ST_SE_SF_SG_EUlST_E1_NS1_11comp_targetILNS1_3genE10ELNS1_11target_archE1201ELNS1_3gpuE5ELNS1_3repE0EEENS1_36merge_oddeven_config_static_selectorELNS0_4arch9wavefront6targetE1EEEvSF_,"axG",@progbits,_ZN7rocprim17ROCPRIM_400000_NS6detail17trampoline_kernelINS0_14default_configENS1_38merge_sort_block_merge_config_selectorIlNS0_10empty_typeEEEZZNS1_27merge_sort_block_merge_implIS3_PlPS5_jNS1_19radix_merge_compareILb0ELb0ElNS0_19identity_decomposerEEEEE10hipError_tT0_T1_T2_jT3_P12ihipStream_tbPNSt15iterator_traitsISE_E10value_typeEPNSK_ISF_E10value_typeEPSG_NS1_7vsmem_tEENKUlT_SE_SF_SG_E_clIS8_S8_S9_S9_EESD_ST_SE_SF_SG_EUlST_E1_NS1_11comp_targetILNS1_3genE10ELNS1_11target_archE1201ELNS1_3gpuE5ELNS1_3repE0EEENS1_36merge_oddeven_config_static_selectorELNS0_4arch9wavefront6targetE1EEEvSF_,comdat
.Lfunc_end813:
	.size	_ZN7rocprim17ROCPRIM_400000_NS6detail17trampoline_kernelINS0_14default_configENS1_38merge_sort_block_merge_config_selectorIlNS0_10empty_typeEEEZZNS1_27merge_sort_block_merge_implIS3_PlPS5_jNS1_19radix_merge_compareILb0ELb0ElNS0_19identity_decomposerEEEEE10hipError_tT0_T1_T2_jT3_P12ihipStream_tbPNSt15iterator_traitsISE_E10value_typeEPNSK_ISF_E10value_typeEPSG_NS1_7vsmem_tEENKUlT_SE_SF_SG_E_clIS8_S8_S9_S9_EESD_ST_SE_SF_SG_EUlST_E1_NS1_11comp_targetILNS1_3genE10ELNS1_11target_archE1201ELNS1_3gpuE5ELNS1_3repE0EEENS1_36merge_oddeven_config_static_selectorELNS0_4arch9wavefront6targetE1EEEvSF_, .Lfunc_end813-_ZN7rocprim17ROCPRIM_400000_NS6detail17trampoline_kernelINS0_14default_configENS1_38merge_sort_block_merge_config_selectorIlNS0_10empty_typeEEEZZNS1_27merge_sort_block_merge_implIS3_PlPS5_jNS1_19radix_merge_compareILb0ELb0ElNS0_19identity_decomposerEEEEE10hipError_tT0_T1_T2_jT3_P12ihipStream_tbPNSt15iterator_traitsISE_E10value_typeEPNSK_ISF_E10value_typeEPSG_NS1_7vsmem_tEENKUlT_SE_SF_SG_E_clIS8_S8_S9_S9_EESD_ST_SE_SF_SG_EUlST_E1_NS1_11comp_targetILNS1_3genE10ELNS1_11target_archE1201ELNS1_3gpuE5ELNS1_3repE0EEENS1_36merge_oddeven_config_static_selectorELNS0_4arch9wavefront6targetE1EEEvSF_
                                        ; -- End function
	.section	.AMDGPU.csdata,"",@progbits
; Kernel info:
; codeLenInByte = 0
; NumSgprs: 4
; NumVgprs: 0
; NumAgprs: 0
; TotalNumVgprs: 0
; ScratchSize: 0
; MemoryBound: 0
; FloatMode: 240
; IeeeMode: 1
; LDSByteSize: 0 bytes/workgroup (compile time only)
; SGPRBlocks: 0
; VGPRBlocks: 0
; NumSGPRsForWavesPerEU: 4
; NumVGPRsForWavesPerEU: 1
; AccumOffset: 4
; Occupancy: 8
; WaveLimiterHint : 0
; COMPUTE_PGM_RSRC2:SCRATCH_EN: 0
; COMPUTE_PGM_RSRC2:USER_SGPR: 6
; COMPUTE_PGM_RSRC2:TRAP_HANDLER: 0
; COMPUTE_PGM_RSRC2:TGID_X_EN: 1
; COMPUTE_PGM_RSRC2:TGID_Y_EN: 0
; COMPUTE_PGM_RSRC2:TGID_Z_EN: 0
; COMPUTE_PGM_RSRC2:TIDIG_COMP_CNT: 0
; COMPUTE_PGM_RSRC3_GFX90A:ACCUM_OFFSET: 0
; COMPUTE_PGM_RSRC3_GFX90A:TG_SPLIT: 0
	.section	.text._ZN7rocprim17ROCPRIM_400000_NS6detail17trampoline_kernelINS0_14default_configENS1_38merge_sort_block_merge_config_selectorIlNS0_10empty_typeEEEZZNS1_27merge_sort_block_merge_implIS3_PlPS5_jNS1_19radix_merge_compareILb0ELb0ElNS0_19identity_decomposerEEEEE10hipError_tT0_T1_T2_jT3_P12ihipStream_tbPNSt15iterator_traitsISE_E10value_typeEPNSK_ISF_E10value_typeEPSG_NS1_7vsmem_tEENKUlT_SE_SF_SG_E_clIS8_S8_S9_S9_EESD_ST_SE_SF_SG_EUlST_E1_NS1_11comp_targetILNS1_3genE5ELNS1_11target_archE942ELNS1_3gpuE9ELNS1_3repE0EEENS1_36merge_oddeven_config_static_selectorELNS0_4arch9wavefront6targetE1EEEvSF_,"axG",@progbits,_ZN7rocprim17ROCPRIM_400000_NS6detail17trampoline_kernelINS0_14default_configENS1_38merge_sort_block_merge_config_selectorIlNS0_10empty_typeEEEZZNS1_27merge_sort_block_merge_implIS3_PlPS5_jNS1_19radix_merge_compareILb0ELb0ElNS0_19identity_decomposerEEEEE10hipError_tT0_T1_T2_jT3_P12ihipStream_tbPNSt15iterator_traitsISE_E10value_typeEPNSK_ISF_E10value_typeEPSG_NS1_7vsmem_tEENKUlT_SE_SF_SG_E_clIS8_S8_S9_S9_EESD_ST_SE_SF_SG_EUlST_E1_NS1_11comp_targetILNS1_3genE5ELNS1_11target_archE942ELNS1_3gpuE9ELNS1_3repE0EEENS1_36merge_oddeven_config_static_selectorELNS0_4arch9wavefront6targetE1EEEvSF_,comdat
	.protected	_ZN7rocprim17ROCPRIM_400000_NS6detail17trampoline_kernelINS0_14default_configENS1_38merge_sort_block_merge_config_selectorIlNS0_10empty_typeEEEZZNS1_27merge_sort_block_merge_implIS3_PlPS5_jNS1_19radix_merge_compareILb0ELb0ElNS0_19identity_decomposerEEEEE10hipError_tT0_T1_T2_jT3_P12ihipStream_tbPNSt15iterator_traitsISE_E10value_typeEPNSK_ISF_E10value_typeEPSG_NS1_7vsmem_tEENKUlT_SE_SF_SG_E_clIS8_S8_S9_S9_EESD_ST_SE_SF_SG_EUlST_E1_NS1_11comp_targetILNS1_3genE5ELNS1_11target_archE942ELNS1_3gpuE9ELNS1_3repE0EEENS1_36merge_oddeven_config_static_selectorELNS0_4arch9wavefront6targetE1EEEvSF_ ; -- Begin function _ZN7rocprim17ROCPRIM_400000_NS6detail17trampoline_kernelINS0_14default_configENS1_38merge_sort_block_merge_config_selectorIlNS0_10empty_typeEEEZZNS1_27merge_sort_block_merge_implIS3_PlPS5_jNS1_19radix_merge_compareILb0ELb0ElNS0_19identity_decomposerEEEEE10hipError_tT0_T1_T2_jT3_P12ihipStream_tbPNSt15iterator_traitsISE_E10value_typeEPNSK_ISF_E10value_typeEPSG_NS1_7vsmem_tEENKUlT_SE_SF_SG_E_clIS8_S8_S9_S9_EESD_ST_SE_SF_SG_EUlST_E1_NS1_11comp_targetILNS1_3genE5ELNS1_11target_archE942ELNS1_3gpuE9ELNS1_3repE0EEENS1_36merge_oddeven_config_static_selectorELNS0_4arch9wavefront6targetE1EEEvSF_
	.globl	_ZN7rocprim17ROCPRIM_400000_NS6detail17trampoline_kernelINS0_14default_configENS1_38merge_sort_block_merge_config_selectorIlNS0_10empty_typeEEEZZNS1_27merge_sort_block_merge_implIS3_PlPS5_jNS1_19radix_merge_compareILb0ELb0ElNS0_19identity_decomposerEEEEE10hipError_tT0_T1_T2_jT3_P12ihipStream_tbPNSt15iterator_traitsISE_E10value_typeEPNSK_ISF_E10value_typeEPSG_NS1_7vsmem_tEENKUlT_SE_SF_SG_E_clIS8_S8_S9_S9_EESD_ST_SE_SF_SG_EUlST_E1_NS1_11comp_targetILNS1_3genE5ELNS1_11target_archE942ELNS1_3gpuE9ELNS1_3repE0EEENS1_36merge_oddeven_config_static_selectorELNS0_4arch9wavefront6targetE1EEEvSF_
	.p2align	8
	.type	_ZN7rocprim17ROCPRIM_400000_NS6detail17trampoline_kernelINS0_14default_configENS1_38merge_sort_block_merge_config_selectorIlNS0_10empty_typeEEEZZNS1_27merge_sort_block_merge_implIS3_PlPS5_jNS1_19radix_merge_compareILb0ELb0ElNS0_19identity_decomposerEEEEE10hipError_tT0_T1_T2_jT3_P12ihipStream_tbPNSt15iterator_traitsISE_E10value_typeEPNSK_ISF_E10value_typeEPSG_NS1_7vsmem_tEENKUlT_SE_SF_SG_E_clIS8_S8_S9_S9_EESD_ST_SE_SF_SG_EUlST_E1_NS1_11comp_targetILNS1_3genE5ELNS1_11target_archE942ELNS1_3gpuE9ELNS1_3repE0EEENS1_36merge_oddeven_config_static_selectorELNS0_4arch9wavefront6targetE1EEEvSF_,@function
_ZN7rocprim17ROCPRIM_400000_NS6detail17trampoline_kernelINS0_14default_configENS1_38merge_sort_block_merge_config_selectorIlNS0_10empty_typeEEEZZNS1_27merge_sort_block_merge_implIS3_PlPS5_jNS1_19radix_merge_compareILb0ELb0ElNS0_19identity_decomposerEEEEE10hipError_tT0_T1_T2_jT3_P12ihipStream_tbPNSt15iterator_traitsISE_E10value_typeEPNSK_ISF_E10value_typeEPSG_NS1_7vsmem_tEENKUlT_SE_SF_SG_E_clIS8_S8_S9_S9_EESD_ST_SE_SF_SG_EUlST_E1_NS1_11comp_targetILNS1_3genE5ELNS1_11target_archE942ELNS1_3gpuE9ELNS1_3repE0EEENS1_36merge_oddeven_config_static_selectorELNS0_4arch9wavefront6targetE1EEEvSF_: ; @_ZN7rocprim17ROCPRIM_400000_NS6detail17trampoline_kernelINS0_14default_configENS1_38merge_sort_block_merge_config_selectorIlNS0_10empty_typeEEEZZNS1_27merge_sort_block_merge_implIS3_PlPS5_jNS1_19radix_merge_compareILb0ELb0ElNS0_19identity_decomposerEEEEE10hipError_tT0_T1_T2_jT3_P12ihipStream_tbPNSt15iterator_traitsISE_E10value_typeEPNSK_ISF_E10value_typeEPSG_NS1_7vsmem_tEENKUlT_SE_SF_SG_E_clIS8_S8_S9_S9_EESD_ST_SE_SF_SG_EUlST_E1_NS1_11comp_targetILNS1_3genE5ELNS1_11target_archE942ELNS1_3gpuE9ELNS1_3repE0EEENS1_36merge_oddeven_config_static_selectorELNS0_4arch9wavefront6targetE1EEEvSF_
; %bb.0:
	.section	.rodata,"a",@progbits
	.p2align	6, 0x0
	.amdhsa_kernel _ZN7rocprim17ROCPRIM_400000_NS6detail17trampoline_kernelINS0_14default_configENS1_38merge_sort_block_merge_config_selectorIlNS0_10empty_typeEEEZZNS1_27merge_sort_block_merge_implIS3_PlPS5_jNS1_19radix_merge_compareILb0ELb0ElNS0_19identity_decomposerEEEEE10hipError_tT0_T1_T2_jT3_P12ihipStream_tbPNSt15iterator_traitsISE_E10value_typeEPNSK_ISF_E10value_typeEPSG_NS1_7vsmem_tEENKUlT_SE_SF_SG_E_clIS8_S8_S9_S9_EESD_ST_SE_SF_SG_EUlST_E1_NS1_11comp_targetILNS1_3genE5ELNS1_11target_archE942ELNS1_3gpuE9ELNS1_3repE0EEENS1_36merge_oddeven_config_static_selectorELNS0_4arch9wavefront6targetE1EEEvSF_
		.amdhsa_group_segment_fixed_size 0
		.amdhsa_private_segment_fixed_size 0
		.amdhsa_kernarg_size 48
		.amdhsa_user_sgpr_count 6
		.amdhsa_user_sgpr_private_segment_buffer 1
		.amdhsa_user_sgpr_dispatch_ptr 0
		.amdhsa_user_sgpr_queue_ptr 0
		.amdhsa_user_sgpr_kernarg_segment_ptr 1
		.amdhsa_user_sgpr_dispatch_id 0
		.amdhsa_user_sgpr_flat_scratch_init 0
		.amdhsa_user_sgpr_kernarg_preload_length 0
		.amdhsa_user_sgpr_kernarg_preload_offset 0
		.amdhsa_user_sgpr_private_segment_size 0
		.amdhsa_uses_dynamic_stack 0
		.amdhsa_system_sgpr_private_segment_wavefront_offset 0
		.amdhsa_system_sgpr_workgroup_id_x 1
		.amdhsa_system_sgpr_workgroup_id_y 0
		.amdhsa_system_sgpr_workgroup_id_z 0
		.amdhsa_system_sgpr_workgroup_info 0
		.amdhsa_system_vgpr_workitem_id 0
		.amdhsa_next_free_vgpr 1
		.amdhsa_next_free_sgpr 0
		.amdhsa_accum_offset 4
		.amdhsa_reserve_vcc 0
		.amdhsa_reserve_flat_scratch 0
		.amdhsa_float_round_mode_32 0
		.amdhsa_float_round_mode_16_64 0
		.amdhsa_float_denorm_mode_32 3
		.amdhsa_float_denorm_mode_16_64 3
		.amdhsa_dx10_clamp 1
		.amdhsa_ieee_mode 1
		.amdhsa_fp16_overflow 0
		.amdhsa_tg_split 0
		.amdhsa_exception_fp_ieee_invalid_op 0
		.amdhsa_exception_fp_denorm_src 0
		.amdhsa_exception_fp_ieee_div_zero 0
		.amdhsa_exception_fp_ieee_overflow 0
		.amdhsa_exception_fp_ieee_underflow 0
		.amdhsa_exception_fp_ieee_inexact 0
		.amdhsa_exception_int_div_zero 0
	.end_amdhsa_kernel
	.section	.text._ZN7rocprim17ROCPRIM_400000_NS6detail17trampoline_kernelINS0_14default_configENS1_38merge_sort_block_merge_config_selectorIlNS0_10empty_typeEEEZZNS1_27merge_sort_block_merge_implIS3_PlPS5_jNS1_19radix_merge_compareILb0ELb0ElNS0_19identity_decomposerEEEEE10hipError_tT0_T1_T2_jT3_P12ihipStream_tbPNSt15iterator_traitsISE_E10value_typeEPNSK_ISF_E10value_typeEPSG_NS1_7vsmem_tEENKUlT_SE_SF_SG_E_clIS8_S8_S9_S9_EESD_ST_SE_SF_SG_EUlST_E1_NS1_11comp_targetILNS1_3genE5ELNS1_11target_archE942ELNS1_3gpuE9ELNS1_3repE0EEENS1_36merge_oddeven_config_static_selectorELNS0_4arch9wavefront6targetE1EEEvSF_,"axG",@progbits,_ZN7rocprim17ROCPRIM_400000_NS6detail17trampoline_kernelINS0_14default_configENS1_38merge_sort_block_merge_config_selectorIlNS0_10empty_typeEEEZZNS1_27merge_sort_block_merge_implIS3_PlPS5_jNS1_19radix_merge_compareILb0ELb0ElNS0_19identity_decomposerEEEEE10hipError_tT0_T1_T2_jT3_P12ihipStream_tbPNSt15iterator_traitsISE_E10value_typeEPNSK_ISF_E10value_typeEPSG_NS1_7vsmem_tEENKUlT_SE_SF_SG_E_clIS8_S8_S9_S9_EESD_ST_SE_SF_SG_EUlST_E1_NS1_11comp_targetILNS1_3genE5ELNS1_11target_archE942ELNS1_3gpuE9ELNS1_3repE0EEENS1_36merge_oddeven_config_static_selectorELNS0_4arch9wavefront6targetE1EEEvSF_,comdat
.Lfunc_end814:
	.size	_ZN7rocprim17ROCPRIM_400000_NS6detail17trampoline_kernelINS0_14default_configENS1_38merge_sort_block_merge_config_selectorIlNS0_10empty_typeEEEZZNS1_27merge_sort_block_merge_implIS3_PlPS5_jNS1_19radix_merge_compareILb0ELb0ElNS0_19identity_decomposerEEEEE10hipError_tT0_T1_T2_jT3_P12ihipStream_tbPNSt15iterator_traitsISE_E10value_typeEPNSK_ISF_E10value_typeEPSG_NS1_7vsmem_tEENKUlT_SE_SF_SG_E_clIS8_S8_S9_S9_EESD_ST_SE_SF_SG_EUlST_E1_NS1_11comp_targetILNS1_3genE5ELNS1_11target_archE942ELNS1_3gpuE9ELNS1_3repE0EEENS1_36merge_oddeven_config_static_selectorELNS0_4arch9wavefront6targetE1EEEvSF_, .Lfunc_end814-_ZN7rocprim17ROCPRIM_400000_NS6detail17trampoline_kernelINS0_14default_configENS1_38merge_sort_block_merge_config_selectorIlNS0_10empty_typeEEEZZNS1_27merge_sort_block_merge_implIS3_PlPS5_jNS1_19radix_merge_compareILb0ELb0ElNS0_19identity_decomposerEEEEE10hipError_tT0_T1_T2_jT3_P12ihipStream_tbPNSt15iterator_traitsISE_E10value_typeEPNSK_ISF_E10value_typeEPSG_NS1_7vsmem_tEENKUlT_SE_SF_SG_E_clIS8_S8_S9_S9_EESD_ST_SE_SF_SG_EUlST_E1_NS1_11comp_targetILNS1_3genE5ELNS1_11target_archE942ELNS1_3gpuE9ELNS1_3repE0EEENS1_36merge_oddeven_config_static_selectorELNS0_4arch9wavefront6targetE1EEEvSF_
                                        ; -- End function
	.section	.AMDGPU.csdata,"",@progbits
; Kernel info:
; codeLenInByte = 0
; NumSgprs: 4
; NumVgprs: 0
; NumAgprs: 0
; TotalNumVgprs: 0
; ScratchSize: 0
; MemoryBound: 0
; FloatMode: 240
; IeeeMode: 1
; LDSByteSize: 0 bytes/workgroup (compile time only)
; SGPRBlocks: 0
; VGPRBlocks: 0
; NumSGPRsForWavesPerEU: 4
; NumVGPRsForWavesPerEU: 1
; AccumOffset: 4
; Occupancy: 8
; WaveLimiterHint : 0
; COMPUTE_PGM_RSRC2:SCRATCH_EN: 0
; COMPUTE_PGM_RSRC2:USER_SGPR: 6
; COMPUTE_PGM_RSRC2:TRAP_HANDLER: 0
; COMPUTE_PGM_RSRC2:TGID_X_EN: 1
; COMPUTE_PGM_RSRC2:TGID_Y_EN: 0
; COMPUTE_PGM_RSRC2:TGID_Z_EN: 0
; COMPUTE_PGM_RSRC2:TIDIG_COMP_CNT: 0
; COMPUTE_PGM_RSRC3_GFX90A:ACCUM_OFFSET: 0
; COMPUTE_PGM_RSRC3_GFX90A:TG_SPLIT: 0
	.section	.text._ZN7rocprim17ROCPRIM_400000_NS6detail17trampoline_kernelINS0_14default_configENS1_38merge_sort_block_merge_config_selectorIlNS0_10empty_typeEEEZZNS1_27merge_sort_block_merge_implIS3_PlPS5_jNS1_19radix_merge_compareILb0ELb0ElNS0_19identity_decomposerEEEEE10hipError_tT0_T1_T2_jT3_P12ihipStream_tbPNSt15iterator_traitsISE_E10value_typeEPNSK_ISF_E10value_typeEPSG_NS1_7vsmem_tEENKUlT_SE_SF_SG_E_clIS8_S8_S9_S9_EESD_ST_SE_SF_SG_EUlST_E1_NS1_11comp_targetILNS1_3genE4ELNS1_11target_archE910ELNS1_3gpuE8ELNS1_3repE0EEENS1_36merge_oddeven_config_static_selectorELNS0_4arch9wavefront6targetE1EEEvSF_,"axG",@progbits,_ZN7rocprim17ROCPRIM_400000_NS6detail17trampoline_kernelINS0_14default_configENS1_38merge_sort_block_merge_config_selectorIlNS0_10empty_typeEEEZZNS1_27merge_sort_block_merge_implIS3_PlPS5_jNS1_19radix_merge_compareILb0ELb0ElNS0_19identity_decomposerEEEEE10hipError_tT0_T1_T2_jT3_P12ihipStream_tbPNSt15iterator_traitsISE_E10value_typeEPNSK_ISF_E10value_typeEPSG_NS1_7vsmem_tEENKUlT_SE_SF_SG_E_clIS8_S8_S9_S9_EESD_ST_SE_SF_SG_EUlST_E1_NS1_11comp_targetILNS1_3genE4ELNS1_11target_archE910ELNS1_3gpuE8ELNS1_3repE0EEENS1_36merge_oddeven_config_static_selectorELNS0_4arch9wavefront6targetE1EEEvSF_,comdat
	.protected	_ZN7rocprim17ROCPRIM_400000_NS6detail17trampoline_kernelINS0_14default_configENS1_38merge_sort_block_merge_config_selectorIlNS0_10empty_typeEEEZZNS1_27merge_sort_block_merge_implIS3_PlPS5_jNS1_19radix_merge_compareILb0ELb0ElNS0_19identity_decomposerEEEEE10hipError_tT0_T1_T2_jT3_P12ihipStream_tbPNSt15iterator_traitsISE_E10value_typeEPNSK_ISF_E10value_typeEPSG_NS1_7vsmem_tEENKUlT_SE_SF_SG_E_clIS8_S8_S9_S9_EESD_ST_SE_SF_SG_EUlST_E1_NS1_11comp_targetILNS1_3genE4ELNS1_11target_archE910ELNS1_3gpuE8ELNS1_3repE0EEENS1_36merge_oddeven_config_static_selectorELNS0_4arch9wavefront6targetE1EEEvSF_ ; -- Begin function _ZN7rocprim17ROCPRIM_400000_NS6detail17trampoline_kernelINS0_14default_configENS1_38merge_sort_block_merge_config_selectorIlNS0_10empty_typeEEEZZNS1_27merge_sort_block_merge_implIS3_PlPS5_jNS1_19radix_merge_compareILb0ELb0ElNS0_19identity_decomposerEEEEE10hipError_tT0_T1_T2_jT3_P12ihipStream_tbPNSt15iterator_traitsISE_E10value_typeEPNSK_ISF_E10value_typeEPSG_NS1_7vsmem_tEENKUlT_SE_SF_SG_E_clIS8_S8_S9_S9_EESD_ST_SE_SF_SG_EUlST_E1_NS1_11comp_targetILNS1_3genE4ELNS1_11target_archE910ELNS1_3gpuE8ELNS1_3repE0EEENS1_36merge_oddeven_config_static_selectorELNS0_4arch9wavefront6targetE1EEEvSF_
	.globl	_ZN7rocprim17ROCPRIM_400000_NS6detail17trampoline_kernelINS0_14default_configENS1_38merge_sort_block_merge_config_selectorIlNS0_10empty_typeEEEZZNS1_27merge_sort_block_merge_implIS3_PlPS5_jNS1_19radix_merge_compareILb0ELb0ElNS0_19identity_decomposerEEEEE10hipError_tT0_T1_T2_jT3_P12ihipStream_tbPNSt15iterator_traitsISE_E10value_typeEPNSK_ISF_E10value_typeEPSG_NS1_7vsmem_tEENKUlT_SE_SF_SG_E_clIS8_S8_S9_S9_EESD_ST_SE_SF_SG_EUlST_E1_NS1_11comp_targetILNS1_3genE4ELNS1_11target_archE910ELNS1_3gpuE8ELNS1_3repE0EEENS1_36merge_oddeven_config_static_selectorELNS0_4arch9wavefront6targetE1EEEvSF_
	.p2align	8
	.type	_ZN7rocprim17ROCPRIM_400000_NS6detail17trampoline_kernelINS0_14default_configENS1_38merge_sort_block_merge_config_selectorIlNS0_10empty_typeEEEZZNS1_27merge_sort_block_merge_implIS3_PlPS5_jNS1_19radix_merge_compareILb0ELb0ElNS0_19identity_decomposerEEEEE10hipError_tT0_T1_T2_jT3_P12ihipStream_tbPNSt15iterator_traitsISE_E10value_typeEPNSK_ISF_E10value_typeEPSG_NS1_7vsmem_tEENKUlT_SE_SF_SG_E_clIS8_S8_S9_S9_EESD_ST_SE_SF_SG_EUlST_E1_NS1_11comp_targetILNS1_3genE4ELNS1_11target_archE910ELNS1_3gpuE8ELNS1_3repE0EEENS1_36merge_oddeven_config_static_selectorELNS0_4arch9wavefront6targetE1EEEvSF_,@function
_ZN7rocprim17ROCPRIM_400000_NS6detail17trampoline_kernelINS0_14default_configENS1_38merge_sort_block_merge_config_selectorIlNS0_10empty_typeEEEZZNS1_27merge_sort_block_merge_implIS3_PlPS5_jNS1_19radix_merge_compareILb0ELb0ElNS0_19identity_decomposerEEEEE10hipError_tT0_T1_T2_jT3_P12ihipStream_tbPNSt15iterator_traitsISE_E10value_typeEPNSK_ISF_E10value_typeEPSG_NS1_7vsmem_tEENKUlT_SE_SF_SG_E_clIS8_S8_S9_S9_EESD_ST_SE_SF_SG_EUlST_E1_NS1_11comp_targetILNS1_3genE4ELNS1_11target_archE910ELNS1_3gpuE8ELNS1_3repE0EEENS1_36merge_oddeven_config_static_selectorELNS0_4arch9wavefront6targetE1EEEvSF_: ; @_ZN7rocprim17ROCPRIM_400000_NS6detail17trampoline_kernelINS0_14default_configENS1_38merge_sort_block_merge_config_selectorIlNS0_10empty_typeEEEZZNS1_27merge_sort_block_merge_implIS3_PlPS5_jNS1_19radix_merge_compareILb0ELb0ElNS0_19identity_decomposerEEEEE10hipError_tT0_T1_T2_jT3_P12ihipStream_tbPNSt15iterator_traitsISE_E10value_typeEPNSK_ISF_E10value_typeEPSG_NS1_7vsmem_tEENKUlT_SE_SF_SG_E_clIS8_S8_S9_S9_EESD_ST_SE_SF_SG_EUlST_E1_NS1_11comp_targetILNS1_3genE4ELNS1_11target_archE910ELNS1_3gpuE8ELNS1_3repE0EEENS1_36merge_oddeven_config_static_selectorELNS0_4arch9wavefront6targetE1EEEvSF_
; %bb.0:
	s_load_dword s18, s[4:5], 0x20
	s_waitcnt lgkmcnt(0)
	s_lshr_b32 s0, s18, 8
	s_cmp_lg_u32 s6, s0
	s_cselect_b64 s[14:15], -1, 0
	s_cmp_eq_u32 s6, s0
	s_cselect_b64 s[12:13], -1, 0
	s_lshl_b32 s16, s6, 8
	s_sub_i32 s0, s18, s16
	v_cmp_gt_u32_e64 s[2:3], s0, v0
	s_or_b64 s[0:1], s[14:15], s[2:3]
	s_and_saveexec_b64 s[8:9], s[0:1]
	s_cbranch_execz .LBB815_20
; %bb.1:
	s_load_dwordx4 s[8:11], s[4:5], 0x0
	s_load_dword s19, s[4:5], 0x24
	s_mov_b32 s17, 0
	s_lshl_b64 s[0:1], s[16:17], 3
	v_lshlrev_b32_e32 v1, 3, v0
	s_waitcnt lgkmcnt(0)
	s_add_u32 s0, s8, s0
	s_addc_u32 s1, s9, s1
	global_load_dwordx2 v[2:3], v1, s[0:1]
	s_lshr_b32 s0, s19, 8
	s_sub_i32 s1, 0, s0
	s_and_b32 s1, s6, s1
	s_and_b32 s0, s1, s0
	s_lshl_b32 s20, s1, 8
	s_sub_i32 s6, 0, s19
	s_cmp_eq_u32 s0, 0
	s_cselect_b64 s[0:1], -1, 0
	s_and_b64 s[4:5], s[0:1], exec
	s_cselect_b32 s17, s19, s6
	s_add_i32 s17, s17, s20
	s_cmp_lt_u32 s17, s18
	v_add_u32_e32 v0, s16, v0
	s_cbranch_scc1 .LBB815_3
; %bb.2:
	v_cmp_gt_u32_e32 vcc, s18, v0
	s_or_b64 s[4:5], vcc, s[14:15]
	s_and_b64 s[4:5], s[4:5], exec
	s_cbranch_execz .LBB815_4
	s_branch .LBB815_18
.LBB815_3:
	s_mov_b64 s[4:5], 0
.LBB815_4:
	s_min_u32 s14, s17, s18
	s_add_i32 s6, s14, s19
	s_min_u32 s15, s6, s18
	s_min_u32 s6, s20, s14
	s_add_i32 s20, s20, s14
	v_subrev_u32_e32 v0, s20, v0
	v_add_u32_e32 v4, s6, v0
	s_and_b64 vcc, exec, s[12:13]
	s_cbranch_vccz .LBB815_12
; %bb.5:
                                        ; implicit-def: $vgpr0
	s_and_saveexec_b64 s[6:7], s[2:3]
	s_cbranch_execz .LBB815_11
; %bb.6:
	s_cmp_ge_u32 s17, s15
	v_mov_b32_e32 v5, s14
	s_cbranch_scc1 .LBB815_10
; %bb.7:
	s_mov_b64 s[2:3], 0
	v_mov_b32_e32 v6, s15
	v_mov_b32_e32 v5, s14
	;; [unrolled: 1-line block ×4, first 2 shown]
.LBB815_8:                              ; =>This Inner Loop Header: Depth=1
	v_add_u32_e32 v0, v5, v6
	v_lshrrev_b32_e32 v0, 1, v0
	v_lshlrev_b64 v[8:9], 3, v[0:1]
	v_add_co_u32_e32 v8, vcc, s8, v8
	v_addc_co_u32_e32 v9, vcc, v7, v9, vcc
	global_load_dwordx2 v[8:9], v[8:9], off
	v_add_u32_e32 v10, 1, v0
	s_waitcnt vmcnt(0)
	v_cmp_gt_i64_e32 vcc, v[2:3], v[8:9]
	v_cndmask_b32_e64 v11, 0, 1, vcc
	v_cmp_le_i64_e32 vcc, v[8:9], v[2:3]
	v_cndmask_b32_e64 v8, 0, 1, vcc
	v_cndmask_b32_e64 v8, v8, v11, s[0:1]
	v_and_b32_e32 v8, 1, v8
	v_cmp_eq_u32_e32 vcc, 1, v8
	v_cndmask_b32_e32 v6, v0, v6, vcc
	v_cndmask_b32_e32 v5, v5, v10, vcc
	v_cmp_ge_u32_e32 vcc, v5, v6
	s_or_b64 s[2:3], vcc, s[2:3]
	s_andn2_b64 exec, exec, s[2:3]
	s_cbranch_execnz .LBB815_8
; %bb.9:
	s_or_b64 exec, exec, s[2:3]
.LBB815_10:
	v_add_u32_e32 v0, v5, v4
	s_or_b64 s[4:5], s[4:5], exec
.LBB815_11:
	s_or_b64 exec, exec, s[6:7]
	s_branch .LBB815_18
.LBB815_12:
                                        ; implicit-def: $vgpr0
	s_cbranch_execz .LBB815_18
; %bb.13:
	s_cmp_ge_u32 s17, s15
	v_mov_b32_e32 v5, s14
	s_cbranch_scc1 .LBB815_17
; %bb.14:
	s_mov_b64 s[2:3], 0
	v_mov_b32_e32 v6, s15
	v_mov_b32_e32 v5, s14
	;; [unrolled: 1-line block ×4, first 2 shown]
.LBB815_15:                             ; =>This Inner Loop Header: Depth=1
	v_add_u32_e32 v0, v5, v6
	v_lshrrev_b32_e32 v0, 1, v0
	v_lshlrev_b64 v[8:9], 3, v[0:1]
	v_add_co_u32_e32 v8, vcc, s8, v8
	v_addc_co_u32_e32 v9, vcc, v7, v9, vcc
	global_load_dwordx2 v[8:9], v[8:9], off
	v_add_u32_e32 v10, 1, v0
	s_waitcnt vmcnt(0)
	v_cmp_gt_i64_e32 vcc, v[2:3], v[8:9]
	v_cndmask_b32_e64 v11, 0, 1, vcc
	v_cmp_le_i64_e32 vcc, v[8:9], v[2:3]
	v_cndmask_b32_e64 v8, 0, 1, vcc
	v_cndmask_b32_e64 v8, v8, v11, s[0:1]
	v_and_b32_e32 v8, 1, v8
	v_cmp_eq_u32_e32 vcc, 1, v8
	v_cndmask_b32_e32 v6, v0, v6, vcc
	v_cndmask_b32_e32 v5, v5, v10, vcc
	v_cmp_ge_u32_e32 vcc, v5, v6
	s_or_b64 s[2:3], vcc, s[2:3]
	s_andn2_b64 exec, exec, s[2:3]
	s_cbranch_execnz .LBB815_15
; %bb.16:
	s_or_b64 exec, exec, s[2:3]
.LBB815_17:
	v_add_u32_e32 v0, v5, v4
	s_mov_b64 s[4:5], -1
.LBB815_18:
	s_and_b64 exec, exec, s[4:5]
	s_cbranch_execz .LBB815_20
; %bb.19:
	v_mov_b32_e32 v1, 0
	v_lshlrev_b64 v[0:1], 3, v[0:1]
	v_mov_b32_e32 v4, s11
	v_add_co_u32_e32 v0, vcc, s10, v0
	v_addc_co_u32_e32 v1, vcc, v4, v1, vcc
	s_waitcnt vmcnt(0)
	global_store_dwordx2 v[0:1], v[2:3], off
.LBB815_20:
	s_endpgm
	.section	.rodata,"a",@progbits
	.p2align	6, 0x0
	.amdhsa_kernel _ZN7rocprim17ROCPRIM_400000_NS6detail17trampoline_kernelINS0_14default_configENS1_38merge_sort_block_merge_config_selectorIlNS0_10empty_typeEEEZZNS1_27merge_sort_block_merge_implIS3_PlPS5_jNS1_19radix_merge_compareILb0ELb0ElNS0_19identity_decomposerEEEEE10hipError_tT0_T1_T2_jT3_P12ihipStream_tbPNSt15iterator_traitsISE_E10value_typeEPNSK_ISF_E10value_typeEPSG_NS1_7vsmem_tEENKUlT_SE_SF_SG_E_clIS8_S8_S9_S9_EESD_ST_SE_SF_SG_EUlST_E1_NS1_11comp_targetILNS1_3genE4ELNS1_11target_archE910ELNS1_3gpuE8ELNS1_3repE0EEENS1_36merge_oddeven_config_static_selectorELNS0_4arch9wavefront6targetE1EEEvSF_
		.amdhsa_group_segment_fixed_size 0
		.amdhsa_private_segment_fixed_size 0
		.amdhsa_kernarg_size 48
		.amdhsa_user_sgpr_count 6
		.amdhsa_user_sgpr_private_segment_buffer 1
		.amdhsa_user_sgpr_dispatch_ptr 0
		.amdhsa_user_sgpr_queue_ptr 0
		.amdhsa_user_sgpr_kernarg_segment_ptr 1
		.amdhsa_user_sgpr_dispatch_id 0
		.amdhsa_user_sgpr_flat_scratch_init 0
		.amdhsa_user_sgpr_kernarg_preload_length 0
		.amdhsa_user_sgpr_kernarg_preload_offset 0
		.amdhsa_user_sgpr_private_segment_size 0
		.amdhsa_uses_dynamic_stack 0
		.amdhsa_system_sgpr_private_segment_wavefront_offset 0
		.amdhsa_system_sgpr_workgroup_id_x 1
		.amdhsa_system_sgpr_workgroup_id_y 0
		.amdhsa_system_sgpr_workgroup_id_z 0
		.amdhsa_system_sgpr_workgroup_info 0
		.amdhsa_system_vgpr_workitem_id 0
		.amdhsa_next_free_vgpr 12
		.amdhsa_next_free_sgpr 21
		.amdhsa_accum_offset 12
		.amdhsa_reserve_vcc 1
		.amdhsa_reserve_flat_scratch 0
		.amdhsa_float_round_mode_32 0
		.amdhsa_float_round_mode_16_64 0
		.amdhsa_float_denorm_mode_32 3
		.amdhsa_float_denorm_mode_16_64 3
		.amdhsa_dx10_clamp 1
		.amdhsa_ieee_mode 1
		.amdhsa_fp16_overflow 0
		.amdhsa_tg_split 0
		.amdhsa_exception_fp_ieee_invalid_op 0
		.amdhsa_exception_fp_denorm_src 0
		.amdhsa_exception_fp_ieee_div_zero 0
		.amdhsa_exception_fp_ieee_overflow 0
		.amdhsa_exception_fp_ieee_underflow 0
		.amdhsa_exception_fp_ieee_inexact 0
		.amdhsa_exception_int_div_zero 0
	.end_amdhsa_kernel
	.section	.text._ZN7rocprim17ROCPRIM_400000_NS6detail17trampoline_kernelINS0_14default_configENS1_38merge_sort_block_merge_config_selectorIlNS0_10empty_typeEEEZZNS1_27merge_sort_block_merge_implIS3_PlPS5_jNS1_19radix_merge_compareILb0ELb0ElNS0_19identity_decomposerEEEEE10hipError_tT0_T1_T2_jT3_P12ihipStream_tbPNSt15iterator_traitsISE_E10value_typeEPNSK_ISF_E10value_typeEPSG_NS1_7vsmem_tEENKUlT_SE_SF_SG_E_clIS8_S8_S9_S9_EESD_ST_SE_SF_SG_EUlST_E1_NS1_11comp_targetILNS1_3genE4ELNS1_11target_archE910ELNS1_3gpuE8ELNS1_3repE0EEENS1_36merge_oddeven_config_static_selectorELNS0_4arch9wavefront6targetE1EEEvSF_,"axG",@progbits,_ZN7rocprim17ROCPRIM_400000_NS6detail17trampoline_kernelINS0_14default_configENS1_38merge_sort_block_merge_config_selectorIlNS0_10empty_typeEEEZZNS1_27merge_sort_block_merge_implIS3_PlPS5_jNS1_19radix_merge_compareILb0ELb0ElNS0_19identity_decomposerEEEEE10hipError_tT0_T1_T2_jT3_P12ihipStream_tbPNSt15iterator_traitsISE_E10value_typeEPNSK_ISF_E10value_typeEPSG_NS1_7vsmem_tEENKUlT_SE_SF_SG_E_clIS8_S8_S9_S9_EESD_ST_SE_SF_SG_EUlST_E1_NS1_11comp_targetILNS1_3genE4ELNS1_11target_archE910ELNS1_3gpuE8ELNS1_3repE0EEENS1_36merge_oddeven_config_static_selectorELNS0_4arch9wavefront6targetE1EEEvSF_,comdat
.Lfunc_end815:
	.size	_ZN7rocprim17ROCPRIM_400000_NS6detail17trampoline_kernelINS0_14default_configENS1_38merge_sort_block_merge_config_selectorIlNS0_10empty_typeEEEZZNS1_27merge_sort_block_merge_implIS3_PlPS5_jNS1_19radix_merge_compareILb0ELb0ElNS0_19identity_decomposerEEEEE10hipError_tT0_T1_T2_jT3_P12ihipStream_tbPNSt15iterator_traitsISE_E10value_typeEPNSK_ISF_E10value_typeEPSG_NS1_7vsmem_tEENKUlT_SE_SF_SG_E_clIS8_S8_S9_S9_EESD_ST_SE_SF_SG_EUlST_E1_NS1_11comp_targetILNS1_3genE4ELNS1_11target_archE910ELNS1_3gpuE8ELNS1_3repE0EEENS1_36merge_oddeven_config_static_selectorELNS0_4arch9wavefront6targetE1EEEvSF_, .Lfunc_end815-_ZN7rocprim17ROCPRIM_400000_NS6detail17trampoline_kernelINS0_14default_configENS1_38merge_sort_block_merge_config_selectorIlNS0_10empty_typeEEEZZNS1_27merge_sort_block_merge_implIS3_PlPS5_jNS1_19radix_merge_compareILb0ELb0ElNS0_19identity_decomposerEEEEE10hipError_tT0_T1_T2_jT3_P12ihipStream_tbPNSt15iterator_traitsISE_E10value_typeEPNSK_ISF_E10value_typeEPSG_NS1_7vsmem_tEENKUlT_SE_SF_SG_E_clIS8_S8_S9_S9_EESD_ST_SE_SF_SG_EUlST_E1_NS1_11comp_targetILNS1_3genE4ELNS1_11target_archE910ELNS1_3gpuE8ELNS1_3repE0EEENS1_36merge_oddeven_config_static_selectorELNS0_4arch9wavefront6targetE1EEEvSF_
                                        ; -- End function
	.section	.AMDGPU.csdata,"",@progbits
; Kernel info:
; codeLenInByte = 588
; NumSgprs: 25
; NumVgprs: 12
; NumAgprs: 0
; TotalNumVgprs: 12
; ScratchSize: 0
; MemoryBound: 0
; FloatMode: 240
; IeeeMode: 1
; LDSByteSize: 0 bytes/workgroup (compile time only)
; SGPRBlocks: 3
; VGPRBlocks: 1
; NumSGPRsForWavesPerEU: 25
; NumVGPRsForWavesPerEU: 12
; AccumOffset: 12
; Occupancy: 8
; WaveLimiterHint : 0
; COMPUTE_PGM_RSRC2:SCRATCH_EN: 0
; COMPUTE_PGM_RSRC2:USER_SGPR: 6
; COMPUTE_PGM_RSRC2:TRAP_HANDLER: 0
; COMPUTE_PGM_RSRC2:TGID_X_EN: 1
; COMPUTE_PGM_RSRC2:TGID_Y_EN: 0
; COMPUTE_PGM_RSRC2:TGID_Z_EN: 0
; COMPUTE_PGM_RSRC2:TIDIG_COMP_CNT: 0
; COMPUTE_PGM_RSRC3_GFX90A:ACCUM_OFFSET: 2
; COMPUTE_PGM_RSRC3_GFX90A:TG_SPLIT: 0
	.section	.text._ZN7rocprim17ROCPRIM_400000_NS6detail17trampoline_kernelINS0_14default_configENS1_38merge_sort_block_merge_config_selectorIlNS0_10empty_typeEEEZZNS1_27merge_sort_block_merge_implIS3_PlPS5_jNS1_19radix_merge_compareILb0ELb0ElNS0_19identity_decomposerEEEEE10hipError_tT0_T1_T2_jT3_P12ihipStream_tbPNSt15iterator_traitsISE_E10value_typeEPNSK_ISF_E10value_typeEPSG_NS1_7vsmem_tEENKUlT_SE_SF_SG_E_clIS8_S8_S9_S9_EESD_ST_SE_SF_SG_EUlST_E1_NS1_11comp_targetILNS1_3genE3ELNS1_11target_archE908ELNS1_3gpuE7ELNS1_3repE0EEENS1_36merge_oddeven_config_static_selectorELNS0_4arch9wavefront6targetE1EEEvSF_,"axG",@progbits,_ZN7rocprim17ROCPRIM_400000_NS6detail17trampoline_kernelINS0_14default_configENS1_38merge_sort_block_merge_config_selectorIlNS0_10empty_typeEEEZZNS1_27merge_sort_block_merge_implIS3_PlPS5_jNS1_19radix_merge_compareILb0ELb0ElNS0_19identity_decomposerEEEEE10hipError_tT0_T1_T2_jT3_P12ihipStream_tbPNSt15iterator_traitsISE_E10value_typeEPNSK_ISF_E10value_typeEPSG_NS1_7vsmem_tEENKUlT_SE_SF_SG_E_clIS8_S8_S9_S9_EESD_ST_SE_SF_SG_EUlST_E1_NS1_11comp_targetILNS1_3genE3ELNS1_11target_archE908ELNS1_3gpuE7ELNS1_3repE0EEENS1_36merge_oddeven_config_static_selectorELNS0_4arch9wavefront6targetE1EEEvSF_,comdat
	.protected	_ZN7rocprim17ROCPRIM_400000_NS6detail17trampoline_kernelINS0_14default_configENS1_38merge_sort_block_merge_config_selectorIlNS0_10empty_typeEEEZZNS1_27merge_sort_block_merge_implIS3_PlPS5_jNS1_19radix_merge_compareILb0ELb0ElNS0_19identity_decomposerEEEEE10hipError_tT0_T1_T2_jT3_P12ihipStream_tbPNSt15iterator_traitsISE_E10value_typeEPNSK_ISF_E10value_typeEPSG_NS1_7vsmem_tEENKUlT_SE_SF_SG_E_clIS8_S8_S9_S9_EESD_ST_SE_SF_SG_EUlST_E1_NS1_11comp_targetILNS1_3genE3ELNS1_11target_archE908ELNS1_3gpuE7ELNS1_3repE0EEENS1_36merge_oddeven_config_static_selectorELNS0_4arch9wavefront6targetE1EEEvSF_ ; -- Begin function _ZN7rocprim17ROCPRIM_400000_NS6detail17trampoline_kernelINS0_14default_configENS1_38merge_sort_block_merge_config_selectorIlNS0_10empty_typeEEEZZNS1_27merge_sort_block_merge_implIS3_PlPS5_jNS1_19radix_merge_compareILb0ELb0ElNS0_19identity_decomposerEEEEE10hipError_tT0_T1_T2_jT3_P12ihipStream_tbPNSt15iterator_traitsISE_E10value_typeEPNSK_ISF_E10value_typeEPSG_NS1_7vsmem_tEENKUlT_SE_SF_SG_E_clIS8_S8_S9_S9_EESD_ST_SE_SF_SG_EUlST_E1_NS1_11comp_targetILNS1_3genE3ELNS1_11target_archE908ELNS1_3gpuE7ELNS1_3repE0EEENS1_36merge_oddeven_config_static_selectorELNS0_4arch9wavefront6targetE1EEEvSF_
	.globl	_ZN7rocprim17ROCPRIM_400000_NS6detail17trampoline_kernelINS0_14default_configENS1_38merge_sort_block_merge_config_selectorIlNS0_10empty_typeEEEZZNS1_27merge_sort_block_merge_implIS3_PlPS5_jNS1_19radix_merge_compareILb0ELb0ElNS0_19identity_decomposerEEEEE10hipError_tT0_T1_T2_jT3_P12ihipStream_tbPNSt15iterator_traitsISE_E10value_typeEPNSK_ISF_E10value_typeEPSG_NS1_7vsmem_tEENKUlT_SE_SF_SG_E_clIS8_S8_S9_S9_EESD_ST_SE_SF_SG_EUlST_E1_NS1_11comp_targetILNS1_3genE3ELNS1_11target_archE908ELNS1_3gpuE7ELNS1_3repE0EEENS1_36merge_oddeven_config_static_selectorELNS0_4arch9wavefront6targetE1EEEvSF_
	.p2align	8
	.type	_ZN7rocprim17ROCPRIM_400000_NS6detail17trampoline_kernelINS0_14default_configENS1_38merge_sort_block_merge_config_selectorIlNS0_10empty_typeEEEZZNS1_27merge_sort_block_merge_implIS3_PlPS5_jNS1_19radix_merge_compareILb0ELb0ElNS0_19identity_decomposerEEEEE10hipError_tT0_T1_T2_jT3_P12ihipStream_tbPNSt15iterator_traitsISE_E10value_typeEPNSK_ISF_E10value_typeEPSG_NS1_7vsmem_tEENKUlT_SE_SF_SG_E_clIS8_S8_S9_S9_EESD_ST_SE_SF_SG_EUlST_E1_NS1_11comp_targetILNS1_3genE3ELNS1_11target_archE908ELNS1_3gpuE7ELNS1_3repE0EEENS1_36merge_oddeven_config_static_selectorELNS0_4arch9wavefront6targetE1EEEvSF_,@function
_ZN7rocprim17ROCPRIM_400000_NS6detail17trampoline_kernelINS0_14default_configENS1_38merge_sort_block_merge_config_selectorIlNS0_10empty_typeEEEZZNS1_27merge_sort_block_merge_implIS3_PlPS5_jNS1_19radix_merge_compareILb0ELb0ElNS0_19identity_decomposerEEEEE10hipError_tT0_T1_T2_jT3_P12ihipStream_tbPNSt15iterator_traitsISE_E10value_typeEPNSK_ISF_E10value_typeEPSG_NS1_7vsmem_tEENKUlT_SE_SF_SG_E_clIS8_S8_S9_S9_EESD_ST_SE_SF_SG_EUlST_E1_NS1_11comp_targetILNS1_3genE3ELNS1_11target_archE908ELNS1_3gpuE7ELNS1_3repE0EEENS1_36merge_oddeven_config_static_selectorELNS0_4arch9wavefront6targetE1EEEvSF_: ; @_ZN7rocprim17ROCPRIM_400000_NS6detail17trampoline_kernelINS0_14default_configENS1_38merge_sort_block_merge_config_selectorIlNS0_10empty_typeEEEZZNS1_27merge_sort_block_merge_implIS3_PlPS5_jNS1_19radix_merge_compareILb0ELb0ElNS0_19identity_decomposerEEEEE10hipError_tT0_T1_T2_jT3_P12ihipStream_tbPNSt15iterator_traitsISE_E10value_typeEPNSK_ISF_E10value_typeEPSG_NS1_7vsmem_tEENKUlT_SE_SF_SG_E_clIS8_S8_S9_S9_EESD_ST_SE_SF_SG_EUlST_E1_NS1_11comp_targetILNS1_3genE3ELNS1_11target_archE908ELNS1_3gpuE7ELNS1_3repE0EEENS1_36merge_oddeven_config_static_selectorELNS0_4arch9wavefront6targetE1EEEvSF_
; %bb.0:
	.section	.rodata,"a",@progbits
	.p2align	6, 0x0
	.amdhsa_kernel _ZN7rocprim17ROCPRIM_400000_NS6detail17trampoline_kernelINS0_14default_configENS1_38merge_sort_block_merge_config_selectorIlNS0_10empty_typeEEEZZNS1_27merge_sort_block_merge_implIS3_PlPS5_jNS1_19radix_merge_compareILb0ELb0ElNS0_19identity_decomposerEEEEE10hipError_tT0_T1_T2_jT3_P12ihipStream_tbPNSt15iterator_traitsISE_E10value_typeEPNSK_ISF_E10value_typeEPSG_NS1_7vsmem_tEENKUlT_SE_SF_SG_E_clIS8_S8_S9_S9_EESD_ST_SE_SF_SG_EUlST_E1_NS1_11comp_targetILNS1_3genE3ELNS1_11target_archE908ELNS1_3gpuE7ELNS1_3repE0EEENS1_36merge_oddeven_config_static_selectorELNS0_4arch9wavefront6targetE1EEEvSF_
		.amdhsa_group_segment_fixed_size 0
		.amdhsa_private_segment_fixed_size 0
		.amdhsa_kernarg_size 48
		.amdhsa_user_sgpr_count 6
		.amdhsa_user_sgpr_private_segment_buffer 1
		.amdhsa_user_sgpr_dispatch_ptr 0
		.amdhsa_user_sgpr_queue_ptr 0
		.amdhsa_user_sgpr_kernarg_segment_ptr 1
		.amdhsa_user_sgpr_dispatch_id 0
		.amdhsa_user_sgpr_flat_scratch_init 0
		.amdhsa_user_sgpr_kernarg_preload_length 0
		.amdhsa_user_sgpr_kernarg_preload_offset 0
		.amdhsa_user_sgpr_private_segment_size 0
		.amdhsa_uses_dynamic_stack 0
		.amdhsa_system_sgpr_private_segment_wavefront_offset 0
		.amdhsa_system_sgpr_workgroup_id_x 1
		.amdhsa_system_sgpr_workgroup_id_y 0
		.amdhsa_system_sgpr_workgroup_id_z 0
		.amdhsa_system_sgpr_workgroup_info 0
		.amdhsa_system_vgpr_workitem_id 0
		.amdhsa_next_free_vgpr 1
		.amdhsa_next_free_sgpr 0
		.amdhsa_accum_offset 4
		.amdhsa_reserve_vcc 0
		.amdhsa_reserve_flat_scratch 0
		.amdhsa_float_round_mode_32 0
		.amdhsa_float_round_mode_16_64 0
		.amdhsa_float_denorm_mode_32 3
		.amdhsa_float_denorm_mode_16_64 3
		.amdhsa_dx10_clamp 1
		.amdhsa_ieee_mode 1
		.amdhsa_fp16_overflow 0
		.amdhsa_tg_split 0
		.amdhsa_exception_fp_ieee_invalid_op 0
		.amdhsa_exception_fp_denorm_src 0
		.amdhsa_exception_fp_ieee_div_zero 0
		.amdhsa_exception_fp_ieee_overflow 0
		.amdhsa_exception_fp_ieee_underflow 0
		.amdhsa_exception_fp_ieee_inexact 0
		.amdhsa_exception_int_div_zero 0
	.end_amdhsa_kernel
	.section	.text._ZN7rocprim17ROCPRIM_400000_NS6detail17trampoline_kernelINS0_14default_configENS1_38merge_sort_block_merge_config_selectorIlNS0_10empty_typeEEEZZNS1_27merge_sort_block_merge_implIS3_PlPS5_jNS1_19radix_merge_compareILb0ELb0ElNS0_19identity_decomposerEEEEE10hipError_tT0_T1_T2_jT3_P12ihipStream_tbPNSt15iterator_traitsISE_E10value_typeEPNSK_ISF_E10value_typeEPSG_NS1_7vsmem_tEENKUlT_SE_SF_SG_E_clIS8_S8_S9_S9_EESD_ST_SE_SF_SG_EUlST_E1_NS1_11comp_targetILNS1_3genE3ELNS1_11target_archE908ELNS1_3gpuE7ELNS1_3repE0EEENS1_36merge_oddeven_config_static_selectorELNS0_4arch9wavefront6targetE1EEEvSF_,"axG",@progbits,_ZN7rocprim17ROCPRIM_400000_NS6detail17trampoline_kernelINS0_14default_configENS1_38merge_sort_block_merge_config_selectorIlNS0_10empty_typeEEEZZNS1_27merge_sort_block_merge_implIS3_PlPS5_jNS1_19radix_merge_compareILb0ELb0ElNS0_19identity_decomposerEEEEE10hipError_tT0_T1_T2_jT3_P12ihipStream_tbPNSt15iterator_traitsISE_E10value_typeEPNSK_ISF_E10value_typeEPSG_NS1_7vsmem_tEENKUlT_SE_SF_SG_E_clIS8_S8_S9_S9_EESD_ST_SE_SF_SG_EUlST_E1_NS1_11comp_targetILNS1_3genE3ELNS1_11target_archE908ELNS1_3gpuE7ELNS1_3repE0EEENS1_36merge_oddeven_config_static_selectorELNS0_4arch9wavefront6targetE1EEEvSF_,comdat
.Lfunc_end816:
	.size	_ZN7rocprim17ROCPRIM_400000_NS6detail17trampoline_kernelINS0_14default_configENS1_38merge_sort_block_merge_config_selectorIlNS0_10empty_typeEEEZZNS1_27merge_sort_block_merge_implIS3_PlPS5_jNS1_19radix_merge_compareILb0ELb0ElNS0_19identity_decomposerEEEEE10hipError_tT0_T1_T2_jT3_P12ihipStream_tbPNSt15iterator_traitsISE_E10value_typeEPNSK_ISF_E10value_typeEPSG_NS1_7vsmem_tEENKUlT_SE_SF_SG_E_clIS8_S8_S9_S9_EESD_ST_SE_SF_SG_EUlST_E1_NS1_11comp_targetILNS1_3genE3ELNS1_11target_archE908ELNS1_3gpuE7ELNS1_3repE0EEENS1_36merge_oddeven_config_static_selectorELNS0_4arch9wavefront6targetE1EEEvSF_, .Lfunc_end816-_ZN7rocprim17ROCPRIM_400000_NS6detail17trampoline_kernelINS0_14default_configENS1_38merge_sort_block_merge_config_selectorIlNS0_10empty_typeEEEZZNS1_27merge_sort_block_merge_implIS3_PlPS5_jNS1_19radix_merge_compareILb0ELb0ElNS0_19identity_decomposerEEEEE10hipError_tT0_T1_T2_jT3_P12ihipStream_tbPNSt15iterator_traitsISE_E10value_typeEPNSK_ISF_E10value_typeEPSG_NS1_7vsmem_tEENKUlT_SE_SF_SG_E_clIS8_S8_S9_S9_EESD_ST_SE_SF_SG_EUlST_E1_NS1_11comp_targetILNS1_3genE3ELNS1_11target_archE908ELNS1_3gpuE7ELNS1_3repE0EEENS1_36merge_oddeven_config_static_selectorELNS0_4arch9wavefront6targetE1EEEvSF_
                                        ; -- End function
	.section	.AMDGPU.csdata,"",@progbits
; Kernel info:
; codeLenInByte = 0
; NumSgprs: 4
; NumVgprs: 0
; NumAgprs: 0
; TotalNumVgprs: 0
; ScratchSize: 0
; MemoryBound: 0
; FloatMode: 240
; IeeeMode: 1
; LDSByteSize: 0 bytes/workgroup (compile time only)
; SGPRBlocks: 0
; VGPRBlocks: 0
; NumSGPRsForWavesPerEU: 4
; NumVGPRsForWavesPerEU: 1
; AccumOffset: 4
; Occupancy: 8
; WaveLimiterHint : 0
; COMPUTE_PGM_RSRC2:SCRATCH_EN: 0
; COMPUTE_PGM_RSRC2:USER_SGPR: 6
; COMPUTE_PGM_RSRC2:TRAP_HANDLER: 0
; COMPUTE_PGM_RSRC2:TGID_X_EN: 1
; COMPUTE_PGM_RSRC2:TGID_Y_EN: 0
; COMPUTE_PGM_RSRC2:TGID_Z_EN: 0
; COMPUTE_PGM_RSRC2:TIDIG_COMP_CNT: 0
; COMPUTE_PGM_RSRC3_GFX90A:ACCUM_OFFSET: 0
; COMPUTE_PGM_RSRC3_GFX90A:TG_SPLIT: 0
	.section	.text._ZN7rocprim17ROCPRIM_400000_NS6detail17trampoline_kernelINS0_14default_configENS1_38merge_sort_block_merge_config_selectorIlNS0_10empty_typeEEEZZNS1_27merge_sort_block_merge_implIS3_PlPS5_jNS1_19radix_merge_compareILb0ELb0ElNS0_19identity_decomposerEEEEE10hipError_tT0_T1_T2_jT3_P12ihipStream_tbPNSt15iterator_traitsISE_E10value_typeEPNSK_ISF_E10value_typeEPSG_NS1_7vsmem_tEENKUlT_SE_SF_SG_E_clIS8_S8_S9_S9_EESD_ST_SE_SF_SG_EUlST_E1_NS1_11comp_targetILNS1_3genE2ELNS1_11target_archE906ELNS1_3gpuE6ELNS1_3repE0EEENS1_36merge_oddeven_config_static_selectorELNS0_4arch9wavefront6targetE1EEEvSF_,"axG",@progbits,_ZN7rocprim17ROCPRIM_400000_NS6detail17trampoline_kernelINS0_14default_configENS1_38merge_sort_block_merge_config_selectorIlNS0_10empty_typeEEEZZNS1_27merge_sort_block_merge_implIS3_PlPS5_jNS1_19radix_merge_compareILb0ELb0ElNS0_19identity_decomposerEEEEE10hipError_tT0_T1_T2_jT3_P12ihipStream_tbPNSt15iterator_traitsISE_E10value_typeEPNSK_ISF_E10value_typeEPSG_NS1_7vsmem_tEENKUlT_SE_SF_SG_E_clIS8_S8_S9_S9_EESD_ST_SE_SF_SG_EUlST_E1_NS1_11comp_targetILNS1_3genE2ELNS1_11target_archE906ELNS1_3gpuE6ELNS1_3repE0EEENS1_36merge_oddeven_config_static_selectorELNS0_4arch9wavefront6targetE1EEEvSF_,comdat
	.protected	_ZN7rocprim17ROCPRIM_400000_NS6detail17trampoline_kernelINS0_14default_configENS1_38merge_sort_block_merge_config_selectorIlNS0_10empty_typeEEEZZNS1_27merge_sort_block_merge_implIS3_PlPS5_jNS1_19radix_merge_compareILb0ELb0ElNS0_19identity_decomposerEEEEE10hipError_tT0_T1_T2_jT3_P12ihipStream_tbPNSt15iterator_traitsISE_E10value_typeEPNSK_ISF_E10value_typeEPSG_NS1_7vsmem_tEENKUlT_SE_SF_SG_E_clIS8_S8_S9_S9_EESD_ST_SE_SF_SG_EUlST_E1_NS1_11comp_targetILNS1_3genE2ELNS1_11target_archE906ELNS1_3gpuE6ELNS1_3repE0EEENS1_36merge_oddeven_config_static_selectorELNS0_4arch9wavefront6targetE1EEEvSF_ ; -- Begin function _ZN7rocprim17ROCPRIM_400000_NS6detail17trampoline_kernelINS0_14default_configENS1_38merge_sort_block_merge_config_selectorIlNS0_10empty_typeEEEZZNS1_27merge_sort_block_merge_implIS3_PlPS5_jNS1_19radix_merge_compareILb0ELb0ElNS0_19identity_decomposerEEEEE10hipError_tT0_T1_T2_jT3_P12ihipStream_tbPNSt15iterator_traitsISE_E10value_typeEPNSK_ISF_E10value_typeEPSG_NS1_7vsmem_tEENKUlT_SE_SF_SG_E_clIS8_S8_S9_S9_EESD_ST_SE_SF_SG_EUlST_E1_NS1_11comp_targetILNS1_3genE2ELNS1_11target_archE906ELNS1_3gpuE6ELNS1_3repE0EEENS1_36merge_oddeven_config_static_selectorELNS0_4arch9wavefront6targetE1EEEvSF_
	.globl	_ZN7rocprim17ROCPRIM_400000_NS6detail17trampoline_kernelINS0_14default_configENS1_38merge_sort_block_merge_config_selectorIlNS0_10empty_typeEEEZZNS1_27merge_sort_block_merge_implIS3_PlPS5_jNS1_19radix_merge_compareILb0ELb0ElNS0_19identity_decomposerEEEEE10hipError_tT0_T1_T2_jT3_P12ihipStream_tbPNSt15iterator_traitsISE_E10value_typeEPNSK_ISF_E10value_typeEPSG_NS1_7vsmem_tEENKUlT_SE_SF_SG_E_clIS8_S8_S9_S9_EESD_ST_SE_SF_SG_EUlST_E1_NS1_11comp_targetILNS1_3genE2ELNS1_11target_archE906ELNS1_3gpuE6ELNS1_3repE0EEENS1_36merge_oddeven_config_static_selectorELNS0_4arch9wavefront6targetE1EEEvSF_
	.p2align	8
	.type	_ZN7rocprim17ROCPRIM_400000_NS6detail17trampoline_kernelINS0_14default_configENS1_38merge_sort_block_merge_config_selectorIlNS0_10empty_typeEEEZZNS1_27merge_sort_block_merge_implIS3_PlPS5_jNS1_19radix_merge_compareILb0ELb0ElNS0_19identity_decomposerEEEEE10hipError_tT0_T1_T2_jT3_P12ihipStream_tbPNSt15iterator_traitsISE_E10value_typeEPNSK_ISF_E10value_typeEPSG_NS1_7vsmem_tEENKUlT_SE_SF_SG_E_clIS8_S8_S9_S9_EESD_ST_SE_SF_SG_EUlST_E1_NS1_11comp_targetILNS1_3genE2ELNS1_11target_archE906ELNS1_3gpuE6ELNS1_3repE0EEENS1_36merge_oddeven_config_static_selectorELNS0_4arch9wavefront6targetE1EEEvSF_,@function
_ZN7rocprim17ROCPRIM_400000_NS6detail17trampoline_kernelINS0_14default_configENS1_38merge_sort_block_merge_config_selectorIlNS0_10empty_typeEEEZZNS1_27merge_sort_block_merge_implIS3_PlPS5_jNS1_19radix_merge_compareILb0ELb0ElNS0_19identity_decomposerEEEEE10hipError_tT0_T1_T2_jT3_P12ihipStream_tbPNSt15iterator_traitsISE_E10value_typeEPNSK_ISF_E10value_typeEPSG_NS1_7vsmem_tEENKUlT_SE_SF_SG_E_clIS8_S8_S9_S9_EESD_ST_SE_SF_SG_EUlST_E1_NS1_11comp_targetILNS1_3genE2ELNS1_11target_archE906ELNS1_3gpuE6ELNS1_3repE0EEENS1_36merge_oddeven_config_static_selectorELNS0_4arch9wavefront6targetE1EEEvSF_: ; @_ZN7rocprim17ROCPRIM_400000_NS6detail17trampoline_kernelINS0_14default_configENS1_38merge_sort_block_merge_config_selectorIlNS0_10empty_typeEEEZZNS1_27merge_sort_block_merge_implIS3_PlPS5_jNS1_19radix_merge_compareILb0ELb0ElNS0_19identity_decomposerEEEEE10hipError_tT0_T1_T2_jT3_P12ihipStream_tbPNSt15iterator_traitsISE_E10value_typeEPNSK_ISF_E10value_typeEPSG_NS1_7vsmem_tEENKUlT_SE_SF_SG_E_clIS8_S8_S9_S9_EESD_ST_SE_SF_SG_EUlST_E1_NS1_11comp_targetILNS1_3genE2ELNS1_11target_archE906ELNS1_3gpuE6ELNS1_3repE0EEENS1_36merge_oddeven_config_static_selectorELNS0_4arch9wavefront6targetE1EEEvSF_
; %bb.0:
	.section	.rodata,"a",@progbits
	.p2align	6, 0x0
	.amdhsa_kernel _ZN7rocprim17ROCPRIM_400000_NS6detail17trampoline_kernelINS0_14default_configENS1_38merge_sort_block_merge_config_selectorIlNS0_10empty_typeEEEZZNS1_27merge_sort_block_merge_implIS3_PlPS5_jNS1_19radix_merge_compareILb0ELb0ElNS0_19identity_decomposerEEEEE10hipError_tT0_T1_T2_jT3_P12ihipStream_tbPNSt15iterator_traitsISE_E10value_typeEPNSK_ISF_E10value_typeEPSG_NS1_7vsmem_tEENKUlT_SE_SF_SG_E_clIS8_S8_S9_S9_EESD_ST_SE_SF_SG_EUlST_E1_NS1_11comp_targetILNS1_3genE2ELNS1_11target_archE906ELNS1_3gpuE6ELNS1_3repE0EEENS1_36merge_oddeven_config_static_selectorELNS0_4arch9wavefront6targetE1EEEvSF_
		.amdhsa_group_segment_fixed_size 0
		.amdhsa_private_segment_fixed_size 0
		.amdhsa_kernarg_size 48
		.amdhsa_user_sgpr_count 6
		.amdhsa_user_sgpr_private_segment_buffer 1
		.amdhsa_user_sgpr_dispatch_ptr 0
		.amdhsa_user_sgpr_queue_ptr 0
		.amdhsa_user_sgpr_kernarg_segment_ptr 1
		.amdhsa_user_sgpr_dispatch_id 0
		.amdhsa_user_sgpr_flat_scratch_init 0
		.amdhsa_user_sgpr_kernarg_preload_length 0
		.amdhsa_user_sgpr_kernarg_preload_offset 0
		.amdhsa_user_sgpr_private_segment_size 0
		.amdhsa_uses_dynamic_stack 0
		.amdhsa_system_sgpr_private_segment_wavefront_offset 0
		.amdhsa_system_sgpr_workgroup_id_x 1
		.amdhsa_system_sgpr_workgroup_id_y 0
		.amdhsa_system_sgpr_workgroup_id_z 0
		.amdhsa_system_sgpr_workgroup_info 0
		.amdhsa_system_vgpr_workitem_id 0
		.amdhsa_next_free_vgpr 1
		.amdhsa_next_free_sgpr 0
		.amdhsa_accum_offset 4
		.amdhsa_reserve_vcc 0
		.amdhsa_reserve_flat_scratch 0
		.amdhsa_float_round_mode_32 0
		.amdhsa_float_round_mode_16_64 0
		.amdhsa_float_denorm_mode_32 3
		.amdhsa_float_denorm_mode_16_64 3
		.amdhsa_dx10_clamp 1
		.amdhsa_ieee_mode 1
		.amdhsa_fp16_overflow 0
		.amdhsa_tg_split 0
		.amdhsa_exception_fp_ieee_invalid_op 0
		.amdhsa_exception_fp_denorm_src 0
		.amdhsa_exception_fp_ieee_div_zero 0
		.amdhsa_exception_fp_ieee_overflow 0
		.amdhsa_exception_fp_ieee_underflow 0
		.amdhsa_exception_fp_ieee_inexact 0
		.amdhsa_exception_int_div_zero 0
	.end_amdhsa_kernel
	.section	.text._ZN7rocprim17ROCPRIM_400000_NS6detail17trampoline_kernelINS0_14default_configENS1_38merge_sort_block_merge_config_selectorIlNS0_10empty_typeEEEZZNS1_27merge_sort_block_merge_implIS3_PlPS5_jNS1_19radix_merge_compareILb0ELb0ElNS0_19identity_decomposerEEEEE10hipError_tT0_T1_T2_jT3_P12ihipStream_tbPNSt15iterator_traitsISE_E10value_typeEPNSK_ISF_E10value_typeEPSG_NS1_7vsmem_tEENKUlT_SE_SF_SG_E_clIS8_S8_S9_S9_EESD_ST_SE_SF_SG_EUlST_E1_NS1_11comp_targetILNS1_3genE2ELNS1_11target_archE906ELNS1_3gpuE6ELNS1_3repE0EEENS1_36merge_oddeven_config_static_selectorELNS0_4arch9wavefront6targetE1EEEvSF_,"axG",@progbits,_ZN7rocprim17ROCPRIM_400000_NS6detail17trampoline_kernelINS0_14default_configENS1_38merge_sort_block_merge_config_selectorIlNS0_10empty_typeEEEZZNS1_27merge_sort_block_merge_implIS3_PlPS5_jNS1_19radix_merge_compareILb0ELb0ElNS0_19identity_decomposerEEEEE10hipError_tT0_T1_T2_jT3_P12ihipStream_tbPNSt15iterator_traitsISE_E10value_typeEPNSK_ISF_E10value_typeEPSG_NS1_7vsmem_tEENKUlT_SE_SF_SG_E_clIS8_S8_S9_S9_EESD_ST_SE_SF_SG_EUlST_E1_NS1_11comp_targetILNS1_3genE2ELNS1_11target_archE906ELNS1_3gpuE6ELNS1_3repE0EEENS1_36merge_oddeven_config_static_selectorELNS0_4arch9wavefront6targetE1EEEvSF_,comdat
.Lfunc_end817:
	.size	_ZN7rocprim17ROCPRIM_400000_NS6detail17trampoline_kernelINS0_14default_configENS1_38merge_sort_block_merge_config_selectorIlNS0_10empty_typeEEEZZNS1_27merge_sort_block_merge_implIS3_PlPS5_jNS1_19radix_merge_compareILb0ELb0ElNS0_19identity_decomposerEEEEE10hipError_tT0_T1_T2_jT3_P12ihipStream_tbPNSt15iterator_traitsISE_E10value_typeEPNSK_ISF_E10value_typeEPSG_NS1_7vsmem_tEENKUlT_SE_SF_SG_E_clIS8_S8_S9_S9_EESD_ST_SE_SF_SG_EUlST_E1_NS1_11comp_targetILNS1_3genE2ELNS1_11target_archE906ELNS1_3gpuE6ELNS1_3repE0EEENS1_36merge_oddeven_config_static_selectorELNS0_4arch9wavefront6targetE1EEEvSF_, .Lfunc_end817-_ZN7rocprim17ROCPRIM_400000_NS6detail17trampoline_kernelINS0_14default_configENS1_38merge_sort_block_merge_config_selectorIlNS0_10empty_typeEEEZZNS1_27merge_sort_block_merge_implIS3_PlPS5_jNS1_19radix_merge_compareILb0ELb0ElNS0_19identity_decomposerEEEEE10hipError_tT0_T1_T2_jT3_P12ihipStream_tbPNSt15iterator_traitsISE_E10value_typeEPNSK_ISF_E10value_typeEPSG_NS1_7vsmem_tEENKUlT_SE_SF_SG_E_clIS8_S8_S9_S9_EESD_ST_SE_SF_SG_EUlST_E1_NS1_11comp_targetILNS1_3genE2ELNS1_11target_archE906ELNS1_3gpuE6ELNS1_3repE0EEENS1_36merge_oddeven_config_static_selectorELNS0_4arch9wavefront6targetE1EEEvSF_
                                        ; -- End function
	.section	.AMDGPU.csdata,"",@progbits
; Kernel info:
; codeLenInByte = 0
; NumSgprs: 4
; NumVgprs: 0
; NumAgprs: 0
; TotalNumVgprs: 0
; ScratchSize: 0
; MemoryBound: 0
; FloatMode: 240
; IeeeMode: 1
; LDSByteSize: 0 bytes/workgroup (compile time only)
; SGPRBlocks: 0
; VGPRBlocks: 0
; NumSGPRsForWavesPerEU: 4
; NumVGPRsForWavesPerEU: 1
; AccumOffset: 4
; Occupancy: 8
; WaveLimiterHint : 0
; COMPUTE_PGM_RSRC2:SCRATCH_EN: 0
; COMPUTE_PGM_RSRC2:USER_SGPR: 6
; COMPUTE_PGM_RSRC2:TRAP_HANDLER: 0
; COMPUTE_PGM_RSRC2:TGID_X_EN: 1
; COMPUTE_PGM_RSRC2:TGID_Y_EN: 0
; COMPUTE_PGM_RSRC2:TGID_Z_EN: 0
; COMPUTE_PGM_RSRC2:TIDIG_COMP_CNT: 0
; COMPUTE_PGM_RSRC3_GFX90A:ACCUM_OFFSET: 0
; COMPUTE_PGM_RSRC3_GFX90A:TG_SPLIT: 0
	.section	.text._ZN7rocprim17ROCPRIM_400000_NS6detail17trampoline_kernelINS0_14default_configENS1_38merge_sort_block_merge_config_selectorIlNS0_10empty_typeEEEZZNS1_27merge_sort_block_merge_implIS3_PlPS5_jNS1_19radix_merge_compareILb0ELb0ElNS0_19identity_decomposerEEEEE10hipError_tT0_T1_T2_jT3_P12ihipStream_tbPNSt15iterator_traitsISE_E10value_typeEPNSK_ISF_E10value_typeEPSG_NS1_7vsmem_tEENKUlT_SE_SF_SG_E_clIS8_S8_S9_S9_EESD_ST_SE_SF_SG_EUlST_E1_NS1_11comp_targetILNS1_3genE9ELNS1_11target_archE1100ELNS1_3gpuE3ELNS1_3repE0EEENS1_36merge_oddeven_config_static_selectorELNS0_4arch9wavefront6targetE1EEEvSF_,"axG",@progbits,_ZN7rocprim17ROCPRIM_400000_NS6detail17trampoline_kernelINS0_14default_configENS1_38merge_sort_block_merge_config_selectorIlNS0_10empty_typeEEEZZNS1_27merge_sort_block_merge_implIS3_PlPS5_jNS1_19radix_merge_compareILb0ELb0ElNS0_19identity_decomposerEEEEE10hipError_tT0_T1_T2_jT3_P12ihipStream_tbPNSt15iterator_traitsISE_E10value_typeEPNSK_ISF_E10value_typeEPSG_NS1_7vsmem_tEENKUlT_SE_SF_SG_E_clIS8_S8_S9_S9_EESD_ST_SE_SF_SG_EUlST_E1_NS1_11comp_targetILNS1_3genE9ELNS1_11target_archE1100ELNS1_3gpuE3ELNS1_3repE0EEENS1_36merge_oddeven_config_static_selectorELNS0_4arch9wavefront6targetE1EEEvSF_,comdat
	.protected	_ZN7rocprim17ROCPRIM_400000_NS6detail17trampoline_kernelINS0_14default_configENS1_38merge_sort_block_merge_config_selectorIlNS0_10empty_typeEEEZZNS1_27merge_sort_block_merge_implIS3_PlPS5_jNS1_19radix_merge_compareILb0ELb0ElNS0_19identity_decomposerEEEEE10hipError_tT0_T1_T2_jT3_P12ihipStream_tbPNSt15iterator_traitsISE_E10value_typeEPNSK_ISF_E10value_typeEPSG_NS1_7vsmem_tEENKUlT_SE_SF_SG_E_clIS8_S8_S9_S9_EESD_ST_SE_SF_SG_EUlST_E1_NS1_11comp_targetILNS1_3genE9ELNS1_11target_archE1100ELNS1_3gpuE3ELNS1_3repE0EEENS1_36merge_oddeven_config_static_selectorELNS0_4arch9wavefront6targetE1EEEvSF_ ; -- Begin function _ZN7rocprim17ROCPRIM_400000_NS6detail17trampoline_kernelINS0_14default_configENS1_38merge_sort_block_merge_config_selectorIlNS0_10empty_typeEEEZZNS1_27merge_sort_block_merge_implIS3_PlPS5_jNS1_19radix_merge_compareILb0ELb0ElNS0_19identity_decomposerEEEEE10hipError_tT0_T1_T2_jT3_P12ihipStream_tbPNSt15iterator_traitsISE_E10value_typeEPNSK_ISF_E10value_typeEPSG_NS1_7vsmem_tEENKUlT_SE_SF_SG_E_clIS8_S8_S9_S9_EESD_ST_SE_SF_SG_EUlST_E1_NS1_11comp_targetILNS1_3genE9ELNS1_11target_archE1100ELNS1_3gpuE3ELNS1_3repE0EEENS1_36merge_oddeven_config_static_selectorELNS0_4arch9wavefront6targetE1EEEvSF_
	.globl	_ZN7rocprim17ROCPRIM_400000_NS6detail17trampoline_kernelINS0_14default_configENS1_38merge_sort_block_merge_config_selectorIlNS0_10empty_typeEEEZZNS1_27merge_sort_block_merge_implIS3_PlPS5_jNS1_19radix_merge_compareILb0ELb0ElNS0_19identity_decomposerEEEEE10hipError_tT0_T1_T2_jT3_P12ihipStream_tbPNSt15iterator_traitsISE_E10value_typeEPNSK_ISF_E10value_typeEPSG_NS1_7vsmem_tEENKUlT_SE_SF_SG_E_clIS8_S8_S9_S9_EESD_ST_SE_SF_SG_EUlST_E1_NS1_11comp_targetILNS1_3genE9ELNS1_11target_archE1100ELNS1_3gpuE3ELNS1_3repE0EEENS1_36merge_oddeven_config_static_selectorELNS0_4arch9wavefront6targetE1EEEvSF_
	.p2align	8
	.type	_ZN7rocprim17ROCPRIM_400000_NS6detail17trampoline_kernelINS0_14default_configENS1_38merge_sort_block_merge_config_selectorIlNS0_10empty_typeEEEZZNS1_27merge_sort_block_merge_implIS3_PlPS5_jNS1_19radix_merge_compareILb0ELb0ElNS0_19identity_decomposerEEEEE10hipError_tT0_T1_T2_jT3_P12ihipStream_tbPNSt15iterator_traitsISE_E10value_typeEPNSK_ISF_E10value_typeEPSG_NS1_7vsmem_tEENKUlT_SE_SF_SG_E_clIS8_S8_S9_S9_EESD_ST_SE_SF_SG_EUlST_E1_NS1_11comp_targetILNS1_3genE9ELNS1_11target_archE1100ELNS1_3gpuE3ELNS1_3repE0EEENS1_36merge_oddeven_config_static_selectorELNS0_4arch9wavefront6targetE1EEEvSF_,@function
_ZN7rocprim17ROCPRIM_400000_NS6detail17trampoline_kernelINS0_14default_configENS1_38merge_sort_block_merge_config_selectorIlNS0_10empty_typeEEEZZNS1_27merge_sort_block_merge_implIS3_PlPS5_jNS1_19radix_merge_compareILb0ELb0ElNS0_19identity_decomposerEEEEE10hipError_tT0_T1_T2_jT3_P12ihipStream_tbPNSt15iterator_traitsISE_E10value_typeEPNSK_ISF_E10value_typeEPSG_NS1_7vsmem_tEENKUlT_SE_SF_SG_E_clIS8_S8_S9_S9_EESD_ST_SE_SF_SG_EUlST_E1_NS1_11comp_targetILNS1_3genE9ELNS1_11target_archE1100ELNS1_3gpuE3ELNS1_3repE0EEENS1_36merge_oddeven_config_static_selectorELNS0_4arch9wavefront6targetE1EEEvSF_: ; @_ZN7rocprim17ROCPRIM_400000_NS6detail17trampoline_kernelINS0_14default_configENS1_38merge_sort_block_merge_config_selectorIlNS0_10empty_typeEEEZZNS1_27merge_sort_block_merge_implIS3_PlPS5_jNS1_19radix_merge_compareILb0ELb0ElNS0_19identity_decomposerEEEEE10hipError_tT0_T1_T2_jT3_P12ihipStream_tbPNSt15iterator_traitsISE_E10value_typeEPNSK_ISF_E10value_typeEPSG_NS1_7vsmem_tEENKUlT_SE_SF_SG_E_clIS8_S8_S9_S9_EESD_ST_SE_SF_SG_EUlST_E1_NS1_11comp_targetILNS1_3genE9ELNS1_11target_archE1100ELNS1_3gpuE3ELNS1_3repE0EEENS1_36merge_oddeven_config_static_selectorELNS0_4arch9wavefront6targetE1EEEvSF_
; %bb.0:
	.section	.rodata,"a",@progbits
	.p2align	6, 0x0
	.amdhsa_kernel _ZN7rocprim17ROCPRIM_400000_NS6detail17trampoline_kernelINS0_14default_configENS1_38merge_sort_block_merge_config_selectorIlNS0_10empty_typeEEEZZNS1_27merge_sort_block_merge_implIS3_PlPS5_jNS1_19radix_merge_compareILb0ELb0ElNS0_19identity_decomposerEEEEE10hipError_tT0_T1_T2_jT3_P12ihipStream_tbPNSt15iterator_traitsISE_E10value_typeEPNSK_ISF_E10value_typeEPSG_NS1_7vsmem_tEENKUlT_SE_SF_SG_E_clIS8_S8_S9_S9_EESD_ST_SE_SF_SG_EUlST_E1_NS1_11comp_targetILNS1_3genE9ELNS1_11target_archE1100ELNS1_3gpuE3ELNS1_3repE0EEENS1_36merge_oddeven_config_static_selectorELNS0_4arch9wavefront6targetE1EEEvSF_
		.amdhsa_group_segment_fixed_size 0
		.amdhsa_private_segment_fixed_size 0
		.amdhsa_kernarg_size 48
		.amdhsa_user_sgpr_count 6
		.amdhsa_user_sgpr_private_segment_buffer 1
		.amdhsa_user_sgpr_dispatch_ptr 0
		.amdhsa_user_sgpr_queue_ptr 0
		.amdhsa_user_sgpr_kernarg_segment_ptr 1
		.amdhsa_user_sgpr_dispatch_id 0
		.amdhsa_user_sgpr_flat_scratch_init 0
		.amdhsa_user_sgpr_kernarg_preload_length 0
		.amdhsa_user_sgpr_kernarg_preload_offset 0
		.amdhsa_user_sgpr_private_segment_size 0
		.amdhsa_uses_dynamic_stack 0
		.amdhsa_system_sgpr_private_segment_wavefront_offset 0
		.amdhsa_system_sgpr_workgroup_id_x 1
		.amdhsa_system_sgpr_workgroup_id_y 0
		.amdhsa_system_sgpr_workgroup_id_z 0
		.amdhsa_system_sgpr_workgroup_info 0
		.amdhsa_system_vgpr_workitem_id 0
		.amdhsa_next_free_vgpr 1
		.amdhsa_next_free_sgpr 0
		.amdhsa_accum_offset 4
		.amdhsa_reserve_vcc 0
		.amdhsa_reserve_flat_scratch 0
		.amdhsa_float_round_mode_32 0
		.amdhsa_float_round_mode_16_64 0
		.amdhsa_float_denorm_mode_32 3
		.amdhsa_float_denorm_mode_16_64 3
		.amdhsa_dx10_clamp 1
		.amdhsa_ieee_mode 1
		.amdhsa_fp16_overflow 0
		.amdhsa_tg_split 0
		.amdhsa_exception_fp_ieee_invalid_op 0
		.amdhsa_exception_fp_denorm_src 0
		.amdhsa_exception_fp_ieee_div_zero 0
		.amdhsa_exception_fp_ieee_overflow 0
		.amdhsa_exception_fp_ieee_underflow 0
		.amdhsa_exception_fp_ieee_inexact 0
		.amdhsa_exception_int_div_zero 0
	.end_amdhsa_kernel
	.section	.text._ZN7rocprim17ROCPRIM_400000_NS6detail17trampoline_kernelINS0_14default_configENS1_38merge_sort_block_merge_config_selectorIlNS0_10empty_typeEEEZZNS1_27merge_sort_block_merge_implIS3_PlPS5_jNS1_19radix_merge_compareILb0ELb0ElNS0_19identity_decomposerEEEEE10hipError_tT0_T1_T2_jT3_P12ihipStream_tbPNSt15iterator_traitsISE_E10value_typeEPNSK_ISF_E10value_typeEPSG_NS1_7vsmem_tEENKUlT_SE_SF_SG_E_clIS8_S8_S9_S9_EESD_ST_SE_SF_SG_EUlST_E1_NS1_11comp_targetILNS1_3genE9ELNS1_11target_archE1100ELNS1_3gpuE3ELNS1_3repE0EEENS1_36merge_oddeven_config_static_selectorELNS0_4arch9wavefront6targetE1EEEvSF_,"axG",@progbits,_ZN7rocprim17ROCPRIM_400000_NS6detail17trampoline_kernelINS0_14default_configENS1_38merge_sort_block_merge_config_selectorIlNS0_10empty_typeEEEZZNS1_27merge_sort_block_merge_implIS3_PlPS5_jNS1_19radix_merge_compareILb0ELb0ElNS0_19identity_decomposerEEEEE10hipError_tT0_T1_T2_jT3_P12ihipStream_tbPNSt15iterator_traitsISE_E10value_typeEPNSK_ISF_E10value_typeEPSG_NS1_7vsmem_tEENKUlT_SE_SF_SG_E_clIS8_S8_S9_S9_EESD_ST_SE_SF_SG_EUlST_E1_NS1_11comp_targetILNS1_3genE9ELNS1_11target_archE1100ELNS1_3gpuE3ELNS1_3repE0EEENS1_36merge_oddeven_config_static_selectorELNS0_4arch9wavefront6targetE1EEEvSF_,comdat
.Lfunc_end818:
	.size	_ZN7rocprim17ROCPRIM_400000_NS6detail17trampoline_kernelINS0_14default_configENS1_38merge_sort_block_merge_config_selectorIlNS0_10empty_typeEEEZZNS1_27merge_sort_block_merge_implIS3_PlPS5_jNS1_19radix_merge_compareILb0ELb0ElNS0_19identity_decomposerEEEEE10hipError_tT0_T1_T2_jT3_P12ihipStream_tbPNSt15iterator_traitsISE_E10value_typeEPNSK_ISF_E10value_typeEPSG_NS1_7vsmem_tEENKUlT_SE_SF_SG_E_clIS8_S8_S9_S9_EESD_ST_SE_SF_SG_EUlST_E1_NS1_11comp_targetILNS1_3genE9ELNS1_11target_archE1100ELNS1_3gpuE3ELNS1_3repE0EEENS1_36merge_oddeven_config_static_selectorELNS0_4arch9wavefront6targetE1EEEvSF_, .Lfunc_end818-_ZN7rocprim17ROCPRIM_400000_NS6detail17trampoline_kernelINS0_14default_configENS1_38merge_sort_block_merge_config_selectorIlNS0_10empty_typeEEEZZNS1_27merge_sort_block_merge_implIS3_PlPS5_jNS1_19radix_merge_compareILb0ELb0ElNS0_19identity_decomposerEEEEE10hipError_tT0_T1_T2_jT3_P12ihipStream_tbPNSt15iterator_traitsISE_E10value_typeEPNSK_ISF_E10value_typeEPSG_NS1_7vsmem_tEENKUlT_SE_SF_SG_E_clIS8_S8_S9_S9_EESD_ST_SE_SF_SG_EUlST_E1_NS1_11comp_targetILNS1_3genE9ELNS1_11target_archE1100ELNS1_3gpuE3ELNS1_3repE0EEENS1_36merge_oddeven_config_static_selectorELNS0_4arch9wavefront6targetE1EEEvSF_
                                        ; -- End function
	.section	.AMDGPU.csdata,"",@progbits
; Kernel info:
; codeLenInByte = 0
; NumSgprs: 4
; NumVgprs: 0
; NumAgprs: 0
; TotalNumVgprs: 0
; ScratchSize: 0
; MemoryBound: 0
; FloatMode: 240
; IeeeMode: 1
; LDSByteSize: 0 bytes/workgroup (compile time only)
; SGPRBlocks: 0
; VGPRBlocks: 0
; NumSGPRsForWavesPerEU: 4
; NumVGPRsForWavesPerEU: 1
; AccumOffset: 4
; Occupancy: 8
; WaveLimiterHint : 0
; COMPUTE_PGM_RSRC2:SCRATCH_EN: 0
; COMPUTE_PGM_RSRC2:USER_SGPR: 6
; COMPUTE_PGM_RSRC2:TRAP_HANDLER: 0
; COMPUTE_PGM_RSRC2:TGID_X_EN: 1
; COMPUTE_PGM_RSRC2:TGID_Y_EN: 0
; COMPUTE_PGM_RSRC2:TGID_Z_EN: 0
; COMPUTE_PGM_RSRC2:TIDIG_COMP_CNT: 0
; COMPUTE_PGM_RSRC3_GFX90A:ACCUM_OFFSET: 0
; COMPUTE_PGM_RSRC3_GFX90A:TG_SPLIT: 0
	.section	.text._ZN7rocprim17ROCPRIM_400000_NS6detail17trampoline_kernelINS0_14default_configENS1_38merge_sort_block_merge_config_selectorIlNS0_10empty_typeEEEZZNS1_27merge_sort_block_merge_implIS3_PlPS5_jNS1_19radix_merge_compareILb0ELb0ElNS0_19identity_decomposerEEEEE10hipError_tT0_T1_T2_jT3_P12ihipStream_tbPNSt15iterator_traitsISE_E10value_typeEPNSK_ISF_E10value_typeEPSG_NS1_7vsmem_tEENKUlT_SE_SF_SG_E_clIS8_S8_S9_S9_EESD_ST_SE_SF_SG_EUlST_E1_NS1_11comp_targetILNS1_3genE8ELNS1_11target_archE1030ELNS1_3gpuE2ELNS1_3repE0EEENS1_36merge_oddeven_config_static_selectorELNS0_4arch9wavefront6targetE1EEEvSF_,"axG",@progbits,_ZN7rocprim17ROCPRIM_400000_NS6detail17trampoline_kernelINS0_14default_configENS1_38merge_sort_block_merge_config_selectorIlNS0_10empty_typeEEEZZNS1_27merge_sort_block_merge_implIS3_PlPS5_jNS1_19radix_merge_compareILb0ELb0ElNS0_19identity_decomposerEEEEE10hipError_tT0_T1_T2_jT3_P12ihipStream_tbPNSt15iterator_traitsISE_E10value_typeEPNSK_ISF_E10value_typeEPSG_NS1_7vsmem_tEENKUlT_SE_SF_SG_E_clIS8_S8_S9_S9_EESD_ST_SE_SF_SG_EUlST_E1_NS1_11comp_targetILNS1_3genE8ELNS1_11target_archE1030ELNS1_3gpuE2ELNS1_3repE0EEENS1_36merge_oddeven_config_static_selectorELNS0_4arch9wavefront6targetE1EEEvSF_,comdat
	.protected	_ZN7rocprim17ROCPRIM_400000_NS6detail17trampoline_kernelINS0_14default_configENS1_38merge_sort_block_merge_config_selectorIlNS0_10empty_typeEEEZZNS1_27merge_sort_block_merge_implIS3_PlPS5_jNS1_19radix_merge_compareILb0ELb0ElNS0_19identity_decomposerEEEEE10hipError_tT0_T1_T2_jT3_P12ihipStream_tbPNSt15iterator_traitsISE_E10value_typeEPNSK_ISF_E10value_typeEPSG_NS1_7vsmem_tEENKUlT_SE_SF_SG_E_clIS8_S8_S9_S9_EESD_ST_SE_SF_SG_EUlST_E1_NS1_11comp_targetILNS1_3genE8ELNS1_11target_archE1030ELNS1_3gpuE2ELNS1_3repE0EEENS1_36merge_oddeven_config_static_selectorELNS0_4arch9wavefront6targetE1EEEvSF_ ; -- Begin function _ZN7rocprim17ROCPRIM_400000_NS6detail17trampoline_kernelINS0_14default_configENS1_38merge_sort_block_merge_config_selectorIlNS0_10empty_typeEEEZZNS1_27merge_sort_block_merge_implIS3_PlPS5_jNS1_19radix_merge_compareILb0ELb0ElNS0_19identity_decomposerEEEEE10hipError_tT0_T1_T2_jT3_P12ihipStream_tbPNSt15iterator_traitsISE_E10value_typeEPNSK_ISF_E10value_typeEPSG_NS1_7vsmem_tEENKUlT_SE_SF_SG_E_clIS8_S8_S9_S9_EESD_ST_SE_SF_SG_EUlST_E1_NS1_11comp_targetILNS1_3genE8ELNS1_11target_archE1030ELNS1_3gpuE2ELNS1_3repE0EEENS1_36merge_oddeven_config_static_selectorELNS0_4arch9wavefront6targetE1EEEvSF_
	.globl	_ZN7rocprim17ROCPRIM_400000_NS6detail17trampoline_kernelINS0_14default_configENS1_38merge_sort_block_merge_config_selectorIlNS0_10empty_typeEEEZZNS1_27merge_sort_block_merge_implIS3_PlPS5_jNS1_19radix_merge_compareILb0ELb0ElNS0_19identity_decomposerEEEEE10hipError_tT0_T1_T2_jT3_P12ihipStream_tbPNSt15iterator_traitsISE_E10value_typeEPNSK_ISF_E10value_typeEPSG_NS1_7vsmem_tEENKUlT_SE_SF_SG_E_clIS8_S8_S9_S9_EESD_ST_SE_SF_SG_EUlST_E1_NS1_11comp_targetILNS1_3genE8ELNS1_11target_archE1030ELNS1_3gpuE2ELNS1_3repE0EEENS1_36merge_oddeven_config_static_selectorELNS0_4arch9wavefront6targetE1EEEvSF_
	.p2align	8
	.type	_ZN7rocprim17ROCPRIM_400000_NS6detail17trampoline_kernelINS0_14default_configENS1_38merge_sort_block_merge_config_selectorIlNS0_10empty_typeEEEZZNS1_27merge_sort_block_merge_implIS3_PlPS5_jNS1_19radix_merge_compareILb0ELb0ElNS0_19identity_decomposerEEEEE10hipError_tT0_T1_T2_jT3_P12ihipStream_tbPNSt15iterator_traitsISE_E10value_typeEPNSK_ISF_E10value_typeEPSG_NS1_7vsmem_tEENKUlT_SE_SF_SG_E_clIS8_S8_S9_S9_EESD_ST_SE_SF_SG_EUlST_E1_NS1_11comp_targetILNS1_3genE8ELNS1_11target_archE1030ELNS1_3gpuE2ELNS1_3repE0EEENS1_36merge_oddeven_config_static_selectorELNS0_4arch9wavefront6targetE1EEEvSF_,@function
_ZN7rocprim17ROCPRIM_400000_NS6detail17trampoline_kernelINS0_14default_configENS1_38merge_sort_block_merge_config_selectorIlNS0_10empty_typeEEEZZNS1_27merge_sort_block_merge_implIS3_PlPS5_jNS1_19radix_merge_compareILb0ELb0ElNS0_19identity_decomposerEEEEE10hipError_tT0_T1_T2_jT3_P12ihipStream_tbPNSt15iterator_traitsISE_E10value_typeEPNSK_ISF_E10value_typeEPSG_NS1_7vsmem_tEENKUlT_SE_SF_SG_E_clIS8_S8_S9_S9_EESD_ST_SE_SF_SG_EUlST_E1_NS1_11comp_targetILNS1_3genE8ELNS1_11target_archE1030ELNS1_3gpuE2ELNS1_3repE0EEENS1_36merge_oddeven_config_static_selectorELNS0_4arch9wavefront6targetE1EEEvSF_: ; @_ZN7rocprim17ROCPRIM_400000_NS6detail17trampoline_kernelINS0_14default_configENS1_38merge_sort_block_merge_config_selectorIlNS0_10empty_typeEEEZZNS1_27merge_sort_block_merge_implIS3_PlPS5_jNS1_19radix_merge_compareILb0ELb0ElNS0_19identity_decomposerEEEEE10hipError_tT0_T1_T2_jT3_P12ihipStream_tbPNSt15iterator_traitsISE_E10value_typeEPNSK_ISF_E10value_typeEPSG_NS1_7vsmem_tEENKUlT_SE_SF_SG_E_clIS8_S8_S9_S9_EESD_ST_SE_SF_SG_EUlST_E1_NS1_11comp_targetILNS1_3genE8ELNS1_11target_archE1030ELNS1_3gpuE2ELNS1_3repE0EEENS1_36merge_oddeven_config_static_selectorELNS0_4arch9wavefront6targetE1EEEvSF_
; %bb.0:
	.section	.rodata,"a",@progbits
	.p2align	6, 0x0
	.amdhsa_kernel _ZN7rocprim17ROCPRIM_400000_NS6detail17trampoline_kernelINS0_14default_configENS1_38merge_sort_block_merge_config_selectorIlNS0_10empty_typeEEEZZNS1_27merge_sort_block_merge_implIS3_PlPS5_jNS1_19radix_merge_compareILb0ELb0ElNS0_19identity_decomposerEEEEE10hipError_tT0_T1_T2_jT3_P12ihipStream_tbPNSt15iterator_traitsISE_E10value_typeEPNSK_ISF_E10value_typeEPSG_NS1_7vsmem_tEENKUlT_SE_SF_SG_E_clIS8_S8_S9_S9_EESD_ST_SE_SF_SG_EUlST_E1_NS1_11comp_targetILNS1_3genE8ELNS1_11target_archE1030ELNS1_3gpuE2ELNS1_3repE0EEENS1_36merge_oddeven_config_static_selectorELNS0_4arch9wavefront6targetE1EEEvSF_
		.amdhsa_group_segment_fixed_size 0
		.amdhsa_private_segment_fixed_size 0
		.amdhsa_kernarg_size 48
		.amdhsa_user_sgpr_count 6
		.amdhsa_user_sgpr_private_segment_buffer 1
		.amdhsa_user_sgpr_dispatch_ptr 0
		.amdhsa_user_sgpr_queue_ptr 0
		.amdhsa_user_sgpr_kernarg_segment_ptr 1
		.amdhsa_user_sgpr_dispatch_id 0
		.amdhsa_user_sgpr_flat_scratch_init 0
		.amdhsa_user_sgpr_kernarg_preload_length 0
		.amdhsa_user_sgpr_kernarg_preload_offset 0
		.amdhsa_user_sgpr_private_segment_size 0
		.amdhsa_uses_dynamic_stack 0
		.amdhsa_system_sgpr_private_segment_wavefront_offset 0
		.amdhsa_system_sgpr_workgroup_id_x 1
		.amdhsa_system_sgpr_workgroup_id_y 0
		.amdhsa_system_sgpr_workgroup_id_z 0
		.amdhsa_system_sgpr_workgroup_info 0
		.amdhsa_system_vgpr_workitem_id 0
		.amdhsa_next_free_vgpr 1
		.amdhsa_next_free_sgpr 0
		.amdhsa_accum_offset 4
		.amdhsa_reserve_vcc 0
		.amdhsa_reserve_flat_scratch 0
		.amdhsa_float_round_mode_32 0
		.amdhsa_float_round_mode_16_64 0
		.amdhsa_float_denorm_mode_32 3
		.amdhsa_float_denorm_mode_16_64 3
		.amdhsa_dx10_clamp 1
		.amdhsa_ieee_mode 1
		.amdhsa_fp16_overflow 0
		.amdhsa_tg_split 0
		.amdhsa_exception_fp_ieee_invalid_op 0
		.amdhsa_exception_fp_denorm_src 0
		.amdhsa_exception_fp_ieee_div_zero 0
		.amdhsa_exception_fp_ieee_overflow 0
		.amdhsa_exception_fp_ieee_underflow 0
		.amdhsa_exception_fp_ieee_inexact 0
		.amdhsa_exception_int_div_zero 0
	.end_amdhsa_kernel
	.section	.text._ZN7rocprim17ROCPRIM_400000_NS6detail17trampoline_kernelINS0_14default_configENS1_38merge_sort_block_merge_config_selectorIlNS0_10empty_typeEEEZZNS1_27merge_sort_block_merge_implIS3_PlPS5_jNS1_19radix_merge_compareILb0ELb0ElNS0_19identity_decomposerEEEEE10hipError_tT0_T1_T2_jT3_P12ihipStream_tbPNSt15iterator_traitsISE_E10value_typeEPNSK_ISF_E10value_typeEPSG_NS1_7vsmem_tEENKUlT_SE_SF_SG_E_clIS8_S8_S9_S9_EESD_ST_SE_SF_SG_EUlST_E1_NS1_11comp_targetILNS1_3genE8ELNS1_11target_archE1030ELNS1_3gpuE2ELNS1_3repE0EEENS1_36merge_oddeven_config_static_selectorELNS0_4arch9wavefront6targetE1EEEvSF_,"axG",@progbits,_ZN7rocprim17ROCPRIM_400000_NS6detail17trampoline_kernelINS0_14default_configENS1_38merge_sort_block_merge_config_selectorIlNS0_10empty_typeEEEZZNS1_27merge_sort_block_merge_implIS3_PlPS5_jNS1_19radix_merge_compareILb0ELb0ElNS0_19identity_decomposerEEEEE10hipError_tT0_T1_T2_jT3_P12ihipStream_tbPNSt15iterator_traitsISE_E10value_typeEPNSK_ISF_E10value_typeEPSG_NS1_7vsmem_tEENKUlT_SE_SF_SG_E_clIS8_S8_S9_S9_EESD_ST_SE_SF_SG_EUlST_E1_NS1_11comp_targetILNS1_3genE8ELNS1_11target_archE1030ELNS1_3gpuE2ELNS1_3repE0EEENS1_36merge_oddeven_config_static_selectorELNS0_4arch9wavefront6targetE1EEEvSF_,comdat
.Lfunc_end819:
	.size	_ZN7rocprim17ROCPRIM_400000_NS6detail17trampoline_kernelINS0_14default_configENS1_38merge_sort_block_merge_config_selectorIlNS0_10empty_typeEEEZZNS1_27merge_sort_block_merge_implIS3_PlPS5_jNS1_19radix_merge_compareILb0ELb0ElNS0_19identity_decomposerEEEEE10hipError_tT0_T1_T2_jT3_P12ihipStream_tbPNSt15iterator_traitsISE_E10value_typeEPNSK_ISF_E10value_typeEPSG_NS1_7vsmem_tEENKUlT_SE_SF_SG_E_clIS8_S8_S9_S9_EESD_ST_SE_SF_SG_EUlST_E1_NS1_11comp_targetILNS1_3genE8ELNS1_11target_archE1030ELNS1_3gpuE2ELNS1_3repE0EEENS1_36merge_oddeven_config_static_selectorELNS0_4arch9wavefront6targetE1EEEvSF_, .Lfunc_end819-_ZN7rocprim17ROCPRIM_400000_NS6detail17trampoline_kernelINS0_14default_configENS1_38merge_sort_block_merge_config_selectorIlNS0_10empty_typeEEEZZNS1_27merge_sort_block_merge_implIS3_PlPS5_jNS1_19radix_merge_compareILb0ELb0ElNS0_19identity_decomposerEEEEE10hipError_tT0_T1_T2_jT3_P12ihipStream_tbPNSt15iterator_traitsISE_E10value_typeEPNSK_ISF_E10value_typeEPSG_NS1_7vsmem_tEENKUlT_SE_SF_SG_E_clIS8_S8_S9_S9_EESD_ST_SE_SF_SG_EUlST_E1_NS1_11comp_targetILNS1_3genE8ELNS1_11target_archE1030ELNS1_3gpuE2ELNS1_3repE0EEENS1_36merge_oddeven_config_static_selectorELNS0_4arch9wavefront6targetE1EEEvSF_
                                        ; -- End function
	.section	.AMDGPU.csdata,"",@progbits
; Kernel info:
; codeLenInByte = 0
; NumSgprs: 4
; NumVgprs: 0
; NumAgprs: 0
; TotalNumVgprs: 0
; ScratchSize: 0
; MemoryBound: 0
; FloatMode: 240
; IeeeMode: 1
; LDSByteSize: 0 bytes/workgroup (compile time only)
; SGPRBlocks: 0
; VGPRBlocks: 0
; NumSGPRsForWavesPerEU: 4
; NumVGPRsForWavesPerEU: 1
; AccumOffset: 4
; Occupancy: 8
; WaveLimiterHint : 0
; COMPUTE_PGM_RSRC2:SCRATCH_EN: 0
; COMPUTE_PGM_RSRC2:USER_SGPR: 6
; COMPUTE_PGM_RSRC2:TRAP_HANDLER: 0
; COMPUTE_PGM_RSRC2:TGID_X_EN: 1
; COMPUTE_PGM_RSRC2:TGID_Y_EN: 0
; COMPUTE_PGM_RSRC2:TGID_Z_EN: 0
; COMPUTE_PGM_RSRC2:TIDIG_COMP_CNT: 0
; COMPUTE_PGM_RSRC3_GFX90A:ACCUM_OFFSET: 0
; COMPUTE_PGM_RSRC3_GFX90A:TG_SPLIT: 0
	.section	.text._ZN7rocprim17ROCPRIM_400000_NS6detail17trampoline_kernelINS0_14default_configENS1_25transform_config_selectorIlLb1EEEZNS1_14transform_implILb1ES3_S5_PlS7_NS0_8identityIlEEEE10hipError_tT2_T3_mT4_P12ihipStream_tbEUlT_E_NS1_11comp_targetILNS1_3genE0ELNS1_11target_archE4294967295ELNS1_3gpuE0ELNS1_3repE0EEENS1_30default_config_static_selectorELNS0_4arch9wavefront6targetE1EEEvT1_,"axG",@progbits,_ZN7rocprim17ROCPRIM_400000_NS6detail17trampoline_kernelINS0_14default_configENS1_25transform_config_selectorIlLb1EEEZNS1_14transform_implILb1ES3_S5_PlS7_NS0_8identityIlEEEE10hipError_tT2_T3_mT4_P12ihipStream_tbEUlT_E_NS1_11comp_targetILNS1_3genE0ELNS1_11target_archE4294967295ELNS1_3gpuE0ELNS1_3repE0EEENS1_30default_config_static_selectorELNS0_4arch9wavefront6targetE1EEEvT1_,comdat
	.protected	_ZN7rocprim17ROCPRIM_400000_NS6detail17trampoline_kernelINS0_14default_configENS1_25transform_config_selectorIlLb1EEEZNS1_14transform_implILb1ES3_S5_PlS7_NS0_8identityIlEEEE10hipError_tT2_T3_mT4_P12ihipStream_tbEUlT_E_NS1_11comp_targetILNS1_3genE0ELNS1_11target_archE4294967295ELNS1_3gpuE0ELNS1_3repE0EEENS1_30default_config_static_selectorELNS0_4arch9wavefront6targetE1EEEvT1_ ; -- Begin function _ZN7rocprim17ROCPRIM_400000_NS6detail17trampoline_kernelINS0_14default_configENS1_25transform_config_selectorIlLb1EEEZNS1_14transform_implILb1ES3_S5_PlS7_NS0_8identityIlEEEE10hipError_tT2_T3_mT4_P12ihipStream_tbEUlT_E_NS1_11comp_targetILNS1_3genE0ELNS1_11target_archE4294967295ELNS1_3gpuE0ELNS1_3repE0EEENS1_30default_config_static_selectorELNS0_4arch9wavefront6targetE1EEEvT1_
	.globl	_ZN7rocprim17ROCPRIM_400000_NS6detail17trampoline_kernelINS0_14default_configENS1_25transform_config_selectorIlLb1EEEZNS1_14transform_implILb1ES3_S5_PlS7_NS0_8identityIlEEEE10hipError_tT2_T3_mT4_P12ihipStream_tbEUlT_E_NS1_11comp_targetILNS1_3genE0ELNS1_11target_archE4294967295ELNS1_3gpuE0ELNS1_3repE0EEENS1_30default_config_static_selectorELNS0_4arch9wavefront6targetE1EEEvT1_
	.p2align	8
	.type	_ZN7rocprim17ROCPRIM_400000_NS6detail17trampoline_kernelINS0_14default_configENS1_25transform_config_selectorIlLb1EEEZNS1_14transform_implILb1ES3_S5_PlS7_NS0_8identityIlEEEE10hipError_tT2_T3_mT4_P12ihipStream_tbEUlT_E_NS1_11comp_targetILNS1_3genE0ELNS1_11target_archE4294967295ELNS1_3gpuE0ELNS1_3repE0EEENS1_30default_config_static_selectorELNS0_4arch9wavefront6targetE1EEEvT1_,@function
_ZN7rocprim17ROCPRIM_400000_NS6detail17trampoline_kernelINS0_14default_configENS1_25transform_config_selectorIlLb1EEEZNS1_14transform_implILb1ES3_S5_PlS7_NS0_8identityIlEEEE10hipError_tT2_T3_mT4_P12ihipStream_tbEUlT_E_NS1_11comp_targetILNS1_3genE0ELNS1_11target_archE4294967295ELNS1_3gpuE0ELNS1_3repE0EEENS1_30default_config_static_selectorELNS0_4arch9wavefront6targetE1EEEvT1_: ; @_ZN7rocprim17ROCPRIM_400000_NS6detail17trampoline_kernelINS0_14default_configENS1_25transform_config_selectorIlLb1EEEZNS1_14transform_implILb1ES3_S5_PlS7_NS0_8identityIlEEEE10hipError_tT2_T3_mT4_P12ihipStream_tbEUlT_E_NS1_11comp_targetILNS1_3genE0ELNS1_11target_archE4294967295ELNS1_3gpuE0ELNS1_3repE0EEENS1_30default_config_static_selectorELNS0_4arch9wavefront6targetE1EEEvT1_
; %bb.0:
	.section	.rodata,"a",@progbits
	.p2align	6, 0x0
	.amdhsa_kernel _ZN7rocprim17ROCPRIM_400000_NS6detail17trampoline_kernelINS0_14default_configENS1_25transform_config_selectorIlLb1EEEZNS1_14transform_implILb1ES3_S5_PlS7_NS0_8identityIlEEEE10hipError_tT2_T3_mT4_P12ihipStream_tbEUlT_E_NS1_11comp_targetILNS1_3genE0ELNS1_11target_archE4294967295ELNS1_3gpuE0ELNS1_3repE0EEENS1_30default_config_static_selectorELNS0_4arch9wavefront6targetE1EEEvT1_
		.amdhsa_group_segment_fixed_size 0
		.amdhsa_private_segment_fixed_size 0
		.amdhsa_kernarg_size 40
		.amdhsa_user_sgpr_count 6
		.amdhsa_user_sgpr_private_segment_buffer 1
		.amdhsa_user_sgpr_dispatch_ptr 0
		.amdhsa_user_sgpr_queue_ptr 0
		.amdhsa_user_sgpr_kernarg_segment_ptr 1
		.amdhsa_user_sgpr_dispatch_id 0
		.amdhsa_user_sgpr_flat_scratch_init 0
		.amdhsa_user_sgpr_kernarg_preload_length 0
		.amdhsa_user_sgpr_kernarg_preload_offset 0
		.amdhsa_user_sgpr_private_segment_size 0
		.amdhsa_uses_dynamic_stack 0
		.amdhsa_system_sgpr_private_segment_wavefront_offset 0
		.amdhsa_system_sgpr_workgroup_id_x 1
		.amdhsa_system_sgpr_workgroup_id_y 0
		.amdhsa_system_sgpr_workgroup_id_z 0
		.amdhsa_system_sgpr_workgroup_info 0
		.amdhsa_system_vgpr_workitem_id 0
		.amdhsa_next_free_vgpr 1
		.amdhsa_next_free_sgpr 0
		.amdhsa_accum_offset 4
		.amdhsa_reserve_vcc 0
		.amdhsa_reserve_flat_scratch 0
		.amdhsa_float_round_mode_32 0
		.amdhsa_float_round_mode_16_64 0
		.amdhsa_float_denorm_mode_32 3
		.amdhsa_float_denorm_mode_16_64 3
		.amdhsa_dx10_clamp 1
		.amdhsa_ieee_mode 1
		.amdhsa_fp16_overflow 0
		.amdhsa_tg_split 0
		.amdhsa_exception_fp_ieee_invalid_op 0
		.amdhsa_exception_fp_denorm_src 0
		.amdhsa_exception_fp_ieee_div_zero 0
		.amdhsa_exception_fp_ieee_overflow 0
		.amdhsa_exception_fp_ieee_underflow 0
		.amdhsa_exception_fp_ieee_inexact 0
		.amdhsa_exception_int_div_zero 0
	.end_amdhsa_kernel
	.section	.text._ZN7rocprim17ROCPRIM_400000_NS6detail17trampoline_kernelINS0_14default_configENS1_25transform_config_selectorIlLb1EEEZNS1_14transform_implILb1ES3_S5_PlS7_NS0_8identityIlEEEE10hipError_tT2_T3_mT4_P12ihipStream_tbEUlT_E_NS1_11comp_targetILNS1_3genE0ELNS1_11target_archE4294967295ELNS1_3gpuE0ELNS1_3repE0EEENS1_30default_config_static_selectorELNS0_4arch9wavefront6targetE1EEEvT1_,"axG",@progbits,_ZN7rocprim17ROCPRIM_400000_NS6detail17trampoline_kernelINS0_14default_configENS1_25transform_config_selectorIlLb1EEEZNS1_14transform_implILb1ES3_S5_PlS7_NS0_8identityIlEEEE10hipError_tT2_T3_mT4_P12ihipStream_tbEUlT_E_NS1_11comp_targetILNS1_3genE0ELNS1_11target_archE4294967295ELNS1_3gpuE0ELNS1_3repE0EEENS1_30default_config_static_selectorELNS0_4arch9wavefront6targetE1EEEvT1_,comdat
.Lfunc_end820:
	.size	_ZN7rocprim17ROCPRIM_400000_NS6detail17trampoline_kernelINS0_14default_configENS1_25transform_config_selectorIlLb1EEEZNS1_14transform_implILb1ES3_S5_PlS7_NS0_8identityIlEEEE10hipError_tT2_T3_mT4_P12ihipStream_tbEUlT_E_NS1_11comp_targetILNS1_3genE0ELNS1_11target_archE4294967295ELNS1_3gpuE0ELNS1_3repE0EEENS1_30default_config_static_selectorELNS0_4arch9wavefront6targetE1EEEvT1_, .Lfunc_end820-_ZN7rocprim17ROCPRIM_400000_NS6detail17trampoline_kernelINS0_14default_configENS1_25transform_config_selectorIlLb1EEEZNS1_14transform_implILb1ES3_S5_PlS7_NS0_8identityIlEEEE10hipError_tT2_T3_mT4_P12ihipStream_tbEUlT_E_NS1_11comp_targetILNS1_3genE0ELNS1_11target_archE4294967295ELNS1_3gpuE0ELNS1_3repE0EEENS1_30default_config_static_selectorELNS0_4arch9wavefront6targetE1EEEvT1_
                                        ; -- End function
	.section	.AMDGPU.csdata,"",@progbits
; Kernel info:
; codeLenInByte = 0
; NumSgprs: 4
; NumVgprs: 0
; NumAgprs: 0
; TotalNumVgprs: 0
; ScratchSize: 0
; MemoryBound: 0
; FloatMode: 240
; IeeeMode: 1
; LDSByteSize: 0 bytes/workgroup (compile time only)
; SGPRBlocks: 0
; VGPRBlocks: 0
; NumSGPRsForWavesPerEU: 4
; NumVGPRsForWavesPerEU: 1
; AccumOffset: 4
; Occupancy: 8
; WaveLimiterHint : 0
; COMPUTE_PGM_RSRC2:SCRATCH_EN: 0
; COMPUTE_PGM_RSRC2:USER_SGPR: 6
; COMPUTE_PGM_RSRC2:TRAP_HANDLER: 0
; COMPUTE_PGM_RSRC2:TGID_X_EN: 1
; COMPUTE_PGM_RSRC2:TGID_Y_EN: 0
; COMPUTE_PGM_RSRC2:TGID_Z_EN: 0
; COMPUTE_PGM_RSRC2:TIDIG_COMP_CNT: 0
; COMPUTE_PGM_RSRC3_GFX90A:ACCUM_OFFSET: 0
; COMPUTE_PGM_RSRC3_GFX90A:TG_SPLIT: 0
	.section	.text._ZN7rocprim17ROCPRIM_400000_NS6detail17trampoline_kernelINS0_14default_configENS1_25transform_config_selectorIlLb1EEEZNS1_14transform_implILb1ES3_S5_PlS7_NS0_8identityIlEEEE10hipError_tT2_T3_mT4_P12ihipStream_tbEUlT_E_NS1_11comp_targetILNS1_3genE10ELNS1_11target_archE1201ELNS1_3gpuE5ELNS1_3repE0EEENS1_30default_config_static_selectorELNS0_4arch9wavefront6targetE1EEEvT1_,"axG",@progbits,_ZN7rocprim17ROCPRIM_400000_NS6detail17trampoline_kernelINS0_14default_configENS1_25transform_config_selectorIlLb1EEEZNS1_14transform_implILb1ES3_S5_PlS7_NS0_8identityIlEEEE10hipError_tT2_T3_mT4_P12ihipStream_tbEUlT_E_NS1_11comp_targetILNS1_3genE10ELNS1_11target_archE1201ELNS1_3gpuE5ELNS1_3repE0EEENS1_30default_config_static_selectorELNS0_4arch9wavefront6targetE1EEEvT1_,comdat
	.protected	_ZN7rocprim17ROCPRIM_400000_NS6detail17trampoline_kernelINS0_14default_configENS1_25transform_config_selectorIlLb1EEEZNS1_14transform_implILb1ES3_S5_PlS7_NS0_8identityIlEEEE10hipError_tT2_T3_mT4_P12ihipStream_tbEUlT_E_NS1_11comp_targetILNS1_3genE10ELNS1_11target_archE1201ELNS1_3gpuE5ELNS1_3repE0EEENS1_30default_config_static_selectorELNS0_4arch9wavefront6targetE1EEEvT1_ ; -- Begin function _ZN7rocprim17ROCPRIM_400000_NS6detail17trampoline_kernelINS0_14default_configENS1_25transform_config_selectorIlLb1EEEZNS1_14transform_implILb1ES3_S5_PlS7_NS0_8identityIlEEEE10hipError_tT2_T3_mT4_P12ihipStream_tbEUlT_E_NS1_11comp_targetILNS1_3genE10ELNS1_11target_archE1201ELNS1_3gpuE5ELNS1_3repE0EEENS1_30default_config_static_selectorELNS0_4arch9wavefront6targetE1EEEvT1_
	.globl	_ZN7rocprim17ROCPRIM_400000_NS6detail17trampoline_kernelINS0_14default_configENS1_25transform_config_selectorIlLb1EEEZNS1_14transform_implILb1ES3_S5_PlS7_NS0_8identityIlEEEE10hipError_tT2_T3_mT4_P12ihipStream_tbEUlT_E_NS1_11comp_targetILNS1_3genE10ELNS1_11target_archE1201ELNS1_3gpuE5ELNS1_3repE0EEENS1_30default_config_static_selectorELNS0_4arch9wavefront6targetE1EEEvT1_
	.p2align	8
	.type	_ZN7rocprim17ROCPRIM_400000_NS6detail17trampoline_kernelINS0_14default_configENS1_25transform_config_selectorIlLb1EEEZNS1_14transform_implILb1ES3_S5_PlS7_NS0_8identityIlEEEE10hipError_tT2_T3_mT4_P12ihipStream_tbEUlT_E_NS1_11comp_targetILNS1_3genE10ELNS1_11target_archE1201ELNS1_3gpuE5ELNS1_3repE0EEENS1_30default_config_static_selectorELNS0_4arch9wavefront6targetE1EEEvT1_,@function
_ZN7rocprim17ROCPRIM_400000_NS6detail17trampoline_kernelINS0_14default_configENS1_25transform_config_selectorIlLb1EEEZNS1_14transform_implILb1ES3_S5_PlS7_NS0_8identityIlEEEE10hipError_tT2_T3_mT4_P12ihipStream_tbEUlT_E_NS1_11comp_targetILNS1_3genE10ELNS1_11target_archE1201ELNS1_3gpuE5ELNS1_3repE0EEENS1_30default_config_static_selectorELNS0_4arch9wavefront6targetE1EEEvT1_: ; @_ZN7rocprim17ROCPRIM_400000_NS6detail17trampoline_kernelINS0_14default_configENS1_25transform_config_selectorIlLb1EEEZNS1_14transform_implILb1ES3_S5_PlS7_NS0_8identityIlEEEE10hipError_tT2_T3_mT4_P12ihipStream_tbEUlT_E_NS1_11comp_targetILNS1_3genE10ELNS1_11target_archE1201ELNS1_3gpuE5ELNS1_3repE0EEENS1_30default_config_static_selectorELNS0_4arch9wavefront6targetE1EEEvT1_
; %bb.0:
	.section	.rodata,"a",@progbits
	.p2align	6, 0x0
	.amdhsa_kernel _ZN7rocprim17ROCPRIM_400000_NS6detail17trampoline_kernelINS0_14default_configENS1_25transform_config_selectorIlLb1EEEZNS1_14transform_implILb1ES3_S5_PlS7_NS0_8identityIlEEEE10hipError_tT2_T3_mT4_P12ihipStream_tbEUlT_E_NS1_11comp_targetILNS1_3genE10ELNS1_11target_archE1201ELNS1_3gpuE5ELNS1_3repE0EEENS1_30default_config_static_selectorELNS0_4arch9wavefront6targetE1EEEvT1_
		.amdhsa_group_segment_fixed_size 0
		.amdhsa_private_segment_fixed_size 0
		.amdhsa_kernarg_size 40
		.amdhsa_user_sgpr_count 6
		.amdhsa_user_sgpr_private_segment_buffer 1
		.amdhsa_user_sgpr_dispatch_ptr 0
		.amdhsa_user_sgpr_queue_ptr 0
		.amdhsa_user_sgpr_kernarg_segment_ptr 1
		.amdhsa_user_sgpr_dispatch_id 0
		.amdhsa_user_sgpr_flat_scratch_init 0
		.amdhsa_user_sgpr_kernarg_preload_length 0
		.amdhsa_user_sgpr_kernarg_preload_offset 0
		.amdhsa_user_sgpr_private_segment_size 0
		.amdhsa_uses_dynamic_stack 0
		.amdhsa_system_sgpr_private_segment_wavefront_offset 0
		.amdhsa_system_sgpr_workgroup_id_x 1
		.amdhsa_system_sgpr_workgroup_id_y 0
		.amdhsa_system_sgpr_workgroup_id_z 0
		.amdhsa_system_sgpr_workgroup_info 0
		.amdhsa_system_vgpr_workitem_id 0
		.amdhsa_next_free_vgpr 1
		.amdhsa_next_free_sgpr 0
		.amdhsa_accum_offset 4
		.amdhsa_reserve_vcc 0
		.amdhsa_reserve_flat_scratch 0
		.amdhsa_float_round_mode_32 0
		.amdhsa_float_round_mode_16_64 0
		.amdhsa_float_denorm_mode_32 3
		.amdhsa_float_denorm_mode_16_64 3
		.amdhsa_dx10_clamp 1
		.amdhsa_ieee_mode 1
		.amdhsa_fp16_overflow 0
		.amdhsa_tg_split 0
		.amdhsa_exception_fp_ieee_invalid_op 0
		.amdhsa_exception_fp_denorm_src 0
		.amdhsa_exception_fp_ieee_div_zero 0
		.amdhsa_exception_fp_ieee_overflow 0
		.amdhsa_exception_fp_ieee_underflow 0
		.amdhsa_exception_fp_ieee_inexact 0
		.amdhsa_exception_int_div_zero 0
	.end_amdhsa_kernel
	.section	.text._ZN7rocprim17ROCPRIM_400000_NS6detail17trampoline_kernelINS0_14default_configENS1_25transform_config_selectorIlLb1EEEZNS1_14transform_implILb1ES3_S5_PlS7_NS0_8identityIlEEEE10hipError_tT2_T3_mT4_P12ihipStream_tbEUlT_E_NS1_11comp_targetILNS1_3genE10ELNS1_11target_archE1201ELNS1_3gpuE5ELNS1_3repE0EEENS1_30default_config_static_selectorELNS0_4arch9wavefront6targetE1EEEvT1_,"axG",@progbits,_ZN7rocprim17ROCPRIM_400000_NS6detail17trampoline_kernelINS0_14default_configENS1_25transform_config_selectorIlLb1EEEZNS1_14transform_implILb1ES3_S5_PlS7_NS0_8identityIlEEEE10hipError_tT2_T3_mT4_P12ihipStream_tbEUlT_E_NS1_11comp_targetILNS1_3genE10ELNS1_11target_archE1201ELNS1_3gpuE5ELNS1_3repE0EEENS1_30default_config_static_selectorELNS0_4arch9wavefront6targetE1EEEvT1_,comdat
.Lfunc_end821:
	.size	_ZN7rocprim17ROCPRIM_400000_NS6detail17trampoline_kernelINS0_14default_configENS1_25transform_config_selectorIlLb1EEEZNS1_14transform_implILb1ES3_S5_PlS7_NS0_8identityIlEEEE10hipError_tT2_T3_mT4_P12ihipStream_tbEUlT_E_NS1_11comp_targetILNS1_3genE10ELNS1_11target_archE1201ELNS1_3gpuE5ELNS1_3repE0EEENS1_30default_config_static_selectorELNS0_4arch9wavefront6targetE1EEEvT1_, .Lfunc_end821-_ZN7rocprim17ROCPRIM_400000_NS6detail17trampoline_kernelINS0_14default_configENS1_25transform_config_selectorIlLb1EEEZNS1_14transform_implILb1ES3_S5_PlS7_NS0_8identityIlEEEE10hipError_tT2_T3_mT4_P12ihipStream_tbEUlT_E_NS1_11comp_targetILNS1_3genE10ELNS1_11target_archE1201ELNS1_3gpuE5ELNS1_3repE0EEENS1_30default_config_static_selectorELNS0_4arch9wavefront6targetE1EEEvT1_
                                        ; -- End function
	.section	.AMDGPU.csdata,"",@progbits
; Kernel info:
; codeLenInByte = 0
; NumSgprs: 4
; NumVgprs: 0
; NumAgprs: 0
; TotalNumVgprs: 0
; ScratchSize: 0
; MemoryBound: 0
; FloatMode: 240
; IeeeMode: 1
; LDSByteSize: 0 bytes/workgroup (compile time only)
; SGPRBlocks: 0
; VGPRBlocks: 0
; NumSGPRsForWavesPerEU: 4
; NumVGPRsForWavesPerEU: 1
; AccumOffset: 4
; Occupancy: 8
; WaveLimiterHint : 0
; COMPUTE_PGM_RSRC2:SCRATCH_EN: 0
; COMPUTE_PGM_RSRC2:USER_SGPR: 6
; COMPUTE_PGM_RSRC2:TRAP_HANDLER: 0
; COMPUTE_PGM_RSRC2:TGID_X_EN: 1
; COMPUTE_PGM_RSRC2:TGID_Y_EN: 0
; COMPUTE_PGM_RSRC2:TGID_Z_EN: 0
; COMPUTE_PGM_RSRC2:TIDIG_COMP_CNT: 0
; COMPUTE_PGM_RSRC3_GFX90A:ACCUM_OFFSET: 0
; COMPUTE_PGM_RSRC3_GFX90A:TG_SPLIT: 0
	.section	.text._ZN7rocprim17ROCPRIM_400000_NS6detail17trampoline_kernelINS0_14default_configENS1_25transform_config_selectorIlLb1EEEZNS1_14transform_implILb1ES3_S5_PlS7_NS0_8identityIlEEEE10hipError_tT2_T3_mT4_P12ihipStream_tbEUlT_E_NS1_11comp_targetILNS1_3genE5ELNS1_11target_archE942ELNS1_3gpuE9ELNS1_3repE0EEENS1_30default_config_static_selectorELNS0_4arch9wavefront6targetE1EEEvT1_,"axG",@progbits,_ZN7rocprim17ROCPRIM_400000_NS6detail17trampoline_kernelINS0_14default_configENS1_25transform_config_selectorIlLb1EEEZNS1_14transform_implILb1ES3_S5_PlS7_NS0_8identityIlEEEE10hipError_tT2_T3_mT4_P12ihipStream_tbEUlT_E_NS1_11comp_targetILNS1_3genE5ELNS1_11target_archE942ELNS1_3gpuE9ELNS1_3repE0EEENS1_30default_config_static_selectorELNS0_4arch9wavefront6targetE1EEEvT1_,comdat
	.protected	_ZN7rocprim17ROCPRIM_400000_NS6detail17trampoline_kernelINS0_14default_configENS1_25transform_config_selectorIlLb1EEEZNS1_14transform_implILb1ES3_S5_PlS7_NS0_8identityIlEEEE10hipError_tT2_T3_mT4_P12ihipStream_tbEUlT_E_NS1_11comp_targetILNS1_3genE5ELNS1_11target_archE942ELNS1_3gpuE9ELNS1_3repE0EEENS1_30default_config_static_selectorELNS0_4arch9wavefront6targetE1EEEvT1_ ; -- Begin function _ZN7rocprim17ROCPRIM_400000_NS6detail17trampoline_kernelINS0_14default_configENS1_25transform_config_selectorIlLb1EEEZNS1_14transform_implILb1ES3_S5_PlS7_NS0_8identityIlEEEE10hipError_tT2_T3_mT4_P12ihipStream_tbEUlT_E_NS1_11comp_targetILNS1_3genE5ELNS1_11target_archE942ELNS1_3gpuE9ELNS1_3repE0EEENS1_30default_config_static_selectorELNS0_4arch9wavefront6targetE1EEEvT1_
	.globl	_ZN7rocprim17ROCPRIM_400000_NS6detail17trampoline_kernelINS0_14default_configENS1_25transform_config_selectorIlLb1EEEZNS1_14transform_implILb1ES3_S5_PlS7_NS0_8identityIlEEEE10hipError_tT2_T3_mT4_P12ihipStream_tbEUlT_E_NS1_11comp_targetILNS1_3genE5ELNS1_11target_archE942ELNS1_3gpuE9ELNS1_3repE0EEENS1_30default_config_static_selectorELNS0_4arch9wavefront6targetE1EEEvT1_
	.p2align	8
	.type	_ZN7rocprim17ROCPRIM_400000_NS6detail17trampoline_kernelINS0_14default_configENS1_25transform_config_selectorIlLb1EEEZNS1_14transform_implILb1ES3_S5_PlS7_NS0_8identityIlEEEE10hipError_tT2_T3_mT4_P12ihipStream_tbEUlT_E_NS1_11comp_targetILNS1_3genE5ELNS1_11target_archE942ELNS1_3gpuE9ELNS1_3repE0EEENS1_30default_config_static_selectorELNS0_4arch9wavefront6targetE1EEEvT1_,@function
_ZN7rocprim17ROCPRIM_400000_NS6detail17trampoline_kernelINS0_14default_configENS1_25transform_config_selectorIlLb1EEEZNS1_14transform_implILb1ES3_S5_PlS7_NS0_8identityIlEEEE10hipError_tT2_T3_mT4_P12ihipStream_tbEUlT_E_NS1_11comp_targetILNS1_3genE5ELNS1_11target_archE942ELNS1_3gpuE9ELNS1_3repE0EEENS1_30default_config_static_selectorELNS0_4arch9wavefront6targetE1EEEvT1_: ; @_ZN7rocprim17ROCPRIM_400000_NS6detail17trampoline_kernelINS0_14default_configENS1_25transform_config_selectorIlLb1EEEZNS1_14transform_implILb1ES3_S5_PlS7_NS0_8identityIlEEEE10hipError_tT2_T3_mT4_P12ihipStream_tbEUlT_E_NS1_11comp_targetILNS1_3genE5ELNS1_11target_archE942ELNS1_3gpuE9ELNS1_3repE0EEENS1_30default_config_static_selectorELNS0_4arch9wavefront6targetE1EEEvT1_
; %bb.0:
	.section	.rodata,"a",@progbits
	.p2align	6, 0x0
	.amdhsa_kernel _ZN7rocprim17ROCPRIM_400000_NS6detail17trampoline_kernelINS0_14default_configENS1_25transform_config_selectorIlLb1EEEZNS1_14transform_implILb1ES3_S5_PlS7_NS0_8identityIlEEEE10hipError_tT2_T3_mT4_P12ihipStream_tbEUlT_E_NS1_11comp_targetILNS1_3genE5ELNS1_11target_archE942ELNS1_3gpuE9ELNS1_3repE0EEENS1_30default_config_static_selectorELNS0_4arch9wavefront6targetE1EEEvT1_
		.amdhsa_group_segment_fixed_size 0
		.amdhsa_private_segment_fixed_size 0
		.amdhsa_kernarg_size 40
		.amdhsa_user_sgpr_count 6
		.amdhsa_user_sgpr_private_segment_buffer 1
		.amdhsa_user_sgpr_dispatch_ptr 0
		.amdhsa_user_sgpr_queue_ptr 0
		.amdhsa_user_sgpr_kernarg_segment_ptr 1
		.amdhsa_user_sgpr_dispatch_id 0
		.amdhsa_user_sgpr_flat_scratch_init 0
		.amdhsa_user_sgpr_kernarg_preload_length 0
		.amdhsa_user_sgpr_kernarg_preload_offset 0
		.amdhsa_user_sgpr_private_segment_size 0
		.amdhsa_uses_dynamic_stack 0
		.amdhsa_system_sgpr_private_segment_wavefront_offset 0
		.amdhsa_system_sgpr_workgroup_id_x 1
		.amdhsa_system_sgpr_workgroup_id_y 0
		.amdhsa_system_sgpr_workgroup_id_z 0
		.amdhsa_system_sgpr_workgroup_info 0
		.amdhsa_system_vgpr_workitem_id 0
		.amdhsa_next_free_vgpr 1
		.amdhsa_next_free_sgpr 0
		.amdhsa_accum_offset 4
		.amdhsa_reserve_vcc 0
		.amdhsa_reserve_flat_scratch 0
		.amdhsa_float_round_mode_32 0
		.amdhsa_float_round_mode_16_64 0
		.amdhsa_float_denorm_mode_32 3
		.amdhsa_float_denorm_mode_16_64 3
		.amdhsa_dx10_clamp 1
		.amdhsa_ieee_mode 1
		.amdhsa_fp16_overflow 0
		.amdhsa_tg_split 0
		.amdhsa_exception_fp_ieee_invalid_op 0
		.amdhsa_exception_fp_denorm_src 0
		.amdhsa_exception_fp_ieee_div_zero 0
		.amdhsa_exception_fp_ieee_overflow 0
		.amdhsa_exception_fp_ieee_underflow 0
		.amdhsa_exception_fp_ieee_inexact 0
		.amdhsa_exception_int_div_zero 0
	.end_amdhsa_kernel
	.section	.text._ZN7rocprim17ROCPRIM_400000_NS6detail17trampoline_kernelINS0_14default_configENS1_25transform_config_selectorIlLb1EEEZNS1_14transform_implILb1ES3_S5_PlS7_NS0_8identityIlEEEE10hipError_tT2_T3_mT4_P12ihipStream_tbEUlT_E_NS1_11comp_targetILNS1_3genE5ELNS1_11target_archE942ELNS1_3gpuE9ELNS1_3repE0EEENS1_30default_config_static_selectorELNS0_4arch9wavefront6targetE1EEEvT1_,"axG",@progbits,_ZN7rocprim17ROCPRIM_400000_NS6detail17trampoline_kernelINS0_14default_configENS1_25transform_config_selectorIlLb1EEEZNS1_14transform_implILb1ES3_S5_PlS7_NS0_8identityIlEEEE10hipError_tT2_T3_mT4_P12ihipStream_tbEUlT_E_NS1_11comp_targetILNS1_3genE5ELNS1_11target_archE942ELNS1_3gpuE9ELNS1_3repE0EEENS1_30default_config_static_selectorELNS0_4arch9wavefront6targetE1EEEvT1_,comdat
.Lfunc_end822:
	.size	_ZN7rocprim17ROCPRIM_400000_NS6detail17trampoline_kernelINS0_14default_configENS1_25transform_config_selectorIlLb1EEEZNS1_14transform_implILb1ES3_S5_PlS7_NS0_8identityIlEEEE10hipError_tT2_T3_mT4_P12ihipStream_tbEUlT_E_NS1_11comp_targetILNS1_3genE5ELNS1_11target_archE942ELNS1_3gpuE9ELNS1_3repE0EEENS1_30default_config_static_selectorELNS0_4arch9wavefront6targetE1EEEvT1_, .Lfunc_end822-_ZN7rocprim17ROCPRIM_400000_NS6detail17trampoline_kernelINS0_14default_configENS1_25transform_config_selectorIlLb1EEEZNS1_14transform_implILb1ES3_S5_PlS7_NS0_8identityIlEEEE10hipError_tT2_T3_mT4_P12ihipStream_tbEUlT_E_NS1_11comp_targetILNS1_3genE5ELNS1_11target_archE942ELNS1_3gpuE9ELNS1_3repE0EEENS1_30default_config_static_selectorELNS0_4arch9wavefront6targetE1EEEvT1_
                                        ; -- End function
	.section	.AMDGPU.csdata,"",@progbits
; Kernel info:
; codeLenInByte = 0
; NumSgprs: 4
; NumVgprs: 0
; NumAgprs: 0
; TotalNumVgprs: 0
; ScratchSize: 0
; MemoryBound: 0
; FloatMode: 240
; IeeeMode: 1
; LDSByteSize: 0 bytes/workgroup (compile time only)
; SGPRBlocks: 0
; VGPRBlocks: 0
; NumSGPRsForWavesPerEU: 4
; NumVGPRsForWavesPerEU: 1
; AccumOffset: 4
; Occupancy: 8
; WaveLimiterHint : 0
; COMPUTE_PGM_RSRC2:SCRATCH_EN: 0
; COMPUTE_PGM_RSRC2:USER_SGPR: 6
; COMPUTE_PGM_RSRC2:TRAP_HANDLER: 0
; COMPUTE_PGM_RSRC2:TGID_X_EN: 1
; COMPUTE_PGM_RSRC2:TGID_Y_EN: 0
; COMPUTE_PGM_RSRC2:TGID_Z_EN: 0
; COMPUTE_PGM_RSRC2:TIDIG_COMP_CNT: 0
; COMPUTE_PGM_RSRC3_GFX90A:ACCUM_OFFSET: 0
; COMPUTE_PGM_RSRC3_GFX90A:TG_SPLIT: 0
	.section	.text._ZN7rocprim17ROCPRIM_400000_NS6detail17trampoline_kernelINS0_14default_configENS1_25transform_config_selectorIlLb1EEEZNS1_14transform_implILb1ES3_S5_PlS7_NS0_8identityIlEEEE10hipError_tT2_T3_mT4_P12ihipStream_tbEUlT_E_NS1_11comp_targetILNS1_3genE4ELNS1_11target_archE910ELNS1_3gpuE8ELNS1_3repE0EEENS1_30default_config_static_selectorELNS0_4arch9wavefront6targetE1EEEvT1_,"axG",@progbits,_ZN7rocprim17ROCPRIM_400000_NS6detail17trampoline_kernelINS0_14default_configENS1_25transform_config_selectorIlLb1EEEZNS1_14transform_implILb1ES3_S5_PlS7_NS0_8identityIlEEEE10hipError_tT2_T3_mT4_P12ihipStream_tbEUlT_E_NS1_11comp_targetILNS1_3genE4ELNS1_11target_archE910ELNS1_3gpuE8ELNS1_3repE0EEENS1_30default_config_static_selectorELNS0_4arch9wavefront6targetE1EEEvT1_,comdat
	.protected	_ZN7rocprim17ROCPRIM_400000_NS6detail17trampoline_kernelINS0_14default_configENS1_25transform_config_selectorIlLb1EEEZNS1_14transform_implILb1ES3_S5_PlS7_NS0_8identityIlEEEE10hipError_tT2_T3_mT4_P12ihipStream_tbEUlT_E_NS1_11comp_targetILNS1_3genE4ELNS1_11target_archE910ELNS1_3gpuE8ELNS1_3repE0EEENS1_30default_config_static_selectorELNS0_4arch9wavefront6targetE1EEEvT1_ ; -- Begin function _ZN7rocprim17ROCPRIM_400000_NS6detail17trampoline_kernelINS0_14default_configENS1_25transform_config_selectorIlLb1EEEZNS1_14transform_implILb1ES3_S5_PlS7_NS0_8identityIlEEEE10hipError_tT2_T3_mT4_P12ihipStream_tbEUlT_E_NS1_11comp_targetILNS1_3genE4ELNS1_11target_archE910ELNS1_3gpuE8ELNS1_3repE0EEENS1_30default_config_static_selectorELNS0_4arch9wavefront6targetE1EEEvT1_
	.globl	_ZN7rocprim17ROCPRIM_400000_NS6detail17trampoline_kernelINS0_14default_configENS1_25transform_config_selectorIlLb1EEEZNS1_14transform_implILb1ES3_S5_PlS7_NS0_8identityIlEEEE10hipError_tT2_T3_mT4_P12ihipStream_tbEUlT_E_NS1_11comp_targetILNS1_3genE4ELNS1_11target_archE910ELNS1_3gpuE8ELNS1_3repE0EEENS1_30default_config_static_selectorELNS0_4arch9wavefront6targetE1EEEvT1_
	.p2align	8
	.type	_ZN7rocprim17ROCPRIM_400000_NS6detail17trampoline_kernelINS0_14default_configENS1_25transform_config_selectorIlLb1EEEZNS1_14transform_implILb1ES3_S5_PlS7_NS0_8identityIlEEEE10hipError_tT2_T3_mT4_P12ihipStream_tbEUlT_E_NS1_11comp_targetILNS1_3genE4ELNS1_11target_archE910ELNS1_3gpuE8ELNS1_3repE0EEENS1_30default_config_static_selectorELNS0_4arch9wavefront6targetE1EEEvT1_,@function
_ZN7rocprim17ROCPRIM_400000_NS6detail17trampoline_kernelINS0_14default_configENS1_25transform_config_selectorIlLb1EEEZNS1_14transform_implILb1ES3_S5_PlS7_NS0_8identityIlEEEE10hipError_tT2_T3_mT4_P12ihipStream_tbEUlT_E_NS1_11comp_targetILNS1_3genE4ELNS1_11target_archE910ELNS1_3gpuE8ELNS1_3repE0EEENS1_30default_config_static_selectorELNS0_4arch9wavefront6targetE1EEEvT1_: ; @_ZN7rocprim17ROCPRIM_400000_NS6detail17trampoline_kernelINS0_14default_configENS1_25transform_config_selectorIlLb1EEEZNS1_14transform_implILb1ES3_S5_PlS7_NS0_8identityIlEEEE10hipError_tT2_T3_mT4_P12ihipStream_tbEUlT_E_NS1_11comp_targetILNS1_3genE4ELNS1_11target_archE910ELNS1_3gpuE8ELNS1_3repE0EEENS1_30default_config_static_selectorELNS0_4arch9wavefront6targetE1EEEvT1_
; %bb.0:
	s_load_dwordx8 s[8:15], s[4:5], 0x0
	s_load_dword s2, s[4:5], 0x28
	s_waitcnt lgkmcnt(0)
	s_lshl_b64 s[0:1], s[10:11], 3
	s_add_u32 s4, s8, s0
	s_addc_u32 s5, s9, s1
	s_add_u32 s8, s14, s0
	s_addc_u32 s9, s15, s1
	s_lshl_b32 s0, s6, 11
	s_mov_b32 s1, 0
	s_add_i32 s7, s2, -1
	s_lshl_b64 s[2:3], s[0:1], 3
	s_add_u32 s4, s4, s2
	s_addc_u32 s5, s5, s3
	s_cmp_lg_u32 s6, s7
	s_mov_b64 s[6:7], -1
	s_cbranch_scc0 .LBB823_2
; %bb.1:
	v_lshlrev_b32_e32 v1, 4, v0
	global_load_dwordx4 v[2:5], v1, s[4:5]
	s_add_u32 s6, s8, s2
	s_addc_u32 s7, s9, s3
	s_waitcnt vmcnt(0)
	global_store_dwordx4 v1, v[2:5], s[6:7]
	s_mov_b64 s[6:7], 0
.LBB823_2:
	s_andn2_b64 vcc, exec, s[6:7]
	s_cbranch_vccnz .LBB823_11
; %bb.3:
	s_sub_i32 s6, s12, s0
	v_cmp_gt_u32_e32 vcc, s6, v0
	v_lshlrev_b32_e32 v1, 3, v0
                                        ; implicit-def: $vgpr2_vgpr3_vgpr4_vgpr5
	s_and_saveexec_b64 s[0:1], vcc
	s_cbranch_execz .LBB823_5
; %bb.4:
	global_load_dwordx2 v[2:3], v1, s[4:5]
.LBB823_5:
	s_or_b64 exec, exec, s[0:1]
	v_or_b32_e32 v0, 0x400, v0
	v_cmp_gt_u32_e64 s[0:1], s6, v0
	s_and_saveexec_b64 s[6:7], s[0:1]
	s_cbranch_execz .LBB823_7
; %bb.6:
	v_lshlrev_b32_e32 v0, 3, v0
	global_load_dwordx2 v[4:5], v0, s[4:5]
.LBB823_7:
	s_or_b64 exec, exec, s[6:7]
	s_add_u32 s2, s8, s2
	s_addc_u32 s3, s9, s3
	v_mov_b32_e32 v6, s3
	v_add_co_u32_e64 v0, s[2:3], s2, v1
	v_addc_co_u32_e64 v1, s[2:3], 0, v6, s[2:3]
	s_and_saveexec_b64 s[2:3], vcc
	s_cbranch_execz .LBB823_9
; %bb.8:
	s_waitcnt vmcnt(0)
	global_store_dwordx2 v[0:1], v[2:3], off
.LBB823_9:
	s_or_b64 exec, exec, s[2:3]
	s_and_saveexec_b64 s[2:3], s[0:1]
	s_cbranch_execz .LBB823_11
; %bb.10:
	v_add_co_u32_e32 v0, vcc, 0x2000, v0
	v_addc_co_u32_e32 v1, vcc, 0, v1, vcc
	s_waitcnt vmcnt(0)
	global_store_dwordx2 v[0:1], v[4:5], off
.LBB823_11:
	s_endpgm
	.section	.rodata,"a",@progbits
	.p2align	6, 0x0
	.amdhsa_kernel _ZN7rocprim17ROCPRIM_400000_NS6detail17trampoline_kernelINS0_14default_configENS1_25transform_config_selectorIlLb1EEEZNS1_14transform_implILb1ES3_S5_PlS7_NS0_8identityIlEEEE10hipError_tT2_T3_mT4_P12ihipStream_tbEUlT_E_NS1_11comp_targetILNS1_3genE4ELNS1_11target_archE910ELNS1_3gpuE8ELNS1_3repE0EEENS1_30default_config_static_selectorELNS0_4arch9wavefront6targetE1EEEvT1_
		.amdhsa_group_segment_fixed_size 0
		.amdhsa_private_segment_fixed_size 0
		.amdhsa_kernarg_size 296
		.amdhsa_user_sgpr_count 6
		.amdhsa_user_sgpr_private_segment_buffer 1
		.amdhsa_user_sgpr_dispatch_ptr 0
		.amdhsa_user_sgpr_queue_ptr 0
		.amdhsa_user_sgpr_kernarg_segment_ptr 1
		.amdhsa_user_sgpr_dispatch_id 0
		.amdhsa_user_sgpr_flat_scratch_init 0
		.amdhsa_user_sgpr_kernarg_preload_length 0
		.amdhsa_user_sgpr_kernarg_preload_offset 0
		.amdhsa_user_sgpr_private_segment_size 0
		.amdhsa_uses_dynamic_stack 0
		.amdhsa_system_sgpr_private_segment_wavefront_offset 0
		.amdhsa_system_sgpr_workgroup_id_x 1
		.amdhsa_system_sgpr_workgroup_id_y 0
		.amdhsa_system_sgpr_workgroup_id_z 0
		.amdhsa_system_sgpr_workgroup_info 0
		.amdhsa_system_vgpr_workitem_id 0
		.amdhsa_next_free_vgpr 7
		.amdhsa_next_free_sgpr 16
		.amdhsa_accum_offset 8
		.amdhsa_reserve_vcc 1
		.amdhsa_reserve_flat_scratch 0
		.amdhsa_float_round_mode_32 0
		.amdhsa_float_round_mode_16_64 0
		.amdhsa_float_denorm_mode_32 3
		.amdhsa_float_denorm_mode_16_64 3
		.amdhsa_dx10_clamp 1
		.amdhsa_ieee_mode 1
		.amdhsa_fp16_overflow 0
		.amdhsa_tg_split 0
		.amdhsa_exception_fp_ieee_invalid_op 0
		.amdhsa_exception_fp_denorm_src 0
		.amdhsa_exception_fp_ieee_div_zero 0
		.amdhsa_exception_fp_ieee_overflow 0
		.amdhsa_exception_fp_ieee_underflow 0
		.amdhsa_exception_fp_ieee_inexact 0
		.amdhsa_exception_int_div_zero 0
	.end_amdhsa_kernel
	.section	.text._ZN7rocprim17ROCPRIM_400000_NS6detail17trampoline_kernelINS0_14default_configENS1_25transform_config_selectorIlLb1EEEZNS1_14transform_implILb1ES3_S5_PlS7_NS0_8identityIlEEEE10hipError_tT2_T3_mT4_P12ihipStream_tbEUlT_E_NS1_11comp_targetILNS1_3genE4ELNS1_11target_archE910ELNS1_3gpuE8ELNS1_3repE0EEENS1_30default_config_static_selectorELNS0_4arch9wavefront6targetE1EEEvT1_,"axG",@progbits,_ZN7rocprim17ROCPRIM_400000_NS6detail17trampoline_kernelINS0_14default_configENS1_25transform_config_selectorIlLb1EEEZNS1_14transform_implILb1ES3_S5_PlS7_NS0_8identityIlEEEE10hipError_tT2_T3_mT4_P12ihipStream_tbEUlT_E_NS1_11comp_targetILNS1_3genE4ELNS1_11target_archE910ELNS1_3gpuE8ELNS1_3repE0EEENS1_30default_config_static_selectorELNS0_4arch9wavefront6targetE1EEEvT1_,comdat
.Lfunc_end823:
	.size	_ZN7rocprim17ROCPRIM_400000_NS6detail17trampoline_kernelINS0_14default_configENS1_25transform_config_selectorIlLb1EEEZNS1_14transform_implILb1ES3_S5_PlS7_NS0_8identityIlEEEE10hipError_tT2_T3_mT4_P12ihipStream_tbEUlT_E_NS1_11comp_targetILNS1_3genE4ELNS1_11target_archE910ELNS1_3gpuE8ELNS1_3repE0EEENS1_30default_config_static_selectorELNS0_4arch9wavefront6targetE1EEEvT1_, .Lfunc_end823-_ZN7rocprim17ROCPRIM_400000_NS6detail17trampoline_kernelINS0_14default_configENS1_25transform_config_selectorIlLb1EEEZNS1_14transform_implILb1ES3_S5_PlS7_NS0_8identityIlEEEE10hipError_tT2_T3_mT4_P12ihipStream_tbEUlT_E_NS1_11comp_targetILNS1_3genE4ELNS1_11target_archE910ELNS1_3gpuE8ELNS1_3repE0EEENS1_30default_config_static_selectorELNS0_4arch9wavefront6targetE1EEEvT1_
                                        ; -- End function
	.section	.AMDGPU.csdata,"",@progbits
; Kernel info:
; codeLenInByte = 280
; NumSgprs: 20
; NumVgprs: 7
; NumAgprs: 0
; TotalNumVgprs: 7
; ScratchSize: 0
; MemoryBound: 1
; FloatMode: 240
; IeeeMode: 1
; LDSByteSize: 0 bytes/workgroup (compile time only)
; SGPRBlocks: 2
; VGPRBlocks: 0
; NumSGPRsForWavesPerEU: 20
; NumVGPRsForWavesPerEU: 7
; AccumOffset: 8
; Occupancy: 8
; WaveLimiterHint : 0
; COMPUTE_PGM_RSRC2:SCRATCH_EN: 0
; COMPUTE_PGM_RSRC2:USER_SGPR: 6
; COMPUTE_PGM_RSRC2:TRAP_HANDLER: 0
; COMPUTE_PGM_RSRC2:TGID_X_EN: 1
; COMPUTE_PGM_RSRC2:TGID_Y_EN: 0
; COMPUTE_PGM_RSRC2:TGID_Z_EN: 0
; COMPUTE_PGM_RSRC2:TIDIG_COMP_CNT: 0
; COMPUTE_PGM_RSRC3_GFX90A:ACCUM_OFFSET: 1
; COMPUTE_PGM_RSRC3_GFX90A:TG_SPLIT: 0
	.section	.text._ZN7rocprim17ROCPRIM_400000_NS6detail17trampoline_kernelINS0_14default_configENS1_25transform_config_selectorIlLb1EEEZNS1_14transform_implILb1ES3_S5_PlS7_NS0_8identityIlEEEE10hipError_tT2_T3_mT4_P12ihipStream_tbEUlT_E_NS1_11comp_targetILNS1_3genE3ELNS1_11target_archE908ELNS1_3gpuE7ELNS1_3repE0EEENS1_30default_config_static_selectorELNS0_4arch9wavefront6targetE1EEEvT1_,"axG",@progbits,_ZN7rocprim17ROCPRIM_400000_NS6detail17trampoline_kernelINS0_14default_configENS1_25transform_config_selectorIlLb1EEEZNS1_14transform_implILb1ES3_S5_PlS7_NS0_8identityIlEEEE10hipError_tT2_T3_mT4_P12ihipStream_tbEUlT_E_NS1_11comp_targetILNS1_3genE3ELNS1_11target_archE908ELNS1_3gpuE7ELNS1_3repE0EEENS1_30default_config_static_selectorELNS0_4arch9wavefront6targetE1EEEvT1_,comdat
	.protected	_ZN7rocprim17ROCPRIM_400000_NS6detail17trampoline_kernelINS0_14default_configENS1_25transform_config_selectorIlLb1EEEZNS1_14transform_implILb1ES3_S5_PlS7_NS0_8identityIlEEEE10hipError_tT2_T3_mT4_P12ihipStream_tbEUlT_E_NS1_11comp_targetILNS1_3genE3ELNS1_11target_archE908ELNS1_3gpuE7ELNS1_3repE0EEENS1_30default_config_static_selectorELNS0_4arch9wavefront6targetE1EEEvT1_ ; -- Begin function _ZN7rocprim17ROCPRIM_400000_NS6detail17trampoline_kernelINS0_14default_configENS1_25transform_config_selectorIlLb1EEEZNS1_14transform_implILb1ES3_S5_PlS7_NS0_8identityIlEEEE10hipError_tT2_T3_mT4_P12ihipStream_tbEUlT_E_NS1_11comp_targetILNS1_3genE3ELNS1_11target_archE908ELNS1_3gpuE7ELNS1_3repE0EEENS1_30default_config_static_selectorELNS0_4arch9wavefront6targetE1EEEvT1_
	.globl	_ZN7rocprim17ROCPRIM_400000_NS6detail17trampoline_kernelINS0_14default_configENS1_25transform_config_selectorIlLb1EEEZNS1_14transform_implILb1ES3_S5_PlS7_NS0_8identityIlEEEE10hipError_tT2_T3_mT4_P12ihipStream_tbEUlT_E_NS1_11comp_targetILNS1_3genE3ELNS1_11target_archE908ELNS1_3gpuE7ELNS1_3repE0EEENS1_30default_config_static_selectorELNS0_4arch9wavefront6targetE1EEEvT1_
	.p2align	8
	.type	_ZN7rocprim17ROCPRIM_400000_NS6detail17trampoline_kernelINS0_14default_configENS1_25transform_config_selectorIlLb1EEEZNS1_14transform_implILb1ES3_S5_PlS7_NS0_8identityIlEEEE10hipError_tT2_T3_mT4_P12ihipStream_tbEUlT_E_NS1_11comp_targetILNS1_3genE3ELNS1_11target_archE908ELNS1_3gpuE7ELNS1_3repE0EEENS1_30default_config_static_selectorELNS0_4arch9wavefront6targetE1EEEvT1_,@function
_ZN7rocprim17ROCPRIM_400000_NS6detail17trampoline_kernelINS0_14default_configENS1_25transform_config_selectorIlLb1EEEZNS1_14transform_implILb1ES3_S5_PlS7_NS0_8identityIlEEEE10hipError_tT2_T3_mT4_P12ihipStream_tbEUlT_E_NS1_11comp_targetILNS1_3genE3ELNS1_11target_archE908ELNS1_3gpuE7ELNS1_3repE0EEENS1_30default_config_static_selectorELNS0_4arch9wavefront6targetE1EEEvT1_: ; @_ZN7rocprim17ROCPRIM_400000_NS6detail17trampoline_kernelINS0_14default_configENS1_25transform_config_selectorIlLb1EEEZNS1_14transform_implILb1ES3_S5_PlS7_NS0_8identityIlEEEE10hipError_tT2_T3_mT4_P12ihipStream_tbEUlT_E_NS1_11comp_targetILNS1_3genE3ELNS1_11target_archE908ELNS1_3gpuE7ELNS1_3repE0EEENS1_30default_config_static_selectorELNS0_4arch9wavefront6targetE1EEEvT1_
; %bb.0:
	.section	.rodata,"a",@progbits
	.p2align	6, 0x0
	.amdhsa_kernel _ZN7rocprim17ROCPRIM_400000_NS6detail17trampoline_kernelINS0_14default_configENS1_25transform_config_selectorIlLb1EEEZNS1_14transform_implILb1ES3_S5_PlS7_NS0_8identityIlEEEE10hipError_tT2_T3_mT4_P12ihipStream_tbEUlT_E_NS1_11comp_targetILNS1_3genE3ELNS1_11target_archE908ELNS1_3gpuE7ELNS1_3repE0EEENS1_30default_config_static_selectorELNS0_4arch9wavefront6targetE1EEEvT1_
		.amdhsa_group_segment_fixed_size 0
		.amdhsa_private_segment_fixed_size 0
		.amdhsa_kernarg_size 40
		.amdhsa_user_sgpr_count 6
		.amdhsa_user_sgpr_private_segment_buffer 1
		.amdhsa_user_sgpr_dispatch_ptr 0
		.amdhsa_user_sgpr_queue_ptr 0
		.amdhsa_user_sgpr_kernarg_segment_ptr 1
		.amdhsa_user_sgpr_dispatch_id 0
		.amdhsa_user_sgpr_flat_scratch_init 0
		.amdhsa_user_sgpr_kernarg_preload_length 0
		.amdhsa_user_sgpr_kernarg_preload_offset 0
		.amdhsa_user_sgpr_private_segment_size 0
		.amdhsa_uses_dynamic_stack 0
		.amdhsa_system_sgpr_private_segment_wavefront_offset 0
		.amdhsa_system_sgpr_workgroup_id_x 1
		.amdhsa_system_sgpr_workgroup_id_y 0
		.amdhsa_system_sgpr_workgroup_id_z 0
		.amdhsa_system_sgpr_workgroup_info 0
		.amdhsa_system_vgpr_workitem_id 0
		.amdhsa_next_free_vgpr 1
		.amdhsa_next_free_sgpr 0
		.amdhsa_accum_offset 4
		.amdhsa_reserve_vcc 0
		.amdhsa_reserve_flat_scratch 0
		.amdhsa_float_round_mode_32 0
		.amdhsa_float_round_mode_16_64 0
		.amdhsa_float_denorm_mode_32 3
		.amdhsa_float_denorm_mode_16_64 3
		.amdhsa_dx10_clamp 1
		.amdhsa_ieee_mode 1
		.amdhsa_fp16_overflow 0
		.amdhsa_tg_split 0
		.amdhsa_exception_fp_ieee_invalid_op 0
		.amdhsa_exception_fp_denorm_src 0
		.amdhsa_exception_fp_ieee_div_zero 0
		.amdhsa_exception_fp_ieee_overflow 0
		.amdhsa_exception_fp_ieee_underflow 0
		.amdhsa_exception_fp_ieee_inexact 0
		.amdhsa_exception_int_div_zero 0
	.end_amdhsa_kernel
	.section	.text._ZN7rocprim17ROCPRIM_400000_NS6detail17trampoline_kernelINS0_14default_configENS1_25transform_config_selectorIlLb1EEEZNS1_14transform_implILb1ES3_S5_PlS7_NS0_8identityIlEEEE10hipError_tT2_T3_mT4_P12ihipStream_tbEUlT_E_NS1_11comp_targetILNS1_3genE3ELNS1_11target_archE908ELNS1_3gpuE7ELNS1_3repE0EEENS1_30default_config_static_selectorELNS0_4arch9wavefront6targetE1EEEvT1_,"axG",@progbits,_ZN7rocprim17ROCPRIM_400000_NS6detail17trampoline_kernelINS0_14default_configENS1_25transform_config_selectorIlLb1EEEZNS1_14transform_implILb1ES3_S5_PlS7_NS0_8identityIlEEEE10hipError_tT2_T3_mT4_P12ihipStream_tbEUlT_E_NS1_11comp_targetILNS1_3genE3ELNS1_11target_archE908ELNS1_3gpuE7ELNS1_3repE0EEENS1_30default_config_static_selectorELNS0_4arch9wavefront6targetE1EEEvT1_,comdat
.Lfunc_end824:
	.size	_ZN7rocprim17ROCPRIM_400000_NS6detail17trampoline_kernelINS0_14default_configENS1_25transform_config_selectorIlLb1EEEZNS1_14transform_implILb1ES3_S5_PlS7_NS0_8identityIlEEEE10hipError_tT2_T3_mT4_P12ihipStream_tbEUlT_E_NS1_11comp_targetILNS1_3genE3ELNS1_11target_archE908ELNS1_3gpuE7ELNS1_3repE0EEENS1_30default_config_static_selectorELNS0_4arch9wavefront6targetE1EEEvT1_, .Lfunc_end824-_ZN7rocprim17ROCPRIM_400000_NS6detail17trampoline_kernelINS0_14default_configENS1_25transform_config_selectorIlLb1EEEZNS1_14transform_implILb1ES3_S5_PlS7_NS0_8identityIlEEEE10hipError_tT2_T3_mT4_P12ihipStream_tbEUlT_E_NS1_11comp_targetILNS1_3genE3ELNS1_11target_archE908ELNS1_3gpuE7ELNS1_3repE0EEENS1_30default_config_static_selectorELNS0_4arch9wavefront6targetE1EEEvT1_
                                        ; -- End function
	.section	.AMDGPU.csdata,"",@progbits
; Kernel info:
; codeLenInByte = 0
; NumSgprs: 4
; NumVgprs: 0
; NumAgprs: 0
; TotalNumVgprs: 0
; ScratchSize: 0
; MemoryBound: 0
; FloatMode: 240
; IeeeMode: 1
; LDSByteSize: 0 bytes/workgroup (compile time only)
; SGPRBlocks: 0
; VGPRBlocks: 0
; NumSGPRsForWavesPerEU: 4
; NumVGPRsForWavesPerEU: 1
; AccumOffset: 4
; Occupancy: 8
; WaveLimiterHint : 0
; COMPUTE_PGM_RSRC2:SCRATCH_EN: 0
; COMPUTE_PGM_RSRC2:USER_SGPR: 6
; COMPUTE_PGM_RSRC2:TRAP_HANDLER: 0
; COMPUTE_PGM_RSRC2:TGID_X_EN: 1
; COMPUTE_PGM_RSRC2:TGID_Y_EN: 0
; COMPUTE_PGM_RSRC2:TGID_Z_EN: 0
; COMPUTE_PGM_RSRC2:TIDIG_COMP_CNT: 0
; COMPUTE_PGM_RSRC3_GFX90A:ACCUM_OFFSET: 0
; COMPUTE_PGM_RSRC3_GFX90A:TG_SPLIT: 0
	.section	.text._ZN7rocprim17ROCPRIM_400000_NS6detail17trampoline_kernelINS0_14default_configENS1_25transform_config_selectorIlLb1EEEZNS1_14transform_implILb1ES3_S5_PlS7_NS0_8identityIlEEEE10hipError_tT2_T3_mT4_P12ihipStream_tbEUlT_E_NS1_11comp_targetILNS1_3genE2ELNS1_11target_archE906ELNS1_3gpuE6ELNS1_3repE0EEENS1_30default_config_static_selectorELNS0_4arch9wavefront6targetE1EEEvT1_,"axG",@progbits,_ZN7rocprim17ROCPRIM_400000_NS6detail17trampoline_kernelINS0_14default_configENS1_25transform_config_selectorIlLb1EEEZNS1_14transform_implILb1ES3_S5_PlS7_NS0_8identityIlEEEE10hipError_tT2_T3_mT4_P12ihipStream_tbEUlT_E_NS1_11comp_targetILNS1_3genE2ELNS1_11target_archE906ELNS1_3gpuE6ELNS1_3repE0EEENS1_30default_config_static_selectorELNS0_4arch9wavefront6targetE1EEEvT1_,comdat
	.protected	_ZN7rocprim17ROCPRIM_400000_NS6detail17trampoline_kernelINS0_14default_configENS1_25transform_config_selectorIlLb1EEEZNS1_14transform_implILb1ES3_S5_PlS7_NS0_8identityIlEEEE10hipError_tT2_T3_mT4_P12ihipStream_tbEUlT_E_NS1_11comp_targetILNS1_3genE2ELNS1_11target_archE906ELNS1_3gpuE6ELNS1_3repE0EEENS1_30default_config_static_selectorELNS0_4arch9wavefront6targetE1EEEvT1_ ; -- Begin function _ZN7rocprim17ROCPRIM_400000_NS6detail17trampoline_kernelINS0_14default_configENS1_25transform_config_selectorIlLb1EEEZNS1_14transform_implILb1ES3_S5_PlS7_NS0_8identityIlEEEE10hipError_tT2_T3_mT4_P12ihipStream_tbEUlT_E_NS1_11comp_targetILNS1_3genE2ELNS1_11target_archE906ELNS1_3gpuE6ELNS1_3repE0EEENS1_30default_config_static_selectorELNS0_4arch9wavefront6targetE1EEEvT1_
	.globl	_ZN7rocprim17ROCPRIM_400000_NS6detail17trampoline_kernelINS0_14default_configENS1_25transform_config_selectorIlLb1EEEZNS1_14transform_implILb1ES3_S5_PlS7_NS0_8identityIlEEEE10hipError_tT2_T3_mT4_P12ihipStream_tbEUlT_E_NS1_11comp_targetILNS1_3genE2ELNS1_11target_archE906ELNS1_3gpuE6ELNS1_3repE0EEENS1_30default_config_static_selectorELNS0_4arch9wavefront6targetE1EEEvT1_
	.p2align	8
	.type	_ZN7rocprim17ROCPRIM_400000_NS6detail17trampoline_kernelINS0_14default_configENS1_25transform_config_selectorIlLb1EEEZNS1_14transform_implILb1ES3_S5_PlS7_NS0_8identityIlEEEE10hipError_tT2_T3_mT4_P12ihipStream_tbEUlT_E_NS1_11comp_targetILNS1_3genE2ELNS1_11target_archE906ELNS1_3gpuE6ELNS1_3repE0EEENS1_30default_config_static_selectorELNS0_4arch9wavefront6targetE1EEEvT1_,@function
_ZN7rocprim17ROCPRIM_400000_NS6detail17trampoline_kernelINS0_14default_configENS1_25transform_config_selectorIlLb1EEEZNS1_14transform_implILb1ES3_S5_PlS7_NS0_8identityIlEEEE10hipError_tT2_T3_mT4_P12ihipStream_tbEUlT_E_NS1_11comp_targetILNS1_3genE2ELNS1_11target_archE906ELNS1_3gpuE6ELNS1_3repE0EEENS1_30default_config_static_selectorELNS0_4arch9wavefront6targetE1EEEvT1_: ; @_ZN7rocprim17ROCPRIM_400000_NS6detail17trampoline_kernelINS0_14default_configENS1_25transform_config_selectorIlLb1EEEZNS1_14transform_implILb1ES3_S5_PlS7_NS0_8identityIlEEEE10hipError_tT2_T3_mT4_P12ihipStream_tbEUlT_E_NS1_11comp_targetILNS1_3genE2ELNS1_11target_archE906ELNS1_3gpuE6ELNS1_3repE0EEENS1_30default_config_static_selectorELNS0_4arch9wavefront6targetE1EEEvT1_
; %bb.0:
	.section	.rodata,"a",@progbits
	.p2align	6, 0x0
	.amdhsa_kernel _ZN7rocprim17ROCPRIM_400000_NS6detail17trampoline_kernelINS0_14default_configENS1_25transform_config_selectorIlLb1EEEZNS1_14transform_implILb1ES3_S5_PlS7_NS0_8identityIlEEEE10hipError_tT2_T3_mT4_P12ihipStream_tbEUlT_E_NS1_11comp_targetILNS1_3genE2ELNS1_11target_archE906ELNS1_3gpuE6ELNS1_3repE0EEENS1_30default_config_static_selectorELNS0_4arch9wavefront6targetE1EEEvT1_
		.amdhsa_group_segment_fixed_size 0
		.amdhsa_private_segment_fixed_size 0
		.amdhsa_kernarg_size 40
		.amdhsa_user_sgpr_count 6
		.amdhsa_user_sgpr_private_segment_buffer 1
		.amdhsa_user_sgpr_dispatch_ptr 0
		.amdhsa_user_sgpr_queue_ptr 0
		.amdhsa_user_sgpr_kernarg_segment_ptr 1
		.amdhsa_user_sgpr_dispatch_id 0
		.amdhsa_user_sgpr_flat_scratch_init 0
		.amdhsa_user_sgpr_kernarg_preload_length 0
		.amdhsa_user_sgpr_kernarg_preload_offset 0
		.amdhsa_user_sgpr_private_segment_size 0
		.amdhsa_uses_dynamic_stack 0
		.amdhsa_system_sgpr_private_segment_wavefront_offset 0
		.amdhsa_system_sgpr_workgroup_id_x 1
		.amdhsa_system_sgpr_workgroup_id_y 0
		.amdhsa_system_sgpr_workgroup_id_z 0
		.amdhsa_system_sgpr_workgroup_info 0
		.amdhsa_system_vgpr_workitem_id 0
		.amdhsa_next_free_vgpr 1
		.amdhsa_next_free_sgpr 0
		.amdhsa_accum_offset 4
		.amdhsa_reserve_vcc 0
		.amdhsa_reserve_flat_scratch 0
		.amdhsa_float_round_mode_32 0
		.amdhsa_float_round_mode_16_64 0
		.amdhsa_float_denorm_mode_32 3
		.amdhsa_float_denorm_mode_16_64 3
		.amdhsa_dx10_clamp 1
		.amdhsa_ieee_mode 1
		.amdhsa_fp16_overflow 0
		.amdhsa_tg_split 0
		.amdhsa_exception_fp_ieee_invalid_op 0
		.amdhsa_exception_fp_denorm_src 0
		.amdhsa_exception_fp_ieee_div_zero 0
		.amdhsa_exception_fp_ieee_overflow 0
		.amdhsa_exception_fp_ieee_underflow 0
		.amdhsa_exception_fp_ieee_inexact 0
		.amdhsa_exception_int_div_zero 0
	.end_amdhsa_kernel
	.section	.text._ZN7rocprim17ROCPRIM_400000_NS6detail17trampoline_kernelINS0_14default_configENS1_25transform_config_selectorIlLb1EEEZNS1_14transform_implILb1ES3_S5_PlS7_NS0_8identityIlEEEE10hipError_tT2_T3_mT4_P12ihipStream_tbEUlT_E_NS1_11comp_targetILNS1_3genE2ELNS1_11target_archE906ELNS1_3gpuE6ELNS1_3repE0EEENS1_30default_config_static_selectorELNS0_4arch9wavefront6targetE1EEEvT1_,"axG",@progbits,_ZN7rocprim17ROCPRIM_400000_NS6detail17trampoline_kernelINS0_14default_configENS1_25transform_config_selectorIlLb1EEEZNS1_14transform_implILb1ES3_S5_PlS7_NS0_8identityIlEEEE10hipError_tT2_T3_mT4_P12ihipStream_tbEUlT_E_NS1_11comp_targetILNS1_3genE2ELNS1_11target_archE906ELNS1_3gpuE6ELNS1_3repE0EEENS1_30default_config_static_selectorELNS0_4arch9wavefront6targetE1EEEvT1_,comdat
.Lfunc_end825:
	.size	_ZN7rocprim17ROCPRIM_400000_NS6detail17trampoline_kernelINS0_14default_configENS1_25transform_config_selectorIlLb1EEEZNS1_14transform_implILb1ES3_S5_PlS7_NS0_8identityIlEEEE10hipError_tT2_T3_mT4_P12ihipStream_tbEUlT_E_NS1_11comp_targetILNS1_3genE2ELNS1_11target_archE906ELNS1_3gpuE6ELNS1_3repE0EEENS1_30default_config_static_selectorELNS0_4arch9wavefront6targetE1EEEvT1_, .Lfunc_end825-_ZN7rocprim17ROCPRIM_400000_NS6detail17trampoline_kernelINS0_14default_configENS1_25transform_config_selectorIlLb1EEEZNS1_14transform_implILb1ES3_S5_PlS7_NS0_8identityIlEEEE10hipError_tT2_T3_mT4_P12ihipStream_tbEUlT_E_NS1_11comp_targetILNS1_3genE2ELNS1_11target_archE906ELNS1_3gpuE6ELNS1_3repE0EEENS1_30default_config_static_selectorELNS0_4arch9wavefront6targetE1EEEvT1_
                                        ; -- End function
	.section	.AMDGPU.csdata,"",@progbits
; Kernel info:
; codeLenInByte = 0
; NumSgprs: 4
; NumVgprs: 0
; NumAgprs: 0
; TotalNumVgprs: 0
; ScratchSize: 0
; MemoryBound: 0
; FloatMode: 240
; IeeeMode: 1
; LDSByteSize: 0 bytes/workgroup (compile time only)
; SGPRBlocks: 0
; VGPRBlocks: 0
; NumSGPRsForWavesPerEU: 4
; NumVGPRsForWavesPerEU: 1
; AccumOffset: 4
; Occupancy: 8
; WaveLimiterHint : 0
; COMPUTE_PGM_RSRC2:SCRATCH_EN: 0
; COMPUTE_PGM_RSRC2:USER_SGPR: 6
; COMPUTE_PGM_RSRC2:TRAP_HANDLER: 0
; COMPUTE_PGM_RSRC2:TGID_X_EN: 1
; COMPUTE_PGM_RSRC2:TGID_Y_EN: 0
; COMPUTE_PGM_RSRC2:TGID_Z_EN: 0
; COMPUTE_PGM_RSRC2:TIDIG_COMP_CNT: 0
; COMPUTE_PGM_RSRC3_GFX90A:ACCUM_OFFSET: 0
; COMPUTE_PGM_RSRC3_GFX90A:TG_SPLIT: 0
	.section	.text._ZN7rocprim17ROCPRIM_400000_NS6detail17trampoline_kernelINS0_14default_configENS1_25transform_config_selectorIlLb1EEEZNS1_14transform_implILb1ES3_S5_PlS7_NS0_8identityIlEEEE10hipError_tT2_T3_mT4_P12ihipStream_tbEUlT_E_NS1_11comp_targetILNS1_3genE9ELNS1_11target_archE1100ELNS1_3gpuE3ELNS1_3repE0EEENS1_30default_config_static_selectorELNS0_4arch9wavefront6targetE1EEEvT1_,"axG",@progbits,_ZN7rocprim17ROCPRIM_400000_NS6detail17trampoline_kernelINS0_14default_configENS1_25transform_config_selectorIlLb1EEEZNS1_14transform_implILb1ES3_S5_PlS7_NS0_8identityIlEEEE10hipError_tT2_T3_mT4_P12ihipStream_tbEUlT_E_NS1_11comp_targetILNS1_3genE9ELNS1_11target_archE1100ELNS1_3gpuE3ELNS1_3repE0EEENS1_30default_config_static_selectorELNS0_4arch9wavefront6targetE1EEEvT1_,comdat
	.protected	_ZN7rocprim17ROCPRIM_400000_NS6detail17trampoline_kernelINS0_14default_configENS1_25transform_config_selectorIlLb1EEEZNS1_14transform_implILb1ES3_S5_PlS7_NS0_8identityIlEEEE10hipError_tT2_T3_mT4_P12ihipStream_tbEUlT_E_NS1_11comp_targetILNS1_3genE9ELNS1_11target_archE1100ELNS1_3gpuE3ELNS1_3repE0EEENS1_30default_config_static_selectorELNS0_4arch9wavefront6targetE1EEEvT1_ ; -- Begin function _ZN7rocprim17ROCPRIM_400000_NS6detail17trampoline_kernelINS0_14default_configENS1_25transform_config_selectorIlLb1EEEZNS1_14transform_implILb1ES3_S5_PlS7_NS0_8identityIlEEEE10hipError_tT2_T3_mT4_P12ihipStream_tbEUlT_E_NS1_11comp_targetILNS1_3genE9ELNS1_11target_archE1100ELNS1_3gpuE3ELNS1_3repE0EEENS1_30default_config_static_selectorELNS0_4arch9wavefront6targetE1EEEvT1_
	.globl	_ZN7rocprim17ROCPRIM_400000_NS6detail17trampoline_kernelINS0_14default_configENS1_25transform_config_selectorIlLb1EEEZNS1_14transform_implILb1ES3_S5_PlS7_NS0_8identityIlEEEE10hipError_tT2_T3_mT4_P12ihipStream_tbEUlT_E_NS1_11comp_targetILNS1_3genE9ELNS1_11target_archE1100ELNS1_3gpuE3ELNS1_3repE0EEENS1_30default_config_static_selectorELNS0_4arch9wavefront6targetE1EEEvT1_
	.p2align	8
	.type	_ZN7rocprim17ROCPRIM_400000_NS6detail17trampoline_kernelINS0_14default_configENS1_25transform_config_selectorIlLb1EEEZNS1_14transform_implILb1ES3_S5_PlS7_NS0_8identityIlEEEE10hipError_tT2_T3_mT4_P12ihipStream_tbEUlT_E_NS1_11comp_targetILNS1_3genE9ELNS1_11target_archE1100ELNS1_3gpuE3ELNS1_3repE0EEENS1_30default_config_static_selectorELNS0_4arch9wavefront6targetE1EEEvT1_,@function
_ZN7rocprim17ROCPRIM_400000_NS6detail17trampoline_kernelINS0_14default_configENS1_25transform_config_selectorIlLb1EEEZNS1_14transform_implILb1ES3_S5_PlS7_NS0_8identityIlEEEE10hipError_tT2_T3_mT4_P12ihipStream_tbEUlT_E_NS1_11comp_targetILNS1_3genE9ELNS1_11target_archE1100ELNS1_3gpuE3ELNS1_3repE0EEENS1_30default_config_static_selectorELNS0_4arch9wavefront6targetE1EEEvT1_: ; @_ZN7rocprim17ROCPRIM_400000_NS6detail17trampoline_kernelINS0_14default_configENS1_25transform_config_selectorIlLb1EEEZNS1_14transform_implILb1ES3_S5_PlS7_NS0_8identityIlEEEE10hipError_tT2_T3_mT4_P12ihipStream_tbEUlT_E_NS1_11comp_targetILNS1_3genE9ELNS1_11target_archE1100ELNS1_3gpuE3ELNS1_3repE0EEENS1_30default_config_static_selectorELNS0_4arch9wavefront6targetE1EEEvT1_
; %bb.0:
	.section	.rodata,"a",@progbits
	.p2align	6, 0x0
	.amdhsa_kernel _ZN7rocprim17ROCPRIM_400000_NS6detail17trampoline_kernelINS0_14default_configENS1_25transform_config_selectorIlLb1EEEZNS1_14transform_implILb1ES3_S5_PlS7_NS0_8identityIlEEEE10hipError_tT2_T3_mT4_P12ihipStream_tbEUlT_E_NS1_11comp_targetILNS1_3genE9ELNS1_11target_archE1100ELNS1_3gpuE3ELNS1_3repE0EEENS1_30default_config_static_selectorELNS0_4arch9wavefront6targetE1EEEvT1_
		.amdhsa_group_segment_fixed_size 0
		.amdhsa_private_segment_fixed_size 0
		.amdhsa_kernarg_size 40
		.amdhsa_user_sgpr_count 6
		.amdhsa_user_sgpr_private_segment_buffer 1
		.amdhsa_user_sgpr_dispatch_ptr 0
		.amdhsa_user_sgpr_queue_ptr 0
		.amdhsa_user_sgpr_kernarg_segment_ptr 1
		.amdhsa_user_sgpr_dispatch_id 0
		.amdhsa_user_sgpr_flat_scratch_init 0
		.amdhsa_user_sgpr_kernarg_preload_length 0
		.amdhsa_user_sgpr_kernarg_preload_offset 0
		.amdhsa_user_sgpr_private_segment_size 0
		.amdhsa_uses_dynamic_stack 0
		.amdhsa_system_sgpr_private_segment_wavefront_offset 0
		.amdhsa_system_sgpr_workgroup_id_x 1
		.amdhsa_system_sgpr_workgroup_id_y 0
		.amdhsa_system_sgpr_workgroup_id_z 0
		.amdhsa_system_sgpr_workgroup_info 0
		.amdhsa_system_vgpr_workitem_id 0
		.amdhsa_next_free_vgpr 1
		.amdhsa_next_free_sgpr 0
		.amdhsa_accum_offset 4
		.amdhsa_reserve_vcc 0
		.amdhsa_reserve_flat_scratch 0
		.amdhsa_float_round_mode_32 0
		.amdhsa_float_round_mode_16_64 0
		.amdhsa_float_denorm_mode_32 3
		.amdhsa_float_denorm_mode_16_64 3
		.amdhsa_dx10_clamp 1
		.amdhsa_ieee_mode 1
		.amdhsa_fp16_overflow 0
		.amdhsa_tg_split 0
		.amdhsa_exception_fp_ieee_invalid_op 0
		.amdhsa_exception_fp_denorm_src 0
		.amdhsa_exception_fp_ieee_div_zero 0
		.amdhsa_exception_fp_ieee_overflow 0
		.amdhsa_exception_fp_ieee_underflow 0
		.amdhsa_exception_fp_ieee_inexact 0
		.amdhsa_exception_int_div_zero 0
	.end_amdhsa_kernel
	.section	.text._ZN7rocprim17ROCPRIM_400000_NS6detail17trampoline_kernelINS0_14default_configENS1_25transform_config_selectorIlLb1EEEZNS1_14transform_implILb1ES3_S5_PlS7_NS0_8identityIlEEEE10hipError_tT2_T3_mT4_P12ihipStream_tbEUlT_E_NS1_11comp_targetILNS1_3genE9ELNS1_11target_archE1100ELNS1_3gpuE3ELNS1_3repE0EEENS1_30default_config_static_selectorELNS0_4arch9wavefront6targetE1EEEvT1_,"axG",@progbits,_ZN7rocprim17ROCPRIM_400000_NS6detail17trampoline_kernelINS0_14default_configENS1_25transform_config_selectorIlLb1EEEZNS1_14transform_implILb1ES3_S5_PlS7_NS0_8identityIlEEEE10hipError_tT2_T3_mT4_P12ihipStream_tbEUlT_E_NS1_11comp_targetILNS1_3genE9ELNS1_11target_archE1100ELNS1_3gpuE3ELNS1_3repE0EEENS1_30default_config_static_selectorELNS0_4arch9wavefront6targetE1EEEvT1_,comdat
.Lfunc_end826:
	.size	_ZN7rocprim17ROCPRIM_400000_NS6detail17trampoline_kernelINS0_14default_configENS1_25transform_config_selectorIlLb1EEEZNS1_14transform_implILb1ES3_S5_PlS7_NS0_8identityIlEEEE10hipError_tT2_T3_mT4_P12ihipStream_tbEUlT_E_NS1_11comp_targetILNS1_3genE9ELNS1_11target_archE1100ELNS1_3gpuE3ELNS1_3repE0EEENS1_30default_config_static_selectorELNS0_4arch9wavefront6targetE1EEEvT1_, .Lfunc_end826-_ZN7rocprim17ROCPRIM_400000_NS6detail17trampoline_kernelINS0_14default_configENS1_25transform_config_selectorIlLb1EEEZNS1_14transform_implILb1ES3_S5_PlS7_NS0_8identityIlEEEE10hipError_tT2_T3_mT4_P12ihipStream_tbEUlT_E_NS1_11comp_targetILNS1_3genE9ELNS1_11target_archE1100ELNS1_3gpuE3ELNS1_3repE0EEENS1_30default_config_static_selectorELNS0_4arch9wavefront6targetE1EEEvT1_
                                        ; -- End function
	.section	.AMDGPU.csdata,"",@progbits
; Kernel info:
; codeLenInByte = 0
; NumSgprs: 4
; NumVgprs: 0
; NumAgprs: 0
; TotalNumVgprs: 0
; ScratchSize: 0
; MemoryBound: 0
; FloatMode: 240
; IeeeMode: 1
; LDSByteSize: 0 bytes/workgroup (compile time only)
; SGPRBlocks: 0
; VGPRBlocks: 0
; NumSGPRsForWavesPerEU: 4
; NumVGPRsForWavesPerEU: 1
; AccumOffset: 4
; Occupancy: 8
; WaveLimiterHint : 0
; COMPUTE_PGM_RSRC2:SCRATCH_EN: 0
; COMPUTE_PGM_RSRC2:USER_SGPR: 6
; COMPUTE_PGM_RSRC2:TRAP_HANDLER: 0
; COMPUTE_PGM_RSRC2:TGID_X_EN: 1
; COMPUTE_PGM_RSRC2:TGID_Y_EN: 0
; COMPUTE_PGM_RSRC2:TGID_Z_EN: 0
; COMPUTE_PGM_RSRC2:TIDIG_COMP_CNT: 0
; COMPUTE_PGM_RSRC3_GFX90A:ACCUM_OFFSET: 0
; COMPUTE_PGM_RSRC3_GFX90A:TG_SPLIT: 0
	.section	.text._ZN7rocprim17ROCPRIM_400000_NS6detail17trampoline_kernelINS0_14default_configENS1_25transform_config_selectorIlLb1EEEZNS1_14transform_implILb1ES3_S5_PlS7_NS0_8identityIlEEEE10hipError_tT2_T3_mT4_P12ihipStream_tbEUlT_E_NS1_11comp_targetILNS1_3genE8ELNS1_11target_archE1030ELNS1_3gpuE2ELNS1_3repE0EEENS1_30default_config_static_selectorELNS0_4arch9wavefront6targetE1EEEvT1_,"axG",@progbits,_ZN7rocprim17ROCPRIM_400000_NS6detail17trampoline_kernelINS0_14default_configENS1_25transform_config_selectorIlLb1EEEZNS1_14transform_implILb1ES3_S5_PlS7_NS0_8identityIlEEEE10hipError_tT2_T3_mT4_P12ihipStream_tbEUlT_E_NS1_11comp_targetILNS1_3genE8ELNS1_11target_archE1030ELNS1_3gpuE2ELNS1_3repE0EEENS1_30default_config_static_selectorELNS0_4arch9wavefront6targetE1EEEvT1_,comdat
	.protected	_ZN7rocprim17ROCPRIM_400000_NS6detail17trampoline_kernelINS0_14default_configENS1_25transform_config_selectorIlLb1EEEZNS1_14transform_implILb1ES3_S5_PlS7_NS0_8identityIlEEEE10hipError_tT2_T3_mT4_P12ihipStream_tbEUlT_E_NS1_11comp_targetILNS1_3genE8ELNS1_11target_archE1030ELNS1_3gpuE2ELNS1_3repE0EEENS1_30default_config_static_selectorELNS0_4arch9wavefront6targetE1EEEvT1_ ; -- Begin function _ZN7rocprim17ROCPRIM_400000_NS6detail17trampoline_kernelINS0_14default_configENS1_25transform_config_selectorIlLb1EEEZNS1_14transform_implILb1ES3_S5_PlS7_NS0_8identityIlEEEE10hipError_tT2_T3_mT4_P12ihipStream_tbEUlT_E_NS1_11comp_targetILNS1_3genE8ELNS1_11target_archE1030ELNS1_3gpuE2ELNS1_3repE0EEENS1_30default_config_static_selectorELNS0_4arch9wavefront6targetE1EEEvT1_
	.globl	_ZN7rocprim17ROCPRIM_400000_NS6detail17trampoline_kernelINS0_14default_configENS1_25transform_config_selectorIlLb1EEEZNS1_14transform_implILb1ES3_S5_PlS7_NS0_8identityIlEEEE10hipError_tT2_T3_mT4_P12ihipStream_tbEUlT_E_NS1_11comp_targetILNS1_3genE8ELNS1_11target_archE1030ELNS1_3gpuE2ELNS1_3repE0EEENS1_30default_config_static_selectorELNS0_4arch9wavefront6targetE1EEEvT1_
	.p2align	8
	.type	_ZN7rocprim17ROCPRIM_400000_NS6detail17trampoline_kernelINS0_14default_configENS1_25transform_config_selectorIlLb1EEEZNS1_14transform_implILb1ES3_S5_PlS7_NS0_8identityIlEEEE10hipError_tT2_T3_mT4_P12ihipStream_tbEUlT_E_NS1_11comp_targetILNS1_3genE8ELNS1_11target_archE1030ELNS1_3gpuE2ELNS1_3repE0EEENS1_30default_config_static_selectorELNS0_4arch9wavefront6targetE1EEEvT1_,@function
_ZN7rocprim17ROCPRIM_400000_NS6detail17trampoline_kernelINS0_14default_configENS1_25transform_config_selectorIlLb1EEEZNS1_14transform_implILb1ES3_S5_PlS7_NS0_8identityIlEEEE10hipError_tT2_T3_mT4_P12ihipStream_tbEUlT_E_NS1_11comp_targetILNS1_3genE8ELNS1_11target_archE1030ELNS1_3gpuE2ELNS1_3repE0EEENS1_30default_config_static_selectorELNS0_4arch9wavefront6targetE1EEEvT1_: ; @_ZN7rocprim17ROCPRIM_400000_NS6detail17trampoline_kernelINS0_14default_configENS1_25transform_config_selectorIlLb1EEEZNS1_14transform_implILb1ES3_S5_PlS7_NS0_8identityIlEEEE10hipError_tT2_T3_mT4_P12ihipStream_tbEUlT_E_NS1_11comp_targetILNS1_3genE8ELNS1_11target_archE1030ELNS1_3gpuE2ELNS1_3repE0EEENS1_30default_config_static_selectorELNS0_4arch9wavefront6targetE1EEEvT1_
; %bb.0:
	.section	.rodata,"a",@progbits
	.p2align	6, 0x0
	.amdhsa_kernel _ZN7rocprim17ROCPRIM_400000_NS6detail17trampoline_kernelINS0_14default_configENS1_25transform_config_selectorIlLb1EEEZNS1_14transform_implILb1ES3_S5_PlS7_NS0_8identityIlEEEE10hipError_tT2_T3_mT4_P12ihipStream_tbEUlT_E_NS1_11comp_targetILNS1_3genE8ELNS1_11target_archE1030ELNS1_3gpuE2ELNS1_3repE0EEENS1_30default_config_static_selectorELNS0_4arch9wavefront6targetE1EEEvT1_
		.amdhsa_group_segment_fixed_size 0
		.amdhsa_private_segment_fixed_size 0
		.amdhsa_kernarg_size 40
		.amdhsa_user_sgpr_count 6
		.amdhsa_user_sgpr_private_segment_buffer 1
		.amdhsa_user_sgpr_dispatch_ptr 0
		.amdhsa_user_sgpr_queue_ptr 0
		.amdhsa_user_sgpr_kernarg_segment_ptr 1
		.amdhsa_user_sgpr_dispatch_id 0
		.amdhsa_user_sgpr_flat_scratch_init 0
		.amdhsa_user_sgpr_kernarg_preload_length 0
		.amdhsa_user_sgpr_kernarg_preload_offset 0
		.amdhsa_user_sgpr_private_segment_size 0
		.amdhsa_uses_dynamic_stack 0
		.amdhsa_system_sgpr_private_segment_wavefront_offset 0
		.amdhsa_system_sgpr_workgroup_id_x 1
		.amdhsa_system_sgpr_workgroup_id_y 0
		.amdhsa_system_sgpr_workgroup_id_z 0
		.amdhsa_system_sgpr_workgroup_info 0
		.amdhsa_system_vgpr_workitem_id 0
		.amdhsa_next_free_vgpr 1
		.amdhsa_next_free_sgpr 0
		.amdhsa_accum_offset 4
		.amdhsa_reserve_vcc 0
		.amdhsa_reserve_flat_scratch 0
		.amdhsa_float_round_mode_32 0
		.amdhsa_float_round_mode_16_64 0
		.amdhsa_float_denorm_mode_32 3
		.amdhsa_float_denorm_mode_16_64 3
		.amdhsa_dx10_clamp 1
		.amdhsa_ieee_mode 1
		.amdhsa_fp16_overflow 0
		.amdhsa_tg_split 0
		.amdhsa_exception_fp_ieee_invalid_op 0
		.amdhsa_exception_fp_denorm_src 0
		.amdhsa_exception_fp_ieee_div_zero 0
		.amdhsa_exception_fp_ieee_overflow 0
		.amdhsa_exception_fp_ieee_underflow 0
		.amdhsa_exception_fp_ieee_inexact 0
		.amdhsa_exception_int_div_zero 0
	.end_amdhsa_kernel
	.section	.text._ZN7rocprim17ROCPRIM_400000_NS6detail17trampoline_kernelINS0_14default_configENS1_25transform_config_selectorIlLb1EEEZNS1_14transform_implILb1ES3_S5_PlS7_NS0_8identityIlEEEE10hipError_tT2_T3_mT4_P12ihipStream_tbEUlT_E_NS1_11comp_targetILNS1_3genE8ELNS1_11target_archE1030ELNS1_3gpuE2ELNS1_3repE0EEENS1_30default_config_static_selectorELNS0_4arch9wavefront6targetE1EEEvT1_,"axG",@progbits,_ZN7rocprim17ROCPRIM_400000_NS6detail17trampoline_kernelINS0_14default_configENS1_25transform_config_selectorIlLb1EEEZNS1_14transform_implILb1ES3_S5_PlS7_NS0_8identityIlEEEE10hipError_tT2_T3_mT4_P12ihipStream_tbEUlT_E_NS1_11comp_targetILNS1_3genE8ELNS1_11target_archE1030ELNS1_3gpuE2ELNS1_3repE0EEENS1_30default_config_static_selectorELNS0_4arch9wavefront6targetE1EEEvT1_,comdat
.Lfunc_end827:
	.size	_ZN7rocprim17ROCPRIM_400000_NS6detail17trampoline_kernelINS0_14default_configENS1_25transform_config_selectorIlLb1EEEZNS1_14transform_implILb1ES3_S5_PlS7_NS0_8identityIlEEEE10hipError_tT2_T3_mT4_P12ihipStream_tbEUlT_E_NS1_11comp_targetILNS1_3genE8ELNS1_11target_archE1030ELNS1_3gpuE2ELNS1_3repE0EEENS1_30default_config_static_selectorELNS0_4arch9wavefront6targetE1EEEvT1_, .Lfunc_end827-_ZN7rocprim17ROCPRIM_400000_NS6detail17trampoline_kernelINS0_14default_configENS1_25transform_config_selectorIlLb1EEEZNS1_14transform_implILb1ES3_S5_PlS7_NS0_8identityIlEEEE10hipError_tT2_T3_mT4_P12ihipStream_tbEUlT_E_NS1_11comp_targetILNS1_3genE8ELNS1_11target_archE1030ELNS1_3gpuE2ELNS1_3repE0EEENS1_30default_config_static_selectorELNS0_4arch9wavefront6targetE1EEEvT1_
                                        ; -- End function
	.section	.AMDGPU.csdata,"",@progbits
; Kernel info:
; codeLenInByte = 0
; NumSgprs: 4
; NumVgprs: 0
; NumAgprs: 0
; TotalNumVgprs: 0
; ScratchSize: 0
; MemoryBound: 0
; FloatMode: 240
; IeeeMode: 1
; LDSByteSize: 0 bytes/workgroup (compile time only)
; SGPRBlocks: 0
; VGPRBlocks: 0
; NumSGPRsForWavesPerEU: 4
; NumVGPRsForWavesPerEU: 1
; AccumOffset: 4
; Occupancy: 8
; WaveLimiterHint : 0
; COMPUTE_PGM_RSRC2:SCRATCH_EN: 0
; COMPUTE_PGM_RSRC2:USER_SGPR: 6
; COMPUTE_PGM_RSRC2:TRAP_HANDLER: 0
; COMPUTE_PGM_RSRC2:TGID_X_EN: 1
; COMPUTE_PGM_RSRC2:TGID_Y_EN: 0
; COMPUTE_PGM_RSRC2:TGID_Z_EN: 0
; COMPUTE_PGM_RSRC2:TIDIG_COMP_CNT: 0
; COMPUTE_PGM_RSRC3_GFX90A:ACCUM_OFFSET: 0
; COMPUTE_PGM_RSRC3_GFX90A:TG_SPLIT: 0
	.section	.text._ZN7rocprim17ROCPRIM_400000_NS6detail17trampoline_kernelINS0_14default_configENS1_38merge_sort_block_merge_config_selectorIlNS0_10empty_typeEEEZZNS1_27merge_sort_block_merge_implIS3_PlPS5_jNS1_19radix_merge_compareILb0ELb1ElNS0_19identity_decomposerEEEEE10hipError_tT0_T1_T2_jT3_P12ihipStream_tbPNSt15iterator_traitsISE_E10value_typeEPNSK_ISF_E10value_typeEPSG_NS1_7vsmem_tEENKUlT_SE_SF_SG_E_clIS8_S8_S9_S9_EESD_ST_SE_SF_SG_EUlST_E_NS1_11comp_targetILNS1_3genE0ELNS1_11target_archE4294967295ELNS1_3gpuE0ELNS1_3repE0EEENS1_48merge_mergepath_partition_config_static_selectorELNS0_4arch9wavefront6targetE1EEEvSF_,"axG",@progbits,_ZN7rocprim17ROCPRIM_400000_NS6detail17trampoline_kernelINS0_14default_configENS1_38merge_sort_block_merge_config_selectorIlNS0_10empty_typeEEEZZNS1_27merge_sort_block_merge_implIS3_PlPS5_jNS1_19radix_merge_compareILb0ELb1ElNS0_19identity_decomposerEEEEE10hipError_tT0_T1_T2_jT3_P12ihipStream_tbPNSt15iterator_traitsISE_E10value_typeEPNSK_ISF_E10value_typeEPSG_NS1_7vsmem_tEENKUlT_SE_SF_SG_E_clIS8_S8_S9_S9_EESD_ST_SE_SF_SG_EUlST_E_NS1_11comp_targetILNS1_3genE0ELNS1_11target_archE4294967295ELNS1_3gpuE0ELNS1_3repE0EEENS1_48merge_mergepath_partition_config_static_selectorELNS0_4arch9wavefront6targetE1EEEvSF_,comdat
	.protected	_ZN7rocprim17ROCPRIM_400000_NS6detail17trampoline_kernelINS0_14default_configENS1_38merge_sort_block_merge_config_selectorIlNS0_10empty_typeEEEZZNS1_27merge_sort_block_merge_implIS3_PlPS5_jNS1_19radix_merge_compareILb0ELb1ElNS0_19identity_decomposerEEEEE10hipError_tT0_T1_T2_jT3_P12ihipStream_tbPNSt15iterator_traitsISE_E10value_typeEPNSK_ISF_E10value_typeEPSG_NS1_7vsmem_tEENKUlT_SE_SF_SG_E_clIS8_S8_S9_S9_EESD_ST_SE_SF_SG_EUlST_E_NS1_11comp_targetILNS1_3genE0ELNS1_11target_archE4294967295ELNS1_3gpuE0ELNS1_3repE0EEENS1_48merge_mergepath_partition_config_static_selectorELNS0_4arch9wavefront6targetE1EEEvSF_ ; -- Begin function _ZN7rocprim17ROCPRIM_400000_NS6detail17trampoline_kernelINS0_14default_configENS1_38merge_sort_block_merge_config_selectorIlNS0_10empty_typeEEEZZNS1_27merge_sort_block_merge_implIS3_PlPS5_jNS1_19radix_merge_compareILb0ELb1ElNS0_19identity_decomposerEEEEE10hipError_tT0_T1_T2_jT3_P12ihipStream_tbPNSt15iterator_traitsISE_E10value_typeEPNSK_ISF_E10value_typeEPSG_NS1_7vsmem_tEENKUlT_SE_SF_SG_E_clIS8_S8_S9_S9_EESD_ST_SE_SF_SG_EUlST_E_NS1_11comp_targetILNS1_3genE0ELNS1_11target_archE4294967295ELNS1_3gpuE0ELNS1_3repE0EEENS1_48merge_mergepath_partition_config_static_selectorELNS0_4arch9wavefront6targetE1EEEvSF_
	.globl	_ZN7rocprim17ROCPRIM_400000_NS6detail17trampoline_kernelINS0_14default_configENS1_38merge_sort_block_merge_config_selectorIlNS0_10empty_typeEEEZZNS1_27merge_sort_block_merge_implIS3_PlPS5_jNS1_19radix_merge_compareILb0ELb1ElNS0_19identity_decomposerEEEEE10hipError_tT0_T1_T2_jT3_P12ihipStream_tbPNSt15iterator_traitsISE_E10value_typeEPNSK_ISF_E10value_typeEPSG_NS1_7vsmem_tEENKUlT_SE_SF_SG_E_clIS8_S8_S9_S9_EESD_ST_SE_SF_SG_EUlST_E_NS1_11comp_targetILNS1_3genE0ELNS1_11target_archE4294967295ELNS1_3gpuE0ELNS1_3repE0EEENS1_48merge_mergepath_partition_config_static_selectorELNS0_4arch9wavefront6targetE1EEEvSF_
	.p2align	8
	.type	_ZN7rocprim17ROCPRIM_400000_NS6detail17trampoline_kernelINS0_14default_configENS1_38merge_sort_block_merge_config_selectorIlNS0_10empty_typeEEEZZNS1_27merge_sort_block_merge_implIS3_PlPS5_jNS1_19radix_merge_compareILb0ELb1ElNS0_19identity_decomposerEEEEE10hipError_tT0_T1_T2_jT3_P12ihipStream_tbPNSt15iterator_traitsISE_E10value_typeEPNSK_ISF_E10value_typeEPSG_NS1_7vsmem_tEENKUlT_SE_SF_SG_E_clIS8_S8_S9_S9_EESD_ST_SE_SF_SG_EUlST_E_NS1_11comp_targetILNS1_3genE0ELNS1_11target_archE4294967295ELNS1_3gpuE0ELNS1_3repE0EEENS1_48merge_mergepath_partition_config_static_selectorELNS0_4arch9wavefront6targetE1EEEvSF_,@function
_ZN7rocprim17ROCPRIM_400000_NS6detail17trampoline_kernelINS0_14default_configENS1_38merge_sort_block_merge_config_selectorIlNS0_10empty_typeEEEZZNS1_27merge_sort_block_merge_implIS3_PlPS5_jNS1_19radix_merge_compareILb0ELb1ElNS0_19identity_decomposerEEEEE10hipError_tT0_T1_T2_jT3_P12ihipStream_tbPNSt15iterator_traitsISE_E10value_typeEPNSK_ISF_E10value_typeEPSG_NS1_7vsmem_tEENKUlT_SE_SF_SG_E_clIS8_S8_S9_S9_EESD_ST_SE_SF_SG_EUlST_E_NS1_11comp_targetILNS1_3genE0ELNS1_11target_archE4294967295ELNS1_3gpuE0ELNS1_3repE0EEENS1_48merge_mergepath_partition_config_static_selectorELNS0_4arch9wavefront6targetE1EEEvSF_: ; @_ZN7rocprim17ROCPRIM_400000_NS6detail17trampoline_kernelINS0_14default_configENS1_38merge_sort_block_merge_config_selectorIlNS0_10empty_typeEEEZZNS1_27merge_sort_block_merge_implIS3_PlPS5_jNS1_19radix_merge_compareILb0ELb1ElNS0_19identity_decomposerEEEEE10hipError_tT0_T1_T2_jT3_P12ihipStream_tbPNSt15iterator_traitsISE_E10value_typeEPNSK_ISF_E10value_typeEPSG_NS1_7vsmem_tEENKUlT_SE_SF_SG_E_clIS8_S8_S9_S9_EESD_ST_SE_SF_SG_EUlST_E_NS1_11comp_targetILNS1_3genE0ELNS1_11target_archE4294967295ELNS1_3gpuE0ELNS1_3repE0EEENS1_48merge_mergepath_partition_config_static_selectorELNS0_4arch9wavefront6targetE1EEEvSF_
; %bb.0:
	.section	.rodata,"a",@progbits
	.p2align	6, 0x0
	.amdhsa_kernel _ZN7rocprim17ROCPRIM_400000_NS6detail17trampoline_kernelINS0_14default_configENS1_38merge_sort_block_merge_config_selectorIlNS0_10empty_typeEEEZZNS1_27merge_sort_block_merge_implIS3_PlPS5_jNS1_19radix_merge_compareILb0ELb1ElNS0_19identity_decomposerEEEEE10hipError_tT0_T1_T2_jT3_P12ihipStream_tbPNSt15iterator_traitsISE_E10value_typeEPNSK_ISF_E10value_typeEPSG_NS1_7vsmem_tEENKUlT_SE_SF_SG_E_clIS8_S8_S9_S9_EESD_ST_SE_SF_SG_EUlST_E_NS1_11comp_targetILNS1_3genE0ELNS1_11target_archE4294967295ELNS1_3gpuE0ELNS1_3repE0EEENS1_48merge_mergepath_partition_config_static_selectorELNS0_4arch9wavefront6targetE1EEEvSF_
		.amdhsa_group_segment_fixed_size 0
		.amdhsa_private_segment_fixed_size 0
		.amdhsa_kernarg_size 40
		.amdhsa_user_sgpr_count 6
		.amdhsa_user_sgpr_private_segment_buffer 1
		.amdhsa_user_sgpr_dispatch_ptr 0
		.amdhsa_user_sgpr_queue_ptr 0
		.amdhsa_user_sgpr_kernarg_segment_ptr 1
		.amdhsa_user_sgpr_dispatch_id 0
		.amdhsa_user_sgpr_flat_scratch_init 0
		.amdhsa_user_sgpr_kernarg_preload_length 0
		.amdhsa_user_sgpr_kernarg_preload_offset 0
		.amdhsa_user_sgpr_private_segment_size 0
		.amdhsa_uses_dynamic_stack 0
		.amdhsa_system_sgpr_private_segment_wavefront_offset 0
		.amdhsa_system_sgpr_workgroup_id_x 1
		.amdhsa_system_sgpr_workgroup_id_y 0
		.amdhsa_system_sgpr_workgroup_id_z 0
		.amdhsa_system_sgpr_workgroup_info 0
		.amdhsa_system_vgpr_workitem_id 0
		.amdhsa_next_free_vgpr 1
		.amdhsa_next_free_sgpr 0
		.amdhsa_accum_offset 4
		.amdhsa_reserve_vcc 0
		.amdhsa_reserve_flat_scratch 0
		.amdhsa_float_round_mode_32 0
		.amdhsa_float_round_mode_16_64 0
		.amdhsa_float_denorm_mode_32 3
		.amdhsa_float_denorm_mode_16_64 3
		.amdhsa_dx10_clamp 1
		.amdhsa_ieee_mode 1
		.amdhsa_fp16_overflow 0
		.amdhsa_tg_split 0
		.amdhsa_exception_fp_ieee_invalid_op 0
		.amdhsa_exception_fp_denorm_src 0
		.amdhsa_exception_fp_ieee_div_zero 0
		.amdhsa_exception_fp_ieee_overflow 0
		.amdhsa_exception_fp_ieee_underflow 0
		.amdhsa_exception_fp_ieee_inexact 0
		.amdhsa_exception_int_div_zero 0
	.end_amdhsa_kernel
	.section	.text._ZN7rocprim17ROCPRIM_400000_NS6detail17trampoline_kernelINS0_14default_configENS1_38merge_sort_block_merge_config_selectorIlNS0_10empty_typeEEEZZNS1_27merge_sort_block_merge_implIS3_PlPS5_jNS1_19radix_merge_compareILb0ELb1ElNS0_19identity_decomposerEEEEE10hipError_tT0_T1_T2_jT3_P12ihipStream_tbPNSt15iterator_traitsISE_E10value_typeEPNSK_ISF_E10value_typeEPSG_NS1_7vsmem_tEENKUlT_SE_SF_SG_E_clIS8_S8_S9_S9_EESD_ST_SE_SF_SG_EUlST_E_NS1_11comp_targetILNS1_3genE0ELNS1_11target_archE4294967295ELNS1_3gpuE0ELNS1_3repE0EEENS1_48merge_mergepath_partition_config_static_selectorELNS0_4arch9wavefront6targetE1EEEvSF_,"axG",@progbits,_ZN7rocprim17ROCPRIM_400000_NS6detail17trampoline_kernelINS0_14default_configENS1_38merge_sort_block_merge_config_selectorIlNS0_10empty_typeEEEZZNS1_27merge_sort_block_merge_implIS3_PlPS5_jNS1_19radix_merge_compareILb0ELb1ElNS0_19identity_decomposerEEEEE10hipError_tT0_T1_T2_jT3_P12ihipStream_tbPNSt15iterator_traitsISE_E10value_typeEPNSK_ISF_E10value_typeEPSG_NS1_7vsmem_tEENKUlT_SE_SF_SG_E_clIS8_S8_S9_S9_EESD_ST_SE_SF_SG_EUlST_E_NS1_11comp_targetILNS1_3genE0ELNS1_11target_archE4294967295ELNS1_3gpuE0ELNS1_3repE0EEENS1_48merge_mergepath_partition_config_static_selectorELNS0_4arch9wavefront6targetE1EEEvSF_,comdat
.Lfunc_end828:
	.size	_ZN7rocprim17ROCPRIM_400000_NS6detail17trampoline_kernelINS0_14default_configENS1_38merge_sort_block_merge_config_selectorIlNS0_10empty_typeEEEZZNS1_27merge_sort_block_merge_implIS3_PlPS5_jNS1_19radix_merge_compareILb0ELb1ElNS0_19identity_decomposerEEEEE10hipError_tT0_T1_T2_jT3_P12ihipStream_tbPNSt15iterator_traitsISE_E10value_typeEPNSK_ISF_E10value_typeEPSG_NS1_7vsmem_tEENKUlT_SE_SF_SG_E_clIS8_S8_S9_S9_EESD_ST_SE_SF_SG_EUlST_E_NS1_11comp_targetILNS1_3genE0ELNS1_11target_archE4294967295ELNS1_3gpuE0ELNS1_3repE0EEENS1_48merge_mergepath_partition_config_static_selectorELNS0_4arch9wavefront6targetE1EEEvSF_, .Lfunc_end828-_ZN7rocprim17ROCPRIM_400000_NS6detail17trampoline_kernelINS0_14default_configENS1_38merge_sort_block_merge_config_selectorIlNS0_10empty_typeEEEZZNS1_27merge_sort_block_merge_implIS3_PlPS5_jNS1_19radix_merge_compareILb0ELb1ElNS0_19identity_decomposerEEEEE10hipError_tT0_T1_T2_jT3_P12ihipStream_tbPNSt15iterator_traitsISE_E10value_typeEPNSK_ISF_E10value_typeEPSG_NS1_7vsmem_tEENKUlT_SE_SF_SG_E_clIS8_S8_S9_S9_EESD_ST_SE_SF_SG_EUlST_E_NS1_11comp_targetILNS1_3genE0ELNS1_11target_archE4294967295ELNS1_3gpuE0ELNS1_3repE0EEENS1_48merge_mergepath_partition_config_static_selectorELNS0_4arch9wavefront6targetE1EEEvSF_
                                        ; -- End function
	.section	.AMDGPU.csdata,"",@progbits
; Kernel info:
; codeLenInByte = 0
; NumSgprs: 4
; NumVgprs: 0
; NumAgprs: 0
; TotalNumVgprs: 0
; ScratchSize: 0
; MemoryBound: 0
; FloatMode: 240
; IeeeMode: 1
; LDSByteSize: 0 bytes/workgroup (compile time only)
; SGPRBlocks: 0
; VGPRBlocks: 0
; NumSGPRsForWavesPerEU: 4
; NumVGPRsForWavesPerEU: 1
; AccumOffset: 4
; Occupancy: 8
; WaveLimiterHint : 0
; COMPUTE_PGM_RSRC2:SCRATCH_EN: 0
; COMPUTE_PGM_RSRC2:USER_SGPR: 6
; COMPUTE_PGM_RSRC2:TRAP_HANDLER: 0
; COMPUTE_PGM_RSRC2:TGID_X_EN: 1
; COMPUTE_PGM_RSRC2:TGID_Y_EN: 0
; COMPUTE_PGM_RSRC2:TGID_Z_EN: 0
; COMPUTE_PGM_RSRC2:TIDIG_COMP_CNT: 0
; COMPUTE_PGM_RSRC3_GFX90A:ACCUM_OFFSET: 0
; COMPUTE_PGM_RSRC3_GFX90A:TG_SPLIT: 0
	.section	.text._ZN7rocprim17ROCPRIM_400000_NS6detail17trampoline_kernelINS0_14default_configENS1_38merge_sort_block_merge_config_selectorIlNS0_10empty_typeEEEZZNS1_27merge_sort_block_merge_implIS3_PlPS5_jNS1_19radix_merge_compareILb0ELb1ElNS0_19identity_decomposerEEEEE10hipError_tT0_T1_T2_jT3_P12ihipStream_tbPNSt15iterator_traitsISE_E10value_typeEPNSK_ISF_E10value_typeEPSG_NS1_7vsmem_tEENKUlT_SE_SF_SG_E_clIS8_S8_S9_S9_EESD_ST_SE_SF_SG_EUlST_E_NS1_11comp_targetILNS1_3genE10ELNS1_11target_archE1201ELNS1_3gpuE5ELNS1_3repE0EEENS1_48merge_mergepath_partition_config_static_selectorELNS0_4arch9wavefront6targetE1EEEvSF_,"axG",@progbits,_ZN7rocprim17ROCPRIM_400000_NS6detail17trampoline_kernelINS0_14default_configENS1_38merge_sort_block_merge_config_selectorIlNS0_10empty_typeEEEZZNS1_27merge_sort_block_merge_implIS3_PlPS5_jNS1_19radix_merge_compareILb0ELb1ElNS0_19identity_decomposerEEEEE10hipError_tT0_T1_T2_jT3_P12ihipStream_tbPNSt15iterator_traitsISE_E10value_typeEPNSK_ISF_E10value_typeEPSG_NS1_7vsmem_tEENKUlT_SE_SF_SG_E_clIS8_S8_S9_S9_EESD_ST_SE_SF_SG_EUlST_E_NS1_11comp_targetILNS1_3genE10ELNS1_11target_archE1201ELNS1_3gpuE5ELNS1_3repE0EEENS1_48merge_mergepath_partition_config_static_selectorELNS0_4arch9wavefront6targetE1EEEvSF_,comdat
	.protected	_ZN7rocprim17ROCPRIM_400000_NS6detail17trampoline_kernelINS0_14default_configENS1_38merge_sort_block_merge_config_selectorIlNS0_10empty_typeEEEZZNS1_27merge_sort_block_merge_implIS3_PlPS5_jNS1_19radix_merge_compareILb0ELb1ElNS0_19identity_decomposerEEEEE10hipError_tT0_T1_T2_jT3_P12ihipStream_tbPNSt15iterator_traitsISE_E10value_typeEPNSK_ISF_E10value_typeEPSG_NS1_7vsmem_tEENKUlT_SE_SF_SG_E_clIS8_S8_S9_S9_EESD_ST_SE_SF_SG_EUlST_E_NS1_11comp_targetILNS1_3genE10ELNS1_11target_archE1201ELNS1_3gpuE5ELNS1_3repE0EEENS1_48merge_mergepath_partition_config_static_selectorELNS0_4arch9wavefront6targetE1EEEvSF_ ; -- Begin function _ZN7rocprim17ROCPRIM_400000_NS6detail17trampoline_kernelINS0_14default_configENS1_38merge_sort_block_merge_config_selectorIlNS0_10empty_typeEEEZZNS1_27merge_sort_block_merge_implIS3_PlPS5_jNS1_19radix_merge_compareILb0ELb1ElNS0_19identity_decomposerEEEEE10hipError_tT0_T1_T2_jT3_P12ihipStream_tbPNSt15iterator_traitsISE_E10value_typeEPNSK_ISF_E10value_typeEPSG_NS1_7vsmem_tEENKUlT_SE_SF_SG_E_clIS8_S8_S9_S9_EESD_ST_SE_SF_SG_EUlST_E_NS1_11comp_targetILNS1_3genE10ELNS1_11target_archE1201ELNS1_3gpuE5ELNS1_3repE0EEENS1_48merge_mergepath_partition_config_static_selectorELNS0_4arch9wavefront6targetE1EEEvSF_
	.globl	_ZN7rocprim17ROCPRIM_400000_NS6detail17trampoline_kernelINS0_14default_configENS1_38merge_sort_block_merge_config_selectorIlNS0_10empty_typeEEEZZNS1_27merge_sort_block_merge_implIS3_PlPS5_jNS1_19radix_merge_compareILb0ELb1ElNS0_19identity_decomposerEEEEE10hipError_tT0_T1_T2_jT3_P12ihipStream_tbPNSt15iterator_traitsISE_E10value_typeEPNSK_ISF_E10value_typeEPSG_NS1_7vsmem_tEENKUlT_SE_SF_SG_E_clIS8_S8_S9_S9_EESD_ST_SE_SF_SG_EUlST_E_NS1_11comp_targetILNS1_3genE10ELNS1_11target_archE1201ELNS1_3gpuE5ELNS1_3repE0EEENS1_48merge_mergepath_partition_config_static_selectorELNS0_4arch9wavefront6targetE1EEEvSF_
	.p2align	8
	.type	_ZN7rocprim17ROCPRIM_400000_NS6detail17trampoline_kernelINS0_14default_configENS1_38merge_sort_block_merge_config_selectorIlNS0_10empty_typeEEEZZNS1_27merge_sort_block_merge_implIS3_PlPS5_jNS1_19radix_merge_compareILb0ELb1ElNS0_19identity_decomposerEEEEE10hipError_tT0_T1_T2_jT3_P12ihipStream_tbPNSt15iterator_traitsISE_E10value_typeEPNSK_ISF_E10value_typeEPSG_NS1_7vsmem_tEENKUlT_SE_SF_SG_E_clIS8_S8_S9_S9_EESD_ST_SE_SF_SG_EUlST_E_NS1_11comp_targetILNS1_3genE10ELNS1_11target_archE1201ELNS1_3gpuE5ELNS1_3repE0EEENS1_48merge_mergepath_partition_config_static_selectorELNS0_4arch9wavefront6targetE1EEEvSF_,@function
_ZN7rocprim17ROCPRIM_400000_NS6detail17trampoline_kernelINS0_14default_configENS1_38merge_sort_block_merge_config_selectorIlNS0_10empty_typeEEEZZNS1_27merge_sort_block_merge_implIS3_PlPS5_jNS1_19radix_merge_compareILb0ELb1ElNS0_19identity_decomposerEEEEE10hipError_tT0_T1_T2_jT3_P12ihipStream_tbPNSt15iterator_traitsISE_E10value_typeEPNSK_ISF_E10value_typeEPSG_NS1_7vsmem_tEENKUlT_SE_SF_SG_E_clIS8_S8_S9_S9_EESD_ST_SE_SF_SG_EUlST_E_NS1_11comp_targetILNS1_3genE10ELNS1_11target_archE1201ELNS1_3gpuE5ELNS1_3repE0EEENS1_48merge_mergepath_partition_config_static_selectorELNS0_4arch9wavefront6targetE1EEEvSF_: ; @_ZN7rocprim17ROCPRIM_400000_NS6detail17trampoline_kernelINS0_14default_configENS1_38merge_sort_block_merge_config_selectorIlNS0_10empty_typeEEEZZNS1_27merge_sort_block_merge_implIS3_PlPS5_jNS1_19radix_merge_compareILb0ELb1ElNS0_19identity_decomposerEEEEE10hipError_tT0_T1_T2_jT3_P12ihipStream_tbPNSt15iterator_traitsISE_E10value_typeEPNSK_ISF_E10value_typeEPSG_NS1_7vsmem_tEENKUlT_SE_SF_SG_E_clIS8_S8_S9_S9_EESD_ST_SE_SF_SG_EUlST_E_NS1_11comp_targetILNS1_3genE10ELNS1_11target_archE1201ELNS1_3gpuE5ELNS1_3repE0EEENS1_48merge_mergepath_partition_config_static_selectorELNS0_4arch9wavefront6targetE1EEEvSF_
; %bb.0:
	.section	.rodata,"a",@progbits
	.p2align	6, 0x0
	.amdhsa_kernel _ZN7rocprim17ROCPRIM_400000_NS6detail17trampoline_kernelINS0_14default_configENS1_38merge_sort_block_merge_config_selectorIlNS0_10empty_typeEEEZZNS1_27merge_sort_block_merge_implIS3_PlPS5_jNS1_19radix_merge_compareILb0ELb1ElNS0_19identity_decomposerEEEEE10hipError_tT0_T1_T2_jT3_P12ihipStream_tbPNSt15iterator_traitsISE_E10value_typeEPNSK_ISF_E10value_typeEPSG_NS1_7vsmem_tEENKUlT_SE_SF_SG_E_clIS8_S8_S9_S9_EESD_ST_SE_SF_SG_EUlST_E_NS1_11comp_targetILNS1_3genE10ELNS1_11target_archE1201ELNS1_3gpuE5ELNS1_3repE0EEENS1_48merge_mergepath_partition_config_static_selectorELNS0_4arch9wavefront6targetE1EEEvSF_
		.amdhsa_group_segment_fixed_size 0
		.amdhsa_private_segment_fixed_size 0
		.amdhsa_kernarg_size 40
		.amdhsa_user_sgpr_count 6
		.amdhsa_user_sgpr_private_segment_buffer 1
		.amdhsa_user_sgpr_dispatch_ptr 0
		.amdhsa_user_sgpr_queue_ptr 0
		.amdhsa_user_sgpr_kernarg_segment_ptr 1
		.amdhsa_user_sgpr_dispatch_id 0
		.amdhsa_user_sgpr_flat_scratch_init 0
		.amdhsa_user_sgpr_kernarg_preload_length 0
		.amdhsa_user_sgpr_kernarg_preload_offset 0
		.amdhsa_user_sgpr_private_segment_size 0
		.amdhsa_uses_dynamic_stack 0
		.amdhsa_system_sgpr_private_segment_wavefront_offset 0
		.amdhsa_system_sgpr_workgroup_id_x 1
		.amdhsa_system_sgpr_workgroup_id_y 0
		.amdhsa_system_sgpr_workgroup_id_z 0
		.amdhsa_system_sgpr_workgroup_info 0
		.amdhsa_system_vgpr_workitem_id 0
		.amdhsa_next_free_vgpr 1
		.amdhsa_next_free_sgpr 0
		.amdhsa_accum_offset 4
		.amdhsa_reserve_vcc 0
		.amdhsa_reserve_flat_scratch 0
		.amdhsa_float_round_mode_32 0
		.amdhsa_float_round_mode_16_64 0
		.amdhsa_float_denorm_mode_32 3
		.amdhsa_float_denorm_mode_16_64 3
		.amdhsa_dx10_clamp 1
		.amdhsa_ieee_mode 1
		.amdhsa_fp16_overflow 0
		.amdhsa_tg_split 0
		.amdhsa_exception_fp_ieee_invalid_op 0
		.amdhsa_exception_fp_denorm_src 0
		.amdhsa_exception_fp_ieee_div_zero 0
		.amdhsa_exception_fp_ieee_overflow 0
		.amdhsa_exception_fp_ieee_underflow 0
		.amdhsa_exception_fp_ieee_inexact 0
		.amdhsa_exception_int_div_zero 0
	.end_amdhsa_kernel
	.section	.text._ZN7rocprim17ROCPRIM_400000_NS6detail17trampoline_kernelINS0_14default_configENS1_38merge_sort_block_merge_config_selectorIlNS0_10empty_typeEEEZZNS1_27merge_sort_block_merge_implIS3_PlPS5_jNS1_19radix_merge_compareILb0ELb1ElNS0_19identity_decomposerEEEEE10hipError_tT0_T1_T2_jT3_P12ihipStream_tbPNSt15iterator_traitsISE_E10value_typeEPNSK_ISF_E10value_typeEPSG_NS1_7vsmem_tEENKUlT_SE_SF_SG_E_clIS8_S8_S9_S9_EESD_ST_SE_SF_SG_EUlST_E_NS1_11comp_targetILNS1_3genE10ELNS1_11target_archE1201ELNS1_3gpuE5ELNS1_3repE0EEENS1_48merge_mergepath_partition_config_static_selectorELNS0_4arch9wavefront6targetE1EEEvSF_,"axG",@progbits,_ZN7rocprim17ROCPRIM_400000_NS6detail17trampoline_kernelINS0_14default_configENS1_38merge_sort_block_merge_config_selectorIlNS0_10empty_typeEEEZZNS1_27merge_sort_block_merge_implIS3_PlPS5_jNS1_19radix_merge_compareILb0ELb1ElNS0_19identity_decomposerEEEEE10hipError_tT0_T1_T2_jT3_P12ihipStream_tbPNSt15iterator_traitsISE_E10value_typeEPNSK_ISF_E10value_typeEPSG_NS1_7vsmem_tEENKUlT_SE_SF_SG_E_clIS8_S8_S9_S9_EESD_ST_SE_SF_SG_EUlST_E_NS1_11comp_targetILNS1_3genE10ELNS1_11target_archE1201ELNS1_3gpuE5ELNS1_3repE0EEENS1_48merge_mergepath_partition_config_static_selectorELNS0_4arch9wavefront6targetE1EEEvSF_,comdat
.Lfunc_end829:
	.size	_ZN7rocprim17ROCPRIM_400000_NS6detail17trampoline_kernelINS0_14default_configENS1_38merge_sort_block_merge_config_selectorIlNS0_10empty_typeEEEZZNS1_27merge_sort_block_merge_implIS3_PlPS5_jNS1_19radix_merge_compareILb0ELb1ElNS0_19identity_decomposerEEEEE10hipError_tT0_T1_T2_jT3_P12ihipStream_tbPNSt15iterator_traitsISE_E10value_typeEPNSK_ISF_E10value_typeEPSG_NS1_7vsmem_tEENKUlT_SE_SF_SG_E_clIS8_S8_S9_S9_EESD_ST_SE_SF_SG_EUlST_E_NS1_11comp_targetILNS1_3genE10ELNS1_11target_archE1201ELNS1_3gpuE5ELNS1_3repE0EEENS1_48merge_mergepath_partition_config_static_selectorELNS0_4arch9wavefront6targetE1EEEvSF_, .Lfunc_end829-_ZN7rocprim17ROCPRIM_400000_NS6detail17trampoline_kernelINS0_14default_configENS1_38merge_sort_block_merge_config_selectorIlNS0_10empty_typeEEEZZNS1_27merge_sort_block_merge_implIS3_PlPS5_jNS1_19radix_merge_compareILb0ELb1ElNS0_19identity_decomposerEEEEE10hipError_tT0_T1_T2_jT3_P12ihipStream_tbPNSt15iterator_traitsISE_E10value_typeEPNSK_ISF_E10value_typeEPSG_NS1_7vsmem_tEENKUlT_SE_SF_SG_E_clIS8_S8_S9_S9_EESD_ST_SE_SF_SG_EUlST_E_NS1_11comp_targetILNS1_3genE10ELNS1_11target_archE1201ELNS1_3gpuE5ELNS1_3repE0EEENS1_48merge_mergepath_partition_config_static_selectorELNS0_4arch9wavefront6targetE1EEEvSF_
                                        ; -- End function
	.section	.AMDGPU.csdata,"",@progbits
; Kernel info:
; codeLenInByte = 0
; NumSgprs: 4
; NumVgprs: 0
; NumAgprs: 0
; TotalNumVgprs: 0
; ScratchSize: 0
; MemoryBound: 0
; FloatMode: 240
; IeeeMode: 1
; LDSByteSize: 0 bytes/workgroup (compile time only)
; SGPRBlocks: 0
; VGPRBlocks: 0
; NumSGPRsForWavesPerEU: 4
; NumVGPRsForWavesPerEU: 1
; AccumOffset: 4
; Occupancy: 8
; WaveLimiterHint : 0
; COMPUTE_PGM_RSRC2:SCRATCH_EN: 0
; COMPUTE_PGM_RSRC2:USER_SGPR: 6
; COMPUTE_PGM_RSRC2:TRAP_HANDLER: 0
; COMPUTE_PGM_RSRC2:TGID_X_EN: 1
; COMPUTE_PGM_RSRC2:TGID_Y_EN: 0
; COMPUTE_PGM_RSRC2:TGID_Z_EN: 0
; COMPUTE_PGM_RSRC2:TIDIG_COMP_CNT: 0
; COMPUTE_PGM_RSRC3_GFX90A:ACCUM_OFFSET: 0
; COMPUTE_PGM_RSRC3_GFX90A:TG_SPLIT: 0
	.section	.text._ZN7rocprim17ROCPRIM_400000_NS6detail17trampoline_kernelINS0_14default_configENS1_38merge_sort_block_merge_config_selectorIlNS0_10empty_typeEEEZZNS1_27merge_sort_block_merge_implIS3_PlPS5_jNS1_19radix_merge_compareILb0ELb1ElNS0_19identity_decomposerEEEEE10hipError_tT0_T1_T2_jT3_P12ihipStream_tbPNSt15iterator_traitsISE_E10value_typeEPNSK_ISF_E10value_typeEPSG_NS1_7vsmem_tEENKUlT_SE_SF_SG_E_clIS8_S8_S9_S9_EESD_ST_SE_SF_SG_EUlST_E_NS1_11comp_targetILNS1_3genE5ELNS1_11target_archE942ELNS1_3gpuE9ELNS1_3repE0EEENS1_48merge_mergepath_partition_config_static_selectorELNS0_4arch9wavefront6targetE1EEEvSF_,"axG",@progbits,_ZN7rocprim17ROCPRIM_400000_NS6detail17trampoline_kernelINS0_14default_configENS1_38merge_sort_block_merge_config_selectorIlNS0_10empty_typeEEEZZNS1_27merge_sort_block_merge_implIS3_PlPS5_jNS1_19radix_merge_compareILb0ELb1ElNS0_19identity_decomposerEEEEE10hipError_tT0_T1_T2_jT3_P12ihipStream_tbPNSt15iterator_traitsISE_E10value_typeEPNSK_ISF_E10value_typeEPSG_NS1_7vsmem_tEENKUlT_SE_SF_SG_E_clIS8_S8_S9_S9_EESD_ST_SE_SF_SG_EUlST_E_NS1_11comp_targetILNS1_3genE5ELNS1_11target_archE942ELNS1_3gpuE9ELNS1_3repE0EEENS1_48merge_mergepath_partition_config_static_selectorELNS0_4arch9wavefront6targetE1EEEvSF_,comdat
	.protected	_ZN7rocprim17ROCPRIM_400000_NS6detail17trampoline_kernelINS0_14default_configENS1_38merge_sort_block_merge_config_selectorIlNS0_10empty_typeEEEZZNS1_27merge_sort_block_merge_implIS3_PlPS5_jNS1_19radix_merge_compareILb0ELb1ElNS0_19identity_decomposerEEEEE10hipError_tT0_T1_T2_jT3_P12ihipStream_tbPNSt15iterator_traitsISE_E10value_typeEPNSK_ISF_E10value_typeEPSG_NS1_7vsmem_tEENKUlT_SE_SF_SG_E_clIS8_S8_S9_S9_EESD_ST_SE_SF_SG_EUlST_E_NS1_11comp_targetILNS1_3genE5ELNS1_11target_archE942ELNS1_3gpuE9ELNS1_3repE0EEENS1_48merge_mergepath_partition_config_static_selectorELNS0_4arch9wavefront6targetE1EEEvSF_ ; -- Begin function _ZN7rocprim17ROCPRIM_400000_NS6detail17trampoline_kernelINS0_14default_configENS1_38merge_sort_block_merge_config_selectorIlNS0_10empty_typeEEEZZNS1_27merge_sort_block_merge_implIS3_PlPS5_jNS1_19radix_merge_compareILb0ELb1ElNS0_19identity_decomposerEEEEE10hipError_tT0_T1_T2_jT3_P12ihipStream_tbPNSt15iterator_traitsISE_E10value_typeEPNSK_ISF_E10value_typeEPSG_NS1_7vsmem_tEENKUlT_SE_SF_SG_E_clIS8_S8_S9_S9_EESD_ST_SE_SF_SG_EUlST_E_NS1_11comp_targetILNS1_3genE5ELNS1_11target_archE942ELNS1_3gpuE9ELNS1_3repE0EEENS1_48merge_mergepath_partition_config_static_selectorELNS0_4arch9wavefront6targetE1EEEvSF_
	.globl	_ZN7rocprim17ROCPRIM_400000_NS6detail17trampoline_kernelINS0_14default_configENS1_38merge_sort_block_merge_config_selectorIlNS0_10empty_typeEEEZZNS1_27merge_sort_block_merge_implIS3_PlPS5_jNS1_19radix_merge_compareILb0ELb1ElNS0_19identity_decomposerEEEEE10hipError_tT0_T1_T2_jT3_P12ihipStream_tbPNSt15iterator_traitsISE_E10value_typeEPNSK_ISF_E10value_typeEPSG_NS1_7vsmem_tEENKUlT_SE_SF_SG_E_clIS8_S8_S9_S9_EESD_ST_SE_SF_SG_EUlST_E_NS1_11comp_targetILNS1_3genE5ELNS1_11target_archE942ELNS1_3gpuE9ELNS1_3repE0EEENS1_48merge_mergepath_partition_config_static_selectorELNS0_4arch9wavefront6targetE1EEEvSF_
	.p2align	8
	.type	_ZN7rocprim17ROCPRIM_400000_NS6detail17trampoline_kernelINS0_14default_configENS1_38merge_sort_block_merge_config_selectorIlNS0_10empty_typeEEEZZNS1_27merge_sort_block_merge_implIS3_PlPS5_jNS1_19radix_merge_compareILb0ELb1ElNS0_19identity_decomposerEEEEE10hipError_tT0_T1_T2_jT3_P12ihipStream_tbPNSt15iterator_traitsISE_E10value_typeEPNSK_ISF_E10value_typeEPSG_NS1_7vsmem_tEENKUlT_SE_SF_SG_E_clIS8_S8_S9_S9_EESD_ST_SE_SF_SG_EUlST_E_NS1_11comp_targetILNS1_3genE5ELNS1_11target_archE942ELNS1_3gpuE9ELNS1_3repE0EEENS1_48merge_mergepath_partition_config_static_selectorELNS0_4arch9wavefront6targetE1EEEvSF_,@function
_ZN7rocprim17ROCPRIM_400000_NS6detail17trampoline_kernelINS0_14default_configENS1_38merge_sort_block_merge_config_selectorIlNS0_10empty_typeEEEZZNS1_27merge_sort_block_merge_implIS3_PlPS5_jNS1_19radix_merge_compareILb0ELb1ElNS0_19identity_decomposerEEEEE10hipError_tT0_T1_T2_jT3_P12ihipStream_tbPNSt15iterator_traitsISE_E10value_typeEPNSK_ISF_E10value_typeEPSG_NS1_7vsmem_tEENKUlT_SE_SF_SG_E_clIS8_S8_S9_S9_EESD_ST_SE_SF_SG_EUlST_E_NS1_11comp_targetILNS1_3genE5ELNS1_11target_archE942ELNS1_3gpuE9ELNS1_3repE0EEENS1_48merge_mergepath_partition_config_static_selectorELNS0_4arch9wavefront6targetE1EEEvSF_: ; @_ZN7rocprim17ROCPRIM_400000_NS6detail17trampoline_kernelINS0_14default_configENS1_38merge_sort_block_merge_config_selectorIlNS0_10empty_typeEEEZZNS1_27merge_sort_block_merge_implIS3_PlPS5_jNS1_19radix_merge_compareILb0ELb1ElNS0_19identity_decomposerEEEEE10hipError_tT0_T1_T2_jT3_P12ihipStream_tbPNSt15iterator_traitsISE_E10value_typeEPNSK_ISF_E10value_typeEPSG_NS1_7vsmem_tEENKUlT_SE_SF_SG_E_clIS8_S8_S9_S9_EESD_ST_SE_SF_SG_EUlST_E_NS1_11comp_targetILNS1_3genE5ELNS1_11target_archE942ELNS1_3gpuE9ELNS1_3repE0EEENS1_48merge_mergepath_partition_config_static_selectorELNS0_4arch9wavefront6targetE1EEEvSF_
; %bb.0:
	.section	.rodata,"a",@progbits
	.p2align	6, 0x0
	.amdhsa_kernel _ZN7rocprim17ROCPRIM_400000_NS6detail17trampoline_kernelINS0_14default_configENS1_38merge_sort_block_merge_config_selectorIlNS0_10empty_typeEEEZZNS1_27merge_sort_block_merge_implIS3_PlPS5_jNS1_19radix_merge_compareILb0ELb1ElNS0_19identity_decomposerEEEEE10hipError_tT0_T1_T2_jT3_P12ihipStream_tbPNSt15iterator_traitsISE_E10value_typeEPNSK_ISF_E10value_typeEPSG_NS1_7vsmem_tEENKUlT_SE_SF_SG_E_clIS8_S8_S9_S9_EESD_ST_SE_SF_SG_EUlST_E_NS1_11comp_targetILNS1_3genE5ELNS1_11target_archE942ELNS1_3gpuE9ELNS1_3repE0EEENS1_48merge_mergepath_partition_config_static_selectorELNS0_4arch9wavefront6targetE1EEEvSF_
		.amdhsa_group_segment_fixed_size 0
		.amdhsa_private_segment_fixed_size 0
		.amdhsa_kernarg_size 40
		.amdhsa_user_sgpr_count 6
		.amdhsa_user_sgpr_private_segment_buffer 1
		.amdhsa_user_sgpr_dispatch_ptr 0
		.amdhsa_user_sgpr_queue_ptr 0
		.amdhsa_user_sgpr_kernarg_segment_ptr 1
		.amdhsa_user_sgpr_dispatch_id 0
		.amdhsa_user_sgpr_flat_scratch_init 0
		.amdhsa_user_sgpr_kernarg_preload_length 0
		.amdhsa_user_sgpr_kernarg_preload_offset 0
		.amdhsa_user_sgpr_private_segment_size 0
		.amdhsa_uses_dynamic_stack 0
		.amdhsa_system_sgpr_private_segment_wavefront_offset 0
		.amdhsa_system_sgpr_workgroup_id_x 1
		.amdhsa_system_sgpr_workgroup_id_y 0
		.amdhsa_system_sgpr_workgroup_id_z 0
		.amdhsa_system_sgpr_workgroup_info 0
		.amdhsa_system_vgpr_workitem_id 0
		.amdhsa_next_free_vgpr 1
		.amdhsa_next_free_sgpr 0
		.amdhsa_accum_offset 4
		.amdhsa_reserve_vcc 0
		.amdhsa_reserve_flat_scratch 0
		.amdhsa_float_round_mode_32 0
		.amdhsa_float_round_mode_16_64 0
		.amdhsa_float_denorm_mode_32 3
		.amdhsa_float_denorm_mode_16_64 3
		.amdhsa_dx10_clamp 1
		.amdhsa_ieee_mode 1
		.amdhsa_fp16_overflow 0
		.amdhsa_tg_split 0
		.amdhsa_exception_fp_ieee_invalid_op 0
		.amdhsa_exception_fp_denorm_src 0
		.amdhsa_exception_fp_ieee_div_zero 0
		.amdhsa_exception_fp_ieee_overflow 0
		.amdhsa_exception_fp_ieee_underflow 0
		.amdhsa_exception_fp_ieee_inexact 0
		.amdhsa_exception_int_div_zero 0
	.end_amdhsa_kernel
	.section	.text._ZN7rocprim17ROCPRIM_400000_NS6detail17trampoline_kernelINS0_14default_configENS1_38merge_sort_block_merge_config_selectorIlNS0_10empty_typeEEEZZNS1_27merge_sort_block_merge_implIS3_PlPS5_jNS1_19radix_merge_compareILb0ELb1ElNS0_19identity_decomposerEEEEE10hipError_tT0_T1_T2_jT3_P12ihipStream_tbPNSt15iterator_traitsISE_E10value_typeEPNSK_ISF_E10value_typeEPSG_NS1_7vsmem_tEENKUlT_SE_SF_SG_E_clIS8_S8_S9_S9_EESD_ST_SE_SF_SG_EUlST_E_NS1_11comp_targetILNS1_3genE5ELNS1_11target_archE942ELNS1_3gpuE9ELNS1_3repE0EEENS1_48merge_mergepath_partition_config_static_selectorELNS0_4arch9wavefront6targetE1EEEvSF_,"axG",@progbits,_ZN7rocprim17ROCPRIM_400000_NS6detail17trampoline_kernelINS0_14default_configENS1_38merge_sort_block_merge_config_selectorIlNS0_10empty_typeEEEZZNS1_27merge_sort_block_merge_implIS3_PlPS5_jNS1_19radix_merge_compareILb0ELb1ElNS0_19identity_decomposerEEEEE10hipError_tT0_T1_T2_jT3_P12ihipStream_tbPNSt15iterator_traitsISE_E10value_typeEPNSK_ISF_E10value_typeEPSG_NS1_7vsmem_tEENKUlT_SE_SF_SG_E_clIS8_S8_S9_S9_EESD_ST_SE_SF_SG_EUlST_E_NS1_11comp_targetILNS1_3genE5ELNS1_11target_archE942ELNS1_3gpuE9ELNS1_3repE0EEENS1_48merge_mergepath_partition_config_static_selectorELNS0_4arch9wavefront6targetE1EEEvSF_,comdat
.Lfunc_end830:
	.size	_ZN7rocprim17ROCPRIM_400000_NS6detail17trampoline_kernelINS0_14default_configENS1_38merge_sort_block_merge_config_selectorIlNS0_10empty_typeEEEZZNS1_27merge_sort_block_merge_implIS3_PlPS5_jNS1_19radix_merge_compareILb0ELb1ElNS0_19identity_decomposerEEEEE10hipError_tT0_T1_T2_jT3_P12ihipStream_tbPNSt15iterator_traitsISE_E10value_typeEPNSK_ISF_E10value_typeEPSG_NS1_7vsmem_tEENKUlT_SE_SF_SG_E_clIS8_S8_S9_S9_EESD_ST_SE_SF_SG_EUlST_E_NS1_11comp_targetILNS1_3genE5ELNS1_11target_archE942ELNS1_3gpuE9ELNS1_3repE0EEENS1_48merge_mergepath_partition_config_static_selectorELNS0_4arch9wavefront6targetE1EEEvSF_, .Lfunc_end830-_ZN7rocprim17ROCPRIM_400000_NS6detail17trampoline_kernelINS0_14default_configENS1_38merge_sort_block_merge_config_selectorIlNS0_10empty_typeEEEZZNS1_27merge_sort_block_merge_implIS3_PlPS5_jNS1_19radix_merge_compareILb0ELb1ElNS0_19identity_decomposerEEEEE10hipError_tT0_T1_T2_jT3_P12ihipStream_tbPNSt15iterator_traitsISE_E10value_typeEPNSK_ISF_E10value_typeEPSG_NS1_7vsmem_tEENKUlT_SE_SF_SG_E_clIS8_S8_S9_S9_EESD_ST_SE_SF_SG_EUlST_E_NS1_11comp_targetILNS1_3genE5ELNS1_11target_archE942ELNS1_3gpuE9ELNS1_3repE0EEENS1_48merge_mergepath_partition_config_static_selectorELNS0_4arch9wavefront6targetE1EEEvSF_
                                        ; -- End function
	.section	.AMDGPU.csdata,"",@progbits
; Kernel info:
; codeLenInByte = 0
; NumSgprs: 4
; NumVgprs: 0
; NumAgprs: 0
; TotalNumVgprs: 0
; ScratchSize: 0
; MemoryBound: 0
; FloatMode: 240
; IeeeMode: 1
; LDSByteSize: 0 bytes/workgroup (compile time only)
; SGPRBlocks: 0
; VGPRBlocks: 0
; NumSGPRsForWavesPerEU: 4
; NumVGPRsForWavesPerEU: 1
; AccumOffset: 4
; Occupancy: 8
; WaveLimiterHint : 0
; COMPUTE_PGM_RSRC2:SCRATCH_EN: 0
; COMPUTE_PGM_RSRC2:USER_SGPR: 6
; COMPUTE_PGM_RSRC2:TRAP_HANDLER: 0
; COMPUTE_PGM_RSRC2:TGID_X_EN: 1
; COMPUTE_PGM_RSRC2:TGID_Y_EN: 0
; COMPUTE_PGM_RSRC2:TGID_Z_EN: 0
; COMPUTE_PGM_RSRC2:TIDIG_COMP_CNT: 0
; COMPUTE_PGM_RSRC3_GFX90A:ACCUM_OFFSET: 0
; COMPUTE_PGM_RSRC3_GFX90A:TG_SPLIT: 0
	.section	.text._ZN7rocprim17ROCPRIM_400000_NS6detail17trampoline_kernelINS0_14default_configENS1_38merge_sort_block_merge_config_selectorIlNS0_10empty_typeEEEZZNS1_27merge_sort_block_merge_implIS3_PlPS5_jNS1_19radix_merge_compareILb0ELb1ElNS0_19identity_decomposerEEEEE10hipError_tT0_T1_T2_jT3_P12ihipStream_tbPNSt15iterator_traitsISE_E10value_typeEPNSK_ISF_E10value_typeEPSG_NS1_7vsmem_tEENKUlT_SE_SF_SG_E_clIS8_S8_S9_S9_EESD_ST_SE_SF_SG_EUlST_E_NS1_11comp_targetILNS1_3genE4ELNS1_11target_archE910ELNS1_3gpuE8ELNS1_3repE0EEENS1_48merge_mergepath_partition_config_static_selectorELNS0_4arch9wavefront6targetE1EEEvSF_,"axG",@progbits,_ZN7rocprim17ROCPRIM_400000_NS6detail17trampoline_kernelINS0_14default_configENS1_38merge_sort_block_merge_config_selectorIlNS0_10empty_typeEEEZZNS1_27merge_sort_block_merge_implIS3_PlPS5_jNS1_19radix_merge_compareILb0ELb1ElNS0_19identity_decomposerEEEEE10hipError_tT0_T1_T2_jT3_P12ihipStream_tbPNSt15iterator_traitsISE_E10value_typeEPNSK_ISF_E10value_typeEPSG_NS1_7vsmem_tEENKUlT_SE_SF_SG_E_clIS8_S8_S9_S9_EESD_ST_SE_SF_SG_EUlST_E_NS1_11comp_targetILNS1_3genE4ELNS1_11target_archE910ELNS1_3gpuE8ELNS1_3repE0EEENS1_48merge_mergepath_partition_config_static_selectorELNS0_4arch9wavefront6targetE1EEEvSF_,comdat
	.protected	_ZN7rocprim17ROCPRIM_400000_NS6detail17trampoline_kernelINS0_14default_configENS1_38merge_sort_block_merge_config_selectorIlNS0_10empty_typeEEEZZNS1_27merge_sort_block_merge_implIS3_PlPS5_jNS1_19radix_merge_compareILb0ELb1ElNS0_19identity_decomposerEEEEE10hipError_tT0_T1_T2_jT3_P12ihipStream_tbPNSt15iterator_traitsISE_E10value_typeEPNSK_ISF_E10value_typeEPSG_NS1_7vsmem_tEENKUlT_SE_SF_SG_E_clIS8_S8_S9_S9_EESD_ST_SE_SF_SG_EUlST_E_NS1_11comp_targetILNS1_3genE4ELNS1_11target_archE910ELNS1_3gpuE8ELNS1_3repE0EEENS1_48merge_mergepath_partition_config_static_selectorELNS0_4arch9wavefront6targetE1EEEvSF_ ; -- Begin function _ZN7rocprim17ROCPRIM_400000_NS6detail17trampoline_kernelINS0_14default_configENS1_38merge_sort_block_merge_config_selectorIlNS0_10empty_typeEEEZZNS1_27merge_sort_block_merge_implIS3_PlPS5_jNS1_19radix_merge_compareILb0ELb1ElNS0_19identity_decomposerEEEEE10hipError_tT0_T1_T2_jT3_P12ihipStream_tbPNSt15iterator_traitsISE_E10value_typeEPNSK_ISF_E10value_typeEPSG_NS1_7vsmem_tEENKUlT_SE_SF_SG_E_clIS8_S8_S9_S9_EESD_ST_SE_SF_SG_EUlST_E_NS1_11comp_targetILNS1_3genE4ELNS1_11target_archE910ELNS1_3gpuE8ELNS1_3repE0EEENS1_48merge_mergepath_partition_config_static_selectorELNS0_4arch9wavefront6targetE1EEEvSF_
	.globl	_ZN7rocprim17ROCPRIM_400000_NS6detail17trampoline_kernelINS0_14default_configENS1_38merge_sort_block_merge_config_selectorIlNS0_10empty_typeEEEZZNS1_27merge_sort_block_merge_implIS3_PlPS5_jNS1_19radix_merge_compareILb0ELb1ElNS0_19identity_decomposerEEEEE10hipError_tT0_T1_T2_jT3_P12ihipStream_tbPNSt15iterator_traitsISE_E10value_typeEPNSK_ISF_E10value_typeEPSG_NS1_7vsmem_tEENKUlT_SE_SF_SG_E_clIS8_S8_S9_S9_EESD_ST_SE_SF_SG_EUlST_E_NS1_11comp_targetILNS1_3genE4ELNS1_11target_archE910ELNS1_3gpuE8ELNS1_3repE0EEENS1_48merge_mergepath_partition_config_static_selectorELNS0_4arch9wavefront6targetE1EEEvSF_
	.p2align	8
	.type	_ZN7rocprim17ROCPRIM_400000_NS6detail17trampoline_kernelINS0_14default_configENS1_38merge_sort_block_merge_config_selectorIlNS0_10empty_typeEEEZZNS1_27merge_sort_block_merge_implIS3_PlPS5_jNS1_19radix_merge_compareILb0ELb1ElNS0_19identity_decomposerEEEEE10hipError_tT0_T1_T2_jT3_P12ihipStream_tbPNSt15iterator_traitsISE_E10value_typeEPNSK_ISF_E10value_typeEPSG_NS1_7vsmem_tEENKUlT_SE_SF_SG_E_clIS8_S8_S9_S9_EESD_ST_SE_SF_SG_EUlST_E_NS1_11comp_targetILNS1_3genE4ELNS1_11target_archE910ELNS1_3gpuE8ELNS1_3repE0EEENS1_48merge_mergepath_partition_config_static_selectorELNS0_4arch9wavefront6targetE1EEEvSF_,@function
_ZN7rocprim17ROCPRIM_400000_NS6detail17trampoline_kernelINS0_14default_configENS1_38merge_sort_block_merge_config_selectorIlNS0_10empty_typeEEEZZNS1_27merge_sort_block_merge_implIS3_PlPS5_jNS1_19radix_merge_compareILb0ELb1ElNS0_19identity_decomposerEEEEE10hipError_tT0_T1_T2_jT3_P12ihipStream_tbPNSt15iterator_traitsISE_E10value_typeEPNSK_ISF_E10value_typeEPSG_NS1_7vsmem_tEENKUlT_SE_SF_SG_E_clIS8_S8_S9_S9_EESD_ST_SE_SF_SG_EUlST_E_NS1_11comp_targetILNS1_3genE4ELNS1_11target_archE910ELNS1_3gpuE8ELNS1_3repE0EEENS1_48merge_mergepath_partition_config_static_selectorELNS0_4arch9wavefront6targetE1EEEvSF_: ; @_ZN7rocprim17ROCPRIM_400000_NS6detail17trampoline_kernelINS0_14default_configENS1_38merge_sort_block_merge_config_selectorIlNS0_10empty_typeEEEZZNS1_27merge_sort_block_merge_implIS3_PlPS5_jNS1_19radix_merge_compareILb0ELb1ElNS0_19identity_decomposerEEEEE10hipError_tT0_T1_T2_jT3_P12ihipStream_tbPNSt15iterator_traitsISE_E10value_typeEPNSK_ISF_E10value_typeEPSG_NS1_7vsmem_tEENKUlT_SE_SF_SG_E_clIS8_S8_S9_S9_EESD_ST_SE_SF_SG_EUlST_E_NS1_11comp_targetILNS1_3genE4ELNS1_11target_archE910ELNS1_3gpuE8ELNS1_3repE0EEENS1_48merge_mergepath_partition_config_static_selectorELNS0_4arch9wavefront6targetE1EEEvSF_
; %bb.0:
	s_load_dword s0, s[4:5], 0x0
	v_lshl_or_b32 v0, s6, 7, v0
	s_waitcnt lgkmcnt(0)
	v_cmp_gt_u32_e32 vcc, s0, v0
	s_and_saveexec_b64 s[0:1], vcc
	s_cbranch_execz .LBB831_6
; %bb.1:
	s_load_dwordx2 s[6:7], s[4:5], 0x4
	s_load_dwordx4 s[0:3], s[4:5], 0x18
	s_waitcnt lgkmcnt(0)
	s_lshr_b32 s8, s6, 9
	s_and_b32 s8, s8, 0x7ffffe
	s_add_i32 s9, s8, -1
	s_sub_i32 s8, 0, s8
	v_and_b32_e32 v1, s8, v0
	v_lshlrev_b32_e32 v1, 10, v1
	v_min_u32_e32 v2, s7, v1
	v_add_u32_e32 v1, s6, v1
	v_min_u32_e32 v4, s7, v1
	v_add_u32_e32 v1, s6, v4
	v_and_b32_e32 v3, s9, v0
	v_min_u32_e32 v1, s7, v1
	v_sub_u32_e32 v5, v1, v2
	v_lshlrev_b32_e32 v3, 10, v3
	v_min_u32_e32 v6, v5, v3
	v_sub_u32_e32 v3, v4, v2
	v_sub_u32_e32 v1, v1, v4
	v_sub_u32_e64 v1, v6, v1 clamp
	v_min_u32_e32 v7, v6, v3
	v_cmp_lt_u32_e32 vcc, v1, v7
	s_and_saveexec_b64 s[6:7], vcc
	s_cbranch_execz .LBB831_5
; %bb.2:
	s_load_dwordx2 s[4:5], s[4:5], 0x10
	v_mov_b32_e32 v5, 0
	v_mov_b32_e32 v3, v5
	v_lshlrev_b64 v[8:9], 3, v[2:3]
	v_lshlrev_b64 v[10:11], 3, v[4:5]
	s_waitcnt lgkmcnt(0)
	v_mov_b32_e32 v12, s5
	v_add_co_u32_e32 v3, vcc, s4, v8
	v_addc_co_u32_e32 v8, vcc, v12, v9, vcc
	v_add_co_u32_e32 v9, vcc, s4, v10
	v_addc_co_u32_e32 v10, vcc, v12, v11, vcc
	s_mov_b64 s[4:5], 0
.LBB831_3:                              ; =>This Inner Loop Header: Depth=1
	v_add_u32_e32 v4, v7, v1
	v_lshrrev_b32_e32 v4, 1, v4
	v_lshlrev_b64 v[14:15], 3, v[4:5]
	v_mov_b32_e32 v13, v5
	v_xad_u32 v12, v4, -1, v6
	v_add_co_u32_e32 v14, vcc, v3, v14
	v_addc_co_u32_e32 v15, vcc, v8, v15, vcc
	v_lshlrev_b64 v[12:13], 3, v[12:13]
	v_add_co_u32_e32 v12, vcc, v9, v12
	v_addc_co_u32_e32 v13, vcc, v10, v13, vcc
	global_load_dwordx2 v[14:15], v[14:15], off
	v_add_u32_e32 v11, 1, v4
	global_load_dwordx2 v[12:13], v[12:13], off
	s_waitcnt vmcnt(1)
	v_and_b32_e32 v15, s1, v15
	v_and_b32_e32 v14, s0, v14
	s_waitcnt vmcnt(0)
	v_and_b32_e32 v13, s1, v13
	v_and_b32_e32 v12, s0, v12
	v_cmp_gt_i64_e32 vcc, v[14:15], v[12:13]
	v_cndmask_b32_e32 v7, v7, v4, vcc
	v_cndmask_b32_e32 v1, v11, v1, vcc
	v_cmp_ge_u32_e32 vcc, v1, v7
	s_or_b64 s[4:5], vcc, s[4:5]
	s_andn2_b64 exec, exec, s[4:5]
	s_cbranch_execnz .LBB831_3
; %bb.4:
	s_or_b64 exec, exec, s[4:5]
.LBB831_5:
	s_or_b64 exec, exec, s[6:7]
	v_add_u32_e32 v2, v1, v2
	v_mov_b32_e32 v1, 0
	v_lshlrev_b64 v[0:1], 2, v[0:1]
	v_mov_b32_e32 v3, s3
	v_add_co_u32_e32 v0, vcc, s2, v0
	v_addc_co_u32_e32 v1, vcc, v3, v1, vcc
	global_store_dword v[0:1], v2, off
.LBB831_6:
	s_endpgm
	.section	.rodata,"a",@progbits
	.p2align	6, 0x0
	.amdhsa_kernel _ZN7rocprim17ROCPRIM_400000_NS6detail17trampoline_kernelINS0_14default_configENS1_38merge_sort_block_merge_config_selectorIlNS0_10empty_typeEEEZZNS1_27merge_sort_block_merge_implIS3_PlPS5_jNS1_19radix_merge_compareILb0ELb1ElNS0_19identity_decomposerEEEEE10hipError_tT0_T1_T2_jT3_P12ihipStream_tbPNSt15iterator_traitsISE_E10value_typeEPNSK_ISF_E10value_typeEPSG_NS1_7vsmem_tEENKUlT_SE_SF_SG_E_clIS8_S8_S9_S9_EESD_ST_SE_SF_SG_EUlST_E_NS1_11comp_targetILNS1_3genE4ELNS1_11target_archE910ELNS1_3gpuE8ELNS1_3repE0EEENS1_48merge_mergepath_partition_config_static_selectorELNS0_4arch9wavefront6targetE1EEEvSF_
		.amdhsa_group_segment_fixed_size 0
		.amdhsa_private_segment_fixed_size 0
		.amdhsa_kernarg_size 40
		.amdhsa_user_sgpr_count 6
		.amdhsa_user_sgpr_private_segment_buffer 1
		.amdhsa_user_sgpr_dispatch_ptr 0
		.amdhsa_user_sgpr_queue_ptr 0
		.amdhsa_user_sgpr_kernarg_segment_ptr 1
		.amdhsa_user_sgpr_dispatch_id 0
		.amdhsa_user_sgpr_flat_scratch_init 0
		.amdhsa_user_sgpr_kernarg_preload_length 0
		.amdhsa_user_sgpr_kernarg_preload_offset 0
		.amdhsa_user_sgpr_private_segment_size 0
		.amdhsa_uses_dynamic_stack 0
		.amdhsa_system_sgpr_private_segment_wavefront_offset 0
		.amdhsa_system_sgpr_workgroup_id_x 1
		.amdhsa_system_sgpr_workgroup_id_y 0
		.amdhsa_system_sgpr_workgroup_id_z 0
		.amdhsa_system_sgpr_workgroup_info 0
		.amdhsa_system_vgpr_workitem_id 0
		.amdhsa_next_free_vgpr 16
		.amdhsa_next_free_sgpr 10
		.amdhsa_accum_offset 16
		.amdhsa_reserve_vcc 1
		.amdhsa_reserve_flat_scratch 0
		.amdhsa_float_round_mode_32 0
		.amdhsa_float_round_mode_16_64 0
		.amdhsa_float_denorm_mode_32 3
		.amdhsa_float_denorm_mode_16_64 3
		.amdhsa_dx10_clamp 1
		.amdhsa_ieee_mode 1
		.amdhsa_fp16_overflow 0
		.amdhsa_tg_split 0
		.amdhsa_exception_fp_ieee_invalid_op 0
		.amdhsa_exception_fp_denorm_src 0
		.amdhsa_exception_fp_ieee_div_zero 0
		.amdhsa_exception_fp_ieee_overflow 0
		.amdhsa_exception_fp_ieee_underflow 0
		.amdhsa_exception_fp_ieee_inexact 0
		.amdhsa_exception_int_div_zero 0
	.end_amdhsa_kernel
	.section	.text._ZN7rocprim17ROCPRIM_400000_NS6detail17trampoline_kernelINS0_14default_configENS1_38merge_sort_block_merge_config_selectorIlNS0_10empty_typeEEEZZNS1_27merge_sort_block_merge_implIS3_PlPS5_jNS1_19radix_merge_compareILb0ELb1ElNS0_19identity_decomposerEEEEE10hipError_tT0_T1_T2_jT3_P12ihipStream_tbPNSt15iterator_traitsISE_E10value_typeEPNSK_ISF_E10value_typeEPSG_NS1_7vsmem_tEENKUlT_SE_SF_SG_E_clIS8_S8_S9_S9_EESD_ST_SE_SF_SG_EUlST_E_NS1_11comp_targetILNS1_3genE4ELNS1_11target_archE910ELNS1_3gpuE8ELNS1_3repE0EEENS1_48merge_mergepath_partition_config_static_selectorELNS0_4arch9wavefront6targetE1EEEvSF_,"axG",@progbits,_ZN7rocprim17ROCPRIM_400000_NS6detail17trampoline_kernelINS0_14default_configENS1_38merge_sort_block_merge_config_selectorIlNS0_10empty_typeEEEZZNS1_27merge_sort_block_merge_implIS3_PlPS5_jNS1_19radix_merge_compareILb0ELb1ElNS0_19identity_decomposerEEEEE10hipError_tT0_T1_T2_jT3_P12ihipStream_tbPNSt15iterator_traitsISE_E10value_typeEPNSK_ISF_E10value_typeEPSG_NS1_7vsmem_tEENKUlT_SE_SF_SG_E_clIS8_S8_S9_S9_EESD_ST_SE_SF_SG_EUlST_E_NS1_11comp_targetILNS1_3genE4ELNS1_11target_archE910ELNS1_3gpuE8ELNS1_3repE0EEENS1_48merge_mergepath_partition_config_static_selectorELNS0_4arch9wavefront6targetE1EEEvSF_,comdat
.Lfunc_end831:
	.size	_ZN7rocprim17ROCPRIM_400000_NS6detail17trampoline_kernelINS0_14default_configENS1_38merge_sort_block_merge_config_selectorIlNS0_10empty_typeEEEZZNS1_27merge_sort_block_merge_implIS3_PlPS5_jNS1_19radix_merge_compareILb0ELb1ElNS0_19identity_decomposerEEEEE10hipError_tT0_T1_T2_jT3_P12ihipStream_tbPNSt15iterator_traitsISE_E10value_typeEPNSK_ISF_E10value_typeEPSG_NS1_7vsmem_tEENKUlT_SE_SF_SG_E_clIS8_S8_S9_S9_EESD_ST_SE_SF_SG_EUlST_E_NS1_11comp_targetILNS1_3genE4ELNS1_11target_archE910ELNS1_3gpuE8ELNS1_3repE0EEENS1_48merge_mergepath_partition_config_static_selectorELNS0_4arch9wavefront6targetE1EEEvSF_, .Lfunc_end831-_ZN7rocprim17ROCPRIM_400000_NS6detail17trampoline_kernelINS0_14default_configENS1_38merge_sort_block_merge_config_selectorIlNS0_10empty_typeEEEZZNS1_27merge_sort_block_merge_implIS3_PlPS5_jNS1_19radix_merge_compareILb0ELb1ElNS0_19identity_decomposerEEEEE10hipError_tT0_T1_T2_jT3_P12ihipStream_tbPNSt15iterator_traitsISE_E10value_typeEPNSK_ISF_E10value_typeEPSG_NS1_7vsmem_tEENKUlT_SE_SF_SG_E_clIS8_S8_S9_S9_EESD_ST_SE_SF_SG_EUlST_E_NS1_11comp_targetILNS1_3genE4ELNS1_11target_archE910ELNS1_3gpuE8ELNS1_3repE0EEENS1_48merge_mergepath_partition_config_static_selectorELNS0_4arch9wavefront6targetE1EEEvSF_
                                        ; -- End function
	.section	.AMDGPU.csdata,"",@progbits
; Kernel info:
; codeLenInByte = 380
; NumSgprs: 14
; NumVgprs: 16
; NumAgprs: 0
; TotalNumVgprs: 16
; ScratchSize: 0
; MemoryBound: 0
; FloatMode: 240
; IeeeMode: 1
; LDSByteSize: 0 bytes/workgroup (compile time only)
; SGPRBlocks: 1
; VGPRBlocks: 1
; NumSGPRsForWavesPerEU: 14
; NumVGPRsForWavesPerEU: 16
; AccumOffset: 16
; Occupancy: 8
; WaveLimiterHint : 0
; COMPUTE_PGM_RSRC2:SCRATCH_EN: 0
; COMPUTE_PGM_RSRC2:USER_SGPR: 6
; COMPUTE_PGM_RSRC2:TRAP_HANDLER: 0
; COMPUTE_PGM_RSRC2:TGID_X_EN: 1
; COMPUTE_PGM_RSRC2:TGID_Y_EN: 0
; COMPUTE_PGM_RSRC2:TGID_Z_EN: 0
; COMPUTE_PGM_RSRC2:TIDIG_COMP_CNT: 0
; COMPUTE_PGM_RSRC3_GFX90A:ACCUM_OFFSET: 3
; COMPUTE_PGM_RSRC3_GFX90A:TG_SPLIT: 0
	.section	.text._ZN7rocprim17ROCPRIM_400000_NS6detail17trampoline_kernelINS0_14default_configENS1_38merge_sort_block_merge_config_selectorIlNS0_10empty_typeEEEZZNS1_27merge_sort_block_merge_implIS3_PlPS5_jNS1_19radix_merge_compareILb0ELb1ElNS0_19identity_decomposerEEEEE10hipError_tT0_T1_T2_jT3_P12ihipStream_tbPNSt15iterator_traitsISE_E10value_typeEPNSK_ISF_E10value_typeEPSG_NS1_7vsmem_tEENKUlT_SE_SF_SG_E_clIS8_S8_S9_S9_EESD_ST_SE_SF_SG_EUlST_E_NS1_11comp_targetILNS1_3genE3ELNS1_11target_archE908ELNS1_3gpuE7ELNS1_3repE0EEENS1_48merge_mergepath_partition_config_static_selectorELNS0_4arch9wavefront6targetE1EEEvSF_,"axG",@progbits,_ZN7rocprim17ROCPRIM_400000_NS6detail17trampoline_kernelINS0_14default_configENS1_38merge_sort_block_merge_config_selectorIlNS0_10empty_typeEEEZZNS1_27merge_sort_block_merge_implIS3_PlPS5_jNS1_19radix_merge_compareILb0ELb1ElNS0_19identity_decomposerEEEEE10hipError_tT0_T1_T2_jT3_P12ihipStream_tbPNSt15iterator_traitsISE_E10value_typeEPNSK_ISF_E10value_typeEPSG_NS1_7vsmem_tEENKUlT_SE_SF_SG_E_clIS8_S8_S9_S9_EESD_ST_SE_SF_SG_EUlST_E_NS1_11comp_targetILNS1_3genE3ELNS1_11target_archE908ELNS1_3gpuE7ELNS1_3repE0EEENS1_48merge_mergepath_partition_config_static_selectorELNS0_4arch9wavefront6targetE1EEEvSF_,comdat
	.protected	_ZN7rocprim17ROCPRIM_400000_NS6detail17trampoline_kernelINS0_14default_configENS1_38merge_sort_block_merge_config_selectorIlNS0_10empty_typeEEEZZNS1_27merge_sort_block_merge_implIS3_PlPS5_jNS1_19radix_merge_compareILb0ELb1ElNS0_19identity_decomposerEEEEE10hipError_tT0_T1_T2_jT3_P12ihipStream_tbPNSt15iterator_traitsISE_E10value_typeEPNSK_ISF_E10value_typeEPSG_NS1_7vsmem_tEENKUlT_SE_SF_SG_E_clIS8_S8_S9_S9_EESD_ST_SE_SF_SG_EUlST_E_NS1_11comp_targetILNS1_3genE3ELNS1_11target_archE908ELNS1_3gpuE7ELNS1_3repE0EEENS1_48merge_mergepath_partition_config_static_selectorELNS0_4arch9wavefront6targetE1EEEvSF_ ; -- Begin function _ZN7rocprim17ROCPRIM_400000_NS6detail17trampoline_kernelINS0_14default_configENS1_38merge_sort_block_merge_config_selectorIlNS0_10empty_typeEEEZZNS1_27merge_sort_block_merge_implIS3_PlPS5_jNS1_19radix_merge_compareILb0ELb1ElNS0_19identity_decomposerEEEEE10hipError_tT0_T1_T2_jT3_P12ihipStream_tbPNSt15iterator_traitsISE_E10value_typeEPNSK_ISF_E10value_typeEPSG_NS1_7vsmem_tEENKUlT_SE_SF_SG_E_clIS8_S8_S9_S9_EESD_ST_SE_SF_SG_EUlST_E_NS1_11comp_targetILNS1_3genE3ELNS1_11target_archE908ELNS1_3gpuE7ELNS1_3repE0EEENS1_48merge_mergepath_partition_config_static_selectorELNS0_4arch9wavefront6targetE1EEEvSF_
	.globl	_ZN7rocprim17ROCPRIM_400000_NS6detail17trampoline_kernelINS0_14default_configENS1_38merge_sort_block_merge_config_selectorIlNS0_10empty_typeEEEZZNS1_27merge_sort_block_merge_implIS3_PlPS5_jNS1_19radix_merge_compareILb0ELb1ElNS0_19identity_decomposerEEEEE10hipError_tT0_T1_T2_jT3_P12ihipStream_tbPNSt15iterator_traitsISE_E10value_typeEPNSK_ISF_E10value_typeEPSG_NS1_7vsmem_tEENKUlT_SE_SF_SG_E_clIS8_S8_S9_S9_EESD_ST_SE_SF_SG_EUlST_E_NS1_11comp_targetILNS1_3genE3ELNS1_11target_archE908ELNS1_3gpuE7ELNS1_3repE0EEENS1_48merge_mergepath_partition_config_static_selectorELNS0_4arch9wavefront6targetE1EEEvSF_
	.p2align	8
	.type	_ZN7rocprim17ROCPRIM_400000_NS6detail17trampoline_kernelINS0_14default_configENS1_38merge_sort_block_merge_config_selectorIlNS0_10empty_typeEEEZZNS1_27merge_sort_block_merge_implIS3_PlPS5_jNS1_19radix_merge_compareILb0ELb1ElNS0_19identity_decomposerEEEEE10hipError_tT0_T1_T2_jT3_P12ihipStream_tbPNSt15iterator_traitsISE_E10value_typeEPNSK_ISF_E10value_typeEPSG_NS1_7vsmem_tEENKUlT_SE_SF_SG_E_clIS8_S8_S9_S9_EESD_ST_SE_SF_SG_EUlST_E_NS1_11comp_targetILNS1_3genE3ELNS1_11target_archE908ELNS1_3gpuE7ELNS1_3repE0EEENS1_48merge_mergepath_partition_config_static_selectorELNS0_4arch9wavefront6targetE1EEEvSF_,@function
_ZN7rocprim17ROCPRIM_400000_NS6detail17trampoline_kernelINS0_14default_configENS1_38merge_sort_block_merge_config_selectorIlNS0_10empty_typeEEEZZNS1_27merge_sort_block_merge_implIS3_PlPS5_jNS1_19radix_merge_compareILb0ELb1ElNS0_19identity_decomposerEEEEE10hipError_tT0_T1_T2_jT3_P12ihipStream_tbPNSt15iterator_traitsISE_E10value_typeEPNSK_ISF_E10value_typeEPSG_NS1_7vsmem_tEENKUlT_SE_SF_SG_E_clIS8_S8_S9_S9_EESD_ST_SE_SF_SG_EUlST_E_NS1_11comp_targetILNS1_3genE3ELNS1_11target_archE908ELNS1_3gpuE7ELNS1_3repE0EEENS1_48merge_mergepath_partition_config_static_selectorELNS0_4arch9wavefront6targetE1EEEvSF_: ; @_ZN7rocprim17ROCPRIM_400000_NS6detail17trampoline_kernelINS0_14default_configENS1_38merge_sort_block_merge_config_selectorIlNS0_10empty_typeEEEZZNS1_27merge_sort_block_merge_implIS3_PlPS5_jNS1_19radix_merge_compareILb0ELb1ElNS0_19identity_decomposerEEEEE10hipError_tT0_T1_T2_jT3_P12ihipStream_tbPNSt15iterator_traitsISE_E10value_typeEPNSK_ISF_E10value_typeEPSG_NS1_7vsmem_tEENKUlT_SE_SF_SG_E_clIS8_S8_S9_S9_EESD_ST_SE_SF_SG_EUlST_E_NS1_11comp_targetILNS1_3genE3ELNS1_11target_archE908ELNS1_3gpuE7ELNS1_3repE0EEENS1_48merge_mergepath_partition_config_static_selectorELNS0_4arch9wavefront6targetE1EEEvSF_
; %bb.0:
	.section	.rodata,"a",@progbits
	.p2align	6, 0x0
	.amdhsa_kernel _ZN7rocprim17ROCPRIM_400000_NS6detail17trampoline_kernelINS0_14default_configENS1_38merge_sort_block_merge_config_selectorIlNS0_10empty_typeEEEZZNS1_27merge_sort_block_merge_implIS3_PlPS5_jNS1_19radix_merge_compareILb0ELb1ElNS0_19identity_decomposerEEEEE10hipError_tT0_T1_T2_jT3_P12ihipStream_tbPNSt15iterator_traitsISE_E10value_typeEPNSK_ISF_E10value_typeEPSG_NS1_7vsmem_tEENKUlT_SE_SF_SG_E_clIS8_S8_S9_S9_EESD_ST_SE_SF_SG_EUlST_E_NS1_11comp_targetILNS1_3genE3ELNS1_11target_archE908ELNS1_3gpuE7ELNS1_3repE0EEENS1_48merge_mergepath_partition_config_static_selectorELNS0_4arch9wavefront6targetE1EEEvSF_
		.amdhsa_group_segment_fixed_size 0
		.amdhsa_private_segment_fixed_size 0
		.amdhsa_kernarg_size 40
		.amdhsa_user_sgpr_count 6
		.amdhsa_user_sgpr_private_segment_buffer 1
		.amdhsa_user_sgpr_dispatch_ptr 0
		.amdhsa_user_sgpr_queue_ptr 0
		.amdhsa_user_sgpr_kernarg_segment_ptr 1
		.amdhsa_user_sgpr_dispatch_id 0
		.amdhsa_user_sgpr_flat_scratch_init 0
		.amdhsa_user_sgpr_kernarg_preload_length 0
		.amdhsa_user_sgpr_kernarg_preload_offset 0
		.amdhsa_user_sgpr_private_segment_size 0
		.amdhsa_uses_dynamic_stack 0
		.amdhsa_system_sgpr_private_segment_wavefront_offset 0
		.amdhsa_system_sgpr_workgroup_id_x 1
		.amdhsa_system_sgpr_workgroup_id_y 0
		.amdhsa_system_sgpr_workgroup_id_z 0
		.amdhsa_system_sgpr_workgroup_info 0
		.amdhsa_system_vgpr_workitem_id 0
		.amdhsa_next_free_vgpr 1
		.amdhsa_next_free_sgpr 0
		.amdhsa_accum_offset 4
		.amdhsa_reserve_vcc 0
		.amdhsa_reserve_flat_scratch 0
		.amdhsa_float_round_mode_32 0
		.amdhsa_float_round_mode_16_64 0
		.amdhsa_float_denorm_mode_32 3
		.amdhsa_float_denorm_mode_16_64 3
		.amdhsa_dx10_clamp 1
		.amdhsa_ieee_mode 1
		.amdhsa_fp16_overflow 0
		.amdhsa_tg_split 0
		.amdhsa_exception_fp_ieee_invalid_op 0
		.amdhsa_exception_fp_denorm_src 0
		.amdhsa_exception_fp_ieee_div_zero 0
		.amdhsa_exception_fp_ieee_overflow 0
		.amdhsa_exception_fp_ieee_underflow 0
		.amdhsa_exception_fp_ieee_inexact 0
		.amdhsa_exception_int_div_zero 0
	.end_amdhsa_kernel
	.section	.text._ZN7rocprim17ROCPRIM_400000_NS6detail17trampoline_kernelINS0_14default_configENS1_38merge_sort_block_merge_config_selectorIlNS0_10empty_typeEEEZZNS1_27merge_sort_block_merge_implIS3_PlPS5_jNS1_19radix_merge_compareILb0ELb1ElNS0_19identity_decomposerEEEEE10hipError_tT0_T1_T2_jT3_P12ihipStream_tbPNSt15iterator_traitsISE_E10value_typeEPNSK_ISF_E10value_typeEPSG_NS1_7vsmem_tEENKUlT_SE_SF_SG_E_clIS8_S8_S9_S9_EESD_ST_SE_SF_SG_EUlST_E_NS1_11comp_targetILNS1_3genE3ELNS1_11target_archE908ELNS1_3gpuE7ELNS1_3repE0EEENS1_48merge_mergepath_partition_config_static_selectorELNS0_4arch9wavefront6targetE1EEEvSF_,"axG",@progbits,_ZN7rocprim17ROCPRIM_400000_NS6detail17trampoline_kernelINS0_14default_configENS1_38merge_sort_block_merge_config_selectorIlNS0_10empty_typeEEEZZNS1_27merge_sort_block_merge_implIS3_PlPS5_jNS1_19radix_merge_compareILb0ELb1ElNS0_19identity_decomposerEEEEE10hipError_tT0_T1_T2_jT3_P12ihipStream_tbPNSt15iterator_traitsISE_E10value_typeEPNSK_ISF_E10value_typeEPSG_NS1_7vsmem_tEENKUlT_SE_SF_SG_E_clIS8_S8_S9_S9_EESD_ST_SE_SF_SG_EUlST_E_NS1_11comp_targetILNS1_3genE3ELNS1_11target_archE908ELNS1_3gpuE7ELNS1_3repE0EEENS1_48merge_mergepath_partition_config_static_selectorELNS0_4arch9wavefront6targetE1EEEvSF_,comdat
.Lfunc_end832:
	.size	_ZN7rocprim17ROCPRIM_400000_NS6detail17trampoline_kernelINS0_14default_configENS1_38merge_sort_block_merge_config_selectorIlNS0_10empty_typeEEEZZNS1_27merge_sort_block_merge_implIS3_PlPS5_jNS1_19radix_merge_compareILb0ELb1ElNS0_19identity_decomposerEEEEE10hipError_tT0_T1_T2_jT3_P12ihipStream_tbPNSt15iterator_traitsISE_E10value_typeEPNSK_ISF_E10value_typeEPSG_NS1_7vsmem_tEENKUlT_SE_SF_SG_E_clIS8_S8_S9_S9_EESD_ST_SE_SF_SG_EUlST_E_NS1_11comp_targetILNS1_3genE3ELNS1_11target_archE908ELNS1_3gpuE7ELNS1_3repE0EEENS1_48merge_mergepath_partition_config_static_selectorELNS0_4arch9wavefront6targetE1EEEvSF_, .Lfunc_end832-_ZN7rocprim17ROCPRIM_400000_NS6detail17trampoline_kernelINS0_14default_configENS1_38merge_sort_block_merge_config_selectorIlNS0_10empty_typeEEEZZNS1_27merge_sort_block_merge_implIS3_PlPS5_jNS1_19radix_merge_compareILb0ELb1ElNS0_19identity_decomposerEEEEE10hipError_tT0_T1_T2_jT3_P12ihipStream_tbPNSt15iterator_traitsISE_E10value_typeEPNSK_ISF_E10value_typeEPSG_NS1_7vsmem_tEENKUlT_SE_SF_SG_E_clIS8_S8_S9_S9_EESD_ST_SE_SF_SG_EUlST_E_NS1_11comp_targetILNS1_3genE3ELNS1_11target_archE908ELNS1_3gpuE7ELNS1_3repE0EEENS1_48merge_mergepath_partition_config_static_selectorELNS0_4arch9wavefront6targetE1EEEvSF_
                                        ; -- End function
	.section	.AMDGPU.csdata,"",@progbits
; Kernel info:
; codeLenInByte = 0
; NumSgprs: 4
; NumVgprs: 0
; NumAgprs: 0
; TotalNumVgprs: 0
; ScratchSize: 0
; MemoryBound: 0
; FloatMode: 240
; IeeeMode: 1
; LDSByteSize: 0 bytes/workgroup (compile time only)
; SGPRBlocks: 0
; VGPRBlocks: 0
; NumSGPRsForWavesPerEU: 4
; NumVGPRsForWavesPerEU: 1
; AccumOffset: 4
; Occupancy: 8
; WaveLimiterHint : 0
; COMPUTE_PGM_RSRC2:SCRATCH_EN: 0
; COMPUTE_PGM_RSRC2:USER_SGPR: 6
; COMPUTE_PGM_RSRC2:TRAP_HANDLER: 0
; COMPUTE_PGM_RSRC2:TGID_X_EN: 1
; COMPUTE_PGM_RSRC2:TGID_Y_EN: 0
; COMPUTE_PGM_RSRC2:TGID_Z_EN: 0
; COMPUTE_PGM_RSRC2:TIDIG_COMP_CNT: 0
; COMPUTE_PGM_RSRC3_GFX90A:ACCUM_OFFSET: 0
; COMPUTE_PGM_RSRC3_GFX90A:TG_SPLIT: 0
	.section	.text._ZN7rocprim17ROCPRIM_400000_NS6detail17trampoline_kernelINS0_14default_configENS1_38merge_sort_block_merge_config_selectorIlNS0_10empty_typeEEEZZNS1_27merge_sort_block_merge_implIS3_PlPS5_jNS1_19radix_merge_compareILb0ELb1ElNS0_19identity_decomposerEEEEE10hipError_tT0_T1_T2_jT3_P12ihipStream_tbPNSt15iterator_traitsISE_E10value_typeEPNSK_ISF_E10value_typeEPSG_NS1_7vsmem_tEENKUlT_SE_SF_SG_E_clIS8_S8_S9_S9_EESD_ST_SE_SF_SG_EUlST_E_NS1_11comp_targetILNS1_3genE2ELNS1_11target_archE906ELNS1_3gpuE6ELNS1_3repE0EEENS1_48merge_mergepath_partition_config_static_selectorELNS0_4arch9wavefront6targetE1EEEvSF_,"axG",@progbits,_ZN7rocprim17ROCPRIM_400000_NS6detail17trampoline_kernelINS0_14default_configENS1_38merge_sort_block_merge_config_selectorIlNS0_10empty_typeEEEZZNS1_27merge_sort_block_merge_implIS3_PlPS5_jNS1_19radix_merge_compareILb0ELb1ElNS0_19identity_decomposerEEEEE10hipError_tT0_T1_T2_jT3_P12ihipStream_tbPNSt15iterator_traitsISE_E10value_typeEPNSK_ISF_E10value_typeEPSG_NS1_7vsmem_tEENKUlT_SE_SF_SG_E_clIS8_S8_S9_S9_EESD_ST_SE_SF_SG_EUlST_E_NS1_11comp_targetILNS1_3genE2ELNS1_11target_archE906ELNS1_3gpuE6ELNS1_3repE0EEENS1_48merge_mergepath_partition_config_static_selectorELNS0_4arch9wavefront6targetE1EEEvSF_,comdat
	.protected	_ZN7rocprim17ROCPRIM_400000_NS6detail17trampoline_kernelINS0_14default_configENS1_38merge_sort_block_merge_config_selectorIlNS0_10empty_typeEEEZZNS1_27merge_sort_block_merge_implIS3_PlPS5_jNS1_19radix_merge_compareILb0ELb1ElNS0_19identity_decomposerEEEEE10hipError_tT0_T1_T2_jT3_P12ihipStream_tbPNSt15iterator_traitsISE_E10value_typeEPNSK_ISF_E10value_typeEPSG_NS1_7vsmem_tEENKUlT_SE_SF_SG_E_clIS8_S8_S9_S9_EESD_ST_SE_SF_SG_EUlST_E_NS1_11comp_targetILNS1_3genE2ELNS1_11target_archE906ELNS1_3gpuE6ELNS1_3repE0EEENS1_48merge_mergepath_partition_config_static_selectorELNS0_4arch9wavefront6targetE1EEEvSF_ ; -- Begin function _ZN7rocprim17ROCPRIM_400000_NS6detail17trampoline_kernelINS0_14default_configENS1_38merge_sort_block_merge_config_selectorIlNS0_10empty_typeEEEZZNS1_27merge_sort_block_merge_implIS3_PlPS5_jNS1_19radix_merge_compareILb0ELb1ElNS0_19identity_decomposerEEEEE10hipError_tT0_T1_T2_jT3_P12ihipStream_tbPNSt15iterator_traitsISE_E10value_typeEPNSK_ISF_E10value_typeEPSG_NS1_7vsmem_tEENKUlT_SE_SF_SG_E_clIS8_S8_S9_S9_EESD_ST_SE_SF_SG_EUlST_E_NS1_11comp_targetILNS1_3genE2ELNS1_11target_archE906ELNS1_3gpuE6ELNS1_3repE0EEENS1_48merge_mergepath_partition_config_static_selectorELNS0_4arch9wavefront6targetE1EEEvSF_
	.globl	_ZN7rocprim17ROCPRIM_400000_NS6detail17trampoline_kernelINS0_14default_configENS1_38merge_sort_block_merge_config_selectorIlNS0_10empty_typeEEEZZNS1_27merge_sort_block_merge_implIS3_PlPS5_jNS1_19radix_merge_compareILb0ELb1ElNS0_19identity_decomposerEEEEE10hipError_tT0_T1_T2_jT3_P12ihipStream_tbPNSt15iterator_traitsISE_E10value_typeEPNSK_ISF_E10value_typeEPSG_NS1_7vsmem_tEENKUlT_SE_SF_SG_E_clIS8_S8_S9_S9_EESD_ST_SE_SF_SG_EUlST_E_NS1_11comp_targetILNS1_3genE2ELNS1_11target_archE906ELNS1_3gpuE6ELNS1_3repE0EEENS1_48merge_mergepath_partition_config_static_selectorELNS0_4arch9wavefront6targetE1EEEvSF_
	.p2align	8
	.type	_ZN7rocprim17ROCPRIM_400000_NS6detail17trampoline_kernelINS0_14default_configENS1_38merge_sort_block_merge_config_selectorIlNS0_10empty_typeEEEZZNS1_27merge_sort_block_merge_implIS3_PlPS5_jNS1_19radix_merge_compareILb0ELb1ElNS0_19identity_decomposerEEEEE10hipError_tT0_T1_T2_jT3_P12ihipStream_tbPNSt15iterator_traitsISE_E10value_typeEPNSK_ISF_E10value_typeEPSG_NS1_7vsmem_tEENKUlT_SE_SF_SG_E_clIS8_S8_S9_S9_EESD_ST_SE_SF_SG_EUlST_E_NS1_11comp_targetILNS1_3genE2ELNS1_11target_archE906ELNS1_3gpuE6ELNS1_3repE0EEENS1_48merge_mergepath_partition_config_static_selectorELNS0_4arch9wavefront6targetE1EEEvSF_,@function
_ZN7rocprim17ROCPRIM_400000_NS6detail17trampoline_kernelINS0_14default_configENS1_38merge_sort_block_merge_config_selectorIlNS0_10empty_typeEEEZZNS1_27merge_sort_block_merge_implIS3_PlPS5_jNS1_19radix_merge_compareILb0ELb1ElNS0_19identity_decomposerEEEEE10hipError_tT0_T1_T2_jT3_P12ihipStream_tbPNSt15iterator_traitsISE_E10value_typeEPNSK_ISF_E10value_typeEPSG_NS1_7vsmem_tEENKUlT_SE_SF_SG_E_clIS8_S8_S9_S9_EESD_ST_SE_SF_SG_EUlST_E_NS1_11comp_targetILNS1_3genE2ELNS1_11target_archE906ELNS1_3gpuE6ELNS1_3repE0EEENS1_48merge_mergepath_partition_config_static_selectorELNS0_4arch9wavefront6targetE1EEEvSF_: ; @_ZN7rocprim17ROCPRIM_400000_NS6detail17trampoline_kernelINS0_14default_configENS1_38merge_sort_block_merge_config_selectorIlNS0_10empty_typeEEEZZNS1_27merge_sort_block_merge_implIS3_PlPS5_jNS1_19radix_merge_compareILb0ELb1ElNS0_19identity_decomposerEEEEE10hipError_tT0_T1_T2_jT3_P12ihipStream_tbPNSt15iterator_traitsISE_E10value_typeEPNSK_ISF_E10value_typeEPSG_NS1_7vsmem_tEENKUlT_SE_SF_SG_E_clIS8_S8_S9_S9_EESD_ST_SE_SF_SG_EUlST_E_NS1_11comp_targetILNS1_3genE2ELNS1_11target_archE906ELNS1_3gpuE6ELNS1_3repE0EEENS1_48merge_mergepath_partition_config_static_selectorELNS0_4arch9wavefront6targetE1EEEvSF_
; %bb.0:
	.section	.rodata,"a",@progbits
	.p2align	6, 0x0
	.amdhsa_kernel _ZN7rocprim17ROCPRIM_400000_NS6detail17trampoline_kernelINS0_14default_configENS1_38merge_sort_block_merge_config_selectorIlNS0_10empty_typeEEEZZNS1_27merge_sort_block_merge_implIS3_PlPS5_jNS1_19radix_merge_compareILb0ELb1ElNS0_19identity_decomposerEEEEE10hipError_tT0_T1_T2_jT3_P12ihipStream_tbPNSt15iterator_traitsISE_E10value_typeEPNSK_ISF_E10value_typeEPSG_NS1_7vsmem_tEENKUlT_SE_SF_SG_E_clIS8_S8_S9_S9_EESD_ST_SE_SF_SG_EUlST_E_NS1_11comp_targetILNS1_3genE2ELNS1_11target_archE906ELNS1_3gpuE6ELNS1_3repE0EEENS1_48merge_mergepath_partition_config_static_selectorELNS0_4arch9wavefront6targetE1EEEvSF_
		.amdhsa_group_segment_fixed_size 0
		.amdhsa_private_segment_fixed_size 0
		.amdhsa_kernarg_size 40
		.amdhsa_user_sgpr_count 6
		.amdhsa_user_sgpr_private_segment_buffer 1
		.amdhsa_user_sgpr_dispatch_ptr 0
		.amdhsa_user_sgpr_queue_ptr 0
		.amdhsa_user_sgpr_kernarg_segment_ptr 1
		.amdhsa_user_sgpr_dispatch_id 0
		.amdhsa_user_sgpr_flat_scratch_init 0
		.amdhsa_user_sgpr_kernarg_preload_length 0
		.amdhsa_user_sgpr_kernarg_preload_offset 0
		.amdhsa_user_sgpr_private_segment_size 0
		.amdhsa_uses_dynamic_stack 0
		.amdhsa_system_sgpr_private_segment_wavefront_offset 0
		.amdhsa_system_sgpr_workgroup_id_x 1
		.amdhsa_system_sgpr_workgroup_id_y 0
		.amdhsa_system_sgpr_workgroup_id_z 0
		.amdhsa_system_sgpr_workgroup_info 0
		.amdhsa_system_vgpr_workitem_id 0
		.amdhsa_next_free_vgpr 1
		.amdhsa_next_free_sgpr 0
		.amdhsa_accum_offset 4
		.amdhsa_reserve_vcc 0
		.amdhsa_reserve_flat_scratch 0
		.amdhsa_float_round_mode_32 0
		.amdhsa_float_round_mode_16_64 0
		.amdhsa_float_denorm_mode_32 3
		.amdhsa_float_denorm_mode_16_64 3
		.amdhsa_dx10_clamp 1
		.amdhsa_ieee_mode 1
		.amdhsa_fp16_overflow 0
		.amdhsa_tg_split 0
		.amdhsa_exception_fp_ieee_invalid_op 0
		.amdhsa_exception_fp_denorm_src 0
		.amdhsa_exception_fp_ieee_div_zero 0
		.amdhsa_exception_fp_ieee_overflow 0
		.amdhsa_exception_fp_ieee_underflow 0
		.amdhsa_exception_fp_ieee_inexact 0
		.amdhsa_exception_int_div_zero 0
	.end_amdhsa_kernel
	.section	.text._ZN7rocprim17ROCPRIM_400000_NS6detail17trampoline_kernelINS0_14default_configENS1_38merge_sort_block_merge_config_selectorIlNS0_10empty_typeEEEZZNS1_27merge_sort_block_merge_implIS3_PlPS5_jNS1_19radix_merge_compareILb0ELb1ElNS0_19identity_decomposerEEEEE10hipError_tT0_T1_T2_jT3_P12ihipStream_tbPNSt15iterator_traitsISE_E10value_typeEPNSK_ISF_E10value_typeEPSG_NS1_7vsmem_tEENKUlT_SE_SF_SG_E_clIS8_S8_S9_S9_EESD_ST_SE_SF_SG_EUlST_E_NS1_11comp_targetILNS1_3genE2ELNS1_11target_archE906ELNS1_3gpuE6ELNS1_3repE0EEENS1_48merge_mergepath_partition_config_static_selectorELNS0_4arch9wavefront6targetE1EEEvSF_,"axG",@progbits,_ZN7rocprim17ROCPRIM_400000_NS6detail17trampoline_kernelINS0_14default_configENS1_38merge_sort_block_merge_config_selectorIlNS0_10empty_typeEEEZZNS1_27merge_sort_block_merge_implIS3_PlPS5_jNS1_19radix_merge_compareILb0ELb1ElNS0_19identity_decomposerEEEEE10hipError_tT0_T1_T2_jT3_P12ihipStream_tbPNSt15iterator_traitsISE_E10value_typeEPNSK_ISF_E10value_typeEPSG_NS1_7vsmem_tEENKUlT_SE_SF_SG_E_clIS8_S8_S9_S9_EESD_ST_SE_SF_SG_EUlST_E_NS1_11comp_targetILNS1_3genE2ELNS1_11target_archE906ELNS1_3gpuE6ELNS1_3repE0EEENS1_48merge_mergepath_partition_config_static_selectorELNS0_4arch9wavefront6targetE1EEEvSF_,comdat
.Lfunc_end833:
	.size	_ZN7rocprim17ROCPRIM_400000_NS6detail17trampoline_kernelINS0_14default_configENS1_38merge_sort_block_merge_config_selectorIlNS0_10empty_typeEEEZZNS1_27merge_sort_block_merge_implIS3_PlPS5_jNS1_19radix_merge_compareILb0ELb1ElNS0_19identity_decomposerEEEEE10hipError_tT0_T1_T2_jT3_P12ihipStream_tbPNSt15iterator_traitsISE_E10value_typeEPNSK_ISF_E10value_typeEPSG_NS1_7vsmem_tEENKUlT_SE_SF_SG_E_clIS8_S8_S9_S9_EESD_ST_SE_SF_SG_EUlST_E_NS1_11comp_targetILNS1_3genE2ELNS1_11target_archE906ELNS1_3gpuE6ELNS1_3repE0EEENS1_48merge_mergepath_partition_config_static_selectorELNS0_4arch9wavefront6targetE1EEEvSF_, .Lfunc_end833-_ZN7rocprim17ROCPRIM_400000_NS6detail17trampoline_kernelINS0_14default_configENS1_38merge_sort_block_merge_config_selectorIlNS0_10empty_typeEEEZZNS1_27merge_sort_block_merge_implIS3_PlPS5_jNS1_19radix_merge_compareILb0ELb1ElNS0_19identity_decomposerEEEEE10hipError_tT0_T1_T2_jT3_P12ihipStream_tbPNSt15iterator_traitsISE_E10value_typeEPNSK_ISF_E10value_typeEPSG_NS1_7vsmem_tEENKUlT_SE_SF_SG_E_clIS8_S8_S9_S9_EESD_ST_SE_SF_SG_EUlST_E_NS1_11comp_targetILNS1_3genE2ELNS1_11target_archE906ELNS1_3gpuE6ELNS1_3repE0EEENS1_48merge_mergepath_partition_config_static_selectorELNS0_4arch9wavefront6targetE1EEEvSF_
                                        ; -- End function
	.section	.AMDGPU.csdata,"",@progbits
; Kernel info:
; codeLenInByte = 0
; NumSgprs: 4
; NumVgprs: 0
; NumAgprs: 0
; TotalNumVgprs: 0
; ScratchSize: 0
; MemoryBound: 0
; FloatMode: 240
; IeeeMode: 1
; LDSByteSize: 0 bytes/workgroup (compile time only)
; SGPRBlocks: 0
; VGPRBlocks: 0
; NumSGPRsForWavesPerEU: 4
; NumVGPRsForWavesPerEU: 1
; AccumOffset: 4
; Occupancy: 8
; WaveLimiterHint : 0
; COMPUTE_PGM_RSRC2:SCRATCH_EN: 0
; COMPUTE_PGM_RSRC2:USER_SGPR: 6
; COMPUTE_PGM_RSRC2:TRAP_HANDLER: 0
; COMPUTE_PGM_RSRC2:TGID_X_EN: 1
; COMPUTE_PGM_RSRC2:TGID_Y_EN: 0
; COMPUTE_PGM_RSRC2:TGID_Z_EN: 0
; COMPUTE_PGM_RSRC2:TIDIG_COMP_CNT: 0
; COMPUTE_PGM_RSRC3_GFX90A:ACCUM_OFFSET: 0
; COMPUTE_PGM_RSRC3_GFX90A:TG_SPLIT: 0
	.section	.text._ZN7rocprim17ROCPRIM_400000_NS6detail17trampoline_kernelINS0_14default_configENS1_38merge_sort_block_merge_config_selectorIlNS0_10empty_typeEEEZZNS1_27merge_sort_block_merge_implIS3_PlPS5_jNS1_19radix_merge_compareILb0ELb1ElNS0_19identity_decomposerEEEEE10hipError_tT0_T1_T2_jT3_P12ihipStream_tbPNSt15iterator_traitsISE_E10value_typeEPNSK_ISF_E10value_typeEPSG_NS1_7vsmem_tEENKUlT_SE_SF_SG_E_clIS8_S8_S9_S9_EESD_ST_SE_SF_SG_EUlST_E_NS1_11comp_targetILNS1_3genE9ELNS1_11target_archE1100ELNS1_3gpuE3ELNS1_3repE0EEENS1_48merge_mergepath_partition_config_static_selectorELNS0_4arch9wavefront6targetE1EEEvSF_,"axG",@progbits,_ZN7rocprim17ROCPRIM_400000_NS6detail17trampoline_kernelINS0_14default_configENS1_38merge_sort_block_merge_config_selectorIlNS0_10empty_typeEEEZZNS1_27merge_sort_block_merge_implIS3_PlPS5_jNS1_19radix_merge_compareILb0ELb1ElNS0_19identity_decomposerEEEEE10hipError_tT0_T1_T2_jT3_P12ihipStream_tbPNSt15iterator_traitsISE_E10value_typeEPNSK_ISF_E10value_typeEPSG_NS1_7vsmem_tEENKUlT_SE_SF_SG_E_clIS8_S8_S9_S9_EESD_ST_SE_SF_SG_EUlST_E_NS1_11comp_targetILNS1_3genE9ELNS1_11target_archE1100ELNS1_3gpuE3ELNS1_3repE0EEENS1_48merge_mergepath_partition_config_static_selectorELNS0_4arch9wavefront6targetE1EEEvSF_,comdat
	.protected	_ZN7rocprim17ROCPRIM_400000_NS6detail17trampoline_kernelINS0_14default_configENS1_38merge_sort_block_merge_config_selectorIlNS0_10empty_typeEEEZZNS1_27merge_sort_block_merge_implIS3_PlPS5_jNS1_19radix_merge_compareILb0ELb1ElNS0_19identity_decomposerEEEEE10hipError_tT0_T1_T2_jT3_P12ihipStream_tbPNSt15iterator_traitsISE_E10value_typeEPNSK_ISF_E10value_typeEPSG_NS1_7vsmem_tEENKUlT_SE_SF_SG_E_clIS8_S8_S9_S9_EESD_ST_SE_SF_SG_EUlST_E_NS1_11comp_targetILNS1_3genE9ELNS1_11target_archE1100ELNS1_3gpuE3ELNS1_3repE0EEENS1_48merge_mergepath_partition_config_static_selectorELNS0_4arch9wavefront6targetE1EEEvSF_ ; -- Begin function _ZN7rocprim17ROCPRIM_400000_NS6detail17trampoline_kernelINS0_14default_configENS1_38merge_sort_block_merge_config_selectorIlNS0_10empty_typeEEEZZNS1_27merge_sort_block_merge_implIS3_PlPS5_jNS1_19radix_merge_compareILb0ELb1ElNS0_19identity_decomposerEEEEE10hipError_tT0_T1_T2_jT3_P12ihipStream_tbPNSt15iterator_traitsISE_E10value_typeEPNSK_ISF_E10value_typeEPSG_NS1_7vsmem_tEENKUlT_SE_SF_SG_E_clIS8_S8_S9_S9_EESD_ST_SE_SF_SG_EUlST_E_NS1_11comp_targetILNS1_3genE9ELNS1_11target_archE1100ELNS1_3gpuE3ELNS1_3repE0EEENS1_48merge_mergepath_partition_config_static_selectorELNS0_4arch9wavefront6targetE1EEEvSF_
	.globl	_ZN7rocprim17ROCPRIM_400000_NS6detail17trampoline_kernelINS0_14default_configENS1_38merge_sort_block_merge_config_selectorIlNS0_10empty_typeEEEZZNS1_27merge_sort_block_merge_implIS3_PlPS5_jNS1_19radix_merge_compareILb0ELb1ElNS0_19identity_decomposerEEEEE10hipError_tT0_T1_T2_jT3_P12ihipStream_tbPNSt15iterator_traitsISE_E10value_typeEPNSK_ISF_E10value_typeEPSG_NS1_7vsmem_tEENKUlT_SE_SF_SG_E_clIS8_S8_S9_S9_EESD_ST_SE_SF_SG_EUlST_E_NS1_11comp_targetILNS1_3genE9ELNS1_11target_archE1100ELNS1_3gpuE3ELNS1_3repE0EEENS1_48merge_mergepath_partition_config_static_selectorELNS0_4arch9wavefront6targetE1EEEvSF_
	.p2align	8
	.type	_ZN7rocprim17ROCPRIM_400000_NS6detail17trampoline_kernelINS0_14default_configENS1_38merge_sort_block_merge_config_selectorIlNS0_10empty_typeEEEZZNS1_27merge_sort_block_merge_implIS3_PlPS5_jNS1_19radix_merge_compareILb0ELb1ElNS0_19identity_decomposerEEEEE10hipError_tT0_T1_T2_jT3_P12ihipStream_tbPNSt15iterator_traitsISE_E10value_typeEPNSK_ISF_E10value_typeEPSG_NS1_7vsmem_tEENKUlT_SE_SF_SG_E_clIS8_S8_S9_S9_EESD_ST_SE_SF_SG_EUlST_E_NS1_11comp_targetILNS1_3genE9ELNS1_11target_archE1100ELNS1_3gpuE3ELNS1_3repE0EEENS1_48merge_mergepath_partition_config_static_selectorELNS0_4arch9wavefront6targetE1EEEvSF_,@function
_ZN7rocprim17ROCPRIM_400000_NS6detail17trampoline_kernelINS0_14default_configENS1_38merge_sort_block_merge_config_selectorIlNS0_10empty_typeEEEZZNS1_27merge_sort_block_merge_implIS3_PlPS5_jNS1_19radix_merge_compareILb0ELb1ElNS0_19identity_decomposerEEEEE10hipError_tT0_T1_T2_jT3_P12ihipStream_tbPNSt15iterator_traitsISE_E10value_typeEPNSK_ISF_E10value_typeEPSG_NS1_7vsmem_tEENKUlT_SE_SF_SG_E_clIS8_S8_S9_S9_EESD_ST_SE_SF_SG_EUlST_E_NS1_11comp_targetILNS1_3genE9ELNS1_11target_archE1100ELNS1_3gpuE3ELNS1_3repE0EEENS1_48merge_mergepath_partition_config_static_selectorELNS0_4arch9wavefront6targetE1EEEvSF_: ; @_ZN7rocprim17ROCPRIM_400000_NS6detail17trampoline_kernelINS0_14default_configENS1_38merge_sort_block_merge_config_selectorIlNS0_10empty_typeEEEZZNS1_27merge_sort_block_merge_implIS3_PlPS5_jNS1_19radix_merge_compareILb0ELb1ElNS0_19identity_decomposerEEEEE10hipError_tT0_T1_T2_jT3_P12ihipStream_tbPNSt15iterator_traitsISE_E10value_typeEPNSK_ISF_E10value_typeEPSG_NS1_7vsmem_tEENKUlT_SE_SF_SG_E_clIS8_S8_S9_S9_EESD_ST_SE_SF_SG_EUlST_E_NS1_11comp_targetILNS1_3genE9ELNS1_11target_archE1100ELNS1_3gpuE3ELNS1_3repE0EEENS1_48merge_mergepath_partition_config_static_selectorELNS0_4arch9wavefront6targetE1EEEvSF_
; %bb.0:
	.section	.rodata,"a",@progbits
	.p2align	6, 0x0
	.amdhsa_kernel _ZN7rocprim17ROCPRIM_400000_NS6detail17trampoline_kernelINS0_14default_configENS1_38merge_sort_block_merge_config_selectorIlNS0_10empty_typeEEEZZNS1_27merge_sort_block_merge_implIS3_PlPS5_jNS1_19radix_merge_compareILb0ELb1ElNS0_19identity_decomposerEEEEE10hipError_tT0_T1_T2_jT3_P12ihipStream_tbPNSt15iterator_traitsISE_E10value_typeEPNSK_ISF_E10value_typeEPSG_NS1_7vsmem_tEENKUlT_SE_SF_SG_E_clIS8_S8_S9_S9_EESD_ST_SE_SF_SG_EUlST_E_NS1_11comp_targetILNS1_3genE9ELNS1_11target_archE1100ELNS1_3gpuE3ELNS1_3repE0EEENS1_48merge_mergepath_partition_config_static_selectorELNS0_4arch9wavefront6targetE1EEEvSF_
		.amdhsa_group_segment_fixed_size 0
		.amdhsa_private_segment_fixed_size 0
		.amdhsa_kernarg_size 40
		.amdhsa_user_sgpr_count 6
		.amdhsa_user_sgpr_private_segment_buffer 1
		.amdhsa_user_sgpr_dispatch_ptr 0
		.amdhsa_user_sgpr_queue_ptr 0
		.amdhsa_user_sgpr_kernarg_segment_ptr 1
		.amdhsa_user_sgpr_dispatch_id 0
		.amdhsa_user_sgpr_flat_scratch_init 0
		.amdhsa_user_sgpr_kernarg_preload_length 0
		.amdhsa_user_sgpr_kernarg_preload_offset 0
		.amdhsa_user_sgpr_private_segment_size 0
		.amdhsa_uses_dynamic_stack 0
		.amdhsa_system_sgpr_private_segment_wavefront_offset 0
		.amdhsa_system_sgpr_workgroup_id_x 1
		.amdhsa_system_sgpr_workgroup_id_y 0
		.amdhsa_system_sgpr_workgroup_id_z 0
		.amdhsa_system_sgpr_workgroup_info 0
		.amdhsa_system_vgpr_workitem_id 0
		.amdhsa_next_free_vgpr 1
		.amdhsa_next_free_sgpr 0
		.amdhsa_accum_offset 4
		.amdhsa_reserve_vcc 0
		.amdhsa_reserve_flat_scratch 0
		.amdhsa_float_round_mode_32 0
		.amdhsa_float_round_mode_16_64 0
		.amdhsa_float_denorm_mode_32 3
		.amdhsa_float_denorm_mode_16_64 3
		.amdhsa_dx10_clamp 1
		.amdhsa_ieee_mode 1
		.amdhsa_fp16_overflow 0
		.amdhsa_tg_split 0
		.amdhsa_exception_fp_ieee_invalid_op 0
		.amdhsa_exception_fp_denorm_src 0
		.amdhsa_exception_fp_ieee_div_zero 0
		.amdhsa_exception_fp_ieee_overflow 0
		.amdhsa_exception_fp_ieee_underflow 0
		.amdhsa_exception_fp_ieee_inexact 0
		.amdhsa_exception_int_div_zero 0
	.end_amdhsa_kernel
	.section	.text._ZN7rocprim17ROCPRIM_400000_NS6detail17trampoline_kernelINS0_14default_configENS1_38merge_sort_block_merge_config_selectorIlNS0_10empty_typeEEEZZNS1_27merge_sort_block_merge_implIS3_PlPS5_jNS1_19radix_merge_compareILb0ELb1ElNS0_19identity_decomposerEEEEE10hipError_tT0_T1_T2_jT3_P12ihipStream_tbPNSt15iterator_traitsISE_E10value_typeEPNSK_ISF_E10value_typeEPSG_NS1_7vsmem_tEENKUlT_SE_SF_SG_E_clIS8_S8_S9_S9_EESD_ST_SE_SF_SG_EUlST_E_NS1_11comp_targetILNS1_3genE9ELNS1_11target_archE1100ELNS1_3gpuE3ELNS1_3repE0EEENS1_48merge_mergepath_partition_config_static_selectorELNS0_4arch9wavefront6targetE1EEEvSF_,"axG",@progbits,_ZN7rocprim17ROCPRIM_400000_NS6detail17trampoline_kernelINS0_14default_configENS1_38merge_sort_block_merge_config_selectorIlNS0_10empty_typeEEEZZNS1_27merge_sort_block_merge_implIS3_PlPS5_jNS1_19radix_merge_compareILb0ELb1ElNS0_19identity_decomposerEEEEE10hipError_tT0_T1_T2_jT3_P12ihipStream_tbPNSt15iterator_traitsISE_E10value_typeEPNSK_ISF_E10value_typeEPSG_NS1_7vsmem_tEENKUlT_SE_SF_SG_E_clIS8_S8_S9_S9_EESD_ST_SE_SF_SG_EUlST_E_NS1_11comp_targetILNS1_3genE9ELNS1_11target_archE1100ELNS1_3gpuE3ELNS1_3repE0EEENS1_48merge_mergepath_partition_config_static_selectorELNS0_4arch9wavefront6targetE1EEEvSF_,comdat
.Lfunc_end834:
	.size	_ZN7rocprim17ROCPRIM_400000_NS6detail17trampoline_kernelINS0_14default_configENS1_38merge_sort_block_merge_config_selectorIlNS0_10empty_typeEEEZZNS1_27merge_sort_block_merge_implIS3_PlPS5_jNS1_19radix_merge_compareILb0ELb1ElNS0_19identity_decomposerEEEEE10hipError_tT0_T1_T2_jT3_P12ihipStream_tbPNSt15iterator_traitsISE_E10value_typeEPNSK_ISF_E10value_typeEPSG_NS1_7vsmem_tEENKUlT_SE_SF_SG_E_clIS8_S8_S9_S9_EESD_ST_SE_SF_SG_EUlST_E_NS1_11comp_targetILNS1_3genE9ELNS1_11target_archE1100ELNS1_3gpuE3ELNS1_3repE0EEENS1_48merge_mergepath_partition_config_static_selectorELNS0_4arch9wavefront6targetE1EEEvSF_, .Lfunc_end834-_ZN7rocprim17ROCPRIM_400000_NS6detail17trampoline_kernelINS0_14default_configENS1_38merge_sort_block_merge_config_selectorIlNS0_10empty_typeEEEZZNS1_27merge_sort_block_merge_implIS3_PlPS5_jNS1_19radix_merge_compareILb0ELb1ElNS0_19identity_decomposerEEEEE10hipError_tT0_T1_T2_jT3_P12ihipStream_tbPNSt15iterator_traitsISE_E10value_typeEPNSK_ISF_E10value_typeEPSG_NS1_7vsmem_tEENKUlT_SE_SF_SG_E_clIS8_S8_S9_S9_EESD_ST_SE_SF_SG_EUlST_E_NS1_11comp_targetILNS1_3genE9ELNS1_11target_archE1100ELNS1_3gpuE3ELNS1_3repE0EEENS1_48merge_mergepath_partition_config_static_selectorELNS0_4arch9wavefront6targetE1EEEvSF_
                                        ; -- End function
	.section	.AMDGPU.csdata,"",@progbits
; Kernel info:
; codeLenInByte = 0
; NumSgprs: 4
; NumVgprs: 0
; NumAgprs: 0
; TotalNumVgprs: 0
; ScratchSize: 0
; MemoryBound: 0
; FloatMode: 240
; IeeeMode: 1
; LDSByteSize: 0 bytes/workgroup (compile time only)
; SGPRBlocks: 0
; VGPRBlocks: 0
; NumSGPRsForWavesPerEU: 4
; NumVGPRsForWavesPerEU: 1
; AccumOffset: 4
; Occupancy: 8
; WaveLimiterHint : 0
; COMPUTE_PGM_RSRC2:SCRATCH_EN: 0
; COMPUTE_PGM_RSRC2:USER_SGPR: 6
; COMPUTE_PGM_RSRC2:TRAP_HANDLER: 0
; COMPUTE_PGM_RSRC2:TGID_X_EN: 1
; COMPUTE_PGM_RSRC2:TGID_Y_EN: 0
; COMPUTE_PGM_RSRC2:TGID_Z_EN: 0
; COMPUTE_PGM_RSRC2:TIDIG_COMP_CNT: 0
; COMPUTE_PGM_RSRC3_GFX90A:ACCUM_OFFSET: 0
; COMPUTE_PGM_RSRC3_GFX90A:TG_SPLIT: 0
	.section	.text._ZN7rocprim17ROCPRIM_400000_NS6detail17trampoline_kernelINS0_14default_configENS1_38merge_sort_block_merge_config_selectorIlNS0_10empty_typeEEEZZNS1_27merge_sort_block_merge_implIS3_PlPS5_jNS1_19radix_merge_compareILb0ELb1ElNS0_19identity_decomposerEEEEE10hipError_tT0_T1_T2_jT3_P12ihipStream_tbPNSt15iterator_traitsISE_E10value_typeEPNSK_ISF_E10value_typeEPSG_NS1_7vsmem_tEENKUlT_SE_SF_SG_E_clIS8_S8_S9_S9_EESD_ST_SE_SF_SG_EUlST_E_NS1_11comp_targetILNS1_3genE8ELNS1_11target_archE1030ELNS1_3gpuE2ELNS1_3repE0EEENS1_48merge_mergepath_partition_config_static_selectorELNS0_4arch9wavefront6targetE1EEEvSF_,"axG",@progbits,_ZN7rocprim17ROCPRIM_400000_NS6detail17trampoline_kernelINS0_14default_configENS1_38merge_sort_block_merge_config_selectorIlNS0_10empty_typeEEEZZNS1_27merge_sort_block_merge_implIS3_PlPS5_jNS1_19radix_merge_compareILb0ELb1ElNS0_19identity_decomposerEEEEE10hipError_tT0_T1_T2_jT3_P12ihipStream_tbPNSt15iterator_traitsISE_E10value_typeEPNSK_ISF_E10value_typeEPSG_NS1_7vsmem_tEENKUlT_SE_SF_SG_E_clIS8_S8_S9_S9_EESD_ST_SE_SF_SG_EUlST_E_NS1_11comp_targetILNS1_3genE8ELNS1_11target_archE1030ELNS1_3gpuE2ELNS1_3repE0EEENS1_48merge_mergepath_partition_config_static_selectorELNS0_4arch9wavefront6targetE1EEEvSF_,comdat
	.protected	_ZN7rocprim17ROCPRIM_400000_NS6detail17trampoline_kernelINS0_14default_configENS1_38merge_sort_block_merge_config_selectorIlNS0_10empty_typeEEEZZNS1_27merge_sort_block_merge_implIS3_PlPS5_jNS1_19radix_merge_compareILb0ELb1ElNS0_19identity_decomposerEEEEE10hipError_tT0_T1_T2_jT3_P12ihipStream_tbPNSt15iterator_traitsISE_E10value_typeEPNSK_ISF_E10value_typeEPSG_NS1_7vsmem_tEENKUlT_SE_SF_SG_E_clIS8_S8_S9_S9_EESD_ST_SE_SF_SG_EUlST_E_NS1_11comp_targetILNS1_3genE8ELNS1_11target_archE1030ELNS1_3gpuE2ELNS1_3repE0EEENS1_48merge_mergepath_partition_config_static_selectorELNS0_4arch9wavefront6targetE1EEEvSF_ ; -- Begin function _ZN7rocprim17ROCPRIM_400000_NS6detail17trampoline_kernelINS0_14default_configENS1_38merge_sort_block_merge_config_selectorIlNS0_10empty_typeEEEZZNS1_27merge_sort_block_merge_implIS3_PlPS5_jNS1_19radix_merge_compareILb0ELb1ElNS0_19identity_decomposerEEEEE10hipError_tT0_T1_T2_jT3_P12ihipStream_tbPNSt15iterator_traitsISE_E10value_typeEPNSK_ISF_E10value_typeEPSG_NS1_7vsmem_tEENKUlT_SE_SF_SG_E_clIS8_S8_S9_S9_EESD_ST_SE_SF_SG_EUlST_E_NS1_11comp_targetILNS1_3genE8ELNS1_11target_archE1030ELNS1_3gpuE2ELNS1_3repE0EEENS1_48merge_mergepath_partition_config_static_selectorELNS0_4arch9wavefront6targetE1EEEvSF_
	.globl	_ZN7rocprim17ROCPRIM_400000_NS6detail17trampoline_kernelINS0_14default_configENS1_38merge_sort_block_merge_config_selectorIlNS0_10empty_typeEEEZZNS1_27merge_sort_block_merge_implIS3_PlPS5_jNS1_19radix_merge_compareILb0ELb1ElNS0_19identity_decomposerEEEEE10hipError_tT0_T1_T2_jT3_P12ihipStream_tbPNSt15iterator_traitsISE_E10value_typeEPNSK_ISF_E10value_typeEPSG_NS1_7vsmem_tEENKUlT_SE_SF_SG_E_clIS8_S8_S9_S9_EESD_ST_SE_SF_SG_EUlST_E_NS1_11comp_targetILNS1_3genE8ELNS1_11target_archE1030ELNS1_3gpuE2ELNS1_3repE0EEENS1_48merge_mergepath_partition_config_static_selectorELNS0_4arch9wavefront6targetE1EEEvSF_
	.p2align	8
	.type	_ZN7rocprim17ROCPRIM_400000_NS6detail17trampoline_kernelINS0_14default_configENS1_38merge_sort_block_merge_config_selectorIlNS0_10empty_typeEEEZZNS1_27merge_sort_block_merge_implIS3_PlPS5_jNS1_19radix_merge_compareILb0ELb1ElNS0_19identity_decomposerEEEEE10hipError_tT0_T1_T2_jT3_P12ihipStream_tbPNSt15iterator_traitsISE_E10value_typeEPNSK_ISF_E10value_typeEPSG_NS1_7vsmem_tEENKUlT_SE_SF_SG_E_clIS8_S8_S9_S9_EESD_ST_SE_SF_SG_EUlST_E_NS1_11comp_targetILNS1_3genE8ELNS1_11target_archE1030ELNS1_3gpuE2ELNS1_3repE0EEENS1_48merge_mergepath_partition_config_static_selectorELNS0_4arch9wavefront6targetE1EEEvSF_,@function
_ZN7rocprim17ROCPRIM_400000_NS6detail17trampoline_kernelINS0_14default_configENS1_38merge_sort_block_merge_config_selectorIlNS0_10empty_typeEEEZZNS1_27merge_sort_block_merge_implIS3_PlPS5_jNS1_19radix_merge_compareILb0ELb1ElNS0_19identity_decomposerEEEEE10hipError_tT0_T1_T2_jT3_P12ihipStream_tbPNSt15iterator_traitsISE_E10value_typeEPNSK_ISF_E10value_typeEPSG_NS1_7vsmem_tEENKUlT_SE_SF_SG_E_clIS8_S8_S9_S9_EESD_ST_SE_SF_SG_EUlST_E_NS1_11comp_targetILNS1_3genE8ELNS1_11target_archE1030ELNS1_3gpuE2ELNS1_3repE0EEENS1_48merge_mergepath_partition_config_static_selectorELNS0_4arch9wavefront6targetE1EEEvSF_: ; @_ZN7rocprim17ROCPRIM_400000_NS6detail17trampoline_kernelINS0_14default_configENS1_38merge_sort_block_merge_config_selectorIlNS0_10empty_typeEEEZZNS1_27merge_sort_block_merge_implIS3_PlPS5_jNS1_19radix_merge_compareILb0ELb1ElNS0_19identity_decomposerEEEEE10hipError_tT0_T1_T2_jT3_P12ihipStream_tbPNSt15iterator_traitsISE_E10value_typeEPNSK_ISF_E10value_typeEPSG_NS1_7vsmem_tEENKUlT_SE_SF_SG_E_clIS8_S8_S9_S9_EESD_ST_SE_SF_SG_EUlST_E_NS1_11comp_targetILNS1_3genE8ELNS1_11target_archE1030ELNS1_3gpuE2ELNS1_3repE0EEENS1_48merge_mergepath_partition_config_static_selectorELNS0_4arch9wavefront6targetE1EEEvSF_
; %bb.0:
	.section	.rodata,"a",@progbits
	.p2align	6, 0x0
	.amdhsa_kernel _ZN7rocprim17ROCPRIM_400000_NS6detail17trampoline_kernelINS0_14default_configENS1_38merge_sort_block_merge_config_selectorIlNS0_10empty_typeEEEZZNS1_27merge_sort_block_merge_implIS3_PlPS5_jNS1_19radix_merge_compareILb0ELb1ElNS0_19identity_decomposerEEEEE10hipError_tT0_T1_T2_jT3_P12ihipStream_tbPNSt15iterator_traitsISE_E10value_typeEPNSK_ISF_E10value_typeEPSG_NS1_7vsmem_tEENKUlT_SE_SF_SG_E_clIS8_S8_S9_S9_EESD_ST_SE_SF_SG_EUlST_E_NS1_11comp_targetILNS1_3genE8ELNS1_11target_archE1030ELNS1_3gpuE2ELNS1_3repE0EEENS1_48merge_mergepath_partition_config_static_selectorELNS0_4arch9wavefront6targetE1EEEvSF_
		.amdhsa_group_segment_fixed_size 0
		.amdhsa_private_segment_fixed_size 0
		.amdhsa_kernarg_size 40
		.amdhsa_user_sgpr_count 6
		.amdhsa_user_sgpr_private_segment_buffer 1
		.amdhsa_user_sgpr_dispatch_ptr 0
		.amdhsa_user_sgpr_queue_ptr 0
		.amdhsa_user_sgpr_kernarg_segment_ptr 1
		.amdhsa_user_sgpr_dispatch_id 0
		.amdhsa_user_sgpr_flat_scratch_init 0
		.amdhsa_user_sgpr_kernarg_preload_length 0
		.amdhsa_user_sgpr_kernarg_preload_offset 0
		.amdhsa_user_sgpr_private_segment_size 0
		.amdhsa_uses_dynamic_stack 0
		.amdhsa_system_sgpr_private_segment_wavefront_offset 0
		.amdhsa_system_sgpr_workgroup_id_x 1
		.amdhsa_system_sgpr_workgroup_id_y 0
		.amdhsa_system_sgpr_workgroup_id_z 0
		.amdhsa_system_sgpr_workgroup_info 0
		.amdhsa_system_vgpr_workitem_id 0
		.amdhsa_next_free_vgpr 1
		.amdhsa_next_free_sgpr 0
		.amdhsa_accum_offset 4
		.amdhsa_reserve_vcc 0
		.amdhsa_reserve_flat_scratch 0
		.amdhsa_float_round_mode_32 0
		.amdhsa_float_round_mode_16_64 0
		.amdhsa_float_denorm_mode_32 3
		.amdhsa_float_denorm_mode_16_64 3
		.amdhsa_dx10_clamp 1
		.amdhsa_ieee_mode 1
		.amdhsa_fp16_overflow 0
		.amdhsa_tg_split 0
		.amdhsa_exception_fp_ieee_invalid_op 0
		.amdhsa_exception_fp_denorm_src 0
		.amdhsa_exception_fp_ieee_div_zero 0
		.amdhsa_exception_fp_ieee_overflow 0
		.amdhsa_exception_fp_ieee_underflow 0
		.amdhsa_exception_fp_ieee_inexact 0
		.amdhsa_exception_int_div_zero 0
	.end_amdhsa_kernel
	.section	.text._ZN7rocprim17ROCPRIM_400000_NS6detail17trampoline_kernelINS0_14default_configENS1_38merge_sort_block_merge_config_selectorIlNS0_10empty_typeEEEZZNS1_27merge_sort_block_merge_implIS3_PlPS5_jNS1_19radix_merge_compareILb0ELb1ElNS0_19identity_decomposerEEEEE10hipError_tT0_T1_T2_jT3_P12ihipStream_tbPNSt15iterator_traitsISE_E10value_typeEPNSK_ISF_E10value_typeEPSG_NS1_7vsmem_tEENKUlT_SE_SF_SG_E_clIS8_S8_S9_S9_EESD_ST_SE_SF_SG_EUlST_E_NS1_11comp_targetILNS1_3genE8ELNS1_11target_archE1030ELNS1_3gpuE2ELNS1_3repE0EEENS1_48merge_mergepath_partition_config_static_selectorELNS0_4arch9wavefront6targetE1EEEvSF_,"axG",@progbits,_ZN7rocprim17ROCPRIM_400000_NS6detail17trampoline_kernelINS0_14default_configENS1_38merge_sort_block_merge_config_selectorIlNS0_10empty_typeEEEZZNS1_27merge_sort_block_merge_implIS3_PlPS5_jNS1_19radix_merge_compareILb0ELb1ElNS0_19identity_decomposerEEEEE10hipError_tT0_T1_T2_jT3_P12ihipStream_tbPNSt15iterator_traitsISE_E10value_typeEPNSK_ISF_E10value_typeEPSG_NS1_7vsmem_tEENKUlT_SE_SF_SG_E_clIS8_S8_S9_S9_EESD_ST_SE_SF_SG_EUlST_E_NS1_11comp_targetILNS1_3genE8ELNS1_11target_archE1030ELNS1_3gpuE2ELNS1_3repE0EEENS1_48merge_mergepath_partition_config_static_selectorELNS0_4arch9wavefront6targetE1EEEvSF_,comdat
.Lfunc_end835:
	.size	_ZN7rocprim17ROCPRIM_400000_NS6detail17trampoline_kernelINS0_14default_configENS1_38merge_sort_block_merge_config_selectorIlNS0_10empty_typeEEEZZNS1_27merge_sort_block_merge_implIS3_PlPS5_jNS1_19radix_merge_compareILb0ELb1ElNS0_19identity_decomposerEEEEE10hipError_tT0_T1_T2_jT3_P12ihipStream_tbPNSt15iterator_traitsISE_E10value_typeEPNSK_ISF_E10value_typeEPSG_NS1_7vsmem_tEENKUlT_SE_SF_SG_E_clIS8_S8_S9_S9_EESD_ST_SE_SF_SG_EUlST_E_NS1_11comp_targetILNS1_3genE8ELNS1_11target_archE1030ELNS1_3gpuE2ELNS1_3repE0EEENS1_48merge_mergepath_partition_config_static_selectorELNS0_4arch9wavefront6targetE1EEEvSF_, .Lfunc_end835-_ZN7rocprim17ROCPRIM_400000_NS6detail17trampoline_kernelINS0_14default_configENS1_38merge_sort_block_merge_config_selectorIlNS0_10empty_typeEEEZZNS1_27merge_sort_block_merge_implIS3_PlPS5_jNS1_19radix_merge_compareILb0ELb1ElNS0_19identity_decomposerEEEEE10hipError_tT0_T1_T2_jT3_P12ihipStream_tbPNSt15iterator_traitsISE_E10value_typeEPNSK_ISF_E10value_typeEPSG_NS1_7vsmem_tEENKUlT_SE_SF_SG_E_clIS8_S8_S9_S9_EESD_ST_SE_SF_SG_EUlST_E_NS1_11comp_targetILNS1_3genE8ELNS1_11target_archE1030ELNS1_3gpuE2ELNS1_3repE0EEENS1_48merge_mergepath_partition_config_static_selectorELNS0_4arch9wavefront6targetE1EEEvSF_
                                        ; -- End function
	.section	.AMDGPU.csdata,"",@progbits
; Kernel info:
; codeLenInByte = 0
; NumSgprs: 4
; NumVgprs: 0
; NumAgprs: 0
; TotalNumVgprs: 0
; ScratchSize: 0
; MemoryBound: 0
; FloatMode: 240
; IeeeMode: 1
; LDSByteSize: 0 bytes/workgroup (compile time only)
; SGPRBlocks: 0
; VGPRBlocks: 0
; NumSGPRsForWavesPerEU: 4
; NumVGPRsForWavesPerEU: 1
; AccumOffset: 4
; Occupancy: 8
; WaveLimiterHint : 0
; COMPUTE_PGM_RSRC2:SCRATCH_EN: 0
; COMPUTE_PGM_RSRC2:USER_SGPR: 6
; COMPUTE_PGM_RSRC2:TRAP_HANDLER: 0
; COMPUTE_PGM_RSRC2:TGID_X_EN: 1
; COMPUTE_PGM_RSRC2:TGID_Y_EN: 0
; COMPUTE_PGM_RSRC2:TGID_Z_EN: 0
; COMPUTE_PGM_RSRC2:TIDIG_COMP_CNT: 0
; COMPUTE_PGM_RSRC3_GFX90A:ACCUM_OFFSET: 0
; COMPUTE_PGM_RSRC3_GFX90A:TG_SPLIT: 0
	.section	.text._ZN7rocprim17ROCPRIM_400000_NS6detail17trampoline_kernelINS0_14default_configENS1_38merge_sort_block_merge_config_selectorIlNS0_10empty_typeEEEZZNS1_27merge_sort_block_merge_implIS3_PlPS5_jNS1_19radix_merge_compareILb0ELb1ElNS0_19identity_decomposerEEEEE10hipError_tT0_T1_T2_jT3_P12ihipStream_tbPNSt15iterator_traitsISE_E10value_typeEPNSK_ISF_E10value_typeEPSG_NS1_7vsmem_tEENKUlT_SE_SF_SG_E_clIS8_S8_S9_S9_EESD_ST_SE_SF_SG_EUlST_E0_NS1_11comp_targetILNS1_3genE0ELNS1_11target_archE4294967295ELNS1_3gpuE0ELNS1_3repE0EEENS1_38merge_mergepath_config_static_selectorELNS0_4arch9wavefront6targetE1EEEvSF_,"axG",@progbits,_ZN7rocprim17ROCPRIM_400000_NS6detail17trampoline_kernelINS0_14default_configENS1_38merge_sort_block_merge_config_selectorIlNS0_10empty_typeEEEZZNS1_27merge_sort_block_merge_implIS3_PlPS5_jNS1_19radix_merge_compareILb0ELb1ElNS0_19identity_decomposerEEEEE10hipError_tT0_T1_T2_jT3_P12ihipStream_tbPNSt15iterator_traitsISE_E10value_typeEPNSK_ISF_E10value_typeEPSG_NS1_7vsmem_tEENKUlT_SE_SF_SG_E_clIS8_S8_S9_S9_EESD_ST_SE_SF_SG_EUlST_E0_NS1_11comp_targetILNS1_3genE0ELNS1_11target_archE4294967295ELNS1_3gpuE0ELNS1_3repE0EEENS1_38merge_mergepath_config_static_selectorELNS0_4arch9wavefront6targetE1EEEvSF_,comdat
	.protected	_ZN7rocprim17ROCPRIM_400000_NS6detail17trampoline_kernelINS0_14default_configENS1_38merge_sort_block_merge_config_selectorIlNS0_10empty_typeEEEZZNS1_27merge_sort_block_merge_implIS3_PlPS5_jNS1_19radix_merge_compareILb0ELb1ElNS0_19identity_decomposerEEEEE10hipError_tT0_T1_T2_jT3_P12ihipStream_tbPNSt15iterator_traitsISE_E10value_typeEPNSK_ISF_E10value_typeEPSG_NS1_7vsmem_tEENKUlT_SE_SF_SG_E_clIS8_S8_S9_S9_EESD_ST_SE_SF_SG_EUlST_E0_NS1_11comp_targetILNS1_3genE0ELNS1_11target_archE4294967295ELNS1_3gpuE0ELNS1_3repE0EEENS1_38merge_mergepath_config_static_selectorELNS0_4arch9wavefront6targetE1EEEvSF_ ; -- Begin function _ZN7rocprim17ROCPRIM_400000_NS6detail17trampoline_kernelINS0_14default_configENS1_38merge_sort_block_merge_config_selectorIlNS0_10empty_typeEEEZZNS1_27merge_sort_block_merge_implIS3_PlPS5_jNS1_19radix_merge_compareILb0ELb1ElNS0_19identity_decomposerEEEEE10hipError_tT0_T1_T2_jT3_P12ihipStream_tbPNSt15iterator_traitsISE_E10value_typeEPNSK_ISF_E10value_typeEPSG_NS1_7vsmem_tEENKUlT_SE_SF_SG_E_clIS8_S8_S9_S9_EESD_ST_SE_SF_SG_EUlST_E0_NS1_11comp_targetILNS1_3genE0ELNS1_11target_archE4294967295ELNS1_3gpuE0ELNS1_3repE0EEENS1_38merge_mergepath_config_static_selectorELNS0_4arch9wavefront6targetE1EEEvSF_
	.globl	_ZN7rocprim17ROCPRIM_400000_NS6detail17trampoline_kernelINS0_14default_configENS1_38merge_sort_block_merge_config_selectorIlNS0_10empty_typeEEEZZNS1_27merge_sort_block_merge_implIS3_PlPS5_jNS1_19radix_merge_compareILb0ELb1ElNS0_19identity_decomposerEEEEE10hipError_tT0_T1_T2_jT3_P12ihipStream_tbPNSt15iterator_traitsISE_E10value_typeEPNSK_ISF_E10value_typeEPSG_NS1_7vsmem_tEENKUlT_SE_SF_SG_E_clIS8_S8_S9_S9_EESD_ST_SE_SF_SG_EUlST_E0_NS1_11comp_targetILNS1_3genE0ELNS1_11target_archE4294967295ELNS1_3gpuE0ELNS1_3repE0EEENS1_38merge_mergepath_config_static_selectorELNS0_4arch9wavefront6targetE1EEEvSF_
	.p2align	8
	.type	_ZN7rocprim17ROCPRIM_400000_NS6detail17trampoline_kernelINS0_14default_configENS1_38merge_sort_block_merge_config_selectorIlNS0_10empty_typeEEEZZNS1_27merge_sort_block_merge_implIS3_PlPS5_jNS1_19radix_merge_compareILb0ELb1ElNS0_19identity_decomposerEEEEE10hipError_tT0_T1_T2_jT3_P12ihipStream_tbPNSt15iterator_traitsISE_E10value_typeEPNSK_ISF_E10value_typeEPSG_NS1_7vsmem_tEENKUlT_SE_SF_SG_E_clIS8_S8_S9_S9_EESD_ST_SE_SF_SG_EUlST_E0_NS1_11comp_targetILNS1_3genE0ELNS1_11target_archE4294967295ELNS1_3gpuE0ELNS1_3repE0EEENS1_38merge_mergepath_config_static_selectorELNS0_4arch9wavefront6targetE1EEEvSF_,@function
_ZN7rocprim17ROCPRIM_400000_NS6detail17trampoline_kernelINS0_14default_configENS1_38merge_sort_block_merge_config_selectorIlNS0_10empty_typeEEEZZNS1_27merge_sort_block_merge_implIS3_PlPS5_jNS1_19radix_merge_compareILb0ELb1ElNS0_19identity_decomposerEEEEE10hipError_tT0_T1_T2_jT3_P12ihipStream_tbPNSt15iterator_traitsISE_E10value_typeEPNSK_ISF_E10value_typeEPSG_NS1_7vsmem_tEENKUlT_SE_SF_SG_E_clIS8_S8_S9_S9_EESD_ST_SE_SF_SG_EUlST_E0_NS1_11comp_targetILNS1_3genE0ELNS1_11target_archE4294967295ELNS1_3gpuE0ELNS1_3repE0EEENS1_38merge_mergepath_config_static_selectorELNS0_4arch9wavefront6targetE1EEEvSF_: ; @_ZN7rocprim17ROCPRIM_400000_NS6detail17trampoline_kernelINS0_14default_configENS1_38merge_sort_block_merge_config_selectorIlNS0_10empty_typeEEEZZNS1_27merge_sort_block_merge_implIS3_PlPS5_jNS1_19radix_merge_compareILb0ELb1ElNS0_19identity_decomposerEEEEE10hipError_tT0_T1_T2_jT3_P12ihipStream_tbPNSt15iterator_traitsISE_E10value_typeEPNSK_ISF_E10value_typeEPSG_NS1_7vsmem_tEENKUlT_SE_SF_SG_E_clIS8_S8_S9_S9_EESD_ST_SE_SF_SG_EUlST_E0_NS1_11comp_targetILNS1_3genE0ELNS1_11target_archE4294967295ELNS1_3gpuE0ELNS1_3repE0EEENS1_38merge_mergepath_config_static_selectorELNS0_4arch9wavefront6targetE1EEEvSF_
; %bb.0:
	.section	.rodata,"a",@progbits
	.p2align	6, 0x0
	.amdhsa_kernel _ZN7rocprim17ROCPRIM_400000_NS6detail17trampoline_kernelINS0_14default_configENS1_38merge_sort_block_merge_config_selectorIlNS0_10empty_typeEEEZZNS1_27merge_sort_block_merge_implIS3_PlPS5_jNS1_19radix_merge_compareILb0ELb1ElNS0_19identity_decomposerEEEEE10hipError_tT0_T1_T2_jT3_P12ihipStream_tbPNSt15iterator_traitsISE_E10value_typeEPNSK_ISF_E10value_typeEPSG_NS1_7vsmem_tEENKUlT_SE_SF_SG_E_clIS8_S8_S9_S9_EESD_ST_SE_SF_SG_EUlST_E0_NS1_11comp_targetILNS1_3genE0ELNS1_11target_archE4294967295ELNS1_3gpuE0ELNS1_3repE0EEENS1_38merge_mergepath_config_static_selectorELNS0_4arch9wavefront6targetE1EEEvSF_
		.amdhsa_group_segment_fixed_size 0
		.amdhsa_private_segment_fixed_size 0
		.amdhsa_kernarg_size 72
		.amdhsa_user_sgpr_count 6
		.amdhsa_user_sgpr_private_segment_buffer 1
		.amdhsa_user_sgpr_dispatch_ptr 0
		.amdhsa_user_sgpr_queue_ptr 0
		.amdhsa_user_sgpr_kernarg_segment_ptr 1
		.amdhsa_user_sgpr_dispatch_id 0
		.amdhsa_user_sgpr_flat_scratch_init 0
		.amdhsa_user_sgpr_kernarg_preload_length 0
		.amdhsa_user_sgpr_kernarg_preload_offset 0
		.amdhsa_user_sgpr_private_segment_size 0
		.amdhsa_uses_dynamic_stack 0
		.amdhsa_system_sgpr_private_segment_wavefront_offset 0
		.amdhsa_system_sgpr_workgroup_id_x 1
		.amdhsa_system_sgpr_workgroup_id_y 0
		.amdhsa_system_sgpr_workgroup_id_z 0
		.amdhsa_system_sgpr_workgroup_info 0
		.amdhsa_system_vgpr_workitem_id 0
		.amdhsa_next_free_vgpr 1
		.amdhsa_next_free_sgpr 0
		.amdhsa_accum_offset 4
		.amdhsa_reserve_vcc 0
		.amdhsa_reserve_flat_scratch 0
		.amdhsa_float_round_mode_32 0
		.amdhsa_float_round_mode_16_64 0
		.amdhsa_float_denorm_mode_32 3
		.amdhsa_float_denorm_mode_16_64 3
		.amdhsa_dx10_clamp 1
		.amdhsa_ieee_mode 1
		.amdhsa_fp16_overflow 0
		.amdhsa_tg_split 0
		.amdhsa_exception_fp_ieee_invalid_op 0
		.amdhsa_exception_fp_denorm_src 0
		.amdhsa_exception_fp_ieee_div_zero 0
		.amdhsa_exception_fp_ieee_overflow 0
		.amdhsa_exception_fp_ieee_underflow 0
		.amdhsa_exception_fp_ieee_inexact 0
		.amdhsa_exception_int_div_zero 0
	.end_amdhsa_kernel
	.section	.text._ZN7rocprim17ROCPRIM_400000_NS6detail17trampoline_kernelINS0_14default_configENS1_38merge_sort_block_merge_config_selectorIlNS0_10empty_typeEEEZZNS1_27merge_sort_block_merge_implIS3_PlPS5_jNS1_19radix_merge_compareILb0ELb1ElNS0_19identity_decomposerEEEEE10hipError_tT0_T1_T2_jT3_P12ihipStream_tbPNSt15iterator_traitsISE_E10value_typeEPNSK_ISF_E10value_typeEPSG_NS1_7vsmem_tEENKUlT_SE_SF_SG_E_clIS8_S8_S9_S9_EESD_ST_SE_SF_SG_EUlST_E0_NS1_11comp_targetILNS1_3genE0ELNS1_11target_archE4294967295ELNS1_3gpuE0ELNS1_3repE0EEENS1_38merge_mergepath_config_static_selectorELNS0_4arch9wavefront6targetE1EEEvSF_,"axG",@progbits,_ZN7rocprim17ROCPRIM_400000_NS6detail17trampoline_kernelINS0_14default_configENS1_38merge_sort_block_merge_config_selectorIlNS0_10empty_typeEEEZZNS1_27merge_sort_block_merge_implIS3_PlPS5_jNS1_19radix_merge_compareILb0ELb1ElNS0_19identity_decomposerEEEEE10hipError_tT0_T1_T2_jT3_P12ihipStream_tbPNSt15iterator_traitsISE_E10value_typeEPNSK_ISF_E10value_typeEPSG_NS1_7vsmem_tEENKUlT_SE_SF_SG_E_clIS8_S8_S9_S9_EESD_ST_SE_SF_SG_EUlST_E0_NS1_11comp_targetILNS1_3genE0ELNS1_11target_archE4294967295ELNS1_3gpuE0ELNS1_3repE0EEENS1_38merge_mergepath_config_static_selectorELNS0_4arch9wavefront6targetE1EEEvSF_,comdat
.Lfunc_end836:
	.size	_ZN7rocprim17ROCPRIM_400000_NS6detail17trampoline_kernelINS0_14default_configENS1_38merge_sort_block_merge_config_selectorIlNS0_10empty_typeEEEZZNS1_27merge_sort_block_merge_implIS3_PlPS5_jNS1_19radix_merge_compareILb0ELb1ElNS0_19identity_decomposerEEEEE10hipError_tT0_T1_T2_jT3_P12ihipStream_tbPNSt15iterator_traitsISE_E10value_typeEPNSK_ISF_E10value_typeEPSG_NS1_7vsmem_tEENKUlT_SE_SF_SG_E_clIS8_S8_S9_S9_EESD_ST_SE_SF_SG_EUlST_E0_NS1_11comp_targetILNS1_3genE0ELNS1_11target_archE4294967295ELNS1_3gpuE0ELNS1_3repE0EEENS1_38merge_mergepath_config_static_selectorELNS0_4arch9wavefront6targetE1EEEvSF_, .Lfunc_end836-_ZN7rocprim17ROCPRIM_400000_NS6detail17trampoline_kernelINS0_14default_configENS1_38merge_sort_block_merge_config_selectorIlNS0_10empty_typeEEEZZNS1_27merge_sort_block_merge_implIS3_PlPS5_jNS1_19radix_merge_compareILb0ELb1ElNS0_19identity_decomposerEEEEE10hipError_tT0_T1_T2_jT3_P12ihipStream_tbPNSt15iterator_traitsISE_E10value_typeEPNSK_ISF_E10value_typeEPSG_NS1_7vsmem_tEENKUlT_SE_SF_SG_E_clIS8_S8_S9_S9_EESD_ST_SE_SF_SG_EUlST_E0_NS1_11comp_targetILNS1_3genE0ELNS1_11target_archE4294967295ELNS1_3gpuE0ELNS1_3repE0EEENS1_38merge_mergepath_config_static_selectorELNS0_4arch9wavefront6targetE1EEEvSF_
                                        ; -- End function
	.section	.AMDGPU.csdata,"",@progbits
; Kernel info:
; codeLenInByte = 0
; NumSgprs: 4
; NumVgprs: 0
; NumAgprs: 0
; TotalNumVgprs: 0
; ScratchSize: 0
; MemoryBound: 0
; FloatMode: 240
; IeeeMode: 1
; LDSByteSize: 0 bytes/workgroup (compile time only)
; SGPRBlocks: 0
; VGPRBlocks: 0
; NumSGPRsForWavesPerEU: 4
; NumVGPRsForWavesPerEU: 1
; AccumOffset: 4
; Occupancy: 8
; WaveLimiterHint : 0
; COMPUTE_PGM_RSRC2:SCRATCH_EN: 0
; COMPUTE_PGM_RSRC2:USER_SGPR: 6
; COMPUTE_PGM_RSRC2:TRAP_HANDLER: 0
; COMPUTE_PGM_RSRC2:TGID_X_EN: 1
; COMPUTE_PGM_RSRC2:TGID_Y_EN: 0
; COMPUTE_PGM_RSRC2:TGID_Z_EN: 0
; COMPUTE_PGM_RSRC2:TIDIG_COMP_CNT: 0
; COMPUTE_PGM_RSRC3_GFX90A:ACCUM_OFFSET: 0
; COMPUTE_PGM_RSRC3_GFX90A:TG_SPLIT: 0
	.section	.text._ZN7rocprim17ROCPRIM_400000_NS6detail17trampoline_kernelINS0_14default_configENS1_38merge_sort_block_merge_config_selectorIlNS0_10empty_typeEEEZZNS1_27merge_sort_block_merge_implIS3_PlPS5_jNS1_19radix_merge_compareILb0ELb1ElNS0_19identity_decomposerEEEEE10hipError_tT0_T1_T2_jT3_P12ihipStream_tbPNSt15iterator_traitsISE_E10value_typeEPNSK_ISF_E10value_typeEPSG_NS1_7vsmem_tEENKUlT_SE_SF_SG_E_clIS8_S8_S9_S9_EESD_ST_SE_SF_SG_EUlST_E0_NS1_11comp_targetILNS1_3genE10ELNS1_11target_archE1201ELNS1_3gpuE5ELNS1_3repE0EEENS1_38merge_mergepath_config_static_selectorELNS0_4arch9wavefront6targetE1EEEvSF_,"axG",@progbits,_ZN7rocprim17ROCPRIM_400000_NS6detail17trampoline_kernelINS0_14default_configENS1_38merge_sort_block_merge_config_selectorIlNS0_10empty_typeEEEZZNS1_27merge_sort_block_merge_implIS3_PlPS5_jNS1_19radix_merge_compareILb0ELb1ElNS0_19identity_decomposerEEEEE10hipError_tT0_T1_T2_jT3_P12ihipStream_tbPNSt15iterator_traitsISE_E10value_typeEPNSK_ISF_E10value_typeEPSG_NS1_7vsmem_tEENKUlT_SE_SF_SG_E_clIS8_S8_S9_S9_EESD_ST_SE_SF_SG_EUlST_E0_NS1_11comp_targetILNS1_3genE10ELNS1_11target_archE1201ELNS1_3gpuE5ELNS1_3repE0EEENS1_38merge_mergepath_config_static_selectorELNS0_4arch9wavefront6targetE1EEEvSF_,comdat
	.protected	_ZN7rocprim17ROCPRIM_400000_NS6detail17trampoline_kernelINS0_14default_configENS1_38merge_sort_block_merge_config_selectorIlNS0_10empty_typeEEEZZNS1_27merge_sort_block_merge_implIS3_PlPS5_jNS1_19radix_merge_compareILb0ELb1ElNS0_19identity_decomposerEEEEE10hipError_tT0_T1_T2_jT3_P12ihipStream_tbPNSt15iterator_traitsISE_E10value_typeEPNSK_ISF_E10value_typeEPSG_NS1_7vsmem_tEENKUlT_SE_SF_SG_E_clIS8_S8_S9_S9_EESD_ST_SE_SF_SG_EUlST_E0_NS1_11comp_targetILNS1_3genE10ELNS1_11target_archE1201ELNS1_3gpuE5ELNS1_3repE0EEENS1_38merge_mergepath_config_static_selectorELNS0_4arch9wavefront6targetE1EEEvSF_ ; -- Begin function _ZN7rocprim17ROCPRIM_400000_NS6detail17trampoline_kernelINS0_14default_configENS1_38merge_sort_block_merge_config_selectorIlNS0_10empty_typeEEEZZNS1_27merge_sort_block_merge_implIS3_PlPS5_jNS1_19radix_merge_compareILb0ELb1ElNS0_19identity_decomposerEEEEE10hipError_tT0_T1_T2_jT3_P12ihipStream_tbPNSt15iterator_traitsISE_E10value_typeEPNSK_ISF_E10value_typeEPSG_NS1_7vsmem_tEENKUlT_SE_SF_SG_E_clIS8_S8_S9_S9_EESD_ST_SE_SF_SG_EUlST_E0_NS1_11comp_targetILNS1_3genE10ELNS1_11target_archE1201ELNS1_3gpuE5ELNS1_3repE0EEENS1_38merge_mergepath_config_static_selectorELNS0_4arch9wavefront6targetE1EEEvSF_
	.globl	_ZN7rocprim17ROCPRIM_400000_NS6detail17trampoline_kernelINS0_14default_configENS1_38merge_sort_block_merge_config_selectorIlNS0_10empty_typeEEEZZNS1_27merge_sort_block_merge_implIS3_PlPS5_jNS1_19radix_merge_compareILb0ELb1ElNS0_19identity_decomposerEEEEE10hipError_tT0_T1_T2_jT3_P12ihipStream_tbPNSt15iterator_traitsISE_E10value_typeEPNSK_ISF_E10value_typeEPSG_NS1_7vsmem_tEENKUlT_SE_SF_SG_E_clIS8_S8_S9_S9_EESD_ST_SE_SF_SG_EUlST_E0_NS1_11comp_targetILNS1_3genE10ELNS1_11target_archE1201ELNS1_3gpuE5ELNS1_3repE0EEENS1_38merge_mergepath_config_static_selectorELNS0_4arch9wavefront6targetE1EEEvSF_
	.p2align	8
	.type	_ZN7rocprim17ROCPRIM_400000_NS6detail17trampoline_kernelINS0_14default_configENS1_38merge_sort_block_merge_config_selectorIlNS0_10empty_typeEEEZZNS1_27merge_sort_block_merge_implIS3_PlPS5_jNS1_19radix_merge_compareILb0ELb1ElNS0_19identity_decomposerEEEEE10hipError_tT0_T1_T2_jT3_P12ihipStream_tbPNSt15iterator_traitsISE_E10value_typeEPNSK_ISF_E10value_typeEPSG_NS1_7vsmem_tEENKUlT_SE_SF_SG_E_clIS8_S8_S9_S9_EESD_ST_SE_SF_SG_EUlST_E0_NS1_11comp_targetILNS1_3genE10ELNS1_11target_archE1201ELNS1_3gpuE5ELNS1_3repE0EEENS1_38merge_mergepath_config_static_selectorELNS0_4arch9wavefront6targetE1EEEvSF_,@function
_ZN7rocprim17ROCPRIM_400000_NS6detail17trampoline_kernelINS0_14default_configENS1_38merge_sort_block_merge_config_selectorIlNS0_10empty_typeEEEZZNS1_27merge_sort_block_merge_implIS3_PlPS5_jNS1_19radix_merge_compareILb0ELb1ElNS0_19identity_decomposerEEEEE10hipError_tT0_T1_T2_jT3_P12ihipStream_tbPNSt15iterator_traitsISE_E10value_typeEPNSK_ISF_E10value_typeEPSG_NS1_7vsmem_tEENKUlT_SE_SF_SG_E_clIS8_S8_S9_S9_EESD_ST_SE_SF_SG_EUlST_E0_NS1_11comp_targetILNS1_3genE10ELNS1_11target_archE1201ELNS1_3gpuE5ELNS1_3repE0EEENS1_38merge_mergepath_config_static_selectorELNS0_4arch9wavefront6targetE1EEEvSF_: ; @_ZN7rocprim17ROCPRIM_400000_NS6detail17trampoline_kernelINS0_14default_configENS1_38merge_sort_block_merge_config_selectorIlNS0_10empty_typeEEEZZNS1_27merge_sort_block_merge_implIS3_PlPS5_jNS1_19radix_merge_compareILb0ELb1ElNS0_19identity_decomposerEEEEE10hipError_tT0_T1_T2_jT3_P12ihipStream_tbPNSt15iterator_traitsISE_E10value_typeEPNSK_ISF_E10value_typeEPSG_NS1_7vsmem_tEENKUlT_SE_SF_SG_E_clIS8_S8_S9_S9_EESD_ST_SE_SF_SG_EUlST_E0_NS1_11comp_targetILNS1_3genE10ELNS1_11target_archE1201ELNS1_3gpuE5ELNS1_3repE0EEENS1_38merge_mergepath_config_static_selectorELNS0_4arch9wavefront6targetE1EEEvSF_
; %bb.0:
	.section	.rodata,"a",@progbits
	.p2align	6, 0x0
	.amdhsa_kernel _ZN7rocprim17ROCPRIM_400000_NS6detail17trampoline_kernelINS0_14default_configENS1_38merge_sort_block_merge_config_selectorIlNS0_10empty_typeEEEZZNS1_27merge_sort_block_merge_implIS3_PlPS5_jNS1_19radix_merge_compareILb0ELb1ElNS0_19identity_decomposerEEEEE10hipError_tT0_T1_T2_jT3_P12ihipStream_tbPNSt15iterator_traitsISE_E10value_typeEPNSK_ISF_E10value_typeEPSG_NS1_7vsmem_tEENKUlT_SE_SF_SG_E_clIS8_S8_S9_S9_EESD_ST_SE_SF_SG_EUlST_E0_NS1_11comp_targetILNS1_3genE10ELNS1_11target_archE1201ELNS1_3gpuE5ELNS1_3repE0EEENS1_38merge_mergepath_config_static_selectorELNS0_4arch9wavefront6targetE1EEEvSF_
		.amdhsa_group_segment_fixed_size 0
		.amdhsa_private_segment_fixed_size 0
		.amdhsa_kernarg_size 72
		.amdhsa_user_sgpr_count 6
		.amdhsa_user_sgpr_private_segment_buffer 1
		.amdhsa_user_sgpr_dispatch_ptr 0
		.amdhsa_user_sgpr_queue_ptr 0
		.amdhsa_user_sgpr_kernarg_segment_ptr 1
		.amdhsa_user_sgpr_dispatch_id 0
		.amdhsa_user_sgpr_flat_scratch_init 0
		.amdhsa_user_sgpr_kernarg_preload_length 0
		.amdhsa_user_sgpr_kernarg_preload_offset 0
		.amdhsa_user_sgpr_private_segment_size 0
		.amdhsa_uses_dynamic_stack 0
		.amdhsa_system_sgpr_private_segment_wavefront_offset 0
		.amdhsa_system_sgpr_workgroup_id_x 1
		.amdhsa_system_sgpr_workgroup_id_y 0
		.amdhsa_system_sgpr_workgroup_id_z 0
		.amdhsa_system_sgpr_workgroup_info 0
		.amdhsa_system_vgpr_workitem_id 0
		.amdhsa_next_free_vgpr 1
		.amdhsa_next_free_sgpr 0
		.amdhsa_accum_offset 4
		.amdhsa_reserve_vcc 0
		.amdhsa_reserve_flat_scratch 0
		.amdhsa_float_round_mode_32 0
		.amdhsa_float_round_mode_16_64 0
		.amdhsa_float_denorm_mode_32 3
		.amdhsa_float_denorm_mode_16_64 3
		.amdhsa_dx10_clamp 1
		.amdhsa_ieee_mode 1
		.amdhsa_fp16_overflow 0
		.amdhsa_tg_split 0
		.amdhsa_exception_fp_ieee_invalid_op 0
		.amdhsa_exception_fp_denorm_src 0
		.amdhsa_exception_fp_ieee_div_zero 0
		.amdhsa_exception_fp_ieee_overflow 0
		.amdhsa_exception_fp_ieee_underflow 0
		.amdhsa_exception_fp_ieee_inexact 0
		.amdhsa_exception_int_div_zero 0
	.end_amdhsa_kernel
	.section	.text._ZN7rocprim17ROCPRIM_400000_NS6detail17trampoline_kernelINS0_14default_configENS1_38merge_sort_block_merge_config_selectorIlNS0_10empty_typeEEEZZNS1_27merge_sort_block_merge_implIS3_PlPS5_jNS1_19radix_merge_compareILb0ELb1ElNS0_19identity_decomposerEEEEE10hipError_tT0_T1_T2_jT3_P12ihipStream_tbPNSt15iterator_traitsISE_E10value_typeEPNSK_ISF_E10value_typeEPSG_NS1_7vsmem_tEENKUlT_SE_SF_SG_E_clIS8_S8_S9_S9_EESD_ST_SE_SF_SG_EUlST_E0_NS1_11comp_targetILNS1_3genE10ELNS1_11target_archE1201ELNS1_3gpuE5ELNS1_3repE0EEENS1_38merge_mergepath_config_static_selectorELNS0_4arch9wavefront6targetE1EEEvSF_,"axG",@progbits,_ZN7rocprim17ROCPRIM_400000_NS6detail17trampoline_kernelINS0_14default_configENS1_38merge_sort_block_merge_config_selectorIlNS0_10empty_typeEEEZZNS1_27merge_sort_block_merge_implIS3_PlPS5_jNS1_19radix_merge_compareILb0ELb1ElNS0_19identity_decomposerEEEEE10hipError_tT0_T1_T2_jT3_P12ihipStream_tbPNSt15iterator_traitsISE_E10value_typeEPNSK_ISF_E10value_typeEPSG_NS1_7vsmem_tEENKUlT_SE_SF_SG_E_clIS8_S8_S9_S9_EESD_ST_SE_SF_SG_EUlST_E0_NS1_11comp_targetILNS1_3genE10ELNS1_11target_archE1201ELNS1_3gpuE5ELNS1_3repE0EEENS1_38merge_mergepath_config_static_selectorELNS0_4arch9wavefront6targetE1EEEvSF_,comdat
.Lfunc_end837:
	.size	_ZN7rocprim17ROCPRIM_400000_NS6detail17trampoline_kernelINS0_14default_configENS1_38merge_sort_block_merge_config_selectorIlNS0_10empty_typeEEEZZNS1_27merge_sort_block_merge_implIS3_PlPS5_jNS1_19radix_merge_compareILb0ELb1ElNS0_19identity_decomposerEEEEE10hipError_tT0_T1_T2_jT3_P12ihipStream_tbPNSt15iterator_traitsISE_E10value_typeEPNSK_ISF_E10value_typeEPSG_NS1_7vsmem_tEENKUlT_SE_SF_SG_E_clIS8_S8_S9_S9_EESD_ST_SE_SF_SG_EUlST_E0_NS1_11comp_targetILNS1_3genE10ELNS1_11target_archE1201ELNS1_3gpuE5ELNS1_3repE0EEENS1_38merge_mergepath_config_static_selectorELNS0_4arch9wavefront6targetE1EEEvSF_, .Lfunc_end837-_ZN7rocprim17ROCPRIM_400000_NS6detail17trampoline_kernelINS0_14default_configENS1_38merge_sort_block_merge_config_selectorIlNS0_10empty_typeEEEZZNS1_27merge_sort_block_merge_implIS3_PlPS5_jNS1_19radix_merge_compareILb0ELb1ElNS0_19identity_decomposerEEEEE10hipError_tT0_T1_T2_jT3_P12ihipStream_tbPNSt15iterator_traitsISE_E10value_typeEPNSK_ISF_E10value_typeEPSG_NS1_7vsmem_tEENKUlT_SE_SF_SG_E_clIS8_S8_S9_S9_EESD_ST_SE_SF_SG_EUlST_E0_NS1_11comp_targetILNS1_3genE10ELNS1_11target_archE1201ELNS1_3gpuE5ELNS1_3repE0EEENS1_38merge_mergepath_config_static_selectorELNS0_4arch9wavefront6targetE1EEEvSF_
                                        ; -- End function
	.section	.AMDGPU.csdata,"",@progbits
; Kernel info:
; codeLenInByte = 0
; NumSgprs: 4
; NumVgprs: 0
; NumAgprs: 0
; TotalNumVgprs: 0
; ScratchSize: 0
; MemoryBound: 0
; FloatMode: 240
; IeeeMode: 1
; LDSByteSize: 0 bytes/workgroup (compile time only)
; SGPRBlocks: 0
; VGPRBlocks: 0
; NumSGPRsForWavesPerEU: 4
; NumVGPRsForWavesPerEU: 1
; AccumOffset: 4
; Occupancy: 8
; WaveLimiterHint : 0
; COMPUTE_PGM_RSRC2:SCRATCH_EN: 0
; COMPUTE_PGM_RSRC2:USER_SGPR: 6
; COMPUTE_PGM_RSRC2:TRAP_HANDLER: 0
; COMPUTE_PGM_RSRC2:TGID_X_EN: 1
; COMPUTE_PGM_RSRC2:TGID_Y_EN: 0
; COMPUTE_PGM_RSRC2:TGID_Z_EN: 0
; COMPUTE_PGM_RSRC2:TIDIG_COMP_CNT: 0
; COMPUTE_PGM_RSRC3_GFX90A:ACCUM_OFFSET: 0
; COMPUTE_PGM_RSRC3_GFX90A:TG_SPLIT: 0
	.section	.text._ZN7rocprim17ROCPRIM_400000_NS6detail17trampoline_kernelINS0_14default_configENS1_38merge_sort_block_merge_config_selectorIlNS0_10empty_typeEEEZZNS1_27merge_sort_block_merge_implIS3_PlPS5_jNS1_19radix_merge_compareILb0ELb1ElNS0_19identity_decomposerEEEEE10hipError_tT0_T1_T2_jT3_P12ihipStream_tbPNSt15iterator_traitsISE_E10value_typeEPNSK_ISF_E10value_typeEPSG_NS1_7vsmem_tEENKUlT_SE_SF_SG_E_clIS8_S8_S9_S9_EESD_ST_SE_SF_SG_EUlST_E0_NS1_11comp_targetILNS1_3genE5ELNS1_11target_archE942ELNS1_3gpuE9ELNS1_3repE0EEENS1_38merge_mergepath_config_static_selectorELNS0_4arch9wavefront6targetE1EEEvSF_,"axG",@progbits,_ZN7rocprim17ROCPRIM_400000_NS6detail17trampoline_kernelINS0_14default_configENS1_38merge_sort_block_merge_config_selectorIlNS0_10empty_typeEEEZZNS1_27merge_sort_block_merge_implIS3_PlPS5_jNS1_19radix_merge_compareILb0ELb1ElNS0_19identity_decomposerEEEEE10hipError_tT0_T1_T2_jT3_P12ihipStream_tbPNSt15iterator_traitsISE_E10value_typeEPNSK_ISF_E10value_typeEPSG_NS1_7vsmem_tEENKUlT_SE_SF_SG_E_clIS8_S8_S9_S9_EESD_ST_SE_SF_SG_EUlST_E0_NS1_11comp_targetILNS1_3genE5ELNS1_11target_archE942ELNS1_3gpuE9ELNS1_3repE0EEENS1_38merge_mergepath_config_static_selectorELNS0_4arch9wavefront6targetE1EEEvSF_,comdat
	.protected	_ZN7rocprim17ROCPRIM_400000_NS6detail17trampoline_kernelINS0_14default_configENS1_38merge_sort_block_merge_config_selectorIlNS0_10empty_typeEEEZZNS1_27merge_sort_block_merge_implIS3_PlPS5_jNS1_19radix_merge_compareILb0ELb1ElNS0_19identity_decomposerEEEEE10hipError_tT0_T1_T2_jT3_P12ihipStream_tbPNSt15iterator_traitsISE_E10value_typeEPNSK_ISF_E10value_typeEPSG_NS1_7vsmem_tEENKUlT_SE_SF_SG_E_clIS8_S8_S9_S9_EESD_ST_SE_SF_SG_EUlST_E0_NS1_11comp_targetILNS1_3genE5ELNS1_11target_archE942ELNS1_3gpuE9ELNS1_3repE0EEENS1_38merge_mergepath_config_static_selectorELNS0_4arch9wavefront6targetE1EEEvSF_ ; -- Begin function _ZN7rocprim17ROCPRIM_400000_NS6detail17trampoline_kernelINS0_14default_configENS1_38merge_sort_block_merge_config_selectorIlNS0_10empty_typeEEEZZNS1_27merge_sort_block_merge_implIS3_PlPS5_jNS1_19radix_merge_compareILb0ELb1ElNS0_19identity_decomposerEEEEE10hipError_tT0_T1_T2_jT3_P12ihipStream_tbPNSt15iterator_traitsISE_E10value_typeEPNSK_ISF_E10value_typeEPSG_NS1_7vsmem_tEENKUlT_SE_SF_SG_E_clIS8_S8_S9_S9_EESD_ST_SE_SF_SG_EUlST_E0_NS1_11comp_targetILNS1_3genE5ELNS1_11target_archE942ELNS1_3gpuE9ELNS1_3repE0EEENS1_38merge_mergepath_config_static_selectorELNS0_4arch9wavefront6targetE1EEEvSF_
	.globl	_ZN7rocprim17ROCPRIM_400000_NS6detail17trampoline_kernelINS0_14default_configENS1_38merge_sort_block_merge_config_selectorIlNS0_10empty_typeEEEZZNS1_27merge_sort_block_merge_implIS3_PlPS5_jNS1_19radix_merge_compareILb0ELb1ElNS0_19identity_decomposerEEEEE10hipError_tT0_T1_T2_jT3_P12ihipStream_tbPNSt15iterator_traitsISE_E10value_typeEPNSK_ISF_E10value_typeEPSG_NS1_7vsmem_tEENKUlT_SE_SF_SG_E_clIS8_S8_S9_S9_EESD_ST_SE_SF_SG_EUlST_E0_NS1_11comp_targetILNS1_3genE5ELNS1_11target_archE942ELNS1_3gpuE9ELNS1_3repE0EEENS1_38merge_mergepath_config_static_selectorELNS0_4arch9wavefront6targetE1EEEvSF_
	.p2align	8
	.type	_ZN7rocprim17ROCPRIM_400000_NS6detail17trampoline_kernelINS0_14default_configENS1_38merge_sort_block_merge_config_selectorIlNS0_10empty_typeEEEZZNS1_27merge_sort_block_merge_implIS3_PlPS5_jNS1_19radix_merge_compareILb0ELb1ElNS0_19identity_decomposerEEEEE10hipError_tT0_T1_T2_jT3_P12ihipStream_tbPNSt15iterator_traitsISE_E10value_typeEPNSK_ISF_E10value_typeEPSG_NS1_7vsmem_tEENKUlT_SE_SF_SG_E_clIS8_S8_S9_S9_EESD_ST_SE_SF_SG_EUlST_E0_NS1_11comp_targetILNS1_3genE5ELNS1_11target_archE942ELNS1_3gpuE9ELNS1_3repE0EEENS1_38merge_mergepath_config_static_selectorELNS0_4arch9wavefront6targetE1EEEvSF_,@function
_ZN7rocprim17ROCPRIM_400000_NS6detail17trampoline_kernelINS0_14default_configENS1_38merge_sort_block_merge_config_selectorIlNS0_10empty_typeEEEZZNS1_27merge_sort_block_merge_implIS3_PlPS5_jNS1_19radix_merge_compareILb0ELb1ElNS0_19identity_decomposerEEEEE10hipError_tT0_T1_T2_jT3_P12ihipStream_tbPNSt15iterator_traitsISE_E10value_typeEPNSK_ISF_E10value_typeEPSG_NS1_7vsmem_tEENKUlT_SE_SF_SG_E_clIS8_S8_S9_S9_EESD_ST_SE_SF_SG_EUlST_E0_NS1_11comp_targetILNS1_3genE5ELNS1_11target_archE942ELNS1_3gpuE9ELNS1_3repE0EEENS1_38merge_mergepath_config_static_selectorELNS0_4arch9wavefront6targetE1EEEvSF_: ; @_ZN7rocprim17ROCPRIM_400000_NS6detail17trampoline_kernelINS0_14default_configENS1_38merge_sort_block_merge_config_selectorIlNS0_10empty_typeEEEZZNS1_27merge_sort_block_merge_implIS3_PlPS5_jNS1_19radix_merge_compareILb0ELb1ElNS0_19identity_decomposerEEEEE10hipError_tT0_T1_T2_jT3_P12ihipStream_tbPNSt15iterator_traitsISE_E10value_typeEPNSK_ISF_E10value_typeEPSG_NS1_7vsmem_tEENKUlT_SE_SF_SG_E_clIS8_S8_S9_S9_EESD_ST_SE_SF_SG_EUlST_E0_NS1_11comp_targetILNS1_3genE5ELNS1_11target_archE942ELNS1_3gpuE9ELNS1_3repE0EEENS1_38merge_mergepath_config_static_selectorELNS0_4arch9wavefront6targetE1EEEvSF_
; %bb.0:
	.section	.rodata,"a",@progbits
	.p2align	6, 0x0
	.amdhsa_kernel _ZN7rocprim17ROCPRIM_400000_NS6detail17trampoline_kernelINS0_14default_configENS1_38merge_sort_block_merge_config_selectorIlNS0_10empty_typeEEEZZNS1_27merge_sort_block_merge_implIS3_PlPS5_jNS1_19radix_merge_compareILb0ELb1ElNS0_19identity_decomposerEEEEE10hipError_tT0_T1_T2_jT3_P12ihipStream_tbPNSt15iterator_traitsISE_E10value_typeEPNSK_ISF_E10value_typeEPSG_NS1_7vsmem_tEENKUlT_SE_SF_SG_E_clIS8_S8_S9_S9_EESD_ST_SE_SF_SG_EUlST_E0_NS1_11comp_targetILNS1_3genE5ELNS1_11target_archE942ELNS1_3gpuE9ELNS1_3repE0EEENS1_38merge_mergepath_config_static_selectorELNS0_4arch9wavefront6targetE1EEEvSF_
		.amdhsa_group_segment_fixed_size 0
		.amdhsa_private_segment_fixed_size 0
		.amdhsa_kernarg_size 72
		.amdhsa_user_sgpr_count 6
		.amdhsa_user_sgpr_private_segment_buffer 1
		.amdhsa_user_sgpr_dispatch_ptr 0
		.amdhsa_user_sgpr_queue_ptr 0
		.amdhsa_user_sgpr_kernarg_segment_ptr 1
		.amdhsa_user_sgpr_dispatch_id 0
		.amdhsa_user_sgpr_flat_scratch_init 0
		.amdhsa_user_sgpr_kernarg_preload_length 0
		.amdhsa_user_sgpr_kernarg_preload_offset 0
		.amdhsa_user_sgpr_private_segment_size 0
		.amdhsa_uses_dynamic_stack 0
		.amdhsa_system_sgpr_private_segment_wavefront_offset 0
		.amdhsa_system_sgpr_workgroup_id_x 1
		.amdhsa_system_sgpr_workgroup_id_y 0
		.amdhsa_system_sgpr_workgroup_id_z 0
		.amdhsa_system_sgpr_workgroup_info 0
		.amdhsa_system_vgpr_workitem_id 0
		.amdhsa_next_free_vgpr 1
		.amdhsa_next_free_sgpr 0
		.amdhsa_accum_offset 4
		.amdhsa_reserve_vcc 0
		.amdhsa_reserve_flat_scratch 0
		.amdhsa_float_round_mode_32 0
		.amdhsa_float_round_mode_16_64 0
		.amdhsa_float_denorm_mode_32 3
		.amdhsa_float_denorm_mode_16_64 3
		.amdhsa_dx10_clamp 1
		.amdhsa_ieee_mode 1
		.amdhsa_fp16_overflow 0
		.amdhsa_tg_split 0
		.amdhsa_exception_fp_ieee_invalid_op 0
		.amdhsa_exception_fp_denorm_src 0
		.amdhsa_exception_fp_ieee_div_zero 0
		.amdhsa_exception_fp_ieee_overflow 0
		.amdhsa_exception_fp_ieee_underflow 0
		.amdhsa_exception_fp_ieee_inexact 0
		.amdhsa_exception_int_div_zero 0
	.end_amdhsa_kernel
	.section	.text._ZN7rocprim17ROCPRIM_400000_NS6detail17trampoline_kernelINS0_14default_configENS1_38merge_sort_block_merge_config_selectorIlNS0_10empty_typeEEEZZNS1_27merge_sort_block_merge_implIS3_PlPS5_jNS1_19radix_merge_compareILb0ELb1ElNS0_19identity_decomposerEEEEE10hipError_tT0_T1_T2_jT3_P12ihipStream_tbPNSt15iterator_traitsISE_E10value_typeEPNSK_ISF_E10value_typeEPSG_NS1_7vsmem_tEENKUlT_SE_SF_SG_E_clIS8_S8_S9_S9_EESD_ST_SE_SF_SG_EUlST_E0_NS1_11comp_targetILNS1_3genE5ELNS1_11target_archE942ELNS1_3gpuE9ELNS1_3repE0EEENS1_38merge_mergepath_config_static_selectorELNS0_4arch9wavefront6targetE1EEEvSF_,"axG",@progbits,_ZN7rocprim17ROCPRIM_400000_NS6detail17trampoline_kernelINS0_14default_configENS1_38merge_sort_block_merge_config_selectorIlNS0_10empty_typeEEEZZNS1_27merge_sort_block_merge_implIS3_PlPS5_jNS1_19radix_merge_compareILb0ELb1ElNS0_19identity_decomposerEEEEE10hipError_tT0_T1_T2_jT3_P12ihipStream_tbPNSt15iterator_traitsISE_E10value_typeEPNSK_ISF_E10value_typeEPSG_NS1_7vsmem_tEENKUlT_SE_SF_SG_E_clIS8_S8_S9_S9_EESD_ST_SE_SF_SG_EUlST_E0_NS1_11comp_targetILNS1_3genE5ELNS1_11target_archE942ELNS1_3gpuE9ELNS1_3repE0EEENS1_38merge_mergepath_config_static_selectorELNS0_4arch9wavefront6targetE1EEEvSF_,comdat
.Lfunc_end838:
	.size	_ZN7rocprim17ROCPRIM_400000_NS6detail17trampoline_kernelINS0_14default_configENS1_38merge_sort_block_merge_config_selectorIlNS0_10empty_typeEEEZZNS1_27merge_sort_block_merge_implIS3_PlPS5_jNS1_19radix_merge_compareILb0ELb1ElNS0_19identity_decomposerEEEEE10hipError_tT0_T1_T2_jT3_P12ihipStream_tbPNSt15iterator_traitsISE_E10value_typeEPNSK_ISF_E10value_typeEPSG_NS1_7vsmem_tEENKUlT_SE_SF_SG_E_clIS8_S8_S9_S9_EESD_ST_SE_SF_SG_EUlST_E0_NS1_11comp_targetILNS1_3genE5ELNS1_11target_archE942ELNS1_3gpuE9ELNS1_3repE0EEENS1_38merge_mergepath_config_static_selectorELNS0_4arch9wavefront6targetE1EEEvSF_, .Lfunc_end838-_ZN7rocprim17ROCPRIM_400000_NS6detail17trampoline_kernelINS0_14default_configENS1_38merge_sort_block_merge_config_selectorIlNS0_10empty_typeEEEZZNS1_27merge_sort_block_merge_implIS3_PlPS5_jNS1_19radix_merge_compareILb0ELb1ElNS0_19identity_decomposerEEEEE10hipError_tT0_T1_T2_jT3_P12ihipStream_tbPNSt15iterator_traitsISE_E10value_typeEPNSK_ISF_E10value_typeEPSG_NS1_7vsmem_tEENKUlT_SE_SF_SG_E_clIS8_S8_S9_S9_EESD_ST_SE_SF_SG_EUlST_E0_NS1_11comp_targetILNS1_3genE5ELNS1_11target_archE942ELNS1_3gpuE9ELNS1_3repE0EEENS1_38merge_mergepath_config_static_selectorELNS0_4arch9wavefront6targetE1EEEvSF_
                                        ; -- End function
	.section	.AMDGPU.csdata,"",@progbits
; Kernel info:
; codeLenInByte = 0
; NumSgprs: 4
; NumVgprs: 0
; NumAgprs: 0
; TotalNumVgprs: 0
; ScratchSize: 0
; MemoryBound: 0
; FloatMode: 240
; IeeeMode: 1
; LDSByteSize: 0 bytes/workgroup (compile time only)
; SGPRBlocks: 0
; VGPRBlocks: 0
; NumSGPRsForWavesPerEU: 4
; NumVGPRsForWavesPerEU: 1
; AccumOffset: 4
; Occupancy: 8
; WaveLimiterHint : 0
; COMPUTE_PGM_RSRC2:SCRATCH_EN: 0
; COMPUTE_PGM_RSRC2:USER_SGPR: 6
; COMPUTE_PGM_RSRC2:TRAP_HANDLER: 0
; COMPUTE_PGM_RSRC2:TGID_X_EN: 1
; COMPUTE_PGM_RSRC2:TGID_Y_EN: 0
; COMPUTE_PGM_RSRC2:TGID_Z_EN: 0
; COMPUTE_PGM_RSRC2:TIDIG_COMP_CNT: 0
; COMPUTE_PGM_RSRC3_GFX90A:ACCUM_OFFSET: 0
; COMPUTE_PGM_RSRC3_GFX90A:TG_SPLIT: 0
	.section	.text._ZN7rocprim17ROCPRIM_400000_NS6detail17trampoline_kernelINS0_14default_configENS1_38merge_sort_block_merge_config_selectorIlNS0_10empty_typeEEEZZNS1_27merge_sort_block_merge_implIS3_PlPS5_jNS1_19radix_merge_compareILb0ELb1ElNS0_19identity_decomposerEEEEE10hipError_tT0_T1_T2_jT3_P12ihipStream_tbPNSt15iterator_traitsISE_E10value_typeEPNSK_ISF_E10value_typeEPSG_NS1_7vsmem_tEENKUlT_SE_SF_SG_E_clIS8_S8_S9_S9_EESD_ST_SE_SF_SG_EUlST_E0_NS1_11comp_targetILNS1_3genE4ELNS1_11target_archE910ELNS1_3gpuE8ELNS1_3repE0EEENS1_38merge_mergepath_config_static_selectorELNS0_4arch9wavefront6targetE1EEEvSF_,"axG",@progbits,_ZN7rocprim17ROCPRIM_400000_NS6detail17trampoline_kernelINS0_14default_configENS1_38merge_sort_block_merge_config_selectorIlNS0_10empty_typeEEEZZNS1_27merge_sort_block_merge_implIS3_PlPS5_jNS1_19radix_merge_compareILb0ELb1ElNS0_19identity_decomposerEEEEE10hipError_tT0_T1_T2_jT3_P12ihipStream_tbPNSt15iterator_traitsISE_E10value_typeEPNSK_ISF_E10value_typeEPSG_NS1_7vsmem_tEENKUlT_SE_SF_SG_E_clIS8_S8_S9_S9_EESD_ST_SE_SF_SG_EUlST_E0_NS1_11comp_targetILNS1_3genE4ELNS1_11target_archE910ELNS1_3gpuE8ELNS1_3repE0EEENS1_38merge_mergepath_config_static_selectorELNS0_4arch9wavefront6targetE1EEEvSF_,comdat
	.protected	_ZN7rocprim17ROCPRIM_400000_NS6detail17trampoline_kernelINS0_14default_configENS1_38merge_sort_block_merge_config_selectorIlNS0_10empty_typeEEEZZNS1_27merge_sort_block_merge_implIS3_PlPS5_jNS1_19radix_merge_compareILb0ELb1ElNS0_19identity_decomposerEEEEE10hipError_tT0_T1_T2_jT3_P12ihipStream_tbPNSt15iterator_traitsISE_E10value_typeEPNSK_ISF_E10value_typeEPSG_NS1_7vsmem_tEENKUlT_SE_SF_SG_E_clIS8_S8_S9_S9_EESD_ST_SE_SF_SG_EUlST_E0_NS1_11comp_targetILNS1_3genE4ELNS1_11target_archE910ELNS1_3gpuE8ELNS1_3repE0EEENS1_38merge_mergepath_config_static_selectorELNS0_4arch9wavefront6targetE1EEEvSF_ ; -- Begin function _ZN7rocprim17ROCPRIM_400000_NS6detail17trampoline_kernelINS0_14default_configENS1_38merge_sort_block_merge_config_selectorIlNS0_10empty_typeEEEZZNS1_27merge_sort_block_merge_implIS3_PlPS5_jNS1_19radix_merge_compareILb0ELb1ElNS0_19identity_decomposerEEEEE10hipError_tT0_T1_T2_jT3_P12ihipStream_tbPNSt15iterator_traitsISE_E10value_typeEPNSK_ISF_E10value_typeEPSG_NS1_7vsmem_tEENKUlT_SE_SF_SG_E_clIS8_S8_S9_S9_EESD_ST_SE_SF_SG_EUlST_E0_NS1_11comp_targetILNS1_3genE4ELNS1_11target_archE910ELNS1_3gpuE8ELNS1_3repE0EEENS1_38merge_mergepath_config_static_selectorELNS0_4arch9wavefront6targetE1EEEvSF_
	.globl	_ZN7rocprim17ROCPRIM_400000_NS6detail17trampoline_kernelINS0_14default_configENS1_38merge_sort_block_merge_config_selectorIlNS0_10empty_typeEEEZZNS1_27merge_sort_block_merge_implIS3_PlPS5_jNS1_19radix_merge_compareILb0ELb1ElNS0_19identity_decomposerEEEEE10hipError_tT0_T1_T2_jT3_P12ihipStream_tbPNSt15iterator_traitsISE_E10value_typeEPNSK_ISF_E10value_typeEPSG_NS1_7vsmem_tEENKUlT_SE_SF_SG_E_clIS8_S8_S9_S9_EESD_ST_SE_SF_SG_EUlST_E0_NS1_11comp_targetILNS1_3genE4ELNS1_11target_archE910ELNS1_3gpuE8ELNS1_3repE0EEENS1_38merge_mergepath_config_static_selectorELNS0_4arch9wavefront6targetE1EEEvSF_
	.p2align	8
	.type	_ZN7rocprim17ROCPRIM_400000_NS6detail17trampoline_kernelINS0_14default_configENS1_38merge_sort_block_merge_config_selectorIlNS0_10empty_typeEEEZZNS1_27merge_sort_block_merge_implIS3_PlPS5_jNS1_19radix_merge_compareILb0ELb1ElNS0_19identity_decomposerEEEEE10hipError_tT0_T1_T2_jT3_P12ihipStream_tbPNSt15iterator_traitsISE_E10value_typeEPNSK_ISF_E10value_typeEPSG_NS1_7vsmem_tEENKUlT_SE_SF_SG_E_clIS8_S8_S9_S9_EESD_ST_SE_SF_SG_EUlST_E0_NS1_11comp_targetILNS1_3genE4ELNS1_11target_archE910ELNS1_3gpuE8ELNS1_3repE0EEENS1_38merge_mergepath_config_static_selectorELNS0_4arch9wavefront6targetE1EEEvSF_,@function
_ZN7rocprim17ROCPRIM_400000_NS6detail17trampoline_kernelINS0_14default_configENS1_38merge_sort_block_merge_config_selectorIlNS0_10empty_typeEEEZZNS1_27merge_sort_block_merge_implIS3_PlPS5_jNS1_19radix_merge_compareILb0ELb1ElNS0_19identity_decomposerEEEEE10hipError_tT0_T1_T2_jT3_P12ihipStream_tbPNSt15iterator_traitsISE_E10value_typeEPNSK_ISF_E10value_typeEPSG_NS1_7vsmem_tEENKUlT_SE_SF_SG_E_clIS8_S8_S9_S9_EESD_ST_SE_SF_SG_EUlST_E0_NS1_11comp_targetILNS1_3genE4ELNS1_11target_archE910ELNS1_3gpuE8ELNS1_3repE0EEENS1_38merge_mergepath_config_static_selectorELNS0_4arch9wavefront6targetE1EEEvSF_: ; @_ZN7rocprim17ROCPRIM_400000_NS6detail17trampoline_kernelINS0_14default_configENS1_38merge_sort_block_merge_config_selectorIlNS0_10empty_typeEEEZZNS1_27merge_sort_block_merge_implIS3_PlPS5_jNS1_19radix_merge_compareILb0ELb1ElNS0_19identity_decomposerEEEEE10hipError_tT0_T1_T2_jT3_P12ihipStream_tbPNSt15iterator_traitsISE_E10value_typeEPNSK_ISF_E10value_typeEPSG_NS1_7vsmem_tEENKUlT_SE_SF_SG_E_clIS8_S8_S9_S9_EESD_ST_SE_SF_SG_EUlST_E0_NS1_11comp_targetILNS1_3genE4ELNS1_11target_archE910ELNS1_3gpuE8ELNS1_3repE0EEENS1_38merge_mergepath_config_static_selectorELNS0_4arch9wavefront6targetE1EEEvSF_
; %bb.0:
	s_load_dwordx2 s[14:15], s[4:5], 0x48
	s_load_dword s3, s[4:5], 0x30
	s_add_u32 s0, s4, 0x48
	s_addc_u32 s1, s5, 0
	s_waitcnt lgkmcnt(0)
	s_mul_i32 s2, s15, s8
	s_add_i32 s2, s2, s7
	s_mul_i32 s2, s2, s14
	s_add_i32 s2, s2, s6
	s_cmp_ge_u32 s2, s3
	s_cbranch_scc1 .LBB839_31
; %bb.1:
	s_load_dwordx2 s[8:9], s[4:5], 0x28
	s_load_dwordx2 s[10:11], s[4:5], 0x40
	;; [unrolled: 1-line block ×3, first 2 shown]
	s_mov_b32 s3, 0
	s_mov_b32 s25, s3
	s_waitcnt lgkmcnt(0)
	s_lshr_b32 s7, s8, 10
	s_cmp_lg_u32 s2, s7
	s_cselect_b64 s[12:13], -1, 0
	s_lshl_b64 s[16:17], s[2:3], 2
	s_add_u32 s10, s10, s16
	s_addc_u32 s11, s11, s17
	s_load_dwordx2 s[18:19], s[10:11], 0x0
	s_lshr_b32 s10, s9, 9
	s_and_b32 s10, s10, 0x7ffffe
	s_sub_i32 s11, 0, s10
	s_and_b32 s15, s2, s11
	s_lshl_b32 s16, s15, 10
	s_lshl_b32 s10, s2, 10
	;; [unrolled: 1-line block ×3, first 2 shown]
	s_sub_i32 s17, s10, s16
	s_add_i32 s15, s15, s9
	s_add_i32 s17, s15, s17
	s_waitcnt lgkmcnt(0)
	s_sub_i32 s20, s17, s18
	s_sub_i32 s17, s17, s19
	;; [unrolled: 1-line block ×3, first 2 shown]
	s_min_u32 s24, s8, s20
	s_addk_i32 s17, 0x400
	s_or_b32 s11, s2, s11
	s_min_u32 s16, s8, s15
	s_add_i32 s15, s15, s9
	s_cmp_eq_u32 s11, -1
	s_cselect_b32 s9, s15, s17
	s_cselect_b32 s11, s16, s19
	s_min_u32 s15, s9, s8
	s_mov_b32 s19, s3
	s_sub_i32 s9, s11, s18
	s_sub_i32 s16, s15, s24
	s_lshl_b64 s[20:21], s[18:19], 3
	s_add_u32 s19, s22, s20
	s_addc_u32 s20, s23, s21
	s_lshl_b64 s[24:25], s[24:25], 3
	s_add_u32 s17, s22, s24
	s_addc_u32 s18, s23, s25
	s_cmp_lt_u32 s6, s14
	v_mov_b32_e32 v9, 0
	s_cselect_b32 s3, 12, 18
	global_load_dword v1, v9, s[0:1] offset:14
	s_add_u32 s0, s0, s3
	s_addc_u32 s1, s1, 0
	global_load_ushort v2, v9, s[0:1]
	s_cmp_eq_u32 s2, s7
	s_waitcnt vmcnt(1)
	v_lshrrev_b32_e32 v3, 16, v1
	v_and_b32_e32 v1, 0xffff, v1
	v_mul_lo_u32 v1, v1, v3
	s_waitcnt vmcnt(0)
	v_mul_lo_u32 v14, v1, v2
	v_add_u32_e32 v12, v14, v0
	v_lshlrev_b32_e32 v1, 3, v0
	v_add_u32_e32 v10, v12, v14
	s_cbranch_scc1 .LBB839_3
; %bb.2:
	v_mov_b32_e32 v2, s20
	v_add_co_u32_e32 v4, vcc, s19, v1
	v_subrev_u32_e32 v8, s9, v0
	v_addc_co_u32_e32 v5, vcc, 0, v2, vcc
	v_lshlrev_b64 v[2:3], 3, v[8:9]
	v_mov_b32_e32 v6, s18
	v_add_co_u32_e32 v2, vcc, s17, v2
	v_addc_co_u32_e32 v3, vcc, v6, v3, vcc
	v_cmp_gt_u32_e32 vcc, s9, v0
	v_mov_b32_e32 v13, v9
	v_cndmask_b32_e32 v3, v3, v5, vcc
	v_cndmask_b32_e32 v2, v2, v4, vcc
	v_lshlrev_b64 v[4:5], 3, v[12:13]
	v_mov_b32_e32 v6, s20
	v_add_co_u32_e32 v7, vcc, s19, v4
	v_subrev_u32_e32 v8, s9, v12
	v_addc_co_u32_e32 v6, vcc, v6, v5, vcc
	v_lshlrev_b64 v[4:5], 3, v[8:9]
	v_mov_b32_e32 v8, s18
	v_add_co_u32_e32 v4, vcc, s17, v4
	v_addc_co_u32_e32 v5, vcc, v8, v5, vcc
	v_cmp_gt_u32_e32 vcc, s9, v12
	v_mov_b32_e32 v11, v9
	v_cndmask_b32_e32 v5, v5, v6, vcc
	v_cndmask_b32_e32 v4, v4, v7, vcc
	v_lshlrev_b64 v[6:7], 3, v[10:11]
	v_mov_b32_e32 v8, s20
	v_add_co_u32_e32 v11, vcc, s19, v6
	v_addc_co_u32_e32 v13, vcc, v8, v7, vcc
	v_subrev_u32_e32 v8, s9, v10
	v_lshlrev_b64 v[6:7], 3, v[8:9]
	v_mov_b32_e32 v8, s18
	v_add_co_u32_e32 v6, vcc, s17, v6
	v_addc_co_u32_e32 v7, vcc, v8, v7, vcc
	v_add_u32_e32 v8, v10, v14
	v_cmp_gt_u32_e32 vcc, s9, v10
	v_lshlrev_b64 v[16:17], 3, v[8:9]
	v_cndmask_b32_e32 v7, v7, v13, vcc
	v_cndmask_b32_e32 v6, v6, v11, vcc
	v_mov_b32_e32 v11, s20
	v_add_co_u32_e32 v13, vcc, s19, v16
	v_addc_co_u32_e32 v11, vcc, v11, v17, vcc
	v_cmp_gt_u32_e32 vcc, s9, v8
	v_subrev_u32_e32 v8, s9, v8
	v_lshlrev_b64 v[8:9], 3, v[8:9]
	v_mov_b32_e32 v15, s18
	v_add_co_u32_e64 v8, s[0:1], s17, v8
	v_addc_co_u32_e64 v9, s[0:1], v15, v9, s[0:1]
	v_cndmask_b32_e32 v9, v9, v11, vcc
	v_cndmask_b32_e32 v8, v8, v13, vcc
	global_load_dwordx2 v[2:3], v[2:3], off
	s_add_i32 s11, s16, s9
	global_load_dwordx2 v[4:5], v[4:5], off
	s_nop 0
	global_load_dwordx2 v[6:7], v[6:7], off
	s_nop 0
	global_load_dwordx2 v[8:9], v[8:9], off
	s_load_dwordx2 s[6:7], s[4:5], 0x10
	s_load_dwordx2 s[14:15], s[4:5], 0x38
	s_cbranch_execz .LBB839_4
	s_branch .LBB839_11
.LBB839_3:
                                        ; implicit-def: $vgpr2_vgpr3_vgpr4_vgpr5_vgpr6_vgpr7_vgpr8_vgpr9
                                        ; implicit-def: $sgpr11
	s_load_dwordx2 s[6:7], s[4:5], 0x10
	s_load_dwordx2 s[14:15], s[4:5], 0x38
.LBB839_4:
	s_add_i32 s11, s16, s9
	v_cmp_gt_u32_e32 vcc, s11, v0
                                        ; implicit-def: $vgpr2_vgpr3_vgpr4_vgpr5_vgpr6_vgpr7_vgpr8_vgpr9
	s_and_saveexec_b64 s[0:1], vcc
	s_cbranch_execnz .LBB839_32
; %bb.5:
	s_or_b64 exec, exec, s[0:1]
	v_cmp_gt_u32_e32 vcc, s11, v12
	s_and_saveexec_b64 s[2:3], vcc
	s_cbranch_execnz .LBB839_33
.LBB839_6:
	s_or_b64 exec, exec, s[2:3]
	v_cmp_gt_u32_e32 vcc, s11, v10
	s_and_saveexec_b64 s[0:1], vcc
	s_cbranch_execz .LBB839_8
.LBB839_7:
	v_mov_b32_e32 v11, 0
	s_waitcnt vmcnt(1)
	v_lshlrev_b64 v[6:7], 3, v[10:11]
	v_mov_b32_e32 v12, s20
	v_add_co_u32_e32 v13, vcc, s19, v6
	v_addc_co_u32_e32 v12, vcc, v12, v7, vcc
	v_subrev_u32_e32 v6, s9, v10
	v_mov_b32_e32 v7, v11
	v_lshlrev_b64 v[6:7], 3, v[6:7]
	v_mov_b32_e32 v11, s18
	v_add_co_u32_e32 v6, vcc, s17, v6
	v_addc_co_u32_e32 v7, vcc, v11, v7, vcc
	v_cmp_gt_u32_e32 vcc, s9, v10
	v_cndmask_b32_e32 v7, v7, v12, vcc
	v_cndmask_b32_e32 v6, v6, v13, vcc
	global_load_dwordx2 v[6:7], v[6:7], off
.LBB839_8:
	s_or_b64 exec, exec, s[0:1]
	v_add_u32_e32 v10, v10, v14
	v_cmp_gt_u32_e32 vcc, s11, v10
	s_and_saveexec_b64 s[2:3], vcc
	s_cbranch_execz .LBB839_10
; %bb.9:
	v_mov_b32_e32 v11, 0
	s_waitcnt vmcnt(0)
	v_lshlrev_b64 v[8:9], 3, v[10:11]
	v_mov_b32_e32 v12, s20
	v_add_co_u32_e32 v13, vcc, s19, v8
	v_addc_co_u32_e32 v12, vcc, v12, v9, vcc
	v_cmp_gt_u32_e32 vcc, s9, v10
	v_subrev_u32_e32 v10, s9, v10
	v_lshlrev_b64 v[8:9], 3, v[10:11]
	v_mov_b32_e32 v10, s18
	v_add_co_u32_e64 v8, s[0:1], s17, v8
	v_addc_co_u32_e64 v9, s[0:1], v10, v9, s[0:1]
	v_cndmask_b32_e32 v9, v9, v12, vcc
	v_cndmask_b32_e32 v8, v8, v13, vcc
	global_load_dwordx2 v[8:9], v[8:9], off
.LBB839_10:
	s_or_b64 exec, exec, s[2:3]
.LBB839_11:
	v_lshlrev_b32_e32 v10, 2, v0
	v_min_u32_e32 v12, s11, v10
	v_sub_u32_e64 v11, v12, s16 clamp
	v_min_u32_e32 v13, s9, v12
	v_cmp_lt_u32_e32 vcc, v11, v13
	s_waitcnt vmcnt(0)
	ds_write2st64_b64 v1, v[2:3], v[4:5] offset1:4
	ds_write2st64_b64 v1, v[6:7], v[8:9] offset0:8 offset1:12
	s_waitcnt lgkmcnt(0)
	s_barrier
	s_and_saveexec_b64 s[0:1], vcc
	s_cbranch_execz .LBB839_15
; %bb.12:
	v_lshlrev_b32_e32 v14, 3, v12
	v_lshl_add_u32 v14, s9, 3, v14
	s_mov_b64 s[2:3], 0
.LBB839_13:                             ; =>This Inner Loop Header: Depth=1
	v_add_u32_e32 v15, v13, v11
	v_lshrrev_b32_e32 v15, 1, v15
	v_not_b32_e32 v18, v15
	v_lshlrev_b32_e32 v16, 3, v15
	v_lshl_add_u32 v18, v18, 3, v14
	ds_read_b64 v[16:17], v16
	ds_read_b64 v[18:19], v18
	v_add_u32_e32 v20, 1, v15
	s_waitcnt lgkmcnt(1)
	v_and_b32_e32 v17, s15, v17
	v_and_b32_e32 v16, s14, v16
	s_waitcnt lgkmcnt(0)
	v_and_b32_e32 v19, s15, v19
	v_and_b32_e32 v18, s14, v18
	v_cmp_gt_i64_e32 vcc, v[16:17], v[18:19]
	v_cndmask_b32_e32 v13, v13, v15, vcc
	v_cndmask_b32_e32 v11, v20, v11, vcc
	v_cmp_ge_u32_e32 vcc, v11, v13
	s_or_b64 s[2:3], vcc, s[2:3]
	s_andn2_b64 exec, exec, s[2:3]
	s_cbranch_execnz .LBB839_13
; %bb.14:
	s_or_b64 exec, exec, s[2:3]
.LBB839_15:
	s_or_b64 exec, exec, s[0:1]
	v_sub_u32_e32 v12, v12, v11
	v_add_u32_e32 v12, s9, v12
	v_cmp_ge_u32_e32 vcc, s9, v11
	v_cmp_ge_u32_e64 s[0:1], s11, v12
	s_or_b64 s[0:1], vcc, s[0:1]
	s_and_saveexec_b64 s[16:17], s[0:1]
	s_cbranch_execz .LBB839_21
; %bb.16:
	v_cmp_gt_u32_e32 vcc, s9, v11
                                        ; implicit-def: $vgpr2_vgpr3
	s_and_saveexec_b64 s[0:1], vcc
	s_cbranch_execz .LBB839_18
; %bb.17:
	v_lshlrev_b32_e32 v2, 3, v11
	ds_read_b64 v[2:3], v2
.LBB839_18:
	s_or_b64 exec, exec, s[0:1]
	v_cmp_le_u32_e64 s[0:1], s11, v12
	v_cmp_gt_u32_e64 s[2:3], s11, v12
                                        ; implicit-def: $vgpr4_vgpr5
	s_and_saveexec_b64 s[4:5], s[2:3]
	s_cbranch_execz .LBB839_20
; %bb.19:
	v_lshlrev_b32_e32 v4, 3, v12
	ds_read_b64 v[4:5], v4
.LBB839_20:
	s_or_b64 exec, exec, s[4:5]
	s_waitcnt lgkmcnt(0)
	v_and_b32_e32 v7, s15, v5
	v_and_b32_e32 v6, s14, v4
	v_and_b32_e32 v9, s15, v3
	v_and_b32_e32 v8, s14, v2
	v_cmp_le_i64_e64 s[2:3], v[8:9], v[6:7]
	s_and_b64 s[2:3], vcc, s[2:3]
	s_or_b64 vcc, s[0:1], s[2:3]
	v_mov_b32_e32 v13, s11
	v_mov_b32_e32 v14, s9
	v_cndmask_b32_e32 v6, v12, v11, vcc
	v_cndmask_b32_e32 v7, v13, v14, vcc
	v_add_u32_e32 v8, 1, v6
	v_add_u32_e32 v6, -1, v7
	v_min_u32_e32 v6, v8, v6
	v_lshlrev_b32_e32 v6, 3, v6
	ds_read_b64 v[6:7], v6
	v_cndmask_b32_e32 v12, v8, v12, vcc
	v_cndmask_b32_e32 v11, v11, v8, vcc
	v_cmp_gt_u32_e64 s[2:3], s9, v11
	v_cmp_le_u32_e64 s[0:1], s11, v12
	s_waitcnt lgkmcnt(0)
	v_cndmask_b32_e32 v15, v7, v5, vcc
	v_cndmask_b32_e32 v16, v6, v4, vcc
	v_cndmask_b32_e32 v17, v3, v7, vcc
	v_cndmask_b32_e32 v18, v2, v6, vcc
	v_and_b32_e32 v7, s15, v15
	v_and_b32_e32 v6, s14, v16
	;; [unrolled: 1-line block ×4, first 2 shown]
	v_cmp_le_i64_e64 s[4:5], v[8:9], v[6:7]
	s_and_b64 s[2:3], s[2:3], s[4:5]
	s_or_b64 s[0:1], s[0:1], s[2:3]
	v_cndmask_b32_e64 v6, v12, v11, s[0:1]
	v_cndmask_b32_e64 v7, v13, v14, s[0:1]
	v_add_u32_e32 v8, 1, v6
	v_add_u32_e32 v6, -1, v7
	v_min_u32_e32 v6, v8, v6
	v_lshlrev_b32_e32 v6, 3, v6
	ds_read_b64 v[6:7], v6
	v_cndmask_b32_e32 v3, v5, v3, vcc
	v_cndmask_b32_e32 v2, v4, v2, vcc
	v_cndmask_b32_e64 v11, v11, v8, s[0:1]
	v_cndmask_b32_e64 v12, v8, v12, s[0:1]
	s_waitcnt lgkmcnt(0)
	v_cndmask_b32_e64 v19, v7, v15, s[0:1]
	v_cndmask_b32_e64 v20, v6, v16, s[0:1]
	;; [unrolled: 1-line block ×4, first 2 shown]
	v_and_b32_e32 v5, s15, v19
	v_and_b32_e32 v4, s14, v20
	;; [unrolled: 1-line block ×4, first 2 shown]
	v_cmp_gt_u32_e64 s[2:3], s9, v11
	v_cmp_le_i64_e64 s[4:5], v[6:7], v[4:5]
	v_cmp_le_u32_e32 vcc, s11, v12
	s_and_b64 s[2:3], s[2:3], s[4:5]
	s_or_b64 vcc, vcc, s[2:3]
	v_cndmask_b32_e32 v4, v12, v11, vcc
	v_cndmask_b32_e32 v5, v13, v14, vcc
	v_add_u32_e32 v13, 1, v4
	v_add_u32_e32 v4, -1, v5
	v_min_u32_e32 v4, v13, v4
	v_lshlrev_b32_e32 v4, 3, v4
	ds_read_b64 v[8:9], v4
	v_cndmask_b32_e64 v5, v15, v17, s[0:1]
	v_cndmask_b32_e64 v4, v16, v18, s[0:1]
	v_cndmask_b32_e32 v7, v19, v21, vcc
	v_cndmask_b32_e32 v6, v20, v22, vcc
	s_waitcnt lgkmcnt(0)
	v_cndmask_b32_e32 v14, v9, v19, vcc
	v_cndmask_b32_e32 v15, v8, v20, vcc
	v_cndmask_b32_e32 v16, v21, v9, vcc
	v_cndmask_b32_e32 v17, v22, v8, vcc
	v_cndmask_b32_e32 v8, v13, v12, vcc
	v_cndmask_b32_e32 v9, v11, v13, vcc
	v_cmp_le_u32_e32 vcc, s11, v8
	v_cmp_gt_u32_e64 s[0:1], s9, v9
	v_and_b32_e32 v9, s15, v14
	v_and_b32_e32 v8, s14, v15
	v_and_b32_e32 v13, s15, v16
	v_and_b32_e32 v12, s14, v17
	v_cmp_le_i64_e64 s[2:3], v[12:13], v[8:9]
	s_and_b64 s[0:1], s[0:1], s[2:3]
	s_or_b64 vcc, vcc, s[0:1]
	v_cndmask_b32_e32 v9, v14, v16, vcc
	v_cndmask_b32_e32 v8, v15, v17, vcc
.LBB839_21:
	s_or_b64 exec, exec, s[16:17]
	v_and_b32_e32 v11, 0xf8, v0
	v_lshl_add_u32 v10, v10, 3, v11
	s_barrier
	s_barrier
	ds_write2_b64 v10, v[2:3], v[4:5] offset1:1
	ds_write2_b64 v10, v[6:7], v[8:9] offset0:2 offset1:3
	v_lshrrev_b32_e32 v2, 2, v0
	v_and_b32_e32 v2, 56, v2
	v_or_b32_e32 v12, 0x100, v0
	v_add_u32_e32 v13, v1, v2
	v_lshrrev_b32_e32 v2, 2, v12
	v_and_b32_e32 v2, 0x78, v2
	v_or_b32_e32 v11, 0x200, v0
	s_mov_b32 s11, 0
	v_add_u32_e32 v6, v1, v2
	v_lshrrev_b32_e32 v2, 2, v11
	s_lshl_b64 s[0:1], s[10:11], 3
	v_and_b32_e32 v2, 0xb8, v2
	v_or_b32_e32 v10, 0x300, v0
	s_add_u32 s0, s6, s0
	v_add_u32_e32 v7, v1, v2
	v_lshrrev_b32_e32 v2, 2, v10
	s_addc_u32 s1, s7, s1
	v_and_b32_e32 v2, 0xf8, v2
	v_add_u32_e32 v14, v1, v2
	v_mov_b32_e32 v3, s1
	v_add_co_u32_e32 v2, vcc, s0, v1
	v_addc_co_u32_e32 v3, vcc, 0, v3, vcc
	s_and_b64 vcc, exec, s[12:13]
	s_waitcnt lgkmcnt(0)
	s_cbranch_vccz .LBB839_23
; %bb.22:
	s_barrier
	ds_read_b64 v[8:9], v13
	ds_read_b64 v[16:17], v6 offset:2048
	ds_read_b64 v[18:19], v7 offset:4096
	;; [unrolled: 1-line block ×3, first 2 shown]
	s_waitcnt lgkmcnt(3)
	global_store_dwordx2 v[2:3], v[8:9], off
	s_waitcnt lgkmcnt(2)
	global_store_dwordx2 v[2:3], v[16:17], off offset:2048
	v_add_co_u32_e32 v8, vcc, 0x1000, v2
	v_addc_co_u32_e32 v9, vcc, 0, v3, vcc
	s_waitcnt lgkmcnt(1)
	global_store_dwordx2 v[8:9], v[18:19], off
	s_mov_b64 s[0:1], -1
	s_cbranch_execz .LBB839_24
	s_branch .LBB839_29
.LBB839_23:
	s_mov_b64 s[0:1], 0
                                        ; implicit-def: $vgpr4_vgpr5
.LBB839_24:
	s_barrier
	s_waitcnt lgkmcnt(0)
	ds_read_b64 v[8:9], v6 offset:2048
	ds_read_b64 v[6:7], v7 offset:4096
	;; [unrolled: 1-line block ×3, first 2 shown]
	s_sub_i32 s2, s8, s10
	v_cmp_gt_u32_e32 vcc, s2, v0
	s_and_saveexec_b64 s[0:1], vcc
	s_cbranch_execnz .LBB839_34
; %bb.25:
	s_or_b64 exec, exec, s[0:1]
	v_cmp_gt_u32_e32 vcc, s2, v12
	s_and_saveexec_b64 s[0:1], vcc
	s_cbranch_execnz .LBB839_35
.LBB839_26:
	s_or_b64 exec, exec, s[0:1]
	v_cmp_gt_u32_e32 vcc, s2, v11
	s_and_saveexec_b64 s[0:1], vcc
	s_cbranch_execz .LBB839_28
.LBB839_27:
	v_add_co_u32_e32 v0, vcc, 0x1000, v2
	v_addc_co_u32_e32 v1, vcc, 0, v3, vcc
	s_waitcnt lgkmcnt(1)
	global_store_dwordx2 v[0:1], v[6:7], off
.LBB839_28:
	s_or_b64 exec, exec, s[0:1]
	v_cmp_gt_u32_e64 s[0:1], s2, v10
.LBB839_29:
	s_and_saveexec_b64 s[2:3], s[0:1]
	s_cbranch_execz .LBB839_31
; %bb.30:
	v_add_co_u32_e32 v0, vcc, 0x1000, v2
	v_addc_co_u32_e32 v1, vcc, 0, v3, vcc
	s_waitcnt lgkmcnt(0)
	global_store_dwordx2 v[0:1], v[4:5], off offset:2048
.LBB839_31:
	s_endpgm
.LBB839_32:
	s_waitcnt vmcnt(3)
	v_mov_b32_e32 v2, s20
	s_waitcnt vmcnt(2)
	v_add_co_u32_e32 v4, vcc, s19, v1
	v_mov_b32_e32 v3, 0
	v_addc_co_u32_e32 v5, vcc, 0, v2, vcc
	v_subrev_u32_e32 v2, s9, v0
	v_lshlrev_b64 v[2:3], 3, v[2:3]
	s_waitcnt vmcnt(1)
	v_mov_b32_e32 v6, s18
	v_add_co_u32_e32 v2, vcc, s17, v2
	v_addc_co_u32_e32 v3, vcc, v6, v3, vcc
	v_cmp_gt_u32_e32 vcc, s9, v0
	v_cndmask_b32_e32 v3, v3, v5, vcc
	v_cndmask_b32_e32 v2, v2, v4, vcc
	global_load_dwordx2 v[2:3], v[2:3], off
	s_or_b64 exec, exec, s[0:1]
	v_cmp_gt_u32_e32 vcc, s11, v12
	s_and_saveexec_b64 s[2:3], vcc
	s_cbranch_execz .LBB839_6
.LBB839_33:
	v_mov_b32_e32 v13, 0
	s_waitcnt vmcnt(2)
	v_lshlrev_b64 v[4:5], 3, v[12:13]
	v_mov_b32_e32 v11, s20
	v_add_co_u32_e32 v15, vcc, s19, v4
	v_addc_co_u32_e32 v11, vcc, v11, v5, vcc
	v_cmp_gt_u32_e32 vcc, s9, v12
	v_subrev_u32_e32 v12, s9, v12
	v_lshlrev_b64 v[4:5], 3, v[12:13]
	v_mov_b32_e32 v12, s18
	v_add_co_u32_e64 v4, s[0:1], s17, v4
	v_addc_co_u32_e64 v5, s[0:1], v12, v5, s[0:1]
	v_cndmask_b32_e32 v5, v5, v11, vcc
	v_cndmask_b32_e32 v4, v4, v15, vcc
	global_load_dwordx2 v[4:5], v[4:5], off
	s_or_b64 exec, exec, s[2:3]
	v_cmp_gt_u32_e32 vcc, s11, v10
	s_and_saveexec_b64 s[0:1], vcc
	s_cbranch_execnz .LBB839_7
	s_branch .LBB839_8
.LBB839_34:
	ds_read_b64 v[0:1], v13
	s_waitcnt lgkmcnt(0)
	global_store_dwordx2 v[2:3], v[0:1], off
	s_or_b64 exec, exec, s[0:1]
	v_cmp_gt_u32_e32 vcc, s2, v12
	s_and_saveexec_b64 s[0:1], vcc
	s_cbranch_execz .LBB839_26
.LBB839_35:
	s_waitcnt lgkmcnt(2)
	global_store_dwordx2 v[2:3], v[8:9], off offset:2048
	s_or_b64 exec, exec, s[0:1]
	v_cmp_gt_u32_e32 vcc, s2, v11
	s_and_saveexec_b64 s[0:1], vcc
	s_cbranch_execnz .LBB839_27
	s_branch .LBB839_28
	.section	.rodata,"a",@progbits
	.p2align	6, 0x0
	.amdhsa_kernel _ZN7rocprim17ROCPRIM_400000_NS6detail17trampoline_kernelINS0_14default_configENS1_38merge_sort_block_merge_config_selectorIlNS0_10empty_typeEEEZZNS1_27merge_sort_block_merge_implIS3_PlPS5_jNS1_19radix_merge_compareILb0ELb1ElNS0_19identity_decomposerEEEEE10hipError_tT0_T1_T2_jT3_P12ihipStream_tbPNSt15iterator_traitsISE_E10value_typeEPNSK_ISF_E10value_typeEPSG_NS1_7vsmem_tEENKUlT_SE_SF_SG_E_clIS8_S8_S9_S9_EESD_ST_SE_SF_SG_EUlST_E0_NS1_11comp_targetILNS1_3genE4ELNS1_11target_archE910ELNS1_3gpuE8ELNS1_3repE0EEENS1_38merge_mergepath_config_static_selectorELNS0_4arch9wavefront6targetE1EEEvSF_
		.amdhsa_group_segment_fixed_size 8448
		.amdhsa_private_segment_fixed_size 0
		.amdhsa_kernarg_size 328
		.amdhsa_user_sgpr_count 6
		.amdhsa_user_sgpr_private_segment_buffer 1
		.amdhsa_user_sgpr_dispatch_ptr 0
		.amdhsa_user_sgpr_queue_ptr 0
		.amdhsa_user_sgpr_kernarg_segment_ptr 1
		.amdhsa_user_sgpr_dispatch_id 0
		.amdhsa_user_sgpr_flat_scratch_init 0
		.amdhsa_user_sgpr_kernarg_preload_length 0
		.amdhsa_user_sgpr_kernarg_preload_offset 0
		.amdhsa_user_sgpr_private_segment_size 0
		.amdhsa_uses_dynamic_stack 0
		.amdhsa_system_sgpr_private_segment_wavefront_offset 0
		.amdhsa_system_sgpr_workgroup_id_x 1
		.amdhsa_system_sgpr_workgroup_id_y 1
		.amdhsa_system_sgpr_workgroup_id_z 1
		.amdhsa_system_sgpr_workgroup_info 0
		.amdhsa_system_vgpr_workitem_id 0
		.amdhsa_next_free_vgpr 23
		.amdhsa_next_free_sgpr 26
		.amdhsa_accum_offset 24
		.amdhsa_reserve_vcc 1
		.amdhsa_reserve_flat_scratch 0
		.amdhsa_float_round_mode_32 0
		.amdhsa_float_round_mode_16_64 0
		.amdhsa_float_denorm_mode_32 3
		.amdhsa_float_denorm_mode_16_64 3
		.amdhsa_dx10_clamp 1
		.amdhsa_ieee_mode 1
		.amdhsa_fp16_overflow 0
		.amdhsa_tg_split 0
		.amdhsa_exception_fp_ieee_invalid_op 0
		.amdhsa_exception_fp_denorm_src 0
		.amdhsa_exception_fp_ieee_div_zero 0
		.amdhsa_exception_fp_ieee_overflow 0
		.amdhsa_exception_fp_ieee_underflow 0
		.amdhsa_exception_fp_ieee_inexact 0
		.amdhsa_exception_int_div_zero 0
	.end_amdhsa_kernel
	.section	.text._ZN7rocprim17ROCPRIM_400000_NS6detail17trampoline_kernelINS0_14default_configENS1_38merge_sort_block_merge_config_selectorIlNS0_10empty_typeEEEZZNS1_27merge_sort_block_merge_implIS3_PlPS5_jNS1_19radix_merge_compareILb0ELb1ElNS0_19identity_decomposerEEEEE10hipError_tT0_T1_T2_jT3_P12ihipStream_tbPNSt15iterator_traitsISE_E10value_typeEPNSK_ISF_E10value_typeEPSG_NS1_7vsmem_tEENKUlT_SE_SF_SG_E_clIS8_S8_S9_S9_EESD_ST_SE_SF_SG_EUlST_E0_NS1_11comp_targetILNS1_3genE4ELNS1_11target_archE910ELNS1_3gpuE8ELNS1_3repE0EEENS1_38merge_mergepath_config_static_selectorELNS0_4arch9wavefront6targetE1EEEvSF_,"axG",@progbits,_ZN7rocprim17ROCPRIM_400000_NS6detail17trampoline_kernelINS0_14default_configENS1_38merge_sort_block_merge_config_selectorIlNS0_10empty_typeEEEZZNS1_27merge_sort_block_merge_implIS3_PlPS5_jNS1_19radix_merge_compareILb0ELb1ElNS0_19identity_decomposerEEEEE10hipError_tT0_T1_T2_jT3_P12ihipStream_tbPNSt15iterator_traitsISE_E10value_typeEPNSK_ISF_E10value_typeEPSG_NS1_7vsmem_tEENKUlT_SE_SF_SG_E_clIS8_S8_S9_S9_EESD_ST_SE_SF_SG_EUlST_E0_NS1_11comp_targetILNS1_3genE4ELNS1_11target_archE910ELNS1_3gpuE8ELNS1_3repE0EEENS1_38merge_mergepath_config_static_selectorELNS0_4arch9wavefront6targetE1EEEvSF_,comdat
.Lfunc_end839:
	.size	_ZN7rocprim17ROCPRIM_400000_NS6detail17trampoline_kernelINS0_14default_configENS1_38merge_sort_block_merge_config_selectorIlNS0_10empty_typeEEEZZNS1_27merge_sort_block_merge_implIS3_PlPS5_jNS1_19radix_merge_compareILb0ELb1ElNS0_19identity_decomposerEEEEE10hipError_tT0_T1_T2_jT3_P12ihipStream_tbPNSt15iterator_traitsISE_E10value_typeEPNSK_ISF_E10value_typeEPSG_NS1_7vsmem_tEENKUlT_SE_SF_SG_E_clIS8_S8_S9_S9_EESD_ST_SE_SF_SG_EUlST_E0_NS1_11comp_targetILNS1_3genE4ELNS1_11target_archE910ELNS1_3gpuE8ELNS1_3repE0EEENS1_38merge_mergepath_config_static_selectorELNS0_4arch9wavefront6targetE1EEEvSF_, .Lfunc_end839-_ZN7rocprim17ROCPRIM_400000_NS6detail17trampoline_kernelINS0_14default_configENS1_38merge_sort_block_merge_config_selectorIlNS0_10empty_typeEEEZZNS1_27merge_sort_block_merge_implIS3_PlPS5_jNS1_19radix_merge_compareILb0ELb1ElNS0_19identity_decomposerEEEEE10hipError_tT0_T1_T2_jT3_P12ihipStream_tbPNSt15iterator_traitsISE_E10value_typeEPNSK_ISF_E10value_typeEPSG_NS1_7vsmem_tEENKUlT_SE_SF_SG_E_clIS8_S8_S9_S9_EESD_ST_SE_SF_SG_EUlST_E0_NS1_11comp_targetILNS1_3genE4ELNS1_11target_archE910ELNS1_3gpuE8ELNS1_3repE0EEENS1_38merge_mergepath_config_static_selectorELNS0_4arch9wavefront6targetE1EEEvSF_
                                        ; -- End function
	.section	.AMDGPU.csdata,"",@progbits
; Kernel info:
; codeLenInByte = 2284
; NumSgprs: 30
; NumVgprs: 23
; NumAgprs: 0
; TotalNumVgprs: 23
; ScratchSize: 0
; MemoryBound: 0
; FloatMode: 240
; IeeeMode: 1
; LDSByteSize: 8448 bytes/workgroup (compile time only)
; SGPRBlocks: 3
; VGPRBlocks: 2
; NumSGPRsForWavesPerEU: 30
; NumVGPRsForWavesPerEU: 23
; AccumOffset: 24
; Occupancy: 7
; WaveLimiterHint : 1
; COMPUTE_PGM_RSRC2:SCRATCH_EN: 0
; COMPUTE_PGM_RSRC2:USER_SGPR: 6
; COMPUTE_PGM_RSRC2:TRAP_HANDLER: 0
; COMPUTE_PGM_RSRC2:TGID_X_EN: 1
; COMPUTE_PGM_RSRC2:TGID_Y_EN: 1
; COMPUTE_PGM_RSRC2:TGID_Z_EN: 1
; COMPUTE_PGM_RSRC2:TIDIG_COMP_CNT: 0
; COMPUTE_PGM_RSRC3_GFX90A:ACCUM_OFFSET: 5
; COMPUTE_PGM_RSRC3_GFX90A:TG_SPLIT: 0
	.section	.text._ZN7rocprim17ROCPRIM_400000_NS6detail17trampoline_kernelINS0_14default_configENS1_38merge_sort_block_merge_config_selectorIlNS0_10empty_typeEEEZZNS1_27merge_sort_block_merge_implIS3_PlPS5_jNS1_19radix_merge_compareILb0ELb1ElNS0_19identity_decomposerEEEEE10hipError_tT0_T1_T2_jT3_P12ihipStream_tbPNSt15iterator_traitsISE_E10value_typeEPNSK_ISF_E10value_typeEPSG_NS1_7vsmem_tEENKUlT_SE_SF_SG_E_clIS8_S8_S9_S9_EESD_ST_SE_SF_SG_EUlST_E0_NS1_11comp_targetILNS1_3genE3ELNS1_11target_archE908ELNS1_3gpuE7ELNS1_3repE0EEENS1_38merge_mergepath_config_static_selectorELNS0_4arch9wavefront6targetE1EEEvSF_,"axG",@progbits,_ZN7rocprim17ROCPRIM_400000_NS6detail17trampoline_kernelINS0_14default_configENS1_38merge_sort_block_merge_config_selectorIlNS0_10empty_typeEEEZZNS1_27merge_sort_block_merge_implIS3_PlPS5_jNS1_19radix_merge_compareILb0ELb1ElNS0_19identity_decomposerEEEEE10hipError_tT0_T1_T2_jT3_P12ihipStream_tbPNSt15iterator_traitsISE_E10value_typeEPNSK_ISF_E10value_typeEPSG_NS1_7vsmem_tEENKUlT_SE_SF_SG_E_clIS8_S8_S9_S9_EESD_ST_SE_SF_SG_EUlST_E0_NS1_11comp_targetILNS1_3genE3ELNS1_11target_archE908ELNS1_3gpuE7ELNS1_3repE0EEENS1_38merge_mergepath_config_static_selectorELNS0_4arch9wavefront6targetE1EEEvSF_,comdat
	.protected	_ZN7rocprim17ROCPRIM_400000_NS6detail17trampoline_kernelINS0_14default_configENS1_38merge_sort_block_merge_config_selectorIlNS0_10empty_typeEEEZZNS1_27merge_sort_block_merge_implIS3_PlPS5_jNS1_19radix_merge_compareILb0ELb1ElNS0_19identity_decomposerEEEEE10hipError_tT0_T1_T2_jT3_P12ihipStream_tbPNSt15iterator_traitsISE_E10value_typeEPNSK_ISF_E10value_typeEPSG_NS1_7vsmem_tEENKUlT_SE_SF_SG_E_clIS8_S8_S9_S9_EESD_ST_SE_SF_SG_EUlST_E0_NS1_11comp_targetILNS1_3genE3ELNS1_11target_archE908ELNS1_3gpuE7ELNS1_3repE0EEENS1_38merge_mergepath_config_static_selectorELNS0_4arch9wavefront6targetE1EEEvSF_ ; -- Begin function _ZN7rocprim17ROCPRIM_400000_NS6detail17trampoline_kernelINS0_14default_configENS1_38merge_sort_block_merge_config_selectorIlNS0_10empty_typeEEEZZNS1_27merge_sort_block_merge_implIS3_PlPS5_jNS1_19radix_merge_compareILb0ELb1ElNS0_19identity_decomposerEEEEE10hipError_tT0_T1_T2_jT3_P12ihipStream_tbPNSt15iterator_traitsISE_E10value_typeEPNSK_ISF_E10value_typeEPSG_NS1_7vsmem_tEENKUlT_SE_SF_SG_E_clIS8_S8_S9_S9_EESD_ST_SE_SF_SG_EUlST_E0_NS1_11comp_targetILNS1_3genE3ELNS1_11target_archE908ELNS1_3gpuE7ELNS1_3repE0EEENS1_38merge_mergepath_config_static_selectorELNS0_4arch9wavefront6targetE1EEEvSF_
	.globl	_ZN7rocprim17ROCPRIM_400000_NS6detail17trampoline_kernelINS0_14default_configENS1_38merge_sort_block_merge_config_selectorIlNS0_10empty_typeEEEZZNS1_27merge_sort_block_merge_implIS3_PlPS5_jNS1_19radix_merge_compareILb0ELb1ElNS0_19identity_decomposerEEEEE10hipError_tT0_T1_T2_jT3_P12ihipStream_tbPNSt15iterator_traitsISE_E10value_typeEPNSK_ISF_E10value_typeEPSG_NS1_7vsmem_tEENKUlT_SE_SF_SG_E_clIS8_S8_S9_S9_EESD_ST_SE_SF_SG_EUlST_E0_NS1_11comp_targetILNS1_3genE3ELNS1_11target_archE908ELNS1_3gpuE7ELNS1_3repE0EEENS1_38merge_mergepath_config_static_selectorELNS0_4arch9wavefront6targetE1EEEvSF_
	.p2align	8
	.type	_ZN7rocprim17ROCPRIM_400000_NS6detail17trampoline_kernelINS0_14default_configENS1_38merge_sort_block_merge_config_selectorIlNS0_10empty_typeEEEZZNS1_27merge_sort_block_merge_implIS3_PlPS5_jNS1_19radix_merge_compareILb0ELb1ElNS0_19identity_decomposerEEEEE10hipError_tT0_T1_T2_jT3_P12ihipStream_tbPNSt15iterator_traitsISE_E10value_typeEPNSK_ISF_E10value_typeEPSG_NS1_7vsmem_tEENKUlT_SE_SF_SG_E_clIS8_S8_S9_S9_EESD_ST_SE_SF_SG_EUlST_E0_NS1_11comp_targetILNS1_3genE3ELNS1_11target_archE908ELNS1_3gpuE7ELNS1_3repE0EEENS1_38merge_mergepath_config_static_selectorELNS0_4arch9wavefront6targetE1EEEvSF_,@function
_ZN7rocprim17ROCPRIM_400000_NS6detail17trampoline_kernelINS0_14default_configENS1_38merge_sort_block_merge_config_selectorIlNS0_10empty_typeEEEZZNS1_27merge_sort_block_merge_implIS3_PlPS5_jNS1_19radix_merge_compareILb0ELb1ElNS0_19identity_decomposerEEEEE10hipError_tT0_T1_T2_jT3_P12ihipStream_tbPNSt15iterator_traitsISE_E10value_typeEPNSK_ISF_E10value_typeEPSG_NS1_7vsmem_tEENKUlT_SE_SF_SG_E_clIS8_S8_S9_S9_EESD_ST_SE_SF_SG_EUlST_E0_NS1_11comp_targetILNS1_3genE3ELNS1_11target_archE908ELNS1_3gpuE7ELNS1_3repE0EEENS1_38merge_mergepath_config_static_selectorELNS0_4arch9wavefront6targetE1EEEvSF_: ; @_ZN7rocprim17ROCPRIM_400000_NS6detail17trampoline_kernelINS0_14default_configENS1_38merge_sort_block_merge_config_selectorIlNS0_10empty_typeEEEZZNS1_27merge_sort_block_merge_implIS3_PlPS5_jNS1_19radix_merge_compareILb0ELb1ElNS0_19identity_decomposerEEEEE10hipError_tT0_T1_T2_jT3_P12ihipStream_tbPNSt15iterator_traitsISE_E10value_typeEPNSK_ISF_E10value_typeEPSG_NS1_7vsmem_tEENKUlT_SE_SF_SG_E_clIS8_S8_S9_S9_EESD_ST_SE_SF_SG_EUlST_E0_NS1_11comp_targetILNS1_3genE3ELNS1_11target_archE908ELNS1_3gpuE7ELNS1_3repE0EEENS1_38merge_mergepath_config_static_selectorELNS0_4arch9wavefront6targetE1EEEvSF_
; %bb.0:
	.section	.rodata,"a",@progbits
	.p2align	6, 0x0
	.amdhsa_kernel _ZN7rocprim17ROCPRIM_400000_NS6detail17trampoline_kernelINS0_14default_configENS1_38merge_sort_block_merge_config_selectorIlNS0_10empty_typeEEEZZNS1_27merge_sort_block_merge_implIS3_PlPS5_jNS1_19radix_merge_compareILb0ELb1ElNS0_19identity_decomposerEEEEE10hipError_tT0_T1_T2_jT3_P12ihipStream_tbPNSt15iterator_traitsISE_E10value_typeEPNSK_ISF_E10value_typeEPSG_NS1_7vsmem_tEENKUlT_SE_SF_SG_E_clIS8_S8_S9_S9_EESD_ST_SE_SF_SG_EUlST_E0_NS1_11comp_targetILNS1_3genE3ELNS1_11target_archE908ELNS1_3gpuE7ELNS1_3repE0EEENS1_38merge_mergepath_config_static_selectorELNS0_4arch9wavefront6targetE1EEEvSF_
		.amdhsa_group_segment_fixed_size 0
		.amdhsa_private_segment_fixed_size 0
		.amdhsa_kernarg_size 72
		.amdhsa_user_sgpr_count 6
		.amdhsa_user_sgpr_private_segment_buffer 1
		.amdhsa_user_sgpr_dispatch_ptr 0
		.amdhsa_user_sgpr_queue_ptr 0
		.amdhsa_user_sgpr_kernarg_segment_ptr 1
		.amdhsa_user_sgpr_dispatch_id 0
		.amdhsa_user_sgpr_flat_scratch_init 0
		.amdhsa_user_sgpr_kernarg_preload_length 0
		.amdhsa_user_sgpr_kernarg_preload_offset 0
		.amdhsa_user_sgpr_private_segment_size 0
		.amdhsa_uses_dynamic_stack 0
		.amdhsa_system_sgpr_private_segment_wavefront_offset 0
		.amdhsa_system_sgpr_workgroup_id_x 1
		.amdhsa_system_sgpr_workgroup_id_y 0
		.amdhsa_system_sgpr_workgroup_id_z 0
		.amdhsa_system_sgpr_workgroup_info 0
		.amdhsa_system_vgpr_workitem_id 0
		.amdhsa_next_free_vgpr 1
		.amdhsa_next_free_sgpr 0
		.amdhsa_accum_offset 4
		.amdhsa_reserve_vcc 0
		.amdhsa_reserve_flat_scratch 0
		.amdhsa_float_round_mode_32 0
		.amdhsa_float_round_mode_16_64 0
		.amdhsa_float_denorm_mode_32 3
		.amdhsa_float_denorm_mode_16_64 3
		.amdhsa_dx10_clamp 1
		.amdhsa_ieee_mode 1
		.amdhsa_fp16_overflow 0
		.amdhsa_tg_split 0
		.amdhsa_exception_fp_ieee_invalid_op 0
		.amdhsa_exception_fp_denorm_src 0
		.amdhsa_exception_fp_ieee_div_zero 0
		.amdhsa_exception_fp_ieee_overflow 0
		.amdhsa_exception_fp_ieee_underflow 0
		.amdhsa_exception_fp_ieee_inexact 0
		.amdhsa_exception_int_div_zero 0
	.end_amdhsa_kernel
	.section	.text._ZN7rocprim17ROCPRIM_400000_NS6detail17trampoline_kernelINS0_14default_configENS1_38merge_sort_block_merge_config_selectorIlNS0_10empty_typeEEEZZNS1_27merge_sort_block_merge_implIS3_PlPS5_jNS1_19radix_merge_compareILb0ELb1ElNS0_19identity_decomposerEEEEE10hipError_tT0_T1_T2_jT3_P12ihipStream_tbPNSt15iterator_traitsISE_E10value_typeEPNSK_ISF_E10value_typeEPSG_NS1_7vsmem_tEENKUlT_SE_SF_SG_E_clIS8_S8_S9_S9_EESD_ST_SE_SF_SG_EUlST_E0_NS1_11comp_targetILNS1_3genE3ELNS1_11target_archE908ELNS1_3gpuE7ELNS1_3repE0EEENS1_38merge_mergepath_config_static_selectorELNS0_4arch9wavefront6targetE1EEEvSF_,"axG",@progbits,_ZN7rocprim17ROCPRIM_400000_NS6detail17trampoline_kernelINS0_14default_configENS1_38merge_sort_block_merge_config_selectorIlNS0_10empty_typeEEEZZNS1_27merge_sort_block_merge_implIS3_PlPS5_jNS1_19radix_merge_compareILb0ELb1ElNS0_19identity_decomposerEEEEE10hipError_tT0_T1_T2_jT3_P12ihipStream_tbPNSt15iterator_traitsISE_E10value_typeEPNSK_ISF_E10value_typeEPSG_NS1_7vsmem_tEENKUlT_SE_SF_SG_E_clIS8_S8_S9_S9_EESD_ST_SE_SF_SG_EUlST_E0_NS1_11comp_targetILNS1_3genE3ELNS1_11target_archE908ELNS1_3gpuE7ELNS1_3repE0EEENS1_38merge_mergepath_config_static_selectorELNS0_4arch9wavefront6targetE1EEEvSF_,comdat
.Lfunc_end840:
	.size	_ZN7rocprim17ROCPRIM_400000_NS6detail17trampoline_kernelINS0_14default_configENS1_38merge_sort_block_merge_config_selectorIlNS0_10empty_typeEEEZZNS1_27merge_sort_block_merge_implIS3_PlPS5_jNS1_19radix_merge_compareILb0ELb1ElNS0_19identity_decomposerEEEEE10hipError_tT0_T1_T2_jT3_P12ihipStream_tbPNSt15iterator_traitsISE_E10value_typeEPNSK_ISF_E10value_typeEPSG_NS1_7vsmem_tEENKUlT_SE_SF_SG_E_clIS8_S8_S9_S9_EESD_ST_SE_SF_SG_EUlST_E0_NS1_11comp_targetILNS1_3genE3ELNS1_11target_archE908ELNS1_3gpuE7ELNS1_3repE0EEENS1_38merge_mergepath_config_static_selectorELNS0_4arch9wavefront6targetE1EEEvSF_, .Lfunc_end840-_ZN7rocprim17ROCPRIM_400000_NS6detail17trampoline_kernelINS0_14default_configENS1_38merge_sort_block_merge_config_selectorIlNS0_10empty_typeEEEZZNS1_27merge_sort_block_merge_implIS3_PlPS5_jNS1_19radix_merge_compareILb0ELb1ElNS0_19identity_decomposerEEEEE10hipError_tT0_T1_T2_jT3_P12ihipStream_tbPNSt15iterator_traitsISE_E10value_typeEPNSK_ISF_E10value_typeEPSG_NS1_7vsmem_tEENKUlT_SE_SF_SG_E_clIS8_S8_S9_S9_EESD_ST_SE_SF_SG_EUlST_E0_NS1_11comp_targetILNS1_3genE3ELNS1_11target_archE908ELNS1_3gpuE7ELNS1_3repE0EEENS1_38merge_mergepath_config_static_selectorELNS0_4arch9wavefront6targetE1EEEvSF_
                                        ; -- End function
	.section	.AMDGPU.csdata,"",@progbits
; Kernel info:
; codeLenInByte = 0
; NumSgprs: 4
; NumVgprs: 0
; NumAgprs: 0
; TotalNumVgprs: 0
; ScratchSize: 0
; MemoryBound: 0
; FloatMode: 240
; IeeeMode: 1
; LDSByteSize: 0 bytes/workgroup (compile time only)
; SGPRBlocks: 0
; VGPRBlocks: 0
; NumSGPRsForWavesPerEU: 4
; NumVGPRsForWavesPerEU: 1
; AccumOffset: 4
; Occupancy: 8
; WaveLimiterHint : 0
; COMPUTE_PGM_RSRC2:SCRATCH_EN: 0
; COMPUTE_PGM_RSRC2:USER_SGPR: 6
; COMPUTE_PGM_RSRC2:TRAP_HANDLER: 0
; COMPUTE_PGM_RSRC2:TGID_X_EN: 1
; COMPUTE_PGM_RSRC2:TGID_Y_EN: 0
; COMPUTE_PGM_RSRC2:TGID_Z_EN: 0
; COMPUTE_PGM_RSRC2:TIDIG_COMP_CNT: 0
; COMPUTE_PGM_RSRC3_GFX90A:ACCUM_OFFSET: 0
; COMPUTE_PGM_RSRC3_GFX90A:TG_SPLIT: 0
	.section	.text._ZN7rocprim17ROCPRIM_400000_NS6detail17trampoline_kernelINS0_14default_configENS1_38merge_sort_block_merge_config_selectorIlNS0_10empty_typeEEEZZNS1_27merge_sort_block_merge_implIS3_PlPS5_jNS1_19radix_merge_compareILb0ELb1ElNS0_19identity_decomposerEEEEE10hipError_tT0_T1_T2_jT3_P12ihipStream_tbPNSt15iterator_traitsISE_E10value_typeEPNSK_ISF_E10value_typeEPSG_NS1_7vsmem_tEENKUlT_SE_SF_SG_E_clIS8_S8_S9_S9_EESD_ST_SE_SF_SG_EUlST_E0_NS1_11comp_targetILNS1_3genE2ELNS1_11target_archE906ELNS1_3gpuE6ELNS1_3repE0EEENS1_38merge_mergepath_config_static_selectorELNS0_4arch9wavefront6targetE1EEEvSF_,"axG",@progbits,_ZN7rocprim17ROCPRIM_400000_NS6detail17trampoline_kernelINS0_14default_configENS1_38merge_sort_block_merge_config_selectorIlNS0_10empty_typeEEEZZNS1_27merge_sort_block_merge_implIS3_PlPS5_jNS1_19radix_merge_compareILb0ELb1ElNS0_19identity_decomposerEEEEE10hipError_tT0_T1_T2_jT3_P12ihipStream_tbPNSt15iterator_traitsISE_E10value_typeEPNSK_ISF_E10value_typeEPSG_NS1_7vsmem_tEENKUlT_SE_SF_SG_E_clIS8_S8_S9_S9_EESD_ST_SE_SF_SG_EUlST_E0_NS1_11comp_targetILNS1_3genE2ELNS1_11target_archE906ELNS1_3gpuE6ELNS1_3repE0EEENS1_38merge_mergepath_config_static_selectorELNS0_4arch9wavefront6targetE1EEEvSF_,comdat
	.protected	_ZN7rocprim17ROCPRIM_400000_NS6detail17trampoline_kernelINS0_14default_configENS1_38merge_sort_block_merge_config_selectorIlNS0_10empty_typeEEEZZNS1_27merge_sort_block_merge_implIS3_PlPS5_jNS1_19radix_merge_compareILb0ELb1ElNS0_19identity_decomposerEEEEE10hipError_tT0_T1_T2_jT3_P12ihipStream_tbPNSt15iterator_traitsISE_E10value_typeEPNSK_ISF_E10value_typeEPSG_NS1_7vsmem_tEENKUlT_SE_SF_SG_E_clIS8_S8_S9_S9_EESD_ST_SE_SF_SG_EUlST_E0_NS1_11comp_targetILNS1_3genE2ELNS1_11target_archE906ELNS1_3gpuE6ELNS1_3repE0EEENS1_38merge_mergepath_config_static_selectorELNS0_4arch9wavefront6targetE1EEEvSF_ ; -- Begin function _ZN7rocprim17ROCPRIM_400000_NS6detail17trampoline_kernelINS0_14default_configENS1_38merge_sort_block_merge_config_selectorIlNS0_10empty_typeEEEZZNS1_27merge_sort_block_merge_implIS3_PlPS5_jNS1_19radix_merge_compareILb0ELb1ElNS0_19identity_decomposerEEEEE10hipError_tT0_T1_T2_jT3_P12ihipStream_tbPNSt15iterator_traitsISE_E10value_typeEPNSK_ISF_E10value_typeEPSG_NS1_7vsmem_tEENKUlT_SE_SF_SG_E_clIS8_S8_S9_S9_EESD_ST_SE_SF_SG_EUlST_E0_NS1_11comp_targetILNS1_3genE2ELNS1_11target_archE906ELNS1_3gpuE6ELNS1_3repE0EEENS1_38merge_mergepath_config_static_selectorELNS0_4arch9wavefront6targetE1EEEvSF_
	.globl	_ZN7rocprim17ROCPRIM_400000_NS6detail17trampoline_kernelINS0_14default_configENS1_38merge_sort_block_merge_config_selectorIlNS0_10empty_typeEEEZZNS1_27merge_sort_block_merge_implIS3_PlPS5_jNS1_19radix_merge_compareILb0ELb1ElNS0_19identity_decomposerEEEEE10hipError_tT0_T1_T2_jT3_P12ihipStream_tbPNSt15iterator_traitsISE_E10value_typeEPNSK_ISF_E10value_typeEPSG_NS1_7vsmem_tEENKUlT_SE_SF_SG_E_clIS8_S8_S9_S9_EESD_ST_SE_SF_SG_EUlST_E0_NS1_11comp_targetILNS1_3genE2ELNS1_11target_archE906ELNS1_3gpuE6ELNS1_3repE0EEENS1_38merge_mergepath_config_static_selectorELNS0_4arch9wavefront6targetE1EEEvSF_
	.p2align	8
	.type	_ZN7rocprim17ROCPRIM_400000_NS6detail17trampoline_kernelINS0_14default_configENS1_38merge_sort_block_merge_config_selectorIlNS0_10empty_typeEEEZZNS1_27merge_sort_block_merge_implIS3_PlPS5_jNS1_19radix_merge_compareILb0ELb1ElNS0_19identity_decomposerEEEEE10hipError_tT0_T1_T2_jT3_P12ihipStream_tbPNSt15iterator_traitsISE_E10value_typeEPNSK_ISF_E10value_typeEPSG_NS1_7vsmem_tEENKUlT_SE_SF_SG_E_clIS8_S8_S9_S9_EESD_ST_SE_SF_SG_EUlST_E0_NS1_11comp_targetILNS1_3genE2ELNS1_11target_archE906ELNS1_3gpuE6ELNS1_3repE0EEENS1_38merge_mergepath_config_static_selectorELNS0_4arch9wavefront6targetE1EEEvSF_,@function
_ZN7rocprim17ROCPRIM_400000_NS6detail17trampoline_kernelINS0_14default_configENS1_38merge_sort_block_merge_config_selectorIlNS0_10empty_typeEEEZZNS1_27merge_sort_block_merge_implIS3_PlPS5_jNS1_19radix_merge_compareILb0ELb1ElNS0_19identity_decomposerEEEEE10hipError_tT0_T1_T2_jT3_P12ihipStream_tbPNSt15iterator_traitsISE_E10value_typeEPNSK_ISF_E10value_typeEPSG_NS1_7vsmem_tEENKUlT_SE_SF_SG_E_clIS8_S8_S9_S9_EESD_ST_SE_SF_SG_EUlST_E0_NS1_11comp_targetILNS1_3genE2ELNS1_11target_archE906ELNS1_3gpuE6ELNS1_3repE0EEENS1_38merge_mergepath_config_static_selectorELNS0_4arch9wavefront6targetE1EEEvSF_: ; @_ZN7rocprim17ROCPRIM_400000_NS6detail17trampoline_kernelINS0_14default_configENS1_38merge_sort_block_merge_config_selectorIlNS0_10empty_typeEEEZZNS1_27merge_sort_block_merge_implIS3_PlPS5_jNS1_19radix_merge_compareILb0ELb1ElNS0_19identity_decomposerEEEEE10hipError_tT0_T1_T2_jT3_P12ihipStream_tbPNSt15iterator_traitsISE_E10value_typeEPNSK_ISF_E10value_typeEPSG_NS1_7vsmem_tEENKUlT_SE_SF_SG_E_clIS8_S8_S9_S9_EESD_ST_SE_SF_SG_EUlST_E0_NS1_11comp_targetILNS1_3genE2ELNS1_11target_archE906ELNS1_3gpuE6ELNS1_3repE0EEENS1_38merge_mergepath_config_static_selectorELNS0_4arch9wavefront6targetE1EEEvSF_
; %bb.0:
	.section	.rodata,"a",@progbits
	.p2align	6, 0x0
	.amdhsa_kernel _ZN7rocprim17ROCPRIM_400000_NS6detail17trampoline_kernelINS0_14default_configENS1_38merge_sort_block_merge_config_selectorIlNS0_10empty_typeEEEZZNS1_27merge_sort_block_merge_implIS3_PlPS5_jNS1_19radix_merge_compareILb0ELb1ElNS0_19identity_decomposerEEEEE10hipError_tT0_T1_T2_jT3_P12ihipStream_tbPNSt15iterator_traitsISE_E10value_typeEPNSK_ISF_E10value_typeEPSG_NS1_7vsmem_tEENKUlT_SE_SF_SG_E_clIS8_S8_S9_S9_EESD_ST_SE_SF_SG_EUlST_E0_NS1_11comp_targetILNS1_3genE2ELNS1_11target_archE906ELNS1_3gpuE6ELNS1_3repE0EEENS1_38merge_mergepath_config_static_selectorELNS0_4arch9wavefront6targetE1EEEvSF_
		.amdhsa_group_segment_fixed_size 0
		.amdhsa_private_segment_fixed_size 0
		.amdhsa_kernarg_size 72
		.amdhsa_user_sgpr_count 6
		.amdhsa_user_sgpr_private_segment_buffer 1
		.amdhsa_user_sgpr_dispatch_ptr 0
		.amdhsa_user_sgpr_queue_ptr 0
		.amdhsa_user_sgpr_kernarg_segment_ptr 1
		.amdhsa_user_sgpr_dispatch_id 0
		.amdhsa_user_sgpr_flat_scratch_init 0
		.amdhsa_user_sgpr_kernarg_preload_length 0
		.amdhsa_user_sgpr_kernarg_preload_offset 0
		.amdhsa_user_sgpr_private_segment_size 0
		.amdhsa_uses_dynamic_stack 0
		.amdhsa_system_sgpr_private_segment_wavefront_offset 0
		.amdhsa_system_sgpr_workgroup_id_x 1
		.amdhsa_system_sgpr_workgroup_id_y 0
		.amdhsa_system_sgpr_workgroup_id_z 0
		.amdhsa_system_sgpr_workgroup_info 0
		.amdhsa_system_vgpr_workitem_id 0
		.amdhsa_next_free_vgpr 1
		.amdhsa_next_free_sgpr 0
		.amdhsa_accum_offset 4
		.amdhsa_reserve_vcc 0
		.amdhsa_reserve_flat_scratch 0
		.amdhsa_float_round_mode_32 0
		.amdhsa_float_round_mode_16_64 0
		.amdhsa_float_denorm_mode_32 3
		.amdhsa_float_denorm_mode_16_64 3
		.amdhsa_dx10_clamp 1
		.amdhsa_ieee_mode 1
		.amdhsa_fp16_overflow 0
		.amdhsa_tg_split 0
		.amdhsa_exception_fp_ieee_invalid_op 0
		.amdhsa_exception_fp_denorm_src 0
		.amdhsa_exception_fp_ieee_div_zero 0
		.amdhsa_exception_fp_ieee_overflow 0
		.amdhsa_exception_fp_ieee_underflow 0
		.amdhsa_exception_fp_ieee_inexact 0
		.amdhsa_exception_int_div_zero 0
	.end_amdhsa_kernel
	.section	.text._ZN7rocprim17ROCPRIM_400000_NS6detail17trampoline_kernelINS0_14default_configENS1_38merge_sort_block_merge_config_selectorIlNS0_10empty_typeEEEZZNS1_27merge_sort_block_merge_implIS3_PlPS5_jNS1_19radix_merge_compareILb0ELb1ElNS0_19identity_decomposerEEEEE10hipError_tT0_T1_T2_jT3_P12ihipStream_tbPNSt15iterator_traitsISE_E10value_typeEPNSK_ISF_E10value_typeEPSG_NS1_7vsmem_tEENKUlT_SE_SF_SG_E_clIS8_S8_S9_S9_EESD_ST_SE_SF_SG_EUlST_E0_NS1_11comp_targetILNS1_3genE2ELNS1_11target_archE906ELNS1_3gpuE6ELNS1_3repE0EEENS1_38merge_mergepath_config_static_selectorELNS0_4arch9wavefront6targetE1EEEvSF_,"axG",@progbits,_ZN7rocprim17ROCPRIM_400000_NS6detail17trampoline_kernelINS0_14default_configENS1_38merge_sort_block_merge_config_selectorIlNS0_10empty_typeEEEZZNS1_27merge_sort_block_merge_implIS3_PlPS5_jNS1_19radix_merge_compareILb0ELb1ElNS0_19identity_decomposerEEEEE10hipError_tT0_T1_T2_jT3_P12ihipStream_tbPNSt15iterator_traitsISE_E10value_typeEPNSK_ISF_E10value_typeEPSG_NS1_7vsmem_tEENKUlT_SE_SF_SG_E_clIS8_S8_S9_S9_EESD_ST_SE_SF_SG_EUlST_E0_NS1_11comp_targetILNS1_3genE2ELNS1_11target_archE906ELNS1_3gpuE6ELNS1_3repE0EEENS1_38merge_mergepath_config_static_selectorELNS0_4arch9wavefront6targetE1EEEvSF_,comdat
.Lfunc_end841:
	.size	_ZN7rocprim17ROCPRIM_400000_NS6detail17trampoline_kernelINS0_14default_configENS1_38merge_sort_block_merge_config_selectorIlNS0_10empty_typeEEEZZNS1_27merge_sort_block_merge_implIS3_PlPS5_jNS1_19radix_merge_compareILb0ELb1ElNS0_19identity_decomposerEEEEE10hipError_tT0_T1_T2_jT3_P12ihipStream_tbPNSt15iterator_traitsISE_E10value_typeEPNSK_ISF_E10value_typeEPSG_NS1_7vsmem_tEENKUlT_SE_SF_SG_E_clIS8_S8_S9_S9_EESD_ST_SE_SF_SG_EUlST_E0_NS1_11comp_targetILNS1_3genE2ELNS1_11target_archE906ELNS1_3gpuE6ELNS1_3repE0EEENS1_38merge_mergepath_config_static_selectorELNS0_4arch9wavefront6targetE1EEEvSF_, .Lfunc_end841-_ZN7rocprim17ROCPRIM_400000_NS6detail17trampoline_kernelINS0_14default_configENS1_38merge_sort_block_merge_config_selectorIlNS0_10empty_typeEEEZZNS1_27merge_sort_block_merge_implIS3_PlPS5_jNS1_19radix_merge_compareILb0ELb1ElNS0_19identity_decomposerEEEEE10hipError_tT0_T1_T2_jT3_P12ihipStream_tbPNSt15iterator_traitsISE_E10value_typeEPNSK_ISF_E10value_typeEPSG_NS1_7vsmem_tEENKUlT_SE_SF_SG_E_clIS8_S8_S9_S9_EESD_ST_SE_SF_SG_EUlST_E0_NS1_11comp_targetILNS1_3genE2ELNS1_11target_archE906ELNS1_3gpuE6ELNS1_3repE0EEENS1_38merge_mergepath_config_static_selectorELNS0_4arch9wavefront6targetE1EEEvSF_
                                        ; -- End function
	.section	.AMDGPU.csdata,"",@progbits
; Kernel info:
; codeLenInByte = 0
; NumSgprs: 4
; NumVgprs: 0
; NumAgprs: 0
; TotalNumVgprs: 0
; ScratchSize: 0
; MemoryBound: 0
; FloatMode: 240
; IeeeMode: 1
; LDSByteSize: 0 bytes/workgroup (compile time only)
; SGPRBlocks: 0
; VGPRBlocks: 0
; NumSGPRsForWavesPerEU: 4
; NumVGPRsForWavesPerEU: 1
; AccumOffset: 4
; Occupancy: 8
; WaveLimiterHint : 0
; COMPUTE_PGM_RSRC2:SCRATCH_EN: 0
; COMPUTE_PGM_RSRC2:USER_SGPR: 6
; COMPUTE_PGM_RSRC2:TRAP_HANDLER: 0
; COMPUTE_PGM_RSRC2:TGID_X_EN: 1
; COMPUTE_PGM_RSRC2:TGID_Y_EN: 0
; COMPUTE_PGM_RSRC2:TGID_Z_EN: 0
; COMPUTE_PGM_RSRC2:TIDIG_COMP_CNT: 0
; COMPUTE_PGM_RSRC3_GFX90A:ACCUM_OFFSET: 0
; COMPUTE_PGM_RSRC3_GFX90A:TG_SPLIT: 0
	.section	.text._ZN7rocprim17ROCPRIM_400000_NS6detail17trampoline_kernelINS0_14default_configENS1_38merge_sort_block_merge_config_selectorIlNS0_10empty_typeEEEZZNS1_27merge_sort_block_merge_implIS3_PlPS5_jNS1_19radix_merge_compareILb0ELb1ElNS0_19identity_decomposerEEEEE10hipError_tT0_T1_T2_jT3_P12ihipStream_tbPNSt15iterator_traitsISE_E10value_typeEPNSK_ISF_E10value_typeEPSG_NS1_7vsmem_tEENKUlT_SE_SF_SG_E_clIS8_S8_S9_S9_EESD_ST_SE_SF_SG_EUlST_E0_NS1_11comp_targetILNS1_3genE9ELNS1_11target_archE1100ELNS1_3gpuE3ELNS1_3repE0EEENS1_38merge_mergepath_config_static_selectorELNS0_4arch9wavefront6targetE1EEEvSF_,"axG",@progbits,_ZN7rocprim17ROCPRIM_400000_NS6detail17trampoline_kernelINS0_14default_configENS1_38merge_sort_block_merge_config_selectorIlNS0_10empty_typeEEEZZNS1_27merge_sort_block_merge_implIS3_PlPS5_jNS1_19radix_merge_compareILb0ELb1ElNS0_19identity_decomposerEEEEE10hipError_tT0_T1_T2_jT3_P12ihipStream_tbPNSt15iterator_traitsISE_E10value_typeEPNSK_ISF_E10value_typeEPSG_NS1_7vsmem_tEENKUlT_SE_SF_SG_E_clIS8_S8_S9_S9_EESD_ST_SE_SF_SG_EUlST_E0_NS1_11comp_targetILNS1_3genE9ELNS1_11target_archE1100ELNS1_3gpuE3ELNS1_3repE0EEENS1_38merge_mergepath_config_static_selectorELNS0_4arch9wavefront6targetE1EEEvSF_,comdat
	.protected	_ZN7rocprim17ROCPRIM_400000_NS6detail17trampoline_kernelINS0_14default_configENS1_38merge_sort_block_merge_config_selectorIlNS0_10empty_typeEEEZZNS1_27merge_sort_block_merge_implIS3_PlPS5_jNS1_19radix_merge_compareILb0ELb1ElNS0_19identity_decomposerEEEEE10hipError_tT0_T1_T2_jT3_P12ihipStream_tbPNSt15iterator_traitsISE_E10value_typeEPNSK_ISF_E10value_typeEPSG_NS1_7vsmem_tEENKUlT_SE_SF_SG_E_clIS8_S8_S9_S9_EESD_ST_SE_SF_SG_EUlST_E0_NS1_11comp_targetILNS1_3genE9ELNS1_11target_archE1100ELNS1_3gpuE3ELNS1_3repE0EEENS1_38merge_mergepath_config_static_selectorELNS0_4arch9wavefront6targetE1EEEvSF_ ; -- Begin function _ZN7rocprim17ROCPRIM_400000_NS6detail17trampoline_kernelINS0_14default_configENS1_38merge_sort_block_merge_config_selectorIlNS0_10empty_typeEEEZZNS1_27merge_sort_block_merge_implIS3_PlPS5_jNS1_19radix_merge_compareILb0ELb1ElNS0_19identity_decomposerEEEEE10hipError_tT0_T1_T2_jT3_P12ihipStream_tbPNSt15iterator_traitsISE_E10value_typeEPNSK_ISF_E10value_typeEPSG_NS1_7vsmem_tEENKUlT_SE_SF_SG_E_clIS8_S8_S9_S9_EESD_ST_SE_SF_SG_EUlST_E0_NS1_11comp_targetILNS1_3genE9ELNS1_11target_archE1100ELNS1_3gpuE3ELNS1_3repE0EEENS1_38merge_mergepath_config_static_selectorELNS0_4arch9wavefront6targetE1EEEvSF_
	.globl	_ZN7rocprim17ROCPRIM_400000_NS6detail17trampoline_kernelINS0_14default_configENS1_38merge_sort_block_merge_config_selectorIlNS0_10empty_typeEEEZZNS1_27merge_sort_block_merge_implIS3_PlPS5_jNS1_19radix_merge_compareILb0ELb1ElNS0_19identity_decomposerEEEEE10hipError_tT0_T1_T2_jT3_P12ihipStream_tbPNSt15iterator_traitsISE_E10value_typeEPNSK_ISF_E10value_typeEPSG_NS1_7vsmem_tEENKUlT_SE_SF_SG_E_clIS8_S8_S9_S9_EESD_ST_SE_SF_SG_EUlST_E0_NS1_11comp_targetILNS1_3genE9ELNS1_11target_archE1100ELNS1_3gpuE3ELNS1_3repE0EEENS1_38merge_mergepath_config_static_selectorELNS0_4arch9wavefront6targetE1EEEvSF_
	.p2align	8
	.type	_ZN7rocprim17ROCPRIM_400000_NS6detail17trampoline_kernelINS0_14default_configENS1_38merge_sort_block_merge_config_selectorIlNS0_10empty_typeEEEZZNS1_27merge_sort_block_merge_implIS3_PlPS5_jNS1_19radix_merge_compareILb0ELb1ElNS0_19identity_decomposerEEEEE10hipError_tT0_T1_T2_jT3_P12ihipStream_tbPNSt15iterator_traitsISE_E10value_typeEPNSK_ISF_E10value_typeEPSG_NS1_7vsmem_tEENKUlT_SE_SF_SG_E_clIS8_S8_S9_S9_EESD_ST_SE_SF_SG_EUlST_E0_NS1_11comp_targetILNS1_3genE9ELNS1_11target_archE1100ELNS1_3gpuE3ELNS1_3repE0EEENS1_38merge_mergepath_config_static_selectorELNS0_4arch9wavefront6targetE1EEEvSF_,@function
_ZN7rocprim17ROCPRIM_400000_NS6detail17trampoline_kernelINS0_14default_configENS1_38merge_sort_block_merge_config_selectorIlNS0_10empty_typeEEEZZNS1_27merge_sort_block_merge_implIS3_PlPS5_jNS1_19radix_merge_compareILb0ELb1ElNS0_19identity_decomposerEEEEE10hipError_tT0_T1_T2_jT3_P12ihipStream_tbPNSt15iterator_traitsISE_E10value_typeEPNSK_ISF_E10value_typeEPSG_NS1_7vsmem_tEENKUlT_SE_SF_SG_E_clIS8_S8_S9_S9_EESD_ST_SE_SF_SG_EUlST_E0_NS1_11comp_targetILNS1_3genE9ELNS1_11target_archE1100ELNS1_3gpuE3ELNS1_3repE0EEENS1_38merge_mergepath_config_static_selectorELNS0_4arch9wavefront6targetE1EEEvSF_: ; @_ZN7rocprim17ROCPRIM_400000_NS6detail17trampoline_kernelINS0_14default_configENS1_38merge_sort_block_merge_config_selectorIlNS0_10empty_typeEEEZZNS1_27merge_sort_block_merge_implIS3_PlPS5_jNS1_19radix_merge_compareILb0ELb1ElNS0_19identity_decomposerEEEEE10hipError_tT0_T1_T2_jT3_P12ihipStream_tbPNSt15iterator_traitsISE_E10value_typeEPNSK_ISF_E10value_typeEPSG_NS1_7vsmem_tEENKUlT_SE_SF_SG_E_clIS8_S8_S9_S9_EESD_ST_SE_SF_SG_EUlST_E0_NS1_11comp_targetILNS1_3genE9ELNS1_11target_archE1100ELNS1_3gpuE3ELNS1_3repE0EEENS1_38merge_mergepath_config_static_selectorELNS0_4arch9wavefront6targetE1EEEvSF_
; %bb.0:
	.section	.rodata,"a",@progbits
	.p2align	6, 0x0
	.amdhsa_kernel _ZN7rocprim17ROCPRIM_400000_NS6detail17trampoline_kernelINS0_14default_configENS1_38merge_sort_block_merge_config_selectorIlNS0_10empty_typeEEEZZNS1_27merge_sort_block_merge_implIS3_PlPS5_jNS1_19radix_merge_compareILb0ELb1ElNS0_19identity_decomposerEEEEE10hipError_tT0_T1_T2_jT3_P12ihipStream_tbPNSt15iterator_traitsISE_E10value_typeEPNSK_ISF_E10value_typeEPSG_NS1_7vsmem_tEENKUlT_SE_SF_SG_E_clIS8_S8_S9_S9_EESD_ST_SE_SF_SG_EUlST_E0_NS1_11comp_targetILNS1_3genE9ELNS1_11target_archE1100ELNS1_3gpuE3ELNS1_3repE0EEENS1_38merge_mergepath_config_static_selectorELNS0_4arch9wavefront6targetE1EEEvSF_
		.amdhsa_group_segment_fixed_size 0
		.amdhsa_private_segment_fixed_size 0
		.amdhsa_kernarg_size 72
		.amdhsa_user_sgpr_count 6
		.amdhsa_user_sgpr_private_segment_buffer 1
		.amdhsa_user_sgpr_dispatch_ptr 0
		.amdhsa_user_sgpr_queue_ptr 0
		.amdhsa_user_sgpr_kernarg_segment_ptr 1
		.amdhsa_user_sgpr_dispatch_id 0
		.amdhsa_user_sgpr_flat_scratch_init 0
		.amdhsa_user_sgpr_kernarg_preload_length 0
		.amdhsa_user_sgpr_kernarg_preload_offset 0
		.amdhsa_user_sgpr_private_segment_size 0
		.amdhsa_uses_dynamic_stack 0
		.amdhsa_system_sgpr_private_segment_wavefront_offset 0
		.amdhsa_system_sgpr_workgroup_id_x 1
		.amdhsa_system_sgpr_workgroup_id_y 0
		.amdhsa_system_sgpr_workgroup_id_z 0
		.amdhsa_system_sgpr_workgroup_info 0
		.amdhsa_system_vgpr_workitem_id 0
		.amdhsa_next_free_vgpr 1
		.amdhsa_next_free_sgpr 0
		.amdhsa_accum_offset 4
		.amdhsa_reserve_vcc 0
		.amdhsa_reserve_flat_scratch 0
		.amdhsa_float_round_mode_32 0
		.amdhsa_float_round_mode_16_64 0
		.amdhsa_float_denorm_mode_32 3
		.amdhsa_float_denorm_mode_16_64 3
		.amdhsa_dx10_clamp 1
		.amdhsa_ieee_mode 1
		.amdhsa_fp16_overflow 0
		.amdhsa_tg_split 0
		.amdhsa_exception_fp_ieee_invalid_op 0
		.amdhsa_exception_fp_denorm_src 0
		.amdhsa_exception_fp_ieee_div_zero 0
		.amdhsa_exception_fp_ieee_overflow 0
		.amdhsa_exception_fp_ieee_underflow 0
		.amdhsa_exception_fp_ieee_inexact 0
		.amdhsa_exception_int_div_zero 0
	.end_amdhsa_kernel
	.section	.text._ZN7rocprim17ROCPRIM_400000_NS6detail17trampoline_kernelINS0_14default_configENS1_38merge_sort_block_merge_config_selectorIlNS0_10empty_typeEEEZZNS1_27merge_sort_block_merge_implIS3_PlPS5_jNS1_19radix_merge_compareILb0ELb1ElNS0_19identity_decomposerEEEEE10hipError_tT0_T1_T2_jT3_P12ihipStream_tbPNSt15iterator_traitsISE_E10value_typeEPNSK_ISF_E10value_typeEPSG_NS1_7vsmem_tEENKUlT_SE_SF_SG_E_clIS8_S8_S9_S9_EESD_ST_SE_SF_SG_EUlST_E0_NS1_11comp_targetILNS1_3genE9ELNS1_11target_archE1100ELNS1_3gpuE3ELNS1_3repE0EEENS1_38merge_mergepath_config_static_selectorELNS0_4arch9wavefront6targetE1EEEvSF_,"axG",@progbits,_ZN7rocprim17ROCPRIM_400000_NS6detail17trampoline_kernelINS0_14default_configENS1_38merge_sort_block_merge_config_selectorIlNS0_10empty_typeEEEZZNS1_27merge_sort_block_merge_implIS3_PlPS5_jNS1_19radix_merge_compareILb0ELb1ElNS0_19identity_decomposerEEEEE10hipError_tT0_T1_T2_jT3_P12ihipStream_tbPNSt15iterator_traitsISE_E10value_typeEPNSK_ISF_E10value_typeEPSG_NS1_7vsmem_tEENKUlT_SE_SF_SG_E_clIS8_S8_S9_S9_EESD_ST_SE_SF_SG_EUlST_E0_NS1_11comp_targetILNS1_3genE9ELNS1_11target_archE1100ELNS1_3gpuE3ELNS1_3repE0EEENS1_38merge_mergepath_config_static_selectorELNS0_4arch9wavefront6targetE1EEEvSF_,comdat
.Lfunc_end842:
	.size	_ZN7rocprim17ROCPRIM_400000_NS6detail17trampoline_kernelINS0_14default_configENS1_38merge_sort_block_merge_config_selectorIlNS0_10empty_typeEEEZZNS1_27merge_sort_block_merge_implIS3_PlPS5_jNS1_19radix_merge_compareILb0ELb1ElNS0_19identity_decomposerEEEEE10hipError_tT0_T1_T2_jT3_P12ihipStream_tbPNSt15iterator_traitsISE_E10value_typeEPNSK_ISF_E10value_typeEPSG_NS1_7vsmem_tEENKUlT_SE_SF_SG_E_clIS8_S8_S9_S9_EESD_ST_SE_SF_SG_EUlST_E0_NS1_11comp_targetILNS1_3genE9ELNS1_11target_archE1100ELNS1_3gpuE3ELNS1_3repE0EEENS1_38merge_mergepath_config_static_selectorELNS0_4arch9wavefront6targetE1EEEvSF_, .Lfunc_end842-_ZN7rocprim17ROCPRIM_400000_NS6detail17trampoline_kernelINS0_14default_configENS1_38merge_sort_block_merge_config_selectorIlNS0_10empty_typeEEEZZNS1_27merge_sort_block_merge_implIS3_PlPS5_jNS1_19radix_merge_compareILb0ELb1ElNS0_19identity_decomposerEEEEE10hipError_tT0_T1_T2_jT3_P12ihipStream_tbPNSt15iterator_traitsISE_E10value_typeEPNSK_ISF_E10value_typeEPSG_NS1_7vsmem_tEENKUlT_SE_SF_SG_E_clIS8_S8_S9_S9_EESD_ST_SE_SF_SG_EUlST_E0_NS1_11comp_targetILNS1_3genE9ELNS1_11target_archE1100ELNS1_3gpuE3ELNS1_3repE0EEENS1_38merge_mergepath_config_static_selectorELNS0_4arch9wavefront6targetE1EEEvSF_
                                        ; -- End function
	.section	.AMDGPU.csdata,"",@progbits
; Kernel info:
; codeLenInByte = 0
; NumSgprs: 4
; NumVgprs: 0
; NumAgprs: 0
; TotalNumVgprs: 0
; ScratchSize: 0
; MemoryBound: 0
; FloatMode: 240
; IeeeMode: 1
; LDSByteSize: 0 bytes/workgroup (compile time only)
; SGPRBlocks: 0
; VGPRBlocks: 0
; NumSGPRsForWavesPerEU: 4
; NumVGPRsForWavesPerEU: 1
; AccumOffset: 4
; Occupancy: 8
; WaveLimiterHint : 0
; COMPUTE_PGM_RSRC2:SCRATCH_EN: 0
; COMPUTE_PGM_RSRC2:USER_SGPR: 6
; COMPUTE_PGM_RSRC2:TRAP_HANDLER: 0
; COMPUTE_PGM_RSRC2:TGID_X_EN: 1
; COMPUTE_PGM_RSRC2:TGID_Y_EN: 0
; COMPUTE_PGM_RSRC2:TGID_Z_EN: 0
; COMPUTE_PGM_RSRC2:TIDIG_COMP_CNT: 0
; COMPUTE_PGM_RSRC3_GFX90A:ACCUM_OFFSET: 0
; COMPUTE_PGM_RSRC3_GFX90A:TG_SPLIT: 0
	.section	.text._ZN7rocprim17ROCPRIM_400000_NS6detail17trampoline_kernelINS0_14default_configENS1_38merge_sort_block_merge_config_selectorIlNS0_10empty_typeEEEZZNS1_27merge_sort_block_merge_implIS3_PlPS5_jNS1_19radix_merge_compareILb0ELb1ElNS0_19identity_decomposerEEEEE10hipError_tT0_T1_T2_jT3_P12ihipStream_tbPNSt15iterator_traitsISE_E10value_typeEPNSK_ISF_E10value_typeEPSG_NS1_7vsmem_tEENKUlT_SE_SF_SG_E_clIS8_S8_S9_S9_EESD_ST_SE_SF_SG_EUlST_E0_NS1_11comp_targetILNS1_3genE8ELNS1_11target_archE1030ELNS1_3gpuE2ELNS1_3repE0EEENS1_38merge_mergepath_config_static_selectorELNS0_4arch9wavefront6targetE1EEEvSF_,"axG",@progbits,_ZN7rocprim17ROCPRIM_400000_NS6detail17trampoline_kernelINS0_14default_configENS1_38merge_sort_block_merge_config_selectorIlNS0_10empty_typeEEEZZNS1_27merge_sort_block_merge_implIS3_PlPS5_jNS1_19radix_merge_compareILb0ELb1ElNS0_19identity_decomposerEEEEE10hipError_tT0_T1_T2_jT3_P12ihipStream_tbPNSt15iterator_traitsISE_E10value_typeEPNSK_ISF_E10value_typeEPSG_NS1_7vsmem_tEENKUlT_SE_SF_SG_E_clIS8_S8_S9_S9_EESD_ST_SE_SF_SG_EUlST_E0_NS1_11comp_targetILNS1_3genE8ELNS1_11target_archE1030ELNS1_3gpuE2ELNS1_3repE0EEENS1_38merge_mergepath_config_static_selectorELNS0_4arch9wavefront6targetE1EEEvSF_,comdat
	.protected	_ZN7rocprim17ROCPRIM_400000_NS6detail17trampoline_kernelINS0_14default_configENS1_38merge_sort_block_merge_config_selectorIlNS0_10empty_typeEEEZZNS1_27merge_sort_block_merge_implIS3_PlPS5_jNS1_19radix_merge_compareILb0ELb1ElNS0_19identity_decomposerEEEEE10hipError_tT0_T1_T2_jT3_P12ihipStream_tbPNSt15iterator_traitsISE_E10value_typeEPNSK_ISF_E10value_typeEPSG_NS1_7vsmem_tEENKUlT_SE_SF_SG_E_clIS8_S8_S9_S9_EESD_ST_SE_SF_SG_EUlST_E0_NS1_11comp_targetILNS1_3genE8ELNS1_11target_archE1030ELNS1_3gpuE2ELNS1_3repE0EEENS1_38merge_mergepath_config_static_selectorELNS0_4arch9wavefront6targetE1EEEvSF_ ; -- Begin function _ZN7rocprim17ROCPRIM_400000_NS6detail17trampoline_kernelINS0_14default_configENS1_38merge_sort_block_merge_config_selectorIlNS0_10empty_typeEEEZZNS1_27merge_sort_block_merge_implIS3_PlPS5_jNS1_19radix_merge_compareILb0ELb1ElNS0_19identity_decomposerEEEEE10hipError_tT0_T1_T2_jT3_P12ihipStream_tbPNSt15iterator_traitsISE_E10value_typeEPNSK_ISF_E10value_typeEPSG_NS1_7vsmem_tEENKUlT_SE_SF_SG_E_clIS8_S8_S9_S9_EESD_ST_SE_SF_SG_EUlST_E0_NS1_11comp_targetILNS1_3genE8ELNS1_11target_archE1030ELNS1_3gpuE2ELNS1_3repE0EEENS1_38merge_mergepath_config_static_selectorELNS0_4arch9wavefront6targetE1EEEvSF_
	.globl	_ZN7rocprim17ROCPRIM_400000_NS6detail17trampoline_kernelINS0_14default_configENS1_38merge_sort_block_merge_config_selectorIlNS0_10empty_typeEEEZZNS1_27merge_sort_block_merge_implIS3_PlPS5_jNS1_19radix_merge_compareILb0ELb1ElNS0_19identity_decomposerEEEEE10hipError_tT0_T1_T2_jT3_P12ihipStream_tbPNSt15iterator_traitsISE_E10value_typeEPNSK_ISF_E10value_typeEPSG_NS1_7vsmem_tEENKUlT_SE_SF_SG_E_clIS8_S8_S9_S9_EESD_ST_SE_SF_SG_EUlST_E0_NS1_11comp_targetILNS1_3genE8ELNS1_11target_archE1030ELNS1_3gpuE2ELNS1_3repE0EEENS1_38merge_mergepath_config_static_selectorELNS0_4arch9wavefront6targetE1EEEvSF_
	.p2align	8
	.type	_ZN7rocprim17ROCPRIM_400000_NS6detail17trampoline_kernelINS0_14default_configENS1_38merge_sort_block_merge_config_selectorIlNS0_10empty_typeEEEZZNS1_27merge_sort_block_merge_implIS3_PlPS5_jNS1_19radix_merge_compareILb0ELb1ElNS0_19identity_decomposerEEEEE10hipError_tT0_T1_T2_jT3_P12ihipStream_tbPNSt15iterator_traitsISE_E10value_typeEPNSK_ISF_E10value_typeEPSG_NS1_7vsmem_tEENKUlT_SE_SF_SG_E_clIS8_S8_S9_S9_EESD_ST_SE_SF_SG_EUlST_E0_NS1_11comp_targetILNS1_3genE8ELNS1_11target_archE1030ELNS1_3gpuE2ELNS1_3repE0EEENS1_38merge_mergepath_config_static_selectorELNS0_4arch9wavefront6targetE1EEEvSF_,@function
_ZN7rocprim17ROCPRIM_400000_NS6detail17trampoline_kernelINS0_14default_configENS1_38merge_sort_block_merge_config_selectorIlNS0_10empty_typeEEEZZNS1_27merge_sort_block_merge_implIS3_PlPS5_jNS1_19radix_merge_compareILb0ELb1ElNS0_19identity_decomposerEEEEE10hipError_tT0_T1_T2_jT3_P12ihipStream_tbPNSt15iterator_traitsISE_E10value_typeEPNSK_ISF_E10value_typeEPSG_NS1_7vsmem_tEENKUlT_SE_SF_SG_E_clIS8_S8_S9_S9_EESD_ST_SE_SF_SG_EUlST_E0_NS1_11comp_targetILNS1_3genE8ELNS1_11target_archE1030ELNS1_3gpuE2ELNS1_3repE0EEENS1_38merge_mergepath_config_static_selectorELNS0_4arch9wavefront6targetE1EEEvSF_: ; @_ZN7rocprim17ROCPRIM_400000_NS6detail17trampoline_kernelINS0_14default_configENS1_38merge_sort_block_merge_config_selectorIlNS0_10empty_typeEEEZZNS1_27merge_sort_block_merge_implIS3_PlPS5_jNS1_19radix_merge_compareILb0ELb1ElNS0_19identity_decomposerEEEEE10hipError_tT0_T1_T2_jT3_P12ihipStream_tbPNSt15iterator_traitsISE_E10value_typeEPNSK_ISF_E10value_typeEPSG_NS1_7vsmem_tEENKUlT_SE_SF_SG_E_clIS8_S8_S9_S9_EESD_ST_SE_SF_SG_EUlST_E0_NS1_11comp_targetILNS1_3genE8ELNS1_11target_archE1030ELNS1_3gpuE2ELNS1_3repE0EEENS1_38merge_mergepath_config_static_selectorELNS0_4arch9wavefront6targetE1EEEvSF_
; %bb.0:
	.section	.rodata,"a",@progbits
	.p2align	6, 0x0
	.amdhsa_kernel _ZN7rocprim17ROCPRIM_400000_NS6detail17trampoline_kernelINS0_14default_configENS1_38merge_sort_block_merge_config_selectorIlNS0_10empty_typeEEEZZNS1_27merge_sort_block_merge_implIS3_PlPS5_jNS1_19radix_merge_compareILb0ELb1ElNS0_19identity_decomposerEEEEE10hipError_tT0_T1_T2_jT3_P12ihipStream_tbPNSt15iterator_traitsISE_E10value_typeEPNSK_ISF_E10value_typeEPSG_NS1_7vsmem_tEENKUlT_SE_SF_SG_E_clIS8_S8_S9_S9_EESD_ST_SE_SF_SG_EUlST_E0_NS1_11comp_targetILNS1_3genE8ELNS1_11target_archE1030ELNS1_3gpuE2ELNS1_3repE0EEENS1_38merge_mergepath_config_static_selectorELNS0_4arch9wavefront6targetE1EEEvSF_
		.amdhsa_group_segment_fixed_size 0
		.amdhsa_private_segment_fixed_size 0
		.amdhsa_kernarg_size 72
		.amdhsa_user_sgpr_count 6
		.amdhsa_user_sgpr_private_segment_buffer 1
		.amdhsa_user_sgpr_dispatch_ptr 0
		.amdhsa_user_sgpr_queue_ptr 0
		.amdhsa_user_sgpr_kernarg_segment_ptr 1
		.amdhsa_user_sgpr_dispatch_id 0
		.amdhsa_user_sgpr_flat_scratch_init 0
		.amdhsa_user_sgpr_kernarg_preload_length 0
		.amdhsa_user_sgpr_kernarg_preload_offset 0
		.amdhsa_user_sgpr_private_segment_size 0
		.amdhsa_uses_dynamic_stack 0
		.amdhsa_system_sgpr_private_segment_wavefront_offset 0
		.amdhsa_system_sgpr_workgroup_id_x 1
		.amdhsa_system_sgpr_workgroup_id_y 0
		.amdhsa_system_sgpr_workgroup_id_z 0
		.amdhsa_system_sgpr_workgroup_info 0
		.amdhsa_system_vgpr_workitem_id 0
		.amdhsa_next_free_vgpr 1
		.amdhsa_next_free_sgpr 0
		.amdhsa_accum_offset 4
		.amdhsa_reserve_vcc 0
		.amdhsa_reserve_flat_scratch 0
		.amdhsa_float_round_mode_32 0
		.amdhsa_float_round_mode_16_64 0
		.amdhsa_float_denorm_mode_32 3
		.amdhsa_float_denorm_mode_16_64 3
		.amdhsa_dx10_clamp 1
		.amdhsa_ieee_mode 1
		.amdhsa_fp16_overflow 0
		.amdhsa_tg_split 0
		.amdhsa_exception_fp_ieee_invalid_op 0
		.amdhsa_exception_fp_denorm_src 0
		.amdhsa_exception_fp_ieee_div_zero 0
		.amdhsa_exception_fp_ieee_overflow 0
		.amdhsa_exception_fp_ieee_underflow 0
		.amdhsa_exception_fp_ieee_inexact 0
		.amdhsa_exception_int_div_zero 0
	.end_amdhsa_kernel
	.section	.text._ZN7rocprim17ROCPRIM_400000_NS6detail17trampoline_kernelINS0_14default_configENS1_38merge_sort_block_merge_config_selectorIlNS0_10empty_typeEEEZZNS1_27merge_sort_block_merge_implIS3_PlPS5_jNS1_19radix_merge_compareILb0ELb1ElNS0_19identity_decomposerEEEEE10hipError_tT0_T1_T2_jT3_P12ihipStream_tbPNSt15iterator_traitsISE_E10value_typeEPNSK_ISF_E10value_typeEPSG_NS1_7vsmem_tEENKUlT_SE_SF_SG_E_clIS8_S8_S9_S9_EESD_ST_SE_SF_SG_EUlST_E0_NS1_11comp_targetILNS1_3genE8ELNS1_11target_archE1030ELNS1_3gpuE2ELNS1_3repE0EEENS1_38merge_mergepath_config_static_selectorELNS0_4arch9wavefront6targetE1EEEvSF_,"axG",@progbits,_ZN7rocprim17ROCPRIM_400000_NS6detail17trampoline_kernelINS0_14default_configENS1_38merge_sort_block_merge_config_selectorIlNS0_10empty_typeEEEZZNS1_27merge_sort_block_merge_implIS3_PlPS5_jNS1_19radix_merge_compareILb0ELb1ElNS0_19identity_decomposerEEEEE10hipError_tT0_T1_T2_jT3_P12ihipStream_tbPNSt15iterator_traitsISE_E10value_typeEPNSK_ISF_E10value_typeEPSG_NS1_7vsmem_tEENKUlT_SE_SF_SG_E_clIS8_S8_S9_S9_EESD_ST_SE_SF_SG_EUlST_E0_NS1_11comp_targetILNS1_3genE8ELNS1_11target_archE1030ELNS1_3gpuE2ELNS1_3repE0EEENS1_38merge_mergepath_config_static_selectorELNS0_4arch9wavefront6targetE1EEEvSF_,comdat
.Lfunc_end843:
	.size	_ZN7rocprim17ROCPRIM_400000_NS6detail17trampoline_kernelINS0_14default_configENS1_38merge_sort_block_merge_config_selectorIlNS0_10empty_typeEEEZZNS1_27merge_sort_block_merge_implIS3_PlPS5_jNS1_19radix_merge_compareILb0ELb1ElNS0_19identity_decomposerEEEEE10hipError_tT0_T1_T2_jT3_P12ihipStream_tbPNSt15iterator_traitsISE_E10value_typeEPNSK_ISF_E10value_typeEPSG_NS1_7vsmem_tEENKUlT_SE_SF_SG_E_clIS8_S8_S9_S9_EESD_ST_SE_SF_SG_EUlST_E0_NS1_11comp_targetILNS1_3genE8ELNS1_11target_archE1030ELNS1_3gpuE2ELNS1_3repE0EEENS1_38merge_mergepath_config_static_selectorELNS0_4arch9wavefront6targetE1EEEvSF_, .Lfunc_end843-_ZN7rocprim17ROCPRIM_400000_NS6detail17trampoline_kernelINS0_14default_configENS1_38merge_sort_block_merge_config_selectorIlNS0_10empty_typeEEEZZNS1_27merge_sort_block_merge_implIS3_PlPS5_jNS1_19radix_merge_compareILb0ELb1ElNS0_19identity_decomposerEEEEE10hipError_tT0_T1_T2_jT3_P12ihipStream_tbPNSt15iterator_traitsISE_E10value_typeEPNSK_ISF_E10value_typeEPSG_NS1_7vsmem_tEENKUlT_SE_SF_SG_E_clIS8_S8_S9_S9_EESD_ST_SE_SF_SG_EUlST_E0_NS1_11comp_targetILNS1_3genE8ELNS1_11target_archE1030ELNS1_3gpuE2ELNS1_3repE0EEENS1_38merge_mergepath_config_static_selectorELNS0_4arch9wavefront6targetE1EEEvSF_
                                        ; -- End function
	.section	.AMDGPU.csdata,"",@progbits
; Kernel info:
; codeLenInByte = 0
; NumSgprs: 4
; NumVgprs: 0
; NumAgprs: 0
; TotalNumVgprs: 0
; ScratchSize: 0
; MemoryBound: 0
; FloatMode: 240
; IeeeMode: 1
; LDSByteSize: 0 bytes/workgroup (compile time only)
; SGPRBlocks: 0
; VGPRBlocks: 0
; NumSGPRsForWavesPerEU: 4
; NumVGPRsForWavesPerEU: 1
; AccumOffset: 4
; Occupancy: 8
; WaveLimiterHint : 0
; COMPUTE_PGM_RSRC2:SCRATCH_EN: 0
; COMPUTE_PGM_RSRC2:USER_SGPR: 6
; COMPUTE_PGM_RSRC2:TRAP_HANDLER: 0
; COMPUTE_PGM_RSRC2:TGID_X_EN: 1
; COMPUTE_PGM_RSRC2:TGID_Y_EN: 0
; COMPUTE_PGM_RSRC2:TGID_Z_EN: 0
; COMPUTE_PGM_RSRC2:TIDIG_COMP_CNT: 0
; COMPUTE_PGM_RSRC3_GFX90A:ACCUM_OFFSET: 0
; COMPUTE_PGM_RSRC3_GFX90A:TG_SPLIT: 0
	.section	.text._ZN7rocprim17ROCPRIM_400000_NS6detail17trampoline_kernelINS0_14default_configENS1_38merge_sort_block_merge_config_selectorIlNS0_10empty_typeEEEZZNS1_27merge_sort_block_merge_implIS3_PlPS5_jNS1_19radix_merge_compareILb0ELb1ElNS0_19identity_decomposerEEEEE10hipError_tT0_T1_T2_jT3_P12ihipStream_tbPNSt15iterator_traitsISE_E10value_typeEPNSK_ISF_E10value_typeEPSG_NS1_7vsmem_tEENKUlT_SE_SF_SG_E_clIS8_S8_S9_S9_EESD_ST_SE_SF_SG_EUlST_E1_NS1_11comp_targetILNS1_3genE0ELNS1_11target_archE4294967295ELNS1_3gpuE0ELNS1_3repE0EEENS1_36merge_oddeven_config_static_selectorELNS0_4arch9wavefront6targetE1EEEvSF_,"axG",@progbits,_ZN7rocprim17ROCPRIM_400000_NS6detail17trampoline_kernelINS0_14default_configENS1_38merge_sort_block_merge_config_selectorIlNS0_10empty_typeEEEZZNS1_27merge_sort_block_merge_implIS3_PlPS5_jNS1_19radix_merge_compareILb0ELb1ElNS0_19identity_decomposerEEEEE10hipError_tT0_T1_T2_jT3_P12ihipStream_tbPNSt15iterator_traitsISE_E10value_typeEPNSK_ISF_E10value_typeEPSG_NS1_7vsmem_tEENKUlT_SE_SF_SG_E_clIS8_S8_S9_S9_EESD_ST_SE_SF_SG_EUlST_E1_NS1_11comp_targetILNS1_3genE0ELNS1_11target_archE4294967295ELNS1_3gpuE0ELNS1_3repE0EEENS1_36merge_oddeven_config_static_selectorELNS0_4arch9wavefront6targetE1EEEvSF_,comdat
	.protected	_ZN7rocprim17ROCPRIM_400000_NS6detail17trampoline_kernelINS0_14default_configENS1_38merge_sort_block_merge_config_selectorIlNS0_10empty_typeEEEZZNS1_27merge_sort_block_merge_implIS3_PlPS5_jNS1_19radix_merge_compareILb0ELb1ElNS0_19identity_decomposerEEEEE10hipError_tT0_T1_T2_jT3_P12ihipStream_tbPNSt15iterator_traitsISE_E10value_typeEPNSK_ISF_E10value_typeEPSG_NS1_7vsmem_tEENKUlT_SE_SF_SG_E_clIS8_S8_S9_S9_EESD_ST_SE_SF_SG_EUlST_E1_NS1_11comp_targetILNS1_3genE0ELNS1_11target_archE4294967295ELNS1_3gpuE0ELNS1_3repE0EEENS1_36merge_oddeven_config_static_selectorELNS0_4arch9wavefront6targetE1EEEvSF_ ; -- Begin function _ZN7rocprim17ROCPRIM_400000_NS6detail17trampoline_kernelINS0_14default_configENS1_38merge_sort_block_merge_config_selectorIlNS0_10empty_typeEEEZZNS1_27merge_sort_block_merge_implIS3_PlPS5_jNS1_19radix_merge_compareILb0ELb1ElNS0_19identity_decomposerEEEEE10hipError_tT0_T1_T2_jT3_P12ihipStream_tbPNSt15iterator_traitsISE_E10value_typeEPNSK_ISF_E10value_typeEPSG_NS1_7vsmem_tEENKUlT_SE_SF_SG_E_clIS8_S8_S9_S9_EESD_ST_SE_SF_SG_EUlST_E1_NS1_11comp_targetILNS1_3genE0ELNS1_11target_archE4294967295ELNS1_3gpuE0ELNS1_3repE0EEENS1_36merge_oddeven_config_static_selectorELNS0_4arch9wavefront6targetE1EEEvSF_
	.globl	_ZN7rocprim17ROCPRIM_400000_NS6detail17trampoline_kernelINS0_14default_configENS1_38merge_sort_block_merge_config_selectorIlNS0_10empty_typeEEEZZNS1_27merge_sort_block_merge_implIS3_PlPS5_jNS1_19radix_merge_compareILb0ELb1ElNS0_19identity_decomposerEEEEE10hipError_tT0_T1_T2_jT3_P12ihipStream_tbPNSt15iterator_traitsISE_E10value_typeEPNSK_ISF_E10value_typeEPSG_NS1_7vsmem_tEENKUlT_SE_SF_SG_E_clIS8_S8_S9_S9_EESD_ST_SE_SF_SG_EUlST_E1_NS1_11comp_targetILNS1_3genE0ELNS1_11target_archE4294967295ELNS1_3gpuE0ELNS1_3repE0EEENS1_36merge_oddeven_config_static_selectorELNS0_4arch9wavefront6targetE1EEEvSF_
	.p2align	8
	.type	_ZN7rocprim17ROCPRIM_400000_NS6detail17trampoline_kernelINS0_14default_configENS1_38merge_sort_block_merge_config_selectorIlNS0_10empty_typeEEEZZNS1_27merge_sort_block_merge_implIS3_PlPS5_jNS1_19radix_merge_compareILb0ELb1ElNS0_19identity_decomposerEEEEE10hipError_tT0_T1_T2_jT3_P12ihipStream_tbPNSt15iterator_traitsISE_E10value_typeEPNSK_ISF_E10value_typeEPSG_NS1_7vsmem_tEENKUlT_SE_SF_SG_E_clIS8_S8_S9_S9_EESD_ST_SE_SF_SG_EUlST_E1_NS1_11comp_targetILNS1_3genE0ELNS1_11target_archE4294967295ELNS1_3gpuE0ELNS1_3repE0EEENS1_36merge_oddeven_config_static_selectorELNS0_4arch9wavefront6targetE1EEEvSF_,@function
_ZN7rocprim17ROCPRIM_400000_NS6detail17trampoline_kernelINS0_14default_configENS1_38merge_sort_block_merge_config_selectorIlNS0_10empty_typeEEEZZNS1_27merge_sort_block_merge_implIS3_PlPS5_jNS1_19radix_merge_compareILb0ELb1ElNS0_19identity_decomposerEEEEE10hipError_tT0_T1_T2_jT3_P12ihipStream_tbPNSt15iterator_traitsISE_E10value_typeEPNSK_ISF_E10value_typeEPSG_NS1_7vsmem_tEENKUlT_SE_SF_SG_E_clIS8_S8_S9_S9_EESD_ST_SE_SF_SG_EUlST_E1_NS1_11comp_targetILNS1_3genE0ELNS1_11target_archE4294967295ELNS1_3gpuE0ELNS1_3repE0EEENS1_36merge_oddeven_config_static_selectorELNS0_4arch9wavefront6targetE1EEEvSF_: ; @_ZN7rocprim17ROCPRIM_400000_NS6detail17trampoline_kernelINS0_14default_configENS1_38merge_sort_block_merge_config_selectorIlNS0_10empty_typeEEEZZNS1_27merge_sort_block_merge_implIS3_PlPS5_jNS1_19radix_merge_compareILb0ELb1ElNS0_19identity_decomposerEEEEE10hipError_tT0_T1_T2_jT3_P12ihipStream_tbPNSt15iterator_traitsISE_E10value_typeEPNSK_ISF_E10value_typeEPSG_NS1_7vsmem_tEENKUlT_SE_SF_SG_E_clIS8_S8_S9_S9_EESD_ST_SE_SF_SG_EUlST_E1_NS1_11comp_targetILNS1_3genE0ELNS1_11target_archE4294967295ELNS1_3gpuE0ELNS1_3repE0EEENS1_36merge_oddeven_config_static_selectorELNS0_4arch9wavefront6targetE1EEEvSF_
; %bb.0:
	.section	.rodata,"a",@progbits
	.p2align	6, 0x0
	.amdhsa_kernel _ZN7rocprim17ROCPRIM_400000_NS6detail17trampoline_kernelINS0_14default_configENS1_38merge_sort_block_merge_config_selectorIlNS0_10empty_typeEEEZZNS1_27merge_sort_block_merge_implIS3_PlPS5_jNS1_19radix_merge_compareILb0ELb1ElNS0_19identity_decomposerEEEEE10hipError_tT0_T1_T2_jT3_P12ihipStream_tbPNSt15iterator_traitsISE_E10value_typeEPNSK_ISF_E10value_typeEPSG_NS1_7vsmem_tEENKUlT_SE_SF_SG_E_clIS8_S8_S9_S9_EESD_ST_SE_SF_SG_EUlST_E1_NS1_11comp_targetILNS1_3genE0ELNS1_11target_archE4294967295ELNS1_3gpuE0ELNS1_3repE0EEENS1_36merge_oddeven_config_static_selectorELNS0_4arch9wavefront6targetE1EEEvSF_
		.amdhsa_group_segment_fixed_size 0
		.amdhsa_private_segment_fixed_size 0
		.amdhsa_kernarg_size 48
		.amdhsa_user_sgpr_count 6
		.amdhsa_user_sgpr_private_segment_buffer 1
		.amdhsa_user_sgpr_dispatch_ptr 0
		.amdhsa_user_sgpr_queue_ptr 0
		.amdhsa_user_sgpr_kernarg_segment_ptr 1
		.amdhsa_user_sgpr_dispatch_id 0
		.amdhsa_user_sgpr_flat_scratch_init 0
		.amdhsa_user_sgpr_kernarg_preload_length 0
		.amdhsa_user_sgpr_kernarg_preload_offset 0
		.amdhsa_user_sgpr_private_segment_size 0
		.amdhsa_uses_dynamic_stack 0
		.amdhsa_system_sgpr_private_segment_wavefront_offset 0
		.amdhsa_system_sgpr_workgroup_id_x 1
		.amdhsa_system_sgpr_workgroup_id_y 0
		.amdhsa_system_sgpr_workgroup_id_z 0
		.amdhsa_system_sgpr_workgroup_info 0
		.amdhsa_system_vgpr_workitem_id 0
		.amdhsa_next_free_vgpr 1
		.amdhsa_next_free_sgpr 0
		.amdhsa_accum_offset 4
		.amdhsa_reserve_vcc 0
		.amdhsa_reserve_flat_scratch 0
		.amdhsa_float_round_mode_32 0
		.amdhsa_float_round_mode_16_64 0
		.amdhsa_float_denorm_mode_32 3
		.amdhsa_float_denorm_mode_16_64 3
		.amdhsa_dx10_clamp 1
		.amdhsa_ieee_mode 1
		.amdhsa_fp16_overflow 0
		.amdhsa_tg_split 0
		.amdhsa_exception_fp_ieee_invalid_op 0
		.amdhsa_exception_fp_denorm_src 0
		.amdhsa_exception_fp_ieee_div_zero 0
		.amdhsa_exception_fp_ieee_overflow 0
		.amdhsa_exception_fp_ieee_underflow 0
		.amdhsa_exception_fp_ieee_inexact 0
		.amdhsa_exception_int_div_zero 0
	.end_amdhsa_kernel
	.section	.text._ZN7rocprim17ROCPRIM_400000_NS6detail17trampoline_kernelINS0_14default_configENS1_38merge_sort_block_merge_config_selectorIlNS0_10empty_typeEEEZZNS1_27merge_sort_block_merge_implIS3_PlPS5_jNS1_19radix_merge_compareILb0ELb1ElNS0_19identity_decomposerEEEEE10hipError_tT0_T1_T2_jT3_P12ihipStream_tbPNSt15iterator_traitsISE_E10value_typeEPNSK_ISF_E10value_typeEPSG_NS1_7vsmem_tEENKUlT_SE_SF_SG_E_clIS8_S8_S9_S9_EESD_ST_SE_SF_SG_EUlST_E1_NS1_11comp_targetILNS1_3genE0ELNS1_11target_archE4294967295ELNS1_3gpuE0ELNS1_3repE0EEENS1_36merge_oddeven_config_static_selectorELNS0_4arch9wavefront6targetE1EEEvSF_,"axG",@progbits,_ZN7rocprim17ROCPRIM_400000_NS6detail17trampoline_kernelINS0_14default_configENS1_38merge_sort_block_merge_config_selectorIlNS0_10empty_typeEEEZZNS1_27merge_sort_block_merge_implIS3_PlPS5_jNS1_19radix_merge_compareILb0ELb1ElNS0_19identity_decomposerEEEEE10hipError_tT0_T1_T2_jT3_P12ihipStream_tbPNSt15iterator_traitsISE_E10value_typeEPNSK_ISF_E10value_typeEPSG_NS1_7vsmem_tEENKUlT_SE_SF_SG_E_clIS8_S8_S9_S9_EESD_ST_SE_SF_SG_EUlST_E1_NS1_11comp_targetILNS1_3genE0ELNS1_11target_archE4294967295ELNS1_3gpuE0ELNS1_3repE0EEENS1_36merge_oddeven_config_static_selectorELNS0_4arch9wavefront6targetE1EEEvSF_,comdat
.Lfunc_end844:
	.size	_ZN7rocprim17ROCPRIM_400000_NS6detail17trampoline_kernelINS0_14default_configENS1_38merge_sort_block_merge_config_selectorIlNS0_10empty_typeEEEZZNS1_27merge_sort_block_merge_implIS3_PlPS5_jNS1_19radix_merge_compareILb0ELb1ElNS0_19identity_decomposerEEEEE10hipError_tT0_T1_T2_jT3_P12ihipStream_tbPNSt15iterator_traitsISE_E10value_typeEPNSK_ISF_E10value_typeEPSG_NS1_7vsmem_tEENKUlT_SE_SF_SG_E_clIS8_S8_S9_S9_EESD_ST_SE_SF_SG_EUlST_E1_NS1_11comp_targetILNS1_3genE0ELNS1_11target_archE4294967295ELNS1_3gpuE0ELNS1_3repE0EEENS1_36merge_oddeven_config_static_selectorELNS0_4arch9wavefront6targetE1EEEvSF_, .Lfunc_end844-_ZN7rocprim17ROCPRIM_400000_NS6detail17trampoline_kernelINS0_14default_configENS1_38merge_sort_block_merge_config_selectorIlNS0_10empty_typeEEEZZNS1_27merge_sort_block_merge_implIS3_PlPS5_jNS1_19radix_merge_compareILb0ELb1ElNS0_19identity_decomposerEEEEE10hipError_tT0_T1_T2_jT3_P12ihipStream_tbPNSt15iterator_traitsISE_E10value_typeEPNSK_ISF_E10value_typeEPSG_NS1_7vsmem_tEENKUlT_SE_SF_SG_E_clIS8_S8_S9_S9_EESD_ST_SE_SF_SG_EUlST_E1_NS1_11comp_targetILNS1_3genE0ELNS1_11target_archE4294967295ELNS1_3gpuE0ELNS1_3repE0EEENS1_36merge_oddeven_config_static_selectorELNS0_4arch9wavefront6targetE1EEEvSF_
                                        ; -- End function
	.section	.AMDGPU.csdata,"",@progbits
; Kernel info:
; codeLenInByte = 0
; NumSgprs: 4
; NumVgprs: 0
; NumAgprs: 0
; TotalNumVgprs: 0
; ScratchSize: 0
; MemoryBound: 0
; FloatMode: 240
; IeeeMode: 1
; LDSByteSize: 0 bytes/workgroup (compile time only)
; SGPRBlocks: 0
; VGPRBlocks: 0
; NumSGPRsForWavesPerEU: 4
; NumVGPRsForWavesPerEU: 1
; AccumOffset: 4
; Occupancy: 8
; WaveLimiterHint : 0
; COMPUTE_PGM_RSRC2:SCRATCH_EN: 0
; COMPUTE_PGM_RSRC2:USER_SGPR: 6
; COMPUTE_PGM_RSRC2:TRAP_HANDLER: 0
; COMPUTE_PGM_RSRC2:TGID_X_EN: 1
; COMPUTE_PGM_RSRC2:TGID_Y_EN: 0
; COMPUTE_PGM_RSRC2:TGID_Z_EN: 0
; COMPUTE_PGM_RSRC2:TIDIG_COMP_CNT: 0
; COMPUTE_PGM_RSRC3_GFX90A:ACCUM_OFFSET: 0
; COMPUTE_PGM_RSRC3_GFX90A:TG_SPLIT: 0
	.section	.text._ZN7rocprim17ROCPRIM_400000_NS6detail17trampoline_kernelINS0_14default_configENS1_38merge_sort_block_merge_config_selectorIlNS0_10empty_typeEEEZZNS1_27merge_sort_block_merge_implIS3_PlPS5_jNS1_19radix_merge_compareILb0ELb1ElNS0_19identity_decomposerEEEEE10hipError_tT0_T1_T2_jT3_P12ihipStream_tbPNSt15iterator_traitsISE_E10value_typeEPNSK_ISF_E10value_typeEPSG_NS1_7vsmem_tEENKUlT_SE_SF_SG_E_clIS8_S8_S9_S9_EESD_ST_SE_SF_SG_EUlST_E1_NS1_11comp_targetILNS1_3genE10ELNS1_11target_archE1201ELNS1_3gpuE5ELNS1_3repE0EEENS1_36merge_oddeven_config_static_selectorELNS0_4arch9wavefront6targetE1EEEvSF_,"axG",@progbits,_ZN7rocprim17ROCPRIM_400000_NS6detail17trampoline_kernelINS0_14default_configENS1_38merge_sort_block_merge_config_selectorIlNS0_10empty_typeEEEZZNS1_27merge_sort_block_merge_implIS3_PlPS5_jNS1_19radix_merge_compareILb0ELb1ElNS0_19identity_decomposerEEEEE10hipError_tT0_T1_T2_jT3_P12ihipStream_tbPNSt15iterator_traitsISE_E10value_typeEPNSK_ISF_E10value_typeEPSG_NS1_7vsmem_tEENKUlT_SE_SF_SG_E_clIS8_S8_S9_S9_EESD_ST_SE_SF_SG_EUlST_E1_NS1_11comp_targetILNS1_3genE10ELNS1_11target_archE1201ELNS1_3gpuE5ELNS1_3repE0EEENS1_36merge_oddeven_config_static_selectorELNS0_4arch9wavefront6targetE1EEEvSF_,comdat
	.protected	_ZN7rocprim17ROCPRIM_400000_NS6detail17trampoline_kernelINS0_14default_configENS1_38merge_sort_block_merge_config_selectorIlNS0_10empty_typeEEEZZNS1_27merge_sort_block_merge_implIS3_PlPS5_jNS1_19radix_merge_compareILb0ELb1ElNS0_19identity_decomposerEEEEE10hipError_tT0_T1_T2_jT3_P12ihipStream_tbPNSt15iterator_traitsISE_E10value_typeEPNSK_ISF_E10value_typeEPSG_NS1_7vsmem_tEENKUlT_SE_SF_SG_E_clIS8_S8_S9_S9_EESD_ST_SE_SF_SG_EUlST_E1_NS1_11comp_targetILNS1_3genE10ELNS1_11target_archE1201ELNS1_3gpuE5ELNS1_3repE0EEENS1_36merge_oddeven_config_static_selectorELNS0_4arch9wavefront6targetE1EEEvSF_ ; -- Begin function _ZN7rocprim17ROCPRIM_400000_NS6detail17trampoline_kernelINS0_14default_configENS1_38merge_sort_block_merge_config_selectorIlNS0_10empty_typeEEEZZNS1_27merge_sort_block_merge_implIS3_PlPS5_jNS1_19radix_merge_compareILb0ELb1ElNS0_19identity_decomposerEEEEE10hipError_tT0_T1_T2_jT3_P12ihipStream_tbPNSt15iterator_traitsISE_E10value_typeEPNSK_ISF_E10value_typeEPSG_NS1_7vsmem_tEENKUlT_SE_SF_SG_E_clIS8_S8_S9_S9_EESD_ST_SE_SF_SG_EUlST_E1_NS1_11comp_targetILNS1_3genE10ELNS1_11target_archE1201ELNS1_3gpuE5ELNS1_3repE0EEENS1_36merge_oddeven_config_static_selectorELNS0_4arch9wavefront6targetE1EEEvSF_
	.globl	_ZN7rocprim17ROCPRIM_400000_NS6detail17trampoline_kernelINS0_14default_configENS1_38merge_sort_block_merge_config_selectorIlNS0_10empty_typeEEEZZNS1_27merge_sort_block_merge_implIS3_PlPS5_jNS1_19radix_merge_compareILb0ELb1ElNS0_19identity_decomposerEEEEE10hipError_tT0_T1_T2_jT3_P12ihipStream_tbPNSt15iterator_traitsISE_E10value_typeEPNSK_ISF_E10value_typeEPSG_NS1_7vsmem_tEENKUlT_SE_SF_SG_E_clIS8_S8_S9_S9_EESD_ST_SE_SF_SG_EUlST_E1_NS1_11comp_targetILNS1_3genE10ELNS1_11target_archE1201ELNS1_3gpuE5ELNS1_3repE0EEENS1_36merge_oddeven_config_static_selectorELNS0_4arch9wavefront6targetE1EEEvSF_
	.p2align	8
	.type	_ZN7rocprim17ROCPRIM_400000_NS6detail17trampoline_kernelINS0_14default_configENS1_38merge_sort_block_merge_config_selectorIlNS0_10empty_typeEEEZZNS1_27merge_sort_block_merge_implIS3_PlPS5_jNS1_19radix_merge_compareILb0ELb1ElNS0_19identity_decomposerEEEEE10hipError_tT0_T1_T2_jT3_P12ihipStream_tbPNSt15iterator_traitsISE_E10value_typeEPNSK_ISF_E10value_typeEPSG_NS1_7vsmem_tEENKUlT_SE_SF_SG_E_clIS8_S8_S9_S9_EESD_ST_SE_SF_SG_EUlST_E1_NS1_11comp_targetILNS1_3genE10ELNS1_11target_archE1201ELNS1_3gpuE5ELNS1_3repE0EEENS1_36merge_oddeven_config_static_selectorELNS0_4arch9wavefront6targetE1EEEvSF_,@function
_ZN7rocprim17ROCPRIM_400000_NS6detail17trampoline_kernelINS0_14default_configENS1_38merge_sort_block_merge_config_selectorIlNS0_10empty_typeEEEZZNS1_27merge_sort_block_merge_implIS3_PlPS5_jNS1_19radix_merge_compareILb0ELb1ElNS0_19identity_decomposerEEEEE10hipError_tT0_T1_T2_jT3_P12ihipStream_tbPNSt15iterator_traitsISE_E10value_typeEPNSK_ISF_E10value_typeEPSG_NS1_7vsmem_tEENKUlT_SE_SF_SG_E_clIS8_S8_S9_S9_EESD_ST_SE_SF_SG_EUlST_E1_NS1_11comp_targetILNS1_3genE10ELNS1_11target_archE1201ELNS1_3gpuE5ELNS1_3repE0EEENS1_36merge_oddeven_config_static_selectorELNS0_4arch9wavefront6targetE1EEEvSF_: ; @_ZN7rocprim17ROCPRIM_400000_NS6detail17trampoline_kernelINS0_14default_configENS1_38merge_sort_block_merge_config_selectorIlNS0_10empty_typeEEEZZNS1_27merge_sort_block_merge_implIS3_PlPS5_jNS1_19radix_merge_compareILb0ELb1ElNS0_19identity_decomposerEEEEE10hipError_tT0_T1_T2_jT3_P12ihipStream_tbPNSt15iterator_traitsISE_E10value_typeEPNSK_ISF_E10value_typeEPSG_NS1_7vsmem_tEENKUlT_SE_SF_SG_E_clIS8_S8_S9_S9_EESD_ST_SE_SF_SG_EUlST_E1_NS1_11comp_targetILNS1_3genE10ELNS1_11target_archE1201ELNS1_3gpuE5ELNS1_3repE0EEENS1_36merge_oddeven_config_static_selectorELNS0_4arch9wavefront6targetE1EEEvSF_
; %bb.0:
	.section	.rodata,"a",@progbits
	.p2align	6, 0x0
	.amdhsa_kernel _ZN7rocprim17ROCPRIM_400000_NS6detail17trampoline_kernelINS0_14default_configENS1_38merge_sort_block_merge_config_selectorIlNS0_10empty_typeEEEZZNS1_27merge_sort_block_merge_implIS3_PlPS5_jNS1_19radix_merge_compareILb0ELb1ElNS0_19identity_decomposerEEEEE10hipError_tT0_T1_T2_jT3_P12ihipStream_tbPNSt15iterator_traitsISE_E10value_typeEPNSK_ISF_E10value_typeEPSG_NS1_7vsmem_tEENKUlT_SE_SF_SG_E_clIS8_S8_S9_S9_EESD_ST_SE_SF_SG_EUlST_E1_NS1_11comp_targetILNS1_3genE10ELNS1_11target_archE1201ELNS1_3gpuE5ELNS1_3repE0EEENS1_36merge_oddeven_config_static_selectorELNS0_4arch9wavefront6targetE1EEEvSF_
		.amdhsa_group_segment_fixed_size 0
		.amdhsa_private_segment_fixed_size 0
		.amdhsa_kernarg_size 48
		.amdhsa_user_sgpr_count 6
		.amdhsa_user_sgpr_private_segment_buffer 1
		.amdhsa_user_sgpr_dispatch_ptr 0
		.amdhsa_user_sgpr_queue_ptr 0
		.amdhsa_user_sgpr_kernarg_segment_ptr 1
		.amdhsa_user_sgpr_dispatch_id 0
		.amdhsa_user_sgpr_flat_scratch_init 0
		.amdhsa_user_sgpr_kernarg_preload_length 0
		.amdhsa_user_sgpr_kernarg_preload_offset 0
		.amdhsa_user_sgpr_private_segment_size 0
		.amdhsa_uses_dynamic_stack 0
		.amdhsa_system_sgpr_private_segment_wavefront_offset 0
		.amdhsa_system_sgpr_workgroup_id_x 1
		.amdhsa_system_sgpr_workgroup_id_y 0
		.amdhsa_system_sgpr_workgroup_id_z 0
		.amdhsa_system_sgpr_workgroup_info 0
		.amdhsa_system_vgpr_workitem_id 0
		.amdhsa_next_free_vgpr 1
		.amdhsa_next_free_sgpr 0
		.amdhsa_accum_offset 4
		.amdhsa_reserve_vcc 0
		.amdhsa_reserve_flat_scratch 0
		.amdhsa_float_round_mode_32 0
		.amdhsa_float_round_mode_16_64 0
		.amdhsa_float_denorm_mode_32 3
		.amdhsa_float_denorm_mode_16_64 3
		.amdhsa_dx10_clamp 1
		.amdhsa_ieee_mode 1
		.amdhsa_fp16_overflow 0
		.amdhsa_tg_split 0
		.amdhsa_exception_fp_ieee_invalid_op 0
		.amdhsa_exception_fp_denorm_src 0
		.amdhsa_exception_fp_ieee_div_zero 0
		.amdhsa_exception_fp_ieee_overflow 0
		.amdhsa_exception_fp_ieee_underflow 0
		.amdhsa_exception_fp_ieee_inexact 0
		.amdhsa_exception_int_div_zero 0
	.end_amdhsa_kernel
	.section	.text._ZN7rocprim17ROCPRIM_400000_NS6detail17trampoline_kernelINS0_14default_configENS1_38merge_sort_block_merge_config_selectorIlNS0_10empty_typeEEEZZNS1_27merge_sort_block_merge_implIS3_PlPS5_jNS1_19radix_merge_compareILb0ELb1ElNS0_19identity_decomposerEEEEE10hipError_tT0_T1_T2_jT3_P12ihipStream_tbPNSt15iterator_traitsISE_E10value_typeEPNSK_ISF_E10value_typeEPSG_NS1_7vsmem_tEENKUlT_SE_SF_SG_E_clIS8_S8_S9_S9_EESD_ST_SE_SF_SG_EUlST_E1_NS1_11comp_targetILNS1_3genE10ELNS1_11target_archE1201ELNS1_3gpuE5ELNS1_3repE0EEENS1_36merge_oddeven_config_static_selectorELNS0_4arch9wavefront6targetE1EEEvSF_,"axG",@progbits,_ZN7rocprim17ROCPRIM_400000_NS6detail17trampoline_kernelINS0_14default_configENS1_38merge_sort_block_merge_config_selectorIlNS0_10empty_typeEEEZZNS1_27merge_sort_block_merge_implIS3_PlPS5_jNS1_19radix_merge_compareILb0ELb1ElNS0_19identity_decomposerEEEEE10hipError_tT0_T1_T2_jT3_P12ihipStream_tbPNSt15iterator_traitsISE_E10value_typeEPNSK_ISF_E10value_typeEPSG_NS1_7vsmem_tEENKUlT_SE_SF_SG_E_clIS8_S8_S9_S9_EESD_ST_SE_SF_SG_EUlST_E1_NS1_11comp_targetILNS1_3genE10ELNS1_11target_archE1201ELNS1_3gpuE5ELNS1_3repE0EEENS1_36merge_oddeven_config_static_selectorELNS0_4arch9wavefront6targetE1EEEvSF_,comdat
.Lfunc_end845:
	.size	_ZN7rocprim17ROCPRIM_400000_NS6detail17trampoline_kernelINS0_14default_configENS1_38merge_sort_block_merge_config_selectorIlNS0_10empty_typeEEEZZNS1_27merge_sort_block_merge_implIS3_PlPS5_jNS1_19radix_merge_compareILb0ELb1ElNS0_19identity_decomposerEEEEE10hipError_tT0_T1_T2_jT3_P12ihipStream_tbPNSt15iterator_traitsISE_E10value_typeEPNSK_ISF_E10value_typeEPSG_NS1_7vsmem_tEENKUlT_SE_SF_SG_E_clIS8_S8_S9_S9_EESD_ST_SE_SF_SG_EUlST_E1_NS1_11comp_targetILNS1_3genE10ELNS1_11target_archE1201ELNS1_3gpuE5ELNS1_3repE0EEENS1_36merge_oddeven_config_static_selectorELNS0_4arch9wavefront6targetE1EEEvSF_, .Lfunc_end845-_ZN7rocprim17ROCPRIM_400000_NS6detail17trampoline_kernelINS0_14default_configENS1_38merge_sort_block_merge_config_selectorIlNS0_10empty_typeEEEZZNS1_27merge_sort_block_merge_implIS3_PlPS5_jNS1_19radix_merge_compareILb0ELb1ElNS0_19identity_decomposerEEEEE10hipError_tT0_T1_T2_jT3_P12ihipStream_tbPNSt15iterator_traitsISE_E10value_typeEPNSK_ISF_E10value_typeEPSG_NS1_7vsmem_tEENKUlT_SE_SF_SG_E_clIS8_S8_S9_S9_EESD_ST_SE_SF_SG_EUlST_E1_NS1_11comp_targetILNS1_3genE10ELNS1_11target_archE1201ELNS1_3gpuE5ELNS1_3repE0EEENS1_36merge_oddeven_config_static_selectorELNS0_4arch9wavefront6targetE1EEEvSF_
                                        ; -- End function
	.section	.AMDGPU.csdata,"",@progbits
; Kernel info:
; codeLenInByte = 0
; NumSgprs: 4
; NumVgprs: 0
; NumAgprs: 0
; TotalNumVgprs: 0
; ScratchSize: 0
; MemoryBound: 0
; FloatMode: 240
; IeeeMode: 1
; LDSByteSize: 0 bytes/workgroup (compile time only)
; SGPRBlocks: 0
; VGPRBlocks: 0
; NumSGPRsForWavesPerEU: 4
; NumVGPRsForWavesPerEU: 1
; AccumOffset: 4
; Occupancy: 8
; WaveLimiterHint : 0
; COMPUTE_PGM_RSRC2:SCRATCH_EN: 0
; COMPUTE_PGM_RSRC2:USER_SGPR: 6
; COMPUTE_PGM_RSRC2:TRAP_HANDLER: 0
; COMPUTE_PGM_RSRC2:TGID_X_EN: 1
; COMPUTE_PGM_RSRC2:TGID_Y_EN: 0
; COMPUTE_PGM_RSRC2:TGID_Z_EN: 0
; COMPUTE_PGM_RSRC2:TIDIG_COMP_CNT: 0
; COMPUTE_PGM_RSRC3_GFX90A:ACCUM_OFFSET: 0
; COMPUTE_PGM_RSRC3_GFX90A:TG_SPLIT: 0
	.section	.text._ZN7rocprim17ROCPRIM_400000_NS6detail17trampoline_kernelINS0_14default_configENS1_38merge_sort_block_merge_config_selectorIlNS0_10empty_typeEEEZZNS1_27merge_sort_block_merge_implIS3_PlPS5_jNS1_19radix_merge_compareILb0ELb1ElNS0_19identity_decomposerEEEEE10hipError_tT0_T1_T2_jT3_P12ihipStream_tbPNSt15iterator_traitsISE_E10value_typeEPNSK_ISF_E10value_typeEPSG_NS1_7vsmem_tEENKUlT_SE_SF_SG_E_clIS8_S8_S9_S9_EESD_ST_SE_SF_SG_EUlST_E1_NS1_11comp_targetILNS1_3genE5ELNS1_11target_archE942ELNS1_3gpuE9ELNS1_3repE0EEENS1_36merge_oddeven_config_static_selectorELNS0_4arch9wavefront6targetE1EEEvSF_,"axG",@progbits,_ZN7rocprim17ROCPRIM_400000_NS6detail17trampoline_kernelINS0_14default_configENS1_38merge_sort_block_merge_config_selectorIlNS0_10empty_typeEEEZZNS1_27merge_sort_block_merge_implIS3_PlPS5_jNS1_19radix_merge_compareILb0ELb1ElNS0_19identity_decomposerEEEEE10hipError_tT0_T1_T2_jT3_P12ihipStream_tbPNSt15iterator_traitsISE_E10value_typeEPNSK_ISF_E10value_typeEPSG_NS1_7vsmem_tEENKUlT_SE_SF_SG_E_clIS8_S8_S9_S9_EESD_ST_SE_SF_SG_EUlST_E1_NS1_11comp_targetILNS1_3genE5ELNS1_11target_archE942ELNS1_3gpuE9ELNS1_3repE0EEENS1_36merge_oddeven_config_static_selectorELNS0_4arch9wavefront6targetE1EEEvSF_,comdat
	.protected	_ZN7rocprim17ROCPRIM_400000_NS6detail17trampoline_kernelINS0_14default_configENS1_38merge_sort_block_merge_config_selectorIlNS0_10empty_typeEEEZZNS1_27merge_sort_block_merge_implIS3_PlPS5_jNS1_19radix_merge_compareILb0ELb1ElNS0_19identity_decomposerEEEEE10hipError_tT0_T1_T2_jT3_P12ihipStream_tbPNSt15iterator_traitsISE_E10value_typeEPNSK_ISF_E10value_typeEPSG_NS1_7vsmem_tEENKUlT_SE_SF_SG_E_clIS8_S8_S9_S9_EESD_ST_SE_SF_SG_EUlST_E1_NS1_11comp_targetILNS1_3genE5ELNS1_11target_archE942ELNS1_3gpuE9ELNS1_3repE0EEENS1_36merge_oddeven_config_static_selectorELNS0_4arch9wavefront6targetE1EEEvSF_ ; -- Begin function _ZN7rocprim17ROCPRIM_400000_NS6detail17trampoline_kernelINS0_14default_configENS1_38merge_sort_block_merge_config_selectorIlNS0_10empty_typeEEEZZNS1_27merge_sort_block_merge_implIS3_PlPS5_jNS1_19radix_merge_compareILb0ELb1ElNS0_19identity_decomposerEEEEE10hipError_tT0_T1_T2_jT3_P12ihipStream_tbPNSt15iterator_traitsISE_E10value_typeEPNSK_ISF_E10value_typeEPSG_NS1_7vsmem_tEENKUlT_SE_SF_SG_E_clIS8_S8_S9_S9_EESD_ST_SE_SF_SG_EUlST_E1_NS1_11comp_targetILNS1_3genE5ELNS1_11target_archE942ELNS1_3gpuE9ELNS1_3repE0EEENS1_36merge_oddeven_config_static_selectorELNS0_4arch9wavefront6targetE1EEEvSF_
	.globl	_ZN7rocprim17ROCPRIM_400000_NS6detail17trampoline_kernelINS0_14default_configENS1_38merge_sort_block_merge_config_selectorIlNS0_10empty_typeEEEZZNS1_27merge_sort_block_merge_implIS3_PlPS5_jNS1_19radix_merge_compareILb0ELb1ElNS0_19identity_decomposerEEEEE10hipError_tT0_T1_T2_jT3_P12ihipStream_tbPNSt15iterator_traitsISE_E10value_typeEPNSK_ISF_E10value_typeEPSG_NS1_7vsmem_tEENKUlT_SE_SF_SG_E_clIS8_S8_S9_S9_EESD_ST_SE_SF_SG_EUlST_E1_NS1_11comp_targetILNS1_3genE5ELNS1_11target_archE942ELNS1_3gpuE9ELNS1_3repE0EEENS1_36merge_oddeven_config_static_selectorELNS0_4arch9wavefront6targetE1EEEvSF_
	.p2align	8
	.type	_ZN7rocprim17ROCPRIM_400000_NS6detail17trampoline_kernelINS0_14default_configENS1_38merge_sort_block_merge_config_selectorIlNS0_10empty_typeEEEZZNS1_27merge_sort_block_merge_implIS3_PlPS5_jNS1_19radix_merge_compareILb0ELb1ElNS0_19identity_decomposerEEEEE10hipError_tT0_T1_T2_jT3_P12ihipStream_tbPNSt15iterator_traitsISE_E10value_typeEPNSK_ISF_E10value_typeEPSG_NS1_7vsmem_tEENKUlT_SE_SF_SG_E_clIS8_S8_S9_S9_EESD_ST_SE_SF_SG_EUlST_E1_NS1_11comp_targetILNS1_3genE5ELNS1_11target_archE942ELNS1_3gpuE9ELNS1_3repE0EEENS1_36merge_oddeven_config_static_selectorELNS0_4arch9wavefront6targetE1EEEvSF_,@function
_ZN7rocprim17ROCPRIM_400000_NS6detail17trampoline_kernelINS0_14default_configENS1_38merge_sort_block_merge_config_selectorIlNS0_10empty_typeEEEZZNS1_27merge_sort_block_merge_implIS3_PlPS5_jNS1_19radix_merge_compareILb0ELb1ElNS0_19identity_decomposerEEEEE10hipError_tT0_T1_T2_jT3_P12ihipStream_tbPNSt15iterator_traitsISE_E10value_typeEPNSK_ISF_E10value_typeEPSG_NS1_7vsmem_tEENKUlT_SE_SF_SG_E_clIS8_S8_S9_S9_EESD_ST_SE_SF_SG_EUlST_E1_NS1_11comp_targetILNS1_3genE5ELNS1_11target_archE942ELNS1_3gpuE9ELNS1_3repE0EEENS1_36merge_oddeven_config_static_selectorELNS0_4arch9wavefront6targetE1EEEvSF_: ; @_ZN7rocprim17ROCPRIM_400000_NS6detail17trampoline_kernelINS0_14default_configENS1_38merge_sort_block_merge_config_selectorIlNS0_10empty_typeEEEZZNS1_27merge_sort_block_merge_implIS3_PlPS5_jNS1_19radix_merge_compareILb0ELb1ElNS0_19identity_decomposerEEEEE10hipError_tT0_T1_T2_jT3_P12ihipStream_tbPNSt15iterator_traitsISE_E10value_typeEPNSK_ISF_E10value_typeEPSG_NS1_7vsmem_tEENKUlT_SE_SF_SG_E_clIS8_S8_S9_S9_EESD_ST_SE_SF_SG_EUlST_E1_NS1_11comp_targetILNS1_3genE5ELNS1_11target_archE942ELNS1_3gpuE9ELNS1_3repE0EEENS1_36merge_oddeven_config_static_selectorELNS0_4arch9wavefront6targetE1EEEvSF_
; %bb.0:
	.section	.rodata,"a",@progbits
	.p2align	6, 0x0
	.amdhsa_kernel _ZN7rocprim17ROCPRIM_400000_NS6detail17trampoline_kernelINS0_14default_configENS1_38merge_sort_block_merge_config_selectorIlNS0_10empty_typeEEEZZNS1_27merge_sort_block_merge_implIS3_PlPS5_jNS1_19radix_merge_compareILb0ELb1ElNS0_19identity_decomposerEEEEE10hipError_tT0_T1_T2_jT3_P12ihipStream_tbPNSt15iterator_traitsISE_E10value_typeEPNSK_ISF_E10value_typeEPSG_NS1_7vsmem_tEENKUlT_SE_SF_SG_E_clIS8_S8_S9_S9_EESD_ST_SE_SF_SG_EUlST_E1_NS1_11comp_targetILNS1_3genE5ELNS1_11target_archE942ELNS1_3gpuE9ELNS1_3repE0EEENS1_36merge_oddeven_config_static_selectorELNS0_4arch9wavefront6targetE1EEEvSF_
		.amdhsa_group_segment_fixed_size 0
		.amdhsa_private_segment_fixed_size 0
		.amdhsa_kernarg_size 48
		.amdhsa_user_sgpr_count 6
		.amdhsa_user_sgpr_private_segment_buffer 1
		.amdhsa_user_sgpr_dispatch_ptr 0
		.amdhsa_user_sgpr_queue_ptr 0
		.amdhsa_user_sgpr_kernarg_segment_ptr 1
		.amdhsa_user_sgpr_dispatch_id 0
		.amdhsa_user_sgpr_flat_scratch_init 0
		.amdhsa_user_sgpr_kernarg_preload_length 0
		.amdhsa_user_sgpr_kernarg_preload_offset 0
		.amdhsa_user_sgpr_private_segment_size 0
		.amdhsa_uses_dynamic_stack 0
		.amdhsa_system_sgpr_private_segment_wavefront_offset 0
		.amdhsa_system_sgpr_workgroup_id_x 1
		.amdhsa_system_sgpr_workgroup_id_y 0
		.amdhsa_system_sgpr_workgroup_id_z 0
		.amdhsa_system_sgpr_workgroup_info 0
		.amdhsa_system_vgpr_workitem_id 0
		.amdhsa_next_free_vgpr 1
		.amdhsa_next_free_sgpr 0
		.amdhsa_accum_offset 4
		.amdhsa_reserve_vcc 0
		.amdhsa_reserve_flat_scratch 0
		.amdhsa_float_round_mode_32 0
		.amdhsa_float_round_mode_16_64 0
		.amdhsa_float_denorm_mode_32 3
		.amdhsa_float_denorm_mode_16_64 3
		.amdhsa_dx10_clamp 1
		.amdhsa_ieee_mode 1
		.amdhsa_fp16_overflow 0
		.amdhsa_tg_split 0
		.amdhsa_exception_fp_ieee_invalid_op 0
		.amdhsa_exception_fp_denorm_src 0
		.amdhsa_exception_fp_ieee_div_zero 0
		.amdhsa_exception_fp_ieee_overflow 0
		.amdhsa_exception_fp_ieee_underflow 0
		.amdhsa_exception_fp_ieee_inexact 0
		.amdhsa_exception_int_div_zero 0
	.end_amdhsa_kernel
	.section	.text._ZN7rocprim17ROCPRIM_400000_NS6detail17trampoline_kernelINS0_14default_configENS1_38merge_sort_block_merge_config_selectorIlNS0_10empty_typeEEEZZNS1_27merge_sort_block_merge_implIS3_PlPS5_jNS1_19radix_merge_compareILb0ELb1ElNS0_19identity_decomposerEEEEE10hipError_tT0_T1_T2_jT3_P12ihipStream_tbPNSt15iterator_traitsISE_E10value_typeEPNSK_ISF_E10value_typeEPSG_NS1_7vsmem_tEENKUlT_SE_SF_SG_E_clIS8_S8_S9_S9_EESD_ST_SE_SF_SG_EUlST_E1_NS1_11comp_targetILNS1_3genE5ELNS1_11target_archE942ELNS1_3gpuE9ELNS1_3repE0EEENS1_36merge_oddeven_config_static_selectorELNS0_4arch9wavefront6targetE1EEEvSF_,"axG",@progbits,_ZN7rocprim17ROCPRIM_400000_NS6detail17trampoline_kernelINS0_14default_configENS1_38merge_sort_block_merge_config_selectorIlNS0_10empty_typeEEEZZNS1_27merge_sort_block_merge_implIS3_PlPS5_jNS1_19radix_merge_compareILb0ELb1ElNS0_19identity_decomposerEEEEE10hipError_tT0_T1_T2_jT3_P12ihipStream_tbPNSt15iterator_traitsISE_E10value_typeEPNSK_ISF_E10value_typeEPSG_NS1_7vsmem_tEENKUlT_SE_SF_SG_E_clIS8_S8_S9_S9_EESD_ST_SE_SF_SG_EUlST_E1_NS1_11comp_targetILNS1_3genE5ELNS1_11target_archE942ELNS1_3gpuE9ELNS1_3repE0EEENS1_36merge_oddeven_config_static_selectorELNS0_4arch9wavefront6targetE1EEEvSF_,comdat
.Lfunc_end846:
	.size	_ZN7rocprim17ROCPRIM_400000_NS6detail17trampoline_kernelINS0_14default_configENS1_38merge_sort_block_merge_config_selectorIlNS0_10empty_typeEEEZZNS1_27merge_sort_block_merge_implIS3_PlPS5_jNS1_19radix_merge_compareILb0ELb1ElNS0_19identity_decomposerEEEEE10hipError_tT0_T1_T2_jT3_P12ihipStream_tbPNSt15iterator_traitsISE_E10value_typeEPNSK_ISF_E10value_typeEPSG_NS1_7vsmem_tEENKUlT_SE_SF_SG_E_clIS8_S8_S9_S9_EESD_ST_SE_SF_SG_EUlST_E1_NS1_11comp_targetILNS1_3genE5ELNS1_11target_archE942ELNS1_3gpuE9ELNS1_3repE0EEENS1_36merge_oddeven_config_static_selectorELNS0_4arch9wavefront6targetE1EEEvSF_, .Lfunc_end846-_ZN7rocprim17ROCPRIM_400000_NS6detail17trampoline_kernelINS0_14default_configENS1_38merge_sort_block_merge_config_selectorIlNS0_10empty_typeEEEZZNS1_27merge_sort_block_merge_implIS3_PlPS5_jNS1_19radix_merge_compareILb0ELb1ElNS0_19identity_decomposerEEEEE10hipError_tT0_T1_T2_jT3_P12ihipStream_tbPNSt15iterator_traitsISE_E10value_typeEPNSK_ISF_E10value_typeEPSG_NS1_7vsmem_tEENKUlT_SE_SF_SG_E_clIS8_S8_S9_S9_EESD_ST_SE_SF_SG_EUlST_E1_NS1_11comp_targetILNS1_3genE5ELNS1_11target_archE942ELNS1_3gpuE9ELNS1_3repE0EEENS1_36merge_oddeven_config_static_selectorELNS0_4arch9wavefront6targetE1EEEvSF_
                                        ; -- End function
	.section	.AMDGPU.csdata,"",@progbits
; Kernel info:
; codeLenInByte = 0
; NumSgprs: 4
; NumVgprs: 0
; NumAgprs: 0
; TotalNumVgprs: 0
; ScratchSize: 0
; MemoryBound: 0
; FloatMode: 240
; IeeeMode: 1
; LDSByteSize: 0 bytes/workgroup (compile time only)
; SGPRBlocks: 0
; VGPRBlocks: 0
; NumSGPRsForWavesPerEU: 4
; NumVGPRsForWavesPerEU: 1
; AccumOffset: 4
; Occupancy: 8
; WaveLimiterHint : 0
; COMPUTE_PGM_RSRC2:SCRATCH_EN: 0
; COMPUTE_PGM_RSRC2:USER_SGPR: 6
; COMPUTE_PGM_RSRC2:TRAP_HANDLER: 0
; COMPUTE_PGM_RSRC2:TGID_X_EN: 1
; COMPUTE_PGM_RSRC2:TGID_Y_EN: 0
; COMPUTE_PGM_RSRC2:TGID_Z_EN: 0
; COMPUTE_PGM_RSRC2:TIDIG_COMP_CNT: 0
; COMPUTE_PGM_RSRC3_GFX90A:ACCUM_OFFSET: 0
; COMPUTE_PGM_RSRC3_GFX90A:TG_SPLIT: 0
	.section	.text._ZN7rocprim17ROCPRIM_400000_NS6detail17trampoline_kernelINS0_14default_configENS1_38merge_sort_block_merge_config_selectorIlNS0_10empty_typeEEEZZNS1_27merge_sort_block_merge_implIS3_PlPS5_jNS1_19radix_merge_compareILb0ELb1ElNS0_19identity_decomposerEEEEE10hipError_tT0_T1_T2_jT3_P12ihipStream_tbPNSt15iterator_traitsISE_E10value_typeEPNSK_ISF_E10value_typeEPSG_NS1_7vsmem_tEENKUlT_SE_SF_SG_E_clIS8_S8_S9_S9_EESD_ST_SE_SF_SG_EUlST_E1_NS1_11comp_targetILNS1_3genE4ELNS1_11target_archE910ELNS1_3gpuE8ELNS1_3repE0EEENS1_36merge_oddeven_config_static_selectorELNS0_4arch9wavefront6targetE1EEEvSF_,"axG",@progbits,_ZN7rocprim17ROCPRIM_400000_NS6detail17trampoline_kernelINS0_14default_configENS1_38merge_sort_block_merge_config_selectorIlNS0_10empty_typeEEEZZNS1_27merge_sort_block_merge_implIS3_PlPS5_jNS1_19radix_merge_compareILb0ELb1ElNS0_19identity_decomposerEEEEE10hipError_tT0_T1_T2_jT3_P12ihipStream_tbPNSt15iterator_traitsISE_E10value_typeEPNSK_ISF_E10value_typeEPSG_NS1_7vsmem_tEENKUlT_SE_SF_SG_E_clIS8_S8_S9_S9_EESD_ST_SE_SF_SG_EUlST_E1_NS1_11comp_targetILNS1_3genE4ELNS1_11target_archE910ELNS1_3gpuE8ELNS1_3repE0EEENS1_36merge_oddeven_config_static_selectorELNS0_4arch9wavefront6targetE1EEEvSF_,comdat
	.protected	_ZN7rocprim17ROCPRIM_400000_NS6detail17trampoline_kernelINS0_14default_configENS1_38merge_sort_block_merge_config_selectorIlNS0_10empty_typeEEEZZNS1_27merge_sort_block_merge_implIS3_PlPS5_jNS1_19radix_merge_compareILb0ELb1ElNS0_19identity_decomposerEEEEE10hipError_tT0_T1_T2_jT3_P12ihipStream_tbPNSt15iterator_traitsISE_E10value_typeEPNSK_ISF_E10value_typeEPSG_NS1_7vsmem_tEENKUlT_SE_SF_SG_E_clIS8_S8_S9_S9_EESD_ST_SE_SF_SG_EUlST_E1_NS1_11comp_targetILNS1_3genE4ELNS1_11target_archE910ELNS1_3gpuE8ELNS1_3repE0EEENS1_36merge_oddeven_config_static_selectorELNS0_4arch9wavefront6targetE1EEEvSF_ ; -- Begin function _ZN7rocprim17ROCPRIM_400000_NS6detail17trampoline_kernelINS0_14default_configENS1_38merge_sort_block_merge_config_selectorIlNS0_10empty_typeEEEZZNS1_27merge_sort_block_merge_implIS3_PlPS5_jNS1_19radix_merge_compareILb0ELb1ElNS0_19identity_decomposerEEEEE10hipError_tT0_T1_T2_jT3_P12ihipStream_tbPNSt15iterator_traitsISE_E10value_typeEPNSK_ISF_E10value_typeEPSG_NS1_7vsmem_tEENKUlT_SE_SF_SG_E_clIS8_S8_S9_S9_EESD_ST_SE_SF_SG_EUlST_E1_NS1_11comp_targetILNS1_3genE4ELNS1_11target_archE910ELNS1_3gpuE8ELNS1_3repE0EEENS1_36merge_oddeven_config_static_selectorELNS0_4arch9wavefront6targetE1EEEvSF_
	.globl	_ZN7rocprim17ROCPRIM_400000_NS6detail17trampoline_kernelINS0_14default_configENS1_38merge_sort_block_merge_config_selectorIlNS0_10empty_typeEEEZZNS1_27merge_sort_block_merge_implIS3_PlPS5_jNS1_19radix_merge_compareILb0ELb1ElNS0_19identity_decomposerEEEEE10hipError_tT0_T1_T2_jT3_P12ihipStream_tbPNSt15iterator_traitsISE_E10value_typeEPNSK_ISF_E10value_typeEPSG_NS1_7vsmem_tEENKUlT_SE_SF_SG_E_clIS8_S8_S9_S9_EESD_ST_SE_SF_SG_EUlST_E1_NS1_11comp_targetILNS1_3genE4ELNS1_11target_archE910ELNS1_3gpuE8ELNS1_3repE0EEENS1_36merge_oddeven_config_static_selectorELNS0_4arch9wavefront6targetE1EEEvSF_
	.p2align	8
	.type	_ZN7rocprim17ROCPRIM_400000_NS6detail17trampoline_kernelINS0_14default_configENS1_38merge_sort_block_merge_config_selectorIlNS0_10empty_typeEEEZZNS1_27merge_sort_block_merge_implIS3_PlPS5_jNS1_19radix_merge_compareILb0ELb1ElNS0_19identity_decomposerEEEEE10hipError_tT0_T1_T2_jT3_P12ihipStream_tbPNSt15iterator_traitsISE_E10value_typeEPNSK_ISF_E10value_typeEPSG_NS1_7vsmem_tEENKUlT_SE_SF_SG_E_clIS8_S8_S9_S9_EESD_ST_SE_SF_SG_EUlST_E1_NS1_11comp_targetILNS1_3genE4ELNS1_11target_archE910ELNS1_3gpuE8ELNS1_3repE0EEENS1_36merge_oddeven_config_static_selectorELNS0_4arch9wavefront6targetE1EEEvSF_,@function
_ZN7rocprim17ROCPRIM_400000_NS6detail17trampoline_kernelINS0_14default_configENS1_38merge_sort_block_merge_config_selectorIlNS0_10empty_typeEEEZZNS1_27merge_sort_block_merge_implIS3_PlPS5_jNS1_19radix_merge_compareILb0ELb1ElNS0_19identity_decomposerEEEEE10hipError_tT0_T1_T2_jT3_P12ihipStream_tbPNSt15iterator_traitsISE_E10value_typeEPNSK_ISF_E10value_typeEPSG_NS1_7vsmem_tEENKUlT_SE_SF_SG_E_clIS8_S8_S9_S9_EESD_ST_SE_SF_SG_EUlST_E1_NS1_11comp_targetILNS1_3genE4ELNS1_11target_archE910ELNS1_3gpuE8ELNS1_3repE0EEENS1_36merge_oddeven_config_static_selectorELNS0_4arch9wavefront6targetE1EEEvSF_: ; @_ZN7rocprim17ROCPRIM_400000_NS6detail17trampoline_kernelINS0_14default_configENS1_38merge_sort_block_merge_config_selectorIlNS0_10empty_typeEEEZZNS1_27merge_sort_block_merge_implIS3_PlPS5_jNS1_19radix_merge_compareILb0ELb1ElNS0_19identity_decomposerEEEEE10hipError_tT0_T1_T2_jT3_P12ihipStream_tbPNSt15iterator_traitsISE_E10value_typeEPNSK_ISF_E10value_typeEPSG_NS1_7vsmem_tEENKUlT_SE_SF_SG_E_clIS8_S8_S9_S9_EESD_ST_SE_SF_SG_EUlST_E1_NS1_11comp_targetILNS1_3genE4ELNS1_11target_archE910ELNS1_3gpuE8ELNS1_3repE0EEENS1_36merge_oddeven_config_static_selectorELNS0_4arch9wavefront6targetE1EEEvSF_
; %bb.0:
	s_load_dword s18, s[4:5], 0x20
	s_waitcnt lgkmcnt(0)
	s_lshr_b32 s0, s18, 8
	s_cmp_lg_u32 s6, s0
	s_cselect_b64 s[14:15], -1, 0
	s_cmp_eq_u32 s6, s0
	s_cselect_b64 s[12:13], -1, 0
	s_lshl_b32 s16, s6, 8
	s_sub_i32 s0, s18, s16
	v_cmp_gt_u32_e64 s[2:3], s0, v0
	s_or_b64 s[0:1], s[14:15], s[2:3]
	s_and_saveexec_b64 s[8:9], s[0:1]
	s_cbranch_execz .LBB847_20
; %bb.1:
	s_load_dwordx4 s[8:11], s[4:5], 0x0
	s_load_dword s19, s[4:5], 0x24
	s_mov_b32 s17, 0
	s_lshl_b64 s[0:1], s[16:17], 3
	v_lshlrev_b32_e32 v1, 3, v0
	s_waitcnt lgkmcnt(0)
	s_add_u32 s0, s8, s0
	s_addc_u32 s1, s9, s1
	global_load_dwordx2 v[2:3], v1, s[0:1]
	s_lshr_b32 s0, s19, 8
	s_sub_i32 s1, 0, s0
	s_and_b32 s1, s6, s1
	s_and_b32 s0, s1, s0
	s_lshl_b32 s20, s1, 8
	s_sub_i32 s17, 0, s19
	s_cmp_eq_u32 s0, 0
	s_cselect_b64 s[0:1], -1, 0
	s_and_b64 s[6:7], s[0:1], exec
	s_cselect_b32 s17, s19, s17
	s_add_i32 s17, s17, s20
	s_cmp_lt_u32 s17, s18
	v_add_u32_e32 v0, s16, v0
	s_cbranch_scc1 .LBB847_3
; %bb.2:
	v_cmp_gt_u32_e32 vcc, s18, v0
	s_or_b64 s[6:7], vcc, s[14:15]
	s_and_b64 s[6:7], s[6:7], exec
	s_cbranch_execz .LBB847_4
	s_branch .LBB847_18
.LBB847_3:
	s_mov_b64 s[6:7], 0
.LBB847_4:
	s_load_dwordx2 s[4:5], s[4:5], 0x28
	s_min_u32 s14, s17, s18
	s_min_u32 s16, s20, s14
	s_add_i32 s20, s20, s14
	s_add_i32 s15, s14, s19
	v_subrev_u32_e32 v0, s20, v0
	s_min_u32 s15, s15, s18
	v_add_u32_e32 v6, s16, v0
	s_and_b64 vcc, exec, s[12:13]
	s_cbranch_vccz .LBB847_12
; %bb.5:
                                        ; implicit-def: $vgpr0
	s_and_saveexec_b64 s[12:13], s[2:3]
	s_cbranch_execz .LBB847_11
; %bb.6:
	s_cmp_ge_u32 s17, s15
	v_mov_b32_e32 v7, s14
	s_cbranch_scc1 .LBB847_10
; %bb.7:
	s_waitcnt vmcnt(0) lgkmcnt(0)
	v_and_b32_e32 v1, s5, v3
	v_and_b32_e32 v0, s4, v2
	s_mov_b64 s[2:3], 0
	v_mov_b32_e32 v8, s15
	v_mov_b32_e32 v7, s14
	;; [unrolled: 1-line block ×4, first 2 shown]
.LBB847_8:                              ; =>This Inner Loop Header: Depth=1
	v_add_u32_e32 v4, v7, v8
	v_lshrrev_b32_e32 v4, 1, v4
	v_lshlrev_b64 v[10:11], 3, v[4:5]
	v_add_co_u32_e32 v10, vcc, s8, v10
	v_addc_co_u32_e32 v11, vcc, v9, v11, vcc
	global_load_dwordx2 v[10:11], v[10:11], off
	v_add_u32_e32 v12, 1, v4
	s_waitcnt vmcnt(0)
	v_and_b32_e32 v11, s5, v11
	v_and_b32_e32 v10, s4, v10
	v_cmp_gt_i64_e32 vcc, v[0:1], v[10:11]
	v_cndmask_b32_e64 v13, 0, 1, vcc
	v_cmp_le_i64_e32 vcc, v[10:11], v[0:1]
	v_cndmask_b32_e64 v10, 0, 1, vcc
	v_cndmask_b32_e64 v10, v10, v13, s[0:1]
	v_and_b32_e32 v10, 1, v10
	v_cmp_eq_u32_e32 vcc, 1, v10
	v_cndmask_b32_e32 v8, v4, v8, vcc
	v_cndmask_b32_e32 v7, v7, v12, vcc
	v_cmp_ge_u32_e32 vcc, v7, v8
	s_or_b64 s[2:3], vcc, s[2:3]
	s_andn2_b64 exec, exec, s[2:3]
	s_cbranch_execnz .LBB847_8
; %bb.9:
	s_or_b64 exec, exec, s[2:3]
.LBB847_10:
	v_add_u32_e32 v0, v7, v6
	s_or_b64 s[6:7], s[6:7], exec
.LBB847_11:
	s_or_b64 exec, exec, s[12:13]
	s_branch .LBB847_18
.LBB847_12:
                                        ; implicit-def: $vgpr0
	s_cbranch_execz .LBB847_18
; %bb.13:
	s_cmp_ge_u32 s17, s15
	v_mov_b32_e32 v7, s14
	s_cbranch_scc1 .LBB847_17
; %bb.14:
	s_waitcnt vmcnt(0) lgkmcnt(0)
	v_and_b32_e32 v1, s5, v3
	v_and_b32_e32 v0, s4, v2
	s_mov_b64 s[2:3], 0
	v_mov_b32_e32 v8, s15
	v_mov_b32_e32 v7, s14
	;; [unrolled: 1-line block ×4, first 2 shown]
.LBB847_15:                             ; =>This Inner Loop Header: Depth=1
	v_add_u32_e32 v4, v7, v8
	v_lshrrev_b32_e32 v4, 1, v4
	v_lshlrev_b64 v[10:11], 3, v[4:5]
	v_add_co_u32_e32 v10, vcc, s8, v10
	v_addc_co_u32_e32 v11, vcc, v9, v11, vcc
	global_load_dwordx2 v[10:11], v[10:11], off
	v_add_u32_e32 v12, 1, v4
	s_waitcnt vmcnt(0)
	v_and_b32_e32 v11, s5, v11
	v_and_b32_e32 v10, s4, v10
	v_cmp_gt_i64_e32 vcc, v[0:1], v[10:11]
	v_cndmask_b32_e64 v13, 0, 1, vcc
	v_cmp_le_i64_e32 vcc, v[10:11], v[0:1]
	v_cndmask_b32_e64 v10, 0, 1, vcc
	v_cndmask_b32_e64 v10, v10, v13, s[0:1]
	v_and_b32_e32 v10, 1, v10
	v_cmp_eq_u32_e32 vcc, 1, v10
	v_cndmask_b32_e32 v8, v4, v8, vcc
	v_cndmask_b32_e32 v7, v7, v12, vcc
	v_cmp_ge_u32_e32 vcc, v7, v8
	s_or_b64 s[2:3], vcc, s[2:3]
	s_andn2_b64 exec, exec, s[2:3]
	s_cbranch_execnz .LBB847_15
; %bb.16:
	s_or_b64 exec, exec, s[2:3]
.LBB847_17:
	v_add_u32_e32 v0, v7, v6
	s_mov_b64 s[6:7], -1
.LBB847_18:
	s_and_b64 exec, exec, s[6:7]
	s_cbranch_execz .LBB847_20
; %bb.19:
	v_mov_b32_e32 v1, 0
	v_lshlrev_b64 v[0:1], 3, v[0:1]
	v_mov_b32_e32 v4, s11
	v_add_co_u32_e32 v0, vcc, s10, v0
	v_addc_co_u32_e32 v1, vcc, v4, v1, vcc
	s_waitcnt vmcnt(0)
	global_store_dwordx2 v[0:1], v[2:3], off
.LBB847_20:
	s_endpgm
	.section	.rodata,"a",@progbits
	.p2align	6, 0x0
	.amdhsa_kernel _ZN7rocprim17ROCPRIM_400000_NS6detail17trampoline_kernelINS0_14default_configENS1_38merge_sort_block_merge_config_selectorIlNS0_10empty_typeEEEZZNS1_27merge_sort_block_merge_implIS3_PlPS5_jNS1_19radix_merge_compareILb0ELb1ElNS0_19identity_decomposerEEEEE10hipError_tT0_T1_T2_jT3_P12ihipStream_tbPNSt15iterator_traitsISE_E10value_typeEPNSK_ISF_E10value_typeEPSG_NS1_7vsmem_tEENKUlT_SE_SF_SG_E_clIS8_S8_S9_S9_EESD_ST_SE_SF_SG_EUlST_E1_NS1_11comp_targetILNS1_3genE4ELNS1_11target_archE910ELNS1_3gpuE8ELNS1_3repE0EEENS1_36merge_oddeven_config_static_selectorELNS0_4arch9wavefront6targetE1EEEvSF_
		.amdhsa_group_segment_fixed_size 0
		.amdhsa_private_segment_fixed_size 0
		.amdhsa_kernarg_size 48
		.amdhsa_user_sgpr_count 6
		.amdhsa_user_sgpr_private_segment_buffer 1
		.amdhsa_user_sgpr_dispatch_ptr 0
		.amdhsa_user_sgpr_queue_ptr 0
		.amdhsa_user_sgpr_kernarg_segment_ptr 1
		.amdhsa_user_sgpr_dispatch_id 0
		.amdhsa_user_sgpr_flat_scratch_init 0
		.amdhsa_user_sgpr_kernarg_preload_length 0
		.amdhsa_user_sgpr_kernarg_preload_offset 0
		.amdhsa_user_sgpr_private_segment_size 0
		.amdhsa_uses_dynamic_stack 0
		.amdhsa_system_sgpr_private_segment_wavefront_offset 0
		.amdhsa_system_sgpr_workgroup_id_x 1
		.amdhsa_system_sgpr_workgroup_id_y 0
		.amdhsa_system_sgpr_workgroup_id_z 0
		.amdhsa_system_sgpr_workgroup_info 0
		.amdhsa_system_vgpr_workitem_id 0
		.amdhsa_next_free_vgpr 14
		.amdhsa_next_free_sgpr 21
		.amdhsa_accum_offset 16
		.amdhsa_reserve_vcc 1
		.amdhsa_reserve_flat_scratch 0
		.amdhsa_float_round_mode_32 0
		.amdhsa_float_round_mode_16_64 0
		.amdhsa_float_denorm_mode_32 3
		.amdhsa_float_denorm_mode_16_64 3
		.amdhsa_dx10_clamp 1
		.amdhsa_ieee_mode 1
		.amdhsa_fp16_overflow 0
		.amdhsa_tg_split 0
		.amdhsa_exception_fp_ieee_invalid_op 0
		.amdhsa_exception_fp_denorm_src 0
		.amdhsa_exception_fp_ieee_div_zero 0
		.amdhsa_exception_fp_ieee_overflow 0
		.amdhsa_exception_fp_ieee_underflow 0
		.amdhsa_exception_fp_ieee_inexact 0
		.amdhsa_exception_int_div_zero 0
	.end_amdhsa_kernel
	.section	.text._ZN7rocprim17ROCPRIM_400000_NS6detail17trampoline_kernelINS0_14default_configENS1_38merge_sort_block_merge_config_selectorIlNS0_10empty_typeEEEZZNS1_27merge_sort_block_merge_implIS3_PlPS5_jNS1_19radix_merge_compareILb0ELb1ElNS0_19identity_decomposerEEEEE10hipError_tT0_T1_T2_jT3_P12ihipStream_tbPNSt15iterator_traitsISE_E10value_typeEPNSK_ISF_E10value_typeEPSG_NS1_7vsmem_tEENKUlT_SE_SF_SG_E_clIS8_S8_S9_S9_EESD_ST_SE_SF_SG_EUlST_E1_NS1_11comp_targetILNS1_3genE4ELNS1_11target_archE910ELNS1_3gpuE8ELNS1_3repE0EEENS1_36merge_oddeven_config_static_selectorELNS0_4arch9wavefront6targetE1EEEvSF_,"axG",@progbits,_ZN7rocprim17ROCPRIM_400000_NS6detail17trampoline_kernelINS0_14default_configENS1_38merge_sort_block_merge_config_selectorIlNS0_10empty_typeEEEZZNS1_27merge_sort_block_merge_implIS3_PlPS5_jNS1_19radix_merge_compareILb0ELb1ElNS0_19identity_decomposerEEEEE10hipError_tT0_T1_T2_jT3_P12ihipStream_tbPNSt15iterator_traitsISE_E10value_typeEPNSK_ISF_E10value_typeEPSG_NS1_7vsmem_tEENKUlT_SE_SF_SG_E_clIS8_S8_S9_S9_EESD_ST_SE_SF_SG_EUlST_E1_NS1_11comp_targetILNS1_3genE4ELNS1_11target_archE910ELNS1_3gpuE8ELNS1_3repE0EEENS1_36merge_oddeven_config_static_selectorELNS0_4arch9wavefront6targetE1EEEvSF_,comdat
.Lfunc_end847:
	.size	_ZN7rocprim17ROCPRIM_400000_NS6detail17trampoline_kernelINS0_14default_configENS1_38merge_sort_block_merge_config_selectorIlNS0_10empty_typeEEEZZNS1_27merge_sort_block_merge_implIS3_PlPS5_jNS1_19radix_merge_compareILb0ELb1ElNS0_19identity_decomposerEEEEE10hipError_tT0_T1_T2_jT3_P12ihipStream_tbPNSt15iterator_traitsISE_E10value_typeEPNSK_ISF_E10value_typeEPSG_NS1_7vsmem_tEENKUlT_SE_SF_SG_E_clIS8_S8_S9_S9_EESD_ST_SE_SF_SG_EUlST_E1_NS1_11comp_targetILNS1_3genE4ELNS1_11target_archE910ELNS1_3gpuE8ELNS1_3repE0EEENS1_36merge_oddeven_config_static_selectorELNS0_4arch9wavefront6targetE1EEEvSF_, .Lfunc_end847-_ZN7rocprim17ROCPRIM_400000_NS6detail17trampoline_kernelINS0_14default_configENS1_38merge_sort_block_merge_config_selectorIlNS0_10empty_typeEEEZZNS1_27merge_sort_block_merge_implIS3_PlPS5_jNS1_19radix_merge_compareILb0ELb1ElNS0_19identity_decomposerEEEEE10hipError_tT0_T1_T2_jT3_P12ihipStream_tbPNSt15iterator_traitsISE_E10value_typeEPNSK_ISF_E10value_typeEPSG_NS1_7vsmem_tEENKUlT_SE_SF_SG_E_clIS8_S8_S9_S9_EESD_ST_SE_SF_SG_EUlST_E1_NS1_11comp_targetILNS1_3genE4ELNS1_11target_archE910ELNS1_3gpuE8ELNS1_3repE0EEENS1_36merge_oddeven_config_static_selectorELNS0_4arch9wavefront6targetE1EEEvSF_
                                        ; -- End function
	.section	.AMDGPU.csdata,"",@progbits
; Kernel info:
; codeLenInByte = 636
; NumSgprs: 25
; NumVgprs: 14
; NumAgprs: 0
; TotalNumVgprs: 14
; ScratchSize: 0
; MemoryBound: 0
; FloatMode: 240
; IeeeMode: 1
; LDSByteSize: 0 bytes/workgroup (compile time only)
; SGPRBlocks: 3
; VGPRBlocks: 1
; NumSGPRsForWavesPerEU: 25
; NumVGPRsForWavesPerEU: 14
; AccumOffset: 16
; Occupancy: 8
; WaveLimiterHint : 0
; COMPUTE_PGM_RSRC2:SCRATCH_EN: 0
; COMPUTE_PGM_RSRC2:USER_SGPR: 6
; COMPUTE_PGM_RSRC2:TRAP_HANDLER: 0
; COMPUTE_PGM_RSRC2:TGID_X_EN: 1
; COMPUTE_PGM_RSRC2:TGID_Y_EN: 0
; COMPUTE_PGM_RSRC2:TGID_Z_EN: 0
; COMPUTE_PGM_RSRC2:TIDIG_COMP_CNT: 0
; COMPUTE_PGM_RSRC3_GFX90A:ACCUM_OFFSET: 3
; COMPUTE_PGM_RSRC3_GFX90A:TG_SPLIT: 0
	.section	.text._ZN7rocprim17ROCPRIM_400000_NS6detail17trampoline_kernelINS0_14default_configENS1_38merge_sort_block_merge_config_selectorIlNS0_10empty_typeEEEZZNS1_27merge_sort_block_merge_implIS3_PlPS5_jNS1_19radix_merge_compareILb0ELb1ElNS0_19identity_decomposerEEEEE10hipError_tT0_T1_T2_jT3_P12ihipStream_tbPNSt15iterator_traitsISE_E10value_typeEPNSK_ISF_E10value_typeEPSG_NS1_7vsmem_tEENKUlT_SE_SF_SG_E_clIS8_S8_S9_S9_EESD_ST_SE_SF_SG_EUlST_E1_NS1_11comp_targetILNS1_3genE3ELNS1_11target_archE908ELNS1_3gpuE7ELNS1_3repE0EEENS1_36merge_oddeven_config_static_selectorELNS0_4arch9wavefront6targetE1EEEvSF_,"axG",@progbits,_ZN7rocprim17ROCPRIM_400000_NS6detail17trampoline_kernelINS0_14default_configENS1_38merge_sort_block_merge_config_selectorIlNS0_10empty_typeEEEZZNS1_27merge_sort_block_merge_implIS3_PlPS5_jNS1_19radix_merge_compareILb0ELb1ElNS0_19identity_decomposerEEEEE10hipError_tT0_T1_T2_jT3_P12ihipStream_tbPNSt15iterator_traitsISE_E10value_typeEPNSK_ISF_E10value_typeEPSG_NS1_7vsmem_tEENKUlT_SE_SF_SG_E_clIS8_S8_S9_S9_EESD_ST_SE_SF_SG_EUlST_E1_NS1_11comp_targetILNS1_3genE3ELNS1_11target_archE908ELNS1_3gpuE7ELNS1_3repE0EEENS1_36merge_oddeven_config_static_selectorELNS0_4arch9wavefront6targetE1EEEvSF_,comdat
	.protected	_ZN7rocprim17ROCPRIM_400000_NS6detail17trampoline_kernelINS0_14default_configENS1_38merge_sort_block_merge_config_selectorIlNS0_10empty_typeEEEZZNS1_27merge_sort_block_merge_implIS3_PlPS5_jNS1_19radix_merge_compareILb0ELb1ElNS0_19identity_decomposerEEEEE10hipError_tT0_T1_T2_jT3_P12ihipStream_tbPNSt15iterator_traitsISE_E10value_typeEPNSK_ISF_E10value_typeEPSG_NS1_7vsmem_tEENKUlT_SE_SF_SG_E_clIS8_S8_S9_S9_EESD_ST_SE_SF_SG_EUlST_E1_NS1_11comp_targetILNS1_3genE3ELNS1_11target_archE908ELNS1_3gpuE7ELNS1_3repE0EEENS1_36merge_oddeven_config_static_selectorELNS0_4arch9wavefront6targetE1EEEvSF_ ; -- Begin function _ZN7rocprim17ROCPRIM_400000_NS6detail17trampoline_kernelINS0_14default_configENS1_38merge_sort_block_merge_config_selectorIlNS0_10empty_typeEEEZZNS1_27merge_sort_block_merge_implIS3_PlPS5_jNS1_19radix_merge_compareILb0ELb1ElNS0_19identity_decomposerEEEEE10hipError_tT0_T1_T2_jT3_P12ihipStream_tbPNSt15iterator_traitsISE_E10value_typeEPNSK_ISF_E10value_typeEPSG_NS1_7vsmem_tEENKUlT_SE_SF_SG_E_clIS8_S8_S9_S9_EESD_ST_SE_SF_SG_EUlST_E1_NS1_11comp_targetILNS1_3genE3ELNS1_11target_archE908ELNS1_3gpuE7ELNS1_3repE0EEENS1_36merge_oddeven_config_static_selectorELNS0_4arch9wavefront6targetE1EEEvSF_
	.globl	_ZN7rocprim17ROCPRIM_400000_NS6detail17trampoline_kernelINS0_14default_configENS1_38merge_sort_block_merge_config_selectorIlNS0_10empty_typeEEEZZNS1_27merge_sort_block_merge_implIS3_PlPS5_jNS1_19radix_merge_compareILb0ELb1ElNS0_19identity_decomposerEEEEE10hipError_tT0_T1_T2_jT3_P12ihipStream_tbPNSt15iterator_traitsISE_E10value_typeEPNSK_ISF_E10value_typeEPSG_NS1_7vsmem_tEENKUlT_SE_SF_SG_E_clIS8_S8_S9_S9_EESD_ST_SE_SF_SG_EUlST_E1_NS1_11comp_targetILNS1_3genE3ELNS1_11target_archE908ELNS1_3gpuE7ELNS1_3repE0EEENS1_36merge_oddeven_config_static_selectorELNS0_4arch9wavefront6targetE1EEEvSF_
	.p2align	8
	.type	_ZN7rocprim17ROCPRIM_400000_NS6detail17trampoline_kernelINS0_14default_configENS1_38merge_sort_block_merge_config_selectorIlNS0_10empty_typeEEEZZNS1_27merge_sort_block_merge_implIS3_PlPS5_jNS1_19radix_merge_compareILb0ELb1ElNS0_19identity_decomposerEEEEE10hipError_tT0_T1_T2_jT3_P12ihipStream_tbPNSt15iterator_traitsISE_E10value_typeEPNSK_ISF_E10value_typeEPSG_NS1_7vsmem_tEENKUlT_SE_SF_SG_E_clIS8_S8_S9_S9_EESD_ST_SE_SF_SG_EUlST_E1_NS1_11comp_targetILNS1_3genE3ELNS1_11target_archE908ELNS1_3gpuE7ELNS1_3repE0EEENS1_36merge_oddeven_config_static_selectorELNS0_4arch9wavefront6targetE1EEEvSF_,@function
_ZN7rocprim17ROCPRIM_400000_NS6detail17trampoline_kernelINS0_14default_configENS1_38merge_sort_block_merge_config_selectorIlNS0_10empty_typeEEEZZNS1_27merge_sort_block_merge_implIS3_PlPS5_jNS1_19radix_merge_compareILb0ELb1ElNS0_19identity_decomposerEEEEE10hipError_tT0_T1_T2_jT3_P12ihipStream_tbPNSt15iterator_traitsISE_E10value_typeEPNSK_ISF_E10value_typeEPSG_NS1_7vsmem_tEENKUlT_SE_SF_SG_E_clIS8_S8_S9_S9_EESD_ST_SE_SF_SG_EUlST_E1_NS1_11comp_targetILNS1_3genE3ELNS1_11target_archE908ELNS1_3gpuE7ELNS1_3repE0EEENS1_36merge_oddeven_config_static_selectorELNS0_4arch9wavefront6targetE1EEEvSF_: ; @_ZN7rocprim17ROCPRIM_400000_NS6detail17trampoline_kernelINS0_14default_configENS1_38merge_sort_block_merge_config_selectorIlNS0_10empty_typeEEEZZNS1_27merge_sort_block_merge_implIS3_PlPS5_jNS1_19radix_merge_compareILb0ELb1ElNS0_19identity_decomposerEEEEE10hipError_tT0_T1_T2_jT3_P12ihipStream_tbPNSt15iterator_traitsISE_E10value_typeEPNSK_ISF_E10value_typeEPSG_NS1_7vsmem_tEENKUlT_SE_SF_SG_E_clIS8_S8_S9_S9_EESD_ST_SE_SF_SG_EUlST_E1_NS1_11comp_targetILNS1_3genE3ELNS1_11target_archE908ELNS1_3gpuE7ELNS1_3repE0EEENS1_36merge_oddeven_config_static_selectorELNS0_4arch9wavefront6targetE1EEEvSF_
; %bb.0:
	.section	.rodata,"a",@progbits
	.p2align	6, 0x0
	.amdhsa_kernel _ZN7rocprim17ROCPRIM_400000_NS6detail17trampoline_kernelINS0_14default_configENS1_38merge_sort_block_merge_config_selectorIlNS0_10empty_typeEEEZZNS1_27merge_sort_block_merge_implIS3_PlPS5_jNS1_19radix_merge_compareILb0ELb1ElNS0_19identity_decomposerEEEEE10hipError_tT0_T1_T2_jT3_P12ihipStream_tbPNSt15iterator_traitsISE_E10value_typeEPNSK_ISF_E10value_typeEPSG_NS1_7vsmem_tEENKUlT_SE_SF_SG_E_clIS8_S8_S9_S9_EESD_ST_SE_SF_SG_EUlST_E1_NS1_11comp_targetILNS1_3genE3ELNS1_11target_archE908ELNS1_3gpuE7ELNS1_3repE0EEENS1_36merge_oddeven_config_static_selectorELNS0_4arch9wavefront6targetE1EEEvSF_
		.amdhsa_group_segment_fixed_size 0
		.amdhsa_private_segment_fixed_size 0
		.amdhsa_kernarg_size 48
		.amdhsa_user_sgpr_count 6
		.amdhsa_user_sgpr_private_segment_buffer 1
		.amdhsa_user_sgpr_dispatch_ptr 0
		.amdhsa_user_sgpr_queue_ptr 0
		.amdhsa_user_sgpr_kernarg_segment_ptr 1
		.amdhsa_user_sgpr_dispatch_id 0
		.amdhsa_user_sgpr_flat_scratch_init 0
		.amdhsa_user_sgpr_kernarg_preload_length 0
		.amdhsa_user_sgpr_kernarg_preload_offset 0
		.amdhsa_user_sgpr_private_segment_size 0
		.amdhsa_uses_dynamic_stack 0
		.amdhsa_system_sgpr_private_segment_wavefront_offset 0
		.amdhsa_system_sgpr_workgroup_id_x 1
		.amdhsa_system_sgpr_workgroup_id_y 0
		.amdhsa_system_sgpr_workgroup_id_z 0
		.amdhsa_system_sgpr_workgroup_info 0
		.amdhsa_system_vgpr_workitem_id 0
		.amdhsa_next_free_vgpr 1
		.amdhsa_next_free_sgpr 0
		.amdhsa_accum_offset 4
		.amdhsa_reserve_vcc 0
		.amdhsa_reserve_flat_scratch 0
		.amdhsa_float_round_mode_32 0
		.amdhsa_float_round_mode_16_64 0
		.amdhsa_float_denorm_mode_32 3
		.amdhsa_float_denorm_mode_16_64 3
		.amdhsa_dx10_clamp 1
		.amdhsa_ieee_mode 1
		.amdhsa_fp16_overflow 0
		.amdhsa_tg_split 0
		.amdhsa_exception_fp_ieee_invalid_op 0
		.amdhsa_exception_fp_denorm_src 0
		.amdhsa_exception_fp_ieee_div_zero 0
		.amdhsa_exception_fp_ieee_overflow 0
		.amdhsa_exception_fp_ieee_underflow 0
		.amdhsa_exception_fp_ieee_inexact 0
		.amdhsa_exception_int_div_zero 0
	.end_amdhsa_kernel
	.section	.text._ZN7rocprim17ROCPRIM_400000_NS6detail17trampoline_kernelINS0_14default_configENS1_38merge_sort_block_merge_config_selectorIlNS0_10empty_typeEEEZZNS1_27merge_sort_block_merge_implIS3_PlPS5_jNS1_19radix_merge_compareILb0ELb1ElNS0_19identity_decomposerEEEEE10hipError_tT0_T1_T2_jT3_P12ihipStream_tbPNSt15iterator_traitsISE_E10value_typeEPNSK_ISF_E10value_typeEPSG_NS1_7vsmem_tEENKUlT_SE_SF_SG_E_clIS8_S8_S9_S9_EESD_ST_SE_SF_SG_EUlST_E1_NS1_11comp_targetILNS1_3genE3ELNS1_11target_archE908ELNS1_3gpuE7ELNS1_3repE0EEENS1_36merge_oddeven_config_static_selectorELNS0_4arch9wavefront6targetE1EEEvSF_,"axG",@progbits,_ZN7rocprim17ROCPRIM_400000_NS6detail17trampoline_kernelINS0_14default_configENS1_38merge_sort_block_merge_config_selectorIlNS0_10empty_typeEEEZZNS1_27merge_sort_block_merge_implIS3_PlPS5_jNS1_19radix_merge_compareILb0ELb1ElNS0_19identity_decomposerEEEEE10hipError_tT0_T1_T2_jT3_P12ihipStream_tbPNSt15iterator_traitsISE_E10value_typeEPNSK_ISF_E10value_typeEPSG_NS1_7vsmem_tEENKUlT_SE_SF_SG_E_clIS8_S8_S9_S9_EESD_ST_SE_SF_SG_EUlST_E1_NS1_11comp_targetILNS1_3genE3ELNS1_11target_archE908ELNS1_3gpuE7ELNS1_3repE0EEENS1_36merge_oddeven_config_static_selectorELNS0_4arch9wavefront6targetE1EEEvSF_,comdat
.Lfunc_end848:
	.size	_ZN7rocprim17ROCPRIM_400000_NS6detail17trampoline_kernelINS0_14default_configENS1_38merge_sort_block_merge_config_selectorIlNS0_10empty_typeEEEZZNS1_27merge_sort_block_merge_implIS3_PlPS5_jNS1_19radix_merge_compareILb0ELb1ElNS0_19identity_decomposerEEEEE10hipError_tT0_T1_T2_jT3_P12ihipStream_tbPNSt15iterator_traitsISE_E10value_typeEPNSK_ISF_E10value_typeEPSG_NS1_7vsmem_tEENKUlT_SE_SF_SG_E_clIS8_S8_S9_S9_EESD_ST_SE_SF_SG_EUlST_E1_NS1_11comp_targetILNS1_3genE3ELNS1_11target_archE908ELNS1_3gpuE7ELNS1_3repE0EEENS1_36merge_oddeven_config_static_selectorELNS0_4arch9wavefront6targetE1EEEvSF_, .Lfunc_end848-_ZN7rocprim17ROCPRIM_400000_NS6detail17trampoline_kernelINS0_14default_configENS1_38merge_sort_block_merge_config_selectorIlNS0_10empty_typeEEEZZNS1_27merge_sort_block_merge_implIS3_PlPS5_jNS1_19radix_merge_compareILb0ELb1ElNS0_19identity_decomposerEEEEE10hipError_tT0_T1_T2_jT3_P12ihipStream_tbPNSt15iterator_traitsISE_E10value_typeEPNSK_ISF_E10value_typeEPSG_NS1_7vsmem_tEENKUlT_SE_SF_SG_E_clIS8_S8_S9_S9_EESD_ST_SE_SF_SG_EUlST_E1_NS1_11comp_targetILNS1_3genE3ELNS1_11target_archE908ELNS1_3gpuE7ELNS1_3repE0EEENS1_36merge_oddeven_config_static_selectorELNS0_4arch9wavefront6targetE1EEEvSF_
                                        ; -- End function
	.section	.AMDGPU.csdata,"",@progbits
; Kernel info:
; codeLenInByte = 0
; NumSgprs: 4
; NumVgprs: 0
; NumAgprs: 0
; TotalNumVgprs: 0
; ScratchSize: 0
; MemoryBound: 0
; FloatMode: 240
; IeeeMode: 1
; LDSByteSize: 0 bytes/workgroup (compile time only)
; SGPRBlocks: 0
; VGPRBlocks: 0
; NumSGPRsForWavesPerEU: 4
; NumVGPRsForWavesPerEU: 1
; AccumOffset: 4
; Occupancy: 8
; WaveLimiterHint : 0
; COMPUTE_PGM_RSRC2:SCRATCH_EN: 0
; COMPUTE_PGM_RSRC2:USER_SGPR: 6
; COMPUTE_PGM_RSRC2:TRAP_HANDLER: 0
; COMPUTE_PGM_RSRC2:TGID_X_EN: 1
; COMPUTE_PGM_RSRC2:TGID_Y_EN: 0
; COMPUTE_PGM_RSRC2:TGID_Z_EN: 0
; COMPUTE_PGM_RSRC2:TIDIG_COMP_CNT: 0
; COMPUTE_PGM_RSRC3_GFX90A:ACCUM_OFFSET: 0
; COMPUTE_PGM_RSRC3_GFX90A:TG_SPLIT: 0
	.section	.text._ZN7rocprim17ROCPRIM_400000_NS6detail17trampoline_kernelINS0_14default_configENS1_38merge_sort_block_merge_config_selectorIlNS0_10empty_typeEEEZZNS1_27merge_sort_block_merge_implIS3_PlPS5_jNS1_19radix_merge_compareILb0ELb1ElNS0_19identity_decomposerEEEEE10hipError_tT0_T1_T2_jT3_P12ihipStream_tbPNSt15iterator_traitsISE_E10value_typeEPNSK_ISF_E10value_typeEPSG_NS1_7vsmem_tEENKUlT_SE_SF_SG_E_clIS8_S8_S9_S9_EESD_ST_SE_SF_SG_EUlST_E1_NS1_11comp_targetILNS1_3genE2ELNS1_11target_archE906ELNS1_3gpuE6ELNS1_3repE0EEENS1_36merge_oddeven_config_static_selectorELNS0_4arch9wavefront6targetE1EEEvSF_,"axG",@progbits,_ZN7rocprim17ROCPRIM_400000_NS6detail17trampoline_kernelINS0_14default_configENS1_38merge_sort_block_merge_config_selectorIlNS0_10empty_typeEEEZZNS1_27merge_sort_block_merge_implIS3_PlPS5_jNS1_19radix_merge_compareILb0ELb1ElNS0_19identity_decomposerEEEEE10hipError_tT0_T1_T2_jT3_P12ihipStream_tbPNSt15iterator_traitsISE_E10value_typeEPNSK_ISF_E10value_typeEPSG_NS1_7vsmem_tEENKUlT_SE_SF_SG_E_clIS8_S8_S9_S9_EESD_ST_SE_SF_SG_EUlST_E1_NS1_11comp_targetILNS1_3genE2ELNS1_11target_archE906ELNS1_3gpuE6ELNS1_3repE0EEENS1_36merge_oddeven_config_static_selectorELNS0_4arch9wavefront6targetE1EEEvSF_,comdat
	.protected	_ZN7rocprim17ROCPRIM_400000_NS6detail17trampoline_kernelINS0_14default_configENS1_38merge_sort_block_merge_config_selectorIlNS0_10empty_typeEEEZZNS1_27merge_sort_block_merge_implIS3_PlPS5_jNS1_19radix_merge_compareILb0ELb1ElNS0_19identity_decomposerEEEEE10hipError_tT0_T1_T2_jT3_P12ihipStream_tbPNSt15iterator_traitsISE_E10value_typeEPNSK_ISF_E10value_typeEPSG_NS1_7vsmem_tEENKUlT_SE_SF_SG_E_clIS8_S8_S9_S9_EESD_ST_SE_SF_SG_EUlST_E1_NS1_11comp_targetILNS1_3genE2ELNS1_11target_archE906ELNS1_3gpuE6ELNS1_3repE0EEENS1_36merge_oddeven_config_static_selectorELNS0_4arch9wavefront6targetE1EEEvSF_ ; -- Begin function _ZN7rocprim17ROCPRIM_400000_NS6detail17trampoline_kernelINS0_14default_configENS1_38merge_sort_block_merge_config_selectorIlNS0_10empty_typeEEEZZNS1_27merge_sort_block_merge_implIS3_PlPS5_jNS1_19radix_merge_compareILb0ELb1ElNS0_19identity_decomposerEEEEE10hipError_tT0_T1_T2_jT3_P12ihipStream_tbPNSt15iterator_traitsISE_E10value_typeEPNSK_ISF_E10value_typeEPSG_NS1_7vsmem_tEENKUlT_SE_SF_SG_E_clIS8_S8_S9_S9_EESD_ST_SE_SF_SG_EUlST_E1_NS1_11comp_targetILNS1_3genE2ELNS1_11target_archE906ELNS1_3gpuE6ELNS1_3repE0EEENS1_36merge_oddeven_config_static_selectorELNS0_4arch9wavefront6targetE1EEEvSF_
	.globl	_ZN7rocprim17ROCPRIM_400000_NS6detail17trampoline_kernelINS0_14default_configENS1_38merge_sort_block_merge_config_selectorIlNS0_10empty_typeEEEZZNS1_27merge_sort_block_merge_implIS3_PlPS5_jNS1_19radix_merge_compareILb0ELb1ElNS0_19identity_decomposerEEEEE10hipError_tT0_T1_T2_jT3_P12ihipStream_tbPNSt15iterator_traitsISE_E10value_typeEPNSK_ISF_E10value_typeEPSG_NS1_7vsmem_tEENKUlT_SE_SF_SG_E_clIS8_S8_S9_S9_EESD_ST_SE_SF_SG_EUlST_E1_NS1_11comp_targetILNS1_3genE2ELNS1_11target_archE906ELNS1_3gpuE6ELNS1_3repE0EEENS1_36merge_oddeven_config_static_selectorELNS0_4arch9wavefront6targetE1EEEvSF_
	.p2align	8
	.type	_ZN7rocprim17ROCPRIM_400000_NS6detail17trampoline_kernelINS0_14default_configENS1_38merge_sort_block_merge_config_selectorIlNS0_10empty_typeEEEZZNS1_27merge_sort_block_merge_implIS3_PlPS5_jNS1_19radix_merge_compareILb0ELb1ElNS0_19identity_decomposerEEEEE10hipError_tT0_T1_T2_jT3_P12ihipStream_tbPNSt15iterator_traitsISE_E10value_typeEPNSK_ISF_E10value_typeEPSG_NS1_7vsmem_tEENKUlT_SE_SF_SG_E_clIS8_S8_S9_S9_EESD_ST_SE_SF_SG_EUlST_E1_NS1_11comp_targetILNS1_3genE2ELNS1_11target_archE906ELNS1_3gpuE6ELNS1_3repE0EEENS1_36merge_oddeven_config_static_selectorELNS0_4arch9wavefront6targetE1EEEvSF_,@function
_ZN7rocprim17ROCPRIM_400000_NS6detail17trampoline_kernelINS0_14default_configENS1_38merge_sort_block_merge_config_selectorIlNS0_10empty_typeEEEZZNS1_27merge_sort_block_merge_implIS3_PlPS5_jNS1_19radix_merge_compareILb0ELb1ElNS0_19identity_decomposerEEEEE10hipError_tT0_T1_T2_jT3_P12ihipStream_tbPNSt15iterator_traitsISE_E10value_typeEPNSK_ISF_E10value_typeEPSG_NS1_7vsmem_tEENKUlT_SE_SF_SG_E_clIS8_S8_S9_S9_EESD_ST_SE_SF_SG_EUlST_E1_NS1_11comp_targetILNS1_3genE2ELNS1_11target_archE906ELNS1_3gpuE6ELNS1_3repE0EEENS1_36merge_oddeven_config_static_selectorELNS0_4arch9wavefront6targetE1EEEvSF_: ; @_ZN7rocprim17ROCPRIM_400000_NS6detail17trampoline_kernelINS0_14default_configENS1_38merge_sort_block_merge_config_selectorIlNS0_10empty_typeEEEZZNS1_27merge_sort_block_merge_implIS3_PlPS5_jNS1_19radix_merge_compareILb0ELb1ElNS0_19identity_decomposerEEEEE10hipError_tT0_T1_T2_jT3_P12ihipStream_tbPNSt15iterator_traitsISE_E10value_typeEPNSK_ISF_E10value_typeEPSG_NS1_7vsmem_tEENKUlT_SE_SF_SG_E_clIS8_S8_S9_S9_EESD_ST_SE_SF_SG_EUlST_E1_NS1_11comp_targetILNS1_3genE2ELNS1_11target_archE906ELNS1_3gpuE6ELNS1_3repE0EEENS1_36merge_oddeven_config_static_selectorELNS0_4arch9wavefront6targetE1EEEvSF_
; %bb.0:
	.section	.rodata,"a",@progbits
	.p2align	6, 0x0
	.amdhsa_kernel _ZN7rocprim17ROCPRIM_400000_NS6detail17trampoline_kernelINS0_14default_configENS1_38merge_sort_block_merge_config_selectorIlNS0_10empty_typeEEEZZNS1_27merge_sort_block_merge_implIS3_PlPS5_jNS1_19radix_merge_compareILb0ELb1ElNS0_19identity_decomposerEEEEE10hipError_tT0_T1_T2_jT3_P12ihipStream_tbPNSt15iterator_traitsISE_E10value_typeEPNSK_ISF_E10value_typeEPSG_NS1_7vsmem_tEENKUlT_SE_SF_SG_E_clIS8_S8_S9_S9_EESD_ST_SE_SF_SG_EUlST_E1_NS1_11comp_targetILNS1_3genE2ELNS1_11target_archE906ELNS1_3gpuE6ELNS1_3repE0EEENS1_36merge_oddeven_config_static_selectorELNS0_4arch9wavefront6targetE1EEEvSF_
		.amdhsa_group_segment_fixed_size 0
		.amdhsa_private_segment_fixed_size 0
		.amdhsa_kernarg_size 48
		.amdhsa_user_sgpr_count 6
		.amdhsa_user_sgpr_private_segment_buffer 1
		.amdhsa_user_sgpr_dispatch_ptr 0
		.amdhsa_user_sgpr_queue_ptr 0
		.amdhsa_user_sgpr_kernarg_segment_ptr 1
		.amdhsa_user_sgpr_dispatch_id 0
		.amdhsa_user_sgpr_flat_scratch_init 0
		.amdhsa_user_sgpr_kernarg_preload_length 0
		.amdhsa_user_sgpr_kernarg_preload_offset 0
		.amdhsa_user_sgpr_private_segment_size 0
		.amdhsa_uses_dynamic_stack 0
		.amdhsa_system_sgpr_private_segment_wavefront_offset 0
		.amdhsa_system_sgpr_workgroup_id_x 1
		.amdhsa_system_sgpr_workgroup_id_y 0
		.amdhsa_system_sgpr_workgroup_id_z 0
		.amdhsa_system_sgpr_workgroup_info 0
		.amdhsa_system_vgpr_workitem_id 0
		.amdhsa_next_free_vgpr 1
		.amdhsa_next_free_sgpr 0
		.amdhsa_accum_offset 4
		.amdhsa_reserve_vcc 0
		.amdhsa_reserve_flat_scratch 0
		.amdhsa_float_round_mode_32 0
		.amdhsa_float_round_mode_16_64 0
		.amdhsa_float_denorm_mode_32 3
		.amdhsa_float_denorm_mode_16_64 3
		.amdhsa_dx10_clamp 1
		.amdhsa_ieee_mode 1
		.amdhsa_fp16_overflow 0
		.amdhsa_tg_split 0
		.amdhsa_exception_fp_ieee_invalid_op 0
		.amdhsa_exception_fp_denorm_src 0
		.amdhsa_exception_fp_ieee_div_zero 0
		.amdhsa_exception_fp_ieee_overflow 0
		.amdhsa_exception_fp_ieee_underflow 0
		.amdhsa_exception_fp_ieee_inexact 0
		.amdhsa_exception_int_div_zero 0
	.end_amdhsa_kernel
	.section	.text._ZN7rocprim17ROCPRIM_400000_NS6detail17trampoline_kernelINS0_14default_configENS1_38merge_sort_block_merge_config_selectorIlNS0_10empty_typeEEEZZNS1_27merge_sort_block_merge_implIS3_PlPS5_jNS1_19radix_merge_compareILb0ELb1ElNS0_19identity_decomposerEEEEE10hipError_tT0_T1_T2_jT3_P12ihipStream_tbPNSt15iterator_traitsISE_E10value_typeEPNSK_ISF_E10value_typeEPSG_NS1_7vsmem_tEENKUlT_SE_SF_SG_E_clIS8_S8_S9_S9_EESD_ST_SE_SF_SG_EUlST_E1_NS1_11comp_targetILNS1_3genE2ELNS1_11target_archE906ELNS1_3gpuE6ELNS1_3repE0EEENS1_36merge_oddeven_config_static_selectorELNS0_4arch9wavefront6targetE1EEEvSF_,"axG",@progbits,_ZN7rocprim17ROCPRIM_400000_NS6detail17trampoline_kernelINS0_14default_configENS1_38merge_sort_block_merge_config_selectorIlNS0_10empty_typeEEEZZNS1_27merge_sort_block_merge_implIS3_PlPS5_jNS1_19radix_merge_compareILb0ELb1ElNS0_19identity_decomposerEEEEE10hipError_tT0_T1_T2_jT3_P12ihipStream_tbPNSt15iterator_traitsISE_E10value_typeEPNSK_ISF_E10value_typeEPSG_NS1_7vsmem_tEENKUlT_SE_SF_SG_E_clIS8_S8_S9_S9_EESD_ST_SE_SF_SG_EUlST_E1_NS1_11comp_targetILNS1_3genE2ELNS1_11target_archE906ELNS1_3gpuE6ELNS1_3repE0EEENS1_36merge_oddeven_config_static_selectorELNS0_4arch9wavefront6targetE1EEEvSF_,comdat
.Lfunc_end849:
	.size	_ZN7rocprim17ROCPRIM_400000_NS6detail17trampoline_kernelINS0_14default_configENS1_38merge_sort_block_merge_config_selectorIlNS0_10empty_typeEEEZZNS1_27merge_sort_block_merge_implIS3_PlPS5_jNS1_19radix_merge_compareILb0ELb1ElNS0_19identity_decomposerEEEEE10hipError_tT0_T1_T2_jT3_P12ihipStream_tbPNSt15iterator_traitsISE_E10value_typeEPNSK_ISF_E10value_typeEPSG_NS1_7vsmem_tEENKUlT_SE_SF_SG_E_clIS8_S8_S9_S9_EESD_ST_SE_SF_SG_EUlST_E1_NS1_11comp_targetILNS1_3genE2ELNS1_11target_archE906ELNS1_3gpuE6ELNS1_3repE0EEENS1_36merge_oddeven_config_static_selectorELNS0_4arch9wavefront6targetE1EEEvSF_, .Lfunc_end849-_ZN7rocprim17ROCPRIM_400000_NS6detail17trampoline_kernelINS0_14default_configENS1_38merge_sort_block_merge_config_selectorIlNS0_10empty_typeEEEZZNS1_27merge_sort_block_merge_implIS3_PlPS5_jNS1_19radix_merge_compareILb0ELb1ElNS0_19identity_decomposerEEEEE10hipError_tT0_T1_T2_jT3_P12ihipStream_tbPNSt15iterator_traitsISE_E10value_typeEPNSK_ISF_E10value_typeEPSG_NS1_7vsmem_tEENKUlT_SE_SF_SG_E_clIS8_S8_S9_S9_EESD_ST_SE_SF_SG_EUlST_E1_NS1_11comp_targetILNS1_3genE2ELNS1_11target_archE906ELNS1_3gpuE6ELNS1_3repE0EEENS1_36merge_oddeven_config_static_selectorELNS0_4arch9wavefront6targetE1EEEvSF_
                                        ; -- End function
	.section	.AMDGPU.csdata,"",@progbits
; Kernel info:
; codeLenInByte = 0
; NumSgprs: 4
; NumVgprs: 0
; NumAgprs: 0
; TotalNumVgprs: 0
; ScratchSize: 0
; MemoryBound: 0
; FloatMode: 240
; IeeeMode: 1
; LDSByteSize: 0 bytes/workgroup (compile time only)
; SGPRBlocks: 0
; VGPRBlocks: 0
; NumSGPRsForWavesPerEU: 4
; NumVGPRsForWavesPerEU: 1
; AccumOffset: 4
; Occupancy: 8
; WaveLimiterHint : 0
; COMPUTE_PGM_RSRC2:SCRATCH_EN: 0
; COMPUTE_PGM_RSRC2:USER_SGPR: 6
; COMPUTE_PGM_RSRC2:TRAP_HANDLER: 0
; COMPUTE_PGM_RSRC2:TGID_X_EN: 1
; COMPUTE_PGM_RSRC2:TGID_Y_EN: 0
; COMPUTE_PGM_RSRC2:TGID_Z_EN: 0
; COMPUTE_PGM_RSRC2:TIDIG_COMP_CNT: 0
; COMPUTE_PGM_RSRC3_GFX90A:ACCUM_OFFSET: 0
; COMPUTE_PGM_RSRC3_GFX90A:TG_SPLIT: 0
	.section	.text._ZN7rocprim17ROCPRIM_400000_NS6detail17trampoline_kernelINS0_14default_configENS1_38merge_sort_block_merge_config_selectorIlNS0_10empty_typeEEEZZNS1_27merge_sort_block_merge_implIS3_PlPS5_jNS1_19radix_merge_compareILb0ELb1ElNS0_19identity_decomposerEEEEE10hipError_tT0_T1_T2_jT3_P12ihipStream_tbPNSt15iterator_traitsISE_E10value_typeEPNSK_ISF_E10value_typeEPSG_NS1_7vsmem_tEENKUlT_SE_SF_SG_E_clIS8_S8_S9_S9_EESD_ST_SE_SF_SG_EUlST_E1_NS1_11comp_targetILNS1_3genE9ELNS1_11target_archE1100ELNS1_3gpuE3ELNS1_3repE0EEENS1_36merge_oddeven_config_static_selectorELNS0_4arch9wavefront6targetE1EEEvSF_,"axG",@progbits,_ZN7rocprim17ROCPRIM_400000_NS6detail17trampoline_kernelINS0_14default_configENS1_38merge_sort_block_merge_config_selectorIlNS0_10empty_typeEEEZZNS1_27merge_sort_block_merge_implIS3_PlPS5_jNS1_19radix_merge_compareILb0ELb1ElNS0_19identity_decomposerEEEEE10hipError_tT0_T1_T2_jT3_P12ihipStream_tbPNSt15iterator_traitsISE_E10value_typeEPNSK_ISF_E10value_typeEPSG_NS1_7vsmem_tEENKUlT_SE_SF_SG_E_clIS8_S8_S9_S9_EESD_ST_SE_SF_SG_EUlST_E1_NS1_11comp_targetILNS1_3genE9ELNS1_11target_archE1100ELNS1_3gpuE3ELNS1_3repE0EEENS1_36merge_oddeven_config_static_selectorELNS0_4arch9wavefront6targetE1EEEvSF_,comdat
	.protected	_ZN7rocprim17ROCPRIM_400000_NS6detail17trampoline_kernelINS0_14default_configENS1_38merge_sort_block_merge_config_selectorIlNS0_10empty_typeEEEZZNS1_27merge_sort_block_merge_implIS3_PlPS5_jNS1_19radix_merge_compareILb0ELb1ElNS0_19identity_decomposerEEEEE10hipError_tT0_T1_T2_jT3_P12ihipStream_tbPNSt15iterator_traitsISE_E10value_typeEPNSK_ISF_E10value_typeEPSG_NS1_7vsmem_tEENKUlT_SE_SF_SG_E_clIS8_S8_S9_S9_EESD_ST_SE_SF_SG_EUlST_E1_NS1_11comp_targetILNS1_3genE9ELNS1_11target_archE1100ELNS1_3gpuE3ELNS1_3repE0EEENS1_36merge_oddeven_config_static_selectorELNS0_4arch9wavefront6targetE1EEEvSF_ ; -- Begin function _ZN7rocprim17ROCPRIM_400000_NS6detail17trampoline_kernelINS0_14default_configENS1_38merge_sort_block_merge_config_selectorIlNS0_10empty_typeEEEZZNS1_27merge_sort_block_merge_implIS3_PlPS5_jNS1_19radix_merge_compareILb0ELb1ElNS0_19identity_decomposerEEEEE10hipError_tT0_T1_T2_jT3_P12ihipStream_tbPNSt15iterator_traitsISE_E10value_typeEPNSK_ISF_E10value_typeEPSG_NS1_7vsmem_tEENKUlT_SE_SF_SG_E_clIS8_S8_S9_S9_EESD_ST_SE_SF_SG_EUlST_E1_NS1_11comp_targetILNS1_3genE9ELNS1_11target_archE1100ELNS1_3gpuE3ELNS1_3repE0EEENS1_36merge_oddeven_config_static_selectorELNS0_4arch9wavefront6targetE1EEEvSF_
	.globl	_ZN7rocprim17ROCPRIM_400000_NS6detail17trampoline_kernelINS0_14default_configENS1_38merge_sort_block_merge_config_selectorIlNS0_10empty_typeEEEZZNS1_27merge_sort_block_merge_implIS3_PlPS5_jNS1_19radix_merge_compareILb0ELb1ElNS0_19identity_decomposerEEEEE10hipError_tT0_T1_T2_jT3_P12ihipStream_tbPNSt15iterator_traitsISE_E10value_typeEPNSK_ISF_E10value_typeEPSG_NS1_7vsmem_tEENKUlT_SE_SF_SG_E_clIS8_S8_S9_S9_EESD_ST_SE_SF_SG_EUlST_E1_NS1_11comp_targetILNS1_3genE9ELNS1_11target_archE1100ELNS1_3gpuE3ELNS1_3repE0EEENS1_36merge_oddeven_config_static_selectorELNS0_4arch9wavefront6targetE1EEEvSF_
	.p2align	8
	.type	_ZN7rocprim17ROCPRIM_400000_NS6detail17trampoline_kernelINS0_14default_configENS1_38merge_sort_block_merge_config_selectorIlNS0_10empty_typeEEEZZNS1_27merge_sort_block_merge_implIS3_PlPS5_jNS1_19radix_merge_compareILb0ELb1ElNS0_19identity_decomposerEEEEE10hipError_tT0_T1_T2_jT3_P12ihipStream_tbPNSt15iterator_traitsISE_E10value_typeEPNSK_ISF_E10value_typeEPSG_NS1_7vsmem_tEENKUlT_SE_SF_SG_E_clIS8_S8_S9_S9_EESD_ST_SE_SF_SG_EUlST_E1_NS1_11comp_targetILNS1_3genE9ELNS1_11target_archE1100ELNS1_3gpuE3ELNS1_3repE0EEENS1_36merge_oddeven_config_static_selectorELNS0_4arch9wavefront6targetE1EEEvSF_,@function
_ZN7rocprim17ROCPRIM_400000_NS6detail17trampoline_kernelINS0_14default_configENS1_38merge_sort_block_merge_config_selectorIlNS0_10empty_typeEEEZZNS1_27merge_sort_block_merge_implIS3_PlPS5_jNS1_19radix_merge_compareILb0ELb1ElNS0_19identity_decomposerEEEEE10hipError_tT0_T1_T2_jT3_P12ihipStream_tbPNSt15iterator_traitsISE_E10value_typeEPNSK_ISF_E10value_typeEPSG_NS1_7vsmem_tEENKUlT_SE_SF_SG_E_clIS8_S8_S9_S9_EESD_ST_SE_SF_SG_EUlST_E1_NS1_11comp_targetILNS1_3genE9ELNS1_11target_archE1100ELNS1_3gpuE3ELNS1_3repE0EEENS1_36merge_oddeven_config_static_selectorELNS0_4arch9wavefront6targetE1EEEvSF_: ; @_ZN7rocprim17ROCPRIM_400000_NS6detail17trampoline_kernelINS0_14default_configENS1_38merge_sort_block_merge_config_selectorIlNS0_10empty_typeEEEZZNS1_27merge_sort_block_merge_implIS3_PlPS5_jNS1_19radix_merge_compareILb0ELb1ElNS0_19identity_decomposerEEEEE10hipError_tT0_T1_T2_jT3_P12ihipStream_tbPNSt15iterator_traitsISE_E10value_typeEPNSK_ISF_E10value_typeEPSG_NS1_7vsmem_tEENKUlT_SE_SF_SG_E_clIS8_S8_S9_S9_EESD_ST_SE_SF_SG_EUlST_E1_NS1_11comp_targetILNS1_3genE9ELNS1_11target_archE1100ELNS1_3gpuE3ELNS1_3repE0EEENS1_36merge_oddeven_config_static_selectorELNS0_4arch9wavefront6targetE1EEEvSF_
; %bb.0:
	.section	.rodata,"a",@progbits
	.p2align	6, 0x0
	.amdhsa_kernel _ZN7rocprim17ROCPRIM_400000_NS6detail17trampoline_kernelINS0_14default_configENS1_38merge_sort_block_merge_config_selectorIlNS0_10empty_typeEEEZZNS1_27merge_sort_block_merge_implIS3_PlPS5_jNS1_19radix_merge_compareILb0ELb1ElNS0_19identity_decomposerEEEEE10hipError_tT0_T1_T2_jT3_P12ihipStream_tbPNSt15iterator_traitsISE_E10value_typeEPNSK_ISF_E10value_typeEPSG_NS1_7vsmem_tEENKUlT_SE_SF_SG_E_clIS8_S8_S9_S9_EESD_ST_SE_SF_SG_EUlST_E1_NS1_11comp_targetILNS1_3genE9ELNS1_11target_archE1100ELNS1_3gpuE3ELNS1_3repE0EEENS1_36merge_oddeven_config_static_selectorELNS0_4arch9wavefront6targetE1EEEvSF_
		.amdhsa_group_segment_fixed_size 0
		.amdhsa_private_segment_fixed_size 0
		.amdhsa_kernarg_size 48
		.amdhsa_user_sgpr_count 6
		.amdhsa_user_sgpr_private_segment_buffer 1
		.amdhsa_user_sgpr_dispatch_ptr 0
		.amdhsa_user_sgpr_queue_ptr 0
		.amdhsa_user_sgpr_kernarg_segment_ptr 1
		.amdhsa_user_sgpr_dispatch_id 0
		.amdhsa_user_sgpr_flat_scratch_init 0
		.amdhsa_user_sgpr_kernarg_preload_length 0
		.amdhsa_user_sgpr_kernarg_preload_offset 0
		.amdhsa_user_sgpr_private_segment_size 0
		.amdhsa_uses_dynamic_stack 0
		.amdhsa_system_sgpr_private_segment_wavefront_offset 0
		.amdhsa_system_sgpr_workgroup_id_x 1
		.amdhsa_system_sgpr_workgroup_id_y 0
		.amdhsa_system_sgpr_workgroup_id_z 0
		.amdhsa_system_sgpr_workgroup_info 0
		.amdhsa_system_vgpr_workitem_id 0
		.amdhsa_next_free_vgpr 1
		.amdhsa_next_free_sgpr 0
		.amdhsa_accum_offset 4
		.amdhsa_reserve_vcc 0
		.amdhsa_reserve_flat_scratch 0
		.amdhsa_float_round_mode_32 0
		.amdhsa_float_round_mode_16_64 0
		.amdhsa_float_denorm_mode_32 3
		.amdhsa_float_denorm_mode_16_64 3
		.amdhsa_dx10_clamp 1
		.amdhsa_ieee_mode 1
		.amdhsa_fp16_overflow 0
		.amdhsa_tg_split 0
		.amdhsa_exception_fp_ieee_invalid_op 0
		.amdhsa_exception_fp_denorm_src 0
		.amdhsa_exception_fp_ieee_div_zero 0
		.amdhsa_exception_fp_ieee_overflow 0
		.amdhsa_exception_fp_ieee_underflow 0
		.amdhsa_exception_fp_ieee_inexact 0
		.amdhsa_exception_int_div_zero 0
	.end_amdhsa_kernel
	.section	.text._ZN7rocprim17ROCPRIM_400000_NS6detail17trampoline_kernelINS0_14default_configENS1_38merge_sort_block_merge_config_selectorIlNS0_10empty_typeEEEZZNS1_27merge_sort_block_merge_implIS3_PlPS5_jNS1_19radix_merge_compareILb0ELb1ElNS0_19identity_decomposerEEEEE10hipError_tT0_T1_T2_jT3_P12ihipStream_tbPNSt15iterator_traitsISE_E10value_typeEPNSK_ISF_E10value_typeEPSG_NS1_7vsmem_tEENKUlT_SE_SF_SG_E_clIS8_S8_S9_S9_EESD_ST_SE_SF_SG_EUlST_E1_NS1_11comp_targetILNS1_3genE9ELNS1_11target_archE1100ELNS1_3gpuE3ELNS1_3repE0EEENS1_36merge_oddeven_config_static_selectorELNS0_4arch9wavefront6targetE1EEEvSF_,"axG",@progbits,_ZN7rocprim17ROCPRIM_400000_NS6detail17trampoline_kernelINS0_14default_configENS1_38merge_sort_block_merge_config_selectorIlNS0_10empty_typeEEEZZNS1_27merge_sort_block_merge_implIS3_PlPS5_jNS1_19radix_merge_compareILb0ELb1ElNS0_19identity_decomposerEEEEE10hipError_tT0_T1_T2_jT3_P12ihipStream_tbPNSt15iterator_traitsISE_E10value_typeEPNSK_ISF_E10value_typeEPSG_NS1_7vsmem_tEENKUlT_SE_SF_SG_E_clIS8_S8_S9_S9_EESD_ST_SE_SF_SG_EUlST_E1_NS1_11comp_targetILNS1_3genE9ELNS1_11target_archE1100ELNS1_3gpuE3ELNS1_3repE0EEENS1_36merge_oddeven_config_static_selectorELNS0_4arch9wavefront6targetE1EEEvSF_,comdat
.Lfunc_end850:
	.size	_ZN7rocprim17ROCPRIM_400000_NS6detail17trampoline_kernelINS0_14default_configENS1_38merge_sort_block_merge_config_selectorIlNS0_10empty_typeEEEZZNS1_27merge_sort_block_merge_implIS3_PlPS5_jNS1_19radix_merge_compareILb0ELb1ElNS0_19identity_decomposerEEEEE10hipError_tT0_T1_T2_jT3_P12ihipStream_tbPNSt15iterator_traitsISE_E10value_typeEPNSK_ISF_E10value_typeEPSG_NS1_7vsmem_tEENKUlT_SE_SF_SG_E_clIS8_S8_S9_S9_EESD_ST_SE_SF_SG_EUlST_E1_NS1_11comp_targetILNS1_3genE9ELNS1_11target_archE1100ELNS1_3gpuE3ELNS1_3repE0EEENS1_36merge_oddeven_config_static_selectorELNS0_4arch9wavefront6targetE1EEEvSF_, .Lfunc_end850-_ZN7rocprim17ROCPRIM_400000_NS6detail17trampoline_kernelINS0_14default_configENS1_38merge_sort_block_merge_config_selectorIlNS0_10empty_typeEEEZZNS1_27merge_sort_block_merge_implIS3_PlPS5_jNS1_19radix_merge_compareILb0ELb1ElNS0_19identity_decomposerEEEEE10hipError_tT0_T1_T2_jT3_P12ihipStream_tbPNSt15iterator_traitsISE_E10value_typeEPNSK_ISF_E10value_typeEPSG_NS1_7vsmem_tEENKUlT_SE_SF_SG_E_clIS8_S8_S9_S9_EESD_ST_SE_SF_SG_EUlST_E1_NS1_11comp_targetILNS1_3genE9ELNS1_11target_archE1100ELNS1_3gpuE3ELNS1_3repE0EEENS1_36merge_oddeven_config_static_selectorELNS0_4arch9wavefront6targetE1EEEvSF_
                                        ; -- End function
	.section	.AMDGPU.csdata,"",@progbits
; Kernel info:
; codeLenInByte = 0
; NumSgprs: 4
; NumVgprs: 0
; NumAgprs: 0
; TotalNumVgprs: 0
; ScratchSize: 0
; MemoryBound: 0
; FloatMode: 240
; IeeeMode: 1
; LDSByteSize: 0 bytes/workgroup (compile time only)
; SGPRBlocks: 0
; VGPRBlocks: 0
; NumSGPRsForWavesPerEU: 4
; NumVGPRsForWavesPerEU: 1
; AccumOffset: 4
; Occupancy: 8
; WaveLimiterHint : 0
; COMPUTE_PGM_RSRC2:SCRATCH_EN: 0
; COMPUTE_PGM_RSRC2:USER_SGPR: 6
; COMPUTE_PGM_RSRC2:TRAP_HANDLER: 0
; COMPUTE_PGM_RSRC2:TGID_X_EN: 1
; COMPUTE_PGM_RSRC2:TGID_Y_EN: 0
; COMPUTE_PGM_RSRC2:TGID_Z_EN: 0
; COMPUTE_PGM_RSRC2:TIDIG_COMP_CNT: 0
; COMPUTE_PGM_RSRC3_GFX90A:ACCUM_OFFSET: 0
; COMPUTE_PGM_RSRC3_GFX90A:TG_SPLIT: 0
	.section	.text._ZN7rocprim17ROCPRIM_400000_NS6detail17trampoline_kernelINS0_14default_configENS1_38merge_sort_block_merge_config_selectorIlNS0_10empty_typeEEEZZNS1_27merge_sort_block_merge_implIS3_PlPS5_jNS1_19radix_merge_compareILb0ELb1ElNS0_19identity_decomposerEEEEE10hipError_tT0_T1_T2_jT3_P12ihipStream_tbPNSt15iterator_traitsISE_E10value_typeEPNSK_ISF_E10value_typeEPSG_NS1_7vsmem_tEENKUlT_SE_SF_SG_E_clIS8_S8_S9_S9_EESD_ST_SE_SF_SG_EUlST_E1_NS1_11comp_targetILNS1_3genE8ELNS1_11target_archE1030ELNS1_3gpuE2ELNS1_3repE0EEENS1_36merge_oddeven_config_static_selectorELNS0_4arch9wavefront6targetE1EEEvSF_,"axG",@progbits,_ZN7rocprim17ROCPRIM_400000_NS6detail17trampoline_kernelINS0_14default_configENS1_38merge_sort_block_merge_config_selectorIlNS0_10empty_typeEEEZZNS1_27merge_sort_block_merge_implIS3_PlPS5_jNS1_19radix_merge_compareILb0ELb1ElNS0_19identity_decomposerEEEEE10hipError_tT0_T1_T2_jT3_P12ihipStream_tbPNSt15iterator_traitsISE_E10value_typeEPNSK_ISF_E10value_typeEPSG_NS1_7vsmem_tEENKUlT_SE_SF_SG_E_clIS8_S8_S9_S9_EESD_ST_SE_SF_SG_EUlST_E1_NS1_11comp_targetILNS1_3genE8ELNS1_11target_archE1030ELNS1_3gpuE2ELNS1_3repE0EEENS1_36merge_oddeven_config_static_selectorELNS0_4arch9wavefront6targetE1EEEvSF_,comdat
	.protected	_ZN7rocprim17ROCPRIM_400000_NS6detail17trampoline_kernelINS0_14default_configENS1_38merge_sort_block_merge_config_selectorIlNS0_10empty_typeEEEZZNS1_27merge_sort_block_merge_implIS3_PlPS5_jNS1_19radix_merge_compareILb0ELb1ElNS0_19identity_decomposerEEEEE10hipError_tT0_T1_T2_jT3_P12ihipStream_tbPNSt15iterator_traitsISE_E10value_typeEPNSK_ISF_E10value_typeEPSG_NS1_7vsmem_tEENKUlT_SE_SF_SG_E_clIS8_S8_S9_S9_EESD_ST_SE_SF_SG_EUlST_E1_NS1_11comp_targetILNS1_3genE8ELNS1_11target_archE1030ELNS1_3gpuE2ELNS1_3repE0EEENS1_36merge_oddeven_config_static_selectorELNS0_4arch9wavefront6targetE1EEEvSF_ ; -- Begin function _ZN7rocprim17ROCPRIM_400000_NS6detail17trampoline_kernelINS0_14default_configENS1_38merge_sort_block_merge_config_selectorIlNS0_10empty_typeEEEZZNS1_27merge_sort_block_merge_implIS3_PlPS5_jNS1_19radix_merge_compareILb0ELb1ElNS0_19identity_decomposerEEEEE10hipError_tT0_T1_T2_jT3_P12ihipStream_tbPNSt15iterator_traitsISE_E10value_typeEPNSK_ISF_E10value_typeEPSG_NS1_7vsmem_tEENKUlT_SE_SF_SG_E_clIS8_S8_S9_S9_EESD_ST_SE_SF_SG_EUlST_E1_NS1_11comp_targetILNS1_3genE8ELNS1_11target_archE1030ELNS1_3gpuE2ELNS1_3repE0EEENS1_36merge_oddeven_config_static_selectorELNS0_4arch9wavefront6targetE1EEEvSF_
	.globl	_ZN7rocprim17ROCPRIM_400000_NS6detail17trampoline_kernelINS0_14default_configENS1_38merge_sort_block_merge_config_selectorIlNS0_10empty_typeEEEZZNS1_27merge_sort_block_merge_implIS3_PlPS5_jNS1_19radix_merge_compareILb0ELb1ElNS0_19identity_decomposerEEEEE10hipError_tT0_T1_T2_jT3_P12ihipStream_tbPNSt15iterator_traitsISE_E10value_typeEPNSK_ISF_E10value_typeEPSG_NS1_7vsmem_tEENKUlT_SE_SF_SG_E_clIS8_S8_S9_S9_EESD_ST_SE_SF_SG_EUlST_E1_NS1_11comp_targetILNS1_3genE8ELNS1_11target_archE1030ELNS1_3gpuE2ELNS1_3repE0EEENS1_36merge_oddeven_config_static_selectorELNS0_4arch9wavefront6targetE1EEEvSF_
	.p2align	8
	.type	_ZN7rocprim17ROCPRIM_400000_NS6detail17trampoline_kernelINS0_14default_configENS1_38merge_sort_block_merge_config_selectorIlNS0_10empty_typeEEEZZNS1_27merge_sort_block_merge_implIS3_PlPS5_jNS1_19radix_merge_compareILb0ELb1ElNS0_19identity_decomposerEEEEE10hipError_tT0_T1_T2_jT3_P12ihipStream_tbPNSt15iterator_traitsISE_E10value_typeEPNSK_ISF_E10value_typeEPSG_NS1_7vsmem_tEENKUlT_SE_SF_SG_E_clIS8_S8_S9_S9_EESD_ST_SE_SF_SG_EUlST_E1_NS1_11comp_targetILNS1_3genE8ELNS1_11target_archE1030ELNS1_3gpuE2ELNS1_3repE0EEENS1_36merge_oddeven_config_static_selectorELNS0_4arch9wavefront6targetE1EEEvSF_,@function
_ZN7rocprim17ROCPRIM_400000_NS6detail17trampoline_kernelINS0_14default_configENS1_38merge_sort_block_merge_config_selectorIlNS0_10empty_typeEEEZZNS1_27merge_sort_block_merge_implIS3_PlPS5_jNS1_19radix_merge_compareILb0ELb1ElNS0_19identity_decomposerEEEEE10hipError_tT0_T1_T2_jT3_P12ihipStream_tbPNSt15iterator_traitsISE_E10value_typeEPNSK_ISF_E10value_typeEPSG_NS1_7vsmem_tEENKUlT_SE_SF_SG_E_clIS8_S8_S9_S9_EESD_ST_SE_SF_SG_EUlST_E1_NS1_11comp_targetILNS1_3genE8ELNS1_11target_archE1030ELNS1_3gpuE2ELNS1_3repE0EEENS1_36merge_oddeven_config_static_selectorELNS0_4arch9wavefront6targetE1EEEvSF_: ; @_ZN7rocprim17ROCPRIM_400000_NS6detail17trampoline_kernelINS0_14default_configENS1_38merge_sort_block_merge_config_selectorIlNS0_10empty_typeEEEZZNS1_27merge_sort_block_merge_implIS3_PlPS5_jNS1_19radix_merge_compareILb0ELb1ElNS0_19identity_decomposerEEEEE10hipError_tT0_T1_T2_jT3_P12ihipStream_tbPNSt15iterator_traitsISE_E10value_typeEPNSK_ISF_E10value_typeEPSG_NS1_7vsmem_tEENKUlT_SE_SF_SG_E_clIS8_S8_S9_S9_EESD_ST_SE_SF_SG_EUlST_E1_NS1_11comp_targetILNS1_3genE8ELNS1_11target_archE1030ELNS1_3gpuE2ELNS1_3repE0EEENS1_36merge_oddeven_config_static_selectorELNS0_4arch9wavefront6targetE1EEEvSF_
; %bb.0:
	.section	.rodata,"a",@progbits
	.p2align	6, 0x0
	.amdhsa_kernel _ZN7rocprim17ROCPRIM_400000_NS6detail17trampoline_kernelINS0_14default_configENS1_38merge_sort_block_merge_config_selectorIlNS0_10empty_typeEEEZZNS1_27merge_sort_block_merge_implIS3_PlPS5_jNS1_19radix_merge_compareILb0ELb1ElNS0_19identity_decomposerEEEEE10hipError_tT0_T1_T2_jT3_P12ihipStream_tbPNSt15iterator_traitsISE_E10value_typeEPNSK_ISF_E10value_typeEPSG_NS1_7vsmem_tEENKUlT_SE_SF_SG_E_clIS8_S8_S9_S9_EESD_ST_SE_SF_SG_EUlST_E1_NS1_11comp_targetILNS1_3genE8ELNS1_11target_archE1030ELNS1_3gpuE2ELNS1_3repE0EEENS1_36merge_oddeven_config_static_selectorELNS0_4arch9wavefront6targetE1EEEvSF_
		.amdhsa_group_segment_fixed_size 0
		.amdhsa_private_segment_fixed_size 0
		.amdhsa_kernarg_size 48
		.amdhsa_user_sgpr_count 6
		.amdhsa_user_sgpr_private_segment_buffer 1
		.amdhsa_user_sgpr_dispatch_ptr 0
		.amdhsa_user_sgpr_queue_ptr 0
		.amdhsa_user_sgpr_kernarg_segment_ptr 1
		.amdhsa_user_sgpr_dispatch_id 0
		.amdhsa_user_sgpr_flat_scratch_init 0
		.amdhsa_user_sgpr_kernarg_preload_length 0
		.amdhsa_user_sgpr_kernarg_preload_offset 0
		.amdhsa_user_sgpr_private_segment_size 0
		.amdhsa_uses_dynamic_stack 0
		.amdhsa_system_sgpr_private_segment_wavefront_offset 0
		.amdhsa_system_sgpr_workgroup_id_x 1
		.amdhsa_system_sgpr_workgroup_id_y 0
		.amdhsa_system_sgpr_workgroup_id_z 0
		.amdhsa_system_sgpr_workgroup_info 0
		.amdhsa_system_vgpr_workitem_id 0
		.amdhsa_next_free_vgpr 1
		.amdhsa_next_free_sgpr 0
		.amdhsa_accum_offset 4
		.amdhsa_reserve_vcc 0
		.amdhsa_reserve_flat_scratch 0
		.amdhsa_float_round_mode_32 0
		.amdhsa_float_round_mode_16_64 0
		.amdhsa_float_denorm_mode_32 3
		.amdhsa_float_denorm_mode_16_64 3
		.amdhsa_dx10_clamp 1
		.amdhsa_ieee_mode 1
		.amdhsa_fp16_overflow 0
		.amdhsa_tg_split 0
		.amdhsa_exception_fp_ieee_invalid_op 0
		.amdhsa_exception_fp_denorm_src 0
		.amdhsa_exception_fp_ieee_div_zero 0
		.amdhsa_exception_fp_ieee_overflow 0
		.amdhsa_exception_fp_ieee_underflow 0
		.amdhsa_exception_fp_ieee_inexact 0
		.amdhsa_exception_int_div_zero 0
	.end_amdhsa_kernel
	.section	.text._ZN7rocprim17ROCPRIM_400000_NS6detail17trampoline_kernelINS0_14default_configENS1_38merge_sort_block_merge_config_selectorIlNS0_10empty_typeEEEZZNS1_27merge_sort_block_merge_implIS3_PlPS5_jNS1_19radix_merge_compareILb0ELb1ElNS0_19identity_decomposerEEEEE10hipError_tT0_T1_T2_jT3_P12ihipStream_tbPNSt15iterator_traitsISE_E10value_typeEPNSK_ISF_E10value_typeEPSG_NS1_7vsmem_tEENKUlT_SE_SF_SG_E_clIS8_S8_S9_S9_EESD_ST_SE_SF_SG_EUlST_E1_NS1_11comp_targetILNS1_3genE8ELNS1_11target_archE1030ELNS1_3gpuE2ELNS1_3repE0EEENS1_36merge_oddeven_config_static_selectorELNS0_4arch9wavefront6targetE1EEEvSF_,"axG",@progbits,_ZN7rocprim17ROCPRIM_400000_NS6detail17trampoline_kernelINS0_14default_configENS1_38merge_sort_block_merge_config_selectorIlNS0_10empty_typeEEEZZNS1_27merge_sort_block_merge_implIS3_PlPS5_jNS1_19radix_merge_compareILb0ELb1ElNS0_19identity_decomposerEEEEE10hipError_tT0_T1_T2_jT3_P12ihipStream_tbPNSt15iterator_traitsISE_E10value_typeEPNSK_ISF_E10value_typeEPSG_NS1_7vsmem_tEENKUlT_SE_SF_SG_E_clIS8_S8_S9_S9_EESD_ST_SE_SF_SG_EUlST_E1_NS1_11comp_targetILNS1_3genE8ELNS1_11target_archE1030ELNS1_3gpuE2ELNS1_3repE0EEENS1_36merge_oddeven_config_static_selectorELNS0_4arch9wavefront6targetE1EEEvSF_,comdat
.Lfunc_end851:
	.size	_ZN7rocprim17ROCPRIM_400000_NS6detail17trampoline_kernelINS0_14default_configENS1_38merge_sort_block_merge_config_selectorIlNS0_10empty_typeEEEZZNS1_27merge_sort_block_merge_implIS3_PlPS5_jNS1_19radix_merge_compareILb0ELb1ElNS0_19identity_decomposerEEEEE10hipError_tT0_T1_T2_jT3_P12ihipStream_tbPNSt15iterator_traitsISE_E10value_typeEPNSK_ISF_E10value_typeEPSG_NS1_7vsmem_tEENKUlT_SE_SF_SG_E_clIS8_S8_S9_S9_EESD_ST_SE_SF_SG_EUlST_E1_NS1_11comp_targetILNS1_3genE8ELNS1_11target_archE1030ELNS1_3gpuE2ELNS1_3repE0EEENS1_36merge_oddeven_config_static_selectorELNS0_4arch9wavefront6targetE1EEEvSF_, .Lfunc_end851-_ZN7rocprim17ROCPRIM_400000_NS6detail17trampoline_kernelINS0_14default_configENS1_38merge_sort_block_merge_config_selectorIlNS0_10empty_typeEEEZZNS1_27merge_sort_block_merge_implIS3_PlPS5_jNS1_19radix_merge_compareILb0ELb1ElNS0_19identity_decomposerEEEEE10hipError_tT0_T1_T2_jT3_P12ihipStream_tbPNSt15iterator_traitsISE_E10value_typeEPNSK_ISF_E10value_typeEPSG_NS1_7vsmem_tEENKUlT_SE_SF_SG_E_clIS8_S8_S9_S9_EESD_ST_SE_SF_SG_EUlST_E1_NS1_11comp_targetILNS1_3genE8ELNS1_11target_archE1030ELNS1_3gpuE2ELNS1_3repE0EEENS1_36merge_oddeven_config_static_selectorELNS0_4arch9wavefront6targetE1EEEvSF_
                                        ; -- End function
	.section	.AMDGPU.csdata,"",@progbits
; Kernel info:
; codeLenInByte = 0
; NumSgprs: 4
; NumVgprs: 0
; NumAgprs: 0
; TotalNumVgprs: 0
; ScratchSize: 0
; MemoryBound: 0
; FloatMode: 240
; IeeeMode: 1
; LDSByteSize: 0 bytes/workgroup (compile time only)
; SGPRBlocks: 0
; VGPRBlocks: 0
; NumSGPRsForWavesPerEU: 4
; NumVGPRsForWavesPerEU: 1
; AccumOffset: 4
; Occupancy: 8
; WaveLimiterHint : 0
; COMPUTE_PGM_RSRC2:SCRATCH_EN: 0
; COMPUTE_PGM_RSRC2:USER_SGPR: 6
; COMPUTE_PGM_RSRC2:TRAP_HANDLER: 0
; COMPUTE_PGM_RSRC2:TGID_X_EN: 1
; COMPUTE_PGM_RSRC2:TGID_Y_EN: 0
; COMPUTE_PGM_RSRC2:TGID_Z_EN: 0
; COMPUTE_PGM_RSRC2:TIDIG_COMP_CNT: 0
; COMPUTE_PGM_RSRC3_GFX90A:ACCUM_OFFSET: 0
; COMPUTE_PGM_RSRC3_GFX90A:TG_SPLIT: 0
	.section	.text._ZN7rocprim17ROCPRIM_400000_NS6detail17trampoline_kernelINS0_14default_configENS1_35radix_sort_onesweep_config_selectorIlNS0_10empty_typeEEEZNS1_34radix_sort_onesweep_global_offsetsIS3_Lb0EPlPS5_mNS0_19identity_decomposerEEE10hipError_tT1_T2_PT3_SE_jT4_jjP12ihipStream_tbEUlT_E_NS1_11comp_targetILNS1_3genE0ELNS1_11target_archE4294967295ELNS1_3gpuE0ELNS1_3repE0EEENS1_52radix_sort_onesweep_histogram_config_static_selectorELNS0_4arch9wavefront6targetE1EEEvSC_,"axG",@progbits,_ZN7rocprim17ROCPRIM_400000_NS6detail17trampoline_kernelINS0_14default_configENS1_35radix_sort_onesweep_config_selectorIlNS0_10empty_typeEEEZNS1_34radix_sort_onesweep_global_offsetsIS3_Lb0EPlPS5_mNS0_19identity_decomposerEEE10hipError_tT1_T2_PT3_SE_jT4_jjP12ihipStream_tbEUlT_E_NS1_11comp_targetILNS1_3genE0ELNS1_11target_archE4294967295ELNS1_3gpuE0ELNS1_3repE0EEENS1_52radix_sort_onesweep_histogram_config_static_selectorELNS0_4arch9wavefront6targetE1EEEvSC_,comdat
	.protected	_ZN7rocprim17ROCPRIM_400000_NS6detail17trampoline_kernelINS0_14default_configENS1_35radix_sort_onesweep_config_selectorIlNS0_10empty_typeEEEZNS1_34radix_sort_onesweep_global_offsetsIS3_Lb0EPlPS5_mNS0_19identity_decomposerEEE10hipError_tT1_T2_PT3_SE_jT4_jjP12ihipStream_tbEUlT_E_NS1_11comp_targetILNS1_3genE0ELNS1_11target_archE4294967295ELNS1_3gpuE0ELNS1_3repE0EEENS1_52radix_sort_onesweep_histogram_config_static_selectorELNS0_4arch9wavefront6targetE1EEEvSC_ ; -- Begin function _ZN7rocprim17ROCPRIM_400000_NS6detail17trampoline_kernelINS0_14default_configENS1_35radix_sort_onesweep_config_selectorIlNS0_10empty_typeEEEZNS1_34radix_sort_onesweep_global_offsetsIS3_Lb0EPlPS5_mNS0_19identity_decomposerEEE10hipError_tT1_T2_PT3_SE_jT4_jjP12ihipStream_tbEUlT_E_NS1_11comp_targetILNS1_3genE0ELNS1_11target_archE4294967295ELNS1_3gpuE0ELNS1_3repE0EEENS1_52radix_sort_onesweep_histogram_config_static_selectorELNS0_4arch9wavefront6targetE1EEEvSC_
	.globl	_ZN7rocprim17ROCPRIM_400000_NS6detail17trampoline_kernelINS0_14default_configENS1_35radix_sort_onesweep_config_selectorIlNS0_10empty_typeEEEZNS1_34radix_sort_onesweep_global_offsetsIS3_Lb0EPlPS5_mNS0_19identity_decomposerEEE10hipError_tT1_T2_PT3_SE_jT4_jjP12ihipStream_tbEUlT_E_NS1_11comp_targetILNS1_3genE0ELNS1_11target_archE4294967295ELNS1_3gpuE0ELNS1_3repE0EEENS1_52radix_sort_onesweep_histogram_config_static_selectorELNS0_4arch9wavefront6targetE1EEEvSC_
	.p2align	8
	.type	_ZN7rocprim17ROCPRIM_400000_NS6detail17trampoline_kernelINS0_14default_configENS1_35radix_sort_onesweep_config_selectorIlNS0_10empty_typeEEEZNS1_34radix_sort_onesweep_global_offsetsIS3_Lb0EPlPS5_mNS0_19identity_decomposerEEE10hipError_tT1_T2_PT3_SE_jT4_jjP12ihipStream_tbEUlT_E_NS1_11comp_targetILNS1_3genE0ELNS1_11target_archE4294967295ELNS1_3gpuE0ELNS1_3repE0EEENS1_52radix_sort_onesweep_histogram_config_static_selectorELNS0_4arch9wavefront6targetE1EEEvSC_,@function
_ZN7rocprim17ROCPRIM_400000_NS6detail17trampoline_kernelINS0_14default_configENS1_35radix_sort_onesweep_config_selectorIlNS0_10empty_typeEEEZNS1_34radix_sort_onesweep_global_offsetsIS3_Lb0EPlPS5_mNS0_19identity_decomposerEEE10hipError_tT1_T2_PT3_SE_jT4_jjP12ihipStream_tbEUlT_E_NS1_11comp_targetILNS1_3genE0ELNS1_11target_archE4294967295ELNS1_3gpuE0ELNS1_3repE0EEENS1_52radix_sort_onesweep_histogram_config_static_selectorELNS0_4arch9wavefront6targetE1EEEvSC_: ; @_ZN7rocprim17ROCPRIM_400000_NS6detail17trampoline_kernelINS0_14default_configENS1_35radix_sort_onesweep_config_selectorIlNS0_10empty_typeEEEZNS1_34radix_sort_onesweep_global_offsetsIS3_Lb0EPlPS5_mNS0_19identity_decomposerEEE10hipError_tT1_T2_PT3_SE_jT4_jjP12ihipStream_tbEUlT_E_NS1_11comp_targetILNS1_3genE0ELNS1_11target_archE4294967295ELNS1_3gpuE0ELNS1_3repE0EEENS1_52radix_sort_onesweep_histogram_config_static_selectorELNS0_4arch9wavefront6targetE1EEEvSC_
; %bb.0:
	.section	.rodata,"a",@progbits
	.p2align	6, 0x0
	.amdhsa_kernel _ZN7rocprim17ROCPRIM_400000_NS6detail17trampoline_kernelINS0_14default_configENS1_35radix_sort_onesweep_config_selectorIlNS0_10empty_typeEEEZNS1_34radix_sort_onesweep_global_offsetsIS3_Lb0EPlPS5_mNS0_19identity_decomposerEEE10hipError_tT1_T2_PT3_SE_jT4_jjP12ihipStream_tbEUlT_E_NS1_11comp_targetILNS1_3genE0ELNS1_11target_archE4294967295ELNS1_3gpuE0ELNS1_3repE0EEENS1_52radix_sort_onesweep_histogram_config_static_selectorELNS0_4arch9wavefront6targetE1EEEvSC_
		.amdhsa_group_segment_fixed_size 0
		.amdhsa_private_segment_fixed_size 0
		.amdhsa_kernarg_size 48
		.amdhsa_user_sgpr_count 6
		.amdhsa_user_sgpr_private_segment_buffer 1
		.amdhsa_user_sgpr_dispatch_ptr 0
		.amdhsa_user_sgpr_queue_ptr 0
		.amdhsa_user_sgpr_kernarg_segment_ptr 1
		.amdhsa_user_sgpr_dispatch_id 0
		.amdhsa_user_sgpr_flat_scratch_init 0
		.amdhsa_user_sgpr_kernarg_preload_length 0
		.amdhsa_user_sgpr_kernarg_preload_offset 0
		.amdhsa_user_sgpr_private_segment_size 0
		.amdhsa_uses_dynamic_stack 0
		.amdhsa_system_sgpr_private_segment_wavefront_offset 0
		.amdhsa_system_sgpr_workgroup_id_x 1
		.amdhsa_system_sgpr_workgroup_id_y 0
		.amdhsa_system_sgpr_workgroup_id_z 0
		.amdhsa_system_sgpr_workgroup_info 0
		.amdhsa_system_vgpr_workitem_id 0
		.amdhsa_next_free_vgpr 1
		.amdhsa_next_free_sgpr 0
		.amdhsa_accum_offset 4
		.amdhsa_reserve_vcc 0
		.amdhsa_reserve_flat_scratch 0
		.amdhsa_float_round_mode_32 0
		.amdhsa_float_round_mode_16_64 0
		.amdhsa_float_denorm_mode_32 3
		.amdhsa_float_denorm_mode_16_64 3
		.amdhsa_dx10_clamp 1
		.amdhsa_ieee_mode 1
		.amdhsa_fp16_overflow 0
		.amdhsa_tg_split 0
		.amdhsa_exception_fp_ieee_invalid_op 0
		.amdhsa_exception_fp_denorm_src 0
		.amdhsa_exception_fp_ieee_div_zero 0
		.amdhsa_exception_fp_ieee_overflow 0
		.amdhsa_exception_fp_ieee_underflow 0
		.amdhsa_exception_fp_ieee_inexact 0
		.amdhsa_exception_int_div_zero 0
	.end_amdhsa_kernel
	.section	.text._ZN7rocprim17ROCPRIM_400000_NS6detail17trampoline_kernelINS0_14default_configENS1_35radix_sort_onesweep_config_selectorIlNS0_10empty_typeEEEZNS1_34radix_sort_onesweep_global_offsetsIS3_Lb0EPlPS5_mNS0_19identity_decomposerEEE10hipError_tT1_T2_PT3_SE_jT4_jjP12ihipStream_tbEUlT_E_NS1_11comp_targetILNS1_3genE0ELNS1_11target_archE4294967295ELNS1_3gpuE0ELNS1_3repE0EEENS1_52radix_sort_onesweep_histogram_config_static_selectorELNS0_4arch9wavefront6targetE1EEEvSC_,"axG",@progbits,_ZN7rocprim17ROCPRIM_400000_NS6detail17trampoline_kernelINS0_14default_configENS1_35radix_sort_onesweep_config_selectorIlNS0_10empty_typeEEEZNS1_34radix_sort_onesweep_global_offsetsIS3_Lb0EPlPS5_mNS0_19identity_decomposerEEE10hipError_tT1_T2_PT3_SE_jT4_jjP12ihipStream_tbEUlT_E_NS1_11comp_targetILNS1_3genE0ELNS1_11target_archE4294967295ELNS1_3gpuE0ELNS1_3repE0EEENS1_52radix_sort_onesweep_histogram_config_static_selectorELNS0_4arch9wavefront6targetE1EEEvSC_,comdat
.Lfunc_end852:
	.size	_ZN7rocprim17ROCPRIM_400000_NS6detail17trampoline_kernelINS0_14default_configENS1_35radix_sort_onesweep_config_selectorIlNS0_10empty_typeEEEZNS1_34radix_sort_onesweep_global_offsetsIS3_Lb0EPlPS5_mNS0_19identity_decomposerEEE10hipError_tT1_T2_PT3_SE_jT4_jjP12ihipStream_tbEUlT_E_NS1_11comp_targetILNS1_3genE0ELNS1_11target_archE4294967295ELNS1_3gpuE0ELNS1_3repE0EEENS1_52radix_sort_onesweep_histogram_config_static_selectorELNS0_4arch9wavefront6targetE1EEEvSC_, .Lfunc_end852-_ZN7rocprim17ROCPRIM_400000_NS6detail17trampoline_kernelINS0_14default_configENS1_35radix_sort_onesweep_config_selectorIlNS0_10empty_typeEEEZNS1_34radix_sort_onesweep_global_offsetsIS3_Lb0EPlPS5_mNS0_19identity_decomposerEEE10hipError_tT1_T2_PT3_SE_jT4_jjP12ihipStream_tbEUlT_E_NS1_11comp_targetILNS1_3genE0ELNS1_11target_archE4294967295ELNS1_3gpuE0ELNS1_3repE0EEENS1_52radix_sort_onesweep_histogram_config_static_selectorELNS0_4arch9wavefront6targetE1EEEvSC_
                                        ; -- End function
	.section	.AMDGPU.csdata,"",@progbits
; Kernel info:
; codeLenInByte = 0
; NumSgprs: 4
; NumVgprs: 0
; NumAgprs: 0
; TotalNumVgprs: 0
; ScratchSize: 0
; MemoryBound: 0
; FloatMode: 240
; IeeeMode: 1
; LDSByteSize: 0 bytes/workgroup (compile time only)
; SGPRBlocks: 0
; VGPRBlocks: 0
; NumSGPRsForWavesPerEU: 4
; NumVGPRsForWavesPerEU: 1
; AccumOffset: 4
; Occupancy: 8
; WaveLimiterHint : 0
; COMPUTE_PGM_RSRC2:SCRATCH_EN: 0
; COMPUTE_PGM_RSRC2:USER_SGPR: 6
; COMPUTE_PGM_RSRC2:TRAP_HANDLER: 0
; COMPUTE_PGM_RSRC2:TGID_X_EN: 1
; COMPUTE_PGM_RSRC2:TGID_Y_EN: 0
; COMPUTE_PGM_RSRC2:TGID_Z_EN: 0
; COMPUTE_PGM_RSRC2:TIDIG_COMP_CNT: 0
; COMPUTE_PGM_RSRC3_GFX90A:ACCUM_OFFSET: 0
; COMPUTE_PGM_RSRC3_GFX90A:TG_SPLIT: 0
	.section	.text._ZN7rocprim17ROCPRIM_400000_NS6detail17trampoline_kernelINS0_14default_configENS1_35radix_sort_onesweep_config_selectorIlNS0_10empty_typeEEEZNS1_34radix_sort_onesweep_global_offsetsIS3_Lb0EPlPS5_mNS0_19identity_decomposerEEE10hipError_tT1_T2_PT3_SE_jT4_jjP12ihipStream_tbEUlT_E_NS1_11comp_targetILNS1_3genE6ELNS1_11target_archE950ELNS1_3gpuE13ELNS1_3repE0EEENS1_52radix_sort_onesweep_histogram_config_static_selectorELNS0_4arch9wavefront6targetE1EEEvSC_,"axG",@progbits,_ZN7rocprim17ROCPRIM_400000_NS6detail17trampoline_kernelINS0_14default_configENS1_35radix_sort_onesweep_config_selectorIlNS0_10empty_typeEEEZNS1_34radix_sort_onesweep_global_offsetsIS3_Lb0EPlPS5_mNS0_19identity_decomposerEEE10hipError_tT1_T2_PT3_SE_jT4_jjP12ihipStream_tbEUlT_E_NS1_11comp_targetILNS1_3genE6ELNS1_11target_archE950ELNS1_3gpuE13ELNS1_3repE0EEENS1_52radix_sort_onesweep_histogram_config_static_selectorELNS0_4arch9wavefront6targetE1EEEvSC_,comdat
	.protected	_ZN7rocprim17ROCPRIM_400000_NS6detail17trampoline_kernelINS0_14default_configENS1_35radix_sort_onesweep_config_selectorIlNS0_10empty_typeEEEZNS1_34radix_sort_onesweep_global_offsetsIS3_Lb0EPlPS5_mNS0_19identity_decomposerEEE10hipError_tT1_T2_PT3_SE_jT4_jjP12ihipStream_tbEUlT_E_NS1_11comp_targetILNS1_3genE6ELNS1_11target_archE950ELNS1_3gpuE13ELNS1_3repE0EEENS1_52radix_sort_onesweep_histogram_config_static_selectorELNS0_4arch9wavefront6targetE1EEEvSC_ ; -- Begin function _ZN7rocprim17ROCPRIM_400000_NS6detail17trampoline_kernelINS0_14default_configENS1_35radix_sort_onesweep_config_selectorIlNS0_10empty_typeEEEZNS1_34radix_sort_onesweep_global_offsetsIS3_Lb0EPlPS5_mNS0_19identity_decomposerEEE10hipError_tT1_T2_PT3_SE_jT4_jjP12ihipStream_tbEUlT_E_NS1_11comp_targetILNS1_3genE6ELNS1_11target_archE950ELNS1_3gpuE13ELNS1_3repE0EEENS1_52radix_sort_onesweep_histogram_config_static_selectorELNS0_4arch9wavefront6targetE1EEEvSC_
	.globl	_ZN7rocprim17ROCPRIM_400000_NS6detail17trampoline_kernelINS0_14default_configENS1_35radix_sort_onesweep_config_selectorIlNS0_10empty_typeEEEZNS1_34radix_sort_onesweep_global_offsetsIS3_Lb0EPlPS5_mNS0_19identity_decomposerEEE10hipError_tT1_T2_PT3_SE_jT4_jjP12ihipStream_tbEUlT_E_NS1_11comp_targetILNS1_3genE6ELNS1_11target_archE950ELNS1_3gpuE13ELNS1_3repE0EEENS1_52radix_sort_onesweep_histogram_config_static_selectorELNS0_4arch9wavefront6targetE1EEEvSC_
	.p2align	8
	.type	_ZN7rocprim17ROCPRIM_400000_NS6detail17trampoline_kernelINS0_14default_configENS1_35radix_sort_onesweep_config_selectorIlNS0_10empty_typeEEEZNS1_34radix_sort_onesweep_global_offsetsIS3_Lb0EPlPS5_mNS0_19identity_decomposerEEE10hipError_tT1_T2_PT3_SE_jT4_jjP12ihipStream_tbEUlT_E_NS1_11comp_targetILNS1_3genE6ELNS1_11target_archE950ELNS1_3gpuE13ELNS1_3repE0EEENS1_52radix_sort_onesweep_histogram_config_static_selectorELNS0_4arch9wavefront6targetE1EEEvSC_,@function
_ZN7rocprim17ROCPRIM_400000_NS6detail17trampoline_kernelINS0_14default_configENS1_35radix_sort_onesweep_config_selectorIlNS0_10empty_typeEEEZNS1_34radix_sort_onesweep_global_offsetsIS3_Lb0EPlPS5_mNS0_19identity_decomposerEEE10hipError_tT1_T2_PT3_SE_jT4_jjP12ihipStream_tbEUlT_E_NS1_11comp_targetILNS1_3genE6ELNS1_11target_archE950ELNS1_3gpuE13ELNS1_3repE0EEENS1_52radix_sort_onesweep_histogram_config_static_selectorELNS0_4arch9wavefront6targetE1EEEvSC_: ; @_ZN7rocprim17ROCPRIM_400000_NS6detail17trampoline_kernelINS0_14default_configENS1_35radix_sort_onesweep_config_selectorIlNS0_10empty_typeEEEZNS1_34radix_sort_onesweep_global_offsetsIS3_Lb0EPlPS5_mNS0_19identity_decomposerEEE10hipError_tT1_T2_PT3_SE_jT4_jjP12ihipStream_tbEUlT_E_NS1_11comp_targetILNS1_3genE6ELNS1_11target_archE950ELNS1_3gpuE13ELNS1_3repE0EEENS1_52radix_sort_onesweep_histogram_config_static_selectorELNS0_4arch9wavefront6targetE1EEEvSC_
; %bb.0:
	.section	.rodata,"a",@progbits
	.p2align	6, 0x0
	.amdhsa_kernel _ZN7rocprim17ROCPRIM_400000_NS6detail17trampoline_kernelINS0_14default_configENS1_35radix_sort_onesweep_config_selectorIlNS0_10empty_typeEEEZNS1_34radix_sort_onesweep_global_offsetsIS3_Lb0EPlPS5_mNS0_19identity_decomposerEEE10hipError_tT1_T2_PT3_SE_jT4_jjP12ihipStream_tbEUlT_E_NS1_11comp_targetILNS1_3genE6ELNS1_11target_archE950ELNS1_3gpuE13ELNS1_3repE0EEENS1_52radix_sort_onesweep_histogram_config_static_selectorELNS0_4arch9wavefront6targetE1EEEvSC_
		.amdhsa_group_segment_fixed_size 0
		.amdhsa_private_segment_fixed_size 0
		.amdhsa_kernarg_size 48
		.amdhsa_user_sgpr_count 6
		.amdhsa_user_sgpr_private_segment_buffer 1
		.amdhsa_user_sgpr_dispatch_ptr 0
		.amdhsa_user_sgpr_queue_ptr 0
		.amdhsa_user_sgpr_kernarg_segment_ptr 1
		.amdhsa_user_sgpr_dispatch_id 0
		.amdhsa_user_sgpr_flat_scratch_init 0
		.amdhsa_user_sgpr_kernarg_preload_length 0
		.amdhsa_user_sgpr_kernarg_preload_offset 0
		.amdhsa_user_sgpr_private_segment_size 0
		.amdhsa_uses_dynamic_stack 0
		.amdhsa_system_sgpr_private_segment_wavefront_offset 0
		.amdhsa_system_sgpr_workgroup_id_x 1
		.amdhsa_system_sgpr_workgroup_id_y 0
		.amdhsa_system_sgpr_workgroup_id_z 0
		.amdhsa_system_sgpr_workgroup_info 0
		.amdhsa_system_vgpr_workitem_id 0
		.amdhsa_next_free_vgpr 1
		.amdhsa_next_free_sgpr 0
		.amdhsa_accum_offset 4
		.amdhsa_reserve_vcc 0
		.amdhsa_reserve_flat_scratch 0
		.amdhsa_float_round_mode_32 0
		.amdhsa_float_round_mode_16_64 0
		.amdhsa_float_denorm_mode_32 3
		.amdhsa_float_denorm_mode_16_64 3
		.amdhsa_dx10_clamp 1
		.amdhsa_ieee_mode 1
		.amdhsa_fp16_overflow 0
		.amdhsa_tg_split 0
		.amdhsa_exception_fp_ieee_invalid_op 0
		.amdhsa_exception_fp_denorm_src 0
		.amdhsa_exception_fp_ieee_div_zero 0
		.amdhsa_exception_fp_ieee_overflow 0
		.amdhsa_exception_fp_ieee_underflow 0
		.amdhsa_exception_fp_ieee_inexact 0
		.amdhsa_exception_int_div_zero 0
	.end_amdhsa_kernel
	.section	.text._ZN7rocprim17ROCPRIM_400000_NS6detail17trampoline_kernelINS0_14default_configENS1_35radix_sort_onesweep_config_selectorIlNS0_10empty_typeEEEZNS1_34radix_sort_onesweep_global_offsetsIS3_Lb0EPlPS5_mNS0_19identity_decomposerEEE10hipError_tT1_T2_PT3_SE_jT4_jjP12ihipStream_tbEUlT_E_NS1_11comp_targetILNS1_3genE6ELNS1_11target_archE950ELNS1_3gpuE13ELNS1_3repE0EEENS1_52radix_sort_onesweep_histogram_config_static_selectorELNS0_4arch9wavefront6targetE1EEEvSC_,"axG",@progbits,_ZN7rocprim17ROCPRIM_400000_NS6detail17trampoline_kernelINS0_14default_configENS1_35radix_sort_onesweep_config_selectorIlNS0_10empty_typeEEEZNS1_34radix_sort_onesweep_global_offsetsIS3_Lb0EPlPS5_mNS0_19identity_decomposerEEE10hipError_tT1_T2_PT3_SE_jT4_jjP12ihipStream_tbEUlT_E_NS1_11comp_targetILNS1_3genE6ELNS1_11target_archE950ELNS1_3gpuE13ELNS1_3repE0EEENS1_52radix_sort_onesweep_histogram_config_static_selectorELNS0_4arch9wavefront6targetE1EEEvSC_,comdat
.Lfunc_end853:
	.size	_ZN7rocprim17ROCPRIM_400000_NS6detail17trampoline_kernelINS0_14default_configENS1_35radix_sort_onesweep_config_selectorIlNS0_10empty_typeEEEZNS1_34radix_sort_onesweep_global_offsetsIS3_Lb0EPlPS5_mNS0_19identity_decomposerEEE10hipError_tT1_T2_PT3_SE_jT4_jjP12ihipStream_tbEUlT_E_NS1_11comp_targetILNS1_3genE6ELNS1_11target_archE950ELNS1_3gpuE13ELNS1_3repE0EEENS1_52radix_sort_onesweep_histogram_config_static_selectorELNS0_4arch9wavefront6targetE1EEEvSC_, .Lfunc_end853-_ZN7rocprim17ROCPRIM_400000_NS6detail17trampoline_kernelINS0_14default_configENS1_35radix_sort_onesweep_config_selectorIlNS0_10empty_typeEEEZNS1_34radix_sort_onesweep_global_offsetsIS3_Lb0EPlPS5_mNS0_19identity_decomposerEEE10hipError_tT1_T2_PT3_SE_jT4_jjP12ihipStream_tbEUlT_E_NS1_11comp_targetILNS1_3genE6ELNS1_11target_archE950ELNS1_3gpuE13ELNS1_3repE0EEENS1_52radix_sort_onesweep_histogram_config_static_selectorELNS0_4arch9wavefront6targetE1EEEvSC_
                                        ; -- End function
	.section	.AMDGPU.csdata,"",@progbits
; Kernel info:
; codeLenInByte = 0
; NumSgprs: 4
; NumVgprs: 0
; NumAgprs: 0
; TotalNumVgprs: 0
; ScratchSize: 0
; MemoryBound: 0
; FloatMode: 240
; IeeeMode: 1
; LDSByteSize: 0 bytes/workgroup (compile time only)
; SGPRBlocks: 0
; VGPRBlocks: 0
; NumSGPRsForWavesPerEU: 4
; NumVGPRsForWavesPerEU: 1
; AccumOffset: 4
; Occupancy: 8
; WaveLimiterHint : 0
; COMPUTE_PGM_RSRC2:SCRATCH_EN: 0
; COMPUTE_PGM_RSRC2:USER_SGPR: 6
; COMPUTE_PGM_RSRC2:TRAP_HANDLER: 0
; COMPUTE_PGM_RSRC2:TGID_X_EN: 1
; COMPUTE_PGM_RSRC2:TGID_Y_EN: 0
; COMPUTE_PGM_RSRC2:TGID_Z_EN: 0
; COMPUTE_PGM_RSRC2:TIDIG_COMP_CNT: 0
; COMPUTE_PGM_RSRC3_GFX90A:ACCUM_OFFSET: 0
; COMPUTE_PGM_RSRC3_GFX90A:TG_SPLIT: 0
	.section	.text._ZN7rocprim17ROCPRIM_400000_NS6detail17trampoline_kernelINS0_14default_configENS1_35radix_sort_onesweep_config_selectorIlNS0_10empty_typeEEEZNS1_34radix_sort_onesweep_global_offsetsIS3_Lb0EPlPS5_mNS0_19identity_decomposerEEE10hipError_tT1_T2_PT3_SE_jT4_jjP12ihipStream_tbEUlT_E_NS1_11comp_targetILNS1_3genE5ELNS1_11target_archE942ELNS1_3gpuE9ELNS1_3repE0EEENS1_52radix_sort_onesweep_histogram_config_static_selectorELNS0_4arch9wavefront6targetE1EEEvSC_,"axG",@progbits,_ZN7rocprim17ROCPRIM_400000_NS6detail17trampoline_kernelINS0_14default_configENS1_35radix_sort_onesweep_config_selectorIlNS0_10empty_typeEEEZNS1_34radix_sort_onesweep_global_offsetsIS3_Lb0EPlPS5_mNS0_19identity_decomposerEEE10hipError_tT1_T2_PT3_SE_jT4_jjP12ihipStream_tbEUlT_E_NS1_11comp_targetILNS1_3genE5ELNS1_11target_archE942ELNS1_3gpuE9ELNS1_3repE0EEENS1_52radix_sort_onesweep_histogram_config_static_selectorELNS0_4arch9wavefront6targetE1EEEvSC_,comdat
	.protected	_ZN7rocprim17ROCPRIM_400000_NS6detail17trampoline_kernelINS0_14default_configENS1_35radix_sort_onesweep_config_selectorIlNS0_10empty_typeEEEZNS1_34radix_sort_onesweep_global_offsetsIS3_Lb0EPlPS5_mNS0_19identity_decomposerEEE10hipError_tT1_T2_PT3_SE_jT4_jjP12ihipStream_tbEUlT_E_NS1_11comp_targetILNS1_3genE5ELNS1_11target_archE942ELNS1_3gpuE9ELNS1_3repE0EEENS1_52radix_sort_onesweep_histogram_config_static_selectorELNS0_4arch9wavefront6targetE1EEEvSC_ ; -- Begin function _ZN7rocprim17ROCPRIM_400000_NS6detail17trampoline_kernelINS0_14default_configENS1_35radix_sort_onesweep_config_selectorIlNS0_10empty_typeEEEZNS1_34radix_sort_onesweep_global_offsetsIS3_Lb0EPlPS5_mNS0_19identity_decomposerEEE10hipError_tT1_T2_PT3_SE_jT4_jjP12ihipStream_tbEUlT_E_NS1_11comp_targetILNS1_3genE5ELNS1_11target_archE942ELNS1_3gpuE9ELNS1_3repE0EEENS1_52radix_sort_onesweep_histogram_config_static_selectorELNS0_4arch9wavefront6targetE1EEEvSC_
	.globl	_ZN7rocprim17ROCPRIM_400000_NS6detail17trampoline_kernelINS0_14default_configENS1_35radix_sort_onesweep_config_selectorIlNS0_10empty_typeEEEZNS1_34radix_sort_onesweep_global_offsetsIS3_Lb0EPlPS5_mNS0_19identity_decomposerEEE10hipError_tT1_T2_PT3_SE_jT4_jjP12ihipStream_tbEUlT_E_NS1_11comp_targetILNS1_3genE5ELNS1_11target_archE942ELNS1_3gpuE9ELNS1_3repE0EEENS1_52radix_sort_onesweep_histogram_config_static_selectorELNS0_4arch9wavefront6targetE1EEEvSC_
	.p2align	8
	.type	_ZN7rocprim17ROCPRIM_400000_NS6detail17trampoline_kernelINS0_14default_configENS1_35radix_sort_onesweep_config_selectorIlNS0_10empty_typeEEEZNS1_34radix_sort_onesweep_global_offsetsIS3_Lb0EPlPS5_mNS0_19identity_decomposerEEE10hipError_tT1_T2_PT3_SE_jT4_jjP12ihipStream_tbEUlT_E_NS1_11comp_targetILNS1_3genE5ELNS1_11target_archE942ELNS1_3gpuE9ELNS1_3repE0EEENS1_52radix_sort_onesweep_histogram_config_static_selectorELNS0_4arch9wavefront6targetE1EEEvSC_,@function
_ZN7rocprim17ROCPRIM_400000_NS6detail17trampoline_kernelINS0_14default_configENS1_35radix_sort_onesweep_config_selectorIlNS0_10empty_typeEEEZNS1_34radix_sort_onesweep_global_offsetsIS3_Lb0EPlPS5_mNS0_19identity_decomposerEEE10hipError_tT1_T2_PT3_SE_jT4_jjP12ihipStream_tbEUlT_E_NS1_11comp_targetILNS1_3genE5ELNS1_11target_archE942ELNS1_3gpuE9ELNS1_3repE0EEENS1_52radix_sort_onesweep_histogram_config_static_selectorELNS0_4arch9wavefront6targetE1EEEvSC_: ; @_ZN7rocprim17ROCPRIM_400000_NS6detail17trampoline_kernelINS0_14default_configENS1_35radix_sort_onesweep_config_selectorIlNS0_10empty_typeEEEZNS1_34radix_sort_onesweep_global_offsetsIS3_Lb0EPlPS5_mNS0_19identity_decomposerEEE10hipError_tT1_T2_PT3_SE_jT4_jjP12ihipStream_tbEUlT_E_NS1_11comp_targetILNS1_3genE5ELNS1_11target_archE942ELNS1_3gpuE9ELNS1_3repE0EEENS1_52radix_sort_onesweep_histogram_config_static_selectorELNS0_4arch9wavefront6targetE1EEEvSC_
; %bb.0:
	.section	.rodata,"a",@progbits
	.p2align	6, 0x0
	.amdhsa_kernel _ZN7rocprim17ROCPRIM_400000_NS6detail17trampoline_kernelINS0_14default_configENS1_35radix_sort_onesweep_config_selectorIlNS0_10empty_typeEEEZNS1_34radix_sort_onesweep_global_offsetsIS3_Lb0EPlPS5_mNS0_19identity_decomposerEEE10hipError_tT1_T2_PT3_SE_jT4_jjP12ihipStream_tbEUlT_E_NS1_11comp_targetILNS1_3genE5ELNS1_11target_archE942ELNS1_3gpuE9ELNS1_3repE0EEENS1_52radix_sort_onesweep_histogram_config_static_selectorELNS0_4arch9wavefront6targetE1EEEvSC_
		.amdhsa_group_segment_fixed_size 0
		.amdhsa_private_segment_fixed_size 0
		.amdhsa_kernarg_size 48
		.amdhsa_user_sgpr_count 6
		.amdhsa_user_sgpr_private_segment_buffer 1
		.amdhsa_user_sgpr_dispatch_ptr 0
		.amdhsa_user_sgpr_queue_ptr 0
		.amdhsa_user_sgpr_kernarg_segment_ptr 1
		.amdhsa_user_sgpr_dispatch_id 0
		.amdhsa_user_sgpr_flat_scratch_init 0
		.amdhsa_user_sgpr_kernarg_preload_length 0
		.amdhsa_user_sgpr_kernarg_preload_offset 0
		.amdhsa_user_sgpr_private_segment_size 0
		.amdhsa_uses_dynamic_stack 0
		.amdhsa_system_sgpr_private_segment_wavefront_offset 0
		.amdhsa_system_sgpr_workgroup_id_x 1
		.amdhsa_system_sgpr_workgroup_id_y 0
		.amdhsa_system_sgpr_workgroup_id_z 0
		.amdhsa_system_sgpr_workgroup_info 0
		.amdhsa_system_vgpr_workitem_id 0
		.amdhsa_next_free_vgpr 1
		.amdhsa_next_free_sgpr 0
		.amdhsa_accum_offset 4
		.amdhsa_reserve_vcc 0
		.amdhsa_reserve_flat_scratch 0
		.amdhsa_float_round_mode_32 0
		.amdhsa_float_round_mode_16_64 0
		.amdhsa_float_denorm_mode_32 3
		.amdhsa_float_denorm_mode_16_64 3
		.amdhsa_dx10_clamp 1
		.amdhsa_ieee_mode 1
		.amdhsa_fp16_overflow 0
		.amdhsa_tg_split 0
		.amdhsa_exception_fp_ieee_invalid_op 0
		.amdhsa_exception_fp_denorm_src 0
		.amdhsa_exception_fp_ieee_div_zero 0
		.amdhsa_exception_fp_ieee_overflow 0
		.amdhsa_exception_fp_ieee_underflow 0
		.amdhsa_exception_fp_ieee_inexact 0
		.amdhsa_exception_int_div_zero 0
	.end_amdhsa_kernel
	.section	.text._ZN7rocprim17ROCPRIM_400000_NS6detail17trampoline_kernelINS0_14default_configENS1_35radix_sort_onesweep_config_selectorIlNS0_10empty_typeEEEZNS1_34radix_sort_onesweep_global_offsetsIS3_Lb0EPlPS5_mNS0_19identity_decomposerEEE10hipError_tT1_T2_PT3_SE_jT4_jjP12ihipStream_tbEUlT_E_NS1_11comp_targetILNS1_3genE5ELNS1_11target_archE942ELNS1_3gpuE9ELNS1_3repE0EEENS1_52radix_sort_onesweep_histogram_config_static_selectorELNS0_4arch9wavefront6targetE1EEEvSC_,"axG",@progbits,_ZN7rocprim17ROCPRIM_400000_NS6detail17trampoline_kernelINS0_14default_configENS1_35radix_sort_onesweep_config_selectorIlNS0_10empty_typeEEEZNS1_34radix_sort_onesweep_global_offsetsIS3_Lb0EPlPS5_mNS0_19identity_decomposerEEE10hipError_tT1_T2_PT3_SE_jT4_jjP12ihipStream_tbEUlT_E_NS1_11comp_targetILNS1_3genE5ELNS1_11target_archE942ELNS1_3gpuE9ELNS1_3repE0EEENS1_52radix_sort_onesweep_histogram_config_static_selectorELNS0_4arch9wavefront6targetE1EEEvSC_,comdat
.Lfunc_end854:
	.size	_ZN7rocprim17ROCPRIM_400000_NS6detail17trampoline_kernelINS0_14default_configENS1_35radix_sort_onesweep_config_selectorIlNS0_10empty_typeEEEZNS1_34radix_sort_onesweep_global_offsetsIS3_Lb0EPlPS5_mNS0_19identity_decomposerEEE10hipError_tT1_T2_PT3_SE_jT4_jjP12ihipStream_tbEUlT_E_NS1_11comp_targetILNS1_3genE5ELNS1_11target_archE942ELNS1_3gpuE9ELNS1_3repE0EEENS1_52radix_sort_onesweep_histogram_config_static_selectorELNS0_4arch9wavefront6targetE1EEEvSC_, .Lfunc_end854-_ZN7rocprim17ROCPRIM_400000_NS6detail17trampoline_kernelINS0_14default_configENS1_35radix_sort_onesweep_config_selectorIlNS0_10empty_typeEEEZNS1_34radix_sort_onesweep_global_offsetsIS3_Lb0EPlPS5_mNS0_19identity_decomposerEEE10hipError_tT1_T2_PT3_SE_jT4_jjP12ihipStream_tbEUlT_E_NS1_11comp_targetILNS1_3genE5ELNS1_11target_archE942ELNS1_3gpuE9ELNS1_3repE0EEENS1_52radix_sort_onesweep_histogram_config_static_selectorELNS0_4arch9wavefront6targetE1EEEvSC_
                                        ; -- End function
	.section	.AMDGPU.csdata,"",@progbits
; Kernel info:
; codeLenInByte = 0
; NumSgprs: 4
; NumVgprs: 0
; NumAgprs: 0
; TotalNumVgprs: 0
; ScratchSize: 0
; MemoryBound: 0
; FloatMode: 240
; IeeeMode: 1
; LDSByteSize: 0 bytes/workgroup (compile time only)
; SGPRBlocks: 0
; VGPRBlocks: 0
; NumSGPRsForWavesPerEU: 4
; NumVGPRsForWavesPerEU: 1
; AccumOffset: 4
; Occupancy: 8
; WaveLimiterHint : 0
; COMPUTE_PGM_RSRC2:SCRATCH_EN: 0
; COMPUTE_PGM_RSRC2:USER_SGPR: 6
; COMPUTE_PGM_RSRC2:TRAP_HANDLER: 0
; COMPUTE_PGM_RSRC2:TGID_X_EN: 1
; COMPUTE_PGM_RSRC2:TGID_Y_EN: 0
; COMPUTE_PGM_RSRC2:TGID_Z_EN: 0
; COMPUTE_PGM_RSRC2:TIDIG_COMP_CNT: 0
; COMPUTE_PGM_RSRC3_GFX90A:ACCUM_OFFSET: 0
; COMPUTE_PGM_RSRC3_GFX90A:TG_SPLIT: 0
	.section	.text._ZN7rocprim17ROCPRIM_400000_NS6detail17trampoline_kernelINS0_14default_configENS1_35radix_sort_onesweep_config_selectorIlNS0_10empty_typeEEEZNS1_34radix_sort_onesweep_global_offsetsIS3_Lb0EPlPS5_mNS0_19identity_decomposerEEE10hipError_tT1_T2_PT3_SE_jT4_jjP12ihipStream_tbEUlT_E_NS1_11comp_targetILNS1_3genE2ELNS1_11target_archE906ELNS1_3gpuE6ELNS1_3repE0EEENS1_52radix_sort_onesweep_histogram_config_static_selectorELNS0_4arch9wavefront6targetE1EEEvSC_,"axG",@progbits,_ZN7rocprim17ROCPRIM_400000_NS6detail17trampoline_kernelINS0_14default_configENS1_35radix_sort_onesweep_config_selectorIlNS0_10empty_typeEEEZNS1_34radix_sort_onesweep_global_offsetsIS3_Lb0EPlPS5_mNS0_19identity_decomposerEEE10hipError_tT1_T2_PT3_SE_jT4_jjP12ihipStream_tbEUlT_E_NS1_11comp_targetILNS1_3genE2ELNS1_11target_archE906ELNS1_3gpuE6ELNS1_3repE0EEENS1_52radix_sort_onesweep_histogram_config_static_selectorELNS0_4arch9wavefront6targetE1EEEvSC_,comdat
	.protected	_ZN7rocprim17ROCPRIM_400000_NS6detail17trampoline_kernelINS0_14default_configENS1_35radix_sort_onesweep_config_selectorIlNS0_10empty_typeEEEZNS1_34radix_sort_onesweep_global_offsetsIS3_Lb0EPlPS5_mNS0_19identity_decomposerEEE10hipError_tT1_T2_PT3_SE_jT4_jjP12ihipStream_tbEUlT_E_NS1_11comp_targetILNS1_3genE2ELNS1_11target_archE906ELNS1_3gpuE6ELNS1_3repE0EEENS1_52radix_sort_onesweep_histogram_config_static_selectorELNS0_4arch9wavefront6targetE1EEEvSC_ ; -- Begin function _ZN7rocprim17ROCPRIM_400000_NS6detail17trampoline_kernelINS0_14default_configENS1_35radix_sort_onesweep_config_selectorIlNS0_10empty_typeEEEZNS1_34radix_sort_onesweep_global_offsetsIS3_Lb0EPlPS5_mNS0_19identity_decomposerEEE10hipError_tT1_T2_PT3_SE_jT4_jjP12ihipStream_tbEUlT_E_NS1_11comp_targetILNS1_3genE2ELNS1_11target_archE906ELNS1_3gpuE6ELNS1_3repE0EEENS1_52radix_sort_onesweep_histogram_config_static_selectorELNS0_4arch9wavefront6targetE1EEEvSC_
	.globl	_ZN7rocprim17ROCPRIM_400000_NS6detail17trampoline_kernelINS0_14default_configENS1_35radix_sort_onesweep_config_selectorIlNS0_10empty_typeEEEZNS1_34radix_sort_onesweep_global_offsetsIS3_Lb0EPlPS5_mNS0_19identity_decomposerEEE10hipError_tT1_T2_PT3_SE_jT4_jjP12ihipStream_tbEUlT_E_NS1_11comp_targetILNS1_3genE2ELNS1_11target_archE906ELNS1_3gpuE6ELNS1_3repE0EEENS1_52radix_sort_onesweep_histogram_config_static_selectorELNS0_4arch9wavefront6targetE1EEEvSC_
	.p2align	8
	.type	_ZN7rocprim17ROCPRIM_400000_NS6detail17trampoline_kernelINS0_14default_configENS1_35radix_sort_onesweep_config_selectorIlNS0_10empty_typeEEEZNS1_34radix_sort_onesweep_global_offsetsIS3_Lb0EPlPS5_mNS0_19identity_decomposerEEE10hipError_tT1_T2_PT3_SE_jT4_jjP12ihipStream_tbEUlT_E_NS1_11comp_targetILNS1_3genE2ELNS1_11target_archE906ELNS1_3gpuE6ELNS1_3repE0EEENS1_52radix_sort_onesweep_histogram_config_static_selectorELNS0_4arch9wavefront6targetE1EEEvSC_,@function
_ZN7rocprim17ROCPRIM_400000_NS6detail17trampoline_kernelINS0_14default_configENS1_35radix_sort_onesweep_config_selectorIlNS0_10empty_typeEEEZNS1_34radix_sort_onesweep_global_offsetsIS3_Lb0EPlPS5_mNS0_19identity_decomposerEEE10hipError_tT1_T2_PT3_SE_jT4_jjP12ihipStream_tbEUlT_E_NS1_11comp_targetILNS1_3genE2ELNS1_11target_archE906ELNS1_3gpuE6ELNS1_3repE0EEENS1_52radix_sort_onesweep_histogram_config_static_selectorELNS0_4arch9wavefront6targetE1EEEvSC_: ; @_ZN7rocprim17ROCPRIM_400000_NS6detail17trampoline_kernelINS0_14default_configENS1_35radix_sort_onesweep_config_selectorIlNS0_10empty_typeEEEZNS1_34radix_sort_onesweep_global_offsetsIS3_Lb0EPlPS5_mNS0_19identity_decomposerEEE10hipError_tT1_T2_PT3_SE_jT4_jjP12ihipStream_tbEUlT_E_NS1_11comp_targetILNS1_3genE2ELNS1_11target_archE906ELNS1_3gpuE6ELNS1_3repE0EEENS1_52radix_sort_onesweep_histogram_config_static_selectorELNS0_4arch9wavefront6targetE1EEEvSC_
; %bb.0:
	.section	.rodata,"a",@progbits
	.p2align	6, 0x0
	.amdhsa_kernel _ZN7rocprim17ROCPRIM_400000_NS6detail17trampoline_kernelINS0_14default_configENS1_35radix_sort_onesweep_config_selectorIlNS0_10empty_typeEEEZNS1_34radix_sort_onesweep_global_offsetsIS3_Lb0EPlPS5_mNS0_19identity_decomposerEEE10hipError_tT1_T2_PT3_SE_jT4_jjP12ihipStream_tbEUlT_E_NS1_11comp_targetILNS1_3genE2ELNS1_11target_archE906ELNS1_3gpuE6ELNS1_3repE0EEENS1_52radix_sort_onesweep_histogram_config_static_selectorELNS0_4arch9wavefront6targetE1EEEvSC_
		.amdhsa_group_segment_fixed_size 0
		.amdhsa_private_segment_fixed_size 0
		.amdhsa_kernarg_size 48
		.amdhsa_user_sgpr_count 6
		.amdhsa_user_sgpr_private_segment_buffer 1
		.amdhsa_user_sgpr_dispatch_ptr 0
		.amdhsa_user_sgpr_queue_ptr 0
		.amdhsa_user_sgpr_kernarg_segment_ptr 1
		.amdhsa_user_sgpr_dispatch_id 0
		.amdhsa_user_sgpr_flat_scratch_init 0
		.amdhsa_user_sgpr_kernarg_preload_length 0
		.amdhsa_user_sgpr_kernarg_preload_offset 0
		.amdhsa_user_sgpr_private_segment_size 0
		.amdhsa_uses_dynamic_stack 0
		.amdhsa_system_sgpr_private_segment_wavefront_offset 0
		.amdhsa_system_sgpr_workgroup_id_x 1
		.amdhsa_system_sgpr_workgroup_id_y 0
		.amdhsa_system_sgpr_workgroup_id_z 0
		.amdhsa_system_sgpr_workgroup_info 0
		.amdhsa_system_vgpr_workitem_id 0
		.amdhsa_next_free_vgpr 1
		.amdhsa_next_free_sgpr 0
		.amdhsa_accum_offset 4
		.amdhsa_reserve_vcc 0
		.amdhsa_reserve_flat_scratch 0
		.amdhsa_float_round_mode_32 0
		.amdhsa_float_round_mode_16_64 0
		.amdhsa_float_denorm_mode_32 3
		.amdhsa_float_denorm_mode_16_64 3
		.amdhsa_dx10_clamp 1
		.amdhsa_ieee_mode 1
		.amdhsa_fp16_overflow 0
		.amdhsa_tg_split 0
		.amdhsa_exception_fp_ieee_invalid_op 0
		.amdhsa_exception_fp_denorm_src 0
		.amdhsa_exception_fp_ieee_div_zero 0
		.amdhsa_exception_fp_ieee_overflow 0
		.amdhsa_exception_fp_ieee_underflow 0
		.amdhsa_exception_fp_ieee_inexact 0
		.amdhsa_exception_int_div_zero 0
	.end_amdhsa_kernel
	.section	.text._ZN7rocprim17ROCPRIM_400000_NS6detail17trampoline_kernelINS0_14default_configENS1_35radix_sort_onesweep_config_selectorIlNS0_10empty_typeEEEZNS1_34radix_sort_onesweep_global_offsetsIS3_Lb0EPlPS5_mNS0_19identity_decomposerEEE10hipError_tT1_T2_PT3_SE_jT4_jjP12ihipStream_tbEUlT_E_NS1_11comp_targetILNS1_3genE2ELNS1_11target_archE906ELNS1_3gpuE6ELNS1_3repE0EEENS1_52radix_sort_onesweep_histogram_config_static_selectorELNS0_4arch9wavefront6targetE1EEEvSC_,"axG",@progbits,_ZN7rocprim17ROCPRIM_400000_NS6detail17trampoline_kernelINS0_14default_configENS1_35radix_sort_onesweep_config_selectorIlNS0_10empty_typeEEEZNS1_34radix_sort_onesweep_global_offsetsIS3_Lb0EPlPS5_mNS0_19identity_decomposerEEE10hipError_tT1_T2_PT3_SE_jT4_jjP12ihipStream_tbEUlT_E_NS1_11comp_targetILNS1_3genE2ELNS1_11target_archE906ELNS1_3gpuE6ELNS1_3repE0EEENS1_52radix_sort_onesweep_histogram_config_static_selectorELNS0_4arch9wavefront6targetE1EEEvSC_,comdat
.Lfunc_end855:
	.size	_ZN7rocprim17ROCPRIM_400000_NS6detail17trampoline_kernelINS0_14default_configENS1_35radix_sort_onesweep_config_selectorIlNS0_10empty_typeEEEZNS1_34radix_sort_onesweep_global_offsetsIS3_Lb0EPlPS5_mNS0_19identity_decomposerEEE10hipError_tT1_T2_PT3_SE_jT4_jjP12ihipStream_tbEUlT_E_NS1_11comp_targetILNS1_3genE2ELNS1_11target_archE906ELNS1_3gpuE6ELNS1_3repE0EEENS1_52radix_sort_onesweep_histogram_config_static_selectorELNS0_4arch9wavefront6targetE1EEEvSC_, .Lfunc_end855-_ZN7rocprim17ROCPRIM_400000_NS6detail17trampoline_kernelINS0_14default_configENS1_35radix_sort_onesweep_config_selectorIlNS0_10empty_typeEEEZNS1_34radix_sort_onesweep_global_offsetsIS3_Lb0EPlPS5_mNS0_19identity_decomposerEEE10hipError_tT1_T2_PT3_SE_jT4_jjP12ihipStream_tbEUlT_E_NS1_11comp_targetILNS1_3genE2ELNS1_11target_archE906ELNS1_3gpuE6ELNS1_3repE0EEENS1_52radix_sort_onesweep_histogram_config_static_selectorELNS0_4arch9wavefront6targetE1EEEvSC_
                                        ; -- End function
	.section	.AMDGPU.csdata,"",@progbits
; Kernel info:
; codeLenInByte = 0
; NumSgprs: 4
; NumVgprs: 0
; NumAgprs: 0
; TotalNumVgprs: 0
; ScratchSize: 0
; MemoryBound: 0
; FloatMode: 240
; IeeeMode: 1
; LDSByteSize: 0 bytes/workgroup (compile time only)
; SGPRBlocks: 0
; VGPRBlocks: 0
; NumSGPRsForWavesPerEU: 4
; NumVGPRsForWavesPerEU: 1
; AccumOffset: 4
; Occupancy: 8
; WaveLimiterHint : 0
; COMPUTE_PGM_RSRC2:SCRATCH_EN: 0
; COMPUTE_PGM_RSRC2:USER_SGPR: 6
; COMPUTE_PGM_RSRC2:TRAP_HANDLER: 0
; COMPUTE_PGM_RSRC2:TGID_X_EN: 1
; COMPUTE_PGM_RSRC2:TGID_Y_EN: 0
; COMPUTE_PGM_RSRC2:TGID_Z_EN: 0
; COMPUTE_PGM_RSRC2:TIDIG_COMP_CNT: 0
; COMPUTE_PGM_RSRC3_GFX90A:ACCUM_OFFSET: 0
; COMPUTE_PGM_RSRC3_GFX90A:TG_SPLIT: 0
	.section	.text._ZN7rocprim17ROCPRIM_400000_NS6detail17trampoline_kernelINS0_14default_configENS1_35radix_sort_onesweep_config_selectorIlNS0_10empty_typeEEEZNS1_34radix_sort_onesweep_global_offsetsIS3_Lb0EPlPS5_mNS0_19identity_decomposerEEE10hipError_tT1_T2_PT3_SE_jT4_jjP12ihipStream_tbEUlT_E_NS1_11comp_targetILNS1_3genE4ELNS1_11target_archE910ELNS1_3gpuE8ELNS1_3repE0EEENS1_52radix_sort_onesweep_histogram_config_static_selectorELNS0_4arch9wavefront6targetE1EEEvSC_,"axG",@progbits,_ZN7rocprim17ROCPRIM_400000_NS6detail17trampoline_kernelINS0_14default_configENS1_35radix_sort_onesweep_config_selectorIlNS0_10empty_typeEEEZNS1_34radix_sort_onesweep_global_offsetsIS3_Lb0EPlPS5_mNS0_19identity_decomposerEEE10hipError_tT1_T2_PT3_SE_jT4_jjP12ihipStream_tbEUlT_E_NS1_11comp_targetILNS1_3genE4ELNS1_11target_archE910ELNS1_3gpuE8ELNS1_3repE0EEENS1_52radix_sort_onesweep_histogram_config_static_selectorELNS0_4arch9wavefront6targetE1EEEvSC_,comdat
	.protected	_ZN7rocprim17ROCPRIM_400000_NS6detail17trampoline_kernelINS0_14default_configENS1_35radix_sort_onesweep_config_selectorIlNS0_10empty_typeEEEZNS1_34radix_sort_onesweep_global_offsetsIS3_Lb0EPlPS5_mNS0_19identity_decomposerEEE10hipError_tT1_T2_PT3_SE_jT4_jjP12ihipStream_tbEUlT_E_NS1_11comp_targetILNS1_3genE4ELNS1_11target_archE910ELNS1_3gpuE8ELNS1_3repE0EEENS1_52radix_sort_onesweep_histogram_config_static_selectorELNS0_4arch9wavefront6targetE1EEEvSC_ ; -- Begin function _ZN7rocprim17ROCPRIM_400000_NS6detail17trampoline_kernelINS0_14default_configENS1_35radix_sort_onesweep_config_selectorIlNS0_10empty_typeEEEZNS1_34radix_sort_onesweep_global_offsetsIS3_Lb0EPlPS5_mNS0_19identity_decomposerEEE10hipError_tT1_T2_PT3_SE_jT4_jjP12ihipStream_tbEUlT_E_NS1_11comp_targetILNS1_3genE4ELNS1_11target_archE910ELNS1_3gpuE8ELNS1_3repE0EEENS1_52radix_sort_onesweep_histogram_config_static_selectorELNS0_4arch9wavefront6targetE1EEEvSC_
	.globl	_ZN7rocprim17ROCPRIM_400000_NS6detail17trampoline_kernelINS0_14default_configENS1_35radix_sort_onesweep_config_selectorIlNS0_10empty_typeEEEZNS1_34radix_sort_onesweep_global_offsetsIS3_Lb0EPlPS5_mNS0_19identity_decomposerEEE10hipError_tT1_T2_PT3_SE_jT4_jjP12ihipStream_tbEUlT_E_NS1_11comp_targetILNS1_3genE4ELNS1_11target_archE910ELNS1_3gpuE8ELNS1_3repE0EEENS1_52radix_sort_onesweep_histogram_config_static_selectorELNS0_4arch9wavefront6targetE1EEEvSC_
	.p2align	8
	.type	_ZN7rocprim17ROCPRIM_400000_NS6detail17trampoline_kernelINS0_14default_configENS1_35radix_sort_onesweep_config_selectorIlNS0_10empty_typeEEEZNS1_34radix_sort_onesweep_global_offsetsIS3_Lb0EPlPS5_mNS0_19identity_decomposerEEE10hipError_tT1_T2_PT3_SE_jT4_jjP12ihipStream_tbEUlT_E_NS1_11comp_targetILNS1_3genE4ELNS1_11target_archE910ELNS1_3gpuE8ELNS1_3repE0EEENS1_52radix_sort_onesweep_histogram_config_static_selectorELNS0_4arch9wavefront6targetE1EEEvSC_,@function
_ZN7rocprim17ROCPRIM_400000_NS6detail17trampoline_kernelINS0_14default_configENS1_35radix_sort_onesweep_config_selectorIlNS0_10empty_typeEEEZNS1_34radix_sort_onesweep_global_offsetsIS3_Lb0EPlPS5_mNS0_19identity_decomposerEEE10hipError_tT1_T2_PT3_SE_jT4_jjP12ihipStream_tbEUlT_E_NS1_11comp_targetILNS1_3genE4ELNS1_11target_archE910ELNS1_3gpuE8ELNS1_3repE0EEENS1_52radix_sort_onesweep_histogram_config_static_selectorELNS0_4arch9wavefront6targetE1EEEvSC_: ; @_ZN7rocprim17ROCPRIM_400000_NS6detail17trampoline_kernelINS0_14default_configENS1_35radix_sort_onesweep_config_selectorIlNS0_10empty_typeEEEZNS1_34radix_sort_onesweep_global_offsetsIS3_Lb0EPlPS5_mNS0_19identity_decomposerEEE10hipError_tT1_T2_PT3_SE_jT4_jjP12ihipStream_tbEUlT_E_NS1_11comp_targetILNS1_3genE4ELNS1_11target_archE910ELNS1_3gpuE8ELNS1_3repE0EEENS1_52radix_sort_onesweep_histogram_config_static_selectorELNS0_4arch9wavefront6targetE1EEEvSC_
; %bb.0:
	s_load_dwordx2 s[10:11], s[4:5], 0x18
	s_load_dwordx4 s[0:3], s[4:5], 0x0
	s_load_dwordx2 s[8:9], s[4:5], 0x24
	s_mov_b32 s7, 0
	v_pk_mov_b32 v[2:3], s[6:7], s[6:7] op_sel:[0,1]
	s_lshl_b64 s[6:7], s[6:7], 16
	s_waitcnt lgkmcnt(0)
	v_cmp_le_u64_e32 vcc, s[10:11], v[2:3]
	s_add_u32 s6, s0, s6
	s_addc_u32 s7, s1, s7
	s_mov_b64 s[0:1], -1
	s_cbranch_vccz .LBB856_319
; %bb.1:
	s_load_dword s0, s[4:5], 0x10
	s_lshl_b32 s1, s10, 13
                                        ; implicit-def: $vgpr16_vgpr17
	s_waitcnt lgkmcnt(0)
	s_sub_i32 s16, s0, s1
	v_cmp_gt_u32_e32 vcc, s16, v0
	s_and_saveexec_b64 s[0:1], vcc
	s_cbranch_execz .LBB856_3
; %bb.2:
	v_lshlrev_b32_e32 v1, 3, v0
	global_load_dwordx2 v[16:17], v1, s[6:7]
.LBB856_3:
	s_or_b64 exec, exec, s[0:1]
	v_or_b32_e32 v24, 0x400, v0
	v_cmp_gt_u32_e32 vcc, s16, v24
                                        ; implicit-def: $vgpr14_vgpr15
	s_and_saveexec_b64 s[0:1], vcc
	s_cbranch_execz .LBB856_5
; %bb.4:
	v_lshlrev_b32_e32 v1, 3, v24
	global_load_dwordx2 v[14:15], v1, s[6:7]
.LBB856_5:
	s_or_b64 exec, exec, s[0:1]
	v_or_b32_e32 v23, 0x800, v0
	v_cmp_gt_u32_e32 vcc, s16, v23
                                        ; implicit-def: $vgpr12_vgpr13
	s_and_saveexec_b64 s[0:1], vcc
	s_cbranch_execz .LBB856_7
; %bb.6:
	v_lshlrev_b32_e32 v1, 3, v23
	global_load_dwordx2 v[12:13], v1, s[6:7]
.LBB856_7:
	s_or_b64 exec, exec, s[0:1]
	v_or_b32_e32 v22, 0xc00, v0
	v_cmp_gt_u32_e32 vcc, s16, v22
                                        ; implicit-def: $vgpr10_vgpr11
	s_and_saveexec_b64 s[0:1], vcc
	s_cbranch_execz .LBB856_9
; %bb.8:
	v_lshlrev_b32_e32 v1, 3, v22
	global_load_dwordx2 v[10:11], v1, s[6:7]
.LBB856_9:
	s_or_b64 exec, exec, s[0:1]
	v_or_b32_e32 v21, 0x1000, v0
	v_cmp_gt_u32_e32 vcc, s16, v21
                                        ; implicit-def: $vgpr8_vgpr9
	s_and_saveexec_b64 s[0:1], vcc
	s_cbranch_execz .LBB856_11
; %bb.10:
	v_lshlrev_b32_e32 v1, 3, v21
	global_load_dwordx2 v[8:9], v1, s[6:7]
.LBB856_11:
	s_or_b64 exec, exec, s[0:1]
	v_or_b32_e32 v20, 0x1400, v0
	v_cmp_gt_u32_e32 vcc, s16, v20
                                        ; implicit-def: $vgpr6_vgpr7
	s_and_saveexec_b64 s[0:1], vcc
	s_cbranch_execz .LBB856_13
; %bb.12:
	v_lshlrev_b32_e32 v1, 3, v20
	global_load_dwordx2 v[6:7], v1, s[6:7]
.LBB856_13:
	s_or_b64 exec, exec, s[0:1]
	v_or_b32_e32 v19, 0x1800, v0
	v_cmp_gt_u32_e32 vcc, s16, v19
                                        ; implicit-def: $vgpr4_vgpr5
	s_and_saveexec_b64 s[0:1], vcc
	s_cbranch_execz .LBB856_15
; %bb.14:
	v_lshlrev_b32_e32 v1, 3, v19
	global_load_dwordx2 v[4:5], v1, s[6:7]
.LBB856_15:
	s_or_b64 exec, exec, s[0:1]
	v_or_b32_e32 v18, 0x1c00, v0
	v_cmp_gt_u32_e32 vcc, s16, v18
                                        ; implicit-def: $vgpr2_vgpr3
	s_and_saveexec_b64 s[0:1], vcc
	s_cbranch_execz .LBB856_17
; %bb.16:
	v_lshlrev_b32_e32 v1, 3, v18
	global_load_dwordx2 v[2:3], v1, s[6:7]
.LBB856_17:
	s_or_b64 exec, exec, s[0:1]
	s_cmp_le_u32 s9, s8
	s_cselect_b64 s[4:5], -1, 0
	v_cmp_le_u32_e32 vcc, s16, v0
	s_and_b64 s[0:1], s[4:5], exec
	v_lshlrev_b32_e32 v25, 2, v0
	v_mov_b32_e32 v26, 0
	s_cselect_b32 s17, 8, 10
	s_or_b64 s[0:1], s[4:5], vcc
	v_and_b32_e32 v1, 3, v0
	ds_write2st64_b32 v25, v26, v26 offset1:16
	ds_write2st64_b32 v25, v26, v26 offset0:32 offset1:48
	ds_write2st64_b32 v25, v26, v26 offset0:64 offset1:80
	;; [unrolled: 1-line block ×3, first 2 shown]
	s_waitcnt vmcnt(0)
	v_xor_b32_e32 v17, 0x80000000, v17
	s_xor_b64 s[10:11], s[0:1], -1
	v_mov_b32_e32 v25, s17
	s_waitcnt lgkmcnt(0)
	s_barrier
	s_and_saveexec_b64 s[0:1], s[10:11]
	s_cbranch_execz .LBB856_19
; %bb.18:
	s_sub_i32 s10, s9, s8
	s_min_u32 s10, s10, 8
	v_lshrrev_b64 v[26:27], s8, v[16:17]
	v_bfe_u32 v25, v26, 0, s10
	v_lshlrev_b32_e32 v26, 2, v1
	v_lshl_or_b32 v25, v25, 4, v26
	v_mov_b32_e32 v26, 1
	ds_add_u32 v25, v26
	v_mov_b32_e32 v25, 0
.LBB856_19:
	s_or_b64 exec, exec, s[0:1]
	v_cmp_gt_i32_e64 s[0:1], 10, v25
	s_mov_b64 s[12:13], -1
	s_and_saveexec_b64 s[10:11], s[0:1]
; %bb.20:
	v_cmp_eq_u32_e64 s[0:1], 0, v25
	s_orn2_b64 s[12:13], s[0:1], exec
; %bb.21:
	s_or_b64 exec, exec, s[10:11]
	s_and_saveexec_b64 s[10:11], s[12:13]
	s_cbranch_execz .LBB856_54
; %bb.22:
	s_add_i32 s12, s8, 8
	s_cmp_le_u32 s9, s12
	s_cselect_b64 s[0:1], -1, 0
	s_and_b64 s[14:15], s[0:1], exec
	s_cselect_b32 s13, 8, 10
	s_or_b64 s[0:1], s[0:1], vcc
	s_xor_b64 s[14:15], s[0:1], -1
	v_mov_b32_e32 v25, s13
	s_and_saveexec_b64 s[0:1], s[14:15]
	s_cbranch_execz .LBB856_24
; %bb.23:
	s_sub_i32 s13, s9, s12
	s_min_u32 s13, s13, 8
	v_lshrrev_b64 v[26:27], s12, v[16:17]
	v_bfe_u32 v25, v26, 0, s13
	v_lshlrev_b32_e32 v26, 2, v1
	v_lshl_or_b32 v25, v25, 4, v26
	v_mov_b32_e32 v26, 1
	ds_add_u32 v25, v26 offset:4096
	v_mov_b32_e32 v25, 0
.LBB856_24:
	s_or_b64 exec, exec, s[0:1]
	v_cmp_gt_i32_e64 s[0:1], 10, v25
	s_mov_b64 s[12:13], -1
	s_and_saveexec_b64 s[14:15], s[0:1]
; %bb.25:
	v_cmp_eq_u32_e64 s[0:1], 0, v25
	s_orn2_b64 s[12:13], s[0:1], exec
; %bb.26:
	s_or_b64 exec, exec, s[14:15]
	s_and_b64 exec, exec, s[12:13]
	s_cbranch_execz .LBB856_54
; %bb.27:
	s_add_i32 s12, s8, 16
	s_cmp_le_u32 s9, s12
	s_cselect_b64 s[0:1], -1, 0
	s_and_b64 s[14:15], s[0:1], exec
	s_cselect_b32 s13, 8, 10
	s_or_b64 s[0:1], s[0:1], vcc
	s_xor_b64 s[14:15], s[0:1], -1
	v_mov_b32_e32 v25, s13
	s_and_saveexec_b64 s[0:1], s[14:15]
	s_cbranch_execz .LBB856_29
; %bb.28:
	s_sub_i32 s13, s9, s12
	s_min_u32 s13, s13, 8
	v_lshrrev_b64 v[26:27], s12, v[16:17]
	v_bfe_u32 v25, v26, 0, s13
	v_lshlrev_b32_e32 v26, 2, v1
	v_lshl_or_b32 v25, v25, 4, v26
	v_mov_b32_e32 v26, 1
	ds_add_u32 v25, v26 offset:8192
	v_mov_b32_e32 v25, 0
.LBB856_29:
	s_or_b64 exec, exec, s[0:1]
	v_cmp_gt_i32_e64 s[0:1], 10, v25
	s_mov_b64 s[12:13], -1
	s_and_saveexec_b64 s[14:15], s[0:1]
; %bb.30:
	v_cmp_eq_u32_e64 s[0:1], 0, v25
	s_orn2_b64 s[12:13], s[0:1], exec
; %bb.31:
	s_or_b64 exec, exec, s[14:15]
	s_and_b64 exec, exec, s[12:13]
	;; [unrolled: 33-line block ×6, first 2 shown]
	s_cbranch_execz .LBB856_54
; %bb.52:
	s_add_i32 s0, s8, 56
	s_cmp_gt_u32 s9, s0
	s_cselect_b64 s[12:13], -1, 0
	s_xor_b64 s[14:15], vcc, -1
	s_and_b64 s[12:13], s[12:13], s[14:15]
	s_and_b64 exec, exec, s[12:13]
	s_cbranch_execz .LBB856_54
; %bb.53:
	s_sub_i32 s1, s9, s0
	s_min_u32 s1, s1, 8
	v_lshrrev_b64 v[16:17], s0, v[16:17]
	v_bfe_u32 v16, v16, 0, s1
	v_lshlrev_b32_e32 v17, 2, v1
	v_lshl_or_b32 v16, v16, 4, v17
	v_mov_b32_e32 v17, 1
	ds_add_u32 v16, v17 offset:28672
.LBB856_54:
	s_or_b64 exec, exec, s[10:11]
	v_cmp_le_u32_e32 vcc, s16, v24
	s_or_b64 s[0:1], s[4:5], vcc
	v_xor_b32_e32 v15, 0x80000000, v15
	s_xor_b64 s[10:11], s[0:1], -1
	v_mov_b32_e32 v16, s17
	s_and_saveexec_b64 s[0:1], s[10:11]
	s_cbranch_execz .LBB856_56
; %bb.55:
	s_sub_i32 s10, s9, s8
	s_min_u32 s10, s10, 8
	v_lshrrev_b64 v[16:17], s8, v[14:15]
	v_bfe_u32 v16, v16, 0, s10
	v_lshlrev_b32_e32 v17, 2, v1
	v_lshl_or_b32 v16, v16, 4, v17
	v_mov_b32_e32 v17, 1
	ds_add_u32 v16, v17
	v_mov_b32_e32 v16, 0
.LBB856_56:
	s_or_b64 exec, exec, s[0:1]
	v_cmp_gt_i32_e64 s[0:1], 10, v16
	s_mov_b64 s[12:13], -1
	s_and_saveexec_b64 s[10:11], s[0:1]
; %bb.57:
	v_cmp_eq_u32_e64 s[0:1], 0, v16
	s_orn2_b64 s[12:13], s[0:1], exec
; %bb.58:
	s_or_b64 exec, exec, s[10:11]
	s_and_saveexec_b64 s[10:11], s[12:13]
	s_cbranch_execz .LBB856_91
; %bb.59:
	s_add_i32 s12, s8, 8
	s_cmp_le_u32 s9, s12
	s_cselect_b64 s[0:1], -1, 0
	s_and_b64 s[14:15], s[0:1], exec
	s_cselect_b32 s13, 8, 10
	s_or_b64 s[0:1], s[0:1], vcc
	s_xor_b64 s[14:15], s[0:1], -1
	v_mov_b32_e32 v16, s13
	s_and_saveexec_b64 s[0:1], s[14:15]
	s_cbranch_execz .LBB856_61
; %bb.60:
	s_sub_i32 s13, s9, s12
	s_min_u32 s13, s13, 8
	v_lshrrev_b64 v[16:17], s12, v[14:15]
	v_bfe_u32 v16, v16, 0, s13
	v_lshlrev_b32_e32 v17, 2, v1
	v_lshl_or_b32 v16, v16, 4, v17
	v_mov_b32_e32 v17, 1
	ds_add_u32 v16, v17 offset:4096
	v_mov_b32_e32 v16, 0
.LBB856_61:
	s_or_b64 exec, exec, s[0:1]
	v_cmp_gt_i32_e64 s[0:1], 10, v16
	s_mov_b64 s[12:13], -1
	s_and_saveexec_b64 s[14:15], s[0:1]
; %bb.62:
	v_cmp_eq_u32_e64 s[0:1], 0, v16
	s_orn2_b64 s[12:13], s[0:1], exec
; %bb.63:
	s_or_b64 exec, exec, s[14:15]
	s_and_b64 exec, exec, s[12:13]
	s_cbranch_execz .LBB856_91
; %bb.64:
	s_add_i32 s12, s8, 16
	s_cmp_le_u32 s9, s12
	s_cselect_b64 s[0:1], -1, 0
	s_and_b64 s[14:15], s[0:1], exec
	s_cselect_b32 s13, 8, 10
	s_or_b64 s[0:1], s[0:1], vcc
	s_xor_b64 s[14:15], s[0:1], -1
	v_mov_b32_e32 v16, s13
	s_and_saveexec_b64 s[0:1], s[14:15]
	s_cbranch_execz .LBB856_66
; %bb.65:
	s_sub_i32 s13, s9, s12
	s_min_u32 s13, s13, 8
	v_lshrrev_b64 v[16:17], s12, v[14:15]
	v_bfe_u32 v16, v16, 0, s13
	v_lshlrev_b32_e32 v17, 2, v1
	v_lshl_or_b32 v16, v16, 4, v17
	v_mov_b32_e32 v17, 1
	ds_add_u32 v16, v17 offset:8192
	v_mov_b32_e32 v16, 0
.LBB856_66:
	s_or_b64 exec, exec, s[0:1]
	v_cmp_gt_i32_e64 s[0:1], 10, v16
	s_mov_b64 s[12:13], -1
	s_and_saveexec_b64 s[14:15], s[0:1]
; %bb.67:
	v_cmp_eq_u32_e64 s[0:1], 0, v16
	s_orn2_b64 s[12:13], s[0:1], exec
; %bb.68:
	s_or_b64 exec, exec, s[14:15]
	s_and_b64 exec, exec, s[12:13]
	;; [unrolled: 33-line block ×6, first 2 shown]
	s_cbranch_execz .LBB856_91
; %bb.89:
	s_add_i32 s0, s8, 56
	s_cmp_gt_u32 s9, s0
	s_cselect_b64 s[12:13], -1, 0
	s_xor_b64 s[14:15], vcc, -1
	s_and_b64 s[12:13], s[12:13], s[14:15]
	s_and_b64 exec, exec, s[12:13]
	s_cbranch_execz .LBB856_91
; %bb.90:
	s_sub_i32 s1, s9, s0
	s_min_u32 s1, s1, 8
	v_lshrrev_b64 v[14:15], s0, v[14:15]
	v_bfe_u32 v14, v14, 0, s1
	v_lshlrev_b32_e32 v15, 2, v1
	v_lshl_or_b32 v14, v14, 4, v15
	v_mov_b32_e32 v15, 1
	ds_add_u32 v14, v15 offset:28672
.LBB856_91:
	s_or_b64 exec, exec, s[10:11]
	v_cmp_le_u32_e32 vcc, s16, v23
	s_or_b64 s[0:1], s[4:5], vcc
	v_xor_b32_e32 v13, 0x80000000, v13
	s_xor_b64 s[10:11], s[0:1], -1
	v_mov_b32_e32 v14, s17
	s_and_saveexec_b64 s[0:1], s[10:11]
	s_cbranch_execz .LBB856_93
; %bb.92:
	s_sub_i32 s10, s9, s8
	s_min_u32 s10, s10, 8
	v_lshrrev_b64 v[14:15], s8, v[12:13]
	v_bfe_u32 v14, v14, 0, s10
	v_lshlrev_b32_e32 v15, 2, v1
	v_lshl_or_b32 v14, v14, 4, v15
	v_mov_b32_e32 v15, 1
	ds_add_u32 v14, v15
	v_mov_b32_e32 v14, 0
.LBB856_93:
	s_or_b64 exec, exec, s[0:1]
	v_cmp_gt_i32_e64 s[0:1], 10, v14
	s_mov_b64 s[12:13], -1
	s_and_saveexec_b64 s[10:11], s[0:1]
; %bb.94:
	v_cmp_eq_u32_e64 s[0:1], 0, v14
	s_orn2_b64 s[12:13], s[0:1], exec
; %bb.95:
	s_or_b64 exec, exec, s[10:11]
	s_and_saveexec_b64 s[10:11], s[12:13]
	s_cbranch_execz .LBB856_128
; %bb.96:
	s_add_i32 s12, s8, 8
	s_cmp_le_u32 s9, s12
	s_cselect_b64 s[0:1], -1, 0
	s_and_b64 s[14:15], s[0:1], exec
	s_cselect_b32 s13, 8, 10
	s_or_b64 s[0:1], s[0:1], vcc
	s_xor_b64 s[14:15], s[0:1], -1
	v_mov_b32_e32 v14, s13
	s_and_saveexec_b64 s[0:1], s[14:15]
	s_cbranch_execz .LBB856_98
; %bb.97:
	s_sub_i32 s13, s9, s12
	s_min_u32 s13, s13, 8
	v_lshrrev_b64 v[14:15], s12, v[12:13]
	v_bfe_u32 v14, v14, 0, s13
	v_lshlrev_b32_e32 v15, 2, v1
	v_lshl_or_b32 v14, v14, 4, v15
	v_mov_b32_e32 v15, 1
	ds_add_u32 v14, v15 offset:4096
	v_mov_b32_e32 v14, 0
.LBB856_98:
	s_or_b64 exec, exec, s[0:1]
	v_cmp_gt_i32_e64 s[0:1], 10, v14
	s_mov_b64 s[12:13], -1
	s_and_saveexec_b64 s[14:15], s[0:1]
; %bb.99:
	v_cmp_eq_u32_e64 s[0:1], 0, v14
	s_orn2_b64 s[12:13], s[0:1], exec
; %bb.100:
	s_or_b64 exec, exec, s[14:15]
	s_and_b64 exec, exec, s[12:13]
	s_cbranch_execz .LBB856_128
; %bb.101:
	s_add_i32 s12, s8, 16
	s_cmp_le_u32 s9, s12
	s_cselect_b64 s[0:1], -1, 0
	s_and_b64 s[14:15], s[0:1], exec
	s_cselect_b32 s13, 8, 10
	s_or_b64 s[0:1], s[0:1], vcc
	s_xor_b64 s[14:15], s[0:1], -1
	v_mov_b32_e32 v14, s13
	s_and_saveexec_b64 s[0:1], s[14:15]
	s_cbranch_execz .LBB856_103
; %bb.102:
	s_sub_i32 s13, s9, s12
	s_min_u32 s13, s13, 8
	v_lshrrev_b64 v[14:15], s12, v[12:13]
	v_bfe_u32 v14, v14, 0, s13
	v_lshlrev_b32_e32 v15, 2, v1
	v_lshl_or_b32 v14, v14, 4, v15
	v_mov_b32_e32 v15, 1
	ds_add_u32 v14, v15 offset:8192
	v_mov_b32_e32 v14, 0
.LBB856_103:
	s_or_b64 exec, exec, s[0:1]
	v_cmp_gt_i32_e64 s[0:1], 10, v14
	s_mov_b64 s[12:13], -1
	s_and_saveexec_b64 s[14:15], s[0:1]
; %bb.104:
	v_cmp_eq_u32_e64 s[0:1], 0, v14
	s_orn2_b64 s[12:13], s[0:1], exec
; %bb.105:
	s_or_b64 exec, exec, s[14:15]
	s_and_b64 exec, exec, s[12:13]
	;; [unrolled: 33-line block ×6, first 2 shown]
	s_cbranch_execz .LBB856_128
; %bb.126:
	s_add_i32 s0, s8, 56
	s_cmp_gt_u32 s9, s0
	s_cselect_b64 s[12:13], -1, 0
	s_xor_b64 s[14:15], vcc, -1
	s_and_b64 s[12:13], s[12:13], s[14:15]
	s_and_b64 exec, exec, s[12:13]
	s_cbranch_execz .LBB856_128
; %bb.127:
	s_sub_i32 s1, s9, s0
	s_min_u32 s1, s1, 8
	v_lshrrev_b64 v[12:13], s0, v[12:13]
	v_bfe_u32 v12, v12, 0, s1
	v_lshlrev_b32_e32 v13, 2, v1
	v_lshl_or_b32 v12, v12, 4, v13
	v_mov_b32_e32 v13, 1
	ds_add_u32 v12, v13 offset:28672
.LBB856_128:
	s_or_b64 exec, exec, s[10:11]
	v_cmp_le_u32_e32 vcc, s16, v22
	s_or_b64 s[0:1], s[4:5], vcc
	v_xor_b32_e32 v11, 0x80000000, v11
	s_xor_b64 s[10:11], s[0:1], -1
	v_mov_b32_e32 v12, s17
	s_and_saveexec_b64 s[0:1], s[10:11]
	s_cbranch_execz .LBB856_130
; %bb.129:
	s_sub_i32 s10, s9, s8
	s_min_u32 s10, s10, 8
	v_lshrrev_b64 v[12:13], s8, v[10:11]
	v_bfe_u32 v12, v12, 0, s10
	v_lshlrev_b32_e32 v13, 2, v1
	v_lshl_or_b32 v12, v12, 4, v13
	v_mov_b32_e32 v13, 1
	ds_add_u32 v12, v13
	v_mov_b32_e32 v12, 0
.LBB856_130:
	s_or_b64 exec, exec, s[0:1]
	v_cmp_gt_i32_e64 s[0:1], 10, v12
	s_mov_b64 s[12:13], -1
	s_and_saveexec_b64 s[10:11], s[0:1]
; %bb.131:
	v_cmp_eq_u32_e64 s[0:1], 0, v12
	s_orn2_b64 s[12:13], s[0:1], exec
; %bb.132:
	s_or_b64 exec, exec, s[10:11]
	s_and_saveexec_b64 s[10:11], s[12:13]
	s_cbranch_execz .LBB856_165
; %bb.133:
	s_add_i32 s12, s8, 8
	s_cmp_le_u32 s9, s12
	s_cselect_b64 s[0:1], -1, 0
	s_and_b64 s[14:15], s[0:1], exec
	s_cselect_b32 s13, 8, 10
	s_or_b64 s[0:1], s[0:1], vcc
	s_xor_b64 s[14:15], s[0:1], -1
	v_mov_b32_e32 v12, s13
	s_and_saveexec_b64 s[0:1], s[14:15]
	s_cbranch_execz .LBB856_135
; %bb.134:
	s_sub_i32 s13, s9, s12
	s_min_u32 s13, s13, 8
	v_lshrrev_b64 v[12:13], s12, v[10:11]
	v_bfe_u32 v12, v12, 0, s13
	v_lshlrev_b32_e32 v13, 2, v1
	v_lshl_or_b32 v12, v12, 4, v13
	v_mov_b32_e32 v13, 1
	ds_add_u32 v12, v13 offset:4096
	v_mov_b32_e32 v12, 0
.LBB856_135:
	s_or_b64 exec, exec, s[0:1]
	v_cmp_gt_i32_e64 s[0:1], 10, v12
	s_mov_b64 s[12:13], -1
	s_and_saveexec_b64 s[14:15], s[0:1]
; %bb.136:
	v_cmp_eq_u32_e64 s[0:1], 0, v12
	s_orn2_b64 s[12:13], s[0:1], exec
; %bb.137:
	s_or_b64 exec, exec, s[14:15]
	s_and_b64 exec, exec, s[12:13]
	s_cbranch_execz .LBB856_165
; %bb.138:
	s_add_i32 s12, s8, 16
	s_cmp_le_u32 s9, s12
	s_cselect_b64 s[0:1], -1, 0
	s_and_b64 s[14:15], s[0:1], exec
	s_cselect_b32 s13, 8, 10
	s_or_b64 s[0:1], s[0:1], vcc
	s_xor_b64 s[14:15], s[0:1], -1
	v_mov_b32_e32 v12, s13
	s_and_saveexec_b64 s[0:1], s[14:15]
	s_cbranch_execz .LBB856_140
; %bb.139:
	s_sub_i32 s13, s9, s12
	s_min_u32 s13, s13, 8
	v_lshrrev_b64 v[12:13], s12, v[10:11]
	v_bfe_u32 v12, v12, 0, s13
	v_lshlrev_b32_e32 v13, 2, v1
	v_lshl_or_b32 v12, v12, 4, v13
	v_mov_b32_e32 v13, 1
	ds_add_u32 v12, v13 offset:8192
	v_mov_b32_e32 v12, 0
.LBB856_140:
	s_or_b64 exec, exec, s[0:1]
	v_cmp_gt_i32_e64 s[0:1], 10, v12
	s_mov_b64 s[12:13], -1
	s_and_saveexec_b64 s[14:15], s[0:1]
; %bb.141:
	v_cmp_eq_u32_e64 s[0:1], 0, v12
	s_orn2_b64 s[12:13], s[0:1], exec
; %bb.142:
	s_or_b64 exec, exec, s[14:15]
	s_and_b64 exec, exec, s[12:13]
	s_cbranch_execz .LBB856_165
; %bb.143:
	s_add_i32 s12, s8, 24
	s_cmp_le_u32 s9, s12
	s_cselect_b64 s[0:1], -1, 0
	s_and_b64 s[14:15], s[0:1], exec
	s_cselect_b32 s13, 8, 10
	s_or_b64 s[0:1], s[0:1], vcc
	s_xor_b64 s[14:15], s[0:1], -1
	v_mov_b32_e32 v12, s13
	s_and_saveexec_b64 s[0:1], s[14:15]
	s_cbranch_execz .LBB856_145
; %bb.144:
	s_sub_i32 s13, s9, s12
	s_min_u32 s13, s13, 8
	v_lshrrev_b64 v[12:13], s12, v[10:11]
	v_bfe_u32 v12, v12, 0, s13
	v_lshlrev_b32_e32 v13, 2, v1
	v_lshl_or_b32 v12, v12, 4, v13
	v_mov_b32_e32 v13, 1
	ds_add_u32 v12, v13 offset:12288
	v_mov_b32_e32 v12, 0
.LBB856_145:
	s_or_b64 exec, exec, s[0:1]
	v_cmp_gt_i32_e64 s[0:1], 10, v12
	s_mov_b64 s[12:13], -1
	s_and_saveexec_b64 s[14:15], s[0:1]
; %bb.146:
	v_cmp_eq_u32_e64 s[0:1], 0, v12
	s_orn2_b64 s[12:13], s[0:1], exec
; %bb.147:
	s_or_b64 exec, exec, s[14:15]
	s_and_b64 exec, exec, s[12:13]
	s_cbranch_execz .LBB856_165
; %bb.148:
	s_add_i32 s12, s8, 32
	s_cmp_le_u32 s9, s12
	s_cselect_b64 s[0:1], -1, 0
	s_and_b64 s[14:15], s[0:1], exec
	s_cselect_b32 s13, 8, 10
	s_or_b64 s[0:1], s[0:1], vcc
	s_xor_b64 s[14:15], s[0:1], -1
	v_mov_b32_e32 v12, s13
	s_and_saveexec_b64 s[0:1], s[14:15]
	s_cbranch_execz .LBB856_150
; %bb.149:
	s_sub_i32 s13, s9, s12
	s_min_u32 s13, s13, 8
	v_lshrrev_b64 v[12:13], s12, v[10:11]
	v_bfe_u32 v12, v12, 0, s13
	v_lshlrev_b32_e32 v13, 2, v1
	v_lshl_or_b32 v12, v12, 4, v13
	v_mov_b32_e32 v13, 1
	ds_add_u32 v12, v13 offset:16384
	v_mov_b32_e32 v12, 0
.LBB856_150:
	s_or_b64 exec, exec, s[0:1]
	v_cmp_gt_i32_e64 s[0:1], 10, v12
	s_mov_b64 s[12:13], -1
	s_and_saveexec_b64 s[14:15], s[0:1]
; %bb.151:
	v_cmp_eq_u32_e64 s[0:1], 0, v12
	s_orn2_b64 s[12:13], s[0:1], exec
; %bb.152:
	s_or_b64 exec, exec, s[14:15]
	s_and_b64 exec, exec, s[12:13]
	s_cbranch_execz .LBB856_165
; %bb.153:
	s_add_i32 s12, s8, 40
	s_cmp_le_u32 s9, s12
	s_cselect_b64 s[0:1], -1, 0
	s_and_b64 s[14:15], s[0:1], exec
	s_cselect_b32 s13, 8, 10
	s_or_b64 s[0:1], s[0:1], vcc
	s_xor_b64 s[14:15], s[0:1], -1
	v_mov_b32_e32 v12, s13
	s_and_saveexec_b64 s[0:1], s[14:15]
	s_cbranch_execz .LBB856_155
; %bb.154:
	s_sub_i32 s13, s9, s12
	s_min_u32 s13, s13, 8
	v_lshrrev_b64 v[12:13], s12, v[10:11]
	v_bfe_u32 v12, v12, 0, s13
	v_lshlrev_b32_e32 v13, 2, v1
	v_lshl_or_b32 v12, v12, 4, v13
	v_mov_b32_e32 v13, 1
	ds_add_u32 v12, v13 offset:20480
	v_mov_b32_e32 v12, 0
.LBB856_155:
	s_or_b64 exec, exec, s[0:1]
	v_cmp_gt_i32_e64 s[0:1], 10, v12
	s_mov_b64 s[12:13], -1
	s_and_saveexec_b64 s[14:15], s[0:1]
; %bb.156:
	v_cmp_eq_u32_e64 s[0:1], 0, v12
	s_orn2_b64 s[12:13], s[0:1], exec
; %bb.157:
	s_or_b64 exec, exec, s[14:15]
	s_and_b64 exec, exec, s[12:13]
	s_cbranch_execz .LBB856_165
; %bb.158:
	s_add_i32 s12, s8, 48
	s_cmp_le_u32 s9, s12
	s_cselect_b64 s[0:1], -1, 0
	s_and_b64 s[14:15], s[0:1], exec
	s_cselect_b32 s13, 8, 10
	s_or_b64 s[0:1], s[0:1], vcc
	s_xor_b64 s[14:15], s[0:1], -1
	v_mov_b32_e32 v12, s13
	s_and_saveexec_b64 s[0:1], s[14:15]
	s_cbranch_execz .LBB856_160
; %bb.159:
	s_sub_i32 s13, s9, s12
	s_min_u32 s13, s13, 8
	v_lshrrev_b64 v[12:13], s12, v[10:11]
	v_bfe_u32 v12, v12, 0, s13
	v_lshlrev_b32_e32 v13, 2, v1
	v_lshl_or_b32 v12, v12, 4, v13
	v_mov_b32_e32 v13, 1
	ds_add_u32 v12, v13 offset:24576
	v_mov_b32_e32 v12, 0
.LBB856_160:
	s_or_b64 exec, exec, s[0:1]
	v_cmp_gt_i32_e64 s[0:1], 10, v12
	s_mov_b64 s[12:13], -1
	s_and_saveexec_b64 s[14:15], s[0:1]
; %bb.161:
	v_cmp_eq_u32_e64 s[0:1], 0, v12
	s_orn2_b64 s[12:13], s[0:1], exec
; %bb.162:
	s_or_b64 exec, exec, s[14:15]
	s_and_b64 exec, exec, s[12:13]
	s_cbranch_execz .LBB856_165
; %bb.163:
	s_add_i32 s0, s8, 56
	s_cmp_gt_u32 s9, s0
	s_cselect_b64 s[12:13], -1, 0
	s_xor_b64 s[14:15], vcc, -1
	s_and_b64 s[12:13], s[12:13], s[14:15]
	s_and_b64 exec, exec, s[12:13]
	s_cbranch_execz .LBB856_165
; %bb.164:
	s_sub_i32 s1, s9, s0
	s_min_u32 s1, s1, 8
	v_lshrrev_b64 v[10:11], s0, v[10:11]
	v_bfe_u32 v10, v10, 0, s1
	v_lshlrev_b32_e32 v11, 2, v1
	v_lshl_or_b32 v10, v10, 4, v11
	v_mov_b32_e32 v11, 1
	ds_add_u32 v10, v11 offset:28672
.LBB856_165:
	s_or_b64 exec, exec, s[10:11]
	v_cmp_le_u32_e32 vcc, s16, v21
	s_or_b64 s[0:1], s[4:5], vcc
	v_xor_b32_e32 v9, 0x80000000, v9
	s_xor_b64 s[10:11], s[0:1], -1
	v_mov_b32_e32 v10, s17
	s_and_saveexec_b64 s[0:1], s[10:11]
	s_cbranch_execz .LBB856_167
; %bb.166:
	s_sub_i32 s10, s9, s8
	s_min_u32 s10, s10, 8
	v_lshrrev_b64 v[10:11], s8, v[8:9]
	v_bfe_u32 v10, v10, 0, s10
	v_lshlrev_b32_e32 v11, 2, v1
	v_lshl_or_b32 v10, v10, 4, v11
	v_mov_b32_e32 v11, 1
	ds_add_u32 v10, v11
	v_mov_b32_e32 v10, 0
.LBB856_167:
	s_or_b64 exec, exec, s[0:1]
	v_cmp_gt_i32_e64 s[0:1], 10, v10
	s_mov_b64 s[12:13], -1
	s_and_saveexec_b64 s[10:11], s[0:1]
; %bb.168:
	v_cmp_eq_u32_e64 s[0:1], 0, v10
	s_orn2_b64 s[12:13], s[0:1], exec
; %bb.169:
	s_or_b64 exec, exec, s[10:11]
	s_and_saveexec_b64 s[10:11], s[12:13]
	s_cbranch_execz .LBB856_202
; %bb.170:
	s_add_i32 s12, s8, 8
	s_cmp_le_u32 s9, s12
	s_cselect_b64 s[0:1], -1, 0
	s_and_b64 s[14:15], s[0:1], exec
	s_cselect_b32 s13, 8, 10
	s_or_b64 s[0:1], s[0:1], vcc
	s_xor_b64 s[14:15], s[0:1], -1
	v_mov_b32_e32 v10, s13
	s_and_saveexec_b64 s[0:1], s[14:15]
	s_cbranch_execz .LBB856_172
; %bb.171:
	s_sub_i32 s13, s9, s12
	s_min_u32 s13, s13, 8
	v_lshrrev_b64 v[10:11], s12, v[8:9]
	v_bfe_u32 v10, v10, 0, s13
	v_lshlrev_b32_e32 v11, 2, v1
	v_lshl_or_b32 v10, v10, 4, v11
	v_mov_b32_e32 v11, 1
	ds_add_u32 v10, v11 offset:4096
	v_mov_b32_e32 v10, 0
.LBB856_172:
	s_or_b64 exec, exec, s[0:1]
	v_cmp_gt_i32_e64 s[0:1], 10, v10
	s_mov_b64 s[12:13], -1
	s_and_saveexec_b64 s[14:15], s[0:1]
; %bb.173:
	v_cmp_eq_u32_e64 s[0:1], 0, v10
	s_orn2_b64 s[12:13], s[0:1], exec
; %bb.174:
	s_or_b64 exec, exec, s[14:15]
	s_and_b64 exec, exec, s[12:13]
	s_cbranch_execz .LBB856_202
; %bb.175:
	s_add_i32 s12, s8, 16
	s_cmp_le_u32 s9, s12
	s_cselect_b64 s[0:1], -1, 0
	s_and_b64 s[14:15], s[0:1], exec
	s_cselect_b32 s13, 8, 10
	s_or_b64 s[0:1], s[0:1], vcc
	s_xor_b64 s[14:15], s[0:1], -1
	v_mov_b32_e32 v10, s13
	s_and_saveexec_b64 s[0:1], s[14:15]
	s_cbranch_execz .LBB856_177
; %bb.176:
	s_sub_i32 s13, s9, s12
	s_min_u32 s13, s13, 8
	v_lshrrev_b64 v[10:11], s12, v[8:9]
	v_bfe_u32 v10, v10, 0, s13
	v_lshlrev_b32_e32 v11, 2, v1
	v_lshl_or_b32 v10, v10, 4, v11
	v_mov_b32_e32 v11, 1
	ds_add_u32 v10, v11 offset:8192
	v_mov_b32_e32 v10, 0
.LBB856_177:
	s_or_b64 exec, exec, s[0:1]
	v_cmp_gt_i32_e64 s[0:1], 10, v10
	s_mov_b64 s[12:13], -1
	s_and_saveexec_b64 s[14:15], s[0:1]
; %bb.178:
	v_cmp_eq_u32_e64 s[0:1], 0, v10
	s_orn2_b64 s[12:13], s[0:1], exec
; %bb.179:
	s_or_b64 exec, exec, s[14:15]
	s_and_b64 exec, exec, s[12:13]
	;; [unrolled: 33-line block ×6, first 2 shown]
	s_cbranch_execz .LBB856_202
; %bb.200:
	s_add_i32 s0, s8, 56
	s_cmp_gt_u32 s9, s0
	s_cselect_b64 s[12:13], -1, 0
	s_xor_b64 s[14:15], vcc, -1
	s_and_b64 s[12:13], s[12:13], s[14:15]
	s_and_b64 exec, exec, s[12:13]
	s_cbranch_execz .LBB856_202
; %bb.201:
	s_sub_i32 s1, s9, s0
	s_min_u32 s1, s1, 8
	v_lshrrev_b64 v[8:9], s0, v[8:9]
	v_bfe_u32 v8, v8, 0, s1
	v_lshlrev_b32_e32 v9, 2, v1
	v_lshl_or_b32 v8, v8, 4, v9
	v_mov_b32_e32 v9, 1
	ds_add_u32 v8, v9 offset:28672
.LBB856_202:
	s_or_b64 exec, exec, s[10:11]
	v_cmp_le_u32_e32 vcc, s16, v20
	s_or_b64 s[0:1], s[4:5], vcc
	v_xor_b32_e32 v7, 0x80000000, v7
	s_xor_b64 s[10:11], s[0:1], -1
	v_mov_b32_e32 v8, s17
	s_and_saveexec_b64 s[0:1], s[10:11]
	s_cbranch_execz .LBB856_204
; %bb.203:
	s_sub_i32 s10, s9, s8
	s_min_u32 s10, s10, 8
	v_lshrrev_b64 v[8:9], s8, v[6:7]
	v_bfe_u32 v8, v8, 0, s10
	v_lshlrev_b32_e32 v9, 2, v1
	v_lshl_or_b32 v8, v8, 4, v9
	v_mov_b32_e32 v9, 1
	ds_add_u32 v8, v9
	v_mov_b32_e32 v8, 0
.LBB856_204:
	s_or_b64 exec, exec, s[0:1]
	v_cmp_gt_i32_e64 s[0:1], 10, v8
	s_mov_b64 s[12:13], -1
	s_and_saveexec_b64 s[10:11], s[0:1]
; %bb.205:
	v_cmp_eq_u32_e64 s[0:1], 0, v8
	s_orn2_b64 s[12:13], s[0:1], exec
; %bb.206:
	s_or_b64 exec, exec, s[10:11]
	s_and_saveexec_b64 s[10:11], s[12:13]
	s_cbranch_execz .LBB856_239
; %bb.207:
	s_add_i32 s12, s8, 8
	s_cmp_le_u32 s9, s12
	s_cselect_b64 s[0:1], -1, 0
	s_and_b64 s[14:15], s[0:1], exec
	s_cselect_b32 s13, 8, 10
	s_or_b64 s[0:1], s[0:1], vcc
	s_xor_b64 s[14:15], s[0:1], -1
	v_mov_b32_e32 v8, s13
	s_and_saveexec_b64 s[0:1], s[14:15]
	s_cbranch_execz .LBB856_209
; %bb.208:
	s_sub_i32 s13, s9, s12
	s_min_u32 s13, s13, 8
	v_lshrrev_b64 v[8:9], s12, v[6:7]
	v_bfe_u32 v8, v8, 0, s13
	v_lshlrev_b32_e32 v9, 2, v1
	v_lshl_or_b32 v8, v8, 4, v9
	v_mov_b32_e32 v9, 1
	ds_add_u32 v8, v9 offset:4096
	v_mov_b32_e32 v8, 0
.LBB856_209:
	s_or_b64 exec, exec, s[0:1]
	v_cmp_gt_i32_e64 s[0:1], 10, v8
	s_mov_b64 s[12:13], -1
	s_and_saveexec_b64 s[14:15], s[0:1]
; %bb.210:
	v_cmp_eq_u32_e64 s[0:1], 0, v8
	s_orn2_b64 s[12:13], s[0:1], exec
; %bb.211:
	s_or_b64 exec, exec, s[14:15]
	s_and_b64 exec, exec, s[12:13]
	s_cbranch_execz .LBB856_239
; %bb.212:
	s_add_i32 s12, s8, 16
	s_cmp_le_u32 s9, s12
	s_cselect_b64 s[0:1], -1, 0
	s_and_b64 s[14:15], s[0:1], exec
	s_cselect_b32 s13, 8, 10
	s_or_b64 s[0:1], s[0:1], vcc
	s_xor_b64 s[14:15], s[0:1], -1
	v_mov_b32_e32 v8, s13
	s_and_saveexec_b64 s[0:1], s[14:15]
	s_cbranch_execz .LBB856_214
; %bb.213:
	s_sub_i32 s13, s9, s12
	s_min_u32 s13, s13, 8
	v_lshrrev_b64 v[8:9], s12, v[6:7]
	v_bfe_u32 v8, v8, 0, s13
	v_lshlrev_b32_e32 v9, 2, v1
	v_lshl_or_b32 v8, v8, 4, v9
	v_mov_b32_e32 v9, 1
	ds_add_u32 v8, v9 offset:8192
	v_mov_b32_e32 v8, 0
.LBB856_214:
	s_or_b64 exec, exec, s[0:1]
	v_cmp_gt_i32_e64 s[0:1], 10, v8
	s_mov_b64 s[12:13], -1
	s_and_saveexec_b64 s[14:15], s[0:1]
; %bb.215:
	v_cmp_eq_u32_e64 s[0:1], 0, v8
	s_orn2_b64 s[12:13], s[0:1], exec
; %bb.216:
	s_or_b64 exec, exec, s[14:15]
	s_and_b64 exec, exec, s[12:13]
	;; [unrolled: 33-line block ×6, first 2 shown]
	s_cbranch_execz .LBB856_239
; %bb.237:
	s_add_i32 s0, s8, 56
	s_cmp_gt_u32 s9, s0
	s_cselect_b64 s[12:13], -1, 0
	s_xor_b64 s[14:15], vcc, -1
	s_and_b64 s[12:13], s[12:13], s[14:15]
	s_and_b64 exec, exec, s[12:13]
	s_cbranch_execz .LBB856_239
; %bb.238:
	s_sub_i32 s1, s9, s0
	s_min_u32 s1, s1, 8
	v_lshrrev_b64 v[6:7], s0, v[6:7]
	v_bfe_u32 v6, v6, 0, s1
	v_lshlrev_b32_e32 v7, 2, v1
	v_lshl_or_b32 v6, v6, 4, v7
	v_mov_b32_e32 v7, 1
	ds_add_u32 v6, v7 offset:28672
.LBB856_239:
	s_or_b64 exec, exec, s[10:11]
	v_cmp_le_u32_e32 vcc, s16, v19
	s_or_b64 s[0:1], s[4:5], vcc
	v_xor_b32_e32 v5, 0x80000000, v5
	s_xor_b64 s[10:11], s[0:1], -1
	v_mov_b32_e32 v6, s17
	s_and_saveexec_b64 s[0:1], s[10:11]
	s_cbranch_execz .LBB856_241
; %bb.240:
	s_sub_i32 s10, s9, s8
	s_min_u32 s10, s10, 8
	v_lshrrev_b64 v[6:7], s8, v[4:5]
	v_bfe_u32 v6, v6, 0, s10
	v_lshlrev_b32_e32 v7, 2, v1
	v_lshl_or_b32 v6, v6, 4, v7
	v_mov_b32_e32 v7, 1
	ds_add_u32 v6, v7
	v_mov_b32_e32 v6, 0
.LBB856_241:
	s_or_b64 exec, exec, s[0:1]
	v_cmp_gt_i32_e64 s[0:1], 10, v6
	s_mov_b64 s[12:13], -1
	s_and_saveexec_b64 s[10:11], s[0:1]
; %bb.242:
	v_cmp_eq_u32_e64 s[0:1], 0, v6
	s_orn2_b64 s[12:13], s[0:1], exec
; %bb.243:
	s_or_b64 exec, exec, s[10:11]
	s_and_saveexec_b64 s[10:11], s[12:13]
	s_cbranch_execz .LBB856_276
; %bb.244:
	s_add_i32 s12, s8, 8
	s_cmp_le_u32 s9, s12
	s_cselect_b64 s[0:1], -1, 0
	s_and_b64 s[14:15], s[0:1], exec
	s_cselect_b32 s13, 8, 10
	s_or_b64 s[0:1], s[0:1], vcc
	s_xor_b64 s[14:15], s[0:1], -1
	v_mov_b32_e32 v6, s13
	s_and_saveexec_b64 s[0:1], s[14:15]
	s_cbranch_execz .LBB856_246
; %bb.245:
	s_sub_i32 s13, s9, s12
	s_min_u32 s13, s13, 8
	v_lshrrev_b64 v[6:7], s12, v[4:5]
	v_bfe_u32 v6, v6, 0, s13
	v_lshlrev_b32_e32 v7, 2, v1
	v_lshl_or_b32 v6, v6, 4, v7
	v_mov_b32_e32 v7, 1
	ds_add_u32 v6, v7 offset:4096
	v_mov_b32_e32 v6, 0
.LBB856_246:
	s_or_b64 exec, exec, s[0:1]
	v_cmp_gt_i32_e64 s[0:1], 10, v6
	s_mov_b64 s[12:13], -1
	s_and_saveexec_b64 s[14:15], s[0:1]
; %bb.247:
	v_cmp_eq_u32_e64 s[0:1], 0, v6
	s_orn2_b64 s[12:13], s[0:1], exec
; %bb.248:
	s_or_b64 exec, exec, s[14:15]
	s_and_b64 exec, exec, s[12:13]
	s_cbranch_execz .LBB856_276
; %bb.249:
	s_add_i32 s12, s8, 16
	s_cmp_le_u32 s9, s12
	s_cselect_b64 s[0:1], -1, 0
	s_and_b64 s[14:15], s[0:1], exec
	s_cselect_b32 s13, 8, 10
	s_or_b64 s[0:1], s[0:1], vcc
	s_xor_b64 s[14:15], s[0:1], -1
	v_mov_b32_e32 v6, s13
	s_and_saveexec_b64 s[0:1], s[14:15]
	s_cbranch_execz .LBB856_251
; %bb.250:
	s_sub_i32 s13, s9, s12
	s_min_u32 s13, s13, 8
	v_lshrrev_b64 v[6:7], s12, v[4:5]
	v_bfe_u32 v6, v6, 0, s13
	v_lshlrev_b32_e32 v7, 2, v1
	v_lshl_or_b32 v6, v6, 4, v7
	v_mov_b32_e32 v7, 1
	ds_add_u32 v6, v7 offset:8192
	v_mov_b32_e32 v6, 0
.LBB856_251:
	s_or_b64 exec, exec, s[0:1]
	v_cmp_gt_i32_e64 s[0:1], 10, v6
	s_mov_b64 s[12:13], -1
	s_and_saveexec_b64 s[14:15], s[0:1]
; %bb.252:
	v_cmp_eq_u32_e64 s[0:1], 0, v6
	s_orn2_b64 s[12:13], s[0:1], exec
; %bb.253:
	s_or_b64 exec, exec, s[14:15]
	s_and_b64 exec, exec, s[12:13]
	s_cbranch_execz .LBB856_276
; %bb.254:
	s_add_i32 s12, s8, 24
	s_cmp_le_u32 s9, s12
	s_cselect_b64 s[0:1], -1, 0
	s_and_b64 s[14:15], s[0:1], exec
	s_cselect_b32 s13, 8, 10
	s_or_b64 s[0:1], s[0:1], vcc
	s_xor_b64 s[14:15], s[0:1], -1
	v_mov_b32_e32 v6, s13
	s_and_saveexec_b64 s[0:1], s[14:15]
	s_cbranch_execz .LBB856_256
; %bb.255:
	s_sub_i32 s13, s9, s12
	s_min_u32 s13, s13, 8
	v_lshrrev_b64 v[6:7], s12, v[4:5]
	v_bfe_u32 v6, v6, 0, s13
	v_lshlrev_b32_e32 v7, 2, v1
	v_lshl_or_b32 v6, v6, 4, v7
	v_mov_b32_e32 v7, 1
	ds_add_u32 v6, v7 offset:12288
	v_mov_b32_e32 v6, 0
.LBB856_256:
	s_or_b64 exec, exec, s[0:1]
	v_cmp_gt_i32_e64 s[0:1], 10, v6
	s_mov_b64 s[12:13], -1
	s_and_saveexec_b64 s[14:15], s[0:1]
; %bb.257:
	v_cmp_eq_u32_e64 s[0:1], 0, v6
	s_orn2_b64 s[12:13], s[0:1], exec
; %bb.258:
	s_or_b64 exec, exec, s[14:15]
	s_and_b64 exec, exec, s[12:13]
	s_cbranch_execz .LBB856_276
; %bb.259:
	s_add_i32 s12, s8, 32
	s_cmp_le_u32 s9, s12
	s_cselect_b64 s[0:1], -1, 0
	s_and_b64 s[14:15], s[0:1], exec
	s_cselect_b32 s13, 8, 10
	s_or_b64 s[0:1], s[0:1], vcc
	s_xor_b64 s[14:15], s[0:1], -1
	v_mov_b32_e32 v6, s13
	s_and_saveexec_b64 s[0:1], s[14:15]
	s_cbranch_execz .LBB856_261
; %bb.260:
	s_sub_i32 s13, s9, s12
	s_min_u32 s13, s13, 8
	v_lshrrev_b64 v[6:7], s12, v[4:5]
	v_bfe_u32 v6, v6, 0, s13
	v_lshlrev_b32_e32 v7, 2, v1
	v_lshl_or_b32 v6, v6, 4, v7
	v_mov_b32_e32 v7, 1
	ds_add_u32 v6, v7 offset:16384
	v_mov_b32_e32 v6, 0
.LBB856_261:
	s_or_b64 exec, exec, s[0:1]
	v_cmp_gt_i32_e64 s[0:1], 10, v6
	s_mov_b64 s[12:13], -1
	s_and_saveexec_b64 s[14:15], s[0:1]
; %bb.262:
	v_cmp_eq_u32_e64 s[0:1], 0, v6
	s_orn2_b64 s[12:13], s[0:1], exec
; %bb.263:
	s_or_b64 exec, exec, s[14:15]
	s_and_b64 exec, exec, s[12:13]
	s_cbranch_execz .LBB856_276
; %bb.264:
	s_add_i32 s12, s8, 40
	s_cmp_le_u32 s9, s12
	s_cselect_b64 s[0:1], -1, 0
	s_and_b64 s[14:15], s[0:1], exec
	s_cselect_b32 s13, 8, 10
	s_or_b64 s[0:1], s[0:1], vcc
	s_xor_b64 s[14:15], s[0:1], -1
	v_mov_b32_e32 v6, s13
	s_and_saveexec_b64 s[0:1], s[14:15]
	s_cbranch_execz .LBB856_266
; %bb.265:
	s_sub_i32 s13, s9, s12
	s_min_u32 s13, s13, 8
	v_lshrrev_b64 v[6:7], s12, v[4:5]
	v_bfe_u32 v6, v6, 0, s13
	v_lshlrev_b32_e32 v7, 2, v1
	v_lshl_or_b32 v6, v6, 4, v7
	v_mov_b32_e32 v7, 1
	ds_add_u32 v6, v7 offset:20480
	v_mov_b32_e32 v6, 0
.LBB856_266:
	s_or_b64 exec, exec, s[0:1]
	v_cmp_gt_i32_e64 s[0:1], 10, v6
	s_mov_b64 s[12:13], -1
	s_and_saveexec_b64 s[14:15], s[0:1]
; %bb.267:
	v_cmp_eq_u32_e64 s[0:1], 0, v6
	s_orn2_b64 s[12:13], s[0:1], exec
; %bb.268:
	s_or_b64 exec, exec, s[14:15]
	s_and_b64 exec, exec, s[12:13]
	s_cbranch_execz .LBB856_276
; %bb.269:
	s_add_i32 s12, s8, 48
	s_cmp_le_u32 s9, s12
	s_cselect_b64 s[0:1], -1, 0
	s_and_b64 s[14:15], s[0:1], exec
	s_cselect_b32 s13, 8, 10
	s_or_b64 s[0:1], s[0:1], vcc
	s_xor_b64 s[14:15], s[0:1], -1
	v_mov_b32_e32 v6, s13
	s_and_saveexec_b64 s[0:1], s[14:15]
	s_cbranch_execz .LBB856_271
; %bb.270:
	s_sub_i32 s13, s9, s12
	s_min_u32 s13, s13, 8
	v_lshrrev_b64 v[6:7], s12, v[4:5]
	v_bfe_u32 v6, v6, 0, s13
	v_lshlrev_b32_e32 v7, 2, v1
	v_lshl_or_b32 v6, v6, 4, v7
	v_mov_b32_e32 v7, 1
	ds_add_u32 v6, v7 offset:24576
	v_mov_b32_e32 v6, 0
.LBB856_271:
	s_or_b64 exec, exec, s[0:1]
	v_cmp_gt_i32_e64 s[0:1], 10, v6
	s_mov_b64 s[12:13], -1
	s_and_saveexec_b64 s[14:15], s[0:1]
; %bb.272:
	v_cmp_eq_u32_e64 s[0:1], 0, v6
	s_orn2_b64 s[12:13], s[0:1], exec
; %bb.273:
	s_or_b64 exec, exec, s[14:15]
	s_and_b64 exec, exec, s[12:13]
	s_cbranch_execz .LBB856_276
; %bb.274:
	s_add_i32 s0, s8, 56
	s_cmp_gt_u32 s9, s0
	s_cselect_b64 s[12:13], -1, 0
	s_xor_b64 s[14:15], vcc, -1
	s_and_b64 s[12:13], s[12:13], s[14:15]
	s_and_b64 exec, exec, s[12:13]
	s_cbranch_execz .LBB856_276
; %bb.275:
	s_sub_i32 s1, s9, s0
	s_min_u32 s1, s1, 8
	v_lshrrev_b64 v[4:5], s0, v[4:5]
	v_bfe_u32 v4, v4, 0, s1
	v_lshlrev_b32_e32 v5, 2, v1
	v_lshl_or_b32 v4, v4, 4, v5
	v_mov_b32_e32 v5, 1
	ds_add_u32 v4, v5 offset:28672
.LBB856_276:
	s_or_b64 exec, exec, s[10:11]
	v_cmp_le_u32_e32 vcc, s16, v18
	s_or_b64 s[0:1], s[4:5], vcc
	v_xor_b32_e32 v3, 0x80000000, v3
	s_xor_b64 s[4:5], s[0:1], -1
	v_mov_b32_e32 v4, s17
	s_and_saveexec_b64 s[0:1], s[4:5]
	s_cbranch_execz .LBB856_278
; %bb.277:
	s_sub_i32 s4, s9, s8
	s_min_u32 s4, s4, 8
	v_lshrrev_b64 v[4:5], s8, v[2:3]
	v_bfe_u32 v4, v4, 0, s4
	v_lshlrev_b32_e32 v5, 2, v1
	v_lshl_or_b32 v4, v4, 4, v5
	v_mov_b32_e32 v5, 1
	ds_add_u32 v4, v5
	v_mov_b32_e32 v4, 0
.LBB856_278:
	s_or_b64 exec, exec, s[0:1]
	v_cmp_gt_i32_e64 s[0:1], 10, v4
	s_mov_b64 s[10:11], -1
	s_and_saveexec_b64 s[4:5], s[0:1]
; %bb.279:
	v_cmp_eq_u32_e64 s[0:1], 0, v4
	s_orn2_b64 s[10:11], s[0:1], exec
; %bb.280:
	s_or_b64 exec, exec, s[4:5]
	s_and_saveexec_b64 s[4:5], s[10:11]
	s_cbranch_execz .LBB856_313
; %bb.281:
	s_add_i32 s10, s8, 8
	s_cmp_le_u32 s9, s10
	s_cselect_b64 s[0:1], -1, 0
	s_and_b64 s[12:13], s[0:1], exec
	s_cselect_b32 s11, 8, 10
	s_or_b64 s[0:1], s[0:1], vcc
	s_xor_b64 s[12:13], s[0:1], -1
	v_mov_b32_e32 v4, s11
	s_and_saveexec_b64 s[0:1], s[12:13]
	s_cbranch_execz .LBB856_283
; %bb.282:
	s_sub_i32 s11, s9, s10
	s_min_u32 s11, s11, 8
	v_lshrrev_b64 v[4:5], s10, v[2:3]
	v_bfe_u32 v4, v4, 0, s11
	v_lshlrev_b32_e32 v5, 2, v1
	v_lshl_or_b32 v4, v4, 4, v5
	v_mov_b32_e32 v5, 1
	ds_add_u32 v4, v5 offset:4096
	v_mov_b32_e32 v4, 0
.LBB856_283:
	s_or_b64 exec, exec, s[0:1]
	v_cmp_gt_i32_e64 s[0:1], 10, v4
	s_mov_b64 s[10:11], -1
	s_and_saveexec_b64 s[12:13], s[0:1]
; %bb.284:
	v_cmp_eq_u32_e64 s[0:1], 0, v4
	s_orn2_b64 s[10:11], s[0:1], exec
; %bb.285:
	s_or_b64 exec, exec, s[12:13]
	s_and_b64 exec, exec, s[10:11]
	s_cbranch_execz .LBB856_313
; %bb.286:
	s_add_i32 s10, s8, 16
	s_cmp_le_u32 s9, s10
	s_cselect_b64 s[0:1], -1, 0
	s_and_b64 s[12:13], s[0:1], exec
	s_cselect_b32 s11, 8, 10
	s_or_b64 s[0:1], s[0:1], vcc
	s_xor_b64 s[12:13], s[0:1], -1
	v_mov_b32_e32 v4, s11
	s_and_saveexec_b64 s[0:1], s[12:13]
	s_cbranch_execz .LBB856_288
; %bb.287:
	s_sub_i32 s11, s9, s10
	s_min_u32 s11, s11, 8
	v_lshrrev_b64 v[4:5], s10, v[2:3]
	v_bfe_u32 v4, v4, 0, s11
	v_lshlrev_b32_e32 v5, 2, v1
	v_lshl_or_b32 v4, v4, 4, v5
	v_mov_b32_e32 v5, 1
	ds_add_u32 v4, v5 offset:8192
	v_mov_b32_e32 v4, 0
.LBB856_288:
	s_or_b64 exec, exec, s[0:1]
	v_cmp_gt_i32_e64 s[0:1], 10, v4
	s_mov_b64 s[10:11], -1
	s_and_saveexec_b64 s[12:13], s[0:1]
; %bb.289:
	v_cmp_eq_u32_e64 s[0:1], 0, v4
	s_orn2_b64 s[10:11], s[0:1], exec
; %bb.290:
	s_or_b64 exec, exec, s[12:13]
	s_and_b64 exec, exec, s[10:11]
	;; [unrolled: 33-line block ×6, first 2 shown]
	s_cbranch_execz .LBB856_313
; %bb.311:
	s_add_i32 s0, s8, 56
	s_cmp_gt_u32 s9, s0
	s_cselect_b64 s[10:11], -1, 0
	s_xor_b64 s[12:13], vcc, -1
	s_and_b64 s[10:11], s[10:11], s[12:13]
	s_and_b64 exec, exec, s[10:11]
	s_cbranch_execz .LBB856_313
; %bb.312:
	s_sub_i32 s1, s9, s0
	s_min_u32 s1, s1, 8
	v_lshrrev_b64 v[2:3], s0, v[2:3]
	v_bfe_u32 v2, v2, 0, s1
	v_lshlrev_b32_e32 v1, 2, v1
	v_lshl_or_b32 v1, v2, 4, v1
	v_mov_b32_e32 v2, 1
	ds_add_u32 v1, v2 offset:28672
.LBB856_313:
	s_or_b64 exec, exec, s[4:5]
	s_cmp_gt_u32 s9, s8
	s_waitcnt lgkmcnt(0)
	s_barrier
	s_cbranch_scc0 .LBB856_318
; %bb.314:
	s_movk_i32 s0, 0x100
	v_cmp_gt_u32_e32 vcc, s0, v0
	v_lshlrev_b32_e32 v1, 4, v0
	v_mov_b32_e32 v3, 0
	v_mov_b32_e32 v2, v0
	s_mov_b32 s10, s8
	s_branch .LBB856_316
.LBB856_315:                            ;   in Loop: Header=BB856_316 Depth=1
	s_or_b64 exec, exec, s[4:5]
	s_add_i32 s10, s10, 8
	v_add_u32_e32 v2, 0x100, v2
	s_cmp_lt_u32 s10, s9
	v_add_u32_e32 v1, 0x1000, v1
	s_cbranch_scc0 .LBB856_318
.LBB856_316:                            ; =>This Inner Loop Header: Depth=1
	s_and_saveexec_b64 s[4:5], vcc
	s_cbranch_execz .LBB856_315
; %bb.317:                              ;   in Loop: Header=BB856_316 Depth=1
	ds_read2_b32 v[4:5], v1 offset1:1
	ds_read2_b32 v[6:7], v1 offset0:2 offset1:3
	v_lshlrev_b64 v[8:9], 3, v[2:3]
	v_mov_b32_e32 v10, s3
	s_waitcnt lgkmcnt(1)
	v_add_u32_e32 v4, v5, v4
	s_waitcnt lgkmcnt(0)
	v_add3_u32 v4, v4, v6, v7
	v_add_co_u32_e64 v6, s[0:1], s2, v8
	v_addc_co_u32_e64 v7, s[0:1], v10, v9, s[0:1]
	v_mov_b32_e32 v5, v3
	global_atomic_add_x2 v[6:7], v[4:5], off
	s_branch .LBB856_315
.LBB856_318:
	s_mov_b64 s[0:1], 0
.LBB856_319:
	s_and_b64 vcc, exec, s[0:1]
	s_cbranch_vccz .LBB856_411
; %bb.320:
	v_lshlrev_b32_e32 v24, 3, v0
	v_mov_b32_e32 v1, s7
	v_add_co_u32_e32 v8, vcc, s6, v24
	v_addc_co_u32_e32 v1, vcc, 0, v1, vcc
	v_add_co_u32_e32 v2, vcc, 0x2000, v8
	v_addc_co_u32_e32 v3, vcc, 0, v1, vcc
	;; [unrolled: 2-line block ×7, first 2 shown]
	v_add_co_u32_e32 v26, vcc, 0xe000, v8
	global_load_dwordx2 v[16:17], v24, s[6:7]
	global_load_dwordx2 v[14:15], v[2:3], off
	global_load_dwordx2 v[12:13], v[4:5], off
	;; [unrolled: 1-line block ×3, first 2 shown]
	v_addc_co_u32_e32 v27, vcc, 0, v1, vcc
	global_load_dwordx2 v[8:9], v[18:19], off
	global_load_dwordx2 v[6:7], v[20:21], off
	;; [unrolled: 1-line block ×4, first 2 shown]
	s_cmp_eq_u32 s8, 0
	s_cselect_b64 s[0:1], -1, 0
	s_cmp_eq_u32 s9, 64
	s_cselect_b64 s[4:5], -1, 0
	s_and_b64 s[4:5], s[0:1], s[4:5]
	s_mov_b64 s[0:1], -1
	s_and_b64 vcc, exec, s[4:5]
	v_lshlrev_b32_e32 v25, 2, v0
	s_cbranch_vccnz .LBB856_408
; %bb.321:
	s_cmp_gt_u32 s9, s8
	s_cselect_b64 s[0:1], -1, 0
	v_mov_b32_e32 v1, 0
	s_and_b64 vcc, exec, s[0:1]
	ds_write2st64_b32 v25, v1, v1 offset1:16
	ds_write2st64_b32 v25, v1, v1 offset0:32 offset1:48
	ds_write2st64_b32 v25, v1, v1 offset0:64 offset1:80
	;; [unrolled: 1-line block ×3, first 2 shown]
	s_waitcnt lgkmcnt(0)
	s_barrier
	s_cbranch_vccz .LBB856_402
; %bb.322:
	s_sub_i32 s4, s9, s8
	s_min_u32 s4, s4, 8
	s_waitcnt vmcnt(7)
	v_xor_b32_e32 v21, 0x80000000, v17
	v_mov_b32_e32 v20, v16
	s_lshl_b32 s4, -1, s4
	v_and_b32_e32 v1, 3, v0
	s_not_b32 s12, s4
	v_lshrrev_b64 v[22:23], s8, v[20:21]
	v_and_b32_e32 v22, s12, v22
	v_lshlrev_b32_e32 v26, 2, v1
	v_lshl_or_b32 v22, v22, 4, v26
	v_mov_b32_e32 v23, 1
	ds_add_u32 v22, v23
	s_add_i32 s13, s8, 8
	s_cmp_le_u32 s9, s13
	s_waitcnt vmcnt(6)
	v_xor_b32_e32 v19, 0x80000000, v15
	v_mov_b32_e32 v18, v14
	s_cselect_b64 s[4:5], -1, 0
	s_and_b64 vcc, exec, s[4:5]
	v_lshrrev_b64 v[22:23], s8, v[18:19]
	s_cbranch_vccz .LBB856_324
; %bb.323:
	v_and_b32_e32 v23, s12, v22
	v_lshl_or_b32 v23, v23, 2, v1
	s_mov_b64 s[6:7], -1
	s_cbranch_execz .LBB856_325
	s_branch .LBB856_340
.LBB856_324:
	s_mov_b64 s[6:7], 0
                                        ; implicit-def: $vgpr23
.LBB856_325:
	s_sub_i32 s10, s9, s13
	s_min_u32 s10, s10, 8
	s_lshl_b32 s10, -1, s10
	s_not_b32 s15, s10
	v_lshrrev_b64 v[28:29], s13, v[20:21]
	v_and_b32_e32 v23, s15, v28
	v_lshl_or_b32 v27, v23, 4, v26
	v_mov_b32_e32 v23, 1
	ds_add_u32 v27, v23 offset:4096
	s_add_i32 s14, s8, 16
	s_cmp_gt_u32 s9, s14
	s_cselect_b64 s[10:11], -1, 0
	s_cmp_le_u32 s9, s14
	s_cbranch_scc1 .LBB856_332
; %bb.326:
	s_sub_i32 s16, s9, s14
	s_min_u32 s16, s16, 8
	v_lshrrev_b64 v[28:29], s14, v[20:21]
	v_bfe_u32 v27, v28, 0, s16
	v_lshl_or_b32 v27, v27, 4, v26
	ds_add_u32 v27, v23 offset:8192
	s_add_i32 s16, s8, 24
	s_cmp_le_u32 s9, s16
	s_cbranch_scc1 .LBB856_332
; %bb.327:
	s_sub_i32 s17, s9, s16
	s_min_u32 s17, s17, 8
	v_lshrrev_b64 v[28:29], s16, v[20:21]
	v_bfe_u32 v27, v28, 0, s17
	v_lshl_or_b32 v28, v27, 4, v26
	v_mov_b32_e32 v27, 1
	ds_add_u32 v28, v27 offset:12288
	s_add_i32 s16, s8, 32
	s_cmp_le_u32 s9, s16
	s_cbranch_scc1 .LBB856_332
; %bb.328:
	s_sub_i32 s17, s9, s16
	s_min_u32 s17, s17, 8
	v_lshrrev_b64 v[28:29], s16, v[20:21]
	v_bfe_u32 v28, v28, 0, s17
	v_lshl_or_b32 v28, v28, 4, v26
	ds_add_u32 v28, v27 offset:16384
	s_add_i32 s16, s8, 40
	s_cmp_le_u32 s9, s16
	s_cbranch_scc1 .LBB856_332
; %bb.329:
	s_sub_i32 s17, s9, s16
	s_min_u32 s17, s17, 8
	v_lshrrev_b64 v[28:29], s16, v[20:21]
	v_bfe_u32 v27, v28, 0, s17
	v_lshl_or_b32 v28, v27, 4, v26
	v_mov_b32_e32 v27, 1
	ds_add_u32 v28, v27 offset:20480
	s_add_i32 s16, s8, 48
	s_cmp_le_u32 s9, s16
	s_cbranch_scc1 .LBB856_332
; %bb.330:
	s_sub_i32 s17, s9, s16
	s_min_u32 s17, s17, 8
	v_lshrrev_b64 v[28:29], s16, v[20:21]
	v_bfe_u32 v28, v28, 0, s17
	v_lshl_or_b32 v28, v28, 4, v26
	ds_add_u32 v28, v27 offset:24576
	s_add_i32 s16, s8, 56
	s_cmp_le_u32 s9, s16
	s_cbranch_scc1 .LBB856_332
; %bb.331:
	s_sub_i32 s17, s9, s16
	s_min_u32 s17, s17, 8
	v_lshrrev_b64 v[20:21], s16, v[20:21]
	v_bfe_u32 v20, v20, 0, s17
	v_lshl_or_b32 v20, v20, 4, v26
	v_mov_b32_e32 v21, 1
	ds_add_u32 v20, v21 offset:28672
.LBB856_332:
	v_and_b32_e32 v20, s12, v22
	v_lshl_or_b32 v20, v20, 4, v26
	ds_add_u32 v20, v23
	v_lshrrev_b64 v[20:21], s13, v[18:19]
	v_and_b32_e32 v20, s15, v20
	v_lshl_or_b32 v20, v20, 4, v26
	ds_add_u32 v20, v23 offset:4096
	s_andn2_b64 vcc, exec, s[10:11]
	s_cbranch_vccnz .LBB856_339
; %bb.333:
	s_sub_i32 s10, s9, s14
	s_min_u32 s10, s10, 8
	v_lshrrev_b64 v[20:21], s14, v[18:19]
	v_bfe_u32 v20, v20, 0, s10
	v_lshl_or_b32 v21, v20, 4, v26
	v_mov_b32_e32 v20, 1
	ds_add_u32 v21, v20 offset:8192
	s_add_i32 s10, s8, 24
	s_cmp_gt_u32 s9, s10
	s_cbranch_scc0 .LBB856_339
; %bb.334:
	s_sub_i32 s11, s9, s10
	s_min_u32 s11, s11, 8
	v_lshrrev_b64 v[22:23], s10, v[18:19]
	v_bfe_u32 v21, v22, 0, s11
	v_lshl_or_b32 v21, v21, 4, v26
	ds_add_u32 v21, v20 offset:12288
	s_add_i32 s10, s8, 32
	s_cmp_gt_u32 s9, s10
	s_cbranch_scc0 .LBB856_339
; %bb.335:
	s_sub_i32 s11, s9, s10
	s_min_u32 s11, s11, 8
	v_lshrrev_b64 v[20:21], s10, v[18:19]
	v_bfe_u32 v20, v20, 0, s11
	v_lshl_or_b32 v21, v20, 4, v26
	v_mov_b32_e32 v20, 1
	ds_add_u32 v21, v20 offset:16384
	s_add_i32 s10, s8, 40
	s_cmp_gt_u32 s9, s10
	s_cbranch_scc0 .LBB856_339
; %bb.336:
	s_sub_i32 s11, s9, s10
	s_min_u32 s11, s11, 8
	v_lshrrev_b64 v[22:23], s10, v[18:19]
	v_bfe_u32 v21, v22, 0, s11
	v_lshl_or_b32 v21, v21, 4, v26
	ds_add_u32 v21, v20 offset:20480
	s_add_i32 s10, s8, 48
	s_cmp_gt_u32 s9, s10
	s_cbranch_scc0 .LBB856_339
; %bb.337:
	s_sub_i32 s11, s9, s10
	s_min_u32 s11, s11, 8
	v_lshrrev_b64 v[20:21], s10, v[18:19]
	v_bfe_u32 v20, v20, 0, s11
	v_lshl_or_b32 v20, v20, 4, v26
	v_mov_b32_e32 v21, 1
	ds_add_u32 v20, v21 offset:24576
	s_add_i32 s10, s8, 56
	s_cmp_gt_u32 s9, s10
	s_cbranch_scc0 .LBB856_339
; %bb.338:
	s_sub_i32 s6, s9, s10
	s_min_u32 s6, s6, 8
	v_lshrrev_b64 v[18:19], s10, v[18:19]
	v_bfe_u32 v18, v18, 0, s6
	v_lshl_or_b32 v18, v18, 2, v1
	v_add_u32_e32 v23, 0x1c00, v18
	s_mov_b64 s[6:7], -1
	s_branch .LBB856_340
.LBB856_339:
                                        ; implicit-def: $vgpr23
.LBB856_340:
	s_and_b64 vcc, exec, s[6:7]
	s_cbranch_vccz .LBB856_342
; %bb.341:
	v_lshlrev_b32_e32 v18, 2, v23
	v_mov_b32_e32 v19, 1
	ds_add_u32 v18, v19
.LBB856_342:
	s_waitcnt vmcnt(5)
	v_xor_b32_e32 v21, 0x80000000, v13
	v_mov_b32_e32 v20, v12
	v_lshrrev_b64 v[22:23], s8, v[20:21]
	v_and_b32_e32 v22, s12, v22
	v_lshl_or_b32 v22, v22, 4, v26
	v_mov_b32_e32 v23, 1
	ds_add_u32 v22, v23
	s_waitcnt vmcnt(4)
	v_xor_b32_e32 v19, 0x80000000, v11
	v_mov_b32_e32 v18, v10
	s_and_b64 vcc, exec, s[4:5]
	v_lshrrev_b64 v[22:23], s8, v[18:19]
	s_cbranch_vccz .LBB856_344
; %bb.343:
	v_and_b32_e32 v23, s12, v22
	v_lshl_or_b32 v23, v23, 2, v1
	s_mov_b64 s[6:7], -1
	s_cbranch_execz .LBB856_345
	s_branch .LBB856_360
.LBB856_344:
	s_mov_b64 s[6:7], 0
                                        ; implicit-def: $vgpr23
.LBB856_345:
	s_sub_i32 s10, s9, s13
	s_min_u32 s10, s10, 8
	s_lshl_b32 s10, -1, s10
	s_not_b32 s15, s10
	v_lshrrev_b64 v[28:29], s13, v[20:21]
	v_and_b32_e32 v23, s15, v28
	v_lshl_or_b32 v27, v23, 4, v26
	v_mov_b32_e32 v23, 1
	ds_add_u32 v27, v23 offset:4096
	s_add_i32 s14, s8, 16
	s_cmp_gt_u32 s9, s14
	s_cselect_b64 s[10:11], -1, 0
	s_cmp_le_u32 s9, s14
	s_cbranch_scc1 .LBB856_352
; %bb.346:
	s_sub_i32 s16, s9, s14
	s_min_u32 s16, s16, 8
	v_lshrrev_b64 v[28:29], s14, v[20:21]
	v_bfe_u32 v27, v28, 0, s16
	v_lshl_or_b32 v27, v27, 4, v26
	ds_add_u32 v27, v23 offset:8192
	s_add_i32 s16, s8, 24
	s_cmp_le_u32 s9, s16
	s_cbranch_scc1 .LBB856_352
; %bb.347:
	s_sub_i32 s17, s9, s16
	s_min_u32 s17, s17, 8
	v_lshrrev_b64 v[28:29], s16, v[20:21]
	v_bfe_u32 v27, v28, 0, s17
	v_lshl_or_b32 v28, v27, 4, v26
	v_mov_b32_e32 v27, 1
	ds_add_u32 v28, v27 offset:12288
	s_add_i32 s16, s8, 32
	s_cmp_le_u32 s9, s16
	s_cbranch_scc1 .LBB856_352
; %bb.348:
	s_sub_i32 s17, s9, s16
	s_min_u32 s17, s17, 8
	v_lshrrev_b64 v[28:29], s16, v[20:21]
	v_bfe_u32 v28, v28, 0, s17
	v_lshl_or_b32 v28, v28, 4, v26
	ds_add_u32 v28, v27 offset:16384
	s_add_i32 s16, s8, 40
	s_cmp_le_u32 s9, s16
	s_cbranch_scc1 .LBB856_352
; %bb.349:
	s_sub_i32 s17, s9, s16
	s_min_u32 s17, s17, 8
	v_lshrrev_b64 v[28:29], s16, v[20:21]
	v_bfe_u32 v27, v28, 0, s17
	v_lshl_or_b32 v28, v27, 4, v26
	v_mov_b32_e32 v27, 1
	ds_add_u32 v28, v27 offset:20480
	s_add_i32 s16, s8, 48
	s_cmp_le_u32 s9, s16
	s_cbranch_scc1 .LBB856_352
; %bb.350:
	s_sub_i32 s17, s9, s16
	s_min_u32 s17, s17, 8
	v_lshrrev_b64 v[28:29], s16, v[20:21]
	v_bfe_u32 v28, v28, 0, s17
	v_lshl_or_b32 v28, v28, 4, v26
	ds_add_u32 v28, v27 offset:24576
	s_add_i32 s16, s8, 56
	s_cmp_le_u32 s9, s16
	s_cbranch_scc1 .LBB856_352
; %bb.351:
	s_sub_i32 s17, s9, s16
	s_min_u32 s17, s17, 8
	v_lshrrev_b64 v[20:21], s16, v[20:21]
	v_bfe_u32 v20, v20, 0, s17
	v_lshl_or_b32 v20, v20, 4, v26
	v_mov_b32_e32 v21, 1
	ds_add_u32 v20, v21 offset:28672
.LBB856_352:
	v_and_b32_e32 v20, s12, v22
	v_lshl_or_b32 v20, v20, 4, v26
	ds_add_u32 v20, v23
	v_lshrrev_b64 v[20:21], s13, v[18:19]
	v_and_b32_e32 v20, s15, v20
	v_lshl_or_b32 v20, v20, 4, v26
	ds_add_u32 v20, v23 offset:4096
	s_andn2_b64 vcc, exec, s[10:11]
	s_cbranch_vccnz .LBB856_359
; %bb.353:
	s_sub_i32 s10, s9, s14
	s_min_u32 s10, s10, 8
	v_lshrrev_b64 v[20:21], s14, v[18:19]
	v_bfe_u32 v20, v20, 0, s10
	v_lshl_or_b32 v21, v20, 4, v26
	v_mov_b32_e32 v20, 1
	ds_add_u32 v21, v20 offset:8192
	s_add_i32 s10, s8, 24
	s_cmp_gt_u32 s9, s10
	s_cbranch_scc0 .LBB856_359
; %bb.354:
	s_sub_i32 s11, s9, s10
	s_min_u32 s11, s11, 8
	v_lshrrev_b64 v[22:23], s10, v[18:19]
	v_bfe_u32 v21, v22, 0, s11
	v_lshl_or_b32 v21, v21, 4, v26
	ds_add_u32 v21, v20 offset:12288
	s_add_i32 s10, s8, 32
	s_cmp_gt_u32 s9, s10
	s_cbranch_scc0 .LBB856_359
; %bb.355:
	s_sub_i32 s11, s9, s10
	s_min_u32 s11, s11, 8
	v_lshrrev_b64 v[20:21], s10, v[18:19]
	v_bfe_u32 v20, v20, 0, s11
	v_lshl_or_b32 v21, v20, 4, v26
	v_mov_b32_e32 v20, 1
	ds_add_u32 v21, v20 offset:16384
	s_add_i32 s10, s8, 40
	s_cmp_gt_u32 s9, s10
	s_cbranch_scc0 .LBB856_359
; %bb.356:
	s_sub_i32 s11, s9, s10
	s_min_u32 s11, s11, 8
	v_lshrrev_b64 v[22:23], s10, v[18:19]
	v_bfe_u32 v21, v22, 0, s11
	v_lshl_or_b32 v21, v21, 4, v26
	ds_add_u32 v21, v20 offset:20480
	s_add_i32 s10, s8, 48
	s_cmp_gt_u32 s9, s10
	s_cbranch_scc0 .LBB856_359
; %bb.357:
	s_sub_i32 s11, s9, s10
	s_min_u32 s11, s11, 8
	v_lshrrev_b64 v[20:21], s10, v[18:19]
	v_bfe_u32 v20, v20, 0, s11
	v_lshl_or_b32 v20, v20, 4, v26
	v_mov_b32_e32 v21, 1
	ds_add_u32 v20, v21 offset:24576
	s_add_i32 s10, s8, 56
	s_cmp_gt_u32 s9, s10
	s_cbranch_scc0 .LBB856_359
; %bb.358:
	s_sub_i32 s6, s9, s10
	s_min_u32 s6, s6, 8
	v_lshrrev_b64 v[18:19], s10, v[18:19]
	v_bfe_u32 v18, v18, 0, s6
	v_lshl_or_b32 v18, v18, 2, v1
	v_add_u32_e32 v23, 0x1c00, v18
	s_mov_b64 s[6:7], -1
	s_branch .LBB856_360
.LBB856_359:
                                        ; implicit-def: $vgpr23
.LBB856_360:
	s_and_b64 vcc, exec, s[6:7]
	s_cbranch_vccz .LBB856_362
; %bb.361:
	v_lshlrev_b32_e32 v18, 2, v23
	v_mov_b32_e32 v19, 1
	ds_add_u32 v18, v19
.LBB856_362:
	s_waitcnt vmcnt(3)
	v_xor_b32_e32 v21, 0x80000000, v9
	v_mov_b32_e32 v20, v8
	v_lshrrev_b64 v[22:23], s8, v[20:21]
	v_and_b32_e32 v22, s12, v22
	v_lshl_or_b32 v22, v22, 4, v26
	v_mov_b32_e32 v23, 1
	ds_add_u32 v22, v23
	s_waitcnt vmcnt(2)
	v_xor_b32_e32 v19, 0x80000000, v7
	v_mov_b32_e32 v18, v6
	s_and_b64 vcc, exec, s[4:5]
	v_lshrrev_b64 v[22:23], s8, v[18:19]
	s_cbranch_vccz .LBB856_364
; %bb.363:
	v_and_b32_e32 v23, s12, v22
	v_lshl_or_b32 v23, v23, 2, v1
	s_mov_b64 s[6:7], -1
	s_cbranch_execz .LBB856_365
	s_branch .LBB856_380
.LBB856_364:
	s_mov_b64 s[6:7], 0
                                        ; implicit-def: $vgpr23
.LBB856_365:
	s_sub_i32 s10, s9, s13
	s_min_u32 s10, s10, 8
	s_lshl_b32 s10, -1, s10
	s_not_b32 s15, s10
	v_lshrrev_b64 v[28:29], s13, v[20:21]
	v_and_b32_e32 v23, s15, v28
	v_lshl_or_b32 v27, v23, 4, v26
	v_mov_b32_e32 v23, 1
	ds_add_u32 v27, v23 offset:4096
	s_add_i32 s14, s8, 16
	s_cmp_gt_u32 s9, s14
	s_cselect_b64 s[10:11], -1, 0
	s_cmp_le_u32 s9, s14
	s_cbranch_scc1 .LBB856_372
; %bb.366:
	s_sub_i32 s16, s9, s14
	s_min_u32 s16, s16, 8
	v_lshrrev_b64 v[28:29], s14, v[20:21]
	v_bfe_u32 v27, v28, 0, s16
	v_lshl_or_b32 v27, v27, 4, v26
	ds_add_u32 v27, v23 offset:8192
	s_add_i32 s16, s8, 24
	s_cmp_le_u32 s9, s16
	s_cbranch_scc1 .LBB856_372
; %bb.367:
	s_sub_i32 s17, s9, s16
	s_min_u32 s17, s17, 8
	v_lshrrev_b64 v[28:29], s16, v[20:21]
	v_bfe_u32 v27, v28, 0, s17
	v_lshl_or_b32 v28, v27, 4, v26
	v_mov_b32_e32 v27, 1
	ds_add_u32 v28, v27 offset:12288
	s_add_i32 s16, s8, 32
	s_cmp_le_u32 s9, s16
	s_cbranch_scc1 .LBB856_372
; %bb.368:
	s_sub_i32 s17, s9, s16
	s_min_u32 s17, s17, 8
	v_lshrrev_b64 v[28:29], s16, v[20:21]
	v_bfe_u32 v28, v28, 0, s17
	v_lshl_or_b32 v28, v28, 4, v26
	ds_add_u32 v28, v27 offset:16384
	s_add_i32 s16, s8, 40
	s_cmp_le_u32 s9, s16
	s_cbranch_scc1 .LBB856_372
; %bb.369:
	s_sub_i32 s17, s9, s16
	s_min_u32 s17, s17, 8
	v_lshrrev_b64 v[28:29], s16, v[20:21]
	v_bfe_u32 v27, v28, 0, s17
	v_lshl_or_b32 v28, v27, 4, v26
	v_mov_b32_e32 v27, 1
	ds_add_u32 v28, v27 offset:20480
	s_add_i32 s16, s8, 48
	s_cmp_le_u32 s9, s16
	s_cbranch_scc1 .LBB856_372
; %bb.370:
	s_sub_i32 s17, s9, s16
	s_min_u32 s17, s17, 8
	v_lshrrev_b64 v[28:29], s16, v[20:21]
	v_bfe_u32 v28, v28, 0, s17
	v_lshl_or_b32 v28, v28, 4, v26
	ds_add_u32 v28, v27 offset:24576
	s_add_i32 s16, s8, 56
	s_cmp_le_u32 s9, s16
	s_cbranch_scc1 .LBB856_372
; %bb.371:
	s_sub_i32 s17, s9, s16
	s_min_u32 s17, s17, 8
	v_lshrrev_b64 v[20:21], s16, v[20:21]
	v_bfe_u32 v20, v20, 0, s17
	v_lshl_or_b32 v20, v20, 4, v26
	v_mov_b32_e32 v21, 1
	ds_add_u32 v20, v21 offset:28672
.LBB856_372:
	v_and_b32_e32 v20, s12, v22
	v_lshl_or_b32 v20, v20, 4, v26
	ds_add_u32 v20, v23
	v_lshrrev_b64 v[20:21], s13, v[18:19]
	v_and_b32_e32 v20, s15, v20
	v_lshl_or_b32 v20, v20, 4, v26
	ds_add_u32 v20, v23 offset:4096
	s_andn2_b64 vcc, exec, s[10:11]
	s_cbranch_vccnz .LBB856_379
; %bb.373:
	s_sub_i32 s10, s9, s14
	s_min_u32 s10, s10, 8
	v_lshrrev_b64 v[20:21], s14, v[18:19]
	v_bfe_u32 v20, v20, 0, s10
	v_lshl_or_b32 v21, v20, 4, v26
	v_mov_b32_e32 v20, 1
	ds_add_u32 v21, v20 offset:8192
	s_add_i32 s10, s8, 24
	s_cmp_gt_u32 s9, s10
	s_cbranch_scc0 .LBB856_379
; %bb.374:
	s_sub_i32 s11, s9, s10
	s_min_u32 s11, s11, 8
	v_lshrrev_b64 v[22:23], s10, v[18:19]
	v_bfe_u32 v21, v22, 0, s11
	v_lshl_or_b32 v21, v21, 4, v26
	ds_add_u32 v21, v20 offset:12288
	s_add_i32 s10, s8, 32
	s_cmp_gt_u32 s9, s10
	s_cbranch_scc0 .LBB856_379
; %bb.375:
	s_sub_i32 s11, s9, s10
	s_min_u32 s11, s11, 8
	v_lshrrev_b64 v[20:21], s10, v[18:19]
	v_bfe_u32 v20, v20, 0, s11
	v_lshl_or_b32 v21, v20, 4, v26
	v_mov_b32_e32 v20, 1
	ds_add_u32 v21, v20 offset:16384
	s_add_i32 s10, s8, 40
	s_cmp_gt_u32 s9, s10
	s_cbranch_scc0 .LBB856_379
; %bb.376:
	s_sub_i32 s11, s9, s10
	s_min_u32 s11, s11, 8
	v_lshrrev_b64 v[22:23], s10, v[18:19]
	v_bfe_u32 v21, v22, 0, s11
	v_lshl_or_b32 v21, v21, 4, v26
	ds_add_u32 v21, v20 offset:20480
	s_add_i32 s10, s8, 48
	s_cmp_gt_u32 s9, s10
	s_cbranch_scc0 .LBB856_379
; %bb.377:
	s_sub_i32 s11, s9, s10
	s_min_u32 s11, s11, 8
	v_lshrrev_b64 v[20:21], s10, v[18:19]
	v_bfe_u32 v20, v20, 0, s11
	v_lshl_or_b32 v20, v20, 4, v26
	v_mov_b32_e32 v21, 1
	ds_add_u32 v20, v21 offset:24576
	s_add_i32 s10, s8, 56
	s_cmp_gt_u32 s9, s10
	s_cbranch_scc0 .LBB856_379
; %bb.378:
	s_sub_i32 s6, s9, s10
	s_min_u32 s6, s6, 8
	v_lshrrev_b64 v[18:19], s10, v[18:19]
	v_bfe_u32 v18, v18, 0, s6
	v_lshl_or_b32 v18, v18, 2, v1
	v_add_u32_e32 v23, 0x1c00, v18
	s_mov_b64 s[6:7], -1
	s_branch .LBB856_380
.LBB856_379:
                                        ; implicit-def: $vgpr23
.LBB856_380:
	s_and_b64 vcc, exec, s[6:7]
	s_cbranch_vccz .LBB856_382
; %bb.381:
	v_lshlrev_b32_e32 v18, 2, v23
	v_mov_b32_e32 v19, 1
	ds_add_u32 v18, v19
.LBB856_382:
	s_waitcnt vmcnt(1)
	v_xor_b32_e32 v21, 0x80000000, v5
	v_mov_b32_e32 v20, v4
	v_lshrrev_b64 v[22:23], s8, v[20:21]
	v_and_b32_e32 v22, s12, v22
	v_lshl_or_b32 v22, v22, 4, v26
	v_mov_b32_e32 v23, 1
	ds_add_u32 v22, v23
	s_waitcnt vmcnt(0)
	v_xor_b32_e32 v19, 0x80000000, v3
	v_mov_b32_e32 v18, v2
	s_and_b64 vcc, exec, s[4:5]
	v_lshrrev_b64 v[22:23], s8, v[18:19]
	s_cbranch_vccz .LBB856_384
; %bb.383:
	v_and_b32_e32 v23, s12, v22
	v_lshl_or_b32 v23, v23, 2, v1
	s_mov_b64 s[4:5], -1
	s_cbranch_execz .LBB856_385
	s_branch .LBB856_400
.LBB856_384:
	s_mov_b64 s[4:5], 0
                                        ; implicit-def: $vgpr23
.LBB856_385:
	s_sub_i32 s6, s9, s13
	s_min_u32 s6, s6, 8
	s_lshl_b32 s6, -1, s6
	s_not_b32 s11, s6
	v_lshrrev_b64 v[28:29], s13, v[20:21]
	v_and_b32_e32 v23, s11, v28
	v_lshl_or_b32 v27, v23, 4, v26
	v_mov_b32_e32 v23, 1
	ds_add_u32 v27, v23 offset:4096
	s_add_i32 s10, s8, 16
	s_cmp_gt_u32 s9, s10
	s_cselect_b64 s[6:7], -1, 0
	s_cmp_le_u32 s9, s10
	s_cbranch_scc1 .LBB856_392
; %bb.386:
	s_sub_i32 s14, s9, s10
	s_min_u32 s14, s14, 8
	v_lshrrev_b64 v[28:29], s10, v[20:21]
	v_bfe_u32 v27, v28, 0, s14
	v_lshl_or_b32 v27, v27, 4, v26
	ds_add_u32 v27, v23 offset:8192
	s_add_i32 s14, s8, 24
	s_cmp_le_u32 s9, s14
	s_cbranch_scc1 .LBB856_392
; %bb.387:
	s_sub_i32 s15, s9, s14
	s_min_u32 s15, s15, 8
	v_lshrrev_b64 v[28:29], s14, v[20:21]
	v_bfe_u32 v27, v28, 0, s15
	v_lshl_or_b32 v28, v27, 4, v26
	v_mov_b32_e32 v27, 1
	ds_add_u32 v28, v27 offset:12288
	s_add_i32 s14, s8, 32
	s_cmp_le_u32 s9, s14
	s_cbranch_scc1 .LBB856_392
; %bb.388:
	s_sub_i32 s15, s9, s14
	s_min_u32 s15, s15, 8
	v_lshrrev_b64 v[28:29], s14, v[20:21]
	v_bfe_u32 v28, v28, 0, s15
	v_lshl_or_b32 v28, v28, 4, v26
	ds_add_u32 v28, v27 offset:16384
	s_add_i32 s14, s8, 40
	s_cmp_le_u32 s9, s14
	s_cbranch_scc1 .LBB856_392
; %bb.389:
	s_sub_i32 s15, s9, s14
	s_min_u32 s15, s15, 8
	v_lshrrev_b64 v[28:29], s14, v[20:21]
	v_bfe_u32 v27, v28, 0, s15
	v_lshl_or_b32 v28, v27, 4, v26
	v_mov_b32_e32 v27, 1
	ds_add_u32 v28, v27 offset:20480
	s_add_i32 s14, s8, 48
	s_cmp_le_u32 s9, s14
	s_cbranch_scc1 .LBB856_392
; %bb.390:
	s_sub_i32 s15, s9, s14
	s_min_u32 s15, s15, 8
	v_lshrrev_b64 v[28:29], s14, v[20:21]
	v_bfe_u32 v28, v28, 0, s15
	v_lshl_or_b32 v28, v28, 4, v26
	ds_add_u32 v28, v27 offset:24576
	s_add_i32 s14, s8, 56
	s_cmp_le_u32 s9, s14
	s_cbranch_scc1 .LBB856_392
; %bb.391:
	s_sub_i32 s15, s9, s14
	s_min_u32 s15, s15, 8
	v_lshrrev_b64 v[20:21], s14, v[20:21]
	v_bfe_u32 v20, v20, 0, s15
	v_lshl_or_b32 v20, v20, 4, v26
	v_mov_b32_e32 v21, 1
	ds_add_u32 v20, v21 offset:28672
.LBB856_392:
	v_and_b32_e32 v20, s12, v22
	v_lshl_or_b32 v20, v20, 4, v26
	ds_add_u32 v20, v23
	v_lshrrev_b64 v[20:21], s13, v[18:19]
	v_and_b32_e32 v20, s11, v20
	v_lshl_or_b32 v20, v20, 4, v26
	ds_add_u32 v20, v23 offset:4096
	s_andn2_b64 vcc, exec, s[6:7]
	s_cbranch_vccnz .LBB856_399
; %bb.393:
	s_sub_i32 s6, s9, s10
	s_min_u32 s6, s6, 8
	v_lshrrev_b64 v[20:21], s10, v[18:19]
	v_bfe_u32 v20, v20, 0, s6
	v_lshl_or_b32 v21, v20, 4, v26
	v_mov_b32_e32 v20, 1
	ds_add_u32 v21, v20 offset:8192
	s_add_i32 s6, s8, 24
	s_cmp_gt_u32 s9, s6
	s_cbranch_scc0 .LBB856_399
; %bb.394:
	s_sub_i32 s7, s9, s6
	s_min_u32 s7, s7, 8
	v_lshrrev_b64 v[22:23], s6, v[18:19]
	v_bfe_u32 v21, v22, 0, s7
	v_lshl_or_b32 v21, v21, 4, v26
	ds_add_u32 v21, v20 offset:12288
	s_add_i32 s6, s8, 32
	s_cmp_gt_u32 s9, s6
	s_cbranch_scc0 .LBB856_399
; %bb.395:
	s_sub_i32 s7, s9, s6
	s_min_u32 s7, s7, 8
	v_lshrrev_b64 v[20:21], s6, v[18:19]
	v_bfe_u32 v20, v20, 0, s7
	v_lshl_or_b32 v21, v20, 4, v26
	v_mov_b32_e32 v20, 1
	ds_add_u32 v21, v20 offset:16384
	s_add_i32 s6, s8, 40
	s_cmp_gt_u32 s9, s6
	s_cbranch_scc0 .LBB856_399
; %bb.396:
	s_sub_i32 s7, s9, s6
	s_min_u32 s7, s7, 8
	v_lshrrev_b64 v[22:23], s6, v[18:19]
	v_bfe_u32 v21, v22, 0, s7
	v_lshl_or_b32 v21, v21, 4, v26
	ds_add_u32 v21, v20 offset:20480
	s_add_i32 s6, s8, 48
	s_cmp_gt_u32 s9, s6
	s_cbranch_scc0 .LBB856_399
; %bb.397:
	s_sub_i32 s7, s9, s6
	s_min_u32 s7, s7, 8
	v_lshrrev_b64 v[20:21], s6, v[18:19]
	v_bfe_u32 v20, v20, 0, s7
	v_lshl_or_b32 v20, v20, 4, v26
	v_mov_b32_e32 v21, 1
	ds_add_u32 v20, v21 offset:24576
	s_add_i32 s6, s8, 56
	s_cmp_gt_u32 s9, s6
	s_cbranch_scc0 .LBB856_399
; %bb.398:
	s_sub_i32 s4, s9, s6
	s_min_u32 s4, s4, 8
	v_lshrrev_b64 v[18:19], s6, v[18:19]
	v_bfe_u32 v18, v18, 0, s4
	v_lshl_or_b32 v1, v18, 2, v1
	v_add_u32_e32 v23, 0x1c00, v1
	s_mov_b64 s[4:5], -1
	s_branch .LBB856_400
.LBB856_399:
                                        ; implicit-def: $vgpr23
.LBB856_400:
	s_and_b64 vcc, exec, s[4:5]
	s_cbranch_vccz .LBB856_402
; %bb.401:
	v_lshlrev_b32_e32 v1, 2, v23
	v_mov_b32_e32 v18, 1
	ds_add_u32 v1, v18
.LBB856_402:
	s_and_b64 vcc, exec, s[0:1]
	s_waitcnt lgkmcnt(0)
	s_barrier
	s_cbranch_vccz .LBB856_407
; %bb.403:
	s_movk_i32 s0, 0x100
	v_cmp_gt_u32_e32 vcc, s0, v0
	v_lshlrev_b32_e32 v1, 4, v0
	v_mov_b32_e32 v19, 0
	v_mov_b32_e32 v18, v0
	s_branch .LBB856_405
.LBB856_404:                            ;   in Loop: Header=BB856_405 Depth=1
	s_or_b64 exec, exec, s[4:5]
	s_add_i32 s8, s8, 8
	v_add_u32_e32 v18, 0x100, v18
	s_cmp_ge_u32 s8, s9
	v_add_u32_e32 v1, 0x1000, v1
	s_cbranch_scc1 .LBB856_407
.LBB856_405:                            ; =>This Inner Loop Header: Depth=1
	s_and_saveexec_b64 s[4:5], vcc
	s_cbranch_execz .LBB856_404
; %bb.406:                              ;   in Loop: Header=BB856_405 Depth=1
	ds_read2_b32 v[20:21], v1 offset1:1
	ds_read2_b32 v[22:23], v1 offset0:2 offset1:3
	v_lshlrev_b64 v[26:27], 3, v[18:19]
	v_mov_b32_e32 v28, s3
	s_waitcnt lgkmcnt(1)
	v_add_u32_e32 v20, v21, v20
	s_waitcnt lgkmcnt(0)
	v_add3_u32 v20, v20, v22, v23
	v_add_co_u32_e64 v22, s[0:1], s2, v26
	v_addc_co_u32_e64 v23, s[0:1], v28, v27, s[0:1]
	v_mov_b32_e32 v21, v19
	global_atomic_add_x2 v[22:23], v[20:21], off
	s_branch .LBB856_404
.LBB856_407:
	s_mov_b64 s[0:1], 0
.LBB856_408:
	s_and_b64 vcc, exec, s[0:1]
	s_cbranch_vccz .LBB856_411
; %bb.409:
	v_and_b32_e32 v19, 3, v0
	s_waitcnt vmcnt(7)
	v_lshlrev_b32_e32 v18, 2, v16
	s_movk_i32 s0, 0x3fc
	v_and_or_b32 v18, v18, s0, v19
	v_mov_b32_e32 v1, 0
	v_lshlrev_b32_e32 v20, 2, v18
	v_mov_b32_e32 v18, 1
	ds_write2st64_b32 v25, v1, v1 offset1:16
	ds_write2st64_b32 v25, v1, v1 offset0:32 offset1:48
	ds_write2st64_b32 v25, v1, v1 offset0:64 offset1:80
	;; [unrolled: 1-line block ×3, first 2 shown]
	s_waitcnt lgkmcnt(0)
	s_barrier
	ds_add_u32 v20, v18
	v_bfe_u32 v20, v16, 8, 8
	v_lshl_or_b32 v20, v20, 2, v19
	v_lshlrev_b32_e32 v20, 2, v20
	ds_add_u32 v20, v18 offset:4096
	v_bfe_u32 v20, v16, 16, 8
	v_lshl_or_b32 v20, v20, 2, v19
	v_lshlrev_b32_e32 v20, 2, v20
	ds_add_u32 v20, v18 offset:8192
	v_lshrrev_b32_e32 v20, 24, v16
	v_lshl_or_b32 v20, v20, 2, v19
	v_alignbit_b32 v16, v17, v16, 30
	v_lshlrev_b32_e32 v20, 2, v20
	v_and_or_b32 v16, v16, s0, v19
	ds_add_u32 v20, v18 offset:12288
	v_lshlrev_b32_e32 v16, 2, v16
	ds_add_u32 v16, v18 offset:16384
	v_bfe_u32 v16, v17, 8, 8
	v_lshl_or_b32 v16, v16, 2, v19
	v_lshlrev_b32_e32 v16, 2, v16
	ds_add_u32 v16, v18 offset:20480
	v_bfe_u32 v16, v17, 16, 8
	v_lshl_or_b32 v16, v16, 2, v19
	v_lshlrev_b32_e32 v16, 2, v16
	ds_add_u32 v16, v18 offset:24576
	v_lshrrev_b32_e32 v16, 24, v17
	v_or_b32_e32 v17, 0x1c00, v19
	v_lshl_or_b32 v16, v16, 2, v17
	v_xor_b32_e32 v16, 0x200, v16
	v_lshlrev_b32_e32 v16, 2, v16
	ds_add_u32 v16, v18
	s_waitcnt vmcnt(6)
	v_lshlrev_b32_e32 v16, 2, v14
	v_and_or_b32 v16, v16, s0, v19
	v_lshlrev_b32_e32 v16, 2, v16
	ds_add_u32 v16, v18
	v_bfe_u32 v16, v14, 8, 8
	v_lshl_or_b32 v16, v16, 2, v19
	v_lshlrev_b32_e32 v16, 2, v16
	ds_add_u32 v16, v18 offset:4096
	v_bfe_u32 v16, v14, 16, 8
	v_lshl_or_b32 v16, v16, 2, v19
	v_lshlrev_b32_e32 v16, 2, v16
	ds_add_u32 v16, v18 offset:8192
	v_lshrrev_b32_e32 v16, 24, v14
	v_lshl_or_b32 v16, v16, 2, v19
	v_alignbit_b32 v14, v15, v14, 30
	v_lshlrev_b32_e32 v16, 2, v16
	v_and_or_b32 v14, v14, s0, v19
	ds_add_u32 v16, v18 offset:12288
	v_lshlrev_b32_e32 v14, 2, v14
	ds_add_u32 v14, v18 offset:16384
	v_bfe_u32 v14, v15, 8, 8
	v_lshl_or_b32 v14, v14, 2, v19
	v_lshlrev_b32_e32 v14, 2, v14
	ds_add_u32 v14, v18 offset:20480
	v_bfe_u32 v14, v15, 16, 8
	v_lshl_or_b32 v14, v14, 2, v19
	v_lshlrev_b32_e32 v14, 2, v14
	ds_add_u32 v14, v18 offset:24576
	v_lshrrev_b32_e32 v14, 24, v15
	v_lshl_or_b32 v14, v14, 2, v17
	v_xor_b32_e32 v14, 0x200, v14
	v_lshlrev_b32_e32 v14, 2, v14
	ds_add_u32 v14, v18
	s_waitcnt vmcnt(5)
	v_lshlrev_b32_e32 v14, 2, v12
	v_and_or_b32 v14, v14, s0, v19
	v_lshlrev_b32_e32 v14, 2, v14
	ds_add_u32 v14, v18
	v_bfe_u32 v14, v12, 8, 8
	v_lshl_or_b32 v14, v14, 2, v19
	v_lshlrev_b32_e32 v14, 2, v14
	ds_add_u32 v14, v18 offset:4096
	v_bfe_u32 v14, v12, 16, 8
	v_lshl_or_b32 v14, v14, 2, v19
	v_lshlrev_b32_e32 v14, 2, v14
	ds_add_u32 v14, v18 offset:8192
	v_lshrrev_b32_e32 v14, 24, v12
	v_lshl_or_b32 v14, v14, 2, v19
	v_alignbit_b32 v12, v13, v12, 30
	v_lshlrev_b32_e32 v14, 2, v14
	v_and_or_b32 v12, v12, s0, v19
	ds_add_u32 v14, v18 offset:12288
	v_lshlrev_b32_e32 v12, 2, v12
	ds_add_u32 v12, v18 offset:16384
	v_bfe_u32 v12, v13, 8, 8
	v_lshl_or_b32 v12, v12, 2, v19
	v_lshlrev_b32_e32 v12, 2, v12
	ds_add_u32 v12, v18 offset:20480
	v_bfe_u32 v12, v13, 16, 8
	v_lshl_or_b32 v12, v12, 2, v19
	v_lshlrev_b32_e32 v12, 2, v12
	ds_add_u32 v12, v18 offset:24576
	v_lshrrev_b32_e32 v12, 24, v13
	;; [unrolled: 34-line block ×7, first 2 shown]
	v_lshl_or_b32 v2, v2, 2, v17
	v_xor_b32_e32 v2, 0x200, v2
	v_lshlrev_b32_e32 v2, 2, v2
	ds_add_u32 v2, v18
	s_movk_i32 s0, 0x100
	v_cmp_gt_u32_e32 vcc, s0, v0
	s_waitcnt lgkmcnt(0)
	s_barrier
	s_and_saveexec_b64 s[0:1], vcc
	s_cbranch_execz .LBB856_411
; %bb.410:
	v_lshlrev_b32_e32 v6, 4, v0
	ds_read2_b32 v[2:3], v6 offset1:1
	ds_read2_b32 v[4:5], v6 offset0:2 offset1:3
	v_add_u32_e32 v7, 0x1000, v6
	v_add_u32_e32 v8, 0x1008, v6
	v_add_u32_e32 v9, 0x3008, v6
	s_waitcnt lgkmcnt(1)
	v_add_u32_e32 v0, v3, v2
	s_waitcnt lgkmcnt(0)
	v_add3_u32 v0, v0, v4, v5
	global_atomic_add_x2 v24, v[0:1], s[2:3]
	ds_read2_b32 v[2:3], v7 offset1:1
	ds_read2_b32 v[4:5], v8 offset1:1
	v_add_u32_e32 v7, 0x2000, v6
	v_add_u32_e32 v8, 0x2008, v6
	s_waitcnt lgkmcnt(1)
	v_add_u32_e32 v0, v3, v2
	s_waitcnt lgkmcnt(0)
	v_add3_u32 v0, v0, v4, v5
	global_atomic_add_x2 v24, v[0:1], s[2:3] offset:2048
	ds_read2_b32 v[2:3], v7 offset1:1
	ds_read2_b32 v[4:5], v8 offset1:1
	v_or_b32_e32 v7, 0x1000, v24
	v_add_u32_e32 v8, 0x3000, v6
	s_waitcnt lgkmcnt(1)
	v_add_u32_e32 v0, v3, v2
	s_waitcnt lgkmcnt(0)
	v_add3_u32 v0, v0, v4, v5
	global_atomic_add_x2 v7, v[0:1], s[2:3]
	ds_read2_b32 v[2:3], v8 offset1:1
	ds_read2_b32 v[4:5], v9 offset1:1
	v_or_b32_e32 v7, 0x1800, v24
	v_or_b32_e32 v8, 0x4000, v6
	;; [unrolled: 1-line block ×3, first 2 shown]
	s_waitcnt lgkmcnt(1)
	v_add_u32_e32 v0, v3, v2
	s_waitcnt lgkmcnt(0)
	v_add3_u32 v0, v0, v4, v5
	global_atomic_add_x2 v7, v[0:1], s[2:3]
	ds_read2_b32 v[2:3], v8 offset1:1
	ds_read2_b32 v[4:5], v9 offset1:1
	v_or_b32_e32 v7, 0x2000, v24
	v_add_u32_e32 v8, 0x5000, v6
	v_add_u32_e32 v9, 0x5008, v6
	s_waitcnt lgkmcnt(1)
	v_add_u32_e32 v0, v3, v2
	s_waitcnt lgkmcnt(0)
	v_add3_u32 v0, v0, v4, v5
	global_atomic_add_x2 v7, v[0:1], s[2:3]
	ds_read2_b32 v[2:3], v8 offset1:1
	ds_read2_b32 v[4:5], v9 offset1:1
	v_or_b32_e32 v7, 0x2800, v24
	v_add_u32_e32 v8, 0x6000, v6
	v_add_u32_e32 v9, 0x6008, v6
	s_waitcnt lgkmcnt(1)
	v_add_u32_e32 v0, v3, v2
	s_waitcnt lgkmcnt(0)
	v_add3_u32 v0, v0, v4, v5
	global_atomic_add_x2 v7, v[0:1], s[2:3]
	ds_read2_b32 v[2:3], v8 offset1:1
	ds_read2_b32 v[4:5], v9 offset1:1
	v_or_b32_e32 v7, 0x3000, v24
	v_add_u32_e32 v8, 0x7000, v6
	v_add_u32_e32 v6, 0x7008, v6
	s_waitcnt lgkmcnt(1)
	v_add_u32_e32 v0, v3, v2
	s_waitcnt lgkmcnt(0)
	v_add3_u32 v0, v0, v4, v5
	global_atomic_add_x2 v7, v[0:1], s[2:3]
	ds_read2_b32 v[2:3], v8 offset1:1
	ds_read2_b32 v[4:5], v6 offset1:1
	s_waitcnt lgkmcnt(1)
	v_add_u32_e32 v0, v3, v2
	s_waitcnt lgkmcnt(0)
	v_add3_u32 v0, v0, v4, v5
	v_or_b32_e32 v2, 0x3800, v24
	global_atomic_add_x2 v2, v[0:1], s[2:3]
.LBB856_411:
	s_endpgm
	.section	.rodata,"a",@progbits
	.p2align	6, 0x0
	.amdhsa_kernel _ZN7rocprim17ROCPRIM_400000_NS6detail17trampoline_kernelINS0_14default_configENS1_35radix_sort_onesweep_config_selectorIlNS0_10empty_typeEEEZNS1_34radix_sort_onesweep_global_offsetsIS3_Lb0EPlPS5_mNS0_19identity_decomposerEEE10hipError_tT1_T2_PT3_SE_jT4_jjP12ihipStream_tbEUlT_E_NS1_11comp_targetILNS1_3genE4ELNS1_11target_archE910ELNS1_3gpuE8ELNS1_3repE0EEENS1_52radix_sort_onesweep_histogram_config_static_selectorELNS0_4arch9wavefront6targetE1EEEvSC_
		.amdhsa_group_segment_fixed_size 32768
		.amdhsa_private_segment_fixed_size 0
		.amdhsa_kernarg_size 48
		.amdhsa_user_sgpr_count 6
		.amdhsa_user_sgpr_private_segment_buffer 1
		.amdhsa_user_sgpr_dispatch_ptr 0
		.amdhsa_user_sgpr_queue_ptr 0
		.amdhsa_user_sgpr_kernarg_segment_ptr 1
		.amdhsa_user_sgpr_dispatch_id 0
		.amdhsa_user_sgpr_flat_scratch_init 0
		.amdhsa_user_sgpr_kernarg_preload_length 0
		.amdhsa_user_sgpr_kernarg_preload_offset 0
		.amdhsa_user_sgpr_private_segment_size 0
		.amdhsa_uses_dynamic_stack 0
		.amdhsa_system_sgpr_private_segment_wavefront_offset 0
		.amdhsa_system_sgpr_workgroup_id_x 1
		.amdhsa_system_sgpr_workgroup_id_y 0
		.amdhsa_system_sgpr_workgroup_id_z 0
		.amdhsa_system_sgpr_workgroup_info 0
		.amdhsa_system_vgpr_workitem_id 0
		.amdhsa_next_free_vgpr 30
		.amdhsa_next_free_sgpr 18
		.amdhsa_accum_offset 32
		.amdhsa_reserve_vcc 1
		.amdhsa_reserve_flat_scratch 0
		.amdhsa_float_round_mode_32 0
		.amdhsa_float_round_mode_16_64 0
		.amdhsa_float_denorm_mode_32 3
		.amdhsa_float_denorm_mode_16_64 3
		.amdhsa_dx10_clamp 1
		.amdhsa_ieee_mode 1
		.amdhsa_fp16_overflow 0
		.amdhsa_tg_split 0
		.amdhsa_exception_fp_ieee_invalid_op 0
		.amdhsa_exception_fp_denorm_src 0
		.amdhsa_exception_fp_ieee_div_zero 0
		.amdhsa_exception_fp_ieee_overflow 0
		.amdhsa_exception_fp_ieee_underflow 0
		.amdhsa_exception_fp_ieee_inexact 0
		.amdhsa_exception_int_div_zero 0
	.end_amdhsa_kernel
	.section	.text._ZN7rocprim17ROCPRIM_400000_NS6detail17trampoline_kernelINS0_14default_configENS1_35radix_sort_onesweep_config_selectorIlNS0_10empty_typeEEEZNS1_34radix_sort_onesweep_global_offsetsIS3_Lb0EPlPS5_mNS0_19identity_decomposerEEE10hipError_tT1_T2_PT3_SE_jT4_jjP12ihipStream_tbEUlT_E_NS1_11comp_targetILNS1_3genE4ELNS1_11target_archE910ELNS1_3gpuE8ELNS1_3repE0EEENS1_52radix_sort_onesweep_histogram_config_static_selectorELNS0_4arch9wavefront6targetE1EEEvSC_,"axG",@progbits,_ZN7rocprim17ROCPRIM_400000_NS6detail17trampoline_kernelINS0_14default_configENS1_35radix_sort_onesweep_config_selectorIlNS0_10empty_typeEEEZNS1_34radix_sort_onesweep_global_offsetsIS3_Lb0EPlPS5_mNS0_19identity_decomposerEEE10hipError_tT1_T2_PT3_SE_jT4_jjP12ihipStream_tbEUlT_E_NS1_11comp_targetILNS1_3genE4ELNS1_11target_archE910ELNS1_3gpuE8ELNS1_3repE0EEENS1_52radix_sort_onesweep_histogram_config_static_selectorELNS0_4arch9wavefront6targetE1EEEvSC_,comdat
.Lfunc_end856:
	.size	_ZN7rocprim17ROCPRIM_400000_NS6detail17trampoline_kernelINS0_14default_configENS1_35radix_sort_onesweep_config_selectorIlNS0_10empty_typeEEEZNS1_34radix_sort_onesweep_global_offsetsIS3_Lb0EPlPS5_mNS0_19identity_decomposerEEE10hipError_tT1_T2_PT3_SE_jT4_jjP12ihipStream_tbEUlT_E_NS1_11comp_targetILNS1_3genE4ELNS1_11target_archE910ELNS1_3gpuE8ELNS1_3repE0EEENS1_52radix_sort_onesweep_histogram_config_static_selectorELNS0_4arch9wavefront6targetE1EEEvSC_, .Lfunc_end856-_ZN7rocprim17ROCPRIM_400000_NS6detail17trampoline_kernelINS0_14default_configENS1_35radix_sort_onesweep_config_selectorIlNS0_10empty_typeEEEZNS1_34radix_sort_onesweep_global_offsetsIS3_Lb0EPlPS5_mNS0_19identity_decomposerEEE10hipError_tT1_T2_PT3_SE_jT4_jjP12ihipStream_tbEUlT_E_NS1_11comp_targetILNS1_3genE4ELNS1_11target_archE910ELNS1_3gpuE8ELNS1_3repE0EEENS1_52radix_sort_onesweep_histogram_config_static_selectorELNS0_4arch9wavefront6targetE1EEEvSC_
                                        ; -- End function
	.section	.AMDGPU.csdata,"",@progbits
; Kernel info:
; codeLenInByte = 15224
; NumSgprs: 22
; NumVgprs: 30
; NumAgprs: 0
; TotalNumVgprs: 30
; ScratchSize: 0
; MemoryBound: 0
; FloatMode: 240
; IeeeMode: 1
; LDSByteSize: 32768 bytes/workgroup (compile time only)
; SGPRBlocks: 2
; VGPRBlocks: 3
; NumSGPRsForWavesPerEU: 22
; NumVGPRsForWavesPerEU: 30
; AccumOffset: 32
; Occupancy: 8
; WaveLimiterHint : 1
; COMPUTE_PGM_RSRC2:SCRATCH_EN: 0
; COMPUTE_PGM_RSRC2:USER_SGPR: 6
; COMPUTE_PGM_RSRC2:TRAP_HANDLER: 0
; COMPUTE_PGM_RSRC2:TGID_X_EN: 1
; COMPUTE_PGM_RSRC2:TGID_Y_EN: 0
; COMPUTE_PGM_RSRC2:TGID_Z_EN: 0
; COMPUTE_PGM_RSRC2:TIDIG_COMP_CNT: 0
; COMPUTE_PGM_RSRC3_GFX90A:ACCUM_OFFSET: 7
; COMPUTE_PGM_RSRC3_GFX90A:TG_SPLIT: 0
	.section	.text._ZN7rocprim17ROCPRIM_400000_NS6detail17trampoline_kernelINS0_14default_configENS1_35radix_sort_onesweep_config_selectorIlNS0_10empty_typeEEEZNS1_34radix_sort_onesweep_global_offsetsIS3_Lb0EPlPS5_mNS0_19identity_decomposerEEE10hipError_tT1_T2_PT3_SE_jT4_jjP12ihipStream_tbEUlT_E_NS1_11comp_targetILNS1_3genE3ELNS1_11target_archE908ELNS1_3gpuE7ELNS1_3repE0EEENS1_52radix_sort_onesweep_histogram_config_static_selectorELNS0_4arch9wavefront6targetE1EEEvSC_,"axG",@progbits,_ZN7rocprim17ROCPRIM_400000_NS6detail17trampoline_kernelINS0_14default_configENS1_35radix_sort_onesweep_config_selectorIlNS0_10empty_typeEEEZNS1_34radix_sort_onesweep_global_offsetsIS3_Lb0EPlPS5_mNS0_19identity_decomposerEEE10hipError_tT1_T2_PT3_SE_jT4_jjP12ihipStream_tbEUlT_E_NS1_11comp_targetILNS1_3genE3ELNS1_11target_archE908ELNS1_3gpuE7ELNS1_3repE0EEENS1_52radix_sort_onesweep_histogram_config_static_selectorELNS0_4arch9wavefront6targetE1EEEvSC_,comdat
	.protected	_ZN7rocprim17ROCPRIM_400000_NS6detail17trampoline_kernelINS0_14default_configENS1_35radix_sort_onesweep_config_selectorIlNS0_10empty_typeEEEZNS1_34radix_sort_onesweep_global_offsetsIS3_Lb0EPlPS5_mNS0_19identity_decomposerEEE10hipError_tT1_T2_PT3_SE_jT4_jjP12ihipStream_tbEUlT_E_NS1_11comp_targetILNS1_3genE3ELNS1_11target_archE908ELNS1_3gpuE7ELNS1_3repE0EEENS1_52radix_sort_onesweep_histogram_config_static_selectorELNS0_4arch9wavefront6targetE1EEEvSC_ ; -- Begin function _ZN7rocprim17ROCPRIM_400000_NS6detail17trampoline_kernelINS0_14default_configENS1_35radix_sort_onesweep_config_selectorIlNS0_10empty_typeEEEZNS1_34radix_sort_onesweep_global_offsetsIS3_Lb0EPlPS5_mNS0_19identity_decomposerEEE10hipError_tT1_T2_PT3_SE_jT4_jjP12ihipStream_tbEUlT_E_NS1_11comp_targetILNS1_3genE3ELNS1_11target_archE908ELNS1_3gpuE7ELNS1_3repE0EEENS1_52radix_sort_onesweep_histogram_config_static_selectorELNS0_4arch9wavefront6targetE1EEEvSC_
	.globl	_ZN7rocprim17ROCPRIM_400000_NS6detail17trampoline_kernelINS0_14default_configENS1_35radix_sort_onesweep_config_selectorIlNS0_10empty_typeEEEZNS1_34radix_sort_onesweep_global_offsetsIS3_Lb0EPlPS5_mNS0_19identity_decomposerEEE10hipError_tT1_T2_PT3_SE_jT4_jjP12ihipStream_tbEUlT_E_NS1_11comp_targetILNS1_3genE3ELNS1_11target_archE908ELNS1_3gpuE7ELNS1_3repE0EEENS1_52radix_sort_onesweep_histogram_config_static_selectorELNS0_4arch9wavefront6targetE1EEEvSC_
	.p2align	8
	.type	_ZN7rocprim17ROCPRIM_400000_NS6detail17trampoline_kernelINS0_14default_configENS1_35radix_sort_onesweep_config_selectorIlNS0_10empty_typeEEEZNS1_34radix_sort_onesweep_global_offsetsIS3_Lb0EPlPS5_mNS0_19identity_decomposerEEE10hipError_tT1_T2_PT3_SE_jT4_jjP12ihipStream_tbEUlT_E_NS1_11comp_targetILNS1_3genE3ELNS1_11target_archE908ELNS1_3gpuE7ELNS1_3repE0EEENS1_52radix_sort_onesweep_histogram_config_static_selectorELNS0_4arch9wavefront6targetE1EEEvSC_,@function
_ZN7rocprim17ROCPRIM_400000_NS6detail17trampoline_kernelINS0_14default_configENS1_35radix_sort_onesweep_config_selectorIlNS0_10empty_typeEEEZNS1_34radix_sort_onesweep_global_offsetsIS3_Lb0EPlPS5_mNS0_19identity_decomposerEEE10hipError_tT1_T2_PT3_SE_jT4_jjP12ihipStream_tbEUlT_E_NS1_11comp_targetILNS1_3genE3ELNS1_11target_archE908ELNS1_3gpuE7ELNS1_3repE0EEENS1_52radix_sort_onesweep_histogram_config_static_selectorELNS0_4arch9wavefront6targetE1EEEvSC_: ; @_ZN7rocprim17ROCPRIM_400000_NS6detail17trampoline_kernelINS0_14default_configENS1_35radix_sort_onesweep_config_selectorIlNS0_10empty_typeEEEZNS1_34radix_sort_onesweep_global_offsetsIS3_Lb0EPlPS5_mNS0_19identity_decomposerEEE10hipError_tT1_T2_PT3_SE_jT4_jjP12ihipStream_tbEUlT_E_NS1_11comp_targetILNS1_3genE3ELNS1_11target_archE908ELNS1_3gpuE7ELNS1_3repE0EEENS1_52radix_sort_onesweep_histogram_config_static_selectorELNS0_4arch9wavefront6targetE1EEEvSC_
; %bb.0:
	.section	.rodata,"a",@progbits
	.p2align	6, 0x0
	.amdhsa_kernel _ZN7rocprim17ROCPRIM_400000_NS6detail17trampoline_kernelINS0_14default_configENS1_35radix_sort_onesweep_config_selectorIlNS0_10empty_typeEEEZNS1_34radix_sort_onesweep_global_offsetsIS3_Lb0EPlPS5_mNS0_19identity_decomposerEEE10hipError_tT1_T2_PT3_SE_jT4_jjP12ihipStream_tbEUlT_E_NS1_11comp_targetILNS1_3genE3ELNS1_11target_archE908ELNS1_3gpuE7ELNS1_3repE0EEENS1_52radix_sort_onesweep_histogram_config_static_selectorELNS0_4arch9wavefront6targetE1EEEvSC_
		.amdhsa_group_segment_fixed_size 0
		.amdhsa_private_segment_fixed_size 0
		.amdhsa_kernarg_size 48
		.amdhsa_user_sgpr_count 6
		.amdhsa_user_sgpr_private_segment_buffer 1
		.amdhsa_user_sgpr_dispatch_ptr 0
		.amdhsa_user_sgpr_queue_ptr 0
		.amdhsa_user_sgpr_kernarg_segment_ptr 1
		.amdhsa_user_sgpr_dispatch_id 0
		.amdhsa_user_sgpr_flat_scratch_init 0
		.amdhsa_user_sgpr_kernarg_preload_length 0
		.amdhsa_user_sgpr_kernarg_preload_offset 0
		.amdhsa_user_sgpr_private_segment_size 0
		.amdhsa_uses_dynamic_stack 0
		.amdhsa_system_sgpr_private_segment_wavefront_offset 0
		.amdhsa_system_sgpr_workgroup_id_x 1
		.amdhsa_system_sgpr_workgroup_id_y 0
		.amdhsa_system_sgpr_workgroup_id_z 0
		.amdhsa_system_sgpr_workgroup_info 0
		.amdhsa_system_vgpr_workitem_id 0
		.amdhsa_next_free_vgpr 1
		.amdhsa_next_free_sgpr 0
		.amdhsa_accum_offset 4
		.amdhsa_reserve_vcc 0
		.amdhsa_reserve_flat_scratch 0
		.amdhsa_float_round_mode_32 0
		.amdhsa_float_round_mode_16_64 0
		.amdhsa_float_denorm_mode_32 3
		.amdhsa_float_denorm_mode_16_64 3
		.amdhsa_dx10_clamp 1
		.amdhsa_ieee_mode 1
		.amdhsa_fp16_overflow 0
		.amdhsa_tg_split 0
		.amdhsa_exception_fp_ieee_invalid_op 0
		.amdhsa_exception_fp_denorm_src 0
		.amdhsa_exception_fp_ieee_div_zero 0
		.amdhsa_exception_fp_ieee_overflow 0
		.amdhsa_exception_fp_ieee_underflow 0
		.amdhsa_exception_fp_ieee_inexact 0
		.amdhsa_exception_int_div_zero 0
	.end_amdhsa_kernel
	.section	.text._ZN7rocprim17ROCPRIM_400000_NS6detail17trampoline_kernelINS0_14default_configENS1_35radix_sort_onesweep_config_selectorIlNS0_10empty_typeEEEZNS1_34radix_sort_onesweep_global_offsetsIS3_Lb0EPlPS5_mNS0_19identity_decomposerEEE10hipError_tT1_T2_PT3_SE_jT4_jjP12ihipStream_tbEUlT_E_NS1_11comp_targetILNS1_3genE3ELNS1_11target_archE908ELNS1_3gpuE7ELNS1_3repE0EEENS1_52radix_sort_onesweep_histogram_config_static_selectorELNS0_4arch9wavefront6targetE1EEEvSC_,"axG",@progbits,_ZN7rocprim17ROCPRIM_400000_NS6detail17trampoline_kernelINS0_14default_configENS1_35radix_sort_onesweep_config_selectorIlNS0_10empty_typeEEEZNS1_34radix_sort_onesweep_global_offsetsIS3_Lb0EPlPS5_mNS0_19identity_decomposerEEE10hipError_tT1_T2_PT3_SE_jT4_jjP12ihipStream_tbEUlT_E_NS1_11comp_targetILNS1_3genE3ELNS1_11target_archE908ELNS1_3gpuE7ELNS1_3repE0EEENS1_52radix_sort_onesweep_histogram_config_static_selectorELNS0_4arch9wavefront6targetE1EEEvSC_,comdat
.Lfunc_end857:
	.size	_ZN7rocprim17ROCPRIM_400000_NS6detail17trampoline_kernelINS0_14default_configENS1_35radix_sort_onesweep_config_selectorIlNS0_10empty_typeEEEZNS1_34radix_sort_onesweep_global_offsetsIS3_Lb0EPlPS5_mNS0_19identity_decomposerEEE10hipError_tT1_T2_PT3_SE_jT4_jjP12ihipStream_tbEUlT_E_NS1_11comp_targetILNS1_3genE3ELNS1_11target_archE908ELNS1_3gpuE7ELNS1_3repE0EEENS1_52radix_sort_onesweep_histogram_config_static_selectorELNS0_4arch9wavefront6targetE1EEEvSC_, .Lfunc_end857-_ZN7rocprim17ROCPRIM_400000_NS6detail17trampoline_kernelINS0_14default_configENS1_35radix_sort_onesweep_config_selectorIlNS0_10empty_typeEEEZNS1_34radix_sort_onesweep_global_offsetsIS3_Lb0EPlPS5_mNS0_19identity_decomposerEEE10hipError_tT1_T2_PT3_SE_jT4_jjP12ihipStream_tbEUlT_E_NS1_11comp_targetILNS1_3genE3ELNS1_11target_archE908ELNS1_3gpuE7ELNS1_3repE0EEENS1_52radix_sort_onesweep_histogram_config_static_selectorELNS0_4arch9wavefront6targetE1EEEvSC_
                                        ; -- End function
	.section	.AMDGPU.csdata,"",@progbits
; Kernel info:
; codeLenInByte = 0
; NumSgprs: 4
; NumVgprs: 0
; NumAgprs: 0
; TotalNumVgprs: 0
; ScratchSize: 0
; MemoryBound: 0
; FloatMode: 240
; IeeeMode: 1
; LDSByteSize: 0 bytes/workgroup (compile time only)
; SGPRBlocks: 0
; VGPRBlocks: 0
; NumSGPRsForWavesPerEU: 4
; NumVGPRsForWavesPerEU: 1
; AccumOffset: 4
; Occupancy: 8
; WaveLimiterHint : 0
; COMPUTE_PGM_RSRC2:SCRATCH_EN: 0
; COMPUTE_PGM_RSRC2:USER_SGPR: 6
; COMPUTE_PGM_RSRC2:TRAP_HANDLER: 0
; COMPUTE_PGM_RSRC2:TGID_X_EN: 1
; COMPUTE_PGM_RSRC2:TGID_Y_EN: 0
; COMPUTE_PGM_RSRC2:TGID_Z_EN: 0
; COMPUTE_PGM_RSRC2:TIDIG_COMP_CNT: 0
; COMPUTE_PGM_RSRC3_GFX90A:ACCUM_OFFSET: 0
; COMPUTE_PGM_RSRC3_GFX90A:TG_SPLIT: 0
	.section	.text._ZN7rocprim17ROCPRIM_400000_NS6detail17trampoline_kernelINS0_14default_configENS1_35radix_sort_onesweep_config_selectorIlNS0_10empty_typeEEEZNS1_34radix_sort_onesweep_global_offsetsIS3_Lb0EPlPS5_mNS0_19identity_decomposerEEE10hipError_tT1_T2_PT3_SE_jT4_jjP12ihipStream_tbEUlT_E_NS1_11comp_targetILNS1_3genE10ELNS1_11target_archE1201ELNS1_3gpuE5ELNS1_3repE0EEENS1_52radix_sort_onesweep_histogram_config_static_selectorELNS0_4arch9wavefront6targetE1EEEvSC_,"axG",@progbits,_ZN7rocprim17ROCPRIM_400000_NS6detail17trampoline_kernelINS0_14default_configENS1_35radix_sort_onesweep_config_selectorIlNS0_10empty_typeEEEZNS1_34radix_sort_onesweep_global_offsetsIS3_Lb0EPlPS5_mNS0_19identity_decomposerEEE10hipError_tT1_T2_PT3_SE_jT4_jjP12ihipStream_tbEUlT_E_NS1_11comp_targetILNS1_3genE10ELNS1_11target_archE1201ELNS1_3gpuE5ELNS1_3repE0EEENS1_52radix_sort_onesweep_histogram_config_static_selectorELNS0_4arch9wavefront6targetE1EEEvSC_,comdat
	.protected	_ZN7rocprim17ROCPRIM_400000_NS6detail17trampoline_kernelINS0_14default_configENS1_35radix_sort_onesweep_config_selectorIlNS0_10empty_typeEEEZNS1_34radix_sort_onesweep_global_offsetsIS3_Lb0EPlPS5_mNS0_19identity_decomposerEEE10hipError_tT1_T2_PT3_SE_jT4_jjP12ihipStream_tbEUlT_E_NS1_11comp_targetILNS1_3genE10ELNS1_11target_archE1201ELNS1_3gpuE5ELNS1_3repE0EEENS1_52radix_sort_onesweep_histogram_config_static_selectorELNS0_4arch9wavefront6targetE1EEEvSC_ ; -- Begin function _ZN7rocprim17ROCPRIM_400000_NS6detail17trampoline_kernelINS0_14default_configENS1_35radix_sort_onesweep_config_selectorIlNS0_10empty_typeEEEZNS1_34radix_sort_onesweep_global_offsetsIS3_Lb0EPlPS5_mNS0_19identity_decomposerEEE10hipError_tT1_T2_PT3_SE_jT4_jjP12ihipStream_tbEUlT_E_NS1_11comp_targetILNS1_3genE10ELNS1_11target_archE1201ELNS1_3gpuE5ELNS1_3repE0EEENS1_52radix_sort_onesweep_histogram_config_static_selectorELNS0_4arch9wavefront6targetE1EEEvSC_
	.globl	_ZN7rocprim17ROCPRIM_400000_NS6detail17trampoline_kernelINS0_14default_configENS1_35radix_sort_onesweep_config_selectorIlNS0_10empty_typeEEEZNS1_34radix_sort_onesweep_global_offsetsIS3_Lb0EPlPS5_mNS0_19identity_decomposerEEE10hipError_tT1_T2_PT3_SE_jT4_jjP12ihipStream_tbEUlT_E_NS1_11comp_targetILNS1_3genE10ELNS1_11target_archE1201ELNS1_3gpuE5ELNS1_3repE0EEENS1_52radix_sort_onesweep_histogram_config_static_selectorELNS0_4arch9wavefront6targetE1EEEvSC_
	.p2align	8
	.type	_ZN7rocprim17ROCPRIM_400000_NS6detail17trampoline_kernelINS0_14default_configENS1_35radix_sort_onesweep_config_selectorIlNS0_10empty_typeEEEZNS1_34radix_sort_onesweep_global_offsetsIS3_Lb0EPlPS5_mNS0_19identity_decomposerEEE10hipError_tT1_T2_PT3_SE_jT4_jjP12ihipStream_tbEUlT_E_NS1_11comp_targetILNS1_3genE10ELNS1_11target_archE1201ELNS1_3gpuE5ELNS1_3repE0EEENS1_52radix_sort_onesweep_histogram_config_static_selectorELNS0_4arch9wavefront6targetE1EEEvSC_,@function
_ZN7rocprim17ROCPRIM_400000_NS6detail17trampoline_kernelINS0_14default_configENS1_35radix_sort_onesweep_config_selectorIlNS0_10empty_typeEEEZNS1_34radix_sort_onesweep_global_offsetsIS3_Lb0EPlPS5_mNS0_19identity_decomposerEEE10hipError_tT1_T2_PT3_SE_jT4_jjP12ihipStream_tbEUlT_E_NS1_11comp_targetILNS1_3genE10ELNS1_11target_archE1201ELNS1_3gpuE5ELNS1_3repE0EEENS1_52radix_sort_onesweep_histogram_config_static_selectorELNS0_4arch9wavefront6targetE1EEEvSC_: ; @_ZN7rocprim17ROCPRIM_400000_NS6detail17trampoline_kernelINS0_14default_configENS1_35radix_sort_onesweep_config_selectorIlNS0_10empty_typeEEEZNS1_34radix_sort_onesweep_global_offsetsIS3_Lb0EPlPS5_mNS0_19identity_decomposerEEE10hipError_tT1_T2_PT3_SE_jT4_jjP12ihipStream_tbEUlT_E_NS1_11comp_targetILNS1_3genE10ELNS1_11target_archE1201ELNS1_3gpuE5ELNS1_3repE0EEENS1_52radix_sort_onesweep_histogram_config_static_selectorELNS0_4arch9wavefront6targetE1EEEvSC_
; %bb.0:
	.section	.rodata,"a",@progbits
	.p2align	6, 0x0
	.amdhsa_kernel _ZN7rocprim17ROCPRIM_400000_NS6detail17trampoline_kernelINS0_14default_configENS1_35radix_sort_onesweep_config_selectorIlNS0_10empty_typeEEEZNS1_34radix_sort_onesweep_global_offsetsIS3_Lb0EPlPS5_mNS0_19identity_decomposerEEE10hipError_tT1_T2_PT3_SE_jT4_jjP12ihipStream_tbEUlT_E_NS1_11comp_targetILNS1_3genE10ELNS1_11target_archE1201ELNS1_3gpuE5ELNS1_3repE0EEENS1_52radix_sort_onesweep_histogram_config_static_selectorELNS0_4arch9wavefront6targetE1EEEvSC_
		.amdhsa_group_segment_fixed_size 0
		.amdhsa_private_segment_fixed_size 0
		.amdhsa_kernarg_size 48
		.amdhsa_user_sgpr_count 6
		.amdhsa_user_sgpr_private_segment_buffer 1
		.amdhsa_user_sgpr_dispatch_ptr 0
		.amdhsa_user_sgpr_queue_ptr 0
		.amdhsa_user_sgpr_kernarg_segment_ptr 1
		.amdhsa_user_sgpr_dispatch_id 0
		.amdhsa_user_sgpr_flat_scratch_init 0
		.amdhsa_user_sgpr_kernarg_preload_length 0
		.amdhsa_user_sgpr_kernarg_preload_offset 0
		.amdhsa_user_sgpr_private_segment_size 0
		.amdhsa_uses_dynamic_stack 0
		.amdhsa_system_sgpr_private_segment_wavefront_offset 0
		.amdhsa_system_sgpr_workgroup_id_x 1
		.amdhsa_system_sgpr_workgroup_id_y 0
		.amdhsa_system_sgpr_workgroup_id_z 0
		.amdhsa_system_sgpr_workgroup_info 0
		.amdhsa_system_vgpr_workitem_id 0
		.amdhsa_next_free_vgpr 1
		.amdhsa_next_free_sgpr 0
		.amdhsa_accum_offset 4
		.amdhsa_reserve_vcc 0
		.amdhsa_reserve_flat_scratch 0
		.amdhsa_float_round_mode_32 0
		.amdhsa_float_round_mode_16_64 0
		.amdhsa_float_denorm_mode_32 3
		.amdhsa_float_denorm_mode_16_64 3
		.amdhsa_dx10_clamp 1
		.amdhsa_ieee_mode 1
		.amdhsa_fp16_overflow 0
		.amdhsa_tg_split 0
		.amdhsa_exception_fp_ieee_invalid_op 0
		.amdhsa_exception_fp_denorm_src 0
		.amdhsa_exception_fp_ieee_div_zero 0
		.amdhsa_exception_fp_ieee_overflow 0
		.amdhsa_exception_fp_ieee_underflow 0
		.amdhsa_exception_fp_ieee_inexact 0
		.amdhsa_exception_int_div_zero 0
	.end_amdhsa_kernel
	.section	.text._ZN7rocprim17ROCPRIM_400000_NS6detail17trampoline_kernelINS0_14default_configENS1_35radix_sort_onesweep_config_selectorIlNS0_10empty_typeEEEZNS1_34radix_sort_onesweep_global_offsetsIS3_Lb0EPlPS5_mNS0_19identity_decomposerEEE10hipError_tT1_T2_PT3_SE_jT4_jjP12ihipStream_tbEUlT_E_NS1_11comp_targetILNS1_3genE10ELNS1_11target_archE1201ELNS1_3gpuE5ELNS1_3repE0EEENS1_52radix_sort_onesweep_histogram_config_static_selectorELNS0_4arch9wavefront6targetE1EEEvSC_,"axG",@progbits,_ZN7rocprim17ROCPRIM_400000_NS6detail17trampoline_kernelINS0_14default_configENS1_35radix_sort_onesweep_config_selectorIlNS0_10empty_typeEEEZNS1_34radix_sort_onesweep_global_offsetsIS3_Lb0EPlPS5_mNS0_19identity_decomposerEEE10hipError_tT1_T2_PT3_SE_jT4_jjP12ihipStream_tbEUlT_E_NS1_11comp_targetILNS1_3genE10ELNS1_11target_archE1201ELNS1_3gpuE5ELNS1_3repE0EEENS1_52radix_sort_onesweep_histogram_config_static_selectorELNS0_4arch9wavefront6targetE1EEEvSC_,comdat
.Lfunc_end858:
	.size	_ZN7rocprim17ROCPRIM_400000_NS6detail17trampoline_kernelINS0_14default_configENS1_35radix_sort_onesweep_config_selectorIlNS0_10empty_typeEEEZNS1_34radix_sort_onesweep_global_offsetsIS3_Lb0EPlPS5_mNS0_19identity_decomposerEEE10hipError_tT1_T2_PT3_SE_jT4_jjP12ihipStream_tbEUlT_E_NS1_11comp_targetILNS1_3genE10ELNS1_11target_archE1201ELNS1_3gpuE5ELNS1_3repE0EEENS1_52radix_sort_onesweep_histogram_config_static_selectorELNS0_4arch9wavefront6targetE1EEEvSC_, .Lfunc_end858-_ZN7rocprim17ROCPRIM_400000_NS6detail17trampoline_kernelINS0_14default_configENS1_35radix_sort_onesweep_config_selectorIlNS0_10empty_typeEEEZNS1_34radix_sort_onesweep_global_offsetsIS3_Lb0EPlPS5_mNS0_19identity_decomposerEEE10hipError_tT1_T2_PT3_SE_jT4_jjP12ihipStream_tbEUlT_E_NS1_11comp_targetILNS1_3genE10ELNS1_11target_archE1201ELNS1_3gpuE5ELNS1_3repE0EEENS1_52radix_sort_onesweep_histogram_config_static_selectorELNS0_4arch9wavefront6targetE1EEEvSC_
                                        ; -- End function
	.section	.AMDGPU.csdata,"",@progbits
; Kernel info:
; codeLenInByte = 0
; NumSgprs: 4
; NumVgprs: 0
; NumAgprs: 0
; TotalNumVgprs: 0
; ScratchSize: 0
; MemoryBound: 0
; FloatMode: 240
; IeeeMode: 1
; LDSByteSize: 0 bytes/workgroup (compile time only)
; SGPRBlocks: 0
; VGPRBlocks: 0
; NumSGPRsForWavesPerEU: 4
; NumVGPRsForWavesPerEU: 1
; AccumOffset: 4
; Occupancy: 8
; WaveLimiterHint : 0
; COMPUTE_PGM_RSRC2:SCRATCH_EN: 0
; COMPUTE_PGM_RSRC2:USER_SGPR: 6
; COMPUTE_PGM_RSRC2:TRAP_HANDLER: 0
; COMPUTE_PGM_RSRC2:TGID_X_EN: 1
; COMPUTE_PGM_RSRC2:TGID_Y_EN: 0
; COMPUTE_PGM_RSRC2:TGID_Z_EN: 0
; COMPUTE_PGM_RSRC2:TIDIG_COMP_CNT: 0
; COMPUTE_PGM_RSRC3_GFX90A:ACCUM_OFFSET: 0
; COMPUTE_PGM_RSRC3_GFX90A:TG_SPLIT: 0
	.section	.text._ZN7rocprim17ROCPRIM_400000_NS6detail17trampoline_kernelINS0_14default_configENS1_35radix_sort_onesweep_config_selectorIlNS0_10empty_typeEEEZNS1_34radix_sort_onesweep_global_offsetsIS3_Lb0EPlPS5_mNS0_19identity_decomposerEEE10hipError_tT1_T2_PT3_SE_jT4_jjP12ihipStream_tbEUlT_E_NS1_11comp_targetILNS1_3genE9ELNS1_11target_archE1100ELNS1_3gpuE3ELNS1_3repE0EEENS1_52radix_sort_onesweep_histogram_config_static_selectorELNS0_4arch9wavefront6targetE1EEEvSC_,"axG",@progbits,_ZN7rocprim17ROCPRIM_400000_NS6detail17trampoline_kernelINS0_14default_configENS1_35radix_sort_onesweep_config_selectorIlNS0_10empty_typeEEEZNS1_34radix_sort_onesweep_global_offsetsIS3_Lb0EPlPS5_mNS0_19identity_decomposerEEE10hipError_tT1_T2_PT3_SE_jT4_jjP12ihipStream_tbEUlT_E_NS1_11comp_targetILNS1_3genE9ELNS1_11target_archE1100ELNS1_3gpuE3ELNS1_3repE0EEENS1_52radix_sort_onesweep_histogram_config_static_selectorELNS0_4arch9wavefront6targetE1EEEvSC_,comdat
	.protected	_ZN7rocprim17ROCPRIM_400000_NS6detail17trampoline_kernelINS0_14default_configENS1_35radix_sort_onesweep_config_selectorIlNS0_10empty_typeEEEZNS1_34radix_sort_onesweep_global_offsetsIS3_Lb0EPlPS5_mNS0_19identity_decomposerEEE10hipError_tT1_T2_PT3_SE_jT4_jjP12ihipStream_tbEUlT_E_NS1_11comp_targetILNS1_3genE9ELNS1_11target_archE1100ELNS1_3gpuE3ELNS1_3repE0EEENS1_52radix_sort_onesweep_histogram_config_static_selectorELNS0_4arch9wavefront6targetE1EEEvSC_ ; -- Begin function _ZN7rocprim17ROCPRIM_400000_NS6detail17trampoline_kernelINS0_14default_configENS1_35radix_sort_onesweep_config_selectorIlNS0_10empty_typeEEEZNS1_34radix_sort_onesweep_global_offsetsIS3_Lb0EPlPS5_mNS0_19identity_decomposerEEE10hipError_tT1_T2_PT3_SE_jT4_jjP12ihipStream_tbEUlT_E_NS1_11comp_targetILNS1_3genE9ELNS1_11target_archE1100ELNS1_3gpuE3ELNS1_3repE0EEENS1_52radix_sort_onesweep_histogram_config_static_selectorELNS0_4arch9wavefront6targetE1EEEvSC_
	.globl	_ZN7rocprim17ROCPRIM_400000_NS6detail17trampoline_kernelINS0_14default_configENS1_35radix_sort_onesweep_config_selectorIlNS0_10empty_typeEEEZNS1_34radix_sort_onesweep_global_offsetsIS3_Lb0EPlPS5_mNS0_19identity_decomposerEEE10hipError_tT1_T2_PT3_SE_jT4_jjP12ihipStream_tbEUlT_E_NS1_11comp_targetILNS1_3genE9ELNS1_11target_archE1100ELNS1_3gpuE3ELNS1_3repE0EEENS1_52radix_sort_onesweep_histogram_config_static_selectorELNS0_4arch9wavefront6targetE1EEEvSC_
	.p2align	8
	.type	_ZN7rocprim17ROCPRIM_400000_NS6detail17trampoline_kernelINS0_14default_configENS1_35radix_sort_onesweep_config_selectorIlNS0_10empty_typeEEEZNS1_34radix_sort_onesweep_global_offsetsIS3_Lb0EPlPS5_mNS0_19identity_decomposerEEE10hipError_tT1_T2_PT3_SE_jT4_jjP12ihipStream_tbEUlT_E_NS1_11comp_targetILNS1_3genE9ELNS1_11target_archE1100ELNS1_3gpuE3ELNS1_3repE0EEENS1_52radix_sort_onesweep_histogram_config_static_selectorELNS0_4arch9wavefront6targetE1EEEvSC_,@function
_ZN7rocprim17ROCPRIM_400000_NS6detail17trampoline_kernelINS0_14default_configENS1_35radix_sort_onesweep_config_selectorIlNS0_10empty_typeEEEZNS1_34radix_sort_onesweep_global_offsetsIS3_Lb0EPlPS5_mNS0_19identity_decomposerEEE10hipError_tT1_T2_PT3_SE_jT4_jjP12ihipStream_tbEUlT_E_NS1_11comp_targetILNS1_3genE9ELNS1_11target_archE1100ELNS1_3gpuE3ELNS1_3repE0EEENS1_52radix_sort_onesweep_histogram_config_static_selectorELNS0_4arch9wavefront6targetE1EEEvSC_: ; @_ZN7rocprim17ROCPRIM_400000_NS6detail17trampoline_kernelINS0_14default_configENS1_35radix_sort_onesweep_config_selectorIlNS0_10empty_typeEEEZNS1_34radix_sort_onesweep_global_offsetsIS3_Lb0EPlPS5_mNS0_19identity_decomposerEEE10hipError_tT1_T2_PT3_SE_jT4_jjP12ihipStream_tbEUlT_E_NS1_11comp_targetILNS1_3genE9ELNS1_11target_archE1100ELNS1_3gpuE3ELNS1_3repE0EEENS1_52radix_sort_onesweep_histogram_config_static_selectorELNS0_4arch9wavefront6targetE1EEEvSC_
; %bb.0:
	.section	.rodata,"a",@progbits
	.p2align	6, 0x0
	.amdhsa_kernel _ZN7rocprim17ROCPRIM_400000_NS6detail17trampoline_kernelINS0_14default_configENS1_35radix_sort_onesweep_config_selectorIlNS0_10empty_typeEEEZNS1_34radix_sort_onesweep_global_offsetsIS3_Lb0EPlPS5_mNS0_19identity_decomposerEEE10hipError_tT1_T2_PT3_SE_jT4_jjP12ihipStream_tbEUlT_E_NS1_11comp_targetILNS1_3genE9ELNS1_11target_archE1100ELNS1_3gpuE3ELNS1_3repE0EEENS1_52radix_sort_onesweep_histogram_config_static_selectorELNS0_4arch9wavefront6targetE1EEEvSC_
		.amdhsa_group_segment_fixed_size 0
		.amdhsa_private_segment_fixed_size 0
		.amdhsa_kernarg_size 48
		.amdhsa_user_sgpr_count 6
		.amdhsa_user_sgpr_private_segment_buffer 1
		.amdhsa_user_sgpr_dispatch_ptr 0
		.amdhsa_user_sgpr_queue_ptr 0
		.amdhsa_user_sgpr_kernarg_segment_ptr 1
		.amdhsa_user_sgpr_dispatch_id 0
		.amdhsa_user_sgpr_flat_scratch_init 0
		.amdhsa_user_sgpr_kernarg_preload_length 0
		.amdhsa_user_sgpr_kernarg_preload_offset 0
		.amdhsa_user_sgpr_private_segment_size 0
		.amdhsa_uses_dynamic_stack 0
		.amdhsa_system_sgpr_private_segment_wavefront_offset 0
		.amdhsa_system_sgpr_workgroup_id_x 1
		.amdhsa_system_sgpr_workgroup_id_y 0
		.amdhsa_system_sgpr_workgroup_id_z 0
		.amdhsa_system_sgpr_workgroup_info 0
		.amdhsa_system_vgpr_workitem_id 0
		.amdhsa_next_free_vgpr 1
		.amdhsa_next_free_sgpr 0
		.amdhsa_accum_offset 4
		.amdhsa_reserve_vcc 0
		.amdhsa_reserve_flat_scratch 0
		.amdhsa_float_round_mode_32 0
		.amdhsa_float_round_mode_16_64 0
		.amdhsa_float_denorm_mode_32 3
		.amdhsa_float_denorm_mode_16_64 3
		.amdhsa_dx10_clamp 1
		.amdhsa_ieee_mode 1
		.amdhsa_fp16_overflow 0
		.amdhsa_tg_split 0
		.amdhsa_exception_fp_ieee_invalid_op 0
		.amdhsa_exception_fp_denorm_src 0
		.amdhsa_exception_fp_ieee_div_zero 0
		.amdhsa_exception_fp_ieee_overflow 0
		.amdhsa_exception_fp_ieee_underflow 0
		.amdhsa_exception_fp_ieee_inexact 0
		.amdhsa_exception_int_div_zero 0
	.end_amdhsa_kernel
	.section	.text._ZN7rocprim17ROCPRIM_400000_NS6detail17trampoline_kernelINS0_14default_configENS1_35radix_sort_onesweep_config_selectorIlNS0_10empty_typeEEEZNS1_34radix_sort_onesweep_global_offsetsIS3_Lb0EPlPS5_mNS0_19identity_decomposerEEE10hipError_tT1_T2_PT3_SE_jT4_jjP12ihipStream_tbEUlT_E_NS1_11comp_targetILNS1_3genE9ELNS1_11target_archE1100ELNS1_3gpuE3ELNS1_3repE0EEENS1_52radix_sort_onesweep_histogram_config_static_selectorELNS0_4arch9wavefront6targetE1EEEvSC_,"axG",@progbits,_ZN7rocprim17ROCPRIM_400000_NS6detail17trampoline_kernelINS0_14default_configENS1_35radix_sort_onesweep_config_selectorIlNS0_10empty_typeEEEZNS1_34radix_sort_onesweep_global_offsetsIS3_Lb0EPlPS5_mNS0_19identity_decomposerEEE10hipError_tT1_T2_PT3_SE_jT4_jjP12ihipStream_tbEUlT_E_NS1_11comp_targetILNS1_3genE9ELNS1_11target_archE1100ELNS1_3gpuE3ELNS1_3repE0EEENS1_52radix_sort_onesweep_histogram_config_static_selectorELNS0_4arch9wavefront6targetE1EEEvSC_,comdat
.Lfunc_end859:
	.size	_ZN7rocprim17ROCPRIM_400000_NS6detail17trampoline_kernelINS0_14default_configENS1_35radix_sort_onesweep_config_selectorIlNS0_10empty_typeEEEZNS1_34radix_sort_onesweep_global_offsetsIS3_Lb0EPlPS5_mNS0_19identity_decomposerEEE10hipError_tT1_T2_PT3_SE_jT4_jjP12ihipStream_tbEUlT_E_NS1_11comp_targetILNS1_3genE9ELNS1_11target_archE1100ELNS1_3gpuE3ELNS1_3repE0EEENS1_52radix_sort_onesweep_histogram_config_static_selectorELNS0_4arch9wavefront6targetE1EEEvSC_, .Lfunc_end859-_ZN7rocprim17ROCPRIM_400000_NS6detail17trampoline_kernelINS0_14default_configENS1_35radix_sort_onesweep_config_selectorIlNS0_10empty_typeEEEZNS1_34radix_sort_onesweep_global_offsetsIS3_Lb0EPlPS5_mNS0_19identity_decomposerEEE10hipError_tT1_T2_PT3_SE_jT4_jjP12ihipStream_tbEUlT_E_NS1_11comp_targetILNS1_3genE9ELNS1_11target_archE1100ELNS1_3gpuE3ELNS1_3repE0EEENS1_52radix_sort_onesweep_histogram_config_static_selectorELNS0_4arch9wavefront6targetE1EEEvSC_
                                        ; -- End function
	.section	.AMDGPU.csdata,"",@progbits
; Kernel info:
; codeLenInByte = 0
; NumSgprs: 4
; NumVgprs: 0
; NumAgprs: 0
; TotalNumVgprs: 0
; ScratchSize: 0
; MemoryBound: 0
; FloatMode: 240
; IeeeMode: 1
; LDSByteSize: 0 bytes/workgroup (compile time only)
; SGPRBlocks: 0
; VGPRBlocks: 0
; NumSGPRsForWavesPerEU: 4
; NumVGPRsForWavesPerEU: 1
; AccumOffset: 4
; Occupancy: 8
; WaveLimiterHint : 0
; COMPUTE_PGM_RSRC2:SCRATCH_EN: 0
; COMPUTE_PGM_RSRC2:USER_SGPR: 6
; COMPUTE_PGM_RSRC2:TRAP_HANDLER: 0
; COMPUTE_PGM_RSRC2:TGID_X_EN: 1
; COMPUTE_PGM_RSRC2:TGID_Y_EN: 0
; COMPUTE_PGM_RSRC2:TGID_Z_EN: 0
; COMPUTE_PGM_RSRC2:TIDIG_COMP_CNT: 0
; COMPUTE_PGM_RSRC3_GFX90A:ACCUM_OFFSET: 0
; COMPUTE_PGM_RSRC3_GFX90A:TG_SPLIT: 0
	.section	.text._ZN7rocprim17ROCPRIM_400000_NS6detail17trampoline_kernelINS0_14default_configENS1_35radix_sort_onesweep_config_selectorIlNS0_10empty_typeEEEZNS1_34radix_sort_onesweep_global_offsetsIS3_Lb0EPlPS5_mNS0_19identity_decomposerEEE10hipError_tT1_T2_PT3_SE_jT4_jjP12ihipStream_tbEUlT_E_NS1_11comp_targetILNS1_3genE8ELNS1_11target_archE1030ELNS1_3gpuE2ELNS1_3repE0EEENS1_52radix_sort_onesweep_histogram_config_static_selectorELNS0_4arch9wavefront6targetE1EEEvSC_,"axG",@progbits,_ZN7rocprim17ROCPRIM_400000_NS6detail17trampoline_kernelINS0_14default_configENS1_35radix_sort_onesweep_config_selectorIlNS0_10empty_typeEEEZNS1_34radix_sort_onesweep_global_offsetsIS3_Lb0EPlPS5_mNS0_19identity_decomposerEEE10hipError_tT1_T2_PT3_SE_jT4_jjP12ihipStream_tbEUlT_E_NS1_11comp_targetILNS1_3genE8ELNS1_11target_archE1030ELNS1_3gpuE2ELNS1_3repE0EEENS1_52radix_sort_onesweep_histogram_config_static_selectorELNS0_4arch9wavefront6targetE1EEEvSC_,comdat
	.protected	_ZN7rocprim17ROCPRIM_400000_NS6detail17trampoline_kernelINS0_14default_configENS1_35radix_sort_onesweep_config_selectorIlNS0_10empty_typeEEEZNS1_34radix_sort_onesweep_global_offsetsIS3_Lb0EPlPS5_mNS0_19identity_decomposerEEE10hipError_tT1_T2_PT3_SE_jT4_jjP12ihipStream_tbEUlT_E_NS1_11comp_targetILNS1_3genE8ELNS1_11target_archE1030ELNS1_3gpuE2ELNS1_3repE0EEENS1_52radix_sort_onesweep_histogram_config_static_selectorELNS0_4arch9wavefront6targetE1EEEvSC_ ; -- Begin function _ZN7rocprim17ROCPRIM_400000_NS6detail17trampoline_kernelINS0_14default_configENS1_35radix_sort_onesweep_config_selectorIlNS0_10empty_typeEEEZNS1_34radix_sort_onesweep_global_offsetsIS3_Lb0EPlPS5_mNS0_19identity_decomposerEEE10hipError_tT1_T2_PT3_SE_jT4_jjP12ihipStream_tbEUlT_E_NS1_11comp_targetILNS1_3genE8ELNS1_11target_archE1030ELNS1_3gpuE2ELNS1_3repE0EEENS1_52radix_sort_onesweep_histogram_config_static_selectorELNS0_4arch9wavefront6targetE1EEEvSC_
	.globl	_ZN7rocprim17ROCPRIM_400000_NS6detail17trampoline_kernelINS0_14default_configENS1_35radix_sort_onesweep_config_selectorIlNS0_10empty_typeEEEZNS1_34radix_sort_onesweep_global_offsetsIS3_Lb0EPlPS5_mNS0_19identity_decomposerEEE10hipError_tT1_T2_PT3_SE_jT4_jjP12ihipStream_tbEUlT_E_NS1_11comp_targetILNS1_3genE8ELNS1_11target_archE1030ELNS1_3gpuE2ELNS1_3repE0EEENS1_52radix_sort_onesweep_histogram_config_static_selectorELNS0_4arch9wavefront6targetE1EEEvSC_
	.p2align	8
	.type	_ZN7rocprim17ROCPRIM_400000_NS6detail17trampoline_kernelINS0_14default_configENS1_35radix_sort_onesweep_config_selectorIlNS0_10empty_typeEEEZNS1_34radix_sort_onesweep_global_offsetsIS3_Lb0EPlPS5_mNS0_19identity_decomposerEEE10hipError_tT1_T2_PT3_SE_jT4_jjP12ihipStream_tbEUlT_E_NS1_11comp_targetILNS1_3genE8ELNS1_11target_archE1030ELNS1_3gpuE2ELNS1_3repE0EEENS1_52radix_sort_onesweep_histogram_config_static_selectorELNS0_4arch9wavefront6targetE1EEEvSC_,@function
_ZN7rocprim17ROCPRIM_400000_NS6detail17trampoline_kernelINS0_14default_configENS1_35radix_sort_onesweep_config_selectorIlNS0_10empty_typeEEEZNS1_34radix_sort_onesweep_global_offsetsIS3_Lb0EPlPS5_mNS0_19identity_decomposerEEE10hipError_tT1_T2_PT3_SE_jT4_jjP12ihipStream_tbEUlT_E_NS1_11comp_targetILNS1_3genE8ELNS1_11target_archE1030ELNS1_3gpuE2ELNS1_3repE0EEENS1_52radix_sort_onesweep_histogram_config_static_selectorELNS0_4arch9wavefront6targetE1EEEvSC_: ; @_ZN7rocprim17ROCPRIM_400000_NS6detail17trampoline_kernelINS0_14default_configENS1_35radix_sort_onesweep_config_selectorIlNS0_10empty_typeEEEZNS1_34radix_sort_onesweep_global_offsetsIS3_Lb0EPlPS5_mNS0_19identity_decomposerEEE10hipError_tT1_T2_PT3_SE_jT4_jjP12ihipStream_tbEUlT_E_NS1_11comp_targetILNS1_3genE8ELNS1_11target_archE1030ELNS1_3gpuE2ELNS1_3repE0EEENS1_52radix_sort_onesweep_histogram_config_static_selectorELNS0_4arch9wavefront6targetE1EEEvSC_
; %bb.0:
	.section	.rodata,"a",@progbits
	.p2align	6, 0x0
	.amdhsa_kernel _ZN7rocprim17ROCPRIM_400000_NS6detail17trampoline_kernelINS0_14default_configENS1_35radix_sort_onesweep_config_selectorIlNS0_10empty_typeEEEZNS1_34radix_sort_onesweep_global_offsetsIS3_Lb0EPlPS5_mNS0_19identity_decomposerEEE10hipError_tT1_T2_PT3_SE_jT4_jjP12ihipStream_tbEUlT_E_NS1_11comp_targetILNS1_3genE8ELNS1_11target_archE1030ELNS1_3gpuE2ELNS1_3repE0EEENS1_52radix_sort_onesweep_histogram_config_static_selectorELNS0_4arch9wavefront6targetE1EEEvSC_
		.amdhsa_group_segment_fixed_size 0
		.amdhsa_private_segment_fixed_size 0
		.amdhsa_kernarg_size 48
		.amdhsa_user_sgpr_count 6
		.amdhsa_user_sgpr_private_segment_buffer 1
		.amdhsa_user_sgpr_dispatch_ptr 0
		.amdhsa_user_sgpr_queue_ptr 0
		.amdhsa_user_sgpr_kernarg_segment_ptr 1
		.amdhsa_user_sgpr_dispatch_id 0
		.amdhsa_user_sgpr_flat_scratch_init 0
		.amdhsa_user_sgpr_kernarg_preload_length 0
		.amdhsa_user_sgpr_kernarg_preload_offset 0
		.amdhsa_user_sgpr_private_segment_size 0
		.amdhsa_uses_dynamic_stack 0
		.amdhsa_system_sgpr_private_segment_wavefront_offset 0
		.amdhsa_system_sgpr_workgroup_id_x 1
		.amdhsa_system_sgpr_workgroup_id_y 0
		.amdhsa_system_sgpr_workgroup_id_z 0
		.amdhsa_system_sgpr_workgroup_info 0
		.amdhsa_system_vgpr_workitem_id 0
		.amdhsa_next_free_vgpr 1
		.amdhsa_next_free_sgpr 0
		.amdhsa_accum_offset 4
		.amdhsa_reserve_vcc 0
		.amdhsa_reserve_flat_scratch 0
		.amdhsa_float_round_mode_32 0
		.amdhsa_float_round_mode_16_64 0
		.amdhsa_float_denorm_mode_32 3
		.amdhsa_float_denorm_mode_16_64 3
		.amdhsa_dx10_clamp 1
		.amdhsa_ieee_mode 1
		.amdhsa_fp16_overflow 0
		.amdhsa_tg_split 0
		.amdhsa_exception_fp_ieee_invalid_op 0
		.amdhsa_exception_fp_denorm_src 0
		.amdhsa_exception_fp_ieee_div_zero 0
		.amdhsa_exception_fp_ieee_overflow 0
		.amdhsa_exception_fp_ieee_underflow 0
		.amdhsa_exception_fp_ieee_inexact 0
		.amdhsa_exception_int_div_zero 0
	.end_amdhsa_kernel
	.section	.text._ZN7rocprim17ROCPRIM_400000_NS6detail17trampoline_kernelINS0_14default_configENS1_35radix_sort_onesweep_config_selectorIlNS0_10empty_typeEEEZNS1_34radix_sort_onesweep_global_offsetsIS3_Lb0EPlPS5_mNS0_19identity_decomposerEEE10hipError_tT1_T2_PT3_SE_jT4_jjP12ihipStream_tbEUlT_E_NS1_11comp_targetILNS1_3genE8ELNS1_11target_archE1030ELNS1_3gpuE2ELNS1_3repE0EEENS1_52radix_sort_onesweep_histogram_config_static_selectorELNS0_4arch9wavefront6targetE1EEEvSC_,"axG",@progbits,_ZN7rocprim17ROCPRIM_400000_NS6detail17trampoline_kernelINS0_14default_configENS1_35radix_sort_onesweep_config_selectorIlNS0_10empty_typeEEEZNS1_34radix_sort_onesweep_global_offsetsIS3_Lb0EPlPS5_mNS0_19identity_decomposerEEE10hipError_tT1_T2_PT3_SE_jT4_jjP12ihipStream_tbEUlT_E_NS1_11comp_targetILNS1_3genE8ELNS1_11target_archE1030ELNS1_3gpuE2ELNS1_3repE0EEENS1_52radix_sort_onesweep_histogram_config_static_selectorELNS0_4arch9wavefront6targetE1EEEvSC_,comdat
.Lfunc_end860:
	.size	_ZN7rocprim17ROCPRIM_400000_NS6detail17trampoline_kernelINS0_14default_configENS1_35radix_sort_onesweep_config_selectorIlNS0_10empty_typeEEEZNS1_34radix_sort_onesweep_global_offsetsIS3_Lb0EPlPS5_mNS0_19identity_decomposerEEE10hipError_tT1_T2_PT3_SE_jT4_jjP12ihipStream_tbEUlT_E_NS1_11comp_targetILNS1_3genE8ELNS1_11target_archE1030ELNS1_3gpuE2ELNS1_3repE0EEENS1_52radix_sort_onesweep_histogram_config_static_selectorELNS0_4arch9wavefront6targetE1EEEvSC_, .Lfunc_end860-_ZN7rocprim17ROCPRIM_400000_NS6detail17trampoline_kernelINS0_14default_configENS1_35radix_sort_onesweep_config_selectorIlNS0_10empty_typeEEEZNS1_34radix_sort_onesweep_global_offsetsIS3_Lb0EPlPS5_mNS0_19identity_decomposerEEE10hipError_tT1_T2_PT3_SE_jT4_jjP12ihipStream_tbEUlT_E_NS1_11comp_targetILNS1_3genE8ELNS1_11target_archE1030ELNS1_3gpuE2ELNS1_3repE0EEENS1_52radix_sort_onesweep_histogram_config_static_selectorELNS0_4arch9wavefront6targetE1EEEvSC_
                                        ; -- End function
	.section	.AMDGPU.csdata,"",@progbits
; Kernel info:
; codeLenInByte = 0
; NumSgprs: 4
; NumVgprs: 0
; NumAgprs: 0
; TotalNumVgprs: 0
; ScratchSize: 0
; MemoryBound: 0
; FloatMode: 240
; IeeeMode: 1
; LDSByteSize: 0 bytes/workgroup (compile time only)
; SGPRBlocks: 0
; VGPRBlocks: 0
; NumSGPRsForWavesPerEU: 4
; NumVGPRsForWavesPerEU: 1
; AccumOffset: 4
; Occupancy: 8
; WaveLimiterHint : 0
; COMPUTE_PGM_RSRC2:SCRATCH_EN: 0
; COMPUTE_PGM_RSRC2:USER_SGPR: 6
; COMPUTE_PGM_RSRC2:TRAP_HANDLER: 0
; COMPUTE_PGM_RSRC2:TGID_X_EN: 1
; COMPUTE_PGM_RSRC2:TGID_Y_EN: 0
; COMPUTE_PGM_RSRC2:TGID_Z_EN: 0
; COMPUTE_PGM_RSRC2:TIDIG_COMP_CNT: 0
; COMPUTE_PGM_RSRC3_GFX90A:ACCUM_OFFSET: 0
; COMPUTE_PGM_RSRC3_GFX90A:TG_SPLIT: 0
	.section	.text._ZN7rocprim17ROCPRIM_400000_NS6detail17trampoline_kernelINS0_14default_configENS1_35radix_sort_onesweep_config_selectorIlNS0_10empty_typeEEEZNS1_34radix_sort_onesweep_global_offsetsIS3_Lb0EPlPS5_mNS0_19identity_decomposerEEE10hipError_tT1_T2_PT3_SE_jT4_jjP12ihipStream_tbEUlT_E0_NS1_11comp_targetILNS1_3genE0ELNS1_11target_archE4294967295ELNS1_3gpuE0ELNS1_3repE0EEENS1_52radix_sort_onesweep_histogram_config_static_selectorELNS0_4arch9wavefront6targetE1EEEvSC_,"axG",@progbits,_ZN7rocprim17ROCPRIM_400000_NS6detail17trampoline_kernelINS0_14default_configENS1_35radix_sort_onesweep_config_selectorIlNS0_10empty_typeEEEZNS1_34radix_sort_onesweep_global_offsetsIS3_Lb0EPlPS5_mNS0_19identity_decomposerEEE10hipError_tT1_T2_PT3_SE_jT4_jjP12ihipStream_tbEUlT_E0_NS1_11comp_targetILNS1_3genE0ELNS1_11target_archE4294967295ELNS1_3gpuE0ELNS1_3repE0EEENS1_52radix_sort_onesweep_histogram_config_static_selectorELNS0_4arch9wavefront6targetE1EEEvSC_,comdat
	.protected	_ZN7rocprim17ROCPRIM_400000_NS6detail17trampoline_kernelINS0_14default_configENS1_35radix_sort_onesweep_config_selectorIlNS0_10empty_typeEEEZNS1_34radix_sort_onesweep_global_offsetsIS3_Lb0EPlPS5_mNS0_19identity_decomposerEEE10hipError_tT1_T2_PT3_SE_jT4_jjP12ihipStream_tbEUlT_E0_NS1_11comp_targetILNS1_3genE0ELNS1_11target_archE4294967295ELNS1_3gpuE0ELNS1_3repE0EEENS1_52radix_sort_onesweep_histogram_config_static_selectorELNS0_4arch9wavefront6targetE1EEEvSC_ ; -- Begin function _ZN7rocprim17ROCPRIM_400000_NS6detail17trampoline_kernelINS0_14default_configENS1_35radix_sort_onesweep_config_selectorIlNS0_10empty_typeEEEZNS1_34radix_sort_onesweep_global_offsetsIS3_Lb0EPlPS5_mNS0_19identity_decomposerEEE10hipError_tT1_T2_PT3_SE_jT4_jjP12ihipStream_tbEUlT_E0_NS1_11comp_targetILNS1_3genE0ELNS1_11target_archE4294967295ELNS1_3gpuE0ELNS1_3repE0EEENS1_52radix_sort_onesweep_histogram_config_static_selectorELNS0_4arch9wavefront6targetE1EEEvSC_
	.globl	_ZN7rocprim17ROCPRIM_400000_NS6detail17trampoline_kernelINS0_14default_configENS1_35radix_sort_onesweep_config_selectorIlNS0_10empty_typeEEEZNS1_34radix_sort_onesweep_global_offsetsIS3_Lb0EPlPS5_mNS0_19identity_decomposerEEE10hipError_tT1_T2_PT3_SE_jT4_jjP12ihipStream_tbEUlT_E0_NS1_11comp_targetILNS1_3genE0ELNS1_11target_archE4294967295ELNS1_3gpuE0ELNS1_3repE0EEENS1_52radix_sort_onesweep_histogram_config_static_selectorELNS0_4arch9wavefront6targetE1EEEvSC_
	.p2align	8
	.type	_ZN7rocprim17ROCPRIM_400000_NS6detail17trampoline_kernelINS0_14default_configENS1_35radix_sort_onesweep_config_selectorIlNS0_10empty_typeEEEZNS1_34radix_sort_onesweep_global_offsetsIS3_Lb0EPlPS5_mNS0_19identity_decomposerEEE10hipError_tT1_T2_PT3_SE_jT4_jjP12ihipStream_tbEUlT_E0_NS1_11comp_targetILNS1_3genE0ELNS1_11target_archE4294967295ELNS1_3gpuE0ELNS1_3repE0EEENS1_52radix_sort_onesweep_histogram_config_static_selectorELNS0_4arch9wavefront6targetE1EEEvSC_,@function
_ZN7rocprim17ROCPRIM_400000_NS6detail17trampoline_kernelINS0_14default_configENS1_35radix_sort_onesweep_config_selectorIlNS0_10empty_typeEEEZNS1_34radix_sort_onesweep_global_offsetsIS3_Lb0EPlPS5_mNS0_19identity_decomposerEEE10hipError_tT1_T2_PT3_SE_jT4_jjP12ihipStream_tbEUlT_E0_NS1_11comp_targetILNS1_3genE0ELNS1_11target_archE4294967295ELNS1_3gpuE0ELNS1_3repE0EEENS1_52radix_sort_onesweep_histogram_config_static_selectorELNS0_4arch9wavefront6targetE1EEEvSC_: ; @_ZN7rocprim17ROCPRIM_400000_NS6detail17trampoline_kernelINS0_14default_configENS1_35radix_sort_onesweep_config_selectorIlNS0_10empty_typeEEEZNS1_34radix_sort_onesweep_global_offsetsIS3_Lb0EPlPS5_mNS0_19identity_decomposerEEE10hipError_tT1_T2_PT3_SE_jT4_jjP12ihipStream_tbEUlT_E0_NS1_11comp_targetILNS1_3genE0ELNS1_11target_archE4294967295ELNS1_3gpuE0ELNS1_3repE0EEENS1_52radix_sort_onesweep_histogram_config_static_selectorELNS0_4arch9wavefront6targetE1EEEvSC_
; %bb.0:
	.section	.rodata,"a",@progbits
	.p2align	6, 0x0
	.amdhsa_kernel _ZN7rocprim17ROCPRIM_400000_NS6detail17trampoline_kernelINS0_14default_configENS1_35radix_sort_onesweep_config_selectorIlNS0_10empty_typeEEEZNS1_34radix_sort_onesweep_global_offsetsIS3_Lb0EPlPS5_mNS0_19identity_decomposerEEE10hipError_tT1_T2_PT3_SE_jT4_jjP12ihipStream_tbEUlT_E0_NS1_11comp_targetILNS1_3genE0ELNS1_11target_archE4294967295ELNS1_3gpuE0ELNS1_3repE0EEENS1_52radix_sort_onesweep_histogram_config_static_selectorELNS0_4arch9wavefront6targetE1EEEvSC_
		.amdhsa_group_segment_fixed_size 0
		.amdhsa_private_segment_fixed_size 0
		.amdhsa_kernarg_size 8
		.amdhsa_user_sgpr_count 6
		.amdhsa_user_sgpr_private_segment_buffer 1
		.amdhsa_user_sgpr_dispatch_ptr 0
		.amdhsa_user_sgpr_queue_ptr 0
		.amdhsa_user_sgpr_kernarg_segment_ptr 1
		.amdhsa_user_sgpr_dispatch_id 0
		.amdhsa_user_sgpr_flat_scratch_init 0
		.amdhsa_user_sgpr_kernarg_preload_length 0
		.amdhsa_user_sgpr_kernarg_preload_offset 0
		.amdhsa_user_sgpr_private_segment_size 0
		.amdhsa_uses_dynamic_stack 0
		.amdhsa_system_sgpr_private_segment_wavefront_offset 0
		.amdhsa_system_sgpr_workgroup_id_x 1
		.amdhsa_system_sgpr_workgroup_id_y 0
		.amdhsa_system_sgpr_workgroup_id_z 0
		.amdhsa_system_sgpr_workgroup_info 0
		.amdhsa_system_vgpr_workitem_id 0
		.amdhsa_next_free_vgpr 1
		.amdhsa_next_free_sgpr 0
		.amdhsa_accum_offset 4
		.amdhsa_reserve_vcc 0
		.amdhsa_reserve_flat_scratch 0
		.amdhsa_float_round_mode_32 0
		.amdhsa_float_round_mode_16_64 0
		.amdhsa_float_denorm_mode_32 3
		.amdhsa_float_denorm_mode_16_64 3
		.amdhsa_dx10_clamp 1
		.amdhsa_ieee_mode 1
		.amdhsa_fp16_overflow 0
		.amdhsa_tg_split 0
		.amdhsa_exception_fp_ieee_invalid_op 0
		.amdhsa_exception_fp_denorm_src 0
		.amdhsa_exception_fp_ieee_div_zero 0
		.amdhsa_exception_fp_ieee_overflow 0
		.amdhsa_exception_fp_ieee_underflow 0
		.amdhsa_exception_fp_ieee_inexact 0
		.amdhsa_exception_int_div_zero 0
	.end_amdhsa_kernel
	.section	.text._ZN7rocprim17ROCPRIM_400000_NS6detail17trampoline_kernelINS0_14default_configENS1_35radix_sort_onesweep_config_selectorIlNS0_10empty_typeEEEZNS1_34radix_sort_onesweep_global_offsetsIS3_Lb0EPlPS5_mNS0_19identity_decomposerEEE10hipError_tT1_T2_PT3_SE_jT4_jjP12ihipStream_tbEUlT_E0_NS1_11comp_targetILNS1_3genE0ELNS1_11target_archE4294967295ELNS1_3gpuE0ELNS1_3repE0EEENS1_52radix_sort_onesweep_histogram_config_static_selectorELNS0_4arch9wavefront6targetE1EEEvSC_,"axG",@progbits,_ZN7rocprim17ROCPRIM_400000_NS6detail17trampoline_kernelINS0_14default_configENS1_35radix_sort_onesweep_config_selectorIlNS0_10empty_typeEEEZNS1_34radix_sort_onesweep_global_offsetsIS3_Lb0EPlPS5_mNS0_19identity_decomposerEEE10hipError_tT1_T2_PT3_SE_jT4_jjP12ihipStream_tbEUlT_E0_NS1_11comp_targetILNS1_3genE0ELNS1_11target_archE4294967295ELNS1_3gpuE0ELNS1_3repE0EEENS1_52radix_sort_onesweep_histogram_config_static_selectorELNS0_4arch9wavefront6targetE1EEEvSC_,comdat
.Lfunc_end861:
	.size	_ZN7rocprim17ROCPRIM_400000_NS6detail17trampoline_kernelINS0_14default_configENS1_35radix_sort_onesweep_config_selectorIlNS0_10empty_typeEEEZNS1_34radix_sort_onesweep_global_offsetsIS3_Lb0EPlPS5_mNS0_19identity_decomposerEEE10hipError_tT1_T2_PT3_SE_jT4_jjP12ihipStream_tbEUlT_E0_NS1_11comp_targetILNS1_3genE0ELNS1_11target_archE4294967295ELNS1_3gpuE0ELNS1_3repE0EEENS1_52radix_sort_onesweep_histogram_config_static_selectorELNS0_4arch9wavefront6targetE1EEEvSC_, .Lfunc_end861-_ZN7rocprim17ROCPRIM_400000_NS6detail17trampoline_kernelINS0_14default_configENS1_35radix_sort_onesweep_config_selectorIlNS0_10empty_typeEEEZNS1_34radix_sort_onesweep_global_offsetsIS3_Lb0EPlPS5_mNS0_19identity_decomposerEEE10hipError_tT1_T2_PT3_SE_jT4_jjP12ihipStream_tbEUlT_E0_NS1_11comp_targetILNS1_3genE0ELNS1_11target_archE4294967295ELNS1_3gpuE0ELNS1_3repE0EEENS1_52radix_sort_onesweep_histogram_config_static_selectorELNS0_4arch9wavefront6targetE1EEEvSC_
                                        ; -- End function
	.section	.AMDGPU.csdata,"",@progbits
; Kernel info:
; codeLenInByte = 0
; NumSgprs: 4
; NumVgprs: 0
; NumAgprs: 0
; TotalNumVgprs: 0
; ScratchSize: 0
; MemoryBound: 0
; FloatMode: 240
; IeeeMode: 1
; LDSByteSize: 0 bytes/workgroup (compile time only)
; SGPRBlocks: 0
; VGPRBlocks: 0
; NumSGPRsForWavesPerEU: 4
; NumVGPRsForWavesPerEU: 1
; AccumOffset: 4
; Occupancy: 8
; WaveLimiterHint : 0
; COMPUTE_PGM_RSRC2:SCRATCH_EN: 0
; COMPUTE_PGM_RSRC2:USER_SGPR: 6
; COMPUTE_PGM_RSRC2:TRAP_HANDLER: 0
; COMPUTE_PGM_RSRC2:TGID_X_EN: 1
; COMPUTE_PGM_RSRC2:TGID_Y_EN: 0
; COMPUTE_PGM_RSRC2:TGID_Z_EN: 0
; COMPUTE_PGM_RSRC2:TIDIG_COMP_CNT: 0
; COMPUTE_PGM_RSRC3_GFX90A:ACCUM_OFFSET: 0
; COMPUTE_PGM_RSRC3_GFX90A:TG_SPLIT: 0
	.section	.text._ZN7rocprim17ROCPRIM_400000_NS6detail17trampoline_kernelINS0_14default_configENS1_35radix_sort_onesweep_config_selectorIlNS0_10empty_typeEEEZNS1_34radix_sort_onesweep_global_offsetsIS3_Lb0EPlPS5_mNS0_19identity_decomposerEEE10hipError_tT1_T2_PT3_SE_jT4_jjP12ihipStream_tbEUlT_E0_NS1_11comp_targetILNS1_3genE6ELNS1_11target_archE950ELNS1_3gpuE13ELNS1_3repE0EEENS1_52radix_sort_onesweep_histogram_config_static_selectorELNS0_4arch9wavefront6targetE1EEEvSC_,"axG",@progbits,_ZN7rocprim17ROCPRIM_400000_NS6detail17trampoline_kernelINS0_14default_configENS1_35radix_sort_onesweep_config_selectorIlNS0_10empty_typeEEEZNS1_34radix_sort_onesweep_global_offsetsIS3_Lb0EPlPS5_mNS0_19identity_decomposerEEE10hipError_tT1_T2_PT3_SE_jT4_jjP12ihipStream_tbEUlT_E0_NS1_11comp_targetILNS1_3genE6ELNS1_11target_archE950ELNS1_3gpuE13ELNS1_3repE0EEENS1_52radix_sort_onesweep_histogram_config_static_selectorELNS0_4arch9wavefront6targetE1EEEvSC_,comdat
	.protected	_ZN7rocprim17ROCPRIM_400000_NS6detail17trampoline_kernelINS0_14default_configENS1_35radix_sort_onesweep_config_selectorIlNS0_10empty_typeEEEZNS1_34radix_sort_onesweep_global_offsetsIS3_Lb0EPlPS5_mNS0_19identity_decomposerEEE10hipError_tT1_T2_PT3_SE_jT4_jjP12ihipStream_tbEUlT_E0_NS1_11comp_targetILNS1_3genE6ELNS1_11target_archE950ELNS1_3gpuE13ELNS1_3repE0EEENS1_52radix_sort_onesweep_histogram_config_static_selectorELNS0_4arch9wavefront6targetE1EEEvSC_ ; -- Begin function _ZN7rocprim17ROCPRIM_400000_NS6detail17trampoline_kernelINS0_14default_configENS1_35radix_sort_onesweep_config_selectorIlNS0_10empty_typeEEEZNS1_34radix_sort_onesweep_global_offsetsIS3_Lb0EPlPS5_mNS0_19identity_decomposerEEE10hipError_tT1_T2_PT3_SE_jT4_jjP12ihipStream_tbEUlT_E0_NS1_11comp_targetILNS1_3genE6ELNS1_11target_archE950ELNS1_3gpuE13ELNS1_3repE0EEENS1_52radix_sort_onesweep_histogram_config_static_selectorELNS0_4arch9wavefront6targetE1EEEvSC_
	.globl	_ZN7rocprim17ROCPRIM_400000_NS6detail17trampoline_kernelINS0_14default_configENS1_35radix_sort_onesweep_config_selectorIlNS0_10empty_typeEEEZNS1_34radix_sort_onesweep_global_offsetsIS3_Lb0EPlPS5_mNS0_19identity_decomposerEEE10hipError_tT1_T2_PT3_SE_jT4_jjP12ihipStream_tbEUlT_E0_NS1_11comp_targetILNS1_3genE6ELNS1_11target_archE950ELNS1_3gpuE13ELNS1_3repE0EEENS1_52radix_sort_onesweep_histogram_config_static_selectorELNS0_4arch9wavefront6targetE1EEEvSC_
	.p2align	8
	.type	_ZN7rocprim17ROCPRIM_400000_NS6detail17trampoline_kernelINS0_14default_configENS1_35radix_sort_onesweep_config_selectorIlNS0_10empty_typeEEEZNS1_34radix_sort_onesweep_global_offsetsIS3_Lb0EPlPS5_mNS0_19identity_decomposerEEE10hipError_tT1_T2_PT3_SE_jT4_jjP12ihipStream_tbEUlT_E0_NS1_11comp_targetILNS1_3genE6ELNS1_11target_archE950ELNS1_3gpuE13ELNS1_3repE0EEENS1_52radix_sort_onesweep_histogram_config_static_selectorELNS0_4arch9wavefront6targetE1EEEvSC_,@function
_ZN7rocprim17ROCPRIM_400000_NS6detail17trampoline_kernelINS0_14default_configENS1_35radix_sort_onesweep_config_selectorIlNS0_10empty_typeEEEZNS1_34radix_sort_onesweep_global_offsetsIS3_Lb0EPlPS5_mNS0_19identity_decomposerEEE10hipError_tT1_T2_PT3_SE_jT4_jjP12ihipStream_tbEUlT_E0_NS1_11comp_targetILNS1_3genE6ELNS1_11target_archE950ELNS1_3gpuE13ELNS1_3repE0EEENS1_52radix_sort_onesweep_histogram_config_static_selectorELNS0_4arch9wavefront6targetE1EEEvSC_: ; @_ZN7rocprim17ROCPRIM_400000_NS6detail17trampoline_kernelINS0_14default_configENS1_35radix_sort_onesweep_config_selectorIlNS0_10empty_typeEEEZNS1_34radix_sort_onesweep_global_offsetsIS3_Lb0EPlPS5_mNS0_19identity_decomposerEEE10hipError_tT1_T2_PT3_SE_jT4_jjP12ihipStream_tbEUlT_E0_NS1_11comp_targetILNS1_3genE6ELNS1_11target_archE950ELNS1_3gpuE13ELNS1_3repE0EEENS1_52radix_sort_onesweep_histogram_config_static_selectorELNS0_4arch9wavefront6targetE1EEEvSC_
; %bb.0:
	.section	.rodata,"a",@progbits
	.p2align	6, 0x0
	.amdhsa_kernel _ZN7rocprim17ROCPRIM_400000_NS6detail17trampoline_kernelINS0_14default_configENS1_35radix_sort_onesweep_config_selectorIlNS0_10empty_typeEEEZNS1_34radix_sort_onesweep_global_offsetsIS3_Lb0EPlPS5_mNS0_19identity_decomposerEEE10hipError_tT1_T2_PT3_SE_jT4_jjP12ihipStream_tbEUlT_E0_NS1_11comp_targetILNS1_3genE6ELNS1_11target_archE950ELNS1_3gpuE13ELNS1_3repE0EEENS1_52radix_sort_onesweep_histogram_config_static_selectorELNS0_4arch9wavefront6targetE1EEEvSC_
		.amdhsa_group_segment_fixed_size 0
		.amdhsa_private_segment_fixed_size 0
		.amdhsa_kernarg_size 8
		.amdhsa_user_sgpr_count 6
		.amdhsa_user_sgpr_private_segment_buffer 1
		.amdhsa_user_sgpr_dispatch_ptr 0
		.amdhsa_user_sgpr_queue_ptr 0
		.amdhsa_user_sgpr_kernarg_segment_ptr 1
		.amdhsa_user_sgpr_dispatch_id 0
		.amdhsa_user_sgpr_flat_scratch_init 0
		.amdhsa_user_sgpr_kernarg_preload_length 0
		.amdhsa_user_sgpr_kernarg_preload_offset 0
		.amdhsa_user_sgpr_private_segment_size 0
		.amdhsa_uses_dynamic_stack 0
		.amdhsa_system_sgpr_private_segment_wavefront_offset 0
		.amdhsa_system_sgpr_workgroup_id_x 1
		.amdhsa_system_sgpr_workgroup_id_y 0
		.amdhsa_system_sgpr_workgroup_id_z 0
		.amdhsa_system_sgpr_workgroup_info 0
		.amdhsa_system_vgpr_workitem_id 0
		.amdhsa_next_free_vgpr 1
		.amdhsa_next_free_sgpr 0
		.amdhsa_accum_offset 4
		.amdhsa_reserve_vcc 0
		.amdhsa_reserve_flat_scratch 0
		.amdhsa_float_round_mode_32 0
		.amdhsa_float_round_mode_16_64 0
		.amdhsa_float_denorm_mode_32 3
		.amdhsa_float_denorm_mode_16_64 3
		.amdhsa_dx10_clamp 1
		.amdhsa_ieee_mode 1
		.amdhsa_fp16_overflow 0
		.amdhsa_tg_split 0
		.amdhsa_exception_fp_ieee_invalid_op 0
		.amdhsa_exception_fp_denorm_src 0
		.amdhsa_exception_fp_ieee_div_zero 0
		.amdhsa_exception_fp_ieee_overflow 0
		.amdhsa_exception_fp_ieee_underflow 0
		.amdhsa_exception_fp_ieee_inexact 0
		.amdhsa_exception_int_div_zero 0
	.end_amdhsa_kernel
	.section	.text._ZN7rocprim17ROCPRIM_400000_NS6detail17trampoline_kernelINS0_14default_configENS1_35radix_sort_onesweep_config_selectorIlNS0_10empty_typeEEEZNS1_34radix_sort_onesweep_global_offsetsIS3_Lb0EPlPS5_mNS0_19identity_decomposerEEE10hipError_tT1_T2_PT3_SE_jT4_jjP12ihipStream_tbEUlT_E0_NS1_11comp_targetILNS1_3genE6ELNS1_11target_archE950ELNS1_3gpuE13ELNS1_3repE0EEENS1_52radix_sort_onesweep_histogram_config_static_selectorELNS0_4arch9wavefront6targetE1EEEvSC_,"axG",@progbits,_ZN7rocprim17ROCPRIM_400000_NS6detail17trampoline_kernelINS0_14default_configENS1_35radix_sort_onesweep_config_selectorIlNS0_10empty_typeEEEZNS1_34radix_sort_onesweep_global_offsetsIS3_Lb0EPlPS5_mNS0_19identity_decomposerEEE10hipError_tT1_T2_PT3_SE_jT4_jjP12ihipStream_tbEUlT_E0_NS1_11comp_targetILNS1_3genE6ELNS1_11target_archE950ELNS1_3gpuE13ELNS1_3repE0EEENS1_52radix_sort_onesweep_histogram_config_static_selectorELNS0_4arch9wavefront6targetE1EEEvSC_,comdat
.Lfunc_end862:
	.size	_ZN7rocprim17ROCPRIM_400000_NS6detail17trampoline_kernelINS0_14default_configENS1_35radix_sort_onesweep_config_selectorIlNS0_10empty_typeEEEZNS1_34radix_sort_onesweep_global_offsetsIS3_Lb0EPlPS5_mNS0_19identity_decomposerEEE10hipError_tT1_T2_PT3_SE_jT4_jjP12ihipStream_tbEUlT_E0_NS1_11comp_targetILNS1_3genE6ELNS1_11target_archE950ELNS1_3gpuE13ELNS1_3repE0EEENS1_52radix_sort_onesweep_histogram_config_static_selectorELNS0_4arch9wavefront6targetE1EEEvSC_, .Lfunc_end862-_ZN7rocprim17ROCPRIM_400000_NS6detail17trampoline_kernelINS0_14default_configENS1_35radix_sort_onesweep_config_selectorIlNS0_10empty_typeEEEZNS1_34radix_sort_onesweep_global_offsetsIS3_Lb0EPlPS5_mNS0_19identity_decomposerEEE10hipError_tT1_T2_PT3_SE_jT4_jjP12ihipStream_tbEUlT_E0_NS1_11comp_targetILNS1_3genE6ELNS1_11target_archE950ELNS1_3gpuE13ELNS1_3repE0EEENS1_52radix_sort_onesweep_histogram_config_static_selectorELNS0_4arch9wavefront6targetE1EEEvSC_
                                        ; -- End function
	.section	.AMDGPU.csdata,"",@progbits
; Kernel info:
; codeLenInByte = 0
; NumSgprs: 4
; NumVgprs: 0
; NumAgprs: 0
; TotalNumVgprs: 0
; ScratchSize: 0
; MemoryBound: 0
; FloatMode: 240
; IeeeMode: 1
; LDSByteSize: 0 bytes/workgroup (compile time only)
; SGPRBlocks: 0
; VGPRBlocks: 0
; NumSGPRsForWavesPerEU: 4
; NumVGPRsForWavesPerEU: 1
; AccumOffset: 4
; Occupancy: 8
; WaveLimiterHint : 0
; COMPUTE_PGM_RSRC2:SCRATCH_EN: 0
; COMPUTE_PGM_RSRC2:USER_SGPR: 6
; COMPUTE_PGM_RSRC2:TRAP_HANDLER: 0
; COMPUTE_PGM_RSRC2:TGID_X_EN: 1
; COMPUTE_PGM_RSRC2:TGID_Y_EN: 0
; COMPUTE_PGM_RSRC2:TGID_Z_EN: 0
; COMPUTE_PGM_RSRC2:TIDIG_COMP_CNT: 0
; COMPUTE_PGM_RSRC3_GFX90A:ACCUM_OFFSET: 0
; COMPUTE_PGM_RSRC3_GFX90A:TG_SPLIT: 0
	.section	.text._ZN7rocprim17ROCPRIM_400000_NS6detail17trampoline_kernelINS0_14default_configENS1_35radix_sort_onesweep_config_selectorIlNS0_10empty_typeEEEZNS1_34radix_sort_onesweep_global_offsetsIS3_Lb0EPlPS5_mNS0_19identity_decomposerEEE10hipError_tT1_T2_PT3_SE_jT4_jjP12ihipStream_tbEUlT_E0_NS1_11comp_targetILNS1_3genE5ELNS1_11target_archE942ELNS1_3gpuE9ELNS1_3repE0EEENS1_52radix_sort_onesweep_histogram_config_static_selectorELNS0_4arch9wavefront6targetE1EEEvSC_,"axG",@progbits,_ZN7rocprim17ROCPRIM_400000_NS6detail17trampoline_kernelINS0_14default_configENS1_35radix_sort_onesweep_config_selectorIlNS0_10empty_typeEEEZNS1_34radix_sort_onesweep_global_offsetsIS3_Lb0EPlPS5_mNS0_19identity_decomposerEEE10hipError_tT1_T2_PT3_SE_jT4_jjP12ihipStream_tbEUlT_E0_NS1_11comp_targetILNS1_3genE5ELNS1_11target_archE942ELNS1_3gpuE9ELNS1_3repE0EEENS1_52radix_sort_onesweep_histogram_config_static_selectorELNS0_4arch9wavefront6targetE1EEEvSC_,comdat
	.protected	_ZN7rocprim17ROCPRIM_400000_NS6detail17trampoline_kernelINS0_14default_configENS1_35radix_sort_onesweep_config_selectorIlNS0_10empty_typeEEEZNS1_34radix_sort_onesweep_global_offsetsIS3_Lb0EPlPS5_mNS0_19identity_decomposerEEE10hipError_tT1_T2_PT3_SE_jT4_jjP12ihipStream_tbEUlT_E0_NS1_11comp_targetILNS1_3genE5ELNS1_11target_archE942ELNS1_3gpuE9ELNS1_3repE0EEENS1_52radix_sort_onesweep_histogram_config_static_selectorELNS0_4arch9wavefront6targetE1EEEvSC_ ; -- Begin function _ZN7rocprim17ROCPRIM_400000_NS6detail17trampoline_kernelINS0_14default_configENS1_35radix_sort_onesweep_config_selectorIlNS0_10empty_typeEEEZNS1_34radix_sort_onesweep_global_offsetsIS3_Lb0EPlPS5_mNS0_19identity_decomposerEEE10hipError_tT1_T2_PT3_SE_jT4_jjP12ihipStream_tbEUlT_E0_NS1_11comp_targetILNS1_3genE5ELNS1_11target_archE942ELNS1_3gpuE9ELNS1_3repE0EEENS1_52radix_sort_onesweep_histogram_config_static_selectorELNS0_4arch9wavefront6targetE1EEEvSC_
	.globl	_ZN7rocprim17ROCPRIM_400000_NS6detail17trampoline_kernelINS0_14default_configENS1_35radix_sort_onesweep_config_selectorIlNS0_10empty_typeEEEZNS1_34radix_sort_onesweep_global_offsetsIS3_Lb0EPlPS5_mNS0_19identity_decomposerEEE10hipError_tT1_T2_PT3_SE_jT4_jjP12ihipStream_tbEUlT_E0_NS1_11comp_targetILNS1_3genE5ELNS1_11target_archE942ELNS1_3gpuE9ELNS1_3repE0EEENS1_52radix_sort_onesweep_histogram_config_static_selectorELNS0_4arch9wavefront6targetE1EEEvSC_
	.p2align	8
	.type	_ZN7rocprim17ROCPRIM_400000_NS6detail17trampoline_kernelINS0_14default_configENS1_35radix_sort_onesweep_config_selectorIlNS0_10empty_typeEEEZNS1_34radix_sort_onesweep_global_offsetsIS3_Lb0EPlPS5_mNS0_19identity_decomposerEEE10hipError_tT1_T2_PT3_SE_jT4_jjP12ihipStream_tbEUlT_E0_NS1_11comp_targetILNS1_3genE5ELNS1_11target_archE942ELNS1_3gpuE9ELNS1_3repE0EEENS1_52radix_sort_onesweep_histogram_config_static_selectorELNS0_4arch9wavefront6targetE1EEEvSC_,@function
_ZN7rocprim17ROCPRIM_400000_NS6detail17trampoline_kernelINS0_14default_configENS1_35radix_sort_onesweep_config_selectorIlNS0_10empty_typeEEEZNS1_34radix_sort_onesweep_global_offsetsIS3_Lb0EPlPS5_mNS0_19identity_decomposerEEE10hipError_tT1_T2_PT3_SE_jT4_jjP12ihipStream_tbEUlT_E0_NS1_11comp_targetILNS1_3genE5ELNS1_11target_archE942ELNS1_3gpuE9ELNS1_3repE0EEENS1_52radix_sort_onesweep_histogram_config_static_selectorELNS0_4arch9wavefront6targetE1EEEvSC_: ; @_ZN7rocprim17ROCPRIM_400000_NS6detail17trampoline_kernelINS0_14default_configENS1_35radix_sort_onesweep_config_selectorIlNS0_10empty_typeEEEZNS1_34radix_sort_onesweep_global_offsetsIS3_Lb0EPlPS5_mNS0_19identity_decomposerEEE10hipError_tT1_T2_PT3_SE_jT4_jjP12ihipStream_tbEUlT_E0_NS1_11comp_targetILNS1_3genE5ELNS1_11target_archE942ELNS1_3gpuE9ELNS1_3repE0EEENS1_52radix_sort_onesweep_histogram_config_static_selectorELNS0_4arch9wavefront6targetE1EEEvSC_
; %bb.0:
	.section	.rodata,"a",@progbits
	.p2align	6, 0x0
	.amdhsa_kernel _ZN7rocprim17ROCPRIM_400000_NS6detail17trampoline_kernelINS0_14default_configENS1_35radix_sort_onesweep_config_selectorIlNS0_10empty_typeEEEZNS1_34radix_sort_onesweep_global_offsetsIS3_Lb0EPlPS5_mNS0_19identity_decomposerEEE10hipError_tT1_T2_PT3_SE_jT4_jjP12ihipStream_tbEUlT_E0_NS1_11comp_targetILNS1_3genE5ELNS1_11target_archE942ELNS1_3gpuE9ELNS1_3repE0EEENS1_52radix_sort_onesweep_histogram_config_static_selectorELNS0_4arch9wavefront6targetE1EEEvSC_
		.amdhsa_group_segment_fixed_size 0
		.amdhsa_private_segment_fixed_size 0
		.amdhsa_kernarg_size 8
		.amdhsa_user_sgpr_count 6
		.amdhsa_user_sgpr_private_segment_buffer 1
		.amdhsa_user_sgpr_dispatch_ptr 0
		.amdhsa_user_sgpr_queue_ptr 0
		.amdhsa_user_sgpr_kernarg_segment_ptr 1
		.amdhsa_user_sgpr_dispatch_id 0
		.amdhsa_user_sgpr_flat_scratch_init 0
		.amdhsa_user_sgpr_kernarg_preload_length 0
		.amdhsa_user_sgpr_kernarg_preload_offset 0
		.amdhsa_user_sgpr_private_segment_size 0
		.amdhsa_uses_dynamic_stack 0
		.amdhsa_system_sgpr_private_segment_wavefront_offset 0
		.amdhsa_system_sgpr_workgroup_id_x 1
		.amdhsa_system_sgpr_workgroup_id_y 0
		.amdhsa_system_sgpr_workgroup_id_z 0
		.amdhsa_system_sgpr_workgroup_info 0
		.amdhsa_system_vgpr_workitem_id 0
		.amdhsa_next_free_vgpr 1
		.amdhsa_next_free_sgpr 0
		.amdhsa_accum_offset 4
		.amdhsa_reserve_vcc 0
		.amdhsa_reserve_flat_scratch 0
		.amdhsa_float_round_mode_32 0
		.amdhsa_float_round_mode_16_64 0
		.amdhsa_float_denorm_mode_32 3
		.amdhsa_float_denorm_mode_16_64 3
		.amdhsa_dx10_clamp 1
		.amdhsa_ieee_mode 1
		.amdhsa_fp16_overflow 0
		.amdhsa_tg_split 0
		.amdhsa_exception_fp_ieee_invalid_op 0
		.amdhsa_exception_fp_denorm_src 0
		.amdhsa_exception_fp_ieee_div_zero 0
		.amdhsa_exception_fp_ieee_overflow 0
		.amdhsa_exception_fp_ieee_underflow 0
		.amdhsa_exception_fp_ieee_inexact 0
		.amdhsa_exception_int_div_zero 0
	.end_amdhsa_kernel
	.section	.text._ZN7rocprim17ROCPRIM_400000_NS6detail17trampoline_kernelINS0_14default_configENS1_35radix_sort_onesweep_config_selectorIlNS0_10empty_typeEEEZNS1_34radix_sort_onesweep_global_offsetsIS3_Lb0EPlPS5_mNS0_19identity_decomposerEEE10hipError_tT1_T2_PT3_SE_jT4_jjP12ihipStream_tbEUlT_E0_NS1_11comp_targetILNS1_3genE5ELNS1_11target_archE942ELNS1_3gpuE9ELNS1_3repE0EEENS1_52radix_sort_onesweep_histogram_config_static_selectorELNS0_4arch9wavefront6targetE1EEEvSC_,"axG",@progbits,_ZN7rocprim17ROCPRIM_400000_NS6detail17trampoline_kernelINS0_14default_configENS1_35radix_sort_onesweep_config_selectorIlNS0_10empty_typeEEEZNS1_34radix_sort_onesweep_global_offsetsIS3_Lb0EPlPS5_mNS0_19identity_decomposerEEE10hipError_tT1_T2_PT3_SE_jT4_jjP12ihipStream_tbEUlT_E0_NS1_11comp_targetILNS1_3genE5ELNS1_11target_archE942ELNS1_3gpuE9ELNS1_3repE0EEENS1_52radix_sort_onesweep_histogram_config_static_selectorELNS0_4arch9wavefront6targetE1EEEvSC_,comdat
.Lfunc_end863:
	.size	_ZN7rocprim17ROCPRIM_400000_NS6detail17trampoline_kernelINS0_14default_configENS1_35radix_sort_onesweep_config_selectorIlNS0_10empty_typeEEEZNS1_34radix_sort_onesweep_global_offsetsIS3_Lb0EPlPS5_mNS0_19identity_decomposerEEE10hipError_tT1_T2_PT3_SE_jT4_jjP12ihipStream_tbEUlT_E0_NS1_11comp_targetILNS1_3genE5ELNS1_11target_archE942ELNS1_3gpuE9ELNS1_3repE0EEENS1_52radix_sort_onesweep_histogram_config_static_selectorELNS0_4arch9wavefront6targetE1EEEvSC_, .Lfunc_end863-_ZN7rocprim17ROCPRIM_400000_NS6detail17trampoline_kernelINS0_14default_configENS1_35radix_sort_onesweep_config_selectorIlNS0_10empty_typeEEEZNS1_34radix_sort_onesweep_global_offsetsIS3_Lb0EPlPS5_mNS0_19identity_decomposerEEE10hipError_tT1_T2_PT3_SE_jT4_jjP12ihipStream_tbEUlT_E0_NS1_11comp_targetILNS1_3genE5ELNS1_11target_archE942ELNS1_3gpuE9ELNS1_3repE0EEENS1_52radix_sort_onesweep_histogram_config_static_selectorELNS0_4arch9wavefront6targetE1EEEvSC_
                                        ; -- End function
	.section	.AMDGPU.csdata,"",@progbits
; Kernel info:
; codeLenInByte = 0
; NumSgprs: 4
; NumVgprs: 0
; NumAgprs: 0
; TotalNumVgprs: 0
; ScratchSize: 0
; MemoryBound: 0
; FloatMode: 240
; IeeeMode: 1
; LDSByteSize: 0 bytes/workgroup (compile time only)
; SGPRBlocks: 0
; VGPRBlocks: 0
; NumSGPRsForWavesPerEU: 4
; NumVGPRsForWavesPerEU: 1
; AccumOffset: 4
; Occupancy: 8
; WaveLimiterHint : 0
; COMPUTE_PGM_RSRC2:SCRATCH_EN: 0
; COMPUTE_PGM_RSRC2:USER_SGPR: 6
; COMPUTE_PGM_RSRC2:TRAP_HANDLER: 0
; COMPUTE_PGM_RSRC2:TGID_X_EN: 1
; COMPUTE_PGM_RSRC2:TGID_Y_EN: 0
; COMPUTE_PGM_RSRC2:TGID_Z_EN: 0
; COMPUTE_PGM_RSRC2:TIDIG_COMP_CNT: 0
; COMPUTE_PGM_RSRC3_GFX90A:ACCUM_OFFSET: 0
; COMPUTE_PGM_RSRC3_GFX90A:TG_SPLIT: 0
	.section	.text._ZN7rocprim17ROCPRIM_400000_NS6detail17trampoline_kernelINS0_14default_configENS1_35radix_sort_onesweep_config_selectorIlNS0_10empty_typeEEEZNS1_34radix_sort_onesweep_global_offsetsIS3_Lb0EPlPS5_mNS0_19identity_decomposerEEE10hipError_tT1_T2_PT3_SE_jT4_jjP12ihipStream_tbEUlT_E0_NS1_11comp_targetILNS1_3genE2ELNS1_11target_archE906ELNS1_3gpuE6ELNS1_3repE0EEENS1_52radix_sort_onesweep_histogram_config_static_selectorELNS0_4arch9wavefront6targetE1EEEvSC_,"axG",@progbits,_ZN7rocprim17ROCPRIM_400000_NS6detail17trampoline_kernelINS0_14default_configENS1_35radix_sort_onesweep_config_selectorIlNS0_10empty_typeEEEZNS1_34radix_sort_onesweep_global_offsetsIS3_Lb0EPlPS5_mNS0_19identity_decomposerEEE10hipError_tT1_T2_PT3_SE_jT4_jjP12ihipStream_tbEUlT_E0_NS1_11comp_targetILNS1_3genE2ELNS1_11target_archE906ELNS1_3gpuE6ELNS1_3repE0EEENS1_52radix_sort_onesweep_histogram_config_static_selectorELNS0_4arch9wavefront6targetE1EEEvSC_,comdat
	.protected	_ZN7rocprim17ROCPRIM_400000_NS6detail17trampoline_kernelINS0_14default_configENS1_35radix_sort_onesweep_config_selectorIlNS0_10empty_typeEEEZNS1_34radix_sort_onesweep_global_offsetsIS3_Lb0EPlPS5_mNS0_19identity_decomposerEEE10hipError_tT1_T2_PT3_SE_jT4_jjP12ihipStream_tbEUlT_E0_NS1_11comp_targetILNS1_3genE2ELNS1_11target_archE906ELNS1_3gpuE6ELNS1_3repE0EEENS1_52radix_sort_onesweep_histogram_config_static_selectorELNS0_4arch9wavefront6targetE1EEEvSC_ ; -- Begin function _ZN7rocprim17ROCPRIM_400000_NS6detail17trampoline_kernelINS0_14default_configENS1_35radix_sort_onesweep_config_selectorIlNS0_10empty_typeEEEZNS1_34radix_sort_onesweep_global_offsetsIS3_Lb0EPlPS5_mNS0_19identity_decomposerEEE10hipError_tT1_T2_PT3_SE_jT4_jjP12ihipStream_tbEUlT_E0_NS1_11comp_targetILNS1_3genE2ELNS1_11target_archE906ELNS1_3gpuE6ELNS1_3repE0EEENS1_52radix_sort_onesweep_histogram_config_static_selectorELNS0_4arch9wavefront6targetE1EEEvSC_
	.globl	_ZN7rocprim17ROCPRIM_400000_NS6detail17trampoline_kernelINS0_14default_configENS1_35radix_sort_onesweep_config_selectorIlNS0_10empty_typeEEEZNS1_34radix_sort_onesweep_global_offsetsIS3_Lb0EPlPS5_mNS0_19identity_decomposerEEE10hipError_tT1_T2_PT3_SE_jT4_jjP12ihipStream_tbEUlT_E0_NS1_11comp_targetILNS1_3genE2ELNS1_11target_archE906ELNS1_3gpuE6ELNS1_3repE0EEENS1_52radix_sort_onesweep_histogram_config_static_selectorELNS0_4arch9wavefront6targetE1EEEvSC_
	.p2align	8
	.type	_ZN7rocprim17ROCPRIM_400000_NS6detail17trampoline_kernelINS0_14default_configENS1_35radix_sort_onesweep_config_selectorIlNS0_10empty_typeEEEZNS1_34radix_sort_onesweep_global_offsetsIS3_Lb0EPlPS5_mNS0_19identity_decomposerEEE10hipError_tT1_T2_PT3_SE_jT4_jjP12ihipStream_tbEUlT_E0_NS1_11comp_targetILNS1_3genE2ELNS1_11target_archE906ELNS1_3gpuE6ELNS1_3repE0EEENS1_52radix_sort_onesweep_histogram_config_static_selectorELNS0_4arch9wavefront6targetE1EEEvSC_,@function
_ZN7rocprim17ROCPRIM_400000_NS6detail17trampoline_kernelINS0_14default_configENS1_35radix_sort_onesweep_config_selectorIlNS0_10empty_typeEEEZNS1_34radix_sort_onesweep_global_offsetsIS3_Lb0EPlPS5_mNS0_19identity_decomposerEEE10hipError_tT1_T2_PT3_SE_jT4_jjP12ihipStream_tbEUlT_E0_NS1_11comp_targetILNS1_3genE2ELNS1_11target_archE906ELNS1_3gpuE6ELNS1_3repE0EEENS1_52radix_sort_onesweep_histogram_config_static_selectorELNS0_4arch9wavefront6targetE1EEEvSC_: ; @_ZN7rocprim17ROCPRIM_400000_NS6detail17trampoline_kernelINS0_14default_configENS1_35radix_sort_onesweep_config_selectorIlNS0_10empty_typeEEEZNS1_34radix_sort_onesweep_global_offsetsIS3_Lb0EPlPS5_mNS0_19identity_decomposerEEE10hipError_tT1_T2_PT3_SE_jT4_jjP12ihipStream_tbEUlT_E0_NS1_11comp_targetILNS1_3genE2ELNS1_11target_archE906ELNS1_3gpuE6ELNS1_3repE0EEENS1_52radix_sort_onesweep_histogram_config_static_selectorELNS0_4arch9wavefront6targetE1EEEvSC_
; %bb.0:
	.section	.rodata,"a",@progbits
	.p2align	6, 0x0
	.amdhsa_kernel _ZN7rocprim17ROCPRIM_400000_NS6detail17trampoline_kernelINS0_14default_configENS1_35radix_sort_onesweep_config_selectorIlNS0_10empty_typeEEEZNS1_34radix_sort_onesweep_global_offsetsIS3_Lb0EPlPS5_mNS0_19identity_decomposerEEE10hipError_tT1_T2_PT3_SE_jT4_jjP12ihipStream_tbEUlT_E0_NS1_11comp_targetILNS1_3genE2ELNS1_11target_archE906ELNS1_3gpuE6ELNS1_3repE0EEENS1_52radix_sort_onesweep_histogram_config_static_selectorELNS0_4arch9wavefront6targetE1EEEvSC_
		.amdhsa_group_segment_fixed_size 0
		.amdhsa_private_segment_fixed_size 0
		.amdhsa_kernarg_size 8
		.amdhsa_user_sgpr_count 6
		.amdhsa_user_sgpr_private_segment_buffer 1
		.amdhsa_user_sgpr_dispatch_ptr 0
		.amdhsa_user_sgpr_queue_ptr 0
		.amdhsa_user_sgpr_kernarg_segment_ptr 1
		.amdhsa_user_sgpr_dispatch_id 0
		.amdhsa_user_sgpr_flat_scratch_init 0
		.amdhsa_user_sgpr_kernarg_preload_length 0
		.amdhsa_user_sgpr_kernarg_preload_offset 0
		.amdhsa_user_sgpr_private_segment_size 0
		.amdhsa_uses_dynamic_stack 0
		.amdhsa_system_sgpr_private_segment_wavefront_offset 0
		.amdhsa_system_sgpr_workgroup_id_x 1
		.amdhsa_system_sgpr_workgroup_id_y 0
		.amdhsa_system_sgpr_workgroup_id_z 0
		.amdhsa_system_sgpr_workgroup_info 0
		.amdhsa_system_vgpr_workitem_id 0
		.amdhsa_next_free_vgpr 1
		.amdhsa_next_free_sgpr 0
		.amdhsa_accum_offset 4
		.amdhsa_reserve_vcc 0
		.amdhsa_reserve_flat_scratch 0
		.amdhsa_float_round_mode_32 0
		.amdhsa_float_round_mode_16_64 0
		.amdhsa_float_denorm_mode_32 3
		.amdhsa_float_denorm_mode_16_64 3
		.amdhsa_dx10_clamp 1
		.amdhsa_ieee_mode 1
		.amdhsa_fp16_overflow 0
		.amdhsa_tg_split 0
		.amdhsa_exception_fp_ieee_invalid_op 0
		.amdhsa_exception_fp_denorm_src 0
		.amdhsa_exception_fp_ieee_div_zero 0
		.amdhsa_exception_fp_ieee_overflow 0
		.amdhsa_exception_fp_ieee_underflow 0
		.amdhsa_exception_fp_ieee_inexact 0
		.amdhsa_exception_int_div_zero 0
	.end_amdhsa_kernel
	.section	.text._ZN7rocprim17ROCPRIM_400000_NS6detail17trampoline_kernelINS0_14default_configENS1_35radix_sort_onesweep_config_selectorIlNS0_10empty_typeEEEZNS1_34radix_sort_onesweep_global_offsetsIS3_Lb0EPlPS5_mNS0_19identity_decomposerEEE10hipError_tT1_T2_PT3_SE_jT4_jjP12ihipStream_tbEUlT_E0_NS1_11comp_targetILNS1_3genE2ELNS1_11target_archE906ELNS1_3gpuE6ELNS1_3repE0EEENS1_52radix_sort_onesweep_histogram_config_static_selectorELNS0_4arch9wavefront6targetE1EEEvSC_,"axG",@progbits,_ZN7rocprim17ROCPRIM_400000_NS6detail17trampoline_kernelINS0_14default_configENS1_35radix_sort_onesweep_config_selectorIlNS0_10empty_typeEEEZNS1_34radix_sort_onesweep_global_offsetsIS3_Lb0EPlPS5_mNS0_19identity_decomposerEEE10hipError_tT1_T2_PT3_SE_jT4_jjP12ihipStream_tbEUlT_E0_NS1_11comp_targetILNS1_3genE2ELNS1_11target_archE906ELNS1_3gpuE6ELNS1_3repE0EEENS1_52radix_sort_onesweep_histogram_config_static_selectorELNS0_4arch9wavefront6targetE1EEEvSC_,comdat
.Lfunc_end864:
	.size	_ZN7rocprim17ROCPRIM_400000_NS6detail17trampoline_kernelINS0_14default_configENS1_35radix_sort_onesweep_config_selectorIlNS0_10empty_typeEEEZNS1_34radix_sort_onesweep_global_offsetsIS3_Lb0EPlPS5_mNS0_19identity_decomposerEEE10hipError_tT1_T2_PT3_SE_jT4_jjP12ihipStream_tbEUlT_E0_NS1_11comp_targetILNS1_3genE2ELNS1_11target_archE906ELNS1_3gpuE6ELNS1_3repE0EEENS1_52radix_sort_onesweep_histogram_config_static_selectorELNS0_4arch9wavefront6targetE1EEEvSC_, .Lfunc_end864-_ZN7rocprim17ROCPRIM_400000_NS6detail17trampoline_kernelINS0_14default_configENS1_35radix_sort_onesweep_config_selectorIlNS0_10empty_typeEEEZNS1_34radix_sort_onesweep_global_offsetsIS3_Lb0EPlPS5_mNS0_19identity_decomposerEEE10hipError_tT1_T2_PT3_SE_jT4_jjP12ihipStream_tbEUlT_E0_NS1_11comp_targetILNS1_3genE2ELNS1_11target_archE906ELNS1_3gpuE6ELNS1_3repE0EEENS1_52radix_sort_onesweep_histogram_config_static_selectorELNS0_4arch9wavefront6targetE1EEEvSC_
                                        ; -- End function
	.section	.AMDGPU.csdata,"",@progbits
; Kernel info:
; codeLenInByte = 0
; NumSgprs: 4
; NumVgprs: 0
; NumAgprs: 0
; TotalNumVgprs: 0
; ScratchSize: 0
; MemoryBound: 0
; FloatMode: 240
; IeeeMode: 1
; LDSByteSize: 0 bytes/workgroup (compile time only)
; SGPRBlocks: 0
; VGPRBlocks: 0
; NumSGPRsForWavesPerEU: 4
; NumVGPRsForWavesPerEU: 1
; AccumOffset: 4
; Occupancy: 8
; WaveLimiterHint : 0
; COMPUTE_PGM_RSRC2:SCRATCH_EN: 0
; COMPUTE_PGM_RSRC2:USER_SGPR: 6
; COMPUTE_PGM_RSRC2:TRAP_HANDLER: 0
; COMPUTE_PGM_RSRC2:TGID_X_EN: 1
; COMPUTE_PGM_RSRC2:TGID_Y_EN: 0
; COMPUTE_PGM_RSRC2:TGID_Z_EN: 0
; COMPUTE_PGM_RSRC2:TIDIG_COMP_CNT: 0
; COMPUTE_PGM_RSRC3_GFX90A:ACCUM_OFFSET: 0
; COMPUTE_PGM_RSRC3_GFX90A:TG_SPLIT: 0
	.section	.text._ZN7rocprim17ROCPRIM_400000_NS6detail17trampoline_kernelINS0_14default_configENS1_35radix_sort_onesweep_config_selectorIlNS0_10empty_typeEEEZNS1_34radix_sort_onesweep_global_offsetsIS3_Lb0EPlPS5_mNS0_19identity_decomposerEEE10hipError_tT1_T2_PT3_SE_jT4_jjP12ihipStream_tbEUlT_E0_NS1_11comp_targetILNS1_3genE4ELNS1_11target_archE910ELNS1_3gpuE8ELNS1_3repE0EEENS1_52radix_sort_onesweep_histogram_config_static_selectorELNS0_4arch9wavefront6targetE1EEEvSC_,"axG",@progbits,_ZN7rocprim17ROCPRIM_400000_NS6detail17trampoline_kernelINS0_14default_configENS1_35radix_sort_onesweep_config_selectorIlNS0_10empty_typeEEEZNS1_34radix_sort_onesweep_global_offsetsIS3_Lb0EPlPS5_mNS0_19identity_decomposerEEE10hipError_tT1_T2_PT3_SE_jT4_jjP12ihipStream_tbEUlT_E0_NS1_11comp_targetILNS1_3genE4ELNS1_11target_archE910ELNS1_3gpuE8ELNS1_3repE0EEENS1_52radix_sort_onesweep_histogram_config_static_selectorELNS0_4arch9wavefront6targetE1EEEvSC_,comdat
	.protected	_ZN7rocprim17ROCPRIM_400000_NS6detail17trampoline_kernelINS0_14default_configENS1_35radix_sort_onesweep_config_selectorIlNS0_10empty_typeEEEZNS1_34radix_sort_onesweep_global_offsetsIS3_Lb0EPlPS5_mNS0_19identity_decomposerEEE10hipError_tT1_T2_PT3_SE_jT4_jjP12ihipStream_tbEUlT_E0_NS1_11comp_targetILNS1_3genE4ELNS1_11target_archE910ELNS1_3gpuE8ELNS1_3repE0EEENS1_52radix_sort_onesweep_histogram_config_static_selectorELNS0_4arch9wavefront6targetE1EEEvSC_ ; -- Begin function _ZN7rocprim17ROCPRIM_400000_NS6detail17trampoline_kernelINS0_14default_configENS1_35radix_sort_onesweep_config_selectorIlNS0_10empty_typeEEEZNS1_34radix_sort_onesweep_global_offsetsIS3_Lb0EPlPS5_mNS0_19identity_decomposerEEE10hipError_tT1_T2_PT3_SE_jT4_jjP12ihipStream_tbEUlT_E0_NS1_11comp_targetILNS1_3genE4ELNS1_11target_archE910ELNS1_3gpuE8ELNS1_3repE0EEENS1_52radix_sort_onesweep_histogram_config_static_selectorELNS0_4arch9wavefront6targetE1EEEvSC_
	.globl	_ZN7rocprim17ROCPRIM_400000_NS6detail17trampoline_kernelINS0_14default_configENS1_35radix_sort_onesweep_config_selectorIlNS0_10empty_typeEEEZNS1_34radix_sort_onesweep_global_offsetsIS3_Lb0EPlPS5_mNS0_19identity_decomposerEEE10hipError_tT1_T2_PT3_SE_jT4_jjP12ihipStream_tbEUlT_E0_NS1_11comp_targetILNS1_3genE4ELNS1_11target_archE910ELNS1_3gpuE8ELNS1_3repE0EEENS1_52radix_sort_onesweep_histogram_config_static_selectorELNS0_4arch9wavefront6targetE1EEEvSC_
	.p2align	8
	.type	_ZN7rocprim17ROCPRIM_400000_NS6detail17trampoline_kernelINS0_14default_configENS1_35radix_sort_onesweep_config_selectorIlNS0_10empty_typeEEEZNS1_34radix_sort_onesweep_global_offsetsIS3_Lb0EPlPS5_mNS0_19identity_decomposerEEE10hipError_tT1_T2_PT3_SE_jT4_jjP12ihipStream_tbEUlT_E0_NS1_11comp_targetILNS1_3genE4ELNS1_11target_archE910ELNS1_3gpuE8ELNS1_3repE0EEENS1_52radix_sort_onesweep_histogram_config_static_selectorELNS0_4arch9wavefront6targetE1EEEvSC_,@function
_ZN7rocprim17ROCPRIM_400000_NS6detail17trampoline_kernelINS0_14default_configENS1_35radix_sort_onesweep_config_selectorIlNS0_10empty_typeEEEZNS1_34radix_sort_onesweep_global_offsetsIS3_Lb0EPlPS5_mNS0_19identity_decomposerEEE10hipError_tT1_T2_PT3_SE_jT4_jjP12ihipStream_tbEUlT_E0_NS1_11comp_targetILNS1_3genE4ELNS1_11target_archE910ELNS1_3gpuE8ELNS1_3repE0EEENS1_52radix_sort_onesweep_histogram_config_static_selectorELNS0_4arch9wavefront6targetE1EEEvSC_: ; @_ZN7rocprim17ROCPRIM_400000_NS6detail17trampoline_kernelINS0_14default_configENS1_35radix_sort_onesweep_config_selectorIlNS0_10empty_typeEEEZNS1_34radix_sort_onesweep_global_offsetsIS3_Lb0EPlPS5_mNS0_19identity_decomposerEEE10hipError_tT1_T2_PT3_SE_jT4_jjP12ihipStream_tbEUlT_E0_NS1_11comp_targetILNS1_3genE4ELNS1_11target_archE910ELNS1_3gpuE8ELNS1_3repE0EEENS1_52radix_sort_onesweep_histogram_config_static_selectorELNS0_4arch9wavefront6targetE1EEEvSC_
; %bb.0:
	s_load_dwordx2 s[0:1], s[4:5], 0x0
	s_lshl_b32 s2, s6, 8
	s_mov_b32 s3, 0
	s_lshl_b64 s[2:3], s[2:3], 3
	v_lshlrev_b32_e32 v5, 3, v0
	s_waitcnt lgkmcnt(0)
	s_add_u32 s14, s0, s2
	s_movk_i32 s0, 0x100
	s_addc_u32 s15, s1, s3
	v_cmp_gt_u32_e32 vcc, s0, v0
                                        ; implicit-def: $vgpr2_vgpr3
	s_and_saveexec_b64 s[0:1], vcc
	s_cbranch_execz .LBB865_2
; %bb.1:
	global_load_dwordx2 v[2:3], v5, s[14:15]
.LBB865_2:
	s_or_b64 exec, exec, s[0:1]
	s_waitcnt vmcnt(0)
	v_mov_b32_dpp v4, v2 row_shr:1 row_mask:0xf bank_mask:0xf
	v_add_co_u32_e64 v4, s[0:1], v2, v4
	v_mbcnt_lo_u32_b32 v1, -1, 0
	v_addc_co_u32_e64 v8, s[0:1], 0, v3, s[0:1]
	v_mbcnt_hi_u32_b32 v6, -1, v1
	v_mov_b32_dpp v7, v3 row_shr:1 row_mask:0xf bank_mask:0xf
	v_add_co_u32_e64 v9, s[0:1], 0, v4
	v_and_b32_e32 v1, 15, v6
	v_addc_co_u32_e64 v7, s[0:1], v7, v8, s[0:1]
	v_cmp_eq_u32_e64 s[0:1], 0, v1
	v_cndmask_b32_e64 v4, v4, v2, s[0:1]
	v_cndmask_b32_e64 v7, v7, v3, s[0:1]
	v_cndmask_b32_e64 v8, v9, v2, s[0:1]
	v_mov_b32_dpp v9, v4 row_shr:2 row_mask:0xf bank_mask:0xf
	v_mov_b32_dpp v10, v7 row_shr:2 row_mask:0xf bank_mask:0xf
	v_add_co_u32_e64 v9, s[2:3], v9, v8
	v_cmp_lt_u32_e64 s[4:5], 1, v1
	v_addc_co_u32_e64 v10, s[2:3], v10, v7, s[2:3]
	v_cndmask_b32_e64 v4, v4, v9, s[4:5]
	v_cndmask_b32_e64 v7, v7, v10, s[4:5]
	v_cndmask_b32_e64 v8, v8, v9, s[4:5]
	v_mov_b32_dpp v9, v4 row_shr:4 row_mask:0xf bank_mask:0xf
	v_mov_b32_dpp v10, v7 row_shr:4 row_mask:0xf bank_mask:0xf
	v_add_co_u32_e64 v9, s[2:3], v9, v8
	v_cmp_lt_u32_e64 s[6:7], 3, v1
	v_addc_co_u32_e64 v10, s[2:3], v10, v7, s[2:3]
	;; [unrolled: 8-line block ×3, first 2 shown]
	v_cndmask_b32_e64 v11, v4, v9, s[8:9]
	v_cndmask_b32_e64 v1, v7, v10, s[8:9]
	;; [unrolled: 1-line block ×3, first 2 shown]
	v_mov_b32_dpp v7, v11 row_bcast:15 row_mask:0xf bank_mask:0xf
	v_mov_b32_dpp v8, v1 row_bcast:15 row_mask:0xf bank_mask:0xf
	v_and_b32_e32 v10, 16, v6
	v_add_co_u32_e64 v7, s[2:3], v7, v4
	v_addc_co_u32_e64 v9, s[2:3], v8, v1, s[2:3]
	v_cmp_eq_u32_e64 s[10:11], 0, v10
	v_cndmask_b32_e64 v10, v9, v1, s[10:11]
	v_cndmask_b32_e64 v8, v7, v11, s[10:11]
	v_cmp_eq_u32_e64 s[2:3], 0, v6
	v_mov_b32_dpp v10, v10 row_bcast:31 row_mask:0xf bank_mask:0xf
	v_mov_b32_dpp v8, v8 row_bcast:31 row_mask:0xf bank_mask:0xf
	v_cmp_ne_u32_e64 s[12:13], 0, v6
	s_and_saveexec_b64 s[16:17], s[12:13]
; %bb.3:
	v_cndmask_b32_e64 v1, v9, v1, s[10:11]
	v_cndmask_b32_e64 v2, v7, v4, s[10:11]
	v_cmp_lt_u32_e64 s[10:11], 31, v6
	v_cndmask_b32_e64 v4, 0, v8, s[10:11]
	v_cndmask_b32_e64 v3, 0, v10, s[10:11]
	v_add_co_u32_e64 v2, s[10:11], v4, v2
	v_addc_co_u32_e64 v3, s[10:11], v3, v1, s[10:11]
; %bb.4:
	s_or_b64 exec, exec, s[16:17]
	v_and_b32_e32 v1, 63, v0
	v_lshrrev_b32_e32 v4, 6, v0
	v_cmp_eq_u32_e64 s[10:11], 63, v1
	s_and_saveexec_b64 s[12:13], s[10:11]
	s_cbranch_execz .LBB865_6
; %bb.5:
	v_lshlrev_b32_e32 v1, 3, v4
	ds_write_b64 v1, v[2:3]
.LBB865_6:
	s_or_b64 exec, exec, s[12:13]
	v_cmp_gt_u32_e64 s[10:11], 16, v0
	s_waitcnt lgkmcnt(0)
	s_barrier
	s_and_saveexec_b64 s[12:13], s[10:11]
	s_cbranch_execz .LBB865_8
; %bb.7:
	ds_read_b64 v[8:9], v5
	s_waitcnt lgkmcnt(0)
	s_nop 0
	v_mov_b32_dpp v1, v8 row_shr:1 row_mask:0xf bank_mask:0xf
	v_add_co_u32_e64 v1, s[10:11], v8, v1
	v_addc_co_u32_e64 v10, s[10:11], 0, v9, s[10:11]
	v_mov_b32_dpp v7, v9 row_shr:1 row_mask:0xf bank_mask:0xf
	v_add_co_u32_e64 v11, s[10:11], 0, v1
	v_addc_co_u32_e64 v7, s[10:11], v7, v10, s[10:11]
	v_cndmask_b32_e64 v1, v1, v8, s[0:1]
	v_cndmask_b32_e64 v7, v7, v9, s[0:1]
	v_cndmask_b32_e64 v10, v11, v8, s[0:1]
	v_mov_b32_dpp v11, v1 row_shr:2 row_mask:0xf bank_mask:0xf
	v_mov_b32_dpp v12, v7 row_shr:2 row_mask:0xf bank_mask:0xf
	v_add_co_u32_e64 v11, s[10:11], v11, v10
	v_addc_co_u32_e64 v12, s[10:11], v12, v7, s[10:11]
	v_cndmask_b32_e64 v1, v1, v11, s[4:5]
	v_cndmask_b32_e64 v7, v7, v12, s[4:5]
	v_cndmask_b32_e64 v10, v10, v11, s[4:5]
	v_mov_b32_dpp v11, v1 row_shr:4 row_mask:0xf bank_mask:0xf
	;; [unrolled: 7-line block ×3, first 2 shown]
	v_mov_b32_dpp v12, v7 row_shr:8 row_mask:0xf bank_mask:0xf
	v_cndmask_b32_e64 v1, 0, v1, s[8:9]
	v_cndmask_b32_e64 v11, 0, v12, s[8:9]
	v_add_co_u32_e64 v1, s[4:5], v1, v10
	v_addc_co_u32_e64 v7, s[4:5], v11, v7, s[4:5]
	v_cndmask_b32_e64 v9, v7, v9, s[0:1]
	v_cndmask_b32_e64 v8, v1, v8, s[0:1]
	ds_write_b64 v5, v[8:9]
.LBB865_8:
	s_or_b64 exec, exec, s[12:13]
	v_cmp_lt_u32_e64 s[0:1], 63, v0
	v_pk_mov_b32 v[0:1], 0, 0
	s_waitcnt lgkmcnt(0)
	s_barrier
	s_and_saveexec_b64 s[4:5], s[0:1]
	s_cbranch_execz .LBB865_10
; %bb.9:
	v_lshl_add_u32 v0, v4, 3, -8
	ds_read_b64 v[0:1], v0
.LBB865_10:
	s_or_b64 exec, exec, s[4:5]
	s_waitcnt lgkmcnt(0)
	v_add_co_u32_e64 v2, s[0:1], v0, v2
	v_addc_co_u32_e64 v3, s[0:1], v1, v3, s[0:1]
	v_add_u32_e32 v4, -1, v6
	v_and_b32_e32 v7, 64, v6
	v_cmp_lt_i32_e64 s[0:1], v4, v7
	v_cndmask_b32_e64 v4, v4, v6, s[0:1]
	v_lshlrev_b32_e32 v4, 2, v4
	ds_bpermute_b32 v2, v4, v2
	ds_bpermute_b32 v3, v4, v3
	s_and_saveexec_b64 s[0:1], vcc
	s_cbranch_execz .LBB865_12
; %bb.11:
	s_waitcnt lgkmcnt(0)
	v_cndmask_b32_e64 v1, v3, v1, s[2:3]
	v_cndmask_b32_e64 v0, v2, v0, s[2:3]
	global_store_dwordx2 v5, v[0:1], s[14:15]
.LBB865_12:
	s_endpgm
	.section	.rodata,"a",@progbits
	.p2align	6, 0x0
	.amdhsa_kernel _ZN7rocprim17ROCPRIM_400000_NS6detail17trampoline_kernelINS0_14default_configENS1_35radix_sort_onesweep_config_selectorIlNS0_10empty_typeEEEZNS1_34radix_sort_onesweep_global_offsetsIS3_Lb0EPlPS5_mNS0_19identity_decomposerEEE10hipError_tT1_T2_PT3_SE_jT4_jjP12ihipStream_tbEUlT_E0_NS1_11comp_targetILNS1_3genE4ELNS1_11target_archE910ELNS1_3gpuE8ELNS1_3repE0EEENS1_52radix_sort_onesweep_histogram_config_static_selectorELNS0_4arch9wavefront6targetE1EEEvSC_
		.amdhsa_group_segment_fixed_size 128
		.amdhsa_private_segment_fixed_size 0
		.amdhsa_kernarg_size 8
		.amdhsa_user_sgpr_count 6
		.amdhsa_user_sgpr_private_segment_buffer 1
		.amdhsa_user_sgpr_dispatch_ptr 0
		.amdhsa_user_sgpr_queue_ptr 0
		.amdhsa_user_sgpr_kernarg_segment_ptr 1
		.amdhsa_user_sgpr_dispatch_id 0
		.amdhsa_user_sgpr_flat_scratch_init 0
		.amdhsa_user_sgpr_kernarg_preload_length 0
		.amdhsa_user_sgpr_kernarg_preload_offset 0
		.amdhsa_user_sgpr_private_segment_size 0
		.amdhsa_uses_dynamic_stack 0
		.amdhsa_system_sgpr_private_segment_wavefront_offset 0
		.amdhsa_system_sgpr_workgroup_id_x 1
		.amdhsa_system_sgpr_workgroup_id_y 0
		.amdhsa_system_sgpr_workgroup_id_z 0
		.amdhsa_system_sgpr_workgroup_info 0
		.amdhsa_system_vgpr_workitem_id 0
		.amdhsa_next_free_vgpr 13
		.amdhsa_next_free_sgpr 18
		.amdhsa_accum_offset 16
		.amdhsa_reserve_vcc 1
		.amdhsa_reserve_flat_scratch 0
		.amdhsa_float_round_mode_32 0
		.amdhsa_float_round_mode_16_64 0
		.amdhsa_float_denorm_mode_32 3
		.amdhsa_float_denorm_mode_16_64 3
		.amdhsa_dx10_clamp 1
		.amdhsa_ieee_mode 1
		.amdhsa_fp16_overflow 0
		.amdhsa_tg_split 0
		.amdhsa_exception_fp_ieee_invalid_op 0
		.amdhsa_exception_fp_denorm_src 0
		.amdhsa_exception_fp_ieee_div_zero 0
		.amdhsa_exception_fp_ieee_overflow 0
		.amdhsa_exception_fp_ieee_underflow 0
		.amdhsa_exception_fp_ieee_inexact 0
		.amdhsa_exception_int_div_zero 0
	.end_amdhsa_kernel
	.section	.text._ZN7rocprim17ROCPRIM_400000_NS6detail17trampoline_kernelINS0_14default_configENS1_35radix_sort_onesweep_config_selectorIlNS0_10empty_typeEEEZNS1_34radix_sort_onesweep_global_offsetsIS3_Lb0EPlPS5_mNS0_19identity_decomposerEEE10hipError_tT1_T2_PT3_SE_jT4_jjP12ihipStream_tbEUlT_E0_NS1_11comp_targetILNS1_3genE4ELNS1_11target_archE910ELNS1_3gpuE8ELNS1_3repE0EEENS1_52radix_sort_onesweep_histogram_config_static_selectorELNS0_4arch9wavefront6targetE1EEEvSC_,"axG",@progbits,_ZN7rocprim17ROCPRIM_400000_NS6detail17trampoline_kernelINS0_14default_configENS1_35radix_sort_onesweep_config_selectorIlNS0_10empty_typeEEEZNS1_34radix_sort_onesweep_global_offsetsIS3_Lb0EPlPS5_mNS0_19identity_decomposerEEE10hipError_tT1_T2_PT3_SE_jT4_jjP12ihipStream_tbEUlT_E0_NS1_11comp_targetILNS1_3genE4ELNS1_11target_archE910ELNS1_3gpuE8ELNS1_3repE0EEENS1_52radix_sort_onesweep_histogram_config_static_selectorELNS0_4arch9wavefront6targetE1EEEvSC_,comdat
.Lfunc_end865:
	.size	_ZN7rocprim17ROCPRIM_400000_NS6detail17trampoline_kernelINS0_14default_configENS1_35radix_sort_onesweep_config_selectorIlNS0_10empty_typeEEEZNS1_34radix_sort_onesweep_global_offsetsIS3_Lb0EPlPS5_mNS0_19identity_decomposerEEE10hipError_tT1_T2_PT3_SE_jT4_jjP12ihipStream_tbEUlT_E0_NS1_11comp_targetILNS1_3genE4ELNS1_11target_archE910ELNS1_3gpuE8ELNS1_3repE0EEENS1_52radix_sort_onesweep_histogram_config_static_selectorELNS0_4arch9wavefront6targetE1EEEvSC_, .Lfunc_end865-_ZN7rocprim17ROCPRIM_400000_NS6detail17trampoline_kernelINS0_14default_configENS1_35radix_sort_onesweep_config_selectorIlNS0_10empty_typeEEEZNS1_34radix_sort_onesweep_global_offsetsIS3_Lb0EPlPS5_mNS0_19identity_decomposerEEE10hipError_tT1_T2_PT3_SE_jT4_jjP12ihipStream_tbEUlT_E0_NS1_11comp_targetILNS1_3genE4ELNS1_11target_archE910ELNS1_3gpuE8ELNS1_3repE0EEENS1_52radix_sort_onesweep_histogram_config_static_selectorELNS0_4arch9wavefront6targetE1EEEvSC_
                                        ; -- End function
	.section	.AMDGPU.csdata,"",@progbits
; Kernel info:
; codeLenInByte = 1012
; NumSgprs: 22
; NumVgprs: 13
; NumAgprs: 0
; TotalNumVgprs: 13
; ScratchSize: 0
; MemoryBound: 0
; FloatMode: 240
; IeeeMode: 1
; LDSByteSize: 128 bytes/workgroup (compile time only)
; SGPRBlocks: 2
; VGPRBlocks: 1
; NumSGPRsForWavesPerEU: 22
; NumVGPRsForWavesPerEU: 13
; AccumOffset: 16
; Occupancy: 8
; WaveLimiterHint : 0
; COMPUTE_PGM_RSRC2:SCRATCH_EN: 0
; COMPUTE_PGM_RSRC2:USER_SGPR: 6
; COMPUTE_PGM_RSRC2:TRAP_HANDLER: 0
; COMPUTE_PGM_RSRC2:TGID_X_EN: 1
; COMPUTE_PGM_RSRC2:TGID_Y_EN: 0
; COMPUTE_PGM_RSRC2:TGID_Z_EN: 0
; COMPUTE_PGM_RSRC2:TIDIG_COMP_CNT: 0
; COMPUTE_PGM_RSRC3_GFX90A:ACCUM_OFFSET: 3
; COMPUTE_PGM_RSRC3_GFX90A:TG_SPLIT: 0
	.section	.text._ZN7rocprim17ROCPRIM_400000_NS6detail17trampoline_kernelINS0_14default_configENS1_35radix_sort_onesweep_config_selectorIlNS0_10empty_typeEEEZNS1_34radix_sort_onesweep_global_offsetsIS3_Lb0EPlPS5_mNS0_19identity_decomposerEEE10hipError_tT1_T2_PT3_SE_jT4_jjP12ihipStream_tbEUlT_E0_NS1_11comp_targetILNS1_3genE3ELNS1_11target_archE908ELNS1_3gpuE7ELNS1_3repE0EEENS1_52radix_sort_onesweep_histogram_config_static_selectorELNS0_4arch9wavefront6targetE1EEEvSC_,"axG",@progbits,_ZN7rocprim17ROCPRIM_400000_NS6detail17trampoline_kernelINS0_14default_configENS1_35radix_sort_onesweep_config_selectorIlNS0_10empty_typeEEEZNS1_34radix_sort_onesweep_global_offsetsIS3_Lb0EPlPS5_mNS0_19identity_decomposerEEE10hipError_tT1_T2_PT3_SE_jT4_jjP12ihipStream_tbEUlT_E0_NS1_11comp_targetILNS1_3genE3ELNS1_11target_archE908ELNS1_3gpuE7ELNS1_3repE0EEENS1_52radix_sort_onesweep_histogram_config_static_selectorELNS0_4arch9wavefront6targetE1EEEvSC_,comdat
	.protected	_ZN7rocprim17ROCPRIM_400000_NS6detail17trampoline_kernelINS0_14default_configENS1_35radix_sort_onesweep_config_selectorIlNS0_10empty_typeEEEZNS1_34radix_sort_onesweep_global_offsetsIS3_Lb0EPlPS5_mNS0_19identity_decomposerEEE10hipError_tT1_T2_PT3_SE_jT4_jjP12ihipStream_tbEUlT_E0_NS1_11comp_targetILNS1_3genE3ELNS1_11target_archE908ELNS1_3gpuE7ELNS1_3repE0EEENS1_52radix_sort_onesweep_histogram_config_static_selectorELNS0_4arch9wavefront6targetE1EEEvSC_ ; -- Begin function _ZN7rocprim17ROCPRIM_400000_NS6detail17trampoline_kernelINS0_14default_configENS1_35radix_sort_onesweep_config_selectorIlNS0_10empty_typeEEEZNS1_34radix_sort_onesweep_global_offsetsIS3_Lb0EPlPS5_mNS0_19identity_decomposerEEE10hipError_tT1_T2_PT3_SE_jT4_jjP12ihipStream_tbEUlT_E0_NS1_11comp_targetILNS1_3genE3ELNS1_11target_archE908ELNS1_3gpuE7ELNS1_3repE0EEENS1_52radix_sort_onesweep_histogram_config_static_selectorELNS0_4arch9wavefront6targetE1EEEvSC_
	.globl	_ZN7rocprim17ROCPRIM_400000_NS6detail17trampoline_kernelINS0_14default_configENS1_35radix_sort_onesweep_config_selectorIlNS0_10empty_typeEEEZNS1_34radix_sort_onesweep_global_offsetsIS3_Lb0EPlPS5_mNS0_19identity_decomposerEEE10hipError_tT1_T2_PT3_SE_jT4_jjP12ihipStream_tbEUlT_E0_NS1_11comp_targetILNS1_3genE3ELNS1_11target_archE908ELNS1_3gpuE7ELNS1_3repE0EEENS1_52radix_sort_onesweep_histogram_config_static_selectorELNS0_4arch9wavefront6targetE1EEEvSC_
	.p2align	8
	.type	_ZN7rocprim17ROCPRIM_400000_NS6detail17trampoline_kernelINS0_14default_configENS1_35radix_sort_onesweep_config_selectorIlNS0_10empty_typeEEEZNS1_34radix_sort_onesweep_global_offsetsIS3_Lb0EPlPS5_mNS0_19identity_decomposerEEE10hipError_tT1_T2_PT3_SE_jT4_jjP12ihipStream_tbEUlT_E0_NS1_11comp_targetILNS1_3genE3ELNS1_11target_archE908ELNS1_3gpuE7ELNS1_3repE0EEENS1_52radix_sort_onesweep_histogram_config_static_selectorELNS0_4arch9wavefront6targetE1EEEvSC_,@function
_ZN7rocprim17ROCPRIM_400000_NS6detail17trampoline_kernelINS0_14default_configENS1_35radix_sort_onesweep_config_selectorIlNS0_10empty_typeEEEZNS1_34radix_sort_onesweep_global_offsetsIS3_Lb0EPlPS5_mNS0_19identity_decomposerEEE10hipError_tT1_T2_PT3_SE_jT4_jjP12ihipStream_tbEUlT_E0_NS1_11comp_targetILNS1_3genE3ELNS1_11target_archE908ELNS1_3gpuE7ELNS1_3repE0EEENS1_52radix_sort_onesweep_histogram_config_static_selectorELNS0_4arch9wavefront6targetE1EEEvSC_: ; @_ZN7rocprim17ROCPRIM_400000_NS6detail17trampoline_kernelINS0_14default_configENS1_35radix_sort_onesweep_config_selectorIlNS0_10empty_typeEEEZNS1_34radix_sort_onesweep_global_offsetsIS3_Lb0EPlPS5_mNS0_19identity_decomposerEEE10hipError_tT1_T2_PT3_SE_jT4_jjP12ihipStream_tbEUlT_E0_NS1_11comp_targetILNS1_3genE3ELNS1_11target_archE908ELNS1_3gpuE7ELNS1_3repE0EEENS1_52radix_sort_onesweep_histogram_config_static_selectorELNS0_4arch9wavefront6targetE1EEEvSC_
; %bb.0:
	.section	.rodata,"a",@progbits
	.p2align	6, 0x0
	.amdhsa_kernel _ZN7rocprim17ROCPRIM_400000_NS6detail17trampoline_kernelINS0_14default_configENS1_35radix_sort_onesweep_config_selectorIlNS0_10empty_typeEEEZNS1_34radix_sort_onesweep_global_offsetsIS3_Lb0EPlPS5_mNS0_19identity_decomposerEEE10hipError_tT1_T2_PT3_SE_jT4_jjP12ihipStream_tbEUlT_E0_NS1_11comp_targetILNS1_3genE3ELNS1_11target_archE908ELNS1_3gpuE7ELNS1_3repE0EEENS1_52radix_sort_onesweep_histogram_config_static_selectorELNS0_4arch9wavefront6targetE1EEEvSC_
		.amdhsa_group_segment_fixed_size 0
		.amdhsa_private_segment_fixed_size 0
		.amdhsa_kernarg_size 8
		.amdhsa_user_sgpr_count 6
		.amdhsa_user_sgpr_private_segment_buffer 1
		.amdhsa_user_sgpr_dispatch_ptr 0
		.amdhsa_user_sgpr_queue_ptr 0
		.amdhsa_user_sgpr_kernarg_segment_ptr 1
		.amdhsa_user_sgpr_dispatch_id 0
		.amdhsa_user_sgpr_flat_scratch_init 0
		.amdhsa_user_sgpr_kernarg_preload_length 0
		.amdhsa_user_sgpr_kernarg_preload_offset 0
		.amdhsa_user_sgpr_private_segment_size 0
		.amdhsa_uses_dynamic_stack 0
		.amdhsa_system_sgpr_private_segment_wavefront_offset 0
		.amdhsa_system_sgpr_workgroup_id_x 1
		.amdhsa_system_sgpr_workgroup_id_y 0
		.amdhsa_system_sgpr_workgroup_id_z 0
		.amdhsa_system_sgpr_workgroup_info 0
		.amdhsa_system_vgpr_workitem_id 0
		.amdhsa_next_free_vgpr 1
		.amdhsa_next_free_sgpr 0
		.amdhsa_accum_offset 4
		.amdhsa_reserve_vcc 0
		.amdhsa_reserve_flat_scratch 0
		.amdhsa_float_round_mode_32 0
		.amdhsa_float_round_mode_16_64 0
		.amdhsa_float_denorm_mode_32 3
		.amdhsa_float_denorm_mode_16_64 3
		.amdhsa_dx10_clamp 1
		.amdhsa_ieee_mode 1
		.amdhsa_fp16_overflow 0
		.amdhsa_tg_split 0
		.amdhsa_exception_fp_ieee_invalid_op 0
		.amdhsa_exception_fp_denorm_src 0
		.amdhsa_exception_fp_ieee_div_zero 0
		.amdhsa_exception_fp_ieee_overflow 0
		.amdhsa_exception_fp_ieee_underflow 0
		.amdhsa_exception_fp_ieee_inexact 0
		.amdhsa_exception_int_div_zero 0
	.end_amdhsa_kernel
	.section	.text._ZN7rocprim17ROCPRIM_400000_NS6detail17trampoline_kernelINS0_14default_configENS1_35radix_sort_onesweep_config_selectorIlNS0_10empty_typeEEEZNS1_34radix_sort_onesweep_global_offsetsIS3_Lb0EPlPS5_mNS0_19identity_decomposerEEE10hipError_tT1_T2_PT3_SE_jT4_jjP12ihipStream_tbEUlT_E0_NS1_11comp_targetILNS1_3genE3ELNS1_11target_archE908ELNS1_3gpuE7ELNS1_3repE0EEENS1_52radix_sort_onesweep_histogram_config_static_selectorELNS0_4arch9wavefront6targetE1EEEvSC_,"axG",@progbits,_ZN7rocprim17ROCPRIM_400000_NS6detail17trampoline_kernelINS0_14default_configENS1_35radix_sort_onesweep_config_selectorIlNS0_10empty_typeEEEZNS1_34radix_sort_onesweep_global_offsetsIS3_Lb0EPlPS5_mNS0_19identity_decomposerEEE10hipError_tT1_T2_PT3_SE_jT4_jjP12ihipStream_tbEUlT_E0_NS1_11comp_targetILNS1_3genE3ELNS1_11target_archE908ELNS1_3gpuE7ELNS1_3repE0EEENS1_52radix_sort_onesweep_histogram_config_static_selectorELNS0_4arch9wavefront6targetE1EEEvSC_,comdat
.Lfunc_end866:
	.size	_ZN7rocprim17ROCPRIM_400000_NS6detail17trampoline_kernelINS0_14default_configENS1_35radix_sort_onesweep_config_selectorIlNS0_10empty_typeEEEZNS1_34radix_sort_onesweep_global_offsetsIS3_Lb0EPlPS5_mNS0_19identity_decomposerEEE10hipError_tT1_T2_PT3_SE_jT4_jjP12ihipStream_tbEUlT_E0_NS1_11comp_targetILNS1_3genE3ELNS1_11target_archE908ELNS1_3gpuE7ELNS1_3repE0EEENS1_52radix_sort_onesweep_histogram_config_static_selectorELNS0_4arch9wavefront6targetE1EEEvSC_, .Lfunc_end866-_ZN7rocprim17ROCPRIM_400000_NS6detail17trampoline_kernelINS0_14default_configENS1_35radix_sort_onesweep_config_selectorIlNS0_10empty_typeEEEZNS1_34radix_sort_onesweep_global_offsetsIS3_Lb0EPlPS5_mNS0_19identity_decomposerEEE10hipError_tT1_T2_PT3_SE_jT4_jjP12ihipStream_tbEUlT_E0_NS1_11comp_targetILNS1_3genE3ELNS1_11target_archE908ELNS1_3gpuE7ELNS1_3repE0EEENS1_52radix_sort_onesweep_histogram_config_static_selectorELNS0_4arch9wavefront6targetE1EEEvSC_
                                        ; -- End function
	.section	.AMDGPU.csdata,"",@progbits
; Kernel info:
; codeLenInByte = 0
; NumSgprs: 4
; NumVgprs: 0
; NumAgprs: 0
; TotalNumVgprs: 0
; ScratchSize: 0
; MemoryBound: 0
; FloatMode: 240
; IeeeMode: 1
; LDSByteSize: 0 bytes/workgroup (compile time only)
; SGPRBlocks: 0
; VGPRBlocks: 0
; NumSGPRsForWavesPerEU: 4
; NumVGPRsForWavesPerEU: 1
; AccumOffset: 4
; Occupancy: 8
; WaveLimiterHint : 0
; COMPUTE_PGM_RSRC2:SCRATCH_EN: 0
; COMPUTE_PGM_RSRC2:USER_SGPR: 6
; COMPUTE_PGM_RSRC2:TRAP_HANDLER: 0
; COMPUTE_PGM_RSRC2:TGID_X_EN: 1
; COMPUTE_PGM_RSRC2:TGID_Y_EN: 0
; COMPUTE_PGM_RSRC2:TGID_Z_EN: 0
; COMPUTE_PGM_RSRC2:TIDIG_COMP_CNT: 0
; COMPUTE_PGM_RSRC3_GFX90A:ACCUM_OFFSET: 0
; COMPUTE_PGM_RSRC3_GFX90A:TG_SPLIT: 0
	.section	.text._ZN7rocprim17ROCPRIM_400000_NS6detail17trampoline_kernelINS0_14default_configENS1_35radix_sort_onesweep_config_selectorIlNS0_10empty_typeEEEZNS1_34radix_sort_onesweep_global_offsetsIS3_Lb0EPlPS5_mNS0_19identity_decomposerEEE10hipError_tT1_T2_PT3_SE_jT4_jjP12ihipStream_tbEUlT_E0_NS1_11comp_targetILNS1_3genE10ELNS1_11target_archE1201ELNS1_3gpuE5ELNS1_3repE0EEENS1_52radix_sort_onesweep_histogram_config_static_selectorELNS0_4arch9wavefront6targetE1EEEvSC_,"axG",@progbits,_ZN7rocprim17ROCPRIM_400000_NS6detail17trampoline_kernelINS0_14default_configENS1_35radix_sort_onesweep_config_selectorIlNS0_10empty_typeEEEZNS1_34radix_sort_onesweep_global_offsetsIS3_Lb0EPlPS5_mNS0_19identity_decomposerEEE10hipError_tT1_T2_PT3_SE_jT4_jjP12ihipStream_tbEUlT_E0_NS1_11comp_targetILNS1_3genE10ELNS1_11target_archE1201ELNS1_3gpuE5ELNS1_3repE0EEENS1_52radix_sort_onesweep_histogram_config_static_selectorELNS0_4arch9wavefront6targetE1EEEvSC_,comdat
	.protected	_ZN7rocprim17ROCPRIM_400000_NS6detail17trampoline_kernelINS0_14default_configENS1_35radix_sort_onesweep_config_selectorIlNS0_10empty_typeEEEZNS1_34radix_sort_onesweep_global_offsetsIS3_Lb0EPlPS5_mNS0_19identity_decomposerEEE10hipError_tT1_T2_PT3_SE_jT4_jjP12ihipStream_tbEUlT_E0_NS1_11comp_targetILNS1_3genE10ELNS1_11target_archE1201ELNS1_3gpuE5ELNS1_3repE0EEENS1_52radix_sort_onesweep_histogram_config_static_selectorELNS0_4arch9wavefront6targetE1EEEvSC_ ; -- Begin function _ZN7rocprim17ROCPRIM_400000_NS6detail17trampoline_kernelINS0_14default_configENS1_35radix_sort_onesweep_config_selectorIlNS0_10empty_typeEEEZNS1_34radix_sort_onesweep_global_offsetsIS3_Lb0EPlPS5_mNS0_19identity_decomposerEEE10hipError_tT1_T2_PT3_SE_jT4_jjP12ihipStream_tbEUlT_E0_NS1_11comp_targetILNS1_3genE10ELNS1_11target_archE1201ELNS1_3gpuE5ELNS1_3repE0EEENS1_52radix_sort_onesweep_histogram_config_static_selectorELNS0_4arch9wavefront6targetE1EEEvSC_
	.globl	_ZN7rocprim17ROCPRIM_400000_NS6detail17trampoline_kernelINS0_14default_configENS1_35radix_sort_onesweep_config_selectorIlNS0_10empty_typeEEEZNS1_34radix_sort_onesweep_global_offsetsIS3_Lb0EPlPS5_mNS0_19identity_decomposerEEE10hipError_tT1_T2_PT3_SE_jT4_jjP12ihipStream_tbEUlT_E0_NS1_11comp_targetILNS1_3genE10ELNS1_11target_archE1201ELNS1_3gpuE5ELNS1_3repE0EEENS1_52radix_sort_onesweep_histogram_config_static_selectorELNS0_4arch9wavefront6targetE1EEEvSC_
	.p2align	8
	.type	_ZN7rocprim17ROCPRIM_400000_NS6detail17trampoline_kernelINS0_14default_configENS1_35radix_sort_onesweep_config_selectorIlNS0_10empty_typeEEEZNS1_34radix_sort_onesweep_global_offsetsIS3_Lb0EPlPS5_mNS0_19identity_decomposerEEE10hipError_tT1_T2_PT3_SE_jT4_jjP12ihipStream_tbEUlT_E0_NS1_11comp_targetILNS1_3genE10ELNS1_11target_archE1201ELNS1_3gpuE5ELNS1_3repE0EEENS1_52radix_sort_onesweep_histogram_config_static_selectorELNS0_4arch9wavefront6targetE1EEEvSC_,@function
_ZN7rocprim17ROCPRIM_400000_NS6detail17trampoline_kernelINS0_14default_configENS1_35radix_sort_onesweep_config_selectorIlNS0_10empty_typeEEEZNS1_34radix_sort_onesweep_global_offsetsIS3_Lb0EPlPS5_mNS0_19identity_decomposerEEE10hipError_tT1_T2_PT3_SE_jT4_jjP12ihipStream_tbEUlT_E0_NS1_11comp_targetILNS1_3genE10ELNS1_11target_archE1201ELNS1_3gpuE5ELNS1_3repE0EEENS1_52radix_sort_onesweep_histogram_config_static_selectorELNS0_4arch9wavefront6targetE1EEEvSC_: ; @_ZN7rocprim17ROCPRIM_400000_NS6detail17trampoline_kernelINS0_14default_configENS1_35radix_sort_onesweep_config_selectorIlNS0_10empty_typeEEEZNS1_34radix_sort_onesweep_global_offsetsIS3_Lb0EPlPS5_mNS0_19identity_decomposerEEE10hipError_tT1_T2_PT3_SE_jT4_jjP12ihipStream_tbEUlT_E0_NS1_11comp_targetILNS1_3genE10ELNS1_11target_archE1201ELNS1_3gpuE5ELNS1_3repE0EEENS1_52radix_sort_onesweep_histogram_config_static_selectorELNS0_4arch9wavefront6targetE1EEEvSC_
; %bb.0:
	.section	.rodata,"a",@progbits
	.p2align	6, 0x0
	.amdhsa_kernel _ZN7rocprim17ROCPRIM_400000_NS6detail17trampoline_kernelINS0_14default_configENS1_35radix_sort_onesweep_config_selectorIlNS0_10empty_typeEEEZNS1_34radix_sort_onesweep_global_offsetsIS3_Lb0EPlPS5_mNS0_19identity_decomposerEEE10hipError_tT1_T2_PT3_SE_jT4_jjP12ihipStream_tbEUlT_E0_NS1_11comp_targetILNS1_3genE10ELNS1_11target_archE1201ELNS1_3gpuE5ELNS1_3repE0EEENS1_52radix_sort_onesweep_histogram_config_static_selectorELNS0_4arch9wavefront6targetE1EEEvSC_
		.amdhsa_group_segment_fixed_size 0
		.amdhsa_private_segment_fixed_size 0
		.amdhsa_kernarg_size 8
		.amdhsa_user_sgpr_count 6
		.amdhsa_user_sgpr_private_segment_buffer 1
		.amdhsa_user_sgpr_dispatch_ptr 0
		.amdhsa_user_sgpr_queue_ptr 0
		.amdhsa_user_sgpr_kernarg_segment_ptr 1
		.amdhsa_user_sgpr_dispatch_id 0
		.amdhsa_user_sgpr_flat_scratch_init 0
		.amdhsa_user_sgpr_kernarg_preload_length 0
		.amdhsa_user_sgpr_kernarg_preload_offset 0
		.amdhsa_user_sgpr_private_segment_size 0
		.amdhsa_uses_dynamic_stack 0
		.amdhsa_system_sgpr_private_segment_wavefront_offset 0
		.amdhsa_system_sgpr_workgroup_id_x 1
		.amdhsa_system_sgpr_workgroup_id_y 0
		.amdhsa_system_sgpr_workgroup_id_z 0
		.amdhsa_system_sgpr_workgroup_info 0
		.amdhsa_system_vgpr_workitem_id 0
		.amdhsa_next_free_vgpr 1
		.amdhsa_next_free_sgpr 0
		.amdhsa_accum_offset 4
		.amdhsa_reserve_vcc 0
		.amdhsa_reserve_flat_scratch 0
		.amdhsa_float_round_mode_32 0
		.amdhsa_float_round_mode_16_64 0
		.amdhsa_float_denorm_mode_32 3
		.amdhsa_float_denorm_mode_16_64 3
		.amdhsa_dx10_clamp 1
		.amdhsa_ieee_mode 1
		.amdhsa_fp16_overflow 0
		.amdhsa_tg_split 0
		.amdhsa_exception_fp_ieee_invalid_op 0
		.amdhsa_exception_fp_denorm_src 0
		.amdhsa_exception_fp_ieee_div_zero 0
		.amdhsa_exception_fp_ieee_overflow 0
		.amdhsa_exception_fp_ieee_underflow 0
		.amdhsa_exception_fp_ieee_inexact 0
		.amdhsa_exception_int_div_zero 0
	.end_amdhsa_kernel
	.section	.text._ZN7rocprim17ROCPRIM_400000_NS6detail17trampoline_kernelINS0_14default_configENS1_35radix_sort_onesweep_config_selectorIlNS0_10empty_typeEEEZNS1_34radix_sort_onesweep_global_offsetsIS3_Lb0EPlPS5_mNS0_19identity_decomposerEEE10hipError_tT1_T2_PT3_SE_jT4_jjP12ihipStream_tbEUlT_E0_NS1_11comp_targetILNS1_3genE10ELNS1_11target_archE1201ELNS1_3gpuE5ELNS1_3repE0EEENS1_52radix_sort_onesweep_histogram_config_static_selectorELNS0_4arch9wavefront6targetE1EEEvSC_,"axG",@progbits,_ZN7rocprim17ROCPRIM_400000_NS6detail17trampoline_kernelINS0_14default_configENS1_35radix_sort_onesweep_config_selectorIlNS0_10empty_typeEEEZNS1_34radix_sort_onesweep_global_offsetsIS3_Lb0EPlPS5_mNS0_19identity_decomposerEEE10hipError_tT1_T2_PT3_SE_jT4_jjP12ihipStream_tbEUlT_E0_NS1_11comp_targetILNS1_3genE10ELNS1_11target_archE1201ELNS1_3gpuE5ELNS1_3repE0EEENS1_52radix_sort_onesweep_histogram_config_static_selectorELNS0_4arch9wavefront6targetE1EEEvSC_,comdat
.Lfunc_end867:
	.size	_ZN7rocprim17ROCPRIM_400000_NS6detail17trampoline_kernelINS0_14default_configENS1_35radix_sort_onesweep_config_selectorIlNS0_10empty_typeEEEZNS1_34radix_sort_onesweep_global_offsetsIS3_Lb0EPlPS5_mNS0_19identity_decomposerEEE10hipError_tT1_T2_PT3_SE_jT4_jjP12ihipStream_tbEUlT_E0_NS1_11comp_targetILNS1_3genE10ELNS1_11target_archE1201ELNS1_3gpuE5ELNS1_3repE0EEENS1_52radix_sort_onesweep_histogram_config_static_selectorELNS0_4arch9wavefront6targetE1EEEvSC_, .Lfunc_end867-_ZN7rocprim17ROCPRIM_400000_NS6detail17trampoline_kernelINS0_14default_configENS1_35radix_sort_onesweep_config_selectorIlNS0_10empty_typeEEEZNS1_34radix_sort_onesweep_global_offsetsIS3_Lb0EPlPS5_mNS0_19identity_decomposerEEE10hipError_tT1_T2_PT3_SE_jT4_jjP12ihipStream_tbEUlT_E0_NS1_11comp_targetILNS1_3genE10ELNS1_11target_archE1201ELNS1_3gpuE5ELNS1_3repE0EEENS1_52radix_sort_onesweep_histogram_config_static_selectorELNS0_4arch9wavefront6targetE1EEEvSC_
                                        ; -- End function
	.section	.AMDGPU.csdata,"",@progbits
; Kernel info:
; codeLenInByte = 0
; NumSgprs: 4
; NumVgprs: 0
; NumAgprs: 0
; TotalNumVgprs: 0
; ScratchSize: 0
; MemoryBound: 0
; FloatMode: 240
; IeeeMode: 1
; LDSByteSize: 0 bytes/workgroup (compile time only)
; SGPRBlocks: 0
; VGPRBlocks: 0
; NumSGPRsForWavesPerEU: 4
; NumVGPRsForWavesPerEU: 1
; AccumOffset: 4
; Occupancy: 8
; WaveLimiterHint : 0
; COMPUTE_PGM_RSRC2:SCRATCH_EN: 0
; COMPUTE_PGM_RSRC2:USER_SGPR: 6
; COMPUTE_PGM_RSRC2:TRAP_HANDLER: 0
; COMPUTE_PGM_RSRC2:TGID_X_EN: 1
; COMPUTE_PGM_RSRC2:TGID_Y_EN: 0
; COMPUTE_PGM_RSRC2:TGID_Z_EN: 0
; COMPUTE_PGM_RSRC2:TIDIG_COMP_CNT: 0
; COMPUTE_PGM_RSRC3_GFX90A:ACCUM_OFFSET: 0
; COMPUTE_PGM_RSRC3_GFX90A:TG_SPLIT: 0
	.section	.text._ZN7rocprim17ROCPRIM_400000_NS6detail17trampoline_kernelINS0_14default_configENS1_35radix_sort_onesweep_config_selectorIlNS0_10empty_typeEEEZNS1_34radix_sort_onesweep_global_offsetsIS3_Lb0EPlPS5_mNS0_19identity_decomposerEEE10hipError_tT1_T2_PT3_SE_jT4_jjP12ihipStream_tbEUlT_E0_NS1_11comp_targetILNS1_3genE9ELNS1_11target_archE1100ELNS1_3gpuE3ELNS1_3repE0EEENS1_52radix_sort_onesweep_histogram_config_static_selectorELNS0_4arch9wavefront6targetE1EEEvSC_,"axG",@progbits,_ZN7rocprim17ROCPRIM_400000_NS6detail17trampoline_kernelINS0_14default_configENS1_35radix_sort_onesweep_config_selectorIlNS0_10empty_typeEEEZNS1_34radix_sort_onesweep_global_offsetsIS3_Lb0EPlPS5_mNS0_19identity_decomposerEEE10hipError_tT1_T2_PT3_SE_jT4_jjP12ihipStream_tbEUlT_E0_NS1_11comp_targetILNS1_3genE9ELNS1_11target_archE1100ELNS1_3gpuE3ELNS1_3repE0EEENS1_52radix_sort_onesweep_histogram_config_static_selectorELNS0_4arch9wavefront6targetE1EEEvSC_,comdat
	.protected	_ZN7rocprim17ROCPRIM_400000_NS6detail17trampoline_kernelINS0_14default_configENS1_35radix_sort_onesweep_config_selectorIlNS0_10empty_typeEEEZNS1_34radix_sort_onesweep_global_offsetsIS3_Lb0EPlPS5_mNS0_19identity_decomposerEEE10hipError_tT1_T2_PT3_SE_jT4_jjP12ihipStream_tbEUlT_E0_NS1_11comp_targetILNS1_3genE9ELNS1_11target_archE1100ELNS1_3gpuE3ELNS1_3repE0EEENS1_52radix_sort_onesweep_histogram_config_static_selectorELNS0_4arch9wavefront6targetE1EEEvSC_ ; -- Begin function _ZN7rocprim17ROCPRIM_400000_NS6detail17trampoline_kernelINS0_14default_configENS1_35radix_sort_onesweep_config_selectorIlNS0_10empty_typeEEEZNS1_34radix_sort_onesweep_global_offsetsIS3_Lb0EPlPS5_mNS0_19identity_decomposerEEE10hipError_tT1_T2_PT3_SE_jT4_jjP12ihipStream_tbEUlT_E0_NS1_11comp_targetILNS1_3genE9ELNS1_11target_archE1100ELNS1_3gpuE3ELNS1_3repE0EEENS1_52radix_sort_onesweep_histogram_config_static_selectorELNS0_4arch9wavefront6targetE1EEEvSC_
	.globl	_ZN7rocprim17ROCPRIM_400000_NS6detail17trampoline_kernelINS0_14default_configENS1_35radix_sort_onesweep_config_selectorIlNS0_10empty_typeEEEZNS1_34radix_sort_onesweep_global_offsetsIS3_Lb0EPlPS5_mNS0_19identity_decomposerEEE10hipError_tT1_T2_PT3_SE_jT4_jjP12ihipStream_tbEUlT_E0_NS1_11comp_targetILNS1_3genE9ELNS1_11target_archE1100ELNS1_3gpuE3ELNS1_3repE0EEENS1_52radix_sort_onesweep_histogram_config_static_selectorELNS0_4arch9wavefront6targetE1EEEvSC_
	.p2align	8
	.type	_ZN7rocprim17ROCPRIM_400000_NS6detail17trampoline_kernelINS0_14default_configENS1_35radix_sort_onesweep_config_selectorIlNS0_10empty_typeEEEZNS1_34radix_sort_onesweep_global_offsetsIS3_Lb0EPlPS5_mNS0_19identity_decomposerEEE10hipError_tT1_T2_PT3_SE_jT4_jjP12ihipStream_tbEUlT_E0_NS1_11comp_targetILNS1_3genE9ELNS1_11target_archE1100ELNS1_3gpuE3ELNS1_3repE0EEENS1_52radix_sort_onesweep_histogram_config_static_selectorELNS0_4arch9wavefront6targetE1EEEvSC_,@function
_ZN7rocprim17ROCPRIM_400000_NS6detail17trampoline_kernelINS0_14default_configENS1_35radix_sort_onesweep_config_selectorIlNS0_10empty_typeEEEZNS1_34radix_sort_onesweep_global_offsetsIS3_Lb0EPlPS5_mNS0_19identity_decomposerEEE10hipError_tT1_T2_PT3_SE_jT4_jjP12ihipStream_tbEUlT_E0_NS1_11comp_targetILNS1_3genE9ELNS1_11target_archE1100ELNS1_3gpuE3ELNS1_3repE0EEENS1_52radix_sort_onesweep_histogram_config_static_selectorELNS0_4arch9wavefront6targetE1EEEvSC_: ; @_ZN7rocprim17ROCPRIM_400000_NS6detail17trampoline_kernelINS0_14default_configENS1_35radix_sort_onesweep_config_selectorIlNS0_10empty_typeEEEZNS1_34radix_sort_onesweep_global_offsetsIS3_Lb0EPlPS5_mNS0_19identity_decomposerEEE10hipError_tT1_T2_PT3_SE_jT4_jjP12ihipStream_tbEUlT_E0_NS1_11comp_targetILNS1_3genE9ELNS1_11target_archE1100ELNS1_3gpuE3ELNS1_3repE0EEENS1_52radix_sort_onesweep_histogram_config_static_selectorELNS0_4arch9wavefront6targetE1EEEvSC_
; %bb.0:
	.section	.rodata,"a",@progbits
	.p2align	6, 0x0
	.amdhsa_kernel _ZN7rocprim17ROCPRIM_400000_NS6detail17trampoline_kernelINS0_14default_configENS1_35radix_sort_onesweep_config_selectorIlNS0_10empty_typeEEEZNS1_34radix_sort_onesweep_global_offsetsIS3_Lb0EPlPS5_mNS0_19identity_decomposerEEE10hipError_tT1_T2_PT3_SE_jT4_jjP12ihipStream_tbEUlT_E0_NS1_11comp_targetILNS1_3genE9ELNS1_11target_archE1100ELNS1_3gpuE3ELNS1_3repE0EEENS1_52radix_sort_onesweep_histogram_config_static_selectorELNS0_4arch9wavefront6targetE1EEEvSC_
		.amdhsa_group_segment_fixed_size 0
		.amdhsa_private_segment_fixed_size 0
		.amdhsa_kernarg_size 8
		.amdhsa_user_sgpr_count 6
		.amdhsa_user_sgpr_private_segment_buffer 1
		.amdhsa_user_sgpr_dispatch_ptr 0
		.amdhsa_user_sgpr_queue_ptr 0
		.amdhsa_user_sgpr_kernarg_segment_ptr 1
		.amdhsa_user_sgpr_dispatch_id 0
		.amdhsa_user_sgpr_flat_scratch_init 0
		.amdhsa_user_sgpr_kernarg_preload_length 0
		.amdhsa_user_sgpr_kernarg_preload_offset 0
		.amdhsa_user_sgpr_private_segment_size 0
		.amdhsa_uses_dynamic_stack 0
		.amdhsa_system_sgpr_private_segment_wavefront_offset 0
		.amdhsa_system_sgpr_workgroup_id_x 1
		.amdhsa_system_sgpr_workgroup_id_y 0
		.amdhsa_system_sgpr_workgroup_id_z 0
		.amdhsa_system_sgpr_workgroup_info 0
		.amdhsa_system_vgpr_workitem_id 0
		.amdhsa_next_free_vgpr 1
		.amdhsa_next_free_sgpr 0
		.amdhsa_accum_offset 4
		.amdhsa_reserve_vcc 0
		.amdhsa_reserve_flat_scratch 0
		.amdhsa_float_round_mode_32 0
		.amdhsa_float_round_mode_16_64 0
		.amdhsa_float_denorm_mode_32 3
		.amdhsa_float_denorm_mode_16_64 3
		.amdhsa_dx10_clamp 1
		.amdhsa_ieee_mode 1
		.amdhsa_fp16_overflow 0
		.amdhsa_tg_split 0
		.amdhsa_exception_fp_ieee_invalid_op 0
		.amdhsa_exception_fp_denorm_src 0
		.amdhsa_exception_fp_ieee_div_zero 0
		.amdhsa_exception_fp_ieee_overflow 0
		.amdhsa_exception_fp_ieee_underflow 0
		.amdhsa_exception_fp_ieee_inexact 0
		.amdhsa_exception_int_div_zero 0
	.end_amdhsa_kernel
	.section	.text._ZN7rocprim17ROCPRIM_400000_NS6detail17trampoline_kernelINS0_14default_configENS1_35radix_sort_onesweep_config_selectorIlNS0_10empty_typeEEEZNS1_34radix_sort_onesweep_global_offsetsIS3_Lb0EPlPS5_mNS0_19identity_decomposerEEE10hipError_tT1_T2_PT3_SE_jT4_jjP12ihipStream_tbEUlT_E0_NS1_11comp_targetILNS1_3genE9ELNS1_11target_archE1100ELNS1_3gpuE3ELNS1_3repE0EEENS1_52radix_sort_onesweep_histogram_config_static_selectorELNS0_4arch9wavefront6targetE1EEEvSC_,"axG",@progbits,_ZN7rocprim17ROCPRIM_400000_NS6detail17trampoline_kernelINS0_14default_configENS1_35radix_sort_onesweep_config_selectorIlNS0_10empty_typeEEEZNS1_34radix_sort_onesweep_global_offsetsIS3_Lb0EPlPS5_mNS0_19identity_decomposerEEE10hipError_tT1_T2_PT3_SE_jT4_jjP12ihipStream_tbEUlT_E0_NS1_11comp_targetILNS1_3genE9ELNS1_11target_archE1100ELNS1_3gpuE3ELNS1_3repE0EEENS1_52radix_sort_onesweep_histogram_config_static_selectorELNS0_4arch9wavefront6targetE1EEEvSC_,comdat
.Lfunc_end868:
	.size	_ZN7rocprim17ROCPRIM_400000_NS6detail17trampoline_kernelINS0_14default_configENS1_35radix_sort_onesweep_config_selectorIlNS0_10empty_typeEEEZNS1_34radix_sort_onesweep_global_offsetsIS3_Lb0EPlPS5_mNS0_19identity_decomposerEEE10hipError_tT1_T2_PT3_SE_jT4_jjP12ihipStream_tbEUlT_E0_NS1_11comp_targetILNS1_3genE9ELNS1_11target_archE1100ELNS1_3gpuE3ELNS1_3repE0EEENS1_52radix_sort_onesweep_histogram_config_static_selectorELNS0_4arch9wavefront6targetE1EEEvSC_, .Lfunc_end868-_ZN7rocprim17ROCPRIM_400000_NS6detail17trampoline_kernelINS0_14default_configENS1_35radix_sort_onesweep_config_selectorIlNS0_10empty_typeEEEZNS1_34radix_sort_onesweep_global_offsetsIS3_Lb0EPlPS5_mNS0_19identity_decomposerEEE10hipError_tT1_T2_PT3_SE_jT4_jjP12ihipStream_tbEUlT_E0_NS1_11comp_targetILNS1_3genE9ELNS1_11target_archE1100ELNS1_3gpuE3ELNS1_3repE0EEENS1_52radix_sort_onesweep_histogram_config_static_selectorELNS0_4arch9wavefront6targetE1EEEvSC_
                                        ; -- End function
	.section	.AMDGPU.csdata,"",@progbits
; Kernel info:
; codeLenInByte = 0
; NumSgprs: 4
; NumVgprs: 0
; NumAgprs: 0
; TotalNumVgprs: 0
; ScratchSize: 0
; MemoryBound: 0
; FloatMode: 240
; IeeeMode: 1
; LDSByteSize: 0 bytes/workgroup (compile time only)
; SGPRBlocks: 0
; VGPRBlocks: 0
; NumSGPRsForWavesPerEU: 4
; NumVGPRsForWavesPerEU: 1
; AccumOffset: 4
; Occupancy: 8
; WaveLimiterHint : 0
; COMPUTE_PGM_RSRC2:SCRATCH_EN: 0
; COMPUTE_PGM_RSRC2:USER_SGPR: 6
; COMPUTE_PGM_RSRC2:TRAP_HANDLER: 0
; COMPUTE_PGM_RSRC2:TGID_X_EN: 1
; COMPUTE_PGM_RSRC2:TGID_Y_EN: 0
; COMPUTE_PGM_RSRC2:TGID_Z_EN: 0
; COMPUTE_PGM_RSRC2:TIDIG_COMP_CNT: 0
; COMPUTE_PGM_RSRC3_GFX90A:ACCUM_OFFSET: 0
; COMPUTE_PGM_RSRC3_GFX90A:TG_SPLIT: 0
	.section	.text._ZN7rocprim17ROCPRIM_400000_NS6detail17trampoline_kernelINS0_14default_configENS1_35radix_sort_onesweep_config_selectorIlNS0_10empty_typeEEEZNS1_34radix_sort_onesweep_global_offsetsIS3_Lb0EPlPS5_mNS0_19identity_decomposerEEE10hipError_tT1_T2_PT3_SE_jT4_jjP12ihipStream_tbEUlT_E0_NS1_11comp_targetILNS1_3genE8ELNS1_11target_archE1030ELNS1_3gpuE2ELNS1_3repE0EEENS1_52radix_sort_onesweep_histogram_config_static_selectorELNS0_4arch9wavefront6targetE1EEEvSC_,"axG",@progbits,_ZN7rocprim17ROCPRIM_400000_NS6detail17trampoline_kernelINS0_14default_configENS1_35radix_sort_onesweep_config_selectorIlNS0_10empty_typeEEEZNS1_34radix_sort_onesweep_global_offsetsIS3_Lb0EPlPS5_mNS0_19identity_decomposerEEE10hipError_tT1_T2_PT3_SE_jT4_jjP12ihipStream_tbEUlT_E0_NS1_11comp_targetILNS1_3genE8ELNS1_11target_archE1030ELNS1_3gpuE2ELNS1_3repE0EEENS1_52radix_sort_onesweep_histogram_config_static_selectorELNS0_4arch9wavefront6targetE1EEEvSC_,comdat
	.protected	_ZN7rocprim17ROCPRIM_400000_NS6detail17trampoline_kernelINS0_14default_configENS1_35radix_sort_onesweep_config_selectorIlNS0_10empty_typeEEEZNS1_34radix_sort_onesweep_global_offsetsIS3_Lb0EPlPS5_mNS0_19identity_decomposerEEE10hipError_tT1_T2_PT3_SE_jT4_jjP12ihipStream_tbEUlT_E0_NS1_11comp_targetILNS1_3genE8ELNS1_11target_archE1030ELNS1_3gpuE2ELNS1_3repE0EEENS1_52radix_sort_onesweep_histogram_config_static_selectorELNS0_4arch9wavefront6targetE1EEEvSC_ ; -- Begin function _ZN7rocprim17ROCPRIM_400000_NS6detail17trampoline_kernelINS0_14default_configENS1_35radix_sort_onesweep_config_selectorIlNS0_10empty_typeEEEZNS1_34radix_sort_onesweep_global_offsetsIS3_Lb0EPlPS5_mNS0_19identity_decomposerEEE10hipError_tT1_T2_PT3_SE_jT4_jjP12ihipStream_tbEUlT_E0_NS1_11comp_targetILNS1_3genE8ELNS1_11target_archE1030ELNS1_3gpuE2ELNS1_3repE0EEENS1_52radix_sort_onesweep_histogram_config_static_selectorELNS0_4arch9wavefront6targetE1EEEvSC_
	.globl	_ZN7rocprim17ROCPRIM_400000_NS6detail17trampoline_kernelINS0_14default_configENS1_35radix_sort_onesweep_config_selectorIlNS0_10empty_typeEEEZNS1_34radix_sort_onesweep_global_offsetsIS3_Lb0EPlPS5_mNS0_19identity_decomposerEEE10hipError_tT1_T2_PT3_SE_jT4_jjP12ihipStream_tbEUlT_E0_NS1_11comp_targetILNS1_3genE8ELNS1_11target_archE1030ELNS1_3gpuE2ELNS1_3repE0EEENS1_52radix_sort_onesweep_histogram_config_static_selectorELNS0_4arch9wavefront6targetE1EEEvSC_
	.p2align	8
	.type	_ZN7rocprim17ROCPRIM_400000_NS6detail17trampoline_kernelINS0_14default_configENS1_35radix_sort_onesweep_config_selectorIlNS0_10empty_typeEEEZNS1_34radix_sort_onesweep_global_offsetsIS3_Lb0EPlPS5_mNS0_19identity_decomposerEEE10hipError_tT1_T2_PT3_SE_jT4_jjP12ihipStream_tbEUlT_E0_NS1_11comp_targetILNS1_3genE8ELNS1_11target_archE1030ELNS1_3gpuE2ELNS1_3repE0EEENS1_52radix_sort_onesweep_histogram_config_static_selectorELNS0_4arch9wavefront6targetE1EEEvSC_,@function
_ZN7rocprim17ROCPRIM_400000_NS6detail17trampoline_kernelINS0_14default_configENS1_35radix_sort_onesweep_config_selectorIlNS0_10empty_typeEEEZNS1_34radix_sort_onesweep_global_offsetsIS3_Lb0EPlPS5_mNS0_19identity_decomposerEEE10hipError_tT1_T2_PT3_SE_jT4_jjP12ihipStream_tbEUlT_E0_NS1_11comp_targetILNS1_3genE8ELNS1_11target_archE1030ELNS1_3gpuE2ELNS1_3repE0EEENS1_52radix_sort_onesweep_histogram_config_static_selectorELNS0_4arch9wavefront6targetE1EEEvSC_: ; @_ZN7rocprim17ROCPRIM_400000_NS6detail17trampoline_kernelINS0_14default_configENS1_35radix_sort_onesweep_config_selectorIlNS0_10empty_typeEEEZNS1_34radix_sort_onesweep_global_offsetsIS3_Lb0EPlPS5_mNS0_19identity_decomposerEEE10hipError_tT1_T2_PT3_SE_jT4_jjP12ihipStream_tbEUlT_E0_NS1_11comp_targetILNS1_3genE8ELNS1_11target_archE1030ELNS1_3gpuE2ELNS1_3repE0EEENS1_52radix_sort_onesweep_histogram_config_static_selectorELNS0_4arch9wavefront6targetE1EEEvSC_
; %bb.0:
	.section	.rodata,"a",@progbits
	.p2align	6, 0x0
	.amdhsa_kernel _ZN7rocprim17ROCPRIM_400000_NS6detail17trampoline_kernelINS0_14default_configENS1_35radix_sort_onesweep_config_selectorIlNS0_10empty_typeEEEZNS1_34radix_sort_onesweep_global_offsetsIS3_Lb0EPlPS5_mNS0_19identity_decomposerEEE10hipError_tT1_T2_PT3_SE_jT4_jjP12ihipStream_tbEUlT_E0_NS1_11comp_targetILNS1_3genE8ELNS1_11target_archE1030ELNS1_3gpuE2ELNS1_3repE0EEENS1_52radix_sort_onesweep_histogram_config_static_selectorELNS0_4arch9wavefront6targetE1EEEvSC_
		.amdhsa_group_segment_fixed_size 0
		.amdhsa_private_segment_fixed_size 0
		.amdhsa_kernarg_size 8
		.amdhsa_user_sgpr_count 6
		.amdhsa_user_sgpr_private_segment_buffer 1
		.amdhsa_user_sgpr_dispatch_ptr 0
		.amdhsa_user_sgpr_queue_ptr 0
		.amdhsa_user_sgpr_kernarg_segment_ptr 1
		.amdhsa_user_sgpr_dispatch_id 0
		.amdhsa_user_sgpr_flat_scratch_init 0
		.amdhsa_user_sgpr_kernarg_preload_length 0
		.amdhsa_user_sgpr_kernarg_preload_offset 0
		.amdhsa_user_sgpr_private_segment_size 0
		.amdhsa_uses_dynamic_stack 0
		.amdhsa_system_sgpr_private_segment_wavefront_offset 0
		.amdhsa_system_sgpr_workgroup_id_x 1
		.amdhsa_system_sgpr_workgroup_id_y 0
		.amdhsa_system_sgpr_workgroup_id_z 0
		.amdhsa_system_sgpr_workgroup_info 0
		.amdhsa_system_vgpr_workitem_id 0
		.amdhsa_next_free_vgpr 1
		.amdhsa_next_free_sgpr 0
		.amdhsa_accum_offset 4
		.amdhsa_reserve_vcc 0
		.amdhsa_reserve_flat_scratch 0
		.amdhsa_float_round_mode_32 0
		.amdhsa_float_round_mode_16_64 0
		.amdhsa_float_denorm_mode_32 3
		.amdhsa_float_denorm_mode_16_64 3
		.amdhsa_dx10_clamp 1
		.amdhsa_ieee_mode 1
		.amdhsa_fp16_overflow 0
		.amdhsa_tg_split 0
		.amdhsa_exception_fp_ieee_invalid_op 0
		.amdhsa_exception_fp_denorm_src 0
		.amdhsa_exception_fp_ieee_div_zero 0
		.amdhsa_exception_fp_ieee_overflow 0
		.amdhsa_exception_fp_ieee_underflow 0
		.amdhsa_exception_fp_ieee_inexact 0
		.amdhsa_exception_int_div_zero 0
	.end_amdhsa_kernel
	.section	.text._ZN7rocprim17ROCPRIM_400000_NS6detail17trampoline_kernelINS0_14default_configENS1_35radix_sort_onesweep_config_selectorIlNS0_10empty_typeEEEZNS1_34radix_sort_onesweep_global_offsetsIS3_Lb0EPlPS5_mNS0_19identity_decomposerEEE10hipError_tT1_T2_PT3_SE_jT4_jjP12ihipStream_tbEUlT_E0_NS1_11comp_targetILNS1_3genE8ELNS1_11target_archE1030ELNS1_3gpuE2ELNS1_3repE0EEENS1_52radix_sort_onesweep_histogram_config_static_selectorELNS0_4arch9wavefront6targetE1EEEvSC_,"axG",@progbits,_ZN7rocprim17ROCPRIM_400000_NS6detail17trampoline_kernelINS0_14default_configENS1_35radix_sort_onesweep_config_selectorIlNS0_10empty_typeEEEZNS1_34radix_sort_onesweep_global_offsetsIS3_Lb0EPlPS5_mNS0_19identity_decomposerEEE10hipError_tT1_T2_PT3_SE_jT4_jjP12ihipStream_tbEUlT_E0_NS1_11comp_targetILNS1_3genE8ELNS1_11target_archE1030ELNS1_3gpuE2ELNS1_3repE0EEENS1_52radix_sort_onesweep_histogram_config_static_selectorELNS0_4arch9wavefront6targetE1EEEvSC_,comdat
.Lfunc_end869:
	.size	_ZN7rocprim17ROCPRIM_400000_NS6detail17trampoline_kernelINS0_14default_configENS1_35radix_sort_onesweep_config_selectorIlNS0_10empty_typeEEEZNS1_34radix_sort_onesweep_global_offsetsIS3_Lb0EPlPS5_mNS0_19identity_decomposerEEE10hipError_tT1_T2_PT3_SE_jT4_jjP12ihipStream_tbEUlT_E0_NS1_11comp_targetILNS1_3genE8ELNS1_11target_archE1030ELNS1_3gpuE2ELNS1_3repE0EEENS1_52radix_sort_onesweep_histogram_config_static_selectorELNS0_4arch9wavefront6targetE1EEEvSC_, .Lfunc_end869-_ZN7rocprim17ROCPRIM_400000_NS6detail17trampoline_kernelINS0_14default_configENS1_35radix_sort_onesweep_config_selectorIlNS0_10empty_typeEEEZNS1_34radix_sort_onesweep_global_offsetsIS3_Lb0EPlPS5_mNS0_19identity_decomposerEEE10hipError_tT1_T2_PT3_SE_jT4_jjP12ihipStream_tbEUlT_E0_NS1_11comp_targetILNS1_3genE8ELNS1_11target_archE1030ELNS1_3gpuE2ELNS1_3repE0EEENS1_52radix_sort_onesweep_histogram_config_static_selectorELNS0_4arch9wavefront6targetE1EEEvSC_
                                        ; -- End function
	.section	.AMDGPU.csdata,"",@progbits
; Kernel info:
; codeLenInByte = 0
; NumSgprs: 4
; NumVgprs: 0
; NumAgprs: 0
; TotalNumVgprs: 0
; ScratchSize: 0
; MemoryBound: 0
; FloatMode: 240
; IeeeMode: 1
; LDSByteSize: 0 bytes/workgroup (compile time only)
; SGPRBlocks: 0
; VGPRBlocks: 0
; NumSGPRsForWavesPerEU: 4
; NumVGPRsForWavesPerEU: 1
; AccumOffset: 4
; Occupancy: 8
; WaveLimiterHint : 0
; COMPUTE_PGM_RSRC2:SCRATCH_EN: 0
; COMPUTE_PGM_RSRC2:USER_SGPR: 6
; COMPUTE_PGM_RSRC2:TRAP_HANDLER: 0
; COMPUTE_PGM_RSRC2:TGID_X_EN: 1
; COMPUTE_PGM_RSRC2:TGID_Y_EN: 0
; COMPUTE_PGM_RSRC2:TGID_Z_EN: 0
; COMPUTE_PGM_RSRC2:TIDIG_COMP_CNT: 0
; COMPUTE_PGM_RSRC3_GFX90A:ACCUM_OFFSET: 0
; COMPUTE_PGM_RSRC3_GFX90A:TG_SPLIT: 0
	.section	.text._ZN7rocprim17ROCPRIM_400000_NS6detail17trampoline_kernelINS0_14default_configENS1_35radix_sort_onesweep_config_selectorIlNS0_10empty_typeEEEZZNS1_29radix_sort_onesweep_iterationIS3_Lb0EPlS8_PS5_S9_mNS0_19identity_decomposerENS1_16block_id_wrapperIjLb1EEEEE10hipError_tT1_PNSt15iterator_traitsISE_E10value_typeET2_T3_PNSF_ISK_E10value_typeET4_T5_PSP_SQ_PNS1_23onesweep_lookback_stateEbbT6_jjT7_P12ihipStream_tbENKUlT_T0_SE_SJ_E_clIS8_S8_S9_S9_EEDaSX_SY_SE_SJ_EUlSX_E_NS1_11comp_targetILNS1_3genE0ELNS1_11target_archE4294967295ELNS1_3gpuE0ELNS1_3repE0EEENS1_47radix_sort_onesweep_sort_config_static_selectorELNS0_4arch9wavefront6targetE1EEEvSE_,"axG",@progbits,_ZN7rocprim17ROCPRIM_400000_NS6detail17trampoline_kernelINS0_14default_configENS1_35radix_sort_onesweep_config_selectorIlNS0_10empty_typeEEEZZNS1_29radix_sort_onesweep_iterationIS3_Lb0EPlS8_PS5_S9_mNS0_19identity_decomposerENS1_16block_id_wrapperIjLb1EEEEE10hipError_tT1_PNSt15iterator_traitsISE_E10value_typeET2_T3_PNSF_ISK_E10value_typeET4_T5_PSP_SQ_PNS1_23onesweep_lookback_stateEbbT6_jjT7_P12ihipStream_tbENKUlT_T0_SE_SJ_E_clIS8_S8_S9_S9_EEDaSX_SY_SE_SJ_EUlSX_E_NS1_11comp_targetILNS1_3genE0ELNS1_11target_archE4294967295ELNS1_3gpuE0ELNS1_3repE0EEENS1_47radix_sort_onesweep_sort_config_static_selectorELNS0_4arch9wavefront6targetE1EEEvSE_,comdat
	.protected	_ZN7rocprim17ROCPRIM_400000_NS6detail17trampoline_kernelINS0_14default_configENS1_35radix_sort_onesweep_config_selectorIlNS0_10empty_typeEEEZZNS1_29radix_sort_onesweep_iterationIS3_Lb0EPlS8_PS5_S9_mNS0_19identity_decomposerENS1_16block_id_wrapperIjLb1EEEEE10hipError_tT1_PNSt15iterator_traitsISE_E10value_typeET2_T3_PNSF_ISK_E10value_typeET4_T5_PSP_SQ_PNS1_23onesweep_lookback_stateEbbT6_jjT7_P12ihipStream_tbENKUlT_T0_SE_SJ_E_clIS8_S8_S9_S9_EEDaSX_SY_SE_SJ_EUlSX_E_NS1_11comp_targetILNS1_3genE0ELNS1_11target_archE4294967295ELNS1_3gpuE0ELNS1_3repE0EEENS1_47radix_sort_onesweep_sort_config_static_selectorELNS0_4arch9wavefront6targetE1EEEvSE_ ; -- Begin function _ZN7rocprim17ROCPRIM_400000_NS6detail17trampoline_kernelINS0_14default_configENS1_35radix_sort_onesweep_config_selectorIlNS0_10empty_typeEEEZZNS1_29radix_sort_onesweep_iterationIS3_Lb0EPlS8_PS5_S9_mNS0_19identity_decomposerENS1_16block_id_wrapperIjLb1EEEEE10hipError_tT1_PNSt15iterator_traitsISE_E10value_typeET2_T3_PNSF_ISK_E10value_typeET4_T5_PSP_SQ_PNS1_23onesweep_lookback_stateEbbT6_jjT7_P12ihipStream_tbENKUlT_T0_SE_SJ_E_clIS8_S8_S9_S9_EEDaSX_SY_SE_SJ_EUlSX_E_NS1_11comp_targetILNS1_3genE0ELNS1_11target_archE4294967295ELNS1_3gpuE0ELNS1_3repE0EEENS1_47radix_sort_onesweep_sort_config_static_selectorELNS0_4arch9wavefront6targetE1EEEvSE_
	.globl	_ZN7rocprim17ROCPRIM_400000_NS6detail17trampoline_kernelINS0_14default_configENS1_35radix_sort_onesweep_config_selectorIlNS0_10empty_typeEEEZZNS1_29radix_sort_onesweep_iterationIS3_Lb0EPlS8_PS5_S9_mNS0_19identity_decomposerENS1_16block_id_wrapperIjLb1EEEEE10hipError_tT1_PNSt15iterator_traitsISE_E10value_typeET2_T3_PNSF_ISK_E10value_typeET4_T5_PSP_SQ_PNS1_23onesweep_lookback_stateEbbT6_jjT7_P12ihipStream_tbENKUlT_T0_SE_SJ_E_clIS8_S8_S9_S9_EEDaSX_SY_SE_SJ_EUlSX_E_NS1_11comp_targetILNS1_3genE0ELNS1_11target_archE4294967295ELNS1_3gpuE0ELNS1_3repE0EEENS1_47radix_sort_onesweep_sort_config_static_selectorELNS0_4arch9wavefront6targetE1EEEvSE_
	.p2align	8
	.type	_ZN7rocprim17ROCPRIM_400000_NS6detail17trampoline_kernelINS0_14default_configENS1_35radix_sort_onesweep_config_selectorIlNS0_10empty_typeEEEZZNS1_29radix_sort_onesweep_iterationIS3_Lb0EPlS8_PS5_S9_mNS0_19identity_decomposerENS1_16block_id_wrapperIjLb1EEEEE10hipError_tT1_PNSt15iterator_traitsISE_E10value_typeET2_T3_PNSF_ISK_E10value_typeET4_T5_PSP_SQ_PNS1_23onesweep_lookback_stateEbbT6_jjT7_P12ihipStream_tbENKUlT_T0_SE_SJ_E_clIS8_S8_S9_S9_EEDaSX_SY_SE_SJ_EUlSX_E_NS1_11comp_targetILNS1_3genE0ELNS1_11target_archE4294967295ELNS1_3gpuE0ELNS1_3repE0EEENS1_47radix_sort_onesweep_sort_config_static_selectorELNS0_4arch9wavefront6targetE1EEEvSE_,@function
_ZN7rocprim17ROCPRIM_400000_NS6detail17trampoline_kernelINS0_14default_configENS1_35radix_sort_onesweep_config_selectorIlNS0_10empty_typeEEEZZNS1_29radix_sort_onesweep_iterationIS3_Lb0EPlS8_PS5_S9_mNS0_19identity_decomposerENS1_16block_id_wrapperIjLb1EEEEE10hipError_tT1_PNSt15iterator_traitsISE_E10value_typeET2_T3_PNSF_ISK_E10value_typeET4_T5_PSP_SQ_PNS1_23onesweep_lookback_stateEbbT6_jjT7_P12ihipStream_tbENKUlT_T0_SE_SJ_E_clIS8_S8_S9_S9_EEDaSX_SY_SE_SJ_EUlSX_E_NS1_11comp_targetILNS1_3genE0ELNS1_11target_archE4294967295ELNS1_3gpuE0ELNS1_3repE0EEENS1_47radix_sort_onesweep_sort_config_static_selectorELNS0_4arch9wavefront6targetE1EEEvSE_: ; @_ZN7rocprim17ROCPRIM_400000_NS6detail17trampoline_kernelINS0_14default_configENS1_35radix_sort_onesweep_config_selectorIlNS0_10empty_typeEEEZZNS1_29radix_sort_onesweep_iterationIS3_Lb0EPlS8_PS5_S9_mNS0_19identity_decomposerENS1_16block_id_wrapperIjLb1EEEEE10hipError_tT1_PNSt15iterator_traitsISE_E10value_typeET2_T3_PNSF_ISK_E10value_typeET4_T5_PSP_SQ_PNS1_23onesweep_lookback_stateEbbT6_jjT7_P12ihipStream_tbENKUlT_T0_SE_SJ_E_clIS8_S8_S9_S9_EEDaSX_SY_SE_SJ_EUlSX_E_NS1_11comp_targetILNS1_3genE0ELNS1_11target_archE4294967295ELNS1_3gpuE0ELNS1_3repE0EEENS1_47radix_sort_onesweep_sort_config_static_selectorELNS0_4arch9wavefront6targetE1EEEvSE_
; %bb.0:
	.section	.rodata,"a",@progbits
	.p2align	6, 0x0
	.amdhsa_kernel _ZN7rocprim17ROCPRIM_400000_NS6detail17trampoline_kernelINS0_14default_configENS1_35radix_sort_onesweep_config_selectorIlNS0_10empty_typeEEEZZNS1_29radix_sort_onesweep_iterationIS3_Lb0EPlS8_PS5_S9_mNS0_19identity_decomposerENS1_16block_id_wrapperIjLb1EEEEE10hipError_tT1_PNSt15iterator_traitsISE_E10value_typeET2_T3_PNSF_ISK_E10value_typeET4_T5_PSP_SQ_PNS1_23onesweep_lookback_stateEbbT6_jjT7_P12ihipStream_tbENKUlT_T0_SE_SJ_E_clIS8_S8_S9_S9_EEDaSX_SY_SE_SJ_EUlSX_E_NS1_11comp_targetILNS1_3genE0ELNS1_11target_archE4294967295ELNS1_3gpuE0ELNS1_3repE0EEENS1_47radix_sort_onesweep_sort_config_static_selectorELNS0_4arch9wavefront6targetE1EEEvSE_
		.amdhsa_group_segment_fixed_size 0
		.amdhsa_private_segment_fixed_size 0
		.amdhsa_kernarg_size 88
		.amdhsa_user_sgpr_count 6
		.amdhsa_user_sgpr_private_segment_buffer 1
		.amdhsa_user_sgpr_dispatch_ptr 0
		.amdhsa_user_sgpr_queue_ptr 0
		.amdhsa_user_sgpr_kernarg_segment_ptr 1
		.amdhsa_user_sgpr_dispatch_id 0
		.amdhsa_user_sgpr_flat_scratch_init 0
		.amdhsa_user_sgpr_kernarg_preload_length 0
		.amdhsa_user_sgpr_kernarg_preload_offset 0
		.amdhsa_user_sgpr_private_segment_size 0
		.amdhsa_uses_dynamic_stack 0
		.amdhsa_system_sgpr_private_segment_wavefront_offset 0
		.amdhsa_system_sgpr_workgroup_id_x 1
		.amdhsa_system_sgpr_workgroup_id_y 0
		.amdhsa_system_sgpr_workgroup_id_z 0
		.amdhsa_system_sgpr_workgroup_info 0
		.amdhsa_system_vgpr_workitem_id 0
		.amdhsa_next_free_vgpr 1
		.amdhsa_next_free_sgpr 0
		.amdhsa_accum_offset 4
		.amdhsa_reserve_vcc 0
		.amdhsa_reserve_flat_scratch 0
		.amdhsa_float_round_mode_32 0
		.amdhsa_float_round_mode_16_64 0
		.amdhsa_float_denorm_mode_32 3
		.amdhsa_float_denorm_mode_16_64 3
		.amdhsa_dx10_clamp 1
		.amdhsa_ieee_mode 1
		.amdhsa_fp16_overflow 0
		.amdhsa_tg_split 0
		.amdhsa_exception_fp_ieee_invalid_op 0
		.amdhsa_exception_fp_denorm_src 0
		.amdhsa_exception_fp_ieee_div_zero 0
		.amdhsa_exception_fp_ieee_overflow 0
		.amdhsa_exception_fp_ieee_underflow 0
		.amdhsa_exception_fp_ieee_inexact 0
		.amdhsa_exception_int_div_zero 0
	.end_amdhsa_kernel
	.section	.text._ZN7rocprim17ROCPRIM_400000_NS6detail17trampoline_kernelINS0_14default_configENS1_35radix_sort_onesweep_config_selectorIlNS0_10empty_typeEEEZZNS1_29radix_sort_onesweep_iterationIS3_Lb0EPlS8_PS5_S9_mNS0_19identity_decomposerENS1_16block_id_wrapperIjLb1EEEEE10hipError_tT1_PNSt15iterator_traitsISE_E10value_typeET2_T3_PNSF_ISK_E10value_typeET4_T5_PSP_SQ_PNS1_23onesweep_lookback_stateEbbT6_jjT7_P12ihipStream_tbENKUlT_T0_SE_SJ_E_clIS8_S8_S9_S9_EEDaSX_SY_SE_SJ_EUlSX_E_NS1_11comp_targetILNS1_3genE0ELNS1_11target_archE4294967295ELNS1_3gpuE0ELNS1_3repE0EEENS1_47radix_sort_onesweep_sort_config_static_selectorELNS0_4arch9wavefront6targetE1EEEvSE_,"axG",@progbits,_ZN7rocprim17ROCPRIM_400000_NS6detail17trampoline_kernelINS0_14default_configENS1_35radix_sort_onesweep_config_selectorIlNS0_10empty_typeEEEZZNS1_29radix_sort_onesweep_iterationIS3_Lb0EPlS8_PS5_S9_mNS0_19identity_decomposerENS1_16block_id_wrapperIjLb1EEEEE10hipError_tT1_PNSt15iterator_traitsISE_E10value_typeET2_T3_PNSF_ISK_E10value_typeET4_T5_PSP_SQ_PNS1_23onesweep_lookback_stateEbbT6_jjT7_P12ihipStream_tbENKUlT_T0_SE_SJ_E_clIS8_S8_S9_S9_EEDaSX_SY_SE_SJ_EUlSX_E_NS1_11comp_targetILNS1_3genE0ELNS1_11target_archE4294967295ELNS1_3gpuE0ELNS1_3repE0EEENS1_47radix_sort_onesweep_sort_config_static_selectorELNS0_4arch9wavefront6targetE1EEEvSE_,comdat
.Lfunc_end870:
	.size	_ZN7rocprim17ROCPRIM_400000_NS6detail17trampoline_kernelINS0_14default_configENS1_35radix_sort_onesweep_config_selectorIlNS0_10empty_typeEEEZZNS1_29radix_sort_onesweep_iterationIS3_Lb0EPlS8_PS5_S9_mNS0_19identity_decomposerENS1_16block_id_wrapperIjLb1EEEEE10hipError_tT1_PNSt15iterator_traitsISE_E10value_typeET2_T3_PNSF_ISK_E10value_typeET4_T5_PSP_SQ_PNS1_23onesweep_lookback_stateEbbT6_jjT7_P12ihipStream_tbENKUlT_T0_SE_SJ_E_clIS8_S8_S9_S9_EEDaSX_SY_SE_SJ_EUlSX_E_NS1_11comp_targetILNS1_3genE0ELNS1_11target_archE4294967295ELNS1_3gpuE0ELNS1_3repE0EEENS1_47radix_sort_onesweep_sort_config_static_selectorELNS0_4arch9wavefront6targetE1EEEvSE_, .Lfunc_end870-_ZN7rocprim17ROCPRIM_400000_NS6detail17trampoline_kernelINS0_14default_configENS1_35radix_sort_onesweep_config_selectorIlNS0_10empty_typeEEEZZNS1_29radix_sort_onesweep_iterationIS3_Lb0EPlS8_PS5_S9_mNS0_19identity_decomposerENS1_16block_id_wrapperIjLb1EEEEE10hipError_tT1_PNSt15iterator_traitsISE_E10value_typeET2_T3_PNSF_ISK_E10value_typeET4_T5_PSP_SQ_PNS1_23onesweep_lookback_stateEbbT6_jjT7_P12ihipStream_tbENKUlT_T0_SE_SJ_E_clIS8_S8_S9_S9_EEDaSX_SY_SE_SJ_EUlSX_E_NS1_11comp_targetILNS1_3genE0ELNS1_11target_archE4294967295ELNS1_3gpuE0ELNS1_3repE0EEENS1_47radix_sort_onesweep_sort_config_static_selectorELNS0_4arch9wavefront6targetE1EEEvSE_
                                        ; -- End function
	.section	.AMDGPU.csdata,"",@progbits
; Kernel info:
; codeLenInByte = 0
; NumSgprs: 4
; NumVgprs: 0
; NumAgprs: 0
; TotalNumVgprs: 0
; ScratchSize: 0
; MemoryBound: 0
; FloatMode: 240
; IeeeMode: 1
; LDSByteSize: 0 bytes/workgroup (compile time only)
; SGPRBlocks: 0
; VGPRBlocks: 0
; NumSGPRsForWavesPerEU: 4
; NumVGPRsForWavesPerEU: 1
; AccumOffset: 4
; Occupancy: 8
; WaveLimiterHint : 0
; COMPUTE_PGM_RSRC2:SCRATCH_EN: 0
; COMPUTE_PGM_RSRC2:USER_SGPR: 6
; COMPUTE_PGM_RSRC2:TRAP_HANDLER: 0
; COMPUTE_PGM_RSRC2:TGID_X_EN: 1
; COMPUTE_PGM_RSRC2:TGID_Y_EN: 0
; COMPUTE_PGM_RSRC2:TGID_Z_EN: 0
; COMPUTE_PGM_RSRC2:TIDIG_COMP_CNT: 0
; COMPUTE_PGM_RSRC3_GFX90A:ACCUM_OFFSET: 0
; COMPUTE_PGM_RSRC3_GFX90A:TG_SPLIT: 0
	.section	.text._ZN7rocprim17ROCPRIM_400000_NS6detail17trampoline_kernelINS0_14default_configENS1_35radix_sort_onesweep_config_selectorIlNS0_10empty_typeEEEZZNS1_29radix_sort_onesweep_iterationIS3_Lb0EPlS8_PS5_S9_mNS0_19identity_decomposerENS1_16block_id_wrapperIjLb1EEEEE10hipError_tT1_PNSt15iterator_traitsISE_E10value_typeET2_T3_PNSF_ISK_E10value_typeET4_T5_PSP_SQ_PNS1_23onesweep_lookback_stateEbbT6_jjT7_P12ihipStream_tbENKUlT_T0_SE_SJ_E_clIS8_S8_S9_S9_EEDaSX_SY_SE_SJ_EUlSX_E_NS1_11comp_targetILNS1_3genE6ELNS1_11target_archE950ELNS1_3gpuE13ELNS1_3repE0EEENS1_47radix_sort_onesweep_sort_config_static_selectorELNS0_4arch9wavefront6targetE1EEEvSE_,"axG",@progbits,_ZN7rocprim17ROCPRIM_400000_NS6detail17trampoline_kernelINS0_14default_configENS1_35radix_sort_onesweep_config_selectorIlNS0_10empty_typeEEEZZNS1_29radix_sort_onesweep_iterationIS3_Lb0EPlS8_PS5_S9_mNS0_19identity_decomposerENS1_16block_id_wrapperIjLb1EEEEE10hipError_tT1_PNSt15iterator_traitsISE_E10value_typeET2_T3_PNSF_ISK_E10value_typeET4_T5_PSP_SQ_PNS1_23onesweep_lookback_stateEbbT6_jjT7_P12ihipStream_tbENKUlT_T0_SE_SJ_E_clIS8_S8_S9_S9_EEDaSX_SY_SE_SJ_EUlSX_E_NS1_11comp_targetILNS1_3genE6ELNS1_11target_archE950ELNS1_3gpuE13ELNS1_3repE0EEENS1_47radix_sort_onesweep_sort_config_static_selectorELNS0_4arch9wavefront6targetE1EEEvSE_,comdat
	.protected	_ZN7rocprim17ROCPRIM_400000_NS6detail17trampoline_kernelINS0_14default_configENS1_35radix_sort_onesweep_config_selectorIlNS0_10empty_typeEEEZZNS1_29radix_sort_onesweep_iterationIS3_Lb0EPlS8_PS5_S9_mNS0_19identity_decomposerENS1_16block_id_wrapperIjLb1EEEEE10hipError_tT1_PNSt15iterator_traitsISE_E10value_typeET2_T3_PNSF_ISK_E10value_typeET4_T5_PSP_SQ_PNS1_23onesweep_lookback_stateEbbT6_jjT7_P12ihipStream_tbENKUlT_T0_SE_SJ_E_clIS8_S8_S9_S9_EEDaSX_SY_SE_SJ_EUlSX_E_NS1_11comp_targetILNS1_3genE6ELNS1_11target_archE950ELNS1_3gpuE13ELNS1_3repE0EEENS1_47radix_sort_onesweep_sort_config_static_selectorELNS0_4arch9wavefront6targetE1EEEvSE_ ; -- Begin function _ZN7rocprim17ROCPRIM_400000_NS6detail17trampoline_kernelINS0_14default_configENS1_35radix_sort_onesweep_config_selectorIlNS0_10empty_typeEEEZZNS1_29radix_sort_onesweep_iterationIS3_Lb0EPlS8_PS5_S9_mNS0_19identity_decomposerENS1_16block_id_wrapperIjLb1EEEEE10hipError_tT1_PNSt15iterator_traitsISE_E10value_typeET2_T3_PNSF_ISK_E10value_typeET4_T5_PSP_SQ_PNS1_23onesweep_lookback_stateEbbT6_jjT7_P12ihipStream_tbENKUlT_T0_SE_SJ_E_clIS8_S8_S9_S9_EEDaSX_SY_SE_SJ_EUlSX_E_NS1_11comp_targetILNS1_3genE6ELNS1_11target_archE950ELNS1_3gpuE13ELNS1_3repE0EEENS1_47radix_sort_onesweep_sort_config_static_selectorELNS0_4arch9wavefront6targetE1EEEvSE_
	.globl	_ZN7rocprim17ROCPRIM_400000_NS6detail17trampoline_kernelINS0_14default_configENS1_35radix_sort_onesweep_config_selectorIlNS0_10empty_typeEEEZZNS1_29radix_sort_onesweep_iterationIS3_Lb0EPlS8_PS5_S9_mNS0_19identity_decomposerENS1_16block_id_wrapperIjLb1EEEEE10hipError_tT1_PNSt15iterator_traitsISE_E10value_typeET2_T3_PNSF_ISK_E10value_typeET4_T5_PSP_SQ_PNS1_23onesweep_lookback_stateEbbT6_jjT7_P12ihipStream_tbENKUlT_T0_SE_SJ_E_clIS8_S8_S9_S9_EEDaSX_SY_SE_SJ_EUlSX_E_NS1_11comp_targetILNS1_3genE6ELNS1_11target_archE950ELNS1_3gpuE13ELNS1_3repE0EEENS1_47radix_sort_onesweep_sort_config_static_selectorELNS0_4arch9wavefront6targetE1EEEvSE_
	.p2align	8
	.type	_ZN7rocprim17ROCPRIM_400000_NS6detail17trampoline_kernelINS0_14default_configENS1_35radix_sort_onesweep_config_selectorIlNS0_10empty_typeEEEZZNS1_29radix_sort_onesweep_iterationIS3_Lb0EPlS8_PS5_S9_mNS0_19identity_decomposerENS1_16block_id_wrapperIjLb1EEEEE10hipError_tT1_PNSt15iterator_traitsISE_E10value_typeET2_T3_PNSF_ISK_E10value_typeET4_T5_PSP_SQ_PNS1_23onesweep_lookback_stateEbbT6_jjT7_P12ihipStream_tbENKUlT_T0_SE_SJ_E_clIS8_S8_S9_S9_EEDaSX_SY_SE_SJ_EUlSX_E_NS1_11comp_targetILNS1_3genE6ELNS1_11target_archE950ELNS1_3gpuE13ELNS1_3repE0EEENS1_47radix_sort_onesweep_sort_config_static_selectorELNS0_4arch9wavefront6targetE1EEEvSE_,@function
_ZN7rocprim17ROCPRIM_400000_NS6detail17trampoline_kernelINS0_14default_configENS1_35radix_sort_onesweep_config_selectorIlNS0_10empty_typeEEEZZNS1_29radix_sort_onesweep_iterationIS3_Lb0EPlS8_PS5_S9_mNS0_19identity_decomposerENS1_16block_id_wrapperIjLb1EEEEE10hipError_tT1_PNSt15iterator_traitsISE_E10value_typeET2_T3_PNSF_ISK_E10value_typeET4_T5_PSP_SQ_PNS1_23onesweep_lookback_stateEbbT6_jjT7_P12ihipStream_tbENKUlT_T0_SE_SJ_E_clIS8_S8_S9_S9_EEDaSX_SY_SE_SJ_EUlSX_E_NS1_11comp_targetILNS1_3genE6ELNS1_11target_archE950ELNS1_3gpuE13ELNS1_3repE0EEENS1_47radix_sort_onesweep_sort_config_static_selectorELNS0_4arch9wavefront6targetE1EEEvSE_: ; @_ZN7rocprim17ROCPRIM_400000_NS6detail17trampoline_kernelINS0_14default_configENS1_35radix_sort_onesweep_config_selectorIlNS0_10empty_typeEEEZZNS1_29radix_sort_onesweep_iterationIS3_Lb0EPlS8_PS5_S9_mNS0_19identity_decomposerENS1_16block_id_wrapperIjLb1EEEEE10hipError_tT1_PNSt15iterator_traitsISE_E10value_typeET2_T3_PNSF_ISK_E10value_typeET4_T5_PSP_SQ_PNS1_23onesweep_lookback_stateEbbT6_jjT7_P12ihipStream_tbENKUlT_T0_SE_SJ_E_clIS8_S8_S9_S9_EEDaSX_SY_SE_SJ_EUlSX_E_NS1_11comp_targetILNS1_3genE6ELNS1_11target_archE950ELNS1_3gpuE13ELNS1_3repE0EEENS1_47radix_sort_onesweep_sort_config_static_selectorELNS0_4arch9wavefront6targetE1EEEvSE_
; %bb.0:
	.section	.rodata,"a",@progbits
	.p2align	6, 0x0
	.amdhsa_kernel _ZN7rocprim17ROCPRIM_400000_NS6detail17trampoline_kernelINS0_14default_configENS1_35radix_sort_onesweep_config_selectorIlNS0_10empty_typeEEEZZNS1_29radix_sort_onesweep_iterationIS3_Lb0EPlS8_PS5_S9_mNS0_19identity_decomposerENS1_16block_id_wrapperIjLb1EEEEE10hipError_tT1_PNSt15iterator_traitsISE_E10value_typeET2_T3_PNSF_ISK_E10value_typeET4_T5_PSP_SQ_PNS1_23onesweep_lookback_stateEbbT6_jjT7_P12ihipStream_tbENKUlT_T0_SE_SJ_E_clIS8_S8_S9_S9_EEDaSX_SY_SE_SJ_EUlSX_E_NS1_11comp_targetILNS1_3genE6ELNS1_11target_archE950ELNS1_3gpuE13ELNS1_3repE0EEENS1_47radix_sort_onesweep_sort_config_static_selectorELNS0_4arch9wavefront6targetE1EEEvSE_
		.amdhsa_group_segment_fixed_size 0
		.amdhsa_private_segment_fixed_size 0
		.amdhsa_kernarg_size 88
		.amdhsa_user_sgpr_count 6
		.amdhsa_user_sgpr_private_segment_buffer 1
		.amdhsa_user_sgpr_dispatch_ptr 0
		.amdhsa_user_sgpr_queue_ptr 0
		.amdhsa_user_sgpr_kernarg_segment_ptr 1
		.amdhsa_user_sgpr_dispatch_id 0
		.amdhsa_user_sgpr_flat_scratch_init 0
		.amdhsa_user_sgpr_kernarg_preload_length 0
		.amdhsa_user_sgpr_kernarg_preload_offset 0
		.amdhsa_user_sgpr_private_segment_size 0
		.amdhsa_uses_dynamic_stack 0
		.amdhsa_system_sgpr_private_segment_wavefront_offset 0
		.amdhsa_system_sgpr_workgroup_id_x 1
		.amdhsa_system_sgpr_workgroup_id_y 0
		.amdhsa_system_sgpr_workgroup_id_z 0
		.amdhsa_system_sgpr_workgroup_info 0
		.amdhsa_system_vgpr_workitem_id 0
		.amdhsa_next_free_vgpr 1
		.amdhsa_next_free_sgpr 0
		.amdhsa_accum_offset 4
		.amdhsa_reserve_vcc 0
		.amdhsa_reserve_flat_scratch 0
		.amdhsa_float_round_mode_32 0
		.amdhsa_float_round_mode_16_64 0
		.amdhsa_float_denorm_mode_32 3
		.amdhsa_float_denorm_mode_16_64 3
		.amdhsa_dx10_clamp 1
		.amdhsa_ieee_mode 1
		.amdhsa_fp16_overflow 0
		.amdhsa_tg_split 0
		.amdhsa_exception_fp_ieee_invalid_op 0
		.amdhsa_exception_fp_denorm_src 0
		.amdhsa_exception_fp_ieee_div_zero 0
		.amdhsa_exception_fp_ieee_overflow 0
		.amdhsa_exception_fp_ieee_underflow 0
		.amdhsa_exception_fp_ieee_inexact 0
		.amdhsa_exception_int_div_zero 0
	.end_amdhsa_kernel
	.section	.text._ZN7rocprim17ROCPRIM_400000_NS6detail17trampoline_kernelINS0_14default_configENS1_35radix_sort_onesweep_config_selectorIlNS0_10empty_typeEEEZZNS1_29radix_sort_onesweep_iterationIS3_Lb0EPlS8_PS5_S9_mNS0_19identity_decomposerENS1_16block_id_wrapperIjLb1EEEEE10hipError_tT1_PNSt15iterator_traitsISE_E10value_typeET2_T3_PNSF_ISK_E10value_typeET4_T5_PSP_SQ_PNS1_23onesweep_lookback_stateEbbT6_jjT7_P12ihipStream_tbENKUlT_T0_SE_SJ_E_clIS8_S8_S9_S9_EEDaSX_SY_SE_SJ_EUlSX_E_NS1_11comp_targetILNS1_3genE6ELNS1_11target_archE950ELNS1_3gpuE13ELNS1_3repE0EEENS1_47radix_sort_onesweep_sort_config_static_selectorELNS0_4arch9wavefront6targetE1EEEvSE_,"axG",@progbits,_ZN7rocprim17ROCPRIM_400000_NS6detail17trampoline_kernelINS0_14default_configENS1_35radix_sort_onesweep_config_selectorIlNS0_10empty_typeEEEZZNS1_29radix_sort_onesweep_iterationIS3_Lb0EPlS8_PS5_S9_mNS0_19identity_decomposerENS1_16block_id_wrapperIjLb1EEEEE10hipError_tT1_PNSt15iterator_traitsISE_E10value_typeET2_T3_PNSF_ISK_E10value_typeET4_T5_PSP_SQ_PNS1_23onesweep_lookback_stateEbbT6_jjT7_P12ihipStream_tbENKUlT_T0_SE_SJ_E_clIS8_S8_S9_S9_EEDaSX_SY_SE_SJ_EUlSX_E_NS1_11comp_targetILNS1_3genE6ELNS1_11target_archE950ELNS1_3gpuE13ELNS1_3repE0EEENS1_47radix_sort_onesweep_sort_config_static_selectorELNS0_4arch9wavefront6targetE1EEEvSE_,comdat
.Lfunc_end871:
	.size	_ZN7rocprim17ROCPRIM_400000_NS6detail17trampoline_kernelINS0_14default_configENS1_35radix_sort_onesweep_config_selectorIlNS0_10empty_typeEEEZZNS1_29radix_sort_onesweep_iterationIS3_Lb0EPlS8_PS5_S9_mNS0_19identity_decomposerENS1_16block_id_wrapperIjLb1EEEEE10hipError_tT1_PNSt15iterator_traitsISE_E10value_typeET2_T3_PNSF_ISK_E10value_typeET4_T5_PSP_SQ_PNS1_23onesweep_lookback_stateEbbT6_jjT7_P12ihipStream_tbENKUlT_T0_SE_SJ_E_clIS8_S8_S9_S9_EEDaSX_SY_SE_SJ_EUlSX_E_NS1_11comp_targetILNS1_3genE6ELNS1_11target_archE950ELNS1_3gpuE13ELNS1_3repE0EEENS1_47radix_sort_onesweep_sort_config_static_selectorELNS0_4arch9wavefront6targetE1EEEvSE_, .Lfunc_end871-_ZN7rocprim17ROCPRIM_400000_NS6detail17trampoline_kernelINS0_14default_configENS1_35radix_sort_onesweep_config_selectorIlNS0_10empty_typeEEEZZNS1_29radix_sort_onesweep_iterationIS3_Lb0EPlS8_PS5_S9_mNS0_19identity_decomposerENS1_16block_id_wrapperIjLb1EEEEE10hipError_tT1_PNSt15iterator_traitsISE_E10value_typeET2_T3_PNSF_ISK_E10value_typeET4_T5_PSP_SQ_PNS1_23onesweep_lookback_stateEbbT6_jjT7_P12ihipStream_tbENKUlT_T0_SE_SJ_E_clIS8_S8_S9_S9_EEDaSX_SY_SE_SJ_EUlSX_E_NS1_11comp_targetILNS1_3genE6ELNS1_11target_archE950ELNS1_3gpuE13ELNS1_3repE0EEENS1_47radix_sort_onesweep_sort_config_static_selectorELNS0_4arch9wavefront6targetE1EEEvSE_
                                        ; -- End function
	.section	.AMDGPU.csdata,"",@progbits
; Kernel info:
; codeLenInByte = 0
; NumSgprs: 4
; NumVgprs: 0
; NumAgprs: 0
; TotalNumVgprs: 0
; ScratchSize: 0
; MemoryBound: 0
; FloatMode: 240
; IeeeMode: 1
; LDSByteSize: 0 bytes/workgroup (compile time only)
; SGPRBlocks: 0
; VGPRBlocks: 0
; NumSGPRsForWavesPerEU: 4
; NumVGPRsForWavesPerEU: 1
; AccumOffset: 4
; Occupancy: 8
; WaveLimiterHint : 0
; COMPUTE_PGM_RSRC2:SCRATCH_EN: 0
; COMPUTE_PGM_RSRC2:USER_SGPR: 6
; COMPUTE_PGM_RSRC2:TRAP_HANDLER: 0
; COMPUTE_PGM_RSRC2:TGID_X_EN: 1
; COMPUTE_PGM_RSRC2:TGID_Y_EN: 0
; COMPUTE_PGM_RSRC2:TGID_Z_EN: 0
; COMPUTE_PGM_RSRC2:TIDIG_COMP_CNT: 0
; COMPUTE_PGM_RSRC3_GFX90A:ACCUM_OFFSET: 0
; COMPUTE_PGM_RSRC3_GFX90A:TG_SPLIT: 0
	.section	.text._ZN7rocprim17ROCPRIM_400000_NS6detail17trampoline_kernelINS0_14default_configENS1_35radix_sort_onesweep_config_selectorIlNS0_10empty_typeEEEZZNS1_29radix_sort_onesweep_iterationIS3_Lb0EPlS8_PS5_S9_mNS0_19identity_decomposerENS1_16block_id_wrapperIjLb1EEEEE10hipError_tT1_PNSt15iterator_traitsISE_E10value_typeET2_T3_PNSF_ISK_E10value_typeET4_T5_PSP_SQ_PNS1_23onesweep_lookback_stateEbbT6_jjT7_P12ihipStream_tbENKUlT_T0_SE_SJ_E_clIS8_S8_S9_S9_EEDaSX_SY_SE_SJ_EUlSX_E_NS1_11comp_targetILNS1_3genE5ELNS1_11target_archE942ELNS1_3gpuE9ELNS1_3repE0EEENS1_47radix_sort_onesweep_sort_config_static_selectorELNS0_4arch9wavefront6targetE1EEEvSE_,"axG",@progbits,_ZN7rocprim17ROCPRIM_400000_NS6detail17trampoline_kernelINS0_14default_configENS1_35radix_sort_onesweep_config_selectorIlNS0_10empty_typeEEEZZNS1_29radix_sort_onesweep_iterationIS3_Lb0EPlS8_PS5_S9_mNS0_19identity_decomposerENS1_16block_id_wrapperIjLb1EEEEE10hipError_tT1_PNSt15iterator_traitsISE_E10value_typeET2_T3_PNSF_ISK_E10value_typeET4_T5_PSP_SQ_PNS1_23onesweep_lookback_stateEbbT6_jjT7_P12ihipStream_tbENKUlT_T0_SE_SJ_E_clIS8_S8_S9_S9_EEDaSX_SY_SE_SJ_EUlSX_E_NS1_11comp_targetILNS1_3genE5ELNS1_11target_archE942ELNS1_3gpuE9ELNS1_3repE0EEENS1_47radix_sort_onesweep_sort_config_static_selectorELNS0_4arch9wavefront6targetE1EEEvSE_,comdat
	.protected	_ZN7rocprim17ROCPRIM_400000_NS6detail17trampoline_kernelINS0_14default_configENS1_35radix_sort_onesweep_config_selectorIlNS0_10empty_typeEEEZZNS1_29radix_sort_onesweep_iterationIS3_Lb0EPlS8_PS5_S9_mNS0_19identity_decomposerENS1_16block_id_wrapperIjLb1EEEEE10hipError_tT1_PNSt15iterator_traitsISE_E10value_typeET2_T3_PNSF_ISK_E10value_typeET4_T5_PSP_SQ_PNS1_23onesweep_lookback_stateEbbT6_jjT7_P12ihipStream_tbENKUlT_T0_SE_SJ_E_clIS8_S8_S9_S9_EEDaSX_SY_SE_SJ_EUlSX_E_NS1_11comp_targetILNS1_3genE5ELNS1_11target_archE942ELNS1_3gpuE9ELNS1_3repE0EEENS1_47radix_sort_onesweep_sort_config_static_selectorELNS0_4arch9wavefront6targetE1EEEvSE_ ; -- Begin function _ZN7rocprim17ROCPRIM_400000_NS6detail17trampoline_kernelINS0_14default_configENS1_35radix_sort_onesweep_config_selectorIlNS0_10empty_typeEEEZZNS1_29radix_sort_onesweep_iterationIS3_Lb0EPlS8_PS5_S9_mNS0_19identity_decomposerENS1_16block_id_wrapperIjLb1EEEEE10hipError_tT1_PNSt15iterator_traitsISE_E10value_typeET2_T3_PNSF_ISK_E10value_typeET4_T5_PSP_SQ_PNS1_23onesweep_lookback_stateEbbT6_jjT7_P12ihipStream_tbENKUlT_T0_SE_SJ_E_clIS8_S8_S9_S9_EEDaSX_SY_SE_SJ_EUlSX_E_NS1_11comp_targetILNS1_3genE5ELNS1_11target_archE942ELNS1_3gpuE9ELNS1_3repE0EEENS1_47radix_sort_onesweep_sort_config_static_selectorELNS0_4arch9wavefront6targetE1EEEvSE_
	.globl	_ZN7rocprim17ROCPRIM_400000_NS6detail17trampoline_kernelINS0_14default_configENS1_35radix_sort_onesweep_config_selectorIlNS0_10empty_typeEEEZZNS1_29radix_sort_onesweep_iterationIS3_Lb0EPlS8_PS5_S9_mNS0_19identity_decomposerENS1_16block_id_wrapperIjLb1EEEEE10hipError_tT1_PNSt15iterator_traitsISE_E10value_typeET2_T3_PNSF_ISK_E10value_typeET4_T5_PSP_SQ_PNS1_23onesweep_lookback_stateEbbT6_jjT7_P12ihipStream_tbENKUlT_T0_SE_SJ_E_clIS8_S8_S9_S9_EEDaSX_SY_SE_SJ_EUlSX_E_NS1_11comp_targetILNS1_3genE5ELNS1_11target_archE942ELNS1_3gpuE9ELNS1_3repE0EEENS1_47radix_sort_onesweep_sort_config_static_selectorELNS0_4arch9wavefront6targetE1EEEvSE_
	.p2align	8
	.type	_ZN7rocprim17ROCPRIM_400000_NS6detail17trampoline_kernelINS0_14default_configENS1_35radix_sort_onesweep_config_selectorIlNS0_10empty_typeEEEZZNS1_29radix_sort_onesweep_iterationIS3_Lb0EPlS8_PS5_S9_mNS0_19identity_decomposerENS1_16block_id_wrapperIjLb1EEEEE10hipError_tT1_PNSt15iterator_traitsISE_E10value_typeET2_T3_PNSF_ISK_E10value_typeET4_T5_PSP_SQ_PNS1_23onesweep_lookback_stateEbbT6_jjT7_P12ihipStream_tbENKUlT_T0_SE_SJ_E_clIS8_S8_S9_S9_EEDaSX_SY_SE_SJ_EUlSX_E_NS1_11comp_targetILNS1_3genE5ELNS1_11target_archE942ELNS1_3gpuE9ELNS1_3repE0EEENS1_47radix_sort_onesweep_sort_config_static_selectorELNS0_4arch9wavefront6targetE1EEEvSE_,@function
_ZN7rocprim17ROCPRIM_400000_NS6detail17trampoline_kernelINS0_14default_configENS1_35radix_sort_onesweep_config_selectorIlNS0_10empty_typeEEEZZNS1_29radix_sort_onesweep_iterationIS3_Lb0EPlS8_PS5_S9_mNS0_19identity_decomposerENS1_16block_id_wrapperIjLb1EEEEE10hipError_tT1_PNSt15iterator_traitsISE_E10value_typeET2_T3_PNSF_ISK_E10value_typeET4_T5_PSP_SQ_PNS1_23onesweep_lookback_stateEbbT6_jjT7_P12ihipStream_tbENKUlT_T0_SE_SJ_E_clIS8_S8_S9_S9_EEDaSX_SY_SE_SJ_EUlSX_E_NS1_11comp_targetILNS1_3genE5ELNS1_11target_archE942ELNS1_3gpuE9ELNS1_3repE0EEENS1_47radix_sort_onesweep_sort_config_static_selectorELNS0_4arch9wavefront6targetE1EEEvSE_: ; @_ZN7rocprim17ROCPRIM_400000_NS6detail17trampoline_kernelINS0_14default_configENS1_35radix_sort_onesweep_config_selectorIlNS0_10empty_typeEEEZZNS1_29radix_sort_onesweep_iterationIS3_Lb0EPlS8_PS5_S9_mNS0_19identity_decomposerENS1_16block_id_wrapperIjLb1EEEEE10hipError_tT1_PNSt15iterator_traitsISE_E10value_typeET2_T3_PNSF_ISK_E10value_typeET4_T5_PSP_SQ_PNS1_23onesweep_lookback_stateEbbT6_jjT7_P12ihipStream_tbENKUlT_T0_SE_SJ_E_clIS8_S8_S9_S9_EEDaSX_SY_SE_SJ_EUlSX_E_NS1_11comp_targetILNS1_3genE5ELNS1_11target_archE942ELNS1_3gpuE9ELNS1_3repE0EEENS1_47radix_sort_onesweep_sort_config_static_selectorELNS0_4arch9wavefront6targetE1EEEvSE_
; %bb.0:
	.section	.rodata,"a",@progbits
	.p2align	6, 0x0
	.amdhsa_kernel _ZN7rocprim17ROCPRIM_400000_NS6detail17trampoline_kernelINS0_14default_configENS1_35radix_sort_onesweep_config_selectorIlNS0_10empty_typeEEEZZNS1_29radix_sort_onesweep_iterationIS3_Lb0EPlS8_PS5_S9_mNS0_19identity_decomposerENS1_16block_id_wrapperIjLb1EEEEE10hipError_tT1_PNSt15iterator_traitsISE_E10value_typeET2_T3_PNSF_ISK_E10value_typeET4_T5_PSP_SQ_PNS1_23onesweep_lookback_stateEbbT6_jjT7_P12ihipStream_tbENKUlT_T0_SE_SJ_E_clIS8_S8_S9_S9_EEDaSX_SY_SE_SJ_EUlSX_E_NS1_11comp_targetILNS1_3genE5ELNS1_11target_archE942ELNS1_3gpuE9ELNS1_3repE0EEENS1_47radix_sort_onesweep_sort_config_static_selectorELNS0_4arch9wavefront6targetE1EEEvSE_
		.amdhsa_group_segment_fixed_size 0
		.amdhsa_private_segment_fixed_size 0
		.amdhsa_kernarg_size 88
		.amdhsa_user_sgpr_count 6
		.amdhsa_user_sgpr_private_segment_buffer 1
		.amdhsa_user_sgpr_dispatch_ptr 0
		.amdhsa_user_sgpr_queue_ptr 0
		.amdhsa_user_sgpr_kernarg_segment_ptr 1
		.amdhsa_user_sgpr_dispatch_id 0
		.amdhsa_user_sgpr_flat_scratch_init 0
		.amdhsa_user_sgpr_kernarg_preload_length 0
		.amdhsa_user_sgpr_kernarg_preload_offset 0
		.amdhsa_user_sgpr_private_segment_size 0
		.amdhsa_uses_dynamic_stack 0
		.amdhsa_system_sgpr_private_segment_wavefront_offset 0
		.amdhsa_system_sgpr_workgroup_id_x 1
		.amdhsa_system_sgpr_workgroup_id_y 0
		.amdhsa_system_sgpr_workgroup_id_z 0
		.amdhsa_system_sgpr_workgroup_info 0
		.amdhsa_system_vgpr_workitem_id 0
		.amdhsa_next_free_vgpr 1
		.amdhsa_next_free_sgpr 0
		.amdhsa_accum_offset 4
		.amdhsa_reserve_vcc 0
		.amdhsa_reserve_flat_scratch 0
		.amdhsa_float_round_mode_32 0
		.amdhsa_float_round_mode_16_64 0
		.amdhsa_float_denorm_mode_32 3
		.amdhsa_float_denorm_mode_16_64 3
		.amdhsa_dx10_clamp 1
		.amdhsa_ieee_mode 1
		.amdhsa_fp16_overflow 0
		.amdhsa_tg_split 0
		.amdhsa_exception_fp_ieee_invalid_op 0
		.amdhsa_exception_fp_denorm_src 0
		.amdhsa_exception_fp_ieee_div_zero 0
		.amdhsa_exception_fp_ieee_overflow 0
		.amdhsa_exception_fp_ieee_underflow 0
		.amdhsa_exception_fp_ieee_inexact 0
		.amdhsa_exception_int_div_zero 0
	.end_amdhsa_kernel
	.section	.text._ZN7rocprim17ROCPRIM_400000_NS6detail17trampoline_kernelINS0_14default_configENS1_35radix_sort_onesweep_config_selectorIlNS0_10empty_typeEEEZZNS1_29radix_sort_onesweep_iterationIS3_Lb0EPlS8_PS5_S9_mNS0_19identity_decomposerENS1_16block_id_wrapperIjLb1EEEEE10hipError_tT1_PNSt15iterator_traitsISE_E10value_typeET2_T3_PNSF_ISK_E10value_typeET4_T5_PSP_SQ_PNS1_23onesweep_lookback_stateEbbT6_jjT7_P12ihipStream_tbENKUlT_T0_SE_SJ_E_clIS8_S8_S9_S9_EEDaSX_SY_SE_SJ_EUlSX_E_NS1_11comp_targetILNS1_3genE5ELNS1_11target_archE942ELNS1_3gpuE9ELNS1_3repE0EEENS1_47radix_sort_onesweep_sort_config_static_selectorELNS0_4arch9wavefront6targetE1EEEvSE_,"axG",@progbits,_ZN7rocprim17ROCPRIM_400000_NS6detail17trampoline_kernelINS0_14default_configENS1_35radix_sort_onesweep_config_selectorIlNS0_10empty_typeEEEZZNS1_29radix_sort_onesweep_iterationIS3_Lb0EPlS8_PS5_S9_mNS0_19identity_decomposerENS1_16block_id_wrapperIjLb1EEEEE10hipError_tT1_PNSt15iterator_traitsISE_E10value_typeET2_T3_PNSF_ISK_E10value_typeET4_T5_PSP_SQ_PNS1_23onesweep_lookback_stateEbbT6_jjT7_P12ihipStream_tbENKUlT_T0_SE_SJ_E_clIS8_S8_S9_S9_EEDaSX_SY_SE_SJ_EUlSX_E_NS1_11comp_targetILNS1_3genE5ELNS1_11target_archE942ELNS1_3gpuE9ELNS1_3repE0EEENS1_47radix_sort_onesweep_sort_config_static_selectorELNS0_4arch9wavefront6targetE1EEEvSE_,comdat
.Lfunc_end872:
	.size	_ZN7rocprim17ROCPRIM_400000_NS6detail17trampoline_kernelINS0_14default_configENS1_35radix_sort_onesweep_config_selectorIlNS0_10empty_typeEEEZZNS1_29radix_sort_onesweep_iterationIS3_Lb0EPlS8_PS5_S9_mNS0_19identity_decomposerENS1_16block_id_wrapperIjLb1EEEEE10hipError_tT1_PNSt15iterator_traitsISE_E10value_typeET2_T3_PNSF_ISK_E10value_typeET4_T5_PSP_SQ_PNS1_23onesweep_lookback_stateEbbT6_jjT7_P12ihipStream_tbENKUlT_T0_SE_SJ_E_clIS8_S8_S9_S9_EEDaSX_SY_SE_SJ_EUlSX_E_NS1_11comp_targetILNS1_3genE5ELNS1_11target_archE942ELNS1_3gpuE9ELNS1_3repE0EEENS1_47radix_sort_onesweep_sort_config_static_selectorELNS0_4arch9wavefront6targetE1EEEvSE_, .Lfunc_end872-_ZN7rocprim17ROCPRIM_400000_NS6detail17trampoline_kernelINS0_14default_configENS1_35radix_sort_onesweep_config_selectorIlNS0_10empty_typeEEEZZNS1_29radix_sort_onesweep_iterationIS3_Lb0EPlS8_PS5_S9_mNS0_19identity_decomposerENS1_16block_id_wrapperIjLb1EEEEE10hipError_tT1_PNSt15iterator_traitsISE_E10value_typeET2_T3_PNSF_ISK_E10value_typeET4_T5_PSP_SQ_PNS1_23onesweep_lookback_stateEbbT6_jjT7_P12ihipStream_tbENKUlT_T0_SE_SJ_E_clIS8_S8_S9_S9_EEDaSX_SY_SE_SJ_EUlSX_E_NS1_11comp_targetILNS1_3genE5ELNS1_11target_archE942ELNS1_3gpuE9ELNS1_3repE0EEENS1_47radix_sort_onesweep_sort_config_static_selectorELNS0_4arch9wavefront6targetE1EEEvSE_
                                        ; -- End function
	.section	.AMDGPU.csdata,"",@progbits
; Kernel info:
; codeLenInByte = 0
; NumSgprs: 4
; NumVgprs: 0
; NumAgprs: 0
; TotalNumVgprs: 0
; ScratchSize: 0
; MemoryBound: 0
; FloatMode: 240
; IeeeMode: 1
; LDSByteSize: 0 bytes/workgroup (compile time only)
; SGPRBlocks: 0
; VGPRBlocks: 0
; NumSGPRsForWavesPerEU: 4
; NumVGPRsForWavesPerEU: 1
; AccumOffset: 4
; Occupancy: 8
; WaveLimiterHint : 0
; COMPUTE_PGM_RSRC2:SCRATCH_EN: 0
; COMPUTE_PGM_RSRC2:USER_SGPR: 6
; COMPUTE_PGM_RSRC2:TRAP_HANDLER: 0
; COMPUTE_PGM_RSRC2:TGID_X_EN: 1
; COMPUTE_PGM_RSRC2:TGID_Y_EN: 0
; COMPUTE_PGM_RSRC2:TGID_Z_EN: 0
; COMPUTE_PGM_RSRC2:TIDIG_COMP_CNT: 0
; COMPUTE_PGM_RSRC3_GFX90A:ACCUM_OFFSET: 0
; COMPUTE_PGM_RSRC3_GFX90A:TG_SPLIT: 0
	.section	.text._ZN7rocprim17ROCPRIM_400000_NS6detail17trampoline_kernelINS0_14default_configENS1_35radix_sort_onesweep_config_selectorIlNS0_10empty_typeEEEZZNS1_29radix_sort_onesweep_iterationIS3_Lb0EPlS8_PS5_S9_mNS0_19identity_decomposerENS1_16block_id_wrapperIjLb1EEEEE10hipError_tT1_PNSt15iterator_traitsISE_E10value_typeET2_T3_PNSF_ISK_E10value_typeET4_T5_PSP_SQ_PNS1_23onesweep_lookback_stateEbbT6_jjT7_P12ihipStream_tbENKUlT_T0_SE_SJ_E_clIS8_S8_S9_S9_EEDaSX_SY_SE_SJ_EUlSX_E_NS1_11comp_targetILNS1_3genE2ELNS1_11target_archE906ELNS1_3gpuE6ELNS1_3repE0EEENS1_47radix_sort_onesweep_sort_config_static_selectorELNS0_4arch9wavefront6targetE1EEEvSE_,"axG",@progbits,_ZN7rocprim17ROCPRIM_400000_NS6detail17trampoline_kernelINS0_14default_configENS1_35radix_sort_onesweep_config_selectorIlNS0_10empty_typeEEEZZNS1_29radix_sort_onesweep_iterationIS3_Lb0EPlS8_PS5_S9_mNS0_19identity_decomposerENS1_16block_id_wrapperIjLb1EEEEE10hipError_tT1_PNSt15iterator_traitsISE_E10value_typeET2_T3_PNSF_ISK_E10value_typeET4_T5_PSP_SQ_PNS1_23onesweep_lookback_stateEbbT6_jjT7_P12ihipStream_tbENKUlT_T0_SE_SJ_E_clIS8_S8_S9_S9_EEDaSX_SY_SE_SJ_EUlSX_E_NS1_11comp_targetILNS1_3genE2ELNS1_11target_archE906ELNS1_3gpuE6ELNS1_3repE0EEENS1_47radix_sort_onesweep_sort_config_static_selectorELNS0_4arch9wavefront6targetE1EEEvSE_,comdat
	.protected	_ZN7rocprim17ROCPRIM_400000_NS6detail17trampoline_kernelINS0_14default_configENS1_35radix_sort_onesweep_config_selectorIlNS0_10empty_typeEEEZZNS1_29radix_sort_onesweep_iterationIS3_Lb0EPlS8_PS5_S9_mNS0_19identity_decomposerENS1_16block_id_wrapperIjLb1EEEEE10hipError_tT1_PNSt15iterator_traitsISE_E10value_typeET2_T3_PNSF_ISK_E10value_typeET4_T5_PSP_SQ_PNS1_23onesweep_lookback_stateEbbT6_jjT7_P12ihipStream_tbENKUlT_T0_SE_SJ_E_clIS8_S8_S9_S9_EEDaSX_SY_SE_SJ_EUlSX_E_NS1_11comp_targetILNS1_3genE2ELNS1_11target_archE906ELNS1_3gpuE6ELNS1_3repE0EEENS1_47radix_sort_onesweep_sort_config_static_selectorELNS0_4arch9wavefront6targetE1EEEvSE_ ; -- Begin function _ZN7rocprim17ROCPRIM_400000_NS6detail17trampoline_kernelINS0_14default_configENS1_35radix_sort_onesweep_config_selectorIlNS0_10empty_typeEEEZZNS1_29radix_sort_onesweep_iterationIS3_Lb0EPlS8_PS5_S9_mNS0_19identity_decomposerENS1_16block_id_wrapperIjLb1EEEEE10hipError_tT1_PNSt15iterator_traitsISE_E10value_typeET2_T3_PNSF_ISK_E10value_typeET4_T5_PSP_SQ_PNS1_23onesweep_lookback_stateEbbT6_jjT7_P12ihipStream_tbENKUlT_T0_SE_SJ_E_clIS8_S8_S9_S9_EEDaSX_SY_SE_SJ_EUlSX_E_NS1_11comp_targetILNS1_3genE2ELNS1_11target_archE906ELNS1_3gpuE6ELNS1_3repE0EEENS1_47radix_sort_onesweep_sort_config_static_selectorELNS0_4arch9wavefront6targetE1EEEvSE_
	.globl	_ZN7rocprim17ROCPRIM_400000_NS6detail17trampoline_kernelINS0_14default_configENS1_35radix_sort_onesweep_config_selectorIlNS0_10empty_typeEEEZZNS1_29radix_sort_onesweep_iterationIS3_Lb0EPlS8_PS5_S9_mNS0_19identity_decomposerENS1_16block_id_wrapperIjLb1EEEEE10hipError_tT1_PNSt15iterator_traitsISE_E10value_typeET2_T3_PNSF_ISK_E10value_typeET4_T5_PSP_SQ_PNS1_23onesweep_lookback_stateEbbT6_jjT7_P12ihipStream_tbENKUlT_T0_SE_SJ_E_clIS8_S8_S9_S9_EEDaSX_SY_SE_SJ_EUlSX_E_NS1_11comp_targetILNS1_3genE2ELNS1_11target_archE906ELNS1_3gpuE6ELNS1_3repE0EEENS1_47radix_sort_onesweep_sort_config_static_selectorELNS0_4arch9wavefront6targetE1EEEvSE_
	.p2align	8
	.type	_ZN7rocprim17ROCPRIM_400000_NS6detail17trampoline_kernelINS0_14default_configENS1_35radix_sort_onesweep_config_selectorIlNS0_10empty_typeEEEZZNS1_29radix_sort_onesweep_iterationIS3_Lb0EPlS8_PS5_S9_mNS0_19identity_decomposerENS1_16block_id_wrapperIjLb1EEEEE10hipError_tT1_PNSt15iterator_traitsISE_E10value_typeET2_T3_PNSF_ISK_E10value_typeET4_T5_PSP_SQ_PNS1_23onesweep_lookback_stateEbbT6_jjT7_P12ihipStream_tbENKUlT_T0_SE_SJ_E_clIS8_S8_S9_S9_EEDaSX_SY_SE_SJ_EUlSX_E_NS1_11comp_targetILNS1_3genE2ELNS1_11target_archE906ELNS1_3gpuE6ELNS1_3repE0EEENS1_47radix_sort_onesweep_sort_config_static_selectorELNS0_4arch9wavefront6targetE1EEEvSE_,@function
_ZN7rocprim17ROCPRIM_400000_NS6detail17trampoline_kernelINS0_14default_configENS1_35radix_sort_onesweep_config_selectorIlNS0_10empty_typeEEEZZNS1_29radix_sort_onesweep_iterationIS3_Lb0EPlS8_PS5_S9_mNS0_19identity_decomposerENS1_16block_id_wrapperIjLb1EEEEE10hipError_tT1_PNSt15iterator_traitsISE_E10value_typeET2_T3_PNSF_ISK_E10value_typeET4_T5_PSP_SQ_PNS1_23onesweep_lookback_stateEbbT6_jjT7_P12ihipStream_tbENKUlT_T0_SE_SJ_E_clIS8_S8_S9_S9_EEDaSX_SY_SE_SJ_EUlSX_E_NS1_11comp_targetILNS1_3genE2ELNS1_11target_archE906ELNS1_3gpuE6ELNS1_3repE0EEENS1_47radix_sort_onesweep_sort_config_static_selectorELNS0_4arch9wavefront6targetE1EEEvSE_: ; @_ZN7rocprim17ROCPRIM_400000_NS6detail17trampoline_kernelINS0_14default_configENS1_35radix_sort_onesweep_config_selectorIlNS0_10empty_typeEEEZZNS1_29radix_sort_onesweep_iterationIS3_Lb0EPlS8_PS5_S9_mNS0_19identity_decomposerENS1_16block_id_wrapperIjLb1EEEEE10hipError_tT1_PNSt15iterator_traitsISE_E10value_typeET2_T3_PNSF_ISK_E10value_typeET4_T5_PSP_SQ_PNS1_23onesweep_lookback_stateEbbT6_jjT7_P12ihipStream_tbENKUlT_T0_SE_SJ_E_clIS8_S8_S9_S9_EEDaSX_SY_SE_SJ_EUlSX_E_NS1_11comp_targetILNS1_3genE2ELNS1_11target_archE906ELNS1_3gpuE6ELNS1_3repE0EEENS1_47radix_sort_onesweep_sort_config_static_selectorELNS0_4arch9wavefront6targetE1EEEvSE_
; %bb.0:
	.section	.rodata,"a",@progbits
	.p2align	6, 0x0
	.amdhsa_kernel _ZN7rocprim17ROCPRIM_400000_NS6detail17trampoline_kernelINS0_14default_configENS1_35radix_sort_onesweep_config_selectorIlNS0_10empty_typeEEEZZNS1_29radix_sort_onesweep_iterationIS3_Lb0EPlS8_PS5_S9_mNS0_19identity_decomposerENS1_16block_id_wrapperIjLb1EEEEE10hipError_tT1_PNSt15iterator_traitsISE_E10value_typeET2_T3_PNSF_ISK_E10value_typeET4_T5_PSP_SQ_PNS1_23onesweep_lookback_stateEbbT6_jjT7_P12ihipStream_tbENKUlT_T0_SE_SJ_E_clIS8_S8_S9_S9_EEDaSX_SY_SE_SJ_EUlSX_E_NS1_11comp_targetILNS1_3genE2ELNS1_11target_archE906ELNS1_3gpuE6ELNS1_3repE0EEENS1_47radix_sort_onesweep_sort_config_static_selectorELNS0_4arch9wavefront6targetE1EEEvSE_
		.amdhsa_group_segment_fixed_size 0
		.amdhsa_private_segment_fixed_size 0
		.amdhsa_kernarg_size 88
		.amdhsa_user_sgpr_count 6
		.amdhsa_user_sgpr_private_segment_buffer 1
		.amdhsa_user_sgpr_dispatch_ptr 0
		.amdhsa_user_sgpr_queue_ptr 0
		.amdhsa_user_sgpr_kernarg_segment_ptr 1
		.amdhsa_user_sgpr_dispatch_id 0
		.amdhsa_user_sgpr_flat_scratch_init 0
		.amdhsa_user_sgpr_kernarg_preload_length 0
		.amdhsa_user_sgpr_kernarg_preload_offset 0
		.amdhsa_user_sgpr_private_segment_size 0
		.amdhsa_uses_dynamic_stack 0
		.amdhsa_system_sgpr_private_segment_wavefront_offset 0
		.amdhsa_system_sgpr_workgroup_id_x 1
		.amdhsa_system_sgpr_workgroup_id_y 0
		.amdhsa_system_sgpr_workgroup_id_z 0
		.amdhsa_system_sgpr_workgroup_info 0
		.amdhsa_system_vgpr_workitem_id 0
		.amdhsa_next_free_vgpr 1
		.amdhsa_next_free_sgpr 0
		.amdhsa_accum_offset 4
		.amdhsa_reserve_vcc 0
		.amdhsa_reserve_flat_scratch 0
		.amdhsa_float_round_mode_32 0
		.amdhsa_float_round_mode_16_64 0
		.amdhsa_float_denorm_mode_32 3
		.amdhsa_float_denorm_mode_16_64 3
		.amdhsa_dx10_clamp 1
		.amdhsa_ieee_mode 1
		.amdhsa_fp16_overflow 0
		.amdhsa_tg_split 0
		.amdhsa_exception_fp_ieee_invalid_op 0
		.amdhsa_exception_fp_denorm_src 0
		.amdhsa_exception_fp_ieee_div_zero 0
		.amdhsa_exception_fp_ieee_overflow 0
		.amdhsa_exception_fp_ieee_underflow 0
		.amdhsa_exception_fp_ieee_inexact 0
		.amdhsa_exception_int_div_zero 0
	.end_amdhsa_kernel
	.section	.text._ZN7rocprim17ROCPRIM_400000_NS6detail17trampoline_kernelINS0_14default_configENS1_35radix_sort_onesweep_config_selectorIlNS0_10empty_typeEEEZZNS1_29radix_sort_onesweep_iterationIS3_Lb0EPlS8_PS5_S9_mNS0_19identity_decomposerENS1_16block_id_wrapperIjLb1EEEEE10hipError_tT1_PNSt15iterator_traitsISE_E10value_typeET2_T3_PNSF_ISK_E10value_typeET4_T5_PSP_SQ_PNS1_23onesweep_lookback_stateEbbT6_jjT7_P12ihipStream_tbENKUlT_T0_SE_SJ_E_clIS8_S8_S9_S9_EEDaSX_SY_SE_SJ_EUlSX_E_NS1_11comp_targetILNS1_3genE2ELNS1_11target_archE906ELNS1_3gpuE6ELNS1_3repE0EEENS1_47radix_sort_onesweep_sort_config_static_selectorELNS0_4arch9wavefront6targetE1EEEvSE_,"axG",@progbits,_ZN7rocprim17ROCPRIM_400000_NS6detail17trampoline_kernelINS0_14default_configENS1_35radix_sort_onesweep_config_selectorIlNS0_10empty_typeEEEZZNS1_29radix_sort_onesweep_iterationIS3_Lb0EPlS8_PS5_S9_mNS0_19identity_decomposerENS1_16block_id_wrapperIjLb1EEEEE10hipError_tT1_PNSt15iterator_traitsISE_E10value_typeET2_T3_PNSF_ISK_E10value_typeET4_T5_PSP_SQ_PNS1_23onesweep_lookback_stateEbbT6_jjT7_P12ihipStream_tbENKUlT_T0_SE_SJ_E_clIS8_S8_S9_S9_EEDaSX_SY_SE_SJ_EUlSX_E_NS1_11comp_targetILNS1_3genE2ELNS1_11target_archE906ELNS1_3gpuE6ELNS1_3repE0EEENS1_47radix_sort_onesweep_sort_config_static_selectorELNS0_4arch9wavefront6targetE1EEEvSE_,comdat
.Lfunc_end873:
	.size	_ZN7rocprim17ROCPRIM_400000_NS6detail17trampoline_kernelINS0_14default_configENS1_35radix_sort_onesweep_config_selectorIlNS0_10empty_typeEEEZZNS1_29radix_sort_onesweep_iterationIS3_Lb0EPlS8_PS5_S9_mNS0_19identity_decomposerENS1_16block_id_wrapperIjLb1EEEEE10hipError_tT1_PNSt15iterator_traitsISE_E10value_typeET2_T3_PNSF_ISK_E10value_typeET4_T5_PSP_SQ_PNS1_23onesweep_lookback_stateEbbT6_jjT7_P12ihipStream_tbENKUlT_T0_SE_SJ_E_clIS8_S8_S9_S9_EEDaSX_SY_SE_SJ_EUlSX_E_NS1_11comp_targetILNS1_3genE2ELNS1_11target_archE906ELNS1_3gpuE6ELNS1_3repE0EEENS1_47radix_sort_onesweep_sort_config_static_selectorELNS0_4arch9wavefront6targetE1EEEvSE_, .Lfunc_end873-_ZN7rocprim17ROCPRIM_400000_NS6detail17trampoline_kernelINS0_14default_configENS1_35radix_sort_onesweep_config_selectorIlNS0_10empty_typeEEEZZNS1_29radix_sort_onesweep_iterationIS3_Lb0EPlS8_PS5_S9_mNS0_19identity_decomposerENS1_16block_id_wrapperIjLb1EEEEE10hipError_tT1_PNSt15iterator_traitsISE_E10value_typeET2_T3_PNSF_ISK_E10value_typeET4_T5_PSP_SQ_PNS1_23onesweep_lookback_stateEbbT6_jjT7_P12ihipStream_tbENKUlT_T0_SE_SJ_E_clIS8_S8_S9_S9_EEDaSX_SY_SE_SJ_EUlSX_E_NS1_11comp_targetILNS1_3genE2ELNS1_11target_archE906ELNS1_3gpuE6ELNS1_3repE0EEENS1_47radix_sort_onesweep_sort_config_static_selectorELNS0_4arch9wavefront6targetE1EEEvSE_
                                        ; -- End function
	.section	.AMDGPU.csdata,"",@progbits
; Kernel info:
; codeLenInByte = 0
; NumSgprs: 4
; NumVgprs: 0
; NumAgprs: 0
; TotalNumVgprs: 0
; ScratchSize: 0
; MemoryBound: 0
; FloatMode: 240
; IeeeMode: 1
; LDSByteSize: 0 bytes/workgroup (compile time only)
; SGPRBlocks: 0
; VGPRBlocks: 0
; NumSGPRsForWavesPerEU: 4
; NumVGPRsForWavesPerEU: 1
; AccumOffset: 4
; Occupancy: 8
; WaveLimiterHint : 0
; COMPUTE_PGM_RSRC2:SCRATCH_EN: 0
; COMPUTE_PGM_RSRC2:USER_SGPR: 6
; COMPUTE_PGM_RSRC2:TRAP_HANDLER: 0
; COMPUTE_PGM_RSRC2:TGID_X_EN: 1
; COMPUTE_PGM_RSRC2:TGID_Y_EN: 0
; COMPUTE_PGM_RSRC2:TGID_Z_EN: 0
; COMPUTE_PGM_RSRC2:TIDIG_COMP_CNT: 0
; COMPUTE_PGM_RSRC3_GFX90A:ACCUM_OFFSET: 0
; COMPUTE_PGM_RSRC3_GFX90A:TG_SPLIT: 0
	.section	.text._ZN7rocprim17ROCPRIM_400000_NS6detail17trampoline_kernelINS0_14default_configENS1_35radix_sort_onesweep_config_selectorIlNS0_10empty_typeEEEZZNS1_29radix_sort_onesweep_iterationIS3_Lb0EPlS8_PS5_S9_mNS0_19identity_decomposerENS1_16block_id_wrapperIjLb1EEEEE10hipError_tT1_PNSt15iterator_traitsISE_E10value_typeET2_T3_PNSF_ISK_E10value_typeET4_T5_PSP_SQ_PNS1_23onesweep_lookback_stateEbbT6_jjT7_P12ihipStream_tbENKUlT_T0_SE_SJ_E_clIS8_S8_S9_S9_EEDaSX_SY_SE_SJ_EUlSX_E_NS1_11comp_targetILNS1_3genE4ELNS1_11target_archE910ELNS1_3gpuE8ELNS1_3repE0EEENS1_47radix_sort_onesweep_sort_config_static_selectorELNS0_4arch9wavefront6targetE1EEEvSE_,"axG",@progbits,_ZN7rocprim17ROCPRIM_400000_NS6detail17trampoline_kernelINS0_14default_configENS1_35radix_sort_onesweep_config_selectorIlNS0_10empty_typeEEEZZNS1_29radix_sort_onesweep_iterationIS3_Lb0EPlS8_PS5_S9_mNS0_19identity_decomposerENS1_16block_id_wrapperIjLb1EEEEE10hipError_tT1_PNSt15iterator_traitsISE_E10value_typeET2_T3_PNSF_ISK_E10value_typeET4_T5_PSP_SQ_PNS1_23onesweep_lookback_stateEbbT6_jjT7_P12ihipStream_tbENKUlT_T0_SE_SJ_E_clIS8_S8_S9_S9_EEDaSX_SY_SE_SJ_EUlSX_E_NS1_11comp_targetILNS1_3genE4ELNS1_11target_archE910ELNS1_3gpuE8ELNS1_3repE0EEENS1_47radix_sort_onesweep_sort_config_static_selectorELNS0_4arch9wavefront6targetE1EEEvSE_,comdat
	.protected	_ZN7rocprim17ROCPRIM_400000_NS6detail17trampoline_kernelINS0_14default_configENS1_35radix_sort_onesweep_config_selectorIlNS0_10empty_typeEEEZZNS1_29radix_sort_onesweep_iterationIS3_Lb0EPlS8_PS5_S9_mNS0_19identity_decomposerENS1_16block_id_wrapperIjLb1EEEEE10hipError_tT1_PNSt15iterator_traitsISE_E10value_typeET2_T3_PNSF_ISK_E10value_typeET4_T5_PSP_SQ_PNS1_23onesweep_lookback_stateEbbT6_jjT7_P12ihipStream_tbENKUlT_T0_SE_SJ_E_clIS8_S8_S9_S9_EEDaSX_SY_SE_SJ_EUlSX_E_NS1_11comp_targetILNS1_3genE4ELNS1_11target_archE910ELNS1_3gpuE8ELNS1_3repE0EEENS1_47radix_sort_onesweep_sort_config_static_selectorELNS0_4arch9wavefront6targetE1EEEvSE_ ; -- Begin function _ZN7rocprim17ROCPRIM_400000_NS6detail17trampoline_kernelINS0_14default_configENS1_35radix_sort_onesweep_config_selectorIlNS0_10empty_typeEEEZZNS1_29radix_sort_onesweep_iterationIS3_Lb0EPlS8_PS5_S9_mNS0_19identity_decomposerENS1_16block_id_wrapperIjLb1EEEEE10hipError_tT1_PNSt15iterator_traitsISE_E10value_typeET2_T3_PNSF_ISK_E10value_typeET4_T5_PSP_SQ_PNS1_23onesweep_lookback_stateEbbT6_jjT7_P12ihipStream_tbENKUlT_T0_SE_SJ_E_clIS8_S8_S9_S9_EEDaSX_SY_SE_SJ_EUlSX_E_NS1_11comp_targetILNS1_3genE4ELNS1_11target_archE910ELNS1_3gpuE8ELNS1_3repE0EEENS1_47radix_sort_onesweep_sort_config_static_selectorELNS0_4arch9wavefront6targetE1EEEvSE_
	.globl	_ZN7rocprim17ROCPRIM_400000_NS6detail17trampoline_kernelINS0_14default_configENS1_35radix_sort_onesweep_config_selectorIlNS0_10empty_typeEEEZZNS1_29radix_sort_onesweep_iterationIS3_Lb0EPlS8_PS5_S9_mNS0_19identity_decomposerENS1_16block_id_wrapperIjLb1EEEEE10hipError_tT1_PNSt15iterator_traitsISE_E10value_typeET2_T3_PNSF_ISK_E10value_typeET4_T5_PSP_SQ_PNS1_23onesweep_lookback_stateEbbT6_jjT7_P12ihipStream_tbENKUlT_T0_SE_SJ_E_clIS8_S8_S9_S9_EEDaSX_SY_SE_SJ_EUlSX_E_NS1_11comp_targetILNS1_3genE4ELNS1_11target_archE910ELNS1_3gpuE8ELNS1_3repE0EEENS1_47radix_sort_onesweep_sort_config_static_selectorELNS0_4arch9wavefront6targetE1EEEvSE_
	.p2align	8
	.type	_ZN7rocprim17ROCPRIM_400000_NS6detail17trampoline_kernelINS0_14default_configENS1_35radix_sort_onesweep_config_selectorIlNS0_10empty_typeEEEZZNS1_29radix_sort_onesweep_iterationIS3_Lb0EPlS8_PS5_S9_mNS0_19identity_decomposerENS1_16block_id_wrapperIjLb1EEEEE10hipError_tT1_PNSt15iterator_traitsISE_E10value_typeET2_T3_PNSF_ISK_E10value_typeET4_T5_PSP_SQ_PNS1_23onesweep_lookback_stateEbbT6_jjT7_P12ihipStream_tbENKUlT_T0_SE_SJ_E_clIS8_S8_S9_S9_EEDaSX_SY_SE_SJ_EUlSX_E_NS1_11comp_targetILNS1_3genE4ELNS1_11target_archE910ELNS1_3gpuE8ELNS1_3repE0EEENS1_47radix_sort_onesweep_sort_config_static_selectorELNS0_4arch9wavefront6targetE1EEEvSE_,@function
_ZN7rocprim17ROCPRIM_400000_NS6detail17trampoline_kernelINS0_14default_configENS1_35radix_sort_onesweep_config_selectorIlNS0_10empty_typeEEEZZNS1_29radix_sort_onesweep_iterationIS3_Lb0EPlS8_PS5_S9_mNS0_19identity_decomposerENS1_16block_id_wrapperIjLb1EEEEE10hipError_tT1_PNSt15iterator_traitsISE_E10value_typeET2_T3_PNSF_ISK_E10value_typeET4_T5_PSP_SQ_PNS1_23onesweep_lookback_stateEbbT6_jjT7_P12ihipStream_tbENKUlT_T0_SE_SJ_E_clIS8_S8_S9_S9_EEDaSX_SY_SE_SJ_EUlSX_E_NS1_11comp_targetILNS1_3genE4ELNS1_11target_archE910ELNS1_3gpuE8ELNS1_3repE0EEENS1_47radix_sort_onesweep_sort_config_static_selectorELNS0_4arch9wavefront6targetE1EEEvSE_: ; @_ZN7rocprim17ROCPRIM_400000_NS6detail17trampoline_kernelINS0_14default_configENS1_35radix_sort_onesweep_config_selectorIlNS0_10empty_typeEEEZZNS1_29radix_sort_onesweep_iterationIS3_Lb0EPlS8_PS5_S9_mNS0_19identity_decomposerENS1_16block_id_wrapperIjLb1EEEEE10hipError_tT1_PNSt15iterator_traitsISE_E10value_typeET2_T3_PNSF_ISK_E10value_typeET4_T5_PSP_SQ_PNS1_23onesweep_lookback_stateEbbT6_jjT7_P12ihipStream_tbENKUlT_T0_SE_SJ_E_clIS8_S8_S9_S9_EEDaSX_SY_SE_SJ_EUlSX_E_NS1_11comp_targetILNS1_3genE4ELNS1_11target_archE910ELNS1_3gpuE8ELNS1_3repE0EEENS1_47radix_sort_onesweep_sort_config_static_selectorELNS0_4arch9wavefront6targetE1EEEvSE_
; %bb.0:
	s_load_dwordx4 s[16:19], s[4:5], 0x28
	s_load_dwordx2 s[14:15], s[4:5], 0x38
	s_load_dwordx4 s[20:23], s[4:5], 0x44
	v_and_b32_e32 v2, 0x3ff, v0
	v_cmp_eq_u32_e64 s[0:1], 0, v2
	s_and_saveexec_b64 s[2:3], s[0:1]
	s_cbranch_execz .LBB874_4
; %bb.1:
	s_mov_b64 s[10:11], exec
	v_mbcnt_lo_u32_b32 v1, s10, 0
	v_mbcnt_hi_u32_b32 v1, s11, v1
	v_cmp_eq_u32_e32 vcc, 0, v1
                                        ; implicit-def: $vgpr3
	s_and_saveexec_b64 s[8:9], vcc
	s_cbranch_execz .LBB874_3
; %bb.2:
	s_load_dwordx2 s[12:13], s[4:5], 0x50
	s_bcnt1_i32_b64 s7, s[10:11]
	v_mov_b32_e32 v3, 0
	v_mov_b32_e32 v4, s7
	s_waitcnt lgkmcnt(0)
	global_atomic_add v3, v3, v4, s[12:13] glc
.LBB874_3:
	s_or_b64 exec, exec, s[8:9]
	s_waitcnt vmcnt(0)
	v_readfirstlane_b32 s7, v3
	v_add_u32_e32 v1, s7, v1
	v_mov_b32_e32 v3, 0
	ds_write_b32 v3, v1 offset:20544
.LBB874_4:
	s_or_b64 exec, exec, s[2:3]
	v_mov_b32_e32 v1, 0
	s_load_dwordx4 s[24:27], s[4:5], 0x0
	s_load_dword s2, s[4:5], 0x20
	s_waitcnt lgkmcnt(0)
	s_barrier
	ds_read_b32 v1, v1 offset:20544
	v_mbcnt_lo_u32_b32 v29, -1, 0
	v_lshlrev_b32_e32 v28, 3, v2
	s_waitcnt lgkmcnt(0)
	s_barrier
	v_cmp_le_u32_e32 vcc, s22, v1
	v_readfirstlane_b32 s28, v1
	s_cbranch_vccz .LBB874_65
; %bb.5:
	s_lshl_b32 s3, s22, 13
	s_sub_i32 s7, s2, s3
	s_lshl_b32 s2, s28, 13
	s_mov_b32 s3, 0
	s_lshl_b64 s[2:3], s[2:3], 3
	v_mbcnt_hi_u32_b32 v1, -1, v29
	s_add_u32 s8, s24, s2
	v_and_b32_e32 v3, 63, v1
	s_addc_u32 s9, s25, s3
	v_lshlrev_b32_e32 v5, 3, v3
	v_and_b32_e32 v4, 0x1e00, v28
	v_mov_b32_e32 v6, s9
	v_add_co_u32_e32 v5, vcc, s8, v5
	v_addc_co_u32_e32 v6, vcc, 0, v6, vcc
	v_lshlrev_b32_e32 v7, 3, v4
	s_mov_b32 s2, -1
	v_add_co_u32_e32 v20, vcc, v5, v7
	s_brev_b32 s3, -2
	v_addc_co_u32_e32 v21, vcc, 0, v6, vcc
	v_or_b32_e32 v3, v3, v4
	v_cmp_gt_u32_e32 vcc, s7, v3
	v_pk_mov_b32 v[4:5], s[2:3], s[2:3] op_sel:[0,1]
	s_and_saveexec_b64 s[8:9], vcc
	s_cbranch_execz .LBB874_7
; %bb.6:
	global_load_dwordx2 v[4:5], v[20:21], off
.LBB874_7:
	s_or_b64 exec, exec, s[8:9]
	v_or_b32_e32 v6, 64, v3
	v_cmp_gt_u32_e32 vcc, s7, v6
	v_pk_mov_b32 v[6:7], s[2:3], s[2:3] op_sel:[0,1]
	s_and_saveexec_b64 s[2:3], vcc
	s_cbranch_execz .LBB874_9
; %bb.8:
	global_load_dwordx2 v[6:7], v[20:21], off offset:512
.LBB874_9:
	s_or_b64 exec, exec, s[2:3]
	s_mov_b32 s2, -1
	v_or_b32_e32 v8, 0x80, v3
	s_brev_b32 s3, -2
	v_cmp_gt_u32_e32 vcc, s7, v8
	v_pk_mov_b32 v[8:9], s[2:3], s[2:3] op_sel:[0,1]
	s_and_saveexec_b64 s[8:9], vcc
	s_cbranch_execz .LBB874_11
; %bb.10:
	global_load_dwordx2 v[8:9], v[20:21], off offset:1024
.LBB874_11:
	s_or_b64 exec, exec, s[8:9]
	v_or_b32_e32 v10, 0xc0, v3
	v_cmp_gt_u32_e32 vcc, s7, v10
	v_pk_mov_b32 v[10:11], s[2:3], s[2:3] op_sel:[0,1]
	s_and_saveexec_b64 s[2:3], vcc
	s_cbranch_execz .LBB874_13
; %bb.12:
	global_load_dwordx2 v[10:11], v[20:21], off offset:1536
.LBB874_13:
	s_or_b64 exec, exec, s[2:3]
	s_mov_b32 s2, -1
	v_or_b32_e32 v12, 0x100, v3
	s_brev_b32 s3, -2
	v_cmp_gt_u32_e32 vcc, s7, v12
	v_pk_mov_b32 v[12:13], s[2:3], s[2:3] op_sel:[0,1]
	s_and_saveexec_b64 s[8:9], vcc
	s_cbranch_execz .LBB874_15
; %bb.14:
	global_load_dwordx2 v[12:13], v[20:21], off offset:2048
.LBB874_15:
	;; [unrolled: 20-line block ×3, first 2 shown]
	s_or_b64 exec, exec, s[8:9]
	v_or_b32_e32 v3, 0x1c0, v3
	v_cmp_gt_u32_e32 vcc, s7, v3
	v_pk_mov_b32 v[18:19], s[2:3], s[2:3] op_sel:[0,1]
	s_and_saveexec_b64 s[2:3], vcc
	s_cbranch_execz .LBB874_21
; %bb.20:
	global_load_dwordx2 v[18:19], v[20:21], off offset:3584
.LBB874_21:
	s_or_b64 exec, exec, s[2:3]
	s_load_dword s2, s[4:5], 0x64
	s_load_dword s29, s[4:5], 0x58
	s_add_u32 s3, s4, 0x58
	s_addc_u32 s8, s5, 0
	v_mov_b32_e32 v20, 0
	s_waitcnt lgkmcnt(0)
	s_lshr_b32 s9, s2, 16
	s_cmp_lt_u32 s6, s29
	s_cselect_b32 s2, 12, 18
	s_add_u32 s2, s3, s2
	s_addc_u32 s3, s8, 0
	global_load_ushort v24, v20, s[2:3]
	s_waitcnt vmcnt(1)
	v_xor_b32_e32 v5, 0x80000000, v5
	s_lshl_b32 s2, -1, s21
	v_lshrrev_b64 v[22:23], s20, v[4:5]
	s_not_b32 s30, s2
	v_and_b32_e32 v22, s30, v22
	v_and_b32_e32 v26, 1, v22
	v_bfe_u32 v21, v0, 10, 10
	v_bfe_u32 v25, v0, 20, 10
	v_add_co_u32_e32 v27, vcc, -1, v26
	v_mad_u32_u24 v23, v25, s9, v21
	v_lshlrev_b32_e32 v21, 30, v22
	v_addc_co_u32_e64 v30, s[2:3], 0, -1, vcc
	v_cmp_ne_u32_e32 vcc, 0, v26
	v_cmp_gt_i64_e64 s[2:3], 0, v[20:21]
	v_not_b32_e32 v26, v21
	v_lshlrev_b32_e32 v21, 29, v22
	v_xor_b32_e32 v30, vcc_hi, v30
	v_xor_b32_e32 v27, vcc_lo, v27
	v_ashrrev_i32_e32 v26, 31, v26
	v_cmp_gt_i64_e32 vcc, 0, v[20:21]
	v_not_b32_e32 v31, v21
	v_lshlrev_b32_e32 v21, 28, v22
	v_and_b32_e32 v30, exec_hi, v30
	v_and_b32_e32 v27, exec_lo, v27
	v_xor_b32_e32 v32, s3, v26
	v_xor_b32_e32 v26, s2, v26
	v_ashrrev_i32_e32 v31, 31, v31
	v_cmp_gt_i64_e64 s[2:3], 0, v[20:21]
	v_not_b32_e32 v33, v21
	v_lshlrev_b32_e32 v21, 27, v22
	v_and_b32_e32 v30, v30, v32
	v_and_b32_e32 v26, v27, v26
	v_xor_b32_e32 v27, vcc_hi, v31
	v_xor_b32_e32 v31, vcc_lo, v31
	v_ashrrev_i32_e32 v32, 31, v33
	v_cmp_gt_i64_e32 vcc, 0, v[20:21]
	v_not_b32_e32 v33, v21
	v_lshlrev_b32_e32 v21, 26, v22
	v_and_b32_e32 v27, v30, v27
	v_and_b32_e32 v26, v26, v31
	v_xor_b32_e32 v30, s3, v32
	v_xor_b32_e32 v31, s2, v32
	v_ashrrev_i32_e32 v32, 31, v33
	v_cmp_gt_i64_e64 s[2:3], 0, v[20:21]
	v_not_b32_e32 v33, v21
	v_lshlrev_b32_e32 v21, 25, v22
	v_and_b32_e32 v27, v27, v30
	v_and_b32_e32 v26, v26, v31
	v_xor_b32_e32 v30, vcc_hi, v32
	v_xor_b32_e32 v31, vcc_lo, v32
	v_ashrrev_i32_e32 v32, 31, v33
	v_not_b32_e32 v33, v21
	v_mul_u32_u24_e32 v3, 5, v2
	v_lshl_add_u32 v25, v22, 4, v22
	v_cmp_gt_i64_e32 vcc, 0, v[20:21]
	v_lshlrev_b32_e32 v21, 24, v22
	v_and_b32_e32 v22, v27, v30
	v_and_b32_e32 v26, v26, v31
	v_xor_b32_e32 v27, s3, v32
	v_ashrrev_i32_e32 v31, 31, v33
	v_lshlrev_b32_e32 v3, 2, v3
	v_xor_b32_e32 v30, s2, v32
	v_cmp_gt_i64_e64 s[2:3], 0, v[20:21]
	v_not_b32_e32 v21, v21
	v_and_b32_e32 v22, v22, v27
	v_xor_b32_e32 v27, vcc_hi, v31
	v_and_b32_e32 v26, v26, v30
	v_xor_b32_e32 v30, vcc_lo, v31
	v_and_b32_e32 v31, v22, v27
	v_ashrrev_i32_e32 v21, 31, v21
	v_and_b32_e32 v26, v26, v30
	ds_write2_b32 v3, v20, v20 offset0:16 offset1:17
	ds_write2_b32 v3, v20, v20 offset0:18 offset1:19
	ds_write_b32 v3, v20 offset:80
	s_waitcnt lgkmcnt(0)
	s_barrier
	s_waitcnt lgkmcnt(0)
	; wave barrier
	s_waitcnt vmcnt(0)
	v_mad_u64_u32 v[22:23], s[8:9], v23, v24, v[2:3]
	v_lshrrev_b32_e32 v27, 6, v22
	v_xor_b32_e32 v22, s3, v21
	v_xor_b32_e32 v21, s2, v21
	v_and_b32_e32 v23, v31, v22
	v_and_b32_e32 v22, v26, v21
	v_mbcnt_lo_u32_b32 v21, v22, 0
	v_mbcnt_hi_u32_b32 v30, v23, v21
	v_cmp_eq_u32_e32 vcc, 0, v30
	v_cmp_ne_u64_e64 s[2:3], 0, v[22:23]
	v_add_lshl_u32 v24, v27, v25, 2
	s_and_b64 s[8:9], s[2:3], vcc
	s_and_saveexec_b64 s[2:3], s[8:9]
	s_cbranch_execz .LBB874_23
; %bb.22:
	v_bcnt_u32_b32 v21, v22, 0
	v_bcnt_u32_b32 v21, v23, v21
	ds_write_b32 v24, v21 offset:64
.LBB874_23:
	s_or_b64 exec, exec, s[2:3]
	v_xor_b32_e32 v7, 0x80000000, v7
	v_lshrrev_b64 v[22:23], s20, v[6:7]
	v_and_b32_e32 v22, s30, v22
	v_lshl_add_u32 v21, v22, 4, v22
	v_add_lshl_u32 v25, v27, v21, 2
	v_and_b32_e32 v21, 1, v22
	v_add_co_u32_e32 v23, vcc, -1, v21
	v_addc_co_u32_e64 v26, s[2:3], 0, -1, vcc
	v_cmp_ne_u32_e32 vcc, 0, v21
	v_xor_b32_e32 v21, vcc_hi, v26
	v_and_b32_e32 v26, exec_hi, v21
	v_lshlrev_b32_e32 v21, 30, v22
	v_xor_b32_e32 v23, vcc_lo, v23
	v_cmp_gt_i64_e32 vcc, 0, v[20:21]
	v_not_b32_e32 v21, v21
	v_ashrrev_i32_e32 v21, 31, v21
	v_and_b32_e32 v23, exec_lo, v23
	v_xor_b32_e32 v32, vcc_hi, v21
	v_xor_b32_e32 v21, vcc_lo, v21
	v_and_b32_e32 v23, v23, v21
	v_lshlrev_b32_e32 v21, 29, v22
	v_cmp_gt_i64_e32 vcc, 0, v[20:21]
	v_not_b32_e32 v21, v21
	v_ashrrev_i32_e32 v21, 31, v21
	v_and_b32_e32 v26, v26, v32
	v_xor_b32_e32 v32, vcc_hi, v21
	v_xor_b32_e32 v21, vcc_lo, v21
	v_and_b32_e32 v23, v23, v21
	v_lshlrev_b32_e32 v21, 28, v22
	v_cmp_gt_i64_e32 vcc, 0, v[20:21]
	v_not_b32_e32 v21, v21
	v_ashrrev_i32_e32 v21, 31, v21
	v_and_b32_e32 v26, v26, v32
	;; [unrolled: 8-line block ×5, first 2 shown]
	v_xor_b32_e32 v32, vcc_hi, v21
	v_xor_b32_e32 v21, vcc_lo, v21
	v_and_b32_e32 v23, v23, v21
	v_lshlrev_b32_e32 v21, 24, v22
	v_cmp_gt_i64_e32 vcc, 0, v[20:21]
	v_not_b32_e32 v20, v21
	v_ashrrev_i32_e32 v20, 31, v20
	v_xor_b32_e32 v21, vcc_hi, v20
	v_xor_b32_e32 v20, vcc_lo, v20
	; wave barrier
	ds_read_b32 v31, v25 offset:64
	v_and_b32_e32 v26, v26, v32
	v_and_b32_e32 v20, v23, v20
	;; [unrolled: 1-line block ×3, first 2 shown]
	v_mbcnt_lo_u32_b32 v22, v20, 0
	v_mbcnt_hi_u32_b32 v32, v21, v22
	v_cmp_eq_u32_e32 vcc, 0, v32
	v_cmp_ne_u64_e64 s[2:3], 0, v[20:21]
	s_and_b64 s[8:9], s[2:3], vcc
	; wave barrier
	s_and_saveexec_b64 s[2:3], s[8:9]
	s_cbranch_execz .LBB874_25
; %bb.24:
	v_bcnt_u32_b32 v20, v20, 0
	v_bcnt_u32_b32 v20, v21, v20
	s_waitcnt lgkmcnt(0)
	v_add_u32_e32 v20, v31, v20
	ds_write_b32 v25, v20 offset:64
.LBB874_25:
	s_or_b64 exec, exec, s[2:3]
	v_xor_b32_e32 v9, 0x80000000, v9
	v_lshrrev_b64 v[20:21], s20, v[8:9]
	v_and_b32_e32 v22, s30, v20
	v_and_b32_e32 v21, 1, v22
	v_add_co_u32_e32 v23, vcc, -1, v21
	v_addc_co_u32_e64 v34, s[2:3], 0, -1, vcc
	v_cmp_ne_u32_e32 vcc, 0, v21
	v_lshl_add_u32 v20, v22, 4, v22
	v_xor_b32_e32 v21, vcc_hi, v34
	v_add_lshl_u32 v26, v27, v20, 2
	v_mov_b32_e32 v20, 0
	v_and_b32_e32 v34, exec_hi, v21
	v_lshlrev_b32_e32 v21, 30, v22
	v_xor_b32_e32 v23, vcc_lo, v23
	v_cmp_gt_i64_e32 vcc, 0, v[20:21]
	v_not_b32_e32 v21, v21
	v_ashrrev_i32_e32 v21, 31, v21
	v_and_b32_e32 v23, exec_lo, v23
	v_xor_b32_e32 v35, vcc_hi, v21
	v_xor_b32_e32 v21, vcc_lo, v21
	v_and_b32_e32 v23, v23, v21
	v_lshlrev_b32_e32 v21, 29, v22
	v_cmp_gt_i64_e32 vcc, 0, v[20:21]
	v_not_b32_e32 v21, v21
	v_ashrrev_i32_e32 v21, 31, v21
	v_and_b32_e32 v34, v34, v35
	v_xor_b32_e32 v35, vcc_hi, v21
	v_xor_b32_e32 v21, vcc_lo, v21
	v_and_b32_e32 v23, v23, v21
	v_lshlrev_b32_e32 v21, 28, v22
	v_cmp_gt_i64_e32 vcc, 0, v[20:21]
	v_not_b32_e32 v21, v21
	v_ashrrev_i32_e32 v21, 31, v21
	v_and_b32_e32 v34, v34, v35
	;; [unrolled: 8-line block ×5, first 2 shown]
	v_xor_b32_e32 v35, vcc_hi, v21
	v_xor_b32_e32 v21, vcc_lo, v21
	v_and_b32_e32 v34, v34, v35
	v_and_b32_e32 v35, v23, v21
	v_lshlrev_b32_e32 v21, 24, v22
	v_cmp_gt_i64_e32 vcc, 0, v[20:21]
	v_not_b32_e32 v21, v21
	v_ashrrev_i32_e32 v21, 31, v21
	v_xor_b32_e32 v22, vcc_hi, v21
	v_xor_b32_e32 v21, vcc_lo, v21
	; wave barrier
	ds_read_b32 v33, v26 offset:64
	v_and_b32_e32 v23, v34, v22
	v_and_b32_e32 v22, v35, v21
	v_mbcnt_lo_u32_b32 v21, v22, 0
	v_mbcnt_hi_u32_b32 v34, v23, v21
	v_cmp_eq_u32_e32 vcc, 0, v34
	v_cmp_ne_u64_e64 s[2:3], 0, v[22:23]
	s_and_b64 s[8:9], s[2:3], vcc
	; wave barrier
	s_and_saveexec_b64 s[2:3], s[8:9]
	s_cbranch_execz .LBB874_27
; %bb.26:
	v_bcnt_u32_b32 v21, v22, 0
	v_bcnt_u32_b32 v21, v23, v21
	s_waitcnt lgkmcnt(0)
	v_add_u32_e32 v21, v33, v21
	ds_write_b32 v26, v21 offset:64
.LBB874_27:
	s_or_b64 exec, exec, s[2:3]
	v_xor_b32_e32 v11, 0x80000000, v11
	v_lshrrev_b64 v[22:23], s20, v[10:11]
	v_and_b32_e32 v22, s30, v22
	v_lshl_add_u32 v21, v22, 4, v22
	v_add_lshl_u32 v38, v27, v21, 2
	v_and_b32_e32 v21, 1, v22
	v_add_co_u32_e32 v23, vcc, -1, v21
	v_addc_co_u32_e64 v36, s[2:3], 0, -1, vcc
	v_cmp_ne_u32_e32 vcc, 0, v21
	v_xor_b32_e32 v21, vcc_hi, v36
	v_and_b32_e32 v36, exec_hi, v21
	v_lshlrev_b32_e32 v21, 30, v22
	v_xor_b32_e32 v23, vcc_lo, v23
	v_cmp_gt_i64_e32 vcc, 0, v[20:21]
	v_not_b32_e32 v21, v21
	v_ashrrev_i32_e32 v21, 31, v21
	v_and_b32_e32 v23, exec_lo, v23
	v_xor_b32_e32 v37, vcc_hi, v21
	v_xor_b32_e32 v21, vcc_lo, v21
	v_and_b32_e32 v23, v23, v21
	v_lshlrev_b32_e32 v21, 29, v22
	v_cmp_gt_i64_e32 vcc, 0, v[20:21]
	v_not_b32_e32 v21, v21
	v_ashrrev_i32_e32 v21, 31, v21
	v_and_b32_e32 v36, v36, v37
	v_xor_b32_e32 v37, vcc_hi, v21
	v_xor_b32_e32 v21, vcc_lo, v21
	v_and_b32_e32 v23, v23, v21
	v_lshlrev_b32_e32 v21, 28, v22
	v_cmp_gt_i64_e32 vcc, 0, v[20:21]
	v_not_b32_e32 v21, v21
	v_ashrrev_i32_e32 v21, 31, v21
	v_and_b32_e32 v36, v36, v37
	;; [unrolled: 8-line block ×5, first 2 shown]
	v_xor_b32_e32 v37, vcc_hi, v21
	v_xor_b32_e32 v21, vcc_lo, v21
	v_and_b32_e32 v23, v23, v21
	v_lshlrev_b32_e32 v21, 24, v22
	v_cmp_gt_i64_e32 vcc, 0, v[20:21]
	v_not_b32_e32 v20, v21
	v_ashrrev_i32_e32 v20, 31, v20
	v_xor_b32_e32 v21, vcc_hi, v20
	v_xor_b32_e32 v20, vcc_lo, v20
	; wave barrier
	ds_read_b32 v35, v38 offset:64
	v_and_b32_e32 v36, v36, v37
	v_and_b32_e32 v20, v23, v20
	;; [unrolled: 1-line block ×3, first 2 shown]
	v_mbcnt_lo_u32_b32 v22, v20, 0
	v_mbcnt_hi_u32_b32 v36, v21, v22
	v_cmp_eq_u32_e32 vcc, 0, v36
	v_cmp_ne_u64_e64 s[2:3], 0, v[20:21]
	s_and_b64 s[8:9], s[2:3], vcc
	; wave barrier
	s_and_saveexec_b64 s[2:3], s[8:9]
	s_cbranch_execz .LBB874_29
; %bb.28:
	v_bcnt_u32_b32 v20, v20, 0
	v_bcnt_u32_b32 v20, v21, v20
	s_waitcnt lgkmcnt(0)
	v_add_u32_e32 v20, v35, v20
	ds_write_b32 v38, v20 offset:64
.LBB874_29:
	s_or_b64 exec, exec, s[2:3]
	v_xor_b32_e32 v13, 0x80000000, v13
	v_lshrrev_b64 v[20:21], s20, v[12:13]
	v_and_b32_e32 v22, s30, v20
	v_and_b32_e32 v21, 1, v22
	v_add_co_u32_e32 v23, vcc, -1, v21
	v_addc_co_u32_e64 v39, s[2:3], 0, -1, vcc
	v_cmp_ne_u32_e32 vcc, 0, v21
	v_lshl_add_u32 v20, v22, 4, v22
	v_xor_b32_e32 v21, vcc_hi, v39
	v_add_lshl_u32 v42, v27, v20, 2
	v_mov_b32_e32 v20, 0
	v_and_b32_e32 v39, exec_hi, v21
	v_lshlrev_b32_e32 v21, 30, v22
	v_xor_b32_e32 v23, vcc_lo, v23
	v_cmp_gt_i64_e32 vcc, 0, v[20:21]
	v_not_b32_e32 v21, v21
	v_ashrrev_i32_e32 v21, 31, v21
	v_and_b32_e32 v23, exec_lo, v23
	v_xor_b32_e32 v40, vcc_hi, v21
	v_xor_b32_e32 v21, vcc_lo, v21
	v_and_b32_e32 v23, v23, v21
	v_lshlrev_b32_e32 v21, 29, v22
	v_cmp_gt_i64_e32 vcc, 0, v[20:21]
	v_not_b32_e32 v21, v21
	v_ashrrev_i32_e32 v21, 31, v21
	v_and_b32_e32 v39, v39, v40
	v_xor_b32_e32 v40, vcc_hi, v21
	v_xor_b32_e32 v21, vcc_lo, v21
	v_and_b32_e32 v23, v23, v21
	v_lshlrev_b32_e32 v21, 28, v22
	v_cmp_gt_i64_e32 vcc, 0, v[20:21]
	v_not_b32_e32 v21, v21
	v_ashrrev_i32_e32 v21, 31, v21
	v_and_b32_e32 v39, v39, v40
	;; [unrolled: 8-line block ×5, first 2 shown]
	v_xor_b32_e32 v40, vcc_hi, v21
	v_xor_b32_e32 v21, vcc_lo, v21
	v_and_b32_e32 v39, v39, v40
	v_and_b32_e32 v40, v23, v21
	v_lshlrev_b32_e32 v21, 24, v22
	v_cmp_gt_i64_e32 vcc, 0, v[20:21]
	v_not_b32_e32 v21, v21
	v_ashrrev_i32_e32 v21, 31, v21
	v_xor_b32_e32 v22, vcc_hi, v21
	v_xor_b32_e32 v21, vcc_lo, v21
	; wave barrier
	ds_read_b32 v37, v42 offset:64
	v_and_b32_e32 v23, v39, v22
	v_and_b32_e32 v22, v40, v21
	v_mbcnt_lo_u32_b32 v21, v22, 0
	v_mbcnt_hi_u32_b32 v39, v23, v21
	v_cmp_eq_u32_e32 vcc, 0, v39
	v_cmp_ne_u64_e64 s[2:3], 0, v[22:23]
	s_and_b64 s[8:9], s[2:3], vcc
	; wave barrier
	s_and_saveexec_b64 s[2:3], s[8:9]
	s_cbranch_execz .LBB874_31
; %bb.30:
	v_bcnt_u32_b32 v21, v22, 0
	v_bcnt_u32_b32 v21, v23, v21
	s_waitcnt lgkmcnt(0)
	v_add_u32_e32 v21, v37, v21
	ds_write_b32 v42, v21 offset:64
.LBB874_31:
	s_or_b64 exec, exec, s[2:3]
	v_xor_b32_e32 v15, 0x80000000, v15
	v_lshrrev_b64 v[22:23], s20, v[14:15]
	v_and_b32_e32 v22, s30, v22
	v_lshl_add_u32 v21, v22, 4, v22
	v_add_lshl_u32 v45, v27, v21, 2
	v_and_b32_e32 v21, 1, v22
	v_add_co_u32_e32 v23, vcc, -1, v21
	v_addc_co_u32_e64 v41, s[2:3], 0, -1, vcc
	v_cmp_ne_u32_e32 vcc, 0, v21
	v_xor_b32_e32 v21, vcc_hi, v41
	v_and_b32_e32 v41, exec_hi, v21
	v_lshlrev_b32_e32 v21, 30, v22
	v_xor_b32_e32 v23, vcc_lo, v23
	v_cmp_gt_i64_e32 vcc, 0, v[20:21]
	v_not_b32_e32 v21, v21
	v_ashrrev_i32_e32 v21, 31, v21
	v_and_b32_e32 v23, exec_lo, v23
	v_xor_b32_e32 v43, vcc_hi, v21
	v_xor_b32_e32 v21, vcc_lo, v21
	v_and_b32_e32 v23, v23, v21
	v_lshlrev_b32_e32 v21, 29, v22
	v_cmp_gt_i64_e32 vcc, 0, v[20:21]
	v_not_b32_e32 v21, v21
	v_ashrrev_i32_e32 v21, 31, v21
	v_and_b32_e32 v41, v41, v43
	v_xor_b32_e32 v43, vcc_hi, v21
	v_xor_b32_e32 v21, vcc_lo, v21
	v_and_b32_e32 v23, v23, v21
	v_lshlrev_b32_e32 v21, 28, v22
	v_cmp_gt_i64_e32 vcc, 0, v[20:21]
	v_not_b32_e32 v21, v21
	v_ashrrev_i32_e32 v21, 31, v21
	v_and_b32_e32 v41, v41, v43
	;; [unrolled: 8-line block ×5, first 2 shown]
	v_xor_b32_e32 v43, vcc_hi, v21
	v_xor_b32_e32 v21, vcc_lo, v21
	v_and_b32_e32 v23, v23, v21
	v_lshlrev_b32_e32 v21, 24, v22
	v_cmp_gt_i64_e32 vcc, 0, v[20:21]
	v_not_b32_e32 v20, v21
	v_ashrrev_i32_e32 v20, 31, v20
	v_xor_b32_e32 v21, vcc_hi, v20
	v_xor_b32_e32 v20, vcc_lo, v20
	; wave barrier
	ds_read_b32 v40, v45 offset:64
	v_and_b32_e32 v41, v41, v43
	v_and_b32_e32 v20, v23, v20
	v_and_b32_e32 v21, v41, v21
	v_mbcnt_lo_u32_b32 v22, v20, 0
	v_mbcnt_hi_u32_b32 v41, v21, v22
	v_cmp_eq_u32_e32 vcc, 0, v41
	v_cmp_ne_u64_e64 s[2:3], 0, v[20:21]
	s_and_b64 s[8:9], s[2:3], vcc
	; wave barrier
	s_and_saveexec_b64 s[2:3], s[8:9]
	s_cbranch_execz .LBB874_33
; %bb.32:
	v_bcnt_u32_b32 v20, v20, 0
	v_bcnt_u32_b32 v20, v21, v20
	s_waitcnt lgkmcnt(0)
	v_add_u32_e32 v20, v40, v20
	ds_write_b32 v45, v20 offset:64
.LBB874_33:
	s_or_b64 exec, exec, s[2:3]
	v_xor_b32_e32 v17, 0x80000000, v17
	v_lshrrev_b64 v[20:21], s20, v[16:17]
	v_and_b32_e32 v22, s30, v20
	v_and_b32_e32 v21, 1, v22
	v_add_co_u32_e32 v23, vcc, -1, v21
	v_addc_co_u32_e64 v44, s[2:3], 0, -1, vcc
	v_cmp_ne_u32_e32 vcc, 0, v21
	v_lshl_add_u32 v20, v22, 4, v22
	v_xor_b32_e32 v21, vcc_hi, v44
	v_add_lshl_u32 v47, v27, v20, 2
	v_mov_b32_e32 v20, 0
	v_and_b32_e32 v44, exec_hi, v21
	v_lshlrev_b32_e32 v21, 30, v22
	v_xor_b32_e32 v23, vcc_lo, v23
	v_cmp_gt_i64_e32 vcc, 0, v[20:21]
	v_not_b32_e32 v21, v21
	v_ashrrev_i32_e32 v21, 31, v21
	v_and_b32_e32 v23, exec_lo, v23
	v_xor_b32_e32 v46, vcc_hi, v21
	v_xor_b32_e32 v21, vcc_lo, v21
	v_and_b32_e32 v23, v23, v21
	v_lshlrev_b32_e32 v21, 29, v22
	v_cmp_gt_i64_e32 vcc, 0, v[20:21]
	v_not_b32_e32 v21, v21
	v_ashrrev_i32_e32 v21, 31, v21
	v_and_b32_e32 v44, v44, v46
	v_xor_b32_e32 v46, vcc_hi, v21
	v_xor_b32_e32 v21, vcc_lo, v21
	v_and_b32_e32 v23, v23, v21
	v_lshlrev_b32_e32 v21, 28, v22
	v_cmp_gt_i64_e32 vcc, 0, v[20:21]
	v_not_b32_e32 v21, v21
	v_ashrrev_i32_e32 v21, 31, v21
	v_and_b32_e32 v44, v44, v46
	;; [unrolled: 8-line block ×5, first 2 shown]
	v_xor_b32_e32 v46, vcc_hi, v21
	v_xor_b32_e32 v21, vcc_lo, v21
	v_and_b32_e32 v44, v44, v46
	v_and_b32_e32 v46, v23, v21
	v_lshlrev_b32_e32 v21, 24, v22
	v_cmp_gt_i64_e32 vcc, 0, v[20:21]
	v_not_b32_e32 v21, v21
	v_ashrrev_i32_e32 v21, 31, v21
	v_xor_b32_e32 v22, vcc_hi, v21
	v_xor_b32_e32 v21, vcc_lo, v21
	; wave barrier
	ds_read_b32 v43, v47 offset:64
	v_and_b32_e32 v23, v44, v22
	v_and_b32_e32 v22, v46, v21
	v_mbcnt_lo_u32_b32 v21, v22, 0
	v_mbcnt_hi_u32_b32 v44, v23, v21
	v_cmp_eq_u32_e32 vcc, 0, v44
	v_cmp_ne_u64_e64 s[2:3], 0, v[22:23]
	s_and_b64 s[8:9], s[2:3], vcc
	; wave barrier
	s_and_saveexec_b64 s[2:3], s[8:9]
	s_cbranch_execz .LBB874_35
; %bb.34:
	v_bcnt_u32_b32 v21, v22, 0
	v_bcnt_u32_b32 v21, v23, v21
	s_waitcnt lgkmcnt(0)
	v_add_u32_e32 v21, v43, v21
	ds_write_b32 v47, v21 offset:64
.LBB874_35:
	s_or_b64 exec, exec, s[2:3]
	v_xor_b32_e32 v19, 0x80000000, v19
	v_lshrrev_b64 v[22:23], s20, v[18:19]
	v_and_b32_e32 v22, s30, v22
	v_lshl_add_u32 v21, v22, 4, v22
	v_add_lshl_u32 v27, v27, v21, 2
	v_and_b32_e32 v21, 1, v22
	v_add_co_u32_e32 v23, vcc, -1, v21
	v_addc_co_u32_e64 v48, s[2:3], 0, -1, vcc
	v_cmp_ne_u32_e32 vcc, 0, v21
	v_xor_b32_e32 v21, vcc_hi, v48
	v_and_b32_e32 v48, exec_hi, v21
	v_lshlrev_b32_e32 v21, 30, v22
	v_xor_b32_e32 v23, vcc_lo, v23
	v_cmp_gt_i64_e32 vcc, 0, v[20:21]
	v_not_b32_e32 v21, v21
	v_ashrrev_i32_e32 v21, 31, v21
	v_and_b32_e32 v23, exec_lo, v23
	v_xor_b32_e32 v50, vcc_hi, v21
	v_xor_b32_e32 v21, vcc_lo, v21
	v_and_b32_e32 v23, v23, v21
	v_lshlrev_b32_e32 v21, 29, v22
	v_cmp_gt_i64_e32 vcc, 0, v[20:21]
	v_not_b32_e32 v21, v21
	v_ashrrev_i32_e32 v21, 31, v21
	v_and_b32_e32 v48, v48, v50
	v_xor_b32_e32 v50, vcc_hi, v21
	v_xor_b32_e32 v21, vcc_lo, v21
	v_and_b32_e32 v23, v23, v21
	v_lshlrev_b32_e32 v21, 28, v22
	v_cmp_gt_i64_e32 vcc, 0, v[20:21]
	v_not_b32_e32 v21, v21
	v_ashrrev_i32_e32 v21, 31, v21
	v_and_b32_e32 v48, v48, v50
	;; [unrolled: 8-line block ×5, first 2 shown]
	v_xor_b32_e32 v50, vcc_hi, v21
	v_xor_b32_e32 v21, vcc_lo, v21
	v_and_b32_e32 v23, v23, v21
	v_lshlrev_b32_e32 v21, 24, v22
	v_cmp_gt_i64_e32 vcc, 0, v[20:21]
	v_not_b32_e32 v20, v21
	v_ashrrev_i32_e32 v20, 31, v20
	v_xor_b32_e32 v21, vcc_hi, v20
	v_xor_b32_e32 v20, vcc_lo, v20
	; wave barrier
	ds_read_b32 v46, v27 offset:64
	v_and_b32_e32 v48, v48, v50
	v_and_b32_e32 v20, v23, v20
	;; [unrolled: 1-line block ×3, first 2 shown]
	v_mbcnt_lo_u32_b32 v22, v20, 0
	v_mbcnt_hi_u32_b32 v48, v21, v22
	v_cmp_eq_u32_e32 vcc, 0, v48
	v_cmp_ne_u64_e64 s[2:3], 0, v[20:21]
	v_add_u32_e32 v49, 64, v3
	s_and_b64 s[8:9], s[2:3], vcc
	; wave barrier
	s_and_saveexec_b64 s[2:3], s[8:9]
	s_cbranch_execz .LBB874_37
; %bb.36:
	v_bcnt_u32_b32 v20, v20, 0
	v_bcnt_u32_b32 v20, v21, v20
	s_waitcnt lgkmcnt(0)
	v_add_u32_e32 v20, v46, v20
	ds_write_b32 v27, v20 offset:64
.LBB874_37:
	s_or_b64 exec, exec, s[2:3]
	; wave barrier
	s_waitcnt lgkmcnt(0)
	s_barrier
	ds_read2_b32 v[22:23], v3 offset0:16 offset1:17
	ds_read2_b32 v[20:21], v49 offset0:2 offset1:3
	ds_read_b32 v50, v49 offset:16
	v_cmp_lt_u32_e64 s[12:13], 31, v1
	s_waitcnt lgkmcnt(1)
	v_add3_u32 v51, v23, v22, v20
	s_waitcnt lgkmcnt(0)
	v_add3_u32 v50, v51, v21, v50
	v_and_b32_e32 v51, 15, v1
	v_cmp_eq_u32_e32 vcc, 0, v51
	v_mov_b32_dpp v52, v50 row_shr:1 row_mask:0xf bank_mask:0xf
	v_cndmask_b32_e64 v52, v52, 0, vcc
	v_add_u32_e32 v50, v52, v50
	v_cmp_lt_u32_e64 s[2:3], 1, v51
	v_cmp_lt_u32_e64 s[10:11], 3, v51
	v_mov_b32_dpp v52, v50 row_shr:2 row_mask:0xf bank_mask:0xf
	v_cndmask_b32_e64 v52, 0, v52, s[2:3]
	v_add_u32_e32 v50, v50, v52
	v_cmp_lt_u32_e64 s[8:9], 7, v51
	s_nop 0
	v_mov_b32_dpp v52, v50 row_shr:4 row_mask:0xf bank_mask:0xf
	v_cndmask_b32_e64 v52, 0, v52, s[10:11]
	v_add_u32_e32 v50, v50, v52
	s_nop 1
	v_mov_b32_dpp v52, v50 row_shr:8 row_mask:0xf bank_mask:0xf
	v_cndmask_b32_e64 v51, 0, v52, s[8:9]
	v_add_u32_e32 v50, v50, v51
	v_bfe_i32 v52, v1, 4, 1
	s_nop 0
	v_mov_b32_dpp v51, v50 row_bcast:15 row_mask:0xf bank_mask:0xf
	v_and_b32_e32 v51, v52, v51
	v_add_u32_e32 v50, v50, v51
	v_and_b32_e32 v52, 63, v2
	s_nop 0
	v_mov_b32_dpp v51, v50 row_bcast:31 row_mask:0xf bank_mask:0xf
	v_cndmask_b32_e64 v51, 0, v51, s[12:13]
	v_add_u32_e32 v50, v50, v51
	v_lshrrev_b32_e32 v51, 6, v2
	v_cmp_eq_u32_e64 s[12:13], 63, v52
	s_and_saveexec_b64 s[22:23], s[12:13]
	s_cbranch_execz .LBB874_39
; %bb.38:
	v_lshlrev_b32_e32 v52, 2, v51
	ds_write_b32 v52, v50
.LBB874_39:
	s_or_b64 exec, exec, s[22:23]
	v_cmp_gt_u32_e64 s[12:13], 16, v2
	s_waitcnt lgkmcnt(0)
	s_barrier
	s_and_saveexec_b64 s[22:23], s[12:13]
	s_cbranch_execz .LBB874_41
; %bb.40:
	v_lshlrev_b32_e32 v52, 2, v2
	ds_read_b32 v53, v52
	s_waitcnt lgkmcnt(0)
	s_nop 0
	v_mov_b32_dpp v54, v53 row_shr:1 row_mask:0xf bank_mask:0xf
	v_cndmask_b32_e64 v54, v54, 0, vcc
	v_add_u32_e32 v53, v54, v53
	s_nop 1
	v_mov_b32_dpp v54, v53 row_shr:2 row_mask:0xf bank_mask:0xf
	v_cndmask_b32_e64 v54, 0, v54, s[2:3]
	v_add_u32_e32 v53, v53, v54
	s_nop 1
	v_mov_b32_dpp v54, v53 row_shr:4 row_mask:0xf bank_mask:0xf
	v_cndmask_b32_e64 v54, 0, v54, s[10:11]
	;; [unrolled: 4-line block ×3, first 2 shown]
	v_add_u32_e32 v53, v53, v54
	ds_write_b32 v52, v53
.LBB874_41:
	s_or_b64 exec, exec, s[22:23]
	v_cmp_lt_u32_e32 vcc, 63, v2
	v_mov_b32_e32 v52, 0
	s_waitcnt lgkmcnt(0)
	s_barrier
	s_and_saveexec_b64 s[2:3], vcc
	s_cbranch_execz .LBB874_43
; %bb.42:
	v_lshl_add_u32 v51, v51, 2, -4
	ds_read_b32 v52, v51
.LBB874_43:
	s_or_b64 exec, exec, s[2:3]
	v_add_u32_e32 v51, -1, v1
	v_and_b32_e32 v53, 64, v1
	v_cmp_lt_i32_e32 vcc, v51, v53
	v_cndmask_b32_e32 v51, v51, v1, vcc
	s_waitcnt lgkmcnt(0)
	v_add_u32_e32 v50, v52, v50
	v_lshlrev_b32_e32 v51, 2, v51
	ds_bpermute_b32 v50, v51, v50
	v_cmp_eq_u32_e32 vcc, 0, v1
	s_movk_i32 s8, 0xff
	s_movk_i32 s2, 0x100
	v_cmp_gt_u32_e64 s[2:3], s2, v2
	s_waitcnt lgkmcnt(0)
	v_cndmask_b32_e32 v1, v50, v52, vcc
	v_cndmask_b32_e64 v1, v1, 0, s[0:1]
	v_add_u32_e32 v22, v1, v22
	v_add_u32_e32 v23, v22, v23
	;; [unrolled: 1-line block ×4, first 2 shown]
	ds_write2_b32 v3, v1, v22 offset0:16 offset1:17
	ds_write2_b32 v49, v23, v20 offset0:2 offset1:3
	ds_write_b32 v49, v21 offset:16
	s_waitcnt lgkmcnt(0)
	s_barrier
	ds_read_b32 v51, v24 offset:64
	ds_read_b32 v1, v25 offset:64
	;; [unrolled: 1-line block ×8, first 2 shown]
	v_cmp_lt_u32_e32 vcc, s8, v2
	v_pk_mov_b32 v[20:21], 0, 0
                                        ; implicit-def: $vgpr38
	s_and_saveexec_b64 s[10:11], s[2:3]
	s_cbranch_execz .LBB874_47
; %bb.44:
	v_mul_u32_u24_e32 v3, 17, v2
	v_lshlrev_b32_e32 v21, 2, v3
	ds_read_b32 v20, v21 offset:64
	v_cmp_ne_u32_e64 s[8:9], s8, v2
	v_mov_b32_e32 v3, 0x2000
	s_and_saveexec_b64 s[12:13], s[8:9]
	s_cbranch_execz .LBB874_46
; %bb.45:
	ds_read_b32 v3, v21 offset:132
.LBB874_46:
	s_or_b64 exec, exec, s[12:13]
	s_waitcnt lgkmcnt(0)
	v_sub_u32_e32 v38, v3, v20
	v_mov_b32_e32 v21, 0
.LBB874_47:
	s_or_b64 exec, exec, s[10:11]
	s_waitcnt lgkmcnt(0)
	s_barrier
	s_and_saveexec_b64 s[8:9], vcc
	s_xor_b64 s[8:9], exec, s[8:9]
; %bb.48:
	v_mov_b32_e32 v3, 0
; %bb.49:
	s_andn2_saveexec_b64 s[8:9], s[8:9]
	s_cbranch_execz .LBB874_59
; %bb.50:
	v_lshl_or_b32 v22, s28, 8, v2
	v_mov_b32_e32 v23, 0
	v_lshlrev_b64 v[24:25], 2, v[22:23]
	v_mov_b32_e32 v3, s15
	v_add_co_u32_e32 v24, vcc, s14, v24
	v_addc_co_u32_e32 v25, vcc, v3, v25, vcc
	v_or_b32_e32 v22, 2.0, v38
	s_mov_b64 s[10:11], 0
	s_brev_b32 s31, 1
	s_mov_b32 s33, s28
	v_mov_b32_e32 v53, 0
	global_store_dword v[24:25], v22, off
                                        ; implicit-def: $sgpr12_sgpr13
	s_branch .LBB874_52
.LBB874_51:                             ;   in Loop: Header=BB874_52 Depth=1
	s_or_b64 exec, exec, s[12:13]
	v_and_b32_e32 v26, 0x3fffffff, v54
	v_add_u32_e32 v53, v26, v53
	v_cmp_eq_u32_e64 s[12:13], s31, v22
	s_and_b64 s[22:23], exec, s[12:13]
	s_or_b64 s[10:11], s[22:23], s[10:11]
	s_andn2_b64 exec, exec, s[10:11]
	s_cbranch_execz .LBB874_58
.LBB874_52:                             ; =>This Loop Header: Depth=1
                                        ;     Child Loop BB874_55 Depth 2
	s_or_b64 s[12:13], s[12:13], exec
	s_cmp_eq_u32 s33, 0
	s_cbranch_scc1 .LBB874_57
; %bb.53:                               ;   in Loop: Header=BB874_52 Depth=1
	s_add_i32 s33, s33, -1
	v_lshl_or_b32 v22, s33, 8, v2
	v_lshlrev_b64 v[26:27], 2, v[22:23]
	v_add_co_u32_e32 v26, vcc, s14, v26
	v_addc_co_u32_e32 v27, vcc, v3, v27, vcc
	global_load_dword v54, v[26:27], off glc
	s_waitcnt vmcnt(0)
	v_and_b32_e32 v22, -2.0, v54
	v_cmp_eq_u32_e32 vcc, 0, v22
	s_and_saveexec_b64 s[12:13], vcc
	s_cbranch_execz .LBB874_51
; %bb.54:                               ;   in Loop: Header=BB874_52 Depth=1
	s_mov_b64 s[22:23], 0
.LBB874_55:                             ;   Parent Loop BB874_52 Depth=1
                                        ; =>  This Inner Loop Header: Depth=2
	global_load_dword v54, v[26:27], off glc
	s_waitcnt vmcnt(0)
	v_and_b32_e32 v22, -2.0, v54
	v_cmp_ne_u32_e32 vcc, 0, v22
	s_or_b64 s[22:23], vcc, s[22:23]
	s_andn2_b64 exec, exec, s[22:23]
	s_cbranch_execnz .LBB874_55
; %bb.56:                               ;   in Loop: Header=BB874_52 Depth=1
	s_or_b64 exec, exec, s[22:23]
	s_branch .LBB874_51
.LBB874_57:                             ;   in Loop: Header=BB874_52 Depth=1
                                        ; implicit-def: $sgpr33
	s_and_b64 s[22:23], exec, s[12:13]
	s_or_b64 s[10:11], s[22:23], s[10:11]
	s_andn2_b64 exec, exec, s[10:11]
	s_cbranch_execnz .LBB874_52
.LBB874_58:
	s_or_b64 exec, exec, s[10:11]
	v_add_u32_e32 v3, v53, v38
	v_or_b32_e32 v3, 0x80000000, v3
	global_store_dword v[24:25], v3, off
	global_load_dwordx2 v[22:23], v28, s[16:17]
	v_sub_co_u32_e32 v24, vcc, v53, v20
	v_subb_co_u32_e32 v25, vcc, 0, v21, vcc
	v_mov_b32_e32 v3, 0
	s_waitcnt vmcnt(0)
	v_add_co_u32_e32 v22, vcc, v24, v22
	v_addc_co_u32_e32 v23, vcc, v25, v23, vcc
	ds_write_b64 v28, v[22:23]
.LBB874_59:
	s_or_b64 exec, exec, s[8:9]
	v_add_u32_e32 v23, v51, v30
	v_add3_u32 v30, v39, v42, v37
	v_add3_u32 v35, v36, v50, v35
	v_lshlrev_b64 v[36:37], 3, v[2:3]
	v_add3_u32 v31, v32, v1, v31
	v_mov_b32_e32 v1, s27
	v_add_co_u32_e32 v22, vcc, s26, v36
	v_add_u32_e32 v24, 0x800, v28
	v_add3_u32 v25, v48, v52, v46
	v_add3_u32 v26, v44, v47, v43
	;; [unrolled: 1-line block ×4, first 2 shown]
	v_addc_co_u32_e32 v1, vcc, v1, v37, vcc
	s_mov_b32 s10, 0
	v_mov_b32_e32 v32, v2
	s_branch .LBB874_61
.LBB874_60:                             ;   in Loop: Header=BB874_61 Depth=1
	s_or_b64 exec, exec, s[8:9]
	s_addk_i32 s10, 0xf800
	v_add_co_u32_e32 v22, vcc, 0x4000, v22
	v_addc_co_u32_e32 v1, vcc, 0, v1, vcc
	s_cmpk_eq_i32 s10, 0xe000
	v_add_u32_e32 v32, 0x800, v32
	s_barrier
	s_cbranch_scc1 .LBB874_66
.LBB874_61:                             ; =>This Inner Loop Header: Depth=1
	v_add_u32_e32 v34, s10, v23
	v_min_u32_e32 v34, 0x800, v34
	v_lshlrev_b32_e32 v34, 3, v34
	ds_write_b64 v34, v[4:5] offset:2048
	v_add_u32_e32 v34, s10, v31
	v_min_u32_e32 v34, 0x800, v34
	v_lshlrev_b32_e32 v34, 3, v34
	ds_write_b64 v34, v[6:7] offset:2048
	;; [unrolled: 4-line block ×7, first 2 shown]
	v_add_u32_e32 v34, s10, v25
	v_min_u32_e32 v34, 0x800, v34
	v_lshlrev_b32_e32 v34, 3, v34
	v_cmp_gt_u32_e32 vcc, s7, v32
	ds_write_b64 v34, v[18:19] offset:2048
	s_waitcnt lgkmcnt(0)
	s_barrier
	s_and_saveexec_b64 s[8:9], vcc
	s_cbranch_execz .LBB874_63
; %bb.62:                               ;   in Loop: Header=BB874_61 Depth=1
	ds_read_b64 v[36:37], v28 offset:2048
	s_waitcnt lgkmcnt(0)
	v_lshrrev_b64 v[40:41], s20, v[36:37]
	v_and_b32_e32 v34, s30, v40
	v_lshlrev_b32_e32 v34, 3, v34
	ds_read_b64 v[40:41], v34
	v_xor_b32_e32 v37, 0x80000000, v37
	s_waitcnt lgkmcnt(0)
	v_lshlrev_b64 v[40:41], 3, v[40:41]
	v_add_co_u32_e32 v40, vcc, v22, v40
	v_addc_co_u32_e32 v41, vcc, v1, v41, vcc
	global_store_dwordx2 v[40:41], v[36:37], off
.LBB874_63:                             ;   in Loop: Header=BB874_61 Depth=1
	s_or_b64 exec, exec, s[8:9]
	v_add_u32_e32 v34, 0x400, v32
	v_cmp_gt_u32_e32 vcc, s7, v34
	s_and_saveexec_b64 s[8:9], vcc
	s_cbranch_execz .LBB874_60
; %bb.64:                               ;   in Loop: Header=BB874_61 Depth=1
	ds_read_b64 v[36:37], v24 offset:8192
	s_waitcnt lgkmcnt(0)
	v_lshrrev_b64 v[40:41], s20, v[36:37]
	v_and_b32_e32 v34, s30, v40
	v_lshlrev_b32_e32 v34, 3, v34
	ds_read_b64 v[40:41], v34
	v_xor_b32_e32 v37, 0x80000000, v37
	s_waitcnt lgkmcnt(0)
	v_lshlrev_b64 v[40:41], 3, v[40:41]
	v_add_co_u32_e32 v34, vcc, v22, v40
	v_addc_co_u32_e32 v39, vcc, v1, v41, vcc
	v_add_co_u32_e32 v40, vcc, 0x2000, v34
	v_addc_co_u32_e32 v41, vcc, 0, v39, vcc
	global_store_dwordx2 v[40:41], v[36:37], off
	s_branch .LBB874_60
.LBB874_65:
	s_mov_b64 s[2:3], 0
                                        ; implicit-def: $vgpr20_vgpr21
                                        ; implicit-def: $vgpr38
	s_cbranch_execnz .LBB874_67
	s_branch .LBB874_108
.LBB874_66:
	s_add_i32 s29, s29, -1
	s_cmp_eq_u32 s29, s28
	s_cselect_b64 s[8:9], -1, 0
	s_and_b64 s[2:3], s[2:3], s[8:9]
	s_branch .LBB874_108
.LBB874_67:
	s_lshl_b32 s2, s28, 13
	s_mov_b32 s3, 0
	v_mbcnt_hi_u32_b32 v3, -1, v29
	s_lshl_b64 s[2:3], s[2:3], 3
	v_and_b32_e32 v1, 63, v3
	s_add_u32 s2, s24, s2
	v_lshlrev_b32_e32 v1, 3, v1
	v_add_co_u32_e32 v1, vcc, s2, v1
	s_load_dword s12, s[4:5], 0x58
	s_load_dword s2, s[4:5], 0x64
	s_addc_u32 s3, s25, s3
	v_mov_b32_e32 v4, s3
	v_lshlrev_b32_e32 v5, 6, v2
	v_addc_co_u32_e32 v4, vcc, 0, v4, vcc
	v_and_b32_e32 v5, 0xf000, v5
	s_add_u32 s3, s4, 0x58
	v_add_co_u32_e32 v20, vcc, v1, v5
	s_addc_u32 s4, s5, 0
	s_waitcnt lgkmcnt(0)
	s_lshr_b32 s5, s2, 16
	v_addc_co_u32_e32 v21, vcc, 0, v4, vcc
	s_cmp_lt_u32 s6, s12
	global_load_dwordx2 v[4:5], v[20:21], off
	s_cselect_b32 s2, 12, 18
	s_add_u32 s2, s3, s2
	v_mov_b32_e32 v18, 0
	s_addc_u32 s3, s4, 0
	global_load_ushort v19, v18, s[2:3]
	v_mul_u32_u24_e32 v6, 5, v2
	v_lshlrev_b32_e32 v22, 2, v6
	v_bfe_u32 v1, v0, 10, 10
	v_bfe_u32 v0, v0, 20, 10
	ds_write2_b32 v22, v18, v18 offset0:16 offset1:17
	ds_write2_b32 v22, v18, v18 offset0:18 offset1:19
	ds_write_b32 v22, v18 offset:80
	v_mad_u32_u24 v23, v0, s5, v1
	global_load_dwordx2 v[0:1], v[20:21], off offset:512
	global_load_dwordx2 v[6:7], v[20:21], off offset:1024
	global_load_dwordx2 v[8:9], v[20:21], off offset:1536
	global_load_dwordx2 v[10:11], v[20:21], off offset:2048
	global_load_dwordx2 v[12:13], v[20:21], off offset:2560
	global_load_dwordx2 v[14:15], v[20:21], off offset:3072
	global_load_dwordx2 v[16:17], v[20:21], off offset:3584
	s_lshl_b32 s2, -1, s21
	s_not_b32 s13, s2
	s_waitcnt lgkmcnt(0)
	s_barrier
	s_waitcnt lgkmcnt(0)
	; wave barrier
	s_waitcnt vmcnt(8)
	v_xor_b32_e32 v5, 0x80000000, v5
	v_lshrrev_b64 v[20:21], s20, v[4:5]
	v_and_b32_e32 v24, s13, v20
	s_waitcnt vmcnt(7)
	v_mad_u64_u32 v[20:21], s[2:3], v23, v19, v[2:3]
	v_and_b32_e32 v23, 1, v24
	v_lshrrev_b32_e32 v25, 6, v20
	v_add_co_u32_e32 v20, vcc, -1, v23
	v_lshlrev_b32_e32 v19, 30, v24
	v_addc_co_u32_e64 v26, s[2:3], 0, -1, vcc
	v_lshl_add_u32 v21, v24, 4, v24
	v_cmp_ne_u32_e32 vcc, 0, v23
	v_cmp_gt_i64_e64 s[2:3], 0, v[18:19]
	v_not_b32_e32 v27, v19
	v_lshlrev_b32_e32 v19, 29, v24
	v_add_lshl_u32 v23, v25, v21, 2
	v_xor_b32_e32 v21, vcc_hi, v26
	v_xor_b32_e32 v20, vcc_lo, v20
	v_ashrrev_i32_e32 v26, 31, v27
	v_cmp_gt_i64_e32 vcc, 0, v[18:19]
	v_not_b32_e32 v27, v19
	v_lshlrev_b32_e32 v19, 28, v24
	v_and_b32_e32 v21, exec_hi, v21
	v_and_b32_e32 v20, exec_lo, v20
	v_xor_b32_e32 v29, s3, v26
	v_xor_b32_e32 v26, s2, v26
	v_ashrrev_i32_e32 v27, 31, v27
	v_cmp_gt_i64_e64 s[2:3], 0, v[18:19]
	v_not_b32_e32 v30, v19
	v_lshlrev_b32_e32 v19, 27, v24
	v_and_b32_e32 v21, v21, v29
	v_and_b32_e32 v20, v20, v26
	v_xor_b32_e32 v26, vcc_hi, v27
	v_xor_b32_e32 v27, vcc_lo, v27
	v_ashrrev_i32_e32 v29, 31, v30
	v_cmp_gt_i64_e32 vcc, 0, v[18:19]
	v_not_b32_e32 v19, v19
	v_and_b32_e32 v21, v21, v26
	v_and_b32_e32 v20, v20, v27
	v_xor_b32_e32 v26, s3, v29
	v_xor_b32_e32 v27, s2, v29
	v_ashrrev_i32_e32 v19, 31, v19
	v_and_b32_e32 v21, v21, v26
	v_and_b32_e32 v20, v20, v27
	v_xor_b32_e32 v26, vcc_hi, v19
	v_xor_b32_e32 v19, vcc_lo, v19
	v_and_b32_e32 v20, v20, v19
	v_lshlrev_b32_e32 v19, 26, v24
	v_cmp_gt_i64_e32 vcc, 0, v[18:19]
	v_not_b32_e32 v19, v19
	v_ashrrev_i32_e32 v19, 31, v19
	v_and_b32_e32 v21, v21, v26
	v_xor_b32_e32 v26, vcc_hi, v19
	v_xor_b32_e32 v19, vcc_lo, v19
	v_and_b32_e32 v20, v20, v19
	v_lshlrev_b32_e32 v19, 25, v24
	v_cmp_gt_i64_e32 vcc, 0, v[18:19]
	v_not_b32_e32 v19, v19
	v_ashrrev_i32_e32 v19, 31, v19
	;; [unrolled: 8-line block ×3, first 2 shown]
	v_xor_b32_e32 v24, vcc_hi, v19
	v_xor_b32_e32 v19, vcc_lo, v19
	v_and_b32_e32 v21, v21, v26
	v_and_b32_e32 v20, v20, v19
	;; [unrolled: 1-line block ×3, first 2 shown]
	v_mbcnt_lo_u32_b32 v19, v20, 0
	v_mbcnt_hi_u32_b32 v26, v21, v19
	v_cmp_eq_u32_e32 vcc, 0, v26
	v_cmp_ne_u64_e64 s[2:3], 0, v[20:21]
	s_and_b64 s[4:5], s[2:3], vcc
	s_and_saveexec_b64 s[2:3], s[4:5]
	s_cbranch_execz .LBB874_69
; %bb.68:
	v_bcnt_u32_b32 v19, v20, 0
	v_bcnt_u32_b32 v19, v21, v19
	ds_write_b32 v23, v19 offset:64
.LBB874_69:
	s_or_b64 exec, exec, s[2:3]
	s_waitcnt vmcnt(6)
	v_xor_b32_e32 v1, 0x80000000, v1
	v_lshrrev_b64 v[20:21], s20, v[0:1]
	v_and_b32_e32 v20, s13, v20
	v_lshl_add_u32 v19, v20, 4, v20
	v_add_lshl_u32 v24, v25, v19, 2
	v_and_b32_e32 v19, 1, v20
	v_add_co_u32_e32 v21, vcc, -1, v19
	v_addc_co_u32_e64 v29, s[2:3], 0, -1, vcc
	v_cmp_ne_u32_e32 vcc, 0, v19
	v_xor_b32_e32 v19, vcc_hi, v29
	v_and_b32_e32 v29, exec_hi, v19
	v_lshlrev_b32_e32 v19, 30, v20
	v_xor_b32_e32 v21, vcc_lo, v21
	v_cmp_gt_i64_e32 vcc, 0, v[18:19]
	v_not_b32_e32 v19, v19
	v_ashrrev_i32_e32 v19, 31, v19
	v_and_b32_e32 v21, exec_lo, v21
	v_xor_b32_e32 v30, vcc_hi, v19
	v_xor_b32_e32 v19, vcc_lo, v19
	v_and_b32_e32 v21, v21, v19
	v_lshlrev_b32_e32 v19, 29, v20
	v_cmp_gt_i64_e32 vcc, 0, v[18:19]
	v_not_b32_e32 v19, v19
	v_ashrrev_i32_e32 v19, 31, v19
	v_and_b32_e32 v29, v29, v30
	v_xor_b32_e32 v30, vcc_hi, v19
	v_xor_b32_e32 v19, vcc_lo, v19
	v_and_b32_e32 v21, v21, v19
	v_lshlrev_b32_e32 v19, 28, v20
	v_cmp_gt_i64_e32 vcc, 0, v[18:19]
	v_not_b32_e32 v19, v19
	v_ashrrev_i32_e32 v19, 31, v19
	v_and_b32_e32 v29, v29, v30
	;; [unrolled: 8-line block ×5, first 2 shown]
	v_xor_b32_e32 v30, vcc_hi, v19
	v_xor_b32_e32 v19, vcc_lo, v19
	v_and_b32_e32 v21, v21, v19
	v_lshlrev_b32_e32 v19, 24, v20
	v_cmp_gt_i64_e32 vcc, 0, v[18:19]
	v_not_b32_e32 v18, v19
	v_ashrrev_i32_e32 v18, 31, v18
	v_xor_b32_e32 v19, vcc_hi, v18
	v_xor_b32_e32 v18, vcc_lo, v18
	; wave barrier
	ds_read_b32 v27, v24 offset:64
	v_and_b32_e32 v29, v29, v30
	v_and_b32_e32 v18, v21, v18
	;; [unrolled: 1-line block ×3, first 2 shown]
	v_mbcnt_lo_u32_b32 v20, v18, 0
	v_mbcnt_hi_u32_b32 v29, v19, v20
	v_cmp_eq_u32_e32 vcc, 0, v29
	v_cmp_ne_u64_e64 s[2:3], 0, v[18:19]
	s_and_b64 s[4:5], s[2:3], vcc
	; wave barrier
	s_and_saveexec_b64 s[2:3], s[4:5]
	s_cbranch_execz .LBB874_71
; %bb.70:
	v_bcnt_u32_b32 v18, v18, 0
	v_bcnt_u32_b32 v18, v19, v18
	s_waitcnt lgkmcnt(0)
	v_add_u32_e32 v18, v27, v18
	ds_write_b32 v24, v18 offset:64
.LBB874_71:
	s_or_b64 exec, exec, s[2:3]
	s_waitcnt vmcnt(5)
	v_xor_b32_e32 v7, 0x80000000, v7
	v_lshrrev_b64 v[18:19], s20, v[6:7]
	v_and_b32_e32 v20, s13, v18
	v_and_b32_e32 v19, 1, v20
	v_add_co_u32_e32 v21, vcc, -1, v19
	v_addc_co_u32_e64 v31, s[2:3], 0, -1, vcc
	v_cmp_ne_u32_e32 vcc, 0, v19
	v_lshl_add_u32 v18, v20, 4, v20
	v_xor_b32_e32 v19, vcc_hi, v31
	v_add_lshl_u32 v34, v25, v18, 2
	v_mov_b32_e32 v18, 0
	v_and_b32_e32 v31, exec_hi, v19
	v_lshlrev_b32_e32 v19, 30, v20
	v_xor_b32_e32 v21, vcc_lo, v21
	v_cmp_gt_i64_e32 vcc, 0, v[18:19]
	v_not_b32_e32 v19, v19
	v_ashrrev_i32_e32 v19, 31, v19
	v_and_b32_e32 v21, exec_lo, v21
	v_xor_b32_e32 v32, vcc_hi, v19
	v_xor_b32_e32 v19, vcc_lo, v19
	v_and_b32_e32 v21, v21, v19
	v_lshlrev_b32_e32 v19, 29, v20
	v_cmp_gt_i64_e32 vcc, 0, v[18:19]
	v_not_b32_e32 v19, v19
	v_ashrrev_i32_e32 v19, 31, v19
	v_and_b32_e32 v31, v31, v32
	v_xor_b32_e32 v32, vcc_hi, v19
	v_xor_b32_e32 v19, vcc_lo, v19
	v_and_b32_e32 v21, v21, v19
	v_lshlrev_b32_e32 v19, 28, v20
	v_cmp_gt_i64_e32 vcc, 0, v[18:19]
	v_not_b32_e32 v19, v19
	v_ashrrev_i32_e32 v19, 31, v19
	v_and_b32_e32 v31, v31, v32
	;; [unrolled: 8-line block ×5, first 2 shown]
	v_xor_b32_e32 v32, vcc_hi, v19
	v_xor_b32_e32 v19, vcc_lo, v19
	v_and_b32_e32 v31, v31, v32
	v_and_b32_e32 v32, v21, v19
	v_lshlrev_b32_e32 v19, 24, v20
	v_cmp_gt_i64_e32 vcc, 0, v[18:19]
	v_not_b32_e32 v19, v19
	v_ashrrev_i32_e32 v19, 31, v19
	v_xor_b32_e32 v20, vcc_hi, v19
	v_xor_b32_e32 v19, vcc_lo, v19
	; wave barrier
	ds_read_b32 v30, v34 offset:64
	v_and_b32_e32 v21, v31, v20
	v_and_b32_e32 v20, v32, v19
	v_mbcnt_lo_u32_b32 v19, v20, 0
	v_mbcnt_hi_u32_b32 v31, v21, v19
	v_cmp_eq_u32_e32 vcc, 0, v31
	v_cmp_ne_u64_e64 s[2:3], 0, v[20:21]
	s_and_b64 s[4:5], s[2:3], vcc
	; wave barrier
	s_and_saveexec_b64 s[2:3], s[4:5]
	s_cbranch_execz .LBB874_73
; %bb.72:
	v_bcnt_u32_b32 v19, v20, 0
	v_bcnt_u32_b32 v19, v21, v19
	s_waitcnt lgkmcnt(0)
	v_add_u32_e32 v19, v30, v19
	ds_write_b32 v34, v19 offset:64
.LBB874_73:
	s_or_b64 exec, exec, s[2:3]
	s_waitcnt vmcnt(4)
	v_xor_b32_e32 v9, 0x80000000, v9
	v_lshrrev_b64 v[20:21], s20, v[8:9]
	v_and_b32_e32 v20, s13, v20
	v_lshl_add_u32 v19, v20, 4, v20
	v_add_lshl_u32 v37, v25, v19, 2
	v_and_b32_e32 v19, 1, v20
	v_add_co_u32_e32 v21, vcc, -1, v19
	v_addc_co_u32_e64 v33, s[2:3], 0, -1, vcc
	v_cmp_ne_u32_e32 vcc, 0, v19
	v_xor_b32_e32 v19, vcc_hi, v33
	v_and_b32_e32 v33, exec_hi, v19
	v_lshlrev_b32_e32 v19, 30, v20
	v_xor_b32_e32 v21, vcc_lo, v21
	v_cmp_gt_i64_e32 vcc, 0, v[18:19]
	v_not_b32_e32 v19, v19
	v_ashrrev_i32_e32 v19, 31, v19
	v_and_b32_e32 v21, exec_lo, v21
	v_xor_b32_e32 v35, vcc_hi, v19
	v_xor_b32_e32 v19, vcc_lo, v19
	v_and_b32_e32 v21, v21, v19
	v_lshlrev_b32_e32 v19, 29, v20
	v_cmp_gt_i64_e32 vcc, 0, v[18:19]
	v_not_b32_e32 v19, v19
	v_ashrrev_i32_e32 v19, 31, v19
	v_and_b32_e32 v33, v33, v35
	v_xor_b32_e32 v35, vcc_hi, v19
	v_xor_b32_e32 v19, vcc_lo, v19
	v_and_b32_e32 v21, v21, v19
	v_lshlrev_b32_e32 v19, 28, v20
	v_cmp_gt_i64_e32 vcc, 0, v[18:19]
	v_not_b32_e32 v19, v19
	v_ashrrev_i32_e32 v19, 31, v19
	v_and_b32_e32 v33, v33, v35
	;; [unrolled: 8-line block ×5, first 2 shown]
	v_xor_b32_e32 v35, vcc_hi, v19
	v_xor_b32_e32 v19, vcc_lo, v19
	v_and_b32_e32 v21, v21, v19
	v_lshlrev_b32_e32 v19, 24, v20
	v_cmp_gt_i64_e32 vcc, 0, v[18:19]
	v_not_b32_e32 v18, v19
	v_ashrrev_i32_e32 v18, 31, v18
	v_xor_b32_e32 v19, vcc_hi, v18
	v_xor_b32_e32 v18, vcc_lo, v18
	; wave barrier
	ds_read_b32 v32, v37 offset:64
	v_and_b32_e32 v33, v33, v35
	v_and_b32_e32 v18, v21, v18
	;; [unrolled: 1-line block ×3, first 2 shown]
	v_mbcnt_lo_u32_b32 v20, v18, 0
	v_mbcnt_hi_u32_b32 v33, v19, v20
	v_cmp_eq_u32_e32 vcc, 0, v33
	v_cmp_ne_u64_e64 s[2:3], 0, v[18:19]
	s_and_b64 s[4:5], s[2:3], vcc
	; wave barrier
	s_and_saveexec_b64 s[2:3], s[4:5]
	s_cbranch_execz .LBB874_75
; %bb.74:
	v_bcnt_u32_b32 v18, v18, 0
	v_bcnt_u32_b32 v18, v19, v18
	s_waitcnt lgkmcnt(0)
	v_add_u32_e32 v18, v32, v18
	ds_write_b32 v37, v18 offset:64
.LBB874_75:
	s_or_b64 exec, exec, s[2:3]
	s_waitcnt vmcnt(3)
	v_xor_b32_e32 v11, 0x80000000, v11
	v_lshrrev_b64 v[18:19], s20, v[10:11]
	v_and_b32_e32 v20, s13, v18
	v_and_b32_e32 v19, 1, v20
	v_add_co_u32_e32 v21, vcc, -1, v19
	v_addc_co_u32_e64 v36, s[2:3], 0, -1, vcc
	v_cmp_ne_u32_e32 vcc, 0, v19
	v_lshl_add_u32 v18, v20, 4, v20
	v_xor_b32_e32 v19, vcc_hi, v36
	v_add_lshl_u32 v38, v25, v18, 2
	v_mov_b32_e32 v18, 0
	v_and_b32_e32 v36, exec_hi, v19
	v_lshlrev_b32_e32 v19, 30, v20
	v_xor_b32_e32 v21, vcc_lo, v21
	v_cmp_gt_i64_e32 vcc, 0, v[18:19]
	v_not_b32_e32 v19, v19
	v_ashrrev_i32_e32 v19, 31, v19
	v_and_b32_e32 v21, exec_lo, v21
	v_xor_b32_e32 v39, vcc_hi, v19
	v_xor_b32_e32 v19, vcc_lo, v19
	v_and_b32_e32 v21, v21, v19
	v_lshlrev_b32_e32 v19, 29, v20
	v_cmp_gt_i64_e32 vcc, 0, v[18:19]
	v_not_b32_e32 v19, v19
	v_ashrrev_i32_e32 v19, 31, v19
	v_and_b32_e32 v36, v36, v39
	v_xor_b32_e32 v39, vcc_hi, v19
	v_xor_b32_e32 v19, vcc_lo, v19
	v_and_b32_e32 v21, v21, v19
	v_lshlrev_b32_e32 v19, 28, v20
	v_cmp_gt_i64_e32 vcc, 0, v[18:19]
	v_not_b32_e32 v19, v19
	v_ashrrev_i32_e32 v19, 31, v19
	v_and_b32_e32 v36, v36, v39
	;; [unrolled: 8-line block ×5, first 2 shown]
	v_xor_b32_e32 v39, vcc_hi, v19
	v_xor_b32_e32 v19, vcc_lo, v19
	v_and_b32_e32 v36, v36, v39
	v_and_b32_e32 v39, v21, v19
	v_lshlrev_b32_e32 v19, 24, v20
	v_cmp_gt_i64_e32 vcc, 0, v[18:19]
	v_not_b32_e32 v19, v19
	v_ashrrev_i32_e32 v19, 31, v19
	v_xor_b32_e32 v20, vcc_hi, v19
	v_xor_b32_e32 v19, vcc_lo, v19
	; wave barrier
	ds_read_b32 v35, v38 offset:64
	v_and_b32_e32 v21, v36, v20
	v_and_b32_e32 v20, v39, v19
	v_mbcnt_lo_u32_b32 v19, v20, 0
	v_mbcnt_hi_u32_b32 v36, v21, v19
	v_cmp_eq_u32_e32 vcc, 0, v36
	v_cmp_ne_u64_e64 s[2:3], 0, v[20:21]
	s_and_b64 s[4:5], s[2:3], vcc
	; wave barrier
	s_and_saveexec_b64 s[2:3], s[4:5]
	s_cbranch_execz .LBB874_77
; %bb.76:
	v_bcnt_u32_b32 v19, v20, 0
	v_bcnt_u32_b32 v19, v21, v19
	s_waitcnt lgkmcnt(0)
	v_add_u32_e32 v19, v35, v19
	ds_write_b32 v38, v19 offset:64
.LBB874_77:
	s_or_b64 exec, exec, s[2:3]
	s_waitcnt vmcnt(2)
	v_xor_b32_e32 v13, 0x80000000, v13
	v_lshrrev_b64 v[20:21], s20, v[12:13]
	v_and_b32_e32 v20, s13, v20
	v_lshl_add_u32 v19, v20, 4, v20
	v_add_lshl_u32 v43, v25, v19, 2
	v_and_b32_e32 v19, 1, v20
	v_add_co_u32_e32 v21, vcc, -1, v19
	v_addc_co_u32_e64 v40, s[2:3], 0, -1, vcc
	v_cmp_ne_u32_e32 vcc, 0, v19
	v_xor_b32_e32 v19, vcc_hi, v40
	v_and_b32_e32 v40, exec_hi, v19
	v_lshlrev_b32_e32 v19, 30, v20
	v_xor_b32_e32 v21, vcc_lo, v21
	v_cmp_gt_i64_e32 vcc, 0, v[18:19]
	v_not_b32_e32 v19, v19
	v_ashrrev_i32_e32 v19, 31, v19
	v_and_b32_e32 v21, exec_lo, v21
	v_xor_b32_e32 v41, vcc_hi, v19
	v_xor_b32_e32 v19, vcc_lo, v19
	v_and_b32_e32 v21, v21, v19
	v_lshlrev_b32_e32 v19, 29, v20
	v_cmp_gt_i64_e32 vcc, 0, v[18:19]
	v_not_b32_e32 v19, v19
	v_ashrrev_i32_e32 v19, 31, v19
	v_and_b32_e32 v40, v40, v41
	v_xor_b32_e32 v41, vcc_hi, v19
	v_xor_b32_e32 v19, vcc_lo, v19
	v_and_b32_e32 v21, v21, v19
	v_lshlrev_b32_e32 v19, 28, v20
	v_cmp_gt_i64_e32 vcc, 0, v[18:19]
	v_not_b32_e32 v19, v19
	v_ashrrev_i32_e32 v19, 31, v19
	v_and_b32_e32 v40, v40, v41
	;; [unrolled: 8-line block ×5, first 2 shown]
	v_xor_b32_e32 v41, vcc_hi, v19
	v_xor_b32_e32 v19, vcc_lo, v19
	v_and_b32_e32 v21, v21, v19
	v_lshlrev_b32_e32 v19, 24, v20
	v_cmp_gt_i64_e32 vcc, 0, v[18:19]
	v_not_b32_e32 v18, v19
	v_ashrrev_i32_e32 v18, 31, v18
	v_xor_b32_e32 v19, vcc_hi, v18
	v_xor_b32_e32 v18, vcc_lo, v18
	; wave barrier
	ds_read_b32 v39, v43 offset:64
	v_and_b32_e32 v40, v40, v41
	v_and_b32_e32 v18, v21, v18
	;; [unrolled: 1-line block ×3, first 2 shown]
	v_mbcnt_lo_u32_b32 v20, v18, 0
	v_mbcnt_hi_u32_b32 v40, v19, v20
	v_cmp_eq_u32_e32 vcc, 0, v40
	v_cmp_ne_u64_e64 s[2:3], 0, v[18:19]
	s_and_b64 s[4:5], s[2:3], vcc
	; wave barrier
	s_and_saveexec_b64 s[2:3], s[4:5]
	s_cbranch_execz .LBB874_79
; %bb.78:
	v_bcnt_u32_b32 v18, v18, 0
	v_bcnt_u32_b32 v18, v19, v18
	s_waitcnt lgkmcnt(0)
	v_add_u32_e32 v18, v39, v18
	ds_write_b32 v43, v18 offset:64
.LBB874_79:
	s_or_b64 exec, exec, s[2:3]
	s_waitcnt vmcnt(1)
	v_xor_b32_e32 v15, 0x80000000, v15
	v_lshrrev_b64 v[18:19], s20, v[14:15]
	v_and_b32_e32 v20, s13, v18
	v_and_b32_e32 v19, 1, v20
	v_add_co_u32_e32 v21, vcc, -1, v19
	v_addc_co_u32_e64 v42, s[2:3], 0, -1, vcc
	v_cmp_ne_u32_e32 vcc, 0, v19
	v_lshl_add_u32 v18, v20, 4, v20
	v_xor_b32_e32 v19, vcc_hi, v42
	v_add_lshl_u32 v46, v25, v18, 2
	v_mov_b32_e32 v18, 0
	v_and_b32_e32 v42, exec_hi, v19
	v_lshlrev_b32_e32 v19, 30, v20
	v_xor_b32_e32 v21, vcc_lo, v21
	v_cmp_gt_i64_e32 vcc, 0, v[18:19]
	v_not_b32_e32 v19, v19
	v_ashrrev_i32_e32 v19, 31, v19
	v_and_b32_e32 v21, exec_lo, v21
	v_xor_b32_e32 v44, vcc_hi, v19
	v_xor_b32_e32 v19, vcc_lo, v19
	v_and_b32_e32 v21, v21, v19
	v_lshlrev_b32_e32 v19, 29, v20
	v_cmp_gt_i64_e32 vcc, 0, v[18:19]
	v_not_b32_e32 v19, v19
	v_ashrrev_i32_e32 v19, 31, v19
	v_and_b32_e32 v42, v42, v44
	v_xor_b32_e32 v44, vcc_hi, v19
	v_xor_b32_e32 v19, vcc_lo, v19
	v_and_b32_e32 v21, v21, v19
	v_lshlrev_b32_e32 v19, 28, v20
	v_cmp_gt_i64_e32 vcc, 0, v[18:19]
	v_not_b32_e32 v19, v19
	v_ashrrev_i32_e32 v19, 31, v19
	v_and_b32_e32 v42, v42, v44
	v_xor_b32_e32 v44, vcc_hi, v19
	v_xor_b32_e32 v19, vcc_lo, v19
	v_and_b32_e32 v21, v21, v19
	v_lshlrev_b32_e32 v19, 27, v20
	v_cmp_gt_i64_e32 vcc, 0, v[18:19]
	v_not_b32_e32 v19, v19
	v_ashrrev_i32_e32 v19, 31, v19
	v_and_b32_e32 v42, v42, v44
	v_xor_b32_e32 v44, vcc_hi, v19
	v_xor_b32_e32 v19, vcc_lo, v19
	v_and_b32_e32 v21, v21, v19
	v_lshlrev_b32_e32 v19, 26, v20
	v_cmp_gt_i64_e32 vcc, 0, v[18:19]
	v_not_b32_e32 v19, v19
	v_ashrrev_i32_e32 v19, 31, v19
	v_and_b32_e32 v42, v42, v44
	v_xor_b32_e32 v44, vcc_hi, v19
	v_xor_b32_e32 v19, vcc_lo, v19
	v_and_b32_e32 v21, v21, v19
	v_lshlrev_b32_e32 v19, 25, v20
	v_cmp_gt_i64_e32 vcc, 0, v[18:19]
	v_not_b32_e32 v19, v19
	v_ashrrev_i32_e32 v19, 31, v19
	v_and_b32_e32 v42, v42, v44
	v_xor_b32_e32 v44, vcc_hi, v19
	v_xor_b32_e32 v19, vcc_lo, v19
	v_and_b32_e32 v42, v42, v44
	v_and_b32_e32 v44, v21, v19
	v_lshlrev_b32_e32 v19, 24, v20
	v_cmp_gt_i64_e32 vcc, 0, v[18:19]
	v_not_b32_e32 v19, v19
	v_ashrrev_i32_e32 v19, 31, v19
	v_xor_b32_e32 v20, vcc_hi, v19
	v_xor_b32_e32 v19, vcc_lo, v19
	; wave barrier
	ds_read_b32 v41, v46 offset:64
	v_and_b32_e32 v21, v42, v20
	v_and_b32_e32 v20, v44, v19
	v_mbcnt_lo_u32_b32 v19, v20, 0
	v_mbcnt_hi_u32_b32 v42, v21, v19
	v_cmp_eq_u32_e32 vcc, 0, v42
	v_cmp_ne_u64_e64 s[2:3], 0, v[20:21]
	s_and_b64 s[4:5], s[2:3], vcc
	; wave barrier
	s_and_saveexec_b64 s[2:3], s[4:5]
	s_cbranch_execz .LBB874_81
; %bb.80:
	v_bcnt_u32_b32 v19, v20, 0
	v_bcnt_u32_b32 v19, v21, v19
	s_waitcnt lgkmcnt(0)
	v_add_u32_e32 v19, v41, v19
	ds_write_b32 v46, v19 offset:64
.LBB874_81:
	s_or_b64 exec, exec, s[2:3]
	s_waitcnt vmcnt(0)
	v_xor_b32_e32 v17, 0x80000000, v17
	v_lshrrev_b64 v[20:21], s20, v[16:17]
	v_and_b32_e32 v20, s13, v20
	v_lshl_add_u32 v19, v20, 4, v20
	v_add_lshl_u32 v25, v25, v19, 2
	v_and_b32_e32 v19, 1, v20
	v_add_co_u32_e32 v21, vcc, -1, v19
	v_addc_co_u32_e64 v45, s[2:3], 0, -1, vcc
	v_cmp_ne_u32_e32 vcc, 0, v19
	v_xor_b32_e32 v19, vcc_hi, v45
	v_and_b32_e32 v45, exec_hi, v19
	v_lshlrev_b32_e32 v19, 30, v20
	v_xor_b32_e32 v21, vcc_lo, v21
	v_cmp_gt_i64_e32 vcc, 0, v[18:19]
	v_not_b32_e32 v19, v19
	v_ashrrev_i32_e32 v19, 31, v19
	v_and_b32_e32 v21, exec_lo, v21
	v_xor_b32_e32 v48, vcc_hi, v19
	v_xor_b32_e32 v19, vcc_lo, v19
	v_and_b32_e32 v21, v21, v19
	v_lshlrev_b32_e32 v19, 29, v20
	v_cmp_gt_i64_e32 vcc, 0, v[18:19]
	v_not_b32_e32 v19, v19
	v_ashrrev_i32_e32 v19, 31, v19
	v_and_b32_e32 v45, v45, v48
	v_xor_b32_e32 v48, vcc_hi, v19
	v_xor_b32_e32 v19, vcc_lo, v19
	v_and_b32_e32 v21, v21, v19
	v_lshlrev_b32_e32 v19, 28, v20
	v_cmp_gt_i64_e32 vcc, 0, v[18:19]
	v_not_b32_e32 v19, v19
	v_ashrrev_i32_e32 v19, 31, v19
	v_and_b32_e32 v45, v45, v48
	;; [unrolled: 8-line block ×5, first 2 shown]
	v_xor_b32_e32 v48, vcc_hi, v19
	v_xor_b32_e32 v19, vcc_lo, v19
	v_and_b32_e32 v21, v21, v19
	v_lshlrev_b32_e32 v19, 24, v20
	v_cmp_gt_i64_e32 vcc, 0, v[18:19]
	v_not_b32_e32 v18, v19
	v_ashrrev_i32_e32 v18, 31, v18
	v_xor_b32_e32 v19, vcc_hi, v18
	v_xor_b32_e32 v18, vcc_lo, v18
	; wave barrier
	ds_read_b32 v44, v25 offset:64
	v_and_b32_e32 v45, v45, v48
	v_and_b32_e32 v18, v21, v18
	;; [unrolled: 1-line block ×3, first 2 shown]
	v_mbcnt_lo_u32_b32 v20, v18, 0
	v_mbcnt_hi_u32_b32 v45, v19, v20
	v_cmp_eq_u32_e32 vcc, 0, v45
	v_cmp_ne_u64_e64 s[2:3], 0, v[18:19]
	v_add_u32_e32 v47, 64, v22
	s_and_b64 s[4:5], s[2:3], vcc
	; wave barrier
	s_and_saveexec_b64 s[2:3], s[4:5]
	s_cbranch_execz .LBB874_83
; %bb.82:
	v_bcnt_u32_b32 v18, v18, 0
	v_bcnt_u32_b32 v18, v19, v18
	s_waitcnt lgkmcnt(0)
	v_add_u32_e32 v18, v44, v18
	ds_write_b32 v25, v18 offset:64
.LBB874_83:
	s_or_b64 exec, exec, s[2:3]
	; wave barrier
	s_waitcnt lgkmcnt(0)
	s_barrier
	ds_read2_b32 v[20:21], v22 offset0:16 offset1:17
	ds_read2_b32 v[18:19], v47 offset0:2 offset1:3
	ds_read_b32 v48, v47 offset:16
	v_cmp_lt_u32_e64 s[8:9], 31, v3
	s_waitcnt lgkmcnt(1)
	v_add3_u32 v49, v21, v20, v18
	s_waitcnt lgkmcnt(0)
	v_add3_u32 v48, v49, v19, v48
	v_and_b32_e32 v49, 15, v3
	v_cmp_eq_u32_e32 vcc, 0, v49
	v_mov_b32_dpp v50, v48 row_shr:1 row_mask:0xf bank_mask:0xf
	v_cndmask_b32_e64 v50, v50, 0, vcc
	v_add_u32_e32 v48, v50, v48
	v_cmp_lt_u32_e64 s[2:3], 1, v49
	v_cmp_lt_u32_e64 s[4:5], 3, v49
	v_mov_b32_dpp v50, v48 row_shr:2 row_mask:0xf bank_mask:0xf
	v_cndmask_b32_e64 v50, 0, v50, s[2:3]
	v_add_u32_e32 v48, v48, v50
	v_cmp_lt_u32_e64 s[6:7], 7, v49
	s_nop 0
	v_mov_b32_dpp v50, v48 row_shr:4 row_mask:0xf bank_mask:0xf
	v_cndmask_b32_e64 v50, 0, v50, s[4:5]
	v_add_u32_e32 v48, v48, v50
	s_nop 1
	v_mov_b32_dpp v50, v48 row_shr:8 row_mask:0xf bank_mask:0xf
	v_cndmask_b32_e64 v49, 0, v50, s[6:7]
	v_add_u32_e32 v48, v48, v49
	v_bfe_i32 v50, v3, 4, 1
	s_nop 0
	v_mov_b32_dpp v49, v48 row_bcast:15 row_mask:0xf bank_mask:0xf
	v_and_b32_e32 v49, v50, v49
	v_add_u32_e32 v48, v48, v49
	v_and_b32_e32 v50, 63, v2
	s_nop 0
	v_mov_b32_dpp v49, v48 row_bcast:31 row_mask:0xf bank_mask:0xf
	v_cndmask_b32_e64 v49, 0, v49, s[8:9]
	v_add_u32_e32 v48, v48, v49
	v_lshrrev_b32_e32 v49, 6, v2
	v_cmp_eq_u32_e64 s[8:9], 63, v50
	s_and_saveexec_b64 s[10:11], s[8:9]
	s_cbranch_execz .LBB874_85
; %bb.84:
	v_lshlrev_b32_e32 v50, 2, v49
	ds_write_b32 v50, v48
.LBB874_85:
	s_or_b64 exec, exec, s[10:11]
	v_cmp_gt_u32_e64 s[8:9], 16, v2
	s_waitcnt lgkmcnt(0)
	s_barrier
	s_and_saveexec_b64 s[10:11], s[8:9]
	s_cbranch_execz .LBB874_87
; %bb.86:
	v_lshlrev_b32_e32 v50, 2, v2
	ds_read_b32 v51, v50
	s_waitcnt lgkmcnt(0)
	s_nop 0
	v_mov_b32_dpp v52, v51 row_shr:1 row_mask:0xf bank_mask:0xf
	v_cndmask_b32_e64 v52, v52, 0, vcc
	v_add_u32_e32 v51, v52, v51
	s_nop 1
	v_mov_b32_dpp v52, v51 row_shr:2 row_mask:0xf bank_mask:0xf
	v_cndmask_b32_e64 v52, 0, v52, s[2:3]
	v_add_u32_e32 v51, v51, v52
	s_nop 1
	v_mov_b32_dpp v52, v51 row_shr:4 row_mask:0xf bank_mask:0xf
	v_cndmask_b32_e64 v52, 0, v52, s[4:5]
	;; [unrolled: 4-line block ×3, first 2 shown]
	v_add_u32_e32 v51, v51, v52
	ds_write_b32 v50, v51
.LBB874_87:
	s_or_b64 exec, exec, s[10:11]
	v_cmp_lt_u32_e32 vcc, 63, v2
	v_mov_b32_e32 v50, 0
	s_waitcnt lgkmcnt(0)
	s_barrier
	s_and_saveexec_b64 s[2:3], vcc
	s_cbranch_execz .LBB874_89
; %bb.88:
	v_lshl_add_u32 v49, v49, 2, -4
	ds_read_b32 v50, v49
.LBB874_89:
	s_or_b64 exec, exec, s[2:3]
	v_add_u32_e32 v49, -1, v3
	v_and_b32_e32 v51, 64, v3
	v_cmp_lt_i32_e32 vcc, v49, v51
	v_cndmask_b32_e32 v49, v49, v3, vcc
	s_waitcnt lgkmcnt(0)
	v_add_u32_e32 v48, v50, v48
	v_lshlrev_b32_e32 v49, 2, v49
	ds_bpermute_b32 v48, v49, v48
	v_cmp_eq_u32_e32 vcc, 0, v3
	s_movk_i32 s2, 0xff
	s_waitcnt lgkmcnt(0)
	v_cndmask_b32_e32 v3, v48, v50, vcc
	v_cndmask_b32_e64 v3, v3, 0, s[0:1]
	v_add_u32_e32 v20, v3, v20
	v_add_u32_e32 v21, v20, v21
	;; [unrolled: 1-line block ×4, first 2 shown]
	ds_write2_b32 v22, v3, v20 offset0:16 offset1:17
	ds_write2_b32 v47, v21, v18 offset0:2 offset1:3
	ds_write_b32 v47, v19 offset:16
	s_waitcnt lgkmcnt(0)
	s_barrier
	ds_read_b32 v49, v23 offset:64
	ds_read_b32 v47, v24 offset:64
	;; [unrolled: 1-line block ×8, first 2 shown]
	s_movk_i32 s0, 0x100
	v_cmp_lt_u32_e32 vcc, s2, v2
	v_cmp_gt_u32_e64 s[0:1], s0, v2
	v_pk_mov_b32 v[20:21], 0, 0
                                        ; implicit-def: $vgpr38
	s_and_saveexec_b64 s[4:5], s[0:1]
	s_cbranch_execz .LBB874_93
; %bb.90:
	v_mul_u32_u24_e32 v3, 17, v2
	v_lshlrev_b32_e32 v18, 2, v3
	ds_read_b32 v20, v18 offset:64
	v_cmp_ne_u32_e64 s[2:3], s2, v2
	v_mov_b32_e32 v3, 0x2000
	s_and_saveexec_b64 s[6:7], s[2:3]
	s_cbranch_execz .LBB874_92
; %bb.91:
	ds_read_b32 v3, v18 offset:132
.LBB874_92:
	s_or_b64 exec, exec, s[6:7]
	s_waitcnt lgkmcnt(0)
	v_sub_u32_e32 v38, v3, v20
	v_mov_b32_e32 v21, 0
.LBB874_93:
	s_or_b64 exec, exec, s[4:5]
	s_waitcnt lgkmcnt(0)
	s_barrier
	s_and_saveexec_b64 s[2:3], vcc
	s_xor_b64 s[2:3], exec, s[2:3]
; %bb.94:
	v_mov_b32_e32 v3, 0
; %bb.95:
	s_andn2_saveexec_b64 s[2:3], s[2:3]
	s_cbranch_execz .LBB874_105
; %bb.96:
	v_lshl_or_b32 v18, s28, 8, v2
	v_mov_b32_e32 v19, 0
	v_lshlrev_b64 v[22:23], 2, v[18:19]
	v_mov_b32_e32 v3, s15
	v_add_co_u32_e32 v22, vcc, s14, v22
	v_addc_co_u32_e32 v23, vcc, v3, v23, vcc
	v_or_b32_e32 v18, 2.0, v38
	s_mov_b64 s[4:5], 0
	s_brev_b32 s10, 1
	s_mov_b32 s11, s28
	v_mov_b32_e32 v51, 0
	global_store_dword v[22:23], v18, off
                                        ; implicit-def: $sgpr6_sgpr7
	s_branch .LBB874_99
.LBB874_97:                             ;   in Loop: Header=BB874_99 Depth=1
	s_or_b64 exec, exec, s[8:9]
.LBB874_98:                             ;   in Loop: Header=BB874_99 Depth=1
	s_or_b64 exec, exec, s[6:7]
	v_and_b32_e32 v24, 0x3fffffff, v52
	v_add_u32_e32 v51, v24, v51
	v_cmp_eq_u32_e64 s[6:7], s10, v18
	s_and_b64 s[8:9], exec, s[6:7]
	s_or_b64 s[4:5], s[8:9], s[4:5]
	s_andn2_b64 exec, exec, s[4:5]
	s_cbranch_execz .LBB874_104
.LBB874_99:                             ; =>This Loop Header: Depth=1
                                        ;     Child Loop BB874_102 Depth 2
	s_or_b64 s[6:7], s[6:7], exec
	s_cmp_eq_u32 s11, 0
	s_cbranch_scc1 .LBB874_103
; %bb.100:                              ;   in Loop: Header=BB874_99 Depth=1
	s_add_i32 s11, s11, -1
	v_lshl_or_b32 v18, s11, 8, v2
	v_lshlrev_b64 v[24:25], 2, v[18:19]
	v_add_co_u32_e32 v24, vcc, s14, v24
	v_addc_co_u32_e32 v25, vcc, v3, v25, vcc
	global_load_dword v52, v[24:25], off glc
	s_waitcnt vmcnt(0)
	v_and_b32_e32 v18, -2.0, v52
	v_cmp_eq_u32_e32 vcc, 0, v18
	s_and_saveexec_b64 s[6:7], vcc
	s_cbranch_execz .LBB874_98
; %bb.101:                              ;   in Loop: Header=BB874_99 Depth=1
	s_mov_b64 s[8:9], 0
.LBB874_102:                            ;   Parent Loop BB874_99 Depth=1
                                        ; =>  This Inner Loop Header: Depth=2
	global_load_dword v52, v[24:25], off glc
	s_waitcnt vmcnt(0)
	v_and_b32_e32 v18, -2.0, v52
	v_cmp_ne_u32_e32 vcc, 0, v18
	s_or_b64 s[8:9], vcc, s[8:9]
	s_andn2_b64 exec, exec, s[8:9]
	s_cbranch_execnz .LBB874_102
	s_branch .LBB874_97
.LBB874_103:                            ;   in Loop: Header=BB874_99 Depth=1
                                        ; implicit-def: $sgpr11
	s_and_b64 s[8:9], exec, s[6:7]
	s_or_b64 s[4:5], s[8:9], s[4:5]
	s_andn2_b64 exec, exec, s[4:5]
	s_cbranch_execnz .LBB874_99
.LBB874_104:
	s_or_b64 exec, exec, s[4:5]
	v_add_u32_e32 v3, v51, v38
	v_or_b32_e32 v3, 0x80000000, v3
	global_store_dword v[22:23], v3, off
	global_load_dwordx2 v[18:19], v28, s[16:17]
	v_sub_co_u32_e32 v22, vcc, v51, v20
	v_subb_co_u32_e32 v23, vcc, 0, v21, vcc
	v_mov_b32_e32 v3, 0
	s_waitcnt vmcnt(0)
	v_add_co_u32_e32 v18, vcc, v22, v18
	v_addc_co_u32_e32 v19, vcc, v23, v19, vcc
	ds_write_b64 v28, v[18:19]
.LBB874_105:
	s_or_b64 exec, exec, s[2:3]
	v_lshlrev_b64 v[18:19], 3, v[2:3]
	v_add3_u32 v27, v29, v47, v27
	v_mov_b32_e32 v29, s27
	v_add_co_u32_e32 v18, vcc, s26, v18
	v_add_u32_e32 v22, v49, v26
	v_add_u32_e32 v23, 0x800, v28
	v_add3_u32 v24, v45, v50, v44
	v_add3_u32 v25, v42, v46, v41
	;; [unrolled: 1-line block ×6, first 2 shown]
	v_addc_co_u32_e32 v19, vcc, v29, v19, vcc
	s_mov_b32 s2, 0
.LBB874_106:                            ; =>This Inner Loop Header: Depth=1
	v_add_u32_e32 v29, s2, v22
	v_add_u32_e32 v36, s2, v35
	;; [unrolled: 1-line block ×8, first 2 shown]
	v_min_u32_e32 v29, 0x800, v29
	v_min_u32_e32 v36, 0x800, v36
	;; [unrolled: 1-line block ×8, first 2 shown]
	v_lshlrev_b32_e32 v29, 3, v29
	v_lshlrev_b32_e32 v36, 3, v36
	;; [unrolled: 1-line block ×8, first 2 shown]
	ds_write_b64 v29, v[4:5] offset:2048
	ds_write_b64 v31, v[0:1] offset:2048
	;; [unrolled: 1-line block ×8, first 2 shown]
	s_waitcnt lgkmcnt(0)
	s_barrier
	ds_read_b64 v[36:37], v28 offset:2048
	s_addk_i32 s2, 0xf800
	s_cmpk_lg_i32 s2, 0xe000
	s_waitcnt lgkmcnt(0)
	v_lshrrev_b64 v[40:41], s20, v[36:37]
	v_and_b32_e32 v29, s13, v40
	v_lshlrev_b32_e32 v29, 3, v29
	ds_read_b64 v[40:41], v29
	ds_read_b64 v[42:43], v23 offset:8192
	v_xor_b32_e32 v37, 0x80000000, v37
	s_waitcnt lgkmcnt(1)
	v_lshlrev_b64 v[40:41], 3, v[40:41]
	s_waitcnt lgkmcnt(0)
	v_lshrrev_b64 v[44:45], s20, v[42:43]
	v_add_co_u32_e32 v40, vcc, v18, v40
	v_and_b32_e32 v29, s13, v44
	v_addc_co_u32_e32 v41, vcc, v19, v41, vcc
	v_lshlrev_b32_e32 v29, 3, v29
	global_store_dwordx2 v[40:41], v[36:37], off
	ds_read_b64 v[36:37], v29
	v_xor_b32_e32 v43, 0x80000000, v43
	s_waitcnt lgkmcnt(0)
	v_lshlrev_b64 v[36:37], 3, v[36:37]
	v_add_co_u32_e32 v29, vcc, v18, v36
	v_addc_co_u32_e32 v31, vcc, v19, v37, vcc
	v_add_co_u32_e32 v36, vcc, 0x2000, v29
	v_addc_co_u32_e32 v37, vcc, 0, v31, vcc
	;; [unrolled: 2-line block ×3, first 2 shown]
	global_store_dwordx2 v[36:37], v[42:43], off
	s_barrier
	s_cbranch_scc1 .LBB874_106
; %bb.107:
	s_add_i32 s12, s12, -1
	s_cmp_eq_u32 s12, s28
	s_cselect_b64 s[2:3], -1, 0
	s_and_b64 s[2:3], s[0:1], s[2:3]
.LBB874_108:
	s_and_saveexec_b64 s[0:1], s[2:3]
	s_cbranch_execnz .LBB874_110
; %bb.109:
	s_endpgm
.LBB874_110:
	v_lshlrev_b64 v[0:1], 3, v[2:3]
	ds_read_b64 v[2:3], v28
	v_add_co_u32_e32 v4, vcc, v20, v38
	v_addc_co_u32_e32 v5, vcc, 0, v21, vcc
	v_mov_b32_e32 v6, s19
	v_add_co_u32_e32 v0, vcc, s18, v0
	v_addc_co_u32_e32 v1, vcc, v6, v1, vcc
	s_waitcnt lgkmcnt(0)
	v_add_co_u32_e32 v2, vcc, v4, v2
	v_addc_co_u32_e32 v3, vcc, v5, v3, vcc
	global_store_dwordx2 v[0:1], v[2:3], off
	s_endpgm
	.section	.rodata,"a",@progbits
	.p2align	6, 0x0
	.amdhsa_kernel _ZN7rocprim17ROCPRIM_400000_NS6detail17trampoline_kernelINS0_14default_configENS1_35radix_sort_onesweep_config_selectorIlNS0_10empty_typeEEEZZNS1_29radix_sort_onesweep_iterationIS3_Lb0EPlS8_PS5_S9_mNS0_19identity_decomposerENS1_16block_id_wrapperIjLb1EEEEE10hipError_tT1_PNSt15iterator_traitsISE_E10value_typeET2_T3_PNSF_ISK_E10value_typeET4_T5_PSP_SQ_PNS1_23onesweep_lookback_stateEbbT6_jjT7_P12ihipStream_tbENKUlT_T0_SE_SJ_E_clIS8_S8_S9_S9_EEDaSX_SY_SE_SJ_EUlSX_E_NS1_11comp_targetILNS1_3genE4ELNS1_11target_archE910ELNS1_3gpuE8ELNS1_3repE0EEENS1_47radix_sort_onesweep_sort_config_static_selectorELNS0_4arch9wavefront6targetE1EEEvSE_
		.amdhsa_group_segment_fixed_size 20552
		.amdhsa_private_segment_fixed_size 0
		.amdhsa_kernarg_size 344
		.amdhsa_user_sgpr_count 6
		.amdhsa_user_sgpr_private_segment_buffer 1
		.amdhsa_user_sgpr_dispatch_ptr 0
		.amdhsa_user_sgpr_queue_ptr 0
		.amdhsa_user_sgpr_kernarg_segment_ptr 1
		.amdhsa_user_sgpr_dispatch_id 0
		.amdhsa_user_sgpr_flat_scratch_init 0
		.amdhsa_user_sgpr_kernarg_preload_length 0
		.amdhsa_user_sgpr_kernarg_preload_offset 0
		.amdhsa_user_sgpr_private_segment_size 0
		.amdhsa_uses_dynamic_stack 0
		.amdhsa_system_sgpr_private_segment_wavefront_offset 0
		.amdhsa_system_sgpr_workgroup_id_x 1
		.amdhsa_system_sgpr_workgroup_id_y 0
		.amdhsa_system_sgpr_workgroup_id_z 0
		.amdhsa_system_sgpr_workgroup_info 0
		.amdhsa_system_vgpr_workitem_id 2
		.amdhsa_next_free_vgpr 55
		.amdhsa_next_free_sgpr 34
		.amdhsa_accum_offset 56
		.amdhsa_reserve_vcc 1
		.amdhsa_reserve_flat_scratch 0
		.amdhsa_float_round_mode_32 0
		.amdhsa_float_round_mode_16_64 0
		.amdhsa_float_denorm_mode_32 3
		.amdhsa_float_denorm_mode_16_64 3
		.amdhsa_dx10_clamp 1
		.amdhsa_ieee_mode 1
		.amdhsa_fp16_overflow 0
		.amdhsa_tg_split 0
		.amdhsa_exception_fp_ieee_invalid_op 0
		.amdhsa_exception_fp_denorm_src 0
		.amdhsa_exception_fp_ieee_div_zero 0
		.amdhsa_exception_fp_ieee_overflow 0
		.amdhsa_exception_fp_ieee_underflow 0
		.amdhsa_exception_fp_ieee_inexact 0
		.amdhsa_exception_int_div_zero 0
	.end_amdhsa_kernel
	.section	.text._ZN7rocprim17ROCPRIM_400000_NS6detail17trampoline_kernelINS0_14default_configENS1_35radix_sort_onesweep_config_selectorIlNS0_10empty_typeEEEZZNS1_29radix_sort_onesweep_iterationIS3_Lb0EPlS8_PS5_S9_mNS0_19identity_decomposerENS1_16block_id_wrapperIjLb1EEEEE10hipError_tT1_PNSt15iterator_traitsISE_E10value_typeET2_T3_PNSF_ISK_E10value_typeET4_T5_PSP_SQ_PNS1_23onesweep_lookback_stateEbbT6_jjT7_P12ihipStream_tbENKUlT_T0_SE_SJ_E_clIS8_S8_S9_S9_EEDaSX_SY_SE_SJ_EUlSX_E_NS1_11comp_targetILNS1_3genE4ELNS1_11target_archE910ELNS1_3gpuE8ELNS1_3repE0EEENS1_47radix_sort_onesweep_sort_config_static_selectorELNS0_4arch9wavefront6targetE1EEEvSE_,"axG",@progbits,_ZN7rocprim17ROCPRIM_400000_NS6detail17trampoline_kernelINS0_14default_configENS1_35radix_sort_onesweep_config_selectorIlNS0_10empty_typeEEEZZNS1_29radix_sort_onesweep_iterationIS3_Lb0EPlS8_PS5_S9_mNS0_19identity_decomposerENS1_16block_id_wrapperIjLb1EEEEE10hipError_tT1_PNSt15iterator_traitsISE_E10value_typeET2_T3_PNSF_ISK_E10value_typeET4_T5_PSP_SQ_PNS1_23onesweep_lookback_stateEbbT6_jjT7_P12ihipStream_tbENKUlT_T0_SE_SJ_E_clIS8_S8_S9_S9_EEDaSX_SY_SE_SJ_EUlSX_E_NS1_11comp_targetILNS1_3genE4ELNS1_11target_archE910ELNS1_3gpuE8ELNS1_3repE0EEENS1_47radix_sort_onesweep_sort_config_static_selectorELNS0_4arch9wavefront6targetE1EEEvSE_,comdat
.Lfunc_end874:
	.size	_ZN7rocprim17ROCPRIM_400000_NS6detail17trampoline_kernelINS0_14default_configENS1_35radix_sort_onesweep_config_selectorIlNS0_10empty_typeEEEZZNS1_29radix_sort_onesweep_iterationIS3_Lb0EPlS8_PS5_S9_mNS0_19identity_decomposerENS1_16block_id_wrapperIjLb1EEEEE10hipError_tT1_PNSt15iterator_traitsISE_E10value_typeET2_T3_PNSF_ISK_E10value_typeET4_T5_PSP_SQ_PNS1_23onesweep_lookback_stateEbbT6_jjT7_P12ihipStream_tbENKUlT_T0_SE_SJ_E_clIS8_S8_S9_S9_EEDaSX_SY_SE_SJ_EUlSX_E_NS1_11comp_targetILNS1_3genE4ELNS1_11target_archE910ELNS1_3gpuE8ELNS1_3repE0EEENS1_47radix_sort_onesweep_sort_config_static_selectorELNS0_4arch9wavefront6targetE1EEEvSE_, .Lfunc_end874-_ZN7rocprim17ROCPRIM_400000_NS6detail17trampoline_kernelINS0_14default_configENS1_35radix_sort_onesweep_config_selectorIlNS0_10empty_typeEEEZZNS1_29radix_sort_onesweep_iterationIS3_Lb0EPlS8_PS5_S9_mNS0_19identity_decomposerENS1_16block_id_wrapperIjLb1EEEEE10hipError_tT1_PNSt15iterator_traitsISE_E10value_typeET2_T3_PNSF_ISK_E10value_typeET4_T5_PSP_SQ_PNS1_23onesweep_lookback_stateEbbT6_jjT7_P12ihipStream_tbENKUlT_T0_SE_SJ_E_clIS8_S8_S9_S9_EEDaSX_SY_SE_SJ_EUlSX_E_NS1_11comp_targetILNS1_3genE4ELNS1_11target_archE910ELNS1_3gpuE8ELNS1_3repE0EEENS1_47radix_sort_onesweep_sort_config_static_selectorELNS0_4arch9wavefront6targetE1EEEvSE_
                                        ; -- End function
	.section	.AMDGPU.csdata,"",@progbits
; Kernel info:
; codeLenInByte = 10484
; NumSgprs: 38
; NumVgprs: 55
; NumAgprs: 0
; TotalNumVgprs: 55
; ScratchSize: 0
; MemoryBound: 0
; FloatMode: 240
; IeeeMode: 1
; LDSByteSize: 20552 bytes/workgroup (compile time only)
; SGPRBlocks: 4
; VGPRBlocks: 6
; NumSGPRsForWavesPerEU: 38
; NumVGPRsForWavesPerEU: 55
; AccumOffset: 56
; Occupancy: 8
; WaveLimiterHint : 1
; COMPUTE_PGM_RSRC2:SCRATCH_EN: 0
; COMPUTE_PGM_RSRC2:USER_SGPR: 6
; COMPUTE_PGM_RSRC2:TRAP_HANDLER: 0
; COMPUTE_PGM_RSRC2:TGID_X_EN: 1
; COMPUTE_PGM_RSRC2:TGID_Y_EN: 0
; COMPUTE_PGM_RSRC2:TGID_Z_EN: 0
; COMPUTE_PGM_RSRC2:TIDIG_COMP_CNT: 2
; COMPUTE_PGM_RSRC3_GFX90A:ACCUM_OFFSET: 13
; COMPUTE_PGM_RSRC3_GFX90A:TG_SPLIT: 0
	.section	.text._ZN7rocprim17ROCPRIM_400000_NS6detail17trampoline_kernelINS0_14default_configENS1_35radix_sort_onesweep_config_selectorIlNS0_10empty_typeEEEZZNS1_29radix_sort_onesweep_iterationIS3_Lb0EPlS8_PS5_S9_mNS0_19identity_decomposerENS1_16block_id_wrapperIjLb1EEEEE10hipError_tT1_PNSt15iterator_traitsISE_E10value_typeET2_T3_PNSF_ISK_E10value_typeET4_T5_PSP_SQ_PNS1_23onesweep_lookback_stateEbbT6_jjT7_P12ihipStream_tbENKUlT_T0_SE_SJ_E_clIS8_S8_S9_S9_EEDaSX_SY_SE_SJ_EUlSX_E_NS1_11comp_targetILNS1_3genE3ELNS1_11target_archE908ELNS1_3gpuE7ELNS1_3repE0EEENS1_47radix_sort_onesweep_sort_config_static_selectorELNS0_4arch9wavefront6targetE1EEEvSE_,"axG",@progbits,_ZN7rocprim17ROCPRIM_400000_NS6detail17trampoline_kernelINS0_14default_configENS1_35radix_sort_onesweep_config_selectorIlNS0_10empty_typeEEEZZNS1_29radix_sort_onesweep_iterationIS3_Lb0EPlS8_PS5_S9_mNS0_19identity_decomposerENS1_16block_id_wrapperIjLb1EEEEE10hipError_tT1_PNSt15iterator_traitsISE_E10value_typeET2_T3_PNSF_ISK_E10value_typeET4_T5_PSP_SQ_PNS1_23onesweep_lookback_stateEbbT6_jjT7_P12ihipStream_tbENKUlT_T0_SE_SJ_E_clIS8_S8_S9_S9_EEDaSX_SY_SE_SJ_EUlSX_E_NS1_11comp_targetILNS1_3genE3ELNS1_11target_archE908ELNS1_3gpuE7ELNS1_3repE0EEENS1_47radix_sort_onesweep_sort_config_static_selectorELNS0_4arch9wavefront6targetE1EEEvSE_,comdat
	.protected	_ZN7rocprim17ROCPRIM_400000_NS6detail17trampoline_kernelINS0_14default_configENS1_35radix_sort_onesweep_config_selectorIlNS0_10empty_typeEEEZZNS1_29radix_sort_onesweep_iterationIS3_Lb0EPlS8_PS5_S9_mNS0_19identity_decomposerENS1_16block_id_wrapperIjLb1EEEEE10hipError_tT1_PNSt15iterator_traitsISE_E10value_typeET2_T3_PNSF_ISK_E10value_typeET4_T5_PSP_SQ_PNS1_23onesweep_lookback_stateEbbT6_jjT7_P12ihipStream_tbENKUlT_T0_SE_SJ_E_clIS8_S8_S9_S9_EEDaSX_SY_SE_SJ_EUlSX_E_NS1_11comp_targetILNS1_3genE3ELNS1_11target_archE908ELNS1_3gpuE7ELNS1_3repE0EEENS1_47radix_sort_onesweep_sort_config_static_selectorELNS0_4arch9wavefront6targetE1EEEvSE_ ; -- Begin function _ZN7rocprim17ROCPRIM_400000_NS6detail17trampoline_kernelINS0_14default_configENS1_35radix_sort_onesweep_config_selectorIlNS0_10empty_typeEEEZZNS1_29radix_sort_onesweep_iterationIS3_Lb0EPlS8_PS5_S9_mNS0_19identity_decomposerENS1_16block_id_wrapperIjLb1EEEEE10hipError_tT1_PNSt15iterator_traitsISE_E10value_typeET2_T3_PNSF_ISK_E10value_typeET4_T5_PSP_SQ_PNS1_23onesweep_lookback_stateEbbT6_jjT7_P12ihipStream_tbENKUlT_T0_SE_SJ_E_clIS8_S8_S9_S9_EEDaSX_SY_SE_SJ_EUlSX_E_NS1_11comp_targetILNS1_3genE3ELNS1_11target_archE908ELNS1_3gpuE7ELNS1_3repE0EEENS1_47radix_sort_onesweep_sort_config_static_selectorELNS0_4arch9wavefront6targetE1EEEvSE_
	.globl	_ZN7rocprim17ROCPRIM_400000_NS6detail17trampoline_kernelINS0_14default_configENS1_35radix_sort_onesweep_config_selectorIlNS0_10empty_typeEEEZZNS1_29radix_sort_onesweep_iterationIS3_Lb0EPlS8_PS5_S9_mNS0_19identity_decomposerENS1_16block_id_wrapperIjLb1EEEEE10hipError_tT1_PNSt15iterator_traitsISE_E10value_typeET2_T3_PNSF_ISK_E10value_typeET4_T5_PSP_SQ_PNS1_23onesweep_lookback_stateEbbT6_jjT7_P12ihipStream_tbENKUlT_T0_SE_SJ_E_clIS8_S8_S9_S9_EEDaSX_SY_SE_SJ_EUlSX_E_NS1_11comp_targetILNS1_3genE3ELNS1_11target_archE908ELNS1_3gpuE7ELNS1_3repE0EEENS1_47radix_sort_onesweep_sort_config_static_selectorELNS0_4arch9wavefront6targetE1EEEvSE_
	.p2align	8
	.type	_ZN7rocprim17ROCPRIM_400000_NS6detail17trampoline_kernelINS0_14default_configENS1_35radix_sort_onesweep_config_selectorIlNS0_10empty_typeEEEZZNS1_29radix_sort_onesweep_iterationIS3_Lb0EPlS8_PS5_S9_mNS0_19identity_decomposerENS1_16block_id_wrapperIjLb1EEEEE10hipError_tT1_PNSt15iterator_traitsISE_E10value_typeET2_T3_PNSF_ISK_E10value_typeET4_T5_PSP_SQ_PNS1_23onesweep_lookback_stateEbbT6_jjT7_P12ihipStream_tbENKUlT_T0_SE_SJ_E_clIS8_S8_S9_S9_EEDaSX_SY_SE_SJ_EUlSX_E_NS1_11comp_targetILNS1_3genE3ELNS1_11target_archE908ELNS1_3gpuE7ELNS1_3repE0EEENS1_47radix_sort_onesweep_sort_config_static_selectorELNS0_4arch9wavefront6targetE1EEEvSE_,@function
_ZN7rocprim17ROCPRIM_400000_NS6detail17trampoline_kernelINS0_14default_configENS1_35radix_sort_onesweep_config_selectorIlNS0_10empty_typeEEEZZNS1_29radix_sort_onesweep_iterationIS3_Lb0EPlS8_PS5_S9_mNS0_19identity_decomposerENS1_16block_id_wrapperIjLb1EEEEE10hipError_tT1_PNSt15iterator_traitsISE_E10value_typeET2_T3_PNSF_ISK_E10value_typeET4_T5_PSP_SQ_PNS1_23onesweep_lookback_stateEbbT6_jjT7_P12ihipStream_tbENKUlT_T0_SE_SJ_E_clIS8_S8_S9_S9_EEDaSX_SY_SE_SJ_EUlSX_E_NS1_11comp_targetILNS1_3genE3ELNS1_11target_archE908ELNS1_3gpuE7ELNS1_3repE0EEENS1_47radix_sort_onesweep_sort_config_static_selectorELNS0_4arch9wavefront6targetE1EEEvSE_: ; @_ZN7rocprim17ROCPRIM_400000_NS6detail17trampoline_kernelINS0_14default_configENS1_35radix_sort_onesweep_config_selectorIlNS0_10empty_typeEEEZZNS1_29radix_sort_onesweep_iterationIS3_Lb0EPlS8_PS5_S9_mNS0_19identity_decomposerENS1_16block_id_wrapperIjLb1EEEEE10hipError_tT1_PNSt15iterator_traitsISE_E10value_typeET2_T3_PNSF_ISK_E10value_typeET4_T5_PSP_SQ_PNS1_23onesweep_lookback_stateEbbT6_jjT7_P12ihipStream_tbENKUlT_T0_SE_SJ_E_clIS8_S8_S9_S9_EEDaSX_SY_SE_SJ_EUlSX_E_NS1_11comp_targetILNS1_3genE3ELNS1_11target_archE908ELNS1_3gpuE7ELNS1_3repE0EEENS1_47radix_sort_onesweep_sort_config_static_selectorELNS0_4arch9wavefront6targetE1EEEvSE_
; %bb.0:
	.section	.rodata,"a",@progbits
	.p2align	6, 0x0
	.amdhsa_kernel _ZN7rocprim17ROCPRIM_400000_NS6detail17trampoline_kernelINS0_14default_configENS1_35radix_sort_onesweep_config_selectorIlNS0_10empty_typeEEEZZNS1_29radix_sort_onesweep_iterationIS3_Lb0EPlS8_PS5_S9_mNS0_19identity_decomposerENS1_16block_id_wrapperIjLb1EEEEE10hipError_tT1_PNSt15iterator_traitsISE_E10value_typeET2_T3_PNSF_ISK_E10value_typeET4_T5_PSP_SQ_PNS1_23onesweep_lookback_stateEbbT6_jjT7_P12ihipStream_tbENKUlT_T0_SE_SJ_E_clIS8_S8_S9_S9_EEDaSX_SY_SE_SJ_EUlSX_E_NS1_11comp_targetILNS1_3genE3ELNS1_11target_archE908ELNS1_3gpuE7ELNS1_3repE0EEENS1_47radix_sort_onesweep_sort_config_static_selectorELNS0_4arch9wavefront6targetE1EEEvSE_
		.amdhsa_group_segment_fixed_size 0
		.amdhsa_private_segment_fixed_size 0
		.amdhsa_kernarg_size 88
		.amdhsa_user_sgpr_count 6
		.amdhsa_user_sgpr_private_segment_buffer 1
		.amdhsa_user_sgpr_dispatch_ptr 0
		.amdhsa_user_sgpr_queue_ptr 0
		.amdhsa_user_sgpr_kernarg_segment_ptr 1
		.amdhsa_user_sgpr_dispatch_id 0
		.amdhsa_user_sgpr_flat_scratch_init 0
		.amdhsa_user_sgpr_kernarg_preload_length 0
		.amdhsa_user_sgpr_kernarg_preload_offset 0
		.amdhsa_user_sgpr_private_segment_size 0
		.amdhsa_uses_dynamic_stack 0
		.amdhsa_system_sgpr_private_segment_wavefront_offset 0
		.amdhsa_system_sgpr_workgroup_id_x 1
		.amdhsa_system_sgpr_workgroup_id_y 0
		.amdhsa_system_sgpr_workgroup_id_z 0
		.amdhsa_system_sgpr_workgroup_info 0
		.amdhsa_system_vgpr_workitem_id 0
		.amdhsa_next_free_vgpr 1
		.amdhsa_next_free_sgpr 0
		.amdhsa_accum_offset 4
		.amdhsa_reserve_vcc 0
		.amdhsa_reserve_flat_scratch 0
		.amdhsa_float_round_mode_32 0
		.amdhsa_float_round_mode_16_64 0
		.amdhsa_float_denorm_mode_32 3
		.amdhsa_float_denorm_mode_16_64 3
		.amdhsa_dx10_clamp 1
		.amdhsa_ieee_mode 1
		.amdhsa_fp16_overflow 0
		.amdhsa_tg_split 0
		.amdhsa_exception_fp_ieee_invalid_op 0
		.amdhsa_exception_fp_denorm_src 0
		.amdhsa_exception_fp_ieee_div_zero 0
		.amdhsa_exception_fp_ieee_overflow 0
		.amdhsa_exception_fp_ieee_underflow 0
		.amdhsa_exception_fp_ieee_inexact 0
		.amdhsa_exception_int_div_zero 0
	.end_amdhsa_kernel
	.section	.text._ZN7rocprim17ROCPRIM_400000_NS6detail17trampoline_kernelINS0_14default_configENS1_35radix_sort_onesweep_config_selectorIlNS0_10empty_typeEEEZZNS1_29radix_sort_onesweep_iterationIS3_Lb0EPlS8_PS5_S9_mNS0_19identity_decomposerENS1_16block_id_wrapperIjLb1EEEEE10hipError_tT1_PNSt15iterator_traitsISE_E10value_typeET2_T3_PNSF_ISK_E10value_typeET4_T5_PSP_SQ_PNS1_23onesweep_lookback_stateEbbT6_jjT7_P12ihipStream_tbENKUlT_T0_SE_SJ_E_clIS8_S8_S9_S9_EEDaSX_SY_SE_SJ_EUlSX_E_NS1_11comp_targetILNS1_3genE3ELNS1_11target_archE908ELNS1_3gpuE7ELNS1_3repE0EEENS1_47radix_sort_onesweep_sort_config_static_selectorELNS0_4arch9wavefront6targetE1EEEvSE_,"axG",@progbits,_ZN7rocprim17ROCPRIM_400000_NS6detail17trampoline_kernelINS0_14default_configENS1_35radix_sort_onesweep_config_selectorIlNS0_10empty_typeEEEZZNS1_29radix_sort_onesweep_iterationIS3_Lb0EPlS8_PS5_S9_mNS0_19identity_decomposerENS1_16block_id_wrapperIjLb1EEEEE10hipError_tT1_PNSt15iterator_traitsISE_E10value_typeET2_T3_PNSF_ISK_E10value_typeET4_T5_PSP_SQ_PNS1_23onesweep_lookback_stateEbbT6_jjT7_P12ihipStream_tbENKUlT_T0_SE_SJ_E_clIS8_S8_S9_S9_EEDaSX_SY_SE_SJ_EUlSX_E_NS1_11comp_targetILNS1_3genE3ELNS1_11target_archE908ELNS1_3gpuE7ELNS1_3repE0EEENS1_47radix_sort_onesweep_sort_config_static_selectorELNS0_4arch9wavefront6targetE1EEEvSE_,comdat
.Lfunc_end875:
	.size	_ZN7rocprim17ROCPRIM_400000_NS6detail17trampoline_kernelINS0_14default_configENS1_35radix_sort_onesweep_config_selectorIlNS0_10empty_typeEEEZZNS1_29radix_sort_onesweep_iterationIS3_Lb0EPlS8_PS5_S9_mNS0_19identity_decomposerENS1_16block_id_wrapperIjLb1EEEEE10hipError_tT1_PNSt15iterator_traitsISE_E10value_typeET2_T3_PNSF_ISK_E10value_typeET4_T5_PSP_SQ_PNS1_23onesweep_lookback_stateEbbT6_jjT7_P12ihipStream_tbENKUlT_T0_SE_SJ_E_clIS8_S8_S9_S9_EEDaSX_SY_SE_SJ_EUlSX_E_NS1_11comp_targetILNS1_3genE3ELNS1_11target_archE908ELNS1_3gpuE7ELNS1_3repE0EEENS1_47radix_sort_onesweep_sort_config_static_selectorELNS0_4arch9wavefront6targetE1EEEvSE_, .Lfunc_end875-_ZN7rocprim17ROCPRIM_400000_NS6detail17trampoline_kernelINS0_14default_configENS1_35radix_sort_onesweep_config_selectorIlNS0_10empty_typeEEEZZNS1_29radix_sort_onesweep_iterationIS3_Lb0EPlS8_PS5_S9_mNS0_19identity_decomposerENS1_16block_id_wrapperIjLb1EEEEE10hipError_tT1_PNSt15iterator_traitsISE_E10value_typeET2_T3_PNSF_ISK_E10value_typeET4_T5_PSP_SQ_PNS1_23onesweep_lookback_stateEbbT6_jjT7_P12ihipStream_tbENKUlT_T0_SE_SJ_E_clIS8_S8_S9_S9_EEDaSX_SY_SE_SJ_EUlSX_E_NS1_11comp_targetILNS1_3genE3ELNS1_11target_archE908ELNS1_3gpuE7ELNS1_3repE0EEENS1_47radix_sort_onesweep_sort_config_static_selectorELNS0_4arch9wavefront6targetE1EEEvSE_
                                        ; -- End function
	.section	.AMDGPU.csdata,"",@progbits
; Kernel info:
; codeLenInByte = 0
; NumSgprs: 4
; NumVgprs: 0
; NumAgprs: 0
; TotalNumVgprs: 0
; ScratchSize: 0
; MemoryBound: 0
; FloatMode: 240
; IeeeMode: 1
; LDSByteSize: 0 bytes/workgroup (compile time only)
; SGPRBlocks: 0
; VGPRBlocks: 0
; NumSGPRsForWavesPerEU: 4
; NumVGPRsForWavesPerEU: 1
; AccumOffset: 4
; Occupancy: 8
; WaveLimiterHint : 0
; COMPUTE_PGM_RSRC2:SCRATCH_EN: 0
; COMPUTE_PGM_RSRC2:USER_SGPR: 6
; COMPUTE_PGM_RSRC2:TRAP_HANDLER: 0
; COMPUTE_PGM_RSRC2:TGID_X_EN: 1
; COMPUTE_PGM_RSRC2:TGID_Y_EN: 0
; COMPUTE_PGM_RSRC2:TGID_Z_EN: 0
; COMPUTE_PGM_RSRC2:TIDIG_COMP_CNT: 0
; COMPUTE_PGM_RSRC3_GFX90A:ACCUM_OFFSET: 0
; COMPUTE_PGM_RSRC3_GFX90A:TG_SPLIT: 0
	.section	.text._ZN7rocprim17ROCPRIM_400000_NS6detail17trampoline_kernelINS0_14default_configENS1_35radix_sort_onesweep_config_selectorIlNS0_10empty_typeEEEZZNS1_29radix_sort_onesweep_iterationIS3_Lb0EPlS8_PS5_S9_mNS0_19identity_decomposerENS1_16block_id_wrapperIjLb1EEEEE10hipError_tT1_PNSt15iterator_traitsISE_E10value_typeET2_T3_PNSF_ISK_E10value_typeET4_T5_PSP_SQ_PNS1_23onesweep_lookback_stateEbbT6_jjT7_P12ihipStream_tbENKUlT_T0_SE_SJ_E_clIS8_S8_S9_S9_EEDaSX_SY_SE_SJ_EUlSX_E_NS1_11comp_targetILNS1_3genE10ELNS1_11target_archE1201ELNS1_3gpuE5ELNS1_3repE0EEENS1_47radix_sort_onesweep_sort_config_static_selectorELNS0_4arch9wavefront6targetE1EEEvSE_,"axG",@progbits,_ZN7rocprim17ROCPRIM_400000_NS6detail17trampoline_kernelINS0_14default_configENS1_35radix_sort_onesweep_config_selectorIlNS0_10empty_typeEEEZZNS1_29radix_sort_onesweep_iterationIS3_Lb0EPlS8_PS5_S9_mNS0_19identity_decomposerENS1_16block_id_wrapperIjLb1EEEEE10hipError_tT1_PNSt15iterator_traitsISE_E10value_typeET2_T3_PNSF_ISK_E10value_typeET4_T5_PSP_SQ_PNS1_23onesweep_lookback_stateEbbT6_jjT7_P12ihipStream_tbENKUlT_T0_SE_SJ_E_clIS8_S8_S9_S9_EEDaSX_SY_SE_SJ_EUlSX_E_NS1_11comp_targetILNS1_3genE10ELNS1_11target_archE1201ELNS1_3gpuE5ELNS1_3repE0EEENS1_47radix_sort_onesweep_sort_config_static_selectorELNS0_4arch9wavefront6targetE1EEEvSE_,comdat
	.protected	_ZN7rocprim17ROCPRIM_400000_NS6detail17trampoline_kernelINS0_14default_configENS1_35radix_sort_onesweep_config_selectorIlNS0_10empty_typeEEEZZNS1_29radix_sort_onesweep_iterationIS3_Lb0EPlS8_PS5_S9_mNS0_19identity_decomposerENS1_16block_id_wrapperIjLb1EEEEE10hipError_tT1_PNSt15iterator_traitsISE_E10value_typeET2_T3_PNSF_ISK_E10value_typeET4_T5_PSP_SQ_PNS1_23onesweep_lookback_stateEbbT6_jjT7_P12ihipStream_tbENKUlT_T0_SE_SJ_E_clIS8_S8_S9_S9_EEDaSX_SY_SE_SJ_EUlSX_E_NS1_11comp_targetILNS1_3genE10ELNS1_11target_archE1201ELNS1_3gpuE5ELNS1_3repE0EEENS1_47radix_sort_onesweep_sort_config_static_selectorELNS0_4arch9wavefront6targetE1EEEvSE_ ; -- Begin function _ZN7rocprim17ROCPRIM_400000_NS6detail17trampoline_kernelINS0_14default_configENS1_35radix_sort_onesweep_config_selectorIlNS0_10empty_typeEEEZZNS1_29radix_sort_onesweep_iterationIS3_Lb0EPlS8_PS5_S9_mNS0_19identity_decomposerENS1_16block_id_wrapperIjLb1EEEEE10hipError_tT1_PNSt15iterator_traitsISE_E10value_typeET2_T3_PNSF_ISK_E10value_typeET4_T5_PSP_SQ_PNS1_23onesweep_lookback_stateEbbT6_jjT7_P12ihipStream_tbENKUlT_T0_SE_SJ_E_clIS8_S8_S9_S9_EEDaSX_SY_SE_SJ_EUlSX_E_NS1_11comp_targetILNS1_3genE10ELNS1_11target_archE1201ELNS1_3gpuE5ELNS1_3repE0EEENS1_47radix_sort_onesweep_sort_config_static_selectorELNS0_4arch9wavefront6targetE1EEEvSE_
	.globl	_ZN7rocprim17ROCPRIM_400000_NS6detail17trampoline_kernelINS0_14default_configENS1_35radix_sort_onesweep_config_selectorIlNS0_10empty_typeEEEZZNS1_29radix_sort_onesweep_iterationIS3_Lb0EPlS8_PS5_S9_mNS0_19identity_decomposerENS1_16block_id_wrapperIjLb1EEEEE10hipError_tT1_PNSt15iterator_traitsISE_E10value_typeET2_T3_PNSF_ISK_E10value_typeET4_T5_PSP_SQ_PNS1_23onesweep_lookback_stateEbbT6_jjT7_P12ihipStream_tbENKUlT_T0_SE_SJ_E_clIS8_S8_S9_S9_EEDaSX_SY_SE_SJ_EUlSX_E_NS1_11comp_targetILNS1_3genE10ELNS1_11target_archE1201ELNS1_3gpuE5ELNS1_3repE0EEENS1_47radix_sort_onesweep_sort_config_static_selectorELNS0_4arch9wavefront6targetE1EEEvSE_
	.p2align	8
	.type	_ZN7rocprim17ROCPRIM_400000_NS6detail17trampoline_kernelINS0_14default_configENS1_35radix_sort_onesweep_config_selectorIlNS0_10empty_typeEEEZZNS1_29radix_sort_onesweep_iterationIS3_Lb0EPlS8_PS5_S9_mNS0_19identity_decomposerENS1_16block_id_wrapperIjLb1EEEEE10hipError_tT1_PNSt15iterator_traitsISE_E10value_typeET2_T3_PNSF_ISK_E10value_typeET4_T5_PSP_SQ_PNS1_23onesweep_lookback_stateEbbT6_jjT7_P12ihipStream_tbENKUlT_T0_SE_SJ_E_clIS8_S8_S9_S9_EEDaSX_SY_SE_SJ_EUlSX_E_NS1_11comp_targetILNS1_3genE10ELNS1_11target_archE1201ELNS1_3gpuE5ELNS1_3repE0EEENS1_47radix_sort_onesweep_sort_config_static_selectorELNS0_4arch9wavefront6targetE1EEEvSE_,@function
_ZN7rocprim17ROCPRIM_400000_NS6detail17trampoline_kernelINS0_14default_configENS1_35radix_sort_onesweep_config_selectorIlNS0_10empty_typeEEEZZNS1_29radix_sort_onesweep_iterationIS3_Lb0EPlS8_PS5_S9_mNS0_19identity_decomposerENS1_16block_id_wrapperIjLb1EEEEE10hipError_tT1_PNSt15iterator_traitsISE_E10value_typeET2_T3_PNSF_ISK_E10value_typeET4_T5_PSP_SQ_PNS1_23onesweep_lookback_stateEbbT6_jjT7_P12ihipStream_tbENKUlT_T0_SE_SJ_E_clIS8_S8_S9_S9_EEDaSX_SY_SE_SJ_EUlSX_E_NS1_11comp_targetILNS1_3genE10ELNS1_11target_archE1201ELNS1_3gpuE5ELNS1_3repE0EEENS1_47radix_sort_onesweep_sort_config_static_selectorELNS0_4arch9wavefront6targetE1EEEvSE_: ; @_ZN7rocprim17ROCPRIM_400000_NS6detail17trampoline_kernelINS0_14default_configENS1_35radix_sort_onesweep_config_selectorIlNS0_10empty_typeEEEZZNS1_29radix_sort_onesweep_iterationIS3_Lb0EPlS8_PS5_S9_mNS0_19identity_decomposerENS1_16block_id_wrapperIjLb1EEEEE10hipError_tT1_PNSt15iterator_traitsISE_E10value_typeET2_T3_PNSF_ISK_E10value_typeET4_T5_PSP_SQ_PNS1_23onesweep_lookback_stateEbbT6_jjT7_P12ihipStream_tbENKUlT_T0_SE_SJ_E_clIS8_S8_S9_S9_EEDaSX_SY_SE_SJ_EUlSX_E_NS1_11comp_targetILNS1_3genE10ELNS1_11target_archE1201ELNS1_3gpuE5ELNS1_3repE0EEENS1_47radix_sort_onesweep_sort_config_static_selectorELNS0_4arch9wavefront6targetE1EEEvSE_
; %bb.0:
	.section	.rodata,"a",@progbits
	.p2align	6, 0x0
	.amdhsa_kernel _ZN7rocprim17ROCPRIM_400000_NS6detail17trampoline_kernelINS0_14default_configENS1_35radix_sort_onesweep_config_selectorIlNS0_10empty_typeEEEZZNS1_29radix_sort_onesweep_iterationIS3_Lb0EPlS8_PS5_S9_mNS0_19identity_decomposerENS1_16block_id_wrapperIjLb1EEEEE10hipError_tT1_PNSt15iterator_traitsISE_E10value_typeET2_T3_PNSF_ISK_E10value_typeET4_T5_PSP_SQ_PNS1_23onesweep_lookback_stateEbbT6_jjT7_P12ihipStream_tbENKUlT_T0_SE_SJ_E_clIS8_S8_S9_S9_EEDaSX_SY_SE_SJ_EUlSX_E_NS1_11comp_targetILNS1_3genE10ELNS1_11target_archE1201ELNS1_3gpuE5ELNS1_3repE0EEENS1_47radix_sort_onesweep_sort_config_static_selectorELNS0_4arch9wavefront6targetE1EEEvSE_
		.amdhsa_group_segment_fixed_size 0
		.amdhsa_private_segment_fixed_size 0
		.amdhsa_kernarg_size 88
		.amdhsa_user_sgpr_count 6
		.amdhsa_user_sgpr_private_segment_buffer 1
		.amdhsa_user_sgpr_dispatch_ptr 0
		.amdhsa_user_sgpr_queue_ptr 0
		.amdhsa_user_sgpr_kernarg_segment_ptr 1
		.amdhsa_user_sgpr_dispatch_id 0
		.amdhsa_user_sgpr_flat_scratch_init 0
		.amdhsa_user_sgpr_kernarg_preload_length 0
		.amdhsa_user_sgpr_kernarg_preload_offset 0
		.amdhsa_user_sgpr_private_segment_size 0
		.amdhsa_uses_dynamic_stack 0
		.amdhsa_system_sgpr_private_segment_wavefront_offset 0
		.amdhsa_system_sgpr_workgroup_id_x 1
		.amdhsa_system_sgpr_workgroup_id_y 0
		.amdhsa_system_sgpr_workgroup_id_z 0
		.amdhsa_system_sgpr_workgroup_info 0
		.amdhsa_system_vgpr_workitem_id 0
		.amdhsa_next_free_vgpr 1
		.amdhsa_next_free_sgpr 0
		.amdhsa_accum_offset 4
		.amdhsa_reserve_vcc 0
		.amdhsa_reserve_flat_scratch 0
		.amdhsa_float_round_mode_32 0
		.amdhsa_float_round_mode_16_64 0
		.amdhsa_float_denorm_mode_32 3
		.amdhsa_float_denorm_mode_16_64 3
		.amdhsa_dx10_clamp 1
		.amdhsa_ieee_mode 1
		.amdhsa_fp16_overflow 0
		.amdhsa_tg_split 0
		.amdhsa_exception_fp_ieee_invalid_op 0
		.amdhsa_exception_fp_denorm_src 0
		.amdhsa_exception_fp_ieee_div_zero 0
		.amdhsa_exception_fp_ieee_overflow 0
		.amdhsa_exception_fp_ieee_underflow 0
		.amdhsa_exception_fp_ieee_inexact 0
		.amdhsa_exception_int_div_zero 0
	.end_amdhsa_kernel
	.section	.text._ZN7rocprim17ROCPRIM_400000_NS6detail17trampoline_kernelINS0_14default_configENS1_35radix_sort_onesweep_config_selectorIlNS0_10empty_typeEEEZZNS1_29radix_sort_onesweep_iterationIS3_Lb0EPlS8_PS5_S9_mNS0_19identity_decomposerENS1_16block_id_wrapperIjLb1EEEEE10hipError_tT1_PNSt15iterator_traitsISE_E10value_typeET2_T3_PNSF_ISK_E10value_typeET4_T5_PSP_SQ_PNS1_23onesweep_lookback_stateEbbT6_jjT7_P12ihipStream_tbENKUlT_T0_SE_SJ_E_clIS8_S8_S9_S9_EEDaSX_SY_SE_SJ_EUlSX_E_NS1_11comp_targetILNS1_3genE10ELNS1_11target_archE1201ELNS1_3gpuE5ELNS1_3repE0EEENS1_47radix_sort_onesweep_sort_config_static_selectorELNS0_4arch9wavefront6targetE1EEEvSE_,"axG",@progbits,_ZN7rocprim17ROCPRIM_400000_NS6detail17trampoline_kernelINS0_14default_configENS1_35radix_sort_onesweep_config_selectorIlNS0_10empty_typeEEEZZNS1_29radix_sort_onesweep_iterationIS3_Lb0EPlS8_PS5_S9_mNS0_19identity_decomposerENS1_16block_id_wrapperIjLb1EEEEE10hipError_tT1_PNSt15iterator_traitsISE_E10value_typeET2_T3_PNSF_ISK_E10value_typeET4_T5_PSP_SQ_PNS1_23onesweep_lookback_stateEbbT6_jjT7_P12ihipStream_tbENKUlT_T0_SE_SJ_E_clIS8_S8_S9_S9_EEDaSX_SY_SE_SJ_EUlSX_E_NS1_11comp_targetILNS1_3genE10ELNS1_11target_archE1201ELNS1_3gpuE5ELNS1_3repE0EEENS1_47radix_sort_onesweep_sort_config_static_selectorELNS0_4arch9wavefront6targetE1EEEvSE_,comdat
.Lfunc_end876:
	.size	_ZN7rocprim17ROCPRIM_400000_NS6detail17trampoline_kernelINS0_14default_configENS1_35radix_sort_onesweep_config_selectorIlNS0_10empty_typeEEEZZNS1_29radix_sort_onesweep_iterationIS3_Lb0EPlS8_PS5_S9_mNS0_19identity_decomposerENS1_16block_id_wrapperIjLb1EEEEE10hipError_tT1_PNSt15iterator_traitsISE_E10value_typeET2_T3_PNSF_ISK_E10value_typeET4_T5_PSP_SQ_PNS1_23onesweep_lookback_stateEbbT6_jjT7_P12ihipStream_tbENKUlT_T0_SE_SJ_E_clIS8_S8_S9_S9_EEDaSX_SY_SE_SJ_EUlSX_E_NS1_11comp_targetILNS1_3genE10ELNS1_11target_archE1201ELNS1_3gpuE5ELNS1_3repE0EEENS1_47radix_sort_onesweep_sort_config_static_selectorELNS0_4arch9wavefront6targetE1EEEvSE_, .Lfunc_end876-_ZN7rocprim17ROCPRIM_400000_NS6detail17trampoline_kernelINS0_14default_configENS1_35radix_sort_onesweep_config_selectorIlNS0_10empty_typeEEEZZNS1_29radix_sort_onesweep_iterationIS3_Lb0EPlS8_PS5_S9_mNS0_19identity_decomposerENS1_16block_id_wrapperIjLb1EEEEE10hipError_tT1_PNSt15iterator_traitsISE_E10value_typeET2_T3_PNSF_ISK_E10value_typeET4_T5_PSP_SQ_PNS1_23onesweep_lookback_stateEbbT6_jjT7_P12ihipStream_tbENKUlT_T0_SE_SJ_E_clIS8_S8_S9_S9_EEDaSX_SY_SE_SJ_EUlSX_E_NS1_11comp_targetILNS1_3genE10ELNS1_11target_archE1201ELNS1_3gpuE5ELNS1_3repE0EEENS1_47radix_sort_onesweep_sort_config_static_selectorELNS0_4arch9wavefront6targetE1EEEvSE_
                                        ; -- End function
	.section	.AMDGPU.csdata,"",@progbits
; Kernel info:
; codeLenInByte = 0
; NumSgprs: 4
; NumVgprs: 0
; NumAgprs: 0
; TotalNumVgprs: 0
; ScratchSize: 0
; MemoryBound: 0
; FloatMode: 240
; IeeeMode: 1
; LDSByteSize: 0 bytes/workgroup (compile time only)
; SGPRBlocks: 0
; VGPRBlocks: 0
; NumSGPRsForWavesPerEU: 4
; NumVGPRsForWavesPerEU: 1
; AccumOffset: 4
; Occupancy: 8
; WaveLimiterHint : 0
; COMPUTE_PGM_RSRC2:SCRATCH_EN: 0
; COMPUTE_PGM_RSRC2:USER_SGPR: 6
; COMPUTE_PGM_RSRC2:TRAP_HANDLER: 0
; COMPUTE_PGM_RSRC2:TGID_X_EN: 1
; COMPUTE_PGM_RSRC2:TGID_Y_EN: 0
; COMPUTE_PGM_RSRC2:TGID_Z_EN: 0
; COMPUTE_PGM_RSRC2:TIDIG_COMP_CNT: 0
; COMPUTE_PGM_RSRC3_GFX90A:ACCUM_OFFSET: 0
; COMPUTE_PGM_RSRC3_GFX90A:TG_SPLIT: 0
	.section	.text._ZN7rocprim17ROCPRIM_400000_NS6detail17trampoline_kernelINS0_14default_configENS1_35radix_sort_onesweep_config_selectorIlNS0_10empty_typeEEEZZNS1_29radix_sort_onesweep_iterationIS3_Lb0EPlS8_PS5_S9_mNS0_19identity_decomposerENS1_16block_id_wrapperIjLb1EEEEE10hipError_tT1_PNSt15iterator_traitsISE_E10value_typeET2_T3_PNSF_ISK_E10value_typeET4_T5_PSP_SQ_PNS1_23onesweep_lookback_stateEbbT6_jjT7_P12ihipStream_tbENKUlT_T0_SE_SJ_E_clIS8_S8_S9_S9_EEDaSX_SY_SE_SJ_EUlSX_E_NS1_11comp_targetILNS1_3genE9ELNS1_11target_archE1100ELNS1_3gpuE3ELNS1_3repE0EEENS1_47radix_sort_onesweep_sort_config_static_selectorELNS0_4arch9wavefront6targetE1EEEvSE_,"axG",@progbits,_ZN7rocprim17ROCPRIM_400000_NS6detail17trampoline_kernelINS0_14default_configENS1_35radix_sort_onesweep_config_selectorIlNS0_10empty_typeEEEZZNS1_29radix_sort_onesweep_iterationIS3_Lb0EPlS8_PS5_S9_mNS0_19identity_decomposerENS1_16block_id_wrapperIjLb1EEEEE10hipError_tT1_PNSt15iterator_traitsISE_E10value_typeET2_T3_PNSF_ISK_E10value_typeET4_T5_PSP_SQ_PNS1_23onesweep_lookback_stateEbbT6_jjT7_P12ihipStream_tbENKUlT_T0_SE_SJ_E_clIS8_S8_S9_S9_EEDaSX_SY_SE_SJ_EUlSX_E_NS1_11comp_targetILNS1_3genE9ELNS1_11target_archE1100ELNS1_3gpuE3ELNS1_3repE0EEENS1_47radix_sort_onesweep_sort_config_static_selectorELNS0_4arch9wavefront6targetE1EEEvSE_,comdat
	.protected	_ZN7rocprim17ROCPRIM_400000_NS6detail17trampoline_kernelINS0_14default_configENS1_35radix_sort_onesweep_config_selectorIlNS0_10empty_typeEEEZZNS1_29radix_sort_onesweep_iterationIS3_Lb0EPlS8_PS5_S9_mNS0_19identity_decomposerENS1_16block_id_wrapperIjLb1EEEEE10hipError_tT1_PNSt15iterator_traitsISE_E10value_typeET2_T3_PNSF_ISK_E10value_typeET4_T5_PSP_SQ_PNS1_23onesweep_lookback_stateEbbT6_jjT7_P12ihipStream_tbENKUlT_T0_SE_SJ_E_clIS8_S8_S9_S9_EEDaSX_SY_SE_SJ_EUlSX_E_NS1_11comp_targetILNS1_3genE9ELNS1_11target_archE1100ELNS1_3gpuE3ELNS1_3repE0EEENS1_47radix_sort_onesweep_sort_config_static_selectorELNS0_4arch9wavefront6targetE1EEEvSE_ ; -- Begin function _ZN7rocprim17ROCPRIM_400000_NS6detail17trampoline_kernelINS0_14default_configENS1_35radix_sort_onesweep_config_selectorIlNS0_10empty_typeEEEZZNS1_29radix_sort_onesweep_iterationIS3_Lb0EPlS8_PS5_S9_mNS0_19identity_decomposerENS1_16block_id_wrapperIjLb1EEEEE10hipError_tT1_PNSt15iterator_traitsISE_E10value_typeET2_T3_PNSF_ISK_E10value_typeET4_T5_PSP_SQ_PNS1_23onesweep_lookback_stateEbbT6_jjT7_P12ihipStream_tbENKUlT_T0_SE_SJ_E_clIS8_S8_S9_S9_EEDaSX_SY_SE_SJ_EUlSX_E_NS1_11comp_targetILNS1_3genE9ELNS1_11target_archE1100ELNS1_3gpuE3ELNS1_3repE0EEENS1_47radix_sort_onesweep_sort_config_static_selectorELNS0_4arch9wavefront6targetE1EEEvSE_
	.globl	_ZN7rocprim17ROCPRIM_400000_NS6detail17trampoline_kernelINS0_14default_configENS1_35radix_sort_onesweep_config_selectorIlNS0_10empty_typeEEEZZNS1_29radix_sort_onesweep_iterationIS3_Lb0EPlS8_PS5_S9_mNS0_19identity_decomposerENS1_16block_id_wrapperIjLb1EEEEE10hipError_tT1_PNSt15iterator_traitsISE_E10value_typeET2_T3_PNSF_ISK_E10value_typeET4_T5_PSP_SQ_PNS1_23onesweep_lookback_stateEbbT6_jjT7_P12ihipStream_tbENKUlT_T0_SE_SJ_E_clIS8_S8_S9_S9_EEDaSX_SY_SE_SJ_EUlSX_E_NS1_11comp_targetILNS1_3genE9ELNS1_11target_archE1100ELNS1_3gpuE3ELNS1_3repE0EEENS1_47radix_sort_onesweep_sort_config_static_selectorELNS0_4arch9wavefront6targetE1EEEvSE_
	.p2align	8
	.type	_ZN7rocprim17ROCPRIM_400000_NS6detail17trampoline_kernelINS0_14default_configENS1_35radix_sort_onesweep_config_selectorIlNS0_10empty_typeEEEZZNS1_29radix_sort_onesweep_iterationIS3_Lb0EPlS8_PS5_S9_mNS0_19identity_decomposerENS1_16block_id_wrapperIjLb1EEEEE10hipError_tT1_PNSt15iterator_traitsISE_E10value_typeET2_T3_PNSF_ISK_E10value_typeET4_T5_PSP_SQ_PNS1_23onesweep_lookback_stateEbbT6_jjT7_P12ihipStream_tbENKUlT_T0_SE_SJ_E_clIS8_S8_S9_S9_EEDaSX_SY_SE_SJ_EUlSX_E_NS1_11comp_targetILNS1_3genE9ELNS1_11target_archE1100ELNS1_3gpuE3ELNS1_3repE0EEENS1_47radix_sort_onesweep_sort_config_static_selectorELNS0_4arch9wavefront6targetE1EEEvSE_,@function
_ZN7rocprim17ROCPRIM_400000_NS6detail17trampoline_kernelINS0_14default_configENS1_35radix_sort_onesweep_config_selectorIlNS0_10empty_typeEEEZZNS1_29radix_sort_onesweep_iterationIS3_Lb0EPlS8_PS5_S9_mNS0_19identity_decomposerENS1_16block_id_wrapperIjLb1EEEEE10hipError_tT1_PNSt15iterator_traitsISE_E10value_typeET2_T3_PNSF_ISK_E10value_typeET4_T5_PSP_SQ_PNS1_23onesweep_lookback_stateEbbT6_jjT7_P12ihipStream_tbENKUlT_T0_SE_SJ_E_clIS8_S8_S9_S9_EEDaSX_SY_SE_SJ_EUlSX_E_NS1_11comp_targetILNS1_3genE9ELNS1_11target_archE1100ELNS1_3gpuE3ELNS1_3repE0EEENS1_47radix_sort_onesweep_sort_config_static_selectorELNS0_4arch9wavefront6targetE1EEEvSE_: ; @_ZN7rocprim17ROCPRIM_400000_NS6detail17trampoline_kernelINS0_14default_configENS1_35radix_sort_onesweep_config_selectorIlNS0_10empty_typeEEEZZNS1_29radix_sort_onesweep_iterationIS3_Lb0EPlS8_PS5_S9_mNS0_19identity_decomposerENS1_16block_id_wrapperIjLb1EEEEE10hipError_tT1_PNSt15iterator_traitsISE_E10value_typeET2_T3_PNSF_ISK_E10value_typeET4_T5_PSP_SQ_PNS1_23onesweep_lookback_stateEbbT6_jjT7_P12ihipStream_tbENKUlT_T0_SE_SJ_E_clIS8_S8_S9_S9_EEDaSX_SY_SE_SJ_EUlSX_E_NS1_11comp_targetILNS1_3genE9ELNS1_11target_archE1100ELNS1_3gpuE3ELNS1_3repE0EEENS1_47radix_sort_onesweep_sort_config_static_selectorELNS0_4arch9wavefront6targetE1EEEvSE_
; %bb.0:
	.section	.rodata,"a",@progbits
	.p2align	6, 0x0
	.amdhsa_kernel _ZN7rocprim17ROCPRIM_400000_NS6detail17trampoline_kernelINS0_14default_configENS1_35radix_sort_onesweep_config_selectorIlNS0_10empty_typeEEEZZNS1_29radix_sort_onesweep_iterationIS3_Lb0EPlS8_PS5_S9_mNS0_19identity_decomposerENS1_16block_id_wrapperIjLb1EEEEE10hipError_tT1_PNSt15iterator_traitsISE_E10value_typeET2_T3_PNSF_ISK_E10value_typeET4_T5_PSP_SQ_PNS1_23onesweep_lookback_stateEbbT6_jjT7_P12ihipStream_tbENKUlT_T0_SE_SJ_E_clIS8_S8_S9_S9_EEDaSX_SY_SE_SJ_EUlSX_E_NS1_11comp_targetILNS1_3genE9ELNS1_11target_archE1100ELNS1_3gpuE3ELNS1_3repE0EEENS1_47radix_sort_onesweep_sort_config_static_selectorELNS0_4arch9wavefront6targetE1EEEvSE_
		.amdhsa_group_segment_fixed_size 0
		.amdhsa_private_segment_fixed_size 0
		.amdhsa_kernarg_size 88
		.amdhsa_user_sgpr_count 6
		.amdhsa_user_sgpr_private_segment_buffer 1
		.amdhsa_user_sgpr_dispatch_ptr 0
		.amdhsa_user_sgpr_queue_ptr 0
		.amdhsa_user_sgpr_kernarg_segment_ptr 1
		.amdhsa_user_sgpr_dispatch_id 0
		.amdhsa_user_sgpr_flat_scratch_init 0
		.amdhsa_user_sgpr_kernarg_preload_length 0
		.amdhsa_user_sgpr_kernarg_preload_offset 0
		.amdhsa_user_sgpr_private_segment_size 0
		.amdhsa_uses_dynamic_stack 0
		.amdhsa_system_sgpr_private_segment_wavefront_offset 0
		.amdhsa_system_sgpr_workgroup_id_x 1
		.amdhsa_system_sgpr_workgroup_id_y 0
		.amdhsa_system_sgpr_workgroup_id_z 0
		.amdhsa_system_sgpr_workgroup_info 0
		.amdhsa_system_vgpr_workitem_id 0
		.amdhsa_next_free_vgpr 1
		.amdhsa_next_free_sgpr 0
		.amdhsa_accum_offset 4
		.amdhsa_reserve_vcc 0
		.amdhsa_reserve_flat_scratch 0
		.amdhsa_float_round_mode_32 0
		.amdhsa_float_round_mode_16_64 0
		.amdhsa_float_denorm_mode_32 3
		.amdhsa_float_denorm_mode_16_64 3
		.amdhsa_dx10_clamp 1
		.amdhsa_ieee_mode 1
		.amdhsa_fp16_overflow 0
		.amdhsa_tg_split 0
		.amdhsa_exception_fp_ieee_invalid_op 0
		.amdhsa_exception_fp_denorm_src 0
		.amdhsa_exception_fp_ieee_div_zero 0
		.amdhsa_exception_fp_ieee_overflow 0
		.amdhsa_exception_fp_ieee_underflow 0
		.amdhsa_exception_fp_ieee_inexact 0
		.amdhsa_exception_int_div_zero 0
	.end_amdhsa_kernel
	.section	.text._ZN7rocprim17ROCPRIM_400000_NS6detail17trampoline_kernelINS0_14default_configENS1_35radix_sort_onesweep_config_selectorIlNS0_10empty_typeEEEZZNS1_29radix_sort_onesweep_iterationIS3_Lb0EPlS8_PS5_S9_mNS0_19identity_decomposerENS1_16block_id_wrapperIjLb1EEEEE10hipError_tT1_PNSt15iterator_traitsISE_E10value_typeET2_T3_PNSF_ISK_E10value_typeET4_T5_PSP_SQ_PNS1_23onesweep_lookback_stateEbbT6_jjT7_P12ihipStream_tbENKUlT_T0_SE_SJ_E_clIS8_S8_S9_S9_EEDaSX_SY_SE_SJ_EUlSX_E_NS1_11comp_targetILNS1_3genE9ELNS1_11target_archE1100ELNS1_3gpuE3ELNS1_3repE0EEENS1_47radix_sort_onesweep_sort_config_static_selectorELNS0_4arch9wavefront6targetE1EEEvSE_,"axG",@progbits,_ZN7rocprim17ROCPRIM_400000_NS6detail17trampoline_kernelINS0_14default_configENS1_35radix_sort_onesweep_config_selectorIlNS0_10empty_typeEEEZZNS1_29radix_sort_onesweep_iterationIS3_Lb0EPlS8_PS5_S9_mNS0_19identity_decomposerENS1_16block_id_wrapperIjLb1EEEEE10hipError_tT1_PNSt15iterator_traitsISE_E10value_typeET2_T3_PNSF_ISK_E10value_typeET4_T5_PSP_SQ_PNS1_23onesweep_lookback_stateEbbT6_jjT7_P12ihipStream_tbENKUlT_T0_SE_SJ_E_clIS8_S8_S9_S9_EEDaSX_SY_SE_SJ_EUlSX_E_NS1_11comp_targetILNS1_3genE9ELNS1_11target_archE1100ELNS1_3gpuE3ELNS1_3repE0EEENS1_47radix_sort_onesweep_sort_config_static_selectorELNS0_4arch9wavefront6targetE1EEEvSE_,comdat
.Lfunc_end877:
	.size	_ZN7rocprim17ROCPRIM_400000_NS6detail17trampoline_kernelINS0_14default_configENS1_35radix_sort_onesweep_config_selectorIlNS0_10empty_typeEEEZZNS1_29radix_sort_onesweep_iterationIS3_Lb0EPlS8_PS5_S9_mNS0_19identity_decomposerENS1_16block_id_wrapperIjLb1EEEEE10hipError_tT1_PNSt15iterator_traitsISE_E10value_typeET2_T3_PNSF_ISK_E10value_typeET4_T5_PSP_SQ_PNS1_23onesweep_lookback_stateEbbT6_jjT7_P12ihipStream_tbENKUlT_T0_SE_SJ_E_clIS8_S8_S9_S9_EEDaSX_SY_SE_SJ_EUlSX_E_NS1_11comp_targetILNS1_3genE9ELNS1_11target_archE1100ELNS1_3gpuE3ELNS1_3repE0EEENS1_47radix_sort_onesweep_sort_config_static_selectorELNS0_4arch9wavefront6targetE1EEEvSE_, .Lfunc_end877-_ZN7rocprim17ROCPRIM_400000_NS6detail17trampoline_kernelINS0_14default_configENS1_35radix_sort_onesweep_config_selectorIlNS0_10empty_typeEEEZZNS1_29radix_sort_onesweep_iterationIS3_Lb0EPlS8_PS5_S9_mNS0_19identity_decomposerENS1_16block_id_wrapperIjLb1EEEEE10hipError_tT1_PNSt15iterator_traitsISE_E10value_typeET2_T3_PNSF_ISK_E10value_typeET4_T5_PSP_SQ_PNS1_23onesweep_lookback_stateEbbT6_jjT7_P12ihipStream_tbENKUlT_T0_SE_SJ_E_clIS8_S8_S9_S9_EEDaSX_SY_SE_SJ_EUlSX_E_NS1_11comp_targetILNS1_3genE9ELNS1_11target_archE1100ELNS1_3gpuE3ELNS1_3repE0EEENS1_47radix_sort_onesweep_sort_config_static_selectorELNS0_4arch9wavefront6targetE1EEEvSE_
                                        ; -- End function
	.section	.AMDGPU.csdata,"",@progbits
; Kernel info:
; codeLenInByte = 0
; NumSgprs: 4
; NumVgprs: 0
; NumAgprs: 0
; TotalNumVgprs: 0
; ScratchSize: 0
; MemoryBound: 0
; FloatMode: 240
; IeeeMode: 1
; LDSByteSize: 0 bytes/workgroup (compile time only)
; SGPRBlocks: 0
; VGPRBlocks: 0
; NumSGPRsForWavesPerEU: 4
; NumVGPRsForWavesPerEU: 1
; AccumOffset: 4
; Occupancy: 8
; WaveLimiterHint : 0
; COMPUTE_PGM_RSRC2:SCRATCH_EN: 0
; COMPUTE_PGM_RSRC2:USER_SGPR: 6
; COMPUTE_PGM_RSRC2:TRAP_HANDLER: 0
; COMPUTE_PGM_RSRC2:TGID_X_EN: 1
; COMPUTE_PGM_RSRC2:TGID_Y_EN: 0
; COMPUTE_PGM_RSRC2:TGID_Z_EN: 0
; COMPUTE_PGM_RSRC2:TIDIG_COMP_CNT: 0
; COMPUTE_PGM_RSRC3_GFX90A:ACCUM_OFFSET: 0
; COMPUTE_PGM_RSRC3_GFX90A:TG_SPLIT: 0
	.section	.text._ZN7rocprim17ROCPRIM_400000_NS6detail17trampoline_kernelINS0_14default_configENS1_35radix_sort_onesweep_config_selectorIlNS0_10empty_typeEEEZZNS1_29radix_sort_onesweep_iterationIS3_Lb0EPlS8_PS5_S9_mNS0_19identity_decomposerENS1_16block_id_wrapperIjLb1EEEEE10hipError_tT1_PNSt15iterator_traitsISE_E10value_typeET2_T3_PNSF_ISK_E10value_typeET4_T5_PSP_SQ_PNS1_23onesweep_lookback_stateEbbT6_jjT7_P12ihipStream_tbENKUlT_T0_SE_SJ_E_clIS8_S8_S9_S9_EEDaSX_SY_SE_SJ_EUlSX_E_NS1_11comp_targetILNS1_3genE8ELNS1_11target_archE1030ELNS1_3gpuE2ELNS1_3repE0EEENS1_47radix_sort_onesweep_sort_config_static_selectorELNS0_4arch9wavefront6targetE1EEEvSE_,"axG",@progbits,_ZN7rocprim17ROCPRIM_400000_NS6detail17trampoline_kernelINS0_14default_configENS1_35radix_sort_onesweep_config_selectorIlNS0_10empty_typeEEEZZNS1_29radix_sort_onesweep_iterationIS3_Lb0EPlS8_PS5_S9_mNS0_19identity_decomposerENS1_16block_id_wrapperIjLb1EEEEE10hipError_tT1_PNSt15iterator_traitsISE_E10value_typeET2_T3_PNSF_ISK_E10value_typeET4_T5_PSP_SQ_PNS1_23onesweep_lookback_stateEbbT6_jjT7_P12ihipStream_tbENKUlT_T0_SE_SJ_E_clIS8_S8_S9_S9_EEDaSX_SY_SE_SJ_EUlSX_E_NS1_11comp_targetILNS1_3genE8ELNS1_11target_archE1030ELNS1_3gpuE2ELNS1_3repE0EEENS1_47radix_sort_onesweep_sort_config_static_selectorELNS0_4arch9wavefront6targetE1EEEvSE_,comdat
	.protected	_ZN7rocprim17ROCPRIM_400000_NS6detail17trampoline_kernelINS0_14default_configENS1_35radix_sort_onesweep_config_selectorIlNS0_10empty_typeEEEZZNS1_29radix_sort_onesweep_iterationIS3_Lb0EPlS8_PS5_S9_mNS0_19identity_decomposerENS1_16block_id_wrapperIjLb1EEEEE10hipError_tT1_PNSt15iterator_traitsISE_E10value_typeET2_T3_PNSF_ISK_E10value_typeET4_T5_PSP_SQ_PNS1_23onesweep_lookback_stateEbbT6_jjT7_P12ihipStream_tbENKUlT_T0_SE_SJ_E_clIS8_S8_S9_S9_EEDaSX_SY_SE_SJ_EUlSX_E_NS1_11comp_targetILNS1_3genE8ELNS1_11target_archE1030ELNS1_3gpuE2ELNS1_3repE0EEENS1_47radix_sort_onesweep_sort_config_static_selectorELNS0_4arch9wavefront6targetE1EEEvSE_ ; -- Begin function _ZN7rocprim17ROCPRIM_400000_NS6detail17trampoline_kernelINS0_14default_configENS1_35radix_sort_onesweep_config_selectorIlNS0_10empty_typeEEEZZNS1_29radix_sort_onesweep_iterationIS3_Lb0EPlS8_PS5_S9_mNS0_19identity_decomposerENS1_16block_id_wrapperIjLb1EEEEE10hipError_tT1_PNSt15iterator_traitsISE_E10value_typeET2_T3_PNSF_ISK_E10value_typeET4_T5_PSP_SQ_PNS1_23onesweep_lookback_stateEbbT6_jjT7_P12ihipStream_tbENKUlT_T0_SE_SJ_E_clIS8_S8_S9_S9_EEDaSX_SY_SE_SJ_EUlSX_E_NS1_11comp_targetILNS1_3genE8ELNS1_11target_archE1030ELNS1_3gpuE2ELNS1_3repE0EEENS1_47radix_sort_onesweep_sort_config_static_selectorELNS0_4arch9wavefront6targetE1EEEvSE_
	.globl	_ZN7rocprim17ROCPRIM_400000_NS6detail17trampoline_kernelINS0_14default_configENS1_35radix_sort_onesweep_config_selectorIlNS0_10empty_typeEEEZZNS1_29radix_sort_onesweep_iterationIS3_Lb0EPlS8_PS5_S9_mNS0_19identity_decomposerENS1_16block_id_wrapperIjLb1EEEEE10hipError_tT1_PNSt15iterator_traitsISE_E10value_typeET2_T3_PNSF_ISK_E10value_typeET4_T5_PSP_SQ_PNS1_23onesweep_lookback_stateEbbT6_jjT7_P12ihipStream_tbENKUlT_T0_SE_SJ_E_clIS8_S8_S9_S9_EEDaSX_SY_SE_SJ_EUlSX_E_NS1_11comp_targetILNS1_3genE8ELNS1_11target_archE1030ELNS1_3gpuE2ELNS1_3repE0EEENS1_47radix_sort_onesweep_sort_config_static_selectorELNS0_4arch9wavefront6targetE1EEEvSE_
	.p2align	8
	.type	_ZN7rocprim17ROCPRIM_400000_NS6detail17trampoline_kernelINS0_14default_configENS1_35radix_sort_onesweep_config_selectorIlNS0_10empty_typeEEEZZNS1_29radix_sort_onesweep_iterationIS3_Lb0EPlS8_PS5_S9_mNS0_19identity_decomposerENS1_16block_id_wrapperIjLb1EEEEE10hipError_tT1_PNSt15iterator_traitsISE_E10value_typeET2_T3_PNSF_ISK_E10value_typeET4_T5_PSP_SQ_PNS1_23onesweep_lookback_stateEbbT6_jjT7_P12ihipStream_tbENKUlT_T0_SE_SJ_E_clIS8_S8_S9_S9_EEDaSX_SY_SE_SJ_EUlSX_E_NS1_11comp_targetILNS1_3genE8ELNS1_11target_archE1030ELNS1_3gpuE2ELNS1_3repE0EEENS1_47radix_sort_onesweep_sort_config_static_selectorELNS0_4arch9wavefront6targetE1EEEvSE_,@function
_ZN7rocprim17ROCPRIM_400000_NS6detail17trampoline_kernelINS0_14default_configENS1_35radix_sort_onesweep_config_selectorIlNS0_10empty_typeEEEZZNS1_29radix_sort_onesweep_iterationIS3_Lb0EPlS8_PS5_S9_mNS0_19identity_decomposerENS1_16block_id_wrapperIjLb1EEEEE10hipError_tT1_PNSt15iterator_traitsISE_E10value_typeET2_T3_PNSF_ISK_E10value_typeET4_T5_PSP_SQ_PNS1_23onesweep_lookback_stateEbbT6_jjT7_P12ihipStream_tbENKUlT_T0_SE_SJ_E_clIS8_S8_S9_S9_EEDaSX_SY_SE_SJ_EUlSX_E_NS1_11comp_targetILNS1_3genE8ELNS1_11target_archE1030ELNS1_3gpuE2ELNS1_3repE0EEENS1_47radix_sort_onesweep_sort_config_static_selectorELNS0_4arch9wavefront6targetE1EEEvSE_: ; @_ZN7rocprim17ROCPRIM_400000_NS6detail17trampoline_kernelINS0_14default_configENS1_35radix_sort_onesweep_config_selectorIlNS0_10empty_typeEEEZZNS1_29radix_sort_onesweep_iterationIS3_Lb0EPlS8_PS5_S9_mNS0_19identity_decomposerENS1_16block_id_wrapperIjLb1EEEEE10hipError_tT1_PNSt15iterator_traitsISE_E10value_typeET2_T3_PNSF_ISK_E10value_typeET4_T5_PSP_SQ_PNS1_23onesweep_lookback_stateEbbT6_jjT7_P12ihipStream_tbENKUlT_T0_SE_SJ_E_clIS8_S8_S9_S9_EEDaSX_SY_SE_SJ_EUlSX_E_NS1_11comp_targetILNS1_3genE8ELNS1_11target_archE1030ELNS1_3gpuE2ELNS1_3repE0EEENS1_47radix_sort_onesweep_sort_config_static_selectorELNS0_4arch9wavefront6targetE1EEEvSE_
; %bb.0:
	.section	.rodata,"a",@progbits
	.p2align	6, 0x0
	.amdhsa_kernel _ZN7rocprim17ROCPRIM_400000_NS6detail17trampoline_kernelINS0_14default_configENS1_35radix_sort_onesweep_config_selectorIlNS0_10empty_typeEEEZZNS1_29radix_sort_onesweep_iterationIS3_Lb0EPlS8_PS5_S9_mNS0_19identity_decomposerENS1_16block_id_wrapperIjLb1EEEEE10hipError_tT1_PNSt15iterator_traitsISE_E10value_typeET2_T3_PNSF_ISK_E10value_typeET4_T5_PSP_SQ_PNS1_23onesweep_lookback_stateEbbT6_jjT7_P12ihipStream_tbENKUlT_T0_SE_SJ_E_clIS8_S8_S9_S9_EEDaSX_SY_SE_SJ_EUlSX_E_NS1_11comp_targetILNS1_3genE8ELNS1_11target_archE1030ELNS1_3gpuE2ELNS1_3repE0EEENS1_47radix_sort_onesweep_sort_config_static_selectorELNS0_4arch9wavefront6targetE1EEEvSE_
		.amdhsa_group_segment_fixed_size 0
		.amdhsa_private_segment_fixed_size 0
		.amdhsa_kernarg_size 88
		.amdhsa_user_sgpr_count 6
		.amdhsa_user_sgpr_private_segment_buffer 1
		.amdhsa_user_sgpr_dispatch_ptr 0
		.amdhsa_user_sgpr_queue_ptr 0
		.amdhsa_user_sgpr_kernarg_segment_ptr 1
		.amdhsa_user_sgpr_dispatch_id 0
		.amdhsa_user_sgpr_flat_scratch_init 0
		.amdhsa_user_sgpr_kernarg_preload_length 0
		.amdhsa_user_sgpr_kernarg_preload_offset 0
		.amdhsa_user_sgpr_private_segment_size 0
		.amdhsa_uses_dynamic_stack 0
		.amdhsa_system_sgpr_private_segment_wavefront_offset 0
		.amdhsa_system_sgpr_workgroup_id_x 1
		.amdhsa_system_sgpr_workgroup_id_y 0
		.amdhsa_system_sgpr_workgroup_id_z 0
		.amdhsa_system_sgpr_workgroup_info 0
		.amdhsa_system_vgpr_workitem_id 0
		.amdhsa_next_free_vgpr 1
		.amdhsa_next_free_sgpr 0
		.amdhsa_accum_offset 4
		.amdhsa_reserve_vcc 0
		.amdhsa_reserve_flat_scratch 0
		.amdhsa_float_round_mode_32 0
		.amdhsa_float_round_mode_16_64 0
		.amdhsa_float_denorm_mode_32 3
		.amdhsa_float_denorm_mode_16_64 3
		.amdhsa_dx10_clamp 1
		.amdhsa_ieee_mode 1
		.amdhsa_fp16_overflow 0
		.amdhsa_tg_split 0
		.amdhsa_exception_fp_ieee_invalid_op 0
		.amdhsa_exception_fp_denorm_src 0
		.amdhsa_exception_fp_ieee_div_zero 0
		.amdhsa_exception_fp_ieee_overflow 0
		.amdhsa_exception_fp_ieee_underflow 0
		.amdhsa_exception_fp_ieee_inexact 0
		.amdhsa_exception_int_div_zero 0
	.end_amdhsa_kernel
	.section	.text._ZN7rocprim17ROCPRIM_400000_NS6detail17trampoline_kernelINS0_14default_configENS1_35radix_sort_onesweep_config_selectorIlNS0_10empty_typeEEEZZNS1_29radix_sort_onesweep_iterationIS3_Lb0EPlS8_PS5_S9_mNS0_19identity_decomposerENS1_16block_id_wrapperIjLb1EEEEE10hipError_tT1_PNSt15iterator_traitsISE_E10value_typeET2_T3_PNSF_ISK_E10value_typeET4_T5_PSP_SQ_PNS1_23onesweep_lookback_stateEbbT6_jjT7_P12ihipStream_tbENKUlT_T0_SE_SJ_E_clIS8_S8_S9_S9_EEDaSX_SY_SE_SJ_EUlSX_E_NS1_11comp_targetILNS1_3genE8ELNS1_11target_archE1030ELNS1_3gpuE2ELNS1_3repE0EEENS1_47radix_sort_onesweep_sort_config_static_selectorELNS0_4arch9wavefront6targetE1EEEvSE_,"axG",@progbits,_ZN7rocprim17ROCPRIM_400000_NS6detail17trampoline_kernelINS0_14default_configENS1_35radix_sort_onesweep_config_selectorIlNS0_10empty_typeEEEZZNS1_29radix_sort_onesweep_iterationIS3_Lb0EPlS8_PS5_S9_mNS0_19identity_decomposerENS1_16block_id_wrapperIjLb1EEEEE10hipError_tT1_PNSt15iterator_traitsISE_E10value_typeET2_T3_PNSF_ISK_E10value_typeET4_T5_PSP_SQ_PNS1_23onesweep_lookback_stateEbbT6_jjT7_P12ihipStream_tbENKUlT_T0_SE_SJ_E_clIS8_S8_S9_S9_EEDaSX_SY_SE_SJ_EUlSX_E_NS1_11comp_targetILNS1_3genE8ELNS1_11target_archE1030ELNS1_3gpuE2ELNS1_3repE0EEENS1_47radix_sort_onesweep_sort_config_static_selectorELNS0_4arch9wavefront6targetE1EEEvSE_,comdat
.Lfunc_end878:
	.size	_ZN7rocprim17ROCPRIM_400000_NS6detail17trampoline_kernelINS0_14default_configENS1_35radix_sort_onesweep_config_selectorIlNS0_10empty_typeEEEZZNS1_29radix_sort_onesweep_iterationIS3_Lb0EPlS8_PS5_S9_mNS0_19identity_decomposerENS1_16block_id_wrapperIjLb1EEEEE10hipError_tT1_PNSt15iterator_traitsISE_E10value_typeET2_T3_PNSF_ISK_E10value_typeET4_T5_PSP_SQ_PNS1_23onesweep_lookback_stateEbbT6_jjT7_P12ihipStream_tbENKUlT_T0_SE_SJ_E_clIS8_S8_S9_S9_EEDaSX_SY_SE_SJ_EUlSX_E_NS1_11comp_targetILNS1_3genE8ELNS1_11target_archE1030ELNS1_3gpuE2ELNS1_3repE0EEENS1_47radix_sort_onesweep_sort_config_static_selectorELNS0_4arch9wavefront6targetE1EEEvSE_, .Lfunc_end878-_ZN7rocprim17ROCPRIM_400000_NS6detail17trampoline_kernelINS0_14default_configENS1_35radix_sort_onesweep_config_selectorIlNS0_10empty_typeEEEZZNS1_29radix_sort_onesweep_iterationIS3_Lb0EPlS8_PS5_S9_mNS0_19identity_decomposerENS1_16block_id_wrapperIjLb1EEEEE10hipError_tT1_PNSt15iterator_traitsISE_E10value_typeET2_T3_PNSF_ISK_E10value_typeET4_T5_PSP_SQ_PNS1_23onesweep_lookback_stateEbbT6_jjT7_P12ihipStream_tbENKUlT_T0_SE_SJ_E_clIS8_S8_S9_S9_EEDaSX_SY_SE_SJ_EUlSX_E_NS1_11comp_targetILNS1_3genE8ELNS1_11target_archE1030ELNS1_3gpuE2ELNS1_3repE0EEENS1_47radix_sort_onesweep_sort_config_static_selectorELNS0_4arch9wavefront6targetE1EEEvSE_
                                        ; -- End function
	.section	.AMDGPU.csdata,"",@progbits
; Kernel info:
; codeLenInByte = 0
; NumSgprs: 4
; NumVgprs: 0
; NumAgprs: 0
; TotalNumVgprs: 0
; ScratchSize: 0
; MemoryBound: 0
; FloatMode: 240
; IeeeMode: 1
; LDSByteSize: 0 bytes/workgroup (compile time only)
; SGPRBlocks: 0
; VGPRBlocks: 0
; NumSGPRsForWavesPerEU: 4
; NumVGPRsForWavesPerEU: 1
; AccumOffset: 4
; Occupancy: 8
; WaveLimiterHint : 0
; COMPUTE_PGM_RSRC2:SCRATCH_EN: 0
; COMPUTE_PGM_RSRC2:USER_SGPR: 6
; COMPUTE_PGM_RSRC2:TRAP_HANDLER: 0
; COMPUTE_PGM_RSRC2:TGID_X_EN: 1
; COMPUTE_PGM_RSRC2:TGID_Y_EN: 0
; COMPUTE_PGM_RSRC2:TGID_Z_EN: 0
; COMPUTE_PGM_RSRC2:TIDIG_COMP_CNT: 0
; COMPUTE_PGM_RSRC3_GFX90A:ACCUM_OFFSET: 0
; COMPUTE_PGM_RSRC3_GFX90A:TG_SPLIT: 0
	.section	.text._ZN7rocprim17ROCPRIM_400000_NS6detail17trampoline_kernelINS0_14default_configENS1_35radix_sort_onesweep_config_selectorIlNS0_10empty_typeEEEZZNS1_29radix_sort_onesweep_iterationIS3_Lb0EPlS8_PS5_S9_mNS0_19identity_decomposerENS1_16block_id_wrapperIjLb0EEEEE10hipError_tT1_PNSt15iterator_traitsISE_E10value_typeET2_T3_PNSF_ISK_E10value_typeET4_T5_PSP_SQ_PNS1_23onesweep_lookback_stateEbbT6_jjT7_P12ihipStream_tbENKUlT_T0_SE_SJ_E_clIS8_S8_S9_S9_EEDaSX_SY_SE_SJ_EUlSX_E_NS1_11comp_targetILNS1_3genE0ELNS1_11target_archE4294967295ELNS1_3gpuE0ELNS1_3repE0EEENS1_47radix_sort_onesweep_sort_config_static_selectorELNS0_4arch9wavefront6targetE1EEEvSE_,"axG",@progbits,_ZN7rocprim17ROCPRIM_400000_NS6detail17trampoline_kernelINS0_14default_configENS1_35radix_sort_onesweep_config_selectorIlNS0_10empty_typeEEEZZNS1_29radix_sort_onesweep_iterationIS3_Lb0EPlS8_PS5_S9_mNS0_19identity_decomposerENS1_16block_id_wrapperIjLb0EEEEE10hipError_tT1_PNSt15iterator_traitsISE_E10value_typeET2_T3_PNSF_ISK_E10value_typeET4_T5_PSP_SQ_PNS1_23onesweep_lookback_stateEbbT6_jjT7_P12ihipStream_tbENKUlT_T0_SE_SJ_E_clIS8_S8_S9_S9_EEDaSX_SY_SE_SJ_EUlSX_E_NS1_11comp_targetILNS1_3genE0ELNS1_11target_archE4294967295ELNS1_3gpuE0ELNS1_3repE0EEENS1_47radix_sort_onesweep_sort_config_static_selectorELNS0_4arch9wavefront6targetE1EEEvSE_,comdat
	.protected	_ZN7rocprim17ROCPRIM_400000_NS6detail17trampoline_kernelINS0_14default_configENS1_35radix_sort_onesweep_config_selectorIlNS0_10empty_typeEEEZZNS1_29radix_sort_onesweep_iterationIS3_Lb0EPlS8_PS5_S9_mNS0_19identity_decomposerENS1_16block_id_wrapperIjLb0EEEEE10hipError_tT1_PNSt15iterator_traitsISE_E10value_typeET2_T3_PNSF_ISK_E10value_typeET4_T5_PSP_SQ_PNS1_23onesweep_lookback_stateEbbT6_jjT7_P12ihipStream_tbENKUlT_T0_SE_SJ_E_clIS8_S8_S9_S9_EEDaSX_SY_SE_SJ_EUlSX_E_NS1_11comp_targetILNS1_3genE0ELNS1_11target_archE4294967295ELNS1_3gpuE0ELNS1_3repE0EEENS1_47radix_sort_onesweep_sort_config_static_selectorELNS0_4arch9wavefront6targetE1EEEvSE_ ; -- Begin function _ZN7rocprim17ROCPRIM_400000_NS6detail17trampoline_kernelINS0_14default_configENS1_35radix_sort_onesweep_config_selectorIlNS0_10empty_typeEEEZZNS1_29radix_sort_onesweep_iterationIS3_Lb0EPlS8_PS5_S9_mNS0_19identity_decomposerENS1_16block_id_wrapperIjLb0EEEEE10hipError_tT1_PNSt15iterator_traitsISE_E10value_typeET2_T3_PNSF_ISK_E10value_typeET4_T5_PSP_SQ_PNS1_23onesweep_lookback_stateEbbT6_jjT7_P12ihipStream_tbENKUlT_T0_SE_SJ_E_clIS8_S8_S9_S9_EEDaSX_SY_SE_SJ_EUlSX_E_NS1_11comp_targetILNS1_3genE0ELNS1_11target_archE4294967295ELNS1_3gpuE0ELNS1_3repE0EEENS1_47radix_sort_onesweep_sort_config_static_selectorELNS0_4arch9wavefront6targetE1EEEvSE_
	.globl	_ZN7rocprim17ROCPRIM_400000_NS6detail17trampoline_kernelINS0_14default_configENS1_35radix_sort_onesweep_config_selectorIlNS0_10empty_typeEEEZZNS1_29radix_sort_onesweep_iterationIS3_Lb0EPlS8_PS5_S9_mNS0_19identity_decomposerENS1_16block_id_wrapperIjLb0EEEEE10hipError_tT1_PNSt15iterator_traitsISE_E10value_typeET2_T3_PNSF_ISK_E10value_typeET4_T5_PSP_SQ_PNS1_23onesweep_lookback_stateEbbT6_jjT7_P12ihipStream_tbENKUlT_T0_SE_SJ_E_clIS8_S8_S9_S9_EEDaSX_SY_SE_SJ_EUlSX_E_NS1_11comp_targetILNS1_3genE0ELNS1_11target_archE4294967295ELNS1_3gpuE0ELNS1_3repE0EEENS1_47radix_sort_onesweep_sort_config_static_selectorELNS0_4arch9wavefront6targetE1EEEvSE_
	.p2align	8
	.type	_ZN7rocprim17ROCPRIM_400000_NS6detail17trampoline_kernelINS0_14default_configENS1_35radix_sort_onesweep_config_selectorIlNS0_10empty_typeEEEZZNS1_29radix_sort_onesweep_iterationIS3_Lb0EPlS8_PS5_S9_mNS0_19identity_decomposerENS1_16block_id_wrapperIjLb0EEEEE10hipError_tT1_PNSt15iterator_traitsISE_E10value_typeET2_T3_PNSF_ISK_E10value_typeET4_T5_PSP_SQ_PNS1_23onesweep_lookback_stateEbbT6_jjT7_P12ihipStream_tbENKUlT_T0_SE_SJ_E_clIS8_S8_S9_S9_EEDaSX_SY_SE_SJ_EUlSX_E_NS1_11comp_targetILNS1_3genE0ELNS1_11target_archE4294967295ELNS1_3gpuE0ELNS1_3repE0EEENS1_47radix_sort_onesweep_sort_config_static_selectorELNS0_4arch9wavefront6targetE1EEEvSE_,@function
_ZN7rocprim17ROCPRIM_400000_NS6detail17trampoline_kernelINS0_14default_configENS1_35radix_sort_onesweep_config_selectorIlNS0_10empty_typeEEEZZNS1_29radix_sort_onesweep_iterationIS3_Lb0EPlS8_PS5_S9_mNS0_19identity_decomposerENS1_16block_id_wrapperIjLb0EEEEE10hipError_tT1_PNSt15iterator_traitsISE_E10value_typeET2_T3_PNSF_ISK_E10value_typeET4_T5_PSP_SQ_PNS1_23onesweep_lookback_stateEbbT6_jjT7_P12ihipStream_tbENKUlT_T0_SE_SJ_E_clIS8_S8_S9_S9_EEDaSX_SY_SE_SJ_EUlSX_E_NS1_11comp_targetILNS1_3genE0ELNS1_11target_archE4294967295ELNS1_3gpuE0ELNS1_3repE0EEENS1_47radix_sort_onesweep_sort_config_static_selectorELNS0_4arch9wavefront6targetE1EEEvSE_: ; @_ZN7rocprim17ROCPRIM_400000_NS6detail17trampoline_kernelINS0_14default_configENS1_35radix_sort_onesweep_config_selectorIlNS0_10empty_typeEEEZZNS1_29radix_sort_onesweep_iterationIS3_Lb0EPlS8_PS5_S9_mNS0_19identity_decomposerENS1_16block_id_wrapperIjLb0EEEEE10hipError_tT1_PNSt15iterator_traitsISE_E10value_typeET2_T3_PNSF_ISK_E10value_typeET4_T5_PSP_SQ_PNS1_23onesweep_lookback_stateEbbT6_jjT7_P12ihipStream_tbENKUlT_T0_SE_SJ_E_clIS8_S8_S9_S9_EEDaSX_SY_SE_SJ_EUlSX_E_NS1_11comp_targetILNS1_3genE0ELNS1_11target_archE4294967295ELNS1_3gpuE0ELNS1_3repE0EEENS1_47radix_sort_onesweep_sort_config_static_selectorELNS0_4arch9wavefront6targetE1EEEvSE_
; %bb.0:
	.section	.rodata,"a",@progbits
	.p2align	6, 0x0
	.amdhsa_kernel _ZN7rocprim17ROCPRIM_400000_NS6detail17trampoline_kernelINS0_14default_configENS1_35radix_sort_onesweep_config_selectorIlNS0_10empty_typeEEEZZNS1_29radix_sort_onesweep_iterationIS3_Lb0EPlS8_PS5_S9_mNS0_19identity_decomposerENS1_16block_id_wrapperIjLb0EEEEE10hipError_tT1_PNSt15iterator_traitsISE_E10value_typeET2_T3_PNSF_ISK_E10value_typeET4_T5_PSP_SQ_PNS1_23onesweep_lookback_stateEbbT6_jjT7_P12ihipStream_tbENKUlT_T0_SE_SJ_E_clIS8_S8_S9_S9_EEDaSX_SY_SE_SJ_EUlSX_E_NS1_11comp_targetILNS1_3genE0ELNS1_11target_archE4294967295ELNS1_3gpuE0ELNS1_3repE0EEENS1_47radix_sort_onesweep_sort_config_static_selectorELNS0_4arch9wavefront6targetE1EEEvSE_
		.amdhsa_group_segment_fixed_size 0
		.amdhsa_private_segment_fixed_size 0
		.amdhsa_kernarg_size 88
		.amdhsa_user_sgpr_count 6
		.amdhsa_user_sgpr_private_segment_buffer 1
		.amdhsa_user_sgpr_dispatch_ptr 0
		.amdhsa_user_sgpr_queue_ptr 0
		.amdhsa_user_sgpr_kernarg_segment_ptr 1
		.amdhsa_user_sgpr_dispatch_id 0
		.amdhsa_user_sgpr_flat_scratch_init 0
		.amdhsa_user_sgpr_kernarg_preload_length 0
		.amdhsa_user_sgpr_kernarg_preload_offset 0
		.amdhsa_user_sgpr_private_segment_size 0
		.amdhsa_uses_dynamic_stack 0
		.amdhsa_system_sgpr_private_segment_wavefront_offset 0
		.amdhsa_system_sgpr_workgroup_id_x 1
		.amdhsa_system_sgpr_workgroup_id_y 0
		.amdhsa_system_sgpr_workgroup_id_z 0
		.amdhsa_system_sgpr_workgroup_info 0
		.amdhsa_system_vgpr_workitem_id 0
		.amdhsa_next_free_vgpr 1
		.amdhsa_next_free_sgpr 0
		.amdhsa_accum_offset 4
		.amdhsa_reserve_vcc 0
		.amdhsa_reserve_flat_scratch 0
		.amdhsa_float_round_mode_32 0
		.amdhsa_float_round_mode_16_64 0
		.amdhsa_float_denorm_mode_32 3
		.amdhsa_float_denorm_mode_16_64 3
		.amdhsa_dx10_clamp 1
		.amdhsa_ieee_mode 1
		.amdhsa_fp16_overflow 0
		.amdhsa_tg_split 0
		.amdhsa_exception_fp_ieee_invalid_op 0
		.amdhsa_exception_fp_denorm_src 0
		.amdhsa_exception_fp_ieee_div_zero 0
		.amdhsa_exception_fp_ieee_overflow 0
		.amdhsa_exception_fp_ieee_underflow 0
		.amdhsa_exception_fp_ieee_inexact 0
		.amdhsa_exception_int_div_zero 0
	.end_amdhsa_kernel
	.section	.text._ZN7rocprim17ROCPRIM_400000_NS6detail17trampoline_kernelINS0_14default_configENS1_35radix_sort_onesweep_config_selectorIlNS0_10empty_typeEEEZZNS1_29radix_sort_onesweep_iterationIS3_Lb0EPlS8_PS5_S9_mNS0_19identity_decomposerENS1_16block_id_wrapperIjLb0EEEEE10hipError_tT1_PNSt15iterator_traitsISE_E10value_typeET2_T3_PNSF_ISK_E10value_typeET4_T5_PSP_SQ_PNS1_23onesweep_lookback_stateEbbT6_jjT7_P12ihipStream_tbENKUlT_T0_SE_SJ_E_clIS8_S8_S9_S9_EEDaSX_SY_SE_SJ_EUlSX_E_NS1_11comp_targetILNS1_3genE0ELNS1_11target_archE4294967295ELNS1_3gpuE0ELNS1_3repE0EEENS1_47radix_sort_onesweep_sort_config_static_selectorELNS0_4arch9wavefront6targetE1EEEvSE_,"axG",@progbits,_ZN7rocprim17ROCPRIM_400000_NS6detail17trampoline_kernelINS0_14default_configENS1_35radix_sort_onesweep_config_selectorIlNS0_10empty_typeEEEZZNS1_29radix_sort_onesweep_iterationIS3_Lb0EPlS8_PS5_S9_mNS0_19identity_decomposerENS1_16block_id_wrapperIjLb0EEEEE10hipError_tT1_PNSt15iterator_traitsISE_E10value_typeET2_T3_PNSF_ISK_E10value_typeET4_T5_PSP_SQ_PNS1_23onesweep_lookback_stateEbbT6_jjT7_P12ihipStream_tbENKUlT_T0_SE_SJ_E_clIS8_S8_S9_S9_EEDaSX_SY_SE_SJ_EUlSX_E_NS1_11comp_targetILNS1_3genE0ELNS1_11target_archE4294967295ELNS1_3gpuE0ELNS1_3repE0EEENS1_47radix_sort_onesweep_sort_config_static_selectorELNS0_4arch9wavefront6targetE1EEEvSE_,comdat
.Lfunc_end879:
	.size	_ZN7rocprim17ROCPRIM_400000_NS6detail17trampoline_kernelINS0_14default_configENS1_35radix_sort_onesweep_config_selectorIlNS0_10empty_typeEEEZZNS1_29radix_sort_onesweep_iterationIS3_Lb0EPlS8_PS5_S9_mNS0_19identity_decomposerENS1_16block_id_wrapperIjLb0EEEEE10hipError_tT1_PNSt15iterator_traitsISE_E10value_typeET2_T3_PNSF_ISK_E10value_typeET4_T5_PSP_SQ_PNS1_23onesweep_lookback_stateEbbT6_jjT7_P12ihipStream_tbENKUlT_T0_SE_SJ_E_clIS8_S8_S9_S9_EEDaSX_SY_SE_SJ_EUlSX_E_NS1_11comp_targetILNS1_3genE0ELNS1_11target_archE4294967295ELNS1_3gpuE0ELNS1_3repE0EEENS1_47radix_sort_onesweep_sort_config_static_selectorELNS0_4arch9wavefront6targetE1EEEvSE_, .Lfunc_end879-_ZN7rocprim17ROCPRIM_400000_NS6detail17trampoline_kernelINS0_14default_configENS1_35radix_sort_onesweep_config_selectorIlNS0_10empty_typeEEEZZNS1_29radix_sort_onesweep_iterationIS3_Lb0EPlS8_PS5_S9_mNS0_19identity_decomposerENS1_16block_id_wrapperIjLb0EEEEE10hipError_tT1_PNSt15iterator_traitsISE_E10value_typeET2_T3_PNSF_ISK_E10value_typeET4_T5_PSP_SQ_PNS1_23onesweep_lookback_stateEbbT6_jjT7_P12ihipStream_tbENKUlT_T0_SE_SJ_E_clIS8_S8_S9_S9_EEDaSX_SY_SE_SJ_EUlSX_E_NS1_11comp_targetILNS1_3genE0ELNS1_11target_archE4294967295ELNS1_3gpuE0ELNS1_3repE0EEENS1_47radix_sort_onesweep_sort_config_static_selectorELNS0_4arch9wavefront6targetE1EEEvSE_
                                        ; -- End function
	.section	.AMDGPU.csdata,"",@progbits
; Kernel info:
; codeLenInByte = 0
; NumSgprs: 4
; NumVgprs: 0
; NumAgprs: 0
; TotalNumVgprs: 0
; ScratchSize: 0
; MemoryBound: 0
; FloatMode: 240
; IeeeMode: 1
; LDSByteSize: 0 bytes/workgroup (compile time only)
; SGPRBlocks: 0
; VGPRBlocks: 0
; NumSGPRsForWavesPerEU: 4
; NumVGPRsForWavesPerEU: 1
; AccumOffset: 4
; Occupancy: 8
; WaveLimiterHint : 0
; COMPUTE_PGM_RSRC2:SCRATCH_EN: 0
; COMPUTE_PGM_RSRC2:USER_SGPR: 6
; COMPUTE_PGM_RSRC2:TRAP_HANDLER: 0
; COMPUTE_PGM_RSRC2:TGID_X_EN: 1
; COMPUTE_PGM_RSRC2:TGID_Y_EN: 0
; COMPUTE_PGM_RSRC2:TGID_Z_EN: 0
; COMPUTE_PGM_RSRC2:TIDIG_COMP_CNT: 0
; COMPUTE_PGM_RSRC3_GFX90A:ACCUM_OFFSET: 0
; COMPUTE_PGM_RSRC3_GFX90A:TG_SPLIT: 0
	.section	.text._ZN7rocprim17ROCPRIM_400000_NS6detail17trampoline_kernelINS0_14default_configENS1_35radix_sort_onesweep_config_selectorIlNS0_10empty_typeEEEZZNS1_29radix_sort_onesweep_iterationIS3_Lb0EPlS8_PS5_S9_mNS0_19identity_decomposerENS1_16block_id_wrapperIjLb0EEEEE10hipError_tT1_PNSt15iterator_traitsISE_E10value_typeET2_T3_PNSF_ISK_E10value_typeET4_T5_PSP_SQ_PNS1_23onesweep_lookback_stateEbbT6_jjT7_P12ihipStream_tbENKUlT_T0_SE_SJ_E_clIS8_S8_S9_S9_EEDaSX_SY_SE_SJ_EUlSX_E_NS1_11comp_targetILNS1_3genE6ELNS1_11target_archE950ELNS1_3gpuE13ELNS1_3repE0EEENS1_47radix_sort_onesweep_sort_config_static_selectorELNS0_4arch9wavefront6targetE1EEEvSE_,"axG",@progbits,_ZN7rocprim17ROCPRIM_400000_NS6detail17trampoline_kernelINS0_14default_configENS1_35radix_sort_onesweep_config_selectorIlNS0_10empty_typeEEEZZNS1_29radix_sort_onesweep_iterationIS3_Lb0EPlS8_PS5_S9_mNS0_19identity_decomposerENS1_16block_id_wrapperIjLb0EEEEE10hipError_tT1_PNSt15iterator_traitsISE_E10value_typeET2_T3_PNSF_ISK_E10value_typeET4_T5_PSP_SQ_PNS1_23onesweep_lookback_stateEbbT6_jjT7_P12ihipStream_tbENKUlT_T0_SE_SJ_E_clIS8_S8_S9_S9_EEDaSX_SY_SE_SJ_EUlSX_E_NS1_11comp_targetILNS1_3genE6ELNS1_11target_archE950ELNS1_3gpuE13ELNS1_3repE0EEENS1_47radix_sort_onesweep_sort_config_static_selectorELNS0_4arch9wavefront6targetE1EEEvSE_,comdat
	.protected	_ZN7rocprim17ROCPRIM_400000_NS6detail17trampoline_kernelINS0_14default_configENS1_35radix_sort_onesweep_config_selectorIlNS0_10empty_typeEEEZZNS1_29radix_sort_onesweep_iterationIS3_Lb0EPlS8_PS5_S9_mNS0_19identity_decomposerENS1_16block_id_wrapperIjLb0EEEEE10hipError_tT1_PNSt15iterator_traitsISE_E10value_typeET2_T3_PNSF_ISK_E10value_typeET4_T5_PSP_SQ_PNS1_23onesweep_lookback_stateEbbT6_jjT7_P12ihipStream_tbENKUlT_T0_SE_SJ_E_clIS8_S8_S9_S9_EEDaSX_SY_SE_SJ_EUlSX_E_NS1_11comp_targetILNS1_3genE6ELNS1_11target_archE950ELNS1_3gpuE13ELNS1_3repE0EEENS1_47radix_sort_onesweep_sort_config_static_selectorELNS0_4arch9wavefront6targetE1EEEvSE_ ; -- Begin function _ZN7rocprim17ROCPRIM_400000_NS6detail17trampoline_kernelINS0_14default_configENS1_35radix_sort_onesweep_config_selectorIlNS0_10empty_typeEEEZZNS1_29radix_sort_onesweep_iterationIS3_Lb0EPlS8_PS5_S9_mNS0_19identity_decomposerENS1_16block_id_wrapperIjLb0EEEEE10hipError_tT1_PNSt15iterator_traitsISE_E10value_typeET2_T3_PNSF_ISK_E10value_typeET4_T5_PSP_SQ_PNS1_23onesweep_lookback_stateEbbT6_jjT7_P12ihipStream_tbENKUlT_T0_SE_SJ_E_clIS8_S8_S9_S9_EEDaSX_SY_SE_SJ_EUlSX_E_NS1_11comp_targetILNS1_3genE6ELNS1_11target_archE950ELNS1_3gpuE13ELNS1_3repE0EEENS1_47radix_sort_onesweep_sort_config_static_selectorELNS0_4arch9wavefront6targetE1EEEvSE_
	.globl	_ZN7rocprim17ROCPRIM_400000_NS6detail17trampoline_kernelINS0_14default_configENS1_35radix_sort_onesweep_config_selectorIlNS0_10empty_typeEEEZZNS1_29radix_sort_onesweep_iterationIS3_Lb0EPlS8_PS5_S9_mNS0_19identity_decomposerENS1_16block_id_wrapperIjLb0EEEEE10hipError_tT1_PNSt15iterator_traitsISE_E10value_typeET2_T3_PNSF_ISK_E10value_typeET4_T5_PSP_SQ_PNS1_23onesweep_lookback_stateEbbT6_jjT7_P12ihipStream_tbENKUlT_T0_SE_SJ_E_clIS8_S8_S9_S9_EEDaSX_SY_SE_SJ_EUlSX_E_NS1_11comp_targetILNS1_3genE6ELNS1_11target_archE950ELNS1_3gpuE13ELNS1_3repE0EEENS1_47radix_sort_onesweep_sort_config_static_selectorELNS0_4arch9wavefront6targetE1EEEvSE_
	.p2align	8
	.type	_ZN7rocprim17ROCPRIM_400000_NS6detail17trampoline_kernelINS0_14default_configENS1_35radix_sort_onesweep_config_selectorIlNS0_10empty_typeEEEZZNS1_29radix_sort_onesweep_iterationIS3_Lb0EPlS8_PS5_S9_mNS0_19identity_decomposerENS1_16block_id_wrapperIjLb0EEEEE10hipError_tT1_PNSt15iterator_traitsISE_E10value_typeET2_T3_PNSF_ISK_E10value_typeET4_T5_PSP_SQ_PNS1_23onesweep_lookback_stateEbbT6_jjT7_P12ihipStream_tbENKUlT_T0_SE_SJ_E_clIS8_S8_S9_S9_EEDaSX_SY_SE_SJ_EUlSX_E_NS1_11comp_targetILNS1_3genE6ELNS1_11target_archE950ELNS1_3gpuE13ELNS1_3repE0EEENS1_47radix_sort_onesweep_sort_config_static_selectorELNS0_4arch9wavefront6targetE1EEEvSE_,@function
_ZN7rocprim17ROCPRIM_400000_NS6detail17trampoline_kernelINS0_14default_configENS1_35radix_sort_onesweep_config_selectorIlNS0_10empty_typeEEEZZNS1_29radix_sort_onesweep_iterationIS3_Lb0EPlS8_PS5_S9_mNS0_19identity_decomposerENS1_16block_id_wrapperIjLb0EEEEE10hipError_tT1_PNSt15iterator_traitsISE_E10value_typeET2_T3_PNSF_ISK_E10value_typeET4_T5_PSP_SQ_PNS1_23onesweep_lookback_stateEbbT6_jjT7_P12ihipStream_tbENKUlT_T0_SE_SJ_E_clIS8_S8_S9_S9_EEDaSX_SY_SE_SJ_EUlSX_E_NS1_11comp_targetILNS1_3genE6ELNS1_11target_archE950ELNS1_3gpuE13ELNS1_3repE0EEENS1_47radix_sort_onesweep_sort_config_static_selectorELNS0_4arch9wavefront6targetE1EEEvSE_: ; @_ZN7rocprim17ROCPRIM_400000_NS6detail17trampoline_kernelINS0_14default_configENS1_35radix_sort_onesweep_config_selectorIlNS0_10empty_typeEEEZZNS1_29radix_sort_onesweep_iterationIS3_Lb0EPlS8_PS5_S9_mNS0_19identity_decomposerENS1_16block_id_wrapperIjLb0EEEEE10hipError_tT1_PNSt15iterator_traitsISE_E10value_typeET2_T3_PNSF_ISK_E10value_typeET4_T5_PSP_SQ_PNS1_23onesweep_lookback_stateEbbT6_jjT7_P12ihipStream_tbENKUlT_T0_SE_SJ_E_clIS8_S8_S9_S9_EEDaSX_SY_SE_SJ_EUlSX_E_NS1_11comp_targetILNS1_3genE6ELNS1_11target_archE950ELNS1_3gpuE13ELNS1_3repE0EEENS1_47radix_sort_onesweep_sort_config_static_selectorELNS0_4arch9wavefront6targetE1EEEvSE_
; %bb.0:
	.section	.rodata,"a",@progbits
	.p2align	6, 0x0
	.amdhsa_kernel _ZN7rocprim17ROCPRIM_400000_NS6detail17trampoline_kernelINS0_14default_configENS1_35radix_sort_onesweep_config_selectorIlNS0_10empty_typeEEEZZNS1_29radix_sort_onesweep_iterationIS3_Lb0EPlS8_PS5_S9_mNS0_19identity_decomposerENS1_16block_id_wrapperIjLb0EEEEE10hipError_tT1_PNSt15iterator_traitsISE_E10value_typeET2_T3_PNSF_ISK_E10value_typeET4_T5_PSP_SQ_PNS1_23onesweep_lookback_stateEbbT6_jjT7_P12ihipStream_tbENKUlT_T0_SE_SJ_E_clIS8_S8_S9_S9_EEDaSX_SY_SE_SJ_EUlSX_E_NS1_11comp_targetILNS1_3genE6ELNS1_11target_archE950ELNS1_3gpuE13ELNS1_3repE0EEENS1_47radix_sort_onesweep_sort_config_static_selectorELNS0_4arch9wavefront6targetE1EEEvSE_
		.amdhsa_group_segment_fixed_size 0
		.amdhsa_private_segment_fixed_size 0
		.amdhsa_kernarg_size 88
		.amdhsa_user_sgpr_count 6
		.amdhsa_user_sgpr_private_segment_buffer 1
		.amdhsa_user_sgpr_dispatch_ptr 0
		.amdhsa_user_sgpr_queue_ptr 0
		.amdhsa_user_sgpr_kernarg_segment_ptr 1
		.amdhsa_user_sgpr_dispatch_id 0
		.amdhsa_user_sgpr_flat_scratch_init 0
		.amdhsa_user_sgpr_kernarg_preload_length 0
		.amdhsa_user_sgpr_kernarg_preload_offset 0
		.amdhsa_user_sgpr_private_segment_size 0
		.amdhsa_uses_dynamic_stack 0
		.amdhsa_system_sgpr_private_segment_wavefront_offset 0
		.amdhsa_system_sgpr_workgroup_id_x 1
		.amdhsa_system_sgpr_workgroup_id_y 0
		.amdhsa_system_sgpr_workgroup_id_z 0
		.amdhsa_system_sgpr_workgroup_info 0
		.amdhsa_system_vgpr_workitem_id 0
		.amdhsa_next_free_vgpr 1
		.amdhsa_next_free_sgpr 0
		.amdhsa_accum_offset 4
		.amdhsa_reserve_vcc 0
		.amdhsa_reserve_flat_scratch 0
		.amdhsa_float_round_mode_32 0
		.amdhsa_float_round_mode_16_64 0
		.amdhsa_float_denorm_mode_32 3
		.amdhsa_float_denorm_mode_16_64 3
		.amdhsa_dx10_clamp 1
		.amdhsa_ieee_mode 1
		.amdhsa_fp16_overflow 0
		.amdhsa_tg_split 0
		.amdhsa_exception_fp_ieee_invalid_op 0
		.amdhsa_exception_fp_denorm_src 0
		.amdhsa_exception_fp_ieee_div_zero 0
		.amdhsa_exception_fp_ieee_overflow 0
		.amdhsa_exception_fp_ieee_underflow 0
		.amdhsa_exception_fp_ieee_inexact 0
		.amdhsa_exception_int_div_zero 0
	.end_amdhsa_kernel
	.section	.text._ZN7rocprim17ROCPRIM_400000_NS6detail17trampoline_kernelINS0_14default_configENS1_35radix_sort_onesweep_config_selectorIlNS0_10empty_typeEEEZZNS1_29radix_sort_onesweep_iterationIS3_Lb0EPlS8_PS5_S9_mNS0_19identity_decomposerENS1_16block_id_wrapperIjLb0EEEEE10hipError_tT1_PNSt15iterator_traitsISE_E10value_typeET2_T3_PNSF_ISK_E10value_typeET4_T5_PSP_SQ_PNS1_23onesweep_lookback_stateEbbT6_jjT7_P12ihipStream_tbENKUlT_T0_SE_SJ_E_clIS8_S8_S9_S9_EEDaSX_SY_SE_SJ_EUlSX_E_NS1_11comp_targetILNS1_3genE6ELNS1_11target_archE950ELNS1_3gpuE13ELNS1_3repE0EEENS1_47radix_sort_onesweep_sort_config_static_selectorELNS0_4arch9wavefront6targetE1EEEvSE_,"axG",@progbits,_ZN7rocprim17ROCPRIM_400000_NS6detail17trampoline_kernelINS0_14default_configENS1_35radix_sort_onesweep_config_selectorIlNS0_10empty_typeEEEZZNS1_29radix_sort_onesweep_iterationIS3_Lb0EPlS8_PS5_S9_mNS0_19identity_decomposerENS1_16block_id_wrapperIjLb0EEEEE10hipError_tT1_PNSt15iterator_traitsISE_E10value_typeET2_T3_PNSF_ISK_E10value_typeET4_T5_PSP_SQ_PNS1_23onesweep_lookback_stateEbbT6_jjT7_P12ihipStream_tbENKUlT_T0_SE_SJ_E_clIS8_S8_S9_S9_EEDaSX_SY_SE_SJ_EUlSX_E_NS1_11comp_targetILNS1_3genE6ELNS1_11target_archE950ELNS1_3gpuE13ELNS1_3repE0EEENS1_47radix_sort_onesweep_sort_config_static_selectorELNS0_4arch9wavefront6targetE1EEEvSE_,comdat
.Lfunc_end880:
	.size	_ZN7rocprim17ROCPRIM_400000_NS6detail17trampoline_kernelINS0_14default_configENS1_35radix_sort_onesweep_config_selectorIlNS0_10empty_typeEEEZZNS1_29radix_sort_onesweep_iterationIS3_Lb0EPlS8_PS5_S9_mNS0_19identity_decomposerENS1_16block_id_wrapperIjLb0EEEEE10hipError_tT1_PNSt15iterator_traitsISE_E10value_typeET2_T3_PNSF_ISK_E10value_typeET4_T5_PSP_SQ_PNS1_23onesweep_lookback_stateEbbT6_jjT7_P12ihipStream_tbENKUlT_T0_SE_SJ_E_clIS8_S8_S9_S9_EEDaSX_SY_SE_SJ_EUlSX_E_NS1_11comp_targetILNS1_3genE6ELNS1_11target_archE950ELNS1_3gpuE13ELNS1_3repE0EEENS1_47radix_sort_onesweep_sort_config_static_selectorELNS0_4arch9wavefront6targetE1EEEvSE_, .Lfunc_end880-_ZN7rocprim17ROCPRIM_400000_NS6detail17trampoline_kernelINS0_14default_configENS1_35radix_sort_onesweep_config_selectorIlNS0_10empty_typeEEEZZNS1_29radix_sort_onesweep_iterationIS3_Lb0EPlS8_PS5_S9_mNS0_19identity_decomposerENS1_16block_id_wrapperIjLb0EEEEE10hipError_tT1_PNSt15iterator_traitsISE_E10value_typeET2_T3_PNSF_ISK_E10value_typeET4_T5_PSP_SQ_PNS1_23onesweep_lookback_stateEbbT6_jjT7_P12ihipStream_tbENKUlT_T0_SE_SJ_E_clIS8_S8_S9_S9_EEDaSX_SY_SE_SJ_EUlSX_E_NS1_11comp_targetILNS1_3genE6ELNS1_11target_archE950ELNS1_3gpuE13ELNS1_3repE0EEENS1_47radix_sort_onesweep_sort_config_static_selectorELNS0_4arch9wavefront6targetE1EEEvSE_
                                        ; -- End function
	.section	.AMDGPU.csdata,"",@progbits
; Kernel info:
; codeLenInByte = 0
; NumSgprs: 4
; NumVgprs: 0
; NumAgprs: 0
; TotalNumVgprs: 0
; ScratchSize: 0
; MemoryBound: 0
; FloatMode: 240
; IeeeMode: 1
; LDSByteSize: 0 bytes/workgroup (compile time only)
; SGPRBlocks: 0
; VGPRBlocks: 0
; NumSGPRsForWavesPerEU: 4
; NumVGPRsForWavesPerEU: 1
; AccumOffset: 4
; Occupancy: 8
; WaveLimiterHint : 0
; COMPUTE_PGM_RSRC2:SCRATCH_EN: 0
; COMPUTE_PGM_RSRC2:USER_SGPR: 6
; COMPUTE_PGM_RSRC2:TRAP_HANDLER: 0
; COMPUTE_PGM_RSRC2:TGID_X_EN: 1
; COMPUTE_PGM_RSRC2:TGID_Y_EN: 0
; COMPUTE_PGM_RSRC2:TGID_Z_EN: 0
; COMPUTE_PGM_RSRC2:TIDIG_COMP_CNT: 0
; COMPUTE_PGM_RSRC3_GFX90A:ACCUM_OFFSET: 0
; COMPUTE_PGM_RSRC3_GFX90A:TG_SPLIT: 0
	.section	.text._ZN7rocprim17ROCPRIM_400000_NS6detail17trampoline_kernelINS0_14default_configENS1_35radix_sort_onesweep_config_selectorIlNS0_10empty_typeEEEZZNS1_29radix_sort_onesweep_iterationIS3_Lb0EPlS8_PS5_S9_mNS0_19identity_decomposerENS1_16block_id_wrapperIjLb0EEEEE10hipError_tT1_PNSt15iterator_traitsISE_E10value_typeET2_T3_PNSF_ISK_E10value_typeET4_T5_PSP_SQ_PNS1_23onesweep_lookback_stateEbbT6_jjT7_P12ihipStream_tbENKUlT_T0_SE_SJ_E_clIS8_S8_S9_S9_EEDaSX_SY_SE_SJ_EUlSX_E_NS1_11comp_targetILNS1_3genE5ELNS1_11target_archE942ELNS1_3gpuE9ELNS1_3repE0EEENS1_47radix_sort_onesweep_sort_config_static_selectorELNS0_4arch9wavefront6targetE1EEEvSE_,"axG",@progbits,_ZN7rocprim17ROCPRIM_400000_NS6detail17trampoline_kernelINS0_14default_configENS1_35radix_sort_onesweep_config_selectorIlNS0_10empty_typeEEEZZNS1_29radix_sort_onesweep_iterationIS3_Lb0EPlS8_PS5_S9_mNS0_19identity_decomposerENS1_16block_id_wrapperIjLb0EEEEE10hipError_tT1_PNSt15iterator_traitsISE_E10value_typeET2_T3_PNSF_ISK_E10value_typeET4_T5_PSP_SQ_PNS1_23onesweep_lookback_stateEbbT6_jjT7_P12ihipStream_tbENKUlT_T0_SE_SJ_E_clIS8_S8_S9_S9_EEDaSX_SY_SE_SJ_EUlSX_E_NS1_11comp_targetILNS1_3genE5ELNS1_11target_archE942ELNS1_3gpuE9ELNS1_3repE0EEENS1_47radix_sort_onesweep_sort_config_static_selectorELNS0_4arch9wavefront6targetE1EEEvSE_,comdat
	.protected	_ZN7rocprim17ROCPRIM_400000_NS6detail17trampoline_kernelINS0_14default_configENS1_35radix_sort_onesweep_config_selectorIlNS0_10empty_typeEEEZZNS1_29radix_sort_onesweep_iterationIS3_Lb0EPlS8_PS5_S9_mNS0_19identity_decomposerENS1_16block_id_wrapperIjLb0EEEEE10hipError_tT1_PNSt15iterator_traitsISE_E10value_typeET2_T3_PNSF_ISK_E10value_typeET4_T5_PSP_SQ_PNS1_23onesweep_lookback_stateEbbT6_jjT7_P12ihipStream_tbENKUlT_T0_SE_SJ_E_clIS8_S8_S9_S9_EEDaSX_SY_SE_SJ_EUlSX_E_NS1_11comp_targetILNS1_3genE5ELNS1_11target_archE942ELNS1_3gpuE9ELNS1_3repE0EEENS1_47radix_sort_onesweep_sort_config_static_selectorELNS0_4arch9wavefront6targetE1EEEvSE_ ; -- Begin function _ZN7rocprim17ROCPRIM_400000_NS6detail17trampoline_kernelINS0_14default_configENS1_35radix_sort_onesweep_config_selectorIlNS0_10empty_typeEEEZZNS1_29radix_sort_onesweep_iterationIS3_Lb0EPlS8_PS5_S9_mNS0_19identity_decomposerENS1_16block_id_wrapperIjLb0EEEEE10hipError_tT1_PNSt15iterator_traitsISE_E10value_typeET2_T3_PNSF_ISK_E10value_typeET4_T5_PSP_SQ_PNS1_23onesweep_lookback_stateEbbT6_jjT7_P12ihipStream_tbENKUlT_T0_SE_SJ_E_clIS8_S8_S9_S9_EEDaSX_SY_SE_SJ_EUlSX_E_NS1_11comp_targetILNS1_3genE5ELNS1_11target_archE942ELNS1_3gpuE9ELNS1_3repE0EEENS1_47radix_sort_onesweep_sort_config_static_selectorELNS0_4arch9wavefront6targetE1EEEvSE_
	.globl	_ZN7rocprim17ROCPRIM_400000_NS6detail17trampoline_kernelINS0_14default_configENS1_35radix_sort_onesweep_config_selectorIlNS0_10empty_typeEEEZZNS1_29radix_sort_onesweep_iterationIS3_Lb0EPlS8_PS5_S9_mNS0_19identity_decomposerENS1_16block_id_wrapperIjLb0EEEEE10hipError_tT1_PNSt15iterator_traitsISE_E10value_typeET2_T3_PNSF_ISK_E10value_typeET4_T5_PSP_SQ_PNS1_23onesweep_lookback_stateEbbT6_jjT7_P12ihipStream_tbENKUlT_T0_SE_SJ_E_clIS8_S8_S9_S9_EEDaSX_SY_SE_SJ_EUlSX_E_NS1_11comp_targetILNS1_3genE5ELNS1_11target_archE942ELNS1_3gpuE9ELNS1_3repE0EEENS1_47radix_sort_onesweep_sort_config_static_selectorELNS0_4arch9wavefront6targetE1EEEvSE_
	.p2align	8
	.type	_ZN7rocprim17ROCPRIM_400000_NS6detail17trampoline_kernelINS0_14default_configENS1_35radix_sort_onesweep_config_selectorIlNS0_10empty_typeEEEZZNS1_29radix_sort_onesweep_iterationIS3_Lb0EPlS8_PS5_S9_mNS0_19identity_decomposerENS1_16block_id_wrapperIjLb0EEEEE10hipError_tT1_PNSt15iterator_traitsISE_E10value_typeET2_T3_PNSF_ISK_E10value_typeET4_T5_PSP_SQ_PNS1_23onesweep_lookback_stateEbbT6_jjT7_P12ihipStream_tbENKUlT_T0_SE_SJ_E_clIS8_S8_S9_S9_EEDaSX_SY_SE_SJ_EUlSX_E_NS1_11comp_targetILNS1_3genE5ELNS1_11target_archE942ELNS1_3gpuE9ELNS1_3repE0EEENS1_47radix_sort_onesweep_sort_config_static_selectorELNS0_4arch9wavefront6targetE1EEEvSE_,@function
_ZN7rocprim17ROCPRIM_400000_NS6detail17trampoline_kernelINS0_14default_configENS1_35radix_sort_onesweep_config_selectorIlNS0_10empty_typeEEEZZNS1_29radix_sort_onesweep_iterationIS3_Lb0EPlS8_PS5_S9_mNS0_19identity_decomposerENS1_16block_id_wrapperIjLb0EEEEE10hipError_tT1_PNSt15iterator_traitsISE_E10value_typeET2_T3_PNSF_ISK_E10value_typeET4_T5_PSP_SQ_PNS1_23onesweep_lookback_stateEbbT6_jjT7_P12ihipStream_tbENKUlT_T0_SE_SJ_E_clIS8_S8_S9_S9_EEDaSX_SY_SE_SJ_EUlSX_E_NS1_11comp_targetILNS1_3genE5ELNS1_11target_archE942ELNS1_3gpuE9ELNS1_3repE0EEENS1_47radix_sort_onesweep_sort_config_static_selectorELNS0_4arch9wavefront6targetE1EEEvSE_: ; @_ZN7rocprim17ROCPRIM_400000_NS6detail17trampoline_kernelINS0_14default_configENS1_35radix_sort_onesweep_config_selectorIlNS0_10empty_typeEEEZZNS1_29radix_sort_onesweep_iterationIS3_Lb0EPlS8_PS5_S9_mNS0_19identity_decomposerENS1_16block_id_wrapperIjLb0EEEEE10hipError_tT1_PNSt15iterator_traitsISE_E10value_typeET2_T3_PNSF_ISK_E10value_typeET4_T5_PSP_SQ_PNS1_23onesweep_lookback_stateEbbT6_jjT7_P12ihipStream_tbENKUlT_T0_SE_SJ_E_clIS8_S8_S9_S9_EEDaSX_SY_SE_SJ_EUlSX_E_NS1_11comp_targetILNS1_3genE5ELNS1_11target_archE942ELNS1_3gpuE9ELNS1_3repE0EEENS1_47radix_sort_onesweep_sort_config_static_selectorELNS0_4arch9wavefront6targetE1EEEvSE_
; %bb.0:
	.section	.rodata,"a",@progbits
	.p2align	6, 0x0
	.amdhsa_kernel _ZN7rocprim17ROCPRIM_400000_NS6detail17trampoline_kernelINS0_14default_configENS1_35radix_sort_onesweep_config_selectorIlNS0_10empty_typeEEEZZNS1_29radix_sort_onesweep_iterationIS3_Lb0EPlS8_PS5_S9_mNS0_19identity_decomposerENS1_16block_id_wrapperIjLb0EEEEE10hipError_tT1_PNSt15iterator_traitsISE_E10value_typeET2_T3_PNSF_ISK_E10value_typeET4_T5_PSP_SQ_PNS1_23onesweep_lookback_stateEbbT6_jjT7_P12ihipStream_tbENKUlT_T0_SE_SJ_E_clIS8_S8_S9_S9_EEDaSX_SY_SE_SJ_EUlSX_E_NS1_11comp_targetILNS1_3genE5ELNS1_11target_archE942ELNS1_3gpuE9ELNS1_3repE0EEENS1_47radix_sort_onesweep_sort_config_static_selectorELNS0_4arch9wavefront6targetE1EEEvSE_
		.amdhsa_group_segment_fixed_size 0
		.amdhsa_private_segment_fixed_size 0
		.amdhsa_kernarg_size 88
		.amdhsa_user_sgpr_count 6
		.amdhsa_user_sgpr_private_segment_buffer 1
		.amdhsa_user_sgpr_dispatch_ptr 0
		.amdhsa_user_sgpr_queue_ptr 0
		.amdhsa_user_sgpr_kernarg_segment_ptr 1
		.amdhsa_user_sgpr_dispatch_id 0
		.amdhsa_user_sgpr_flat_scratch_init 0
		.amdhsa_user_sgpr_kernarg_preload_length 0
		.amdhsa_user_sgpr_kernarg_preload_offset 0
		.amdhsa_user_sgpr_private_segment_size 0
		.amdhsa_uses_dynamic_stack 0
		.amdhsa_system_sgpr_private_segment_wavefront_offset 0
		.amdhsa_system_sgpr_workgroup_id_x 1
		.amdhsa_system_sgpr_workgroup_id_y 0
		.amdhsa_system_sgpr_workgroup_id_z 0
		.amdhsa_system_sgpr_workgroup_info 0
		.amdhsa_system_vgpr_workitem_id 0
		.amdhsa_next_free_vgpr 1
		.amdhsa_next_free_sgpr 0
		.amdhsa_accum_offset 4
		.amdhsa_reserve_vcc 0
		.amdhsa_reserve_flat_scratch 0
		.amdhsa_float_round_mode_32 0
		.amdhsa_float_round_mode_16_64 0
		.amdhsa_float_denorm_mode_32 3
		.amdhsa_float_denorm_mode_16_64 3
		.amdhsa_dx10_clamp 1
		.amdhsa_ieee_mode 1
		.amdhsa_fp16_overflow 0
		.amdhsa_tg_split 0
		.amdhsa_exception_fp_ieee_invalid_op 0
		.amdhsa_exception_fp_denorm_src 0
		.amdhsa_exception_fp_ieee_div_zero 0
		.amdhsa_exception_fp_ieee_overflow 0
		.amdhsa_exception_fp_ieee_underflow 0
		.amdhsa_exception_fp_ieee_inexact 0
		.amdhsa_exception_int_div_zero 0
	.end_amdhsa_kernel
	.section	.text._ZN7rocprim17ROCPRIM_400000_NS6detail17trampoline_kernelINS0_14default_configENS1_35radix_sort_onesweep_config_selectorIlNS0_10empty_typeEEEZZNS1_29radix_sort_onesweep_iterationIS3_Lb0EPlS8_PS5_S9_mNS0_19identity_decomposerENS1_16block_id_wrapperIjLb0EEEEE10hipError_tT1_PNSt15iterator_traitsISE_E10value_typeET2_T3_PNSF_ISK_E10value_typeET4_T5_PSP_SQ_PNS1_23onesweep_lookback_stateEbbT6_jjT7_P12ihipStream_tbENKUlT_T0_SE_SJ_E_clIS8_S8_S9_S9_EEDaSX_SY_SE_SJ_EUlSX_E_NS1_11comp_targetILNS1_3genE5ELNS1_11target_archE942ELNS1_3gpuE9ELNS1_3repE0EEENS1_47radix_sort_onesweep_sort_config_static_selectorELNS0_4arch9wavefront6targetE1EEEvSE_,"axG",@progbits,_ZN7rocprim17ROCPRIM_400000_NS6detail17trampoline_kernelINS0_14default_configENS1_35radix_sort_onesweep_config_selectorIlNS0_10empty_typeEEEZZNS1_29radix_sort_onesweep_iterationIS3_Lb0EPlS8_PS5_S9_mNS0_19identity_decomposerENS1_16block_id_wrapperIjLb0EEEEE10hipError_tT1_PNSt15iterator_traitsISE_E10value_typeET2_T3_PNSF_ISK_E10value_typeET4_T5_PSP_SQ_PNS1_23onesweep_lookback_stateEbbT6_jjT7_P12ihipStream_tbENKUlT_T0_SE_SJ_E_clIS8_S8_S9_S9_EEDaSX_SY_SE_SJ_EUlSX_E_NS1_11comp_targetILNS1_3genE5ELNS1_11target_archE942ELNS1_3gpuE9ELNS1_3repE0EEENS1_47radix_sort_onesweep_sort_config_static_selectorELNS0_4arch9wavefront6targetE1EEEvSE_,comdat
.Lfunc_end881:
	.size	_ZN7rocprim17ROCPRIM_400000_NS6detail17trampoline_kernelINS0_14default_configENS1_35radix_sort_onesweep_config_selectorIlNS0_10empty_typeEEEZZNS1_29radix_sort_onesweep_iterationIS3_Lb0EPlS8_PS5_S9_mNS0_19identity_decomposerENS1_16block_id_wrapperIjLb0EEEEE10hipError_tT1_PNSt15iterator_traitsISE_E10value_typeET2_T3_PNSF_ISK_E10value_typeET4_T5_PSP_SQ_PNS1_23onesweep_lookback_stateEbbT6_jjT7_P12ihipStream_tbENKUlT_T0_SE_SJ_E_clIS8_S8_S9_S9_EEDaSX_SY_SE_SJ_EUlSX_E_NS1_11comp_targetILNS1_3genE5ELNS1_11target_archE942ELNS1_3gpuE9ELNS1_3repE0EEENS1_47radix_sort_onesweep_sort_config_static_selectorELNS0_4arch9wavefront6targetE1EEEvSE_, .Lfunc_end881-_ZN7rocprim17ROCPRIM_400000_NS6detail17trampoline_kernelINS0_14default_configENS1_35radix_sort_onesweep_config_selectorIlNS0_10empty_typeEEEZZNS1_29radix_sort_onesweep_iterationIS3_Lb0EPlS8_PS5_S9_mNS0_19identity_decomposerENS1_16block_id_wrapperIjLb0EEEEE10hipError_tT1_PNSt15iterator_traitsISE_E10value_typeET2_T3_PNSF_ISK_E10value_typeET4_T5_PSP_SQ_PNS1_23onesweep_lookback_stateEbbT6_jjT7_P12ihipStream_tbENKUlT_T0_SE_SJ_E_clIS8_S8_S9_S9_EEDaSX_SY_SE_SJ_EUlSX_E_NS1_11comp_targetILNS1_3genE5ELNS1_11target_archE942ELNS1_3gpuE9ELNS1_3repE0EEENS1_47radix_sort_onesweep_sort_config_static_selectorELNS0_4arch9wavefront6targetE1EEEvSE_
                                        ; -- End function
	.section	.AMDGPU.csdata,"",@progbits
; Kernel info:
; codeLenInByte = 0
; NumSgprs: 4
; NumVgprs: 0
; NumAgprs: 0
; TotalNumVgprs: 0
; ScratchSize: 0
; MemoryBound: 0
; FloatMode: 240
; IeeeMode: 1
; LDSByteSize: 0 bytes/workgroup (compile time only)
; SGPRBlocks: 0
; VGPRBlocks: 0
; NumSGPRsForWavesPerEU: 4
; NumVGPRsForWavesPerEU: 1
; AccumOffset: 4
; Occupancy: 8
; WaveLimiterHint : 0
; COMPUTE_PGM_RSRC2:SCRATCH_EN: 0
; COMPUTE_PGM_RSRC2:USER_SGPR: 6
; COMPUTE_PGM_RSRC2:TRAP_HANDLER: 0
; COMPUTE_PGM_RSRC2:TGID_X_EN: 1
; COMPUTE_PGM_RSRC2:TGID_Y_EN: 0
; COMPUTE_PGM_RSRC2:TGID_Z_EN: 0
; COMPUTE_PGM_RSRC2:TIDIG_COMP_CNT: 0
; COMPUTE_PGM_RSRC3_GFX90A:ACCUM_OFFSET: 0
; COMPUTE_PGM_RSRC3_GFX90A:TG_SPLIT: 0
	.section	.text._ZN7rocprim17ROCPRIM_400000_NS6detail17trampoline_kernelINS0_14default_configENS1_35radix_sort_onesweep_config_selectorIlNS0_10empty_typeEEEZZNS1_29radix_sort_onesweep_iterationIS3_Lb0EPlS8_PS5_S9_mNS0_19identity_decomposerENS1_16block_id_wrapperIjLb0EEEEE10hipError_tT1_PNSt15iterator_traitsISE_E10value_typeET2_T3_PNSF_ISK_E10value_typeET4_T5_PSP_SQ_PNS1_23onesweep_lookback_stateEbbT6_jjT7_P12ihipStream_tbENKUlT_T0_SE_SJ_E_clIS8_S8_S9_S9_EEDaSX_SY_SE_SJ_EUlSX_E_NS1_11comp_targetILNS1_3genE2ELNS1_11target_archE906ELNS1_3gpuE6ELNS1_3repE0EEENS1_47radix_sort_onesweep_sort_config_static_selectorELNS0_4arch9wavefront6targetE1EEEvSE_,"axG",@progbits,_ZN7rocprim17ROCPRIM_400000_NS6detail17trampoline_kernelINS0_14default_configENS1_35radix_sort_onesweep_config_selectorIlNS0_10empty_typeEEEZZNS1_29radix_sort_onesweep_iterationIS3_Lb0EPlS8_PS5_S9_mNS0_19identity_decomposerENS1_16block_id_wrapperIjLb0EEEEE10hipError_tT1_PNSt15iterator_traitsISE_E10value_typeET2_T3_PNSF_ISK_E10value_typeET4_T5_PSP_SQ_PNS1_23onesweep_lookback_stateEbbT6_jjT7_P12ihipStream_tbENKUlT_T0_SE_SJ_E_clIS8_S8_S9_S9_EEDaSX_SY_SE_SJ_EUlSX_E_NS1_11comp_targetILNS1_3genE2ELNS1_11target_archE906ELNS1_3gpuE6ELNS1_3repE0EEENS1_47radix_sort_onesweep_sort_config_static_selectorELNS0_4arch9wavefront6targetE1EEEvSE_,comdat
	.protected	_ZN7rocprim17ROCPRIM_400000_NS6detail17trampoline_kernelINS0_14default_configENS1_35radix_sort_onesweep_config_selectorIlNS0_10empty_typeEEEZZNS1_29radix_sort_onesweep_iterationIS3_Lb0EPlS8_PS5_S9_mNS0_19identity_decomposerENS1_16block_id_wrapperIjLb0EEEEE10hipError_tT1_PNSt15iterator_traitsISE_E10value_typeET2_T3_PNSF_ISK_E10value_typeET4_T5_PSP_SQ_PNS1_23onesweep_lookback_stateEbbT6_jjT7_P12ihipStream_tbENKUlT_T0_SE_SJ_E_clIS8_S8_S9_S9_EEDaSX_SY_SE_SJ_EUlSX_E_NS1_11comp_targetILNS1_3genE2ELNS1_11target_archE906ELNS1_3gpuE6ELNS1_3repE0EEENS1_47radix_sort_onesweep_sort_config_static_selectorELNS0_4arch9wavefront6targetE1EEEvSE_ ; -- Begin function _ZN7rocprim17ROCPRIM_400000_NS6detail17trampoline_kernelINS0_14default_configENS1_35radix_sort_onesweep_config_selectorIlNS0_10empty_typeEEEZZNS1_29radix_sort_onesweep_iterationIS3_Lb0EPlS8_PS5_S9_mNS0_19identity_decomposerENS1_16block_id_wrapperIjLb0EEEEE10hipError_tT1_PNSt15iterator_traitsISE_E10value_typeET2_T3_PNSF_ISK_E10value_typeET4_T5_PSP_SQ_PNS1_23onesweep_lookback_stateEbbT6_jjT7_P12ihipStream_tbENKUlT_T0_SE_SJ_E_clIS8_S8_S9_S9_EEDaSX_SY_SE_SJ_EUlSX_E_NS1_11comp_targetILNS1_3genE2ELNS1_11target_archE906ELNS1_3gpuE6ELNS1_3repE0EEENS1_47radix_sort_onesweep_sort_config_static_selectorELNS0_4arch9wavefront6targetE1EEEvSE_
	.globl	_ZN7rocprim17ROCPRIM_400000_NS6detail17trampoline_kernelINS0_14default_configENS1_35radix_sort_onesweep_config_selectorIlNS0_10empty_typeEEEZZNS1_29radix_sort_onesweep_iterationIS3_Lb0EPlS8_PS5_S9_mNS0_19identity_decomposerENS1_16block_id_wrapperIjLb0EEEEE10hipError_tT1_PNSt15iterator_traitsISE_E10value_typeET2_T3_PNSF_ISK_E10value_typeET4_T5_PSP_SQ_PNS1_23onesweep_lookback_stateEbbT6_jjT7_P12ihipStream_tbENKUlT_T0_SE_SJ_E_clIS8_S8_S9_S9_EEDaSX_SY_SE_SJ_EUlSX_E_NS1_11comp_targetILNS1_3genE2ELNS1_11target_archE906ELNS1_3gpuE6ELNS1_3repE0EEENS1_47radix_sort_onesweep_sort_config_static_selectorELNS0_4arch9wavefront6targetE1EEEvSE_
	.p2align	8
	.type	_ZN7rocprim17ROCPRIM_400000_NS6detail17trampoline_kernelINS0_14default_configENS1_35radix_sort_onesweep_config_selectorIlNS0_10empty_typeEEEZZNS1_29radix_sort_onesweep_iterationIS3_Lb0EPlS8_PS5_S9_mNS0_19identity_decomposerENS1_16block_id_wrapperIjLb0EEEEE10hipError_tT1_PNSt15iterator_traitsISE_E10value_typeET2_T3_PNSF_ISK_E10value_typeET4_T5_PSP_SQ_PNS1_23onesweep_lookback_stateEbbT6_jjT7_P12ihipStream_tbENKUlT_T0_SE_SJ_E_clIS8_S8_S9_S9_EEDaSX_SY_SE_SJ_EUlSX_E_NS1_11comp_targetILNS1_3genE2ELNS1_11target_archE906ELNS1_3gpuE6ELNS1_3repE0EEENS1_47radix_sort_onesweep_sort_config_static_selectorELNS0_4arch9wavefront6targetE1EEEvSE_,@function
_ZN7rocprim17ROCPRIM_400000_NS6detail17trampoline_kernelINS0_14default_configENS1_35radix_sort_onesweep_config_selectorIlNS0_10empty_typeEEEZZNS1_29radix_sort_onesweep_iterationIS3_Lb0EPlS8_PS5_S9_mNS0_19identity_decomposerENS1_16block_id_wrapperIjLb0EEEEE10hipError_tT1_PNSt15iterator_traitsISE_E10value_typeET2_T3_PNSF_ISK_E10value_typeET4_T5_PSP_SQ_PNS1_23onesweep_lookback_stateEbbT6_jjT7_P12ihipStream_tbENKUlT_T0_SE_SJ_E_clIS8_S8_S9_S9_EEDaSX_SY_SE_SJ_EUlSX_E_NS1_11comp_targetILNS1_3genE2ELNS1_11target_archE906ELNS1_3gpuE6ELNS1_3repE0EEENS1_47radix_sort_onesweep_sort_config_static_selectorELNS0_4arch9wavefront6targetE1EEEvSE_: ; @_ZN7rocprim17ROCPRIM_400000_NS6detail17trampoline_kernelINS0_14default_configENS1_35radix_sort_onesweep_config_selectorIlNS0_10empty_typeEEEZZNS1_29radix_sort_onesweep_iterationIS3_Lb0EPlS8_PS5_S9_mNS0_19identity_decomposerENS1_16block_id_wrapperIjLb0EEEEE10hipError_tT1_PNSt15iterator_traitsISE_E10value_typeET2_T3_PNSF_ISK_E10value_typeET4_T5_PSP_SQ_PNS1_23onesweep_lookback_stateEbbT6_jjT7_P12ihipStream_tbENKUlT_T0_SE_SJ_E_clIS8_S8_S9_S9_EEDaSX_SY_SE_SJ_EUlSX_E_NS1_11comp_targetILNS1_3genE2ELNS1_11target_archE906ELNS1_3gpuE6ELNS1_3repE0EEENS1_47radix_sort_onesweep_sort_config_static_selectorELNS0_4arch9wavefront6targetE1EEEvSE_
; %bb.0:
	.section	.rodata,"a",@progbits
	.p2align	6, 0x0
	.amdhsa_kernel _ZN7rocprim17ROCPRIM_400000_NS6detail17trampoline_kernelINS0_14default_configENS1_35radix_sort_onesweep_config_selectorIlNS0_10empty_typeEEEZZNS1_29radix_sort_onesweep_iterationIS3_Lb0EPlS8_PS5_S9_mNS0_19identity_decomposerENS1_16block_id_wrapperIjLb0EEEEE10hipError_tT1_PNSt15iterator_traitsISE_E10value_typeET2_T3_PNSF_ISK_E10value_typeET4_T5_PSP_SQ_PNS1_23onesweep_lookback_stateEbbT6_jjT7_P12ihipStream_tbENKUlT_T0_SE_SJ_E_clIS8_S8_S9_S9_EEDaSX_SY_SE_SJ_EUlSX_E_NS1_11comp_targetILNS1_3genE2ELNS1_11target_archE906ELNS1_3gpuE6ELNS1_3repE0EEENS1_47radix_sort_onesweep_sort_config_static_selectorELNS0_4arch9wavefront6targetE1EEEvSE_
		.amdhsa_group_segment_fixed_size 0
		.amdhsa_private_segment_fixed_size 0
		.amdhsa_kernarg_size 88
		.amdhsa_user_sgpr_count 6
		.amdhsa_user_sgpr_private_segment_buffer 1
		.amdhsa_user_sgpr_dispatch_ptr 0
		.amdhsa_user_sgpr_queue_ptr 0
		.amdhsa_user_sgpr_kernarg_segment_ptr 1
		.amdhsa_user_sgpr_dispatch_id 0
		.amdhsa_user_sgpr_flat_scratch_init 0
		.amdhsa_user_sgpr_kernarg_preload_length 0
		.amdhsa_user_sgpr_kernarg_preload_offset 0
		.amdhsa_user_sgpr_private_segment_size 0
		.amdhsa_uses_dynamic_stack 0
		.amdhsa_system_sgpr_private_segment_wavefront_offset 0
		.amdhsa_system_sgpr_workgroup_id_x 1
		.amdhsa_system_sgpr_workgroup_id_y 0
		.amdhsa_system_sgpr_workgroup_id_z 0
		.amdhsa_system_sgpr_workgroup_info 0
		.amdhsa_system_vgpr_workitem_id 0
		.amdhsa_next_free_vgpr 1
		.amdhsa_next_free_sgpr 0
		.amdhsa_accum_offset 4
		.amdhsa_reserve_vcc 0
		.amdhsa_reserve_flat_scratch 0
		.amdhsa_float_round_mode_32 0
		.amdhsa_float_round_mode_16_64 0
		.amdhsa_float_denorm_mode_32 3
		.amdhsa_float_denorm_mode_16_64 3
		.amdhsa_dx10_clamp 1
		.amdhsa_ieee_mode 1
		.amdhsa_fp16_overflow 0
		.amdhsa_tg_split 0
		.amdhsa_exception_fp_ieee_invalid_op 0
		.amdhsa_exception_fp_denorm_src 0
		.amdhsa_exception_fp_ieee_div_zero 0
		.amdhsa_exception_fp_ieee_overflow 0
		.amdhsa_exception_fp_ieee_underflow 0
		.amdhsa_exception_fp_ieee_inexact 0
		.amdhsa_exception_int_div_zero 0
	.end_amdhsa_kernel
	.section	.text._ZN7rocprim17ROCPRIM_400000_NS6detail17trampoline_kernelINS0_14default_configENS1_35radix_sort_onesweep_config_selectorIlNS0_10empty_typeEEEZZNS1_29radix_sort_onesweep_iterationIS3_Lb0EPlS8_PS5_S9_mNS0_19identity_decomposerENS1_16block_id_wrapperIjLb0EEEEE10hipError_tT1_PNSt15iterator_traitsISE_E10value_typeET2_T3_PNSF_ISK_E10value_typeET4_T5_PSP_SQ_PNS1_23onesweep_lookback_stateEbbT6_jjT7_P12ihipStream_tbENKUlT_T0_SE_SJ_E_clIS8_S8_S9_S9_EEDaSX_SY_SE_SJ_EUlSX_E_NS1_11comp_targetILNS1_3genE2ELNS1_11target_archE906ELNS1_3gpuE6ELNS1_3repE0EEENS1_47radix_sort_onesweep_sort_config_static_selectorELNS0_4arch9wavefront6targetE1EEEvSE_,"axG",@progbits,_ZN7rocprim17ROCPRIM_400000_NS6detail17trampoline_kernelINS0_14default_configENS1_35radix_sort_onesweep_config_selectorIlNS0_10empty_typeEEEZZNS1_29radix_sort_onesweep_iterationIS3_Lb0EPlS8_PS5_S9_mNS0_19identity_decomposerENS1_16block_id_wrapperIjLb0EEEEE10hipError_tT1_PNSt15iterator_traitsISE_E10value_typeET2_T3_PNSF_ISK_E10value_typeET4_T5_PSP_SQ_PNS1_23onesweep_lookback_stateEbbT6_jjT7_P12ihipStream_tbENKUlT_T0_SE_SJ_E_clIS8_S8_S9_S9_EEDaSX_SY_SE_SJ_EUlSX_E_NS1_11comp_targetILNS1_3genE2ELNS1_11target_archE906ELNS1_3gpuE6ELNS1_3repE0EEENS1_47radix_sort_onesweep_sort_config_static_selectorELNS0_4arch9wavefront6targetE1EEEvSE_,comdat
.Lfunc_end882:
	.size	_ZN7rocprim17ROCPRIM_400000_NS6detail17trampoline_kernelINS0_14default_configENS1_35radix_sort_onesweep_config_selectorIlNS0_10empty_typeEEEZZNS1_29radix_sort_onesweep_iterationIS3_Lb0EPlS8_PS5_S9_mNS0_19identity_decomposerENS1_16block_id_wrapperIjLb0EEEEE10hipError_tT1_PNSt15iterator_traitsISE_E10value_typeET2_T3_PNSF_ISK_E10value_typeET4_T5_PSP_SQ_PNS1_23onesweep_lookback_stateEbbT6_jjT7_P12ihipStream_tbENKUlT_T0_SE_SJ_E_clIS8_S8_S9_S9_EEDaSX_SY_SE_SJ_EUlSX_E_NS1_11comp_targetILNS1_3genE2ELNS1_11target_archE906ELNS1_3gpuE6ELNS1_3repE0EEENS1_47radix_sort_onesweep_sort_config_static_selectorELNS0_4arch9wavefront6targetE1EEEvSE_, .Lfunc_end882-_ZN7rocprim17ROCPRIM_400000_NS6detail17trampoline_kernelINS0_14default_configENS1_35radix_sort_onesweep_config_selectorIlNS0_10empty_typeEEEZZNS1_29radix_sort_onesweep_iterationIS3_Lb0EPlS8_PS5_S9_mNS0_19identity_decomposerENS1_16block_id_wrapperIjLb0EEEEE10hipError_tT1_PNSt15iterator_traitsISE_E10value_typeET2_T3_PNSF_ISK_E10value_typeET4_T5_PSP_SQ_PNS1_23onesweep_lookback_stateEbbT6_jjT7_P12ihipStream_tbENKUlT_T0_SE_SJ_E_clIS8_S8_S9_S9_EEDaSX_SY_SE_SJ_EUlSX_E_NS1_11comp_targetILNS1_3genE2ELNS1_11target_archE906ELNS1_3gpuE6ELNS1_3repE0EEENS1_47radix_sort_onesweep_sort_config_static_selectorELNS0_4arch9wavefront6targetE1EEEvSE_
                                        ; -- End function
	.section	.AMDGPU.csdata,"",@progbits
; Kernel info:
; codeLenInByte = 0
; NumSgprs: 4
; NumVgprs: 0
; NumAgprs: 0
; TotalNumVgprs: 0
; ScratchSize: 0
; MemoryBound: 0
; FloatMode: 240
; IeeeMode: 1
; LDSByteSize: 0 bytes/workgroup (compile time only)
; SGPRBlocks: 0
; VGPRBlocks: 0
; NumSGPRsForWavesPerEU: 4
; NumVGPRsForWavesPerEU: 1
; AccumOffset: 4
; Occupancy: 8
; WaveLimiterHint : 0
; COMPUTE_PGM_RSRC2:SCRATCH_EN: 0
; COMPUTE_PGM_RSRC2:USER_SGPR: 6
; COMPUTE_PGM_RSRC2:TRAP_HANDLER: 0
; COMPUTE_PGM_RSRC2:TGID_X_EN: 1
; COMPUTE_PGM_RSRC2:TGID_Y_EN: 0
; COMPUTE_PGM_RSRC2:TGID_Z_EN: 0
; COMPUTE_PGM_RSRC2:TIDIG_COMP_CNT: 0
; COMPUTE_PGM_RSRC3_GFX90A:ACCUM_OFFSET: 0
; COMPUTE_PGM_RSRC3_GFX90A:TG_SPLIT: 0
	.section	.text._ZN7rocprim17ROCPRIM_400000_NS6detail17trampoline_kernelINS0_14default_configENS1_35radix_sort_onesweep_config_selectorIlNS0_10empty_typeEEEZZNS1_29radix_sort_onesweep_iterationIS3_Lb0EPlS8_PS5_S9_mNS0_19identity_decomposerENS1_16block_id_wrapperIjLb0EEEEE10hipError_tT1_PNSt15iterator_traitsISE_E10value_typeET2_T3_PNSF_ISK_E10value_typeET4_T5_PSP_SQ_PNS1_23onesweep_lookback_stateEbbT6_jjT7_P12ihipStream_tbENKUlT_T0_SE_SJ_E_clIS8_S8_S9_S9_EEDaSX_SY_SE_SJ_EUlSX_E_NS1_11comp_targetILNS1_3genE4ELNS1_11target_archE910ELNS1_3gpuE8ELNS1_3repE0EEENS1_47radix_sort_onesweep_sort_config_static_selectorELNS0_4arch9wavefront6targetE1EEEvSE_,"axG",@progbits,_ZN7rocprim17ROCPRIM_400000_NS6detail17trampoline_kernelINS0_14default_configENS1_35radix_sort_onesweep_config_selectorIlNS0_10empty_typeEEEZZNS1_29radix_sort_onesweep_iterationIS3_Lb0EPlS8_PS5_S9_mNS0_19identity_decomposerENS1_16block_id_wrapperIjLb0EEEEE10hipError_tT1_PNSt15iterator_traitsISE_E10value_typeET2_T3_PNSF_ISK_E10value_typeET4_T5_PSP_SQ_PNS1_23onesweep_lookback_stateEbbT6_jjT7_P12ihipStream_tbENKUlT_T0_SE_SJ_E_clIS8_S8_S9_S9_EEDaSX_SY_SE_SJ_EUlSX_E_NS1_11comp_targetILNS1_3genE4ELNS1_11target_archE910ELNS1_3gpuE8ELNS1_3repE0EEENS1_47radix_sort_onesweep_sort_config_static_selectorELNS0_4arch9wavefront6targetE1EEEvSE_,comdat
	.protected	_ZN7rocprim17ROCPRIM_400000_NS6detail17trampoline_kernelINS0_14default_configENS1_35radix_sort_onesweep_config_selectorIlNS0_10empty_typeEEEZZNS1_29radix_sort_onesweep_iterationIS3_Lb0EPlS8_PS5_S9_mNS0_19identity_decomposerENS1_16block_id_wrapperIjLb0EEEEE10hipError_tT1_PNSt15iterator_traitsISE_E10value_typeET2_T3_PNSF_ISK_E10value_typeET4_T5_PSP_SQ_PNS1_23onesweep_lookback_stateEbbT6_jjT7_P12ihipStream_tbENKUlT_T0_SE_SJ_E_clIS8_S8_S9_S9_EEDaSX_SY_SE_SJ_EUlSX_E_NS1_11comp_targetILNS1_3genE4ELNS1_11target_archE910ELNS1_3gpuE8ELNS1_3repE0EEENS1_47radix_sort_onesweep_sort_config_static_selectorELNS0_4arch9wavefront6targetE1EEEvSE_ ; -- Begin function _ZN7rocprim17ROCPRIM_400000_NS6detail17trampoline_kernelINS0_14default_configENS1_35radix_sort_onesweep_config_selectorIlNS0_10empty_typeEEEZZNS1_29radix_sort_onesweep_iterationIS3_Lb0EPlS8_PS5_S9_mNS0_19identity_decomposerENS1_16block_id_wrapperIjLb0EEEEE10hipError_tT1_PNSt15iterator_traitsISE_E10value_typeET2_T3_PNSF_ISK_E10value_typeET4_T5_PSP_SQ_PNS1_23onesweep_lookback_stateEbbT6_jjT7_P12ihipStream_tbENKUlT_T0_SE_SJ_E_clIS8_S8_S9_S9_EEDaSX_SY_SE_SJ_EUlSX_E_NS1_11comp_targetILNS1_3genE4ELNS1_11target_archE910ELNS1_3gpuE8ELNS1_3repE0EEENS1_47radix_sort_onesweep_sort_config_static_selectorELNS0_4arch9wavefront6targetE1EEEvSE_
	.globl	_ZN7rocprim17ROCPRIM_400000_NS6detail17trampoline_kernelINS0_14default_configENS1_35radix_sort_onesweep_config_selectorIlNS0_10empty_typeEEEZZNS1_29radix_sort_onesweep_iterationIS3_Lb0EPlS8_PS5_S9_mNS0_19identity_decomposerENS1_16block_id_wrapperIjLb0EEEEE10hipError_tT1_PNSt15iterator_traitsISE_E10value_typeET2_T3_PNSF_ISK_E10value_typeET4_T5_PSP_SQ_PNS1_23onesweep_lookback_stateEbbT6_jjT7_P12ihipStream_tbENKUlT_T0_SE_SJ_E_clIS8_S8_S9_S9_EEDaSX_SY_SE_SJ_EUlSX_E_NS1_11comp_targetILNS1_3genE4ELNS1_11target_archE910ELNS1_3gpuE8ELNS1_3repE0EEENS1_47radix_sort_onesweep_sort_config_static_selectorELNS0_4arch9wavefront6targetE1EEEvSE_
	.p2align	8
	.type	_ZN7rocprim17ROCPRIM_400000_NS6detail17trampoline_kernelINS0_14default_configENS1_35radix_sort_onesweep_config_selectorIlNS0_10empty_typeEEEZZNS1_29radix_sort_onesweep_iterationIS3_Lb0EPlS8_PS5_S9_mNS0_19identity_decomposerENS1_16block_id_wrapperIjLb0EEEEE10hipError_tT1_PNSt15iterator_traitsISE_E10value_typeET2_T3_PNSF_ISK_E10value_typeET4_T5_PSP_SQ_PNS1_23onesweep_lookback_stateEbbT6_jjT7_P12ihipStream_tbENKUlT_T0_SE_SJ_E_clIS8_S8_S9_S9_EEDaSX_SY_SE_SJ_EUlSX_E_NS1_11comp_targetILNS1_3genE4ELNS1_11target_archE910ELNS1_3gpuE8ELNS1_3repE0EEENS1_47radix_sort_onesweep_sort_config_static_selectorELNS0_4arch9wavefront6targetE1EEEvSE_,@function
_ZN7rocprim17ROCPRIM_400000_NS6detail17trampoline_kernelINS0_14default_configENS1_35radix_sort_onesweep_config_selectorIlNS0_10empty_typeEEEZZNS1_29radix_sort_onesweep_iterationIS3_Lb0EPlS8_PS5_S9_mNS0_19identity_decomposerENS1_16block_id_wrapperIjLb0EEEEE10hipError_tT1_PNSt15iterator_traitsISE_E10value_typeET2_T3_PNSF_ISK_E10value_typeET4_T5_PSP_SQ_PNS1_23onesweep_lookback_stateEbbT6_jjT7_P12ihipStream_tbENKUlT_T0_SE_SJ_E_clIS8_S8_S9_S9_EEDaSX_SY_SE_SJ_EUlSX_E_NS1_11comp_targetILNS1_3genE4ELNS1_11target_archE910ELNS1_3gpuE8ELNS1_3repE0EEENS1_47radix_sort_onesweep_sort_config_static_selectorELNS0_4arch9wavefront6targetE1EEEvSE_: ; @_ZN7rocprim17ROCPRIM_400000_NS6detail17trampoline_kernelINS0_14default_configENS1_35radix_sort_onesweep_config_selectorIlNS0_10empty_typeEEEZZNS1_29radix_sort_onesweep_iterationIS3_Lb0EPlS8_PS5_S9_mNS0_19identity_decomposerENS1_16block_id_wrapperIjLb0EEEEE10hipError_tT1_PNSt15iterator_traitsISE_E10value_typeET2_T3_PNSF_ISK_E10value_typeET4_T5_PSP_SQ_PNS1_23onesweep_lookback_stateEbbT6_jjT7_P12ihipStream_tbENKUlT_T0_SE_SJ_E_clIS8_S8_S9_S9_EEDaSX_SY_SE_SJ_EUlSX_E_NS1_11comp_targetILNS1_3genE4ELNS1_11target_archE910ELNS1_3gpuE8ELNS1_3repE0EEENS1_47radix_sort_onesweep_sort_config_static_selectorELNS0_4arch9wavefront6targetE1EEEvSE_
; %bb.0:
	s_load_dwordx2 s[24:25], s[4:5], 0x38
	s_load_dwordx4 s[16:19], s[4:5], 0x44
	s_load_dwordx4 s[20:23], s[4:5], 0x0
	;; [unrolled: 1-line block ×3, first 2 shown]
	v_mbcnt_lo_u32_b32 v28, -1, 0
	s_waitcnt lgkmcnt(0)
	s_cmp_ge_u32 s6, s18
	s_cbranch_scc0 .LBB883_61
; %bb.1:
	s_load_dword s2, s[4:5], 0x20
	s_lshl_b32 s3, s18, 13
	s_lshl_b32 s0, s6, 13
	s_mov_b32 s1, 0
	s_lshl_b64 s[0:1], s[0:1], 3
	s_waitcnt lgkmcnt(0)
	s_sub_i32 s7, s2, s3
	v_mbcnt_hi_u32_b32 v1, -1, v28
	v_and_b32_e32 v2, 0x3ff, v0
	s_add_u32 s2, s20, s0
	v_and_b32_e32 v3, 63, v1
	s_addc_u32 s3, s21, s1
	v_lshlrev_b32_e32 v29, 3, v2
	v_lshlrev_b32_e32 v5, 3, v3
	v_and_b32_e32 v4, 0x1e00, v29
	v_mov_b32_e32 v6, s3
	v_add_co_u32_e32 v5, vcc, s2, v5
	v_addc_co_u32_e32 v6, vcc, 0, v6, vcc
	v_lshlrev_b32_e32 v7, 3, v4
	s_mov_b32 s0, -1
	v_add_co_u32_e32 v20, vcc, v5, v7
	s_brev_b32 s1, -2
	v_addc_co_u32_e32 v21, vcc, 0, v6, vcc
	v_or_b32_e32 v3, v3, v4
	v_cmp_gt_u32_e32 vcc, s7, v3
	v_pk_mov_b32 v[4:5], s[0:1], s[0:1] op_sel:[0,1]
	s_and_saveexec_b64 s[2:3], vcc
	s_cbranch_execz .LBB883_3
; %bb.2:
	global_load_dwordx2 v[4:5], v[20:21], off
.LBB883_3:
	s_or_b64 exec, exec, s[2:3]
	v_or_b32_e32 v6, 64, v3
	v_cmp_gt_u32_e32 vcc, s7, v6
	v_pk_mov_b32 v[6:7], s[0:1], s[0:1] op_sel:[0,1]
	s_and_saveexec_b64 s[0:1], vcc
	s_cbranch_execz .LBB883_5
; %bb.4:
	global_load_dwordx2 v[6:7], v[20:21], off offset:512
.LBB883_5:
	s_or_b64 exec, exec, s[0:1]
	s_mov_b32 s0, -1
	v_or_b32_e32 v8, 0x80, v3
	s_brev_b32 s1, -2
	v_cmp_gt_u32_e32 vcc, s7, v8
	v_pk_mov_b32 v[8:9], s[0:1], s[0:1] op_sel:[0,1]
	s_and_saveexec_b64 s[2:3], vcc
	s_cbranch_execz .LBB883_7
; %bb.6:
	global_load_dwordx2 v[8:9], v[20:21], off offset:1024
.LBB883_7:
	s_or_b64 exec, exec, s[2:3]
	v_or_b32_e32 v10, 0xc0, v3
	v_cmp_gt_u32_e32 vcc, s7, v10
	v_pk_mov_b32 v[10:11], s[0:1], s[0:1] op_sel:[0,1]
	s_and_saveexec_b64 s[0:1], vcc
	s_cbranch_execz .LBB883_9
; %bb.8:
	global_load_dwordx2 v[10:11], v[20:21], off offset:1536
.LBB883_9:
	s_or_b64 exec, exec, s[0:1]
	s_mov_b32 s0, -1
	v_or_b32_e32 v12, 0x100, v3
	s_brev_b32 s1, -2
	v_cmp_gt_u32_e32 vcc, s7, v12
	v_pk_mov_b32 v[12:13], s[0:1], s[0:1] op_sel:[0,1]
	s_and_saveexec_b64 s[2:3], vcc
	s_cbranch_execz .LBB883_11
; %bb.10:
	global_load_dwordx2 v[12:13], v[20:21], off offset:2048
.LBB883_11:
	;; [unrolled: 20-line block ×3, first 2 shown]
	s_or_b64 exec, exec, s[2:3]
	v_or_b32_e32 v3, 0x1c0, v3
	v_cmp_gt_u32_e32 vcc, s7, v3
	v_pk_mov_b32 v[18:19], s[0:1], s[0:1] op_sel:[0,1]
	s_and_saveexec_b64 s[0:1], vcc
	s_cbranch_execz .LBB883_17
; %bb.16:
	global_load_dwordx2 v[18:19], v[20:21], off offset:3584
.LBB883_17:
	s_or_b64 exec, exec, s[0:1]
	s_load_dword s0, s[4:5], 0x64
	s_load_dword s26, s[4:5], 0x58
	s_add_u32 s1, s4, 0x58
	s_addc_u32 s2, s5, 0
	v_mov_b32_e32 v20, 0
	s_waitcnt lgkmcnt(0)
	s_lshr_b32 s3, s0, 16
	s_cmp_lt_u32 s6, s26
	s_cselect_b32 s0, 12, 18
	s_add_u32 s0, s1, s0
	s_addc_u32 s1, s2, 0
	global_load_ushort v24, v20, s[0:1]
	s_waitcnt vmcnt(1)
	v_xor_b32_e32 v5, 0x80000000, v5
	s_lshl_b32 s0, -1, s17
	v_lshrrev_b64 v[22:23], s16, v[4:5]
	s_not_b32 s27, s0
	v_and_b32_e32 v22, s27, v22
	v_and_b32_e32 v26, 1, v22
	v_bfe_u32 v21, v0, 10, 10
	v_bfe_u32 v25, v0, 20, 10
	v_add_co_u32_e32 v27, vcc, -1, v26
	v_mad_u32_u24 v23, v25, s3, v21
	v_lshlrev_b32_e32 v21, 30, v22
	v_addc_co_u32_e64 v30, s[0:1], 0, -1, vcc
	v_cmp_ne_u32_e32 vcc, 0, v26
	v_cmp_gt_i64_e64 s[0:1], 0, v[20:21]
	v_not_b32_e32 v26, v21
	v_lshlrev_b32_e32 v21, 29, v22
	v_xor_b32_e32 v30, vcc_hi, v30
	v_xor_b32_e32 v27, vcc_lo, v27
	v_ashrrev_i32_e32 v26, 31, v26
	v_cmp_gt_i64_e32 vcc, 0, v[20:21]
	v_not_b32_e32 v31, v21
	v_lshlrev_b32_e32 v21, 28, v22
	v_and_b32_e32 v30, exec_hi, v30
	v_and_b32_e32 v27, exec_lo, v27
	v_xor_b32_e32 v32, s1, v26
	v_xor_b32_e32 v26, s0, v26
	v_ashrrev_i32_e32 v31, 31, v31
	v_cmp_gt_i64_e64 s[0:1], 0, v[20:21]
	v_not_b32_e32 v33, v21
	v_lshlrev_b32_e32 v21, 27, v22
	v_and_b32_e32 v30, v30, v32
	v_and_b32_e32 v26, v27, v26
	v_xor_b32_e32 v27, vcc_hi, v31
	v_xor_b32_e32 v31, vcc_lo, v31
	v_ashrrev_i32_e32 v32, 31, v33
	v_cmp_gt_i64_e32 vcc, 0, v[20:21]
	v_not_b32_e32 v33, v21
	v_lshlrev_b32_e32 v21, 26, v22
	v_and_b32_e32 v27, v30, v27
	v_and_b32_e32 v26, v26, v31
	v_xor_b32_e32 v30, s1, v32
	v_xor_b32_e32 v31, s0, v32
	v_ashrrev_i32_e32 v32, 31, v33
	v_cmp_gt_i64_e64 s[0:1], 0, v[20:21]
	v_not_b32_e32 v33, v21
	v_lshlrev_b32_e32 v21, 25, v22
	v_and_b32_e32 v27, v27, v30
	v_and_b32_e32 v26, v26, v31
	v_xor_b32_e32 v30, vcc_hi, v32
	v_xor_b32_e32 v31, vcc_lo, v32
	v_ashrrev_i32_e32 v32, 31, v33
	v_not_b32_e32 v33, v21
	v_mul_u32_u24_e32 v3, 5, v2
	v_lshl_add_u32 v25, v22, 4, v22
	v_cmp_gt_i64_e32 vcc, 0, v[20:21]
	v_lshlrev_b32_e32 v21, 24, v22
	v_and_b32_e32 v22, v27, v30
	v_and_b32_e32 v26, v26, v31
	v_xor_b32_e32 v27, s1, v32
	v_ashrrev_i32_e32 v31, 31, v33
	v_lshlrev_b32_e32 v3, 2, v3
	v_xor_b32_e32 v30, s0, v32
	v_cmp_gt_i64_e64 s[0:1], 0, v[20:21]
	v_not_b32_e32 v21, v21
	v_and_b32_e32 v22, v22, v27
	v_xor_b32_e32 v27, vcc_hi, v31
	v_and_b32_e32 v26, v26, v30
	v_xor_b32_e32 v30, vcc_lo, v31
	v_and_b32_e32 v31, v22, v27
	v_ashrrev_i32_e32 v21, 31, v21
	v_and_b32_e32 v26, v26, v30
	ds_write2_b32 v3, v20, v20 offset0:16 offset1:17
	ds_write2_b32 v3, v20, v20 offset0:18 offset1:19
	ds_write_b32 v3, v20 offset:80
	s_waitcnt lgkmcnt(0)
	s_barrier
	s_waitcnt lgkmcnt(0)
	; wave barrier
	s_waitcnt vmcnt(0)
	v_mad_u64_u32 v[22:23], s[2:3], v23, v24, v[2:3]
	v_lshrrev_b32_e32 v27, 6, v22
	v_xor_b32_e32 v22, s1, v21
	v_xor_b32_e32 v21, s0, v21
	v_and_b32_e32 v23, v31, v22
	v_and_b32_e32 v22, v26, v21
	v_mbcnt_lo_u32_b32 v21, v22, 0
	v_mbcnt_hi_u32_b32 v30, v23, v21
	v_cmp_eq_u32_e32 vcc, 0, v30
	v_cmp_ne_u64_e64 s[0:1], 0, v[22:23]
	v_add_lshl_u32 v24, v27, v25, 2
	s_and_b64 s[2:3], s[0:1], vcc
	s_and_saveexec_b64 s[0:1], s[2:3]
	s_cbranch_execz .LBB883_19
; %bb.18:
	v_bcnt_u32_b32 v21, v22, 0
	v_bcnt_u32_b32 v21, v23, v21
	ds_write_b32 v24, v21 offset:64
.LBB883_19:
	s_or_b64 exec, exec, s[0:1]
	v_xor_b32_e32 v7, 0x80000000, v7
	v_lshrrev_b64 v[22:23], s16, v[6:7]
	v_and_b32_e32 v22, s27, v22
	v_lshl_add_u32 v21, v22, 4, v22
	v_add_lshl_u32 v25, v27, v21, 2
	v_and_b32_e32 v21, 1, v22
	v_add_co_u32_e32 v23, vcc, -1, v21
	v_addc_co_u32_e64 v26, s[0:1], 0, -1, vcc
	v_cmp_ne_u32_e32 vcc, 0, v21
	v_xor_b32_e32 v21, vcc_hi, v26
	v_and_b32_e32 v26, exec_hi, v21
	v_lshlrev_b32_e32 v21, 30, v22
	v_xor_b32_e32 v23, vcc_lo, v23
	v_cmp_gt_i64_e32 vcc, 0, v[20:21]
	v_not_b32_e32 v21, v21
	v_ashrrev_i32_e32 v21, 31, v21
	v_and_b32_e32 v23, exec_lo, v23
	v_xor_b32_e32 v32, vcc_hi, v21
	v_xor_b32_e32 v21, vcc_lo, v21
	v_and_b32_e32 v23, v23, v21
	v_lshlrev_b32_e32 v21, 29, v22
	v_cmp_gt_i64_e32 vcc, 0, v[20:21]
	v_not_b32_e32 v21, v21
	v_ashrrev_i32_e32 v21, 31, v21
	v_and_b32_e32 v26, v26, v32
	v_xor_b32_e32 v32, vcc_hi, v21
	v_xor_b32_e32 v21, vcc_lo, v21
	v_and_b32_e32 v23, v23, v21
	v_lshlrev_b32_e32 v21, 28, v22
	v_cmp_gt_i64_e32 vcc, 0, v[20:21]
	v_not_b32_e32 v21, v21
	v_ashrrev_i32_e32 v21, 31, v21
	v_and_b32_e32 v26, v26, v32
	;; [unrolled: 8-line block ×5, first 2 shown]
	v_xor_b32_e32 v32, vcc_hi, v21
	v_xor_b32_e32 v21, vcc_lo, v21
	v_and_b32_e32 v23, v23, v21
	v_lshlrev_b32_e32 v21, 24, v22
	v_cmp_gt_i64_e32 vcc, 0, v[20:21]
	v_not_b32_e32 v20, v21
	v_ashrrev_i32_e32 v20, 31, v20
	v_xor_b32_e32 v21, vcc_hi, v20
	v_xor_b32_e32 v20, vcc_lo, v20
	; wave barrier
	ds_read_b32 v31, v25 offset:64
	v_and_b32_e32 v26, v26, v32
	v_and_b32_e32 v20, v23, v20
	;; [unrolled: 1-line block ×3, first 2 shown]
	v_mbcnt_lo_u32_b32 v22, v20, 0
	v_mbcnt_hi_u32_b32 v32, v21, v22
	v_cmp_eq_u32_e32 vcc, 0, v32
	v_cmp_ne_u64_e64 s[0:1], 0, v[20:21]
	s_and_b64 s[2:3], s[0:1], vcc
	; wave barrier
	s_and_saveexec_b64 s[0:1], s[2:3]
	s_cbranch_execz .LBB883_21
; %bb.20:
	v_bcnt_u32_b32 v20, v20, 0
	v_bcnt_u32_b32 v20, v21, v20
	s_waitcnt lgkmcnt(0)
	v_add_u32_e32 v20, v31, v20
	ds_write_b32 v25, v20 offset:64
.LBB883_21:
	s_or_b64 exec, exec, s[0:1]
	v_xor_b32_e32 v9, 0x80000000, v9
	v_lshrrev_b64 v[20:21], s16, v[8:9]
	v_and_b32_e32 v22, s27, v20
	v_and_b32_e32 v21, 1, v22
	v_add_co_u32_e32 v23, vcc, -1, v21
	v_addc_co_u32_e64 v34, s[0:1], 0, -1, vcc
	v_cmp_ne_u32_e32 vcc, 0, v21
	v_lshl_add_u32 v20, v22, 4, v22
	v_xor_b32_e32 v21, vcc_hi, v34
	v_add_lshl_u32 v26, v27, v20, 2
	v_mov_b32_e32 v20, 0
	v_and_b32_e32 v34, exec_hi, v21
	v_lshlrev_b32_e32 v21, 30, v22
	v_xor_b32_e32 v23, vcc_lo, v23
	v_cmp_gt_i64_e32 vcc, 0, v[20:21]
	v_not_b32_e32 v21, v21
	v_ashrrev_i32_e32 v21, 31, v21
	v_and_b32_e32 v23, exec_lo, v23
	v_xor_b32_e32 v35, vcc_hi, v21
	v_xor_b32_e32 v21, vcc_lo, v21
	v_and_b32_e32 v23, v23, v21
	v_lshlrev_b32_e32 v21, 29, v22
	v_cmp_gt_i64_e32 vcc, 0, v[20:21]
	v_not_b32_e32 v21, v21
	v_ashrrev_i32_e32 v21, 31, v21
	v_and_b32_e32 v34, v34, v35
	v_xor_b32_e32 v35, vcc_hi, v21
	v_xor_b32_e32 v21, vcc_lo, v21
	v_and_b32_e32 v23, v23, v21
	v_lshlrev_b32_e32 v21, 28, v22
	v_cmp_gt_i64_e32 vcc, 0, v[20:21]
	v_not_b32_e32 v21, v21
	v_ashrrev_i32_e32 v21, 31, v21
	v_and_b32_e32 v34, v34, v35
	;; [unrolled: 8-line block ×5, first 2 shown]
	v_xor_b32_e32 v35, vcc_hi, v21
	v_xor_b32_e32 v21, vcc_lo, v21
	v_and_b32_e32 v34, v34, v35
	v_and_b32_e32 v35, v23, v21
	v_lshlrev_b32_e32 v21, 24, v22
	v_cmp_gt_i64_e32 vcc, 0, v[20:21]
	v_not_b32_e32 v21, v21
	v_ashrrev_i32_e32 v21, 31, v21
	v_xor_b32_e32 v22, vcc_hi, v21
	v_xor_b32_e32 v21, vcc_lo, v21
	; wave barrier
	ds_read_b32 v33, v26 offset:64
	v_and_b32_e32 v23, v34, v22
	v_and_b32_e32 v22, v35, v21
	v_mbcnt_lo_u32_b32 v21, v22, 0
	v_mbcnt_hi_u32_b32 v34, v23, v21
	v_cmp_eq_u32_e32 vcc, 0, v34
	v_cmp_ne_u64_e64 s[0:1], 0, v[22:23]
	s_and_b64 s[2:3], s[0:1], vcc
	; wave barrier
	s_and_saveexec_b64 s[0:1], s[2:3]
	s_cbranch_execz .LBB883_23
; %bb.22:
	v_bcnt_u32_b32 v21, v22, 0
	v_bcnt_u32_b32 v21, v23, v21
	s_waitcnt lgkmcnt(0)
	v_add_u32_e32 v21, v33, v21
	ds_write_b32 v26, v21 offset:64
.LBB883_23:
	s_or_b64 exec, exec, s[0:1]
	v_xor_b32_e32 v11, 0x80000000, v11
	v_lshrrev_b64 v[22:23], s16, v[10:11]
	v_and_b32_e32 v22, s27, v22
	v_lshl_add_u32 v21, v22, 4, v22
	v_add_lshl_u32 v38, v27, v21, 2
	v_and_b32_e32 v21, 1, v22
	v_add_co_u32_e32 v23, vcc, -1, v21
	v_addc_co_u32_e64 v36, s[0:1], 0, -1, vcc
	v_cmp_ne_u32_e32 vcc, 0, v21
	v_xor_b32_e32 v21, vcc_hi, v36
	v_and_b32_e32 v36, exec_hi, v21
	v_lshlrev_b32_e32 v21, 30, v22
	v_xor_b32_e32 v23, vcc_lo, v23
	v_cmp_gt_i64_e32 vcc, 0, v[20:21]
	v_not_b32_e32 v21, v21
	v_ashrrev_i32_e32 v21, 31, v21
	v_and_b32_e32 v23, exec_lo, v23
	v_xor_b32_e32 v37, vcc_hi, v21
	v_xor_b32_e32 v21, vcc_lo, v21
	v_and_b32_e32 v23, v23, v21
	v_lshlrev_b32_e32 v21, 29, v22
	v_cmp_gt_i64_e32 vcc, 0, v[20:21]
	v_not_b32_e32 v21, v21
	v_ashrrev_i32_e32 v21, 31, v21
	v_and_b32_e32 v36, v36, v37
	v_xor_b32_e32 v37, vcc_hi, v21
	v_xor_b32_e32 v21, vcc_lo, v21
	v_and_b32_e32 v23, v23, v21
	v_lshlrev_b32_e32 v21, 28, v22
	v_cmp_gt_i64_e32 vcc, 0, v[20:21]
	v_not_b32_e32 v21, v21
	v_ashrrev_i32_e32 v21, 31, v21
	v_and_b32_e32 v36, v36, v37
	v_xor_b32_e32 v37, vcc_hi, v21
	v_xor_b32_e32 v21, vcc_lo, v21
	v_and_b32_e32 v23, v23, v21
	v_lshlrev_b32_e32 v21, 27, v22
	v_cmp_gt_i64_e32 vcc, 0, v[20:21]
	v_not_b32_e32 v21, v21
	v_ashrrev_i32_e32 v21, 31, v21
	v_and_b32_e32 v36, v36, v37
	v_xor_b32_e32 v37, vcc_hi, v21
	v_xor_b32_e32 v21, vcc_lo, v21
	v_and_b32_e32 v23, v23, v21
	v_lshlrev_b32_e32 v21, 26, v22
	v_cmp_gt_i64_e32 vcc, 0, v[20:21]
	v_not_b32_e32 v21, v21
	v_ashrrev_i32_e32 v21, 31, v21
	v_and_b32_e32 v36, v36, v37
	v_xor_b32_e32 v37, vcc_hi, v21
	v_xor_b32_e32 v21, vcc_lo, v21
	v_and_b32_e32 v23, v23, v21
	v_lshlrev_b32_e32 v21, 25, v22
	v_cmp_gt_i64_e32 vcc, 0, v[20:21]
	v_not_b32_e32 v21, v21
	v_ashrrev_i32_e32 v21, 31, v21
	v_and_b32_e32 v36, v36, v37
	v_xor_b32_e32 v37, vcc_hi, v21
	v_xor_b32_e32 v21, vcc_lo, v21
	v_and_b32_e32 v23, v23, v21
	v_lshlrev_b32_e32 v21, 24, v22
	v_cmp_gt_i64_e32 vcc, 0, v[20:21]
	v_not_b32_e32 v20, v21
	v_ashrrev_i32_e32 v20, 31, v20
	v_xor_b32_e32 v21, vcc_hi, v20
	v_xor_b32_e32 v20, vcc_lo, v20
	; wave barrier
	ds_read_b32 v35, v38 offset:64
	v_and_b32_e32 v36, v36, v37
	v_and_b32_e32 v20, v23, v20
	;; [unrolled: 1-line block ×3, first 2 shown]
	v_mbcnt_lo_u32_b32 v22, v20, 0
	v_mbcnt_hi_u32_b32 v36, v21, v22
	v_cmp_eq_u32_e32 vcc, 0, v36
	v_cmp_ne_u64_e64 s[0:1], 0, v[20:21]
	s_and_b64 s[2:3], s[0:1], vcc
	; wave barrier
	s_and_saveexec_b64 s[0:1], s[2:3]
	s_cbranch_execz .LBB883_25
; %bb.24:
	v_bcnt_u32_b32 v20, v20, 0
	v_bcnt_u32_b32 v20, v21, v20
	s_waitcnt lgkmcnt(0)
	v_add_u32_e32 v20, v35, v20
	ds_write_b32 v38, v20 offset:64
.LBB883_25:
	s_or_b64 exec, exec, s[0:1]
	v_xor_b32_e32 v13, 0x80000000, v13
	v_lshrrev_b64 v[20:21], s16, v[12:13]
	v_and_b32_e32 v22, s27, v20
	v_and_b32_e32 v21, 1, v22
	v_add_co_u32_e32 v23, vcc, -1, v21
	v_addc_co_u32_e64 v39, s[0:1], 0, -1, vcc
	v_cmp_ne_u32_e32 vcc, 0, v21
	v_lshl_add_u32 v20, v22, 4, v22
	v_xor_b32_e32 v21, vcc_hi, v39
	v_add_lshl_u32 v42, v27, v20, 2
	v_mov_b32_e32 v20, 0
	v_and_b32_e32 v39, exec_hi, v21
	v_lshlrev_b32_e32 v21, 30, v22
	v_xor_b32_e32 v23, vcc_lo, v23
	v_cmp_gt_i64_e32 vcc, 0, v[20:21]
	v_not_b32_e32 v21, v21
	v_ashrrev_i32_e32 v21, 31, v21
	v_and_b32_e32 v23, exec_lo, v23
	v_xor_b32_e32 v40, vcc_hi, v21
	v_xor_b32_e32 v21, vcc_lo, v21
	v_and_b32_e32 v23, v23, v21
	v_lshlrev_b32_e32 v21, 29, v22
	v_cmp_gt_i64_e32 vcc, 0, v[20:21]
	v_not_b32_e32 v21, v21
	v_ashrrev_i32_e32 v21, 31, v21
	v_and_b32_e32 v39, v39, v40
	v_xor_b32_e32 v40, vcc_hi, v21
	v_xor_b32_e32 v21, vcc_lo, v21
	v_and_b32_e32 v23, v23, v21
	v_lshlrev_b32_e32 v21, 28, v22
	v_cmp_gt_i64_e32 vcc, 0, v[20:21]
	v_not_b32_e32 v21, v21
	v_ashrrev_i32_e32 v21, 31, v21
	v_and_b32_e32 v39, v39, v40
	v_xor_b32_e32 v40, vcc_hi, v21
	v_xor_b32_e32 v21, vcc_lo, v21
	v_and_b32_e32 v23, v23, v21
	v_lshlrev_b32_e32 v21, 27, v22
	v_cmp_gt_i64_e32 vcc, 0, v[20:21]
	v_not_b32_e32 v21, v21
	v_ashrrev_i32_e32 v21, 31, v21
	v_and_b32_e32 v39, v39, v40
	v_xor_b32_e32 v40, vcc_hi, v21
	v_xor_b32_e32 v21, vcc_lo, v21
	v_and_b32_e32 v23, v23, v21
	v_lshlrev_b32_e32 v21, 26, v22
	v_cmp_gt_i64_e32 vcc, 0, v[20:21]
	v_not_b32_e32 v21, v21
	v_ashrrev_i32_e32 v21, 31, v21
	v_and_b32_e32 v39, v39, v40
	v_xor_b32_e32 v40, vcc_hi, v21
	v_xor_b32_e32 v21, vcc_lo, v21
	v_and_b32_e32 v23, v23, v21
	v_lshlrev_b32_e32 v21, 25, v22
	v_cmp_gt_i64_e32 vcc, 0, v[20:21]
	v_not_b32_e32 v21, v21
	v_ashrrev_i32_e32 v21, 31, v21
	v_and_b32_e32 v39, v39, v40
	v_xor_b32_e32 v40, vcc_hi, v21
	v_xor_b32_e32 v21, vcc_lo, v21
	v_and_b32_e32 v39, v39, v40
	v_and_b32_e32 v40, v23, v21
	v_lshlrev_b32_e32 v21, 24, v22
	v_cmp_gt_i64_e32 vcc, 0, v[20:21]
	v_not_b32_e32 v21, v21
	v_ashrrev_i32_e32 v21, 31, v21
	v_xor_b32_e32 v22, vcc_hi, v21
	v_xor_b32_e32 v21, vcc_lo, v21
	; wave barrier
	ds_read_b32 v37, v42 offset:64
	v_and_b32_e32 v23, v39, v22
	v_and_b32_e32 v22, v40, v21
	v_mbcnt_lo_u32_b32 v21, v22, 0
	v_mbcnt_hi_u32_b32 v39, v23, v21
	v_cmp_eq_u32_e32 vcc, 0, v39
	v_cmp_ne_u64_e64 s[0:1], 0, v[22:23]
	s_and_b64 s[2:3], s[0:1], vcc
	; wave barrier
	s_and_saveexec_b64 s[0:1], s[2:3]
	s_cbranch_execz .LBB883_27
; %bb.26:
	v_bcnt_u32_b32 v21, v22, 0
	v_bcnt_u32_b32 v21, v23, v21
	s_waitcnt lgkmcnt(0)
	v_add_u32_e32 v21, v37, v21
	ds_write_b32 v42, v21 offset:64
.LBB883_27:
	s_or_b64 exec, exec, s[0:1]
	v_xor_b32_e32 v15, 0x80000000, v15
	v_lshrrev_b64 v[22:23], s16, v[14:15]
	v_and_b32_e32 v22, s27, v22
	v_lshl_add_u32 v21, v22, 4, v22
	v_add_lshl_u32 v45, v27, v21, 2
	v_and_b32_e32 v21, 1, v22
	v_add_co_u32_e32 v23, vcc, -1, v21
	v_addc_co_u32_e64 v41, s[0:1], 0, -1, vcc
	v_cmp_ne_u32_e32 vcc, 0, v21
	v_xor_b32_e32 v21, vcc_hi, v41
	v_and_b32_e32 v41, exec_hi, v21
	v_lshlrev_b32_e32 v21, 30, v22
	v_xor_b32_e32 v23, vcc_lo, v23
	v_cmp_gt_i64_e32 vcc, 0, v[20:21]
	v_not_b32_e32 v21, v21
	v_ashrrev_i32_e32 v21, 31, v21
	v_and_b32_e32 v23, exec_lo, v23
	v_xor_b32_e32 v43, vcc_hi, v21
	v_xor_b32_e32 v21, vcc_lo, v21
	v_and_b32_e32 v23, v23, v21
	v_lshlrev_b32_e32 v21, 29, v22
	v_cmp_gt_i64_e32 vcc, 0, v[20:21]
	v_not_b32_e32 v21, v21
	v_ashrrev_i32_e32 v21, 31, v21
	v_and_b32_e32 v41, v41, v43
	v_xor_b32_e32 v43, vcc_hi, v21
	v_xor_b32_e32 v21, vcc_lo, v21
	v_and_b32_e32 v23, v23, v21
	v_lshlrev_b32_e32 v21, 28, v22
	v_cmp_gt_i64_e32 vcc, 0, v[20:21]
	v_not_b32_e32 v21, v21
	v_ashrrev_i32_e32 v21, 31, v21
	v_and_b32_e32 v41, v41, v43
	v_xor_b32_e32 v43, vcc_hi, v21
	v_xor_b32_e32 v21, vcc_lo, v21
	v_and_b32_e32 v23, v23, v21
	v_lshlrev_b32_e32 v21, 27, v22
	v_cmp_gt_i64_e32 vcc, 0, v[20:21]
	v_not_b32_e32 v21, v21
	v_ashrrev_i32_e32 v21, 31, v21
	v_and_b32_e32 v41, v41, v43
	v_xor_b32_e32 v43, vcc_hi, v21
	v_xor_b32_e32 v21, vcc_lo, v21
	v_and_b32_e32 v23, v23, v21
	v_lshlrev_b32_e32 v21, 26, v22
	v_cmp_gt_i64_e32 vcc, 0, v[20:21]
	v_not_b32_e32 v21, v21
	v_ashrrev_i32_e32 v21, 31, v21
	v_and_b32_e32 v41, v41, v43
	v_xor_b32_e32 v43, vcc_hi, v21
	v_xor_b32_e32 v21, vcc_lo, v21
	v_and_b32_e32 v23, v23, v21
	v_lshlrev_b32_e32 v21, 25, v22
	v_cmp_gt_i64_e32 vcc, 0, v[20:21]
	v_not_b32_e32 v21, v21
	v_ashrrev_i32_e32 v21, 31, v21
	v_and_b32_e32 v41, v41, v43
	v_xor_b32_e32 v43, vcc_hi, v21
	v_xor_b32_e32 v21, vcc_lo, v21
	v_and_b32_e32 v23, v23, v21
	v_lshlrev_b32_e32 v21, 24, v22
	v_cmp_gt_i64_e32 vcc, 0, v[20:21]
	v_not_b32_e32 v20, v21
	v_ashrrev_i32_e32 v20, 31, v20
	v_xor_b32_e32 v21, vcc_hi, v20
	v_xor_b32_e32 v20, vcc_lo, v20
	; wave barrier
	ds_read_b32 v40, v45 offset:64
	v_and_b32_e32 v41, v41, v43
	v_and_b32_e32 v20, v23, v20
	;; [unrolled: 1-line block ×3, first 2 shown]
	v_mbcnt_lo_u32_b32 v22, v20, 0
	v_mbcnt_hi_u32_b32 v41, v21, v22
	v_cmp_eq_u32_e32 vcc, 0, v41
	v_cmp_ne_u64_e64 s[0:1], 0, v[20:21]
	s_and_b64 s[2:3], s[0:1], vcc
	; wave barrier
	s_and_saveexec_b64 s[0:1], s[2:3]
	s_cbranch_execz .LBB883_29
; %bb.28:
	v_bcnt_u32_b32 v20, v20, 0
	v_bcnt_u32_b32 v20, v21, v20
	s_waitcnt lgkmcnt(0)
	v_add_u32_e32 v20, v40, v20
	ds_write_b32 v45, v20 offset:64
.LBB883_29:
	s_or_b64 exec, exec, s[0:1]
	v_xor_b32_e32 v17, 0x80000000, v17
	v_lshrrev_b64 v[20:21], s16, v[16:17]
	v_and_b32_e32 v22, s27, v20
	v_and_b32_e32 v21, 1, v22
	v_add_co_u32_e32 v23, vcc, -1, v21
	v_addc_co_u32_e64 v44, s[0:1], 0, -1, vcc
	v_cmp_ne_u32_e32 vcc, 0, v21
	v_lshl_add_u32 v20, v22, 4, v22
	v_xor_b32_e32 v21, vcc_hi, v44
	v_add_lshl_u32 v47, v27, v20, 2
	v_mov_b32_e32 v20, 0
	v_and_b32_e32 v44, exec_hi, v21
	v_lshlrev_b32_e32 v21, 30, v22
	v_xor_b32_e32 v23, vcc_lo, v23
	v_cmp_gt_i64_e32 vcc, 0, v[20:21]
	v_not_b32_e32 v21, v21
	v_ashrrev_i32_e32 v21, 31, v21
	v_and_b32_e32 v23, exec_lo, v23
	v_xor_b32_e32 v46, vcc_hi, v21
	v_xor_b32_e32 v21, vcc_lo, v21
	v_and_b32_e32 v23, v23, v21
	v_lshlrev_b32_e32 v21, 29, v22
	v_cmp_gt_i64_e32 vcc, 0, v[20:21]
	v_not_b32_e32 v21, v21
	v_ashrrev_i32_e32 v21, 31, v21
	v_and_b32_e32 v44, v44, v46
	v_xor_b32_e32 v46, vcc_hi, v21
	v_xor_b32_e32 v21, vcc_lo, v21
	v_and_b32_e32 v23, v23, v21
	v_lshlrev_b32_e32 v21, 28, v22
	v_cmp_gt_i64_e32 vcc, 0, v[20:21]
	v_not_b32_e32 v21, v21
	v_ashrrev_i32_e32 v21, 31, v21
	v_and_b32_e32 v44, v44, v46
	;; [unrolled: 8-line block ×5, first 2 shown]
	v_xor_b32_e32 v46, vcc_hi, v21
	v_xor_b32_e32 v21, vcc_lo, v21
	v_and_b32_e32 v44, v44, v46
	v_and_b32_e32 v46, v23, v21
	v_lshlrev_b32_e32 v21, 24, v22
	v_cmp_gt_i64_e32 vcc, 0, v[20:21]
	v_not_b32_e32 v21, v21
	v_ashrrev_i32_e32 v21, 31, v21
	v_xor_b32_e32 v22, vcc_hi, v21
	v_xor_b32_e32 v21, vcc_lo, v21
	; wave barrier
	ds_read_b32 v43, v47 offset:64
	v_and_b32_e32 v23, v44, v22
	v_and_b32_e32 v22, v46, v21
	v_mbcnt_lo_u32_b32 v21, v22, 0
	v_mbcnt_hi_u32_b32 v44, v23, v21
	v_cmp_eq_u32_e32 vcc, 0, v44
	v_cmp_ne_u64_e64 s[0:1], 0, v[22:23]
	s_and_b64 s[2:3], s[0:1], vcc
	; wave barrier
	s_and_saveexec_b64 s[0:1], s[2:3]
	s_cbranch_execz .LBB883_31
; %bb.30:
	v_bcnt_u32_b32 v21, v22, 0
	v_bcnt_u32_b32 v21, v23, v21
	s_waitcnt lgkmcnt(0)
	v_add_u32_e32 v21, v43, v21
	ds_write_b32 v47, v21 offset:64
.LBB883_31:
	s_or_b64 exec, exec, s[0:1]
	v_xor_b32_e32 v19, 0x80000000, v19
	v_lshrrev_b64 v[22:23], s16, v[18:19]
	v_and_b32_e32 v22, s27, v22
	v_lshl_add_u32 v21, v22, 4, v22
	v_add_lshl_u32 v27, v27, v21, 2
	v_and_b32_e32 v21, 1, v22
	v_add_co_u32_e32 v23, vcc, -1, v21
	v_addc_co_u32_e64 v48, s[0:1], 0, -1, vcc
	v_cmp_ne_u32_e32 vcc, 0, v21
	v_xor_b32_e32 v21, vcc_hi, v48
	v_and_b32_e32 v48, exec_hi, v21
	v_lshlrev_b32_e32 v21, 30, v22
	v_xor_b32_e32 v23, vcc_lo, v23
	v_cmp_gt_i64_e32 vcc, 0, v[20:21]
	v_not_b32_e32 v21, v21
	v_ashrrev_i32_e32 v21, 31, v21
	v_and_b32_e32 v23, exec_lo, v23
	v_xor_b32_e32 v50, vcc_hi, v21
	v_xor_b32_e32 v21, vcc_lo, v21
	v_and_b32_e32 v23, v23, v21
	v_lshlrev_b32_e32 v21, 29, v22
	v_cmp_gt_i64_e32 vcc, 0, v[20:21]
	v_not_b32_e32 v21, v21
	v_ashrrev_i32_e32 v21, 31, v21
	v_and_b32_e32 v48, v48, v50
	v_xor_b32_e32 v50, vcc_hi, v21
	v_xor_b32_e32 v21, vcc_lo, v21
	v_and_b32_e32 v23, v23, v21
	v_lshlrev_b32_e32 v21, 28, v22
	v_cmp_gt_i64_e32 vcc, 0, v[20:21]
	v_not_b32_e32 v21, v21
	v_ashrrev_i32_e32 v21, 31, v21
	v_and_b32_e32 v48, v48, v50
	;; [unrolled: 8-line block ×5, first 2 shown]
	v_xor_b32_e32 v50, vcc_hi, v21
	v_xor_b32_e32 v21, vcc_lo, v21
	v_and_b32_e32 v23, v23, v21
	v_lshlrev_b32_e32 v21, 24, v22
	v_cmp_gt_i64_e32 vcc, 0, v[20:21]
	v_not_b32_e32 v20, v21
	v_ashrrev_i32_e32 v20, 31, v20
	v_xor_b32_e32 v21, vcc_hi, v20
	v_xor_b32_e32 v20, vcc_lo, v20
	; wave barrier
	ds_read_b32 v46, v27 offset:64
	v_and_b32_e32 v48, v48, v50
	v_and_b32_e32 v20, v23, v20
	;; [unrolled: 1-line block ×3, first 2 shown]
	v_mbcnt_lo_u32_b32 v22, v20, 0
	v_mbcnt_hi_u32_b32 v48, v21, v22
	v_cmp_eq_u32_e32 vcc, 0, v48
	v_cmp_ne_u64_e64 s[0:1], 0, v[20:21]
	v_add_u32_e32 v49, 64, v3
	s_and_b64 s[2:3], s[0:1], vcc
	; wave barrier
	s_and_saveexec_b64 s[0:1], s[2:3]
	s_cbranch_execz .LBB883_33
; %bb.32:
	v_bcnt_u32_b32 v20, v20, 0
	v_bcnt_u32_b32 v20, v21, v20
	s_waitcnt lgkmcnt(0)
	v_add_u32_e32 v20, v46, v20
	ds_write_b32 v27, v20 offset:64
.LBB883_33:
	s_or_b64 exec, exec, s[0:1]
	; wave barrier
	s_waitcnt lgkmcnt(0)
	s_barrier
	ds_read2_b32 v[22:23], v3 offset0:16 offset1:17
	ds_read2_b32 v[20:21], v49 offset0:2 offset1:3
	ds_read_b32 v50, v49 offset:16
	v_cmp_lt_u32_e64 s[10:11], 31, v1
	s_waitcnt lgkmcnt(1)
	v_add3_u32 v51, v23, v22, v20
	s_waitcnt lgkmcnt(0)
	v_add3_u32 v50, v51, v21, v50
	v_and_b32_e32 v51, 15, v1
	v_cmp_eq_u32_e32 vcc, 0, v51
	v_mov_b32_dpp v52, v50 row_shr:1 row_mask:0xf bank_mask:0xf
	v_cndmask_b32_e64 v52, v52, 0, vcc
	v_add_u32_e32 v50, v52, v50
	v_cmp_lt_u32_e64 s[0:1], 1, v51
	v_cmp_lt_u32_e64 s[2:3], 3, v51
	v_mov_b32_dpp v52, v50 row_shr:2 row_mask:0xf bank_mask:0xf
	v_cndmask_b32_e64 v52, 0, v52, s[0:1]
	v_add_u32_e32 v50, v50, v52
	v_cmp_lt_u32_e64 s[8:9], 7, v51
	s_nop 0
	v_mov_b32_dpp v52, v50 row_shr:4 row_mask:0xf bank_mask:0xf
	v_cndmask_b32_e64 v52, 0, v52, s[2:3]
	v_add_u32_e32 v50, v50, v52
	s_nop 1
	v_mov_b32_dpp v52, v50 row_shr:8 row_mask:0xf bank_mask:0xf
	v_cndmask_b32_e64 v51, 0, v52, s[8:9]
	v_add_u32_e32 v50, v50, v51
	v_bfe_i32 v52, v1, 4, 1
	s_nop 0
	v_mov_b32_dpp v51, v50 row_bcast:15 row_mask:0xf bank_mask:0xf
	v_and_b32_e32 v51, v52, v51
	v_add_u32_e32 v50, v50, v51
	v_and_b32_e32 v52, 63, v2
	s_nop 0
	v_mov_b32_dpp v51, v50 row_bcast:31 row_mask:0xf bank_mask:0xf
	v_cndmask_b32_e64 v51, 0, v51, s[10:11]
	v_add_u32_e32 v50, v50, v51
	v_lshrrev_b32_e32 v51, 6, v2
	v_cmp_eq_u32_e64 s[10:11], 63, v52
	s_and_saveexec_b64 s[18:19], s[10:11]
	s_cbranch_execz .LBB883_35
; %bb.34:
	v_lshlrev_b32_e32 v52, 2, v51
	ds_write_b32 v52, v50
.LBB883_35:
	s_or_b64 exec, exec, s[18:19]
	v_cmp_gt_u32_e64 s[10:11], 16, v2
	s_waitcnt lgkmcnt(0)
	s_barrier
	s_and_saveexec_b64 s[18:19], s[10:11]
	s_cbranch_execz .LBB883_37
; %bb.36:
	v_lshlrev_b32_e32 v52, 2, v2
	ds_read_b32 v53, v52
	s_waitcnt lgkmcnt(0)
	s_nop 0
	v_mov_b32_dpp v54, v53 row_shr:1 row_mask:0xf bank_mask:0xf
	v_cndmask_b32_e64 v54, v54, 0, vcc
	v_add_u32_e32 v53, v54, v53
	s_nop 1
	v_mov_b32_dpp v54, v53 row_shr:2 row_mask:0xf bank_mask:0xf
	v_cndmask_b32_e64 v54, 0, v54, s[0:1]
	v_add_u32_e32 v53, v53, v54
	s_nop 1
	v_mov_b32_dpp v54, v53 row_shr:4 row_mask:0xf bank_mask:0xf
	v_cndmask_b32_e64 v54, 0, v54, s[2:3]
	;; [unrolled: 4-line block ×3, first 2 shown]
	v_add_u32_e32 v53, v53, v54
	ds_write_b32 v52, v53
.LBB883_37:
	s_or_b64 exec, exec, s[18:19]
	v_cmp_lt_u32_e32 vcc, 63, v2
	v_mov_b32_e32 v52, 0
	s_waitcnt lgkmcnt(0)
	s_barrier
	s_and_saveexec_b64 s[0:1], vcc
	s_cbranch_execz .LBB883_39
; %bb.38:
	v_lshl_add_u32 v51, v51, 2, -4
	ds_read_b32 v52, v51
.LBB883_39:
	s_or_b64 exec, exec, s[0:1]
	v_add_u32_e32 v51, -1, v1
	v_and_b32_e32 v53, 64, v1
	v_cmp_lt_i32_e32 vcc, v51, v53
	v_cndmask_b32_e32 v51, v51, v1, vcc
	s_waitcnt lgkmcnt(0)
	v_add_u32_e32 v50, v52, v50
	v_lshlrev_b32_e32 v51, 2, v51
	ds_bpermute_b32 v50, v51, v50
	v_cmp_eq_u32_e32 vcc, 0, v1
	s_movk_i32 s2, 0xff
	s_movk_i32 s0, 0x100
	v_cmp_gt_u32_e64 s[0:1], s0, v2
	s_waitcnt lgkmcnt(0)
	v_cndmask_b32_e32 v1, v50, v52, vcc
	v_cmp_ne_u32_e32 vcc, 0, v2
	v_cndmask_b32_e32 v1, 0, v1, vcc
	v_add_u32_e32 v22, v1, v22
	v_add_u32_e32 v23, v22, v23
	;; [unrolled: 1-line block ×4, first 2 shown]
	ds_write2_b32 v3, v1, v22 offset0:16 offset1:17
	ds_write2_b32 v49, v23, v20 offset0:2 offset1:3
	ds_write_b32 v49, v21 offset:16
	s_waitcnt lgkmcnt(0)
	s_barrier
	ds_read_b32 v51, v24 offset:64
	ds_read_b32 v1, v25 offset:64
	;; [unrolled: 1-line block ×8, first 2 shown]
	v_cmp_lt_u32_e32 vcc, s2, v2
	v_pk_mov_b32 v[20:21], 0, 0
                                        ; implicit-def: $vgpr38
	s_and_saveexec_b64 s[8:9], s[0:1]
	s_cbranch_execz .LBB883_43
; %bb.40:
	v_mul_u32_u24_e32 v3, 17, v2
	v_lshlrev_b32_e32 v21, 2, v3
	ds_read_b32 v20, v21 offset:64
	v_cmp_ne_u32_e64 s[2:3], s2, v2
	v_mov_b32_e32 v3, 0x2000
	s_and_saveexec_b64 s[10:11], s[2:3]
	s_cbranch_execz .LBB883_42
; %bb.41:
	ds_read_b32 v3, v21 offset:132
.LBB883_42:
	s_or_b64 exec, exec, s[10:11]
	s_waitcnt lgkmcnt(0)
	v_sub_u32_e32 v38, v3, v20
	v_mov_b32_e32 v21, 0
.LBB883_43:
	s_or_b64 exec, exec, s[8:9]
	s_waitcnt lgkmcnt(0)
	s_barrier
	s_and_saveexec_b64 s[2:3], vcc
	s_xor_b64 s[2:3], exec, s[2:3]
; %bb.44:
	v_mov_b32_e32 v3, 0
; %bb.45:
	s_andn2_saveexec_b64 s[2:3], s[2:3]
	s_cbranch_execz .LBB883_55
; %bb.46:
	v_lshl_or_b32 v22, s6, 8, v2
	v_mov_b32_e32 v23, 0
	v_lshlrev_b64 v[24:25], 2, v[22:23]
	v_mov_b32_e32 v3, s25
	v_add_co_u32_e32 v24, vcc, s24, v24
	v_addc_co_u32_e32 v25, vcc, v3, v25, vcc
	v_or_b32_e32 v22, 2.0, v38
	s_mov_b64 s[8:9], 0
	s_brev_b32 s28, 1
	s_mov_b32 s29, s6
	v_mov_b32_e32 v53, 0
	global_store_dword v[24:25], v22, off
                                        ; implicit-def: $sgpr10_sgpr11
	s_branch .LBB883_48
.LBB883_47:                             ;   in Loop: Header=BB883_48 Depth=1
	s_or_b64 exec, exec, s[10:11]
	v_and_b32_e32 v26, 0x3fffffff, v54
	v_add_u32_e32 v53, v26, v53
	v_cmp_eq_u32_e64 s[10:11], s28, v22
	s_and_b64 s[18:19], exec, s[10:11]
	s_or_b64 s[8:9], s[18:19], s[8:9]
	s_andn2_b64 exec, exec, s[8:9]
	s_cbranch_execz .LBB883_54
.LBB883_48:                             ; =>This Loop Header: Depth=1
                                        ;     Child Loop BB883_51 Depth 2
	s_or_b64 s[10:11], s[10:11], exec
	s_cmp_eq_u32 s29, 0
	s_cbranch_scc1 .LBB883_53
; %bb.49:                               ;   in Loop: Header=BB883_48 Depth=1
	s_add_i32 s29, s29, -1
	v_lshl_or_b32 v22, s29, 8, v2
	v_lshlrev_b64 v[26:27], 2, v[22:23]
	v_add_co_u32_e32 v26, vcc, s24, v26
	v_addc_co_u32_e32 v27, vcc, v3, v27, vcc
	global_load_dword v54, v[26:27], off glc
	s_waitcnt vmcnt(0)
	v_and_b32_e32 v22, -2.0, v54
	v_cmp_eq_u32_e32 vcc, 0, v22
	s_and_saveexec_b64 s[10:11], vcc
	s_cbranch_execz .LBB883_47
; %bb.50:                               ;   in Loop: Header=BB883_48 Depth=1
	s_mov_b64 s[18:19], 0
.LBB883_51:                             ;   Parent Loop BB883_48 Depth=1
                                        ; =>  This Inner Loop Header: Depth=2
	global_load_dword v54, v[26:27], off glc
	s_waitcnt vmcnt(0)
	v_and_b32_e32 v22, -2.0, v54
	v_cmp_ne_u32_e32 vcc, 0, v22
	s_or_b64 s[18:19], vcc, s[18:19]
	s_andn2_b64 exec, exec, s[18:19]
	s_cbranch_execnz .LBB883_51
; %bb.52:                               ;   in Loop: Header=BB883_48 Depth=1
	s_or_b64 exec, exec, s[18:19]
	s_branch .LBB883_47
.LBB883_53:                             ;   in Loop: Header=BB883_48 Depth=1
                                        ; implicit-def: $sgpr29
	s_and_b64 s[18:19], exec, s[10:11]
	s_or_b64 s[8:9], s[18:19], s[8:9]
	s_andn2_b64 exec, exec, s[8:9]
	s_cbranch_execnz .LBB883_48
.LBB883_54:
	s_or_b64 exec, exec, s[8:9]
	v_add_u32_e32 v3, v53, v38
	v_or_b32_e32 v3, 0x80000000, v3
	global_store_dword v[24:25], v3, off
	global_load_dwordx2 v[22:23], v29, s[12:13]
	v_sub_co_u32_e32 v24, vcc, v53, v20
	v_subb_co_u32_e32 v25, vcc, 0, v21, vcc
	v_mov_b32_e32 v3, 0
	s_waitcnt vmcnt(0)
	v_add_co_u32_e32 v22, vcc, v24, v22
	v_addc_co_u32_e32 v23, vcc, v25, v23, vcc
	ds_write_b64 v29, v[22:23]
.LBB883_55:
	s_or_b64 exec, exec, s[2:3]
	v_add_u32_e32 v23, v51, v30
	v_add3_u32 v30, v39, v42, v37
	v_add3_u32 v35, v36, v50, v35
	v_lshlrev_b64 v[36:37], 3, v[2:3]
	v_add3_u32 v31, v32, v1, v31
	v_mov_b32_e32 v1, s23
	v_add_co_u32_e32 v22, vcc, s22, v36
	v_add_u32_e32 v24, 0x800, v29
	v_add3_u32 v25, v48, v52, v46
	v_add3_u32 v26, v44, v47, v43
	;; [unrolled: 1-line block ×4, first 2 shown]
	v_addc_co_u32_e32 v1, vcc, v1, v37, vcc
	s_mov_b32 s8, 0
	v_mov_b32_e32 v32, v2
	s_branch .LBB883_57
.LBB883_56:                             ;   in Loop: Header=BB883_57 Depth=1
	s_or_b64 exec, exec, s[2:3]
	s_addk_i32 s8, 0xf800
	v_add_co_u32_e32 v22, vcc, 0x4000, v22
	v_addc_co_u32_e32 v1, vcc, 0, v1, vcc
	s_cmpk_eq_i32 s8, 0xe000
	v_add_u32_e32 v32, 0x800, v32
	s_barrier
	s_cbranch_scc1 .LBB883_62
.LBB883_57:                             ; =>This Inner Loop Header: Depth=1
	v_add_u32_e32 v34, s8, v23
	v_min_u32_e32 v34, 0x800, v34
	v_lshlrev_b32_e32 v34, 3, v34
	ds_write_b64 v34, v[4:5] offset:2048
	v_add_u32_e32 v34, s8, v31
	v_min_u32_e32 v34, 0x800, v34
	v_lshlrev_b32_e32 v34, 3, v34
	ds_write_b64 v34, v[6:7] offset:2048
	;; [unrolled: 4-line block ×7, first 2 shown]
	v_add_u32_e32 v34, s8, v25
	v_min_u32_e32 v34, 0x800, v34
	v_lshlrev_b32_e32 v34, 3, v34
	v_cmp_gt_u32_e32 vcc, s7, v32
	ds_write_b64 v34, v[18:19] offset:2048
	s_waitcnt lgkmcnt(0)
	s_barrier
	s_and_saveexec_b64 s[2:3], vcc
	s_cbranch_execz .LBB883_59
; %bb.58:                               ;   in Loop: Header=BB883_57 Depth=1
	ds_read_b64 v[36:37], v29 offset:2048
	s_waitcnt lgkmcnt(0)
	v_lshrrev_b64 v[40:41], s16, v[36:37]
	v_and_b32_e32 v34, s27, v40
	v_lshlrev_b32_e32 v34, 3, v34
	ds_read_b64 v[40:41], v34
	v_xor_b32_e32 v37, 0x80000000, v37
	s_waitcnt lgkmcnt(0)
	v_lshlrev_b64 v[40:41], 3, v[40:41]
	v_add_co_u32_e32 v40, vcc, v22, v40
	v_addc_co_u32_e32 v41, vcc, v1, v41, vcc
	global_store_dwordx2 v[40:41], v[36:37], off
.LBB883_59:                             ;   in Loop: Header=BB883_57 Depth=1
	s_or_b64 exec, exec, s[2:3]
	v_add_u32_e32 v34, 0x400, v32
	v_cmp_gt_u32_e32 vcc, s7, v34
	s_and_saveexec_b64 s[2:3], vcc
	s_cbranch_execz .LBB883_56
; %bb.60:                               ;   in Loop: Header=BB883_57 Depth=1
	ds_read_b64 v[36:37], v24 offset:8192
	s_waitcnt lgkmcnt(0)
	v_lshrrev_b64 v[40:41], s16, v[36:37]
	v_and_b32_e32 v34, s27, v40
	v_lshlrev_b32_e32 v34, 3, v34
	ds_read_b64 v[40:41], v34
	v_xor_b32_e32 v37, 0x80000000, v37
	s_waitcnt lgkmcnt(0)
	v_lshlrev_b64 v[40:41], 3, v[40:41]
	v_add_co_u32_e32 v34, vcc, v22, v40
	v_addc_co_u32_e32 v39, vcc, v1, v41, vcc
	v_add_co_u32_e32 v40, vcc, 0x2000, v34
	v_addc_co_u32_e32 v41, vcc, 0, v39, vcc
	global_store_dwordx2 v[40:41], v[36:37], off
	s_branch .LBB883_56
.LBB883_61:
	s_mov_b64 s[0:1], 0
                                        ; implicit-def: $vgpr2
                                        ; implicit-def: $vgpr20_vgpr21
                                        ; implicit-def: $vgpr38
	s_cbranch_execnz .LBB883_63
	s_branch .LBB883_104
.LBB883_62:
	s_add_i32 s26, s26, -1
	s_cmp_eq_u32 s26, s6
	s_cselect_b64 s[2:3], -1, 0
	s_and_b64 s[0:1], s[0:1], s[2:3]
	s_branch .LBB883_104
.LBB883_63:
	s_lshl_b32 s0, s6, 13
	s_mov_b32 s1, 0
	v_mbcnt_hi_u32_b32 v3, -1, v28
	s_lshl_b64 s[0:1], s[0:1], 3
	v_and_b32_e32 v1, 63, v3
	s_add_u32 s0, s20, s0
	v_lshlrev_b32_e32 v1, 3, v1
	v_add_co_u32_e32 v1, vcc, s0, v1
	s_load_dword s7, s[4:5], 0x58
	s_load_dword s0, s[4:5], 0x64
	v_and_b32_e32 v2, 0x3ff, v0
	s_addc_u32 s1, s21, s1
	v_mov_b32_e32 v4, s1
	v_lshlrev_b32_e32 v5, 6, v2
	v_addc_co_u32_e32 v4, vcc, 0, v4, vcc
	v_and_b32_e32 v5, 0xf000, v5
	s_add_u32 s1, s4, 0x58
	v_add_co_u32_e32 v20, vcc, v1, v5
	s_addc_u32 s2, s5, 0
	s_waitcnt lgkmcnt(0)
	s_lshr_b32 s3, s0, 16
	v_addc_co_u32_e32 v21, vcc, 0, v4, vcc
	s_cmp_lt_u32 s6, s7
	global_load_dwordx2 v[4:5], v[20:21], off
	s_cselect_b32 s0, 12, 18
	s_add_u32 s0, s1, s0
	v_mov_b32_e32 v18, 0
	s_addc_u32 s1, s2, 0
	global_load_ushort v19, v18, s[0:1]
	v_mul_u32_u24_e32 v6, 5, v2
	v_lshlrev_b32_e32 v22, 2, v6
	v_bfe_u32 v1, v0, 10, 10
	v_bfe_u32 v0, v0, 20, 10
	ds_write2_b32 v22, v18, v18 offset0:16 offset1:17
	ds_write2_b32 v22, v18, v18 offset0:18 offset1:19
	ds_write_b32 v22, v18 offset:80
	v_mad_u32_u24 v23, v0, s3, v1
	global_load_dwordx2 v[0:1], v[20:21], off offset:512
	global_load_dwordx2 v[6:7], v[20:21], off offset:1024
	;; [unrolled: 1-line block ×7, first 2 shown]
	s_lshl_b32 s0, -1, s17
	s_not_b32 s17, s0
	s_waitcnt lgkmcnt(0)
	s_barrier
	s_waitcnt lgkmcnt(0)
	; wave barrier
	s_waitcnt vmcnt(8)
	v_xor_b32_e32 v5, 0x80000000, v5
	v_lshrrev_b64 v[20:21], s16, v[4:5]
	v_and_b32_e32 v24, s17, v20
	s_waitcnt vmcnt(7)
	v_mad_u64_u32 v[20:21], s[0:1], v23, v19, v[2:3]
	v_and_b32_e32 v23, 1, v24
	v_lshrrev_b32_e32 v25, 6, v20
	v_add_co_u32_e32 v20, vcc, -1, v23
	v_lshlrev_b32_e32 v19, 30, v24
	v_addc_co_u32_e64 v26, s[0:1], 0, -1, vcc
	v_lshl_add_u32 v21, v24, 4, v24
	v_cmp_ne_u32_e32 vcc, 0, v23
	v_cmp_gt_i64_e64 s[0:1], 0, v[18:19]
	v_not_b32_e32 v27, v19
	v_lshlrev_b32_e32 v19, 29, v24
	v_add_lshl_u32 v23, v25, v21, 2
	v_xor_b32_e32 v21, vcc_hi, v26
	v_xor_b32_e32 v20, vcc_lo, v20
	v_ashrrev_i32_e32 v26, 31, v27
	v_cmp_gt_i64_e32 vcc, 0, v[18:19]
	v_not_b32_e32 v27, v19
	v_lshlrev_b32_e32 v19, 28, v24
	v_and_b32_e32 v21, exec_hi, v21
	v_and_b32_e32 v20, exec_lo, v20
	v_xor_b32_e32 v28, s1, v26
	v_xor_b32_e32 v26, s0, v26
	v_ashrrev_i32_e32 v27, 31, v27
	v_cmp_gt_i64_e64 s[0:1], 0, v[18:19]
	v_not_b32_e32 v29, v19
	v_lshlrev_b32_e32 v19, 27, v24
	v_and_b32_e32 v21, v21, v28
	v_and_b32_e32 v20, v20, v26
	v_xor_b32_e32 v26, vcc_hi, v27
	v_xor_b32_e32 v27, vcc_lo, v27
	v_ashrrev_i32_e32 v28, 31, v29
	v_cmp_gt_i64_e32 vcc, 0, v[18:19]
	v_not_b32_e32 v19, v19
	v_and_b32_e32 v21, v21, v26
	v_and_b32_e32 v20, v20, v27
	v_xor_b32_e32 v26, s1, v28
	v_xor_b32_e32 v27, s0, v28
	v_ashrrev_i32_e32 v19, 31, v19
	v_and_b32_e32 v21, v21, v26
	v_and_b32_e32 v20, v20, v27
	v_xor_b32_e32 v26, vcc_hi, v19
	v_xor_b32_e32 v19, vcc_lo, v19
	v_and_b32_e32 v20, v20, v19
	v_lshlrev_b32_e32 v19, 26, v24
	v_cmp_gt_i64_e32 vcc, 0, v[18:19]
	v_not_b32_e32 v19, v19
	v_ashrrev_i32_e32 v19, 31, v19
	v_and_b32_e32 v21, v21, v26
	v_xor_b32_e32 v26, vcc_hi, v19
	v_xor_b32_e32 v19, vcc_lo, v19
	v_and_b32_e32 v20, v20, v19
	v_lshlrev_b32_e32 v19, 25, v24
	v_cmp_gt_i64_e32 vcc, 0, v[18:19]
	v_not_b32_e32 v19, v19
	v_ashrrev_i32_e32 v19, 31, v19
	;; [unrolled: 8-line block ×3, first 2 shown]
	v_xor_b32_e32 v24, vcc_hi, v19
	v_xor_b32_e32 v19, vcc_lo, v19
	v_and_b32_e32 v21, v21, v26
	v_and_b32_e32 v20, v20, v19
	;; [unrolled: 1-line block ×3, first 2 shown]
	v_mbcnt_lo_u32_b32 v19, v20, 0
	v_mbcnt_hi_u32_b32 v26, v21, v19
	v_cmp_eq_u32_e32 vcc, 0, v26
	v_cmp_ne_u64_e64 s[0:1], 0, v[20:21]
	s_and_b64 s[2:3], s[0:1], vcc
	s_and_saveexec_b64 s[0:1], s[2:3]
	s_cbranch_execz .LBB883_65
; %bb.64:
	v_bcnt_u32_b32 v19, v20, 0
	v_bcnt_u32_b32 v19, v21, v19
	ds_write_b32 v23, v19 offset:64
.LBB883_65:
	s_or_b64 exec, exec, s[0:1]
	s_waitcnt vmcnt(6)
	v_xor_b32_e32 v1, 0x80000000, v1
	v_lshrrev_b64 v[20:21], s16, v[0:1]
	v_and_b32_e32 v20, s17, v20
	v_lshl_add_u32 v19, v20, 4, v20
	v_add_lshl_u32 v24, v25, v19, 2
	v_and_b32_e32 v19, 1, v20
	v_add_co_u32_e32 v21, vcc, -1, v19
	v_addc_co_u32_e64 v28, s[0:1], 0, -1, vcc
	v_cmp_ne_u32_e32 vcc, 0, v19
	v_xor_b32_e32 v19, vcc_hi, v28
	v_and_b32_e32 v28, exec_hi, v19
	v_lshlrev_b32_e32 v19, 30, v20
	v_xor_b32_e32 v21, vcc_lo, v21
	v_cmp_gt_i64_e32 vcc, 0, v[18:19]
	v_not_b32_e32 v19, v19
	v_ashrrev_i32_e32 v19, 31, v19
	v_and_b32_e32 v21, exec_lo, v21
	v_xor_b32_e32 v29, vcc_hi, v19
	v_xor_b32_e32 v19, vcc_lo, v19
	v_and_b32_e32 v21, v21, v19
	v_lshlrev_b32_e32 v19, 29, v20
	v_cmp_gt_i64_e32 vcc, 0, v[18:19]
	v_not_b32_e32 v19, v19
	v_ashrrev_i32_e32 v19, 31, v19
	v_and_b32_e32 v28, v28, v29
	v_xor_b32_e32 v29, vcc_hi, v19
	v_xor_b32_e32 v19, vcc_lo, v19
	v_and_b32_e32 v21, v21, v19
	v_lshlrev_b32_e32 v19, 28, v20
	v_cmp_gt_i64_e32 vcc, 0, v[18:19]
	v_not_b32_e32 v19, v19
	v_ashrrev_i32_e32 v19, 31, v19
	v_and_b32_e32 v28, v28, v29
	;; [unrolled: 8-line block ×5, first 2 shown]
	v_xor_b32_e32 v29, vcc_hi, v19
	v_xor_b32_e32 v19, vcc_lo, v19
	v_and_b32_e32 v21, v21, v19
	v_lshlrev_b32_e32 v19, 24, v20
	v_cmp_gt_i64_e32 vcc, 0, v[18:19]
	v_not_b32_e32 v18, v19
	v_ashrrev_i32_e32 v18, 31, v18
	v_xor_b32_e32 v19, vcc_hi, v18
	v_xor_b32_e32 v18, vcc_lo, v18
	; wave barrier
	ds_read_b32 v27, v24 offset:64
	v_and_b32_e32 v28, v28, v29
	v_and_b32_e32 v18, v21, v18
	;; [unrolled: 1-line block ×3, first 2 shown]
	v_mbcnt_lo_u32_b32 v20, v18, 0
	v_mbcnt_hi_u32_b32 v28, v19, v20
	v_cmp_eq_u32_e32 vcc, 0, v28
	v_cmp_ne_u64_e64 s[0:1], 0, v[18:19]
	s_and_b64 s[2:3], s[0:1], vcc
	; wave barrier
	s_and_saveexec_b64 s[0:1], s[2:3]
	s_cbranch_execz .LBB883_67
; %bb.66:
	v_bcnt_u32_b32 v18, v18, 0
	v_bcnt_u32_b32 v18, v19, v18
	s_waitcnt lgkmcnt(0)
	v_add_u32_e32 v18, v27, v18
	ds_write_b32 v24, v18 offset:64
.LBB883_67:
	s_or_b64 exec, exec, s[0:1]
	s_waitcnt vmcnt(5)
	v_xor_b32_e32 v7, 0x80000000, v7
	v_lshrrev_b64 v[18:19], s16, v[6:7]
	v_and_b32_e32 v20, s17, v18
	v_and_b32_e32 v19, 1, v20
	v_add_co_u32_e32 v21, vcc, -1, v19
	v_addc_co_u32_e64 v30, s[0:1], 0, -1, vcc
	v_cmp_ne_u32_e32 vcc, 0, v19
	v_lshl_add_u32 v18, v20, 4, v20
	v_xor_b32_e32 v19, vcc_hi, v30
	v_add_lshl_u32 v33, v25, v18, 2
	v_mov_b32_e32 v18, 0
	v_and_b32_e32 v30, exec_hi, v19
	v_lshlrev_b32_e32 v19, 30, v20
	v_xor_b32_e32 v21, vcc_lo, v21
	v_cmp_gt_i64_e32 vcc, 0, v[18:19]
	v_not_b32_e32 v19, v19
	v_ashrrev_i32_e32 v19, 31, v19
	v_and_b32_e32 v21, exec_lo, v21
	v_xor_b32_e32 v31, vcc_hi, v19
	v_xor_b32_e32 v19, vcc_lo, v19
	v_and_b32_e32 v21, v21, v19
	v_lshlrev_b32_e32 v19, 29, v20
	v_cmp_gt_i64_e32 vcc, 0, v[18:19]
	v_not_b32_e32 v19, v19
	v_ashrrev_i32_e32 v19, 31, v19
	v_and_b32_e32 v30, v30, v31
	v_xor_b32_e32 v31, vcc_hi, v19
	v_xor_b32_e32 v19, vcc_lo, v19
	v_and_b32_e32 v21, v21, v19
	v_lshlrev_b32_e32 v19, 28, v20
	v_cmp_gt_i64_e32 vcc, 0, v[18:19]
	v_not_b32_e32 v19, v19
	v_ashrrev_i32_e32 v19, 31, v19
	v_and_b32_e32 v30, v30, v31
	;; [unrolled: 8-line block ×5, first 2 shown]
	v_xor_b32_e32 v31, vcc_hi, v19
	v_xor_b32_e32 v19, vcc_lo, v19
	v_and_b32_e32 v30, v30, v31
	v_and_b32_e32 v31, v21, v19
	v_lshlrev_b32_e32 v19, 24, v20
	v_cmp_gt_i64_e32 vcc, 0, v[18:19]
	v_not_b32_e32 v19, v19
	v_ashrrev_i32_e32 v19, 31, v19
	v_xor_b32_e32 v20, vcc_hi, v19
	v_xor_b32_e32 v19, vcc_lo, v19
	; wave barrier
	ds_read_b32 v29, v33 offset:64
	v_and_b32_e32 v21, v30, v20
	v_and_b32_e32 v20, v31, v19
	v_mbcnt_lo_u32_b32 v19, v20, 0
	v_mbcnt_hi_u32_b32 v30, v21, v19
	v_cmp_eq_u32_e32 vcc, 0, v30
	v_cmp_ne_u64_e64 s[0:1], 0, v[20:21]
	s_and_b64 s[2:3], s[0:1], vcc
	; wave barrier
	s_and_saveexec_b64 s[0:1], s[2:3]
	s_cbranch_execz .LBB883_69
; %bb.68:
	v_bcnt_u32_b32 v19, v20, 0
	v_bcnt_u32_b32 v19, v21, v19
	s_waitcnt lgkmcnt(0)
	v_add_u32_e32 v19, v29, v19
	ds_write_b32 v33, v19 offset:64
.LBB883_69:
	s_or_b64 exec, exec, s[0:1]
	s_waitcnt vmcnt(4)
	v_xor_b32_e32 v9, 0x80000000, v9
	v_lshrrev_b64 v[20:21], s16, v[8:9]
	v_and_b32_e32 v20, s17, v20
	v_lshl_add_u32 v19, v20, 4, v20
	v_add_lshl_u32 v36, v25, v19, 2
	v_and_b32_e32 v19, 1, v20
	v_add_co_u32_e32 v21, vcc, -1, v19
	v_addc_co_u32_e64 v32, s[0:1], 0, -1, vcc
	v_cmp_ne_u32_e32 vcc, 0, v19
	v_xor_b32_e32 v19, vcc_hi, v32
	v_and_b32_e32 v32, exec_hi, v19
	v_lshlrev_b32_e32 v19, 30, v20
	v_xor_b32_e32 v21, vcc_lo, v21
	v_cmp_gt_i64_e32 vcc, 0, v[18:19]
	v_not_b32_e32 v19, v19
	v_ashrrev_i32_e32 v19, 31, v19
	v_and_b32_e32 v21, exec_lo, v21
	v_xor_b32_e32 v34, vcc_hi, v19
	v_xor_b32_e32 v19, vcc_lo, v19
	v_and_b32_e32 v21, v21, v19
	v_lshlrev_b32_e32 v19, 29, v20
	v_cmp_gt_i64_e32 vcc, 0, v[18:19]
	v_not_b32_e32 v19, v19
	v_ashrrev_i32_e32 v19, 31, v19
	v_and_b32_e32 v32, v32, v34
	v_xor_b32_e32 v34, vcc_hi, v19
	v_xor_b32_e32 v19, vcc_lo, v19
	v_and_b32_e32 v21, v21, v19
	v_lshlrev_b32_e32 v19, 28, v20
	v_cmp_gt_i64_e32 vcc, 0, v[18:19]
	v_not_b32_e32 v19, v19
	v_ashrrev_i32_e32 v19, 31, v19
	v_and_b32_e32 v32, v32, v34
	;; [unrolled: 8-line block ×5, first 2 shown]
	v_xor_b32_e32 v34, vcc_hi, v19
	v_xor_b32_e32 v19, vcc_lo, v19
	v_and_b32_e32 v21, v21, v19
	v_lshlrev_b32_e32 v19, 24, v20
	v_cmp_gt_i64_e32 vcc, 0, v[18:19]
	v_not_b32_e32 v18, v19
	v_ashrrev_i32_e32 v18, 31, v18
	v_xor_b32_e32 v19, vcc_hi, v18
	v_xor_b32_e32 v18, vcc_lo, v18
	; wave barrier
	ds_read_b32 v31, v36 offset:64
	v_and_b32_e32 v32, v32, v34
	v_and_b32_e32 v18, v21, v18
	;; [unrolled: 1-line block ×3, first 2 shown]
	v_mbcnt_lo_u32_b32 v20, v18, 0
	v_mbcnt_hi_u32_b32 v32, v19, v20
	v_cmp_eq_u32_e32 vcc, 0, v32
	v_cmp_ne_u64_e64 s[0:1], 0, v[18:19]
	s_and_b64 s[2:3], s[0:1], vcc
	; wave barrier
	s_and_saveexec_b64 s[0:1], s[2:3]
	s_cbranch_execz .LBB883_71
; %bb.70:
	v_bcnt_u32_b32 v18, v18, 0
	v_bcnt_u32_b32 v18, v19, v18
	s_waitcnt lgkmcnt(0)
	v_add_u32_e32 v18, v31, v18
	ds_write_b32 v36, v18 offset:64
.LBB883_71:
	s_or_b64 exec, exec, s[0:1]
	s_waitcnt vmcnt(3)
	v_xor_b32_e32 v11, 0x80000000, v11
	v_lshrrev_b64 v[18:19], s16, v[10:11]
	v_and_b32_e32 v20, s17, v18
	v_and_b32_e32 v19, 1, v20
	v_add_co_u32_e32 v21, vcc, -1, v19
	v_addc_co_u32_e64 v35, s[0:1], 0, -1, vcc
	v_cmp_ne_u32_e32 vcc, 0, v19
	v_lshl_add_u32 v18, v20, 4, v20
	v_xor_b32_e32 v19, vcc_hi, v35
	v_add_lshl_u32 v38, v25, v18, 2
	v_mov_b32_e32 v18, 0
	v_and_b32_e32 v35, exec_hi, v19
	v_lshlrev_b32_e32 v19, 30, v20
	v_xor_b32_e32 v21, vcc_lo, v21
	v_cmp_gt_i64_e32 vcc, 0, v[18:19]
	v_not_b32_e32 v19, v19
	v_ashrrev_i32_e32 v19, 31, v19
	v_and_b32_e32 v21, exec_lo, v21
	v_xor_b32_e32 v37, vcc_hi, v19
	v_xor_b32_e32 v19, vcc_lo, v19
	v_and_b32_e32 v21, v21, v19
	v_lshlrev_b32_e32 v19, 29, v20
	v_cmp_gt_i64_e32 vcc, 0, v[18:19]
	v_not_b32_e32 v19, v19
	v_ashrrev_i32_e32 v19, 31, v19
	v_and_b32_e32 v35, v35, v37
	v_xor_b32_e32 v37, vcc_hi, v19
	v_xor_b32_e32 v19, vcc_lo, v19
	v_and_b32_e32 v21, v21, v19
	v_lshlrev_b32_e32 v19, 28, v20
	v_cmp_gt_i64_e32 vcc, 0, v[18:19]
	v_not_b32_e32 v19, v19
	v_ashrrev_i32_e32 v19, 31, v19
	v_and_b32_e32 v35, v35, v37
	;; [unrolled: 8-line block ×5, first 2 shown]
	v_xor_b32_e32 v37, vcc_hi, v19
	v_xor_b32_e32 v19, vcc_lo, v19
	v_and_b32_e32 v35, v35, v37
	v_and_b32_e32 v37, v21, v19
	v_lshlrev_b32_e32 v19, 24, v20
	v_cmp_gt_i64_e32 vcc, 0, v[18:19]
	v_not_b32_e32 v19, v19
	v_ashrrev_i32_e32 v19, 31, v19
	v_xor_b32_e32 v20, vcc_hi, v19
	v_xor_b32_e32 v19, vcc_lo, v19
	; wave barrier
	ds_read_b32 v34, v38 offset:64
	v_and_b32_e32 v21, v35, v20
	v_and_b32_e32 v20, v37, v19
	v_mbcnt_lo_u32_b32 v19, v20, 0
	v_mbcnt_hi_u32_b32 v35, v21, v19
	v_cmp_eq_u32_e32 vcc, 0, v35
	v_cmp_ne_u64_e64 s[0:1], 0, v[20:21]
	s_and_b64 s[2:3], s[0:1], vcc
	; wave barrier
	s_and_saveexec_b64 s[0:1], s[2:3]
	s_cbranch_execz .LBB883_73
; %bb.72:
	v_bcnt_u32_b32 v19, v20, 0
	v_bcnt_u32_b32 v19, v21, v19
	s_waitcnt lgkmcnt(0)
	v_add_u32_e32 v19, v34, v19
	ds_write_b32 v38, v19 offset:64
.LBB883_73:
	s_or_b64 exec, exec, s[0:1]
	s_waitcnt vmcnt(2)
	v_xor_b32_e32 v13, 0x80000000, v13
	v_lshrrev_b64 v[20:21], s16, v[12:13]
	v_and_b32_e32 v20, s17, v20
	v_lshl_add_u32 v19, v20, 4, v20
	v_add_lshl_u32 v42, v25, v19, 2
	v_and_b32_e32 v19, 1, v20
	v_add_co_u32_e32 v21, vcc, -1, v19
	v_addc_co_u32_e64 v39, s[0:1], 0, -1, vcc
	v_cmp_ne_u32_e32 vcc, 0, v19
	v_xor_b32_e32 v19, vcc_hi, v39
	v_and_b32_e32 v39, exec_hi, v19
	v_lshlrev_b32_e32 v19, 30, v20
	v_xor_b32_e32 v21, vcc_lo, v21
	v_cmp_gt_i64_e32 vcc, 0, v[18:19]
	v_not_b32_e32 v19, v19
	v_ashrrev_i32_e32 v19, 31, v19
	v_and_b32_e32 v21, exec_lo, v21
	v_xor_b32_e32 v40, vcc_hi, v19
	v_xor_b32_e32 v19, vcc_lo, v19
	v_and_b32_e32 v21, v21, v19
	v_lshlrev_b32_e32 v19, 29, v20
	v_cmp_gt_i64_e32 vcc, 0, v[18:19]
	v_not_b32_e32 v19, v19
	v_ashrrev_i32_e32 v19, 31, v19
	v_and_b32_e32 v39, v39, v40
	v_xor_b32_e32 v40, vcc_hi, v19
	v_xor_b32_e32 v19, vcc_lo, v19
	v_and_b32_e32 v21, v21, v19
	v_lshlrev_b32_e32 v19, 28, v20
	v_cmp_gt_i64_e32 vcc, 0, v[18:19]
	v_not_b32_e32 v19, v19
	v_ashrrev_i32_e32 v19, 31, v19
	v_and_b32_e32 v39, v39, v40
	;; [unrolled: 8-line block ×5, first 2 shown]
	v_xor_b32_e32 v40, vcc_hi, v19
	v_xor_b32_e32 v19, vcc_lo, v19
	v_and_b32_e32 v21, v21, v19
	v_lshlrev_b32_e32 v19, 24, v20
	v_cmp_gt_i64_e32 vcc, 0, v[18:19]
	v_not_b32_e32 v18, v19
	v_ashrrev_i32_e32 v18, 31, v18
	v_xor_b32_e32 v19, vcc_hi, v18
	v_xor_b32_e32 v18, vcc_lo, v18
	; wave barrier
	ds_read_b32 v37, v42 offset:64
	v_and_b32_e32 v39, v39, v40
	v_and_b32_e32 v18, v21, v18
	;; [unrolled: 1-line block ×3, first 2 shown]
	v_mbcnt_lo_u32_b32 v20, v18, 0
	v_mbcnt_hi_u32_b32 v39, v19, v20
	v_cmp_eq_u32_e32 vcc, 0, v39
	v_cmp_ne_u64_e64 s[0:1], 0, v[18:19]
	s_and_b64 s[2:3], s[0:1], vcc
	; wave barrier
	s_and_saveexec_b64 s[0:1], s[2:3]
	s_cbranch_execz .LBB883_75
; %bb.74:
	v_bcnt_u32_b32 v18, v18, 0
	v_bcnt_u32_b32 v18, v19, v18
	s_waitcnt lgkmcnt(0)
	v_add_u32_e32 v18, v37, v18
	ds_write_b32 v42, v18 offset:64
.LBB883_75:
	s_or_b64 exec, exec, s[0:1]
	s_waitcnt vmcnt(1)
	v_xor_b32_e32 v15, 0x80000000, v15
	v_lshrrev_b64 v[18:19], s16, v[14:15]
	v_and_b32_e32 v20, s17, v18
	v_and_b32_e32 v19, 1, v20
	v_add_co_u32_e32 v21, vcc, -1, v19
	v_addc_co_u32_e64 v41, s[0:1], 0, -1, vcc
	v_cmp_ne_u32_e32 vcc, 0, v19
	v_lshl_add_u32 v18, v20, 4, v20
	v_xor_b32_e32 v19, vcc_hi, v41
	v_add_lshl_u32 v45, v25, v18, 2
	v_mov_b32_e32 v18, 0
	v_and_b32_e32 v41, exec_hi, v19
	v_lshlrev_b32_e32 v19, 30, v20
	v_xor_b32_e32 v21, vcc_lo, v21
	v_cmp_gt_i64_e32 vcc, 0, v[18:19]
	v_not_b32_e32 v19, v19
	v_ashrrev_i32_e32 v19, 31, v19
	v_and_b32_e32 v21, exec_lo, v21
	v_xor_b32_e32 v43, vcc_hi, v19
	v_xor_b32_e32 v19, vcc_lo, v19
	v_and_b32_e32 v21, v21, v19
	v_lshlrev_b32_e32 v19, 29, v20
	v_cmp_gt_i64_e32 vcc, 0, v[18:19]
	v_not_b32_e32 v19, v19
	v_ashrrev_i32_e32 v19, 31, v19
	v_and_b32_e32 v41, v41, v43
	v_xor_b32_e32 v43, vcc_hi, v19
	v_xor_b32_e32 v19, vcc_lo, v19
	v_and_b32_e32 v21, v21, v19
	v_lshlrev_b32_e32 v19, 28, v20
	v_cmp_gt_i64_e32 vcc, 0, v[18:19]
	v_not_b32_e32 v19, v19
	v_ashrrev_i32_e32 v19, 31, v19
	v_and_b32_e32 v41, v41, v43
	;; [unrolled: 8-line block ×5, first 2 shown]
	v_xor_b32_e32 v43, vcc_hi, v19
	v_xor_b32_e32 v19, vcc_lo, v19
	v_and_b32_e32 v41, v41, v43
	v_and_b32_e32 v43, v21, v19
	v_lshlrev_b32_e32 v19, 24, v20
	v_cmp_gt_i64_e32 vcc, 0, v[18:19]
	v_not_b32_e32 v19, v19
	v_ashrrev_i32_e32 v19, 31, v19
	v_xor_b32_e32 v20, vcc_hi, v19
	v_xor_b32_e32 v19, vcc_lo, v19
	; wave barrier
	ds_read_b32 v40, v45 offset:64
	v_and_b32_e32 v21, v41, v20
	v_and_b32_e32 v20, v43, v19
	v_mbcnt_lo_u32_b32 v19, v20, 0
	v_mbcnt_hi_u32_b32 v41, v21, v19
	v_cmp_eq_u32_e32 vcc, 0, v41
	v_cmp_ne_u64_e64 s[0:1], 0, v[20:21]
	s_and_b64 s[2:3], s[0:1], vcc
	; wave barrier
	s_and_saveexec_b64 s[0:1], s[2:3]
	s_cbranch_execz .LBB883_77
; %bb.76:
	v_bcnt_u32_b32 v19, v20, 0
	v_bcnt_u32_b32 v19, v21, v19
	s_waitcnt lgkmcnt(0)
	v_add_u32_e32 v19, v40, v19
	ds_write_b32 v45, v19 offset:64
.LBB883_77:
	s_or_b64 exec, exec, s[0:1]
	s_waitcnt vmcnt(0)
	v_xor_b32_e32 v17, 0x80000000, v17
	v_lshrrev_b64 v[20:21], s16, v[16:17]
	v_and_b32_e32 v20, s17, v20
	v_lshl_add_u32 v19, v20, 4, v20
	v_add_lshl_u32 v25, v25, v19, 2
	v_and_b32_e32 v19, 1, v20
	v_add_co_u32_e32 v21, vcc, -1, v19
	v_addc_co_u32_e64 v44, s[0:1], 0, -1, vcc
	v_cmp_ne_u32_e32 vcc, 0, v19
	v_xor_b32_e32 v19, vcc_hi, v44
	v_and_b32_e32 v44, exec_hi, v19
	v_lshlrev_b32_e32 v19, 30, v20
	v_xor_b32_e32 v21, vcc_lo, v21
	v_cmp_gt_i64_e32 vcc, 0, v[18:19]
	v_not_b32_e32 v19, v19
	v_ashrrev_i32_e32 v19, 31, v19
	v_and_b32_e32 v21, exec_lo, v21
	v_xor_b32_e32 v47, vcc_hi, v19
	v_xor_b32_e32 v19, vcc_lo, v19
	v_and_b32_e32 v21, v21, v19
	v_lshlrev_b32_e32 v19, 29, v20
	v_cmp_gt_i64_e32 vcc, 0, v[18:19]
	v_not_b32_e32 v19, v19
	v_ashrrev_i32_e32 v19, 31, v19
	v_and_b32_e32 v44, v44, v47
	v_xor_b32_e32 v47, vcc_hi, v19
	v_xor_b32_e32 v19, vcc_lo, v19
	v_and_b32_e32 v21, v21, v19
	v_lshlrev_b32_e32 v19, 28, v20
	v_cmp_gt_i64_e32 vcc, 0, v[18:19]
	v_not_b32_e32 v19, v19
	v_ashrrev_i32_e32 v19, 31, v19
	v_and_b32_e32 v44, v44, v47
	;; [unrolled: 8-line block ×5, first 2 shown]
	v_xor_b32_e32 v47, vcc_hi, v19
	v_xor_b32_e32 v19, vcc_lo, v19
	v_and_b32_e32 v21, v21, v19
	v_lshlrev_b32_e32 v19, 24, v20
	v_cmp_gt_i64_e32 vcc, 0, v[18:19]
	v_not_b32_e32 v18, v19
	v_ashrrev_i32_e32 v18, 31, v18
	v_xor_b32_e32 v19, vcc_hi, v18
	v_xor_b32_e32 v18, vcc_lo, v18
	; wave barrier
	ds_read_b32 v43, v25 offset:64
	v_and_b32_e32 v44, v44, v47
	v_and_b32_e32 v18, v21, v18
	;; [unrolled: 1-line block ×3, first 2 shown]
	v_mbcnt_lo_u32_b32 v20, v18, 0
	v_mbcnt_hi_u32_b32 v44, v19, v20
	v_cmp_eq_u32_e32 vcc, 0, v44
	v_cmp_ne_u64_e64 s[0:1], 0, v[18:19]
	v_add_u32_e32 v46, 64, v22
	s_and_b64 s[2:3], s[0:1], vcc
	; wave barrier
	s_and_saveexec_b64 s[0:1], s[2:3]
	s_cbranch_execz .LBB883_79
; %bb.78:
	v_bcnt_u32_b32 v18, v18, 0
	v_bcnt_u32_b32 v18, v19, v18
	s_waitcnt lgkmcnt(0)
	v_add_u32_e32 v18, v43, v18
	ds_write_b32 v25, v18 offset:64
.LBB883_79:
	s_or_b64 exec, exec, s[0:1]
	; wave barrier
	s_waitcnt lgkmcnt(0)
	s_barrier
	ds_read2_b32 v[20:21], v22 offset0:16 offset1:17
	ds_read2_b32 v[18:19], v46 offset0:2 offset1:3
	ds_read_b32 v47, v46 offset:16
	v_cmp_lt_u32_e64 s[8:9], 31, v3
	s_waitcnt lgkmcnt(1)
	v_add3_u32 v48, v21, v20, v18
	s_waitcnt lgkmcnt(0)
	v_add3_u32 v47, v48, v19, v47
	v_and_b32_e32 v48, 15, v3
	v_cmp_eq_u32_e32 vcc, 0, v48
	v_mov_b32_dpp v49, v47 row_shr:1 row_mask:0xf bank_mask:0xf
	v_cndmask_b32_e64 v49, v49, 0, vcc
	v_add_u32_e32 v47, v49, v47
	v_cmp_lt_u32_e64 s[0:1], 1, v48
	v_cmp_lt_u32_e64 s[2:3], 3, v48
	v_mov_b32_dpp v49, v47 row_shr:2 row_mask:0xf bank_mask:0xf
	v_cndmask_b32_e64 v49, 0, v49, s[0:1]
	v_add_u32_e32 v47, v47, v49
	v_cmp_lt_u32_e64 s[4:5], 7, v48
	s_nop 0
	v_mov_b32_dpp v49, v47 row_shr:4 row_mask:0xf bank_mask:0xf
	v_cndmask_b32_e64 v49, 0, v49, s[2:3]
	v_add_u32_e32 v47, v47, v49
	s_nop 1
	v_mov_b32_dpp v49, v47 row_shr:8 row_mask:0xf bank_mask:0xf
	v_cndmask_b32_e64 v48, 0, v49, s[4:5]
	v_add_u32_e32 v47, v47, v48
	v_bfe_i32 v49, v3, 4, 1
	s_nop 0
	v_mov_b32_dpp v48, v47 row_bcast:15 row_mask:0xf bank_mask:0xf
	v_and_b32_e32 v48, v49, v48
	v_add_u32_e32 v47, v47, v48
	v_and_b32_e32 v49, 63, v2
	s_nop 0
	v_mov_b32_dpp v48, v47 row_bcast:31 row_mask:0xf bank_mask:0xf
	v_cndmask_b32_e64 v48, 0, v48, s[8:9]
	v_add_u32_e32 v47, v47, v48
	v_lshrrev_b32_e32 v48, 6, v2
	v_cmp_eq_u32_e64 s[8:9], 63, v49
	s_and_saveexec_b64 s[10:11], s[8:9]
	s_cbranch_execz .LBB883_81
; %bb.80:
	v_lshlrev_b32_e32 v49, 2, v48
	ds_write_b32 v49, v47
.LBB883_81:
	s_or_b64 exec, exec, s[10:11]
	v_cmp_gt_u32_e64 s[8:9], 16, v2
	s_waitcnt lgkmcnt(0)
	s_barrier
	s_and_saveexec_b64 s[10:11], s[8:9]
	s_cbranch_execz .LBB883_83
; %bb.82:
	v_lshlrev_b32_e32 v49, 2, v2
	ds_read_b32 v50, v49
	s_waitcnt lgkmcnt(0)
	s_nop 0
	v_mov_b32_dpp v51, v50 row_shr:1 row_mask:0xf bank_mask:0xf
	v_cndmask_b32_e64 v51, v51, 0, vcc
	v_add_u32_e32 v50, v51, v50
	s_nop 1
	v_mov_b32_dpp v51, v50 row_shr:2 row_mask:0xf bank_mask:0xf
	v_cndmask_b32_e64 v51, 0, v51, s[0:1]
	v_add_u32_e32 v50, v50, v51
	s_nop 1
	v_mov_b32_dpp v51, v50 row_shr:4 row_mask:0xf bank_mask:0xf
	v_cndmask_b32_e64 v51, 0, v51, s[2:3]
	;; [unrolled: 4-line block ×3, first 2 shown]
	v_add_u32_e32 v50, v50, v51
	ds_write_b32 v49, v50
.LBB883_83:
	s_or_b64 exec, exec, s[10:11]
	v_cmp_lt_u32_e32 vcc, 63, v2
	v_mov_b32_e32 v49, 0
	s_waitcnt lgkmcnt(0)
	s_barrier
	s_and_saveexec_b64 s[0:1], vcc
	s_cbranch_execz .LBB883_85
; %bb.84:
	v_lshl_add_u32 v48, v48, 2, -4
	ds_read_b32 v49, v48
.LBB883_85:
	s_or_b64 exec, exec, s[0:1]
	v_add_u32_e32 v48, -1, v3
	v_and_b32_e32 v50, 64, v3
	v_cmp_lt_i32_e32 vcc, v48, v50
	v_cndmask_b32_e32 v48, v48, v3, vcc
	s_waitcnt lgkmcnt(0)
	v_add_u32_e32 v47, v49, v47
	v_lshlrev_b32_e32 v48, 2, v48
	ds_bpermute_b32 v47, v48, v47
	v_cmp_eq_u32_e32 vcc, 0, v3
	s_movk_i32 s2, 0xff
	s_movk_i32 s0, 0x100
	v_cmp_gt_u32_e64 s[0:1], s0, v2
	s_waitcnt lgkmcnt(0)
	v_cndmask_b32_e32 v3, v47, v49, vcc
	v_cmp_ne_u32_e32 vcc, 0, v2
	v_cndmask_b32_e32 v3, 0, v3, vcc
	v_add_u32_e32 v20, v3, v20
	v_add_u32_e32 v21, v20, v21
	;; [unrolled: 1-line block ×4, first 2 shown]
	ds_write2_b32 v22, v3, v20 offset0:16 offset1:17
	ds_write2_b32 v46, v21, v18 offset0:2 offset1:3
	ds_write_b32 v46, v19 offset:16
	s_waitcnt lgkmcnt(0)
	s_barrier
	ds_read_b32 v48, v23 offset:64
	ds_read_b32 v46, v24 offset:64
	;; [unrolled: 1-line block ×8, first 2 shown]
	v_cmp_lt_u32_e32 vcc, s2, v2
	v_pk_mov_b32 v[20:21], 0, 0
                                        ; implicit-def: $vgpr38
	s_and_saveexec_b64 s[4:5], s[0:1]
	s_cbranch_execz .LBB883_89
; %bb.86:
	v_mul_u32_u24_e32 v3, 17, v2
	v_lshlrev_b32_e32 v18, 2, v3
	ds_read_b32 v20, v18 offset:64
	v_cmp_ne_u32_e64 s[2:3], s2, v2
	v_mov_b32_e32 v3, 0x2000
	s_and_saveexec_b64 s[8:9], s[2:3]
	s_cbranch_execz .LBB883_88
; %bb.87:
	ds_read_b32 v3, v18 offset:132
.LBB883_88:
	s_or_b64 exec, exec, s[8:9]
	s_waitcnt lgkmcnt(0)
	v_sub_u32_e32 v38, v3, v20
	v_mov_b32_e32 v21, 0
.LBB883_89:
	s_or_b64 exec, exec, s[4:5]
	s_waitcnt lgkmcnt(0)
	s_barrier
	s_and_saveexec_b64 s[2:3], vcc
	s_xor_b64 s[2:3], exec, s[2:3]
; %bb.90:
	v_mov_b32_e32 v3, 0
; %bb.91:
	s_andn2_saveexec_b64 s[2:3], s[2:3]
	s_cbranch_execz .LBB883_101
; %bb.92:
	v_lshl_or_b32 v18, s6, 8, v2
	v_mov_b32_e32 v19, 0
	v_lshlrev_b64 v[22:23], 2, v[18:19]
	v_mov_b32_e32 v3, s25
	v_add_co_u32_e32 v22, vcc, s24, v22
	v_addc_co_u32_e32 v23, vcc, v3, v23, vcc
	v_or_b32_e32 v18, 2.0, v38
	s_mov_b64 s[4:5], 0
	s_brev_b32 s18, 1
	s_mov_b32 s19, s6
	v_mov_b32_e32 v50, 0
	global_store_dword v[22:23], v18, off
                                        ; implicit-def: $sgpr8_sgpr9
	s_branch .LBB883_95
.LBB883_93:                             ;   in Loop: Header=BB883_95 Depth=1
	s_or_b64 exec, exec, s[10:11]
.LBB883_94:                             ;   in Loop: Header=BB883_95 Depth=1
	s_or_b64 exec, exec, s[8:9]
	v_and_b32_e32 v24, 0x3fffffff, v51
	v_add_u32_e32 v50, v24, v50
	v_cmp_eq_u32_e64 s[8:9], s18, v18
	s_and_b64 s[10:11], exec, s[8:9]
	s_or_b64 s[4:5], s[10:11], s[4:5]
	s_andn2_b64 exec, exec, s[4:5]
	s_cbranch_execz .LBB883_100
.LBB883_95:                             ; =>This Loop Header: Depth=1
                                        ;     Child Loop BB883_98 Depth 2
	s_or_b64 s[8:9], s[8:9], exec
	s_cmp_eq_u32 s19, 0
	s_cbranch_scc1 .LBB883_99
; %bb.96:                               ;   in Loop: Header=BB883_95 Depth=1
	s_add_i32 s19, s19, -1
	v_lshl_or_b32 v18, s19, 8, v2
	v_lshlrev_b64 v[24:25], 2, v[18:19]
	v_add_co_u32_e32 v24, vcc, s24, v24
	v_addc_co_u32_e32 v25, vcc, v3, v25, vcc
	global_load_dword v51, v[24:25], off glc
	s_waitcnt vmcnt(0)
	v_and_b32_e32 v18, -2.0, v51
	v_cmp_eq_u32_e32 vcc, 0, v18
	s_and_saveexec_b64 s[8:9], vcc
	s_cbranch_execz .LBB883_94
; %bb.97:                               ;   in Loop: Header=BB883_95 Depth=1
	s_mov_b64 s[10:11], 0
.LBB883_98:                             ;   Parent Loop BB883_95 Depth=1
                                        ; =>  This Inner Loop Header: Depth=2
	global_load_dword v51, v[24:25], off glc
	s_waitcnt vmcnt(0)
	v_and_b32_e32 v18, -2.0, v51
	v_cmp_ne_u32_e32 vcc, 0, v18
	s_or_b64 s[10:11], vcc, s[10:11]
	s_andn2_b64 exec, exec, s[10:11]
	s_cbranch_execnz .LBB883_98
	s_branch .LBB883_93
.LBB883_99:                             ;   in Loop: Header=BB883_95 Depth=1
                                        ; implicit-def: $sgpr19
	s_and_b64 s[10:11], exec, s[8:9]
	s_or_b64 s[4:5], s[10:11], s[4:5]
	s_andn2_b64 exec, exec, s[4:5]
	s_cbranch_execnz .LBB883_95
.LBB883_100:
	s_or_b64 exec, exec, s[4:5]
	v_add_u32_e32 v3, v50, v38
	v_or_b32_e32 v3, 0x80000000, v3
	global_store_dword v[22:23], v3, off
	v_lshlrev_b32_e32 v22, 3, v2
	global_load_dwordx2 v[18:19], v22, s[12:13]
	v_sub_co_u32_e32 v23, vcc, v50, v20
	v_subb_co_u32_e32 v24, vcc, 0, v21, vcc
	v_mov_b32_e32 v3, 0
	s_waitcnt vmcnt(0)
	v_add_co_u32_e32 v18, vcc, v23, v18
	v_addc_co_u32_e32 v19, vcc, v24, v19, vcc
	ds_write_b64 v22, v[18:19]
.LBB883_101:
	s_or_b64 exec, exec, s[2:3]
	v_lshlrev_b64 v[18:19], 3, v[2:3]
	v_lshlrev_b32_e32 v23, 3, v2
	v_add3_u32 v27, v28, v46, v27
	v_mov_b32_e32 v28, s23
	v_add_co_u32_e32 v18, vcc, s22, v18
	v_add_u32_e32 v22, v48, v26
	v_add_u32_e32 v24, 0x800, v23
	v_add3_u32 v25, v44, v49, v43
	v_add3_u32 v26, v41, v45, v40
	;; [unrolled: 1-line block ×6, first 2 shown]
	v_addc_co_u32_e32 v19, vcc, v28, v19, vcc
	s_mov_b32 s2, 0
.LBB883_102:                            ; =>This Inner Loop Header: Depth=1
	v_add_u32_e32 v28, s2, v22
	v_add_u32_e32 v32, s2, v29
	;; [unrolled: 1-line block ×8, first 2 shown]
	v_min_u32_e32 v28, 0x800, v28
	v_min_u32_e32 v32, 0x800, v32
	;; [unrolled: 1-line block ×8, first 2 shown]
	v_lshlrev_b32_e32 v28, 3, v28
	v_lshlrev_b32_e32 v32, 3, v32
	;; [unrolled: 1-line block ×8, first 2 shown]
	ds_write_b64 v28, v[4:5] offset:2048
	ds_write_b64 v30, v[0:1] offset:2048
	;; [unrolled: 1-line block ×8, first 2 shown]
	s_waitcnt lgkmcnt(0)
	s_barrier
	ds_read_b64 v[32:33], v23 offset:2048
	ds_read_b64 v[40:41], v24 offset:8192
	s_addk_i32 s2, 0xf800
	s_cmpk_lg_i32 s2, 0xe000
	s_waitcnt lgkmcnt(1)
	v_lshrrev_b64 v[42:43], s16, v[32:33]
	s_waitcnt lgkmcnt(0)
	v_lshrrev_b64 v[44:45], s16, v[40:41]
	v_and_b32_e32 v28, s17, v42
	v_and_b32_e32 v30, s17, v44
	v_lshlrev_b32_e32 v28, 3, v28
	v_lshlrev_b32_e32 v30, 3, v30
	ds_read_b64 v[42:43], v28
	ds_read_b64 v[44:45], v30
	v_xor_b32_e32 v33, 0x80000000, v33
	v_xor_b32_e32 v41, 0x80000000, v41
	s_waitcnt lgkmcnt(1)
	v_lshlrev_b64 v[42:43], 3, v[42:43]
	v_add_co_u32_e32 v42, vcc, v18, v42
	s_waitcnt lgkmcnt(0)
	v_lshlrev_b64 v[44:45], 3, v[44:45]
	v_addc_co_u32_e32 v43, vcc, v19, v43, vcc
	v_add_co_u32_e32 v28, vcc, v18, v44
	v_addc_co_u32_e32 v30, vcc, v19, v45, vcc
	global_store_dwordx2 v[42:43], v[32:33], off
	v_add_co_u32_e32 v32, vcc, 0x2000, v28
	v_addc_co_u32_e32 v33, vcc, 0, v30, vcc
	v_add_co_u32_e32 v18, vcc, 0x4000, v18
	v_addc_co_u32_e32 v19, vcc, 0, v19, vcc
	global_store_dwordx2 v[32:33], v[40:41], off
	s_barrier
	s_cbranch_scc1 .LBB883_102
; %bb.103:
	s_add_i32 s7, s7, -1
	s_cmp_eq_u32 s7, s6
	s_cselect_b64 s[2:3], -1, 0
	s_and_b64 s[0:1], s[0:1], s[2:3]
.LBB883_104:
	s_and_saveexec_b64 s[2:3], s[0:1]
	s_cbranch_execnz .LBB883_106
; %bb.105:
	s_endpgm
.LBB883_106:
	v_lshlrev_b32_e32 v6, 3, v2
	v_lshlrev_b64 v[0:1], 3, v[2:3]
	ds_read_b64 v[2:3], v6
	v_add_co_u32_e32 v4, vcc, v20, v38
	v_addc_co_u32_e32 v5, vcc, 0, v21, vcc
	v_mov_b32_e32 v7, s15
	v_add_co_u32_e32 v0, vcc, s14, v0
	v_addc_co_u32_e32 v1, vcc, v7, v1, vcc
	s_waitcnt lgkmcnt(0)
	v_add_co_u32_e32 v2, vcc, v4, v2
	v_addc_co_u32_e32 v3, vcc, v5, v3, vcc
	global_store_dwordx2 v[0:1], v[2:3], off
	s_endpgm
	.section	.rodata,"a",@progbits
	.p2align	6, 0x0
	.amdhsa_kernel _ZN7rocprim17ROCPRIM_400000_NS6detail17trampoline_kernelINS0_14default_configENS1_35radix_sort_onesweep_config_selectorIlNS0_10empty_typeEEEZZNS1_29radix_sort_onesweep_iterationIS3_Lb0EPlS8_PS5_S9_mNS0_19identity_decomposerENS1_16block_id_wrapperIjLb0EEEEE10hipError_tT1_PNSt15iterator_traitsISE_E10value_typeET2_T3_PNSF_ISK_E10value_typeET4_T5_PSP_SQ_PNS1_23onesweep_lookback_stateEbbT6_jjT7_P12ihipStream_tbENKUlT_T0_SE_SJ_E_clIS8_S8_S9_S9_EEDaSX_SY_SE_SJ_EUlSX_E_NS1_11comp_targetILNS1_3genE4ELNS1_11target_archE910ELNS1_3gpuE8ELNS1_3repE0EEENS1_47radix_sort_onesweep_sort_config_static_selectorELNS0_4arch9wavefront6targetE1EEEvSE_
		.amdhsa_group_segment_fixed_size 20552
		.amdhsa_private_segment_fixed_size 0
		.amdhsa_kernarg_size 344
		.amdhsa_user_sgpr_count 6
		.amdhsa_user_sgpr_private_segment_buffer 1
		.amdhsa_user_sgpr_dispatch_ptr 0
		.amdhsa_user_sgpr_queue_ptr 0
		.amdhsa_user_sgpr_kernarg_segment_ptr 1
		.amdhsa_user_sgpr_dispatch_id 0
		.amdhsa_user_sgpr_flat_scratch_init 0
		.amdhsa_user_sgpr_kernarg_preload_length 0
		.amdhsa_user_sgpr_kernarg_preload_offset 0
		.amdhsa_user_sgpr_private_segment_size 0
		.amdhsa_uses_dynamic_stack 0
		.amdhsa_system_sgpr_private_segment_wavefront_offset 0
		.amdhsa_system_sgpr_workgroup_id_x 1
		.amdhsa_system_sgpr_workgroup_id_y 0
		.amdhsa_system_sgpr_workgroup_id_z 0
		.amdhsa_system_sgpr_workgroup_info 0
		.amdhsa_system_vgpr_workitem_id 2
		.amdhsa_next_free_vgpr 55
		.amdhsa_next_free_sgpr 30
		.amdhsa_accum_offset 56
		.amdhsa_reserve_vcc 1
		.amdhsa_reserve_flat_scratch 0
		.amdhsa_float_round_mode_32 0
		.amdhsa_float_round_mode_16_64 0
		.amdhsa_float_denorm_mode_32 3
		.amdhsa_float_denorm_mode_16_64 3
		.amdhsa_dx10_clamp 1
		.amdhsa_ieee_mode 1
		.amdhsa_fp16_overflow 0
		.amdhsa_tg_split 0
		.amdhsa_exception_fp_ieee_invalid_op 0
		.amdhsa_exception_fp_denorm_src 0
		.amdhsa_exception_fp_ieee_div_zero 0
		.amdhsa_exception_fp_ieee_overflow 0
		.amdhsa_exception_fp_ieee_underflow 0
		.amdhsa_exception_fp_ieee_inexact 0
		.amdhsa_exception_int_div_zero 0
	.end_amdhsa_kernel
	.section	.text._ZN7rocprim17ROCPRIM_400000_NS6detail17trampoline_kernelINS0_14default_configENS1_35radix_sort_onesweep_config_selectorIlNS0_10empty_typeEEEZZNS1_29radix_sort_onesweep_iterationIS3_Lb0EPlS8_PS5_S9_mNS0_19identity_decomposerENS1_16block_id_wrapperIjLb0EEEEE10hipError_tT1_PNSt15iterator_traitsISE_E10value_typeET2_T3_PNSF_ISK_E10value_typeET4_T5_PSP_SQ_PNS1_23onesweep_lookback_stateEbbT6_jjT7_P12ihipStream_tbENKUlT_T0_SE_SJ_E_clIS8_S8_S9_S9_EEDaSX_SY_SE_SJ_EUlSX_E_NS1_11comp_targetILNS1_3genE4ELNS1_11target_archE910ELNS1_3gpuE8ELNS1_3repE0EEENS1_47radix_sort_onesweep_sort_config_static_selectorELNS0_4arch9wavefront6targetE1EEEvSE_,"axG",@progbits,_ZN7rocprim17ROCPRIM_400000_NS6detail17trampoline_kernelINS0_14default_configENS1_35radix_sort_onesweep_config_selectorIlNS0_10empty_typeEEEZZNS1_29radix_sort_onesweep_iterationIS3_Lb0EPlS8_PS5_S9_mNS0_19identity_decomposerENS1_16block_id_wrapperIjLb0EEEEE10hipError_tT1_PNSt15iterator_traitsISE_E10value_typeET2_T3_PNSF_ISK_E10value_typeET4_T5_PSP_SQ_PNS1_23onesweep_lookback_stateEbbT6_jjT7_P12ihipStream_tbENKUlT_T0_SE_SJ_E_clIS8_S8_S9_S9_EEDaSX_SY_SE_SJ_EUlSX_E_NS1_11comp_targetILNS1_3genE4ELNS1_11target_archE910ELNS1_3gpuE8ELNS1_3repE0EEENS1_47radix_sort_onesweep_sort_config_static_selectorELNS0_4arch9wavefront6targetE1EEEvSE_,comdat
.Lfunc_end883:
	.size	_ZN7rocprim17ROCPRIM_400000_NS6detail17trampoline_kernelINS0_14default_configENS1_35radix_sort_onesweep_config_selectorIlNS0_10empty_typeEEEZZNS1_29radix_sort_onesweep_iterationIS3_Lb0EPlS8_PS5_S9_mNS0_19identity_decomposerENS1_16block_id_wrapperIjLb0EEEEE10hipError_tT1_PNSt15iterator_traitsISE_E10value_typeET2_T3_PNSF_ISK_E10value_typeET4_T5_PSP_SQ_PNS1_23onesweep_lookback_stateEbbT6_jjT7_P12ihipStream_tbENKUlT_T0_SE_SJ_E_clIS8_S8_S9_S9_EEDaSX_SY_SE_SJ_EUlSX_E_NS1_11comp_targetILNS1_3genE4ELNS1_11target_archE910ELNS1_3gpuE8ELNS1_3repE0EEENS1_47radix_sort_onesweep_sort_config_static_selectorELNS0_4arch9wavefront6targetE1EEEvSE_, .Lfunc_end883-_ZN7rocprim17ROCPRIM_400000_NS6detail17trampoline_kernelINS0_14default_configENS1_35radix_sort_onesweep_config_selectorIlNS0_10empty_typeEEEZZNS1_29radix_sort_onesweep_iterationIS3_Lb0EPlS8_PS5_S9_mNS0_19identity_decomposerENS1_16block_id_wrapperIjLb0EEEEE10hipError_tT1_PNSt15iterator_traitsISE_E10value_typeET2_T3_PNSF_ISK_E10value_typeET4_T5_PSP_SQ_PNS1_23onesweep_lookback_stateEbbT6_jjT7_P12ihipStream_tbENKUlT_T0_SE_SJ_E_clIS8_S8_S9_S9_EEDaSX_SY_SE_SJ_EUlSX_E_NS1_11comp_targetILNS1_3genE4ELNS1_11target_archE910ELNS1_3gpuE8ELNS1_3repE0EEENS1_47radix_sort_onesweep_sort_config_static_selectorELNS0_4arch9wavefront6targetE1EEEvSE_
                                        ; -- End function
	.section	.AMDGPU.csdata,"",@progbits
; Kernel info:
; codeLenInByte = 10368
; NumSgprs: 34
; NumVgprs: 55
; NumAgprs: 0
; TotalNumVgprs: 55
; ScratchSize: 0
; MemoryBound: 0
; FloatMode: 240
; IeeeMode: 1
; LDSByteSize: 20552 bytes/workgroup (compile time only)
; SGPRBlocks: 4
; VGPRBlocks: 6
; NumSGPRsForWavesPerEU: 34
; NumVGPRsForWavesPerEU: 55
; AccumOffset: 56
; Occupancy: 8
; WaveLimiterHint : 1
; COMPUTE_PGM_RSRC2:SCRATCH_EN: 0
; COMPUTE_PGM_RSRC2:USER_SGPR: 6
; COMPUTE_PGM_RSRC2:TRAP_HANDLER: 0
; COMPUTE_PGM_RSRC2:TGID_X_EN: 1
; COMPUTE_PGM_RSRC2:TGID_Y_EN: 0
; COMPUTE_PGM_RSRC2:TGID_Z_EN: 0
; COMPUTE_PGM_RSRC2:TIDIG_COMP_CNT: 2
; COMPUTE_PGM_RSRC3_GFX90A:ACCUM_OFFSET: 13
; COMPUTE_PGM_RSRC3_GFX90A:TG_SPLIT: 0
	.section	.text._ZN7rocprim17ROCPRIM_400000_NS6detail17trampoline_kernelINS0_14default_configENS1_35radix_sort_onesweep_config_selectorIlNS0_10empty_typeEEEZZNS1_29radix_sort_onesweep_iterationIS3_Lb0EPlS8_PS5_S9_mNS0_19identity_decomposerENS1_16block_id_wrapperIjLb0EEEEE10hipError_tT1_PNSt15iterator_traitsISE_E10value_typeET2_T3_PNSF_ISK_E10value_typeET4_T5_PSP_SQ_PNS1_23onesweep_lookback_stateEbbT6_jjT7_P12ihipStream_tbENKUlT_T0_SE_SJ_E_clIS8_S8_S9_S9_EEDaSX_SY_SE_SJ_EUlSX_E_NS1_11comp_targetILNS1_3genE3ELNS1_11target_archE908ELNS1_3gpuE7ELNS1_3repE0EEENS1_47radix_sort_onesweep_sort_config_static_selectorELNS0_4arch9wavefront6targetE1EEEvSE_,"axG",@progbits,_ZN7rocprim17ROCPRIM_400000_NS6detail17trampoline_kernelINS0_14default_configENS1_35radix_sort_onesweep_config_selectorIlNS0_10empty_typeEEEZZNS1_29radix_sort_onesweep_iterationIS3_Lb0EPlS8_PS5_S9_mNS0_19identity_decomposerENS1_16block_id_wrapperIjLb0EEEEE10hipError_tT1_PNSt15iterator_traitsISE_E10value_typeET2_T3_PNSF_ISK_E10value_typeET4_T5_PSP_SQ_PNS1_23onesweep_lookback_stateEbbT6_jjT7_P12ihipStream_tbENKUlT_T0_SE_SJ_E_clIS8_S8_S9_S9_EEDaSX_SY_SE_SJ_EUlSX_E_NS1_11comp_targetILNS1_3genE3ELNS1_11target_archE908ELNS1_3gpuE7ELNS1_3repE0EEENS1_47radix_sort_onesweep_sort_config_static_selectorELNS0_4arch9wavefront6targetE1EEEvSE_,comdat
	.protected	_ZN7rocprim17ROCPRIM_400000_NS6detail17trampoline_kernelINS0_14default_configENS1_35radix_sort_onesweep_config_selectorIlNS0_10empty_typeEEEZZNS1_29radix_sort_onesweep_iterationIS3_Lb0EPlS8_PS5_S9_mNS0_19identity_decomposerENS1_16block_id_wrapperIjLb0EEEEE10hipError_tT1_PNSt15iterator_traitsISE_E10value_typeET2_T3_PNSF_ISK_E10value_typeET4_T5_PSP_SQ_PNS1_23onesweep_lookback_stateEbbT6_jjT7_P12ihipStream_tbENKUlT_T0_SE_SJ_E_clIS8_S8_S9_S9_EEDaSX_SY_SE_SJ_EUlSX_E_NS1_11comp_targetILNS1_3genE3ELNS1_11target_archE908ELNS1_3gpuE7ELNS1_3repE0EEENS1_47radix_sort_onesweep_sort_config_static_selectorELNS0_4arch9wavefront6targetE1EEEvSE_ ; -- Begin function _ZN7rocprim17ROCPRIM_400000_NS6detail17trampoline_kernelINS0_14default_configENS1_35radix_sort_onesweep_config_selectorIlNS0_10empty_typeEEEZZNS1_29radix_sort_onesweep_iterationIS3_Lb0EPlS8_PS5_S9_mNS0_19identity_decomposerENS1_16block_id_wrapperIjLb0EEEEE10hipError_tT1_PNSt15iterator_traitsISE_E10value_typeET2_T3_PNSF_ISK_E10value_typeET4_T5_PSP_SQ_PNS1_23onesweep_lookback_stateEbbT6_jjT7_P12ihipStream_tbENKUlT_T0_SE_SJ_E_clIS8_S8_S9_S9_EEDaSX_SY_SE_SJ_EUlSX_E_NS1_11comp_targetILNS1_3genE3ELNS1_11target_archE908ELNS1_3gpuE7ELNS1_3repE0EEENS1_47radix_sort_onesweep_sort_config_static_selectorELNS0_4arch9wavefront6targetE1EEEvSE_
	.globl	_ZN7rocprim17ROCPRIM_400000_NS6detail17trampoline_kernelINS0_14default_configENS1_35radix_sort_onesweep_config_selectorIlNS0_10empty_typeEEEZZNS1_29radix_sort_onesweep_iterationIS3_Lb0EPlS8_PS5_S9_mNS0_19identity_decomposerENS1_16block_id_wrapperIjLb0EEEEE10hipError_tT1_PNSt15iterator_traitsISE_E10value_typeET2_T3_PNSF_ISK_E10value_typeET4_T5_PSP_SQ_PNS1_23onesweep_lookback_stateEbbT6_jjT7_P12ihipStream_tbENKUlT_T0_SE_SJ_E_clIS8_S8_S9_S9_EEDaSX_SY_SE_SJ_EUlSX_E_NS1_11comp_targetILNS1_3genE3ELNS1_11target_archE908ELNS1_3gpuE7ELNS1_3repE0EEENS1_47radix_sort_onesweep_sort_config_static_selectorELNS0_4arch9wavefront6targetE1EEEvSE_
	.p2align	8
	.type	_ZN7rocprim17ROCPRIM_400000_NS6detail17trampoline_kernelINS0_14default_configENS1_35radix_sort_onesweep_config_selectorIlNS0_10empty_typeEEEZZNS1_29radix_sort_onesweep_iterationIS3_Lb0EPlS8_PS5_S9_mNS0_19identity_decomposerENS1_16block_id_wrapperIjLb0EEEEE10hipError_tT1_PNSt15iterator_traitsISE_E10value_typeET2_T3_PNSF_ISK_E10value_typeET4_T5_PSP_SQ_PNS1_23onesweep_lookback_stateEbbT6_jjT7_P12ihipStream_tbENKUlT_T0_SE_SJ_E_clIS8_S8_S9_S9_EEDaSX_SY_SE_SJ_EUlSX_E_NS1_11comp_targetILNS1_3genE3ELNS1_11target_archE908ELNS1_3gpuE7ELNS1_3repE0EEENS1_47radix_sort_onesweep_sort_config_static_selectorELNS0_4arch9wavefront6targetE1EEEvSE_,@function
_ZN7rocprim17ROCPRIM_400000_NS6detail17trampoline_kernelINS0_14default_configENS1_35radix_sort_onesweep_config_selectorIlNS0_10empty_typeEEEZZNS1_29radix_sort_onesweep_iterationIS3_Lb0EPlS8_PS5_S9_mNS0_19identity_decomposerENS1_16block_id_wrapperIjLb0EEEEE10hipError_tT1_PNSt15iterator_traitsISE_E10value_typeET2_T3_PNSF_ISK_E10value_typeET4_T5_PSP_SQ_PNS1_23onesweep_lookback_stateEbbT6_jjT7_P12ihipStream_tbENKUlT_T0_SE_SJ_E_clIS8_S8_S9_S9_EEDaSX_SY_SE_SJ_EUlSX_E_NS1_11comp_targetILNS1_3genE3ELNS1_11target_archE908ELNS1_3gpuE7ELNS1_3repE0EEENS1_47radix_sort_onesweep_sort_config_static_selectorELNS0_4arch9wavefront6targetE1EEEvSE_: ; @_ZN7rocprim17ROCPRIM_400000_NS6detail17trampoline_kernelINS0_14default_configENS1_35radix_sort_onesweep_config_selectorIlNS0_10empty_typeEEEZZNS1_29radix_sort_onesweep_iterationIS3_Lb0EPlS8_PS5_S9_mNS0_19identity_decomposerENS1_16block_id_wrapperIjLb0EEEEE10hipError_tT1_PNSt15iterator_traitsISE_E10value_typeET2_T3_PNSF_ISK_E10value_typeET4_T5_PSP_SQ_PNS1_23onesweep_lookback_stateEbbT6_jjT7_P12ihipStream_tbENKUlT_T0_SE_SJ_E_clIS8_S8_S9_S9_EEDaSX_SY_SE_SJ_EUlSX_E_NS1_11comp_targetILNS1_3genE3ELNS1_11target_archE908ELNS1_3gpuE7ELNS1_3repE0EEENS1_47radix_sort_onesweep_sort_config_static_selectorELNS0_4arch9wavefront6targetE1EEEvSE_
; %bb.0:
	.section	.rodata,"a",@progbits
	.p2align	6, 0x0
	.amdhsa_kernel _ZN7rocprim17ROCPRIM_400000_NS6detail17trampoline_kernelINS0_14default_configENS1_35radix_sort_onesweep_config_selectorIlNS0_10empty_typeEEEZZNS1_29radix_sort_onesweep_iterationIS3_Lb0EPlS8_PS5_S9_mNS0_19identity_decomposerENS1_16block_id_wrapperIjLb0EEEEE10hipError_tT1_PNSt15iterator_traitsISE_E10value_typeET2_T3_PNSF_ISK_E10value_typeET4_T5_PSP_SQ_PNS1_23onesweep_lookback_stateEbbT6_jjT7_P12ihipStream_tbENKUlT_T0_SE_SJ_E_clIS8_S8_S9_S9_EEDaSX_SY_SE_SJ_EUlSX_E_NS1_11comp_targetILNS1_3genE3ELNS1_11target_archE908ELNS1_3gpuE7ELNS1_3repE0EEENS1_47radix_sort_onesweep_sort_config_static_selectorELNS0_4arch9wavefront6targetE1EEEvSE_
		.amdhsa_group_segment_fixed_size 0
		.amdhsa_private_segment_fixed_size 0
		.amdhsa_kernarg_size 88
		.amdhsa_user_sgpr_count 6
		.amdhsa_user_sgpr_private_segment_buffer 1
		.amdhsa_user_sgpr_dispatch_ptr 0
		.amdhsa_user_sgpr_queue_ptr 0
		.amdhsa_user_sgpr_kernarg_segment_ptr 1
		.amdhsa_user_sgpr_dispatch_id 0
		.amdhsa_user_sgpr_flat_scratch_init 0
		.amdhsa_user_sgpr_kernarg_preload_length 0
		.amdhsa_user_sgpr_kernarg_preload_offset 0
		.amdhsa_user_sgpr_private_segment_size 0
		.amdhsa_uses_dynamic_stack 0
		.amdhsa_system_sgpr_private_segment_wavefront_offset 0
		.amdhsa_system_sgpr_workgroup_id_x 1
		.amdhsa_system_sgpr_workgroup_id_y 0
		.amdhsa_system_sgpr_workgroup_id_z 0
		.amdhsa_system_sgpr_workgroup_info 0
		.amdhsa_system_vgpr_workitem_id 0
		.amdhsa_next_free_vgpr 1
		.amdhsa_next_free_sgpr 0
		.amdhsa_accum_offset 4
		.amdhsa_reserve_vcc 0
		.amdhsa_reserve_flat_scratch 0
		.amdhsa_float_round_mode_32 0
		.amdhsa_float_round_mode_16_64 0
		.amdhsa_float_denorm_mode_32 3
		.amdhsa_float_denorm_mode_16_64 3
		.amdhsa_dx10_clamp 1
		.amdhsa_ieee_mode 1
		.amdhsa_fp16_overflow 0
		.amdhsa_tg_split 0
		.amdhsa_exception_fp_ieee_invalid_op 0
		.amdhsa_exception_fp_denorm_src 0
		.amdhsa_exception_fp_ieee_div_zero 0
		.amdhsa_exception_fp_ieee_overflow 0
		.amdhsa_exception_fp_ieee_underflow 0
		.amdhsa_exception_fp_ieee_inexact 0
		.amdhsa_exception_int_div_zero 0
	.end_amdhsa_kernel
	.section	.text._ZN7rocprim17ROCPRIM_400000_NS6detail17trampoline_kernelINS0_14default_configENS1_35radix_sort_onesweep_config_selectorIlNS0_10empty_typeEEEZZNS1_29radix_sort_onesweep_iterationIS3_Lb0EPlS8_PS5_S9_mNS0_19identity_decomposerENS1_16block_id_wrapperIjLb0EEEEE10hipError_tT1_PNSt15iterator_traitsISE_E10value_typeET2_T3_PNSF_ISK_E10value_typeET4_T5_PSP_SQ_PNS1_23onesweep_lookback_stateEbbT6_jjT7_P12ihipStream_tbENKUlT_T0_SE_SJ_E_clIS8_S8_S9_S9_EEDaSX_SY_SE_SJ_EUlSX_E_NS1_11comp_targetILNS1_3genE3ELNS1_11target_archE908ELNS1_3gpuE7ELNS1_3repE0EEENS1_47radix_sort_onesweep_sort_config_static_selectorELNS0_4arch9wavefront6targetE1EEEvSE_,"axG",@progbits,_ZN7rocprim17ROCPRIM_400000_NS6detail17trampoline_kernelINS0_14default_configENS1_35radix_sort_onesweep_config_selectorIlNS0_10empty_typeEEEZZNS1_29radix_sort_onesweep_iterationIS3_Lb0EPlS8_PS5_S9_mNS0_19identity_decomposerENS1_16block_id_wrapperIjLb0EEEEE10hipError_tT1_PNSt15iterator_traitsISE_E10value_typeET2_T3_PNSF_ISK_E10value_typeET4_T5_PSP_SQ_PNS1_23onesweep_lookback_stateEbbT6_jjT7_P12ihipStream_tbENKUlT_T0_SE_SJ_E_clIS8_S8_S9_S9_EEDaSX_SY_SE_SJ_EUlSX_E_NS1_11comp_targetILNS1_3genE3ELNS1_11target_archE908ELNS1_3gpuE7ELNS1_3repE0EEENS1_47radix_sort_onesweep_sort_config_static_selectorELNS0_4arch9wavefront6targetE1EEEvSE_,comdat
.Lfunc_end884:
	.size	_ZN7rocprim17ROCPRIM_400000_NS6detail17trampoline_kernelINS0_14default_configENS1_35radix_sort_onesweep_config_selectorIlNS0_10empty_typeEEEZZNS1_29radix_sort_onesweep_iterationIS3_Lb0EPlS8_PS5_S9_mNS0_19identity_decomposerENS1_16block_id_wrapperIjLb0EEEEE10hipError_tT1_PNSt15iterator_traitsISE_E10value_typeET2_T3_PNSF_ISK_E10value_typeET4_T5_PSP_SQ_PNS1_23onesweep_lookback_stateEbbT6_jjT7_P12ihipStream_tbENKUlT_T0_SE_SJ_E_clIS8_S8_S9_S9_EEDaSX_SY_SE_SJ_EUlSX_E_NS1_11comp_targetILNS1_3genE3ELNS1_11target_archE908ELNS1_3gpuE7ELNS1_3repE0EEENS1_47radix_sort_onesweep_sort_config_static_selectorELNS0_4arch9wavefront6targetE1EEEvSE_, .Lfunc_end884-_ZN7rocprim17ROCPRIM_400000_NS6detail17trampoline_kernelINS0_14default_configENS1_35radix_sort_onesweep_config_selectorIlNS0_10empty_typeEEEZZNS1_29radix_sort_onesweep_iterationIS3_Lb0EPlS8_PS5_S9_mNS0_19identity_decomposerENS1_16block_id_wrapperIjLb0EEEEE10hipError_tT1_PNSt15iterator_traitsISE_E10value_typeET2_T3_PNSF_ISK_E10value_typeET4_T5_PSP_SQ_PNS1_23onesweep_lookback_stateEbbT6_jjT7_P12ihipStream_tbENKUlT_T0_SE_SJ_E_clIS8_S8_S9_S9_EEDaSX_SY_SE_SJ_EUlSX_E_NS1_11comp_targetILNS1_3genE3ELNS1_11target_archE908ELNS1_3gpuE7ELNS1_3repE0EEENS1_47radix_sort_onesweep_sort_config_static_selectorELNS0_4arch9wavefront6targetE1EEEvSE_
                                        ; -- End function
	.section	.AMDGPU.csdata,"",@progbits
; Kernel info:
; codeLenInByte = 0
; NumSgprs: 4
; NumVgprs: 0
; NumAgprs: 0
; TotalNumVgprs: 0
; ScratchSize: 0
; MemoryBound: 0
; FloatMode: 240
; IeeeMode: 1
; LDSByteSize: 0 bytes/workgroup (compile time only)
; SGPRBlocks: 0
; VGPRBlocks: 0
; NumSGPRsForWavesPerEU: 4
; NumVGPRsForWavesPerEU: 1
; AccumOffset: 4
; Occupancy: 8
; WaveLimiterHint : 0
; COMPUTE_PGM_RSRC2:SCRATCH_EN: 0
; COMPUTE_PGM_RSRC2:USER_SGPR: 6
; COMPUTE_PGM_RSRC2:TRAP_HANDLER: 0
; COMPUTE_PGM_RSRC2:TGID_X_EN: 1
; COMPUTE_PGM_RSRC2:TGID_Y_EN: 0
; COMPUTE_PGM_RSRC2:TGID_Z_EN: 0
; COMPUTE_PGM_RSRC2:TIDIG_COMP_CNT: 0
; COMPUTE_PGM_RSRC3_GFX90A:ACCUM_OFFSET: 0
; COMPUTE_PGM_RSRC3_GFX90A:TG_SPLIT: 0
	.section	.text._ZN7rocprim17ROCPRIM_400000_NS6detail17trampoline_kernelINS0_14default_configENS1_35radix_sort_onesweep_config_selectorIlNS0_10empty_typeEEEZZNS1_29radix_sort_onesweep_iterationIS3_Lb0EPlS8_PS5_S9_mNS0_19identity_decomposerENS1_16block_id_wrapperIjLb0EEEEE10hipError_tT1_PNSt15iterator_traitsISE_E10value_typeET2_T3_PNSF_ISK_E10value_typeET4_T5_PSP_SQ_PNS1_23onesweep_lookback_stateEbbT6_jjT7_P12ihipStream_tbENKUlT_T0_SE_SJ_E_clIS8_S8_S9_S9_EEDaSX_SY_SE_SJ_EUlSX_E_NS1_11comp_targetILNS1_3genE10ELNS1_11target_archE1201ELNS1_3gpuE5ELNS1_3repE0EEENS1_47radix_sort_onesweep_sort_config_static_selectorELNS0_4arch9wavefront6targetE1EEEvSE_,"axG",@progbits,_ZN7rocprim17ROCPRIM_400000_NS6detail17trampoline_kernelINS0_14default_configENS1_35radix_sort_onesweep_config_selectorIlNS0_10empty_typeEEEZZNS1_29radix_sort_onesweep_iterationIS3_Lb0EPlS8_PS5_S9_mNS0_19identity_decomposerENS1_16block_id_wrapperIjLb0EEEEE10hipError_tT1_PNSt15iterator_traitsISE_E10value_typeET2_T3_PNSF_ISK_E10value_typeET4_T5_PSP_SQ_PNS1_23onesweep_lookback_stateEbbT6_jjT7_P12ihipStream_tbENKUlT_T0_SE_SJ_E_clIS8_S8_S9_S9_EEDaSX_SY_SE_SJ_EUlSX_E_NS1_11comp_targetILNS1_3genE10ELNS1_11target_archE1201ELNS1_3gpuE5ELNS1_3repE0EEENS1_47radix_sort_onesweep_sort_config_static_selectorELNS0_4arch9wavefront6targetE1EEEvSE_,comdat
	.protected	_ZN7rocprim17ROCPRIM_400000_NS6detail17trampoline_kernelINS0_14default_configENS1_35radix_sort_onesweep_config_selectorIlNS0_10empty_typeEEEZZNS1_29radix_sort_onesweep_iterationIS3_Lb0EPlS8_PS5_S9_mNS0_19identity_decomposerENS1_16block_id_wrapperIjLb0EEEEE10hipError_tT1_PNSt15iterator_traitsISE_E10value_typeET2_T3_PNSF_ISK_E10value_typeET4_T5_PSP_SQ_PNS1_23onesweep_lookback_stateEbbT6_jjT7_P12ihipStream_tbENKUlT_T0_SE_SJ_E_clIS8_S8_S9_S9_EEDaSX_SY_SE_SJ_EUlSX_E_NS1_11comp_targetILNS1_3genE10ELNS1_11target_archE1201ELNS1_3gpuE5ELNS1_3repE0EEENS1_47radix_sort_onesweep_sort_config_static_selectorELNS0_4arch9wavefront6targetE1EEEvSE_ ; -- Begin function _ZN7rocprim17ROCPRIM_400000_NS6detail17trampoline_kernelINS0_14default_configENS1_35radix_sort_onesweep_config_selectorIlNS0_10empty_typeEEEZZNS1_29radix_sort_onesweep_iterationIS3_Lb0EPlS8_PS5_S9_mNS0_19identity_decomposerENS1_16block_id_wrapperIjLb0EEEEE10hipError_tT1_PNSt15iterator_traitsISE_E10value_typeET2_T3_PNSF_ISK_E10value_typeET4_T5_PSP_SQ_PNS1_23onesweep_lookback_stateEbbT6_jjT7_P12ihipStream_tbENKUlT_T0_SE_SJ_E_clIS8_S8_S9_S9_EEDaSX_SY_SE_SJ_EUlSX_E_NS1_11comp_targetILNS1_3genE10ELNS1_11target_archE1201ELNS1_3gpuE5ELNS1_3repE0EEENS1_47radix_sort_onesweep_sort_config_static_selectorELNS0_4arch9wavefront6targetE1EEEvSE_
	.globl	_ZN7rocprim17ROCPRIM_400000_NS6detail17trampoline_kernelINS0_14default_configENS1_35radix_sort_onesweep_config_selectorIlNS0_10empty_typeEEEZZNS1_29radix_sort_onesweep_iterationIS3_Lb0EPlS8_PS5_S9_mNS0_19identity_decomposerENS1_16block_id_wrapperIjLb0EEEEE10hipError_tT1_PNSt15iterator_traitsISE_E10value_typeET2_T3_PNSF_ISK_E10value_typeET4_T5_PSP_SQ_PNS1_23onesweep_lookback_stateEbbT6_jjT7_P12ihipStream_tbENKUlT_T0_SE_SJ_E_clIS8_S8_S9_S9_EEDaSX_SY_SE_SJ_EUlSX_E_NS1_11comp_targetILNS1_3genE10ELNS1_11target_archE1201ELNS1_3gpuE5ELNS1_3repE0EEENS1_47radix_sort_onesweep_sort_config_static_selectorELNS0_4arch9wavefront6targetE1EEEvSE_
	.p2align	8
	.type	_ZN7rocprim17ROCPRIM_400000_NS6detail17trampoline_kernelINS0_14default_configENS1_35radix_sort_onesweep_config_selectorIlNS0_10empty_typeEEEZZNS1_29radix_sort_onesweep_iterationIS3_Lb0EPlS8_PS5_S9_mNS0_19identity_decomposerENS1_16block_id_wrapperIjLb0EEEEE10hipError_tT1_PNSt15iterator_traitsISE_E10value_typeET2_T3_PNSF_ISK_E10value_typeET4_T5_PSP_SQ_PNS1_23onesweep_lookback_stateEbbT6_jjT7_P12ihipStream_tbENKUlT_T0_SE_SJ_E_clIS8_S8_S9_S9_EEDaSX_SY_SE_SJ_EUlSX_E_NS1_11comp_targetILNS1_3genE10ELNS1_11target_archE1201ELNS1_3gpuE5ELNS1_3repE0EEENS1_47radix_sort_onesweep_sort_config_static_selectorELNS0_4arch9wavefront6targetE1EEEvSE_,@function
_ZN7rocprim17ROCPRIM_400000_NS6detail17trampoline_kernelINS0_14default_configENS1_35radix_sort_onesweep_config_selectorIlNS0_10empty_typeEEEZZNS1_29radix_sort_onesweep_iterationIS3_Lb0EPlS8_PS5_S9_mNS0_19identity_decomposerENS1_16block_id_wrapperIjLb0EEEEE10hipError_tT1_PNSt15iterator_traitsISE_E10value_typeET2_T3_PNSF_ISK_E10value_typeET4_T5_PSP_SQ_PNS1_23onesweep_lookback_stateEbbT6_jjT7_P12ihipStream_tbENKUlT_T0_SE_SJ_E_clIS8_S8_S9_S9_EEDaSX_SY_SE_SJ_EUlSX_E_NS1_11comp_targetILNS1_3genE10ELNS1_11target_archE1201ELNS1_3gpuE5ELNS1_3repE0EEENS1_47radix_sort_onesweep_sort_config_static_selectorELNS0_4arch9wavefront6targetE1EEEvSE_: ; @_ZN7rocprim17ROCPRIM_400000_NS6detail17trampoline_kernelINS0_14default_configENS1_35radix_sort_onesweep_config_selectorIlNS0_10empty_typeEEEZZNS1_29radix_sort_onesweep_iterationIS3_Lb0EPlS8_PS5_S9_mNS0_19identity_decomposerENS1_16block_id_wrapperIjLb0EEEEE10hipError_tT1_PNSt15iterator_traitsISE_E10value_typeET2_T3_PNSF_ISK_E10value_typeET4_T5_PSP_SQ_PNS1_23onesweep_lookback_stateEbbT6_jjT7_P12ihipStream_tbENKUlT_T0_SE_SJ_E_clIS8_S8_S9_S9_EEDaSX_SY_SE_SJ_EUlSX_E_NS1_11comp_targetILNS1_3genE10ELNS1_11target_archE1201ELNS1_3gpuE5ELNS1_3repE0EEENS1_47radix_sort_onesweep_sort_config_static_selectorELNS0_4arch9wavefront6targetE1EEEvSE_
; %bb.0:
	.section	.rodata,"a",@progbits
	.p2align	6, 0x0
	.amdhsa_kernel _ZN7rocprim17ROCPRIM_400000_NS6detail17trampoline_kernelINS0_14default_configENS1_35radix_sort_onesweep_config_selectorIlNS0_10empty_typeEEEZZNS1_29radix_sort_onesweep_iterationIS3_Lb0EPlS8_PS5_S9_mNS0_19identity_decomposerENS1_16block_id_wrapperIjLb0EEEEE10hipError_tT1_PNSt15iterator_traitsISE_E10value_typeET2_T3_PNSF_ISK_E10value_typeET4_T5_PSP_SQ_PNS1_23onesweep_lookback_stateEbbT6_jjT7_P12ihipStream_tbENKUlT_T0_SE_SJ_E_clIS8_S8_S9_S9_EEDaSX_SY_SE_SJ_EUlSX_E_NS1_11comp_targetILNS1_3genE10ELNS1_11target_archE1201ELNS1_3gpuE5ELNS1_3repE0EEENS1_47radix_sort_onesweep_sort_config_static_selectorELNS0_4arch9wavefront6targetE1EEEvSE_
		.amdhsa_group_segment_fixed_size 0
		.amdhsa_private_segment_fixed_size 0
		.amdhsa_kernarg_size 88
		.amdhsa_user_sgpr_count 6
		.amdhsa_user_sgpr_private_segment_buffer 1
		.amdhsa_user_sgpr_dispatch_ptr 0
		.amdhsa_user_sgpr_queue_ptr 0
		.amdhsa_user_sgpr_kernarg_segment_ptr 1
		.amdhsa_user_sgpr_dispatch_id 0
		.amdhsa_user_sgpr_flat_scratch_init 0
		.amdhsa_user_sgpr_kernarg_preload_length 0
		.amdhsa_user_sgpr_kernarg_preload_offset 0
		.amdhsa_user_sgpr_private_segment_size 0
		.amdhsa_uses_dynamic_stack 0
		.amdhsa_system_sgpr_private_segment_wavefront_offset 0
		.amdhsa_system_sgpr_workgroup_id_x 1
		.amdhsa_system_sgpr_workgroup_id_y 0
		.amdhsa_system_sgpr_workgroup_id_z 0
		.amdhsa_system_sgpr_workgroup_info 0
		.amdhsa_system_vgpr_workitem_id 0
		.amdhsa_next_free_vgpr 1
		.amdhsa_next_free_sgpr 0
		.amdhsa_accum_offset 4
		.amdhsa_reserve_vcc 0
		.amdhsa_reserve_flat_scratch 0
		.amdhsa_float_round_mode_32 0
		.amdhsa_float_round_mode_16_64 0
		.amdhsa_float_denorm_mode_32 3
		.amdhsa_float_denorm_mode_16_64 3
		.amdhsa_dx10_clamp 1
		.amdhsa_ieee_mode 1
		.amdhsa_fp16_overflow 0
		.amdhsa_tg_split 0
		.amdhsa_exception_fp_ieee_invalid_op 0
		.amdhsa_exception_fp_denorm_src 0
		.amdhsa_exception_fp_ieee_div_zero 0
		.amdhsa_exception_fp_ieee_overflow 0
		.amdhsa_exception_fp_ieee_underflow 0
		.amdhsa_exception_fp_ieee_inexact 0
		.amdhsa_exception_int_div_zero 0
	.end_amdhsa_kernel
	.section	.text._ZN7rocprim17ROCPRIM_400000_NS6detail17trampoline_kernelINS0_14default_configENS1_35radix_sort_onesweep_config_selectorIlNS0_10empty_typeEEEZZNS1_29radix_sort_onesweep_iterationIS3_Lb0EPlS8_PS5_S9_mNS0_19identity_decomposerENS1_16block_id_wrapperIjLb0EEEEE10hipError_tT1_PNSt15iterator_traitsISE_E10value_typeET2_T3_PNSF_ISK_E10value_typeET4_T5_PSP_SQ_PNS1_23onesweep_lookback_stateEbbT6_jjT7_P12ihipStream_tbENKUlT_T0_SE_SJ_E_clIS8_S8_S9_S9_EEDaSX_SY_SE_SJ_EUlSX_E_NS1_11comp_targetILNS1_3genE10ELNS1_11target_archE1201ELNS1_3gpuE5ELNS1_3repE0EEENS1_47radix_sort_onesweep_sort_config_static_selectorELNS0_4arch9wavefront6targetE1EEEvSE_,"axG",@progbits,_ZN7rocprim17ROCPRIM_400000_NS6detail17trampoline_kernelINS0_14default_configENS1_35radix_sort_onesweep_config_selectorIlNS0_10empty_typeEEEZZNS1_29radix_sort_onesweep_iterationIS3_Lb0EPlS8_PS5_S9_mNS0_19identity_decomposerENS1_16block_id_wrapperIjLb0EEEEE10hipError_tT1_PNSt15iterator_traitsISE_E10value_typeET2_T3_PNSF_ISK_E10value_typeET4_T5_PSP_SQ_PNS1_23onesweep_lookback_stateEbbT6_jjT7_P12ihipStream_tbENKUlT_T0_SE_SJ_E_clIS8_S8_S9_S9_EEDaSX_SY_SE_SJ_EUlSX_E_NS1_11comp_targetILNS1_3genE10ELNS1_11target_archE1201ELNS1_3gpuE5ELNS1_3repE0EEENS1_47radix_sort_onesweep_sort_config_static_selectorELNS0_4arch9wavefront6targetE1EEEvSE_,comdat
.Lfunc_end885:
	.size	_ZN7rocprim17ROCPRIM_400000_NS6detail17trampoline_kernelINS0_14default_configENS1_35radix_sort_onesweep_config_selectorIlNS0_10empty_typeEEEZZNS1_29radix_sort_onesweep_iterationIS3_Lb0EPlS8_PS5_S9_mNS0_19identity_decomposerENS1_16block_id_wrapperIjLb0EEEEE10hipError_tT1_PNSt15iterator_traitsISE_E10value_typeET2_T3_PNSF_ISK_E10value_typeET4_T5_PSP_SQ_PNS1_23onesweep_lookback_stateEbbT6_jjT7_P12ihipStream_tbENKUlT_T0_SE_SJ_E_clIS8_S8_S9_S9_EEDaSX_SY_SE_SJ_EUlSX_E_NS1_11comp_targetILNS1_3genE10ELNS1_11target_archE1201ELNS1_3gpuE5ELNS1_3repE0EEENS1_47radix_sort_onesweep_sort_config_static_selectorELNS0_4arch9wavefront6targetE1EEEvSE_, .Lfunc_end885-_ZN7rocprim17ROCPRIM_400000_NS6detail17trampoline_kernelINS0_14default_configENS1_35radix_sort_onesweep_config_selectorIlNS0_10empty_typeEEEZZNS1_29radix_sort_onesweep_iterationIS3_Lb0EPlS8_PS5_S9_mNS0_19identity_decomposerENS1_16block_id_wrapperIjLb0EEEEE10hipError_tT1_PNSt15iterator_traitsISE_E10value_typeET2_T3_PNSF_ISK_E10value_typeET4_T5_PSP_SQ_PNS1_23onesweep_lookback_stateEbbT6_jjT7_P12ihipStream_tbENKUlT_T0_SE_SJ_E_clIS8_S8_S9_S9_EEDaSX_SY_SE_SJ_EUlSX_E_NS1_11comp_targetILNS1_3genE10ELNS1_11target_archE1201ELNS1_3gpuE5ELNS1_3repE0EEENS1_47radix_sort_onesweep_sort_config_static_selectorELNS0_4arch9wavefront6targetE1EEEvSE_
                                        ; -- End function
	.section	.AMDGPU.csdata,"",@progbits
; Kernel info:
; codeLenInByte = 0
; NumSgprs: 4
; NumVgprs: 0
; NumAgprs: 0
; TotalNumVgprs: 0
; ScratchSize: 0
; MemoryBound: 0
; FloatMode: 240
; IeeeMode: 1
; LDSByteSize: 0 bytes/workgroup (compile time only)
; SGPRBlocks: 0
; VGPRBlocks: 0
; NumSGPRsForWavesPerEU: 4
; NumVGPRsForWavesPerEU: 1
; AccumOffset: 4
; Occupancy: 8
; WaveLimiterHint : 0
; COMPUTE_PGM_RSRC2:SCRATCH_EN: 0
; COMPUTE_PGM_RSRC2:USER_SGPR: 6
; COMPUTE_PGM_RSRC2:TRAP_HANDLER: 0
; COMPUTE_PGM_RSRC2:TGID_X_EN: 1
; COMPUTE_PGM_RSRC2:TGID_Y_EN: 0
; COMPUTE_PGM_RSRC2:TGID_Z_EN: 0
; COMPUTE_PGM_RSRC2:TIDIG_COMP_CNT: 0
; COMPUTE_PGM_RSRC3_GFX90A:ACCUM_OFFSET: 0
; COMPUTE_PGM_RSRC3_GFX90A:TG_SPLIT: 0
	.section	.text._ZN7rocprim17ROCPRIM_400000_NS6detail17trampoline_kernelINS0_14default_configENS1_35radix_sort_onesweep_config_selectorIlNS0_10empty_typeEEEZZNS1_29radix_sort_onesweep_iterationIS3_Lb0EPlS8_PS5_S9_mNS0_19identity_decomposerENS1_16block_id_wrapperIjLb0EEEEE10hipError_tT1_PNSt15iterator_traitsISE_E10value_typeET2_T3_PNSF_ISK_E10value_typeET4_T5_PSP_SQ_PNS1_23onesweep_lookback_stateEbbT6_jjT7_P12ihipStream_tbENKUlT_T0_SE_SJ_E_clIS8_S8_S9_S9_EEDaSX_SY_SE_SJ_EUlSX_E_NS1_11comp_targetILNS1_3genE9ELNS1_11target_archE1100ELNS1_3gpuE3ELNS1_3repE0EEENS1_47radix_sort_onesweep_sort_config_static_selectorELNS0_4arch9wavefront6targetE1EEEvSE_,"axG",@progbits,_ZN7rocprim17ROCPRIM_400000_NS6detail17trampoline_kernelINS0_14default_configENS1_35radix_sort_onesweep_config_selectorIlNS0_10empty_typeEEEZZNS1_29radix_sort_onesweep_iterationIS3_Lb0EPlS8_PS5_S9_mNS0_19identity_decomposerENS1_16block_id_wrapperIjLb0EEEEE10hipError_tT1_PNSt15iterator_traitsISE_E10value_typeET2_T3_PNSF_ISK_E10value_typeET4_T5_PSP_SQ_PNS1_23onesweep_lookback_stateEbbT6_jjT7_P12ihipStream_tbENKUlT_T0_SE_SJ_E_clIS8_S8_S9_S9_EEDaSX_SY_SE_SJ_EUlSX_E_NS1_11comp_targetILNS1_3genE9ELNS1_11target_archE1100ELNS1_3gpuE3ELNS1_3repE0EEENS1_47radix_sort_onesweep_sort_config_static_selectorELNS0_4arch9wavefront6targetE1EEEvSE_,comdat
	.protected	_ZN7rocprim17ROCPRIM_400000_NS6detail17trampoline_kernelINS0_14default_configENS1_35radix_sort_onesweep_config_selectorIlNS0_10empty_typeEEEZZNS1_29radix_sort_onesweep_iterationIS3_Lb0EPlS8_PS5_S9_mNS0_19identity_decomposerENS1_16block_id_wrapperIjLb0EEEEE10hipError_tT1_PNSt15iterator_traitsISE_E10value_typeET2_T3_PNSF_ISK_E10value_typeET4_T5_PSP_SQ_PNS1_23onesweep_lookback_stateEbbT6_jjT7_P12ihipStream_tbENKUlT_T0_SE_SJ_E_clIS8_S8_S9_S9_EEDaSX_SY_SE_SJ_EUlSX_E_NS1_11comp_targetILNS1_3genE9ELNS1_11target_archE1100ELNS1_3gpuE3ELNS1_3repE0EEENS1_47radix_sort_onesweep_sort_config_static_selectorELNS0_4arch9wavefront6targetE1EEEvSE_ ; -- Begin function _ZN7rocprim17ROCPRIM_400000_NS6detail17trampoline_kernelINS0_14default_configENS1_35radix_sort_onesweep_config_selectorIlNS0_10empty_typeEEEZZNS1_29radix_sort_onesweep_iterationIS3_Lb0EPlS8_PS5_S9_mNS0_19identity_decomposerENS1_16block_id_wrapperIjLb0EEEEE10hipError_tT1_PNSt15iterator_traitsISE_E10value_typeET2_T3_PNSF_ISK_E10value_typeET4_T5_PSP_SQ_PNS1_23onesweep_lookback_stateEbbT6_jjT7_P12ihipStream_tbENKUlT_T0_SE_SJ_E_clIS8_S8_S9_S9_EEDaSX_SY_SE_SJ_EUlSX_E_NS1_11comp_targetILNS1_3genE9ELNS1_11target_archE1100ELNS1_3gpuE3ELNS1_3repE0EEENS1_47radix_sort_onesweep_sort_config_static_selectorELNS0_4arch9wavefront6targetE1EEEvSE_
	.globl	_ZN7rocprim17ROCPRIM_400000_NS6detail17trampoline_kernelINS0_14default_configENS1_35radix_sort_onesweep_config_selectorIlNS0_10empty_typeEEEZZNS1_29radix_sort_onesweep_iterationIS3_Lb0EPlS8_PS5_S9_mNS0_19identity_decomposerENS1_16block_id_wrapperIjLb0EEEEE10hipError_tT1_PNSt15iterator_traitsISE_E10value_typeET2_T3_PNSF_ISK_E10value_typeET4_T5_PSP_SQ_PNS1_23onesweep_lookback_stateEbbT6_jjT7_P12ihipStream_tbENKUlT_T0_SE_SJ_E_clIS8_S8_S9_S9_EEDaSX_SY_SE_SJ_EUlSX_E_NS1_11comp_targetILNS1_3genE9ELNS1_11target_archE1100ELNS1_3gpuE3ELNS1_3repE0EEENS1_47radix_sort_onesweep_sort_config_static_selectorELNS0_4arch9wavefront6targetE1EEEvSE_
	.p2align	8
	.type	_ZN7rocprim17ROCPRIM_400000_NS6detail17trampoline_kernelINS0_14default_configENS1_35radix_sort_onesweep_config_selectorIlNS0_10empty_typeEEEZZNS1_29radix_sort_onesweep_iterationIS3_Lb0EPlS8_PS5_S9_mNS0_19identity_decomposerENS1_16block_id_wrapperIjLb0EEEEE10hipError_tT1_PNSt15iterator_traitsISE_E10value_typeET2_T3_PNSF_ISK_E10value_typeET4_T5_PSP_SQ_PNS1_23onesweep_lookback_stateEbbT6_jjT7_P12ihipStream_tbENKUlT_T0_SE_SJ_E_clIS8_S8_S9_S9_EEDaSX_SY_SE_SJ_EUlSX_E_NS1_11comp_targetILNS1_3genE9ELNS1_11target_archE1100ELNS1_3gpuE3ELNS1_3repE0EEENS1_47radix_sort_onesweep_sort_config_static_selectorELNS0_4arch9wavefront6targetE1EEEvSE_,@function
_ZN7rocprim17ROCPRIM_400000_NS6detail17trampoline_kernelINS0_14default_configENS1_35radix_sort_onesweep_config_selectorIlNS0_10empty_typeEEEZZNS1_29radix_sort_onesweep_iterationIS3_Lb0EPlS8_PS5_S9_mNS0_19identity_decomposerENS1_16block_id_wrapperIjLb0EEEEE10hipError_tT1_PNSt15iterator_traitsISE_E10value_typeET2_T3_PNSF_ISK_E10value_typeET4_T5_PSP_SQ_PNS1_23onesweep_lookback_stateEbbT6_jjT7_P12ihipStream_tbENKUlT_T0_SE_SJ_E_clIS8_S8_S9_S9_EEDaSX_SY_SE_SJ_EUlSX_E_NS1_11comp_targetILNS1_3genE9ELNS1_11target_archE1100ELNS1_3gpuE3ELNS1_3repE0EEENS1_47radix_sort_onesweep_sort_config_static_selectorELNS0_4arch9wavefront6targetE1EEEvSE_: ; @_ZN7rocprim17ROCPRIM_400000_NS6detail17trampoline_kernelINS0_14default_configENS1_35radix_sort_onesweep_config_selectorIlNS0_10empty_typeEEEZZNS1_29radix_sort_onesweep_iterationIS3_Lb0EPlS8_PS5_S9_mNS0_19identity_decomposerENS1_16block_id_wrapperIjLb0EEEEE10hipError_tT1_PNSt15iterator_traitsISE_E10value_typeET2_T3_PNSF_ISK_E10value_typeET4_T5_PSP_SQ_PNS1_23onesweep_lookback_stateEbbT6_jjT7_P12ihipStream_tbENKUlT_T0_SE_SJ_E_clIS8_S8_S9_S9_EEDaSX_SY_SE_SJ_EUlSX_E_NS1_11comp_targetILNS1_3genE9ELNS1_11target_archE1100ELNS1_3gpuE3ELNS1_3repE0EEENS1_47radix_sort_onesweep_sort_config_static_selectorELNS0_4arch9wavefront6targetE1EEEvSE_
; %bb.0:
	.section	.rodata,"a",@progbits
	.p2align	6, 0x0
	.amdhsa_kernel _ZN7rocprim17ROCPRIM_400000_NS6detail17trampoline_kernelINS0_14default_configENS1_35radix_sort_onesweep_config_selectorIlNS0_10empty_typeEEEZZNS1_29radix_sort_onesweep_iterationIS3_Lb0EPlS8_PS5_S9_mNS0_19identity_decomposerENS1_16block_id_wrapperIjLb0EEEEE10hipError_tT1_PNSt15iterator_traitsISE_E10value_typeET2_T3_PNSF_ISK_E10value_typeET4_T5_PSP_SQ_PNS1_23onesweep_lookback_stateEbbT6_jjT7_P12ihipStream_tbENKUlT_T0_SE_SJ_E_clIS8_S8_S9_S9_EEDaSX_SY_SE_SJ_EUlSX_E_NS1_11comp_targetILNS1_3genE9ELNS1_11target_archE1100ELNS1_3gpuE3ELNS1_3repE0EEENS1_47radix_sort_onesweep_sort_config_static_selectorELNS0_4arch9wavefront6targetE1EEEvSE_
		.amdhsa_group_segment_fixed_size 0
		.amdhsa_private_segment_fixed_size 0
		.amdhsa_kernarg_size 88
		.amdhsa_user_sgpr_count 6
		.amdhsa_user_sgpr_private_segment_buffer 1
		.amdhsa_user_sgpr_dispatch_ptr 0
		.amdhsa_user_sgpr_queue_ptr 0
		.amdhsa_user_sgpr_kernarg_segment_ptr 1
		.amdhsa_user_sgpr_dispatch_id 0
		.amdhsa_user_sgpr_flat_scratch_init 0
		.amdhsa_user_sgpr_kernarg_preload_length 0
		.amdhsa_user_sgpr_kernarg_preload_offset 0
		.amdhsa_user_sgpr_private_segment_size 0
		.amdhsa_uses_dynamic_stack 0
		.amdhsa_system_sgpr_private_segment_wavefront_offset 0
		.amdhsa_system_sgpr_workgroup_id_x 1
		.amdhsa_system_sgpr_workgroup_id_y 0
		.amdhsa_system_sgpr_workgroup_id_z 0
		.amdhsa_system_sgpr_workgroup_info 0
		.amdhsa_system_vgpr_workitem_id 0
		.amdhsa_next_free_vgpr 1
		.amdhsa_next_free_sgpr 0
		.amdhsa_accum_offset 4
		.amdhsa_reserve_vcc 0
		.amdhsa_reserve_flat_scratch 0
		.amdhsa_float_round_mode_32 0
		.amdhsa_float_round_mode_16_64 0
		.amdhsa_float_denorm_mode_32 3
		.amdhsa_float_denorm_mode_16_64 3
		.amdhsa_dx10_clamp 1
		.amdhsa_ieee_mode 1
		.amdhsa_fp16_overflow 0
		.amdhsa_tg_split 0
		.amdhsa_exception_fp_ieee_invalid_op 0
		.amdhsa_exception_fp_denorm_src 0
		.amdhsa_exception_fp_ieee_div_zero 0
		.amdhsa_exception_fp_ieee_overflow 0
		.amdhsa_exception_fp_ieee_underflow 0
		.amdhsa_exception_fp_ieee_inexact 0
		.amdhsa_exception_int_div_zero 0
	.end_amdhsa_kernel
	.section	.text._ZN7rocprim17ROCPRIM_400000_NS6detail17trampoline_kernelINS0_14default_configENS1_35radix_sort_onesweep_config_selectorIlNS0_10empty_typeEEEZZNS1_29radix_sort_onesweep_iterationIS3_Lb0EPlS8_PS5_S9_mNS0_19identity_decomposerENS1_16block_id_wrapperIjLb0EEEEE10hipError_tT1_PNSt15iterator_traitsISE_E10value_typeET2_T3_PNSF_ISK_E10value_typeET4_T5_PSP_SQ_PNS1_23onesweep_lookback_stateEbbT6_jjT7_P12ihipStream_tbENKUlT_T0_SE_SJ_E_clIS8_S8_S9_S9_EEDaSX_SY_SE_SJ_EUlSX_E_NS1_11comp_targetILNS1_3genE9ELNS1_11target_archE1100ELNS1_3gpuE3ELNS1_3repE0EEENS1_47radix_sort_onesweep_sort_config_static_selectorELNS0_4arch9wavefront6targetE1EEEvSE_,"axG",@progbits,_ZN7rocprim17ROCPRIM_400000_NS6detail17trampoline_kernelINS0_14default_configENS1_35radix_sort_onesweep_config_selectorIlNS0_10empty_typeEEEZZNS1_29radix_sort_onesweep_iterationIS3_Lb0EPlS8_PS5_S9_mNS0_19identity_decomposerENS1_16block_id_wrapperIjLb0EEEEE10hipError_tT1_PNSt15iterator_traitsISE_E10value_typeET2_T3_PNSF_ISK_E10value_typeET4_T5_PSP_SQ_PNS1_23onesweep_lookback_stateEbbT6_jjT7_P12ihipStream_tbENKUlT_T0_SE_SJ_E_clIS8_S8_S9_S9_EEDaSX_SY_SE_SJ_EUlSX_E_NS1_11comp_targetILNS1_3genE9ELNS1_11target_archE1100ELNS1_3gpuE3ELNS1_3repE0EEENS1_47radix_sort_onesweep_sort_config_static_selectorELNS0_4arch9wavefront6targetE1EEEvSE_,comdat
.Lfunc_end886:
	.size	_ZN7rocprim17ROCPRIM_400000_NS6detail17trampoline_kernelINS0_14default_configENS1_35radix_sort_onesweep_config_selectorIlNS0_10empty_typeEEEZZNS1_29radix_sort_onesweep_iterationIS3_Lb0EPlS8_PS5_S9_mNS0_19identity_decomposerENS1_16block_id_wrapperIjLb0EEEEE10hipError_tT1_PNSt15iterator_traitsISE_E10value_typeET2_T3_PNSF_ISK_E10value_typeET4_T5_PSP_SQ_PNS1_23onesweep_lookback_stateEbbT6_jjT7_P12ihipStream_tbENKUlT_T0_SE_SJ_E_clIS8_S8_S9_S9_EEDaSX_SY_SE_SJ_EUlSX_E_NS1_11comp_targetILNS1_3genE9ELNS1_11target_archE1100ELNS1_3gpuE3ELNS1_3repE0EEENS1_47radix_sort_onesweep_sort_config_static_selectorELNS0_4arch9wavefront6targetE1EEEvSE_, .Lfunc_end886-_ZN7rocprim17ROCPRIM_400000_NS6detail17trampoline_kernelINS0_14default_configENS1_35radix_sort_onesweep_config_selectorIlNS0_10empty_typeEEEZZNS1_29radix_sort_onesweep_iterationIS3_Lb0EPlS8_PS5_S9_mNS0_19identity_decomposerENS1_16block_id_wrapperIjLb0EEEEE10hipError_tT1_PNSt15iterator_traitsISE_E10value_typeET2_T3_PNSF_ISK_E10value_typeET4_T5_PSP_SQ_PNS1_23onesweep_lookback_stateEbbT6_jjT7_P12ihipStream_tbENKUlT_T0_SE_SJ_E_clIS8_S8_S9_S9_EEDaSX_SY_SE_SJ_EUlSX_E_NS1_11comp_targetILNS1_3genE9ELNS1_11target_archE1100ELNS1_3gpuE3ELNS1_3repE0EEENS1_47radix_sort_onesweep_sort_config_static_selectorELNS0_4arch9wavefront6targetE1EEEvSE_
                                        ; -- End function
	.section	.AMDGPU.csdata,"",@progbits
; Kernel info:
; codeLenInByte = 0
; NumSgprs: 4
; NumVgprs: 0
; NumAgprs: 0
; TotalNumVgprs: 0
; ScratchSize: 0
; MemoryBound: 0
; FloatMode: 240
; IeeeMode: 1
; LDSByteSize: 0 bytes/workgroup (compile time only)
; SGPRBlocks: 0
; VGPRBlocks: 0
; NumSGPRsForWavesPerEU: 4
; NumVGPRsForWavesPerEU: 1
; AccumOffset: 4
; Occupancy: 8
; WaveLimiterHint : 0
; COMPUTE_PGM_RSRC2:SCRATCH_EN: 0
; COMPUTE_PGM_RSRC2:USER_SGPR: 6
; COMPUTE_PGM_RSRC2:TRAP_HANDLER: 0
; COMPUTE_PGM_RSRC2:TGID_X_EN: 1
; COMPUTE_PGM_RSRC2:TGID_Y_EN: 0
; COMPUTE_PGM_RSRC2:TGID_Z_EN: 0
; COMPUTE_PGM_RSRC2:TIDIG_COMP_CNT: 0
; COMPUTE_PGM_RSRC3_GFX90A:ACCUM_OFFSET: 0
; COMPUTE_PGM_RSRC3_GFX90A:TG_SPLIT: 0
	.section	.text._ZN7rocprim17ROCPRIM_400000_NS6detail17trampoline_kernelINS0_14default_configENS1_35radix_sort_onesweep_config_selectorIlNS0_10empty_typeEEEZZNS1_29radix_sort_onesweep_iterationIS3_Lb0EPlS8_PS5_S9_mNS0_19identity_decomposerENS1_16block_id_wrapperIjLb0EEEEE10hipError_tT1_PNSt15iterator_traitsISE_E10value_typeET2_T3_PNSF_ISK_E10value_typeET4_T5_PSP_SQ_PNS1_23onesweep_lookback_stateEbbT6_jjT7_P12ihipStream_tbENKUlT_T0_SE_SJ_E_clIS8_S8_S9_S9_EEDaSX_SY_SE_SJ_EUlSX_E_NS1_11comp_targetILNS1_3genE8ELNS1_11target_archE1030ELNS1_3gpuE2ELNS1_3repE0EEENS1_47radix_sort_onesweep_sort_config_static_selectorELNS0_4arch9wavefront6targetE1EEEvSE_,"axG",@progbits,_ZN7rocprim17ROCPRIM_400000_NS6detail17trampoline_kernelINS0_14default_configENS1_35radix_sort_onesweep_config_selectorIlNS0_10empty_typeEEEZZNS1_29radix_sort_onesweep_iterationIS3_Lb0EPlS8_PS5_S9_mNS0_19identity_decomposerENS1_16block_id_wrapperIjLb0EEEEE10hipError_tT1_PNSt15iterator_traitsISE_E10value_typeET2_T3_PNSF_ISK_E10value_typeET4_T5_PSP_SQ_PNS1_23onesweep_lookback_stateEbbT6_jjT7_P12ihipStream_tbENKUlT_T0_SE_SJ_E_clIS8_S8_S9_S9_EEDaSX_SY_SE_SJ_EUlSX_E_NS1_11comp_targetILNS1_3genE8ELNS1_11target_archE1030ELNS1_3gpuE2ELNS1_3repE0EEENS1_47radix_sort_onesweep_sort_config_static_selectorELNS0_4arch9wavefront6targetE1EEEvSE_,comdat
	.protected	_ZN7rocprim17ROCPRIM_400000_NS6detail17trampoline_kernelINS0_14default_configENS1_35radix_sort_onesweep_config_selectorIlNS0_10empty_typeEEEZZNS1_29radix_sort_onesweep_iterationIS3_Lb0EPlS8_PS5_S9_mNS0_19identity_decomposerENS1_16block_id_wrapperIjLb0EEEEE10hipError_tT1_PNSt15iterator_traitsISE_E10value_typeET2_T3_PNSF_ISK_E10value_typeET4_T5_PSP_SQ_PNS1_23onesweep_lookback_stateEbbT6_jjT7_P12ihipStream_tbENKUlT_T0_SE_SJ_E_clIS8_S8_S9_S9_EEDaSX_SY_SE_SJ_EUlSX_E_NS1_11comp_targetILNS1_3genE8ELNS1_11target_archE1030ELNS1_3gpuE2ELNS1_3repE0EEENS1_47radix_sort_onesweep_sort_config_static_selectorELNS0_4arch9wavefront6targetE1EEEvSE_ ; -- Begin function _ZN7rocprim17ROCPRIM_400000_NS6detail17trampoline_kernelINS0_14default_configENS1_35radix_sort_onesweep_config_selectorIlNS0_10empty_typeEEEZZNS1_29radix_sort_onesweep_iterationIS3_Lb0EPlS8_PS5_S9_mNS0_19identity_decomposerENS1_16block_id_wrapperIjLb0EEEEE10hipError_tT1_PNSt15iterator_traitsISE_E10value_typeET2_T3_PNSF_ISK_E10value_typeET4_T5_PSP_SQ_PNS1_23onesweep_lookback_stateEbbT6_jjT7_P12ihipStream_tbENKUlT_T0_SE_SJ_E_clIS8_S8_S9_S9_EEDaSX_SY_SE_SJ_EUlSX_E_NS1_11comp_targetILNS1_3genE8ELNS1_11target_archE1030ELNS1_3gpuE2ELNS1_3repE0EEENS1_47radix_sort_onesweep_sort_config_static_selectorELNS0_4arch9wavefront6targetE1EEEvSE_
	.globl	_ZN7rocprim17ROCPRIM_400000_NS6detail17trampoline_kernelINS0_14default_configENS1_35radix_sort_onesweep_config_selectorIlNS0_10empty_typeEEEZZNS1_29radix_sort_onesweep_iterationIS3_Lb0EPlS8_PS5_S9_mNS0_19identity_decomposerENS1_16block_id_wrapperIjLb0EEEEE10hipError_tT1_PNSt15iterator_traitsISE_E10value_typeET2_T3_PNSF_ISK_E10value_typeET4_T5_PSP_SQ_PNS1_23onesweep_lookback_stateEbbT6_jjT7_P12ihipStream_tbENKUlT_T0_SE_SJ_E_clIS8_S8_S9_S9_EEDaSX_SY_SE_SJ_EUlSX_E_NS1_11comp_targetILNS1_3genE8ELNS1_11target_archE1030ELNS1_3gpuE2ELNS1_3repE0EEENS1_47radix_sort_onesweep_sort_config_static_selectorELNS0_4arch9wavefront6targetE1EEEvSE_
	.p2align	8
	.type	_ZN7rocprim17ROCPRIM_400000_NS6detail17trampoline_kernelINS0_14default_configENS1_35radix_sort_onesweep_config_selectorIlNS0_10empty_typeEEEZZNS1_29radix_sort_onesweep_iterationIS3_Lb0EPlS8_PS5_S9_mNS0_19identity_decomposerENS1_16block_id_wrapperIjLb0EEEEE10hipError_tT1_PNSt15iterator_traitsISE_E10value_typeET2_T3_PNSF_ISK_E10value_typeET4_T5_PSP_SQ_PNS1_23onesweep_lookback_stateEbbT6_jjT7_P12ihipStream_tbENKUlT_T0_SE_SJ_E_clIS8_S8_S9_S9_EEDaSX_SY_SE_SJ_EUlSX_E_NS1_11comp_targetILNS1_3genE8ELNS1_11target_archE1030ELNS1_3gpuE2ELNS1_3repE0EEENS1_47radix_sort_onesweep_sort_config_static_selectorELNS0_4arch9wavefront6targetE1EEEvSE_,@function
_ZN7rocprim17ROCPRIM_400000_NS6detail17trampoline_kernelINS0_14default_configENS1_35radix_sort_onesweep_config_selectorIlNS0_10empty_typeEEEZZNS1_29radix_sort_onesweep_iterationIS3_Lb0EPlS8_PS5_S9_mNS0_19identity_decomposerENS1_16block_id_wrapperIjLb0EEEEE10hipError_tT1_PNSt15iterator_traitsISE_E10value_typeET2_T3_PNSF_ISK_E10value_typeET4_T5_PSP_SQ_PNS1_23onesweep_lookback_stateEbbT6_jjT7_P12ihipStream_tbENKUlT_T0_SE_SJ_E_clIS8_S8_S9_S9_EEDaSX_SY_SE_SJ_EUlSX_E_NS1_11comp_targetILNS1_3genE8ELNS1_11target_archE1030ELNS1_3gpuE2ELNS1_3repE0EEENS1_47radix_sort_onesweep_sort_config_static_selectorELNS0_4arch9wavefront6targetE1EEEvSE_: ; @_ZN7rocprim17ROCPRIM_400000_NS6detail17trampoline_kernelINS0_14default_configENS1_35radix_sort_onesweep_config_selectorIlNS0_10empty_typeEEEZZNS1_29radix_sort_onesweep_iterationIS3_Lb0EPlS8_PS5_S9_mNS0_19identity_decomposerENS1_16block_id_wrapperIjLb0EEEEE10hipError_tT1_PNSt15iterator_traitsISE_E10value_typeET2_T3_PNSF_ISK_E10value_typeET4_T5_PSP_SQ_PNS1_23onesweep_lookback_stateEbbT6_jjT7_P12ihipStream_tbENKUlT_T0_SE_SJ_E_clIS8_S8_S9_S9_EEDaSX_SY_SE_SJ_EUlSX_E_NS1_11comp_targetILNS1_3genE8ELNS1_11target_archE1030ELNS1_3gpuE2ELNS1_3repE0EEENS1_47radix_sort_onesweep_sort_config_static_selectorELNS0_4arch9wavefront6targetE1EEEvSE_
; %bb.0:
	.section	.rodata,"a",@progbits
	.p2align	6, 0x0
	.amdhsa_kernel _ZN7rocprim17ROCPRIM_400000_NS6detail17trampoline_kernelINS0_14default_configENS1_35radix_sort_onesweep_config_selectorIlNS0_10empty_typeEEEZZNS1_29radix_sort_onesweep_iterationIS3_Lb0EPlS8_PS5_S9_mNS0_19identity_decomposerENS1_16block_id_wrapperIjLb0EEEEE10hipError_tT1_PNSt15iterator_traitsISE_E10value_typeET2_T3_PNSF_ISK_E10value_typeET4_T5_PSP_SQ_PNS1_23onesweep_lookback_stateEbbT6_jjT7_P12ihipStream_tbENKUlT_T0_SE_SJ_E_clIS8_S8_S9_S9_EEDaSX_SY_SE_SJ_EUlSX_E_NS1_11comp_targetILNS1_3genE8ELNS1_11target_archE1030ELNS1_3gpuE2ELNS1_3repE0EEENS1_47radix_sort_onesweep_sort_config_static_selectorELNS0_4arch9wavefront6targetE1EEEvSE_
		.amdhsa_group_segment_fixed_size 0
		.amdhsa_private_segment_fixed_size 0
		.amdhsa_kernarg_size 88
		.amdhsa_user_sgpr_count 6
		.amdhsa_user_sgpr_private_segment_buffer 1
		.amdhsa_user_sgpr_dispatch_ptr 0
		.amdhsa_user_sgpr_queue_ptr 0
		.amdhsa_user_sgpr_kernarg_segment_ptr 1
		.amdhsa_user_sgpr_dispatch_id 0
		.amdhsa_user_sgpr_flat_scratch_init 0
		.amdhsa_user_sgpr_kernarg_preload_length 0
		.amdhsa_user_sgpr_kernarg_preload_offset 0
		.amdhsa_user_sgpr_private_segment_size 0
		.amdhsa_uses_dynamic_stack 0
		.amdhsa_system_sgpr_private_segment_wavefront_offset 0
		.amdhsa_system_sgpr_workgroup_id_x 1
		.amdhsa_system_sgpr_workgroup_id_y 0
		.amdhsa_system_sgpr_workgroup_id_z 0
		.amdhsa_system_sgpr_workgroup_info 0
		.amdhsa_system_vgpr_workitem_id 0
		.amdhsa_next_free_vgpr 1
		.amdhsa_next_free_sgpr 0
		.amdhsa_accum_offset 4
		.amdhsa_reserve_vcc 0
		.amdhsa_reserve_flat_scratch 0
		.amdhsa_float_round_mode_32 0
		.amdhsa_float_round_mode_16_64 0
		.amdhsa_float_denorm_mode_32 3
		.amdhsa_float_denorm_mode_16_64 3
		.amdhsa_dx10_clamp 1
		.amdhsa_ieee_mode 1
		.amdhsa_fp16_overflow 0
		.amdhsa_tg_split 0
		.amdhsa_exception_fp_ieee_invalid_op 0
		.amdhsa_exception_fp_denorm_src 0
		.amdhsa_exception_fp_ieee_div_zero 0
		.amdhsa_exception_fp_ieee_overflow 0
		.amdhsa_exception_fp_ieee_underflow 0
		.amdhsa_exception_fp_ieee_inexact 0
		.amdhsa_exception_int_div_zero 0
	.end_amdhsa_kernel
	.section	.text._ZN7rocprim17ROCPRIM_400000_NS6detail17trampoline_kernelINS0_14default_configENS1_35radix_sort_onesweep_config_selectorIlNS0_10empty_typeEEEZZNS1_29radix_sort_onesweep_iterationIS3_Lb0EPlS8_PS5_S9_mNS0_19identity_decomposerENS1_16block_id_wrapperIjLb0EEEEE10hipError_tT1_PNSt15iterator_traitsISE_E10value_typeET2_T3_PNSF_ISK_E10value_typeET4_T5_PSP_SQ_PNS1_23onesweep_lookback_stateEbbT6_jjT7_P12ihipStream_tbENKUlT_T0_SE_SJ_E_clIS8_S8_S9_S9_EEDaSX_SY_SE_SJ_EUlSX_E_NS1_11comp_targetILNS1_3genE8ELNS1_11target_archE1030ELNS1_3gpuE2ELNS1_3repE0EEENS1_47radix_sort_onesweep_sort_config_static_selectorELNS0_4arch9wavefront6targetE1EEEvSE_,"axG",@progbits,_ZN7rocprim17ROCPRIM_400000_NS6detail17trampoline_kernelINS0_14default_configENS1_35radix_sort_onesweep_config_selectorIlNS0_10empty_typeEEEZZNS1_29radix_sort_onesweep_iterationIS3_Lb0EPlS8_PS5_S9_mNS0_19identity_decomposerENS1_16block_id_wrapperIjLb0EEEEE10hipError_tT1_PNSt15iterator_traitsISE_E10value_typeET2_T3_PNSF_ISK_E10value_typeET4_T5_PSP_SQ_PNS1_23onesweep_lookback_stateEbbT6_jjT7_P12ihipStream_tbENKUlT_T0_SE_SJ_E_clIS8_S8_S9_S9_EEDaSX_SY_SE_SJ_EUlSX_E_NS1_11comp_targetILNS1_3genE8ELNS1_11target_archE1030ELNS1_3gpuE2ELNS1_3repE0EEENS1_47radix_sort_onesweep_sort_config_static_selectorELNS0_4arch9wavefront6targetE1EEEvSE_,comdat
.Lfunc_end887:
	.size	_ZN7rocprim17ROCPRIM_400000_NS6detail17trampoline_kernelINS0_14default_configENS1_35radix_sort_onesweep_config_selectorIlNS0_10empty_typeEEEZZNS1_29radix_sort_onesweep_iterationIS3_Lb0EPlS8_PS5_S9_mNS0_19identity_decomposerENS1_16block_id_wrapperIjLb0EEEEE10hipError_tT1_PNSt15iterator_traitsISE_E10value_typeET2_T3_PNSF_ISK_E10value_typeET4_T5_PSP_SQ_PNS1_23onesweep_lookback_stateEbbT6_jjT7_P12ihipStream_tbENKUlT_T0_SE_SJ_E_clIS8_S8_S9_S9_EEDaSX_SY_SE_SJ_EUlSX_E_NS1_11comp_targetILNS1_3genE8ELNS1_11target_archE1030ELNS1_3gpuE2ELNS1_3repE0EEENS1_47radix_sort_onesweep_sort_config_static_selectorELNS0_4arch9wavefront6targetE1EEEvSE_, .Lfunc_end887-_ZN7rocprim17ROCPRIM_400000_NS6detail17trampoline_kernelINS0_14default_configENS1_35radix_sort_onesweep_config_selectorIlNS0_10empty_typeEEEZZNS1_29radix_sort_onesweep_iterationIS3_Lb0EPlS8_PS5_S9_mNS0_19identity_decomposerENS1_16block_id_wrapperIjLb0EEEEE10hipError_tT1_PNSt15iterator_traitsISE_E10value_typeET2_T3_PNSF_ISK_E10value_typeET4_T5_PSP_SQ_PNS1_23onesweep_lookback_stateEbbT6_jjT7_P12ihipStream_tbENKUlT_T0_SE_SJ_E_clIS8_S8_S9_S9_EEDaSX_SY_SE_SJ_EUlSX_E_NS1_11comp_targetILNS1_3genE8ELNS1_11target_archE1030ELNS1_3gpuE2ELNS1_3repE0EEENS1_47radix_sort_onesweep_sort_config_static_selectorELNS0_4arch9wavefront6targetE1EEEvSE_
                                        ; -- End function
	.section	.AMDGPU.csdata,"",@progbits
; Kernel info:
; codeLenInByte = 0
; NumSgprs: 4
; NumVgprs: 0
; NumAgprs: 0
; TotalNumVgprs: 0
; ScratchSize: 0
; MemoryBound: 0
; FloatMode: 240
; IeeeMode: 1
; LDSByteSize: 0 bytes/workgroup (compile time only)
; SGPRBlocks: 0
; VGPRBlocks: 0
; NumSGPRsForWavesPerEU: 4
; NumVGPRsForWavesPerEU: 1
; AccumOffset: 4
; Occupancy: 8
; WaveLimiterHint : 0
; COMPUTE_PGM_RSRC2:SCRATCH_EN: 0
; COMPUTE_PGM_RSRC2:USER_SGPR: 6
; COMPUTE_PGM_RSRC2:TRAP_HANDLER: 0
; COMPUTE_PGM_RSRC2:TGID_X_EN: 1
; COMPUTE_PGM_RSRC2:TGID_Y_EN: 0
; COMPUTE_PGM_RSRC2:TGID_Z_EN: 0
; COMPUTE_PGM_RSRC2:TIDIG_COMP_CNT: 0
; COMPUTE_PGM_RSRC3_GFX90A:ACCUM_OFFSET: 0
; COMPUTE_PGM_RSRC3_GFX90A:TG_SPLIT: 0
	.section	.text._ZN7rocprim17ROCPRIM_400000_NS6detail17trampoline_kernelINS0_13kernel_configILj256ELj4ELj4294967295EEENS1_37radix_sort_block_sort_config_selectorImNS0_10empty_typeEEEZNS1_21radix_sort_block_sortIS4_Lb0EPmS9_PS6_SA_NS0_19identity_decomposerEEE10hipError_tT1_T2_T3_T4_jRjT5_jjP12ihipStream_tbEUlT_E_NS1_11comp_targetILNS1_3genE0ELNS1_11target_archE4294967295ELNS1_3gpuE0ELNS1_3repE0EEENS1_44radix_sort_block_sort_config_static_selectorELNS0_4arch9wavefront6targetE1EEEvSD_,"axG",@progbits,_ZN7rocprim17ROCPRIM_400000_NS6detail17trampoline_kernelINS0_13kernel_configILj256ELj4ELj4294967295EEENS1_37radix_sort_block_sort_config_selectorImNS0_10empty_typeEEEZNS1_21radix_sort_block_sortIS4_Lb0EPmS9_PS6_SA_NS0_19identity_decomposerEEE10hipError_tT1_T2_T3_T4_jRjT5_jjP12ihipStream_tbEUlT_E_NS1_11comp_targetILNS1_3genE0ELNS1_11target_archE4294967295ELNS1_3gpuE0ELNS1_3repE0EEENS1_44radix_sort_block_sort_config_static_selectorELNS0_4arch9wavefront6targetE1EEEvSD_,comdat
	.protected	_ZN7rocprim17ROCPRIM_400000_NS6detail17trampoline_kernelINS0_13kernel_configILj256ELj4ELj4294967295EEENS1_37radix_sort_block_sort_config_selectorImNS0_10empty_typeEEEZNS1_21radix_sort_block_sortIS4_Lb0EPmS9_PS6_SA_NS0_19identity_decomposerEEE10hipError_tT1_T2_T3_T4_jRjT5_jjP12ihipStream_tbEUlT_E_NS1_11comp_targetILNS1_3genE0ELNS1_11target_archE4294967295ELNS1_3gpuE0ELNS1_3repE0EEENS1_44radix_sort_block_sort_config_static_selectorELNS0_4arch9wavefront6targetE1EEEvSD_ ; -- Begin function _ZN7rocprim17ROCPRIM_400000_NS6detail17trampoline_kernelINS0_13kernel_configILj256ELj4ELj4294967295EEENS1_37radix_sort_block_sort_config_selectorImNS0_10empty_typeEEEZNS1_21radix_sort_block_sortIS4_Lb0EPmS9_PS6_SA_NS0_19identity_decomposerEEE10hipError_tT1_T2_T3_T4_jRjT5_jjP12ihipStream_tbEUlT_E_NS1_11comp_targetILNS1_3genE0ELNS1_11target_archE4294967295ELNS1_3gpuE0ELNS1_3repE0EEENS1_44radix_sort_block_sort_config_static_selectorELNS0_4arch9wavefront6targetE1EEEvSD_
	.globl	_ZN7rocprim17ROCPRIM_400000_NS6detail17trampoline_kernelINS0_13kernel_configILj256ELj4ELj4294967295EEENS1_37radix_sort_block_sort_config_selectorImNS0_10empty_typeEEEZNS1_21radix_sort_block_sortIS4_Lb0EPmS9_PS6_SA_NS0_19identity_decomposerEEE10hipError_tT1_T2_T3_T4_jRjT5_jjP12ihipStream_tbEUlT_E_NS1_11comp_targetILNS1_3genE0ELNS1_11target_archE4294967295ELNS1_3gpuE0ELNS1_3repE0EEENS1_44radix_sort_block_sort_config_static_selectorELNS0_4arch9wavefront6targetE1EEEvSD_
	.p2align	8
	.type	_ZN7rocprim17ROCPRIM_400000_NS6detail17trampoline_kernelINS0_13kernel_configILj256ELj4ELj4294967295EEENS1_37radix_sort_block_sort_config_selectorImNS0_10empty_typeEEEZNS1_21radix_sort_block_sortIS4_Lb0EPmS9_PS6_SA_NS0_19identity_decomposerEEE10hipError_tT1_T2_T3_T4_jRjT5_jjP12ihipStream_tbEUlT_E_NS1_11comp_targetILNS1_3genE0ELNS1_11target_archE4294967295ELNS1_3gpuE0ELNS1_3repE0EEENS1_44radix_sort_block_sort_config_static_selectorELNS0_4arch9wavefront6targetE1EEEvSD_,@function
_ZN7rocprim17ROCPRIM_400000_NS6detail17trampoline_kernelINS0_13kernel_configILj256ELj4ELj4294967295EEENS1_37radix_sort_block_sort_config_selectorImNS0_10empty_typeEEEZNS1_21radix_sort_block_sortIS4_Lb0EPmS9_PS6_SA_NS0_19identity_decomposerEEE10hipError_tT1_T2_T3_T4_jRjT5_jjP12ihipStream_tbEUlT_E_NS1_11comp_targetILNS1_3genE0ELNS1_11target_archE4294967295ELNS1_3gpuE0ELNS1_3repE0EEENS1_44radix_sort_block_sort_config_static_selectorELNS0_4arch9wavefront6targetE1EEEvSD_: ; @_ZN7rocprim17ROCPRIM_400000_NS6detail17trampoline_kernelINS0_13kernel_configILj256ELj4ELj4294967295EEENS1_37radix_sort_block_sort_config_selectorImNS0_10empty_typeEEEZNS1_21radix_sort_block_sortIS4_Lb0EPmS9_PS6_SA_NS0_19identity_decomposerEEE10hipError_tT1_T2_T3_T4_jRjT5_jjP12ihipStream_tbEUlT_E_NS1_11comp_targetILNS1_3genE0ELNS1_11target_archE4294967295ELNS1_3gpuE0ELNS1_3repE0EEENS1_44radix_sort_block_sort_config_static_selectorELNS0_4arch9wavefront6targetE1EEEvSD_
; %bb.0:
	.section	.rodata,"a",@progbits
	.p2align	6, 0x0
	.amdhsa_kernel _ZN7rocprim17ROCPRIM_400000_NS6detail17trampoline_kernelINS0_13kernel_configILj256ELj4ELj4294967295EEENS1_37radix_sort_block_sort_config_selectorImNS0_10empty_typeEEEZNS1_21radix_sort_block_sortIS4_Lb0EPmS9_PS6_SA_NS0_19identity_decomposerEEE10hipError_tT1_T2_T3_T4_jRjT5_jjP12ihipStream_tbEUlT_E_NS1_11comp_targetILNS1_3genE0ELNS1_11target_archE4294967295ELNS1_3gpuE0ELNS1_3repE0EEENS1_44radix_sort_block_sort_config_static_selectorELNS0_4arch9wavefront6targetE1EEEvSD_
		.amdhsa_group_segment_fixed_size 0
		.amdhsa_private_segment_fixed_size 0
		.amdhsa_kernarg_size 48
		.amdhsa_user_sgpr_count 6
		.amdhsa_user_sgpr_private_segment_buffer 1
		.amdhsa_user_sgpr_dispatch_ptr 0
		.amdhsa_user_sgpr_queue_ptr 0
		.amdhsa_user_sgpr_kernarg_segment_ptr 1
		.amdhsa_user_sgpr_dispatch_id 0
		.amdhsa_user_sgpr_flat_scratch_init 0
		.amdhsa_user_sgpr_kernarg_preload_length 0
		.amdhsa_user_sgpr_kernarg_preload_offset 0
		.amdhsa_user_sgpr_private_segment_size 0
		.amdhsa_uses_dynamic_stack 0
		.amdhsa_system_sgpr_private_segment_wavefront_offset 0
		.amdhsa_system_sgpr_workgroup_id_x 1
		.amdhsa_system_sgpr_workgroup_id_y 0
		.amdhsa_system_sgpr_workgroup_id_z 0
		.amdhsa_system_sgpr_workgroup_info 0
		.amdhsa_system_vgpr_workitem_id 0
		.amdhsa_next_free_vgpr 1
		.amdhsa_next_free_sgpr 0
		.amdhsa_accum_offset 4
		.amdhsa_reserve_vcc 0
		.amdhsa_reserve_flat_scratch 0
		.amdhsa_float_round_mode_32 0
		.amdhsa_float_round_mode_16_64 0
		.amdhsa_float_denorm_mode_32 3
		.amdhsa_float_denorm_mode_16_64 3
		.amdhsa_dx10_clamp 1
		.amdhsa_ieee_mode 1
		.amdhsa_fp16_overflow 0
		.amdhsa_tg_split 0
		.amdhsa_exception_fp_ieee_invalid_op 0
		.amdhsa_exception_fp_denorm_src 0
		.amdhsa_exception_fp_ieee_div_zero 0
		.amdhsa_exception_fp_ieee_overflow 0
		.amdhsa_exception_fp_ieee_underflow 0
		.amdhsa_exception_fp_ieee_inexact 0
		.amdhsa_exception_int_div_zero 0
	.end_amdhsa_kernel
	.section	.text._ZN7rocprim17ROCPRIM_400000_NS6detail17trampoline_kernelINS0_13kernel_configILj256ELj4ELj4294967295EEENS1_37radix_sort_block_sort_config_selectorImNS0_10empty_typeEEEZNS1_21radix_sort_block_sortIS4_Lb0EPmS9_PS6_SA_NS0_19identity_decomposerEEE10hipError_tT1_T2_T3_T4_jRjT5_jjP12ihipStream_tbEUlT_E_NS1_11comp_targetILNS1_3genE0ELNS1_11target_archE4294967295ELNS1_3gpuE0ELNS1_3repE0EEENS1_44radix_sort_block_sort_config_static_selectorELNS0_4arch9wavefront6targetE1EEEvSD_,"axG",@progbits,_ZN7rocprim17ROCPRIM_400000_NS6detail17trampoline_kernelINS0_13kernel_configILj256ELj4ELj4294967295EEENS1_37radix_sort_block_sort_config_selectorImNS0_10empty_typeEEEZNS1_21radix_sort_block_sortIS4_Lb0EPmS9_PS6_SA_NS0_19identity_decomposerEEE10hipError_tT1_T2_T3_T4_jRjT5_jjP12ihipStream_tbEUlT_E_NS1_11comp_targetILNS1_3genE0ELNS1_11target_archE4294967295ELNS1_3gpuE0ELNS1_3repE0EEENS1_44radix_sort_block_sort_config_static_selectorELNS0_4arch9wavefront6targetE1EEEvSD_,comdat
.Lfunc_end888:
	.size	_ZN7rocprim17ROCPRIM_400000_NS6detail17trampoline_kernelINS0_13kernel_configILj256ELj4ELj4294967295EEENS1_37radix_sort_block_sort_config_selectorImNS0_10empty_typeEEEZNS1_21radix_sort_block_sortIS4_Lb0EPmS9_PS6_SA_NS0_19identity_decomposerEEE10hipError_tT1_T2_T3_T4_jRjT5_jjP12ihipStream_tbEUlT_E_NS1_11comp_targetILNS1_3genE0ELNS1_11target_archE4294967295ELNS1_3gpuE0ELNS1_3repE0EEENS1_44radix_sort_block_sort_config_static_selectorELNS0_4arch9wavefront6targetE1EEEvSD_, .Lfunc_end888-_ZN7rocprim17ROCPRIM_400000_NS6detail17trampoline_kernelINS0_13kernel_configILj256ELj4ELj4294967295EEENS1_37radix_sort_block_sort_config_selectorImNS0_10empty_typeEEEZNS1_21radix_sort_block_sortIS4_Lb0EPmS9_PS6_SA_NS0_19identity_decomposerEEE10hipError_tT1_T2_T3_T4_jRjT5_jjP12ihipStream_tbEUlT_E_NS1_11comp_targetILNS1_3genE0ELNS1_11target_archE4294967295ELNS1_3gpuE0ELNS1_3repE0EEENS1_44radix_sort_block_sort_config_static_selectorELNS0_4arch9wavefront6targetE1EEEvSD_
                                        ; -- End function
	.section	.AMDGPU.csdata,"",@progbits
; Kernel info:
; codeLenInByte = 0
; NumSgprs: 4
; NumVgprs: 0
; NumAgprs: 0
; TotalNumVgprs: 0
; ScratchSize: 0
; MemoryBound: 0
; FloatMode: 240
; IeeeMode: 1
; LDSByteSize: 0 bytes/workgroup (compile time only)
; SGPRBlocks: 0
; VGPRBlocks: 0
; NumSGPRsForWavesPerEU: 4
; NumVGPRsForWavesPerEU: 1
; AccumOffset: 4
; Occupancy: 8
; WaveLimiterHint : 0
; COMPUTE_PGM_RSRC2:SCRATCH_EN: 0
; COMPUTE_PGM_RSRC2:USER_SGPR: 6
; COMPUTE_PGM_RSRC2:TRAP_HANDLER: 0
; COMPUTE_PGM_RSRC2:TGID_X_EN: 1
; COMPUTE_PGM_RSRC2:TGID_Y_EN: 0
; COMPUTE_PGM_RSRC2:TGID_Z_EN: 0
; COMPUTE_PGM_RSRC2:TIDIG_COMP_CNT: 0
; COMPUTE_PGM_RSRC3_GFX90A:ACCUM_OFFSET: 0
; COMPUTE_PGM_RSRC3_GFX90A:TG_SPLIT: 0
	.section	.text._ZN7rocprim17ROCPRIM_400000_NS6detail17trampoline_kernelINS0_13kernel_configILj256ELj4ELj4294967295EEENS1_37radix_sort_block_sort_config_selectorImNS0_10empty_typeEEEZNS1_21radix_sort_block_sortIS4_Lb0EPmS9_PS6_SA_NS0_19identity_decomposerEEE10hipError_tT1_T2_T3_T4_jRjT5_jjP12ihipStream_tbEUlT_E_NS1_11comp_targetILNS1_3genE5ELNS1_11target_archE942ELNS1_3gpuE9ELNS1_3repE0EEENS1_44radix_sort_block_sort_config_static_selectorELNS0_4arch9wavefront6targetE1EEEvSD_,"axG",@progbits,_ZN7rocprim17ROCPRIM_400000_NS6detail17trampoline_kernelINS0_13kernel_configILj256ELj4ELj4294967295EEENS1_37radix_sort_block_sort_config_selectorImNS0_10empty_typeEEEZNS1_21radix_sort_block_sortIS4_Lb0EPmS9_PS6_SA_NS0_19identity_decomposerEEE10hipError_tT1_T2_T3_T4_jRjT5_jjP12ihipStream_tbEUlT_E_NS1_11comp_targetILNS1_3genE5ELNS1_11target_archE942ELNS1_3gpuE9ELNS1_3repE0EEENS1_44radix_sort_block_sort_config_static_selectorELNS0_4arch9wavefront6targetE1EEEvSD_,comdat
	.protected	_ZN7rocprim17ROCPRIM_400000_NS6detail17trampoline_kernelINS0_13kernel_configILj256ELj4ELj4294967295EEENS1_37radix_sort_block_sort_config_selectorImNS0_10empty_typeEEEZNS1_21radix_sort_block_sortIS4_Lb0EPmS9_PS6_SA_NS0_19identity_decomposerEEE10hipError_tT1_T2_T3_T4_jRjT5_jjP12ihipStream_tbEUlT_E_NS1_11comp_targetILNS1_3genE5ELNS1_11target_archE942ELNS1_3gpuE9ELNS1_3repE0EEENS1_44radix_sort_block_sort_config_static_selectorELNS0_4arch9wavefront6targetE1EEEvSD_ ; -- Begin function _ZN7rocprim17ROCPRIM_400000_NS6detail17trampoline_kernelINS0_13kernel_configILj256ELj4ELj4294967295EEENS1_37radix_sort_block_sort_config_selectorImNS0_10empty_typeEEEZNS1_21radix_sort_block_sortIS4_Lb0EPmS9_PS6_SA_NS0_19identity_decomposerEEE10hipError_tT1_T2_T3_T4_jRjT5_jjP12ihipStream_tbEUlT_E_NS1_11comp_targetILNS1_3genE5ELNS1_11target_archE942ELNS1_3gpuE9ELNS1_3repE0EEENS1_44radix_sort_block_sort_config_static_selectorELNS0_4arch9wavefront6targetE1EEEvSD_
	.globl	_ZN7rocprim17ROCPRIM_400000_NS6detail17trampoline_kernelINS0_13kernel_configILj256ELj4ELj4294967295EEENS1_37radix_sort_block_sort_config_selectorImNS0_10empty_typeEEEZNS1_21radix_sort_block_sortIS4_Lb0EPmS9_PS6_SA_NS0_19identity_decomposerEEE10hipError_tT1_T2_T3_T4_jRjT5_jjP12ihipStream_tbEUlT_E_NS1_11comp_targetILNS1_3genE5ELNS1_11target_archE942ELNS1_3gpuE9ELNS1_3repE0EEENS1_44radix_sort_block_sort_config_static_selectorELNS0_4arch9wavefront6targetE1EEEvSD_
	.p2align	8
	.type	_ZN7rocprim17ROCPRIM_400000_NS6detail17trampoline_kernelINS0_13kernel_configILj256ELj4ELj4294967295EEENS1_37radix_sort_block_sort_config_selectorImNS0_10empty_typeEEEZNS1_21radix_sort_block_sortIS4_Lb0EPmS9_PS6_SA_NS0_19identity_decomposerEEE10hipError_tT1_T2_T3_T4_jRjT5_jjP12ihipStream_tbEUlT_E_NS1_11comp_targetILNS1_3genE5ELNS1_11target_archE942ELNS1_3gpuE9ELNS1_3repE0EEENS1_44radix_sort_block_sort_config_static_selectorELNS0_4arch9wavefront6targetE1EEEvSD_,@function
_ZN7rocprim17ROCPRIM_400000_NS6detail17trampoline_kernelINS0_13kernel_configILj256ELj4ELj4294967295EEENS1_37radix_sort_block_sort_config_selectorImNS0_10empty_typeEEEZNS1_21radix_sort_block_sortIS4_Lb0EPmS9_PS6_SA_NS0_19identity_decomposerEEE10hipError_tT1_T2_T3_T4_jRjT5_jjP12ihipStream_tbEUlT_E_NS1_11comp_targetILNS1_3genE5ELNS1_11target_archE942ELNS1_3gpuE9ELNS1_3repE0EEENS1_44radix_sort_block_sort_config_static_selectorELNS0_4arch9wavefront6targetE1EEEvSD_: ; @_ZN7rocprim17ROCPRIM_400000_NS6detail17trampoline_kernelINS0_13kernel_configILj256ELj4ELj4294967295EEENS1_37radix_sort_block_sort_config_selectorImNS0_10empty_typeEEEZNS1_21radix_sort_block_sortIS4_Lb0EPmS9_PS6_SA_NS0_19identity_decomposerEEE10hipError_tT1_T2_T3_T4_jRjT5_jjP12ihipStream_tbEUlT_E_NS1_11comp_targetILNS1_3genE5ELNS1_11target_archE942ELNS1_3gpuE9ELNS1_3repE0EEENS1_44radix_sort_block_sort_config_static_selectorELNS0_4arch9wavefront6targetE1EEEvSD_
; %bb.0:
	.section	.rodata,"a",@progbits
	.p2align	6, 0x0
	.amdhsa_kernel _ZN7rocprim17ROCPRIM_400000_NS6detail17trampoline_kernelINS0_13kernel_configILj256ELj4ELj4294967295EEENS1_37radix_sort_block_sort_config_selectorImNS0_10empty_typeEEEZNS1_21radix_sort_block_sortIS4_Lb0EPmS9_PS6_SA_NS0_19identity_decomposerEEE10hipError_tT1_T2_T3_T4_jRjT5_jjP12ihipStream_tbEUlT_E_NS1_11comp_targetILNS1_3genE5ELNS1_11target_archE942ELNS1_3gpuE9ELNS1_3repE0EEENS1_44radix_sort_block_sort_config_static_selectorELNS0_4arch9wavefront6targetE1EEEvSD_
		.amdhsa_group_segment_fixed_size 0
		.amdhsa_private_segment_fixed_size 0
		.amdhsa_kernarg_size 48
		.amdhsa_user_sgpr_count 6
		.amdhsa_user_sgpr_private_segment_buffer 1
		.amdhsa_user_sgpr_dispatch_ptr 0
		.amdhsa_user_sgpr_queue_ptr 0
		.amdhsa_user_sgpr_kernarg_segment_ptr 1
		.amdhsa_user_sgpr_dispatch_id 0
		.amdhsa_user_sgpr_flat_scratch_init 0
		.amdhsa_user_sgpr_kernarg_preload_length 0
		.amdhsa_user_sgpr_kernarg_preload_offset 0
		.amdhsa_user_sgpr_private_segment_size 0
		.amdhsa_uses_dynamic_stack 0
		.amdhsa_system_sgpr_private_segment_wavefront_offset 0
		.amdhsa_system_sgpr_workgroup_id_x 1
		.amdhsa_system_sgpr_workgroup_id_y 0
		.amdhsa_system_sgpr_workgroup_id_z 0
		.amdhsa_system_sgpr_workgroup_info 0
		.amdhsa_system_vgpr_workitem_id 0
		.amdhsa_next_free_vgpr 1
		.amdhsa_next_free_sgpr 0
		.amdhsa_accum_offset 4
		.amdhsa_reserve_vcc 0
		.amdhsa_reserve_flat_scratch 0
		.amdhsa_float_round_mode_32 0
		.amdhsa_float_round_mode_16_64 0
		.amdhsa_float_denorm_mode_32 3
		.amdhsa_float_denorm_mode_16_64 3
		.amdhsa_dx10_clamp 1
		.amdhsa_ieee_mode 1
		.amdhsa_fp16_overflow 0
		.amdhsa_tg_split 0
		.amdhsa_exception_fp_ieee_invalid_op 0
		.amdhsa_exception_fp_denorm_src 0
		.amdhsa_exception_fp_ieee_div_zero 0
		.amdhsa_exception_fp_ieee_overflow 0
		.amdhsa_exception_fp_ieee_underflow 0
		.amdhsa_exception_fp_ieee_inexact 0
		.amdhsa_exception_int_div_zero 0
	.end_amdhsa_kernel
	.section	.text._ZN7rocprim17ROCPRIM_400000_NS6detail17trampoline_kernelINS0_13kernel_configILj256ELj4ELj4294967295EEENS1_37radix_sort_block_sort_config_selectorImNS0_10empty_typeEEEZNS1_21radix_sort_block_sortIS4_Lb0EPmS9_PS6_SA_NS0_19identity_decomposerEEE10hipError_tT1_T2_T3_T4_jRjT5_jjP12ihipStream_tbEUlT_E_NS1_11comp_targetILNS1_3genE5ELNS1_11target_archE942ELNS1_3gpuE9ELNS1_3repE0EEENS1_44radix_sort_block_sort_config_static_selectorELNS0_4arch9wavefront6targetE1EEEvSD_,"axG",@progbits,_ZN7rocprim17ROCPRIM_400000_NS6detail17trampoline_kernelINS0_13kernel_configILj256ELj4ELj4294967295EEENS1_37radix_sort_block_sort_config_selectorImNS0_10empty_typeEEEZNS1_21radix_sort_block_sortIS4_Lb0EPmS9_PS6_SA_NS0_19identity_decomposerEEE10hipError_tT1_T2_T3_T4_jRjT5_jjP12ihipStream_tbEUlT_E_NS1_11comp_targetILNS1_3genE5ELNS1_11target_archE942ELNS1_3gpuE9ELNS1_3repE0EEENS1_44radix_sort_block_sort_config_static_selectorELNS0_4arch9wavefront6targetE1EEEvSD_,comdat
.Lfunc_end889:
	.size	_ZN7rocprim17ROCPRIM_400000_NS6detail17trampoline_kernelINS0_13kernel_configILj256ELj4ELj4294967295EEENS1_37radix_sort_block_sort_config_selectorImNS0_10empty_typeEEEZNS1_21radix_sort_block_sortIS4_Lb0EPmS9_PS6_SA_NS0_19identity_decomposerEEE10hipError_tT1_T2_T3_T4_jRjT5_jjP12ihipStream_tbEUlT_E_NS1_11comp_targetILNS1_3genE5ELNS1_11target_archE942ELNS1_3gpuE9ELNS1_3repE0EEENS1_44radix_sort_block_sort_config_static_selectorELNS0_4arch9wavefront6targetE1EEEvSD_, .Lfunc_end889-_ZN7rocprim17ROCPRIM_400000_NS6detail17trampoline_kernelINS0_13kernel_configILj256ELj4ELj4294967295EEENS1_37radix_sort_block_sort_config_selectorImNS0_10empty_typeEEEZNS1_21radix_sort_block_sortIS4_Lb0EPmS9_PS6_SA_NS0_19identity_decomposerEEE10hipError_tT1_T2_T3_T4_jRjT5_jjP12ihipStream_tbEUlT_E_NS1_11comp_targetILNS1_3genE5ELNS1_11target_archE942ELNS1_3gpuE9ELNS1_3repE0EEENS1_44radix_sort_block_sort_config_static_selectorELNS0_4arch9wavefront6targetE1EEEvSD_
                                        ; -- End function
	.section	.AMDGPU.csdata,"",@progbits
; Kernel info:
; codeLenInByte = 0
; NumSgprs: 4
; NumVgprs: 0
; NumAgprs: 0
; TotalNumVgprs: 0
; ScratchSize: 0
; MemoryBound: 0
; FloatMode: 240
; IeeeMode: 1
; LDSByteSize: 0 bytes/workgroup (compile time only)
; SGPRBlocks: 0
; VGPRBlocks: 0
; NumSGPRsForWavesPerEU: 4
; NumVGPRsForWavesPerEU: 1
; AccumOffset: 4
; Occupancy: 8
; WaveLimiterHint : 0
; COMPUTE_PGM_RSRC2:SCRATCH_EN: 0
; COMPUTE_PGM_RSRC2:USER_SGPR: 6
; COMPUTE_PGM_RSRC2:TRAP_HANDLER: 0
; COMPUTE_PGM_RSRC2:TGID_X_EN: 1
; COMPUTE_PGM_RSRC2:TGID_Y_EN: 0
; COMPUTE_PGM_RSRC2:TGID_Z_EN: 0
; COMPUTE_PGM_RSRC2:TIDIG_COMP_CNT: 0
; COMPUTE_PGM_RSRC3_GFX90A:ACCUM_OFFSET: 0
; COMPUTE_PGM_RSRC3_GFX90A:TG_SPLIT: 0
	.section	.text._ZN7rocprim17ROCPRIM_400000_NS6detail17trampoline_kernelINS0_13kernel_configILj256ELj4ELj4294967295EEENS1_37radix_sort_block_sort_config_selectorImNS0_10empty_typeEEEZNS1_21radix_sort_block_sortIS4_Lb0EPmS9_PS6_SA_NS0_19identity_decomposerEEE10hipError_tT1_T2_T3_T4_jRjT5_jjP12ihipStream_tbEUlT_E_NS1_11comp_targetILNS1_3genE4ELNS1_11target_archE910ELNS1_3gpuE8ELNS1_3repE0EEENS1_44radix_sort_block_sort_config_static_selectorELNS0_4arch9wavefront6targetE1EEEvSD_,"axG",@progbits,_ZN7rocprim17ROCPRIM_400000_NS6detail17trampoline_kernelINS0_13kernel_configILj256ELj4ELj4294967295EEENS1_37radix_sort_block_sort_config_selectorImNS0_10empty_typeEEEZNS1_21radix_sort_block_sortIS4_Lb0EPmS9_PS6_SA_NS0_19identity_decomposerEEE10hipError_tT1_T2_T3_T4_jRjT5_jjP12ihipStream_tbEUlT_E_NS1_11comp_targetILNS1_3genE4ELNS1_11target_archE910ELNS1_3gpuE8ELNS1_3repE0EEENS1_44radix_sort_block_sort_config_static_selectorELNS0_4arch9wavefront6targetE1EEEvSD_,comdat
	.protected	_ZN7rocprim17ROCPRIM_400000_NS6detail17trampoline_kernelINS0_13kernel_configILj256ELj4ELj4294967295EEENS1_37radix_sort_block_sort_config_selectorImNS0_10empty_typeEEEZNS1_21radix_sort_block_sortIS4_Lb0EPmS9_PS6_SA_NS0_19identity_decomposerEEE10hipError_tT1_T2_T3_T4_jRjT5_jjP12ihipStream_tbEUlT_E_NS1_11comp_targetILNS1_3genE4ELNS1_11target_archE910ELNS1_3gpuE8ELNS1_3repE0EEENS1_44radix_sort_block_sort_config_static_selectorELNS0_4arch9wavefront6targetE1EEEvSD_ ; -- Begin function _ZN7rocprim17ROCPRIM_400000_NS6detail17trampoline_kernelINS0_13kernel_configILj256ELj4ELj4294967295EEENS1_37radix_sort_block_sort_config_selectorImNS0_10empty_typeEEEZNS1_21radix_sort_block_sortIS4_Lb0EPmS9_PS6_SA_NS0_19identity_decomposerEEE10hipError_tT1_T2_T3_T4_jRjT5_jjP12ihipStream_tbEUlT_E_NS1_11comp_targetILNS1_3genE4ELNS1_11target_archE910ELNS1_3gpuE8ELNS1_3repE0EEENS1_44radix_sort_block_sort_config_static_selectorELNS0_4arch9wavefront6targetE1EEEvSD_
	.globl	_ZN7rocprim17ROCPRIM_400000_NS6detail17trampoline_kernelINS0_13kernel_configILj256ELj4ELj4294967295EEENS1_37radix_sort_block_sort_config_selectorImNS0_10empty_typeEEEZNS1_21radix_sort_block_sortIS4_Lb0EPmS9_PS6_SA_NS0_19identity_decomposerEEE10hipError_tT1_T2_T3_T4_jRjT5_jjP12ihipStream_tbEUlT_E_NS1_11comp_targetILNS1_3genE4ELNS1_11target_archE910ELNS1_3gpuE8ELNS1_3repE0EEENS1_44radix_sort_block_sort_config_static_selectorELNS0_4arch9wavefront6targetE1EEEvSD_
	.p2align	8
	.type	_ZN7rocprim17ROCPRIM_400000_NS6detail17trampoline_kernelINS0_13kernel_configILj256ELj4ELj4294967295EEENS1_37radix_sort_block_sort_config_selectorImNS0_10empty_typeEEEZNS1_21radix_sort_block_sortIS4_Lb0EPmS9_PS6_SA_NS0_19identity_decomposerEEE10hipError_tT1_T2_T3_T4_jRjT5_jjP12ihipStream_tbEUlT_E_NS1_11comp_targetILNS1_3genE4ELNS1_11target_archE910ELNS1_3gpuE8ELNS1_3repE0EEENS1_44radix_sort_block_sort_config_static_selectorELNS0_4arch9wavefront6targetE1EEEvSD_,@function
_ZN7rocprim17ROCPRIM_400000_NS6detail17trampoline_kernelINS0_13kernel_configILj256ELj4ELj4294967295EEENS1_37radix_sort_block_sort_config_selectorImNS0_10empty_typeEEEZNS1_21radix_sort_block_sortIS4_Lb0EPmS9_PS6_SA_NS0_19identity_decomposerEEE10hipError_tT1_T2_T3_T4_jRjT5_jjP12ihipStream_tbEUlT_E_NS1_11comp_targetILNS1_3genE4ELNS1_11target_archE910ELNS1_3gpuE8ELNS1_3repE0EEENS1_44radix_sort_block_sort_config_static_selectorELNS0_4arch9wavefront6targetE1EEEvSD_: ; @_ZN7rocprim17ROCPRIM_400000_NS6detail17trampoline_kernelINS0_13kernel_configILj256ELj4ELj4294967295EEENS1_37radix_sort_block_sort_config_selectorImNS0_10empty_typeEEEZNS1_21radix_sort_block_sortIS4_Lb0EPmS9_PS6_SA_NS0_19identity_decomposerEEE10hipError_tT1_T2_T3_T4_jRjT5_jjP12ihipStream_tbEUlT_E_NS1_11comp_targetILNS1_3genE4ELNS1_11target_archE910ELNS1_3gpuE8ELNS1_3repE0EEENS1_44radix_sort_block_sort_config_static_selectorELNS0_4arch9wavefront6targetE1EEEvSD_
; %bb.0:
	s_load_dword s7, s[4:5], 0x20
	s_load_dwordx4 s[28:31], s[4:5], 0x0
	s_lshl_b32 s0, s6, 10
	s_mov_b32 s1, 0
	v_mbcnt_lo_u32_b32 v1, -1, 0
	s_waitcnt lgkmcnt(0)
	s_lshr_b32 s2, s7, 10
	s_cmp_lg_u32 s6, s2
	s_cselect_b64 s[34:35], -1, 0
	s_lshl_b64 s[36:37], s[0:1], 3
	v_mbcnt_hi_u32_b32 v1, -1, v1
	v_and_b32_e32 v10, 0x3ff, v0
	s_add_u32 s1, s28, s36
	v_and_b32_e32 v15, 63, v1
	s_addc_u32 s3, s29, s37
	v_lshlrev_b32_e32 v11, 2, v10
	v_lshlrev_b32_e32 v2, 3, v15
	v_and_b32_e32 v16, 0x300, v11
	v_mov_b32_e32 v3, s3
	v_add_co_u32_e32 v2, vcc, s1, v2
	v_addc_co_u32_e32 v3, vcc, 0, v3, vcc
	v_lshlrev_b32_e32 v4, 3, v16
	v_add_co_u32_e32 v12, vcc, v2, v4
	s_cmp_eq_u32 s6, s2
	v_addc_co_u32_e32 v13, vcc, 0, v3, vcc
	v_or_b32_e32 v14, v15, v16
	s_cbranch_scc1 .LBB890_2
; %bb.1:
	global_load_dwordx2 v[2:3], v[12:13], off
	global_load_dwordx2 v[4:5], v[12:13], off offset:512
	global_load_dwordx2 v[6:7], v[12:13], off offset:1024
	;; [unrolled: 1-line block ×3, first 2 shown]
	v_or_b32_e32 v18, v15, v16
	v_or_b32_e32 v15, 64, v18
	;; [unrolled: 1-line block ×4, first 2 shown]
	s_load_dwordx2 s[28:29], s[4:5], 0x28
	s_sub_i32 s33, s7, s0
	s_cbranch_execz .LBB890_3
	s_branch .LBB890_12
.LBB890_2:
                                        ; implicit-def: $vgpr2_vgpr3_vgpr4_vgpr5_vgpr6_vgpr7_vgpr8_vgpr9
                                        ; implicit-def: $vgpr18
                                        ; implicit-def: $vgpr15
                                        ; implicit-def: $vgpr16
                                        ; implicit-def: $vgpr17
	s_load_dwordx2 s[28:29], s[4:5], 0x28
	s_sub_i32 s33, s7, s0
.LBB890_3:
	s_mov_b32 s8, -1
	s_mov_b32 s9, s8
	s_mov_b32 s10, s8
	;; [unrolled: 1-line block ×7, first 2 shown]
	s_waitcnt vmcnt(0)
	v_pk_mov_b32 v[2:3], s[8:9], s[8:9] op_sel:[0,1]
	v_cmp_gt_u32_e32 vcc, s33, v14
	v_pk_mov_b32 v[4:5], s[10:11], s[10:11] op_sel:[0,1]
	v_pk_mov_b32 v[6:7], s[12:13], s[12:13] op_sel:[0,1]
	;; [unrolled: 1-line block ×3, first 2 shown]
	s_and_saveexec_b64 s[0:1], vcc
	s_cbranch_execz .LBB890_5
; %bb.4:
	global_load_dwordx2 v[2:3], v[12:13], off
	v_mov_b32_e32 v4, -1
	v_mov_b32_e32 v5, v4
	v_mov_b32_e32 v6, v4
	;; [unrolled: 1-line block ×5, first 2 shown]
.LBB890_5:
	s_or_b64 exec, exec, s[0:1]
	v_or_b32_e32 v15, 64, v14
	v_cmp_gt_u32_e32 vcc, s33, v15
	s_and_saveexec_b64 s[0:1], vcc
	s_cbranch_execz .LBB890_7
; %bb.6:
	global_load_dwordx2 v[4:5], v[12:13], off offset:512
.LBB890_7:
	s_or_b64 exec, exec, s[0:1]
	v_or_b32_e32 v16, 0x80, v14
	v_cmp_gt_u32_e32 vcc, s33, v16
	s_and_saveexec_b64 s[0:1], vcc
	s_cbranch_execz .LBB890_9
; %bb.8:
	global_load_dwordx2 v[6:7], v[12:13], off offset:1024
.LBB890_9:
	s_or_b64 exec, exec, s[0:1]
	v_or_b32_e32 v17, 0xc0, v14
	v_cmp_gt_u32_e32 vcc, s33, v17
	s_and_saveexec_b64 s[0:1], vcc
	s_cbranch_execz .LBB890_11
; %bb.10:
	global_load_dwordx2 v[8:9], v[12:13], off offset:1536
.LBB890_11:
	s_or_b64 exec, exec, s[0:1]
	v_mov_b32_e32 v18, v14
.LBB890_12:
	s_load_dword s2, s[4:5], 0x3c
	s_waitcnt lgkmcnt(0)
	s_add_i32 s38, s29, s28
	s_getpc_b64 s[0:1]
	s_add_u32 s0, s0, _ZN7rocprim17ROCPRIM_400000_NS16block_radix_sortImLj256ELj4ENS0_10empty_typeELj1ELj1ELj0ELNS0_26block_radix_rank_algorithmE1ELNS0_18block_padding_hintE2ELNS0_4arch9wavefront6targetE1EE19radix_bits_per_passE@rel32@lo+4
	s_addc_u32 s1, s1, _ZN7rocprim17ROCPRIM_400000_NS16block_radix_sortImLj256ELj4ENS0_10empty_typeELj1ELj1ELj0ELNS0_26block_radix_rank_algorithmE1ELNS0_18block_padding_hintE2ELNS0_4arch9wavefront6targetE1EE19radix_bits_per_passE@rel32@hi+12
	s_load_dword s39, s[0:1], 0x0
	v_bfe_u32 v12, v0, 10, 10
	s_lshr_b32 s0, s2, 16
	v_bfe_u32 v0, v0, 20, 10
	s_and_b32 s1, s2, 0xffff
	v_mad_u32_u24 v0, v0, s0, v12
	v_mad_u64_u32 v[12:13], s[0:1], v0, s1, v[10:11]
	v_and_b32_e32 v0, 15, v1
	v_cmp_eq_u32_e64 s[0:1], 0, v0
	v_cmp_lt_u32_e64 s[2:3], 1, v0
	v_cmp_lt_u32_e64 s[4:5], 3, v0
	;; [unrolled: 1-line block ×3, first 2 shown]
	v_and_b32_e32 v0, 16, v1
	v_cmp_eq_u32_e64 s[8:9], 0, v0
	v_and_b32_e32 v0, 0x3c0, v10
	v_min_u32_e32 v0, 0xc0, v0
	v_or_b32_e32 v0, 63, v0
	v_lshrrev_b32_e32 v26, 6, v12
	v_cmp_eq_u32_e64 s[12:13], v0, v10
	v_add_u32_e32 v0, -1, v1
	v_and_b32_e32 v12, 64, v1
	v_cmp_lt_i32_e32 vcc, v0, v12
	v_cndmask_b32_e32 v0, v0, v1, vcc
	s_mov_b32 s26, 0
	v_lshlrev_b32_e32 v27, 2, v0
	v_lshrrev_b32_e32 v0, 4, v10
	v_lshlrev_b32_e32 v11, 2, v11
	v_cmp_lt_u32_e64 s[10:11], 31, v1
	v_cmp_eq_u32_e64 s[18:19], 0, v1
	v_and_b32_e32 v28, 60, v0
	v_mul_i32_i24_e32 v0, -12, v10
	v_and_b32_e32 v1, 3, v1
	s_mov_b32 s27, s26
	s_mov_b32 s40, s26
	;; [unrolled: 1-line block ×3, first 2 shown]
	v_cmp_gt_u32_e64 s[14:15], 4, v10
	v_cmp_lt_u32_e64 s[16:17], 63, v10
	v_cmp_eq_u32_e64 s[20:21], 0, v10
	v_cmp_eq_u32_e64 s[22:23], 0, v1
	v_cmp_lt_u32_e64 s[24:25], 1, v1
	v_add_u32_e32 v29, -4, v28
	v_lshlrev_b32_e32 v30, 3, v18
	v_lshlrev_b32_e32 v31, 3, v15
	;; [unrolled: 1-line block ×4, first 2 shown]
	v_pk_mov_b32 v[12:13], s[26:27], s[26:27] op_sel:[0,1]
	v_pk_mov_b32 v[14:15], s[40:41], s[40:41] op_sel:[0,1]
	v_add_u32_e32 v34, v11, v0
	v_mov_b32_e32 v16, 0
	s_branch .LBB890_14
.LBB890_13:                             ;   in Loop: Header=BB890_14 Depth=1
	s_barrier
	ds_write_b64 v0, v[18:19]
	ds_write_b64 v1, v[20:21]
	ds_write_b64 v35, v[22:23]
	ds_write_b64 v17, v[24:25]
	s_waitcnt lgkmcnt(0)
	s_barrier
	ds_read_b64 v[2:3], v30
	ds_read_b64 v[4:5], v31
	;; [unrolled: 1-line block ×4, first 2 shown]
	s_add_i32 s29, s29, -8
	s_waitcnt lgkmcnt(0)
	s_barrier
	s_cbranch_execz .LBB890_30
.LBB890_14:                             ; =>This Inner Loop Header: Depth=1
	s_waitcnt lgkmcnt(0)
	s_min_u32 s26, s39, s29
	s_lshl_b32 s26, -1, s26
	s_waitcnt vmcnt(0)
	v_mov_b32_e32 v18, v2
	v_mov_b32_e32 v19, v3
	s_not_b32 s40, s26
	v_lshrrev_b64 v[0:1], s28, v[18:19]
	v_and_b32_e32 v0, s40, v0
	v_lshl_add_u32 v1, v0, 2, v26
	v_lshl_add_u32 v35, v1, 2, 16
	v_and_b32_e32 v1, 1, v0
	v_add_co_u32_e32 v2, vcc, -1, v1
	v_addc_co_u32_e64 v3, s[26:27], 0, -1, vcc
	v_cmp_ne_u32_e32 vcc, 0, v1
	v_lshlrev_b32_e32 v17, 30, v0
	v_xor_b32_e32 v1, vcc_hi, v3
	v_not_b32_e32 v3, v17
	v_xor_b32_e32 v2, vcc_lo, v2
	v_cmp_gt_i64_e32 vcc, 0, v[16:17]
	v_ashrrev_i32_e32 v3, 31, v3
	v_and_b32_e32 v1, exec_hi, v1
	v_xor_b32_e32 v17, vcc_hi, v3
	v_and_b32_e32 v2, exec_lo, v2
	v_xor_b32_e32 v3, vcc_lo, v3
	v_and_b32_e32 v1, v1, v17
	v_lshlrev_b32_e32 v17, 29, v0
	v_and_b32_e32 v2, v2, v3
	v_not_b32_e32 v3, v17
	v_cmp_gt_i64_e32 vcc, 0, v[16:17]
	v_ashrrev_i32_e32 v3, 31, v3
	v_xor_b32_e32 v17, vcc_hi, v3
	v_xor_b32_e32 v3, vcc_lo, v3
	v_and_b32_e32 v1, v1, v17
	v_lshlrev_b32_e32 v17, 28, v0
	v_and_b32_e32 v2, v2, v3
	v_not_b32_e32 v3, v17
	v_cmp_gt_i64_e32 vcc, 0, v[16:17]
	v_ashrrev_i32_e32 v3, 31, v3
	v_xor_b32_e32 v17, vcc_hi, v3
	;; [unrolled: 8-line block ×5, first 2 shown]
	v_and_b32_e32 v1, v1, v17
	v_lshlrev_b32_e32 v17, 24, v0
	v_not_b32_e32 v0, v17
	v_xor_b32_e32 v3, vcc_lo, v3
	v_cmp_gt_i64_e32 vcc, 0, v[16:17]
	v_ashrrev_i32_e32 v0, 31, v0
	v_and_b32_e32 v2, v2, v3
	v_xor_b32_e32 v3, vcc_hi, v0
	v_xor_b32_e32 v0, vcc_lo, v0
	v_and_b32_e32 v0, v2, v0
	v_and_b32_e32 v1, v1, v3
	v_mbcnt_lo_u32_b32 v2, v0, 0
	v_mbcnt_hi_u32_b32 v36, v1, v2
	v_cmp_eq_u32_e32 vcc, 0, v36
	v_cmp_ne_u64_e64 s[26:27], 0, v[0:1]
	s_and_b64 s[42:43], s[26:27], vcc
	ds_write2_b64 v11, v[12:13], v[14:15] offset0:2 offset1:3
	s_waitcnt lgkmcnt(0)
	s_barrier
	s_waitcnt lgkmcnt(0)
	; wave barrier
	s_and_saveexec_b64 s[26:27], s[42:43]
	s_cbranch_execz .LBB890_16
; %bb.15:                               ;   in Loop: Header=BB890_14 Depth=1
	v_bcnt_u32_b32 v0, v0, 0
	v_bcnt_u32_b32 v0, v1, v0
	ds_write_b32 v35, v0
.LBB890_16:                             ;   in Loop: Header=BB890_14 Depth=1
	s_or_b64 exec, exec, s[26:27]
	v_mov_b32_e32 v20, v4
	v_mov_b32_e32 v21, v5
	v_lshrrev_b64 v[0:1], s28, v[20:21]
	v_and_b32_e32 v0, s40, v0
	v_lshlrev_b32_e32 v1, 2, v0
	v_add_lshl_u32 v1, v1, v26, 2
	; wave barrier
	v_add_u32_e32 v5, 16, v1
	ds_read_b32 v4, v1 offset:16
	v_and_b32_e32 v1, 1, v0
	v_add_co_u32_e32 v2, vcc, -1, v1
	v_addc_co_u32_e64 v3, s[26:27], 0, -1, vcc
	v_cmp_ne_u32_e32 vcc, 0, v1
	v_lshlrev_b32_e32 v17, 30, v0
	v_xor_b32_e32 v1, vcc_hi, v3
	v_not_b32_e32 v3, v17
	v_xor_b32_e32 v2, vcc_lo, v2
	v_cmp_gt_i64_e32 vcc, 0, v[16:17]
	v_ashrrev_i32_e32 v3, 31, v3
	v_and_b32_e32 v1, exec_hi, v1
	v_xor_b32_e32 v17, vcc_hi, v3
	v_and_b32_e32 v2, exec_lo, v2
	v_xor_b32_e32 v3, vcc_lo, v3
	v_and_b32_e32 v1, v1, v17
	v_lshlrev_b32_e32 v17, 29, v0
	v_and_b32_e32 v2, v2, v3
	v_not_b32_e32 v3, v17
	v_cmp_gt_i64_e32 vcc, 0, v[16:17]
	v_ashrrev_i32_e32 v3, 31, v3
	v_xor_b32_e32 v17, vcc_hi, v3
	v_xor_b32_e32 v3, vcc_lo, v3
	v_and_b32_e32 v1, v1, v17
	v_lshlrev_b32_e32 v17, 28, v0
	v_and_b32_e32 v2, v2, v3
	v_not_b32_e32 v3, v17
	v_cmp_gt_i64_e32 vcc, 0, v[16:17]
	v_ashrrev_i32_e32 v3, 31, v3
	v_xor_b32_e32 v17, vcc_hi, v3
	;; [unrolled: 8-line block ×5, first 2 shown]
	v_and_b32_e32 v1, v1, v17
	v_lshlrev_b32_e32 v17, 24, v0
	v_not_b32_e32 v0, v17
	v_xor_b32_e32 v3, vcc_lo, v3
	v_cmp_gt_i64_e32 vcc, 0, v[16:17]
	v_ashrrev_i32_e32 v0, 31, v0
	v_and_b32_e32 v2, v2, v3
	v_xor_b32_e32 v3, vcc_hi, v0
	v_xor_b32_e32 v0, vcc_lo, v0
	v_and_b32_e32 v0, v2, v0
	v_and_b32_e32 v1, v1, v3
	v_mbcnt_lo_u32_b32 v2, v0, 0
	v_mbcnt_hi_u32_b32 v37, v1, v2
	v_cmp_eq_u32_e32 vcc, 0, v37
	v_cmp_ne_u64_e64 s[26:27], 0, v[0:1]
	s_and_b64 s[42:43], s[26:27], vcc
	; wave barrier
	s_and_saveexec_b64 s[26:27], s[42:43]
	s_cbranch_execz .LBB890_18
; %bb.17:                               ;   in Loop: Header=BB890_14 Depth=1
	v_bcnt_u32_b32 v0, v0, 0
	v_bcnt_u32_b32 v0, v1, v0
	s_waitcnt lgkmcnt(0)
	v_add_u32_e32 v0, v4, v0
	ds_write_b32 v5, v0
.LBB890_18:                             ;   in Loop: Header=BB890_14 Depth=1
	s_or_b64 exec, exec, s[26:27]
	v_mov_b32_e32 v22, v6
	v_mov_b32_e32 v23, v7
	v_lshrrev_b64 v[0:1], s28, v[22:23]
	v_and_b32_e32 v0, s40, v0
	v_lshlrev_b32_e32 v1, 2, v0
	v_add_lshl_u32 v1, v1, v26, 2
	; wave barrier
	v_add_u32_e32 v7, 16, v1
	ds_read_b32 v6, v1 offset:16
	v_and_b32_e32 v1, 1, v0
	v_add_co_u32_e32 v2, vcc, -1, v1
	v_addc_co_u32_e64 v3, s[26:27], 0, -1, vcc
	v_cmp_ne_u32_e32 vcc, 0, v1
	v_lshlrev_b32_e32 v17, 30, v0
	v_xor_b32_e32 v1, vcc_hi, v3
	v_not_b32_e32 v3, v17
	v_xor_b32_e32 v2, vcc_lo, v2
	v_cmp_gt_i64_e32 vcc, 0, v[16:17]
	v_ashrrev_i32_e32 v3, 31, v3
	v_and_b32_e32 v1, exec_hi, v1
	v_xor_b32_e32 v17, vcc_hi, v3
	v_and_b32_e32 v2, exec_lo, v2
	v_xor_b32_e32 v3, vcc_lo, v3
	v_and_b32_e32 v1, v1, v17
	v_lshlrev_b32_e32 v17, 29, v0
	v_and_b32_e32 v2, v2, v3
	v_not_b32_e32 v3, v17
	v_cmp_gt_i64_e32 vcc, 0, v[16:17]
	v_ashrrev_i32_e32 v3, 31, v3
	v_xor_b32_e32 v17, vcc_hi, v3
	v_xor_b32_e32 v3, vcc_lo, v3
	v_and_b32_e32 v1, v1, v17
	v_lshlrev_b32_e32 v17, 28, v0
	v_and_b32_e32 v2, v2, v3
	v_not_b32_e32 v3, v17
	v_cmp_gt_i64_e32 vcc, 0, v[16:17]
	v_ashrrev_i32_e32 v3, 31, v3
	v_xor_b32_e32 v17, vcc_hi, v3
	;; [unrolled: 8-line block ×5, first 2 shown]
	v_and_b32_e32 v1, v1, v17
	v_lshlrev_b32_e32 v17, 24, v0
	v_not_b32_e32 v0, v17
	v_xor_b32_e32 v3, vcc_lo, v3
	v_cmp_gt_i64_e32 vcc, 0, v[16:17]
	v_ashrrev_i32_e32 v0, 31, v0
	v_and_b32_e32 v2, v2, v3
	v_xor_b32_e32 v3, vcc_hi, v0
	v_xor_b32_e32 v0, vcc_lo, v0
	v_and_b32_e32 v0, v2, v0
	v_and_b32_e32 v1, v1, v3
	v_mbcnt_lo_u32_b32 v2, v0, 0
	v_mbcnt_hi_u32_b32 v38, v1, v2
	v_cmp_eq_u32_e32 vcc, 0, v38
	v_cmp_ne_u64_e64 s[26:27], 0, v[0:1]
	s_and_b64 s[42:43], s[26:27], vcc
	; wave barrier
	s_and_saveexec_b64 s[26:27], s[42:43]
	s_cbranch_execz .LBB890_20
; %bb.19:                               ;   in Loop: Header=BB890_14 Depth=1
	v_bcnt_u32_b32 v0, v0, 0
	v_bcnt_u32_b32 v0, v1, v0
	s_waitcnt lgkmcnt(0)
	v_add_u32_e32 v0, v6, v0
	ds_write_b32 v7, v0
.LBB890_20:                             ;   in Loop: Header=BB890_14 Depth=1
	s_or_b64 exec, exec, s[26:27]
	v_mov_b32_e32 v24, v8
	v_mov_b32_e32 v25, v9
	v_lshrrev_b64 v[0:1], s28, v[24:25]
	v_and_b32_e32 v0, s40, v0
	v_lshlrev_b32_e32 v1, 2, v0
	v_add_lshl_u32 v1, v1, v26, 2
	; wave barrier
	v_add_u32_e32 v9, 16, v1
	ds_read_b32 v8, v1 offset:16
	v_and_b32_e32 v1, 1, v0
	v_add_co_u32_e32 v2, vcc, -1, v1
	v_addc_co_u32_e64 v3, s[26:27], 0, -1, vcc
	v_cmp_ne_u32_e32 vcc, 0, v1
	v_lshlrev_b32_e32 v17, 30, v0
	v_xor_b32_e32 v1, vcc_hi, v3
	v_not_b32_e32 v3, v17
	v_xor_b32_e32 v2, vcc_lo, v2
	v_cmp_gt_i64_e32 vcc, 0, v[16:17]
	v_ashrrev_i32_e32 v3, 31, v3
	v_and_b32_e32 v1, exec_hi, v1
	v_xor_b32_e32 v17, vcc_hi, v3
	v_and_b32_e32 v2, exec_lo, v2
	v_xor_b32_e32 v3, vcc_lo, v3
	v_and_b32_e32 v1, v1, v17
	v_lshlrev_b32_e32 v17, 29, v0
	v_and_b32_e32 v2, v2, v3
	v_not_b32_e32 v3, v17
	v_cmp_gt_i64_e32 vcc, 0, v[16:17]
	v_ashrrev_i32_e32 v3, 31, v3
	v_xor_b32_e32 v17, vcc_hi, v3
	v_xor_b32_e32 v3, vcc_lo, v3
	v_and_b32_e32 v1, v1, v17
	v_lshlrev_b32_e32 v17, 28, v0
	v_and_b32_e32 v2, v2, v3
	v_not_b32_e32 v3, v17
	v_cmp_gt_i64_e32 vcc, 0, v[16:17]
	v_ashrrev_i32_e32 v3, 31, v3
	v_xor_b32_e32 v17, vcc_hi, v3
	;; [unrolled: 8-line block ×5, first 2 shown]
	v_and_b32_e32 v1, v1, v17
	v_lshlrev_b32_e32 v17, 24, v0
	v_not_b32_e32 v0, v17
	v_xor_b32_e32 v3, vcc_lo, v3
	v_cmp_gt_i64_e32 vcc, 0, v[16:17]
	v_ashrrev_i32_e32 v0, 31, v0
	v_and_b32_e32 v2, v2, v3
	v_xor_b32_e32 v3, vcc_hi, v0
	v_xor_b32_e32 v0, vcc_lo, v0
	v_and_b32_e32 v0, v2, v0
	v_and_b32_e32 v1, v1, v3
	v_mbcnt_lo_u32_b32 v2, v0, 0
	v_mbcnt_hi_u32_b32 v17, v1, v2
	v_cmp_eq_u32_e32 vcc, 0, v17
	v_cmp_ne_u64_e64 s[26:27], 0, v[0:1]
	s_and_b64 s[40:41], s[26:27], vcc
	; wave barrier
	s_and_saveexec_b64 s[26:27], s[40:41]
	s_cbranch_execz .LBB890_22
; %bb.21:                               ;   in Loop: Header=BB890_14 Depth=1
	v_bcnt_u32_b32 v0, v0, 0
	v_bcnt_u32_b32 v0, v1, v0
	s_waitcnt lgkmcnt(0)
	v_add_u32_e32 v0, v8, v0
	ds_write_b32 v9, v0
.LBB890_22:                             ;   in Loop: Header=BB890_14 Depth=1
	s_or_b64 exec, exec, s[26:27]
	; wave barrier
	s_waitcnt lgkmcnt(0)
	s_barrier
	ds_read2_b64 v[0:3], v11 offset0:2 offset1:3
	s_waitcnt lgkmcnt(0)
	v_add_u32_e32 v39, v1, v0
	v_add3_u32 v3, v39, v2, v3
	s_nop 1
	v_mov_b32_dpp v39, v3 row_shr:1 row_mask:0xf bank_mask:0xf
	v_cndmask_b32_e64 v39, v39, 0, s[0:1]
	v_add_u32_e32 v3, v39, v3
	s_nop 1
	v_mov_b32_dpp v39, v3 row_shr:2 row_mask:0xf bank_mask:0xf
	v_cndmask_b32_e64 v39, 0, v39, s[2:3]
	v_add_u32_e32 v3, v3, v39
	;; [unrolled: 4-line block ×4, first 2 shown]
	s_nop 1
	v_mov_b32_dpp v39, v3 row_bcast:15 row_mask:0xf bank_mask:0xf
	v_cndmask_b32_e64 v39, v39, 0, s[8:9]
	v_add_u32_e32 v3, v3, v39
	s_nop 1
	v_mov_b32_dpp v39, v3 row_bcast:31 row_mask:0xf bank_mask:0xf
	v_cndmask_b32_e64 v39, 0, v39, s[10:11]
	v_add_u32_e32 v3, v3, v39
	s_and_saveexec_b64 s[26:27], s[12:13]
	s_cbranch_execz .LBB890_24
; %bb.23:                               ;   in Loop: Header=BB890_14 Depth=1
	ds_write_b32 v28, v3
.LBB890_24:                             ;   in Loop: Header=BB890_14 Depth=1
	s_or_b64 exec, exec, s[26:27]
	s_waitcnt lgkmcnt(0)
	s_barrier
	s_and_saveexec_b64 s[26:27], s[14:15]
	s_cbranch_execz .LBB890_26
; %bb.25:                               ;   in Loop: Header=BB890_14 Depth=1
	ds_read_b32 v39, v34
	s_waitcnt lgkmcnt(0)
	s_nop 0
	v_mov_b32_dpp v40, v39 row_shr:1 row_mask:0xf bank_mask:0xf
	v_cndmask_b32_e64 v40, v40, 0, s[22:23]
	v_add_u32_e32 v39, v40, v39
	s_nop 1
	v_mov_b32_dpp v40, v39 row_shr:2 row_mask:0xf bank_mask:0xf
	v_cndmask_b32_e64 v40, 0, v40, s[24:25]
	v_add_u32_e32 v39, v39, v40
	ds_write_b32 v34, v39
.LBB890_26:                             ;   in Loop: Header=BB890_14 Depth=1
	s_or_b64 exec, exec, s[26:27]
	v_mov_b32_e32 v39, 0
	s_waitcnt lgkmcnt(0)
	s_barrier
	s_and_saveexec_b64 s[26:27], s[16:17]
	s_cbranch_execz .LBB890_28
; %bb.27:                               ;   in Loop: Header=BB890_14 Depth=1
	ds_read_b32 v39, v29
.LBB890_28:                             ;   in Loop: Header=BB890_14 Depth=1
	s_or_b64 exec, exec, s[26:27]
	s_waitcnt lgkmcnt(0)
	v_add_u32_e32 v3, v39, v3
	ds_bpermute_b32 v3, v27, v3
	v_lshlrev_b32_e32 v4, 3, v4
	s_add_i32 s28, s28, 8
	s_cmp_ge_u32 s28, s38
	s_waitcnt lgkmcnt(0)
	v_cndmask_b32_e64 v3, v3, v39, s[18:19]
	v_cndmask_b32_e64 v40, v3, 0, s[20:21]
	v_add_u32_e32 v41, v40, v0
	v_add_u32_e32 v0, v41, v1
	;; [unrolled: 1-line block ×3, first 2 shown]
	ds_write2_b64 v11, v[40:41], v[0:1] offset0:2 offset1:3
	s_waitcnt lgkmcnt(0)
	s_barrier
	ds_read_b32 v0, v35
	ds_read_b32 v1, v5
	ds_read_b32 v2, v7
	ds_read_b32 v3, v9
	v_lshlrev_b32_e32 v5, 3, v36
	s_waitcnt lgkmcnt(3)
	v_lshl_add_u32 v0, v0, 3, v5
	v_lshlrev_b32_e32 v5, 3, v37
	s_waitcnt lgkmcnt(2)
	v_lshlrev_b32_e32 v1, 3, v1
	v_add3_u32 v1, v5, v4, v1
	v_lshlrev_b32_e32 v4, 3, v38
	v_lshlrev_b32_e32 v5, 3, v6
	s_waitcnt lgkmcnt(1)
	v_lshlrev_b32_e32 v2, 3, v2
	v_add3_u32 v35, v4, v5, v2
	v_lshlrev_b32_e32 v2, 3, v17
	v_lshlrev_b32_e32 v4, 3, v8
	s_waitcnt lgkmcnt(0)
	v_lshlrev_b32_e32 v3, 3, v3
	v_add3_u32 v17, v2, v4, v3
	s_cbranch_scc0 .LBB890_13
; %bb.29:
                                        ; implicit-def: $sgpr28
                                        ; implicit-def: $vgpr2_vgpr3_vgpr4_vgpr5_vgpr6_vgpr7_vgpr8_vgpr9
.LBB890_30:
	v_lshlrev_b32_e32 v8, 3, v10
	s_barrier
	ds_write_b64 v0, v[18:19]
	ds_write_b64 v1, v[20:21]
	;; [unrolled: 1-line block ×4, first 2 shown]
	s_waitcnt lgkmcnt(0)
	s_barrier
	ds_read2st64_b64 v[4:7], v8 offset1:4
	ds_read2st64_b64 v[0:3], v8 offset0:8 offset1:12
	s_add_u32 s0, s30, s36
	s_addc_u32 s1, s31, s37
	v_mov_b32_e32 v9, s1
	v_add_co_u32_e64 v8, s[0:1], s0, v8
	s_andn2_b64 vcc, exec, s[34:35]
	v_addc_co_u32_e64 v9, s[0:1], 0, v9, s[0:1]
	s_cbranch_vccnz .LBB890_32
; %bb.31:
	v_add_co_u32_e32 v12, vcc, 0x1000, v8
	v_addc_co_u32_e32 v13, vcc, 0, v9, vcc
	s_mov_b64 s[0:1], -1
	s_waitcnt lgkmcnt(1)
	global_store_dwordx2 v[8:9], v[4:5], off
	global_store_dwordx2 v[8:9], v[6:7], off offset:2048
	s_waitcnt lgkmcnt(0)
	global_store_dwordx2 v[12:13], v[0:1], off
	s_cbranch_execz .LBB890_33
	s_branch .LBB890_40
.LBB890_32:
	s_mov_b64 s[0:1], 0
.LBB890_33:
	v_cmp_gt_u32_e32 vcc, s33, v10
	s_and_saveexec_b64 s[0:1], vcc
	s_cbranch_execz .LBB890_35
; %bb.34:
	s_waitcnt lgkmcnt(1)
	global_store_dwordx2 v[8:9], v[4:5], off
.LBB890_35:
	s_or_b64 exec, exec, s[0:1]
	s_waitcnt lgkmcnt(1)
	v_add_u32_e32 v4, 0x100, v10
	v_cmp_gt_u32_e32 vcc, s33, v4
	s_and_saveexec_b64 s[0:1], vcc
	s_cbranch_execz .LBB890_37
; %bb.36:
	global_store_dwordx2 v[8:9], v[6:7], off offset:2048
.LBB890_37:
	s_or_b64 exec, exec, s[0:1]
	v_add_u32_e32 v4, 0x200, v10
	v_cmp_gt_u32_e32 vcc, s33, v4
	s_and_saveexec_b64 s[0:1], vcc
	s_cbranch_execz .LBB890_39
; %bb.38:
	v_add_co_u32_e32 v4, vcc, 0x1000, v8
	v_addc_co_u32_e32 v5, vcc, 0, v9, vcc
	s_waitcnt lgkmcnt(0)
	global_store_dwordx2 v[4:5], v[0:1], off
.LBB890_39:
	s_or_b64 exec, exec, s[0:1]
	s_waitcnt lgkmcnt(0)
	v_add_u32_e32 v0, 0x300, v10
	v_cmp_gt_u32_e64 s[0:1], s33, v0
.LBB890_40:
	s_and_saveexec_b64 s[2:3], s[0:1]
	s_cbranch_execnz .LBB890_42
; %bb.41:
	s_endpgm
.LBB890_42:
	s_waitcnt lgkmcnt(0)
	v_add_co_u32_e32 v0, vcc, 0x1000, v8
	v_addc_co_u32_e32 v1, vcc, 0, v9, vcc
	global_store_dwordx2 v[0:1], v[2:3], off offset:2048
	s_endpgm
	.section	.rodata,"a",@progbits
	.p2align	6, 0x0
	.amdhsa_kernel _ZN7rocprim17ROCPRIM_400000_NS6detail17trampoline_kernelINS0_13kernel_configILj256ELj4ELj4294967295EEENS1_37radix_sort_block_sort_config_selectorImNS0_10empty_typeEEEZNS1_21radix_sort_block_sortIS4_Lb0EPmS9_PS6_SA_NS0_19identity_decomposerEEE10hipError_tT1_T2_T3_T4_jRjT5_jjP12ihipStream_tbEUlT_E_NS1_11comp_targetILNS1_3genE4ELNS1_11target_archE910ELNS1_3gpuE8ELNS1_3repE0EEENS1_44radix_sort_block_sort_config_static_selectorELNS0_4arch9wavefront6targetE1EEEvSD_
		.amdhsa_group_segment_fixed_size 8192
		.amdhsa_private_segment_fixed_size 0
		.amdhsa_kernarg_size 304
		.amdhsa_user_sgpr_count 6
		.amdhsa_user_sgpr_private_segment_buffer 1
		.amdhsa_user_sgpr_dispatch_ptr 0
		.amdhsa_user_sgpr_queue_ptr 0
		.amdhsa_user_sgpr_kernarg_segment_ptr 1
		.amdhsa_user_sgpr_dispatch_id 0
		.amdhsa_user_sgpr_flat_scratch_init 0
		.amdhsa_user_sgpr_kernarg_preload_length 0
		.amdhsa_user_sgpr_kernarg_preload_offset 0
		.amdhsa_user_sgpr_private_segment_size 0
		.amdhsa_uses_dynamic_stack 0
		.amdhsa_system_sgpr_private_segment_wavefront_offset 0
		.amdhsa_system_sgpr_workgroup_id_x 1
		.amdhsa_system_sgpr_workgroup_id_y 0
		.amdhsa_system_sgpr_workgroup_id_z 0
		.amdhsa_system_sgpr_workgroup_info 0
		.amdhsa_system_vgpr_workitem_id 2
		.amdhsa_next_free_vgpr 42
		.amdhsa_next_free_sgpr 44
		.amdhsa_accum_offset 44
		.amdhsa_reserve_vcc 1
		.amdhsa_reserve_flat_scratch 0
		.amdhsa_float_round_mode_32 0
		.amdhsa_float_round_mode_16_64 0
		.amdhsa_float_denorm_mode_32 3
		.amdhsa_float_denorm_mode_16_64 3
		.amdhsa_dx10_clamp 1
		.amdhsa_ieee_mode 1
		.amdhsa_fp16_overflow 0
		.amdhsa_tg_split 0
		.amdhsa_exception_fp_ieee_invalid_op 0
		.amdhsa_exception_fp_denorm_src 0
		.amdhsa_exception_fp_ieee_div_zero 0
		.amdhsa_exception_fp_ieee_overflow 0
		.amdhsa_exception_fp_ieee_underflow 0
		.amdhsa_exception_fp_ieee_inexact 0
		.amdhsa_exception_int_div_zero 0
	.end_amdhsa_kernel
	.section	.text._ZN7rocprim17ROCPRIM_400000_NS6detail17trampoline_kernelINS0_13kernel_configILj256ELj4ELj4294967295EEENS1_37radix_sort_block_sort_config_selectorImNS0_10empty_typeEEEZNS1_21radix_sort_block_sortIS4_Lb0EPmS9_PS6_SA_NS0_19identity_decomposerEEE10hipError_tT1_T2_T3_T4_jRjT5_jjP12ihipStream_tbEUlT_E_NS1_11comp_targetILNS1_3genE4ELNS1_11target_archE910ELNS1_3gpuE8ELNS1_3repE0EEENS1_44radix_sort_block_sort_config_static_selectorELNS0_4arch9wavefront6targetE1EEEvSD_,"axG",@progbits,_ZN7rocprim17ROCPRIM_400000_NS6detail17trampoline_kernelINS0_13kernel_configILj256ELj4ELj4294967295EEENS1_37radix_sort_block_sort_config_selectorImNS0_10empty_typeEEEZNS1_21radix_sort_block_sortIS4_Lb0EPmS9_PS6_SA_NS0_19identity_decomposerEEE10hipError_tT1_T2_T3_T4_jRjT5_jjP12ihipStream_tbEUlT_E_NS1_11comp_targetILNS1_3genE4ELNS1_11target_archE910ELNS1_3gpuE8ELNS1_3repE0EEENS1_44radix_sort_block_sort_config_static_selectorELNS0_4arch9wavefront6targetE1EEEvSD_,comdat
.Lfunc_end890:
	.size	_ZN7rocprim17ROCPRIM_400000_NS6detail17trampoline_kernelINS0_13kernel_configILj256ELj4ELj4294967295EEENS1_37radix_sort_block_sort_config_selectorImNS0_10empty_typeEEEZNS1_21radix_sort_block_sortIS4_Lb0EPmS9_PS6_SA_NS0_19identity_decomposerEEE10hipError_tT1_T2_T3_T4_jRjT5_jjP12ihipStream_tbEUlT_E_NS1_11comp_targetILNS1_3genE4ELNS1_11target_archE910ELNS1_3gpuE8ELNS1_3repE0EEENS1_44radix_sort_block_sort_config_static_selectorELNS0_4arch9wavefront6targetE1EEEvSD_, .Lfunc_end890-_ZN7rocprim17ROCPRIM_400000_NS6detail17trampoline_kernelINS0_13kernel_configILj256ELj4ELj4294967295EEENS1_37radix_sort_block_sort_config_selectorImNS0_10empty_typeEEEZNS1_21radix_sort_block_sortIS4_Lb0EPmS9_PS6_SA_NS0_19identity_decomposerEEE10hipError_tT1_T2_T3_T4_jRjT5_jjP12ihipStream_tbEUlT_E_NS1_11comp_targetILNS1_3genE4ELNS1_11target_archE910ELNS1_3gpuE8ELNS1_3repE0EEENS1_44radix_sort_block_sort_config_static_selectorELNS0_4arch9wavefront6targetE1EEEvSD_
                                        ; -- End function
	.section	.AMDGPU.csdata,"",@progbits
; Kernel info:
; codeLenInByte = 3240
; NumSgprs: 48
; NumVgprs: 42
; NumAgprs: 0
; TotalNumVgprs: 42
; ScratchSize: 0
; MemoryBound: 1
; FloatMode: 240
; IeeeMode: 1
; LDSByteSize: 8192 bytes/workgroup (compile time only)
; SGPRBlocks: 5
; VGPRBlocks: 5
; NumSGPRsForWavesPerEU: 48
; NumVGPRsForWavesPerEU: 42
; AccumOffset: 44
; Occupancy: 8
; WaveLimiterHint : 1
; COMPUTE_PGM_RSRC2:SCRATCH_EN: 0
; COMPUTE_PGM_RSRC2:USER_SGPR: 6
; COMPUTE_PGM_RSRC2:TRAP_HANDLER: 0
; COMPUTE_PGM_RSRC2:TGID_X_EN: 1
; COMPUTE_PGM_RSRC2:TGID_Y_EN: 0
; COMPUTE_PGM_RSRC2:TGID_Z_EN: 0
; COMPUTE_PGM_RSRC2:TIDIG_COMP_CNT: 2
; COMPUTE_PGM_RSRC3_GFX90A:ACCUM_OFFSET: 10
; COMPUTE_PGM_RSRC3_GFX90A:TG_SPLIT: 0
	.section	.text._ZN7rocprim17ROCPRIM_400000_NS6detail17trampoline_kernelINS0_13kernel_configILj256ELj4ELj4294967295EEENS1_37radix_sort_block_sort_config_selectorImNS0_10empty_typeEEEZNS1_21radix_sort_block_sortIS4_Lb0EPmS9_PS6_SA_NS0_19identity_decomposerEEE10hipError_tT1_T2_T3_T4_jRjT5_jjP12ihipStream_tbEUlT_E_NS1_11comp_targetILNS1_3genE3ELNS1_11target_archE908ELNS1_3gpuE7ELNS1_3repE0EEENS1_44radix_sort_block_sort_config_static_selectorELNS0_4arch9wavefront6targetE1EEEvSD_,"axG",@progbits,_ZN7rocprim17ROCPRIM_400000_NS6detail17trampoline_kernelINS0_13kernel_configILj256ELj4ELj4294967295EEENS1_37radix_sort_block_sort_config_selectorImNS0_10empty_typeEEEZNS1_21radix_sort_block_sortIS4_Lb0EPmS9_PS6_SA_NS0_19identity_decomposerEEE10hipError_tT1_T2_T3_T4_jRjT5_jjP12ihipStream_tbEUlT_E_NS1_11comp_targetILNS1_3genE3ELNS1_11target_archE908ELNS1_3gpuE7ELNS1_3repE0EEENS1_44radix_sort_block_sort_config_static_selectorELNS0_4arch9wavefront6targetE1EEEvSD_,comdat
	.protected	_ZN7rocprim17ROCPRIM_400000_NS6detail17trampoline_kernelINS0_13kernel_configILj256ELj4ELj4294967295EEENS1_37radix_sort_block_sort_config_selectorImNS0_10empty_typeEEEZNS1_21radix_sort_block_sortIS4_Lb0EPmS9_PS6_SA_NS0_19identity_decomposerEEE10hipError_tT1_T2_T3_T4_jRjT5_jjP12ihipStream_tbEUlT_E_NS1_11comp_targetILNS1_3genE3ELNS1_11target_archE908ELNS1_3gpuE7ELNS1_3repE0EEENS1_44radix_sort_block_sort_config_static_selectorELNS0_4arch9wavefront6targetE1EEEvSD_ ; -- Begin function _ZN7rocprim17ROCPRIM_400000_NS6detail17trampoline_kernelINS0_13kernel_configILj256ELj4ELj4294967295EEENS1_37radix_sort_block_sort_config_selectorImNS0_10empty_typeEEEZNS1_21radix_sort_block_sortIS4_Lb0EPmS9_PS6_SA_NS0_19identity_decomposerEEE10hipError_tT1_T2_T3_T4_jRjT5_jjP12ihipStream_tbEUlT_E_NS1_11comp_targetILNS1_3genE3ELNS1_11target_archE908ELNS1_3gpuE7ELNS1_3repE0EEENS1_44radix_sort_block_sort_config_static_selectorELNS0_4arch9wavefront6targetE1EEEvSD_
	.globl	_ZN7rocprim17ROCPRIM_400000_NS6detail17trampoline_kernelINS0_13kernel_configILj256ELj4ELj4294967295EEENS1_37radix_sort_block_sort_config_selectorImNS0_10empty_typeEEEZNS1_21radix_sort_block_sortIS4_Lb0EPmS9_PS6_SA_NS0_19identity_decomposerEEE10hipError_tT1_T2_T3_T4_jRjT5_jjP12ihipStream_tbEUlT_E_NS1_11comp_targetILNS1_3genE3ELNS1_11target_archE908ELNS1_3gpuE7ELNS1_3repE0EEENS1_44radix_sort_block_sort_config_static_selectorELNS0_4arch9wavefront6targetE1EEEvSD_
	.p2align	8
	.type	_ZN7rocprim17ROCPRIM_400000_NS6detail17trampoline_kernelINS0_13kernel_configILj256ELj4ELj4294967295EEENS1_37radix_sort_block_sort_config_selectorImNS0_10empty_typeEEEZNS1_21radix_sort_block_sortIS4_Lb0EPmS9_PS6_SA_NS0_19identity_decomposerEEE10hipError_tT1_T2_T3_T4_jRjT5_jjP12ihipStream_tbEUlT_E_NS1_11comp_targetILNS1_3genE3ELNS1_11target_archE908ELNS1_3gpuE7ELNS1_3repE0EEENS1_44radix_sort_block_sort_config_static_selectorELNS0_4arch9wavefront6targetE1EEEvSD_,@function
_ZN7rocprim17ROCPRIM_400000_NS6detail17trampoline_kernelINS0_13kernel_configILj256ELj4ELj4294967295EEENS1_37radix_sort_block_sort_config_selectorImNS0_10empty_typeEEEZNS1_21radix_sort_block_sortIS4_Lb0EPmS9_PS6_SA_NS0_19identity_decomposerEEE10hipError_tT1_T2_T3_T4_jRjT5_jjP12ihipStream_tbEUlT_E_NS1_11comp_targetILNS1_3genE3ELNS1_11target_archE908ELNS1_3gpuE7ELNS1_3repE0EEENS1_44radix_sort_block_sort_config_static_selectorELNS0_4arch9wavefront6targetE1EEEvSD_: ; @_ZN7rocprim17ROCPRIM_400000_NS6detail17trampoline_kernelINS0_13kernel_configILj256ELj4ELj4294967295EEENS1_37radix_sort_block_sort_config_selectorImNS0_10empty_typeEEEZNS1_21radix_sort_block_sortIS4_Lb0EPmS9_PS6_SA_NS0_19identity_decomposerEEE10hipError_tT1_T2_T3_T4_jRjT5_jjP12ihipStream_tbEUlT_E_NS1_11comp_targetILNS1_3genE3ELNS1_11target_archE908ELNS1_3gpuE7ELNS1_3repE0EEENS1_44radix_sort_block_sort_config_static_selectorELNS0_4arch9wavefront6targetE1EEEvSD_
; %bb.0:
	.section	.rodata,"a",@progbits
	.p2align	6, 0x0
	.amdhsa_kernel _ZN7rocprim17ROCPRIM_400000_NS6detail17trampoline_kernelINS0_13kernel_configILj256ELj4ELj4294967295EEENS1_37radix_sort_block_sort_config_selectorImNS0_10empty_typeEEEZNS1_21radix_sort_block_sortIS4_Lb0EPmS9_PS6_SA_NS0_19identity_decomposerEEE10hipError_tT1_T2_T3_T4_jRjT5_jjP12ihipStream_tbEUlT_E_NS1_11comp_targetILNS1_3genE3ELNS1_11target_archE908ELNS1_3gpuE7ELNS1_3repE0EEENS1_44radix_sort_block_sort_config_static_selectorELNS0_4arch9wavefront6targetE1EEEvSD_
		.amdhsa_group_segment_fixed_size 0
		.amdhsa_private_segment_fixed_size 0
		.amdhsa_kernarg_size 48
		.amdhsa_user_sgpr_count 6
		.amdhsa_user_sgpr_private_segment_buffer 1
		.amdhsa_user_sgpr_dispatch_ptr 0
		.amdhsa_user_sgpr_queue_ptr 0
		.amdhsa_user_sgpr_kernarg_segment_ptr 1
		.amdhsa_user_sgpr_dispatch_id 0
		.amdhsa_user_sgpr_flat_scratch_init 0
		.amdhsa_user_sgpr_kernarg_preload_length 0
		.amdhsa_user_sgpr_kernarg_preload_offset 0
		.amdhsa_user_sgpr_private_segment_size 0
		.amdhsa_uses_dynamic_stack 0
		.amdhsa_system_sgpr_private_segment_wavefront_offset 0
		.amdhsa_system_sgpr_workgroup_id_x 1
		.amdhsa_system_sgpr_workgroup_id_y 0
		.amdhsa_system_sgpr_workgroup_id_z 0
		.amdhsa_system_sgpr_workgroup_info 0
		.amdhsa_system_vgpr_workitem_id 0
		.amdhsa_next_free_vgpr 1
		.amdhsa_next_free_sgpr 0
		.amdhsa_accum_offset 4
		.amdhsa_reserve_vcc 0
		.amdhsa_reserve_flat_scratch 0
		.amdhsa_float_round_mode_32 0
		.amdhsa_float_round_mode_16_64 0
		.amdhsa_float_denorm_mode_32 3
		.amdhsa_float_denorm_mode_16_64 3
		.amdhsa_dx10_clamp 1
		.amdhsa_ieee_mode 1
		.amdhsa_fp16_overflow 0
		.amdhsa_tg_split 0
		.amdhsa_exception_fp_ieee_invalid_op 0
		.amdhsa_exception_fp_denorm_src 0
		.amdhsa_exception_fp_ieee_div_zero 0
		.amdhsa_exception_fp_ieee_overflow 0
		.amdhsa_exception_fp_ieee_underflow 0
		.amdhsa_exception_fp_ieee_inexact 0
		.amdhsa_exception_int_div_zero 0
	.end_amdhsa_kernel
	.section	.text._ZN7rocprim17ROCPRIM_400000_NS6detail17trampoline_kernelINS0_13kernel_configILj256ELj4ELj4294967295EEENS1_37radix_sort_block_sort_config_selectorImNS0_10empty_typeEEEZNS1_21radix_sort_block_sortIS4_Lb0EPmS9_PS6_SA_NS0_19identity_decomposerEEE10hipError_tT1_T2_T3_T4_jRjT5_jjP12ihipStream_tbEUlT_E_NS1_11comp_targetILNS1_3genE3ELNS1_11target_archE908ELNS1_3gpuE7ELNS1_3repE0EEENS1_44radix_sort_block_sort_config_static_selectorELNS0_4arch9wavefront6targetE1EEEvSD_,"axG",@progbits,_ZN7rocprim17ROCPRIM_400000_NS6detail17trampoline_kernelINS0_13kernel_configILj256ELj4ELj4294967295EEENS1_37radix_sort_block_sort_config_selectorImNS0_10empty_typeEEEZNS1_21radix_sort_block_sortIS4_Lb0EPmS9_PS6_SA_NS0_19identity_decomposerEEE10hipError_tT1_T2_T3_T4_jRjT5_jjP12ihipStream_tbEUlT_E_NS1_11comp_targetILNS1_3genE3ELNS1_11target_archE908ELNS1_3gpuE7ELNS1_3repE0EEENS1_44radix_sort_block_sort_config_static_selectorELNS0_4arch9wavefront6targetE1EEEvSD_,comdat
.Lfunc_end891:
	.size	_ZN7rocprim17ROCPRIM_400000_NS6detail17trampoline_kernelINS0_13kernel_configILj256ELj4ELj4294967295EEENS1_37radix_sort_block_sort_config_selectorImNS0_10empty_typeEEEZNS1_21radix_sort_block_sortIS4_Lb0EPmS9_PS6_SA_NS0_19identity_decomposerEEE10hipError_tT1_T2_T3_T4_jRjT5_jjP12ihipStream_tbEUlT_E_NS1_11comp_targetILNS1_3genE3ELNS1_11target_archE908ELNS1_3gpuE7ELNS1_3repE0EEENS1_44radix_sort_block_sort_config_static_selectorELNS0_4arch9wavefront6targetE1EEEvSD_, .Lfunc_end891-_ZN7rocprim17ROCPRIM_400000_NS6detail17trampoline_kernelINS0_13kernel_configILj256ELj4ELj4294967295EEENS1_37radix_sort_block_sort_config_selectorImNS0_10empty_typeEEEZNS1_21radix_sort_block_sortIS4_Lb0EPmS9_PS6_SA_NS0_19identity_decomposerEEE10hipError_tT1_T2_T3_T4_jRjT5_jjP12ihipStream_tbEUlT_E_NS1_11comp_targetILNS1_3genE3ELNS1_11target_archE908ELNS1_3gpuE7ELNS1_3repE0EEENS1_44radix_sort_block_sort_config_static_selectorELNS0_4arch9wavefront6targetE1EEEvSD_
                                        ; -- End function
	.section	.AMDGPU.csdata,"",@progbits
; Kernel info:
; codeLenInByte = 0
; NumSgprs: 4
; NumVgprs: 0
; NumAgprs: 0
; TotalNumVgprs: 0
; ScratchSize: 0
; MemoryBound: 0
; FloatMode: 240
; IeeeMode: 1
; LDSByteSize: 0 bytes/workgroup (compile time only)
; SGPRBlocks: 0
; VGPRBlocks: 0
; NumSGPRsForWavesPerEU: 4
; NumVGPRsForWavesPerEU: 1
; AccumOffset: 4
; Occupancy: 8
; WaveLimiterHint : 0
; COMPUTE_PGM_RSRC2:SCRATCH_EN: 0
; COMPUTE_PGM_RSRC2:USER_SGPR: 6
; COMPUTE_PGM_RSRC2:TRAP_HANDLER: 0
; COMPUTE_PGM_RSRC2:TGID_X_EN: 1
; COMPUTE_PGM_RSRC2:TGID_Y_EN: 0
; COMPUTE_PGM_RSRC2:TGID_Z_EN: 0
; COMPUTE_PGM_RSRC2:TIDIG_COMP_CNT: 0
; COMPUTE_PGM_RSRC3_GFX90A:ACCUM_OFFSET: 0
; COMPUTE_PGM_RSRC3_GFX90A:TG_SPLIT: 0
	.section	.text._ZN7rocprim17ROCPRIM_400000_NS6detail17trampoline_kernelINS0_13kernel_configILj256ELj4ELj4294967295EEENS1_37radix_sort_block_sort_config_selectorImNS0_10empty_typeEEEZNS1_21radix_sort_block_sortIS4_Lb0EPmS9_PS6_SA_NS0_19identity_decomposerEEE10hipError_tT1_T2_T3_T4_jRjT5_jjP12ihipStream_tbEUlT_E_NS1_11comp_targetILNS1_3genE2ELNS1_11target_archE906ELNS1_3gpuE6ELNS1_3repE0EEENS1_44radix_sort_block_sort_config_static_selectorELNS0_4arch9wavefront6targetE1EEEvSD_,"axG",@progbits,_ZN7rocprim17ROCPRIM_400000_NS6detail17trampoline_kernelINS0_13kernel_configILj256ELj4ELj4294967295EEENS1_37radix_sort_block_sort_config_selectorImNS0_10empty_typeEEEZNS1_21radix_sort_block_sortIS4_Lb0EPmS9_PS6_SA_NS0_19identity_decomposerEEE10hipError_tT1_T2_T3_T4_jRjT5_jjP12ihipStream_tbEUlT_E_NS1_11comp_targetILNS1_3genE2ELNS1_11target_archE906ELNS1_3gpuE6ELNS1_3repE0EEENS1_44radix_sort_block_sort_config_static_selectorELNS0_4arch9wavefront6targetE1EEEvSD_,comdat
	.protected	_ZN7rocprim17ROCPRIM_400000_NS6detail17trampoline_kernelINS0_13kernel_configILj256ELj4ELj4294967295EEENS1_37radix_sort_block_sort_config_selectorImNS0_10empty_typeEEEZNS1_21radix_sort_block_sortIS4_Lb0EPmS9_PS6_SA_NS0_19identity_decomposerEEE10hipError_tT1_T2_T3_T4_jRjT5_jjP12ihipStream_tbEUlT_E_NS1_11comp_targetILNS1_3genE2ELNS1_11target_archE906ELNS1_3gpuE6ELNS1_3repE0EEENS1_44radix_sort_block_sort_config_static_selectorELNS0_4arch9wavefront6targetE1EEEvSD_ ; -- Begin function _ZN7rocprim17ROCPRIM_400000_NS6detail17trampoline_kernelINS0_13kernel_configILj256ELj4ELj4294967295EEENS1_37radix_sort_block_sort_config_selectorImNS0_10empty_typeEEEZNS1_21radix_sort_block_sortIS4_Lb0EPmS9_PS6_SA_NS0_19identity_decomposerEEE10hipError_tT1_T2_T3_T4_jRjT5_jjP12ihipStream_tbEUlT_E_NS1_11comp_targetILNS1_3genE2ELNS1_11target_archE906ELNS1_3gpuE6ELNS1_3repE0EEENS1_44radix_sort_block_sort_config_static_selectorELNS0_4arch9wavefront6targetE1EEEvSD_
	.globl	_ZN7rocprim17ROCPRIM_400000_NS6detail17trampoline_kernelINS0_13kernel_configILj256ELj4ELj4294967295EEENS1_37radix_sort_block_sort_config_selectorImNS0_10empty_typeEEEZNS1_21radix_sort_block_sortIS4_Lb0EPmS9_PS6_SA_NS0_19identity_decomposerEEE10hipError_tT1_T2_T3_T4_jRjT5_jjP12ihipStream_tbEUlT_E_NS1_11comp_targetILNS1_3genE2ELNS1_11target_archE906ELNS1_3gpuE6ELNS1_3repE0EEENS1_44radix_sort_block_sort_config_static_selectorELNS0_4arch9wavefront6targetE1EEEvSD_
	.p2align	8
	.type	_ZN7rocprim17ROCPRIM_400000_NS6detail17trampoline_kernelINS0_13kernel_configILj256ELj4ELj4294967295EEENS1_37radix_sort_block_sort_config_selectorImNS0_10empty_typeEEEZNS1_21radix_sort_block_sortIS4_Lb0EPmS9_PS6_SA_NS0_19identity_decomposerEEE10hipError_tT1_T2_T3_T4_jRjT5_jjP12ihipStream_tbEUlT_E_NS1_11comp_targetILNS1_3genE2ELNS1_11target_archE906ELNS1_3gpuE6ELNS1_3repE0EEENS1_44radix_sort_block_sort_config_static_selectorELNS0_4arch9wavefront6targetE1EEEvSD_,@function
_ZN7rocprim17ROCPRIM_400000_NS6detail17trampoline_kernelINS0_13kernel_configILj256ELj4ELj4294967295EEENS1_37radix_sort_block_sort_config_selectorImNS0_10empty_typeEEEZNS1_21radix_sort_block_sortIS4_Lb0EPmS9_PS6_SA_NS0_19identity_decomposerEEE10hipError_tT1_T2_T3_T4_jRjT5_jjP12ihipStream_tbEUlT_E_NS1_11comp_targetILNS1_3genE2ELNS1_11target_archE906ELNS1_3gpuE6ELNS1_3repE0EEENS1_44radix_sort_block_sort_config_static_selectorELNS0_4arch9wavefront6targetE1EEEvSD_: ; @_ZN7rocprim17ROCPRIM_400000_NS6detail17trampoline_kernelINS0_13kernel_configILj256ELj4ELj4294967295EEENS1_37radix_sort_block_sort_config_selectorImNS0_10empty_typeEEEZNS1_21radix_sort_block_sortIS4_Lb0EPmS9_PS6_SA_NS0_19identity_decomposerEEE10hipError_tT1_T2_T3_T4_jRjT5_jjP12ihipStream_tbEUlT_E_NS1_11comp_targetILNS1_3genE2ELNS1_11target_archE906ELNS1_3gpuE6ELNS1_3repE0EEENS1_44radix_sort_block_sort_config_static_selectorELNS0_4arch9wavefront6targetE1EEEvSD_
; %bb.0:
	.section	.rodata,"a",@progbits
	.p2align	6, 0x0
	.amdhsa_kernel _ZN7rocprim17ROCPRIM_400000_NS6detail17trampoline_kernelINS0_13kernel_configILj256ELj4ELj4294967295EEENS1_37radix_sort_block_sort_config_selectorImNS0_10empty_typeEEEZNS1_21radix_sort_block_sortIS4_Lb0EPmS9_PS6_SA_NS0_19identity_decomposerEEE10hipError_tT1_T2_T3_T4_jRjT5_jjP12ihipStream_tbEUlT_E_NS1_11comp_targetILNS1_3genE2ELNS1_11target_archE906ELNS1_3gpuE6ELNS1_3repE0EEENS1_44radix_sort_block_sort_config_static_selectorELNS0_4arch9wavefront6targetE1EEEvSD_
		.amdhsa_group_segment_fixed_size 0
		.amdhsa_private_segment_fixed_size 0
		.amdhsa_kernarg_size 48
		.amdhsa_user_sgpr_count 6
		.amdhsa_user_sgpr_private_segment_buffer 1
		.amdhsa_user_sgpr_dispatch_ptr 0
		.amdhsa_user_sgpr_queue_ptr 0
		.amdhsa_user_sgpr_kernarg_segment_ptr 1
		.amdhsa_user_sgpr_dispatch_id 0
		.amdhsa_user_sgpr_flat_scratch_init 0
		.amdhsa_user_sgpr_kernarg_preload_length 0
		.amdhsa_user_sgpr_kernarg_preload_offset 0
		.amdhsa_user_sgpr_private_segment_size 0
		.amdhsa_uses_dynamic_stack 0
		.amdhsa_system_sgpr_private_segment_wavefront_offset 0
		.amdhsa_system_sgpr_workgroup_id_x 1
		.amdhsa_system_sgpr_workgroup_id_y 0
		.amdhsa_system_sgpr_workgroup_id_z 0
		.amdhsa_system_sgpr_workgroup_info 0
		.amdhsa_system_vgpr_workitem_id 0
		.amdhsa_next_free_vgpr 1
		.amdhsa_next_free_sgpr 0
		.amdhsa_accum_offset 4
		.amdhsa_reserve_vcc 0
		.amdhsa_reserve_flat_scratch 0
		.amdhsa_float_round_mode_32 0
		.amdhsa_float_round_mode_16_64 0
		.amdhsa_float_denorm_mode_32 3
		.amdhsa_float_denorm_mode_16_64 3
		.amdhsa_dx10_clamp 1
		.amdhsa_ieee_mode 1
		.amdhsa_fp16_overflow 0
		.amdhsa_tg_split 0
		.amdhsa_exception_fp_ieee_invalid_op 0
		.amdhsa_exception_fp_denorm_src 0
		.amdhsa_exception_fp_ieee_div_zero 0
		.amdhsa_exception_fp_ieee_overflow 0
		.amdhsa_exception_fp_ieee_underflow 0
		.amdhsa_exception_fp_ieee_inexact 0
		.amdhsa_exception_int_div_zero 0
	.end_amdhsa_kernel
	.section	.text._ZN7rocprim17ROCPRIM_400000_NS6detail17trampoline_kernelINS0_13kernel_configILj256ELj4ELj4294967295EEENS1_37radix_sort_block_sort_config_selectorImNS0_10empty_typeEEEZNS1_21radix_sort_block_sortIS4_Lb0EPmS9_PS6_SA_NS0_19identity_decomposerEEE10hipError_tT1_T2_T3_T4_jRjT5_jjP12ihipStream_tbEUlT_E_NS1_11comp_targetILNS1_3genE2ELNS1_11target_archE906ELNS1_3gpuE6ELNS1_3repE0EEENS1_44radix_sort_block_sort_config_static_selectorELNS0_4arch9wavefront6targetE1EEEvSD_,"axG",@progbits,_ZN7rocprim17ROCPRIM_400000_NS6detail17trampoline_kernelINS0_13kernel_configILj256ELj4ELj4294967295EEENS1_37radix_sort_block_sort_config_selectorImNS0_10empty_typeEEEZNS1_21radix_sort_block_sortIS4_Lb0EPmS9_PS6_SA_NS0_19identity_decomposerEEE10hipError_tT1_T2_T3_T4_jRjT5_jjP12ihipStream_tbEUlT_E_NS1_11comp_targetILNS1_3genE2ELNS1_11target_archE906ELNS1_3gpuE6ELNS1_3repE0EEENS1_44radix_sort_block_sort_config_static_selectorELNS0_4arch9wavefront6targetE1EEEvSD_,comdat
.Lfunc_end892:
	.size	_ZN7rocprim17ROCPRIM_400000_NS6detail17trampoline_kernelINS0_13kernel_configILj256ELj4ELj4294967295EEENS1_37radix_sort_block_sort_config_selectorImNS0_10empty_typeEEEZNS1_21radix_sort_block_sortIS4_Lb0EPmS9_PS6_SA_NS0_19identity_decomposerEEE10hipError_tT1_T2_T3_T4_jRjT5_jjP12ihipStream_tbEUlT_E_NS1_11comp_targetILNS1_3genE2ELNS1_11target_archE906ELNS1_3gpuE6ELNS1_3repE0EEENS1_44radix_sort_block_sort_config_static_selectorELNS0_4arch9wavefront6targetE1EEEvSD_, .Lfunc_end892-_ZN7rocprim17ROCPRIM_400000_NS6detail17trampoline_kernelINS0_13kernel_configILj256ELj4ELj4294967295EEENS1_37radix_sort_block_sort_config_selectorImNS0_10empty_typeEEEZNS1_21radix_sort_block_sortIS4_Lb0EPmS9_PS6_SA_NS0_19identity_decomposerEEE10hipError_tT1_T2_T3_T4_jRjT5_jjP12ihipStream_tbEUlT_E_NS1_11comp_targetILNS1_3genE2ELNS1_11target_archE906ELNS1_3gpuE6ELNS1_3repE0EEENS1_44radix_sort_block_sort_config_static_selectorELNS0_4arch9wavefront6targetE1EEEvSD_
                                        ; -- End function
	.section	.AMDGPU.csdata,"",@progbits
; Kernel info:
; codeLenInByte = 0
; NumSgprs: 4
; NumVgprs: 0
; NumAgprs: 0
; TotalNumVgprs: 0
; ScratchSize: 0
; MemoryBound: 0
; FloatMode: 240
; IeeeMode: 1
; LDSByteSize: 0 bytes/workgroup (compile time only)
; SGPRBlocks: 0
; VGPRBlocks: 0
; NumSGPRsForWavesPerEU: 4
; NumVGPRsForWavesPerEU: 1
; AccumOffset: 4
; Occupancy: 8
; WaveLimiterHint : 0
; COMPUTE_PGM_RSRC2:SCRATCH_EN: 0
; COMPUTE_PGM_RSRC2:USER_SGPR: 6
; COMPUTE_PGM_RSRC2:TRAP_HANDLER: 0
; COMPUTE_PGM_RSRC2:TGID_X_EN: 1
; COMPUTE_PGM_RSRC2:TGID_Y_EN: 0
; COMPUTE_PGM_RSRC2:TGID_Z_EN: 0
; COMPUTE_PGM_RSRC2:TIDIG_COMP_CNT: 0
; COMPUTE_PGM_RSRC3_GFX90A:ACCUM_OFFSET: 0
; COMPUTE_PGM_RSRC3_GFX90A:TG_SPLIT: 0
	.section	.text._ZN7rocprim17ROCPRIM_400000_NS6detail17trampoline_kernelINS0_13kernel_configILj256ELj4ELj4294967295EEENS1_37radix_sort_block_sort_config_selectorImNS0_10empty_typeEEEZNS1_21radix_sort_block_sortIS4_Lb0EPmS9_PS6_SA_NS0_19identity_decomposerEEE10hipError_tT1_T2_T3_T4_jRjT5_jjP12ihipStream_tbEUlT_E_NS1_11comp_targetILNS1_3genE10ELNS1_11target_archE1201ELNS1_3gpuE5ELNS1_3repE0EEENS1_44radix_sort_block_sort_config_static_selectorELNS0_4arch9wavefront6targetE1EEEvSD_,"axG",@progbits,_ZN7rocprim17ROCPRIM_400000_NS6detail17trampoline_kernelINS0_13kernel_configILj256ELj4ELj4294967295EEENS1_37radix_sort_block_sort_config_selectorImNS0_10empty_typeEEEZNS1_21radix_sort_block_sortIS4_Lb0EPmS9_PS6_SA_NS0_19identity_decomposerEEE10hipError_tT1_T2_T3_T4_jRjT5_jjP12ihipStream_tbEUlT_E_NS1_11comp_targetILNS1_3genE10ELNS1_11target_archE1201ELNS1_3gpuE5ELNS1_3repE0EEENS1_44radix_sort_block_sort_config_static_selectorELNS0_4arch9wavefront6targetE1EEEvSD_,comdat
	.protected	_ZN7rocprim17ROCPRIM_400000_NS6detail17trampoline_kernelINS0_13kernel_configILj256ELj4ELj4294967295EEENS1_37radix_sort_block_sort_config_selectorImNS0_10empty_typeEEEZNS1_21radix_sort_block_sortIS4_Lb0EPmS9_PS6_SA_NS0_19identity_decomposerEEE10hipError_tT1_T2_T3_T4_jRjT5_jjP12ihipStream_tbEUlT_E_NS1_11comp_targetILNS1_3genE10ELNS1_11target_archE1201ELNS1_3gpuE5ELNS1_3repE0EEENS1_44radix_sort_block_sort_config_static_selectorELNS0_4arch9wavefront6targetE1EEEvSD_ ; -- Begin function _ZN7rocprim17ROCPRIM_400000_NS6detail17trampoline_kernelINS0_13kernel_configILj256ELj4ELj4294967295EEENS1_37radix_sort_block_sort_config_selectorImNS0_10empty_typeEEEZNS1_21radix_sort_block_sortIS4_Lb0EPmS9_PS6_SA_NS0_19identity_decomposerEEE10hipError_tT1_T2_T3_T4_jRjT5_jjP12ihipStream_tbEUlT_E_NS1_11comp_targetILNS1_3genE10ELNS1_11target_archE1201ELNS1_3gpuE5ELNS1_3repE0EEENS1_44radix_sort_block_sort_config_static_selectorELNS0_4arch9wavefront6targetE1EEEvSD_
	.globl	_ZN7rocprim17ROCPRIM_400000_NS6detail17trampoline_kernelINS0_13kernel_configILj256ELj4ELj4294967295EEENS1_37radix_sort_block_sort_config_selectorImNS0_10empty_typeEEEZNS1_21radix_sort_block_sortIS4_Lb0EPmS9_PS6_SA_NS0_19identity_decomposerEEE10hipError_tT1_T2_T3_T4_jRjT5_jjP12ihipStream_tbEUlT_E_NS1_11comp_targetILNS1_3genE10ELNS1_11target_archE1201ELNS1_3gpuE5ELNS1_3repE0EEENS1_44radix_sort_block_sort_config_static_selectorELNS0_4arch9wavefront6targetE1EEEvSD_
	.p2align	8
	.type	_ZN7rocprim17ROCPRIM_400000_NS6detail17trampoline_kernelINS0_13kernel_configILj256ELj4ELj4294967295EEENS1_37radix_sort_block_sort_config_selectorImNS0_10empty_typeEEEZNS1_21radix_sort_block_sortIS4_Lb0EPmS9_PS6_SA_NS0_19identity_decomposerEEE10hipError_tT1_T2_T3_T4_jRjT5_jjP12ihipStream_tbEUlT_E_NS1_11comp_targetILNS1_3genE10ELNS1_11target_archE1201ELNS1_3gpuE5ELNS1_3repE0EEENS1_44radix_sort_block_sort_config_static_selectorELNS0_4arch9wavefront6targetE1EEEvSD_,@function
_ZN7rocprim17ROCPRIM_400000_NS6detail17trampoline_kernelINS0_13kernel_configILj256ELj4ELj4294967295EEENS1_37radix_sort_block_sort_config_selectorImNS0_10empty_typeEEEZNS1_21radix_sort_block_sortIS4_Lb0EPmS9_PS6_SA_NS0_19identity_decomposerEEE10hipError_tT1_T2_T3_T4_jRjT5_jjP12ihipStream_tbEUlT_E_NS1_11comp_targetILNS1_3genE10ELNS1_11target_archE1201ELNS1_3gpuE5ELNS1_3repE0EEENS1_44radix_sort_block_sort_config_static_selectorELNS0_4arch9wavefront6targetE1EEEvSD_: ; @_ZN7rocprim17ROCPRIM_400000_NS6detail17trampoline_kernelINS0_13kernel_configILj256ELj4ELj4294967295EEENS1_37radix_sort_block_sort_config_selectorImNS0_10empty_typeEEEZNS1_21radix_sort_block_sortIS4_Lb0EPmS9_PS6_SA_NS0_19identity_decomposerEEE10hipError_tT1_T2_T3_T4_jRjT5_jjP12ihipStream_tbEUlT_E_NS1_11comp_targetILNS1_3genE10ELNS1_11target_archE1201ELNS1_3gpuE5ELNS1_3repE0EEENS1_44radix_sort_block_sort_config_static_selectorELNS0_4arch9wavefront6targetE1EEEvSD_
; %bb.0:
	.section	.rodata,"a",@progbits
	.p2align	6, 0x0
	.amdhsa_kernel _ZN7rocprim17ROCPRIM_400000_NS6detail17trampoline_kernelINS0_13kernel_configILj256ELj4ELj4294967295EEENS1_37radix_sort_block_sort_config_selectorImNS0_10empty_typeEEEZNS1_21radix_sort_block_sortIS4_Lb0EPmS9_PS6_SA_NS0_19identity_decomposerEEE10hipError_tT1_T2_T3_T4_jRjT5_jjP12ihipStream_tbEUlT_E_NS1_11comp_targetILNS1_3genE10ELNS1_11target_archE1201ELNS1_3gpuE5ELNS1_3repE0EEENS1_44radix_sort_block_sort_config_static_selectorELNS0_4arch9wavefront6targetE1EEEvSD_
		.amdhsa_group_segment_fixed_size 0
		.amdhsa_private_segment_fixed_size 0
		.amdhsa_kernarg_size 48
		.amdhsa_user_sgpr_count 6
		.amdhsa_user_sgpr_private_segment_buffer 1
		.amdhsa_user_sgpr_dispatch_ptr 0
		.amdhsa_user_sgpr_queue_ptr 0
		.amdhsa_user_sgpr_kernarg_segment_ptr 1
		.amdhsa_user_sgpr_dispatch_id 0
		.amdhsa_user_sgpr_flat_scratch_init 0
		.amdhsa_user_sgpr_kernarg_preload_length 0
		.amdhsa_user_sgpr_kernarg_preload_offset 0
		.amdhsa_user_sgpr_private_segment_size 0
		.amdhsa_uses_dynamic_stack 0
		.amdhsa_system_sgpr_private_segment_wavefront_offset 0
		.amdhsa_system_sgpr_workgroup_id_x 1
		.amdhsa_system_sgpr_workgroup_id_y 0
		.amdhsa_system_sgpr_workgroup_id_z 0
		.amdhsa_system_sgpr_workgroup_info 0
		.amdhsa_system_vgpr_workitem_id 0
		.amdhsa_next_free_vgpr 1
		.amdhsa_next_free_sgpr 0
		.amdhsa_accum_offset 4
		.amdhsa_reserve_vcc 0
		.amdhsa_reserve_flat_scratch 0
		.amdhsa_float_round_mode_32 0
		.amdhsa_float_round_mode_16_64 0
		.amdhsa_float_denorm_mode_32 3
		.amdhsa_float_denorm_mode_16_64 3
		.amdhsa_dx10_clamp 1
		.amdhsa_ieee_mode 1
		.amdhsa_fp16_overflow 0
		.amdhsa_tg_split 0
		.amdhsa_exception_fp_ieee_invalid_op 0
		.amdhsa_exception_fp_denorm_src 0
		.amdhsa_exception_fp_ieee_div_zero 0
		.amdhsa_exception_fp_ieee_overflow 0
		.amdhsa_exception_fp_ieee_underflow 0
		.amdhsa_exception_fp_ieee_inexact 0
		.amdhsa_exception_int_div_zero 0
	.end_amdhsa_kernel
	.section	.text._ZN7rocprim17ROCPRIM_400000_NS6detail17trampoline_kernelINS0_13kernel_configILj256ELj4ELj4294967295EEENS1_37radix_sort_block_sort_config_selectorImNS0_10empty_typeEEEZNS1_21radix_sort_block_sortIS4_Lb0EPmS9_PS6_SA_NS0_19identity_decomposerEEE10hipError_tT1_T2_T3_T4_jRjT5_jjP12ihipStream_tbEUlT_E_NS1_11comp_targetILNS1_3genE10ELNS1_11target_archE1201ELNS1_3gpuE5ELNS1_3repE0EEENS1_44radix_sort_block_sort_config_static_selectorELNS0_4arch9wavefront6targetE1EEEvSD_,"axG",@progbits,_ZN7rocprim17ROCPRIM_400000_NS6detail17trampoline_kernelINS0_13kernel_configILj256ELj4ELj4294967295EEENS1_37radix_sort_block_sort_config_selectorImNS0_10empty_typeEEEZNS1_21radix_sort_block_sortIS4_Lb0EPmS9_PS6_SA_NS0_19identity_decomposerEEE10hipError_tT1_T2_T3_T4_jRjT5_jjP12ihipStream_tbEUlT_E_NS1_11comp_targetILNS1_3genE10ELNS1_11target_archE1201ELNS1_3gpuE5ELNS1_3repE0EEENS1_44radix_sort_block_sort_config_static_selectorELNS0_4arch9wavefront6targetE1EEEvSD_,comdat
.Lfunc_end893:
	.size	_ZN7rocprim17ROCPRIM_400000_NS6detail17trampoline_kernelINS0_13kernel_configILj256ELj4ELj4294967295EEENS1_37radix_sort_block_sort_config_selectorImNS0_10empty_typeEEEZNS1_21radix_sort_block_sortIS4_Lb0EPmS9_PS6_SA_NS0_19identity_decomposerEEE10hipError_tT1_T2_T3_T4_jRjT5_jjP12ihipStream_tbEUlT_E_NS1_11comp_targetILNS1_3genE10ELNS1_11target_archE1201ELNS1_3gpuE5ELNS1_3repE0EEENS1_44radix_sort_block_sort_config_static_selectorELNS0_4arch9wavefront6targetE1EEEvSD_, .Lfunc_end893-_ZN7rocprim17ROCPRIM_400000_NS6detail17trampoline_kernelINS0_13kernel_configILj256ELj4ELj4294967295EEENS1_37radix_sort_block_sort_config_selectorImNS0_10empty_typeEEEZNS1_21radix_sort_block_sortIS4_Lb0EPmS9_PS6_SA_NS0_19identity_decomposerEEE10hipError_tT1_T2_T3_T4_jRjT5_jjP12ihipStream_tbEUlT_E_NS1_11comp_targetILNS1_3genE10ELNS1_11target_archE1201ELNS1_3gpuE5ELNS1_3repE0EEENS1_44radix_sort_block_sort_config_static_selectorELNS0_4arch9wavefront6targetE1EEEvSD_
                                        ; -- End function
	.section	.AMDGPU.csdata,"",@progbits
; Kernel info:
; codeLenInByte = 0
; NumSgprs: 4
; NumVgprs: 0
; NumAgprs: 0
; TotalNumVgprs: 0
; ScratchSize: 0
; MemoryBound: 0
; FloatMode: 240
; IeeeMode: 1
; LDSByteSize: 0 bytes/workgroup (compile time only)
; SGPRBlocks: 0
; VGPRBlocks: 0
; NumSGPRsForWavesPerEU: 4
; NumVGPRsForWavesPerEU: 1
; AccumOffset: 4
; Occupancy: 8
; WaveLimiterHint : 0
; COMPUTE_PGM_RSRC2:SCRATCH_EN: 0
; COMPUTE_PGM_RSRC2:USER_SGPR: 6
; COMPUTE_PGM_RSRC2:TRAP_HANDLER: 0
; COMPUTE_PGM_RSRC2:TGID_X_EN: 1
; COMPUTE_PGM_RSRC2:TGID_Y_EN: 0
; COMPUTE_PGM_RSRC2:TGID_Z_EN: 0
; COMPUTE_PGM_RSRC2:TIDIG_COMP_CNT: 0
; COMPUTE_PGM_RSRC3_GFX90A:ACCUM_OFFSET: 0
; COMPUTE_PGM_RSRC3_GFX90A:TG_SPLIT: 0
	.section	.text._ZN7rocprim17ROCPRIM_400000_NS6detail17trampoline_kernelINS0_13kernel_configILj256ELj4ELj4294967295EEENS1_37radix_sort_block_sort_config_selectorImNS0_10empty_typeEEEZNS1_21radix_sort_block_sortIS4_Lb0EPmS9_PS6_SA_NS0_19identity_decomposerEEE10hipError_tT1_T2_T3_T4_jRjT5_jjP12ihipStream_tbEUlT_E_NS1_11comp_targetILNS1_3genE10ELNS1_11target_archE1200ELNS1_3gpuE4ELNS1_3repE0EEENS1_44radix_sort_block_sort_config_static_selectorELNS0_4arch9wavefront6targetE1EEEvSD_,"axG",@progbits,_ZN7rocprim17ROCPRIM_400000_NS6detail17trampoline_kernelINS0_13kernel_configILj256ELj4ELj4294967295EEENS1_37radix_sort_block_sort_config_selectorImNS0_10empty_typeEEEZNS1_21radix_sort_block_sortIS4_Lb0EPmS9_PS6_SA_NS0_19identity_decomposerEEE10hipError_tT1_T2_T3_T4_jRjT5_jjP12ihipStream_tbEUlT_E_NS1_11comp_targetILNS1_3genE10ELNS1_11target_archE1200ELNS1_3gpuE4ELNS1_3repE0EEENS1_44radix_sort_block_sort_config_static_selectorELNS0_4arch9wavefront6targetE1EEEvSD_,comdat
	.protected	_ZN7rocprim17ROCPRIM_400000_NS6detail17trampoline_kernelINS0_13kernel_configILj256ELj4ELj4294967295EEENS1_37radix_sort_block_sort_config_selectorImNS0_10empty_typeEEEZNS1_21radix_sort_block_sortIS4_Lb0EPmS9_PS6_SA_NS0_19identity_decomposerEEE10hipError_tT1_T2_T3_T4_jRjT5_jjP12ihipStream_tbEUlT_E_NS1_11comp_targetILNS1_3genE10ELNS1_11target_archE1200ELNS1_3gpuE4ELNS1_3repE0EEENS1_44radix_sort_block_sort_config_static_selectorELNS0_4arch9wavefront6targetE1EEEvSD_ ; -- Begin function _ZN7rocprim17ROCPRIM_400000_NS6detail17trampoline_kernelINS0_13kernel_configILj256ELj4ELj4294967295EEENS1_37radix_sort_block_sort_config_selectorImNS0_10empty_typeEEEZNS1_21radix_sort_block_sortIS4_Lb0EPmS9_PS6_SA_NS0_19identity_decomposerEEE10hipError_tT1_T2_T3_T4_jRjT5_jjP12ihipStream_tbEUlT_E_NS1_11comp_targetILNS1_3genE10ELNS1_11target_archE1200ELNS1_3gpuE4ELNS1_3repE0EEENS1_44radix_sort_block_sort_config_static_selectorELNS0_4arch9wavefront6targetE1EEEvSD_
	.globl	_ZN7rocprim17ROCPRIM_400000_NS6detail17trampoline_kernelINS0_13kernel_configILj256ELj4ELj4294967295EEENS1_37radix_sort_block_sort_config_selectorImNS0_10empty_typeEEEZNS1_21radix_sort_block_sortIS4_Lb0EPmS9_PS6_SA_NS0_19identity_decomposerEEE10hipError_tT1_T2_T3_T4_jRjT5_jjP12ihipStream_tbEUlT_E_NS1_11comp_targetILNS1_3genE10ELNS1_11target_archE1200ELNS1_3gpuE4ELNS1_3repE0EEENS1_44radix_sort_block_sort_config_static_selectorELNS0_4arch9wavefront6targetE1EEEvSD_
	.p2align	8
	.type	_ZN7rocprim17ROCPRIM_400000_NS6detail17trampoline_kernelINS0_13kernel_configILj256ELj4ELj4294967295EEENS1_37radix_sort_block_sort_config_selectorImNS0_10empty_typeEEEZNS1_21radix_sort_block_sortIS4_Lb0EPmS9_PS6_SA_NS0_19identity_decomposerEEE10hipError_tT1_T2_T3_T4_jRjT5_jjP12ihipStream_tbEUlT_E_NS1_11comp_targetILNS1_3genE10ELNS1_11target_archE1200ELNS1_3gpuE4ELNS1_3repE0EEENS1_44radix_sort_block_sort_config_static_selectorELNS0_4arch9wavefront6targetE1EEEvSD_,@function
_ZN7rocprim17ROCPRIM_400000_NS6detail17trampoline_kernelINS0_13kernel_configILj256ELj4ELj4294967295EEENS1_37radix_sort_block_sort_config_selectorImNS0_10empty_typeEEEZNS1_21radix_sort_block_sortIS4_Lb0EPmS9_PS6_SA_NS0_19identity_decomposerEEE10hipError_tT1_T2_T3_T4_jRjT5_jjP12ihipStream_tbEUlT_E_NS1_11comp_targetILNS1_3genE10ELNS1_11target_archE1200ELNS1_3gpuE4ELNS1_3repE0EEENS1_44radix_sort_block_sort_config_static_selectorELNS0_4arch9wavefront6targetE1EEEvSD_: ; @_ZN7rocprim17ROCPRIM_400000_NS6detail17trampoline_kernelINS0_13kernel_configILj256ELj4ELj4294967295EEENS1_37radix_sort_block_sort_config_selectorImNS0_10empty_typeEEEZNS1_21radix_sort_block_sortIS4_Lb0EPmS9_PS6_SA_NS0_19identity_decomposerEEE10hipError_tT1_T2_T3_T4_jRjT5_jjP12ihipStream_tbEUlT_E_NS1_11comp_targetILNS1_3genE10ELNS1_11target_archE1200ELNS1_3gpuE4ELNS1_3repE0EEENS1_44radix_sort_block_sort_config_static_selectorELNS0_4arch9wavefront6targetE1EEEvSD_
; %bb.0:
	.section	.rodata,"a",@progbits
	.p2align	6, 0x0
	.amdhsa_kernel _ZN7rocprim17ROCPRIM_400000_NS6detail17trampoline_kernelINS0_13kernel_configILj256ELj4ELj4294967295EEENS1_37radix_sort_block_sort_config_selectorImNS0_10empty_typeEEEZNS1_21radix_sort_block_sortIS4_Lb0EPmS9_PS6_SA_NS0_19identity_decomposerEEE10hipError_tT1_T2_T3_T4_jRjT5_jjP12ihipStream_tbEUlT_E_NS1_11comp_targetILNS1_3genE10ELNS1_11target_archE1200ELNS1_3gpuE4ELNS1_3repE0EEENS1_44radix_sort_block_sort_config_static_selectorELNS0_4arch9wavefront6targetE1EEEvSD_
		.amdhsa_group_segment_fixed_size 0
		.amdhsa_private_segment_fixed_size 0
		.amdhsa_kernarg_size 48
		.amdhsa_user_sgpr_count 6
		.amdhsa_user_sgpr_private_segment_buffer 1
		.amdhsa_user_sgpr_dispatch_ptr 0
		.amdhsa_user_sgpr_queue_ptr 0
		.amdhsa_user_sgpr_kernarg_segment_ptr 1
		.amdhsa_user_sgpr_dispatch_id 0
		.amdhsa_user_sgpr_flat_scratch_init 0
		.amdhsa_user_sgpr_kernarg_preload_length 0
		.amdhsa_user_sgpr_kernarg_preload_offset 0
		.amdhsa_user_sgpr_private_segment_size 0
		.amdhsa_uses_dynamic_stack 0
		.amdhsa_system_sgpr_private_segment_wavefront_offset 0
		.amdhsa_system_sgpr_workgroup_id_x 1
		.amdhsa_system_sgpr_workgroup_id_y 0
		.amdhsa_system_sgpr_workgroup_id_z 0
		.amdhsa_system_sgpr_workgroup_info 0
		.amdhsa_system_vgpr_workitem_id 0
		.amdhsa_next_free_vgpr 1
		.amdhsa_next_free_sgpr 0
		.amdhsa_accum_offset 4
		.amdhsa_reserve_vcc 0
		.amdhsa_reserve_flat_scratch 0
		.amdhsa_float_round_mode_32 0
		.amdhsa_float_round_mode_16_64 0
		.amdhsa_float_denorm_mode_32 3
		.amdhsa_float_denorm_mode_16_64 3
		.amdhsa_dx10_clamp 1
		.amdhsa_ieee_mode 1
		.amdhsa_fp16_overflow 0
		.amdhsa_tg_split 0
		.amdhsa_exception_fp_ieee_invalid_op 0
		.amdhsa_exception_fp_denorm_src 0
		.amdhsa_exception_fp_ieee_div_zero 0
		.amdhsa_exception_fp_ieee_overflow 0
		.amdhsa_exception_fp_ieee_underflow 0
		.amdhsa_exception_fp_ieee_inexact 0
		.amdhsa_exception_int_div_zero 0
	.end_amdhsa_kernel
	.section	.text._ZN7rocprim17ROCPRIM_400000_NS6detail17trampoline_kernelINS0_13kernel_configILj256ELj4ELj4294967295EEENS1_37radix_sort_block_sort_config_selectorImNS0_10empty_typeEEEZNS1_21radix_sort_block_sortIS4_Lb0EPmS9_PS6_SA_NS0_19identity_decomposerEEE10hipError_tT1_T2_T3_T4_jRjT5_jjP12ihipStream_tbEUlT_E_NS1_11comp_targetILNS1_3genE10ELNS1_11target_archE1200ELNS1_3gpuE4ELNS1_3repE0EEENS1_44radix_sort_block_sort_config_static_selectorELNS0_4arch9wavefront6targetE1EEEvSD_,"axG",@progbits,_ZN7rocprim17ROCPRIM_400000_NS6detail17trampoline_kernelINS0_13kernel_configILj256ELj4ELj4294967295EEENS1_37radix_sort_block_sort_config_selectorImNS0_10empty_typeEEEZNS1_21radix_sort_block_sortIS4_Lb0EPmS9_PS6_SA_NS0_19identity_decomposerEEE10hipError_tT1_T2_T3_T4_jRjT5_jjP12ihipStream_tbEUlT_E_NS1_11comp_targetILNS1_3genE10ELNS1_11target_archE1200ELNS1_3gpuE4ELNS1_3repE0EEENS1_44radix_sort_block_sort_config_static_selectorELNS0_4arch9wavefront6targetE1EEEvSD_,comdat
.Lfunc_end894:
	.size	_ZN7rocprim17ROCPRIM_400000_NS6detail17trampoline_kernelINS0_13kernel_configILj256ELj4ELj4294967295EEENS1_37radix_sort_block_sort_config_selectorImNS0_10empty_typeEEEZNS1_21radix_sort_block_sortIS4_Lb0EPmS9_PS6_SA_NS0_19identity_decomposerEEE10hipError_tT1_T2_T3_T4_jRjT5_jjP12ihipStream_tbEUlT_E_NS1_11comp_targetILNS1_3genE10ELNS1_11target_archE1200ELNS1_3gpuE4ELNS1_3repE0EEENS1_44radix_sort_block_sort_config_static_selectorELNS0_4arch9wavefront6targetE1EEEvSD_, .Lfunc_end894-_ZN7rocprim17ROCPRIM_400000_NS6detail17trampoline_kernelINS0_13kernel_configILj256ELj4ELj4294967295EEENS1_37radix_sort_block_sort_config_selectorImNS0_10empty_typeEEEZNS1_21radix_sort_block_sortIS4_Lb0EPmS9_PS6_SA_NS0_19identity_decomposerEEE10hipError_tT1_T2_T3_T4_jRjT5_jjP12ihipStream_tbEUlT_E_NS1_11comp_targetILNS1_3genE10ELNS1_11target_archE1200ELNS1_3gpuE4ELNS1_3repE0EEENS1_44radix_sort_block_sort_config_static_selectorELNS0_4arch9wavefront6targetE1EEEvSD_
                                        ; -- End function
	.section	.AMDGPU.csdata,"",@progbits
; Kernel info:
; codeLenInByte = 0
; NumSgprs: 4
; NumVgprs: 0
; NumAgprs: 0
; TotalNumVgprs: 0
; ScratchSize: 0
; MemoryBound: 0
; FloatMode: 240
; IeeeMode: 1
; LDSByteSize: 0 bytes/workgroup (compile time only)
; SGPRBlocks: 0
; VGPRBlocks: 0
; NumSGPRsForWavesPerEU: 4
; NumVGPRsForWavesPerEU: 1
; AccumOffset: 4
; Occupancy: 8
; WaveLimiterHint : 0
; COMPUTE_PGM_RSRC2:SCRATCH_EN: 0
; COMPUTE_PGM_RSRC2:USER_SGPR: 6
; COMPUTE_PGM_RSRC2:TRAP_HANDLER: 0
; COMPUTE_PGM_RSRC2:TGID_X_EN: 1
; COMPUTE_PGM_RSRC2:TGID_Y_EN: 0
; COMPUTE_PGM_RSRC2:TGID_Z_EN: 0
; COMPUTE_PGM_RSRC2:TIDIG_COMP_CNT: 0
; COMPUTE_PGM_RSRC3_GFX90A:ACCUM_OFFSET: 0
; COMPUTE_PGM_RSRC3_GFX90A:TG_SPLIT: 0
	.section	.text._ZN7rocprim17ROCPRIM_400000_NS6detail17trampoline_kernelINS0_13kernel_configILj256ELj4ELj4294967295EEENS1_37radix_sort_block_sort_config_selectorImNS0_10empty_typeEEEZNS1_21radix_sort_block_sortIS4_Lb0EPmS9_PS6_SA_NS0_19identity_decomposerEEE10hipError_tT1_T2_T3_T4_jRjT5_jjP12ihipStream_tbEUlT_E_NS1_11comp_targetILNS1_3genE9ELNS1_11target_archE1100ELNS1_3gpuE3ELNS1_3repE0EEENS1_44radix_sort_block_sort_config_static_selectorELNS0_4arch9wavefront6targetE1EEEvSD_,"axG",@progbits,_ZN7rocprim17ROCPRIM_400000_NS6detail17trampoline_kernelINS0_13kernel_configILj256ELj4ELj4294967295EEENS1_37radix_sort_block_sort_config_selectorImNS0_10empty_typeEEEZNS1_21radix_sort_block_sortIS4_Lb0EPmS9_PS6_SA_NS0_19identity_decomposerEEE10hipError_tT1_T2_T3_T4_jRjT5_jjP12ihipStream_tbEUlT_E_NS1_11comp_targetILNS1_3genE9ELNS1_11target_archE1100ELNS1_3gpuE3ELNS1_3repE0EEENS1_44radix_sort_block_sort_config_static_selectorELNS0_4arch9wavefront6targetE1EEEvSD_,comdat
	.protected	_ZN7rocprim17ROCPRIM_400000_NS6detail17trampoline_kernelINS0_13kernel_configILj256ELj4ELj4294967295EEENS1_37radix_sort_block_sort_config_selectorImNS0_10empty_typeEEEZNS1_21radix_sort_block_sortIS4_Lb0EPmS9_PS6_SA_NS0_19identity_decomposerEEE10hipError_tT1_T2_T3_T4_jRjT5_jjP12ihipStream_tbEUlT_E_NS1_11comp_targetILNS1_3genE9ELNS1_11target_archE1100ELNS1_3gpuE3ELNS1_3repE0EEENS1_44radix_sort_block_sort_config_static_selectorELNS0_4arch9wavefront6targetE1EEEvSD_ ; -- Begin function _ZN7rocprim17ROCPRIM_400000_NS6detail17trampoline_kernelINS0_13kernel_configILj256ELj4ELj4294967295EEENS1_37radix_sort_block_sort_config_selectorImNS0_10empty_typeEEEZNS1_21radix_sort_block_sortIS4_Lb0EPmS9_PS6_SA_NS0_19identity_decomposerEEE10hipError_tT1_T2_T3_T4_jRjT5_jjP12ihipStream_tbEUlT_E_NS1_11comp_targetILNS1_3genE9ELNS1_11target_archE1100ELNS1_3gpuE3ELNS1_3repE0EEENS1_44radix_sort_block_sort_config_static_selectorELNS0_4arch9wavefront6targetE1EEEvSD_
	.globl	_ZN7rocprim17ROCPRIM_400000_NS6detail17trampoline_kernelINS0_13kernel_configILj256ELj4ELj4294967295EEENS1_37radix_sort_block_sort_config_selectorImNS0_10empty_typeEEEZNS1_21radix_sort_block_sortIS4_Lb0EPmS9_PS6_SA_NS0_19identity_decomposerEEE10hipError_tT1_T2_T3_T4_jRjT5_jjP12ihipStream_tbEUlT_E_NS1_11comp_targetILNS1_3genE9ELNS1_11target_archE1100ELNS1_3gpuE3ELNS1_3repE0EEENS1_44radix_sort_block_sort_config_static_selectorELNS0_4arch9wavefront6targetE1EEEvSD_
	.p2align	8
	.type	_ZN7rocprim17ROCPRIM_400000_NS6detail17trampoline_kernelINS0_13kernel_configILj256ELj4ELj4294967295EEENS1_37radix_sort_block_sort_config_selectorImNS0_10empty_typeEEEZNS1_21radix_sort_block_sortIS4_Lb0EPmS9_PS6_SA_NS0_19identity_decomposerEEE10hipError_tT1_T2_T3_T4_jRjT5_jjP12ihipStream_tbEUlT_E_NS1_11comp_targetILNS1_3genE9ELNS1_11target_archE1100ELNS1_3gpuE3ELNS1_3repE0EEENS1_44radix_sort_block_sort_config_static_selectorELNS0_4arch9wavefront6targetE1EEEvSD_,@function
_ZN7rocprim17ROCPRIM_400000_NS6detail17trampoline_kernelINS0_13kernel_configILj256ELj4ELj4294967295EEENS1_37radix_sort_block_sort_config_selectorImNS0_10empty_typeEEEZNS1_21radix_sort_block_sortIS4_Lb0EPmS9_PS6_SA_NS0_19identity_decomposerEEE10hipError_tT1_T2_T3_T4_jRjT5_jjP12ihipStream_tbEUlT_E_NS1_11comp_targetILNS1_3genE9ELNS1_11target_archE1100ELNS1_3gpuE3ELNS1_3repE0EEENS1_44radix_sort_block_sort_config_static_selectorELNS0_4arch9wavefront6targetE1EEEvSD_: ; @_ZN7rocprim17ROCPRIM_400000_NS6detail17trampoline_kernelINS0_13kernel_configILj256ELj4ELj4294967295EEENS1_37radix_sort_block_sort_config_selectorImNS0_10empty_typeEEEZNS1_21radix_sort_block_sortIS4_Lb0EPmS9_PS6_SA_NS0_19identity_decomposerEEE10hipError_tT1_T2_T3_T4_jRjT5_jjP12ihipStream_tbEUlT_E_NS1_11comp_targetILNS1_3genE9ELNS1_11target_archE1100ELNS1_3gpuE3ELNS1_3repE0EEENS1_44radix_sort_block_sort_config_static_selectorELNS0_4arch9wavefront6targetE1EEEvSD_
; %bb.0:
	.section	.rodata,"a",@progbits
	.p2align	6, 0x0
	.amdhsa_kernel _ZN7rocprim17ROCPRIM_400000_NS6detail17trampoline_kernelINS0_13kernel_configILj256ELj4ELj4294967295EEENS1_37radix_sort_block_sort_config_selectorImNS0_10empty_typeEEEZNS1_21radix_sort_block_sortIS4_Lb0EPmS9_PS6_SA_NS0_19identity_decomposerEEE10hipError_tT1_T2_T3_T4_jRjT5_jjP12ihipStream_tbEUlT_E_NS1_11comp_targetILNS1_3genE9ELNS1_11target_archE1100ELNS1_3gpuE3ELNS1_3repE0EEENS1_44radix_sort_block_sort_config_static_selectorELNS0_4arch9wavefront6targetE1EEEvSD_
		.amdhsa_group_segment_fixed_size 0
		.amdhsa_private_segment_fixed_size 0
		.amdhsa_kernarg_size 48
		.amdhsa_user_sgpr_count 6
		.amdhsa_user_sgpr_private_segment_buffer 1
		.amdhsa_user_sgpr_dispatch_ptr 0
		.amdhsa_user_sgpr_queue_ptr 0
		.amdhsa_user_sgpr_kernarg_segment_ptr 1
		.amdhsa_user_sgpr_dispatch_id 0
		.amdhsa_user_sgpr_flat_scratch_init 0
		.amdhsa_user_sgpr_kernarg_preload_length 0
		.amdhsa_user_sgpr_kernarg_preload_offset 0
		.amdhsa_user_sgpr_private_segment_size 0
		.amdhsa_uses_dynamic_stack 0
		.amdhsa_system_sgpr_private_segment_wavefront_offset 0
		.amdhsa_system_sgpr_workgroup_id_x 1
		.amdhsa_system_sgpr_workgroup_id_y 0
		.amdhsa_system_sgpr_workgroup_id_z 0
		.amdhsa_system_sgpr_workgroup_info 0
		.amdhsa_system_vgpr_workitem_id 0
		.amdhsa_next_free_vgpr 1
		.amdhsa_next_free_sgpr 0
		.amdhsa_accum_offset 4
		.amdhsa_reserve_vcc 0
		.amdhsa_reserve_flat_scratch 0
		.amdhsa_float_round_mode_32 0
		.amdhsa_float_round_mode_16_64 0
		.amdhsa_float_denorm_mode_32 3
		.amdhsa_float_denorm_mode_16_64 3
		.amdhsa_dx10_clamp 1
		.amdhsa_ieee_mode 1
		.amdhsa_fp16_overflow 0
		.amdhsa_tg_split 0
		.amdhsa_exception_fp_ieee_invalid_op 0
		.amdhsa_exception_fp_denorm_src 0
		.amdhsa_exception_fp_ieee_div_zero 0
		.amdhsa_exception_fp_ieee_overflow 0
		.amdhsa_exception_fp_ieee_underflow 0
		.amdhsa_exception_fp_ieee_inexact 0
		.amdhsa_exception_int_div_zero 0
	.end_amdhsa_kernel
	.section	.text._ZN7rocprim17ROCPRIM_400000_NS6detail17trampoline_kernelINS0_13kernel_configILj256ELj4ELj4294967295EEENS1_37radix_sort_block_sort_config_selectorImNS0_10empty_typeEEEZNS1_21radix_sort_block_sortIS4_Lb0EPmS9_PS6_SA_NS0_19identity_decomposerEEE10hipError_tT1_T2_T3_T4_jRjT5_jjP12ihipStream_tbEUlT_E_NS1_11comp_targetILNS1_3genE9ELNS1_11target_archE1100ELNS1_3gpuE3ELNS1_3repE0EEENS1_44radix_sort_block_sort_config_static_selectorELNS0_4arch9wavefront6targetE1EEEvSD_,"axG",@progbits,_ZN7rocprim17ROCPRIM_400000_NS6detail17trampoline_kernelINS0_13kernel_configILj256ELj4ELj4294967295EEENS1_37radix_sort_block_sort_config_selectorImNS0_10empty_typeEEEZNS1_21radix_sort_block_sortIS4_Lb0EPmS9_PS6_SA_NS0_19identity_decomposerEEE10hipError_tT1_T2_T3_T4_jRjT5_jjP12ihipStream_tbEUlT_E_NS1_11comp_targetILNS1_3genE9ELNS1_11target_archE1100ELNS1_3gpuE3ELNS1_3repE0EEENS1_44radix_sort_block_sort_config_static_selectorELNS0_4arch9wavefront6targetE1EEEvSD_,comdat
.Lfunc_end895:
	.size	_ZN7rocprim17ROCPRIM_400000_NS6detail17trampoline_kernelINS0_13kernel_configILj256ELj4ELj4294967295EEENS1_37radix_sort_block_sort_config_selectorImNS0_10empty_typeEEEZNS1_21radix_sort_block_sortIS4_Lb0EPmS9_PS6_SA_NS0_19identity_decomposerEEE10hipError_tT1_T2_T3_T4_jRjT5_jjP12ihipStream_tbEUlT_E_NS1_11comp_targetILNS1_3genE9ELNS1_11target_archE1100ELNS1_3gpuE3ELNS1_3repE0EEENS1_44radix_sort_block_sort_config_static_selectorELNS0_4arch9wavefront6targetE1EEEvSD_, .Lfunc_end895-_ZN7rocprim17ROCPRIM_400000_NS6detail17trampoline_kernelINS0_13kernel_configILj256ELj4ELj4294967295EEENS1_37radix_sort_block_sort_config_selectorImNS0_10empty_typeEEEZNS1_21radix_sort_block_sortIS4_Lb0EPmS9_PS6_SA_NS0_19identity_decomposerEEE10hipError_tT1_T2_T3_T4_jRjT5_jjP12ihipStream_tbEUlT_E_NS1_11comp_targetILNS1_3genE9ELNS1_11target_archE1100ELNS1_3gpuE3ELNS1_3repE0EEENS1_44radix_sort_block_sort_config_static_selectorELNS0_4arch9wavefront6targetE1EEEvSD_
                                        ; -- End function
	.section	.AMDGPU.csdata,"",@progbits
; Kernel info:
; codeLenInByte = 0
; NumSgprs: 4
; NumVgprs: 0
; NumAgprs: 0
; TotalNumVgprs: 0
; ScratchSize: 0
; MemoryBound: 0
; FloatMode: 240
; IeeeMode: 1
; LDSByteSize: 0 bytes/workgroup (compile time only)
; SGPRBlocks: 0
; VGPRBlocks: 0
; NumSGPRsForWavesPerEU: 4
; NumVGPRsForWavesPerEU: 1
; AccumOffset: 4
; Occupancy: 8
; WaveLimiterHint : 0
; COMPUTE_PGM_RSRC2:SCRATCH_EN: 0
; COMPUTE_PGM_RSRC2:USER_SGPR: 6
; COMPUTE_PGM_RSRC2:TRAP_HANDLER: 0
; COMPUTE_PGM_RSRC2:TGID_X_EN: 1
; COMPUTE_PGM_RSRC2:TGID_Y_EN: 0
; COMPUTE_PGM_RSRC2:TGID_Z_EN: 0
; COMPUTE_PGM_RSRC2:TIDIG_COMP_CNT: 0
; COMPUTE_PGM_RSRC3_GFX90A:ACCUM_OFFSET: 0
; COMPUTE_PGM_RSRC3_GFX90A:TG_SPLIT: 0
	.section	.text._ZN7rocprim17ROCPRIM_400000_NS6detail17trampoline_kernelINS0_13kernel_configILj256ELj4ELj4294967295EEENS1_37radix_sort_block_sort_config_selectorImNS0_10empty_typeEEEZNS1_21radix_sort_block_sortIS4_Lb0EPmS9_PS6_SA_NS0_19identity_decomposerEEE10hipError_tT1_T2_T3_T4_jRjT5_jjP12ihipStream_tbEUlT_E_NS1_11comp_targetILNS1_3genE8ELNS1_11target_archE1030ELNS1_3gpuE2ELNS1_3repE0EEENS1_44radix_sort_block_sort_config_static_selectorELNS0_4arch9wavefront6targetE1EEEvSD_,"axG",@progbits,_ZN7rocprim17ROCPRIM_400000_NS6detail17trampoline_kernelINS0_13kernel_configILj256ELj4ELj4294967295EEENS1_37radix_sort_block_sort_config_selectorImNS0_10empty_typeEEEZNS1_21radix_sort_block_sortIS4_Lb0EPmS9_PS6_SA_NS0_19identity_decomposerEEE10hipError_tT1_T2_T3_T4_jRjT5_jjP12ihipStream_tbEUlT_E_NS1_11comp_targetILNS1_3genE8ELNS1_11target_archE1030ELNS1_3gpuE2ELNS1_3repE0EEENS1_44radix_sort_block_sort_config_static_selectorELNS0_4arch9wavefront6targetE1EEEvSD_,comdat
	.protected	_ZN7rocprim17ROCPRIM_400000_NS6detail17trampoline_kernelINS0_13kernel_configILj256ELj4ELj4294967295EEENS1_37radix_sort_block_sort_config_selectorImNS0_10empty_typeEEEZNS1_21radix_sort_block_sortIS4_Lb0EPmS9_PS6_SA_NS0_19identity_decomposerEEE10hipError_tT1_T2_T3_T4_jRjT5_jjP12ihipStream_tbEUlT_E_NS1_11comp_targetILNS1_3genE8ELNS1_11target_archE1030ELNS1_3gpuE2ELNS1_3repE0EEENS1_44radix_sort_block_sort_config_static_selectorELNS0_4arch9wavefront6targetE1EEEvSD_ ; -- Begin function _ZN7rocprim17ROCPRIM_400000_NS6detail17trampoline_kernelINS0_13kernel_configILj256ELj4ELj4294967295EEENS1_37radix_sort_block_sort_config_selectorImNS0_10empty_typeEEEZNS1_21radix_sort_block_sortIS4_Lb0EPmS9_PS6_SA_NS0_19identity_decomposerEEE10hipError_tT1_T2_T3_T4_jRjT5_jjP12ihipStream_tbEUlT_E_NS1_11comp_targetILNS1_3genE8ELNS1_11target_archE1030ELNS1_3gpuE2ELNS1_3repE0EEENS1_44radix_sort_block_sort_config_static_selectorELNS0_4arch9wavefront6targetE1EEEvSD_
	.globl	_ZN7rocprim17ROCPRIM_400000_NS6detail17trampoline_kernelINS0_13kernel_configILj256ELj4ELj4294967295EEENS1_37radix_sort_block_sort_config_selectorImNS0_10empty_typeEEEZNS1_21radix_sort_block_sortIS4_Lb0EPmS9_PS6_SA_NS0_19identity_decomposerEEE10hipError_tT1_T2_T3_T4_jRjT5_jjP12ihipStream_tbEUlT_E_NS1_11comp_targetILNS1_3genE8ELNS1_11target_archE1030ELNS1_3gpuE2ELNS1_3repE0EEENS1_44radix_sort_block_sort_config_static_selectorELNS0_4arch9wavefront6targetE1EEEvSD_
	.p2align	8
	.type	_ZN7rocprim17ROCPRIM_400000_NS6detail17trampoline_kernelINS0_13kernel_configILj256ELj4ELj4294967295EEENS1_37radix_sort_block_sort_config_selectorImNS0_10empty_typeEEEZNS1_21radix_sort_block_sortIS4_Lb0EPmS9_PS6_SA_NS0_19identity_decomposerEEE10hipError_tT1_T2_T3_T4_jRjT5_jjP12ihipStream_tbEUlT_E_NS1_11comp_targetILNS1_3genE8ELNS1_11target_archE1030ELNS1_3gpuE2ELNS1_3repE0EEENS1_44radix_sort_block_sort_config_static_selectorELNS0_4arch9wavefront6targetE1EEEvSD_,@function
_ZN7rocprim17ROCPRIM_400000_NS6detail17trampoline_kernelINS0_13kernel_configILj256ELj4ELj4294967295EEENS1_37radix_sort_block_sort_config_selectorImNS0_10empty_typeEEEZNS1_21radix_sort_block_sortIS4_Lb0EPmS9_PS6_SA_NS0_19identity_decomposerEEE10hipError_tT1_T2_T3_T4_jRjT5_jjP12ihipStream_tbEUlT_E_NS1_11comp_targetILNS1_3genE8ELNS1_11target_archE1030ELNS1_3gpuE2ELNS1_3repE0EEENS1_44radix_sort_block_sort_config_static_selectorELNS0_4arch9wavefront6targetE1EEEvSD_: ; @_ZN7rocprim17ROCPRIM_400000_NS6detail17trampoline_kernelINS0_13kernel_configILj256ELj4ELj4294967295EEENS1_37radix_sort_block_sort_config_selectorImNS0_10empty_typeEEEZNS1_21radix_sort_block_sortIS4_Lb0EPmS9_PS6_SA_NS0_19identity_decomposerEEE10hipError_tT1_T2_T3_T4_jRjT5_jjP12ihipStream_tbEUlT_E_NS1_11comp_targetILNS1_3genE8ELNS1_11target_archE1030ELNS1_3gpuE2ELNS1_3repE0EEENS1_44radix_sort_block_sort_config_static_selectorELNS0_4arch9wavefront6targetE1EEEvSD_
; %bb.0:
	.section	.rodata,"a",@progbits
	.p2align	6, 0x0
	.amdhsa_kernel _ZN7rocprim17ROCPRIM_400000_NS6detail17trampoline_kernelINS0_13kernel_configILj256ELj4ELj4294967295EEENS1_37radix_sort_block_sort_config_selectorImNS0_10empty_typeEEEZNS1_21radix_sort_block_sortIS4_Lb0EPmS9_PS6_SA_NS0_19identity_decomposerEEE10hipError_tT1_T2_T3_T4_jRjT5_jjP12ihipStream_tbEUlT_E_NS1_11comp_targetILNS1_3genE8ELNS1_11target_archE1030ELNS1_3gpuE2ELNS1_3repE0EEENS1_44radix_sort_block_sort_config_static_selectorELNS0_4arch9wavefront6targetE1EEEvSD_
		.amdhsa_group_segment_fixed_size 0
		.amdhsa_private_segment_fixed_size 0
		.amdhsa_kernarg_size 48
		.amdhsa_user_sgpr_count 6
		.amdhsa_user_sgpr_private_segment_buffer 1
		.amdhsa_user_sgpr_dispatch_ptr 0
		.amdhsa_user_sgpr_queue_ptr 0
		.amdhsa_user_sgpr_kernarg_segment_ptr 1
		.amdhsa_user_sgpr_dispatch_id 0
		.amdhsa_user_sgpr_flat_scratch_init 0
		.amdhsa_user_sgpr_kernarg_preload_length 0
		.amdhsa_user_sgpr_kernarg_preload_offset 0
		.amdhsa_user_sgpr_private_segment_size 0
		.amdhsa_uses_dynamic_stack 0
		.amdhsa_system_sgpr_private_segment_wavefront_offset 0
		.amdhsa_system_sgpr_workgroup_id_x 1
		.amdhsa_system_sgpr_workgroup_id_y 0
		.amdhsa_system_sgpr_workgroup_id_z 0
		.amdhsa_system_sgpr_workgroup_info 0
		.amdhsa_system_vgpr_workitem_id 0
		.amdhsa_next_free_vgpr 1
		.amdhsa_next_free_sgpr 0
		.amdhsa_accum_offset 4
		.amdhsa_reserve_vcc 0
		.amdhsa_reserve_flat_scratch 0
		.amdhsa_float_round_mode_32 0
		.amdhsa_float_round_mode_16_64 0
		.amdhsa_float_denorm_mode_32 3
		.amdhsa_float_denorm_mode_16_64 3
		.amdhsa_dx10_clamp 1
		.amdhsa_ieee_mode 1
		.amdhsa_fp16_overflow 0
		.amdhsa_tg_split 0
		.amdhsa_exception_fp_ieee_invalid_op 0
		.amdhsa_exception_fp_denorm_src 0
		.amdhsa_exception_fp_ieee_div_zero 0
		.amdhsa_exception_fp_ieee_overflow 0
		.amdhsa_exception_fp_ieee_underflow 0
		.amdhsa_exception_fp_ieee_inexact 0
		.amdhsa_exception_int_div_zero 0
	.end_amdhsa_kernel
	.section	.text._ZN7rocprim17ROCPRIM_400000_NS6detail17trampoline_kernelINS0_13kernel_configILj256ELj4ELj4294967295EEENS1_37radix_sort_block_sort_config_selectorImNS0_10empty_typeEEEZNS1_21radix_sort_block_sortIS4_Lb0EPmS9_PS6_SA_NS0_19identity_decomposerEEE10hipError_tT1_T2_T3_T4_jRjT5_jjP12ihipStream_tbEUlT_E_NS1_11comp_targetILNS1_3genE8ELNS1_11target_archE1030ELNS1_3gpuE2ELNS1_3repE0EEENS1_44radix_sort_block_sort_config_static_selectorELNS0_4arch9wavefront6targetE1EEEvSD_,"axG",@progbits,_ZN7rocprim17ROCPRIM_400000_NS6detail17trampoline_kernelINS0_13kernel_configILj256ELj4ELj4294967295EEENS1_37radix_sort_block_sort_config_selectorImNS0_10empty_typeEEEZNS1_21radix_sort_block_sortIS4_Lb0EPmS9_PS6_SA_NS0_19identity_decomposerEEE10hipError_tT1_T2_T3_T4_jRjT5_jjP12ihipStream_tbEUlT_E_NS1_11comp_targetILNS1_3genE8ELNS1_11target_archE1030ELNS1_3gpuE2ELNS1_3repE0EEENS1_44radix_sort_block_sort_config_static_selectorELNS0_4arch9wavefront6targetE1EEEvSD_,comdat
.Lfunc_end896:
	.size	_ZN7rocprim17ROCPRIM_400000_NS6detail17trampoline_kernelINS0_13kernel_configILj256ELj4ELj4294967295EEENS1_37radix_sort_block_sort_config_selectorImNS0_10empty_typeEEEZNS1_21radix_sort_block_sortIS4_Lb0EPmS9_PS6_SA_NS0_19identity_decomposerEEE10hipError_tT1_T2_T3_T4_jRjT5_jjP12ihipStream_tbEUlT_E_NS1_11comp_targetILNS1_3genE8ELNS1_11target_archE1030ELNS1_3gpuE2ELNS1_3repE0EEENS1_44radix_sort_block_sort_config_static_selectorELNS0_4arch9wavefront6targetE1EEEvSD_, .Lfunc_end896-_ZN7rocprim17ROCPRIM_400000_NS6detail17trampoline_kernelINS0_13kernel_configILj256ELj4ELj4294967295EEENS1_37radix_sort_block_sort_config_selectorImNS0_10empty_typeEEEZNS1_21radix_sort_block_sortIS4_Lb0EPmS9_PS6_SA_NS0_19identity_decomposerEEE10hipError_tT1_T2_T3_T4_jRjT5_jjP12ihipStream_tbEUlT_E_NS1_11comp_targetILNS1_3genE8ELNS1_11target_archE1030ELNS1_3gpuE2ELNS1_3repE0EEENS1_44radix_sort_block_sort_config_static_selectorELNS0_4arch9wavefront6targetE1EEEvSD_
                                        ; -- End function
	.section	.AMDGPU.csdata,"",@progbits
; Kernel info:
; codeLenInByte = 0
; NumSgprs: 4
; NumVgprs: 0
; NumAgprs: 0
; TotalNumVgprs: 0
; ScratchSize: 0
; MemoryBound: 0
; FloatMode: 240
; IeeeMode: 1
; LDSByteSize: 0 bytes/workgroup (compile time only)
; SGPRBlocks: 0
; VGPRBlocks: 0
; NumSGPRsForWavesPerEU: 4
; NumVGPRsForWavesPerEU: 1
; AccumOffset: 4
; Occupancy: 8
; WaveLimiterHint : 0
; COMPUTE_PGM_RSRC2:SCRATCH_EN: 0
; COMPUTE_PGM_RSRC2:USER_SGPR: 6
; COMPUTE_PGM_RSRC2:TRAP_HANDLER: 0
; COMPUTE_PGM_RSRC2:TGID_X_EN: 1
; COMPUTE_PGM_RSRC2:TGID_Y_EN: 0
; COMPUTE_PGM_RSRC2:TGID_Z_EN: 0
; COMPUTE_PGM_RSRC2:TIDIG_COMP_CNT: 0
; COMPUTE_PGM_RSRC3_GFX90A:ACCUM_OFFSET: 0
; COMPUTE_PGM_RSRC3_GFX90A:TG_SPLIT: 0
	.section	.text._ZN7rocprim17ROCPRIM_400000_NS6detail44device_merge_sort_compile_time_verifier_archINS1_11comp_targetILNS1_3genE0ELNS1_11target_archE4294967295ELNS1_3gpuE0ELNS1_3repE0EEES8_NS1_28merge_sort_block_sort_configILj256ELj4ELNS0_20block_sort_algorithmE0EEENS0_14default_configENS1_37merge_sort_block_sort_config_selectorImNS0_10empty_typeEEENS1_38merge_sort_block_merge_config_selectorImSE_EEEEvv,"axG",@progbits,_ZN7rocprim17ROCPRIM_400000_NS6detail44device_merge_sort_compile_time_verifier_archINS1_11comp_targetILNS1_3genE0ELNS1_11target_archE4294967295ELNS1_3gpuE0ELNS1_3repE0EEES8_NS1_28merge_sort_block_sort_configILj256ELj4ELNS0_20block_sort_algorithmE0EEENS0_14default_configENS1_37merge_sort_block_sort_config_selectorImNS0_10empty_typeEEENS1_38merge_sort_block_merge_config_selectorImSE_EEEEvv,comdat
	.protected	_ZN7rocprim17ROCPRIM_400000_NS6detail44device_merge_sort_compile_time_verifier_archINS1_11comp_targetILNS1_3genE0ELNS1_11target_archE4294967295ELNS1_3gpuE0ELNS1_3repE0EEES8_NS1_28merge_sort_block_sort_configILj256ELj4ELNS0_20block_sort_algorithmE0EEENS0_14default_configENS1_37merge_sort_block_sort_config_selectorImNS0_10empty_typeEEENS1_38merge_sort_block_merge_config_selectorImSE_EEEEvv ; -- Begin function _ZN7rocprim17ROCPRIM_400000_NS6detail44device_merge_sort_compile_time_verifier_archINS1_11comp_targetILNS1_3genE0ELNS1_11target_archE4294967295ELNS1_3gpuE0ELNS1_3repE0EEES8_NS1_28merge_sort_block_sort_configILj256ELj4ELNS0_20block_sort_algorithmE0EEENS0_14default_configENS1_37merge_sort_block_sort_config_selectorImNS0_10empty_typeEEENS1_38merge_sort_block_merge_config_selectorImSE_EEEEvv
	.globl	_ZN7rocprim17ROCPRIM_400000_NS6detail44device_merge_sort_compile_time_verifier_archINS1_11comp_targetILNS1_3genE0ELNS1_11target_archE4294967295ELNS1_3gpuE0ELNS1_3repE0EEES8_NS1_28merge_sort_block_sort_configILj256ELj4ELNS0_20block_sort_algorithmE0EEENS0_14default_configENS1_37merge_sort_block_sort_config_selectorImNS0_10empty_typeEEENS1_38merge_sort_block_merge_config_selectorImSE_EEEEvv
	.p2align	8
	.type	_ZN7rocprim17ROCPRIM_400000_NS6detail44device_merge_sort_compile_time_verifier_archINS1_11comp_targetILNS1_3genE0ELNS1_11target_archE4294967295ELNS1_3gpuE0ELNS1_3repE0EEES8_NS1_28merge_sort_block_sort_configILj256ELj4ELNS0_20block_sort_algorithmE0EEENS0_14default_configENS1_37merge_sort_block_sort_config_selectorImNS0_10empty_typeEEENS1_38merge_sort_block_merge_config_selectorImSE_EEEEvv,@function
_ZN7rocprim17ROCPRIM_400000_NS6detail44device_merge_sort_compile_time_verifier_archINS1_11comp_targetILNS1_3genE0ELNS1_11target_archE4294967295ELNS1_3gpuE0ELNS1_3repE0EEES8_NS1_28merge_sort_block_sort_configILj256ELj4ELNS0_20block_sort_algorithmE0EEENS0_14default_configENS1_37merge_sort_block_sort_config_selectorImNS0_10empty_typeEEENS1_38merge_sort_block_merge_config_selectorImSE_EEEEvv: ; @_ZN7rocprim17ROCPRIM_400000_NS6detail44device_merge_sort_compile_time_verifier_archINS1_11comp_targetILNS1_3genE0ELNS1_11target_archE4294967295ELNS1_3gpuE0ELNS1_3repE0EEES8_NS1_28merge_sort_block_sort_configILj256ELj4ELNS0_20block_sort_algorithmE0EEENS0_14default_configENS1_37merge_sort_block_sort_config_selectorImNS0_10empty_typeEEENS1_38merge_sort_block_merge_config_selectorImSE_EEEEvv
; %bb.0:
	s_endpgm
	.section	.rodata,"a",@progbits
	.p2align	6, 0x0
	.amdhsa_kernel _ZN7rocprim17ROCPRIM_400000_NS6detail44device_merge_sort_compile_time_verifier_archINS1_11comp_targetILNS1_3genE0ELNS1_11target_archE4294967295ELNS1_3gpuE0ELNS1_3repE0EEES8_NS1_28merge_sort_block_sort_configILj256ELj4ELNS0_20block_sort_algorithmE0EEENS0_14default_configENS1_37merge_sort_block_sort_config_selectorImNS0_10empty_typeEEENS1_38merge_sort_block_merge_config_selectorImSE_EEEEvv
		.amdhsa_group_segment_fixed_size 0
		.amdhsa_private_segment_fixed_size 0
		.amdhsa_kernarg_size 0
		.amdhsa_user_sgpr_count 4
		.amdhsa_user_sgpr_private_segment_buffer 1
		.amdhsa_user_sgpr_dispatch_ptr 0
		.amdhsa_user_sgpr_queue_ptr 0
		.amdhsa_user_sgpr_kernarg_segment_ptr 0
		.amdhsa_user_sgpr_dispatch_id 0
		.amdhsa_user_sgpr_flat_scratch_init 0
		.amdhsa_user_sgpr_kernarg_preload_length 0
		.amdhsa_user_sgpr_kernarg_preload_offset 0
		.amdhsa_user_sgpr_private_segment_size 0
		.amdhsa_uses_dynamic_stack 0
		.amdhsa_system_sgpr_private_segment_wavefront_offset 0
		.amdhsa_system_sgpr_workgroup_id_x 1
		.amdhsa_system_sgpr_workgroup_id_y 0
		.amdhsa_system_sgpr_workgroup_id_z 0
		.amdhsa_system_sgpr_workgroup_info 0
		.amdhsa_system_vgpr_workitem_id 0
		.amdhsa_next_free_vgpr 1
		.amdhsa_next_free_sgpr 0
		.amdhsa_accum_offset 4
		.amdhsa_reserve_vcc 0
		.amdhsa_reserve_flat_scratch 0
		.amdhsa_float_round_mode_32 0
		.amdhsa_float_round_mode_16_64 0
		.amdhsa_float_denorm_mode_32 3
		.amdhsa_float_denorm_mode_16_64 3
		.amdhsa_dx10_clamp 1
		.amdhsa_ieee_mode 1
		.amdhsa_fp16_overflow 0
		.amdhsa_tg_split 0
		.amdhsa_exception_fp_ieee_invalid_op 0
		.amdhsa_exception_fp_denorm_src 0
		.amdhsa_exception_fp_ieee_div_zero 0
		.amdhsa_exception_fp_ieee_overflow 0
		.amdhsa_exception_fp_ieee_underflow 0
		.amdhsa_exception_fp_ieee_inexact 0
		.amdhsa_exception_int_div_zero 0
	.end_amdhsa_kernel
	.section	.text._ZN7rocprim17ROCPRIM_400000_NS6detail44device_merge_sort_compile_time_verifier_archINS1_11comp_targetILNS1_3genE0ELNS1_11target_archE4294967295ELNS1_3gpuE0ELNS1_3repE0EEES8_NS1_28merge_sort_block_sort_configILj256ELj4ELNS0_20block_sort_algorithmE0EEENS0_14default_configENS1_37merge_sort_block_sort_config_selectorImNS0_10empty_typeEEENS1_38merge_sort_block_merge_config_selectorImSE_EEEEvv,"axG",@progbits,_ZN7rocprim17ROCPRIM_400000_NS6detail44device_merge_sort_compile_time_verifier_archINS1_11comp_targetILNS1_3genE0ELNS1_11target_archE4294967295ELNS1_3gpuE0ELNS1_3repE0EEES8_NS1_28merge_sort_block_sort_configILj256ELj4ELNS0_20block_sort_algorithmE0EEENS0_14default_configENS1_37merge_sort_block_sort_config_selectorImNS0_10empty_typeEEENS1_38merge_sort_block_merge_config_selectorImSE_EEEEvv,comdat
.Lfunc_end897:
	.size	_ZN7rocprim17ROCPRIM_400000_NS6detail44device_merge_sort_compile_time_verifier_archINS1_11comp_targetILNS1_3genE0ELNS1_11target_archE4294967295ELNS1_3gpuE0ELNS1_3repE0EEES8_NS1_28merge_sort_block_sort_configILj256ELj4ELNS0_20block_sort_algorithmE0EEENS0_14default_configENS1_37merge_sort_block_sort_config_selectorImNS0_10empty_typeEEENS1_38merge_sort_block_merge_config_selectorImSE_EEEEvv, .Lfunc_end897-_ZN7rocprim17ROCPRIM_400000_NS6detail44device_merge_sort_compile_time_verifier_archINS1_11comp_targetILNS1_3genE0ELNS1_11target_archE4294967295ELNS1_3gpuE0ELNS1_3repE0EEES8_NS1_28merge_sort_block_sort_configILj256ELj4ELNS0_20block_sort_algorithmE0EEENS0_14default_configENS1_37merge_sort_block_sort_config_selectorImNS0_10empty_typeEEENS1_38merge_sort_block_merge_config_selectorImSE_EEEEvv
                                        ; -- End function
	.section	.AMDGPU.csdata,"",@progbits
; Kernel info:
; codeLenInByte = 4
; NumSgprs: 4
; NumVgprs: 0
; NumAgprs: 0
; TotalNumVgprs: 0
; ScratchSize: 0
; MemoryBound: 0
; FloatMode: 240
; IeeeMode: 1
; LDSByteSize: 0 bytes/workgroup (compile time only)
; SGPRBlocks: 0
; VGPRBlocks: 0
; NumSGPRsForWavesPerEU: 4
; NumVGPRsForWavesPerEU: 1
; AccumOffset: 4
; Occupancy: 8
; WaveLimiterHint : 0
; COMPUTE_PGM_RSRC2:SCRATCH_EN: 0
; COMPUTE_PGM_RSRC2:USER_SGPR: 4
; COMPUTE_PGM_RSRC2:TRAP_HANDLER: 0
; COMPUTE_PGM_RSRC2:TGID_X_EN: 1
; COMPUTE_PGM_RSRC2:TGID_Y_EN: 0
; COMPUTE_PGM_RSRC2:TGID_Z_EN: 0
; COMPUTE_PGM_RSRC2:TIDIG_COMP_CNT: 0
; COMPUTE_PGM_RSRC3_GFX90A:ACCUM_OFFSET: 0
; COMPUTE_PGM_RSRC3_GFX90A:TG_SPLIT: 0
	.section	.text._ZN7rocprim17ROCPRIM_400000_NS6detail44device_merge_sort_compile_time_verifier_archINS1_11comp_targetILNS1_3genE5ELNS1_11target_archE942ELNS1_3gpuE9ELNS1_3repE0EEES8_NS1_28merge_sort_block_sort_configILj256ELj4ELNS0_20block_sort_algorithmE0EEENS0_14default_configENS1_37merge_sort_block_sort_config_selectorImNS0_10empty_typeEEENS1_38merge_sort_block_merge_config_selectorImSE_EEEEvv,"axG",@progbits,_ZN7rocprim17ROCPRIM_400000_NS6detail44device_merge_sort_compile_time_verifier_archINS1_11comp_targetILNS1_3genE5ELNS1_11target_archE942ELNS1_3gpuE9ELNS1_3repE0EEES8_NS1_28merge_sort_block_sort_configILj256ELj4ELNS0_20block_sort_algorithmE0EEENS0_14default_configENS1_37merge_sort_block_sort_config_selectorImNS0_10empty_typeEEENS1_38merge_sort_block_merge_config_selectorImSE_EEEEvv,comdat
	.protected	_ZN7rocprim17ROCPRIM_400000_NS6detail44device_merge_sort_compile_time_verifier_archINS1_11comp_targetILNS1_3genE5ELNS1_11target_archE942ELNS1_3gpuE9ELNS1_3repE0EEES8_NS1_28merge_sort_block_sort_configILj256ELj4ELNS0_20block_sort_algorithmE0EEENS0_14default_configENS1_37merge_sort_block_sort_config_selectorImNS0_10empty_typeEEENS1_38merge_sort_block_merge_config_selectorImSE_EEEEvv ; -- Begin function _ZN7rocprim17ROCPRIM_400000_NS6detail44device_merge_sort_compile_time_verifier_archINS1_11comp_targetILNS1_3genE5ELNS1_11target_archE942ELNS1_3gpuE9ELNS1_3repE0EEES8_NS1_28merge_sort_block_sort_configILj256ELj4ELNS0_20block_sort_algorithmE0EEENS0_14default_configENS1_37merge_sort_block_sort_config_selectorImNS0_10empty_typeEEENS1_38merge_sort_block_merge_config_selectorImSE_EEEEvv
	.globl	_ZN7rocprim17ROCPRIM_400000_NS6detail44device_merge_sort_compile_time_verifier_archINS1_11comp_targetILNS1_3genE5ELNS1_11target_archE942ELNS1_3gpuE9ELNS1_3repE0EEES8_NS1_28merge_sort_block_sort_configILj256ELj4ELNS0_20block_sort_algorithmE0EEENS0_14default_configENS1_37merge_sort_block_sort_config_selectorImNS0_10empty_typeEEENS1_38merge_sort_block_merge_config_selectorImSE_EEEEvv
	.p2align	8
	.type	_ZN7rocprim17ROCPRIM_400000_NS6detail44device_merge_sort_compile_time_verifier_archINS1_11comp_targetILNS1_3genE5ELNS1_11target_archE942ELNS1_3gpuE9ELNS1_3repE0EEES8_NS1_28merge_sort_block_sort_configILj256ELj4ELNS0_20block_sort_algorithmE0EEENS0_14default_configENS1_37merge_sort_block_sort_config_selectorImNS0_10empty_typeEEENS1_38merge_sort_block_merge_config_selectorImSE_EEEEvv,@function
_ZN7rocprim17ROCPRIM_400000_NS6detail44device_merge_sort_compile_time_verifier_archINS1_11comp_targetILNS1_3genE5ELNS1_11target_archE942ELNS1_3gpuE9ELNS1_3repE0EEES8_NS1_28merge_sort_block_sort_configILj256ELj4ELNS0_20block_sort_algorithmE0EEENS0_14default_configENS1_37merge_sort_block_sort_config_selectorImNS0_10empty_typeEEENS1_38merge_sort_block_merge_config_selectorImSE_EEEEvv: ; @_ZN7rocprim17ROCPRIM_400000_NS6detail44device_merge_sort_compile_time_verifier_archINS1_11comp_targetILNS1_3genE5ELNS1_11target_archE942ELNS1_3gpuE9ELNS1_3repE0EEES8_NS1_28merge_sort_block_sort_configILj256ELj4ELNS0_20block_sort_algorithmE0EEENS0_14default_configENS1_37merge_sort_block_sort_config_selectorImNS0_10empty_typeEEENS1_38merge_sort_block_merge_config_selectorImSE_EEEEvv
; %bb.0:
	s_endpgm
	.section	.rodata,"a",@progbits
	.p2align	6, 0x0
	.amdhsa_kernel _ZN7rocprim17ROCPRIM_400000_NS6detail44device_merge_sort_compile_time_verifier_archINS1_11comp_targetILNS1_3genE5ELNS1_11target_archE942ELNS1_3gpuE9ELNS1_3repE0EEES8_NS1_28merge_sort_block_sort_configILj256ELj4ELNS0_20block_sort_algorithmE0EEENS0_14default_configENS1_37merge_sort_block_sort_config_selectorImNS0_10empty_typeEEENS1_38merge_sort_block_merge_config_selectorImSE_EEEEvv
		.amdhsa_group_segment_fixed_size 0
		.amdhsa_private_segment_fixed_size 0
		.amdhsa_kernarg_size 0
		.amdhsa_user_sgpr_count 4
		.amdhsa_user_sgpr_private_segment_buffer 1
		.amdhsa_user_sgpr_dispatch_ptr 0
		.amdhsa_user_sgpr_queue_ptr 0
		.amdhsa_user_sgpr_kernarg_segment_ptr 0
		.amdhsa_user_sgpr_dispatch_id 0
		.amdhsa_user_sgpr_flat_scratch_init 0
		.amdhsa_user_sgpr_kernarg_preload_length 0
		.amdhsa_user_sgpr_kernarg_preload_offset 0
		.amdhsa_user_sgpr_private_segment_size 0
		.amdhsa_uses_dynamic_stack 0
		.amdhsa_system_sgpr_private_segment_wavefront_offset 0
		.amdhsa_system_sgpr_workgroup_id_x 1
		.amdhsa_system_sgpr_workgroup_id_y 0
		.amdhsa_system_sgpr_workgroup_id_z 0
		.amdhsa_system_sgpr_workgroup_info 0
		.amdhsa_system_vgpr_workitem_id 0
		.amdhsa_next_free_vgpr 1
		.amdhsa_next_free_sgpr 0
		.amdhsa_accum_offset 4
		.amdhsa_reserve_vcc 0
		.amdhsa_reserve_flat_scratch 0
		.amdhsa_float_round_mode_32 0
		.amdhsa_float_round_mode_16_64 0
		.amdhsa_float_denorm_mode_32 3
		.amdhsa_float_denorm_mode_16_64 3
		.amdhsa_dx10_clamp 1
		.amdhsa_ieee_mode 1
		.amdhsa_fp16_overflow 0
		.amdhsa_tg_split 0
		.amdhsa_exception_fp_ieee_invalid_op 0
		.amdhsa_exception_fp_denorm_src 0
		.amdhsa_exception_fp_ieee_div_zero 0
		.amdhsa_exception_fp_ieee_overflow 0
		.amdhsa_exception_fp_ieee_underflow 0
		.amdhsa_exception_fp_ieee_inexact 0
		.amdhsa_exception_int_div_zero 0
	.end_amdhsa_kernel
	.section	.text._ZN7rocprim17ROCPRIM_400000_NS6detail44device_merge_sort_compile_time_verifier_archINS1_11comp_targetILNS1_3genE5ELNS1_11target_archE942ELNS1_3gpuE9ELNS1_3repE0EEES8_NS1_28merge_sort_block_sort_configILj256ELj4ELNS0_20block_sort_algorithmE0EEENS0_14default_configENS1_37merge_sort_block_sort_config_selectorImNS0_10empty_typeEEENS1_38merge_sort_block_merge_config_selectorImSE_EEEEvv,"axG",@progbits,_ZN7rocprim17ROCPRIM_400000_NS6detail44device_merge_sort_compile_time_verifier_archINS1_11comp_targetILNS1_3genE5ELNS1_11target_archE942ELNS1_3gpuE9ELNS1_3repE0EEES8_NS1_28merge_sort_block_sort_configILj256ELj4ELNS0_20block_sort_algorithmE0EEENS0_14default_configENS1_37merge_sort_block_sort_config_selectorImNS0_10empty_typeEEENS1_38merge_sort_block_merge_config_selectorImSE_EEEEvv,comdat
.Lfunc_end898:
	.size	_ZN7rocprim17ROCPRIM_400000_NS6detail44device_merge_sort_compile_time_verifier_archINS1_11comp_targetILNS1_3genE5ELNS1_11target_archE942ELNS1_3gpuE9ELNS1_3repE0EEES8_NS1_28merge_sort_block_sort_configILj256ELj4ELNS0_20block_sort_algorithmE0EEENS0_14default_configENS1_37merge_sort_block_sort_config_selectorImNS0_10empty_typeEEENS1_38merge_sort_block_merge_config_selectorImSE_EEEEvv, .Lfunc_end898-_ZN7rocprim17ROCPRIM_400000_NS6detail44device_merge_sort_compile_time_verifier_archINS1_11comp_targetILNS1_3genE5ELNS1_11target_archE942ELNS1_3gpuE9ELNS1_3repE0EEES8_NS1_28merge_sort_block_sort_configILj256ELj4ELNS0_20block_sort_algorithmE0EEENS0_14default_configENS1_37merge_sort_block_sort_config_selectorImNS0_10empty_typeEEENS1_38merge_sort_block_merge_config_selectorImSE_EEEEvv
                                        ; -- End function
	.section	.AMDGPU.csdata,"",@progbits
; Kernel info:
; codeLenInByte = 4
; NumSgprs: 4
; NumVgprs: 0
; NumAgprs: 0
; TotalNumVgprs: 0
; ScratchSize: 0
; MemoryBound: 0
; FloatMode: 240
; IeeeMode: 1
; LDSByteSize: 0 bytes/workgroup (compile time only)
; SGPRBlocks: 0
; VGPRBlocks: 0
; NumSGPRsForWavesPerEU: 4
; NumVGPRsForWavesPerEU: 1
; AccumOffset: 4
; Occupancy: 8
; WaveLimiterHint : 0
; COMPUTE_PGM_RSRC2:SCRATCH_EN: 0
; COMPUTE_PGM_RSRC2:USER_SGPR: 4
; COMPUTE_PGM_RSRC2:TRAP_HANDLER: 0
; COMPUTE_PGM_RSRC2:TGID_X_EN: 1
; COMPUTE_PGM_RSRC2:TGID_Y_EN: 0
; COMPUTE_PGM_RSRC2:TGID_Z_EN: 0
; COMPUTE_PGM_RSRC2:TIDIG_COMP_CNT: 0
; COMPUTE_PGM_RSRC3_GFX90A:ACCUM_OFFSET: 0
; COMPUTE_PGM_RSRC3_GFX90A:TG_SPLIT: 0
	.section	.text._ZN7rocprim17ROCPRIM_400000_NS6detail44device_merge_sort_compile_time_verifier_archINS1_11comp_targetILNS1_3genE4ELNS1_11target_archE910ELNS1_3gpuE8ELNS1_3repE0EEES8_NS1_28merge_sort_block_sort_configILj256ELj4ELNS0_20block_sort_algorithmE0EEENS0_14default_configENS1_37merge_sort_block_sort_config_selectorImNS0_10empty_typeEEENS1_38merge_sort_block_merge_config_selectorImSE_EEEEvv,"axG",@progbits,_ZN7rocprim17ROCPRIM_400000_NS6detail44device_merge_sort_compile_time_verifier_archINS1_11comp_targetILNS1_3genE4ELNS1_11target_archE910ELNS1_3gpuE8ELNS1_3repE0EEES8_NS1_28merge_sort_block_sort_configILj256ELj4ELNS0_20block_sort_algorithmE0EEENS0_14default_configENS1_37merge_sort_block_sort_config_selectorImNS0_10empty_typeEEENS1_38merge_sort_block_merge_config_selectorImSE_EEEEvv,comdat
	.protected	_ZN7rocprim17ROCPRIM_400000_NS6detail44device_merge_sort_compile_time_verifier_archINS1_11comp_targetILNS1_3genE4ELNS1_11target_archE910ELNS1_3gpuE8ELNS1_3repE0EEES8_NS1_28merge_sort_block_sort_configILj256ELj4ELNS0_20block_sort_algorithmE0EEENS0_14default_configENS1_37merge_sort_block_sort_config_selectorImNS0_10empty_typeEEENS1_38merge_sort_block_merge_config_selectorImSE_EEEEvv ; -- Begin function _ZN7rocprim17ROCPRIM_400000_NS6detail44device_merge_sort_compile_time_verifier_archINS1_11comp_targetILNS1_3genE4ELNS1_11target_archE910ELNS1_3gpuE8ELNS1_3repE0EEES8_NS1_28merge_sort_block_sort_configILj256ELj4ELNS0_20block_sort_algorithmE0EEENS0_14default_configENS1_37merge_sort_block_sort_config_selectorImNS0_10empty_typeEEENS1_38merge_sort_block_merge_config_selectorImSE_EEEEvv
	.globl	_ZN7rocprim17ROCPRIM_400000_NS6detail44device_merge_sort_compile_time_verifier_archINS1_11comp_targetILNS1_3genE4ELNS1_11target_archE910ELNS1_3gpuE8ELNS1_3repE0EEES8_NS1_28merge_sort_block_sort_configILj256ELj4ELNS0_20block_sort_algorithmE0EEENS0_14default_configENS1_37merge_sort_block_sort_config_selectorImNS0_10empty_typeEEENS1_38merge_sort_block_merge_config_selectorImSE_EEEEvv
	.p2align	8
	.type	_ZN7rocprim17ROCPRIM_400000_NS6detail44device_merge_sort_compile_time_verifier_archINS1_11comp_targetILNS1_3genE4ELNS1_11target_archE910ELNS1_3gpuE8ELNS1_3repE0EEES8_NS1_28merge_sort_block_sort_configILj256ELj4ELNS0_20block_sort_algorithmE0EEENS0_14default_configENS1_37merge_sort_block_sort_config_selectorImNS0_10empty_typeEEENS1_38merge_sort_block_merge_config_selectorImSE_EEEEvv,@function
_ZN7rocprim17ROCPRIM_400000_NS6detail44device_merge_sort_compile_time_verifier_archINS1_11comp_targetILNS1_3genE4ELNS1_11target_archE910ELNS1_3gpuE8ELNS1_3repE0EEES8_NS1_28merge_sort_block_sort_configILj256ELj4ELNS0_20block_sort_algorithmE0EEENS0_14default_configENS1_37merge_sort_block_sort_config_selectorImNS0_10empty_typeEEENS1_38merge_sort_block_merge_config_selectorImSE_EEEEvv: ; @_ZN7rocprim17ROCPRIM_400000_NS6detail44device_merge_sort_compile_time_verifier_archINS1_11comp_targetILNS1_3genE4ELNS1_11target_archE910ELNS1_3gpuE8ELNS1_3repE0EEES8_NS1_28merge_sort_block_sort_configILj256ELj4ELNS0_20block_sort_algorithmE0EEENS0_14default_configENS1_37merge_sort_block_sort_config_selectorImNS0_10empty_typeEEENS1_38merge_sort_block_merge_config_selectorImSE_EEEEvv
; %bb.0:
	s_endpgm
	.section	.rodata,"a",@progbits
	.p2align	6, 0x0
	.amdhsa_kernel _ZN7rocprim17ROCPRIM_400000_NS6detail44device_merge_sort_compile_time_verifier_archINS1_11comp_targetILNS1_3genE4ELNS1_11target_archE910ELNS1_3gpuE8ELNS1_3repE0EEES8_NS1_28merge_sort_block_sort_configILj256ELj4ELNS0_20block_sort_algorithmE0EEENS0_14default_configENS1_37merge_sort_block_sort_config_selectorImNS0_10empty_typeEEENS1_38merge_sort_block_merge_config_selectorImSE_EEEEvv
		.amdhsa_group_segment_fixed_size 0
		.amdhsa_private_segment_fixed_size 0
		.amdhsa_kernarg_size 0
		.amdhsa_user_sgpr_count 4
		.amdhsa_user_sgpr_private_segment_buffer 1
		.amdhsa_user_sgpr_dispatch_ptr 0
		.amdhsa_user_sgpr_queue_ptr 0
		.amdhsa_user_sgpr_kernarg_segment_ptr 0
		.amdhsa_user_sgpr_dispatch_id 0
		.amdhsa_user_sgpr_flat_scratch_init 0
		.amdhsa_user_sgpr_kernarg_preload_length 0
		.amdhsa_user_sgpr_kernarg_preload_offset 0
		.amdhsa_user_sgpr_private_segment_size 0
		.amdhsa_uses_dynamic_stack 0
		.amdhsa_system_sgpr_private_segment_wavefront_offset 0
		.amdhsa_system_sgpr_workgroup_id_x 1
		.amdhsa_system_sgpr_workgroup_id_y 0
		.amdhsa_system_sgpr_workgroup_id_z 0
		.amdhsa_system_sgpr_workgroup_info 0
		.amdhsa_system_vgpr_workitem_id 0
		.amdhsa_next_free_vgpr 1
		.amdhsa_next_free_sgpr 0
		.amdhsa_accum_offset 4
		.amdhsa_reserve_vcc 0
		.amdhsa_reserve_flat_scratch 0
		.amdhsa_float_round_mode_32 0
		.amdhsa_float_round_mode_16_64 0
		.amdhsa_float_denorm_mode_32 3
		.amdhsa_float_denorm_mode_16_64 3
		.amdhsa_dx10_clamp 1
		.amdhsa_ieee_mode 1
		.amdhsa_fp16_overflow 0
		.amdhsa_tg_split 0
		.amdhsa_exception_fp_ieee_invalid_op 0
		.amdhsa_exception_fp_denorm_src 0
		.amdhsa_exception_fp_ieee_div_zero 0
		.amdhsa_exception_fp_ieee_overflow 0
		.amdhsa_exception_fp_ieee_underflow 0
		.amdhsa_exception_fp_ieee_inexact 0
		.amdhsa_exception_int_div_zero 0
	.end_amdhsa_kernel
	.section	.text._ZN7rocprim17ROCPRIM_400000_NS6detail44device_merge_sort_compile_time_verifier_archINS1_11comp_targetILNS1_3genE4ELNS1_11target_archE910ELNS1_3gpuE8ELNS1_3repE0EEES8_NS1_28merge_sort_block_sort_configILj256ELj4ELNS0_20block_sort_algorithmE0EEENS0_14default_configENS1_37merge_sort_block_sort_config_selectorImNS0_10empty_typeEEENS1_38merge_sort_block_merge_config_selectorImSE_EEEEvv,"axG",@progbits,_ZN7rocprim17ROCPRIM_400000_NS6detail44device_merge_sort_compile_time_verifier_archINS1_11comp_targetILNS1_3genE4ELNS1_11target_archE910ELNS1_3gpuE8ELNS1_3repE0EEES8_NS1_28merge_sort_block_sort_configILj256ELj4ELNS0_20block_sort_algorithmE0EEENS0_14default_configENS1_37merge_sort_block_sort_config_selectorImNS0_10empty_typeEEENS1_38merge_sort_block_merge_config_selectorImSE_EEEEvv,comdat
.Lfunc_end899:
	.size	_ZN7rocprim17ROCPRIM_400000_NS6detail44device_merge_sort_compile_time_verifier_archINS1_11comp_targetILNS1_3genE4ELNS1_11target_archE910ELNS1_3gpuE8ELNS1_3repE0EEES8_NS1_28merge_sort_block_sort_configILj256ELj4ELNS0_20block_sort_algorithmE0EEENS0_14default_configENS1_37merge_sort_block_sort_config_selectorImNS0_10empty_typeEEENS1_38merge_sort_block_merge_config_selectorImSE_EEEEvv, .Lfunc_end899-_ZN7rocprim17ROCPRIM_400000_NS6detail44device_merge_sort_compile_time_verifier_archINS1_11comp_targetILNS1_3genE4ELNS1_11target_archE910ELNS1_3gpuE8ELNS1_3repE0EEES8_NS1_28merge_sort_block_sort_configILj256ELj4ELNS0_20block_sort_algorithmE0EEENS0_14default_configENS1_37merge_sort_block_sort_config_selectorImNS0_10empty_typeEEENS1_38merge_sort_block_merge_config_selectorImSE_EEEEvv
                                        ; -- End function
	.section	.AMDGPU.csdata,"",@progbits
; Kernel info:
; codeLenInByte = 4
; NumSgprs: 4
; NumVgprs: 0
; NumAgprs: 0
; TotalNumVgprs: 0
; ScratchSize: 0
; MemoryBound: 0
; FloatMode: 240
; IeeeMode: 1
; LDSByteSize: 0 bytes/workgroup (compile time only)
; SGPRBlocks: 0
; VGPRBlocks: 0
; NumSGPRsForWavesPerEU: 4
; NumVGPRsForWavesPerEU: 1
; AccumOffset: 4
; Occupancy: 8
; WaveLimiterHint : 0
; COMPUTE_PGM_RSRC2:SCRATCH_EN: 0
; COMPUTE_PGM_RSRC2:USER_SGPR: 4
; COMPUTE_PGM_RSRC2:TRAP_HANDLER: 0
; COMPUTE_PGM_RSRC2:TGID_X_EN: 1
; COMPUTE_PGM_RSRC2:TGID_Y_EN: 0
; COMPUTE_PGM_RSRC2:TGID_Z_EN: 0
; COMPUTE_PGM_RSRC2:TIDIG_COMP_CNT: 0
; COMPUTE_PGM_RSRC3_GFX90A:ACCUM_OFFSET: 0
; COMPUTE_PGM_RSRC3_GFX90A:TG_SPLIT: 0
	.section	.text._ZN7rocprim17ROCPRIM_400000_NS6detail44device_merge_sort_compile_time_verifier_archINS1_11comp_targetILNS1_3genE3ELNS1_11target_archE908ELNS1_3gpuE7ELNS1_3repE0EEES8_NS1_28merge_sort_block_sort_configILj256ELj4ELNS0_20block_sort_algorithmE0EEENS0_14default_configENS1_37merge_sort_block_sort_config_selectorImNS0_10empty_typeEEENS1_38merge_sort_block_merge_config_selectorImSE_EEEEvv,"axG",@progbits,_ZN7rocprim17ROCPRIM_400000_NS6detail44device_merge_sort_compile_time_verifier_archINS1_11comp_targetILNS1_3genE3ELNS1_11target_archE908ELNS1_3gpuE7ELNS1_3repE0EEES8_NS1_28merge_sort_block_sort_configILj256ELj4ELNS0_20block_sort_algorithmE0EEENS0_14default_configENS1_37merge_sort_block_sort_config_selectorImNS0_10empty_typeEEENS1_38merge_sort_block_merge_config_selectorImSE_EEEEvv,comdat
	.protected	_ZN7rocprim17ROCPRIM_400000_NS6detail44device_merge_sort_compile_time_verifier_archINS1_11comp_targetILNS1_3genE3ELNS1_11target_archE908ELNS1_3gpuE7ELNS1_3repE0EEES8_NS1_28merge_sort_block_sort_configILj256ELj4ELNS0_20block_sort_algorithmE0EEENS0_14default_configENS1_37merge_sort_block_sort_config_selectorImNS0_10empty_typeEEENS1_38merge_sort_block_merge_config_selectorImSE_EEEEvv ; -- Begin function _ZN7rocprim17ROCPRIM_400000_NS6detail44device_merge_sort_compile_time_verifier_archINS1_11comp_targetILNS1_3genE3ELNS1_11target_archE908ELNS1_3gpuE7ELNS1_3repE0EEES8_NS1_28merge_sort_block_sort_configILj256ELj4ELNS0_20block_sort_algorithmE0EEENS0_14default_configENS1_37merge_sort_block_sort_config_selectorImNS0_10empty_typeEEENS1_38merge_sort_block_merge_config_selectorImSE_EEEEvv
	.globl	_ZN7rocprim17ROCPRIM_400000_NS6detail44device_merge_sort_compile_time_verifier_archINS1_11comp_targetILNS1_3genE3ELNS1_11target_archE908ELNS1_3gpuE7ELNS1_3repE0EEES8_NS1_28merge_sort_block_sort_configILj256ELj4ELNS0_20block_sort_algorithmE0EEENS0_14default_configENS1_37merge_sort_block_sort_config_selectorImNS0_10empty_typeEEENS1_38merge_sort_block_merge_config_selectorImSE_EEEEvv
	.p2align	8
	.type	_ZN7rocprim17ROCPRIM_400000_NS6detail44device_merge_sort_compile_time_verifier_archINS1_11comp_targetILNS1_3genE3ELNS1_11target_archE908ELNS1_3gpuE7ELNS1_3repE0EEES8_NS1_28merge_sort_block_sort_configILj256ELj4ELNS0_20block_sort_algorithmE0EEENS0_14default_configENS1_37merge_sort_block_sort_config_selectorImNS0_10empty_typeEEENS1_38merge_sort_block_merge_config_selectorImSE_EEEEvv,@function
_ZN7rocprim17ROCPRIM_400000_NS6detail44device_merge_sort_compile_time_verifier_archINS1_11comp_targetILNS1_3genE3ELNS1_11target_archE908ELNS1_3gpuE7ELNS1_3repE0EEES8_NS1_28merge_sort_block_sort_configILj256ELj4ELNS0_20block_sort_algorithmE0EEENS0_14default_configENS1_37merge_sort_block_sort_config_selectorImNS0_10empty_typeEEENS1_38merge_sort_block_merge_config_selectorImSE_EEEEvv: ; @_ZN7rocprim17ROCPRIM_400000_NS6detail44device_merge_sort_compile_time_verifier_archINS1_11comp_targetILNS1_3genE3ELNS1_11target_archE908ELNS1_3gpuE7ELNS1_3repE0EEES8_NS1_28merge_sort_block_sort_configILj256ELj4ELNS0_20block_sort_algorithmE0EEENS0_14default_configENS1_37merge_sort_block_sort_config_selectorImNS0_10empty_typeEEENS1_38merge_sort_block_merge_config_selectorImSE_EEEEvv
; %bb.0:
	s_endpgm
	.section	.rodata,"a",@progbits
	.p2align	6, 0x0
	.amdhsa_kernel _ZN7rocprim17ROCPRIM_400000_NS6detail44device_merge_sort_compile_time_verifier_archINS1_11comp_targetILNS1_3genE3ELNS1_11target_archE908ELNS1_3gpuE7ELNS1_3repE0EEES8_NS1_28merge_sort_block_sort_configILj256ELj4ELNS0_20block_sort_algorithmE0EEENS0_14default_configENS1_37merge_sort_block_sort_config_selectorImNS0_10empty_typeEEENS1_38merge_sort_block_merge_config_selectorImSE_EEEEvv
		.amdhsa_group_segment_fixed_size 0
		.amdhsa_private_segment_fixed_size 0
		.amdhsa_kernarg_size 0
		.amdhsa_user_sgpr_count 4
		.amdhsa_user_sgpr_private_segment_buffer 1
		.amdhsa_user_sgpr_dispatch_ptr 0
		.amdhsa_user_sgpr_queue_ptr 0
		.amdhsa_user_sgpr_kernarg_segment_ptr 0
		.amdhsa_user_sgpr_dispatch_id 0
		.amdhsa_user_sgpr_flat_scratch_init 0
		.amdhsa_user_sgpr_kernarg_preload_length 0
		.amdhsa_user_sgpr_kernarg_preload_offset 0
		.amdhsa_user_sgpr_private_segment_size 0
		.amdhsa_uses_dynamic_stack 0
		.amdhsa_system_sgpr_private_segment_wavefront_offset 0
		.amdhsa_system_sgpr_workgroup_id_x 1
		.amdhsa_system_sgpr_workgroup_id_y 0
		.amdhsa_system_sgpr_workgroup_id_z 0
		.amdhsa_system_sgpr_workgroup_info 0
		.amdhsa_system_vgpr_workitem_id 0
		.amdhsa_next_free_vgpr 1
		.amdhsa_next_free_sgpr 0
		.amdhsa_accum_offset 4
		.amdhsa_reserve_vcc 0
		.amdhsa_reserve_flat_scratch 0
		.amdhsa_float_round_mode_32 0
		.amdhsa_float_round_mode_16_64 0
		.amdhsa_float_denorm_mode_32 3
		.amdhsa_float_denorm_mode_16_64 3
		.amdhsa_dx10_clamp 1
		.amdhsa_ieee_mode 1
		.amdhsa_fp16_overflow 0
		.amdhsa_tg_split 0
		.amdhsa_exception_fp_ieee_invalid_op 0
		.amdhsa_exception_fp_denorm_src 0
		.amdhsa_exception_fp_ieee_div_zero 0
		.amdhsa_exception_fp_ieee_overflow 0
		.amdhsa_exception_fp_ieee_underflow 0
		.amdhsa_exception_fp_ieee_inexact 0
		.amdhsa_exception_int_div_zero 0
	.end_amdhsa_kernel
	.section	.text._ZN7rocprim17ROCPRIM_400000_NS6detail44device_merge_sort_compile_time_verifier_archINS1_11comp_targetILNS1_3genE3ELNS1_11target_archE908ELNS1_3gpuE7ELNS1_3repE0EEES8_NS1_28merge_sort_block_sort_configILj256ELj4ELNS0_20block_sort_algorithmE0EEENS0_14default_configENS1_37merge_sort_block_sort_config_selectorImNS0_10empty_typeEEENS1_38merge_sort_block_merge_config_selectorImSE_EEEEvv,"axG",@progbits,_ZN7rocprim17ROCPRIM_400000_NS6detail44device_merge_sort_compile_time_verifier_archINS1_11comp_targetILNS1_3genE3ELNS1_11target_archE908ELNS1_3gpuE7ELNS1_3repE0EEES8_NS1_28merge_sort_block_sort_configILj256ELj4ELNS0_20block_sort_algorithmE0EEENS0_14default_configENS1_37merge_sort_block_sort_config_selectorImNS0_10empty_typeEEENS1_38merge_sort_block_merge_config_selectorImSE_EEEEvv,comdat
.Lfunc_end900:
	.size	_ZN7rocprim17ROCPRIM_400000_NS6detail44device_merge_sort_compile_time_verifier_archINS1_11comp_targetILNS1_3genE3ELNS1_11target_archE908ELNS1_3gpuE7ELNS1_3repE0EEES8_NS1_28merge_sort_block_sort_configILj256ELj4ELNS0_20block_sort_algorithmE0EEENS0_14default_configENS1_37merge_sort_block_sort_config_selectorImNS0_10empty_typeEEENS1_38merge_sort_block_merge_config_selectorImSE_EEEEvv, .Lfunc_end900-_ZN7rocprim17ROCPRIM_400000_NS6detail44device_merge_sort_compile_time_verifier_archINS1_11comp_targetILNS1_3genE3ELNS1_11target_archE908ELNS1_3gpuE7ELNS1_3repE0EEES8_NS1_28merge_sort_block_sort_configILj256ELj4ELNS0_20block_sort_algorithmE0EEENS0_14default_configENS1_37merge_sort_block_sort_config_selectorImNS0_10empty_typeEEENS1_38merge_sort_block_merge_config_selectorImSE_EEEEvv
                                        ; -- End function
	.section	.AMDGPU.csdata,"",@progbits
; Kernel info:
; codeLenInByte = 4
; NumSgprs: 4
; NumVgprs: 0
; NumAgprs: 0
; TotalNumVgprs: 0
; ScratchSize: 0
; MemoryBound: 0
; FloatMode: 240
; IeeeMode: 1
; LDSByteSize: 0 bytes/workgroup (compile time only)
; SGPRBlocks: 0
; VGPRBlocks: 0
; NumSGPRsForWavesPerEU: 4
; NumVGPRsForWavesPerEU: 1
; AccumOffset: 4
; Occupancy: 8
; WaveLimiterHint : 0
; COMPUTE_PGM_RSRC2:SCRATCH_EN: 0
; COMPUTE_PGM_RSRC2:USER_SGPR: 4
; COMPUTE_PGM_RSRC2:TRAP_HANDLER: 0
; COMPUTE_PGM_RSRC2:TGID_X_EN: 1
; COMPUTE_PGM_RSRC2:TGID_Y_EN: 0
; COMPUTE_PGM_RSRC2:TGID_Z_EN: 0
; COMPUTE_PGM_RSRC2:TIDIG_COMP_CNT: 0
; COMPUTE_PGM_RSRC3_GFX90A:ACCUM_OFFSET: 0
; COMPUTE_PGM_RSRC3_GFX90A:TG_SPLIT: 0
	.section	.text._ZN7rocprim17ROCPRIM_400000_NS6detail44device_merge_sort_compile_time_verifier_archINS1_11comp_targetILNS1_3genE2ELNS1_11target_archE906ELNS1_3gpuE6ELNS1_3repE0EEES8_NS1_28merge_sort_block_sort_configILj256ELj4ELNS0_20block_sort_algorithmE0EEENS0_14default_configENS1_37merge_sort_block_sort_config_selectorImNS0_10empty_typeEEENS1_38merge_sort_block_merge_config_selectorImSE_EEEEvv,"axG",@progbits,_ZN7rocprim17ROCPRIM_400000_NS6detail44device_merge_sort_compile_time_verifier_archINS1_11comp_targetILNS1_3genE2ELNS1_11target_archE906ELNS1_3gpuE6ELNS1_3repE0EEES8_NS1_28merge_sort_block_sort_configILj256ELj4ELNS0_20block_sort_algorithmE0EEENS0_14default_configENS1_37merge_sort_block_sort_config_selectorImNS0_10empty_typeEEENS1_38merge_sort_block_merge_config_selectorImSE_EEEEvv,comdat
	.protected	_ZN7rocprim17ROCPRIM_400000_NS6detail44device_merge_sort_compile_time_verifier_archINS1_11comp_targetILNS1_3genE2ELNS1_11target_archE906ELNS1_3gpuE6ELNS1_3repE0EEES8_NS1_28merge_sort_block_sort_configILj256ELj4ELNS0_20block_sort_algorithmE0EEENS0_14default_configENS1_37merge_sort_block_sort_config_selectorImNS0_10empty_typeEEENS1_38merge_sort_block_merge_config_selectorImSE_EEEEvv ; -- Begin function _ZN7rocprim17ROCPRIM_400000_NS6detail44device_merge_sort_compile_time_verifier_archINS1_11comp_targetILNS1_3genE2ELNS1_11target_archE906ELNS1_3gpuE6ELNS1_3repE0EEES8_NS1_28merge_sort_block_sort_configILj256ELj4ELNS0_20block_sort_algorithmE0EEENS0_14default_configENS1_37merge_sort_block_sort_config_selectorImNS0_10empty_typeEEENS1_38merge_sort_block_merge_config_selectorImSE_EEEEvv
	.globl	_ZN7rocprim17ROCPRIM_400000_NS6detail44device_merge_sort_compile_time_verifier_archINS1_11comp_targetILNS1_3genE2ELNS1_11target_archE906ELNS1_3gpuE6ELNS1_3repE0EEES8_NS1_28merge_sort_block_sort_configILj256ELj4ELNS0_20block_sort_algorithmE0EEENS0_14default_configENS1_37merge_sort_block_sort_config_selectorImNS0_10empty_typeEEENS1_38merge_sort_block_merge_config_selectorImSE_EEEEvv
	.p2align	8
	.type	_ZN7rocprim17ROCPRIM_400000_NS6detail44device_merge_sort_compile_time_verifier_archINS1_11comp_targetILNS1_3genE2ELNS1_11target_archE906ELNS1_3gpuE6ELNS1_3repE0EEES8_NS1_28merge_sort_block_sort_configILj256ELj4ELNS0_20block_sort_algorithmE0EEENS0_14default_configENS1_37merge_sort_block_sort_config_selectorImNS0_10empty_typeEEENS1_38merge_sort_block_merge_config_selectorImSE_EEEEvv,@function
_ZN7rocprim17ROCPRIM_400000_NS6detail44device_merge_sort_compile_time_verifier_archINS1_11comp_targetILNS1_3genE2ELNS1_11target_archE906ELNS1_3gpuE6ELNS1_3repE0EEES8_NS1_28merge_sort_block_sort_configILj256ELj4ELNS0_20block_sort_algorithmE0EEENS0_14default_configENS1_37merge_sort_block_sort_config_selectorImNS0_10empty_typeEEENS1_38merge_sort_block_merge_config_selectorImSE_EEEEvv: ; @_ZN7rocprim17ROCPRIM_400000_NS6detail44device_merge_sort_compile_time_verifier_archINS1_11comp_targetILNS1_3genE2ELNS1_11target_archE906ELNS1_3gpuE6ELNS1_3repE0EEES8_NS1_28merge_sort_block_sort_configILj256ELj4ELNS0_20block_sort_algorithmE0EEENS0_14default_configENS1_37merge_sort_block_sort_config_selectorImNS0_10empty_typeEEENS1_38merge_sort_block_merge_config_selectorImSE_EEEEvv
; %bb.0:
	s_endpgm
	.section	.rodata,"a",@progbits
	.p2align	6, 0x0
	.amdhsa_kernel _ZN7rocprim17ROCPRIM_400000_NS6detail44device_merge_sort_compile_time_verifier_archINS1_11comp_targetILNS1_3genE2ELNS1_11target_archE906ELNS1_3gpuE6ELNS1_3repE0EEES8_NS1_28merge_sort_block_sort_configILj256ELj4ELNS0_20block_sort_algorithmE0EEENS0_14default_configENS1_37merge_sort_block_sort_config_selectorImNS0_10empty_typeEEENS1_38merge_sort_block_merge_config_selectorImSE_EEEEvv
		.amdhsa_group_segment_fixed_size 0
		.amdhsa_private_segment_fixed_size 0
		.amdhsa_kernarg_size 0
		.amdhsa_user_sgpr_count 4
		.amdhsa_user_sgpr_private_segment_buffer 1
		.amdhsa_user_sgpr_dispatch_ptr 0
		.amdhsa_user_sgpr_queue_ptr 0
		.amdhsa_user_sgpr_kernarg_segment_ptr 0
		.amdhsa_user_sgpr_dispatch_id 0
		.amdhsa_user_sgpr_flat_scratch_init 0
		.amdhsa_user_sgpr_kernarg_preload_length 0
		.amdhsa_user_sgpr_kernarg_preload_offset 0
		.amdhsa_user_sgpr_private_segment_size 0
		.amdhsa_uses_dynamic_stack 0
		.amdhsa_system_sgpr_private_segment_wavefront_offset 0
		.amdhsa_system_sgpr_workgroup_id_x 1
		.amdhsa_system_sgpr_workgroup_id_y 0
		.amdhsa_system_sgpr_workgroup_id_z 0
		.amdhsa_system_sgpr_workgroup_info 0
		.amdhsa_system_vgpr_workitem_id 0
		.amdhsa_next_free_vgpr 1
		.amdhsa_next_free_sgpr 0
		.amdhsa_accum_offset 4
		.amdhsa_reserve_vcc 0
		.amdhsa_reserve_flat_scratch 0
		.amdhsa_float_round_mode_32 0
		.amdhsa_float_round_mode_16_64 0
		.amdhsa_float_denorm_mode_32 3
		.amdhsa_float_denorm_mode_16_64 3
		.amdhsa_dx10_clamp 1
		.amdhsa_ieee_mode 1
		.amdhsa_fp16_overflow 0
		.amdhsa_tg_split 0
		.amdhsa_exception_fp_ieee_invalid_op 0
		.amdhsa_exception_fp_denorm_src 0
		.amdhsa_exception_fp_ieee_div_zero 0
		.amdhsa_exception_fp_ieee_overflow 0
		.amdhsa_exception_fp_ieee_underflow 0
		.amdhsa_exception_fp_ieee_inexact 0
		.amdhsa_exception_int_div_zero 0
	.end_amdhsa_kernel
	.section	.text._ZN7rocprim17ROCPRIM_400000_NS6detail44device_merge_sort_compile_time_verifier_archINS1_11comp_targetILNS1_3genE2ELNS1_11target_archE906ELNS1_3gpuE6ELNS1_3repE0EEES8_NS1_28merge_sort_block_sort_configILj256ELj4ELNS0_20block_sort_algorithmE0EEENS0_14default_configENS1_37merge_sort_block_sort_config_selectorImNS0_10empty_typeEEENS1_38merge_sort_block_merge_config_selectorImSE_EEEEvv,"axG",@progbits,_ZN7rocprim17ROCPRIM_400000_NS6detail44device_merge_sort_compile_time_verifier_archINS1_11comp_targetILNS1_3genE2ELNS1_11target_archE906ELNS1_3gpuE6ELNS1_3repE0EEES8_NS1_28merge_sort_block_sort_configILj256ELj4ELNS0_20block_sort_algorithmE0EEENS0_14default_configENS1_37merge_sort_block_sort_config_selectorImNS0_10empty_typeEEENS1_38merge_sort_block_merge_config_selectorImSE_EEEEvv,comdat
.Lfunc_end901:
	.size	_ZN7rocprim17ROCPRIM_400000_NS6detail44device_merge_sort_compile_time_verifier_archINS1_11comp_targetILNS1_3genE2ELNS1_11target_archE906ELNS1_3gpuE6ELNS1_3repE0EEES8_NS1_28merge_sort_block_sort_configILj256ELj4ELNS0_20block_sort_algorithmE0EEENS0_14default_configENS1_37merge_sort_block_sort_config_selectorImNS0_10empty_typeEEENS1_38merge_sort_block_merge_config_selectorImSE_EEEEvv, .Lfunc_end901-_ZN7rocprim17ROCPRIM_400000_NS6detail44device_merge_sort_compile_time_verifier_archINS1_11comp_targetILNS1_3genE2ELNS1_11target_archE906ELNS1_3gpuE6ELNS1_3repE0EEES8_NS1_28merge_sort_block_sort_configILj256ELj4ELNS0_20block_sort_algorithmE0EEENS0_14default_configENS1_37merge_sort_block_sort_config_selectorImNS0_10empty_typeEEENS1_38merge_sort_block_merge_config_selectorImSE_EEEEvv
                                        ; -- End function
	.section	.AMDGPU.csdata,"",@progbits
; Kernel info:
; codeLenInByte = 4
; NumSgprs: 4
; NumVgprs: 0
; NumAgprs: 0
; TotalNumVgprs: 0
; ScratchSize: 0
; MemoryBound: 0
; FloatMode: 240
; IeeeMode: 1
; LDSByteSize: 0 bytes/workgroup (compile time only)
; SGPRBlocks: 0
; VGPRBlocks: 0
; NumSGPRsForWavesPerEU: 4
; NumVGPRsForWavesPerEU: 1
; AccumOffset: 4
; Occupancy: 8
; WaveLimiterHint : 0
; COMPUTE_PGM_RSRC2:SCRATCH_EN: 0
; COMPUTE_PGM_RSRC2:USER_SGPR: 4
; COMPUTE_PGM_RSRC2:TRAP_HANDLER: 0
; COMPUTE_PGM_RSRC2:TGID_X_EN: 1
; COMPUTE_PGM_RSRC2:TGID_Y_EN: 0
; COMPUTE_PGM_RSRC2:TGID_Z_EN: 0
; COMPUTE_PGM_RSRC2:TIDIG_COMP_CNT: 0
; COMPUTE_PGM_RSRC3_GFX90A:ACCUM_OFFSET: 0
; COMPUTE_PGM_RSRC3_GFX90A:TG_SPLIT: 0
	.section	.text._ZN7rocprim17ROCPRIM_400000_NS6detail44device_merge_sort_compile_time_verifier_archINS1_11comp_targetILNS1_3genE10ELNS1_11target_archE1201ELNS1_3gpuE5ELNS1_3repE0EEES8_NS1_28merge_sort_block_sort_configILj256ELj4ELNS0_20block_sort_algorithmE0EEENS0_14default_configENS1_37merge_sort_block_sort_config_selectorImNS0_10empty_typeEEENS1_38merge_sort_block_merge_config_selectorImSE_EEEEvv,"axG",@progbits,_ZN7rocprim17ROCPRIM_400000_NS6detail44device_merge_sort_compile_time_verifier_archINS1_11comp_targetILNS1_3genE10ELNS1_11target_archE1201ELNS1_3gpuE5ELNS1_3repE0EEES8_NS1_28merge_sort_block_sort_configILj256ELj4ELNS0_20block_sort_algorithmE0EEENS0_14default_configENS1_37merge_sort_block_sort_config_selectorImNS0_10empty_typeEEENS1_38merge_sort_block_merge_config_selectorImSE_EEEEvv,comdat
	.protected	_ZN7rocprim17ROCPRIM_400000_NS6detail44device_merge_sort_compile_time_verifier_archINS1_11comp_targetILNS1_3genE10ELNS1_11target_archE1201ELNS1_3gpuE5ELNS1_3repE0EEES8_NS1_28merge_sort_block_sort_configILj256ELj4ELNS0_20block_sort_algorithmE0EEENS0_14default_configENS1_37merge_sort_block_sort_config_selectorImNS0_10empty_typeEEENS1_38merge_sort_block_merge_config_selectorImSE_EEEEvv ; -- Begin function _ZN7rocprim17ROCPRIM_400000_NS6detail44device_merge_sort_compile_time_verifier_archINS1_11comp_targetILNS1_3genE10ELNS1_11target_archE1201ELNS1_3gpuE5ELNS1_3repE0EEES8_NS1_28merge_sort_block_sort_configILj256ELj4ELNS0_20block_sort_algorithmE0EEENS0_14default_configENS1_37merge_sort_block_sort_config_selectorImNS0_10empty_typeEEENS1_38merge_sort_block_merge_config_selectorImSE_EEEEvv
	.globl	_ZN7rocprim17ROCPRIM_400000_NS6detail44device_merge_sort_compile_time_verifier_archINS1_11comp_targetILNS1_3genE10ELNS1_11target_archE1201ELNS1_3gpuE5ELNS1_3repE0EEES8_NS1_28merge_sort_block_sort_configILj256ELj4ELNS0_20block_sort_algorithmE0EEENS0_14default_configENS1_37merge_sort_block_sort_config_selectorImNS0_10empty_typeEEENS1_38merge_sort_block_merge_config_selectorImSE_EEEEvv
	.p2align	8
	.type	_ZN7rocprim17ROCPRIM_400000_NS6detail44device_merge_sort_compile_time_verifier_archINS1_11comp_targetILNS1_3genE10ELNS1_11target_archE1201ELNS1_3gpuE5ELNS1_3repE0EEES8_NS1_28merge_sort_block_sort_configILj256ELj4ELNS0_20block_sort_algorithmE0EEENS0_14default_configENS1_37merge_sort_block_sort_config_selectorImNS0_10empty_typeEEENS1_38merge_sort_block_merge_config_selectorImSE_EEEEvv,@function
_ZN7rocprim17ROCPRIM_400000_NS6detail44device_merge_sort_compile_time_verifier_archINS1_11comp_targetILNS1_3genE10ELNS1_11target_archE1201ELNS1_3gpuE5ELNS1_3repE0EEES8_NS1_28merge_sort_block_sort_configILj256ELj4ELNS0_20block_sort_algorithmE0EEENS0_14default_configENS1_37merge_sort_block_sort_config_selectorImNS0_10empty_typeEEENS1_38merge_sort_block_merge_config_selectorImSE_EEEEvv: ; @_ZN7rocprim17ROCPRIM_400000_NS6detail44device_merge_sort_compile_time_verifier_archINS1_11comp_targetILNS1_3genE10ELNS1_11target_archE1201ELNS1_3gpuE5ELNS1_3repE0EEES8_NS1_28merge_sort_block_sort_configILj256ELj4ELNS0_20block_sort_algorithmE0EEENS0_14default_configENS1_37merge_sort_block_sort_config_selectorImNS0_10empty_typeEEENS1_38merge_sort_block_merge_config_selectorImSE_EEEEvv
; %bb.0:
	s_endpgm
	.section	.rodata,"a",@progbits
	.p2align	6, 0x0
	.amdhsa_kernel _ZN7rocprim17ROCPRIM_400000_NS6detail44device_merge_sort_compile_time_verifier_archINS1_11comp_targetILNS1_3genE10ELNS1_11target_archE1201ELNS1_3gpuE5ELNS1_3repE0EEES8_NS1_28merge_sort_block_sort_configILj256ELj4ELNS0_20block_sort_algorithmE0EEENS0_14default_configENS1_37merge_sort_block_sort_config_selectorImNS0_10empty_typeEEENS1_38merge_sort_block_merge_config_selectorImSE_EEEEvv
		.amdhsa_group_segment_fixed_size 0
		.amdhsa_private_segment_fixed_size 0
		.amdhsa_kernarg_size 0
		.amdhsa_user_sgpr_count 4
		.amdhsa_user_sgpr_private_segment_buffer 1
		.amdhsa_user_sgpr_dispatch_ptr 0
		.amdhsa_user_sgpr_queue_ptr 0
		.amdhsa_user_sgpr_kernarg_segment_ptr 0
		.amdhsa_user_sgpr_dispatch_id 0
		.amdhsa_user_sgpr_flat_scratch_init 0
		.amdhsa_user_sgpr_kernarg_preload_length 0
		.amdhsa_user_sgpr_kernarg_preload_offset 0
		.amdhsa_user_sgpr_private_segment_size 0
		.amdhsa_uses_dynamic_stack 0
		.amdhsa_system_sgpr_private_segment_wavefront_offset 0
		.amdhsa_system_sgpr_workgroup_id_x 1
		.amdhsa_system_sgpr_workgroup_id_y 0
		.amdhsa_system_sgpr_workgroup_id_z 0
		.amdhsa_system_sgpr_workgroup_info 0
		.amdhsa_system_vgpr_workitem_id 0
		.amdhsa_next_free_vgpr 1
		.amdhsa_next_free_sgpr 0
		.amdhsa_accum_offset 4
		.amdhsa_reserve_vcc 0
		.amdhsa_reserve_flat_scratch 0
		.amdhsa_float_round_mode_32 0
		.amdhsa_float_round_mode_16_64 0
		.amdhsa_float_denorm_mode_32 3
		.amdhsa_float_denorm_mode_16_64 3
		.amdhsa_dx10_clamp 1
		.amdhsa_ieee_mode 1
		.amdhsa_fp16_overflow 0
		.amdhsa_tg_split 0
		.amdhsa_exception_fp_ieee_invalid_op 0
		.amdhsa_exception_fp_denorm_src 0
		.amdhsa_exception_fp_ieee_div_zero 0
		.amdhsa_exception_fp_ieee_overflow 0
		.amdhsa_exception_fp_ieee_underflow 0
		.amdhsa_exception_fp_ieee_inexact 0
		.amdhsa_exception_int_div_zero 0
	.end_amdhsa_kernel
	.section	.text._ZN7rocprim17ROCPRIM_400000_NS6detail44device_merge_sort_compile_time_verifier_archINS1_11comp_targetILNS1_3genE10ELNS1_11target_archE1201ELNS1_3gpuE5ELNS1_3repE0EEES8_NS1_28merge_sort_block_sort_configILj256ELj4ELNS0_20block_sort_algorithmE0EEENS0_14default_configENS1_37merge_sort_block_sort_config_selectorImNS0_10empty_typeEEENS1_38merge_sort_block_merge_config_selectorImSE_EEEEvv,"axG",@progbits,_ZN7rocprim17ROCPRIM_400000_NS6detail44device_merge_sort_compile_time_verifier_archINS1_11comp_targetILNS1_3genE10ELNS1_11target_archE1201ELNS1_3gpuE5ELNS1_3repE0EEES8_NS1_28merge_sort_block_sort_configILj256ELj4ELNS0_20block_sort_algorithmE0EEENS0_14default_configENS1_37merge_sort_block_sort_config_selectorImNS0_10empty_typeEEENS1_38merge_sort_block_merge_config_selectorImSE_EEEEvv,comdat
.Lfunc_end902:
	.size	_ZN7rocprim17ROCPRIM_400000_NS6detail44device_merge_sort_compile_time_verifier_archINS1_11comp_targetILNS1_3genE10ELNS1_11target_archE1201ELNS1_3gpuE5ELNS1_3repE0EEES8_NS1_28merge_sort_block_sort_configILj256ELj4ELNS0_20block_sort_algorithmE0EEENS0_14default_configENS1_37merge_sort_block_sort_config_selectorImNS0_10empty_typeEEENS1_38merge_sort_block_merge_config_selectorImSE_EEEEvv, .Lfunc_end902-_ZN7rocprim17ROCPRIM_400000_NS6detail44device_merge_sort_compile_time_verifier_archINS1_11comp_targetILNS1_3genE10ELNS1_11target_archE1201ELNS1_3gpuE5ELNS1_3repE0EEES8_NS1_28merge_sort_block_sort_configILj256ELj4ELNS0_20block_sort_algorithmE0EEENS0_14default_configENS1_37merge_sort_block_sort_config_selectorImNS0_10empty_typeEEENS1_38merge_sort_block_merge_config_selectorImSE_EEEEvv
                                        ; -- End function
	.section	.AMDGPU.csdata,"",@progbits
; Kernel info:
; codeLenInByte = 4
; NumSgprs: 4
; NumVgprs: 0
; NumAgprs: 0
; TotalNumVgprs: 0
; ScratchSize: 0
; MemoryBound: 0
; FloatMode: 240
; IeeeMode: 1
; LDSByteSize: 0 bytes/workgroup (compile time only)
; SGPRBlocks: 0
; VGPRBlocks: 0
; NumSGPRsForWavesPerEU: 4
; NumVGPRsForWavesPerEU: 1
; AccumOffset: 4
; Occupancy: 8
; WaveLimiterHint : 0
; COMPUTE_PGM_RSRC2:SCRATCH_EN: 0
; COMPUTE_PGM_RSRC2:USER_SGPR: 4
; COMPUTE_PGM_RSRC2:TRAP_HANDLER: 0
; COMPUTE_PGM_RSRC2:TGID_X_EN: 1
; COMPUTE_PGM_RSRC2:TGID_Y_EN: 0
; COMPUTE_PGM_RSRC2:TGID_Z_EN: 0
; COMPUTE_PGM_RSRC2:TIDIG_COMP_CNT: 0
; COMPUTE_PGM_RSRC3_GFX90A:ACCUM_OFFSET: 0
; COMPUTE_PGM_RSRC3_GFX90A:TG_SPLIT: 0
	.section	.text._ZN7rocprim17ROCPRIM_400000_NS6detail44device_merge_sort_compile_time_verifier_archINS1_11comp_targetILNS1_3genE10ELNS1_11target_archE1200ELNS1_3gpuE4ELNS1_3repE0EEENS3_ILS4_10ELS5_1201ELS6_5ELS7_0EEENS1_28merge_sort_block_sort_configILj256ELj4ELNS0_20block_sort_algorithmE0EEENS0_14default_configENS1_37merge_sort_block_sort_config_selectorImNS0_10empty_typeEEENS1_38merge_sort_block_merge_config_selectorImSF_EEEEvv,"axG",@progbits,_ZN7rocprim17ROCPRIM_400000_NS6detail44device_merge_sort_compile_time_verifier_archINS1_11comp_targetILNS1_3genE10ELNS1_11target_archE1200ELNS1_3gpuE4ELNS1_3repE0EEENS3_ILS4_10ELS5_1201ELS6_5ELS7_0EEENS1_28merge_sort_block_sort_configILj256ELj4ELNS0_20block_sort_algorithmE0EEENS0_14default_configENS1_37merge_sort_block_sort_config_selectorImNS0_10empty_typeEEENS1_38merge_sort_block_merge_config_selectorImSF_EEEEvv,comdat
	.protected	_ZN7rocprim17ROCPRIM_400000_NS6detail44device_merge_sort_compile_time_verifier_archINS1_11comp_targetILNS1_3genE10ELNS1_11target_archE1200ELNS1_3gpuE4ELNS1_3repE0EEENS3_ILS4_10ELS5_1201ELS6_5ELS7_0EEENS1_28merge_sort_block_sort_configILj256ELj4ELNS0_20block_sort_algorithmE0EEENS0_14default_configENS1_37merge_sort_block_sort_config_selectorImNS0_10empty_typeEEENS1_38merge_sort_block_merge_config_selectorImSF_EEEEvv ; -- Begin function _ZN7rocprim17ROCPRIM_400000_NS6detail44device_merge_sort_compile_time_verifier_archINS1_11comp_targetILNS1_3genE10ELNS1_11target_archE1200ELNS1_3gpuE4ELNS1_3repE0EEENS3_ILS4_10ELS5_1201ELS6_5ELS7_0EEENS1_28merge_sort_block_sort_configILj256ELj4ELNS0_20block_sort_algorithmE0EEENS0_14default_configENS1_37merge_sort_block_sort_config_selectorImNS0_10empty_typeEEENS1_38merge_sort_block_merge_config_selectorImSF_EEEEvv
	.globl	_ZN7rocprim17ROCPRIM_400000_NS6detail44device_merge_sort_compile_time_verifier_archINS1_11comp_targetILNS1_3genE10ELNS1_11target_archE1200ELNS1_3gpuE4ELNS1_3repE0EEENS3_ILS4_10ELS5_1201ELS6_5ELS7_0EEENS1_28merge_sort_block_sort_configILj256ELj4ELNS0_20block_sort_algorithmE0EEENS0_14default_configENS1_37merge_sort_block_sort_config_selectorImNS0_10empty_typeEEENS1_38merge_sort_block_merge_config_selectorImSF_EEEEvv
	.p2align	8
	.type	_ZN7rocprim17ROCPRIM_400000_NS6detail44device_merge_sort_compile_time_verifier_archINS1_11comp_targetILNS1_3genE10ELNS1_11target_archE1200ELNS1_3gpuE4ELNS1_3repE0EEENS3_ILS4_10ELS5_1201ELS6_5ELS7_0EEENS1_28merge_sort_block_sort_configILj256ELj4ELNS0_20block_sort_algorithmE0EEENS0_14default_configENS1_37merge_sort_block_sort_config_selectorImNS0_10empty_typeEEENS1_38merge_sort_block_merge_config_selectorImSF_EEEEvv,@function
_ZN7rocprim17ROCPRIM_400000_NS6detail44device_merge_sort_compile_time_verifier_archINS1_11comp_targetILNS1_3genE10ELNS1_11target_archE1200ELNS1_3gpuE4ELNS1_3repE0EEENS3_ILS4_10ELS5_1201ELS6_5ELS7_0EEENS1_28merge_sort_block_sort_configILj256ELj4ELNS0_20block_sort_algorithmE0EEENS0_14default_configENS1_37merge_sort_block_sort_config_selectorImNS0_10empty_typeEEENS1_38merge_sort_block_merge_config_selectorImSF_EEEEvv: ; @_ZN7rocprim17ROCPRIM_400000_NS6detail44device_merge_sort_compile_time_verifier_archINS1_11comp_targetILNS1_3genE10ELNS1_11target_archE1200ELNS1_3gpuE4ELNS1_3repE0EEENS3_ILS4_10ELS5_1201ELS6_5ELS7_0EEENS1_28merge_sort_block_sort_configILj256ELj4ELNS0_20block_sort_algorithmE0EEENS0_14default_configENS1_37merge_sort_block_sort_config_selectorImNS0_10empty_typeEEENS1_38merge_sort_block_merge_config_selectorImSF_EEEEvv
; %bb.0:
	s_endpgm
	.section	.rodata,"a",@progbits
	.p2align	6, 0x0
	.amdhsa_kernel _ZN7rocprim17ROCPRIM_400000_NS6detail44device_merge_sort_compile_time_verifier_archINS1_11comp_targetILNS1_3genE10ELNS1_11target_archE1200ELNS1_3gpuE4ELNS1_3repE0EEENS3_ILS4_10ELS5_1201ELS6_5ELS7_0EEENS1_28merge_sort_block_sort_configILj256ELj4ELNS0_20block_sort_algorithmE0EEENS0_14default_configENS1_37merge_sort_block_sort_config_selectorImNS0_10empty_typeEEENS1_38merge_sort_block_merge_config_selectorImSF_EEEEvv
		.amdhsa_group_segment_fixed_size 0
		.amdhsa_private_segment_fixed_size 0
		.amdhsa_kernarg_size 0
		.amdhsa_user_sgpr_count 4
		.amdhsa_user_sgpr_private_segment_buffer 1
		.amdhsa_user_sgpr_dispatch_ptr 0
		.amdhsa_user_sgpr_queue_ptr 0
		.amdhsa_user_sgpr_kernarg_segment_ptr 0
		.amdhsa_user_sgpr_dispatch_id 0
		.amdhsa_user_sgpr_flat_scratch_init 0
		.amdhsa_user_sgpr_kernarg_preload_length 0
		.amdhsa_user_sgpr_kernarg_preload_offset 0
		.amdhsa_user_sgpr_private_segment_size 0
		.amdhsa_uses_dynamic_stack 0
		.amdhsa_system_sgpr_private_segment_wavefront_offset 0
		.amdhsa_system_sgpr_workgroup_id_x 1
		.amdhsa_system_sgpr_workgroup_id_y 0
		.amdhsa_system_sgpr_workgroup_id_z 0
		.amdhsa_system_sgpr_workgroup_info 0
		.amdhsa_system_vgpr_workitem_id 0
		.amdhsa_next_free_vgpr 1
		.amdhsa_next_free_sgpr 0
		.amdhsa_accum_offset 4
		.amdhsa_reserve_vcc 0
		.amdhsa_reserve_flat_scratch 0
		.amdhsa_float_round_mode_32 0
		.amdhsa_float_round_mode_16_64 0
		.amdhsa_float_denorm_mode_32 3
		.amdhsa_float_denorm_mode_16_64 3
		.amdhsa_dx10_clamp 1
		.amdhsa_ieee_mode 1
		.amdhsa_fp16_overflow 0
		.amdhsa_tg_split 0
		.amdhsa_exception_fp_ieee_invalid_op 0
		.amdhsa_exception_fp_denorm_src 0
		.amdhsa_exception_fp_ieee_div_zero 0
		.amdhsa_exception_fp_ieee_overflow 0
		.amdhsa_exception_fp_ieee_underflow 0
		.amdhsa_exception_fp_ieee_inexact 0
		.amdhsa_exception_int_div_zero 0
	.end_amdhsa_kernel
	.section	.text._ZN7rocprim17ROCPRIM_400000_NS6detail44device_merge_sort_compile_time_verifier_archINS1_11comp_targetILNS1_3genE10ELNS1_11target_archE1200ELNS1_3gpuE4ELNS1_3repE0EEENS3_ILS4_10ELS5_1201ELS6_5ELS7_0EEENS1_28merge_sort_block_sort_configILj256ELj4ELNS0_20block_sort_algorithmE0EEENS0_14default_configENS1_37merge_sort_block_sort_config_selectorImNS0_10empty_typeEEENS1_38merge_sort_block_merge_config_selectorImSF_EEEEvv,"axG",@progbits,_ZN7rocprim17ROCPRIM_400000_NS6detail44device_merge_sort_compile_time_verifier_archINS1_11comp_targetILNS1_3genE10ELNS1_11target_archE1200ELNS1_3gpuE4ELNS1_3repE0EEENS3_ILS4_10ELS5_1201ELS6_5ELS7_0EEENS1_28merge_sort_block_sort_configILj256ELj4ELNS0_20block_sort_algorithmE0EEENS0_14default_configENS1_37merge_sort_block_sort_config_selectorImNS0_10empty_typeEEENS1_38merge_sort_block_merge_config_selectorImSF_EEEEvv,comdat
.Lfunc_end903:
	.size	_ZN7rocprim17ROCPRIM_400000_NS6detail44device_merge_sort_compile_time_verifier_archINS1_11comp_targetILNS1_3genE10ELNS1_11target_archE1200ELNS1_3gpuE4ELNS1_3repE0EEENS3_ILS4_10ELS5_1201ELS6_5ELS7_0EEENS1_28merge_sort_block_sort_configILj256ELj4ELNS0_20block_sort_algorithmE0EEENS0_14default_configENS1_37merge_sort_block_sort_config_selectorImNS0_10empty_typeEEENS1_38merge_sort_block_merge_config_selectorImSF_EEEEvv, .Lfunc_end903-_ZN7rocprim17ROCPRIM_400000_NS6detail44device_merge_sort_compile_time_verifier_archINS1_11comp_targetILNS1_3genE10ELNS1_11target_archE1200ELNS1_3gpuE4ELNS1_3repE0EEENS3_ILS4_10ELS5_1201ELS6_5ELS7_0EEENS1_28merge_sort_block_sort_configILj256ELj4ELNS0_20block_sort_algorithmE0EEENS0_14default_configENS1_37merge_sort_block_sort_config_selectorImNS0_10empty_typeEEENS1_38merge_sort_block_merge_config_selectorImSF_EEEEvv
                                        ; -- End function
	.section	.AMDGPU.csdata,"",@progbits
; Kernel info:
; codeLenInByte = 4
; NumSgprs: 4
; NumVgprs: 0
; NumAgprs: 0
; TotalNumVgprs: 0
; ScratchSize: 0
; MemoryBound: 0
; FloatMode: 240
; IeeeMode: 1
; LDSByteSize: 0 bytes/workgroup (compile time only)
; SGPRBlocks: 0
; VGPRBlocks: 0
; NumSGPRsForWavesPerEU: 4
; NumVGPRsForWavesPerEU: 1
; AccumOffset: 4
; Occupancy: 8
; WaveLimiterHint : 0
; COMPUTE_PGM_RSRC2:SCRATCH_EN: 0
; COMPUTE_PGM_RSRC2:USER_SGPR: 4
; COMPUTE_PGM_RSRC2:TRAP_HANDLER: 0
; COMPUTE_PGM_RSRC2:TGID_X_EN: 1
; COMPUTE_PGM_RSRC2:TGID_Y_EN: 0
; COMPUTE_PGM_RSRC2:TGID_Z_EN: 0
; COMPUTE_PGM_RSRC2:TIDIG_COMP_CNT: 0
; COMPUTE_PGM_RSRC3_GFX90A:ACCUM_OFFSET: 0
; COMPUTE_PGM_RSRC3_GFX90A:TG_SPLIT: 0
	.section	.text._ZN7rocprim17ROCPRIM_400000_NS6detail44device_merge_sort_compile_time_verifier_archINS1_11comp_targetILNS1_3genE9ELNS1_11target_archE1100ELNS1_3gpuE3ELNS1_3repE0EEES8_NS1_28merge_sort_block_sort_configILj256ELj4ELNS0_20block_sort_algorithmE0EEENS0_14default_configENS1_37merge_sort_block_sort_config_selectorImNS0_10empty_typeEEENS1_38merge_sort_block_merge_config_selectorImSE_EEEEvv,"axG",@progbits,_ZN7rocprim17ROCPRIM_400000_NS6detail44device_merge_sort_compile_time_verifier_archINS1_11comp_targetILNS1_3genE9ELNS1_11target_archE1100ELNS1_3gpuE3ELNS1_3repE0EEES8_NS1_28merge_sort_block_sort_configILj256ELj4ELNS0_20block_sort_algorithmE0EEENS0_14default_configENS1_37merge_sort_block_sort_config_selectorImNS0_10empty_typeEEENS1_38merge_sort_block_merge_config_selectorImSE_EEEEvv,comdat
	.protected	_ZN7rocprim17ROCPRIM_400000_NS6detail44device_merge_sort_compile_time_verifier_archINS1_11comp_targetILNS1_3genE9ELNS1_11target_archE1100ELNS1_3gpuE3ELNS1_3repE0EEES8_NS1_28merge_sort_block_sort_configILj256ELj4ELNS0_20block_sort_algorithmE0EEENS0_14default_configENS1_37merge_sort_block_sort_config_selectorImNS0_10empty_typeEEENS1_38merge_sort_block_merge_config_selectorImSE_EEEEvv ; -- Begin function _ZN7rocprim17ROCPRIM_400000_NS6detail44device_merge_sort_compile_time_verifier_archINS1_11comp_targetILNS1_3genE9ELNS1_11target_archE1100ELNS1_3gpuE3ELNS1_3repE0EEES8_NS1_28merge_sort_block_sort_configILj256ELj4ELNS0_20block_sort_algorithmE0EEENS0_14default_configENS1_37merge_sort_block_sort_config_selectorImNS0_10empty_typeEEENS1_38merge_sort_block_merge_config_selectorImSE_EEEEvv
	.globl	_ZN7rocprim17ROCPRIM_400000_NS6detail44device_merge_sort_compile_time_verifier_archINS1_11comp_targetILNS1_3genE9ELNS1_11target_archE1100ELNS1_3gpuE3ELNS1_3repE0EEES8_NS1_28merge_sort_block_sort_configILj256ELj4ELNS0_20block_sort_algorithmE0EEENS0_14default_configENS1_37merge_sort_block_sort_config_selectorImNS0_10empty_typeEEENS1_38merge_sort_block_merge_config_selectorImSE_EEEEvv
	.p2align	8
	.type	_ZN7rocprim17ROCPRIM_400000_NS6detail44device_merge_sort_compile_time_verifier_archINS1_11comp_targetILNS1_3genE9ELNS1_11target_archE1100ELNS1_3gpuE3ELNS1_3repE0EEES8_NS1_28merge_sort_block_sort_configILj256ELj4ELNS0_20block_sort_algorithmE0EEENS0_14default_configENS1_37merge_sort_block_sort_config_selectorImNS0_10empty_typeEEENS1_38merge_sort_block_merge_config_selectorImSE_EEEEvv,@function
_ZN7rocprim17ROCPRIM_400000_NS6detail44device_merge_sort_compile_time_verifier_archINS1_11comp_targetILNS1_3genE9ELNS1_11target_archE1100ELNS1_3gpuE3ELNS1_3repE0EEES8_NS1_28merge_sort_block_sort_configILj256ELj4ELNS0_20block_sort_algorithmE0EEENS0_14default_configENS1_37merge_sort_block_sort_config_selectorImNS0_10empty_typeEEENS1_38merge_sort_block_merge_config_selectorImSE_EEEEvv: ; @_ZN7rocprim17ROCPRIM_400000_NS6detail44device_merge_sort_compile_time_verifier_archINS1_11comp_targetILNS1_3genE9ELNS1_11target_archE1100ELNS1_3gpuE3ELNS1_3repE0EEES8_NS1_28merge_sort_block_sort_configILj256ELj4ELNS0_20block_sort_algorithmE0EEENS0_14default_configENS1_37merge_sort_block_sort_config_selectorImNS0_10empty_typeEEENS1_38merge_sort_block_merge_config_selectorImSE_EEEEvv
; %bb.0:
	s_endpgm
	.section	.rodata,"a",@progbits
	.p2align	6, 0x0
	.amdhsa_kernel _ZN7rocprim17ROCPRIM_400000_NS6detail44device_merge_sort_compile_time_verifier_archINS1_11comp_targetILNS1_3genE9ELNS1_11target_archE1100ELNS1_3gpuE3ELNS1_3repE0EEES8_NS1_28merge_sort_block_sort_configILj256ELj4ELNS0_20block_sort_algorithmE0EEENS0_14default_configENS1_37merge_sort_block_sort_config_selectorImNS0_10empty_typeEEENS1_38merge_sort_block_merge_config_selectorImSE_EEEEvv
		.amdhsa_group_segment_fixed_size 0
		.amdhsa_private_segment_fixed_size 0
		.amdhsa_kernarg_size 0
		.amdhsa_user_sgpr_count 4
		.amdhsa_user_sgpr_private_segment_buffer 1
		.amdhsa_user_sgpr_dispatch_ptr 0
		.amdhsa_user_sgpr_queue_ptr 0
		.amdhsa_user_sgpr_kernarg_segment_ptr 0
		.amdhsa_user_sgpr_dispatch_id 0
		.amdhsa_user_sgpr_flat_scratch_init 0
		.amdhsa_user_sgpr_kernarg_preload_length 0
		.amdhsa_user_sgpr_kernarg_preload_offset 0
		.amdhsa_user_sgpr_private_segment_size 0
		.amdhsa_uses_dynamic_stack 0
		.amdhsa_system_sgpr_private_segment_wavefront_offset 0
		.amdhsa_system_sgpr_workgroup_id_x 1
		.amdhsa_system_sgpr_workgroup_id_y 0
		.amdhsa_system_sgpr_workgroup_id_z 0
		.amdhsa_system_sgpr_workgroup_info 0
		.amdhsa_system_vgpr_workitem_id 0
		.amdhsa_next_free_vgpr 1
		.amdhsa_next_free_sgpr 0
		.amdhsa_accum_offset 4
		.amdhsa_reserve_vcc 0
		.amdhsa_reserve_flat_scratch 0
		.amdhsa_float_round_mode_32 0
		.amdhsa_float_round_mode_16_64 0
		.amdhsa_float_denorm_mode_32 3
		.amdhsa_float_denorm_mode_16_64 3
		.amdhsa_dx10_clamp 1
		.amdhsa_ieee_mode 1
		.amdhsa_fp16_overflow 0
		.amdhsa_tg_split 0
		.amdhsa_exception_fp_ieee_invalid_op 0
		.amdhsa_exception_fp_denorm_src 0
		.amdhsa_exception_fp_ieee_div_zero 0
		.amdhsa_exception_fp_ieee_overflow 0
		.amdhsa_exception_fp_ieee_underflow 0
		.amdhsa_exception_fp_ieee_inexact 0
		.amdhsa_exception_int_div_zero 0
	.end_amdhsa_kernel
	.section	.text._ZN7rocprim17ROCPRIM_400000_NS6detail44device_merge_sort_compile_time_verifier_archINS1_11comp_targetILNS1_3genE9ELNS1_11target_archE1100ELNS1_3gpuE3ELNS1_3repE0EEES8_NS1_28merge_sort_block_sort_configILj256ELj4ELNS0_20block_sort_algorithmE0EEENS0_14default_configENS1_37merge_sort_block_sort_config_selectorImNS0_10empty_typeEEENS1_38merge_sort_block_merge_config_selectorImSE_EEEEvv,"axG",@progbits,_ZN7rocprim17ROCPRIM_400000_NS6detail44device_merge_sort_compile_time_verifier_archINS1_11comp_targetILNS1_3genE9ELNS1_11target_archE1100ELNS1_3gpuE3ELNS1_3repE0EEES8_NS1_28merge_sort_block_sort_configILj256ELj4ELNS0_20block_sort_algorithmE0EEENS0_14default_configENS1_37merge_sort_block_sort_config_selectorImNS0_10empty_typeEEENS1_38merge_sort_block_merge_config_selectorImSE_EEEEvv,comdat
.Lfunc_end904:
	.size	_ZN7rocprim17ROCPRIM_400000_NS6detail44device_merge_sort_compile_time_verifier_archINS1_11comp_targetILNS1_3genE9ELNS1_11target_archE1100ELNS1_3gpuE3ELNS1_3repE0EEES8_NS1_28merge_sort_block_sort_configILj256ELj4ELNS0_20block_sort_algorithmE0EEENS0_14default_configENS1_37merge_sort_block_sort_config_selectorImNS0_10empty_typeEEENS1_38merge_sort_block_merge_config_selectorImSE_EEEEvv, .Lfunc_end904-_ZN7rocprim17ROCPRIM_400000_NS6detail44device_merge_sort_compile_time_verifier_archINS1_11comp_targetILNS1_3genE9ELNS1_11target_archE1100ELNS1_3gpuE3ELNS1_3repE0EEES8_NS1_28merge_sort_block_sort_configILj256ELj4ELNS0_20block_sort_algorithmE0EEENS0_14default_configENS1_37merge_sort_block_sort_config_selectorImNS0_10empty_typeEEENS1_38merge_sort_block_merge_config_selectorImSE_EEEEvv
                                        ; -- End function
	.section	.AMDGPU.csdata,"",@progbits
; Kernel info:
; codeLenInByte = 4
; NumSgprs: 4
; NumVgprs: 0
; NumAgprs: 0
; TotalNumVgprs: 0
; ScratchSize: 0
; MemoryBound: 0
; FloatMode: 240
; IeeeMode: 1
; LDSByteSize: 0 bytes/workgroup (compile time only)
; SGPRBlocks: 0
; VGPRBlocks: 0
; NumSGPRsForWavesPerEU: 4
; NumVGPRsForWavesPerEU: 1
; AccumOffset: 4
; Occupancy: 8
; WaveLimiterHint : 0
; COMPUTE_PGM_RSRC2:SCRATCH_EN: 0
; COMPUTE_PGM_RSRC2:USER_SGPR: 4
; COMPUTE_PGM_RSRC2:TRAP_HANDLER: 0
; COMPUTE_PGM_RSRC2:TGID_X_EN: 1
; COMPUTE_PGM_RSRC2:TGID_Y_EN: 0
; COMPUTE_PGM_RSRC2:TGID_Z_EN: 0
; COMPUTE_PGM_RSRC2:TIDIG_COMP_CNT: 0
; COMPUTE_PGM_RSRC3_GFX90A:ACCUM_OFFSET: 0
; COMPUTE_PGM_RSRC3_GFX90A:TG_SPLIT: 0
	.section	.text._ZN7rocprim17ROCPRIM_400000_NS6detail44device_merge_sort_compile_time_verifier_archINS1_11comp_targetILNS1_3genE8ELNS1_11target_archE1030ELNS1_3gpuE2ELNS1_3repE0EEES8_NS1_28merge_sort_block_sort_configILj256ELj4ELNS0_20block_sort_algorithmE0EEENS0_14default_configENS1_37merge_sort_block_sort_config_selectorImNS0_10empty_typeEEENS1_38merge_sort_block_merge_config_selectorImSE_EEEEvv,"axG",@progbits,_ZN7rocprim17ROCPRIM_400000_NS6detail44device_merge_sort_compile_time_verifier_archINS1_11comp_targetILNS1_3genE8ELNS1_11target_archE1030ELNS1_3gpuE2ELNS1_3repE0EEES8_NS1_28merge_sort_block_sort_configILj256ELj4ELNS0_20block_sort_algorithmE0EEENS0_14default_configENS1_37merge_sort_block_sort_config_selectorImNS0_10empty_typeEEENS1_38merge_sort_block_merge_config_selectorImSE_EEEEvv,comdat
	.protected	_ZN7rocprim17ROCPRIM_400000_NS6detail44device_merge_sort_compile_time_verifier_archINS1_11comp_targetILNS1_3genE8ELNS1_11target_archE1030ELNS1_3gpuE2ELNS1_3repE0EEES8_NS1_28merge_sort_block_sort_configILj256ELj4ELNS0_20block_sort_algorithmE0EEENS0_14default_configENS1_37merge_sort_block_sort_config_selectorImNS0_10empty_typeEEENS1_38merge_sort_block_merge_config_selectorImSE_EEEEvv ; -- Begin function _ZN7rocprim17ROCPRIM_400000_NS6detail44device_merge_sort_compile_time_verifier_archINS1_11comp_targetILNS1_3genE8ELNS1_11target_archE1030ELNS1_3gpuE2ELNS1_3repE0EEES8_NS1_28merge_sort_block_sort_configILj256ELj4ELNS0_20block_sort_algorithmE0EEENS0_14default_configENS1_37merge_sort_block_sort_config_selectorImNS0_10empty_typeEEENS1_38merge_sort_block_merge_config_selectorImSE_EEEEvv
	.globl	_ZN7rocprim17ROCPRIM_400000_NS6detail44device_merge_sort_compile_time_verifier_archINS1_11comp_targetILNS1_3genE8ELNS1_11target_archE1030ELNS1_3gpuE2ELNS1_3repE0EEES8_NS1_28merge_sort_block_sort_configILj256ELj4ELNS0_20block_sort_algorithmE0EEENS0_14default_configENS1_37merge_sort_block_sort_config_selectorImNS0_10empty_typeEEENS1_38merge_sort_block_merge_config_selectorImSE_EEEEvv
	.p2align	8
	.type	_ZN7rocprim17ROCPRIM_400000_NS6detail44device_merge_sort_compile_time_verifier_archINS1_11comp_targetILNS1_3genE8ELNS1_11target_archE1030ELNS1_3gpuE2ELNS1_3repE0EEES8_NS1_28merge_sort_block_sort_configILj256ELj4ELNS0_20block_sort_algorithmE0EEENS0_14default_configENS1_37merge_sort_block_sort_config_selectorImNS0_10empty_typeEEENS1_38merge_sort_block_merge_config_selectorImSE_EEEEvv,@function
_ZN7rocprim17ROCPRIM_400000_NS6detail44device_merge_sort_compile_time_verifier_archINS1_11comp_targetILNS1_3genE8ELNS1_11target_archE1030ELNS1_3gpuE2ELNS1_3repE0EEES8_NS1_28merge_sort_block_sort_configILj256ELj4ELNS0_20block_sort_algorithmE0EEENS0_14default_configENS1_37merge_sort_block_sort_config_selectorImNS0_10empty_typeEEENS1_38merge_sort_block_merge_config_selectorImSE_EEEEvv: ; @_ZN7rocprim17ROCPRIM_400000_NS6detail44device_merge_sort_compile_time_verifier_archINS1_11comp_targetILNS1_3genE8ELNS1_11target_archE1030ELNS1_3gpuE2ELNS1_3repE0EEES8_NS1_28merge_sort_block_sort_configILj256ELj4ELNS0_20block_sort_algorithmE0EEENS0_14default_configENS1_37merge_sort_block_sort_config_selectorImNS0_10empty_typeEEENS1_38merge_sort_block_merge_config_selectorImSE_EEEEvv
; %bb.0:
	s_endpgm
	.section	.rodata,"a",@progbits
	.p2align	6, 0x0
	.amdhsa_kernel _ZN7rocprim17ROCPRIM_400000_NS6detail44device_merge_sort_compile_time_verifier_archINS1_11comp_targetILNS1_3genE8ELNS1_11target_archE1030ELNS1_3gpuE2ELNS1_3repE0EEES8_NS1_28merge_sort_block_sort_configILj256ELj4ELNS0_20block_sort_algorithmE0EEENS0_14default_configENS1_37merge_sort_block_sort_config_selectorImNS0_10empty_typeEEENS1_38merge_sort_block_merge_config_selectorImSE_EEEEvv
		.amdhsa_group_segment_fixed_size 0
		.amdhsa_private_segment_fixed_size 0
		.amdhsa_kernarg_size 0
		.amdhsa_user_sgpr_count 4
		.amdhsa_user_sgpr_private_segment_buffer 1
		.amdhsa_user_sgpr_dispatch_ptr 0
		.amdhsa_user_sgpr_queue_ptr 0
		.amdhsa_user_sgpr_kernarg_segment_ptr 0
		.amdhsa_user_sgpr_dispatch_id 0
		.amdhsa_user_sgpr_flat_scratch_init 0
		.amdhsa_user_sgpr_kernarg_preload_length 0
		.amdhsa_user_sgpr_kernarg_preload_offset 0
		.amdhsa_user_sgpr_private_segment_size 0
		.amdhsa_uses_dynamic_stack 0
		.amdhsa_system_sgpr_private_segment_wavefront_offset 0
		.amdhsa_system_sgpr_workgroup_id_x 1
		.amdhsa_system_sgpr_workgroup_id_y 0
		.amdhsa_system_sgpr_workgroup_id_z 0
		.amdhsa_system_sgpr_workgroup_info 0
		.amdhsa_system_vgpr_workitem_id 0
		.amdhsa_next_free_vgpr 1
		.amdhsa_next_free_sgpr 0
		.amdhsa_accum_offset 4
		.amdhsa_reserve_vcc 0
		.amdhsa_reserve_flat_scratch 0
		.amdhsa_float_round_mode_32 0
		.amdhsa_float_round_mode_16_64 0
		.amdhsa_float_denorm_mode_32 3
		.amdhsa_float_denorm_mode_16_64 3
		.amdhsa_dx10_clamp 1
		.amdhsa_ieee_mode 1
		.amdhsa_fp16_overflow 0
		.amdhsa_tg_split 0
		.amdhsa_exception_fp_ieee_invalid_op 0
		.amdhsa_exception_fp_denorm_src 0
		.amdhsa_exception_fp_ieee_div_zero 0
		.amdhsa_exception_fp_ieee_overflow 0
		.amdhsa_exception_fp_ieee_underflow 0
		.amdhsa_exception_fp_ieee_inexact 0
		.amdhsa_exception_int_div_zero 0
	.end_amdhsa_kernel
	.section	.text._ZN7rocprim17ROCPRIM_400000_NS6detail44device_merge_sort_compile_time_verifier_archINS1_11comp_targetILNS1_3genE8ELNS1_11target_archE1030ELNS1_3gpuE2ELNS1_3repE0EEES8_NS1_28merge_sort_block_sort_configILj256ELj4ELNS0_20block_sort_algorithmE0EEENS0_14default_configENS1_37merge_sort_block_sort_config_selectorImNS0_10empty_typeEEENS1_38merge_sort_block_merge_config_selectorImSE_EEEEvv,"axG",@progbits,_ZN7rocprim17ROCPRIM_400000_NS6detail44device_merge_sort_compile_time_verifier_archINS1_11comp_targetILNS1_3genE8ELNS1_11target_archE1030ELNS1_3gpuE2ELNS1_3repE0EEES8_NS1_28merge_sort_block_sort_configILj256ELj4ELNS0_20block_sort_algorithmE0EEENS0_14default_configENS1_37merge_sort_block_sort_config_selectorImNS0_10empty_typeEEENS1_38merge_sort_block_merge_config_selectorImSE_EEEEvv,comdat
.Lfunc_end905:
	.size	_ZN7rocprim17ROCPRIM_400000_NS6detail44device_merge_sort_compile_time_verifier_archINS1_11comp_targetILNS1_3genE8ELNS1_11target_archE1030ELNS1_3gpuE2ELNS1_3repE0EEES8_NS1_28merge_sort_block_sort_configILj256ELj4ELNS0_20block_sort_algorithmE0EEENS0_14default_configENS1_37merge_sort_block_sort_config_selectorImNS0_10empty_typeEEENS1_38merge_sort_block_merge_config_selectorImSE_EEEEvv, .Lfunc_end905-_ZN7rocprim17ROCPRIM_400000_NS6detail44device_merge_sort_compile_time_verifier_archINS1_11comp_targetILNS1_3genE8ELNS1_11target_archE1030ELNS1_3gpuE2ELNS1_3repE0EEES8_NS1_28merge_sort_block_sort_configILj256ELj4ELNS0_20block_sort_algorithmE0EEENS0_14default_configENS1_37merge_sort_block_sort_config_selectorImNS0_10empty_typeEEENS1_38merge_sort_block_merge_config_selectorImSE_EEEEvv
                                        ; -- End function
	.section	.AMDGPU.csdata,"",@progbits
; Kernel info:
; codeLenInByte = 4
; NumSgprs: 4
; NumVgprs: 0
; NumAgprs: 0
; TotalNumVgprs: 0
; ScratchSize: 0
; MemoryBound: 0
; FloatMode: 240
; IeeeMode: 1
; LDSByteSize: 0 bytes/workgroup (compile time only)
; SGPRBlocks: 0
; VGPRBlocks: 0
; NumSGPRsForWavesPerEU: 4
; NumVGPRsForWavesPerEU: 1
; AccumOffset: 4
; Occupancy: 8
; WaveLimiterHint : 0
; COMPUTE_PGM_RSRC2:SCRATCH_EN: 0
; COMPUTE_PGM_RSRC2:USER_SGPR: 4
; COMPUTE_PGM_RSRC2:TRAP_HANDLER: 0
; COMPUTE_PGM_RSRC2:TGID_X_EN: 1
; COMPUTE_PGM_RSRC2:TGID_Y_EN: 0
; COMPUTE_PGM_RSRC2:TGID_Z_EN: 0
; COMPUTE_PGM_RSRC2:TIDIG_COMP_CNT: 0
; COMPUTE_PGM_RSRC3_GFX90A:ACCUM_OFFSET: 0
; COMPUTE_PGM_RSRC3_GFX90A:TG_SPLIT: 0
	.section	.text._ZN7rocprim17ROCPRIM_400000_NS6detail17trampoline_kernelINS0_14default_configENS1_38merge_sort_block_merge_config_selectorImNS0_10empty_typeEEEZZNS1_27merge_sort_block_merge_implIS3_PmPS5_jNS1_19radix_merge_compareILb0ELb0EmNS0_19identity_decomposerEEEEE10hipError_tT0_T1_T2_jT3_P12ihipStream_tbPNSt15iterator_traitsISE_E10value_typeEPNSK_ISF_E10value_typeEPSG_NS1_7vsmem_tEENKUlT_SE_SF_SG_E_clIS8_S8_S9_S9_EESD_ST_SE_SF_SG_EUlST_E_NS1_11comp_targetILNS1_3genE0ELNS1_11target_archE4294967295ELNS1_3gpuE0ELNS1_3repE0EEENS1_48merge_mergepath_partition_config_static_selectorELNS0_4arch9wavefront6targetE1EEEvSF_,"axG",@progbits,_ZN7rocprim17ROCPRIM_400000_NS6detail17trampoline_kernelINS0_14default_configENS1_38merge_sort_block_merge_config_selectorImNS0_10empty_typeEEEZZNS1_27merge_sort_block_merge_implIS3_PmPS5_jNS1_19radix_merge_compareILb0ELb0EmNS0_19identity_decomposerEEEEE10hipError_tT0_T1_T2_jT3_P12ihipStream_tbPNSt15iterator_traitsISE_E10value_typeEPNSK_ISF_E10value_typeEPSG_NS1_7vsmem_tEENKUlT_SE_SF_SG_E_clIS8_S8_S9_S9_EESD_ST_SE_SF_SG_EUlST_E_NS1_11comp_targetILNS1_3genE0ELNS1_11target_archE4294967295ELNS1_3gpuE0ELNS1_3repE0EEENS1_48merge_mergepath_partition_config_static_selectorELNS0_4arch9wavefront6targetE1EEEvSF_,comdat
	.protected	_ZN7rocprim17ROCPRIM_400000_NS6detail17trampoline_kernelINS0_14default_configENS1_38merge_sort_block_merge_config_selectorImNS0_10empty_typeEEEZZNS1_27merge_sort_block_merge_implIS3_PmPS5_jNS1_19radix_merge_compareILb0ELb0EmNS0_19identity_decomposerEEEEE10hipError_tT0_T1_T2_jT3_P12ihipStream_tbPNSt15iterator_traitsISE_E10value_typeEPNSK_ISF_E10value_typeEPSG_NS1_7vsmem_tEENKUlT_SE_SF_SG_E_clIS8_S8_S9_S9_EESD_ST_SE_SF_SG_EUlST_E_NS1_11comp_targetILNS1_3genE0ELNS1_11target_archE4294967295ELNS1_3gpuE0ELNS1_3repE0EEENS1_48merge_mergepath_partition_config_static_selectorELNS0_4arch9wavefront6targetE1EEEvSF_ ; -- Begin function _ZN7rocprim17ROCPRIM_400000_NS6detail17trampoline_kernelINS0_14default_configENS1_38merge_sort_block_merge_config_selectorImNS0_10empty_typeEEEZZNS1_27merge_sort_block_merge_implIS3_PmPS5_jNS1_19radix_merge_compareILb0ELb0EmNS0_19identity_decomposerEEEEE10hipError_tT0_T1_T2_jT3_P12ihipStream_tbPNSt15iterator_traitsISE_E10value_typeEPNSK_ISF_E10value_typeEPSG_NS1_7vsmem_tEENKUlT_SE_SF_SG_E_clIS8_S8_S9_S9_EESD_ST_SE_SF_SG_EUlST_E_NS1_11comp_targetILNS1_3genE0ELNS1_11target_archE4294967295ELNS1_3gpuE0ELNS1_3repE0EEENS1_48merge_mergepath_partition_config_static_selectorELNS0_4arch9wavefront6targetE1EEEvSF_
	.globl	_ZN7rocprim17ROCPRIM_400000_NS6detail17trampoline_kernelINS0_14default_configENS1_38merge_sort_block_merge_config_selectorImNS0_10empty_typeEEEZZNS1_27merge_sort_block_merge_implIS3_PmPS5_jNS1_19radix_merge_compareILb0ELb0EmNS0_19identity_decomposerEEEEE10hipError_tT0_T1_T2_jT3_P12ihipStream_tbPNSt15iterator_traitsISE_E10value_typeEPNSK_ISF_E10value_typeEPSG_NS1_7vsmem_tEENKUlT_SE_SF_SG_E_clIS8_S8_S9_S9_EESD_ST_SE_SF_SG_EUlST_E_NS1_11comp_targetILNS1_3genE0ELNS1_11target_archE4294967295ELNS1_3gpuE0ELNS1_3repE0EEENS1_48merge_mergepath_partition_config_static_selectorELNS0_4arch9wavefront6targetE1EEEvSF_
	.p2align	8
	.type	_ZN7rocprim17ROCPRIM_400000_NS6detail17trampoline_kernelINS0_14default_configENS1_38merge_sort_block_merge_config_selectorImNS0_10empty_typeEEEZZNS1_27merge_sort_block_merge_implIS3_PmPS5_jNS1_19radix_merge_compareILb0ELb0EmNS0_19identity_decomposerEEEEE10hipError_tT0_T1_T2_jT3_P12ihipStream_tbPNSt15iterator_traitsISE_E10value_typeEPNSK_ISF_E10value_typeEPSG_NS1_7vsmem_tEENKUlT_SE_SF_SG_E_clIS8_S8_S9_S9_EESD_ST_SE_SF_SG_EUlST_E_NS1_11comp_targetILNS1_3genE0ELNS1_11target_archE4294967295ELNS1_3gpuE0ELNS1_3repE0EEENS1_48merge_mergepath_partition_config_static_selectorELNS0_4arch9wavefront6targetE1EEEvSF_,@function
_ZN7rocprim17ROCPRIM_400000_NS6detail17trampoline_kernelINS0_14default_configENS1_38merge_sort_block_merge_config_selectorImNS0_10empty_typeEEEZZNS1_27merge_sort_block_merge_implIS3_PmPS5_jNS1_19radix_merge_compareILb0ELb0EmNS0_19identity_decomposerEEEEE10hipError_tT0_T1_T2_jT3_P12ihipStream_tbPNSt15iterator_traitsISE_E10value_typeEPNSK_ISF_E10value_typeEPSG_NS1_7vsmem_tEENKUlT_SE_SF_SG_E_clIS8_S8_S9_S9_EESD_ST_SE_SF_SG_EUlST_E_NS1_11comp_targetILNS1_3genE0ELNS1_11target_archE4294967295ELNS1_3gpuE0ELNS1_3repE0EEENS1_48merge_mergepath_partition_config_static_selectorELNS0_4arch9wavefront6targetE1EEEvSF_: ; @_ZN7rocprim17ROCPRIM_400000_NS6detail17trampoline_kernelINS0_14default_configENS1_38merge_sort_block_merge_config_selectorImNS0_10empty_typeEEEZZNS1_27merge_sort_block_merge_implIS3_PmPS5_jNS1_19radix_merge_compareILb0ELb0EmNS0_19identity_decomposerEEEEE10hipError_tT0_T1_T2_jT3_P12ihipStream_tbPNSt15iterator_traitsISE_E10value_typeEPNSK_ISF_E10value_typeEPSG_NS1_7vsmem_tEENKUlT_SE_SF_SG_E_clIS8_S8_S9_S9_EESD_ST_SE_SF_SG_EUlST_E_NS1_11comp_targetILNS1_3genE0ELNS1_11target_archE4294967295ELNS1_3gpuE0ELNS1_3repE0EEENS1_48merge_mergepath_partition_config_static_selectorELNS0_4arch9wavefront6targetE1EEEvSF_
; %bb.0:
	.section	.rodata,"a",@progbits
	.p2align	6, 0x0
	.amdhsa_kernel _ZN7rocprim17ROCPRIM_400000_NS6detail17trampoline_kernelINS0_14default_configENS1_38merge_sort_block_merge_config_selectorImNS0_10empty_typeEEEZZNS1_27merge_sort_block_merge_implIS3_PmPS5_jNS1_19radix_merge_compareILb0ELb0EmNS0_19identity_decomposerEEEEE10hipError_tT0_T1_T2_jT3_P12ihipStream_tbPNSt15iterator_traitsISE_E10value_typeEPNSK_ISF_E10value_typeEPSG_NS1_7vsmem_tEENKUlT_SE_SF_SG_E_clIS8_S8_S9_S9_EESD_ST_SE_SF_SG_EUlST_E_NS1_11comp_targetILNS1_3genE0ELNS1_11target_archE4294967295ELNS1_3gpuE0ELNS1_3repE0EEENS1_48merge_mergepath_partition_config_static_selectorELNS0_4arch9wavefront6targetE1EEEvSF_
		.amdhsa_group_segment_fixed_size 0
		.amdhsa_private_segment_fixed_size 0
		.amdhsa_kernarg_size 40
		.amdhsa_user_sgpr_count 6
		.amdhsa_user_sgpr_private_segment_buffer 1
		.amdhsa_user_sgpr_dispatch_ptr 0
		.amdhsa_user_sgpr_queue_ptr 0
		.amdhsa_user_sgpr_kernarg_segment_ptr 1
		.amdhsa_user_sgpr_dispatch_id 0
		.amdhsa_user_sgpr_flat_scratch_init 0
		.amdhsa_user_sgpr_kernarg_preload_length 0
		.amdhsa_user_sgpr_kernarg_preload_offset 0
		.amdhsa_user_sgpr_private_segment_size 0
		.amdhsa_uses_dynamic_stack 0
		.amdhsa_system_sgpr_private_segment_wavefront_offset 0
		.amdhsa_system_sgpr_workgroup_id_x 1
		.amdhsa_system_sgpr_workgroup_id_y 0
		.amdhsa_system_sgpr_workgroup_id_z 0
		.amdhsa_system_sgpr_workgroup_info 0
		.amdhsa_system_vgpr_workitem_id 0
		.amdhsa_next_free_vgpr 1
		.amdhsa_next_free_sgpr 0
		.amdhsa_accum_offset 4
		.amdhsa_reserve_vcc 0
		.amdhsa_reserve_flat_scratch 0
		.amdhsa_float_round_mode_32 0
		.amdhsa_float_round_mode_16_64 0
		.amdhsa_float_denorm_mode_32 3
		.amdhsa_float_denorm_mode_16_64 3
		.amdhsa_dx10_clamp 1
		.amdhsa_ieee_mode 1
		.amdhsa_fp16_overflow 0
		.amdhsa_tg_split 0
		.amdhsa_exception_fp_ieee_invalid_op 0
		.amdhsa_exception_fp_denorm_src 0
		.amdhsa_exception_fp_ieee_div_zero 0
		.amdhsa_exception_fp_ieee_overflow 0
		.amdhsa_exception_fp_ieee_underflow 0
		.amdhsa_exception_fp_ieee_inexact 0
		.amdhsa_exception_int_div_zero 0
	.end_amdhsa_kernel
	.section	.text._ZN7rocprim17ROCPRIM_400000_NS6detail17trampoline_kernelINS0_14default_configENS1_38merge_sort_block_merge_config_selectorImNS0_10empty_typeEEEZZNS1_27merge_sort_block_merge_implIS3_PmPS5_jNS1_19radix_merge_compareILb0ELb0EmNS0_19identity_decomposerEEEEE10hipError_tT0_T1_T2_jT3_P12ihipStream_tbPNSt15iterator_traitsISE_E10value_typeEPNSK_ISF_E10value_typeEPSG_NS1_7vsmem_tEENKUlT_SE_SF_SG_E_clIS8_S8_S9_S9_EESD_ST_SE_SF_SG_EUlST_E_NS1_11comp_targetILNS1_3genE0ELNS1_11target_archE4294967295ELNS1_3gpuE0ELNS1_3repE0EEENS1_48merge_mergepath_partition_config_static_selectorELNS0_4arch9wavefront6targetE1EEEvSF_,"axG",@progbits,_ZN7rocprim17ROCPRIM_400000_NS6detail17trampoline_kernelINS0_14default_configENS1_38merge_sort_block_merge_config_selectorImNS0_10empty_typeEEEZZNS1_27merge_sort_block_merge_implIS3_PmPS5_jNS1_19radix_merge_compareILb0ELb0EmNS0_19identity_decomposerEEEEE10hipError_tT0_T1_T2_jT3_P12ihipStream_tbPNSt15iterator_traitsISE_E10value_typeEPNSK_ISF_E10value_typeEPSG_NS1_7vsmem_tEENKUlT_SE_SF_SG_E_clIS8_S8_S9_S9_EESD_ST_SE_SF_SG_EUlST_E_NS1_11comp_targetILNS1_3genE0ELNS1_11target_archE4294967295ELNS1_3gpuE0ELNS1_3repE0EEENS1_48merge_mergepath_partition_config_static_selectorELNS0_4arch9wavefront6targetE1EEEvSF_,comdat
.Lfunc_end906:
	.size	_ZN7rocprim17ROCPRIM_400000_NS6detail17trampoline_kernelINS0_14default_configENS1_38merge_sort_block_merge_config_selectorImNS0_10empty_typeEEEZZNS1_27merge_sort_block_merge_implIS3_PmPS5_jNS1_19radix_merge_compareILb0ELb0EmNS0_19identity_decomposerEEEEE10hipError_tT0_T1_T2_jT3_P12ihipStream_tbPNSt15iterator_traitsISE_E10value_typeEPNSK_ISF_E10value_typeEPSG_NS1_7vsmem_tEENKUlT_SE_SF_SG_E_clIS8_S8_S9_S9_EESD_ST_SE_SF_SG_EUlST_E_NS1_11comp_targetILNS1_3genE0ELNS1_11target_archE4294967295ELNS1_3gpuE0ELNS1_3repE0EEENS1_48merge_mergepath_partition_config_static_selectorELNS0_4arch9wavefront6targetE1EEEvSF_, .Lfunc_end906-_ZN7rocprim17ROCPRIM_400000_NS6detail17trampoline_kernelINS0_14default_configENS1_38merge_sort_block_merge_config_selectorImNS0_10empty_typeEEEZZNS1_27merge_sort_block_merge_implIS3_PmPS5_jNS1_19radix_merge_compareILb0ELb0EmNS0_19identity_decomposerEEEEE10hipError_tT0_T1_T2_jT3_P12ihipStream_tbPNSt15iterator_traitsISE_E10value_typeEPNSK_ISF_E10value_typeEPSG_NS1_7vsmem_tEENKUlT_SE_SF_SG_E_clIS8_S8_S9_S9_EESD_ST_SE_SF_SG_EUlST_E_NS1_11comp_targetILNS1_3genE0ELNS1_11target_archE4294967295ELNS1_3gpuE0ELNS1_3repE0EEENS1_48merge_mergepath_partition_config_static_selectorELNS0_4arch9wavefront6targetE1EEEvSF_
                                        ; -- End function
	.section	.AMDGPU.csdata,"",@progbits
; Kernel info:
; codeLenInByte = 0
; NumSgprs: 4
; NumVgprs: 0
; NumAgprs: 0
; TotalNumVgprs: 0
; ScratchSize: 0
; MemoryBound: 0
; FloatMode: 240
; IeeeMode: 1
; LDSByteSize: 0 bytes/workgroup (compile time only)
; SGPRBlocks: 0
; VGPRBlocks: 0
; NumSGPRsForWavesPerEU: 4
; NumVGPRsForWavesPerEU: 1
; AccumOffset: 4
; Occupancy: 8
; WaveLimiterHint : 0
; COMPUTE_PGM_RSRC2:SCRATCH_EN: 0
; COMPUTE_PGM_RSRC2:USER_SGPR: 6
; COMPUTE_PGM_RSRC2:TRAP_HANDLER: 0
; COMPUTE_PGM_RSRC2:TGID_X_EN: 1
; COMPUTE_PGM_RSRC2:TGID_Y_EN: 0
; COMPUTE_PGM_RSRC2:TGID_Z_EN: 0
; COMPUTE_PGM_RSRC2:TIDIG_COMP_CNT: 0
; COMPUTE_PGM_RSRC3_GFX90A:ACCUM_OFFSET: 0
; COMPUTE_PGM_RSRC3_GFX90A:TG_SPLIT: 0
	.section	.text._ZN7rocprim17ROCPRIM_400000_NS6detail17trampoline_kernelINS0_14default_configENS1_38merge_sort_block_merge_config_selectorImNS0_10empty_typeEEEZZNS1_27merge_sort_block_merge_implIS3_PmPS5_jNS1_19radix_merge_compareILb0ELb0EmNS0_19identity_decomposerEEEEE10hipError_tT0_T1_T2_jT3_P12ihipStream_tbPNSt15iterator_traitsISE_E10value_typeEPNSK_ISF_E10value_typeEPSG_NS1_7vsmem_tEENKUlT_SE_SF_SG_E_clIS8_S8_S9_S9_EESD_ST_SE_SF_SG_EUlST_E_NS1_11comp_targetILNS1_3genE10ELNS1_11target_archE1201ELNS1_3gpuE5ELNS1_3repE0EEENS1_48merge_mergepath_partition_config_static_selectorELNS0_4arch9wavefront6targetE1EEEvSF_,"axG",@progbits,_ZN7rocprim17ROCPRIM_400000_NS6detail17trampoline_kernelINS0_14default_configENS1_38merge_sort_block_merge_config_selectorImNS0_10empty_typeEEEZZNS1_27merge_sort_block_merge_implIS3_PmPS5_jNS1_19radix_merge_compareILb0ELb0EmNS0_19identity_decomposerEEEEE10hipError_tT0_T1_T2_jT3_P12ihipStream_tbPNSt15iterator_traitsISE_E10value_typeEPNSK_ISF_E10value_typeEPSG_NS1_7vsmem_tEENKUlT_SE_SF_SG_E_clIS8_S8_S9_S9_EESD_ST_SE_SF_SG_EUlST_E_NS1_11comp_targetILNS1_3genE10ELNS1_11target_archE1201ELNS1_3gpuE5ELNS1_3repE0EEENS1_48merge_mergepath_partition_config_static_selectorELNS0_4arch9wavefront6targetE1EEEvSF_,comdat
	.protected	_ZN7rocprim17ROCPRIM_400000_NS6detail17trampoline_kernelINS0_14default_configENS1_38merge_sort_block_merge_config_selectorImNS0_10empty_typeEEEZZNS1_27merge_sort_block_merge_implIS3_PmPS5_jNS1_19radix_merge_compareILb0ELb0EmNS0_19identity_decomposerEEEEE10hipError_tT0_T1_T2_jT3_P12ihipStream_tbPNSt15iterator_traitsISE_E10value_typeEPNSK_ISF_E10value_typeEPSG_NS1_7vsmem_tEENKUlT_SE_SF_SG_E_clIS8_S8_S9_S9_EESD_ST_SE_SF_SG_EUlST_E_NS1_11comp_targetILNS1_3genE10ELNS1_11target_archE1201ELNS1_3gpuE5ELNS1_3repE0EEENS1_48merge_mergepath_partition_config_static_selectorELNS0_4arch9wavefront6targetE1EEEvSF_ ; -- Begin function _ZN7rocprim17ROCPRIM_400000_NS6detail17trampoline_kernelINS0_14default_configENS1_38merge_sort_block_merge_config_selectorImNS0_10empty_typeEEEZZNS1_27merge_sort_block_merge_implIS3_PmPS5_jNS1_19radix_merge_compareILb0ELb0EmNS0_19identity_decomposerEEEEE10hipError_tT0_T1_T2_jT3_P12ihipStream_tbPNSt15iterator_traitsISE_E10value_typeEPNSK_ISF_E10value_typeEPSG_NS1_7vsmem_tEENKUlT_SE_SF_SG_E_clIS8_S8_S9_S9_EESD_ST_SE_SF_SG_EUlST_E_NS1_11comp_targetILNS1_3genE10ELNS1_11target_archE1201ELNS1_3gpuE5ELNS1_3repE0EEENS1_48merge_mergepath_partition_config_static_selectorELNS0_4arch9wavefront6targetE1EEEvSF_
	.globl	_ZN7rocprim17ROCPRIM_400000_NS6detail17trampoline_kernelINS0_14default_configENS1_38merge_sort_block_merge_config_selectorImNS0_10empty_typeEEEZZNS1_27merge_sort_block_merge_implIS3_PmPS5_jNS1_19radix_merge_compareILb0ELb0EmNS0_19identity_decomposerEEEEE10hipError_tT0_T1_T2_jT3_P12ihipStream_tbPNSt15iterator_traitsISE_E10value_typeEPNSK_ISF_E10value_typeEPSG_NS1_7vsmem_tEENKUlT_SE_SF_SG_E_clIS8_S8_S9_S9_EESD_ST_SE_SF_SG_EUlST_E_NS1_11comp_targetILNS1_3genE10ELNS1_11target_archE1201ELNS1_3gpuE5ELNS1_3repE0EEENS1_48merge_mergepath_partition_config_static_selectorELNS0_4arch9wavefront6targetE1EEEvSF_
	.p2align	8
	.type	_ZN7rocprim17ROCPRIM_400000_NS6detail17trampoline_kernelINS0_14default_configENS1_38merge_sort_block_merge_config_selectorImNS0_10empty_typeEEEZZNS1_27merge_sort_block_merge_implIS3_PmPS5_jNS1_19radix_merge_compareILb0ELb0EmNS0_19identity_decomposerEEEEE10hipError_tT0_T1_T2_jT3_P12ihipStream_tbPNSt15iterator_traitsISE_E10value_typeEPNSK_ISF_E10value_typeEPSG_NS1_7vsmem_tEENKUlT_SE_SF_SG_E_clIS8_S8_S9_S9_EESD_ST_SE_SF_SG_EUlST_E_NS1_11comp_targetILNS1_3genE10ELNS1_11target_archE1201ELNS1_3gpuE5ELNS1_3repE0EEENS1_48merge_mergepath_partition_config_static_selectorELNS0_4arch9wavefront6targetE1EEEvSF_,@function
_ZN7rocprim17ROCPRIM_400000_NS6detail17trampoline_kernelINS0_14default_configENS1_38merge_sort_block_merge_config_selectorImNS0_10empty_typeEEEZZNS1_27merge_sort_block_merge_implIS3_PmPS5_jNS1_19radix_merge_compareILb0ELb0EmNS0_19identity_decomposerEEEEE10hipError_tT0_T1_T2_jT3_P12ihipStream_tbPNSt15iterator_traitsISE_E10value_typeEPNSK_ISF_E10value_typeEPSG_NS1_7vsmem_tEENKUlT_SE_SF_SG_E_clIS8_S8_S9_S9_EESD_ST_SE_SF_SG_EUlST_E_NS1_11comp_targetILNS1_3genE10ELNS1_11target_archE1201ELNS1_3gpuE5ELNS1_3repE0EEENS1_48merge_mergepath_partition_config_static_selectorELNS0_4arch9wavefront6targetE1EEEvSF_: ; @_ZN7rocprim17ROCPRIM_400000_NS6detail17trampoline_kernelINS0_14default_configENS1_38merge_sort_block_merge_config_selectorImNS0_10empty_typeEEEZZNS1_27merge_sort_block_merge_implIS3_PmPS5_jNS1_19radix_merge_compareILb0ELb0EmNS0_19identity_decomposerEEEEE10hipError_tT0_T1_T2_jT3_P12ihipStream_tbPNSt15iterator_traitsISE_E10value_typeEPNSK_ISF_E10value_typeEPSG_NS1_7vsmem_tEENKUlT_SE_SF_SG_E_clIS8_S8_S9_S9_EESD_ST_SE_SF_SG_EUlST_E_NS1_11comp_targetILNS1_3genE10ELNS1_11target_archE1201ELNS1_3gpuE5ELNS1_3repE0EEENS1_48merge_mergepath_partition_config_static_selectorELNS0_4arch9wavefront6targetE1EEEvSF_
; %bb.0:
	.section	.rodata,"a",@progbits
	.p2align	6, 0x0
	.amdhsa_kernel _ZN7rocprim17ROCPRIM_400000_NS6detail17trampoline_kernelINS0_14default_configENS1_38merge_sort_block_merge_config_selectorImNS0_10empty_typeEEEZZNS1_27merge_sort_block_merge_implIS3_PmPS5_jNS1_19radix_merge_compareILb0ELb0EmNS0_19identity_decomposerEEEEE10hipError_tT0_T1_T2_jT3_P12ihipStream_tbPNSt15iterator_traitsISE_E10value_typeEPNSK_ISF_E10value_typeEPSG_NS1_7vsmem_tEENKUlT_SE_SF_SG_E_clIS8_S8_S9_S9_EESD_ST_SE_SF_SG_EUlST_E_NS1_11comp_targetILNS1_3genE10ELNS1_11target_archE1201ELNS1_3gpuE5ELNS1_3repE0EEENS1_48merge_mergepath_partition_config_static_selectorELNS0_4arch9wavefront6targetE1EEEvSF_
		.amdhsa_group_segment_fixed_size 0
		.amdhsa_private_segment_fixed_size 0
		.amdhsa_kernarg_size 40
		.amdhsa_user_sgpr_count 6
		.amdhsa_user_sgpr_private_segment_buffer 1
		.amdhsa_user_sgpr_dispatch_ptr 0
		.amdhsa_user_sgpr_queue_ptr 0
		.amdhsa_user_sgpr_kernarg_segment_ptr 1
		.amdhsa_user_sgpr_dispatch_id 0
		.amdhsa_user_sgpr_flat_scratch_init 0
		.amdhsa_user_sgpr_kernarg_preload_length 0
		.amdhsa_user_sgpr_kernarg_preload_offset 0
		.amdhsa_user_sgpr_private_segment_size 0
		.amdhsa_uses_dynamic_stack 0
		.amdhsa_system_sgpr_private_segment_wavefront_offset 0
		.amdhsa_system_sgpr_workgroup_id_x 1
		.amdhsa_system_sgpr_workgroup_id_y 0
		.amdhsa_system_sgpr_workgroup_id_z 0
		.amdhsa_system_sgpr_workgroup_info 0
		.amdhsa_system_vgpr_workitem_id 0
		.amdhsa_next_free_vgpr 1
		.amdhsa_next_free_sgpr 0
		.amdhsa_accum_offset 4
		.amdhsa_reserve_vcc 0
		.amdhsa_reserve_flat_scratch 0
		.amdhsa_float_round_mode_32 0
		.amdhsa_float_round_mode_16_64 0
		.amdhsa_float_denorm_mode_32 3
		.amdhsa_float_denorm_mode_16_64 3
		.amdhsa_dx10_clamp 1
		.amdhsa_ieee_mode 1
		.amdhsa_fp16_overflow 0
		.amdhsa_tg_split 0
		.amdhsa_exception_fp_ieee_invalid_op 0
		.amdhsa_exception_fp_denorm_src 0
		.amdhsa_exception_fp_ieee_div_zero 0
		.amdhsa_exception_fp_ieee_overflow 0
		.amdhsa_exception_fp_ieee_underflow 0
		.amdhsa_exception_fp_ieee_inexact 0
		.amdhsa_exception_int_div_zero 0
	.end_amdhsa_kernel
	.section	.text._ZN7rocprim17ROCPRIM_400000_NS6detail17trampoline_kernelINS0_14default_configENS1_38merge_sort_block_merge_config_selectorImNS0_10empty_typeEEEZZNS1_27merge_sort_block_merge_implIS3_PmPS5_jNS1_19radix_merge_compareILb0ELb0EmNS0_19identity_decomposerEEEEE10hipError_tT0_T1_T2_jT3_P12ihipStream_tbPNSt15iterator_traitsISE_E10value_typeEPNSK_ISF_E10value_typeEPSG_NS1_7vsmem_tEENKUlT_SE_SF_SG_E_clIS8_S8_S9_S9_EESD_ST_SE_SF_SG_EUlST_E_NS1_11comp_targetILNS1_3genE10ELNS1_11target_archE1201ELNS1_3gpuE5ELNS1_3repE0EEENS1_48merge_mergepath_partition_config_static_selectorELNS0_4arch9wavefront6targetE1EEEvSF_,"axG",@progbits,_ZN7rocprim17ROCPRIM_400000_NS6detail17trampoline_kernelINS0_14default_configENS1_38merge_sort_block_merge_config_selectorImNS0_10empty_typeEEEZZNS1_27merge_sort_block_merge_implIS3_PmPS5_jNS1_19radix_merge_compareILb0ELb0EmNS0_19identity_decomposerEEEEE10hipError_tT0_T1_T2_jT3_P12ihipStream_tbPNSt15iterator_traitsISE_E10value_typeEPNSK_ISF_E10value_typeEPSG_NS1_7vsmem_tEENKUlT_SE_SF_SG_E_clIS8_S8_S9_S9_EESD_ST_SE_SF_SG_EUlST_E_NS1_11comp_targetILNS1_3genE10ELNS1_11target_archE1201ELNS1_3gpuE5ELNS1_3repE0EEENS1_48merge_mergepath_partition_config_static_selectorELNS0_4arch9wavefront6targetE1EEEvSF_,comdat
.Lfunc_end907:
	.size	_ZN7rocprim17ROCPRIM_400000_NS6detail17trampoline_kernelINS0_14default_configENS1_38merge_sort_block_merge_config_selectorImNS0_10empty_typeEEEZZNS1_27merge_sort_block_merge_implIS3_PmPS5_jNS1_19radix_merge_compareILb0ELb0EmNS0_19identity_decomposerEEEEE10hipError_tT0_T1_T2_jT3_P12ihipStream_tbPNSt15iterator_traitsISE_E10value_typeEPNSK_ISF_E10value_typeEPSG_NS1_7vsmem_tEENKUlT_SE_SF_SG_E_clIS8_S8_S9_S9_EESD_ST_SE_SF_SG_EUlST_E_NS1_11comp_targetILNS1_3genE10ELNS1_11target_archE1201ELNS1_3gpuE5ELNS1_3repE0EEENS1_48merge_mergepath_partition_config_static_selectorELNS0_4arch9wavefront6targetE1EEEvSF_, .Lfunc_end907-_ZN7rocprim17ROCPRIM_400000_NS6detail17trampoline_kernelINS0_14default_configENS1_38merge_sort_block_merge_config_selectorImNS0_10empty_typeEEEZZNS1_27merge_sort_block_merge_implIS3_PmPS5_jNS1_19radix_merge_compareILb0ELb0EmNS0_19identity_decomposerEEEEE10hipError_tT0_T1_T2_jT3_P12ihipStream_tbPNSt15iterator_traitsISE_E10value_typeEPNSK_ISF_E10value_typeEPSG_NS1_7vsmem_tEENKUlT_SE_SF_SG_E_clIS8_S8_S9_S9_EESD_ST_SE_SF_SG_EUlST_E_NS1_11comp_targetILNS1_3genE10ELNS1_11target_archE1201ELNS1_3gpuE5ELNS1_3repE0EEENS1_48merge_mergepath_partition_config_static_selectorELNS0_4arch9wavefront6targetE1EEEvSF_
                                        ; -- End function
	.section	.AMDGPU.csdata,"",@progbits
; Kernel info:
; codeLenInByte = 0
; NumSgprs: 4
; NumVgprs: 0
; NumAgprs: 0
; TotalNumVgprs: 0
; ScratchSize: 0
; MemoryBound: 0
; FloatMode: 240
; IeeeMode: 1
; LDSByteSize: 0 bytes/workgroup (compile time only)
; SGPRBlocks: 0
; VGPRBlocks: 0
; NumSGPRsForWavesPerEU: 4
; NumVGPRsForWavesPerEU: 1
; AccumOffset: 4
; Occupancy: 8
; WaveLimiterHint : 0
; COMPUTE_PGM_RSRC2:SCRATCH_EN: 0
; COMPUTE_PGM_RSRC2:USER_SGPR: 6
; COMPUTE_PGM_RSRC2:TRAP_HANDLER: 0
; COMPUTE_PGM_RSRC2:TGID_X_EN: 1
; COMPUTE_PGM_RSRC2:TGID_Y_EN: 0
; COMPUTE_PGM_RSRC2:TGID_Z_EN: 0
; COMPUTE_PGM_RSRC2:TIDIG_COMP_CNT: 0
; COMPUTE_PGM_RSRC3_GFX90A:ACCUM_OFFSET: 0
; COMPUTE_PGM_RSRC3_GFX90A:TG_SPLIT: 0
	.section	.text._ZN7rocprim17ROCPRIM_400000_NS6detail17trampoline_kernelINS0_14default_configENS1_38merge_sort_block_merge_config_selectorImNS0_10empty_typeEEEZZNS1_27merge_sort_block_merge_implIS3_PmPS5_jNS1_19radix_merge_compareILb0ELb0EmNS0_19identity_decomposerEEEEE10hipError_tT0_T1_T2_jT3_P12ihipStream_tbPNSt15iterator_traitsISE_E10value_typeEPNSK_ISF_E10value_typeEPSG_NS1_7vsmem_tEENKUlT_SE_SF_SG_E_clIS8_S8_S9_S9_EESD_ST_SE_SF_SG_EUlST_E_NS1_11comp_targetILNS1_3genE5ELNS1_11target_archE942ELNS1_3gpuE9ELNS1_3repE0EEENS1_48merge_mergepath_partition_config_static_selectorELNS0_4arch9wavefront6targetE1EEEvSF_,"axG",@progbits,_ZN7rocprim17ROCPRIM_400000_NS6detail17trampoline_kernelINS0_14default_configENS1_38merge_sort_block_merge_config_selectorImNS0_10empty_typeEEEZZNS1_27merge_sort_block_merge_implIS3_PmPS5_jNS1_19radix_merge_compareILb0ELb0EmNS0_19identity_decomposerEEEEE10hipError_tT0_T1_T2_jT3_P12ihipStream_tbPNSt15iterator_traitsISE_E10value_typeEPNSK_ISF_E10value_typeEPSG_NS1_7vsmem_tEENKUlT_SE_SF_SG_E_clIS8_S8_S9_S9_EESD_ST_SE_SF_SG_EUlST_E_NS1_11comp_targetILNS1_3genE5ELNS1_11target_archE942ELNS1_3gpuE9ELNS1_3repE0EEENS1_48merge_mergepath_partition_config_static_selectorELNS0_4arch9wavefront6targetE1EEEvSF_,comdat
	.protected	_ZN7rocprim17ROCPRIM_400000_NS6detail17trampoline_kernelINS0_14default_configENS1_38merge_sort_block_merge_config_selectorImNS0_10empty_typeEEEZZNS1_27merge_sort_block_merge_implIS3_PmPS5_jNS1_19radix_merge_compareILb0ELb0EmNS0_19identity_decomposerEEEEE10hipError_tT0_T1_T2_jT3_P12ihipStream_tbPNSt15iterator_traitsISE_E10value_typeEPNSK_ISF_E10value_typeEPSG_NS1_7vsmem_tEENKUlT_SE_SF_SG_E_clIS8_S8_S9_S9_EESD_ST_SE_SF_SG_EUlST_E_NS1_11comp_targetILNS1_3genE5ELNS1_11target_archE942ELNS1_3gpuE9ELNS1_3repE0EEENS1_48merge_mergepath_partition_config_static_selectorELNS0_4arch9wavefront6targetE1EEEvSF_ ; -- Begin function _ZN7rocprim17ROCPRIM_400000_NS6detail17trampoline_kernelINS0_14default_configENS1_38merge_sort_block_merge_config_selectorImNS0_10empty_typeEEEZZNS1_27merge_sort_block_merge_implIS3_PmPS5_jNS1_19radix_merge_compareILb0ELb0EmNS0_19identity_decomposerEEEEE10hipError_tT0_T1_T2_jT3_P12ihipStream_tbPNSt15iterator_traitsISE_E10value_typeEPNSK_ISF_E10value_typeEPSG_NS1_7vsmem_tEENKUlT_SE_SF_SG_E_clIS8_S8_S9_S9_EESD_ST_SE_SF_SG_EUlST_E_NS1_11comp_targetILNS1_3genE5ELNS1_11target_archE942ELNS1_3gpuE9ELNS1_3repE0EEENS1_48merge_mergepath_partition_config_static_selectorELNS0_4arch9wavefront6targetE1EEEvSF_
	.globl	_ZN7rocprim17ROCPRIM_400000_NS6detail17trampoline_kernelINS0_14default_configENS1_38merge_sort_block_merge_config_selectorImNS0_10empty_typeEEEZZNS1_27merge_sort_block_merge_implIS3_PmPS5_jNS1_19radix_merge_compareILb0ELb0EmNS0_19identity_decomposerEEEEE10hipError_tT0_T1_T2_jT3_P12ihipStream_tbPNSt15iterator_traitsISE_E10value_typeEPNSK_ISF_E10value_typeEPSG_NS1_7vsmem_tEENKUlT_SE_SF_SG_E_clIS8_S8_S9_S9_EESD_ST_SE_SF_SG_EUlST_E_NS1_11comp_targetILNS1_3genE5ELNS1_11target_archE942ELNS1_3gpuE9ELNS1_3repE0EEENS1_48merge_mergepath_partition_config_static_selectorELNS0_4arch9wavefront6targetE1EEEvSF_
	.p2align	8
	.type	_ZN7rocprim17ROCPRIM_400000_NS6detail17trampoline_kernelINS0_14default_configENS1_38merge_sort_block_merge_config_selectorImNS0_10empty_typeEEEZZNS1_27merge_sort_block_merge_implIS3_PmPS5_jNS1_19radix_merge_compareILb0ELb0EmNS0_19identity_decomposerEEEEE10hipError_tT0_T1_T2_jT3_P12ihipStream_tbPNSt15iterator_traitsISE_E10value_typeEPNSK_ISF_E10value_typeEPSG_NS1_7vsmem_tEENKUlT_SE_SF_SG_E_clIS8_S8_S9_S9_EESD_ST_SE_SF_SG_EUlST_E_NS1_11comp_targetILNS1_3genE5ELNS1_11target_archE942ELNS1_3gpuE9ELNS1_3repE0EEENS1_48merge_mergepath_partition_config_static_selectorELNS0_4arch9wavefront6targetE1EEEvSF_,@function
_ZN7rocprim17ROCPRIM_400000_NS6detail17trampoline_kernelINS0_14default_configENS1_38merge_sort_block_merge_config_selectorImNS0_10empty_typeEEEZZNS1_27merge_sort_block_merge_implIS3_PmPS5_jNS1_19radix_merge_compareILb0ELb0EmNS0_19identity_decomposerEEEEE10hipError_tT0_T1_T2_jT3_P12ihipStream_tbPNSt15iterator_traitsISE_E10value_typeEPNSK_ISF_E10value_typeEPSG_NS1_7vsmem_tEENKUlT_SE_SF_SG_E_clIS8_S8_S9_S9_EESD_ST_SE_SF_SG_EUlST_E_NS1_11comp_targetILNS1_3genE5ELNS1_11target_archE942ELNS1_3gpuE9ELNS1_3repE0EEENS1_48merge_mergepath_partition_config_static_selectorELNS0_4arch9wavefront6targetE1EEEvSF_: ; @_ZN7rocprim17ROCPRIM_400000_NS6detail17trampoline_kernelINS0_14default_configENS1_38merge_sort_block_merge_config_selectorImNS0_10empty_typeEEEZZNS1_27merge_sort_block_merge_implIS3_PmPS5_jNS1_19radix_merge_compareILb0ELb0EmNS0_19identity_decomposerEEEEE10hipError_tT0_T1_T2_jT3_P12ihipStream_tbPNSt15iterator_traitsISE_E10value_typeEPNSK_ISF_E10value_typeEPSG_NS1_7vsmem_tEENKUlT_SE_SF_SG_E_clIS8_S8_S9_S9_EESD_ST_SE_SF_SG_EUlST_E_NS1_11comp_targetILNS1_3genE5ELNS1_11target_archE942ELNS1_3gpuE9ELNS1_3repE0EEENS1_48merge_mergepath_partition_config_static_selectorELNS0_4arch9wavefront6targetE1EEEvSF_
; %bb.0:
	.section	.rodata,"a",@progbits
	.p2align	6, 0x0
	.amdhsa_kernel _ZN7rocprim17ROCPRIM_400000_NS6detail17trampoline_kernelINS0_14default_configENS1_38merge_sort_block_merge_config_selectorImNS0_10empty_typeEEEZZNS1_27merge_sort_block_merge_implIS3_PmPS5_jNS1_19radix_merge_compareILb0ELb0EmNS0_19identity_decomposerEEEEE10hipError_tT0_T1_T2_jT3_P12ihipStream_tbPNSt15iterator_traitsISE_E10value_typeEPNSK_ISF_E10value_typeEPSG_NS1_7vsmem_tEENKUlT_SE_SF_SG_E_clIS8_S8_S9_S9_EESD_ST_SE_SF_SG_EUlST_E_NS1_11comp_targetILNS1_3genE5ELNS1_11target_archE942ELNS1_3gpuE9ELNS1_3repE0EEENS1_48merge_mergepath_partition_config_static_selectorELNS0_4arch9wavefront6targetE1EEEvSF_
		.amdhsa_group_segment_fixed_size 0
		.amdhsa_private_segment_fixed_size 0
		.amdhsa_kernarg_size 40
		.amdhsa_user_sgpr_count 6
		.amdhsa_user_sgpr_private_segment_buffer 1
		.amdhsa_user_sgpr_dispatch_ptr 0
		.amdhsa_user_sgpr_queue_ptr 0
		.amdhsa_user_sgpr_kernarg_segment_ptr 1
		.amdhsa_user_sgpr_dispatch_id 0
		.amdhsa_user_sgpr_flat_scratch_init 0
		.amdhsa_user_sgpr_kernarg_preload_length 0
		.amdhsa_user_sgpr_kernarg_preload_offset 0
		.amdhsa_user_sgpr_private_segment_size 0
		.amdhsa_uses_dynamic_stack 0
		.amdhsa_system_sgpr_private_segment_wavefront_offset 0
		.amdhsa_system_sgpr_workgroup_id_x 1
		.amdhsa_system_sgpr_workgroup_id_y 0
		.amdhsa_system_sgpr_workgroup_id_z 0
		.amdhsa_system_sgpr_workgroup_info 0
		.amdhsa_system_vgpr_workitem_id 0
		.amdhsa_next_free_vgpr 1
		.amdhsa_next_free_sgpr 0
		.amdhsa_accum_offset 4
		.amdhsa_reserve_vcc 0
		.amdhsa_reserve_flat_scratch 0
		.amdhsa_float_round_mode_32 0
		.amdhsa_float_round_mode_16_64 0
		.amdhsa_float_denorm_mode_32 3
		.amdhsa_float_denorm_mode_16_64 3
		.amdhsa_dx10_clamp 1
		.amdhsa_ieee_mode 1
		.amdhsa_fp16_overflow 0
		.amdhsa_tg_split 0
		.amdhsa_exception_fp_ieee_invalid_op 0
		.amdhsa_exception_fp_denorm_src 0
		.amdhsa_exception_fp_ieee_div_zero 0
		.amdhsa_exception_fp_ieee_overflow 0
		.amdhsa_exception_fp_ieee_underflow 0
		.amdhsa_exception_fp_ieee_inexact 0
		.amdhsa_exception_int_div_zero 0
	.end_amdhsa_kernel
	.section	.text._ZN7rocprim17ROCPRIM_400000_NS6detail17trampoline_kernelINS0_14default_configENS1_38merge_sort_block_merge_config_selectorImNS0_10empty_typeEEEZZNS1_27merge_sort_block_merge_implIS3_PmPS5_jNS1_19radix_merge_compareILb0ELb0EmNS0_19identity_decomposerEEEEE10hipError_tT0_T1_T2_jT3_P12ihipStream_tbPNSt15iterator_traitsISE_E10value_typeEPNSK_ISF_E10value_typeEPSG_NS1_7vsmem_tEENKUlT_SE_SF_SG_E_clIS8_S8_S9_S9_EESD_ST_SE_SF_SG_EUlST_E_NS1_11comp_targetILNS1_3genE5ELNS1_11target_archE942ELNS1_3gpuE9ELNS1_3repE0EEENS1_48merge_mergepath_partition_config_static_selectorELNS0_4arch9wavefront6targetE1EEEvSF_,"axG",@progbits,_ZN7rocprim17ROCPRIM_400000_NS6detail17trampoline_kernelINS0_14default_configENS1_38merge_sort_block_merge_config_selectorImNS0_10empty_typeEEEZZNS1_27merge_sort_block_merge_implIS3_PmPS5_jNS1_19radix_merge_compareILb0ELb0EmNS0_19identity_decomposerEEEEE10hipError_tT0_T1_T2_jT3_P12ihipStream_tbPNSt15iterator_traitsISE_E10value_typeEPNSK_ISF_E10value_typeEPSG_NS1_7vsmem_tEENKUlT_SE_SF_SG_E_clIS8_S8_S9_S9_EESD_ST_SE_SF_SG_EUlST_E_NS1_11comp_targetILNS1_3genE5ELNS1_11target_archE942ELNS1_3gpuE9ELNS1_3repE0EEENS1_48merge_mergepath_partition_config_static_selectorELNS0_4arch9wavefront6targetE1EEEvSF_,comdat
.Lfunc_end908:
	.size	_ZN7rocprim17ROCPRIM_400000_NS6detail17trampoline_kernelINS0_14default_configENS1_38merge_sort_block_merge_config_selectorImNS0_10empty_typeEEEZZNS1_27merge_sort_block_merge_implIS3_PmPS5_jNS1_19radix_merge_compareILb0ELb0EmNS0_19identity_decomposerEEEEE10hipError_tT0_T1_T2_jT3_P12ihipStream_tbPNSt15iterator_traitsISE_E10value_typeEPNSK_ISF_E10value_typeEPSG_NS1_7vsmem_tEENKUlT_SE_SF_SG_E_clIS8_S8_S9_S9_EESD_ST_SE_SF_SG_EUlST_E_NS1_11comp_targetILNS1_3genE5ELNS1_11target_archE942ELNS1_3gpuE9ELNS1_3repE0EEENS1_48merge_mergepath_partition_config_static_selectorELNS0_4arch9wavefront6targetE1EEEvSF_, .Lfunc_end908-_ZN7rocprim17ROCPRIM_400000_NS6detail17trampoline_kernelINS0_14default_configENS1_38merge_sort_block_merge_config_selectorImNS0_10empty_typeEEEZZNS1_27merge_sort_block_merge_implIS3_PmPS5_jNS1_19radix_merge_compareILb0ELb0EmNS0_19identity_decomposerEEEEE10hipError_tT0_T1_T2_jT3_P12ihipStream_tbPNSt15iterator_traitsISE_E10value_typeEPNSK_ISF_E10value_typeEPSG_NS1_7vsmem_tEENKUlT_SE_SF_SG_E_clIS8_S8_S9_S9_EESD_ST_SE_SF_SG_EUlST_E_NS1_11comp_targetILNS1_3genE5ELNS1_11target_archE942ELNS1_3gpuE9ELNS1_3repE0EEENS1_48merge_mergepath_partition_config_static_selectorELNS0_4arch9wavefront6targetE1EEEvSF_
                                        ; -- End function
	.section	.AMDGPU.csdata,"",@progbits
; Kernel info:
; codeLenInByte = 0
; NumSgprs: 4
; NumVgprs: 0
; NumAgprs: 0
; TotalNumVgprs: 0
; ScratchSize: 0
; MemoryBound: 0
; FloatMode: 240
; IeeeMode: 1
; LDSByteSize: 0 bytes/workgroup (compile time only)
; SGPRBlocks: 0
; VGPRBlocks: 0
; NumSGPRsForWavesPerEU: 4
; NumVGPRsForWavesPerEU: 1
; AccumOffset: 4
; Occupancy: 8
; WaveLimiterHint : 0
; COMPUTE_PGM_RSRC2:SCRATCH_EN: 0
; COMPUTE_PGM_RSRC2:USER_SGPR: 6
; COMPUTE_PGM_RSRC2:TRAP_HANDLER: 0
; COMPUTE_PGM_RSRC2:TGID_X_EN: 1
; COMPUTE_PGM_RSRC2:TGID_Y_EN: 0
; COMPUTE_PGM_RSRC2:TGID_Z_EN: 0
; COMPUTE_PGM_RSRC2:TIDIG_COMP_CNT: 0
; COMPUTE_PGM_RSRC3_GFX90A:ACCUM_OFFSET: 0
; COMPUTE_PGM_RSRC3_GFX90A:TG_SPLIT: 0
	.section	.text._ZN7rocprim17ROCPRIM_400000_NS6detail17trampoline_kernelINS0_14default_configENS1_38merge_sort_block_merge_config_selectorImNS0_10empty_typeEEEZZNS1_27merge_sort_block_merge_implIS3_PmPS5_jNS1_19radix_merge_compareILb0ELb0EmNS0_19identity_decomposerEEEEE10hipError_tT0_T1_T2_jT3_P12ihipStream_tbPNSt15iterator_traitsISE_E10value_typeEPNSK_ISF_E10value_typeEPSG_NS1_7vsmem_tEENKUlT_SE_SF_SG_E_clIS8_S8_S9_S9_EESD_ST_SE_SF_SG_EUlST_E_NS1_11comp_targetILNS1_3genE4ELNS1_11target_archE910ELNS1_3gpuE8ELNS1_3repE0EEENS1_48merge_mergepath_partition_config_static_selectorELNS0_4arch9wavefront6targetE1EEEvSF_,"axG",@progbits,_ZN7rocprim17ROCPRIM_400000_NS6detail17trampoline_kernelINS0_14default_configENS1_38merge_sort_block_merge_config_selectorImNS0_10empty_typeEEEZZNS1_27merge_sort_block_merge_implIS3_PmPS5_jNS1_19radix_merge_compareILb0ELb0EmNS0_19identity_decomposerEEEEE10hipError_tT0_T1_T2_jT3_P12ihipStream_tbPNSt15iterator_traitsISE_E10value_typeEPNSK_ISF_E10value_typeEPSG_NS1_7vsmem_tEENKUlT_SE_SF_SG_E_clIS8_S8_S9_S9_EESD_ST_SE_SF_SG_EUlST_E_NS1_11comp_targetILNS1_3genE4ELNS1_11target_archE910ELNS1_3gpuE8ELNS1_3repE0EEENS1_48merge_mergepath_partition_config_static_selectorELNS0_4arch9wavefront6targetE1EEEvSF_,comdat
	.protected	_ZN7rocprim17ROCPRIM_400000_NS6detail17trampoline_kernelINS0_14default_configENS1_38merge_sort_block_merge_config_selectorImNS0_10empty_typeEEEZZNS1_27merge_sort_block_merge_implIS3_PmPS5_jNS1_19radix_merge_compareILb0ELb0EmNS0_19identity_decomposerEEEEE10hipError_tT0_T1_T2_jT3_P12ihipStream_tbPNSt15iterator_traitsISE_E10value_typeEPNSK_ISF_E10value_typeEPSG_NS1_7vsmem_tEENKUlT_SE_SF_SG_E_clIS8_S8_S9_S9_EESD_ST_SE_SF_SG_EUlST_E_NS1_11comp_targetILNS1_3genE4ELNS1_11target_archE910ELNS1_3gpuE8ELNS1_3repE0EEENS1_48merge_mergepath_partition_config_static_selectorELNS0_4arch9wavefront6targetE1EEEvSF_ ; -- Begin function _ZN7rocprim17ROCPRIM_400000_NS6detail17trampoline_kernelINS0_14default_configENS1_38merge_sort_block_merge_config_selectorImNS0_10empty_typeEEEZZNS1_27merge_sort_block_merge_implIS3_PmPS5_jNS1_19radix_merge_compareILb0ELb0EmNS0_19identity_decomposerEEEEE10hipError_tT0_T1_T2_jT3_P12ihipStream_tbPNSt15iterator_traitsISE_E10value_typeEPNSK_ISF_E10value_typeEPSG_NS1_7vsmem_tEENKUlT_SE_SF_SG_E_clIS8_S8_S9_S9_EESD_ST_SE_SF_SG_EUlST_E_NS1_11comp_targetILNS1_3genE4ELNS1_11target_archE910ELNS1_3gpuE8ELNS1_3repE0EEENS1_48merge_mergepath_partition_config_static_selectorELNS0_4arch9wavefront6targetE1EEEvSF_
	.globl	_ZN7rocprim17ROCPRIM_400000_NS6detail17trampoline_kernelINS0_14default_configENS1_38merge_sort_block_merge_config_selectorImNS0_10empty_typeEEEZZNS1_27merge_sort_block_merge_implIS3_PmPS5_jNS1_19radix_merge_compareILb0ELb0EmNS0_19identity_decomposerEEEEE10hipError_tT0_T1_T2_jT3_P12ihipStream_tbPNSt15iterator_traitsISE_E10value_typeEPNSK_ISF_E10value_typeEPSG_NS1_7vsmem_tEENKUlT_SE_SF_SG_E_clIS8_S8_S9_S9_EESD_ST_SE_SF_SG_EUlST_E_NS1_11comp_targetILNS1_3genE4ELNS1_11target_archE910ELNS1_3gpuE8ELNS1_3repE0EEENS1_48merge_mergepath_partition_config_static_selectorELNS0_4arch9wavefront6targetE1EEEvSF_
	.p2align	8
	.type	_ZN7rocprim17ROCPRIM_400000_NS6detail17trampoline_kernelINS0_14default_configENS1_38merge_sort_block_merge_config_selectorImNS0_10empty_typeEEEZZNS1_27merge_sort_block_merge_implIS3_PmPS5_jNS1_19radix_merge_compareILb0ELb0EmNS0_19identity_decomposerEEEEE10hipError_tT0_T1_T2_jT3_P12ihipStream_tbPNSt15iterator_traitsISE_E10value_typeEPNSK_ISF_E10value_typeEPSG_NS1_7vsmem_tEENKUlT_SE_SF_SG_E_clIS8_S8_S9_S9_EESD_ST_SE_SF_SG_EUlST_E_NS1_11comp_targetILNS1_3genE4ELNS1_11target_archE910ELNS1_3gpuE8ELNS1_3repE0EEENS1_48merge_mergepath_partition_config_static_selectorELNS0_4arch9wavefront6targetE1EEEvSF_,@function
_ZN7rocprim17ROCPRIM_400000_NS6detail17trampoline_kernelINS0_14default_configENS1_38merge_sort_block_merge_config_selectorImNS0_10empty_typeEEEZZNS1_27merge_sort_block_merge_implIS3_PmPS5_jNS1_19radix_merge_compareILb0ELb0EmNS0_19identity_decomposerEEEEE10hipError_tT0_T1_T2_jT3_P12ihipStream_tbPNSt15iterator_traitsISE_E10value_typeEPNSK_ISF_E10value_typeEPSG_NS1_7vsmem_tEENKUlT_SE_SF_SG_E_clIS8_S8_S9_S9_EESD_ST_SE_SF_SG_EUlST_E_NS1_11comp_targetILNS1_3genE4ELNS1_11target_archE910ELNS1_3gpuE8ELNS1_3repE0EEENS1_48merge_mergepath_partition_config_static_selectorELNS0_4arch9wavefront6targetE1EEEvSF_: ; @_ZN7rocprim17ROCPRIM_400000_NS6detail17trampoline_kernelINS0_14default_configENS1_38merge_sort_block_merge_config_selectorImNS0_10empty_typeEEEZZNS1_27merge_sort_block_merge_implIS3_PmPS5_jNS1_19radix_merge_compareILb0ELb0EmNS0_19identity_decomposerEEEEE10hipError_tT0_T1_T2_jT3_P12ihipStream_tbPNSt15iterator_traitsISE_E10value_typeEPNSK_ISF_E10value_typeEPSG_NS1_7vsmem_tEENKUlT_SE_SF_SG_E_clIS8_S8_S9_S9_EESD_ST_SE_SF_SG_EUlST_E_NS1_11comp_targetILNS1_3genE4ELNS1_11target_archE910ELNS1_3gpuE8ELNS1_3repE0EEENS1_48merge_mergepath_partition_config_static_selectorELNS0_4arch9wavefront6targetE1EEEvSF_
; %bb.0:
	s_load_dword s0, s[4:5], 0x0
	v_lshl_or_b32 v0, s6, 7, v0
	s_waitcnt lgkmcnt(0)
	v_cmp_gt_u32_e32 vcc, s0, v0
	s_and_saveexec_b64 s[0:1], vcc
	s_cbranch_execz .LBB909_6
; %bb.1:
	s_load_dwordx2 s[2:3], s[4:5], 0x4
	s_load_dwordx2 s[0:1], s[4:5], 0x20
	s_waitcnt lgkmcnt(0)
	s_lshr_b32 s6, s2, 9
	s_and_b32 s6, s6, 0x7ffffe
	s_add_i32 s7, s6, -1
	s_sub_i32 s6, 0, s6
	v_and_b32_e32 v1, s6, v0
	v_lshlrev_b32_e32 v1, 10, v1
	v_min_u32_e32 v2, s3, v1
	v_add_u32_e32 v1, s2, v1
	v_min_u32_e32 v4, s3, v1
	v_add_u32_e32 v1, s2, v4
	v_and_b32_e32 v3, s7, v0
	v_min_u32_e32 v1, s3, v1
	v_sub_u32_e32 v5, v1, v2
	v_lshlrev_b32_e32 v3, 10, v3
	v_min_u32_e32 v6, v5, v3
	v_sub_u32_e32 v3, v4, v2
	v_sub_u32_e32 v1, v1, v4
	v_sub_u32_e64 v1, v6, v1 clamp
	v_min_u32_e32 v7, v6, v3
	v_cmp_lt_u32_e32 vcc, v1, v7
	s_and_saveexec_b64 s[2:3], vcc
	s_cbranch_execz .LBB909_5
; %bb.2:
	s_load_dwordx2 s[4:5], s[4:5], 0x10
	v_mov_b32_e32 v5, 0
	v_mov_b32_e32 v3, v5
	v_lshlrev_b64 v[8:9], 3, v[2:3]
	v_lshlrev_b64 v[10:11], 3, v[4:5]
	s_waitcnt lgkmcnt(0)
	v_mov_b32_e32 v12, s5
	v_add_co_u32_e32 v3, vcc, s4, v8
	v_addc_co_u32_e32 v8, vcc, v12, v9, vcc
	v_add_co_u32_e32 v9, vcc, s4, v10
	v_addc_co_u32_e32 v10, vcc, v12, v11, vcc
	s_mov_b64 s[4:5], 0
.LBB909_3:                              ; =>This Inner Loop Header: Depth=1
	v_add_u32_e32 v4, v7, v1
	v_lshrrev_b32_e32 v4, 1, v4
	v_lshlrev_b64 v[14:15], 3, v[4:5]
	v_mov_b32_e32 v13, v5
	v_xad_u32 v12, v4, -1, v6
	v_add_co_u32_e32 v14, vcc, v3, v14
	v_addc_co_u32_e32 v15, vcc, v8, v15, vcc
	v_lshlrev_b64 v[12:13], 3, v[12:13]
	v_add_co_u32_e32 v12, vcc, v9, v12
	v_addc_co_u32_e32 v13, vcc, v10, v13, vcc
	global_load_dwordx2 v[16:17], v[14:15], off
	global_load_dwordx2 v[18:19], v[12:13], off
	v_add_u32_e32 v11, 1, v4
	s_waitcnt vmcnt(0)
	v_cmp_gt_u64_e32 vcc, v[16:17], v[18:19]
	v_cndmask_b32_e32 v7, v7, v4, vcc
	v_cndmask_b32_e32 v1, v11, v1, vcc
	v_cmp_ge_u32_e32 vcc, v1, v7
	s_or_b64 s[4:5], vcc, s[4:5]
	s_andn2_b64 exec, exec, s[4:5]
	s_cbranch_execnz .LBB909_3
; %bb.4:
	s_or_b64 exec, exec, s[4:5]
.LBB909_5:
	s_or_b64 exec, exec, s[2:3]
	v_add_u32_e32 v2, v1, v2
	v_mov_b32_e32 v1, 0
	v_lshlrev_b64 v[0:1], 2, v[0:1]
	v_mov_b32_e32 v3, s1
	v_add_co_u32_e32 v0, vcc, s0, v0
	v_addc_co_u32_e32 v1, vcc, v3, v1, vcc
	global_store_dword v[0:1], v2, off
.LBB909_6:
	s_endpgm
	.section	.rodata,"a",@progbits
	.p2align	6, 0x0
	.amdhsa_kernel _ZN7rocprim17ROCPRIM_400000_NS6detail17trampoline_kernelINS0_14default_configENS1_38merge_sort_block_merge_config_selectorImNS0_10empty_typeEEEZZNS1_27merge_sort_block_merge_implIS3_PmPS5_jNS1_19radix_merge_compareILb0ELb0EmNS0_19identity_decomposerEEEEE10hipError_tT0_T1_T2_jT3_P12ihipStream_tbPNSt15iterator_traitsISE_E10value_typeEPNSK_ISF_E10value_typeEPSG_NS1_7vsmem_tEENKUlT_SE_SF_SG_E_clIS8_S8_S9_S9_EESD_ST_SE_SF_SG_EUlST_E_NS1_11comp_targetILNS1_3genE4ELNS1_11target_archE910ELNS1_3gpuE8ELNS1_3repE0EEENS1_48merge_mergepath_partition_config_static_selectorELNS0_4arch9wavefront6targetE1EEEvSF_
		.amdhsa_group_segment_fixed_size 0
		.amdhsa_private_segment_fixed_size 0
		.amdhsa_kernarg_size 40
		.amdhsa_user_sgpr_count 6
		.amdhsa_user_sgpr_private_segment_buffer 1
		.amdhsa_user_sgpr_dispatch_ptr 0
		.amdhsa_user_sgpr_queue_ptr 0
		.amdhsa_user_sgpr_kernarg_segment_ptr 1
		.amdhsa_user_sgpr_dispatch_id 0
		.amdhsa_user_sgpr_flat_scratch_init 0
		.amdhsa_user_sgpr_kernarg_preload_length 0
		.amdhsa_user_sgpr_kernarg_preload_offset 0
		.amdhsa_user_sgpr_private_segment_size 0
		.amdhsa_uses_dynamic_stack 0
		.amdhsa_system_sgpr_private_segment_wavefront_offset 0
		.amdhsa_system_sgpr_workgroup_id_x 1
		.amdhsa_system_sgpr_workgroup_id_y 0
		.amdhsa_system_sgpr_workgroup_id_z 0
		.amdhsa_system_sgpr_workgroup_info 0
		.amdhsa_system_vgpr_workitem_id 0
		.amdhsa_next_free_vgpr 20
		.amdhsa_next_free_sgpr 8
		.amdhsa_accum_offset 20
		.amdhsa_reserve_vcc 1
		.amdhsa_reserve_flat_scratch 0
		.amdhsa_float_round_mode_32 0
		.amdhsa_float_round_mode_16_64 0
		.amdhsa_float_denorm_mode_32 3
		.amdhsa_float_denorm_mode_16_64 3
		.amdhsa_dx10_clamp 1
		.amdhsa_ieee_mode 1
		.amdhsa_fp16_overflow 0
		.amdhsa_tg_split 0
		.amdhsa_exception_fp_ieee_invalid_op 0
		.amdhsa_exception_fp_denorm_src 0
		.amdhsa_exception_fp_ieee_div_zero 0
		.amdhsa_exception_fp_ieee_overflow 0
		.amdhsa_exception_fp_ieee_underflow 0
		.amdhsa_exception_fp_ieee_inexact 0
		.amdhsa_exception_int_div_zero 0
	.end_amdhsa_kernel
	.section	.text._ZN7rocprim17ROCPRIM_400000_NS6detail17trampoline_kernelINS0_14default_configENS1_38merge_sort_block_merge_config_selectorImNS0_10empty_typeEEEZZNS1_27merge_sort_block_merge_implIS3_PmPS5_jNS1_19radix_merge_compareILb0ELb0EmNS0_19identity_decomposerEEEEE10hipError_tT0_T1_T2_jT3_P12ihipStream_tbPNSt15iterator_traitsISE_E10value_typeEPNSK_ISF_E10value_typeEPSG_NS1_7vsmem_tEENKUlT_SE_SF_SG_E_clIS8_S8_S9_S9_EESD_ST_SE_SF_SG_EUlST_E_NS1_11comp_targetILNS1_3genE4ELNS1_11target_archE910ELNS1_3gpuE8ELNS1_3repE0EEENS1_48merge_mergepath_partition_config_static_selectorELNS0_4arch9wavefront6targetE1EEEvSF_,"axG",@progbits,_ZN7rocprim17ROCPRIM_400000_NS6detail17trampoline_kernelINS0_14default_configENS1_38merge_sort_block_merge_config_selectorImNS0_10empty_typeEEEZZNS1_27merge_sort_block_merge_implIS3_PmPS5_jNS1_19radix_merge_compareILb0ELb0EmNS0_19identity_decomposerEEEEE10hipError_tT0_T1_T2_jT3_P12ihipStream_tbPNSt15iterator_traitsISE_E10value_typeEPNSK_ISF_E10value_typeEPSG_NS1_7vsmem_tEENKUlT_SE_SF_SG_E_clIS8_S8_S9_S9_EESD_ST_SE_SF_SG_EUlST_E_NS1_11comp_targetILNS1_3genE4ELNS1_11target_archE910ELNS1_3gpuE8ELNS1_3repE0EEENS1_48merge_mergepath_partition_config_static_selectorELNS0_4arch9wavefront6targetE1EEEvSF_,comdat
.Lfunc_end909:
	.size	_ZN7rocprim17ROCPRIM_400000_NS6detail17trampoline_kernelINS0_14default_configENS1_38merge_sort_block_merge_config_selectorImNS0_10empty_typeEEEZZNS1_27merge_sort_block_merge_implIS3_PmPS5_jNS1_19radix_merge_compareILb0ELb0EmNS0_19identity_decomposerEEEEE10hipError_tT0_T1_T2_jT3_P12ihipStream_tbPNSt15iterator_traitsISE_E10value_typeEPNSK_ISF_E10value_typeEPSG_NS1_7vsmem_tEENKUlT_SE_SF_SG_E_clIS8_S8_S9_S9_EESD_ST_SE_SF_SG_EUlST_E_NS1_11comp_targetILNS1_3genE4ELNS1_11target_archE910ELNS1_3gpuE8ELNS1_3repE0EEENS1_48merge_mergepath_partition_config_static_selectorELNS0_4arch9wavefront6targetE1EEEvSF_, .Lfunc_end909-_ZN7rocprim17ROCPRIM_400000_NS6detail17trampoline_kernelINS0_14default_configENS1_38merge_sort_block_merge_config_selectorImNS0_10empty_typeEEEZZNS1_27merge_sort_block_merge_implIS3_PmPS5_jNS1_19radix_merge_compareILb0ELb0EmNS0_19identity_decomposerEEEEE10hipError_tT0_T1_T2_jT3_P12ihipStream_tbPNSt15iterator_traitsISE_E10value_typeEPNSK_ISF_E10value_typeEPSG_NS1_7vsmem_tEENKUlT_SE_SF_SG_E_clIS8_S8_S9_S9_EESD_ST_SE_SF_SG_EUlST_E_NS1_11comp_targetILNS1_3genE4ELNS1_11target_archE910ELNS1_3gpuE8ELNS1_3repE0EEENS1_48merge_mergepath_partition_config_static_selectorELNS0_4arch9wavefront6targetE1EEEvSF_
                                        ; -- End function
	.section	.AMDGPU.csdata,"",@progbits
; Kernel info:
; codeLenInByte = 360
; NumSgprs: 12
; NumVgprs: 20
; NumAgprs: 0
; TotalNumVgprs: 20
; ScratchSize: 0
; MemoryBound: 0
; FloatMode: 240
; IeeeMode: 1
; LDSByteSize: 0 bytes/workgroup (compile time only)
; SGPRBlocks: 1
; VGPRBlocks: 2
; NumSGPRsForWavesPerEU: 12
; NumVGPRsForWavesPerEU: 20
; AccumOffset: 20
; Occupancy: 8
; WaveLimiterHint : 0
; COMPUTE_PGM_RSRC2:SCRATCH_EN: 0
; COMPUTE_PGM_RSRC2:USER_SGPR: 6
; COMPUTE_PGM_RSRC2:TRAP_HANDLER: 0
; COMPUTE_PGM_RSRC2:TGID_X_EN: 1
; COMPUTE_PGM_RSRC2:TGID_Y_EN: 0
; COMPUTE_PGM_RSRC2:TGID_Z_EN: 0
; COMPUTE_PGM_RSRC2:TIDIG_COMP_CNT: 0
; COMPUTE_PGM_RSRC3_GFX90A:ACCUM_OFFSET: 4
; COMPUTE_PGM_RSRC3_GFX90A:TG_SPLIT: 0
	.section	.text._ZN7rocprim17ROCPRIM_400000_NS6detail17trampoline_kernelINS0_14default_configENS1_38merge_sort_block_merge_config_selectorImNS0_10empty_typeEEEZZNS1_27merge_sort_block_merge_implIS3_PmPS5_jNS1_19radix_merge_compareILb0ELb0EmNS0_19identity_decomposerEEEEE10hipError_tT0_T1_T2_jT3_P12ihipStream_tbPNSt15iterator_traitsISE_E10value_typeEPNSK_ISF_E10value_typeEPSG_NS1_7vsmem_tEENKUlT_SE_SF_SG_E_clIS8_S8_S9_S9_EESD_ST_SE_SF_SG_EUlST_E_NS1_11comp_targetILNS1_3genE3ELNS1_11target_archE908ELNS1_3gpuE7ELNS1_3repE0EEENS1_48merge_mergepath_partition_config_static_selectorELNS0_4arch9wavefront6targetE1EEEvSF_,"axG",@progbits,_ZN7rocprim17ROCPRIM_400000_NS6detail17trampoline_kernelINS0_14default_configENS1_38merge_sort_block_merge_config_selectorImNS0_10empty_typeEEEZZNS1_27merge_sort_block_merge_implIS3_PmPS5_jNS1_19radix_merge_compareILb0ELb0EmNS0_19identity_decomposerEEEEE10hipError_tT0_T1_T2_jT3_P12ihipStream_tbPNSt15iterator_traitsISE_E10value_typeEPNSK_ISF_E10value_typeEPSG_NS1_7vsmem_tEENKUlT_SE_SF_SG_E_clIS8_S8_S9_S9_EESD_ST_SE_SF_SG_EUlST_E_NS1_11comp_targetILNS1_3genE3ELNS1_11target_archE908ELNS1_3gpuE7ELNS1_3repE0EEENS1_48merge_mergepath_partition_config_static_selectorELNS0_4arch9wavefront6targetE1EEEvSF_,comdat
	.protected	_ZN7rocprim17ROCPRIM_400000_NS6detail17trampoline_kernelINS0_14default_configENS1_38merge_sort_block_merge_config_selectorImNS0_10empty_typeEEEZZNS1_27merge_sort_block_merge_implIS3_PmPS5_jNS1_19radix_merge_compareILb0ELb0EmNS0_19identity_decomposerEEEEE10hipError_tT0_T1_T2_jT3_P12ihipStream_tbPNSt15iterator_traitsISE_E10value_typeEPNSK_ISF_E10value_typeEPSG_NS1_7vsmem_tEENKUlT_SE_SF_SG_E_clIS8_S8_S9_S9_EESD_ST_SE_SF_SG_EUlST_E_NS1_11comp_targetILNS1_3genE3ELNS1_11target_archE908ELNS1_3gpuE7ELNS1_3repE0EEENS1_48merge_mergepath_partition_config_static_selectorELNS0_4arch9wavefront6targetE1EEEvSF_ ; -- Begin function _ZN7rocprim17ROCPRIM_400000_NS6detail17trampoline_kernelINS0_14default_configENS1_38merge_sort_block_merge_config_selectorImNS0_10empty_typeEEEZZNS1_27merge_sort_block_merge_implIS3_PmPS5_jNS1_19radix_merge_compareILb0ELb0EmNS0_19identity_decomposerEEEEE10hipError_tT0_T1_T2_jT3_P12ihipStream_tbPNSt15iterator_traitsISE_E10value_typeEPNSK_ISF_E10value_typeEPSG_NS1_7vsmem_tEENKUlT_SE_SF_SG_E_clIS8_S8_S9_S9_EESD_ST_SE_SF_SG_EUlST_E_NS1_11comp_targetILNS1_3genE3ELNS1_11target_archE908ELNS1_3gpuE7ELNS1_3repE0EEENS1_48merge_mergepath_partition_config_static_selectorELNS0_4arch9wavefront6targetE1EEEvSF_
	.globl	_ZN7rocprim17ROCPRIM_400000_NS6detail17trampoline_kernelINS0_14default_configENS1_38merge_sort_block_merge_config_selectorImNS0_10empty_typeEEEZZNS1_27merge_sort_block_merge_implIS3_PmPS5_jNS1_19radix_merge_compareILb0ELb0EmNS0_19identity_decomposerEEEEE10hipError_tT0_T1_T2_jT3_P12ihipStream_tbPNSt15iterator_traitsISE_E10value_typeEPNSK_ISF_E10value_typeEPSG_NS1_7vsmem_tEENKUlT_SE_SF_SG_E_clIS8_S8_S9_S9_EESD_ST_SE_SF_SG_EUlST_E_NS1_11comp_targetILNS1_3genE3ELNS1_11target_archE908ELNS1_3gpuE7ELNS1_3repE0EEENS1_48merge_mergepath_partition_config_static_selectorELNS0_4arch9wavefront6targetE1EEEvSF_
	.p2align	8
	.type	_ZN7rocprim17ROCPRIM_400000_NS6detail17trampoline_kernelINS0_14default_configENS1_38merge_sort_block_merge_config_selectorImNS0_10empty_typeEEEZZNS1_27merge_sort_block_merge_implIS3_PmPS5_jNS1_19radix_merge_compareILb0ELb0EmNS0_19identity_decomposerEEEEE10hipError_tT0_T1_T2_jT3_P12ihipStream_tbPNSt15iterator_traitsISE_E10value_typeEPNSK_ISF_E10value_typeEPSG_NS1_7vsmem_tEENKUlT_SE_SF_SG_E_clIS8_S8_S9_S9_EESD_ST_SE_SF_SG_EUlST_E_NS1_11comp_targetILNS1_3genE3ELNS1_11target_archE908ELNS1_3gpuE7ELNS1_3repE0EEENS1_48merge_mergepath_partition_config_static_selectorELNS0_4arch9wavefront6targetE1EEEvSF_,@function
_ZN7rocprim17ROCPRIM_400000_NS6detail17trampoline_kernelINS0_14default_configENS1_38merge_sort_block_merge_config_selectorImNS0_10empty_typeEEEZZNS1_27merge_sort_block_merge_implIS3_PmPS5_jNS1_19radix_merge_compareILb0ELb0EmNS0_19identity_decomposerEEEEE10hipError_tT0_T1_T2_jT3_P12ihipStream_tbPNSt15iterator_traitsISE_E10value_typeEPNSK_ISF_E10value_typeEPSG_NS1_7vsmem_tEENKUlT_SE_SF_SG_E_clIS8_S8_S9_S9_EESD_ST_SE_SF_SG_EUlST_E_NS1_11comp_targetILNS1_3genE3ELNS1_11target_archE908ELNS1_3gpuE7ELNS1_3repE0EEENS1_48merge_mergepath_partition_config_static_selectorELNS0_4arch9wavefront6targetE1EEEvSF_: ; @_ZN7rocprim17ROCPRIM_400000_NS6detail17trampoline_kernelINS0_14default_configENS1_38merge_sort_block_merge_config_selectorImNS0_10empty_typeEEEZZNS1_27merge_sort_block_merge_implIS3_PmPS5_jNS1_19radix_merge_compareILb0ELb0EmNS0_19identity_decomposerEEEEE10hipError_tT0_T1_T2_jT3_P12ihipStream_tbPNSt15iterator_traitsISE_E10value_typeEPNSK_ISF_E10value_typeEPSG_NS1_7vsmem_tEENKUlT_SE_SF_SG_E_clIS8_S8_S9_S9_EESD_ST_SE_SF_SG_EUlST_E_NS1_11comp_targetILNS1_3genE3ELNS1_11target_archE908ELNS1_3gpuE7ELNS1_3repE0EEENS1_48merge_mergepath_partition_config_static_selectorELNS0_4arch9wavefront6targetE1EEEvSF_
; %bb.0:
	.section	.rodata,"a",@progbits
	.p2align	6, 0x0
	.amdhsa_kernel _ZN7rocprim17ROCPRIM_400000_NS6detail17trampoline_kernelINS0_14default_configENS1_38merge_sort_block_merge_config_selectorImNS0_10empty_typeEEEZZNS1_27merge_sort_block_merge_implIS3_PmPS5_jNS1_19radix_merge_compareILb0ELb0EmNS0_19identity_decomposerEEEEE10hipError_tT0_T1_T2_jT3_P12ihipStream_tbPNSt15iterator_traitsISE_E10value_typeEPNSK_ISF_E10value_typeEPSG_NS1_7vsmem_tEENKUlT_SE_SF_SG_E_clIS8_S8_S9_S9_EESD_ST_SE_SF_SG_EUlST_E_NS1_11comp_targetILNS1_3genE3ELNS1_11target_archE908ELNS1_3gpuE7ELNS1_3repE0EEENS1_48merge_mergepath_partition_config_static_selectorELNS0_4arch9wavefront6targetE1EEEvSF_
		.amdhsa_group_segment_fixed_size 0
		.amdhsa_private_segment_fixed_size 0
		.amdhsa_kernarg_size 40
		.amdhsa_user_sgpr_count 6
		.amdhsa_user_sgpr_private_segment_buffer 1
		.amdhsa_user_sgpr_dispatch_ptr 0
		.amdhsa_user_sgpr_queue_ptr 0
		.amdhsa_user_sgpr_kernarg_segment_ptr 1
		.amdhsa_user_sgpr_dispatch_id 0
		.amdhsa_user_sgpr_flat_scratch_init 0
		.amdhsa_user_sgpr_kernarg_preload_length 0
		.amdhsa_user_sgpr_kernarg_preload_offset 0
		.amdhsa_user_sgpr_private_segment_size 0
		.amdhsa_uses_dynamic_stack 0
		.amdhsa_system_sgpr_private_segment_wavefront_offset 0
		.amdhsa_system_sgpr_workgroup_id_x 1
		.amdhsa_system_sgpr_workgroup_id_y 0
		.amdhsa_system_sgpr_workgroup_id_z 0
		.amdhsa_system_sgpr_workgroup_info 0
		.amdhsa_system_vgpr_workitem_id 0
		.amdhsa_next_free_vgpr 1
		.amdhsa_next_free_sgpr 0
		.amdhsa_accum_offset 4
		.amdhsa_reserve_vcc 0
		.amdhsa_reserve_flat_scratch 0
		.amdhsa_float_round_mode_32 0
		.amdhsa_float_round_mode_16_64 0
		.amdhsa_float_denorm_mode_32 3
		.amdhsa_float_denorm_mode_16_64 3
		.amdhsa_dx10_clamp 1
		.amdhsa_ieee_mode 1
		.amdhsa_fp16_overflow 0
		.amdhsa_tg_split 0
		.amdhsa_exception_fp_ieee_invalid_op 0
		.amdhsa_exception_fp_denorm_src 0
		.amdhsa_exception_fp_ieee_div_zero 0
		.amdhsa_exception_fp_ieee_overflow 0
		.amdhsa_exception_fp_ieee_underflow 0
		.amdhsa_exception_fp_ieee_inexact 0
		.amdhsa_exception_int_div_zero 0
	.end_amdhsa_kernel
	.section	.text._ZN7rocprim17ROCPRIM_400000_NS6detail17trampoline_kernelINS0_14default_configENS1_38merge_sort_block_merge_config_selectorImNS0_10empty_typeEEEZZNS1_27merge_sort_block_merge_implIS3_PmPS5_jNS1_19radix_merge_compareILb0ELb0EmNS0_19identity_decomposerEEEEE10hipError_tT0_T1_T2_jT3_P12ihipStream_tbPNSt15iterator_traitsISE_E10value_typeEPNSK_ISF_E10value_typeEPSG_NS1_7vsmem_tEENKUlT_SE_SF_SG_E_clIS8_S8_S9_S9_EESD_ST_SE_SF_SG_EUlST_E_NS1_11comp_targetILNS1_3genE3ELNS1_11target_archE908ELNS1_3gpuE7ELNS1_3repE0EEENS1_48merge_mergepath_partition_config_static_selectorELNS0_4arch9wavefront6targetE1EEEvSF_,"axG",@progbits,_ZN7rocprim17ROCPRIM_400000_NS6detail17trampoline_kernelINS0_14default_configENS1_38merge_sort_block_merge_config_selectorImNS0_10empty_typeEEEZZNS1_27merge_sort_block_merge_implIS3_PmPS5_jNS1_19radix_merge_compareILb0ELb0EmNS0_19identity_decomposerEEEEE10hipError_tT0_T1_T2_jT3_P12ihipStream_tbPNSt15iterator_traitsISE_E10value_typeEPNSK_ISF_E10value_typeEPSG_NS1_7vsmem_tEENKUlT_SE_SF_SG_E_clIS8_S8_S9_S9_EESD_ST_SE_SF_SG_EUlST_E_NS1_11comp_targetILNS1_3genE3ELNS1_11target_archE908ELNS1_3gpuE7ELNS1_3repE0EEENS1_48merge_mergepath_partition_config_static_selectorELNS0_4arch9wavefront6targetE1EEEvSF_,comdat
.Lfunc_end910:
	.size	_ZN7rocprim17ROCPRIM_400000_NS6detail17trampoline_kernelINS0_14default_configENS1_38merge_sort_block_merge_config_selectorImNS0_10empty_typeEEEZZNS1_27merge_sort_block_merge_implIS3_PmPS5_jNS1_19radix_merge_compareILb0ELb0EmNS0_19identity_decomposerEEEEE10hipError_tT0_T1_T2_jT3_P12ihipStream_tbPNSt15iterator_traitsISE_E10value_typeEPNSK_ISF_E10value_typeEPSG_NS1_7vsmem_tEENKUlT_SE_SF_SG_E_clIS8_S8_S9_S9_EESD_ST_SE_SF_SG_EUlST_E_NS1_11comp_targetILNS1_3genE3ELNS1_11target_archE908ELNS1_3gpuE7ELNS1_3repE0EEENS1_48merge_mergepath_partition_config_static_selectorELNS0_4arch9wavefront6targetE1EEEvSF_, .Lfunc_end910-_ZN7rocprim17ROCPRIM_400000_NS6detail17trampoline_kernelINS0_14default_configENS1_38merge_sort_block_merge_config_selectorImNS0_10empty_typeEEEZZNS1_27merge_sort_block_merge_implIS3_PmPS5_jNS1_19radix_merge_compareILb0ELb0EmNS0_19identity_decomposerEEEEE10hipError_tT0_T1_T2_jT3_P12ihipStream_tbPNSt15iterator_traitsISE_E10value_typeEPNSK_ISF_E10value_typeEPSG_NS1_7vsmem_tEENKUlT_SE_SF_SG_E_clIS8_S8_S9_S9_EESD_ST_SE_SF_SG_EUlST_E_NS1_11comp_targetILNS1_3genE3ELNS1_11target_archE908ELNS1_3gpuE7ELNS1_3repE0EEENS1_48merge_mergepath_partition_config_static_selectorELNS0_4arch9wavefront6targetE1EEEvSF_
                                        ; -- End function
	.section	.AMDGPU.csdata,"",@progbits
; Kernel info:
; codeLenInByte = 0
; NumSgprs: 4
; NumVgprs: 0
; NumAgprs: 0
; TotalNumVgprs: 0
; ScratchSize: 0
; MemoryBound: 0
; FloatMode: 240
; IeeeMode: 1
; LDSByteSize: 0 bytes/workgroup (compile time only)
; SGPRBlocks: 0
; VGPRBlocks: 0
; NumSGPRsForWavesPerEU: 4
; NumVGPRsForWavesPerEU: 1
; AccumOffset: 4
; Occupancy: 8
; WaveLimiterHint : 0
; COMPUTE_PGM_RSRC2:SCRATCH_EN: 0
; COMPUTE_PGM_RSRC2:USER_SGPR: 6
; COMPUTE_PGM_RSRC2:TRAP_HANDLER: 0
; COMPUTE_PGM_RSRC2:TGID_X_EN: 1
; COMPUTE_PGM_RSRC2:TGID_Y_EN: 0
; COMPUTE_PGM_RSRC2:TGID_Z_EN: 0
; COMPUTE_PGM_RSRC2:TIDIG_COMP_CNT: 0
; COMPUTE_PGM_RSRC3_GFX90A:ACCUM_OFFSET: 0
; COMPUTE_PGM_RSRC3_GFX90A:TG_SPLIT: 0
	.section	.text._ZN7rocprim17ROCPRIM_400000_NS6detail17trampoline_kernelINS0_14default_configENS1_38merge_sort_block_merge_config_selectorImNS0_10empty_typeEEEZZNS1_27merge_sort_block_merge_implIS3_PmPS5_jNS1_19radix_merge_compareILb0ELb0EmNS0_19identity_decomposerEEEEE10hipError_tT0_T1_T2_jT3_P12ihipStream_tbPNSt15iterator_traitsISE_E10value_typeEPNSK_ISF_E10value_typeEPSG_NS1_7vsmem_tEENKUlT_SE_SF_SG_E_clIS8_S8_S9_S9_EESD_ST_SE_SF_SG_EUlST_E_NS1_11comp_targetILNS1_3genE2ELNS1_11target_archE906ELNS1_3gpuE6ELNS1_3repE0EEENS1_48merge_mergepath_partition_config_static_selectorELNS0_4arch9wavefront6targetE1EEEvSF_,"axG",@progbits,_ZN7rocprim17ROCPRIM_400000_NS6detail17trampoline_kernelINS0_14default_configENS1_38merge_sort_block_merge_config_selectorImNS0_10empty_typeEEEZZNS1_27merge_sort_block_merge_implIS3_PmPS5_jNS1_19radix_merge_compareILb0ELb0EmNS0_19identity_decomposerEEEEE10hipError_tT0_T1_T2_jT3_P12ihipStream_tbPNSt15iterator_traitsISE_E10value_typeEPNSK_ISF_E10value_typeEPSG_NS1_7vsmem_tEENKUlT_SE_SF_SG_E_clIS8_S8_S9_S9_EESD_ST_SE_SF_SG_EUlST_E_NS1_11comp_targetILNS1_3genE2ELNS1_11target_archE906ELNS1_3gpuE6ELNS1_3repE0EEENS1_48merge_mergepath_partition_config_static_selectorELNS0_4arch9wavefront6targetE1EEEvSF_,comdat
	.protected	_ZN7rocprim17ROCPRIM_400000_NS6detail17trampoline_kernelINS0_14default_configENS1_38merge_sort_block_merge_config_selectorImNS0_10empty_typeEEEZZNS1_27merge_sort_block_merge_implIS3_PmPS5_jNS1_19radix_merge_compareILb0ELb0EmNS0_19identity_decomposerEEEEE10hipError_tT0_T1_T2_jT3_P12ihipStream_tbPNSt15iterator_traitsISE_E10value_typeEPNSK_ISF_E10value_typeEPSG_NS1_7vsmem_tEENKUlT_SE_SF_SG_E_clIS8_S8_S9_S9_EESD_ST_SE_SF_SG_EUlST_E_NS1_11comp_targetILNS1_3genE2ELNS1_11target_archE906ELNS1_3gpuE6ELNS1_3repE0EEENS1_48merge_mergepath_partition_config_static_selectorELNS0_4arch9wavefront6targetE1EEEvSF_ ; -- Begin function _ZN7rocprim17ROCPRIM_400000_NS6detail17trampoline_kernelINS0_14default_configENS1_38merge_sort_block_merge_config_selectorImNS0_10empty_typeEEEZZNS1_27merge_sort_block_merge_implIS3_PmPS5_jNS1_19radix_merge_compareILb0ELb0EmNS0_19identity_decomposerEEEEE10hipError_tT0_T1_T2_jT3_P12ihipStream_tbPNSt15iterator_traitsISE_E10value_typeEPNSK_ISF_E10value_typeEPSG_NS1_7vsmem_tEENKUlT_SE_SF_SG_E_clIS8_S8_S9_S9_EESD_ST_SE_SF_SG_EUlST_E_NS1_11comp_targetILNS1_3genE2ELNS1_11target_archE906ELNS1_3gpuE6ELNS1_3repE0EEENS1_48merge_mergepath_partition_config_static_selectorELNS0_4arch9wavefront6targetE1EEEvSF_
	.globl	_ZN7rocprim17ROCPRIM_400000_NS6detail17trampoline_kernelINS0_14default_configENS1_38merge_sort_block_merge_config_selectorImNS0_10empty_typeEEEZZNS1_27merge_sort_block_merge_implIS3_PmPS5_jNS1_19radix_merge_compareILb0ELb0EmNS0_19identity_decomposerEEEEE10hipError_tT0_T1_T2_jT3_P12ihipStream_tbPNSt15iterator_traitsISE_E10value_typeEPNSK_ISF_E10value_typeEPSG_NS1_7vsmem_tEENKUlT_SE_SF_SG_E_clIS8_S8_S9_S9_EESD_ST_SE_SF_SG_EUlST_E_NS1_11comp_targetILNS1_3genE2ELNS1_11target_archE906ELNS1_3gpuE6ELNS1_3repE0EEENS1_48merge_mergepath_partition_config_static_selectorELNS0_4arch9wavefront6targetE1EEEvSF_
	.p2align	8
	.type	_ZN7rocprim17ROCPRIM_400000_NS6detail17trampoline_kernelINS0_14default_configENS1_38merge_sort_block_merge_config_selectorImNS0_10empty_typeEEEZZNS1_27merge_sort_block_merge_implIS3_PmPS5_jNS1_19radix_merge_compareILb0ELb0EmNS0_19identity_decomposerEEEEE10hipError_tT0_T1_T2_jT3_P12ihipStream_tbPNSt15iterator_traitsISE_E10value_typeEPNSK_ISF_E10value_typeEPSG_NS1_7vsmem_tEENKUlT_SE_SF_SG_E_clIS8_S8_S9_S9_EESD_ST_SE_SF_SG_EUlST_E_NS1_11comp_targetILNS1_3genE2ELNS1_11target_archE906ELNS1_3gpuE6ELNS1_3repE0EEENS1_48merge_mergepath_partition_config_static_selectorELNS0_4arch9wavefront6targetE1EEEvSF_,@function
_ZN7rocprim17ROCPRIM_400000_NS6detail17trampoline_kernelINS0_14default_configENS1_38merge_sort_block_merge_config_selectorImNS0_10empty_typeEEEZZNS1_27merge_sort_block_merge_implIS3_PmPS5_jNS1_19radix_merge_compareILb0ELb0EmNS0_19identity_decomposerEEEEE10hipError_tT0_T1_T2_jT3_P12ihipStream_tbPNSt15iterator_traitsISE_E10value_typeEPNSK_ISF_E10value_typeEPSG_NS1_7vsmem_tEENKUlT_SE_SF_SG_E_clIS8_S8_S9_S9_EESD_ST_SE_SF_SG_EUlST_E_NS1_11comp_targetILNS1_3genE2ELNS1_11target_archE906ELNS1_3gpuE6ELNS1_3repE0EEENS1_48merge_mergepath_partition_config_static_selectorELNS0_4arch9wavefront6targetE1EEEvSF_: ; @_ZN7rocprim17ROCPRIM_400000_NS6detail17trampoline_kernelINS0_14default_configENS1_38merge_sort_block_merge_config_selectorImNS0_10empty_typeEEEZZNS1_27merge_sort_block_merge_implIS3_PmPS5_jNS1_19radix_merge_compareILb0ELb0EmNS0_19identity_decomposerEEEEE10hipError_tT0_T1_T2_jT3_P12ihipStream_tbPNSt15iterator_traitsISE_E10value_typeEPNSK_ISF_E10value_typeEPSG_NS1_7vsmem_tEENKUlT_SE_SF_SG_E_clIS8_S8_S9_S9_EESD_ST_SE_SF_SG_EUlST_E_NS1_11comp_targetILNS1_3genE2ELNS1_11target_archE906ELNS1_3gpuE6ELNS1_3repE0EEENS1_48merge_mergepath_partition_config_static_selectorELNS0_4arch9wavefront6targetE1EEEvSF_
; %bb.0:
	.section	.rodata,"a",@progbits
	.p2align	6, 0x0
	.amdhsa_kernel _ZN7rocprim17ROCPRIM_400000_NS6detail17trampoline_kernelINS0_14default_configENS1_38merge_sort_block_merge_config_selectorImNS0_10empty_typeEEEZZNS1_27merge_sort_block_merge_implIS3_PmPS5_jNS1_19radix_merge_compareILb0ELb0EmNS0_19identity_decomposerEEEEE10hipError_tT0_T1_T2_jT3_P12ihipStream_tbPNSt15iterator_traitsISE_E10value_typeEPNSK_ISF_E10value_typeEPSG_NS1_7vsmem_tEENKUlT_SE_SF_SG_E_clIS8_S8_S9_S9_EESD_ST_SE_SF_SG_EUlST_E_NS1_11comp_targetILNS1_3genE2ELNS1_11target_archE906ELNS1_3gpuE6ELNS1_3repE0EEENS1_48merge_mergepath_partition_config_static_selectorELNS0_4arch9wavefront6targetE1EEEvSF_
		.amdhsa_group_segment_fixed_size 0
		.amdhsa_private_segment_fixed_size 0
		.amdhsa_kernarg_size 40
		.amdhsa_user_sgpr_count 6
		.amdhsa_user_sgpr_private_segment_buffer 1
		.amdhsa_user_sgpr_dispatch_ptr 0
		.amdhsa_user_sgpr_queue_ptr 0
		.amdhsa_user_sgpr_kernarg_segment_ptr 1
		.amdhsa_user_sgpr_dispatch_id 0
		.amdhsa_user_sgpr_flat_scratch_init 0
		.amdhsa_user_sgpr_kernarg_preload_length 0
		.amdhsa_user_sgpr_kernarg_preload_offset 0
		.amdhsa_user_sgpr_private_segment_size 0
		.amdhsa_uses_dynamic_stack 0
		.amdhsa_system_sgpr_private_segment_wavefront_offset 0
		.amdhsa_system_sgpr_workgroup_id_x 1
		.amdhsa_system_sgpr_workgroup_id_y 0
		.amdhsa_system_sgpr_workgroup_id_z 0
		.amdhsa_system_sgpr_workgroup_info 0
		.amdhsa_system_vgpr_workitem_id 0
		.amdhsa_next_free_vgpr 1
		.amdhsa_next_free_sgpr 0
		.amdhsa_accum_offset 4
		.amdhsa_reserve_vcc 0
		.amdhsa_reserve_flat_scratch 0
		.amdhsa_float_round_mode_32 0
		.amdhsa_float_round_mode_16_64 0
		.amdhsa_float_denorm_mode_32 3
		.amdhsa_float_denorm_mode_16_64 3
		.amdhsa_dx10_clamp 1
		.amdhsa_ieee_mode 1
		.amdhsa_fp16_overflow 0
		.amdhsa_tg_split 0
		.amdhsa_exception_fp_ieee_invalid_op 0
		.amdhsa_exception_fp_denorm_src 0
		.amdhsa_exception_fp_ieee_div_zero 0
		.amdhsa_exception_fp_ieee_overflow 0
		.amdhsa_exception_fp_ieee_underflow 0
		.amdhsa_exception_fp_ieee_inexact 0
		.amdhsa_exception_int_div_zero 0
	.end_amdhsa_kernel
	.section	.text._ZN7rocprim17ROCPRIM_400000_NS6detail17trampoline_kernelINS0_14default_configENS1_38merge_sort_block_merge_config_selectorImNS0_10empty_typeEEEZZNS1_27merge_sort_block_merge_implIS3_PmPS5_jNS1_19radix_merge_compareILb0ELb0EmNS0_19identity_decomposerEEEEE10hipError_tT0_T1_T2_jT3_P12ihipStream_tbPNSt15iterator_traitsISE_E10value_typeEPNSK_ISF_E10value_typeEPSG_NS1_7vsmem_tEENKUlT_SE_SF_SG_E_clIS8_S8_S9_S9_EESD_ST_SE_SF_SG_EUlST_E_NS1_11comp_targetILNS1_3genE2ELNS1_11target_archE906ELNS1_3gpuE6ELNS1_3repE0EEENS1_48merge_mergepath_partition_config_static_selectorELNS0_4arch9wavefront6targetE1EEEvSF_,"axG",@progbits,_ZN7rocprim17ROCPRIM_400000_NS6detail17trampoline_kernelINS0_14default_configENS1_38merge_sort_block_merge_config_selectorImNS0_10empty_typeEEEZZNS1_27merge_sort_block_merge_implIS3_PmPS5_jNS1_19radix_merge_compareILb0ELb0EmNS0_19identity_decomposerEEEEE10hipError_tT0_T1_T2_jT3_P12ihipStream_tbPNSt15iterator_traitsISE_E10value_typeEPNSK_ISF_E10value_typeEPSG_NS1_7vsmem_tEENKUlT_SE_SF_SG_E_clIS8_S8_S9_S9_EESD_ST_SE_SF_SG_EUlST_E_NS1_11comp_targetILNS1_3genE2ELNS1_11target_archE906ELNS1_3gpuE6ELNS1_3repE0EEENS1_48merge_mergepath_partition_config_static_selectorELNS0_4arch9wavefront6targetE1EEEvSF_,comdat
.Lfunc_end911:
	.size	_ZN7rocprim17ROCPRIM_400000_NS6detail17trampoline_kernelINS0_14default_configENS1_38merge_sort_block_merge_config_selectorImNS0_10empty_typeEEEZZNS1_27merge_sort_block_merge_implIS3_PmPS5_jNS1_19radix_merge_compareILb0ELb0EmNS0_19identity_decomposerEEEEE10hipError_tT0_T1_T2_jT3_P12ihipStream_tbPNSt15iterator_traitsISE_E10value_typeEPNSK_ISF_E10value_typeEPSG_NS1_7vsmem_tEENKUlT_SE_SF_SG_E_clIS8_S8_S9_S9_EESD_ST_SE_SF_SG_EUlST_E_NS1_11comp_targetILNS1_3genE2ELNS1_11target_archE906ELNS1_3gpuE6ELNS1_3repE0EEENS1_48merge_mergepath_partition_config_static_selectorELNS0_4arch9wavefront6targetE1EEEvSF_, .Lfunc_end911-_ZN7rocprim17ROCPRIM_400000_NS6detail17trampoline_kernelINS0_14default_configENS1_38merge_sort_block_merge_config_selectorImNS0_10empty_typeEEEZZNS1_27merge_sort_block_merge_implIS3_PmPS5_jNS1_19radix_merge_compareILb0ELb0EmNS0_19identity_decomposerEEEEE10hipError_tT0_T1_T2_jT3_P12ihipStream_tbPNSt15iterator_traitsISE_E10value_typeEPNSK_ISF_E10value_typeEPSG_NS1_7vsmem_tEENKUlT_SE_SF_SG_E_clIS8_S8_S9_S9_EESD_ST_SE_SF_SG_EUlST_E_NS1_11comp_targetILNS1_3genE2ELNS1_11target_archE906ELNS1_3gpuE6ELNS1_3repE0EEENS1_48merge_mergepath_partition_config_static_selectorELNS0_4arch9wavefront6targetE1EEEvSF_
                                        ; -- End function
	.section	.AMDGPU.csdata,"",@progbits
; Kernel info:
; codeLenInByte = 0
; NumSgprs: 4
; NumVgprs: 0
; NumAgprs: 0
; TotalNumVgprs: 0
; ScratchSize: 0
; MemoryBound: 0
; FloatMode: 240
; IeeeMode: 1
; LDSByteSize: 0 bytes/workgroup (compile time only)
; SGPRBlocks: 0
; VGPRBlocks: 0
; NumSGPRsForWavesPerEU: 4
; NumVGPRsForWavesPerEU: 1
; AccumOffset: 4
; Occupancy: 8
; WaveLimiterHint : 0
; COMPUTE_PGM_RSRC2:SCRATCH_EN: 0
; COMPUTE_PGM_RSRC2:USER_SGPR: 6
; COMPUTE_PGM_RSRC2:TRAP_HANDLER: 0
; COMPUTE_PGM_RSRC2:TGID_X_EN: 1
; COMPUTE_PGM_RSRC2:TGID_Y_EN: 0
; COMPUTE_PGM_RSRC2:TGID_Z_EN: 0
; COMPUTE_PGM_RSRC2:TIDIG_COMP_CNT: 0
; COMPUTE_PGM_RSRC3_GFX90A:ACCUM_OFFSET: 0
; COMPUTE_PGM_RSRC3_GFX90A:TG_SPLIT: 0
	.section	.text._ZN7rocprim17ROCPRIM_400000_NS6detail17trampoline_kernelINS0_14default_configENS1_38merge_sort_block_merge_config_selectorImNS0_10empty_typeEEEZZNS1_27merge_sort_block_merge_implIS3_PmPS5_jNS1_19radix_merge_compareILb0ELb0EmNS0_19identity_decomposerEEEEE10hipError_tT0_T1_T2_jT3_P12ihipStream_tbPNSt15iterator_traitsISE_E10value_typeEPNSK_ISF_E10value_typeEPSG_NS1_7vsmem_tEENKUlT_SE_SF_SG_E_clIS8_S8_S9_S9_EESD_ST_SE_SF_SG_EUlST_E_NS1_11comp_targetILNS1_3genE9ELNS1_11target_archE1100ELNS1_3gpuE3ELNS1_3repE0EEENS1_48merge_mergepath_partition_config_static_selectorELNS0_4arch9wavefront6targetE1EEEvSF_,"axG",@progbits,_ZN7rocprim17ROCPRIM_400000_NS6detail17trampoline_kernelINS0_14default_configENS1_38merge_sort_block_merge_config_selectorImNS0_10empty_typeEEEZZNS1_27merge_sort_block_merge_implIS3_PmPS5_jNS1_19radix_merge_compareILb0ELb0EmNS0_19identity_decomposerEEEEE10hipError_tT0_T1_T2_jT3_P12ihipStream_tbPNSt15iterator_traitsISE_E10value_typeEPNSK_ISF_E10value_typeEPSG_NS1_7vsmem_tEENKUlT_SE_SF_SG_E_clIS8_S8_S9_S9_EESD_ST_SE_SF_SG_EUlST_E_NS1_11comp_targetILNS1_3genE9ELNS1_11target_archE1100ELNS1_3gpuE3ELNS1_3repE0EEENS1_48merge_mergepath_partition_config_static_selectorELNS0_4arch9wavefront6targetE1EEEvSF_,comdat
	.protected	_ZN7rocprim17ROCPRIM_400000_NS6detail17trampoline_kernelINS0_14default_configENS1_38merge_sort_block_merge_config_selectorImNS0_10empty_typeEEEZZNS1_27merge_sort_block_merge_implIS3_PmPS5_jNS1_19radix_merge_compareILb0ELb0EmNS0_19identity_decomposerEEEEE10hipError_tT0_T1_T2_jT3_P12ihipStream_tbPNSt15iterator_traitsISE_E10value_typeEPNSK_ISF_E10value_typeEPSG_NS1_7vsmem_tEENKUlT_SE_SF_SG_E_clIS8_S8_S9_S9_EESD_ST_SE_SF_SG_EUlST_E_NS1_11comp_targetILNS1_3genE9ELNS1_11target_archE1100ELNS1_3gpuE3ELNS1_3repE0EEENS1_48merge_mergepath_partition_config_static_selectorELNS0_4arch9wavefront6targetE1EEEvSF_ ; -- Begin function _ZN7rocprim17ROCPRIM_400000_NS6detail17trampoline_kernelINS0_14default_configENS1_38merge_sort_block_merge_config_selectorImNS0_10empty_typeEEEZZNS1_27merge_sort_block_merge_implIS3_PmPS5_jNS1_19radix_merge_compareILb0ELb0EmNS0_19identity_decomposerEEEEE10hipError_tT0_T1_T2_jT3_P12ihipStream_tbPNSt15iterator_traitsISE_E10value_typeEPNSK_ISF_E10value_typeEPSG_NS1_7vsmem_tEENKUlT_SE_SF_SG_E_clIS8_S8_S9_S9_EESD_ST_SE_SF_SG_EUlST_E_NS1_11comp_targetILNS1_3genE9ELNS1_11target_archE1100ELNS1_3gpuE3ELNS1_3repE0EEENS1_48merge_mergepath_partition_config_static_selectorELNS0_4arch9wavefront6targetE1EEEvSF_
	.globl	_ZN7rocprim17ROCPRIM_400000_NS6detail17trampoline_kernelINS0_14default_configENS1_38merge_sort_block_merge_config_selectorImNS0_10empty_typeEEEZZNS1_27merge_sort_block_merge_implIS3_PmPS5_jNS1_19radix_merge_compareILb0ELb0EmNS0_19identity_decomposerEEEEE10hipError_tT0_T1_T2_jT3_P12ihipStream_tbPNSt15iterator_traitsISE_E10value_typeEPNSK_ISF_E10value_typeEPSG_NS1_7vsmem_tEENKUlT_SE_SF_SG_E_clIS8_S8_S9_S9_EESD_ST_SE_SF_SG_EUlST_E_NS1_11comp_targetILNS1_3genE9ELNS1_11target_archE1100ELNS1_3gpuE3ELNS1_3repE0EEENS1_48merge_mergepath_partition_config_static_selectorELNS0_4arch9wavefront6targetE1EEEvSF_
	.p2align	8
	.type	_ZN7rocprim17ROCPRIM_400000_NS6detail17trampoline_kernelINS0_14default_configENS1_38merge_sort_block_merge_config_selectorImNS0_10empty_typeEEEZZNS1_27merge_sort_block_merge_implIS3_PmPS5_jNS1_19radix_merge_compareILb0ELb0EmNS0_19identity_decomposerEEEEE10hipError_tT0_T1_T2_jT3_P12ihipStream_tbPNSt15iterator_traitsISE_E10value_typeEPNSK_ISF_E10value_typeEPSG_NS1_7vsmem_tEENKUlT_SE_SF_SG_E_clIS8_S8_S9_S9_EESD_ST_SE_SF_SG_EUlST_E_NS1_11comp_targetILNS1_3genE9ELNS1_11target_archE1100ELNS1_3gpuE3ELNS1_3repE0EEENS1_48merge_mergepath_partition_config_static_selectorELNS0_4arch9wavefront6targetE1EEEvSF_,@function
_ZN7rocprim17ROCPRIM_400000_NS6detail17trampoline_kernelINS0_14default_configENS1_38merge_sort_block_merge_config_selectorImNS0_10empty_typeEEEZZNS1_27merge_sort_block_merge_implIS3_PmPS5_jNS1_19radix_merge_compareILb0ELb0EmNS0_19identity_decomposerEEEEE10hipError_tT0_T1_T2_jT3_P12ihipStream_tbPNSt15iterator_traitsISE_E10value_typeEPNSK_ISF_E10value_typeEPSG_NS1_7vsmem_tEENKUlT_SE_SF_SG_E_clIS8_S8_S9_S9_EESD_ST_SE_SF_SG_EUlST_E_NS1_11comp_targetILNS1_3genE9ELNS1_11target_archE1100ELNS1_3gpuE3ELNS1_3repE0EEENS1_48merge_mergepath_partition_config_static_selectorELNS0_4arch9wavefront6targetE1EEEvSF_: ; @_ZN7rocprim17ROCPRIM_400000_NS6detail17trampoline_kernelINS0_14default_configENS1_38merge_sort_block_merge_config_selectorImNS0_10empty_typeEEEZZNS1_27merge_sort_block_merge_implIS3_PmPS5_jNS1_19radix_merge_compareILb0ELb0EmNS0_19identity_decomposerEEEEE10hipError_tT0_T1_T2_jT3_P12ihipStream_tbPNSt15iterator_traitsISE_E10value_typeEPNSK_ISF_E10value_typeEPSG_NS1_7vsmem_tEENKUlT_SE_SF_SG_E_clIS8_S8_S9_S9_EESD_ST_SE_SF_SG_EUlST_E_NS1_11comp_targetILNS1_3genE9ELNS1_11target_archE1100ELNS1_3gpuE3ELNS1_3repE0EEENS1_48merge_mergepath_partition_config_static_selectorELNS0_4arch9wavefront6targetE1EEEvSF_
; %bb.0:
	.section	.rodata,"a",@progbits
	.p2align	6, 0x0
	.amdhsa_kernel _ZN7rocprim17ROCPRIM_400000_NS6detail17trampoline_kernelINS0_14default_configENS1_38merge_sort_block_merge_config_selectorImNS0_10empty_typeEEEZZNS1_27merge_sort_block_merge_implIS3_PmPS5_jNS1_19radix_merge_compareILb0ELb0EmNS0_19identity_decomposerEEEEE10hipError_tT0_T1_T2_jT3_P12ihipStream_tbPNSt15iterator_traitsISE_E10value_typeEPNSK_ISF_E10value_typeEPSG_NS1_7vsmem_tEENKUlT_SE_SF_SG_E_clIS8_S8_S9_S9_EESD_ST_SE_SF_SG_EUlST_E_NS1_11comp_targetILNS1_3genE9ELNS1_11target_archE1100ELNS1_3gpuE3ELNS1_3repE0EEENS1_48merge_mergepath_partition_config_static_selectorELNS0_4arch9wavefront6targetE1EEEvSF_
		.amdhsa_group_segment_fixed_size 0
		.amdhsa_private_segment_fixed_size 0
		.amdhsa_kernarg_size 40
		.amdhsa_user_sgpr_count 6
		.amdhsa_user_sgpr_private_segment_buffer 1
		.amdhsa_user_sgpr_dispatch_ptr 0
		.amdhsa_user_sgpr_queue_ptr 0
		.amdhsa_user_sgpr_kernarg_segment_ptr 1
		.amdhsa_user_sgpr_dispatch_id 0
		.amdhsa_user_sgpr_flat_scratch_init 0
		.amdhsa_user_sgpr_kernarg_preload_length 0
		.amdhsa_user_sgpr_kernarg_preload_offset 0
		.amdhsa_user_sgpr_private_segment_size 0
		.amdhsa_uses_dynamic_stack 0
		.amdhsa_system_sgpr_private_segment_wavefront_offset 0
		.amdhsa_system_sgpr_workgroup_id_x 1
		.amdhsa_system_sgpr_workgroup_id_y 0
		.amdhsa_system_sgpr_workgroup_id_z 0
		.amdhsa_system_sgpr_workgroup_info 0
		.amdhsa_system_vgpr_workitem_id 0
		.amdhsa_next_free_vgpr 1
		.amdhsa_next_free_sgpr 0
		.amdhsa_accum_offset 4
		.amdhsa_reserve_vcc 0
		.amdhsa_reserve_flat_scratch 0
		.amdhsa_float_round_mode_32 0
		.amdhsa_float_round_mode_16_64 0
		.amdhsa_float_denorm_mode_32 3
		.amdhsa_float_denorm_mode_16_64 3
		.amdhsa_dx10_clamp 1
		.amdhsa_ieee_mode 1
		.amdhsa_fp16_overflow 0
		.amdhsa_tg_split 0
		.amdhsa_exception_fp_ieee_invalid_op 0
		.amdhsa_exception_fp_denorm_src 0
		.amdhsa_exception_fp_ieee_div_zero 0
		.amdhsa_exception_fp_ieee_overflow 0
		.amdhsa_exception_fp_ieee_underflow 0
		.amdhsa_exception_fp_ieee_inexact 0
		.amdhsa_exception_int_div_zero 0
	.end_amdhsa_kernel
	.section	.text._ZN7rocprim17ROCPRIM_400000_NS6detail17trampoline_kernelINS0_14default_configENS1_38merge_sort_block_merge_config_selectorImNS0_10empty_typeEEEZZNS1_27merge_sort_block_merge_implIS3_PmPS5_jNS1_19radix_merge_compareILb0ELb0EmNS0_19identity_decomposerEEEEE10hipError_tT0_T1_T2_jT3_P12ihipStream_tbPNSt15iterator_traitsISE_E10value_typeEPNSK_ISF_E10value_typeEPSG_NS1_7vsmem_tEENKUlT_SE_SF_SG_E_clIS8_S8_S9_S9_EESD_ST_SE_SF_SG_EUlST_E_NS1_11comp_targetILNS1_3genE9ELNS1_11target_archE1100ELNS1_3gpuE3ELNS1_3repE0EEENS1_48merge_mergepath_partition_config_static_selectorELNS0_4arch9wavefront6targetE1EEEvSF_,"axG",@progbits,_ZN7rocprim17ROCPRIM_400000_NS6detail17trampoline_kernelINS0_14default_configENS1_38merge_sort_block_merge_config_selectorImNS0_10empty_typeEEEZZNS1_27merge_sort_block_merge_implIS3_PmPS5_jNS1_19radix_merge_compareILb0ELb0EmNS0_19identity_decomposerEEEEE10hipError_tT0_T1_T2_jT3_P12ihipStream_tbPNSt15iterator_traitsISE_E10value_typeEPNSK_ISF_E10value_typeEPSG_NS1_7vsmem_tEENKUlT_SE_SF_SG_E_clIS8_S8_S9_S9_EESD_ST_SE_SF_SG_EUlST_E_NS1_11comp_targetILNS1_3genE9ELNS1_11target_archE1100ELNS1_3gpuE3ELNS1_3repE0EEENS1_48merge_mergepath_partition_config_static_selectorELNS0_4arch9wavefront6targetE1EEEvSF_,comdat
.Lfunc_end912:
	.size	_ZN7rocprim17ROCPRIM_400000_NS6detail17trampoline_kernelINS0_14default_configENS1_38merge_sort_block_merge_config_selectorImNS0_10empty_typeEEEZZNS1_27merge_sort_block_merge_implIS3_PmPS5_jNS1_19radix_merge_compareILb0ELb0EmNS0_19identity_decomposerEEEEE10hipError_tT0_T1_T2_jT3_P12ihipStream_tbPNSt15iterator_traitsISE_E10value_typeEPNSK_ISF_E10value_typeEPSG_NS1_7vsmem_tEENKUlT_SE_SF_SG_E_clIS8_S8_S9_S9_EESD_ST_SE_SF_SG_EUlST_E_NS1_11comp_targetILNS1_3genE9ELNS1_11target_archE1100ELNS1_3gpuE3ELNS1_3repE0EEENS1_48merge_mergepath_partition_config_static_selectorELNS0_4arch9wavefront6targetE1EEEvSF_, .Lfunc_end912-_ZN7rocprim17ROCPRIM_400000_NS6detail17trampoline_kernelINS0_14default_configENS1_38merge_sort_block_merge_config_selectorImNS0_10empty_typeEEEZZNS1_27merge_sort_block_merge_implIS3_PmPS5_jNS1_19radix_merge_compareILb0ELb0EmNS0_19identity_decomposerEEEEE10hipError_tT0_T1_T2_jT3_P12ihipStream_tbPNSt15iterator_traitsISE_E10value_typeEPNSK_ISF_E10value_typeEPSG_NS1_7vsmem_tEENKUlT_SE_SF_SG_E_clIS8_S8_S9_S9_EESD_ST_SE_SF_SG_EUlST_E_NS1_11comp_targetILNS1_3genE9ELNS1_11target_archE1100ELNS1_3gpuE3ELNS1_3repE0EEENS1_48merge_mergepath_partition_config_static_selectorELNS0_4arch9wavefront6targetE1EEEvSF_
                                        ; -- End function
	.section	.AMDGPU.csdata,"",@progbits
; Kernel info:
; codeLenInByte = 0
; NumSgprs: 4
; NumVgprs: 0
; NumAgprs: 0
; TotalNumVgprs: 0
; ScratchSize: 0
; MemoryBound: 0
; FloatMode: 240
; IeeeMode: 1
; LDSByteSize: 0 bytes/workgroup (compile time only)
; SGPRBlocks: 0
; VGPRBlocks: 0
; NumSGPRsForWavesPerEU: 4
; NumVGPRsForWavesPerEU: 1
; AccumOffset: 4
; Occupancy: 8
; WaveLimiterHint : 0
; COMPUTE_PGM_RSRC2:SCRATCH_EN: 0
; COMPUTE_PGM_RSRC2:USER_SGPR: 6
; COMPUTE_PGM_RSRC2:TRAP_HANDLER: 0
; COMPUTE_PGM_RSRC2:TGID_X_EN: 1
; COMPUTE_PGM_RSRC2:TGID_Y_EN: 0
; COMPUTE_PGM_RSRC2:TGID_Z_EN: 0
; COMPUTE_PGM_RSRC2:TIDIG_COMP_CNT: 0
; COMPUTE_PGM_RSRC3_GFX90A:ACCUM_OFFSET: 0
; COMPUTE_PGM_RSRC3_GFX90A:TG_SPLIT: 0
	.section	.text._ZN7rocprim17ROCPRIM_400000_NS6detail17trampoline_kernelINS0_14default_configENS1_38merge_sort_block_merge_config_selectorImNS0_10empty_typeEEEZZNS1_27merge_sort_block_merge_implIS3_PmPS5_jNS1_19radix_merge_compareILb0ELb0EmNS0_19identity_decomposerEEEEE10hipError_tT0_T1_T2_jT3_P12ihipStream_tbPNSt15iterator_traitsISE_E10value_typeEPNSK_ISF_E10value_typeEPSG_NS1_7vsmem_tEENKUlT_SE_SF_SG_E_clIS8_S8_S9_S9_EESD_ST_SE_SF_SG_EUlST_E_NS1_11comp_targetILNS1_3genE8ELNS1_11target_archE1030ELNS1_3gpuE2ELNS1_3repE0EEENS1_48merge_mergepath_partition_config_static_selectorELNS0_4arch9wavefront6targetE1EEEvSF_,"axG",@progbits,_ZN7rocprim17ROCPRIM_400000_NS6detail17trampoline_kernelINS0_14default_configENS1_38merge_sort_block_merge_config_selectorImNS0_10empty_typeEEEZZNS1_27merge_sort_block_merge_implIS3_PmPS5_jNS1_19radix_merge_compareILb0ELb0EmNS0_19identity_decomposerEEEEE10hipError_tT0_T1_T2_jT3_P12ihipStream_tbPNSt15iterator_traitsISE_E10value_typeEPNSK_ISF_E10value_typeEPSG_NS1_7vsmem_tEENKUlT_SE_SF_SG_E_clIS8_S8_S9_S9_EESD_ST_SE_SF_SG_EUlST_E_NS1_11comp_targetILNS1_3genE8ELNS1_11target_archE1030ELNS1_3gpuE2ELNS1_3repE0EEENS1_48merge_mergepath_partition_config_static_selectorELNS0_4arch9wavefront6targetE1EEEvSF_,comdat
	.protected	_ZN7rocprim17ROCPRIM_400000_NS6detail17trampoline_kernelINS0_14default_configENS1_38merge_sort_block_merge_config_selectorImNS0_10empty_typeEEEZZNS1_27merge_sort_block_merge_implIS3_PmPS5_jNS1_19radix_merge_compareILb0ELb0EmNS0_19identity_decomposerEEEEE10hipError_tT0_T1_T2_jT3_P12ihipStream_tbPNSt15iterator_traitsISE_E10value_typeEPNSK_ISF_E10value_typeEPSG_NS1_7vsmem_tEENKUlT_SE_SF_SG_E_clIS8_S8_S9_S9_EESD_ST_SE_SF_SG_EUlST_E_NS1_11comp_targetILNS1_3genE8ELNS1_11target_archE1030ELNS1_3gpuE2ELNS1_3repE0EEENS1_48merge_mergepath_partition_config_static_selectorELNS0_4arch9wavefront6targetE1EEEvSF_ ; -- Begin function _ZN7rocprim17ROCPRIM_400000_NS6detail17trampoline_kernelINS0_14default_configENS1_38merge_sort_block_merge_config_selectorImNS0_10empty_typeEEEZZNS1_27merge_sort_block_merge_implIS3_PmPS5_jNS1_19radix_merge_compareILb0ELb0EmNS0_19identity_decomposerEEEEE10hipError_tT0_T1_T2_jT3_P12ihipStream_tbPNSt15iterator_traitsISE_E10value_typeEPNSK_ISF_E10value_typeEPSG_NS1_7vsmem_tEENKUlT_SE_SF_SG_E_clIS8_S8_S9_S9_EESD_ST_SE_SF_SG_EUlST_E_NS1_11comp_targetILNS1_3genE8ELNS1_11target_archE1030ELNS1_3gpuE2ELNS1_3repE0EEENS1_48merge_mergepath_partition_config_static_selectorELNS0_4arch9wavefront6targetE1EEEvSF_
	.globl	_ZN7rocprim17ROCPRIM_400000_NS6detail17trampoline_kernelINS0_14default_configENS1_38merge_sort_block_merge_config_selectorImNS0_10empty_typeEEEZZNS1_27merge_sort_block_merge_implIS3_PmPS5_jNS1_19radix_merge_compareILb0ELb0EmNS0_19identity_decomposerEEEEE10hipError_tT0_T1_T2_jT3_P12ihipStream_tbPNSt15iterator_traitsISE_E10value_typeEPNSK_ISF_E10value_typeEPSG_NS1_7vsmem_tEENKUlT_SE_SF_SG_E_clIS8_S8_S9_S9_EESD_ST_SE_SF_SG_EUlST_E_NS1_11comp_targetILNS1_3genE8ELNS1_11target_archE1030ELNS1_3gpuE2ELNS1_3repE0EEENS1_48merge_mergepath_partition_config_static_selectorELNS0_4arch9wavefront6targetE1EEEvSF_
	.p2align	8
	.type	_ZN7rocprim17ROCPRIM_400000_NS6detail17trampoline_kernelINS0_14default_configENS1_38merge_sort_block_merge_config_selectorImNS0_10empty_typeEEEZZNS1_27merge_sort_block_merge_implIS3_PmPS5_jNS1_19radix_merge_compareILb0ELb0EmNS0_19identity_decomposerEEEEE10hipError_tT0_T1_T2_jT3_P12ihipStream_tbPNSt15iterator_traitsISE_E10value_typeEPNSK_ISF_E10value_typeEPSG_NS1_7vsmem_tEENKUlT_SE_SF_SG_E_clIS8_S8_S9_S9_EESD_ST_SE_SF_SG_EUlST_E_NS1_11comp_targetILNS1_3genE8ELNS1_11target_archE1030ELNS1_3gpuE2ELNS1_3repE0EEENS1_48merge_mergepath_partition_config_static_selectorELNS0_4arch9wavefront6targetE1EEEvSF_,@function
_ZN7rocprim17ROCPRIM_400000_NS6detail17trampoline_kernelINS0_14default_configENS1_38merge_sort_block_merge_config_selectorImNS0_10empty_typeEEEZZNS1_27merge_sort_block_merge_implIS3_PmPS5_jNS1_19radix_merge_compareILb0ELb0EmNS0_19identity_decomposerEEEEE10hipError_tT0_T1_T2_jT3_P12ihipStream_tbPNSt15iterator_traitsISE_E10value_typeEPNSK_ISF_E10value_typeEPSG_NS1_7vsmem_tEENKUlT_SE_SF_SG_E_clIS8_S8_S9_S9_EESD_ST_SE_SF_SG_EUlST_E_NS1_11comp_targetILNS1_3genE8ELNS1_11target_archE1030ELNS1_3gpuE2ELNS1_3repE0EEENS1_48merge_mergepath_partition_config_static_selectorELNS0_4arch9wavefront6targetE1EEEvSF_: ; @_ZN7rocprim17ROCPRIM_400000_NS6detail17trampoline_kernelINS0_14default_configENS1_38merge_sort_block_merge_config_selectorImNS0_10empty_typeEEEZZNS1_27merge_sort_block_merge_implIS3_PmPS5_jNS1_19radix_merge_compareILb0ELb0EmNS0_19identity_decomposerEEEEE10hipError_tT0_T1_T2_jT3_P12ihipStream_tbPNSt15iterator_traitsISE_E10value_typeEPNSK_ISF_E10value_typeEPSG_NS1_7vsmem_tEENKUlT_SE_SF_SG_E_clIS8_S8_S9_S9_EESD_ST_SE_SF_SG_EUlST_E_NS1_11comp_targetILNS1_3genE8ELNS1_11target_archE1030ELNS1_3gpuE2ELNS1_3repE0EEENS1_48merge_mergepath_partition_config_static_selectorELNS0_4arch9wavefront6targetE1EEEvSF_
; %bb.0:
	.section	.rodata,"a",@progbits
	.p2align	6, 0x0
	.amdhsa_kernel _ZN7rocprim17ROCPRIM_400000_NS6detail17trampoline_kernelINS0_14default_configENS1_38merge_sort_block_merge_config_selectorImNS0_10empty_typeEEEZZNS1_27merge_sort_block_merge_implIS3_PmPS5_jNS1_19radix_merge_compareILb0ELb0EmNS0_19identity_decomposerEEEEE10hipError_tT0_T1_T2_jT3_P12ihipStream_tbPNSt15iterator_traitsISE_E10value_typeEPNSK_ISF_E10value_typeEPSG_NS1_7vsmem_tEENKUlT_SE_SF_SG_E_clIS8_S8_S9_S9_EESD_ST_SE_SF_SG_EUlST_E_NS1_11comp_targetILNS1_3genE8ELNS1_11target_archE1030ELNS1_3gpuE2ELNS1_3repE0EEENS1_48merge_mergepath_partition_config_static_selectorELNS0_4arch9wavefront6targetE1EEEvSF_
		.amdhsa_group_segment_fixed_size 0
		.amdhsa_private_segment_fixed_size 0
		.amdhsa_kernarg_size 40
		.amdhsa_user_sgpr_count 6
		.amdhsa_user_sgpr_private_segment_buffer 1
		.amdhsa_user_sgpr_dispatch_ptr 0
		.amdhsa_user_sgpr_queue_ptr 0
		.amdhsa_user_sgpr_kernarg_segment_ptr 1
		.amdhsa_user_sgpr_dispatch_id 0
		.amdhsa_user_sgpr_flat_scratch_init 0
		.amdhsa_user_sgpr_kernarg_preload_length 0
		.amdhsa_user_sgpr_kernarg_preload_offset 0
		.amdhsa_user_sgpr_private_segment_size 0
		.amdhsa_uses_dynamic_stack 0
		.amdhsa_system_sgpr_private_segment_wavefront_offset 0
		.amdhsa_system_sgpr_workgroup_id_x 1
		.amdhsa_system_sgpr_workgroup_id_y 0
		.amdhsa_system_sgpr_workgroup_id_z 0
		.amdhsa_system_sgpr_workgroup_info 0
		.amdhsa_system_vgpr_workitem_id 0
		.amdhsa_next_free_vgpr 1
		.amdhsa_next_free_sgpr 0
		.amdhsa_accum_offset 4
		.amdhsa_reserve_vcc 0
		.amdhsa_reserve_flat_scratch 0
		.amdhsa_float_round_mode_32 0
		.amdhsa_float_round_mode_16_64 0
		.amdhsa_float_denorm_mode_32 3
		.amdhsa_float_denorm_mode_16_64 3
		.amdhsa_dx10_clamp 1
		.amdhsa_ieee_mode 1
		.amdhsa_fp16_overflow 0
		.amdhsa_tg_split 0
		.amdhsa_exception_fp_ieee_invalid_op 0
		.amdhsa_exception_fp_denorm_src 0
		.amdhsa_exception_fp_ieee_div_zero 0
		.amdhsa_exception_fp_ieee_overflow 0
		.amdhsa_exception_fp_ieee_underflow 0
		.amdhsa_exception_fp_ieee_inexact 0
		.amdhsa_exception_int_div_zero 0
	.end_amdhsa_kernel
	.section	.text._ZN7rocprim17ROCPRIM_400000_NS6detail17trampoline_kernelINS0_14default_configENS1_38merge_sort_block_merge_config_selectorImNS0_10empty_typeEEEZZNS1_27merge_sort_block_merge_implIS3_PmPS5_jNS1_19radix_merge_compareILb0ELb0EmNS0_19identity_decomposerEEEEE10hipError_tT0_T1_T2_jT3_P12ihipStream_tbPNSt15iterator_traitsISE_E10value_typeEPNSK_ISF_E10value_typeEPSG_NS1_7vsmem_tEENKUlT_SE_SF_SG_E_clIS8_S8_S9_S9_EESD_ST_SE_SF_SG_EUlST_E_NS1_11comp_targetILNS1_3genE8ELNS1_11target_archE1030ELNS1_3gpuE2ELNS1_3repE0EEENS1_48merge_mergepath_partition_config_static_selectorELNS0_4arch9wavefront6targetE1EEEvSF_,"axG",@progbits,_ZN7rocprim17ROCPRIM_400000_NS6detail17trampoline_kernelINS0_14default_configENS1_38merge_sort_block_merge_config_selectorImNS0_10empty_typeEEEZZNS1_27merge_sort_block_merge_implIS3_PmPS5_jNS1_19radix_merge_compareILb0ELb0EmNS0_19identity_decomposerEEEEE10hipError_tT0_T1_T2_jT3_P12ihipStream_tbPNSt15iterator_traitsISE_E10value_typeEPNSK_ISF_E10value_typeEPSG_NS1_7vsmem_tEENKUlT_SE_SF_SG_E_clIS8_S8_S9_S9_EESD_ST_SE_SF_SG_EUlST_E_NS1_11comp_targetILNS1_3genE8ELNS1_11target_archE1030ELNS1_3gpuE2ELNS1_3repE0EEENS1_48merge_mergepath_partition_config_static_selectorELNS0_4arch9wavefront6targetE1EEEvSF_,comdat
.Lfunc_end913:
	.size	_ZN7rocprim17ROCPRIM_400000_NS6detail17trampoline_kernelINS0_14default_configENS1_38merge_sort_block_merge_config_selectorImNS0_10empty_typeEEEZZNS1_27merge_sort_block_merge_implIS3_PmPS5_jNS1_19radix_merge_compareILb0ELb0EmNS0_19identity_decomposerEEEEE10hipError_tT0_T1_T2_jT3_P12ihipStream_tbPNSt15iterator_traitsISE_E10value_typeEPNSK_ISF_E10value_typeEPSG_NS1_7vsmem_tEENKUlT_SE_SF_SG_E_clIS8_S8_S9_S9_EESD_ST_SE_SF_SG_EUlST_E_NS1_11comp_targetILNS1_3genE8ELNS1_11target_archE1030ELNS1_3gpuE2ELNS1_3repE0EEENS1_48merge_mergepath_partition_config_static_selectorELNS0_4arch9wavefront6targetE1EEEvSF_, .Lfunc_end913-_ZN7rocprim17ROCPRIM_400000_NS6detail17trampoline_kernelINS0_14default_configENS1_38merge_sort_block_merge_config_selectorImNS0_10empty_typeEEEZZNS1_27merge_sort_block_merge_implIS3_PmPS5_jNS1_19radix_merge_compareILb0ELb0EmNS0_19identity_decomposerEEEEE10hipError_tT0_T1_T2_jT3_P12ihipStream_tbPNSt15iterator_traitsISE_E10value_typeEPNSK_ISF_E10value_typeEPSG_NS1_7vsmem_tEENKUlT_SE_SF_SG_E_clIS8_S8_S9_S9_EESD_ST_SE_SF_SG_EUlST_E_NS1_11comp_targetILNS1_3genE8ELNS1_11target_archE1030ELNS1_3gpuE2ELNS1_3repE0EEENS1_48merge_mergepath_partition_config_static_selectorELNS0_4arch9wavefront6targetE1EEEvSF_
                                        ; -- End function
	.section	.AMDGPU.csdata,"",@progbits
; Kernel info:
; codeLenInByte = 0
; NumSgprs: 4
; NumVgprs: 0
; NumAgprs: 0
; TotalNumVgprs: 0
; ScratchSize: 0
; MemoryBound: 0
; FloatMode: 240
; IeeeMode: 1
; LDSByteSize: 0 bytes/workgroup (compile time only)
; SGPRBlocks: 0
; VGPRBlocks: 0
; NumSGPRsForWavesPerEU: 4
; NumVGPRsForWavesPerEU: 1
; AccumOffset: 4
; Occupancy: 8
; WaveLimiterHint : 0
; COMPUTE_PGM_RSRC2:SCRATCH_EN: 0
; COMPUTE_PGM_RSRC2:USER_SGPR: 6
; COMPUTE_PGM_RSRC2:TRAP_HANDLER: 0
; COMPUTE_PGM_RSRC2:TGID_X_EN: 1
; COMPUTE_PGM_RSRC2:TGID_Y_EN: 0
; COMPUTE_PGM_RSRC2:TGID_Z_EN: 0
; COMPUTE_PGM_RSRC2:TIDIG_COMP_CNT: 0
; COMPUTE_PGM_RSRC3_GFX90A:ACCUM_OFFSET: 0
; COMPUTE_PGM_RSRC3_GFX90A:TG_SPLIT: 0
	.section	.text._ZN7rocprim17ROCPRIM_400000_NS6detail17trampoline_kernelINS0_14default_configENS1_38merge_sort_block_merge_config_selectorImNS0_10empty_typeEEEZZNS1_27merge_sort_block_merge_implIS3_PmPS5_jNS1_19radix_merge_compareILb0ELb0EmNS0_19identity_decomposerEEEEE10hipError_tT0_T1_T2_jT3_P12ihipStream_tbPNSt15iterator_traitsISE_E10value_typeEPNSK_ISF_E10value_typeEPSG_NS1_7vsmem_tEENKUlT_SE_SF_SG_E_clIS8_S8_S9_S9_EESD_ST_SE_SF_SG_EUlST_E0_NS1_11comp_targetILNS1_3genE0ELNS1_11target_archE4294967295ELNS1_3gpuE0ELNS1_3repE0EEENS1_38merge_mergepath_config_static_selectorELNS0_4arch9wavefront6targetE1EEEvSF_,"axG",@progbits,_ZN7rocprim17ROCPRIM_400000_NS6detail17trampoline_kernelINS0_14default_configENS1_38merge_sort_block_merge_config_selectorImNS0_10empty_typeEEEZZNS1_27merge_sort_block_merge_implIS3_PmPS5_jNS1_19radix_merge_compareILb0ELb0EmNS0_19identity_decomposerEEEEE10hipError_tT0_T1_T2_jT3_P12ihipStream_tbPNSt15iterator_traitsISE_E10value_typeEPNSK_ISF_E10value_typeEPSG_NS1_7vsmem_tEENKUlT_SE_SF_SG_E_clIS8_S8_S9_S9_EESD_ST_SE_SF_SG_EUlST_E0_NS1_11comp_targetILNS1_3genE0ELNS1_11target_archE4294967295ELNS1_3gpuE0ELNS1_3repE0EEENS1_38merge_mergepath_config_static_selectorELNS0_4arch9wavefront6targetE1EEEvSF_,comdat
	.protected	_ZN7rocprim17ROCPRIM_400000_NS6detail17trampoline_kernelINS0_14default_configENS1_38merge_sort_block_merge_config_selectorImNS0_10empty_typeEEEZZNS1_27merge_sort_block_merge_implIS3_PmPS5_jNS1_19radix_merge_compareILb0ELb0EmNS0_19identity_decomposerEEEEE10hipError_tT0_T1_T2_jT3_P12ihipStream_tbPNSt15iterator_traitsISE_E10value_typeEPNSK_ISF_E10value_typeEPSG_NS1_7vsmem_tEENKUlT_SE_SF_SG_E_clIS8_S8_S9_S9_EESD_ST_SE_SF_SG_EUlST_E0_NS1_11comp_targetILNS1_3genE0ELNS1_11target_archE4294967295ELNS1_3gpuE0ELNS1_3repE0EEENS1_38merge_mergepath_config_static_selectorELNS0_4arch9wavefront6targetE1EEEvSF_ ; -- Begin function _ZN7rocprim17ROCPRIM_400000_NS6detail17trampoline_kernelINS0_14default_configENS1_38merge_sort_block_merge_config_selectorImNS0_10empty_typeEEEZZNS1_27merge_sort_block_merge_implIS3_PmPS5_jNS1_19radix_merge_compareILb0ELb0EmNS0_19identity_decomposerEEEEE10hipError_tT0_T1_T2_jT3_P12ihipStream_tbPNSt15iterator_traitsISE_E10value_typeEPNSK_ISF_E10value_typeEPSG_NS1_7vsmem_tEENKUlT_SE_SF_SG_E_clIS8_S8_S9_S9_EESD_ST_SE_SF_SG_EUlST_E0_NS1_11comp_targetILNS1_3genE0ELNS1_11target_archE4294967295ELNS1_3gpuE0ELNS1_3repE0EEENS1_38merge_mergepath_config_static_selectorELNS0_4arch9wavefront6targetE1EEEvSF_
	.globl	_ZN7rocprim17ROCPRIM_400000_NS6detail17trampoline_kernelINS0_14default_configENS1_38merge_sort_block_merge_config_selectorImNS0_10empty_typeEEEZZNS1_27merge_sort_block_merge_implIS3_PmPS5_jNS1_19radix_merge_compareILb0ELb0EmNS0_19identity_decomposerEEEEE10hipError_tT0_T1_T2_jT3_P12ihipStream_tbPNSt15iterator_traitsISE_E10value_typeEPNSK_ISF_E10value_typeEPSG_NS1_7vsmem_tEENKUlT_SE_SF_SG_E_clIS8_S8_S9_S9_EESD_ST_SE_SF_SG_EUlST_E0_NS1_11comp_targetILNS1_3genE0ELNS1_11target_archE4294967295ELNS1_3gpuE0ELNS1_3repE0EEENS1_38merge_mergepath_config_static_selectorELNS0_4arch9wavefront6targetE1EEEvSF_
	.p2align	8
	.type	_ZN7rocprim17ROCPRIM_400000_NS6detail17trampoline_kernelINS0_14default_configENS1_38merge_sort_block_merge_config_selectorImNS0_10empty_typeEEEZZNS1_27merge_sort_block_merge_implIS3_PmPS5_jNS1_19radix_merge_compareILb0ELb0EmNS0_19identity_decomposerEEEEE10hipError_tT0_T1_T2_jT3_P12ihipStream_tbPNSt15iterator_traitsISE_E10value_typeEPNSK_ISF_E10value_typeEPSG_NS1_7vsmem_tEENKUlT_SE_SF_SG_E_clIS8_S8_S9_S9_EESD_ST_SE_SF_SG_EUlST_E0_NS1_11comp_targetILNS1_3genE0ELNS1_11target_archE4294967295ELNS1_3gpuE0ELNS1_3repE0EEENS1_38merge_mergepath_config_static_selectorELNS0_4arch9wavefront6targetE1EEEvSF_,@function
_ZN7rocprim17ROCPRIM_400000_NS6detail17trampoline_kernelINS0_14default_configENS1_38merge_sort_block_merge_config_selectorImNS0_10empty_typeEEEZZNS1_27merge_sort_block_merge_implIS3_PmPS5_jNS1_19radix_merge_compareILb0ELb0EmNS0_19identity_decomposerEEEEE10hipError_tT0_T1_T2_jT3_P12ihipStream_tbPNSt15iterator_traitsISE_E10value_typeEPNSK_ISF_E10value_typeEPSG_NS1_7vsmem_tEENKUlT_SE_SF_SG_E_clIS8_S8_S9_S9_EESD_ST_SE_SF_SG_EUlST_E0_NS1_11comp_targetILNS1_3genE0ELNS1_11target_archE4294967295ELNS1_3gpuE0ELNS1_3repE0EEENS1_38merge_mergepath_config_static_selectorELNS0_4arch9wavefront6targetE1EEEvSF_: ; @_ZN7rocprim17ROCPRIM_400000_NS6detail17trampoline_kernelINS0_14default_configENS1_38merge_sort_block_merge_config_selectorImNS0_10empty_typeEEEZZNS1_27merge_sort_block_merge_implIS3_PmPS5_jNS1_19radix_merge_compareILb0ELb0EmNS0_19identity_decomposerEEEEE10hipError_tT0_T1_T2_jT3_P12ihipStream_tbPNSt15iterator_traitsISE_E10value_typeEPNSK_ISF_E10value_typeEPSG_NS1_7vsmem_tEENKUlT_SE_SF_SG_E_clIS8_S8_S9_S9_EESD_ST_SE_SF_SG_EUlST_E0_NS1_11comp_targetILNS1_3genE0ELNS1_11target_archE4294967295ELNS1_3gpuE0ELNS1_3repE0EEENS1_38merge_mergepath_config_static_selectorELNS0_4arch9wavefront6targetE1EEEvSF_
; %bb.0:
	.section	.rodata,"a",@progbits
	.p2align	6, 0x0
	.amdhsa_kernel _ZN7rocprim17ROCPRIM_400000_NS6detail17trampoline_kernelINS0_14default_configENS1_38merge_sort_block_merge_config_selectorImNS0_10empty_typeEEEZZNS1_27merge_sort_block_merge_implIS3_PmPS5_jNS1_19radix_merge_compareILb0ELb0EmNS0_19identity_decomposerEEEEE10hipError_tT0_T1_T2_jT3_P12ihipStream_tbPNSt15iterator_traitsISE_E10value_typeEPNSK_ISF_E10value_typeEPSG_NS1_7vsmem_tEENKUlT_SE_SF_SG_E_clIS8_S8_S9_S9_EESD_ST_SE_SF_SG_EUlST_E0_NS1_11comp_targetILNS1_3genE0ELNS1_11target_archE4294967295ELNS1_3gpuE0ELNS1_3repE0EEENS1_38merge_mergepath_config_static_selectorELNS0_4arch9wavefront6targetE1EEEvSF_
		.amdhsa_group_segment_fixed_size 0
		.amdhsa_private_segment_fixed_size 0
		.amdhsa_kernarg_size 64
		.amdhsa_user_sgpr_count 6
		.amdhsa_user_sgpr_private_segment_buffer 1
		.amdhsa_user_sgpr_dispatch_ptr 0
		.amdhsa_user_sgpr_queue_ptr 0
		.amdhsa_user_sgpr_kernarg_segment_ptr 1
		.amdhsa_user_sgpr_dispatch_id 0
		.amdhsa_user_sgpr_flat_scratch_init 0
		.amdhsa_user_sgpr_kernarg_preload_length 0
		.amdhsa_user_sgpr_kernarg_preload_offset 0
		.amdhsa_user_sgpr_private_segment_size 0
		.amdhsa_uses_dynamic_stack 0
		.amdhsa_system_sgpr_private_segment_wavefront_offset 0
		.amdhsa_system_sgpr_workgroup_id_x 1
		.amdhsa_system_sgpr_workgroup_id_y 0
		.amdhsa_system_sgpr_workgroup_id_z 0
		.amdhsa_system_sgpr_workgroup_info 0
		.amdhsa_system_vgpr_workitem_id 0
		.amdhsa_next_free_vgpr 1
		.amdhsa_next_free_sgpr 0
		.amdhsa_accum_offset 4
		.amdhsa_reserve_vcc 0
		.amdhsa_reserve_flat_scratch 0
		.amdhsa_float_round_mode_32 0
		.amdhsa_float_round_mode_16_64 0
		.amdhsa_float_denorm_mode_32 3
		.amdhsa_float_denorm_mode_16_64 3
		.amdhsa_dx10_clamp 1
		.amdhsa_ieee_mode 1
		.amdhsa_fp16_overflow 0
		.amdhsa_tg_split 0
		.amdhsa_exception_fp_ieee_invalid_op 0
		.amdhsa_exception_fp_denorm_src 0
		.amdhsa_exception_fp_ieee_div_zero 0
		.amdhsa_exception_fp_ieee_overflow 0
		.amdhsa_exception_fp_ieee_underflow 0
		.amdhsa_exception_fp_ieee_inexact 0
		.amdhsa_exception_int_div_zero 0
	.end_amdhsa_kernel
	.section	.text._ZN7rocprim17ROCPRIM_400000_NS6detail17trampoline_kernelINS0_14default_configENS1_38merge_sort_block_merge_config_selectorImNS0_10empty_typeEEEZZNS1_27merge_sort_block_merge_implIS3_PmPS5_jNS1_19radix_merge_compareILb0ELb0EmNS0_19identity_decomposerEEEEE10hipError_tT0_T1_T2_jT3_P12ihipStream_tbPNSt15iterator_traitsISE_E10value_typeEPNSK_ISF_E10value_typeEPSG_NS1_7vsmem_tEENKUlT_SE_SF_SG_E_clIS8_S8_S9_S9_EESD_ST_SE_SF_SG_EUlST_E0_NS1_11comp_targetILNS1_3genE0ELNS1_11target_archE4294967295ELNS1_3gpuE0ELNS1_3repE0EEENS1_38merge_mergepath_config_static_selectorELNS0_4arch9wavefront6targetE1EEEvSF_,"axG",@progbits,_ZN7rocprim17ROCPRIM_400000_NS6detail17trampoline_kernelINS0_14default_configENS1_38merge_sort_block_merge_config_selectorImNS0_10empty_typeEEEZZNS1_27merge_sort_block_merge_implIS3_PmPS5_jNS1_19radix_merge_compareILb0ELb0EmNS0_19identity_decomposerEEEEE10hipError_tT0_T1_T2_jT3_P12ihipStream_tbPNSt15iterator_traitsISE_E10value_typeEPNSK_ISF_E10value_typeEPSG_NS1_7vsmem_tEENKUlT_SE_SF_SG_E_clIS8_S8_S9_S9_EESD_ST_SE_SF_SG_EUlST_E0_NS1_11comp_targetILNS1_3genE0ELNS1_11target_archE4294967295ELNS1_3gpuE0ELNS1_3repE0EEENS1_38merge_mergepath_config_static_selectorELNS0_4arch9wavefront6targetE1EEEvSF_,comdat
.Lfunc_end914:
	.size	_ZN7rocprim17ROCPRIM_400000_NS6detail17trampoline_kernelINS0_14default_configENS1_38merge_sort_block_merge_config_selectorImNS0_10empty_typeEEEZZNS1_27merge_sort_block_merge_implIS3_PmPS5_jNS1_19radix_merge_compareILb0ELb0EmNS0_19identity_decomposerEEEEE10hipError_tT0_T1_T2_jT3_P12ihipStream_tbPNSt15iterator_traitsISE_E10value_typeEPNSK_ISF_E10value_typeEPSG_NS1_7vsmem_tEENKUlT_SE_SF_SG_E_clIS8_S8_S9_S9_EESD_ST_SE_SF_SG_EUlST_E0_NS1_11comp_targetILNS1_3genE0ELNS1_11target_archE4294967295ELNS1_3gpuE0ELNS1_3repE0EEENS1_38merge_mergepath_config_static_selectorELNS0_4arch9wavefront6targetE1EEEvSF_, .Lfunc_end914-_ZN7rocprim17ROCPRIM_400000_NS6detail17trampoline_kernelINS0_14default_configENS1_38merge_sort_block_merge_config_selectorImNS0_10empty_typeEEEZZNS1_27merge_sort_block_merge_implIS3_PmPS5_jNS1_19radix_merge_compareILb0ELb0EmNS0_19identity_decomposerEEEEE10hipError_tT0_T1_T2_jT3_P12ihipStream_tbPNSt15iterator_traitsISE_E10value_typeEPNSK_ISF_E10value_typeEPSG_NS1_7vsmem_tEENKUlT_SE_SF_SG_E_clIS8_S8_S9_S9_EESD_ST_SE_SF_SG_EUlST_E0_NS1_11comp_targetILNS1_3genE0ELNS1_11target_archE4294967295ELNS1_3gpuE0ELNS1_3repE0EEENS1_38merge_mergepath_config_static_selectorELNS0_4arch9wavefront6targetE1EEEvSF_
                                        ; -- End function
	.section	.AMDGPU.csdata,"",@progbits
; Kernel info:
; codeLenInByte = 0
; NumSgprs: 4
; NumVgprs: 0
; NumAgprs: 0
; TotalNumVgprs: 0
; ScratchSize: 0
; MemoryBound: 0
; FloatMode: 240
; IeeeMode: 1
; LDSByteSize: 0 bytes/workgroup (compile time only)
; SGPRBlocks: 0
; VGPRBlocks: 0
; NumSGPRsForWavesPerEU: 4
; NumVGPRsForWavesPerEU: 1
; AccumOffset: 4
; Occupancy: 8
; WaveLimiterHint : 0
; COMPUTE_PGM_RSRC2:SCRATCH_EN: 0
; COMPUTE_PGM_RSRC2:USER_SGPR: 6
; COMPUTE_PGM_RSRC2:TRAP_HANDLER: 0
; COMPUTE_PGM_RSRC2:TGID_X_EN: 1
; COMPUTE_PGM_RSRC2:TGID_Y_EN: 0
; COMPUTE_PGM_RSRC2:TGID_Z_EN: 0
; COMPUTE_PGM_RSRC2:TIDIG_COMP_CNT: 0
; COMPUTE_PGM_RSRC3_GFX90A:ACCUM_OFFSET: 0
; COMPUTE_PGM_RSRC3_GFX90A:TG_SPLIT: 0
	.section	.text._ZN7rocprim17ROCPRIM_400000_NS6detail17trampoline_kernelINS0_14default_configENS1_38merge_sort_block_merge_config_selectorImNS0_10empty_typeEEEZZNS1_27merge_sort_block_merge_implIS3_PmPS5_jNS1_19radix_merge_compareILb0ELb0EmNS0_19identity_decomposerEEEEE10hipError_tT0_T1_T2_jT3_P12ihipStream_tbPNSt15iterator_traitsISE_E10value_typeEPNSK_ISF_E10value_typeEPSG_NS1_7vsmem_tEENKUlT_SE_SF_SG_E_clIS8_S8_S9_S9_EESD_ST_SE_SF_SG_EUlST_E0_NS1_11comp_targetILNS1_3genE10ELNS1_11target_archE1201ELNS1_3gpuE5ELNS1_3repE0EEENS1_38merge_mergepath_config_static_selectorELNS0_4arch9wavefront6targetE1EEEvSF_,"axG",@progbits,_ZN7rocprim17ROCPRIM_400000_NS6detail17trampoline_kernelINS0_14default_configENS1_38merge_sort_block_merge_config_selectorImNS0_10empty_typeEEEZZNS1_27merge_sort_block_merge_implIS3_PmPS5_jNS1_19radix_merge_compareILb0ELb0EmNS0_19identity_decomposerEEEEE10hipError_tT0_T1_T2_jT3_P12ihipStream_tbPNSt15iterator_traitsISE_E10value_typeEPNSK_ISF_E10value_typeEPSG_NS1_7vsmem_tEENKUlT_SE_SF_SG_E_clIS8_S8_S9_S9_EESD_ST_SE_SF_SG_EUlST_E0_NS1_11comp_targetILNS1_3genE10ELNS1_11target_archE1201ELNS1_3gpuE5ELNS1_3repE0EEENS1_38merge_mergepath_config_static_selectorELNS0_4arch9wavefront6targetE1EEEvSF_,comdat
	.protected	_ZN7rocprim17ROCPRIM_400000_NS6detail17trampoline_kernelINS0_14default_configENS1_38merge_sort_block_merge_config_selectorImNS0_10empty_typeEEEZZNS1_27merge_sort_block_merge_implIS3_PmPS5_jNS1_19radix_merge_compareILb0ELb0EmNS0_19identity_decomposerEEEEE10hipError_tT0_T1_T2_jT3_P12ihipStream_tbPNSt15iterator_traitsISE_E10value_typeEPNSK_ISF_E10value_typeEPSG_NS1_7vsmem_tEENKUlT_SE_SF_SG_E_clIS8_S8_S9_S9_EESD_ST_SE_SF_SG_EUlST_E0_NS1_11comp_targetILNS1_3genE10ELNS1_11target_archE1201ELNS1_3gpuE5ELNS1_3repE0EEENS1_38merge_mergepath_config_static_selectorELNS0_4arch9wavefront6targetE1EEEvSF_ ; -- Begin function _ZN7rocprim17ROCPRIM_400000_NS6detail17trampoline_kernelINS0_14default_configENS1_38merge_sort_block_merge_config_selectorImNS0_10empty_typeEEEZZNS1_27merge_sort_block_merge_implIS3_PmPS5_jNS1_19radix_merge_compareILb0ELb0EmNS0_19identity_decomposerEEEEE10hipError_tT0_T1_T2_jT3_P12ihipStream_tbPNSt15iterator_traitsISE_E10value_typeEPNSK_ISF_E10value_typeEPSG_NS1_7vsmem_tEENKUlT_SE_SF_SG_E_clIS8_S8_S9_S9_EESD_ST_SE_SF_SG_EUlST_E0_NS1_11comp_targetILNS1_3genE10ELNS1_11target_archE1201ELNS1_3gpuE5ELNS1_3repE0EEENS1_38merge_mergepath_config_static_selectorELNS0_4arch9wavefront6targetE1EEEvSF_
	.globl	_ZN7rocprim17ROCPRIM_400000_NS6detail17trampoline_kernelINS0_14default_configENS1_38merge_sort_block_merge_config_selectorImNS0_10empty_typeEEEZZNS1_27merge_sort_block_merge_implIS3_PmPS5_jNS1_19radix_merge_compareILb0ELb0EmNS0_19identity_decomposerEEEEE10hipError_tT0_T1_T2_jT3_P12ihipStream_tbPNSt15iterator_traitsISE_E10value_typeEPNSK_ISF_E10value_typeEPSG_NS1_7vsmem_tEENKUlT_SE_SF_SG_E_clIS8_S8_S9_S9_EESD_ST_SE_SF_SG_EUlST_E0_NS1_11comp_targetILNS1_3genE10ELNS1_11target_archE1201ELNS1_3gpuE5ELNS1_3repE0EEENS1_38merge_mergepath_config_static_selectorELNS0_4arch9wavefront6targetE1EEEvSF_
	.p2align	8
	.type	_ZN7rocprim17ROCPRIM_400000_NS6detail17trampoline_kernelINS0_14default_configENS1_38merge_sort_block_merge_config_selectorImNS0_10empty_typeEEEZZNS1_27merge_sort_block_merge_implIS3_PmPS5_jNS1_19radix_merge_compareILb0ELb0EmNS0_19identity_decomposerEEEEE10hipError_tT0_T1_T2_jT3_P12ihipStream_tbPNSt15iterator_traitsISE_E10value_typeEPNSK_ISF_E10value_typeEPSG_NS1_7vsmem_tEENKUlT_SE_SF_SG_E_clIS8_S8_S9_S9_EESD_ST_SE_SF_SG_EUlST_E0_NS1_11comp_targetILNS1_3genE10ELNS1_11target_archE1201ELNS1_3gpuE5ELNS1_3repE0EEENS1_38merge_mergepath_config_static_selectorELNS0_4arch9wavefront6targetE1EEEvSF_,@function
_ZN7rocprim17ROCPRIM_400000_NS6detail17trampoline_kernelINS0_14default_configENS1_38merge_sort_block_merge_config_selectorImNS0_10empty_typeEEEZZNS1_27merge_sort_block_merge_implIS3_PmPS5_jNS1_19radix_merge_compareILb0ELb0EmNS0_19identity_decomposerEEEEE10hipError_tT0_T1_T2_jT3_P12ihipStream_tbPNSt15iterator_traitsISE_E10value_typeEPNSK_ISF_E10value_typeEPSG_NS1_7vsmem_tEENKUlT_SE_SF_SG_E_clIS8_S8_S9_S9_EESD_ST_SE_SF_SG_EUlST_E0_NS1_11comp_targetILNS1_3genE10ELNS1_11target_archE1201ELNS1_3gpuE5ELNS1_3repE0EEENS1_38merge_mergepath_config_static_selectorELNS0_4arch9wavefront6targetE1EEEvSF_: ; @_ZN7rocprim17ROCPRIM_400000_NS6detail17trampoline_kernelINS0_14default_configENS1_38merge_sort_block_merge_config_selectorImNS0_10empty_typeEEEZZNS1_27merge_sort_block_merge_implIS3_PmPS5_jNS1_19radix_merge_compareILb0ELb0EmNS0_19identity_decomposerEEEEE10hipError_tT0_T1_T2_jT3_P12ihipStream_tbPNSt15iterator_traitsISE_E10value_typeEPNSK_ISF_E10value_typeEPSG_NS1_7vsmem_tEENKUlT_SE_SF_SG_E_clIS8_S8_S9_S9_EESD_ST_SE_SF_SG_EUlST_E0_NS1_11comp_targetILNS1_3genE10ELNS1_11target_archE1201ELNS1_3gpuE5ELNS1_3repE0EEENS1_38merge_mergepath_config_static_selectorELNS0_4arch9wavefront6targetE1EEEvSF_
; %bb.0:
	.section	.rodata,"a",@progbits
	.p2align	6, 0x0
	.amdhsa_kernel _ZN7rocprim17ROCPRIM_400000_NS6detail17trampoline_kernelINS0_14default_configENS1_38merge_sort_block_merge_config_selectorImNS0_10empty_typeEEEZZNS1_27merge_sort_block_merge_implIS3_PmPS5_jNS1_19radix_merge_compareILb0ELb0EmNS0_19identity_decomposerEEEEE10hipError_tT0_T1_T2_jT3_P12ihipStream_tbPNSt15iterator_traitsISE_E10value_typeEPNSK_ISF_E10value_typeEPSG_NS1_7vsmem_tEENKUlT_SE_SF_SG_E_clIS8_S8_S9_S9_EESD_ST_SE_SF_SG_EUlST_E0_NS1_11comp_targetILNS1_3genE10ELNS1_11target_archE1201ELNS1_3gpuE5ELNS1_3repE0EEENS1_38merge_mergepath_config_static_selectorELNS0_4arch9wavefront6targetE1EEEvSF_
		.amdhsa_group_segment_fixed_size 0
		.amdhsa_private_segment_fixed_size 0
		.amdhsa_kernarg_size 64
		.amdhsa_user_sgpr_count 6
		.amdhsa_user_sgpr_private_segment_buffer 1
		.amdhsa_user_sgpr_dispatch_ptr 0
		.amdhsa_user_sgpr_queue_ptr 0
		.amdhsa_user_sgpr_kernarg_segment_ptr 1
		.amdhsa_user_sgpr_dispatch_id 0
		.amdhsa_user_sgpr_flat_scratch_init 0
		.amdhsa_user_sgpr_kernarg_preload_length 0
		.amdhsa_user_sgpr_kernarg_preload_offset 0
		.amdhsa_user_sgpr_private_segment_size 0
		.amdhsa_uses_dynamic_stack 0
		.amdhsa_system_sgpr_private_segment_wavefront_offset 0
		.amdhsa_system_sgpr_workgroup_id_x 1
		.amdhsa_system_sgpr_workgroup_id_y 0
		.amdhsa_system_sgpr_workgroup_id_z 0
		.amdhsa_system_sgpr_workgroup_info 0
		.amdhsa_system_vgpr_workitem_id 0
		.amdhsa_next_free_vgpr 1
		.amdhsa_next_free_sgpr 0
		.amdhsa_accum_offset 4
		.amdhsa_reserve_vcc 0
		.amdhsa_reserve_flat_scratch 0
		.amdhsa_float_round_mode_32 0
		.amdhsa_float_round_mode_16_64 0
		.amdhsa_float_denorm_mode_32 3
		.amdhsa_float_denorm_mode_16_64 3
		.amdhsa_dx10_clamp 1
		.amdhsa_ieee_mode 1
		.amdhsa_fp16_overflow 0
		.amdhsa_tg_split 0
		.amdhsa_exception_fp_ieee_invalid_op 0
		.amdhsa_exception_fp_denorm_src 0
		.amdhsa_exception_fp_ieee_div_zero 0
		.amdhsa_exception_fp_ieee_overflow 0
		.amdhsa_exception_fp_ieee_underflow 0
		.amdhsa_exception_fp_ieee_inexact 0
		.amdhsa_exception_int_div_zero 0
	.end_amdhsa_kernel
	.section	.text._ZN7rocprim17ROCPRIM_400000_NS6detail17trampoline_kernelINS0_14default_configENS1_38merge_sort_block_merge_config_selectorImNS0_10empty_typeEEEZZNS1_27merge_sort_block_merge_implIS3_PmPS5_jNS1_19radix_merge_compareILb0ELb0EmNS0_19identity_decomposerEEEEE10hipError_tT0_T1_T2_jT3_P12ihipStream_tbPNSt15iterator_traitsISE_E10value_typeEPNSK_ISF_E10value_typeEPSG_NS1_7vsmem_tEENKUlT_SE_SF_SG_E_clIS8_S8_S9_S9_EESD_ST_SE_SF_SG_EUlST_E0_NS1_11comp_targetILNS1_3genE10ELNS1_11target_archE1201ELNS1_3gpuE5ELNS1_3repE0EEENS1_38merge_mergepath_config_static_selectorELNS0_4arch9wavefront6targetE1EEEvSF_,"axG",@progbits,_ZN7rocprim17ROCPRIM_400000_NS6detail17trampoline_kernelINS0_14default_configENS1_38merge_sort_block_merge_config_selectorImNS0_10empty_typeEEEZZNS1_27merge_sort_block_merge_implIS3_PmPS5_jNS1_19radix_merge_compareILb0ELb0EmNS0_19identity_decomposerEEEEE10hipError_tT0_T1_T2_jT3_P12ihipStream_tbPNSt15iterator_traitsISE_E10value_typeEPNSK_ISF_E10value_typeEPSG_NS1_7vsmem_tEENKUlT_SE_SF_SG_E_clIS8_S8_S9_S9_EESD_ST_SE_SF_SG_EUlST_E0_NS1_11comp_targetILNS1_3genE10ELNS1_11target_archE1201ELNS1_3gpuE5ELNS1_3repE0EEENS1_38merge_mergepath_config_static_selectorELNS0_4arch9wavefront6targetE1EEEvSF_,comdat
.Lfunc_end915:
	.size	_ZN7rocprim17ROCPRIM_400000_NS6detail17trampoline_kernelINS0_14default_configENS1_38merge_sort_block_merge_config_selectorImNS0_10empty_typeEEEZZNS1_27merge_sort_block_merge_implIS3_PmPS5_jNS1_19radix_merge_compareILb0ELb0EmNS0_19identity_decomposerEEEEE10hipError_tT0_T1_T2_jT3_P12ihipStream_tbPNSt15iterator_traitsISE_E10value_typeEPNSK_ISF_E10value_typeEPSG_NS1_7vsmem_tEENKUlT_SE_SF_SG_E_clIS8_S8_S9_S9_EESD_ST_SE_SF_SG_EUlST_E0_NS1_11comp_targetILNS1_3genE10ELNS1_11target_archE1201ELNS1_3gpuE5ELNS1_3repE0EEENS1_38merge_mergepath_config_static_selectorELNS0_4arch9wavefront6targetE1EEEvSF_, .Lfunc_end915-_ZN7rocprim17ROCPRIM_400000_NS6detail17trampoline_kernelINS0_14default_configENS1_38merge_sort_block_merge_config_selectorImNS0_10empty_typeEEEZZNS1_27merge_sort_block_merge_implIS3_PmPS5_jNS1_19radix_merge_compareILb0ELb0EmNS0_19identity_decomposerEEEEE10hipError_tT0_T1_T2_jT3_P12ihipStream_tbPNSt15iterator_traitsISE_E10value_typeEPNSK_ISF_E10value_typeEPSG_NS1_7vsmem_tEENKUlT_SE_SF_SG_E_clIS8_S8_S9_S9_EESD_ST_SE_SF_SG_EUlST_E0_NS1_11comp_targetILNS1_3genE10ELNS1_11target_archE1201ELNS1_3gpuE5ELNS1_3repE0EEENS1_38merge_mergepath_config_static_selectorELNS0_4arch9wavefront6targetE1EEEvSF_
                                        ; -- End function
	.section	.AMDGPU.csdata,"",@progbits
; Kernel info:
; codeLenInByte = 0
; NumSgprs: 4
; NumVgprs: 0
; NumAgprs: 0
; TotalNumVgprs: 0
; ScratchSize: 0
; MemoryBound: 0
; FloatMode: 240
; IeeeMode: 1
; LDSByteSize: 0 bytes/workgroup (compile time only)
; SGPRBlocks: 0
; VGPRBlocks: 0
; NumSGPRsForWavesPerEU: 4
; NumVGPRsForWavesPerEU: 1
; AccumOffset: 4
; Occupancy: 8
; WaveLimiterHint : 0
; COMPUTE_PGM_RSRC2:SCRATCH_EN: 0
; COMPUTE_PGM_RSRC2:USER_SGPR: 6
; COMPUTE_PGM_RSRC2:TRAP_HANDLER: 0
; COMPUTE_PGM_RSRC2:TGID_X_EN: 1
; COMPUTE_PGM_RSRC2:TGID_Y_EN: 0
; COMPUTE_PGM_RSRC2:TGID_Z_EN: 0
; COMPUTE_PGM_RSRC2:TIDIG_COMP_CNT: 0
; COMPUTE_PGM_RSRC3_GFX90A:ACCUM_OFFSET: 0
; COMPUTE_PGM_RSRC3_GFX90A:TG_SPLIT: 0
	.section	.text._ZN7rocprim17ROCPRIM_400000_NS6detail17trampoline_kernelINS0_14default_configENS1_38merge_sort_block_merge_config_selectorImNS0_10empty_typeEEEZZNS1_27merge_sort_block_merge_implIS3_PmPS5_jNS1_19radix_merge_compareILb0ELb0EmNS0_19identity_decomposerEEEEE10hipError_tT0_T1_T2_jT3_P12ihipStream_tbPNSt15iterator_traitsISE_E10value_typeEPNSK_ISF_E10value_typeEPSG_NS1_7vsmem_tEENKUlT_SE_SF_SG_E_clIS8_S8_S9_S9_EESD_ST_SE_SF_SG_EUlST_E0_NS1_11comp_targetILNS1_3genE5ELNS1_11target_archE942ELNS1_3gpuE9ELNS1_3repE0EEENS1_38merge_mergepath_config_static_selectorELNS0_4arch9wavefront6targetE1EEEvSF_,"axG",@progbits,_ZN7rocprim17ROCPRIM_400000_NS6detail17trampoline_kernelINS0_14default_configENS1_38merge_sort_block_merge_config_selectorImNS0_10empty_typeEEEZZNS1_27merge_sort_block_merge_implIS3_PmPS5_jNS1_19radix_merge_compareILb0ELb0EmNS0_19identity_decomposerEEEEE10hipError_tT0_T1_T2_jT3_P12ihipStream_tbPNSt15iterator_traitsISE_E10value_typeEPNSK_ISF_E10value_typeEPSG_NS1_7vsmem_tEENKUlT_SE_SF_SG_E_clIS8_S8_S9_S9_EESD_ST_SE_SF_SG_EUlST_E0_NS1_11comp_targetILNS1_3genE5ELNS1_11target_archE942ELNS1_3gpuE9ELNS1_3repE0EEENS1_38merge_mergepath_config_static_selectorELNS0_4arch9wavefront6targetE1EEEvSF_,comdat
	.protected	_ZN7rocprim17ROCPRIM_400000_NS6detail17trampoline_kernelINS0_14default_configENS1_38merge_sort_block_merge_config_selectorImNS0_10empty_typeEEEZZNS1_27merge_sort_block_merge_implIS3_PmPS5_jNS1_19radix_merge_compareILb0ELb0EmNS0_19identity_decomposerEEEEE10hipError_tT0_T1_T2_jT3_P12ihipStream_tbPNSt15iterator_traitsISE_E10value_typeEPNSK_ISF_E10value_typeEPSG_NS1_7vsmem_tEENKUlT_SE_SF_SG_E_clIS8_S8_S9_S9_EESD_ST_SE_SF_SG_EUlST_E0_NS1_11comp_targetILNS1_3genE5ELNS1_11target_archE942ELNS1_3gpuE9ELNS1_3repE0EEENS1_38merge_mergepath_config_static_selectorELNS0_4arch9wavefront6targetE1EEEvSF_ ; -- Begin function _ZN7rocprim17ROCPRIM_400000_NS6detail17trampoline_kernelINS0_14default_configENS1_38merge_sort_block_merge_config_selectorImNS0_10empty_typeEEEZZNS1_27merge_sort_block_merge_implIS3_PmPS5_jNS1_19radix_merge_compareILb0ELb0EmNS0_19identity_decomposerEEEEE10hipError_tT0_T1_T2_jT3_P12ihipStream_tbPNSt15iterator_traitsISE_E10value_typeEPNSK_ISF_E10value_typeEPSG_NS1_7vsmem_tEENKUlT_SE_SF_SG_E_clIS8_S8_S9_S9_EESD_ST_SE_SF_SG_EUlST_E0_NS1_11comp_targetILNS1_3genE5ELNS1_11target_archE942ELNS1_3gpuE9ELNS1_3repE0EEENS1_38merge_mergepath_config_static_selectorELNS0_4arch9wavefront6targetE1EEEvSF_
	.globl	_ZN7rocprim17ROCPRIM_400000_NS6detail17trampoline_kernelINS0_14default_configENS1_38merge_sort_block_merge_config_selectorImNS0_10empty_typeEEEZZNS1_27merge_sort_block_merge_implIS3_PmPS5_jNS1_19radix_merge_compareILb0ELb0EmNS0_19identity_decomposerEEEEE10hipError_tT0_T1_T2_jT3_P12ihipStream_tbPNSt15iterator_traitsISE_E10value_typeEPNSK_ISF_E10value_typeEPSG_NS1_7vsmem_tEENKUlT_SE_SF_SG_E_clIS8_S8_S9_S9_EESD_ST_SE_SF_SG_EUlST_E0_NS1_11comp_targetILNS1_3genE5ELNS1_11target_archE942ELNS1_3gpuE9ELNS1_3repE0EEENS1_38merge_mergepath_config_static_selectorELNS0_4arch9wavefront6targetE1EEEvSF_
	.p2align	8
	.type	_ZN7rocprim17ROCPRIM_400000_NS6detail17trampoline_kernelINS0_14default_configENS1_38merge_sort_block_merge_config_selectorImNS0_10empty_typeEEEZZNS1_27merge_sort_block_merge_implIS3_PmPS5_jNS1_19radix_merge_compareILb0ELb0EmNS0_19identity_decomposerEEEEE10hipError_tT0_T1_T2_jT3_P12ihipStream_tbPNSt15iterator_traitsISE_E10value_typeEPNSK_ISF_E10value_typeEPSG_NS1_7vsmem_tEENKUlT_SE_SF_SG_E_clIS8_S8_S9_S9_EESD_ST_SE_SF_SG_EUlST_E0_NS1_11comp_targetILNS1_3genE5ELNS1_11target_archE942ELNS1_3gpuE9ELNS1_3repE0EEENS1_38merge_mergepath_config_static_selectorELNS0_4arch9wavefront6targetE1EEEvSF_,@function
_ZN7rocprim17ROCPRIM_400000_NS6detail17trampoline_kernelINS0_14default_configENS1_38merge_sort_block_merge_config_selectorImNS0_10empty_typeEEEZZNS1_27merge_sort_block_merge_implIS3_PmPS5_jNS1_19radix_merge_compareILb0ELb0EmNS0_19identity_decomposerEEEEE10hipError_tT0_T1_T2_jT3_P12ihipStream_tbPNSt15iterator_traitsISE_E10value_typeEPNSK_ISF_E10value_typeEPSG_NS1_7vsmem_tEENKUlT_SE_SF_SG_E_clIS8_S8_S9_S9_EESD_ST_SE_SF_SG_EUlST_E0_NS1_11comp_targetILNS1_3genE5ELNS1_11target_archE942ELNS1_3gpuE9ELNS1_3repE0EEENS1_38merge_mergepath_config_static_selectorELNS0_4arch9wavefront6targetE1EEEvSF_: ; @_ZN7rocprim17ROCPRIM_400000_NS6detail17trampoline_kernelINS0_14default_configENS1_38merge_sort_block_merge_config_selectorImNS0_10empty_typeEEEZZNS1_27merge_sort_block_merge_implIS3_PmPS5_jNS1_19radix_merge_compareILb0ELb0EmNS0_19identity_decomposerEEEEE10hipError_tT0_T1_T2_jT3_P12ihipStream_tbPNSt15iterator_traitsISE_E10value_typeEPNSK_ISF_E10value_typeEPSG_NS1_7vsmem_tEENKUlT_SE_SF_SG_E_clIS8_S8_S9_S9_EESD_ST_SE_SF_SG_EUlST_E0_NS1_11comp_targetILNS1_3genE5ELNS1_11target_archE942ELNS1_3gpuE9ELNS1_3repE0EEENS1_38merge_mergepath_config_static_selectorELNS0_4arch9wavefront6targetE1EEEvSF_
; %bb.0:
	.section	.rodata,"a",@progbits
	.p2align	6, 0x0
	.amdhsa_kernel _ZN7rocprim17ROCPRIM_400000_NS6detail17trampoline_kernelINS0_14default_configENS1_38merge_sort_block_merge_config_selectorImNS0_10empty_typeEEEZZNS1_27merge_sort_block_merge_implIS3_PmPS5_jNS1_19radix_merge_compareILb0ELb0EmNS0_19identity_decomposerEEEEE10hipError_tT0_T1_T2_jT3_P12ihipStream_tbPNSt15iterator_traitsISE_E10value_typeEPNSK_ISF_E10value_typeEPSG_NS1_7vsmem_tEENKUlT_SE_SF_SG_E_clIS8_S8_S9_S9_EESD_ST_SE_SF_SG_EUlST_E0_NS1_11comp_targetILNS1_3genE5ELNS1_11target_archE942ELNS1_3gpuE9ELNS1_3repE0EEENS1_38merge_mergepath_config_static_selectorELNS0_4arch9wavefront6targetE1EEEvSF_
		.amdhsa_group_segment_fixed_size 0
		.amdhsa_private_segment_fixed_size 0
		.amdhsa_kernarg_size 64
		.amdhsa_user_sgpr_count 6
		.amdhsa_user_sgpr_private_segment_buffer 1
		.amdhsa_user_sgpr_dispatch_ptr 0
		.amdhsa_user_sgpr_queue_ptr 0
		.amdhsa_user_sgpr_kernarg_segment_ptr 1
		.amdhsa_user_sgpr_dispatch_id 0
		.amdhsa_user_sgpr_flat_scratch_init 0
		.amdhsa_user_sgpr_kernarg_preload_length 0
		.amdhsa_user_sgpr_kernarg_preload_offset 0
		.amdhsa_user_sgpr_private_segment_size 0
		.amdhsa_uses_dynamic_stack 0
		.amdhsa_system_sgpr_private_segment_wavefront_offset 0
		.amdhsa_system_sgpr_workgroup_id_x 1
		.amdhsa_system_sgpr_workgroup_id_y 0
		.amdhsa_system_sgpr_workgroup_id_z 0
		.amdhsa_system_sgpr_workgroup_info 0
		.amdhsa_system_vgpr_workitem_id 0
		.amdhsa_next_free_vgpr 1
		.amdhsa_next_free_sgpr 0
		.amdhsa_accum_offset 4
		.amdhsa_reserve_vcc 0
		.amdhsa_reserve_flat_scratch 0
		.amdhsa_float_round_mode_32 0
		.amdhsa_float_round_mode_16_64 0
		.amdhsa_float_denorm_mode_32 3
		.amdhsa_float_denorm_mode_16_64 3
		.amdhsa_dx10_clamp 1
		.amdhsa_ieee_mode 1
		.amdhsa_fp16_overflow 0
		.amdhsa_tg_split 0
		.amdhsa_exception_fp_ieee_invalid_op 0
		.amdhsa_exception_fp_denorm_src 0
		.amdhsa_exception_fp_ieee_div_zero 0
		.amdhsa_exception_fp_ieee_overflow 0
		.amdhsa_exception_fp_ieee_underflow 0
		.amdhsa_exception_fp_ieee_inexact 0
		.amdhsa_exception_int_div_zero 0
	.end_amdhsa_kernel
	.section	.text._ZN7rocprim17ROCPRIM_400000_NS6detail17trampoline_kernelINS0_14default_configENS1_38merge_sort_block_merge_config_selectorImNS0_10empty_typeEEEZZNS1_27merge_sort_block_merge_implIS3_PmPS5_jNS1_19radix_merge_compareILb0ELb0EmNS0_19identity_decomposerEEEEE10hipError_tT0_T1_T2_jT3_P12ihipStream_tbPNSt15iterator_traitsISE_E10value_typeEPNSK_ISF_E10value_typeEPSG_NS1_7vsmem_tEENKUlT_SE_SF_SG_E_clIS8_S8_S9_S9_EESD_ST_SE_SF_SG_EUlST_E0_NS1_11comp_targetILNS1_3genE5ELNS1_11target_archE942ELNS1_3gpuE9ELNS1_3repE0EEENS1_38merge_mergepath_config_static_selectorELNS0_4arch9wavefront6targetE1EEEvSF_,"axG",@progbits,_ZN7rocprim17ROCPRIM_400000_NS6detail17trampoline_kernelINS0_14default_configENS1_38merge_sort_block_merge_config_selectorImNS0_10empty_typeEEEZZNS1_27merge_sort_block_merge_implIS3_PmPS5_jNS1_19radix_merge_compareILb0ELb0EmNS0_19identity_decomposerEEEEE10hipError_tT0_T1_T2_jT3_P12ihipStream_tbPNSt15iterator_traitsISE_E10value_typeEPNSK_ISF_E10value_typeEPSG_NS1_7vsmem_tEENKUlT_SE_SF_SG_E_clIS8_S8_S9_S9_EESD_ST_SE_SF_SG_EUlST_E0_NS1_11comp_targetILNS1_3genE5ELNS1_11target_archE942ELNS1_3gpuE9ELNS1_3repE0EEENS1_38merge_mergepath_config_static_selectorELNS0_4arch9wavefront6targetE1EEEvSF_,comdat
.Lfunc_end916:
	.size	_ZN7rocprim17ROCPRIM_400000_NS6detail17trampoline_kernelINS0_14default_configENS1_38merge_sort_block_merge_config_selectorImNS0_10empty_typeEEEZZNS1_27merge_sort_block_merge_implIS3_PmPS5_jNS1_19radix_merge_compareILb0ELb0EmNS0_19identity_decomposerEEEEE10hipError_tT0_T1_T2_jT3_P12ihipStream_tbPNSt15iterator_traitsISE_E10value_typeEPNSK_ISF_E10value_typeEPSG_NS1_7vsmem_tEENKUlT_SE_SF_SG_E_clIS8_S8_S9_S9_EESD_ST_SE_SF_SG_EUlST_E0_NS1_11comp_targetILNS1_3genE5ELNS1_11target_archE942ELNS1_3gpuE9ELNS1_3repE0EEENS1_38merge_mergepath_config_static_selectorELNS0_4arch9wavefront6targetE1EEEvSF_, .Lfunc_end916-_ZN7rocprim17ROCPRIM_400000_NS6detail17trampoline_kernelINS0_14default_configENS1_38merge_sort_block_merge_config_selectorImNS0_10empty_typeEEEZZNS1_27merge_sort_block_merge_implIS3_PmPS5_jNS1_19radix_merge_compareILb0ELb0EmNS0_19identity_decomposerEEEEE10hipError_tT0_T1_T2_jT3_P12ihipStream_tbPNSt15iterator_traitsISE_E10value_typeEPNSK_ISF_E10value_typeEPSG_NS1_7vsmem_tEENKUlT_SE_SF_SG_E_clIS8_S8_S9_S9_EESD_ST_SE_SF_SG_EUlST_E0_NS1_11comp_targetILNS1_3genE5ELNS1_11target_archE942ELNS1_3gpuE9ELNS1_3repE0EEENS1_38merge_mergepath_config_static_selectorELNS0_4arch9wavefront6targetE1EEEvSF_
                                        ; -- End function
	.section	.AMDGPU.csdata,"",@progbits
; Kernel info:
; codeLenInByte = 0
; NumSgprs: 4
; NumVgprs: 0
; NumAgprs: 0
; TotalNumVgprs: 0
; ScratchSize: 0
; MemoryBound: 0
; FloatMode: 240
; IeeeMode: 1
; LDSByteSize: 0 bytes/workgroup (compile time only)
; SGPRBlocks: 0
; VGPRBlocks: 0
; NumSGPRsForWavesPerEU: 4
; NumVGPRsForWavesPerEU: 1
; AccumOffset: 4
; Occupancy: 8
; WaveLimiterHint : 0
; COMPUTE_PGM_RSRC2:SCRATCH_EN: 0
; COMPUTE_PGM_RSRC2:USER_SGPR: 6
; COMPUTE_PGM_RSRC2:TRAP_HANDLER: 0
; COMPUTE_PGM_RSRC2:TGID_X_EN: 1
; COMPUTE_PGM_RSRC2:TGID_Y_EN: 0
; COMPUTE_PGM_RSRC2:TGID_Z_EN: 0
; COMPUTE_PGM_RSRC2:TIDIG_COMP_CNT: 0
; COMPUTE_PGM_RSRC3_GFX90A:ACCUM_OFFSET: 0
; COMPUTE_PGM_RSRC3_GFX90A:TG_SPLIT: 0
	.section	.text._ZN7rocprim17ROCPRIM_400000_NS6detail17trampoline_kernelINS0_14default_configENS1_38merge_sort_block_merge_config_selectorImNS0_10empty_typeEEEZZNS1_27merge_sort_block_merge_implIS3_PmPS5_jNS1_19radix_merge_compareILb0ELb0EmNS0_19identity_decomposerEEEEE10hipError_tT0_T1_T2_jT3_P12ihipStream_tbPNSt15iterator_traitsISE_E10value_typeEPNSK_ISF_E10value_typeEPSG_NS1_7vsmem_tEENKUlT_SE_SF_SG_E_clIS8_S8_S9_S9_EESD_ST_SE_SF_SG_EUlST_E0_NS1_11comp_targetILNS1_3genE4ELNS1_11target_archE910ELNS1_3gpuE8ELNS1_3repE0EEENS1_38merge_mergepath_config_static_selectorELNS0_4arch9wavefront6targetE1EEEvSF_,"axG",@progbits,_ZN7rocprim17ROCPRIM_400000_NS6detail17trampoline_kernelINS0_14default_configENS1_38merge_sort_block_merge_config_selectorImNS0_10empty_typeEEEZZNS1_27merge_sort_block_merge_implIS3_PmPS5_jNS1_19radix_merge_compareILb0ELb0EmNS0_19identity_decomposerEEEEE10hipError_tT0_T1_T2_jT3_P12ihipStream_tbPNSt15iterator_traitsISE_E10value_typeEPNSK_ISF_E10value_typeEPSG_NS1_7vsmem_tEENKUlT_SE_SF_SG_E_clIS8_S8_S9_S9_EESD_ST_SE_SF_SG_EUlST_E0_NS1_11comp_targetILNS1_3genE4ELNS1_11target_archE910ELNS1_3gpuE8ELNS1_3repE0EEENS1_38merge_mergepath_config_static_selectorELNS0_4arch9wavefront6targetE1EEEvSF_,comdat
	.protected	_ZN7rocprim17ROCPRIM_400000_NS6detail17trampoline_kernelINS0_14default_configENS1_38merge_sort_block_merge_config_selectorImNS0_10empty_typeEEEZZNS1_27merge_sort_block_merge_implIS3_PmPS5_jNS1_19radix_merge_compareILb0ELb0EmNS0_19identity_decomposerEEEEE10hipError_tT0_T1_T2_jT3_P12ihipStream_tbPNSt15iterator_traitsISE_E10value_typeEPNSK_ISF_E10value_typeEPSG_NS1_7vsmem_tEENKUlT_SE_SF_SG_E_clIS8_S8_S9_S9_EESD_ST_SE_SF_SG_EUlST_E0_NS1_11comp_targetILNS1_3genE4ELNS1_11target_archE910ELNS1_3gpuE8ELNS1_3repE0EEENS1_38merge_mergepath_config_static_selectorELNS0_4arch9wavefront6targetE1EEEvSF_ ; -- Begin function _ZN7rocprim17ROCPRIM_400000_NS6detail17trampoline_kernelINS0_14default_configENS1_38merge_sort_block_merge_config_selectorImNS0_10empty_typeEEEZZNS1_27merge_sort_block_merge_implIS3_PmPS5_jNS1_19radix_merge_compareILb0ELb0EmNS0_19identity_decomposerEEEEE10hipError_tT0_T1_T2_jT3_P12ihipStream_tbPNSt15iterator_traitsISE_E10value_typeEPNSK_ISF_E10value_typeEPSG_NS1_7vsmem_tEENKUlT_SE_SF_SG_E_clIS8_S8_S9_S9_EESD_ST_SE_SF_SG_EUlST_E0_NS1_11comp_targetILNS1_3genE4ELNS1_11target_archE910ELNS1_3gpuE8ELNS1_3repE0EEENS1_38merge_mergepath_config_static_selectorELNS0_4arch9wavefront6targetE1EEEvSF_
	.globl	_ZN7rocprim17ROCPRIM_400000_NS6detail17trampoline_kernelINS0_14default_configENS1_38merge_sort_block_merge_config_selectorImNS0_10empty_typeEEEZZNS1_27merge_sort_block_merge_implIS3_PmPS5_jNS1_19radix_merge_compareILb0ELb0EmNS0_19identity_decomposerEEEEE10hipError_tT0_T1_T2_jT3_P12ihipStream_tbPNSt15iterator_traitsISE_E10value_typeEPNSK_ISF_E10value_typeEPSG_NS1_7vsmem_tEENKUlT_SE_SF_SG_E_clIS8_S8_S9_S9_EESD_ST_SE_SF_SG_EUlST_E0_NS1_11comp_targetILNS1_3genE4ELNS1_11target_archE910ELNS1_3gpuE8ELNS1_3repE0EEENS1_38merge_mergepath_config_static_selectorELNS0_4arch9wavefront6targetE1EEEvSF_
	.p2align	8
	.type	_ZN7rocprim17ROCPRIM_400000_NS6detail17trampoline_kernelINS0_14default_configENS1_38merge_sort_block_merge_config_selectorImNS0_10empty_typeEEEZZNS1_27merge_sort_block_merge_implIS3_PmPS5_jNS1_19radix_merge_compareILb0ELb0EmNS0_19identity_decomposerEEEEE10hipError_tT0_T1_T2_jT3_P12ihipStream_tbPNSt15iterator_traitsISE_E10value_typeEPNSK_ISF_E10value_typeEPSG_NS1_7vsmem_tEENKUlT_SE_SF_SG_E_clIS8_S8_S9_S9_EESD_ST_SE_SF_SG_EUlST_E0_NS1_11comp_targetILNS1_3genE4ELNS1_11target_archE910ELNS1_3gpuE8ELNS1_3repE0EEENS1_38merge_mergepath_config_static_selectorELNS0_4arch9wavefront6targetE1EEEvSF_,@function
_ZN7rocprim17ROCPRIM_400000_NS6detail17trampoline_kernelINS0_14default_configENS1_38merge_sort_block_merge_config_selectorImNS0_10empty_typeEEEZZNS1_27merge_sort_block_merge_implIS3_PmPS5_jNS1_19radix_merge_compareILb0ELb0EmNS0_19identity_decomposerEEEEE10hipError_tT0_T1_T2_jT3_P12ihipStream_tbPNSt15iterator_traitsISE_E10value_typeEPNSK_ISF_E10value_typeEPSG_NS1_7vsmem_tEENKUlT_SE_SF_SG_E_clIS8_S8_S9_S9_EESD_ST_SE_SF_SG_EUlST_E0_NS1_11comp_targetILNS1_3genE4ELNS1_11target_archE910ELNS1_3gpuE8ELNS1_3repE0EEENS1_38merge_mergepath_config_static_selectorELNS0_4arch9wavefront6targetE1EEEvSF_: ; @_ZN7rocprim17ROCPRIM_400000_NS6detail17trampoline_kernelINS0_14default_configENS1_38merge_sort_block_merge_config_selectorImNS0_10empty_typeEEEZZNS1_27merge_sort_block_merge_implIS3_PmPS5_jNS1_19radix_merge_compareILb0ELb0EmNS0_19identity_decomposerEEEEE10hipError_tT0_T1_T2_jT3_P12ihipStream_tbPNSt15iterator_traitsISE_E10value_typeEPNSK_ISF_E10value_typeEPSG_NS1_7vsmem_tEENKUlT_SE_SF_SG_E_clIS8_S8_S9_S9_EESD_ST_SE_SF_SG_EUlST_E0_NS1_11comp_targetILNS1_3genE4ELNS1_11target_archE910ELNS1_3gpuE8ELNS1_3repE0EEENS1_38merge_mergepath_config_static_selectorELNS0_4arch9wavefront6targetE1EEEvSF_
; %bb.0:
	s_load_dwordx2 s[14:15], s[4:5], 0x40
	s_load_dword s3, s[4:5], 0x30
	s_add_u32 s0, s4, 64
	s_addc_u32 s1, s5, 0
	s_waitcnt lgkmcnt(0)
	s_mul_i32 s2, s15, s8
	s_add_i32 s2, s2, s7
	s_mul_i32 s2, s2, s14
	s_add_i32 s2, s2, s6
	s_cmp_ge_u32 s2, s3
	s_cbranch_scc1 .LBB917_31
; %bb.1:
	s_load_dwordx2 s[8:9], s[4:5], 0x28
	s_load_dwordx2 s[10:11], s[4:5], 0x38
	;; [unrolled: 1-line block ×3, first 2 shown]
	s_mov_b32 s3, 0
	v_mov_b32_e32 v9, 0
	s_waitcnt lgkmcnt(0)
	s_lshr_b32 s7, s8, 10
	s_cmp_lg_u32 s2, s7
	s_cselect_b64 s[12:13], -1, 0
	s_lshl_b64 s[18:19], s[2:3], 2
	s_add_u32 s10, s10, s18
	s_addc_u32 s11, s11, s19
	s_load_dwordx2 s[18:19], s[10:11], 0x0
	s_lshr_b32 s10, s9, 9
	s_and_b32 s10, s10, 0x7ffffe
	s_sub_i32 s11, 0, s10
	s_and_b32 s15, s2, s11
	s_lshl_b32 s21, s15, 10
	s_lshl_b32 s10, s2, 10
	s_lshl_b32 s15, s15, 11
	s_sub_i32 s20, s10, s21
	s_add_i32 s15, s15, s9
	s_add_i32 s22, s15, s20
	s_waitcnt lgkmcnt(0)
	s_sub_i32 s20, s22, s18
	s_sub_i32 s22, s22, s19
	;; [unrolled: 1-line block ×3, first 2 shown]
	s_min_u32 s20, s8, s20
	s_addk_i32 s22, 0x400
	s_or_b32 s11, s2, s11
	s_min_u32 s21, s8, s15
	s_add_i32 s15, s15, s9
	s_cmp_eq_u32 s11, -1
	s_cselect_b32 s9, s15, s22
	s_cselect_b32 s11, s21, s19
	s_min_u32 s15, s9, s8
	s_mov_b32 s19, s3
	s_sub_i32 s9, s11, s18
	s_sub_i32 s15, s15, s20
	s_lshl_b64 s[18:19], s[18:19], 3
	s_add_u32 s18, s16, s18
	s_mov_b32 s21, s3
	s_addc_u32 s19, s17, s19
	s_lshl_b64 s[20:21], s[20:21], 3
	s_add_u32 s16, s16, s20
	s_addc_u32 s17, s17, s21
	s_cmp_lt_u32 s6, s14
	s_cselect_b32 s3, 12, 18
	global_load_dword v1, v9, s[0:1] offset:14
	s_add_u32 s0, s0, s3
	s_addc_u32 s1, s1, 0
	global_load_ushort v2, v9, s[0:1]
	s_cmp_eq_u32 s2, s7
	s_waitcnt vmcnt(1)
	v_lshrrev_b32_e32 v3, 16, v1
	v_and_b32_e32 v1, 0xffff, v1
	v_mul_lo_u32 v1, v1, v3
	s_waitcnt vmcnt(0)
	v_mul_lo_u32 v14, v1, v2
	v_add_u32_e32 v12, v14, v0
	v_lshlrev_b32_e32 v1, 3, v0
	v_add_u32_e32 v10, v12, v14
	s_cbranch_scc1 .LBB917_3
; %bb.2:
	v_mov_b32_e32 v2, s19
	v_add_co_u32_e32 v4, vcc, s18, v1
	v_subrev_u32_e32 v8, s9, v0
	v_addc_co_u32_e32 v5, vcc, 0, v2, vcc
	v_lshlrev_b64 v[2:3], 3, v[8:9]
	v_mov_b32_e32 v6, s17
	v_add_co_u32_e32 v2, vcc, s16, v2
	v_addc_co_u32_e32 v3, vcc, v6, v3, vcc
	v_cmp_gt_u32_e32 vcc, s9, v0
	v_mov_b32_e32 v13, v9
	v_cndmask_b32_e32 v3, v3, v5, vcc
	v_cndmask_b32_e32 v2, v2, v4, vcc
	v_lshlrev_b64 v[4:5], 3, v[12:13]
	v_mov_b32_e32 v6, s19
	v_add_co_u32_e32 v7, vcc, s18, v4
	v_subrev_u32_e32 v8, s9, v12
	v_addc_co_u32_e32 v6, vcc, v6, v5, vcc
	v_lshlrev_b64 v[4:5], 3, v[8:9]
	v_mov_b32_e32 v8, s17
	v_add_co_u32_e32 v4, vcc, s16, v4
	v_addc_co_u32_e32 v5, vcc, v8, v5, vcc
	v_cmp_gt_u32_e32 vcc, s9, v12
	v_mov_b32_e32 v11, v9
	v_cndmask_b32_e32 v5, v5, v6, vcc
	v_cndmask_b32_e32 v4, v4, v7, vcc
	v_lshlrev_b64 v[6:7], 3, v[10:11]
	v_mov_b32_e32 v8, s19
	v_add_co_u32_e32 v11, vcc, s18, v6
	v_addc_co_u32_e32 v13, vcc, v8, v7, vcc
	v_subrev_u32_e32 v8, s9, v10
	v_lshlrev_b64 v[6:7], 3, v[8:9]
	v_mov_b32_e32 v8, s17
	v_add_co_u32_e32 v6, vcc, s16, v6
	v_addc_co_u32_e32 v7, vcc, v8, v7, vcc
	v_add_u32_e32 v8, v10, v14
	v_cmp_gt_u32_e32 vcc, s9, v10
	v_lshlrev_b64 v[16:17], 3, v[8:9]
	v_cndmask_b32_e32 v7, v7, v13, vcc
	v_cndmask_b32_e32 v6, v6, v11, vcc
	v_mov_b32_e32 v11, s19
	v_add_co_u32_e32 v13, vcc, s18, v16
	v_addc_co_u32_e32 v11, vcc, v11, v17, vcc
	v_cmp_gt_u32_e32 vcc, s9, v8
	v_subrev_u32_e32 v8, s9, v8
	v_lshlrev_b64 v[8:9], 3, v[8:9]
	v_mov_b32_e32 v15, s17
	v_add_co_u32_e64 v8, s[0:1], s16, v8
	v_addc_co_u32_e64 v9, s[0:1], v15, v9, s[0:1]
	v_cndmask_b32_e32 v9, v9, v11, vcc
	v_cndmask_b32_e32 v8, v8, v13, vcc
	global_load_dwordx2 v[2:3], v[2:3], off
	s_add_i32 s11, s15, s9
	global_load_dwordx2 v[4:5], v[4:5], off
	s_nop 0
	global_load_dwordx2 v[6:7], v[6:7], off
	s_nop 0
	global_load_dwordx2 v[8:9], v[8:9], off
	s_load_dwordx2 s[6:7], s[4:5], 0x10
	s_cbranch_execz .LBB917_4
	s_branch .LBB917_11
.LBB917_3:
                                        ; implicit-def: $vgpr2_vgpr3_vgpr4_vgpr5_vgpr6_vgpr7_vgpr8_vgpr9
                                        ; implicit-def: $sgpr11
	s_load_dwordx2 s[6:7], s[4:5], 0x10
.LBB917_4:
	s_add_i32 s11, s15, s9
	v_cmp_gt_u32_e32 vcc, s11, v0
                                        ; implicit-def: $vgpr2_vgpr3_vgpr4_vgpr5_vgpr6_vgpr7_vgpr8_vgpr9
	s_and_saveexec_b64 s[0:1], vcc
	s_cbranch_execnz .LBB917_32
; %bb.5:
	s_or_b64 exec, exec, s[0:1]
	v_cmp_gt_u32_e32 vcc, s11, v12
	s_and_saveexec_b64 s[2:3], vcc
	s_cbranch_execnz .LBB917_33
.LBB917_6:
	s_or_b64 exec, exec, s[2:3]
	v_cmp_gt_u32_e32 vcc, s11, v10
	s_and_saveexec_b64 s[0:1], vcc
	s_cbranch_execz .LBB917_8
.LBB917_7:
	v_mov_b32_e32 v11, 0
	s_waitcnt vmcnt(1)
	v_lshlrev_b64 v[6:7], 3, v[10:11]
	v_mov_b32_e32 v12, s19
	v_add_co_u32_e32 v13, vcc, s18, v6
	v_addc_co_u32_e32 v12, vcc, v12, v7, vcc
	v_subrev_u32_e32 v6, s9, v10
	v_mov_b32_e32 v7, v11
	v_lshlrev_b64 v[6:7], 3, v[6:7]
	v_mov_b32_e32 v11, s17
	v_add_co_u32_e32 v6, vcc, s16, v6
	v_addc_co_u32_e32 v7, vcc, v11, v7, vcc
	v_cmp_gt_u32_e32 vcc, s9, v10
	v_cndmask_b32_e32 v7, v7, v12, vcc
	v_cndmask_b32_e32 v6, v6, v13, vcc
	global_load_dwordx2 v[6:7], v[6:7], off
.LBB917_8:
	s_or_b64 exec, exec, s[0:1]
	v_add_u32_e32 v10, v10, v14
	v_cmp_gt_u32_e32 vcc, s11, v10
	s_and_saveexec_b64 s[2:3], vcc
	s_cbranch_execz .LBB917_10
; %bb.9:
	v_mov_b32_e32 v11, 0
	s_waitcnt vmcnt(0)
	v_lshlrev_b64 v[8:9], 3, v[10:11]
	v_mov_b32_e32 v12, s19
	v_add_co_u32_e32 v13, vcc, s18, v8
	v_addc_co_u32_e32 v12, vcc, v12, v9, vcc
	v_cmp_gt_u32_e32 vcc, s9, v10
	v_subrev_u32_e32 v10, s9, v10
	v_lshlrev_b64 v[8:9], 3, v[10:11]
	v_mov_b32_e32 v10, s17
	v_add_co_u32_e64 v8, s[0:1], s16, v8
	v_addc_co_u32_e64 v9, s[0:1], v10, v9, s[0:1]
	v_cndmask_b32_e32 v9, v9, v12, vcc
	v_cndmask_b32_e32 v8, v8, v13, vcc
	global_load_dwordx2 v[8:9], v[8:9], off
.LBB917_10:
	s_or_b64 exec, exec, s[2:3]
.LBB917_11:
	v_lshlrev_b32_e32 v10, 2, v0
	v_min_u32_e32 v12, s11, v10
	v_sub_u32_e64 v11, v12, s15 clamp
	v_min_u32_e32 v13, s9, v12
	v_cmp_lt_u32_e32 vcc, v11, v13
	s_waitcnt vmcnt(0)
	ds_write2st64_b64 v1, v[2:3], v[4:5] offset1:4
	ds_write2st64_b64 v1, v[6:7], v[8:9] offset0:8 offset1:12
	s_waitcnt lgkmcnt(0)
	s_barrier
	s_and_saveexec_b64 s[0:1], vcc
	s_cbranch_execz .LBB917_15
; %bb.12:
	v_lshlrev_b32_e32 v14, 3, v12
	v_lshl_add_u32 v14, s9, 3, v14
	s_mov_b64 s[2:3], 0
.LBB917_13:                             ; =>This Inner Loop Header: Depth=1
	v_add_u32_e32 v15, v13, v11
	v_lshrrev_b32_e32 v15, 1, v15
	v_not_b32_e32 v16, v15
	v_lshlrev_b32_e32 v17, 3, v15
	v_lshl_add_u32 v18, v16, 3, v14
	ds_read_b64 v[16:17], v17
	ds_read_b64 v[18:19], v18
	v_add_u32_e32 v20, 1, v15
	s_waitcnt lgkmcnt(0)
	v_cmp_gt_u64_e32 vcc, v[16:17], v[18:19]
	v_cndmask_b32_e32 v13, v13, v15, vcc
	v_cndmask_b32_e32 v11, v20, v11, vcc
	v_cmp_ge_u32_e32 vcc, v11, v13
	s_or_b64 s[2:3], vcc, s[2:3]
	s_andn2_b64 exec, exec, s[2:3]
	s_cbranch_execnz .LBB917_13
; %bb.14:
	s_or_b64 exec, exec, s[2:3]
.LBB917_15:
	s_or_b64 exec, exec, s[0:1]
	v_sub_u32_e32 v12, v12, v11
	v_add_u32_e32 v12, s9, v12
	v_cmp_ge_u32_e32 vcc, s9, v11
	v_cmp_ge_u32_e64 s[0:1], s11, v12
	s_or_b64 s[0:1], vcc, s[0:1]
	s_and_saveexec_b64 s[14:15], s[0:1]
	s_cbranch_execz .LBB917_21
; %bb.16:
	v_cmp_gt_u32_e32 vcc, s9, v11
                                        ; implicit-def: $vgpr2_vgpr3
	s_and_saveexec_b64 s[0:1], vcc
	s_cbranch_execz .LBB917_18
; %bb.17:
	v_lshlrev_b32_e32 v2, 3, v11
	ds_read_b64 v[2:3], v2
.LBB917_18:
	s_or_b64 exec, exec, s[0:1]
	v_cmp_le_u32_e64 s[0:1], s11, v12
	v_cmp_gt_u32_e64 s[2:3], s11, v12
                                        ; implicit-def: $vgpr4_vgpr5
	s_and_saveexec_b64 s[4:5], s[2:3]
	s_cbranch_execz .LBB917_20
; %bb.19:
	v_lshlrev_b32_e32 v4, 3, v12
	ds_read_b64 v[4:5], v4
.LBB917_20:
	s_or_b64 exec, exec, s[4:5]
	s_waitcnt lgkmcnt(0)
	v_cmp_le_u64_e64 s[2:3], v[2:3], v[4:5]
	s_and_b64 s[2:3], vcc, s[2:3]
	s_or_b64 vcc, s[0:1], s[2:3]
	v_mov_b32_e32 v16, s11
	v_mov_b32_e32 v17, s9
	v_cndmask_b32_e32 v6, v12, v11, vcc
	v_cndmask_b32_e32 v7, v16, v17, vcc
	v_add_u32_e32 v13, 1, v6
	v_add_u32_e32 v6, -1, v7
	v_min_u32_e32 v6, v13, v6
	v_lshlrev_b32_e32 v6, 3, v6
	ds_read_b64 v[6:7], v6
	v_cndmask_b32_e32 v11, v11, v13, vcc
	v_cndmask_b32_e32 v18, v13, v12, vcc
	v_cmp_gt_u32_e64 s[2:3], s9, v11
	v_cmp_le_u32_e64 s[0:1], s11, v18
	s_waitcnt lgkmcnt(0)
	v_cndmask_b32_e32 v9, v7, v5, vcc
	v_cndmask_b32_e32 v8, v6, v4, vcc
	;; [unrolled: 1-line block ×4, first 2 shown]
	v_cmp_le_u64_e64 s[4:5], v[6:7], v[8:9]
	s_and_b64 s[2:3], s[2:3], s[4:5]
	s_or_b64 s[0:1], s[0:1], s[2:3]
	v_cndmask_b32_e64 v12, v18, v11, s[0:1]
	v_cndmask_b32_e64 v13, v16, v17, s[0:1]
	v_add_u32_e32 v19, 1, v12
	v_add_u32_e32 v12, -1, v13
	v_min_u32_e32 v12, v19, v12
	v_lshlrev_b32_e32 v12, 3, v12
	ds_read_b64 v[12:13], v12
	v_cndmask_b32_e64 v11, v11, v19, s[0:1]
	v_cndmask_b32_e64 v18, v19, v18, s[0:1]
	v_cmp_gt_u32_e64 s[2:3], s9, v11
	v_cndmask_b32_e32 v3, v5, v3, vcc
	s_waitcnt lgkmcnt(0)
	v_cndmask_b32_e64 v15, v13, v9, s[0:1]
	v_cndmask_b32_e64 v14, v12, v8, s[0:1]
	;; [unrolled: 1-line block ×4, first 2 shown]
	v_cmp_le_u64_e64 s[4:5], v[12:13], v[14:15]
	v_cndmask_b32_e32 v2, v4, v2, vcc
	v_cmp_le_u32_e32 vcc, s11, v18
	s_and_b64 s[2:3], s[2:3], s[4:5]
	s_or_b64 vcc, vcc, s[2:3]
	v_cndmask_b32_e32 v4, v18, v11, vcc
	v_cndmask_b32_e32 v5, v16, v17, vcc
	v_add_u32_e32 v19, 1, v4
	v_add_u32_e32 v4, -1, v5
	v_min_u32_e32 v4, v19, v4
	v_lshlrev_b32_e32 v4, 3, v4
	ds_read_b64 v[16:17], v4
	v_cndmask_b32_e64 v5, v9, v7, s[0:1]
	v_cndmask_b32_e64 v4, v8, v6, s[0:1]
	v_cndmask_b32_e32 v7, v15, v13, vcc
	v_cndmask_b32_e32 v6, v14, v12, vcc
	s_waitcnt lgkmcnt(0)
	v_cndmask_b32_e32 v9, v17, v15, vcc
	v_cndmask_b32_e32 v8, v16, v14, vcc
	;; [unrolled: 1-line block ×6, first 2 shown]
	v_cmp_gt_u32_e64 s[0:1], s9, v11
	v_cmp_le_u64_e64 s[2:3], v[12:13], v[8:9]
	v_cmp_le_u32_e32 vcc, s11, v14
	s_and_b64 s[0:1], s[0:1], s[2:3]
	s_or_b64 vcc, vcc, s[0:1]
	v_cndmask_b32_e32 v9, v9, v13, vcc
	v_cndmask_b32_e32 v8, v8, v12, vcc
.LBB917_21:
	s_or_b64 exec, exec, s[14:15]
	v_and_b32_e32 v11, 0xf8, v0
	v_lshl_add_u32 v10, v10, 3, v11
	s_barrier
	s_barrier
	ds_write2_b64 v10, v[2:3], v[4:5] offset1:1
	ds_write2_b64 v10, v[6:7], v[8:9] offset0:2 offset1:3
	v_lshrrev_b32_e32 v2, 2, v0
	v_and_b32_e32 v2, 56, v2
	v_or_b32_e32 v12, 0x100, v0
	v_add_u32_e32 v13, v1, v2
	v_lshrrev_b32_e32 v2, 2, v12
	v_and_b32_e32 v2, 0x78, v2
	v_or_b32_e32 v11, 0x200, v0
	s_mov_b32 s11, 0
	v_add_u32_e32 v6, v1, v2
	v_lshrrev_b32_e32 v2, 2, v11
	s_lshl_b64 s[0:1], s[10:11], 3
	v_and_b32_e32 v2, 0xb8, v2
	v_or_b32_e32 v10, 0x300, v0
	s_add_u32 s0, s6, s0
	v_add_u32_e32 v7, v1, v2
	v_lshrrev_b32_e32 v2, 2, v10
	s_addc_u32 s1, s7, s1
	v_and_b32_e32 v2, 0xf8, v2
	v_add_u32_e32 v14, v1, v2
	v_mov_b32_e32 v3, s1
	v_add_co_u32_e32 v2, vcc, s0, v1
	v_addc_co_u32_e32 v3, vcc, 0, v3, vcc
	s_and_b64 vcc, exec, s[12:13]
	s_waitcnt lgkmcnt(0)
	s_cbranch_vccz .LBB917_23
; %bb.22:
	s_barrier
	ds_read_b64 v[8:9], v13
	ds_read_b64 v[16:17], v6 offset:2048
	ds_read_b64 v[18:19], v7 offset:4096
	;; [unrolled: 1-line block ×3, first 2 shown]
	s_waitcnt lgkmcnt(3)
	global_store_dwordx2 v[2:3], v[8:9], off
	s_waitcnt lgkmcnt(2)
	global_store_dwordx2 v[2:3], v[16:17], off offset:2048
	v_add_co_u32_e32 v8, vcc, 0x1000, v2
	v_addc_co_u32_e32 v9, vcc, 0, v3, vcc
	s_waitcnt lgkmcnt(1)
	global_store_dwordx2 v[8:9], v[18:19], off
	s_mov_b64 s[0:1], -1
	s_cbranch_execz .LBB917_24
	s_branch .LBB917_29
.LBB917_23:
	s_mov_b64 s[0:1], 0
                                        ; implicit-def: $vgpr4_vgpr5
.LBB917_24:
	s_barrier
	s_waitcnt lgkmcnt(0)
	ds_read_b64 v[8:9], v6 offset:2048
	ds_read_b64 v[6:7], v7 offset:4096
	;; [unrolled: 1-line block ×3, first 2 shown]
	s_sub_i32 s2, s8, s10
	v_cmp_gt_u32_e32 vcc, s2, v0
	s_and_saveexec_b64 s[0:1], vcc
	s_cbranch_execnz .LBB917_34
; %bb.25:
	s_or_b64 exec, exec, s[0:1]
	v_cmp_gt_u32_e32 vcc, s2, v12
	s_and_saveexec_b64 s[0:1], vcc
	s_cbranch_execnz .LBB917_35
.LBB917_26:
	s_or_b64 exec, exec, s[0:1]
	v_cmp_gt_u32_e32 vcc, s2, v11
	s_and_saveexec_b64 s[0:1], vcc
	s_cbranch_execz .LBB917_28
.LBB917_27:
	v_add_co_u32_e32 v0, vcc, 0x1000, v2
	v_addc_co_u32_e32 v1, vcc, 0, v3, vcc
	s_waitcnt lgkmcnt(1)
	global_store_dwordx2 v[0:1], v[6:7], off
.LBB917_28:
	s_or_b64 exec, exec, s[0:1]
	v_cmp_gt_u32_e64 s[0:1], s2, v10
.LBB917_29:
	s_and_saveexec_b64 s[2:3], s[0:1]
	s_cbranch_execz .LBB917_31
; %bb.30:
	v_add_co_u32_e32 v0, vcc, 0x1000, v2
	v_addc_co_u32_e32 v1, vcc, 0, v3, vcc
	s_waitcnt lgkmcnt(0)
	global_store_dwordx2 v[0:1], v[4:5], off offset:2048
.LBB917_31:
	s_endpgm
.LBB917_32:
	s_waitcnt vmcnt(3)
	v_mov_b32_e32 v2, s19
	s_waitcnt vmcnt(2)
	v_add_co_u32_e32 v4, vcc, s18, v1
	v_mov_b32_e32 v3, 0
	v_addc_co_u32_e32 v5, vcc, 0, v2, vcc
	v_subrev_u32_e32 v2, s9, v0
	v_lshlrev_b64 v[2:3], 3, v[2:3]
	s_waitcnt vmcnt(1)
	v_mov_b32_e32 v6, s17
	v_add_co_u32_e32 v2, vcc, s16, v2
	v_addc_co_u32_e32 v3, vcc, v6, v3, vcc
	v_cmp_gt_u32_e32 vcc, s9, v0
	v_cndmask_b32_e32 v3, v3, v5, vcc
	v_cndmask_b32_e32 v2, v2, v4, vcc
	global_load_dwordx2 v[2:3], v[2:3], off
	s_or_b64 exec, exec, s[0:1]
	v_cmp_gt_u32_e32 vcc, s11, v12
	s_and_saveexec_b64 s[2:3], vcc
	s_cbranch_execz .LBB917_6
.LBB917_33:
	v_mov_b32_e32 v13, 0
	s_waitcnt vmcnt(2)
	v_lshlrev_b64 v[4:5], 3, v[12:13]
	v_mov_b32_e32 v11, s19
	v_add_co_u32_e32 v15, vcc, s18, v4
	v_addc_co_u32_e32 v11, vcc, v11, v5, vcc
	v_cmp_gt_u32_e32 vcc, s9, v12
	v_subrev_u32_e32 v12, s9, v12
	v_lshlrev_b64 v[4:5], 3, v[12:13]
	v_mov_b32_e32 v12, s17
	v_add_co_u32_e64 v4, s[0:1], s16, v4
	v_addc_co_u32_e64 v5, s[0:1], v12, v5, s[0:1]
	v_cndmask_b32_e32 v5, v5, v11, vcc
	v_cndmask_b32_e32 v4, v4, v15, vcc
	global_load_dwordx2 v[4:5], v[4:5], off
	s_or_b64 exec, exec, s[2:3]
	v_cmp_gt_u32_e32 vcc, s11, v10
	s_and_saveexec_b64 s[0:1], vcc
	s_cbranch_execnz .LBB917_7
	s_branch .LBB917_8
.LBB917_34:
	ds_read_b64 v[0:1], v13
	s_waitcnt lgkmcnt(0)
	global_store_dwordx2 v[2:3], v[0:1], off
	s_or_b64 exec, exec, s[0:1]
	v_cmp_gt_u32_e32 vcc, s2, v12
	s_and_saveexec_b64 s[0:1], vcc
	s_cbranch_execz .LBB917_26
.LBB917_35:
	s_waitcnt lgkmcnt(2)
	global_store_dwordx2 v[2:3], v[8:9], off offset:2048
	s_or_b64 exec, exec, s[0:1]
	v_cmp_gt_u32_e32 vcc, s2, v11
	s_and_saveexec_b64 s[0:1], vcc
	s_cbranch_execnz .LBB917_27
	s_branch .LBB917_28
	.section	.rodata,"a",@progbits
	.p2align	6, 0x0
	.amdhsa_kernel _ZN7rocprim17ROCPRIM_400000_NS6detail17trampoline_kernelINS0_14default_configENS1_38merge_sort_block_merge_config_selectorImNS0_10empty_typeEEEZZNS1_27merge_sort_block_merge_implIS3_PmPS5_jNS1_19radix_merge_compareILb0ELb0EmNS0_19identity_decomposerEEEEE10hipError_tT0_T1_T2_jT3_P12ihipStream_tbPNSt15iterator_traitsISE_E10value_typeEPNSK_ISF_E10value_typeEPSG_NS1_7vsmem_tEENKUlT_SE_SF_SG_E_clIS8_S8_S9_S9_EESD_ST_SE_SF_SG_EUlST_E0_NS1_11comp_targetILNS1_3genE4ELNS1_11target_archE910ELNS1_3gpuE8ELNS1_3repE0EEENS1_38merge_mergepath_config_static_selectorELNS0_4arch9wavefront6targetE1EEEvSF_
		.amdhsa_group_segment_fixed_size 8448
		.amdhsa_private_segment_fixed_size 0
		.amdhsa_kernarg_size 320
		.amdhsa_user_sgpr_count 6
		.amdhsa_user_sgpr_private_segment_buffer 1
		.amdhsa_user_sgpr_dispatch_ptr 0
		.amdhsa_user_sgpr_queue_ptr 0
		.amdhsa_user_sgpr_kernarg_segment_ptr 1
		.amdhsa_user_sgpr_dispatch_id 0
		.amdhsa_user_sgpr_flat_scratch_init 0
		.amdhsa_user_sgpr_kernarg_preload_length 0
		.amdhsa_user_sgpr_kernarg_preload_offset 0
		.amdhsa_user_sgpr_private_segment_size 0
		.amdhsa_uses_dynamic_stack 0
		.amdhsa_system_sgpr_private_segment_wavefront_offset 0
		.amdhsa_system_sgpr_workgroup_id_x 1
		.amdhsa_system_sgpr_workgroup_id_y 1
		.amdhsa_system_sgpr_workgroup_id_z 1
		.amdhsa_system_sgpr_workgroup_info 0
		.amdhsa_system_vgpr_workitem_id 0
		.amdhsa_next_free_vgpr 21
		.amdhsa_next_free_sgpr 23
		.amdhsa_accum_offset 24
		.amdhsa_reserve_vcc 1
		.amdhsa_reserve_flat_scratch 0
		.amdhsa_float_round_mode_32 0
		.amdhsa_float_round_mode_16_64 0
		.amdhsa_float_denorm_mode_32 3
		.amdhsa_float_denorm_mode_16_64 3
		.amdhsa_dx10_clamp 1
		.amdhsa_ieee_mode 1
		.amdhsa_fp16_overflow 0
		.amdhsa_tg_split 0
		.amdhsa_exception_fp_ieee_invalid_op 0
		.amdhsa_exception_fp_denorm_src 0
		.amdhsa_exception_fp_ieee_div_zero 0
		.amdhsa_exception_fp_ieee_overflow 0
		.amdhsa_exception_fp_ieee_underflow 0
		.amdhsa_exception_fp_ieee_inexact 0
		.amdhsa_exception_int_div_zero 0
	.end_amdhsa_kernel
	.section	.text._ZN7rocprim17ROCPRIM_400000_NS6detail17trampoline_kernelINS0_14default_configENS1_38merge_sort_block_merge_config_selectorImNS0_10empty_typeEEEZZNS1_27merge_sort_block_merge_implIS3_PmPS5_jNS1_19radix_merge_compareILb0ELb0EmNS0_19identity_decomposerEEEEE10hipError_tT0_T1_T2_jT3_P12ihipStream_tbPNSt15iterator_traitsISE_E10value_typeEPNSK_ISF_E10value_typeEPSG_NS1_7vsmem_tEENKUlT_SE_SF_SG_E_clIS8_S8_S9_S9_EESD_ST_SE_SF_SG_EUlST_E0_NS1_11comp_targetILNS1_3genE4ELNS1_11target_archE910ELNS1_3gpuE8ELNS1_3repE0EEENS1_38merge_mergepath_config_static_selectorELNS0_4arch9wavefront6targetE1EEEvSF_,"axG",@progbits,_ZN7rocprim17ROCPRIM_400000_NS6detail17trampoline_kernelINS0_14default_configENS1_38merge_sort_block_merge_config_selectorImNS0_10empty_typeEEEZZNS1_27merge_sort_block_merge_implIS3_PmPS5_jNS1_19radix_merge_compareILb0ELb0EmNS0_19identity_decomposerEEEEE10hipError_tT0_T1_T2_jT3_P12ihipStream_tbPNSt15iterator_traitsISE_E10value_typeEPNSK_ISF_E10value_typeEPSG_NS1_7vsmem_tEENKUlT_SE_SF_SG_E_clIS8_S8_S9_S9_EESD_ST_SE_SF_SG_EUlST_E0_NS1_11comp_targetILNS1_3genE4ELNS1_11target_archE910ELNS1_3gpuE8ELNS1_3repE0EEENS1_38merge_mergepath_config_static_selectorELNS0_4arch9wavefront6targetE1EEEvSF_,comdat
.Lfunc_end917:
	.size	_ZN7rocprim17ROCPRIM_400000_NS6detail17trampoline_kernelINS0_14default_configENS1_38merge_sort_block_merge_config_selectorImNS0_10empty_typeEEEZZNS1_27merge_sort_block_merge_implIS3_PmPS5_jNS1_19radix_merge_compareILb0ELb0EmNS0_19identity_decomposerEEEEE10hipError_tT0_T1_T2_jT3_P12ihipStream_tbPNSt15iterator_traitsISE_E10value_typeEPNSK_ISF_E10value_typeEPSG_NS1_7vsmem_tEENKUlT_SE_SF_SG_E_clIS8_S8_S9_S9_EESD_ST_SE_SF_SG_EUlST_E0_NS1_11comp_targetILNS1_3genE4ELNS1_11target_archE910ELNS1_3gpuE8ELNS1_3repE0EEENS1_38merge_mergepath_config_static_selectorELNS0_4arch9wavefront6targetE1EEEvSF_, .Lfunc_end917-_ZN7rocprim17ROCPRIM_400000_NS6detail17trampoline_kernelINS0_14default_configENS1_38merge_sort_block_merge_config_selectorImNS0_10empty_typeEEEZZNS1_27merge_sort_block_merge_implIS3_PmPS5_jNS1_19radix_merge_compareILb0ELb0EmNS0_19identity_decomposerEEEEE10hipError_tT0_T1_T2_jT3_P12ihipStream_tbPNSt15iterator_traitsISE_E10value_typeEPNSK_ISF_E10value_typeEPSG_NS1_7vsmem_tEENKUlT_SE_SF_SG_E_clIS8_S8_S9_S9_EESD_ST_SE_SF_SG_EUlST_E0_NS1_11comp_targetILNS1_3genE4ELNS1_11target_archE910ELNS1_3gpuE8ELNS1_3repE0EEENS1_38merge_mergepath_config_static_selectorELNS0_4arch9wavefront6targetE1EEEvSF_
                                        ; -- End function
	.section	.AMDGPU.csdata,"",@progbits
; Kernel info:
; codeLenInByte = 2180
; NumSgprs: 27
; NumVgprs: 21
; NumAgprs: 0
; TotalNumVgprs: 21
; ScratchSize: 0
; MemoryBound: 0
; FloatMode: 240
; IeeeMode: 1
; LDSByteSize: 8448 bytes/workgroup (compile time only)
; SGPRBlocks: 3
; VGPRBlocks: 2
; NumSGPRsForWavesPerEU: 27
; NumVGPRsForWavesPerEU: 21
; AccumOffset: 24
; Occupancy: 7
; WaveLimiterHint : 1
; COMPUTE_PGM_RSRC2:SCRATCH_EN: 0
; COMPUTE_PGM_RSRC2:USER_SGPR: 6
; COMPUTE_PGM_RSRC2:TRAP_HANDLER: 0
; COMPUTE_PGM_RSRC2:TGID_X_EN: 1
; COMPUTE_PGM_RSRC2:TGID_Y_EN: 1
; COMPUTE_PGM_RSRC2:TGID_Z_EN: 1
; COMPUTE_PGM_RSRC2:TIDIG_COMP_CNT: 0
; COMPUTE_PGM_RSRC3_GFX90A:ACCUM_OFFSET: 5
; COMPUTE_PGM_RSRC3_GFX90A:TG_SPLIT: 0
	.section	.text._ZN7rocprim17ROCPRIM_400000_NS6detail17trampoline_kernelINS0_14default_configENS1_38merge_sort_block_merge_config_selectorImNS0_10empty_typeEEEZZNS1_27merge_sort_block_merge_implIS3_PmPS5_jNS1_19radix_merge_compareILb0ELb0EmNS0_19identity_decomposerEEEEE10hipError_tT0_T1_T2_jT3_P12ihipStream_tbPNSt15iterator_traitsISE_E10value_typeEPNSK_ISF_E10value_typeEPSG_NS1_7vsmem_tEENKUlT_SE_SF_SG_E_clIS8_S8_S9_S9_EESD_ST_SE_SF_SG_EUlST_E0_NS1_11comp_targetILNS1_3genE3ELNS1_11target_archE908ELNS1_3gpuE7ELNS1_3repE0EEENS1_38merge_mergepath_config_static_selectorELNS0_4arch9wavefront6targetE1EEEvSF_,"axG",@progbits,_ZN7rocprim17ROCPRIM_400000_NS6detail17trampoline_kernelINS0_14default_configENS1_38merge_sort_block_merge_config_selectorImNS0_10empty_typeEEEZZNS1_27merge_sort_block_merge_implIS3_PmPS5_jNS1_19radix_merge_compareILb0ELb0EmNS0_19identity_decomposerEEEEE10hipError_tT0_T1_T2_jT3_P12ihipStream_tbPNSt15iterator_traitsISE_E10value_typeEPNSK_ISF_E10value_typeEPSG_NS1_7vsmem_tEENKUlT_SE_SF_SG_E_clIS8_S8_S9_S9_EESD_ST_SE_SF_SG_EUlST_E0_NS1_11comp_targetILNS1_3genE3ELNS1_11target_archE908ELNS1_3gpuE7ELNS1_3repE0EEENS1_38merge_mergepath_config_static_selectorELNS0_4arch9wavefront6targetE1EEEvSF_,comdat
	.protected	_ZN7rocprim17ROCPRIM_400000_NS6detail17trampoline_kernelINS0_14default_configENS1_38merge_sort_block_merge_config_selectorImNS0_10empty_typeEEEZZNS1_27merge_sort_block_merge_implIS3_PmPS5_jNS1_19radix_merge_compareILb0ELb0EmNS0_19identity_decomposerEEEEE10hipError_tT0_T1_T2_jT3_P12ihipStream_tbPNSt15iterator_traitsISE_E10value_typeEPNSK_ISF_E10value_typeEPSG_NS1_7vsmem_tEENKUlT_SE_SF_SG_E_clIS8_S8_S9_S9_EESD_ST_SE_SF_SG_EUlST_E0_NS1_11comp_targetILNS1_3genE3ELNS1_11target_archE908ELNS1_3gpuE7ELNS1_3repE0EEENS1_38merge_mergepath_config_static_selectorELNS0_4arch9wavefront6targetE1EEEvSF_ ; -- Begin function _ZN7rocprim17ROCPRIM_400000_NS6detail17trampoline_kernelINS0_14default_configENS1_38merge_sort_block_merge_config_selectorImNS0_10empty_typeEEEZZNS1_27merge_sort_block_merge_implIS3_PmPS5_jNS1_19radix_merge_compareILb0ELb0EmNS0_19identity_decomposerEEEEE10hipError_tT0_T1_T2_jT3_P12ihipStream_tbPNSt15iterator_traitsISE_E10value_typeEPNSK_ISF_E10value_typeEPSG_NS1_7vsmem_tEENKUlT_SE_SF_SG_E_clIS8_S8_S9_S9_EESD_ST_SE_SF_SG_EUlST_E0_NS1_11comp_targetILNS1_3genE3ELNS1_11target_archE908ELNS1_3gpuE7ELNS1_3repE0EEENS1_38merge_mergepath_config_static_selectorELNS0_4arch9wavefront6targetE1EEEvSF_
	.globl	_ZN7rocprim17ROCPRIM_400000_NS6detail17trampoline_kernelINS0_14default_configENS1_38merge_sort_block_merge_config_selectorImNS0_10empty_typeEEEZZNS1_27merge_sort_block_merge_implIS3_PmPS5_jNS1_19radix_merge_compareILb0ELb0EmNS0_19identity_decomposerEEEEE10hipError_tT0_T1_T2_jT3_P12ihipStream_tbPNSt15iterator_traitsISE_E10value_typeEPNSK_ISF_E10value_typeEPSG_NS1_7vsmem_tEENKUlT_SE_SF_SG_E_clIS8_S8_S9_S9_EESD_ST_SE_SF_SG_EUlST_E0_NS1_11comp_targetILNS1_3genE3ELNS1_11target_archE908ELNS1_3gpuE7ELNS1_3repE0EEENS1_38merge_mergepath_config_static_selectorELNS0_4arch9wavefront6targetE1EEEvSF_
	.p2align	8
	.type	_ZN7rocprim17ROCPRIM_400000_NS6detail17trampoline_kernelINS0_14default_configENS1_38merge_sort_block_merge_config_selectorImNS0_10empty_typeEEEZZNS1_27merge_sort_block_merge_implIS3_PmPS5_jNS1_19radix_merge_compareILb0ELb0EmNS0_19identity_decomposerEEEEE10hipError_tT0_T1_T2_jT3_P12ihipStream_tbPNSt15iterator_traitsISE_E10value_typeEPNSK_ISF_E10value_typeEPSG_NS1_7vsmem_tEENKUlT_SE_SF_SG_E_clIS8_S8_S9_S9_EESD_ST_SE_SF_SG_EUlST_E0_NS1_11comp_targetILNS1_3genE3ELNS1_11target_archE908ELNS1_3gpuE7ELNS1_3repE0EEENS1_38merge_mergepath_config_static_selectorELNS0_4arch9wavefront6targetE1EEEvSF_,@function
_ZN7rocprim17ROCPRIM_400000_NS6detail17trampoline_kernelINS0_14default_configENS1_38merge_sort_block_merge_config_selectorImNS0_10empty_typeEEEZZNS1_27merge_sort_block_merge_implIS3_PmPS5_jNS1_19radix_merge_compareILb0ELb0EmNS0_19identity_decomposerEEEEE10hipError_tT0_T1_T2_jT3_P12ihipStream_tbPNSt15iterator_traitsISE_E10value_typeEPNSK_ISF_E10value_typeEPSG_NS1_7vsmem_tEENKUlT_SE_SF_SG_E_clIS8_S8_S9_S9_EESD_ST_SE_SF_SG_EUlST_E0_NS1_11comp_targetILNS1_3genE3ELNS1_11target_archE908ELNS1_3gpuE7ELNS1_3repE0EEENS1_38merge_mergepath_config_static_selectorELNS0_4arch9wavefront6targetE1EEEvSF_: ; @_ZN7rocprim17ROCPRIM_400000_NS6detail17trampoline_kernelINS0_14default_configENS1_38merge_sort_block_merge_config_selectorImNS0_10empty_typeEEEZZNS1_27merge_sort_block_merge_implIS3_PmPS5_jNS1_19radix_merge_compareILb0ELb0EmNS0_19identity_decomposerEEEEE10hipError_tT0_T1_T2_jT3_P12ihipStream_tbPNSt15iterator_traitsISE_E10value_typeEPNSK_ISF_E10value_typeEPSG_NS1_7vsmem_tEENKUlT_SE_SF_SG_E_clIS8_S8_S9_S9_EESD_ST_SE_SF_SG_EUlST_E0_NS1_11comp_targetILNS1_3genE3ELNS1_11target_archE908ELNS1_3gpuE7ELNS1_3repE0EEENS1_38merge_mergepath_config_static_selectorELNS0_4arch9wavefront6targetE1EEEvSF_
; %bb.0:
	.section	.rodata,"a",@progbits
	.p2align	6, 0x0
	.amdhsa_kernel _ZN7rocprim17ROCPRIM_400000_NS6detail17trampoline_kernelINS0_14default_configENS1_38merge_sort_block_merge_config_selectorImNS0_10empty_typeEEEZZNS1_27merge_sort_block_merge_implIS3_PmPS5_jNS1_19radix_merge_compareILb0ELb0EmNS0_19identity_decomposerEEEEE10hipError_tT0_T1_T2_jT3_P12ihipStream_tbPNSt15iterator_traitsISE_E10value_typeEPNSK_ISF_E10value_typeEPSG_NS1_7vsmem_tEENKUlT_SE_SF_SG_E_clIS8_S8_S9_S9_EESD_ST_SE_SF_SG_EUlST_E0_NS1_11comp_targetILNS1_3genE3ELNS1_11target_archE908ELNS1_3gpuE7ELNS1_3repE0EEENS1_38merge_mergepath_config_static_selectorELNS0_4arch9wavefront6targetE1EEEvSF_
		.amdhsa_group_segment_fixed_size 0
		.amdhsa_private_segment_fixed_size 0
		.amdhsa_kernarg_size 64
		.amdhsa_user_sgpr_count 6
		.amdhsa_user_sgpr_private_segment_buffer 1
		.amdhsa_user_sgpr_dispatch_ptr 0
		.amdhsa_user_sgpr_queue_ptr 0
		.amdhsa_user_sgpr_kernarg_segment_ptr 1
		.amdhsa_user_sgpr_dispatch_id 0
		.amdhsa_user_sgpr_flat_scratch_init 0
		.amdhsa_user_sgpr_kernarg_preload_length 0
		.amdhsa_user_sgpr_kernarg_preload_offset 0
		.amdhsa_user_sgpr_private_segment_size 0
		.amdhsa_uses_dynamic_stack 0
		.amdhsa_system_sgpr_private_segment_wavefront_offset 0
		.amdhsa_system_sgpr_workgroup_id_x 1
		.amdhsa_system_sgpr_workgroup_id_y 0
		.amdhsa_system_sgpr_workgroup_id_z 0
		.amdhsa_system_sgpr_workgroup_info 0
		.amdhsa_system_vgpr_workitem_id 0
		.amdhsa_next_free_vgpr 1
		.amdhsa_next_free_sgpr 0
		.amdhsa_accum_offset 4
		.amdhsa_reserve_vcc 0
		.amdhsa_reserve_flat_scratch 0
		.amdhsa_float_round_mode_32 0
		.amdhsa_float_round_mode_16_64 0
		.amdhsa_float_denorm_mode_32 3
		.amdhsa_float_denorm_mode_16_64 3
		.amdhsa_dx10_clamp 1
		.amdhsa_ieee_mode 1
		.amdhsa_fp16_overflow 0
		.amdhsa_tg_split 0
		.amdhsa_exception_fp_ieee_invalid_op 0
		.amdhsa_exception_fp_denorm_src 0
		.amdhsa_exception_fp_ieee_div_zero 0
		.amdhsa_exception_fp_ieee_overflow 0
		.amdhsa_exception_fp_ieee_underflow 0
		.amdhsa_exception_fp_ieee_inexact 0
		.amdhsa_exception_int_div_zero 0
	.end_amdhsa_kernel
	.section	.text._ZN7rocprim17ROCPRIM_400000_NS6detail17trampoline_kernelINS0_14default_configENS1_38merge_sort_block_merge_config_selectorImNS0_10empty_typeEEEZZNS1_27merge_sort_block_merge_implIS3_PmPS5_jNS1_19radix_merge_compareILb0ELb0EmNS0_19identity_decomposerEEEEE10hipError_tT0_T1_T2_jT3_P12ihipStream_tbPNSt15iterator_traitsISE_E10value_typeEPNSK_ISF_E10value_typeEPSG_NS1_7vsmem_tEENKUlT_SE_SF_SG_E_clIS8_S8_S9_S9_EESD_ST_SE_SF_SG_EUlST_E0_NS1_11comp_targetILNS1_3genE3ELNS1_11target_archE908ELNS1_3gpuE7ELNS1_3repE0EEENS1_38merge_mergepath_config_static_selectorELNS0_4arch9wavefront6targetE1EEEvSF_,"axG",@progbits,_ZN7rocprim17ROCPRIM_400000_NS6detail17trampoline_kernelINS0_14default_configENS1_38merge_sort_block_merge_config_selectorImNS0_10empty_typeEEEZZNS1_27merge_sort_block_merge_implIS3_PmPS5_jNS1_19radix_merge_compareILb0ELb0EmNS0_19identity_decomposerEEEEE10hipError_tT0_T1_T2_jT3_P12ihipStream_tbPNSt15iterator_traitsISE_E10value_typeEPNSK_ISF_E10value_typeEPSG_NS1_7vsmem_tEENKUlT_SE_SF_SG_E_clIS8_S8_S9_S9_EESD_ST_SE_SF_SG_EUlST_E0_NS1_11comp_targetILNS1_3genE3ELNS1_11target_archE908ELNS1_3gpuE7ELNS1_3repE0EEENS1_38merge_mergepath_config_static_selectorELNS0_4arch9wavefront6targetE1EEEvSF_,comdat
.Lfunc_end918:
	.size	_ZN7rocprim17ROCPRIM_400000_NS6detail17trampoline_kernelINS0_14default_configENS1_38merge_sort_block_merge_config_selectorImNS0_10empty_typeEEEZZNS1_27merge_sort_block_merge_implIS3_PmPS5_jNS1_19radix_merge_compareILb0ELb0EmNS0_19identity_decomposerEEEEE10hipError_tT0_T1_T2_jT3_P12ihipStream_tbPNSt15iterator_traitsISE_E10value_typeEPNSK_ISF_E10value_typeEPSG_NS1_7vsmem_tEENKUlT_SE_SF_SG_E_clIS8_S8_S9_S9_EESD_ST_SE_SF_SG_EUlST_E0_NS1_11comp_targetILNS1_3genE3ELNS1_11target_archE908ELNS1_3gpuE7ELNS1_3repE0EEENS1_38merge_mergepath_config_static_selectorELNS0_4arch9wavefront6targetE1EEEvSF_, .Lfunc_end918-_ZN7rocprim17ROCPRIM_400000_NS6detail17trampoline_kernelINS0_14default_configENS1_38merge_sort_block_merge_config_selectorImNS0_10empty_typeEEEZZNS1_27merge_sort_block_merge_implIS3_PmPS5_jNS1_19radix_merge_compareILb0ELb0EmNS0_19identity_decomposerEEEEE10hipError_tT0_T1_T2_jT3_P12ihipStream_tbPNSt15iterator_traitsISE_E10value_typeEPNSK_ISF_E10value_typeEPSG_NS1_7vsmem_tEENKUlT_SE_SF_SG_E_clIS8_S8_S9_S9_EESD_ST_SE_SF_SG_EUlST_E0_NS1_11comp_targetILNS1_3genE3ELNS1_11target_archE908ELNS1_3gpuE7ELNS1_3repE0EEENS1_38merge_mergepath_config_static_selectorELNS0_4arch9wavefront6targetE1EEEvSF_
                                        ; -- End function
	.section	.AMDGPU.csdata,"",@progbits
; Kernel info:
; codeLenInByte = 0
; NumSgprs: 4
; NumVgprs: 0
; NumAgprs: 0
; TotalNumVgprs: 0
; ScratchSize: 0
; MemoryBound: 0
; FloatMode: 240
; IeeeMode: 1
; LDSByteSize: 0 bytes/workgroup (compile time only)
; SGPRBlocks: 0
; VGPRBlocks: 0
; NumSGPRsForWavesPerEU: 4
; NumVGPRsForWavesPerEU: 1
; AccumOffset: 4
; Occupancy: 8
; WaveLimiterHint : 0
; COMPUTE_PGM_RSRC2:SCRATCH_EN: 0
; COMPUTE_PGM_RSRC2:USER_SGPR: 6
; COMPUTE_PGM_RSRC2:TRAP_HANDLER: 0
; COMPUTE_PGM_RSRC2:TGID_X_EN: 1
; COMPUTE_PGM_RSRC2:TGID_Y_EN: 0
; COMPUTE_PGM_RSRC2:TGID_Z_EN: 0
; COMPUTE_PGM_RSRC2:TIDIG_COMP_CNT: 0
; COMPUTE_PGM_RSRC3_GFX90A:ACCUM_OFFSET: 0
; COMPUTE_PGM_RSRC3_GFX90A:TG_SPLIT: 0
	.section	.text._ZN7rocprim17ROCPRIM_400000_NS6detail17trampoline_kernelINS0_14default_configENS1_38merge_sort_block_merge_config_selectorImNS0_10empty_typeEEEZZNS1_27merge_sort_block_merge_implIS3_PmPS5_jNS1_19radix_merge_compareILb0ELb0EmNS0_19identity_decomposerEEEEE10hipError_tT0_T1_T2_jT3_P12ihipStream_tbPNSt15iterator_traitsISE_E10value_typeEPNSK_ISF_E10value_typeEPSG_NS1_7vsmem_tEENKUlT_SE_SF_SG_E_clIS8_S8_S9_S9_EESD_ST_SE_SF_SG_EUlST_E0_NS1_11comp_targetILNS1_3genE2ELNS1_11target_archE906ELNS1_3gpuE6ELNS1_3repE0EEENS1_38merge_mergepath_config_static_selectorELNS0_4arch9wavefront6targetE1EEEvSF_,"axG",@progbits,_ZN7rocprim17ROCPRIM_400000_NS6detail17trampoline_kernelINS0_14default_configENS1_38merge_sort_block_merge_config_selectorImNS0_10empty_typeEEEZZNS1_27merge_sort_block_merge_implIS3_PmPS5_jNS1_19radix_merge_compareILb0ELb0EmNS0_19identity_decomposerEEEEE10hipError_tT0_T1_T2_jT3_P12ihipStream_tbPNSt15iterator_traitsISE_E10value_typeEPNSK_ISF_E10value_typeEPSG_NS1_7vsmem_tEENKUlT_SE_SF_SG_E_clIS8_S8_S9_S9_EESD_ST_SE_SF_SG_EUlST_E0_NS1_11comp_targetILNS1_3genE2ELNS1_11target_archE906ELNS1_3gpuE6ELNS1_3repE0EEENS1_38merge_mergepath_config_static_selectorELNS0_4arch9wavefront6targetE1EEEvSF_,comdat
	.protected	_ZN7rocprim17ROCPRIM_400000_NS6detail17trampoline_kernelINS0_14default_configENS1_38merge_sort_block_merge_config_selectorImNS0_10empty_typeEEEZZNS1_27merge_sort_block_merge_implIS3_PmPS5_jNS1_19radix_merge_compareILb0ELb0EmNS0_19identity_decomposerEEEEE10hipError_tT0_T1_T2_jT3_P12ihipStream_tbPNSt15iterator_traitsISE_E10value_typeEPNSK_ISF_E10value_typeEPSG_NS1_7vsmem_tEENKUlT_SE_SF_SG_E_clIS8_S8_S9_S9_EESD_ST_SE_SF_SG_EUlST_E0_NS1_11comp_targetILNS1_3genE2ELNS1_11target_archE906ELNS1_3gpuE6ELNS1_3repE0EEENS1_38merge_mergepath_config_static_selectorELNS0_4arch9wavefront6targetE1EEEvSF_ ; -- Begin function _ZN7rocprim17ROCPRIM_400000_NS6detail17trampoline_kernelINS0_14default_configENS1_38merge_sort_block_merge_config_selectorImNS0_10empty_typeEEEZZNS1_27merge_sort_block_merge_implIS3_PmPS5_jNS1_19radix_merge_compareILb0ELb0EmNS0_19identity_decomposerEEEEE10hipError_tT0_T1_T2_jT3_P12ihipStream_tbPNSt15iterator_traitsISE_E10value_typeEPNSK_ISF_E10value_typeEPSG_NS1_7vsmem_tEENKUlT_SE_SF_SG_E_clIS8_S8_S9_S9_EESD_ST_SE_SF_SG_EUlST_E0_NS1_11comp_targetILNS1_3genE2ELNS1_11target_archE906ELNS1_3gpuE6ELNS1_3repE0EEENS1_38merge_mergepath_config_static_selectorELNS0_4arch9wavefront6targetE1EEEvSF_
	.globl	_ZN7rocprim17ROCPRIM_400000_NS6detail17trampoline_kernelINS0_14default_configENS1_38merge_sort_block_merge_config_selectorImNS0_10empty_typeEEEZZNS1_27merge_sort_block_merge_implIS3_PmPS5_jNS1_19radix_merge_compareILb0ELb0EmNS0_19identity_decomposerEEEEE10hipError_tT0_T1_T2_jT3_P12ihipStream_tbPNSt15iterator_traitsISE_E10value_typeEPNSK_ISF_E10value_typeEPSG_NS1_7vsmem_tEENKUlT_SE_SF_SG_E_clIS8_S8_S9_S9_EESD_ST_SE_SF_SG_EUlST_E0_NS1_11comp_targetILNS1_3genE2ELNS1_11target_archE906ELNS1_3gpuE6ELNS1_3repE0EEENS1_38merge_mergepath_config_static_selectorELNS0_4arch9wavefront6targetE1EEEvSF_
	.p2align	8
	.type	_ZN7rocprim17ROCPRIM_400000_NS6detail17trampoline_kernelINS0_14default_configENS1_38merge_sort_block_merge_config_selectorImNS0_10empty_typeEEEZZNS1_27merge_sort_block_merge_implIS3_PmPS5_jNS1_19radix_merge_compareILb0ELb0EmNS0_19identity_decomposerEEEEE10hipError_tT0_T1_T2_jT3_P12ihipStream_tbPNSt15iterator_traitsISE_E10value_typeEPNSK_ISF_E10value_typeEPSG_NS1_7vsmem_tEENKUlT_SE_SF_SG_E_clIS8_S8_S9_S9_EESD_ST_SE_SF_SG_EUlST_E0_NS1_11comp_targetILNS1_3genE2ELNS1_11target_archE906ELNS1_3gpuE6ELNS1_3repE0EEENS1_38merge_mergepath_config_static_selectorELNS0_4arch9wavefront6targetE1EEEvSF_,@function
_ZN7rocprim17ROCPRIM_400000_NS6detail17trampoline_kernelINS0_14default_configENS1_38merge_sort_block_merge_config_selectorImNS0_10empty_typeEEEZZNS1_27merge_sort_block_merge_implIS3_PmPS5_jNS1_19radix_merge_compareILb0ELb0EmNS0_19identity_decomposerEEEEE10hipError_tT0_T1_T2_jT3_P12ihipStream_tbPNSt15iterator_traitsISE_E10value_typeEPNSK_ISF_E10value_typeEPSG_NS1_7vsmem_tEENKUlT_SE_SF_SG_E_clIS8_S8_S9_S9_EESD_ST_SE_SF_SG_EUlST_E0_NS1_11comp_targetILNS1_3genE2ELNS1_11target_archE906ELNS1_3gpuE6ELNS1_3repE0EEENS1_38merge_mergepath_config_static_selectorELNS0_4arch9wavefront6targetE1EEEvSF_: ; @_ZN7rocprim17ROCPRIM_400000_NS6detail17trampoline_kernelINS0_14default_configENS1_38merge_sort_block_merge_config_selectorImNS0_10empty_typeEEEZZNS1_27merge_sort_block_merge_implIS3_PmPS5_jNS1_19radix_merge_compareILb0ELb0EmNS0_19identity_decomposerEEEEE10hipError_tT0_T1_T2_jT3_P12ihipStream_tbPNSt15iterator_traitsISE_E10value_typeEPNSK_ISF_E10value_typeEPSG_NS1_7vsmem_tEENKUlT_SE_SF_SG_E_clIS8_S8_S9_S9_EESD_ST_SE_SF_SG_EUlST_E0_NS1_11comp_targetILNS1_3genE2ELNS1_11target_archE906ELNS1_3gpuE6ELNS1_3repE0EEENS1_38merge_mergepath_config_static_selectorELNS0_4arch9wavefront6targetE1EEEvSF_
; %bb.0:
	.section	.rodata,"a",@progbits
	.p2align	6, 0x0
	.amdhsa_kernel _ZN7rocprim17ROCPRIM_400000_NS6detail17trampoline_kernelINS0_14default_configENS1_38merge_sort_block_merge_config_selectorImNS0_10empty_typeEEEZZNS1_27merge_sort_block_merge_implIS3_PmPS5_jNS1_19radix_merge_compareILb0ELb0EmNS0_19identity_decomposerEEEEE10hipError_tT0_T1_T2_jT3_P12ihipStream_tbPNSt15iterator_traitsISE_E10value_typeEPNSK_ISF_E10value_typeEPSG_NS1_7vsmem_tEENKUlT_SE_SF_SG_E_clIS8_S8_S9_S9_EESD_ST_SE_SF_SG_EUlST_E0_NS1_11comp_targetILNS1_3genE2ELNS1_11target_archE906ELNS1_3gpuE6ELNS1_3repE0EEENS1_38merge_mergepath_config_static_selectorELNS0_4arch9wavefront6targetE1EEEvSF_
		.amdhsa_group_segment_fixed_size 0
		.amdhsa_private_segment_fixed_size 0
		.amdhsa_kernarg_size 64
		.amdhsa_user_sgpr_count 6
		.amdhsa_user_sgpr_private_segment_buffer 1
		.amdhsa_user_sgpr_dispatch_ptr 0
		.amdhsa_user_sgpr_queue_ptr 0
		.amdhsa_user_sgpr_kernarg_segment_ptr 1
		.amdhsa_user_sgpr_dispatch_id 0
		.amdhsa_user_sgpr_flat_scratch_init 0
		.amdhsa_user_sgpr_kernarg_preload_length 0
		.amdhsa_user_sgpr_kernarg_preload_offset 0
		.amdhsa_user_sgpr_private_segment_size 0
		.amdhsa_uses_dynamic_stack 0
		.amdhsa_system_sgpr_private_segment_wavefront_offset 0
		.amdhsa_system_sgpr_workgroup_id_x 1
		.amdhsa_system_sgpr_workgroup_id_y 0
		.amdhsa_system_sgpr_workgroup_id_z 0
		.amdhsa_system_sgpr_workgroup_info 0
		.amdhsa_system_vgpr_workitem_id 0
		.amdhsa_next_free_vgpr 1
		.amdhsa_next_free_sgpr 0
		.amdhsa_accum_offset 4
		.amdhsa_reserve_vcc 0
		.amdhsa_reserve_flat_scratch 0
		.amdhsa_float_round_mode_32 0
		.amdhsa_float_round_mode_16_64 0
		.amdhsa_float_denorm_mode_32 3
		.amdhsa_float_denorm_mode_16_64 3
		.amdhsa_dx10_clamp 1
		.amdhsa_ieee_mode 1
		.amdhsa_fp16_overflow 0
		.amdhsa_tg_split 0
		.amdhsa_exception_fp_ieee_invalid_op 0
		.amdhsa_exception_fp_denorm_src 0
		.amdhsa_exception_fp_ieee_div_zero 0
		.amdhsa_exception_fp_ieee_overflow 0
		.amdhsa_exception_fp_ieee_underflow 0
		.amdhsa_exception_fp_ieee_inexact 0
		.amdhsa_exception_int_div_zero 0
	.end_amdhsa_kernel
	.section	.text._ZN7rocprim17ROCPRIM_400000_NS6detail17trampoline_kernelINS0_14default_configENS1_38merge_sort_block_merge_config_selectorImNS0_10empty_typeEEEZZNS1_27merge_sort_block_merge_implIS3_PmPS5_jNS1_19radix_merge_compareILb0ELb0EmNS0_19identity_decomposerEEEEE10hipError_tT0_T1_T2_jT3_P12ihipStream_tbPNSt15iterator_traitsISE_E10value_typeEPNSK_ISF_E10value_typeEPSG_NS1_7vsmem_tEENKUlT_SE_SF_SG_E_clIS8_S8_S9_S9_EESD_ST_SE_SF_SG_EUlST_E0_NS1_11comp_targetILNS1_3genE2ELNS1_11target_archE906ELNS1_3gpuE6ELNS1_3repE0EEENS1_38merge_mergepath_config_static_selectorELNS0_4arch9wavefront6targetE1EEEvSF_,"axG",@progbits,_ZN7rocprim17ROCPRIM_400000_NS6detail17trampoline_kernelINS0_14default_configENS1_38merge_sort_block_merge_config_selectorImNS0_10empty_typeEEEZZNS1_27merge_sort_block_merge_implIS3_PmPS5_jNS1_19radix_merge_compareILb0ELb0EmNS0_19identity_decomposerEEEEE10hipError_tT0_T1_T2_jT3_P12ihipStream_tbPNSt15iterator_traitsISE_E10value_typeEPNSK_ISF_E10value_typeEPSG_NS1_7vsmem_tEENKUlT_SE_SF_SG_E_clIS8_S8_S9_S9_EESD_ST_SE_SF_SG_EUlST_E0_NS1_11comp_targetILNS1_3genE2ELNS1_11target_archE906ELNS1_3gpuE6ELNS1_3repE0EEENS1_38merge_mergepath_config_static_selectorELNS0_4arch9wavefront6targetE1EEEvSF_,comdat
.Lfunc_end919:
	.size	_ZN7rocprim17ROCPRIM_400000_NS6detail17trampoline_kernelINS0_14default_configENS1_38merge_sort_block_merge_config_selectorImNS0_10empty_typeEEEZZNS1_27merge_sort_block_merge_implIS3_PmPS5_jNS1_19radix_merge_compareILb0ELb0EmNS0_19identity_decomposerEEEEE10hipError_tT0_T1_T2_jT3_P12ihipStream_tbPNSt15iterator_traitsISE_E10value_typeEPNSK_ISF_E10value_typeEPSG_NS1_7vsmem_tEENKUlT_SE_SF_SG_E_clIS8_S8_S9_S9_EESD_ST_SE_SF_SG_EUlST_E0_NS1_11comp_targetILNS1_3genE2ELNS1_11target_archE906ELNS1_3gpuE6ELNS1_3repE0EEENS1_38merge_mergepath_config_static_selectorELNS0_4arch9wavefront6targetE1EEEvSF_, .Lfunc_end919-_ZN7rocprim17ROCPRIM_400000_NS6detail17trampoline_kernelINS0_14default_configENS1_38merge_sort_block_merge_config_selectorImNS0_10empty_typeEEEZZNS1_27merge_sort_block_merge_implIS3_PmPS5_jNS1_19radix_merge_compareILb0ELb0EmNS0_19identity_decomposerEEEEE10hipError_tT0_T1_T2_jT3_P12ihipStream_tbPNSt15iterator_traitsISE_E10value_typeEPNSK_ISF_E10value_typeEPSG_NS1_7vsmem_tEENKUlT_SE_SF_SG_E_clIS8_S8_S9_S9_EESD_ST_SE_SF_SG_EUlST_E0_NS1_11comp_targetILNS1_3genE2ELNS1_11target_archE906ELNS1_3gpuE6ELNS1_3repE0EEENS1_38merge_mergepath_config_static_selectorELNS0_4arch9wavefront6targetE1EEEvSF_
                                        ; -- End function
	.section	.AMDGPU.csdata,"",@progbits
; Kernel info:
; codeLenInByte = 0
; NumSgprs: 4
; NumVgprs: 0
; NumAgprs: 0
; TotalNumVgprs: 0
; ScratchSize: 0
; MemoryBound: 0
; FloatMode: 240
; IeeeMode: 1
; LDSByteSize: 0 bytes/workgroup (compile time only)
; SGPRBlocks: 0
; VGPRBlocks: 0
; NumSGPRsForWavesPerEU: 4
; NumVGPRsForWavesPerEU: 1
; AccumOffset: 4
; Occupancy: 8
; WaveLimiterHint : 0
; COMPUTE_PGM_RSRC2:SCRATCH_EN: 0
; COMPUTE_PGM_RSRC2:USER_SGPR: 6
; COMPUTE_PGM_RSRC2:TRAP_HANDLER: 0
; COMPUTE_PGM_RSRC2:TGID_X_EN: 1
; COMPUTE_PGM_RSRC2:TGID_Y_EN: 0
; COMPUTE_PGM_RSRC2:TGID_Z_EN: 0
; COMPUTE_PGM_RSRC2:TIDIG_COMP_CNT: 0
; COMPUTE_PGM_RSRC3_GFX90A:ACCUM_OFFSET: 0
; COMPUTE_PGM_RSRC3_GFX90A:TG_SPLIT: 0
	.section	.text._ZN7rocprim17ROCPRIM_400000_NS6detail17trampoline_kernelINS0_14default_configENS1_38merge_sort_block_merge_config_selectorImNS0_10empty_typeEEEZZNS1_27merge_sort_block_merge_implIS3_PmPS5_jNS1_19radix_merge_compareILb0ELb0EmNS0_19identity_decomposerEEEEE10hipError_tT0_T1_T2_jT3_P12ihipStream_tbPNSt15iterator_traitsISE_E10value_typeEPNSK_ISF_E10value_typeEPSG_NS1_7vsmem_tEENKUlT_SE_SF_SG_E_clIS8_S8_S9_S9_EESD_ST_SE_SF_SG_EUlST_E0_NS1_11comp_targetILNS1_3genE9ELNS1_11target_archE1100ELNS1_3gpuE3ELNS1_3repE0EEENS1_38merge_mergepath_config_static_selectorELNS0_4arch9wavefront6targetE1EEEvSF_,"axG",@progbits,_ZN7rocprim17ROCPRIM_400000_NS6detail17trampoline_kernelINS0_14default_configENS1_38merge_sort_block_merge_config_selectorImNS0_10empty_typeEEEZZNS1_27merge_sort_block_merge_implIS3_PmPS5_jNS1_19radix_merge_compareILb0ELb0EmNS0_19identity_decomposerEEEEE10hipError_tT0_T1_T2_jT3_P12ihipStream_tbPNSt15iterator_traitsISE_E10value_typeEPNSK_ISF_E10value_typeEPSG_NS1_7vsmem_tEENKUlT_SE_SF_SG_E_clIS8_S8_S9_S9_EESD_ST_SE_SF_SG_EUlST_E0_NS1_11comp_targetILNS1_3genE9ELNS1_11target_archE1100ELNS1_3gpuE3ELNS1_3repE0EEENS1_38merge_mergepath_config_static_selectorELNS0_4arch9wavefront6targetE1EEEvSF_,comdat
	.protected	_ZN7rocprim17ROCPRIM_400000_NS6detail17trampoline_kernelINS0_14default_configENS1_38merge_sort_block_merge_config_selectorImNS0_10empty_typeEEEZZNS1_27merge_sort_block_merge_implIS3_PmPS5_jNS1_19radix_merge_compareILb0ELb0EmNS0_19identity_decomposerEEEEE10hipError_tT0_T1_T2_jT3_P12ihipStream_tbPNSt15iterator_traitsISE_E10value_typeEPNSK_ISF_E10value_typeEPSG_NS1_7vsmem_tEENKUlT_SE_SF_SG_E_clIS8_S8_S9_S9_EESD_ST_SE_SF_SG_EUlST_E0_NS1_11comp_targetILNS1_3genE9ELNS1_11target_archE1100ELNS1_3gpuE3ELNS1_3repE0EEENS1_38merge_mergepath_config_static_selectorELNS0_4arch9wavefront6targetE1EEEvSF_ ; -- Begin function _ZN7rocprim17ROCPRIM_400000_NS6detail17trampoline_kernelINS0_14default_configENS1_38merge_sort_block_merge_config_selectorImNS0_10empty_typeEEEZZNS1_27merge_sort_block_merge_implIS3_PmPS5_jNS1_19radix_merge_compareILb0ELb0EmNS0_19identity_decomposerEEEEE10hipError_tT0_T1_T2_jT3_P12ihipStream_tbPNSt15iterator_traitsISE_E10value_typeEPNSK_ISF_E10value_typeEPSG_NS1_7vsmem_tEENKUlT_SE_SF_SG_E_clIS8_S8_S9_S9_EESD_ST_SE_SF_SG_EUlST_E0_NS1_11comp_targetILNS1_3genE9ELNS1_11target_archE1100ELNS1_3gpuE3ELNS1_3repE0EEENS1_38merge_mergepath_config_static_selectorELNS0_4arch9wavefront6targetE1EEEvSF_
	.globl	_ZN7rocprim17ROCPRIM_400000_NS6detail17trampoline_kernelINS0_14default_configENS1_38merge_sort_block_merge_config_selectorImNS0_10empty_typeEEEZZNS1_27merge_sort_block_merge_implIS3_PmPS5_jNS1_19radix_merge_compareILb0ELb0EmNS0_19identity_decomposerEEEEE10hipError_tT0_T1_T2_jT3_P12ihipStream_tbPNSt15iterator_traitsISE_E10value_typeEPNSK_ISF_E10value_typeEPSG_NS1_7vsmem_tEENKUlT_SE_SF_SG_E_clIS8_S8_S9_S9_EESD_ST_SE_SF_SG_EUlST_E0_NS1_11comp_targetILNS1_3genE9ELNS1_11target_archE1100ELNS1_3gpuE3ELNS1_3repE0EEENS1_38merge_mergepath_config_static_selectorELNS0_4arch9wavefront6targetE1EEEvSF_
	.p2align	8
	.type	_ZN7rocprim17ROCPRIM_400000_NS6detail17trampoline_kernelINS0_14default_configENS1_38merge_sort_block_merge_config_selectorImNS0_10empty_typeEEEZZNS1_27merge_sort_block_merge_implIS3_PmPS5_jNS1_19radix_merge_compareILb0ELb0EmNS0_19identity_decomposerEEEEE10hipError_tT0_T1_T2_jT3_P12ihipStream_tbPNSt15iterator_traitsISE_E10value_typeEPNSK_ISF_E10value_typeEPSG_NS1_7vsmem_tEENKUlT_SE_SF_SG_E_clIS8_S8_S9_S9_EESD_ST_SE_SF_SG_EUlST_E0_NS1_11comp_targetILNS1_3genE9ELNS1_11target_archE1100ELNS1_3gpuE3ELNS1_3repE0EEENS1_38merge_mergepath_config_static_selectorELNS0_4arch9wavefront6targetE1EEEvSF_,@function
_ZN7rocprim17ROCPRIM_400000_NS6detail17trampoline_kernelINS0_14default_configENS1_38merge_sort_block_merge_config_selectorImNS0_10empty_typeEEEZZNS1_27merge_sort_block_merge_implIS3_PmPS5_jNS1_19radix_merge_compareILb0ELb0EmNS0_19identity_decomposerEEEEE10hipError_tT0_T1_T2_jT3_P12ihipStream_tbPNSt15iterator_traitsISE_E10value_typeEPNSK_ISF_E10value_typeEPSG_NS1_7vsmem_tEENKUlT_SE_SF_SG_E_clIS8_S8_S9_S9_EESD_ST_SE_SF_SG_EUlST_E0_NS1_11comp_targetILNS1_3genE9ELNS1_11target_archE1100ELNS1_3gpuE3ELNS1_3repE0EEENS1_38merge_mergepath_config_static_selectorELNS0_4arch9wavefront6targetE1EEEvSF_: ; @_ZN7rocprim17ROCPRIM_400000_NS6detail17trampoline_kernelINS0_14default_configENS1_38merge_sort_block_merge_config_selectorImNS0_10empty_typeEEEZZNS1_27merge_sort_block_merge_implIS3_PmPS5_jNS1_19radix_merge_compareILb0ELb0EmNS0_19identity_decomposerEEEEE10hipError_tT0_T1_T2_jT3_P12ihipStream_tbPNSt15iterator_traitsISE_E10value_typeEPNSK_ISF_E10value_typeEPSG_NS1_7vsmem_tEENKUlT_SE_SF_SG_E_clIS8_S8_S9_S9_EESD_ST_SE_SF_SG_EUlST_E0_NS1_11comp_targetILNS1_3genE9ELNS1_11target_archE1100ELNS1_3gpuE3ELNS1_3repE0EEENS1_38merge_mergepath_config_static_selectorELNS0_4arch9wavefront6targetE1EEEvSF_
; %bb.0:
	.section	.rodata,"a",@progbits
	.p2align	6, 0x0
	.amdhsa_kernel _ZN7rocprim17ROCPRIM_400000_NS6detail17trampoline_kernelINS0_14default_configENS1_38merge_sort_block_merge_config_selectorImNS0_10empty_typeEEEZZNS1_27merge_sort_block_merge_implIS3_PmPS5_jNS1_19radix_merge_compareILb0ELb0EmNS0_19identity_decomposerEEEEE10hipError_tT0_T1_T2_jT3_P12ihipStream_tbPNSt15iterator_traitsISE_E10value_typeEPNSK_ISF_E10value_typeEPSG_NS1_7vsmem_tEENKUlT_SE_SF_SG_E_clIS8_S8_S9_S9_EESD_ST_SE_SF_SG_EUlST_E0_NS1_11comp_targetILNS1_3genE9ELNS1_11target_archE1100ELNS1_3gpuE3ELNS1_3repE0EEENS1_38merge_mergepath_config_static_selectorELNS0_4arch9wavefront6targetE1EEEvSF_
		.amdhsa_group_segment_fixed_size 0
		.amdhsa_private_segment_fixed_size 0
		.amdhsa_kernarg_size 64
		.amdhsa_user_sgpr_count 6
		.amdhsa_user_sgpr_private_segment_buffer 1
		.amdhsa_user_sgpr_dispatch_ptr 0
		.amdhsa_user_sgpr_queue_ptr 0
		.amdhsa_user_sgpr_kernarg_segment_ptr 1
		.amdhsa_user_sgpr_dispatch_id 0
		.amdhsa_user_sgpr_flat_scratch_init 0
		.amdhsa_user_sgpr_kernarg_preload_length 0
		.amdhsa_user_sgpr_kernarg_preload_offset 0
		.amdhsa_user_sgpr_private_segment_size 0
		.amdhsa_uses_dynamic_stack 0
		.amdhsa_system_sgpr_private_segment_wavefront_offset 0
		.amdhsa_system_sgpr_workgroup_id_x 1
		.amdhsa_system_sgpr_workgroup_id_y 0
		.amdhsa_system_sgpr_workgroup_id_z 0
		.amdhsa_system_sgpr_workgroup_info 0
		.amdhsa_system_vgpr_workitem_id 0
		.amdhsa_next_free_vgpr 1
		.amdhsa_next_free_sgpr 0
		.amdhsa_accum_offset 4
		.amdhsa_reserve_vcc 0
		.amdhsa_reserve_flat_scratch 0
		.amdhsa_float_round_mode_32 0
		.amdhsa_float_round_mode_16_64 0
		.amdhsa_float_denorm_mode_32 3
		.amdhsa_float_denorm_mode_16_64 3
		.amdhsa_dx10_clamp 1
		.amdhsa_ieee_mode 1
		.amdhsa_fp16_overflow 0
		.amdhsa_tg_split 0
		.amdhsa_exception_fp_ieee_invalid_op 0
		.amdhsa_exception_fp_denorm_src 0
		.amdhsa_exception_fp_ieee_div_zero 0
		.amdhsa_exception_fp_ieee_overflow 0
		.amdhsa_exception_fp_ieee_underflow 0
		.amdhsa_exception_fp_ieee_inexact 0
		.amdhsa_exception_int_div_zero 0
	.end_amdhsa_kernel
	.section	.text._ZN7rocprim17ROCPRIM_400000_NS6detail17trampoline_kernelINS0_14default_configENS1_38merge_sort_block_merge_config_selectorImNS0_10empty_typeEEEZZNS1_27merge_sort_block_merge_implIS3_PmPS5_jNS1_19radix_merge_compareILb0ELb0EmNS0_19identity_decomposerEEEEE10hipError_tT0_T1_T2_jT3_P12ihipStream_tbPNSt15iterator_traitsISE_E10value_typeEPNSK_ISF_E10value_typeEPSG_NS1_7vsmem_tEENKUlT_SE_SF_SG_E_clIS8_S8_S9_S9_EESD_ST_SE_SF_SG_EUlST_E0_NS1_11comp_targetILNS1_3genE9ELNS1_11target_archE1100ELNS1_3gpuE3ELNS1_3repE0EEENS1_38merge_mergepath_config_static_selectorELNS0_4arch9wavefront6targetE1EEEvSF_,"axG",@progbits,_ZN7rocprim17ROCPRIM_400000_NS6detail17trampoline_kernelINS0_14default_configENS1_38merge_sort_block_merge_config_selectorImNS0_10empty_typeEEEZZNS1_27merge_sort_block_merge_implIS3_PmPS5_jNS1_19radix_merge_compareILb0ELb0EmNS0_19identity_decomposerEEEEE10hipError_tT0_T1_T2_jT3_P12ihipStream_tbPNSt15iterator_traitsISE_E10value_typeEPNSK_ISF_E10value_typeEPSG_NS1_7vsmem_tEENKUlT_SE_SF_SG_E_clIS8_S8_S9_S9_EESD_ST_SE_SF_SG_EUlST_E0_NS1_11comp_targetILNS1_3genE9ELNS1_11target_archE1100ELNS1_3gpuE3ELNS1_3repE0EEENS1_38merge_mergepath_config_static_selectorELNS0_4arch9wavefront6targetE1EEEvSF_,comdat
.Lfunc_end920:
	.size	_ZN7rocprim17ROCPRIM_400000_NS6detail17trampoline_kernelINS0_14default_configENS1_38merge_sort_block_merge_config_selectorImNS0_10empty_typeEEEZZNS1_27merge_sort_block_merge_implIS3_PmPS5_jNS1_19radix_merge_compareILb0ELb0EmNS0_19identity_decomposerEEEEE10hipError_tT0_T1_T2_jT3_P12ihipStream_tbPNSt15iterator_traitsISE_E10value_typeEPNSK_ISF_E10value_typeEPSG_NS1_7vsmem_tEENKUlT_SE_SF_SG_E_clIS8_S8_S9_S9_EESD_ST_SE_SF_SG_EUlST_E0_NS1_11comp_targetILNS1_3genE9ELNS1_11target_archE1100ELNS1_3gpuE3ELNS1_3repE0EEENS1_38merge_mergepath_config_static_selectorELNS0_4arch9wavefront6targetE1EEEvSF_, .Lfunc_end920-_ZN7rocprim17ROCPRIM_400000_NS6detail17trampoline_kernelINS0_14default_configENS1_38merge_sort_block_merge_config_selectorImNS0_10empty_typeEEEZZNS1_27merge_sort_block_merge_implIS3_PmPS5_jNS1_19radix_merge_compareILb0ELb0EmNS0_19identity_decomposerEEEEE10hipError_tT0_T1_T2_jT3_P12ihipStream_tbPNSt15iterator_traitsISE_E10value_typeEPNSK_ISF_E10value_typeEPSG_NS1_7vsmem_tEENKUlT_SE_SF_SG_E_clIS8_S8_S9_S9_EESD_ST_SE_SF_SG_EUlST_E0_NS1_11comp_targetILNS1_3genE9ELNS1_11target_archE1100ELNS1_3gpuE3ELNS1_3repE0EEENS1_38merge_mergepath_config_static_selectorELNS0_4arch9wavefront6targetE1EEEvSF_
                                        ; -- End function
	.section	.AMDGPU.csdata,"",@progbits
; Kernel info:
; codeLenInByte = 0
; NumSgprs: 4
; NumVgprs: 0
; NumAgprs: 0
; TotalNumVgprs: 0
; ScratchSize: 0
; MemoryBound: 0
; FloatMode: 240
; IeeeMode: 1
; LDSByteSize: 0 bytes/workgroup (compile time only)
; SGPRBlocks: 0
; VGPRBlocks: 0
; NumSGPRsForWavesPerEU: 4
; NumVGPRsForWavesPerEU: 1
; AccumOffset: 4
; Occupancy: 8
; WaveLimiterHint : 0
; COMPUTE_PGM_RSRC2:SCRATCH_EN: 0
; COMPUTE_PGM_RSRC2:USER_SGPR: 6
; COMPUTE_PGM_RSRC2:TRAP_HANDLER: 0
; COMPUTE_PGM_RSRC2:TGID_X_EN: 1
; COMPUTE_PGM_RSRC2:TGID_Y_EN: 0
; COMPUTE_PGM_RSRC2:TGID_Z_EN: 0
; COMPUTE_PGM_RSRC2:TIDIG_COMP_CNT: 0
; COMPUTE_PGM_RSRC3_GFX90A:ACCUM_OFFSET: 0
; COMPUTE_PGM_RSRC3_GFX90A:TG_SPLIT: 0
	.section	.text._ZN7rocprim17ROCPRIM_400000_NS6detail17trampoline_kernelINS0_14default_configENS1_38merge_sort_block_merge_config_selectorImNS0_10empty_typeEEEZZNS1_27merge_sort_block_merge_implIS3_PmPS5_jNS1_19radix_merge_compareILb0ELb0EmNS0_19identity_decomposerEEEEE10hipError_tT0_T1_T2_jT3_P12ihipStream_tbPNSt15iterator_traitsISE_E10value_typeEPNSK_ISF_E10value_typeEPSG_NS1_7vsmem_tEENKUlT_SE_SF_SG_E_clIS8_S8_S9_S9_EESD_ST_SE_SF_SG_EUlST_E0_NS1_11comp_targetILNS1_3genE8ELNS1_11target_archE1030ELNS1_3gpuE2ELNS1_3repE0EEENS1_38merge_mergepath_config_static_selectorELNS0_4arch9wavefront6targetE1EEEvSF_,"axG",@progbits,_ZN7rocprim17ROCPRIM_400000_NS6detail17trampoline_kernelINS0_14default_configENS1_38merge_sort_block_merge_config_selectorImNS0_10empty_typeEEEZZNS1_27merge_sort_block_merge_implIS3_PmPS5_jNS1_19radix_merge_compareILb0ELb0EmNS0_19identity_decomposerEEEEE10hipError_tT0_T1_T2_jT3_P12ihipStream_tbPNSt15iterator_traitsISE_E10value_typeEPNSK_ISF_E10value_typeEPSG_NS1_7vsmem_tEENKUlT_SE_SF_SG_E_clIS8_S8_S9_S9_EESD_ST_SE_SF_SG_EUlST_E0_NS1_11comp_targetILNS1_3genE8ELNS1_11target_archE1030ELNS1_3gpuE2ELNS1_3repE0EEENS1_38merge_mergepath_config_static_selectorELNS0_4arch9wavefront6targetE1EEEvSF_,comdat
	.protected	_ZN7rocprim17ROCPRIM_400000_NS6detail17trampoline_kernelINS0_14default_configENS1_38merge_sort_block_merge_config_selectorImNS0_10empty_typeEEEZZNS1_27merge_sort_block_merge_implIS3_PmPS5_jNS1_19radix_merge_compareILb0ELb0EmNS0_19identity_decomposerEEEEE10hipError_tT0_T1_T2_jT3_P12ihipStream_tbPNSt15iterator_traitsISE_E10value_typeEPNSK_ISF_E10value_typeEPSG_NS1_7vsmem_tEENKUlT_SE_SF_SG_E_clIS8_S8_S9_S9_EESD_ST_SE_SF_SG_EUlST_E0_NS1_11comp_targetILNS1_3genE8ELNS1_11target_archE1030ELNS1_3gpuE2ELNS1_3repE0EEENS1_38merge_mergepath_config_static_selectorELNS0_4arch9wavefront6targetE1EEEvSF_ ; -- Begin function _ZN7rocprim17ROCPRIM_400000_NS6detail17trampoline_kernelINS0_14default_configENS1_38merge_sort_block_merge_config_selectorImNS0_10empty_typeEEEZZNS1_27merge_sort_block_merge_implIS3_PmPS5_jNS1_19radix_merge_compareILb0ELb0EmNS0_19identity_decomposerEEEEE10hipError_tT0_T1_T2_jT3_P12ihipStream_tbPNSt15iterator_traitsISE_E10value_typeEPNSK_ISF_E10value_typeEPSG_NS1_7vsmem_tEENKUlT_SE_SF_SG_E_clIS8_S8_S9_S9_EESD_ST_SE_SF_SG_EUlST_E0_NS1_11comp_targetILNS1_3genE8ELNS1_11target_archE1030ELNS1_3gpuE2ELNS1_3repE0EEENS1_38merge_mergepath_config_static_selectorELNS0_4arch9wavefront6targetE1EEEvSF_
	.globl	_ZN7rocprim17ROCPRIM_400000_NS6detail17trampoline_kernelINS0_14default_configENS1_38merge_sort_block_merge_config_selectorImNS0_10empty_typeEEEZZNS1_27merge_sort_block_merge_implIS3_PmPS5_jNS1_19radix_merge_compareILb0ELb0EmNS0_19identity_decomposerEEEEE10hipError_tT0_T1_T2_jT3_P12ihipStream_tbPNSt15iterator_traitsISE_E10value_typeEPNSK_ISF_E10value_typeEPSG_NS1_7vsmem_tEENKUlT_SE_SF_SG_E_clIS8_S8_S9_S9_EESD_ST_SE_SF_SG_EUlST_E0_NS1_11comp_targetILNS1_3genE8ELNS1_11target_archE1030ELNS1_3gpuE2ELNS1_3repE0EEENS1_38merge_mergepath_config_static_selectorELNS0_4arch9wavefront6targetE1EEEvSF_
	.p2align	8
	.type	_ZN7rocprim17ROCPRIM_400000_NS6detail17trampoline_kernelINS0_14default_configENS1_38merge_sort_block_merge_config_selectorImNS0_10empty_typeEEEZZNS1_27merge_sort_block_merge_implIS3_PmPS5_jNS1_19radix_merge_compareILb0ELb0EmNS0_19identity_decomposerEEEEE10hipError_tT0_T1_T2_jT3_P12ihipStream_tbPNSt15iterator_traitsISE_E10value_typeEPNSK_ISF_E10value_typeEPSG_NS1_7vsmem_tEENKUlT_SE_SF_SG_E_clIS8_S8_S9_S9_EESD_ST_SE_SF_SG_EUlST_E0_NS1_11comp_targetILNS1_3genE8ELNS1_11target_archE1030ELNS1_3gpuE2ELNS1_3repE0EEENS1_38merge_mergepath_config_static_selectorELNS0_4arch9wavefront6targetE1EEEvSF_,@function
_ZN7rocprim17ROCPRIM_400000_NS6detail17trampoline_kernelINS0_14default_configENS1_38merge_sort_block_merge_config_selectorImNS0_10empty_typeEEEZZNS1_27merge_sort_block_merge_implIS3_PmPS5_jNS1_19radix_merge_compareILb0ELb0EmNS0_19identity_decomposerEEEEE10hipError_tT0_T1_T2_jT3_P12ihipStream_tbPNSt15iterator_traitsISE_E10value_typeEPNSK_ISF_E10value_typeEPSG_NS1_7vsmem_tEENKUlT_SE_SF_SG_E_clIS8_S8_S9_S9_EESD_ST_SE_SF_SG_EUlST_E0_NS1_11comp_targetILNS1_3genE8ELNS1_11target_archE1030ELNS1_3gpuE2ELNS1_3repE0EEENS1_38merge_mergepath_config_static_selectorELNS0_4arch9wavefront6targetE1EEEvSF_: ; @_ZN7rocprim17ROCPRIM_400000_NS6detail17trampoline_kernelINS0_14default_configENS1_38merge_sort_block_merge_config_selectorImNS0_10empty_typeEEEZZNS1_27merge_sort_block_merge_implIS3_PmPS5_jNS1_19radix_merge_compareILb0ELb0EmNS0_19identity_decomposerEEEEE10hipError_tT0_T1_T2_jT3_P12ihipStream_tbPNSt15iterator_traitsISE_E10value_typeEPNSK_ISF_E10value_typeEPSG_NS1_7vsmem_tEENKUlT_SE_SF_SG_E_clIS8_S8_S9_S9_EESD_ST_SE_SF_SG_EUlST_E0_NS1_11comp_targetILNS1_3genE8ELNS1_11target_archE1030ELNS1_3gpuE2ELNS1_3repE0EEENS1_38merge_mergepath_config_static_selectorELNS0_4arch9wavefront6targetE1EEEvSF_
; %bb.0:
	.section	.rodata,"a",@progbits
	.p2align	6, 0x0
	.amdhsa_kernel _ZN7rocprim17ROCPRIM_400000_NS6detail17trampoline_kernelINS0_14default_configENS1_38merge_sort_block_merge_config_selectorImNS0_10empty_typeEEEZZNS1_27merge_sort_block_merge_implIS3_PmPS5_jNS1_19radix_merge_compareILb0ELb0EmNS0_19identity_decomposerEEEEE10hipError_tT0_T1_T2_jT3_P12ihipStream_tbPNSt15iterator_traitsISE_E10value_typeEPNSK_ISF_E10value_typeEPSG_NS1_7vsmem_tEENKUlT_SE_SF_SG_E_clIS8_S8_S9_S9_EESD_ST_SE_SF_SG_EUlST_E0_NS1_11comp_targetILNS1_3genE8ELNS1_11target_archE1030ELNS1_3gpuE2ELNS1_3repE0EEENS1_38merge_mergepath_config_static_selectorELNS0_4arch9wavefront6targetE1EEEvSF_
		.amdhsa_group_segment_fixed_size 0
		.amdhsa_private_segment_fixed_size 0
		.amdhsa_kernarg_size 64
		.amdhsa_user_sgpr_count 6
		.amdhsa_user_sgpr_private_segment_buffer 1
		.amdhsa_user_sgpr_dispatch_ptr 0
		.amdhsa_user_sgpr_queue_ptr 0
		.amdhsa_user_sgpr_kernarg_segment_ptr 1
		.amdhsa_user_sgpr_dispatch_id 0
		.amdhsa_user_sgpr_flat_scratch_init 0
		.amdhsa_user_sgpr_kernarg_preload_length 0
		.amdhsa_user_sgpr_kernarg_preload_offset 0
		.amdhsa_user_sgpr_private_segment_size 0
		.amdhsa_uses_dynamic_stack 0
		.amdhsa_system_sgpr_private_segment_wavefront_offset 0
		.amdhsa_system_sgpr_workgroup_id_x 1
		.amdhsa_system_sgpr_workgroup_id_y 0
		.amdhsa_system_sgpr_workgroup_id_z 0
		.amdhsa_system_sgpr_workgroup_info 0
		.amdhsa_system_vgpr_workitem_id 0
		.amdhsa_next_free_vgpr 1
		.amdhsa_next_free_sgpr 0
		.amdhsa_accum_offset 4
		.amdhsa_reserve_vcc 0
		.amdhsa_reserve_flat_scratch 0
		.amdhsa_float_round_mode_32 0
		.amdhsa_float_round_mode_16_64 0
		.amdhsa_float_denorm_mode_32 3
		.amdhsa_float_denorm_mode_16_64 3
		.amdhsa_dx10_clamp 1
		.amdhsa_ieee_mode 1
		.amdhsa_fp16_overflow 0
		.amdhsa_tg_split 0
		.amdhsa_exception_fp_ieee_invalid_op 0
		.amdhsa_exception_fp_denorm_src 0
		.amdhsa_exception_fp_ieee_div_zero 0
		.amdhsa_exception_fp_ieee_overflow 0
		.amdhsa_exception_fp_ieee_underflow 0
		.amdhsa_exception_fp_ieee_inexact 0
		.amdhsa_exception_int_div_zero 0
	.end_amdhsa_kernel
	.section	.text._ZN7rocprim17ROCPRIM_400000_NS6detail17trampoline_kernelINS0_14default_configENS1_38merge_sort_block_merge_config_selectorImNS0_10empty_typeEEEZZNS1_27merge_sort_block_merge_implIS3_PmPS5_jNS1_19radix_merge_compareILb0ELb0EmNS0_19identity_decomposerEEEEE10hipError_tT0_T1_T2_jT3_P12ihipStream_tbPNSt15iterator_traitsISE_E10value_typeEPNSK_ISF_E10value_typeEPSG_NS1_7vsmem_tEENKUlT_SE_SF_SG_E_clIS8_S8_S9_S9_EESD_ST_SE_SF_SG_EUlST_E0_NS1_11comp_targetILNS1_3genE8ELNS1_11target_archE1030ELNS1_3gpuE2ELNS1_3repE0EEENS1_38merge_mergepath_config_static_selectorELNS0_4arch9wavefront6targetE1EEEvSF_,"axG",@progbits,_ZN7rocprim17ROCPRIM_400000_NS6detail17trampoline_kernelINS0_14default_configENS1_38merge_sort_block_merge_config_selectorImNS0_10empty_typeEEEZZNS1_27merge_sort_block_merge_implIS3_PmPS5_jNS1_19radix_merge_compareILb0ELb0EmNS0_19identity_decomposerEEEEE10hipError_tT0_T1_T2_jT3_P12ihipStream_tbPNSt15iterator_traitsISE_E10value_typeEPNSK_ISF_E10value_typeEPSG_NS1_7vsmem_tEENKUlT_SE_SF_SG_E_clIS8_S8_S9_S9_EESD_ST_SE_SF_SG_EUlST_E0_NS1_11comp_targetILNS1_3genE8ELNS1_11target_archE1030ELNS1_3gpuE2ELNS1_3repE0EEENS1_38merge_mergepath_config_static_selectorELNS0_4arch9wavefront6targetE1EEEvSF_,comdat
.Lfunc_end921:
	.size	_ZN7rocprim17ROCPRIM_400000_NS6detail17trampoline_kernelINS0_14default_configENS1_38merge_sort_block_merge_config_selectorImNS0_10empty_typeEEEZZNS1_27merge_sort_block_merge_implIS3_PmPS5_jNS1_19radix_merge_compareILb0ELb0EmNS0_19identity_decomposerEEEEE10hipError_tT0_T1_T2_jT3_P12ihipStream_tbPNSt15iterator_traitsISE_E10value_typeEPNSK_ISF_E10value_typeEPSG_NS1_7vsmem_tEENKUlT_SE_SF_SG_E_clIS8_S8_S9_S9_EESD_ST_SE_SF_SG_EUlST_E0_NS1_11comp_targetILNS1_3genE8ELNS1_11target_archE1030ELNS1_3gpuE2ELNS1_3repE0EEENS1_38merge_mergepath_config_static_selectorELNS0_4arch9wavefront6targetE1EEEvSF_, .Lfunc_end921-_ZN7rocprim17ROCPRIM_400000_NS6detail17trampoline_kernelINS0_14default_configENS1_38merge_sort_block_merge_config_selectorImNS0_10empty_typeEEEZZNS1_27merge_sort_block_merge_implIS3_PmPS5_jNS1_19radix_merge_compareILb0ELb0EmNS0_19identity_decomposerEEEEE10hipError_tT0_T1_T2_jT3_P12ihipStream_tbPNSt15iterator_traitsISE_E10value_typeEPNSK_ISF_E10value_typeEPSG_NS1_7vsmem_tEENKUlT_SE_SF_SG_E_clIS8_S8_S9_S9_EESD_ST_SE_SF_SG_EUlST_E0_NS1_11comp_targetILNS1_3genE8ELNS1_11target_archE1030ELNS1_3gpuE2ELNS1_3repE0EEENS1_38merge_mergepath_config_static_selectorELNS0_4arch9wavefront6targetE1EEEvSF_
                                        ; -- End function
	.section	.AMDGPU.csdata,"",@progbits
; Kernel info:
; codeLenInByte = 0
; NumSgprs: 4
; NumVgprs: 0
; NumAgprs: 0
; TotalNumVgprs: 0
; ScratchSize: 0
; MemoryBound: 0
; FloatMode: 240
; IeeeMode: 1
; LDSByteSize: 0 bytes/workgroup (compile time only)
; SGPRBlocks: 0
; VGPRBlocks: 0
; NumSGPRsForWavesPerEU: 4
; NumVGPRsForWavesPerEU: 1
; AccumOffset: 4
; Occupancy: 8
; WaveLimiterHint : 0
; COMPUTE_PGM_RSRC2:SCRATCH_EN: 0
; COMPUTE_PGM_RSRC2:USER_SGPR: 6
; COMPUTE_PGM_RSRC2:TRAP_HANDLER: 0
; COMPUTE_PGM_RSRC2:TGID_X_EN: 1
; COMPUTE_PGM_RSRC2:TGID_Y_EN: 0
; COMPUTE_PGM_RSRC2:TGID_Z_EN: 0
; COMPUTE_PGM_RSRC2:TIDIG_COMP_CNT: 0
; COMPUTE_PGM_RSRC3_GFX90A:ACCUM_OFFSET: 0
; COMPUTE_PGM_RSRC3_GFX90A:TG_SPLIT: 0
	.section	.text._ZN7rocprim17ROCPRIM_400000_NS6detail17trampoline_kernelINS0_14default_configENS1_38merge_sort_block_merge_config_selectorImNS0_10empty_typeEEEZZNS1_27merge_sort_block_merge_implIS3_PmPS5_jNS1_19radix_merge_compareILb0ELb0EmNS0_19identity_decomposerEEEEE10hipError_tT0_T1_T2_jT3_P12ihipStream_tbPNSt15iterator_traitsISE_E10value_typeEPNSK_ISF_E10value_typeEPSG_NS1_7vsmem_tEENKUlT_SE_SF_SG_E_clIS8_S8_S9_S9_EESD_ST_SE_SF_SG_EUlST_E1_NS1_11comp_targetILNS1_3genE0ELNS1_11target_archE4294967295ELNS1_3gpuE0ELNS1_3repE0EEENS1_36merge_oddeven_config_static_selectorELNS0_4arch9wavefront6targetE1EEEvSF_,"axG",@progbits,_ZN7rocprim17ROCPRIM_400000_NS6detail17trampoline_kernelINS0_14default_configENS1_38merge_sort_block_merge_config_selectorImNS0_10empty_typeEEEZZNS1_27merge_sort_block_merge_implIS3_PmPS5_jNS1_19radix_merge_compareILb0ELb0EmNS0_19identity_decomposerEEEEE10hipError_tT0_T1_T2_jT3_P12ihipStream_tbPNSt15iterator_traitsISE_E10value_typeEPNSK_ISF_E10value_typeEPSG_NS1_7vsmem_tEENKUlT_SE_SF_SG_E_clIS8_S8_S9_S9_EESD_ST_SE_SF_SG_EUlST_E1_NS1_11comp_targetILNS1_3genE0ELNS1_11target_archE4294967295ELNS1_3gpuE0ELNS1_3repE0EEENS1_36merge_oddeven_config_static_selectorELNS0_4arch9wavefront6targetE1EEEvSF_,comdat
	.protected	_ZN7rocprim17ROCPRIM_400000_NS6detail17trampoline_kernelINS0_14default_configENS1_38merge_sort_block_merge_config_selectorImNS0_10empty_typeEEEZZNS1_27merge_sort_block_merge_implIS3_PmPS5_jNS1_19radix_merge_compareILb0ELb0EmNS0_19identity_decomposerEEEEE10hipError_tT0_T1_T2_jT3_P12ihipStream_tbPNSt15iterator_traitsISE_E10value_typeEPNSK_ISF_E10value_typeEPSG_NS1_7vsmem_tEENKUlT_SE_SF_SG_E_clIS8_S8_S9_S9_EESD_ST_SE_SF_SG_EUlST_E1_NS1_11comp_targetILNS1_3genE0ELNS1_11target_archE4294967295ELNS1_3gpuE0ELNS1_3repE0EEENS1_36merge_oddeven_config_static_selectorELNS0_4arch9wavefront6targetE1EEEvSF_ ; -- Begin function _ZN7rocprim17ROCPRIM_400000_NS6detail17trampoline_kernelINS0_14default_configENS1_38merge_sort_block_merge_config_selectorImNS0_10empty_typeEEEZZNS1_27merge_sort_block_merge_implIS3_PmPS5_jNS1_19radix_merge_compareILb0ELb0EmNS0_19identity_decomposerEEEEE10hipError_tT0_T1_T2_jT3_P12ihipStream_tbPNSt15iterator_traitsISE_E10value_typeEPNSK_ISF_E10value_typeEPSG_NS1_7vsmem_tEENKUlT_SE_SF_SG_E_clIS8_S8_S9_S9_EESD_ST_SE_SF_SG_EUlST_E1_NS1_11comp_targetILNS1_3genE0ELNS1_11target_archE4294967295ELNS1_3gpuE0ELNS1_3repE0EEENS1_36merge_oddeven_config_static_selectorELNS0_4arch9wavefront6targetE1EEEvSF_
	.globl	_ZN7rocprim17ROCPRIM_400000_NS6detail17trampoline_kernelINS0_14default_configENS1_38merge_sort_block_merge_config_selectorImNS0_10empty_typeEEEZZNS1_27merge_sort_block_merge_implIS3_PmPS5_jNS1_19radix_merge_compareILb0ELb0EmNS0_19identity_decomposerEEEEE10hipError_tT0_T1_T2_jT3_P12ihipStream_tbPNSt15iterator_traitsISE_E10value_typeEPNSK_ISF_E10value_typeEPSG_NS1_7vsmem_tEENKUlT_SE_SF_SG_E_clIS8_S8_S9_S9_EESD_ST_SE_SF_SG_EUlST_E1_NS1_11comp_targetILNS1_3genE0ELNS1_11target_archE4294967295ELNS1_3gpuE0ELNS1_3repE0EEENS1_36merge_oddeven_config_static_selectorELNS0_4arch9wavefront6targetE1EEEvSF_
	.p2align	8
	.type	_ZN7rocprim17ROCPRIM_400000_NS6detail17trampoline_kernelINS0_14default_configENS1_38merge_sort_block_merge_config_selectorImNS0_10empty_typeEEEZZNS1_27merge_sort_block_merge_implIS3_PmPS5_jNS1_19radix_merge_compareILb0ELb0EmNS0_19identity_decomposerEEEEE10hipError_tT0_T1_T2_jT3_P12ihipStream_tbPNSt15iterator_traitsISE_E10value_typeEPNSK_ISF_E10value_typeEPSG_NS1_7vsmem_tEENKUlT_SE_SF_SG_E_clIS8_S8_S9_S9_EESD_ST_SE_SF_SG_EUlST_E1_NS1_11comp_targetILNS1_3genE0ELNS1_11target_archE4294967295ELNS1_3gpuE0ELNS1_3repE0EEENS1_36merge_oddeven_config_static_selectorELNS0_4arch9wavefront6targetE1EEEvSF_,@function
_ZN7rocprim17ROCPRIM_400000_NS6detail17trampoline_kernelINS0_14default_configENS1_38merge_sort_block_merge_config_selectorImNS0_10empty_typeEEEZZNS1_27merge_sort_block_merge_implIS3_PmPS5_jNS1_19radix_merge_compareILb0ELb0EmNS0_19identity_decomposerEEEEE10hipError_tT0_T1_T2_jT3_P12ihipStream_tbPNSt15iterator_traitsISE_E10value_typeEPNSK_ISF_E10value_typeEPSG_NS1_7vsmem_tEENKUlT_SE_SF_SG_E_clIS8_S8_S9_S9_EESD_ST_SE_SF_SG_EUlST_E1_NS1_11comp_targetILNS1_3genE0ELNS1_11target_archE4294967295ELNS1_3gpuE0ELNS1_3repE0EEENS1_36merge_oddeven_config_static_selectorELNS0_4arch9wavefront6targetE1EEEvSF_: ; @_ZN7rocprim17ROCPRIM_400000_NS6detail17trampoline_kernelINS0_14default_configENS1_38merge_sort_block_merge_config_selectorImNS0_10empty_typeEEEZZNS1_27merge_sort_block_merge_implIS3_PmPS5_jNS1_19radix_merge_compareILb0ELb0EmNS0_19identity_decomposerEEEEE10hipError_tT0_T1_T2_jT3_P12ihipStream_tbPNSt15iterator_traitsISE_E10value_typeEPNSK_ISF_E10value_typeEPSG_NS1_7vsmem_tEENKUlT_SE_SF_SG_E_clIS8_S8_S9_S9_EESD_ST_SE_SF_SG_EUlST_E1_NS1_11comp_targetILNS1_3genE0ELNS1_11target_archE4294967295ELNS1_3gpuE0ELNS1_3repE0EEENS1_36merge_oddeven_config_static_selectorELNS0_4arch9wavefront6targetE1EEEvSF_
; %bb.0:
	.section	.rodata,"a",@progbits
	.p2align	6, 0x0
	.amdhsa_kernel _ZN7rocprim17ROCPRIM_400000_NS6detail17trampoline_kernelINS0_14default_configENS1_38merge_sort_block_merge_config_selectorImNS0_10empty_typeEEEZZNS1_27merge_sort_block_merge_implIS3_PmPS5_jNS1_19radix_merge_compareILb0ELb0EmNS0_19identity_decomposerEEEEE10hipError_tT0_T1_T2_jT3_P12ihipStream_tbPNSt15iterator_traitsISE_E10value_typeEPNSK_ISF_E10value_typeEPSG_NS1_7vsmem_tEENKUlT_SE_SF_SG_E_clIS8_S8_S9_S9_EESD_ST_SE_SF_SG_EUlST_E1_NS1_11comp_targetILNS1_3genE0ELNS1_11target_archE4294967295ELNS1_3gpuE0ELNS1_3repE0EEENS1_36merge_oddeven_config_static_selectorELNS0_4arch9wavefront6targetE1EEEvSF_
		.amdhsa_group_segment_fixed_size 0
		.amdhsa_private_segment_fixed_size 0
		.amdhsa_kernarg_size 48
		.amdhsa_user_sgpr_count 6
		.amdhsa_user_sgpr_private_segment_buffer 1
		.amdhsa_user_sgpr_dispatch_ptr 0
		.amdhsa_user_sgpr_queue_ptr 0
		.amdhsa_user_sgpr_kernarg_segment_ptr 1
		.amdhsa_user_sgpr_dispatch_id 0
		.amdhsa_user_sgpr_flat_scratch_init 0
		.amdhsa_user_sgpr_kernarg_preload_length 0
		.amdhsa_user_sgpr_kernarg_preload_offset 0
		.amdhsa_user_sgpr_private_segment_size 0
		.amdhsa_uses_dynamic_stack 0
		.amdhsa_system_sgpr_private_segment_wavefront_offset 0
		.amdhsa_system_sgpr_workgroup_id_x 1
		.amdhsa_system_sgpr_workgroup_id_y 0
		.amdhsa_system_sgpr_workgroup_id_z 0
		.amdhsa_system_sgpr_workgroup_info 0
		.amdhsa_system_vgpr_workitem_id 0
		.amdhsa_next_free_vgpr 1
		.amdhsa_next_free_sgpr 0
		.amdhsa_accum_offset 4
		.amdhsa_reserve_vcc 0
		.amdhsa_reserve_flat_scratch 0
		.amdhsa_float_round_mode_32 0
		.amdhsa_float_round_mode_16_64 0
		.amdhsa_float_denorm_mode_32 3
		.amdhsa_float_denorm_mode_16_64 3
		.amdhsa_dx10_clamp 1
		.amdhsa_ieee_mode 1
		.amdhsa_fp16_overflow 0
		.amdhsa_tg_split 0
		.amdhsa_exception_fp_ieee_invalid_op 0
		.amdhsa_exception_fp_denorm_src 0
		.amdhsa_exception_fp_ieee_div_zero 0
		.amdhsa_exception_fp_ieee_overflow 0
		.amdhsa_exception_fp_ieee_underflow 0
		.amdhsa_exception_fp_ieee_inexact 0
		.amdhsa_exception_int_div_zero 0
	.end_amdhsa_kernel
	.section	.text._ZN7rocprim17ROCPRIM_400000_NS6detail17trampoline_kernelINS0_14default_configENS1_38merge_sort_block_merge_config_selectorImNS0_10empty_typeEEEZZNS1_27merge_sort_block_merge_implIS3_PmPS5_jNS1_19radix_merge_compareILb0ELb0EmNS0_19identity_decomposerEEEEE10hipError_tT0_T1_T2_jT3_P12ihipStream_tbPNSt15iterator_traitsISE_E10value_typeEPNSK_ISF_E10value_typeEPSG_NS1_7vsmem_tEENKUlT_SE_SF_SG_E_clIS8_S8_S9_S9_EESD_ST_SE_SF_SG_EUlST_E1_NS1_11comp_targetILNS1_3genE0ELNS1_11target_archE4294967295ELNS1_3gpuE0ELNS1_3repE0EEENS1_36merge_oddeven_config_static_selectorELNS0_4arch9wavefront6targetE1EEEvSF_,"axG",@progbits,_ZN7rocprim17ROCPRIM_400000_NS6detail17trampoline_kernelINS0_14default_configENS1_38merge_sort_block_merge_config_selectorImNS0_10empty_typeEEEZZNS1_27merge_sort_block_merge_implIS3_PmPS5_jNS1_19radix_merge_compareILb0ELb0EmNS0_19identity_decomposerEEEEE10hipError_tT0_T1_T2_jT3_P12ihipStream_tbPNSt15iterator_traitsISE_E10value_typeEPNSK_ISF_E10value_typeEPSG_NS1_7vsmem_tEENKUlT_SE_SF_SG_E_clIS8_S8_S9_S9_EESD_ST_SE_SF_SG_EUlST_E1_NS1_11comp_targetILNS1_3genE0ELNS1_11target_archE4294967295ELNS1_3gpuE0ELNS1_3repE0EEENS1_36merge_oddeven_config_static_selectorELNS0_4arch9wavefront6targetE1EEEvSF_,comdat
.Lfunc_end922:
	.size	_ZN7rocprim17ROCPRIM_400000_NS6detail17trampoline_kernelINS0_14default_configENS1_38merge_sort_block_merge_config_selectorImNS0_10empty_typeEEEZZNS1_27merge_sort_block_merge_implIS3_PmPS5_jNS1_19radix_merge_compareILb0ELb0EmNS0_19identity_decomposerEEEEE10hipError_tT0_T1_T2_jT3_P12ihipStream_tbPNSt15iterator_traitsISE_E10value_typeEPNSK_ISF_E10value_typeEPSG_NS1_7vsmem_tEENKUlT_SE_SF_SG_E_clIS8_S8_S9_S9_EESD_ST_SE_SF_SG_EUlST_E1_NS1_11comp_targetILNS1_3genE0ELNS1_11target_archE4294967295ELNS1_3gpuE0ELNS1_3repE0EEENS1_36merge_oddeven_config_static_selectorELNS0_4arch9wavefront6targetE1EEEvSF_, .Lfunc_end922-_ZN7rocprim17ROCPRIM_400000_NS6detail17trampoline_kernelINS0_14default_configENS1_38merge_sort_block_merge_config_selectorImNS0_10empty_typeEEEZZNS1_27merge_sort_block_merge_implIS3_PmPS5_jNS1_19radix_merge_compareILb0ELb0EmNS0_19identity_decomposerEEEEE10hipError_tT0_T1_T2_jT3_P12ihipStream_tbPNSt15iterator_traitsISE_E10value_typeEPNSK_ISF_E10value_typeEPSG_NS1_7vsmem_tEENKUlT_SE_SF_SG_E_clIS8_S8_S9_S9_EESD_ST_SE_SF_SG_EUlST_E1_NS1_11comp_targetILNS1_3genE0ELNS1_11target_archE4294967295ELNS1_3gpuE0ELNS1_3repE0EEENS1_36merge_oddeven_config_static_selectorELNS0_4arch9wavefront6targetE1EEEvSF_
                                        ; -- End function
	.section	.AMDGPU.csdata,"",@progbits
; Kernel info:
; codeLenInByte = 0
; NumSgprs: 4
; NumVgprs: 0
; NumAgprs: 0
; TotalNumVgprs: 0
; ScratchSize: 0
; MemoryBound: 0
; FloatMode: 240
; IeeeMode: 1
; LDSByteSize: 0 bytes/workgroup (compile time only)
; SGPRBlocks: 0
; VGPRBlocks: 0
; NumSGPRsForWavesPerEU: 4
; NumVGPRsForWavesPerEU: 1
; AccumOffset: 4
; Occupancy: 8
; WaveLimiterHint : 0
; COMPUTE_PGM_RSRC2:SCRATCH_EN: 0
; COMPUTE_PGM_RSRC2:USER_SGPR: 6
; COMPUTE_PGM_RSRC2:TRAP_HANDLER: 0
; COMPUTE_PGM_RSRC2:TGID_X_EN: 1
; COMPUTE_PGM_RSRC2:TGID_Y_EN: 0
; COMPUTE_PGM_RSRC2:TGID_Z_EN: 0
; COMPUTE_PGM_RSRC2:TIDIG_COMP_CNT: 0
; COMPUTE_PGM_RSRC3_GFX90A:ACCUM_OFFSET: 0
; COMPUTE_PGM_RSRC3_GFX90A:TG_SPLIT: 0
	.section	.text._ZN7rocprim17ROCPRIM_400000_NS6detail17trampoline_kernelINS0_14default_configENS1_38merge_sort_block_merge_config_selectorImNS0_10empty_typeEEEZZNS1_27merge_sort_block_merge_implIS3_PmPS5_jNS1_19radix_merge_compareILb0ELb0EmNS0_19identity_decomposerEEEEE10hipError_tT0_T1_T2_jT3_P12ihipStream_tbPNSt15iterator_traitsISE_E10value_typeEPNSK_ISF_E10value_typeEPSG_NS1_7vsmem_tEENKUlT_SE_SF_SG_E_clIS8_S8_S9_S9_EESD_ST_SE_SF_SG_EUlST_E1_NS1_11comp_targetILNS1_3genE10ELNS1_11target_archE1201ELNS1_3gpuE5ELNS1_3repE0EEENS1_36merge_oddeven_config_static_selectorELNS0_4arch9wavefront6targetE1EEEvSF_,"axG",@progbits,_ZN7rocprim17ROCPRIM_400000_NS6detail17trampoline_kernelINS0_14default_configENS1_38merge_sort_block_merge_config_selectorImNS0_10empty_typeEEEZZNS1_27merge_sort_block_merge_implIS3_PmPS5_jNS1_19radix_merge_compareILb0ELb0EmNS0_19identity_decomposerEEEEE10hipError_tT0_T1_T2_jT3_P12ihipStream_tbPNSt15iterator_traitsISE_E10value_typeEPNSK_ISF_E10value_typeEPSG_NS1_7vsmem_tEENKUlT_SE_SF_SG_E_clIS8_S8_S9_S9_EESD_ST_SE_SF_SG_EUlST_E1_NS1_11comp_targetILNS1_3genE10ELNS1_11target_archE1201ELNS1_3gpuE5ELNS1_3repE0EEENS1_36merge_oddeven_config_static_selectorELNS0_4arch9wavefront6targetE1EEEvSF_,comdat
	.protected	_ZN7rocprim17ROCPRIM_400000_NS6detail17trampoline_kernelINS0_14default_configENS1_38merge_sort_block_merge_config_selectorImNS0_10empty_typeEEEZZNS1_27merge_sort_block_merge_implIS3_PmPS5_jNS1_19radix_merge_compareILb0ELb0EmNS0_19identity_decomposerEEEEE10hipError_tT0_T1_T2_jT3_P12ihipStream_tbPNSt15iterator_traitsISE_E10value_typeEPNSK_ISF_E10value_typeEPSG_NS1_7vsmem_tEENKUlT_SE_SF_SG_E_clIS8_S8_S9_S9_EESD_ST_SE_SF_SG_EUlST_E1_NS1_11comp_targetILNS1_3genE10ELNS1_11target_archE1201ELNS1_3gpuE5ELNS1_3repE0EEENS1_36merge_oddeven_config_static_selectorELNS0_4arch9wavefront6targetE1EEEvSF_ ; -- Begin function _ZN7rocprim17ROCPRIM_400000_NS6detail17trampoline_kernelINS0_14default_configENS1_38merge_sort_block_merge_config_selectorImNS0_10empty_typeEEEZZNS1_27merge_sort_block_merge_implIS3_PmPS5_jNS1_19radix_merge_compareILb0ELb0EmNS0_19identity_decomposerEEEEE10hipError_tT0_T1_T2_jT3_P12ihipStream_tbPNSt15iterator_traitsISE_E10value_typeEPNSK_ISF_E10value_typeEPSG_NS1_7vsmem_tEENKUlT_SE_SF_SG_E_clIS8_S8_S9_S9_EESD_ST_SE_SF_SG_EUlST_E1_NS1_11comp_targetILNS1_3genE10ELNS1_11target_archE1201ELNS1_3gpuE5ELNS1_3repE0EEENS1_36merge_oddeven_config_static_selectorELNS0_4arch9wavefront6targetE1EEEvSF_
	.globl	_ZN7rocprim17ROCPRIM_400000_NS6detail17trampoline_kernelINS0_14default_configENS1_38merge_sort_block_merge_config_selectorImNS0_10empty_typeEEEZZNS1_27merge_sort_block_merge_implIS3_PmPS5_jNS1_19radix_merge_compareILb0ELb0EmNS0_19identity_decomposerEEEEE10hipError_tT0_T1_T2_jT3_P12ihipStream_tbPNSt15iterator_traitsISE_E10value_typeEPNSK_ISF_E10value_typeEPSG_NS1_7vsmem_tEENKUlT_SE_SF_SG_E_clIS8_S8_S9_S9_EESD_ST_SE_SF_SG_EUlST_E1_NS1_11comp_targetILNS1_3genE10ELNS1_11target_archE1201ELNS1_3gpuE5ELNS1_3repE0EEENS1_36merge_oddeven_config_static_selectorELNS0_4arch9wavefront6targetE1EEEvSF_
	.p2align	8
	.type	_ZN7rocprim17ROCPRIM_400000_NS6detail17trampoline_kernelINS0_14default_configENS1_38merge_sort_block_merge_config_selectorImNS0_10empty_typeEEEZZNS1_27merge_sort_block_merge_implIS3_PmPS5_jNS1_19radix_merge_compareILb0ELb0EmNS0_19identity_decomposerEEEEE10hipError_tT0_T1_T2_jT3_P12ihipStream_tbPNSt15iterator_traitsISE_E10value_typeEPNSK_ISF_E10value_typeEPSG_NS1_7vsmem_tEENKUlT_SE_SF_SG_E_clIS8_S8_S9_S9_EESD_ST_SE_SF_SG_EUlST_E1_NS1_11comp_targetILNS1_3genE10ELNS1_11target_archE1201ELNS1_3gpuE5ELNS1_3repE0EEENS1_36merge_oddeven_config_static_selectorELNS0_4arch9wavefront6targetE1EEEvSF_,@function
_ZN7rocprim17ROCPRIM_400000_NS6detail17trampoline_kernelINS0_14default_configENS1_38merge_sort_block_merge_config_selectorImNS0_10empty_typeEEEZZNS1_27merge_sort_block_merge_implIS3_PmPS5_jNS1_19radix_merge_compareILb0ELb0EmNS0_19identity_decomposerEEEEE10hipError_tT0_T1_T2_jT3_P12ihipStream_tbPNSt15iterator_traitsISE_E10value_typeEPNSK_ISF_E10value_typeEPSG_NS1_7vsmem_tEENKUlT_SE_SF_SG_E_clIS8_S8_S9_S9_EESD_ST_SE_SF_SG_EUlST_E1_NS1_11comp_targetILNS1_3genE10ELNS1_11target_archE1201ELNS1_3gpuE5ELNS1_3repE0EEENS1_36merge_oddeven_config_static_selectorELNS0_4arch9wavefront6targetE1EEEvSF_: ; @_ZN7rocprim17ROCPRIM_400000_NS6detail17trampoline_kernelINS0_14default_configENS1_38merge_sort_block_merge_config_selectorImNS0_10empty_typeEEEZZNS1_27merge_sort_block_merge_implIS3_PmPS5_jNS1_19radix_merge_compareILb0ELb0EmNS0_19identity_decomposerEEEEE10hipError_tT0_T1_T2_jT3_P12ihipStream_tbPNSt15iterator_traitsISE_E10value_typeEPNSK_ISF_E10value_typeEPSG_NS1_7vsmem_tEENKUlT_SE_SF_SG_E_clIS8_S8_S9_S9_EESD_ST_SE_SF_SG_EUlST_E1_NS1_11comp_targetILNS1_3genE10ELNS1_11target_archE1201ELNS1_3gpuE5ELNS1_3repE0EEENS1_36merge_oddeven_config_static_selectorELNS0_4arch9wavefront6targetE1EEEvSF_
; %bb.0:
	.section	.rodata,"a",@progbits
	.p2align	6, 0x0
	.amdhsa_kernel _ZN7rocprim17ROCPRIM_400000_NS6detail17trampoline_kernelINS0_14default_configENS1_38merge_sort_block_merge_config_selectorImNS0_10empty_typeEEEZZNS1_27merge_sort_block_merge_implIS3_PmPS5_jNS1_19radix_merge_compareILb0ELb0EmNS0_19identity_decomposerEEEEE10hipError_tT0_T1_T2_jT3_P12ihipStream_tbPNSt15iterator_traitsISE_E10value_typeEPNSK_ISF_E10value_typeEPSG_NS1_7vsmem_tEENKUlT_SE_SF_SG_E_clIS8_S8_S9_S9_EESD_ST_SE_SF_SG_EUlST_E1_NS1_11comp_targetILNS1_3genE10ELNS1_11target_archE1201ELNS1_3gpuE5ELNS1_3repE0EEENS1_36merge_oddeven_config_static_selectorELNS0_4arch9wavefront6targetE1EEEvSF_
		.amdhsa_group_segment_fixed_size 0
		.amdhsa_private_segment_fixed_size 0
		.amdhsa_kernarg_size 48
		.amdhsa_user_sgpr_count 6
		.amdhsa_user_sgpr_private_segment_buffer 1
		.amdhsa_user_sgpr_dispatch_ptr 0
		.amdhsa_user_sgpr_queue_ptr 0
		.amdhsa_user_sgpr_kernarg_segment_ptr 1
		.amdhsa_user_sgpr_dispatch_id 0
		.amdhsa_user_sgpr_flat_scratch_init 0
		.amdhsa_user_sgpr_kernarg_preload_length 0
		.amdhsa_user_sgpr_kernarg_preload_offset 0
		.amdhsa_user_sgpr_private_segment_size 0
		.amdhsa_uses_dynamic_stack 0
		.amdhsa_system_sgpr_private_segment_wavefront_offset 0
		.amdhsa_system_sgpr_workgroup_id_x 1
		.amdhsa_system_sgpr_workgroup_id_y 0
		.amdhsa_system_sgpr_workgroup_id_z 0
		.amdhsa_system_sgpr_workgroup_info 0
		.amdhsa_system_vgpr_workitem_id 0
		.amdhsa_next_free_vgpr 1
		.amdhsa_next_free_sgpr 0
		.amdhsa_accum_offset 4
		.amdhsa_reserve_vcc 0
		.amdhsa_reserve_flat_scratch 0
		.amdhsa_float_round_mode_32 0
		.amdhsa_float_round_mode_16_64 0
		.amdhsa_float_denorm_mode_32 3
		.amdhsa_float_denorm_mode_16_64 3
		.amdhsa_dx10_clamp 1
		.amdhsa_ieee_mode 1
		.amdhsa_fp16_overflow 0
		.amdhsa_tg_split 0
		.amdhsa_exception_fp_ieee_invalid_op 0
		.amdhsa_exception_fp_denorm_src 0
		.amdhsa_exception_fp_ieee_div_zero 0
		.amdhsa_exception_fp_ieee_overflow 0
		.amdhsa_exception_fp_ieee_underflow 0
		.amdhsa_exception_fp_ieee_inexact 0
		.amdhsa_exception_int_div_zero 0
	.end_amdhsa_kernel
	.section	.text._ZN7rocprim17ROCPRIM_400000_NS6detail17trampoline_kernelINS0_14default_configENS1_38merge_sort_block_merge_config_selectorImNS0_10empty_typeEEEZZNS1_27merge_sort_block_merge_implIS3_PmPS5_jNS1_19radix_merge_compareILb0ELb0EmNS0_19identity_decomposerEEEEE10hipError_tT0_T1_T2_jT3_P12ihipStream_tbPNSt15iterator_traitsISE_E10value_typeEPNSK_ISF_E10value_typeEPSG_NS1_7vsmem_tEENKUlT_SE_SF_SG_E_clIS8_S8_S9_S9_EESD_ST_SE_SF_SG_EUlST_E1_NS1_11comp_targetILNS1_3genE10ELNS1_11target_archE1201ELNS1_3gpuE5ELNS1_3repE0EEENS1_36merge_oddeven_config_static_selectorELNS0_4arch9wavefront6targetE1EEEvSF_,"axG",@progbits,_ZN7rocprim17ROCPRIM_400000_NS6detail17trampoline_kernelINS0_14default_configENS1_38merge_sort_block_merge_config_selectorImNS0_10empty_typeEEEZZNS1_27merge_sort_block_merge_implIS3_PmPS5_jNS1_19radix_merge_compareILb0ELb0EmNS0_19identity_decomposerEEEEE10hipError_tT0_T1_T2_jT3_P12ihipStream_tbPNSt15iterator_traitsISE_E10value_typeEPNSK_ISF_E10value_typeEPSG_NS1_7vsmem_tEENKUlT_SE_SF_SG_E_clIS8_S8_S9_S9_EESD_ST_SE_SF_SG_EUlST_E1_NS1_11comp_targetILNS1_3genE10ELNS1_11target_archE1201ELNS1_3gpuE5ELNS1_3repE0EEENS1_36merge_oddeven_config_static_selectorELNS0_4arch9wavefront6targetE1EEEvSF_,comdat
.Lfunc_end923:
	.size	_ZN7rocprim17ROCPRIM_400000_NS6detail17trampoline_kernelINS0_14default_configENS1_38merge_sort_block_merge_config_selectorImNS0_10empty_typeEEEZZNS1_27merge_sort_block_merge_implIS3_PmPS5_jNS1_19radix_merge_compareILb0ELb0EmNS0_19identity_decomposerEEEEE10hipError_tT0_T1_T2_jT3_P12ihipStream_tbPNSt15iterator_traitsISE_E10value_typeEPNSK_ISF_E10value_typeEPSG_NS1_7vsmem_tEENKUlT_SE_SF_SG_E_clIS8_S8_S9_S9_EESD_ST_SE_SF_SG_EUlST_E1_NS1_11comp_targetILNS1_3genE10ELNS1_11target_archE1201ELNS1_3gpuE5ELNS1_3repE0EEENS1_36merge_oddeven_config_static_selectorELNS0_4arch9wavefront6targetE1EEEvSF_, .Lfunc_end923-_ZN7rocprim17ROCPRIM_400000_NS6detail17trampoline_kernelINS0_14default_configENS1_38merge_sort_block_merge_config_selectorImNS0_10empty_typeEEEZZNS1_27merge_sort_block_merge_implIS3_PmPS5_jNS1_19radix_merge_compareILb0ELb0EmNS0_19identity_decomposerEEEEE10hipError_tT0_T1_T2_jT3_P12ihipStream_tbPNSt15iterator_traitsISE_E10value_typeEPNSK_ISF_E10value_typeEPSG_NS1_7vsmem_tEENKUlT_SE_SF_SG_E_clIS8_S8_S9_S9_EESD_ST_SE_SF_SG_EUlST_E1_NS1_11comp_targetILNS1_3genE10ELNS1_11target_archE1201ELNS1_3gpuE5ELNS1_3repE0EEENS1_36merge_oddeven_config_static_selectorELNS0_4arch9wavefront6targetE1EEEvSF_
                                        ; -- End function
	.section	.AMDGPU.csdata,"",@progbits
; Kernel info:
; codeLenInByte = 0
; NumSgprs: 4
; NumVgprs: 0
; NumAgprs: 0
; TotalNumVgprs: 0
; ScratchSize: 0
; MemoryBound: 0
; FloatMode: 240
; IeeeMode: 1
; LDSByteSize: 0 bytes/workgroup (compile time only)
; SGPRBlocks: 0
; VGPRBlocks: 0
; NumSGPRsForWavesPerEU: 4
; NumVGPRsForWavesPerEU: 1
; AccumOffset: 4
; Occupancy: 8
; WaveLimiterHint : 0
; COMPUTE_PGM_RSRC2:SCRATCH_EN: 0
; COMPUTE_PGM_RSRC2:USER_SGPR: 6
; COMPUTE_PGM_RSRC2:TRAP_HANDLER: 0
; COMPUTE_PGM_RSRC2:TGID_X_EN: 1
; COMPUTE_PGM_RSRC2:TGID_Y_EN: 0
; COMPUTE_PGM_RSRC2:TGID_Z_EN: 0
; COMPUTE_PGM_RSRC2:TIDIG_COMP_CNT: 0
; COMPUTE_PGM_RSRC3_GFX90A:ACCUM_OFFSET: 0
; COMPUTE_PGM_RSRC3_GFX90A:TG_SPLIT: 0
	.section	.text._ZN7rocprim17ROCPRIM_400000_NS6detail17trampoline_kernelINS0_14default_configENS1_38merge_sort_block_merge_config_selectorImNS0_10empty_typeEEEZZNS1_27merge_sort_block_merge_implIS3_PmPS5_jNS1_19radix_merge_compareILb0ELb0EmNS0_19identity_decomposerEEEEE10hipError_tT0_T1_T2_jT3_P12ihipStream_tbPNSt15iterator_traitsISE_E10value_typeEPNSK_ISF_E10value_typeEPSG_NS1_7vsmem_tEENKUlT_SE_SF_SG_E_clIS8_S8_S9_S9_EESD_ST_SE_SF_SG_EUlST_E1_NS1_11comp_targetILNS1_3genE5ELNS1_11target_archE942ELNS1_3gpuE9ELNS1_3repE0EEENS1_36merge_oddeven_config_static_selectorELNS0_4arch9wavefront6targetE1EEEvSF_,"axG",@progbits,_ZN7rocprim17ROCPRIM_400000_NS6detail17trampoline_kernelINS0_14default_configENS1_38merge_sort_block_merge_config_selectorImNS0_10empty_typeEEEZZNS1_27merge_sort_block_merge_implIS3_PmPS5_jNS1_19radix_merge_compareILb0ELb0EmNS0_19identity_decomposerEEEEE10hipError_tT0_T1_T2_jT3_P12ihipStream_tbPNSt15iterator_traitsISE_E10value_typeEPNSK_ISF_E10value_typeEPSG_NS1_7vsmem_tEENKUlT_SE_SF_SG_E_clIS8_S8_S9_S9_EESD_ST_SE_SF_SG_EUlST_E1_NS1_11comp_targetILNS1_3genE5ELNS1_11target_archE942ELNS1_3gpuE9ELNS1_3repE0EEENS1_36merge_oddeven_config_static_selectorELNS0_4arch9wavefront6targetE1EEEvSF_,comdat
	.protected	_ZN7rocprim17ROCPRIM_400000_NS6detail17trampoline_kernelINS0_14default_configENS1_38merge_sort_block_merge_config_selectorImNS0_10empty_typeEEEZZNS1_27merge_sort_block_merge_implIS3_PmPS5_jNS1_19radix_merge_compareILb0ELb0EmNS0_19identity_decomposerEEEEE10hipError_tT0_T1_T2_jT3_P12ihipStream_tbPNSt15iterator_traitsISE_E10value_typeEPNSK_ISF_E10value_typeEPSG_NS1_7vsmem_tEENKUlT_SE_SF_SG_E_clIS8_S8_S9_S9_EESD_ST_SE_SF_SG_EUlST_E1_NS1_11comp_targetILNS1_3genE5ELNS1_11target_archE942ELNS1_3gpuE9ELNS1_3repE0EEENS1_36merge_oddeven_config_static_selectorELNS0_4arch9wavefront6targetE1EEEvSF_ ; -- Begin function _ZN7rocprim17ROCPRIM_400000_NS6detail17trampoline_kernelINS0_14default_configENS1_38merge_sort_block_merge_config_selectorImNS0_10empty_typeEEEZZNS1_27merge_sort_block_merge_implIS3_PmPS5_jNS1_19radix_merge_compareILb0ELb0EmNS0_19identity_decomposerEEEEE10hipError_tT0_T1_T2_jT3_P12ihipStream_tbPNSt15iterator_traitsISE_E10value_typeEPNSK_ISF_E10value_typeEPSG_NS1_7vsmem_tEENKUlT_SE_SF_SG_E_clIS8_S8_S9_S9_EESD_ST_SE_SF_SG_EUlST_E1_NS1_11comp_targetILNS1_3genE5ELNS1_11target_archE942ELNS1_3gpuE9ELNS1_3repE0EEENS1_36merge_oddeven_config_static_selectorELNS0_4arch9wavefront6targetE1EEEvSF_
	.globl	_ZN7rocprim17ROCPRIM_400000_NS6detail17trampoline_kernelINS0_14default_configENS1_38merge_sort_block_merge_config_selectorImNS0_10empty_typeEEEZZNS1_27merge_sort_block_merge_implIS3_PmPS5_jNS1_19radix_merge_compareILb0ELb0EmNS0_19identity_decomposerEEEEE10hipError_tT0_T1_T2_jT3_P12ihipStream_tbPNSt15iterator_traitsISE_E10value_typeEPNSK_ISF_E10value_typeEPSG_NS1_7vsmem_tEENKUlT_SE_SF_SG_E_clIS8_S8_S9_S9_EESD_ST_SE_SF_SG_EUlST_E1_NS1_11comp_targetILNS1_3genE5ELNS1_11target_archE942ELNS1_3gpuE9ELNS1_3repE0EEENS1_36merge_oddeven_config_static_selectorELNS0_4arch9wavefront6targetE1EEEvSF_
	.p2align	8
	.type	_ZN7rocprim17ROCPRIM_400000_NS6detail17trampoline_kernelINS0_14default_configENS1_38merge_sort_block_merge_config_selectorImNS0_10empty_typeEEEZZNS1_27merge_sort_block_merge_implIS3_PmPS5_jNS1_19radix_merge_compareILb0ELb0EmNS0_19identity_decomposerEEEEE10hipError_tT0_T1_T2_jT3_P12ihipStream_tbPNSt15iterator_traitsISE_E10value_typeEPNSK_ISF_E10value_typeEPSG_NS1_7vsmem_tEENKUlT_SE_SF_SG_E_clIS8_S8_S9_S9_EESD_ST_SE_SF_SG_EUlST_E1_NS1_11comp_targetILNS1_3genE5ELNS1_11target_archE942ELNS1_3gpuE9ELNS1_3repE0EEENS1_36merge_oddeven_config_static_selectorELNS0_4arch9wavefront6targetE1EEEvSF_,@function
_ZN7rocprim17ROCPRIM_400000_NS6detail17trampoline_kernelINS0_14default_configENS1_38merge_sort_block_merge_config_selectorImNS0_10empty_typeEEEZZNS1_27merge_sort_block_merge_implIS3_PmPS5_jNS1_19radix_merge_compareILb0ELb0EmNS0_19identity_decomposerEEEEE10hipError_tT0_T1_T2_jT3_P12ihipStream_tbPNSt15iterator_traitsISE_E10value_typeEPNSK_ISF_E10value_typeEPSG_NS1_7vsmem_tEENKUlT_SE_SF_SG_E_clIS8_S8_S9_S9_EESD_ST_SE_SF_SG_EUlST_E1_NS1_11comp_targetILNS1_3genE5ELNS1_11target_archE942ELNS1_3gpuE9ELNS1_3repE0EEENS1_36merge_oddeven_config_static_selectorELNS0_4arch9wavefront6targetE1EEEvSF_: ; @_ZN7rocprim17ROCPRIM_400000_NS6detail17trampoline_kernelINS0_14default_configENS1_38merge_sort_block_merge_config_selectorImNS0_10empty_typeEEEZZNS1_27merge_sort_block_merge_implIS3_PmPS5_jNS1_19radix_merge_compareILb0ELb0EmNS0_19identity_decomposerEEEEE10hipError_tT0_T1_T2_jT3_P12ihipStream_tbPNSt15iterator_traitsISE_E10value_typeEPNSK_ISF_E10value_typeEPSG_NS1_7vsmem_tEENKUlT_SE_SF_SG_E_clIS8_S8_S9_S9_EESD_ST_SE_SF_SG_EUlST_E1_NS1_11comp_targetILNS1_3genE5ELNS1_11target_archE942ELNS1_3gpuE9ELNS1_3repE0EEENS1_36merge_oddeven_config_static_selectorELNS0_4arch9wavefront6targetE1EEEvSF_
; %bb.0:
	.section	.rodata,"a",@progbits
	.p2align	6, 0x0
	.amdhsa_kernel _ZN7rocprim17ROCPRIM_400000_NS6detail17trampoline_kernelINS0_14default_configENS1_38merge_sort_block_merge_config_selectorImNS0_10empty_typeEEEZZNS1_27merge_sort_block_merge_implIS3_PmPS5_jNS1_19radix_merge_compareILb0ELb0EmNS0_19identity_decomposerEEEEE10hipError_tT0_T1_T2_jT3_P12ihipStream_tbPNSt15iterator_traitsISE_E10value_typeEPNSK_ISF_E10value_typeEPSG_NS1_7vsmem_tEENKUlT_SE_SF_SG_E_clIS8_S8_S9_S9_EESD_ST_SE_SF_SG_EUlST_E1_NS1_11comp_targetILNS1_3genE5ELNS1_11target_archE942ELNS1_3gpuE9ELNS1_3repE0EEENS1_36merge_oddeven_config_static_selectorELNS0_4arch9wavefront6targetE1EEEvSF_
		.amdhsa_group_segment_fixed_size 0
		.amdhsa_private_segment_fixed_size 0
		.amdhsa_kernarg_size 48
		.amdhsa_user_sgpr_count 6
		.amdhsa_user_sgpr_private_segment_buffer 1
		.amdhsa_user_sgpr_dispatch_ptr 0
		.amdhsa_user_sgpr_queue_ptr 0
		.amdhsa_user_sgpr_kernarg_segment_ptr 1
		.amdhsa_user_sgpr_dispatch_id 0
		.amdhsa_user_sgpr_flat_scratch_init 0
		.amdhsa_user_sgpr_kernarg_preload_length 0
		.amdhsa_user_sgpr_kernarg_preload_offset 0
		.amdhsa_user_sgpr_private_segment_size 0
		.amdhsa_uses_dynamic_stack 0
		.amdhsa_system_sgpr_private_segment_wavefront_offset 0
		.amdhsa_system_sgpr_workgroup_id_x 1
		.amdhsa_system_sgpr_workgroup_id_y 0
		.amdhsa_system_sgpr_workgroup_id_z 0
		.amdhsa_system_sgpr_workgroup_info 0
		.amdhsa_system_vgpr_workitem_id 0
		.amdhsa_next_free_vgpr 1
		.amdhsa_next_free_sgpr 0
		.amdhsa_accum_offset 4
		.amdhsa_reserve_vcc 0
		.amdhsa_reserve_flat_scratch 0
		.amdhsa_float_round_mode_32 0
		.amdhsa_float_round_mode_16_64 0
		.amdhsa_float_denorm_mode_32 3
		.amdhsa_float_denorm_mode_16_64 3
		.amdhsa_dx10_clamp 1
		.amdhsa_ieee_mode 1
		.amdhsa_fp16_overflow 0
		.amdhsa_tg_split 0
		.amdhsa_exception_fp_ieee_invalid_op 0
		.amdhsa_exception_fp_denorm_src 0
		.amdhsa_exception_fp_ieee_div_zero 0
		.amdhsa_exception_fp_ieee_overflow 0
		.amdhsa_exception_fp_ieee_underflow 0
		.amdhsa_exception_fp_ieee_inexact 0
		.amdhsa_exception_int_div_zero 0
	.end_amdhsa_kernel
	.section	.text._ZN7rocprim17ROCPRIM_400000_NS6detail17trampoline_kernelINS0_14default_configENS1_38merge_sort_block_merge_config_selectorImNS0_10empty_typeEEEZZNS1_27merge_sort_block_merge_implIS3_PmPS5_jNS1_19radix_merge_compareILb0ELb0EmNS0_19identity_decomposerEEEEE10hipError_tT0_T1_T2_jT3_P12ihipStream_tbPNSt15iterator_traitsISE_E10value_typeEPNSK_ISF_E10value_typeEPSG_NS1_7vsmem_tEENKUlT_SE_SF_SG_E_clIS8_S8_S9_S9_EESD_ST_SE_SF_SG_EUlST_E1_NS1_11comp_targetILNS1_3genE5ELNS1_11target_archE942ELNS1_3gpuE9ELNS1_3repE0EEENS1_36merge_oddeven_config_static_selectorELNS0_4arch9wavefront6targetE1EEEvSF_,"axG",@progbits,_ZN7rocprim17ROCPRIM_400000_NS6detail17trampoline_kernelINS0_14default_configENS1_38merge_sort_block_merge_config_selectorImNS0_10empty_typeEEEZZNS1_27merge_sort_block_merge_implIS3_PmPS5_jNS1_19radix_merge_compareILb0ELb0EmNS0_19identity_decomposerEEEEE10hipError_tT0_T1_T2_jT3_P12ihipStream_tbPNSt15iterator_traitsISE_E10value_typeEPNSK_ISF_E10value_typeEPSG_NS1_7vsmem_tEENKUlT_SE_SF_SG_E_clIS8_S8_S9_S9_EESD_ST_SE_SF_SG_EUlST_E1_NS1_11comp_targetILNS1_3genE5ELNS1_11target_archE942ELNS1_3gpuE9ELNS1_3repE0EEENS1_36merge_oddeven_config_static_selectorELNS0_4arch9wavefront6targetE1EEEvSF_,comdat
.Lfunc_end924:
	.size	_ZN7rocprim17ROCPRIM_400000_NS6detail17trampoline_kernelINS0_14default_configENS1_38merge_sort_block_merge_config_selectorImNS0_10empty_typeEEEZZNS1_27merge_sort_block_merge_implIS3_PmPS5_jNS1_19radix_merge_compareILb0ELb0EmNS0_19identity_decomposerEEEEE10hipError_tT0_T1_T2_jT3_P12ihipStream_tbPNSt15iterator_traitsISE_E10value_typeEPNSK_ISF_E10value_typeEPSG_NS1_7vsmem_tEENKUlT_SE_SF_SG_E_clIS8_S8_S9_S9_EESD_ST_SE_SF_SG_EUlST_E1_NS1_11comp_targetILNS1_3genE5ELNS1_11target_archE942ELNS1_3gpuE9ELNS1_3repE0EEENS1_36merge_oddeven_config_static_selectorELNS0_4arch9wavefront6targetE1EEEvSF_, .Lfunc_end924-_ZN7rocprim17ROCPRIM_400000_NS6detail17trampoline_kernelINS0_14default_configENS1_38merge_sort_block_merge_config_selectorImNS0_10empty_typeEEEZZNS1_27merge_sort_block_merge_implIS3_PmPS5_jNS1_19radix_merge_compareILb0ELb0EmNS0_19identity_decomposerEEEEE10hipError_tT0_T1_T2_jT3_P12ihipStream_tbPNSt15iterator_traitsISE_E10value_typeEPNSK_ISF_E10value_typeEPSG_NS1_7vsmem_tEENKUlT_SE_SF_SG_E_clIS8_S8_S9_S9_EESD_ST_SE_SF_SG_EUlST_E1_NS1_11comp_targetILNS1_3genE5ELNS1_11target_archE942ELNS1_3gpuE9ELNS1_3repE0EEENS1_36merge_oddeven_config_static_selectorELNS0_4arch9wavefront6targetE1EEEvSF_
                                        ; -- End function
	.section	.AMDGPU.csdata,"",@progbits
; Kernel info:
; codeLenInByte = 0
; NumSgprs: 4
; NumVgprs: 0
; NumAgprs: 0
; TotalNumVgprs: 0
; ScratchSize: 0
; MemoryBound: 0
; FloatMode: 240
; IeeeMode: 1
; LDSByteSize: 0 bytes/workgroup (compile time only)
; SGPRBlocks: 0
; VGPRBlocks: 0
; NumSGPRsForWavesPerEU: 4
; NumVGPRsForWavesPerEU: 1
; AccumOffset: 4
; Occupancy: 8
; WaveLimiterHint : 0
; COMPUTE_PGM_RSRC2:SCRATCH_EN: 0
; COMPUTE_PGM_RSRC2:USER_SGPR: 6
; COMPUTE_PGM_RSRC2:TRAP_HANDLER: 0
; COMPUTE_PGM_RSRC2:TGID_X_EN: 1
; COMPUTE_PGM_RSRC2:TGID_Y_EN: 0
; COMPUTE_PGM_RSRC2:TGID_Z_EN: 0
; COMPUTE_PGM_RSRC2:TIDIG_COMP_CNT: 0
; COMPUTE_PGM_RSRC3_GFX90A:ACCUM_OFFSET: 0
; COMPUTE_PGM_RSRC3_GFX90A:TG_SPLIT: 0
	.section	.text._ZN7rocprim17ROCPRIM_400000_NS6detail17trampoline_kernelINS0_14default_configENS1_38merge_sort_block_merge_config_selectorImNS0_10empty_typeEEEZZNS1_27merge_sort_block_merge_implIS3_PmPS5_jNS1_19radix_merge_compareILb0ELb0EmNS0_19identity_decomposerEEEEE10hipError_tT0_T1_T2_jT3_P12ihipStream_tbPNSt15iterator_traitsISE_E10value_typeEPNSK_ISF_E10value_typeEPSG_NS1_7vsmem_tEENKUlT_SE_SF_SG_E_clIS8_S8_S9_S9_EESD_ST_SE_SF_SG_EUlST_E1_NS1_11comp_targetILNS1_3genE4ELNS1_11target_archE910ELNS1_3gpuE8ELNS1_3repE0EEENS1_36merge_oddeven_config_static_selectorELNS0_4arch9wavefront6targetE1EEEvSF_,"axG",@progbits,_ZN7rocprim17ROCPRIM_400000_NS6detail17trampoline_kernelINS0_14default_configENS1_38merge_sort_block_merge_config_selectorImNS0_10empty_typeEEEZZNS1_27merge_sort_block_merge_implIS3_PmPS5_jNS1_19radix_merge_compareILb0ELb0EmNS0_19identity_decomposerEEEEE10hipError_tT0_T1_T2_jT3_P12ihipStream_tbPNSt15iterator_traitsISE_E10value_typeEPNSK_ISF_E10value_typeEPSG_NS1_7vsmem_tEENKUlT_SE_SF_SG_E_clIS8_S8_S9_S9_EESD_ST_SE_SF_SG_EUlST_E1_NS1_11comp_targetILNS1_3genE4ELNS1_11target_archE910ELNS1_3gpuE8ELNS1_3repE0EEENS1_36merge_oddeven_config_static_selectorELNS0_4arch9wavefront6targetE1EEEvSF_,comdat
	.protected	_ZN7rocprim17ROCPRIM_400000_NS6detail17trampoline_kernelINS0_14default_configENS1_38merge_sort_block_merge_config_selectorImNS0_10empty_typeEEEZZNS1_27merge_sort_block_merge_implIS3_PmPS5_jNS1_19radix_merge_compareILb0ELb0EmNS0_19identity_decomposerEEEEE10hipError_tT0_T1_T2_jT3_P12ihipStream_tbPNSt15iterator_traitsISE_E10value_typeEPNSK_ISF_E10value_typeEPSG_NS1_7vsmem_tEENKUlT_SE_SF_SG_E_clIS8_S8_S9_S9_EESD_ST_SE_SF_SG_EUlST_E1_NS1_11comp_targetILNS1_3genE4ELNS1_11target_archE910ELNS1_3gpuE8ELNS1_3repE0EEENS1_36merge_oddeven_config_static_selectorELNS0_4arch9wavefront6targetE1EEEvSF_ ; -- Begin function _ZN7rocprim17ROCPRIM_400000_NS6detail17trampoline_kernelINS0_14default_configENS1_38merge_sort_block_merge_config_selectorImNS0_10empty_typeEEEZZNS1_27merge_sort_block_merge_implIS3_PmPS5_jNS1_19radix_merge_compareILb0ELb0EmNS0_19identity_decomposerEEEEE10hipError_tT0_T1_T2_jT3_P12ihipStream_tbPNSt15iterator_traitsISE_E10value_typeEPNSK_ISF_E10value_typeEPSG_NS1_7vsmem_tEENKUlT_SE_SF_SG_E_clIS8_S8_S9_S9_EESD_ST_SE_SF_SG_EUlST_E1_NS1_11comp_targetILNS1_3genE4ELNS1_11target_archE910ELNS1_3gpuE8ELNS1_3repE0EEENS1_36merge_oddeven_config_static_selectorELNS0_4arch9wavefront6targetE1EEEvSF_
	.globl	_ZN7rocprim17ROCPRIM_400000_NS6detail17trampoline_kernelINS0_14default_configENS1_38merge_sort_block_merge_config_selectorImNS0_10empty_typeEEEZZNS1_27merge_sort_block_merge_implIS3_PmPS5_jNS1_19radix_merge_compareILb0ELb0EmNS0_19identity_decomposerEEEEE10hipError_tT0_T1_T2_jT3_P12ihipStream_tbPNSt15iterator_traitsISE_E10value_typeEPNSK_ISF_E10value_typeEPSG_NS1_7vsmem_tEENKUlT_SE_SF_SG_E_clIS8_S8_S9_S9_EESD_ST_SE_SF_SG_EUlST_E1_NS1_11comp_targetILNS1_3genE4ELNS1_11target_archE910ELNS1_3gpuE8ELNS1_3repE0EEENS1_36merge_oddeven_config_static_selectorELNS0_4arch9wavefront6targetE1EEEvSF_
	.p2align	8
	.type	_ZN7rocprim17ROCPRIM_400000_NS6detail17trampoline_kernelINS0_14default_configENS1_38merge_sort_block_merge_config_selectorImNS0_10empty_typeEEEZZNS1_27merge_sort_block_merge_implIS3_PmPS5_jNS1_19radix_merge_compareILb0ELb0EmNS0_19identity_decomposerEEEEE10hipError_tT0_T1_T2_jT3_P12ihipStream_tbPNSt15iterator_traitsISE_E10value_typeEPNSK_ISF_E10value_typeEPSG_NS1_7vsmem_tEENKUlT_SE_SF_SG_E_clIS8_S8_S9_S9_EESD_ST_SE_SF_SG_EUlST_E1_NS1_11comp_targetILNS1_3genE4ELNS1_11target_archE910ELNS1_3gpuE8ELNS1_3repE0EEENS1_36merge_oddeven_config_static_selectorELNS0_4arch9wavefront6targetE1EEEvSF_,@function
_ZN7rocprim17ROCPRIM_400000_NS6detail17trampoline_kernelINS0_14default_configENS1_38merge_sort_block_merge_config_selectorImNS0_10empty_typeEEEZZNS1_27merge_sort_block_merge_implIS3_PmPS5_jNS1_19radix_merge_compareILb0ELb0EmNS0_19identity_decomposerEEEEE10hipError_tT0_T1_T2_jT3_P12ihipStream_tbPNSt15iterator_traitsISE_E10value_typeEPNSK_ISF_E10value_typeEPSG_NS1_7vsmem_tEENKUlT_SE_SF_SG_E_clIS8_S8_S9_S9_EESD_ST_SE_SF_SG_EUlST_E1_NS1_11comp_targetILNS1_3genE4ELNS1_11target_archE910ELNS1_3gpuE8ELNS1_3repE0EEENS1_36merge_oddeven_config_static_selectorELNS0_4arch9wavefront6targetE1EEEvSF_: ; @_ZN7rocprim17ROCPRIM_400000_NS6detail17trampoline_kernelINS0_14default_configENS1_38merge_sort_block_merge_config_selectorImNS0_10empty_typeEEEZZNS1_27merge_sort_block_merge_implIS3_PmPS5_jNS1_19radix_merge_compareILb0ELb0EmNS0_19identity_decomposerEEEEE10hipError_tT0_T1_T2_jT3_P12ihipStream_tbPNSt15iterator_traitsISE_E10value_typeEPNSK_ISF_E10value_typeEPSG_NS1_7vsmem_tEENKUlT_SE_SF_SG_E_clIS8_S8_S9_S9_EESD_ST_SE_SF_SG_EUlST_E1_NS1_11comp_targetILNS1_3genE4ELNS1_11target_archE910ELNS1_3gpuE8ELNS1_3repE0EEENS1_36merge_oddeven_config_static_selectorELNS0_4arch9wavefront6targetE1EEEvSF_
; %bb.0:
	s_load_dword s18, s[4:5], 0x20
	s_waitcnt lgkmcnt(0)
	s_lshr_b32 s0, s18, 8
	s_cmp_lg_u32 s6, s0
	s_cselect_b64 s[14:15], -1, 0
	s_cmp_eq_u32 s6, s0
	s_cselect_b64 s[12:13], -1, 0
	s_lshl_b32 s16, s6, 8
	s_sub_i32 s0, s18, s16
	v_cmp_gt_u32_e64 s[2:3], s0, v0
	s_or_b64 s[0:1], s[14:15], s[2:3]
	s_and_saveexec_b64 s[8:9], s[0:1]
	s_cbranch_execz .LBB925_20
; %bb.1:
	s_load_dwordx4 s[8:11], s[4:5], 0x0
	s_load_dword s19, s[4:5], 0x24
	s_mov_b32 s17, 0
	s_lshl_b64 s[0:1], s[16:17], 3
	v_lshlrev_b32_e32 v1, 3, v0
	s_waitcnt lgkmcnt(0)
	s_add_u32 s0, s8, s0
	s_addc_u32 s1, s9, s1
	global_load_dwordx2 v[2:3], v1, s[0:1]
	s_lshr_b32 s0, s19, 8
	s_sub_i32 s1, 0, s0
	s_and_b32 s1, s6, s1
	s_and_b32 s0, s1, s0
	s_lshl_b32 s20, s1, 8
	s_sub_i32 s6, 0, s19
	s_cmp_eq_u32 s0, 0
	s_cselect_b64 s[0:1], -1, 0
	s_and_b64 s[4:5], s[0:1], exec
	s_cselect_b32 s17, s19, s6
	s_add_i32 s17, s17, s20
	s_cmp_lt_u32 s17, s18
	v_add_u32_e32 v0, s16, v0
	s_cbranch_scc1 .LBB925_3
; %bb.2:
	v_cmp_gt_u32_e32 vcc, s18, v0
	s_or_b64 s[4:5], vcc, s[14:15]
	s_and_b64 s[4:5], s[4:5], exec
	s_cbranch_execz .LBB925_4
	s_branch .LBB925_18
.LBB925_3:
	s_mov_b64 s[4:5], 0
.LBB925_4:
	s_min_u32 s14, s17, s18
	s_add_i32 s6, s14, s19
	s_min_u32 s15, s6, s18
	s_min_u32 s6, s20, s14
	s_add_i32 s20, s20, s14
	v_subrev_u32_e32 v0, s20, v0
	v_add_u32_e32 v4, s6, v0
	s_and_b64 vcc, exec, s[12:13]
	s_cbranch_vccz .LBB925_12
; %bb.5:
                                        ; implicit-def: $vgpr0
	s_and_saveexec_b64 s[6:7], s[2:3]
	s_cbranch_execz .LBB925_11
; %bb.6:
	s_cmp_ge_u32 s17, s15
	v_mov_b32_e32 v5, s14
	s_cbranch_scc1 .LBB925_10
; %bb.7:
	s_mov_b64 s[2:3], 0
	v_mov_b32_e32 v6, s15
	v_mov_b32_e32 v5, s14
	;; [unrolled: 1-line block ×4, first 2 shown]
.LBB925_8:                              ; =>This Inner Loop Header: Depth=1
	v_add_u32_e32 v0, v5, v6
	v_lshrrev_b32_e32 v0, 1, v0
	v_lshlrev_b64 v[8:9], 3, v[0:1]
	v_add_co_u32_e32 v8, vcc, s8, v8
	v_addc_co_u32_e32 v9, vcc, v7, v9, vcc
	global_load_dwordx2 v[8:9], v[8:9], off
	v_add_u32_e32 v10, 1, v0
	s_waitcnt vmcnt(0)
	v_cmp_gt_u64_e32 vcc, v[2:3], v[8:9]
	v_cndmask_b32_e64 v11, 0, 1, vcc
	v_cmp_le_u64_e32 vcc, v[8:9], v[2:3]
	v_cndmask_b32_e64 v8, 0, 1, vcc
	v_cndmask_b32_e64 v8, v8, v11, s[0:1]
	v_and_b32_e32 v8, 1, v8
	v_cmp_eq_u32_e32 vcc, 1, v8
	v_cndmask_b32_e32 v6, v0, v6, vcc
	v_cndmask_b32_e32 v5, v5, v10, vcc
	v_cmp_ge_u32_e32 vcc, v5, v6
	s_or_b64 s[2:3], vcc, s[2:3]
	s_andn2_b64 exec, exec, s[2:3]
	s_cbranch_execnz .LBB925_8
; %bb.9:
	s_or_b64 exec, exec, s[2:3]
.LBB925_10:
	v_add_u32_e32 v0, v5, v4
	s_or_b64 s[4:5], s[4:5], exec
.LBB925_11:
	s_or_b64 exec, exec, s[6:7]
	s_branch .LBB925_18
.LBB925_12:
                                        ; implicit-def: $vgpr0
	s_cbranch_execz .LBB925_18
; %bb.13:
	s_cmp_ge_u32 s17, s15
	v_mov_b32_e32 v5, s14
	s_cbranch_scc1 .LBB925_17
; %bb.14:
	s_mov_b64 s[2:3], 0
	v_mov_b32_e32 v6, s15
	v_mov_b32_e32 v5, s14
	;; [unrolled: 1-line block ×4, first 2 shown]
.LBB925_15:                             ; =>This Inner Loop Header: Depth=1
	v_add_u32_e32 v0, v5, v6
	v_lshrrev_b32_e32 v0, 1, v0
	v_lshlrev_b64 v[8:9], 3, v[0:1]
	v_add_co_u32_e32 v8, vcc, s8, v8
	v_addc_co_u32_e32 v9, vcc, v7, v9, vcc
	global_load_dwordx2 v[8:9], v[8:9], off
	v_add_u32_e32 v10, 1, v0
	s_waitcnt vmcnt(0)
	v_cmp_gt_u64_e32 vcc, v[2:3], v[8:9]
	v_cndmask_b32_e64 v11, 0, 1, vcc
	v_cmp_le_u64_e32 vcc, v[8:9], v[2:3]
	v_cndmask_b32_e64 v8, 0, 1, vcc
	v_cndmask_b32_e64 v8, v8, v11, s[0:1]
	v_and_b32_e32 v8, 1, v8
	v_cmp_eq_u32_e32 vcc, 1, v8
	v_cndmask_b32_e32 v6, v0, v6, vcc
	v_cndmask_b32_e32 v5, v5, v10, vcc
	v_cmp_ge_u32_e32 vcc, v5, v6
	s_or_b64 s[2:3], vcc, s[2:3]
	s_andn2_b64 exec, exec, s[2:3]
	s_cbranch_execnz .LBB925_15
; %bb.16:
	s_or_b64 exec, exec, s[2:3]
.LBB925_17:
	v_add_u32_e32 v0, v5, v4
	s_mov_b64 s[4:5], -1
.LBB925_18:
	s_and_b64 exec, exec, s[4:5]
	s_cbranch_execz .LBB925_20
; %bb.19:
	v_mov_b32_e32 v1, 0
	v_lshlrev_b64 v[0:1], 3, v[0:1]
	v_mov_b32_e32 v4, s11
	v_add_co_u32_e32 v0, vcc, s10, v0
	v_addc_co_u32_e32 v1, vcc, v4, v1, vcc
	s_waitcnt vmcnt(0)
	global_store_dwordx2 v[0:1], v[2:3], off
.LBB925_20:
	s_endpgm
	.section	.rodata,"a",@progbits
	.p2align	6, 0x0
	.amdhsa_kernel _ZN7rocprim17ROCPRIM_400000_NS6detail17trampoline_kernelINS0_14default_configENS1_38merge_sort_block_merge_config_selectorImNS0_10empty_typeEEEZZNS1_27merge_sort_block_merge_implIS3_PmPS5_jNS1_19radix_merge_compareILb0ELb0EmNS0_19identity_decomposerEEEEE10hipError_tT0_T1_T2_jT3_P12ihipStream_tbPNSt15iterator_traitsISE_E10value_typeEPNSK_ISF_E10value_typeEPSG_NS1_7vsmem_tEENKUlT_SE_SF_SG_E_clIS8_S8_S9_S9_EESD_ST_SE_SF_SG_EUlST_E1_NS1_11comp_targetILNS1_3genE4ELNS1_11target_archE910ELNS1_3gpuE8ELNS1_3repE0EEENS1_36merge_oddeven_config_static_selectorELNS0_4arch9wavefront6targetE1EEEvSF_
		.amdhsa_group_segment_fixed_size 0
		.amdhsa_private_segment_fixed_size 0
		.amdhsa_kernarg_size 48
		.amdhsa_user_sgpr_count 6
		.amdhsa_user_sgpr_private_segment_buffer 1
		.amdhsa_user_sgpr_dispatch_ptr 0
		.amdhsa_user_sgpr_queue_ptr 0
		.amdhsa_user_sgpr_kernarg_segment_ptr 1
		.amdhsa_user_sgpr_dispatch_id 0
		.amdhsa_user_sgpr_flat_scratch_init 0
		.amdhsa_user_sgpr_kernarg_preload_length 0
		.amdhsa_user_sgpr_kernarg_preload_offset 0
		.amdhsa_user_sgpr_private_segment_size 0
		.amdhsa_uses_dynamic_stack 0
		.amdhsa_system_sgpr_private_segment_wavefront_offset 0
		.amdhsa_system_sgpr_workgroup_id_x 1
		.amdhsa_system_sgpr_workgroup_id_y 0
		.amdhsa_system_sgpr_workgroup_id_z 0
		.amdhsa_system_sgpr_workgroup_info 0
		.amdhsa_system_vgpr_workitem_id 0
		.amdhsa_next_free_vgpr 12
		.amdhsa_next_free_sgpr 21
		.amdhsa_accum_offset 12
		.amdhsa_reserve_vcc 1
		.amdhsa_reserve_flat_scratch 0
		.amdhsa_float_round_mode_32 0
		.amdhsa_float_round_mode_16_64 0
		.amdhsa_float_denorm_mode_32 3
		.amdhsa_float_denorm_mode_16_64 3
		.amdhsa_dx10_clamp 1
		.amdhsa_ieee_mode 1
		.amdhsa_fp16_overflow 0
		.amdhsa_tg_split 0
		.amdhsa_exception_fp_ieee_invalid_op 0
		.amdhsa_exception_fp_denorm_src 0
		.amdhsa_exception_fp_ieee_div_zero 0
		.amdhsa_exception_fp_ieee_overflow 0
		.amdhsa_exception_fp_ieee_underflow 0
		.amdhsa_exception_fp_ieee_inexact 0
		.amdhsa_exception_int_div_zero 0
	.end_amdhsa_kernel
	.section	.text._ZN7rocprim17ROCPRIM_400000_NS6detail17trampoline_kernelINS0_14default_configENS1_38merge_sort_block_merge_config_selectorImNS0_10empty_typeEEEZZNS1_27merge_sort_block_merge_implIS3_PmPS5_jNS1_19radix_merge_compareILb0ELb0EmNS0_19identity_decomposerEEEEE10hipError_tT0_T1_T2_jT3_P12ihipStream_tbPNSt15iterator_traitsISE_E10value_typeEPNSK_ISF_E10value_typeEPSG_NS1_7vsmem_tEENKUlT_SE_SF_SG_E_clIS8_S8_S9_S9_EESD_ST_SE_SF_SG_EUlST_E1_NS1_11comp_targetILNS1_3genE4ELNS1_11target_archE910ELNS1_3gpuE8ELNS1_3repE0EEENS1_36merge_oddeven_config_static_selectorELNS0_4arch9wavefront6targetE1EEEvSF_,"axG",@progbits,_ZN7rocprim17ROCPRIM_400000_NS6detail17trampoline_kernelINS0_14default_configENS1_38merge_sort_block_merge_config_selectorImNS0_10empty_typeEEEZZNS1_27merge_sort_block_merge_implIS3_PmPS5_jNS1_19radix_merge_compareILb0ELb0EmNS0_19identity_decomposerEEEEE10hipError_tT0_T1_T2_jT3_P12ihipStream_tbPNSt15iterator_traitsISE_E10value_typeEPNSK_ISF_E10value_typeEPSG_NS1_7vsmem_tEENKUlT_SE_SF_SG_E_clIS8_S8_S9_S9_EESD_ST_SE_SF_SG_EUlST_E1_NS1_11comp_targetILNS1_3genE4ELNS1_11target_archE910ELNS1_3gpuE8ELNS1_3repE0EEENS1_36merge_oddeven_config_static_selectorELNS0_4arch9wavefront6targetE1EEEvSF_,comdat
.Lfunc_end925:
	.size	_ZN7rocprim17ROCPRIM_400000_NS6detail17trampoline_kernelINS0_14default_configENS1_38merge_sort_block_merge_config_selectorImNS0_10empty_typeEEEZZNS1_27merge_sort_block_merge_implIS3_PmPS5_jNS1_19radix_merge_compareILb0ELb0EmNS0_19identity_decomposerEEEEE10hipError_tT0_T1_T2_jT3_P12ihipStream_tbPNSt15iterator_traitsISE_E10value_typeEPNSK_ISF_E10value_typeEPSG_NS1_7vsmem_tEENKUlT_SE_SF_SG_E_clIS8_S8_S9_S9_EESD_ST_SE_SF_SG_EUlST_E1_NS1_11comp_targetILNS1_3genE4ELNS1_11target_archE910ELNS1_3gpuE8ELNS1_3repE0EEENS1_36merge_oddeven_config_static_selectorELNS0_4arch9wavefront6targetE1EEEvSF_, .Lfunc_end925-_ZN7rocprim17ROCPRIM_400000_NS6detail17trampoline_kernelINS0_14default_configENS1_38merge_sort_block_merge_config_selectorImNS0_10empty_typeEEEZZNS1_27merge_sort_block_merge_implIS3_PmPS5_jNS1_19radix_merge_compareILb0ELb0EmNS0_19identity_decomposerEEEEE10hipError_tT0_T1_T2_jT3_P12ihipStream_tbPNSt15iterator_traitsISE_E10value_typeEPNSK_ISF_E10value_typeEPSG_NS1_7vsmem_tEENKUlT_SE_SF_SG_E_clIS8_S8_S9_S9_EESD_ST_SE_SF_SG_EUlST_E1_NS1_11comp_targetILNS1_3genE4ELNS1_11target_archE910ELNS1_3gpuE8ELNS1_3repE0EEENS1_36merge_oddeven_config_static_selectorELNS0_4arch9wavefront6targetE1EEEvSF_
                                        ; -- End function
	.section	.AMDGPU.csdata,"",@progbits
; Kernel info:
; codeLenInByte = 588
; NumSgprs: 25
; NumVgprs: 12
; NumAgprs: 0
; TotalNumVgprs: 12
; ScratchSize: 0
; MemoryBound: 0
; FloatMode: 240
; IeeeMode: 1
; LDSByteSize: 0 bytes/workgroup (compile time only)
; SGPRBlocks: 3
; VGPRBlocks: 1
; NumSGPRsForWavesPerEU: 25
; NumVGPRsForWavesPerEU: 12
; AccumOffset: 12
; Occupancy: 8
; WaveLimiterHint : 0
; COMPUTE_PGM_RSRC2:SCRATCH_EN: 0
; COMPUTE_PGM_RSRC2:USER_SGPR: 6
; COMPUTE_PGM_RSRC2:TRAP_HANDLER: 0
; COMPUTE_PGM_RSRC2:TGID_X_EN: 1
; COMPUTE_PGM_RSRC2:TGID_Y_EN: 0
; COMPUTE_PGM_RSRC2:TGID_Z_EN: 0
; COMPUTE_PGM_RSRC2:TIDIG_COMP_CNT: 0
; COMPUTE_PGM_RSRC3_GFX90A:ACCUM_OFFSET: 2
; COMPUTE_PGM_RSRC3_GFX90A:TG_SPLIT: 0
	.section	.text._ZN7rocprim17ROCPRIM_400000_NS6detail17trampoline_kernelINS0_14default_configENS1_38merge_sort_block_merge_config_selectorImNS0_10empty_typeEEEZZNS1_27merge_sort_block_merge_implIS3_PmPS5_jNS1_19radix_merge_compareILb0ELb0EmNS0_19identity_decomposerEEEEE10hipError_tT0_T1_T2_jT3_P12ihipStream_tbPNSt15iterator_traitsISE_E10value_typeEPNSK_ISF_E10value_typeEPSG_NS1_7vsmem_tEENKUlT_SE_SF_SG_E_clIS8_S8_S9_S9_EESD_ST_SE_SF_SG_EUlST_E1_NS1_11comp_targetILNS1_3genE3ELNS1_11target_archE908ELNS1_3gpuE7ELNS1_3repE0EEENS1_36merge_oddeven_config_static_selectorELNS0_4arch9wavefront6targetE1EEEvSF_,"axG",@progbits,_ZN7rocprim17ROCPRIM_400000_NS6detail17trampoline_kernelINS0_14default_configENS1_38merge_sort_block_merge_config_selectorImNS0_10empty_typeEEEZZNS1_27merge_sort_block_merge_implIS3_PmPS5_jNS1_19radix_merge_compareILb0ELb0EmNS0_19identity_decomposerEEEEE10hipError_tT0_T1_T2_jT3_P12ihipStream_tbPNSt15iterator_traitsISE_E10value_typeEPNSK_ISF_E10value_typeEPSG_NS1_7vsmem_tEENKUlT_SE_SF_SG_E_clIS8_S8_S9_S9_EESD_ST_SE_SF_SG_EUlST_E1_NS1_11comp_targetILNS1_3genE3ELNS1_11target_archE908ELNS1_3gpuE7ELNS1_3repE0EEENS1_36merge_oddeven_config_static_selectorELNS0_4arch9wavefront6targetE1EEEvSF_,comdat
	.protected	_ZN7rocprim17ROCPRIM_400000_NS6detail17trampoline_kernelINS0_14default_configENS1_38merge_sort_block_merge_config_selectorImNS0_10empty_typeEEEZZNS1_27merge_sort_block_merge_implIS3_PmPS5_jNS1_19radix_merge_compareILb0ELb0EmNS0_19identity_decomposerEEEEE10hipError_tT0_T1_T2_jT3_P12ihipStream_tbPNSt15iterator_traitsISE_E10value_typeEPNSK_ISF_E10value_typeEPSG_NS1_7vsmem_tEENKUlT_SE_SF_SG_E_clIS8_S8_S9_S9_EESD_ST_SE_SF_SG_EUlST_E1_NS1_11comp_targetILNS1_3genE3ELNS1_11target_archE908ELNS1_3gpuE7ELNS1_3repE0EEENS1_36merge_oddeven_config_static_selectorELNS0_4arch9wavefront6targetE1EEEvSF_ ; -- Begin function _ZN7rocprim17ROCPRIM_400000_NS6detail17trampoline_kernelINS0_14default_configENS1_38merge_sort_block_merge_config_selectorImNS0_10empty_typeEEEZZNS1_27merge_sort_block_merge_implIS3_PmPS5_jNS1_19radix_merge_compareILb0ELb0EmNS0_19identity_decomposerEEEEE10hipError_tT0_T1_T2_jT3_P12ihipStream_tbPNSt15iterator_traitsISE_E10value_typeEPNSK_ISF_E10value_typeEPSG_NS1_7vsmem_tEENKUlT_SE_SF_SG_E_clIS8_S8_S9_S9_EESD_ST_SE_SF_SG_EUlST_E1_NS1_11comp_targetILNS1_3genE3ELNS1_11target_archE908ELNS1_3gpuE7ELNS1_3repE0EEENS1_36merge_oddeven_config_static_selectorELNS0_4arch9wavefront6targetE1EEEvSF_
	.globl	_ZN7rocprim17ROCPRIM_400000_NS6detail17trampoline_kernelINS0_14default_configENS1_38merge_sort_block_merge_config_selectorImNS0_10empty_typeEEEZZNS1_27merge_sort_block_merge_implIS3_PmPS5_jNS1_19radix_merge_compareILb0ELb0EmNS0_19identity_decomposerEEEEE10hipError_tT0_T1_T2_jT3_P12ihipStream_tbPNSt15iterator_traitsISE_E10value_typeEPNSK_ISF_E10value_typeEPSG_NS1_7vsmem_tEENKUlT_SE_SF_SG_E_clIS8_S8_S9_S9_EESD_ST_SE_SF_SG_EUlST_E1_NS1_11comp_targetILNS1_3genE3ELNS1_11target_archE908ELNS1_3gpuE7ELNS1_3repE0EEENS1_36merge_oddeven_config_static_selectorELNS0_4arch9wavefront6targetE1EEEvSF_
	.p2align	8
	.type	_ZN7rocprim17ROCPRIM_400000_NS6detail17trampoline_kernelINS0_14default_configENS1_38merge_sort_block_merge_config_selectorImNS0_10empty_typeEEEZZNS1_27merge_sort_block_merge_implIS3_PmPS5_jNS1_19radix_merge_compareILb0ELb0EmNS0_19identity_decomposerEEEEE10hipError_tT0_T1_T2_jT3_P12ihipStream_tbPNSt15iterator_traitsISE_E10value_typeEPNSK_ISF_E10value_typeEPSG_NS1_7vsmem_tEENKUlT_SE_SF_SG_E_clIS8_S8_S9_S9_EESD_ST_SE_SF_SG_EUlST_E1_NS1_11comp_targetILNS1_3genE3ELNS1_11target_archE908ELNS1_3gpuE7ELNS1_3repE0EEENS1_36merge_oddeven_config_static_selectorELNS0_4arch9wavefront6targetE1EEEvSF_,@function
_ZN7rocprim17ROCPRIM_400000_NS6detail17trampoline_kernelINS0_14default_configENS1_38merge_sort_block_merge_config_selectorImNS0_10empty_typeEEEZZNS1_27merge_sort_block_merge_implIS3_PmPS5_jNS1_19radix_merge_compareILb0ELb0EmNS0_19identity_decomposerEEEEE10hipError_tT0_T1_T2_jT3_P12ihipStream_tbPNSt15iterator_traitsISE_E10value_typeEPNSK_ISF_E10value_typeEPSG_NS1_7vsmem_tEENKUlT_SE_SF_SG_E_clIS8_S8_S9_S9_EESD_ST_SE_SF_SG_EUlST_E1_NS1_11comp_targetILNS1_3genE3ELNS1_11target_archE908ELNS1_3gpuE7ELNS1_3repE0EEENS1_36merge_oddeven_config_static_selectorELNS0_4arch9wavefront6targetE1EEEvSF_: ; @_ZN7rocprim17ROCPRIM_400000_NS6detail17trampoline_kernelINS0_14default_configENS1_38merge_sort_block_merge_config_selectorImNS0_10empty_typeEEEZZNS1_27merge_sort_block_merge_implIS3_PmPS5_jNS1_19radix_merge_compareILb0ELb0EmNS0_19identity_decomposerEEEEE10hipError_tT0_T1_T2_jT3_P12ihipStream_tbPNSt15iterator_traitsISE_E10value_typeEPNSK_ISF_E10value_typeEPSG_NS1_7vsmem_tEENKUlT_SE_SF_SG_E_clIS8_S8_S9_S9_EESD_ST_SE_SF_SG_EUlST_E1_NS1_11comp_targetILNS1_3genE3ELNS1_11target_archE908ELNS1_3gpuE7ELNS1_3repE0EEENS1_36merge_oddeven_config_static_selectorELNS0_4arch9wavefront6targetE1EEEvSF_
; %bb.0:
	.section	.rodata,"a",@progbits
	.p2align	6, 0x0
	.amdhsa_kernel _ZN7rocprim17ROCPRIM_400000_NS6detail17trampoline_kernelINS0_14default_configENS1_38merge_sort_block_merge_config_selectorImNS0_10empty_typeEEEZZNS1_27merge_sort_block_merge_implIS3_PmPS5_jNS1_19radix_merge_compareILb0ELb0EmNS0_19identity_decomposerEEEEE10hipError_tT0_T1_T2_jT3_P12ihipStream_tbPNSt15iterator_traitsISE_E10value_typeEPNSK_ISF_E10value_typeEPSG_NS1_7vsmem_tEENKUlT_SE_SF_SG_E_clIS8_S8_S9_S9_EESD_ST_SE_SF_SG_EUlST_E1_NS1_11comp_targetILNS1_3genE3ELNS1_11target_archE908ELNS1_3gpuE7ELNS1_3repE0EEENS1_36merge_oddeven_config_static_selectorELNS0_4arch9wavefront6targetE1EEEvSF_
		.amdhsa_group_segment_fixed_size 0
		.amdhsa_private_segment_fixed_size 0
		.amdhsa_kernarg_size 48
		.amdhsa_user_sgpr_count 6
		.amdhsa_user_sgpr_private_segment_buffer 1
		.amdhsa_user_sgpr_dispatch_ptr 0
		.amdhsa_user_sgpr_queue_ptr 0
		.amdhsa_user_sgpr_kernarg_segment_ptr 1
		.amdhsa_user_sgpr_dispatch_id 0
		.amdhsa_user_sgpr_flat_scratch_init 0
		.amdhsa_user_sgpr_kernarg_preload_length 0
		.amdhsa_user_sgpr_kernarg_preload_offset 0
		.amdhsa_user_sgpr_private_segment_size 0
		.amdhsa_uses_dynamic_stack 0
		.amdhsa_system_sgpr_private_segment_wavefront_offset 0
		.amdhsa_system_sgpr_workgroup_id_x 1
		.amdhsa_system_sgpr_workgroup_id_y 0
		.amdhsa_system_sgpr_workgroup_id_z 0
		.amdhsa_system_sgpr_workgroup_info 0
		.amdhsa_system_vgpr_workitem_id 0
		.amdhsa_next_free_vgpr 1
		.amdhsa_next_free_sgpr 0
		.amdhsa_accum_offset 4
		.amdhsa_reserve_vcc 0
		.amdhsa_reserve_flat_scratch 0
		.amdhsa_float_round_mode_32 0
		.amdhsa_float_round_mode_16_64 0
		.amdhsa_float_denorm_mode_32 3
		.amdhsa_float_denorm_mode_16_64 3
		.amdhsa_dx10_clamp 1
		.amdhsa_ieee_mode 1
		.amdhsa_fp16_overflow 0
		.amdhsa_tg_split 0
		.amdhsa_exception_fp_ieee_invalid_op 0
		.amdhsa_exception_fp_denorm_src 0
		.amdhsa_exception_fp_ieee_div_zero 0
		.amdhsa_exception_fp_ieee_overflow 0
		.amdhsa_exception_fp_ieee_underflow 0
		.amdhsa_exception_fp_ieee_inexact 0
		.amdhsa_exception_int_div_zero 0
	.end_amdhsa_kernel
	.section	.text._ZN7rocprim17ROCPRIM_400000_NS6detail17trampoline_kernelINS0_14default_configENS1_38merge_sort_block_merge_config_selectorImNS0_10empty_typeEEEZZNS1_27merge_sort_block_merge_implIS3_PmPS5_jNS1_19radix_merge_compareILb0ELb0EmNS0_19identity_decomposerEEEEE10hipError_tT0_T1_T2_jT3_P12ihipStream_tbPNSt15iterator_traitsISE_E10value_typeEPNSK_ISF_E10value_typeEPSG_NS1_7vsmem_tEENKUlT_SE_SF_SG_E_clIS8_S8_S9_S9_EESD_ST_SE_SF_SG_EUlST_E1_NS1_11comp_targetILNS1_3genE3ELNS1_11target_archE908ELNS1_3gpuE7ELNS1_3repE0EEENS1_36merge_oddeven_config_static_selectorELNS0_4arch9wavefront6targetE1EEEvSF_,"axG",@progbits,_ZN7rocprim17ROCPRIM_400000_NS6detail17trampoline_kernelINS0_14default_configENS1_38merge_sort_block_merge_config_selectorImNS0_10empty_typeEEEZZNS1_27merge_sort_block_merge_implIS3_PmPS5_jNS1_19radix_merge_compareILb0ELb0EmNS0_19identity_decomposerEEEEE10hipError_tT0_T1_T2_jT3_P12ihipStream_tbPNSt15iterator_traitsISE_E10value_typeEPNSK_ISF_E10value_typeEPSG_NS1_7vsmem_tEENKUlT_SE_SF_SG_E_clIS8_S8_S9_S9_EESD_ST_SE_SF_SG_EUlST_E1_NS1_11comp_targetILNS1_3genE3ELNS1_11target_archE908ELNS1_3gpuE7ELNS1_3repE0EEENS1_36merge_oddeven_config_static_selectorELNS0_4arch9wavefront6targetE1EEEvSF_,comdat
.Lfunc_end926:
	.size	_ZN7rocprim17ROCPRIM_400000_NS6detail17trampoline_kernelINS0_14default_configENS1_38merge_sort_block_merge_config_selectorImNS0_10empty_typeEEEZZNS1_27merge_sort_block_merge_implIS3_PmPS5_jNS1_19radix_merge_compareILb0ELb0EmNS0_19identity_decomposerEEEEE10hipError_tT0_T1_T2_jT3_P12ihipStream_tbPNSt15iterator_traitsISE_E10value_typeEPNSK_ISF_E10value_typeEPSG_NS1_7vsmem_tEENKUlT_SE_SF_SG_E_clIS8_S8_S9_S9_EESD_ST_SE_SF_SG_EUlST_E1_NS1_11comp_targetILNS1_3genE3ELNS1_11target_archE908ELNS1_3gpuE7ELNS1_3repE0EEENS1_36merge_oddeven_config_static_selectorELNS0_4arch9wavefront6targetE1EEEvSF_, .Lfunc_end926-_ZN7rocprim17ROCPRIM_400000_NS6detail17trampoline_kernelINS0_14default_configENS1_38merge_sort_block_merge_config_selectorImNS0_10empty_typeEEEZZNS1_27merge_sort_block_merge_implIS3_PmPS5_jNS1_19radix_merge_compareILb0ELb0EmNS0_19identity_decomposerEEEEE10hipError_tT0_T1_T2_jT3_P12ihipStream_tbPNSt15iterator_traitsISE_E10value_typeEPNSK_ISF_E10value_typeEPSG_NS1_7vsmem_tEENKUlT_SE_SF_SG_E_clIS8_S8_S9_S9_EESD_ST_SE_SF_SG_EUlST_E1_NS1_11comp_targetILNS1_3genE3ELNS1_11target_archE908ELNS1_3gpuE7ELNS1_3repE0EEENS1_36merge_oddeven_config_static_selectorELNS0_4arch9wavefront6targetE1EEEvSF_
                                        ; -- End function
	.section	.AMDGPU.csdata,"",@progbits
; Kernel info:
; codeLenInByte = 0
; NumSgprs: 4
; NumVgprs: 0
; NumAgprs: 0
; TotalNumVgprs: 0
; ScratchSize: 0
; MemoryBound: 0
; FloatMode: 240
; IeeeMode: 1
; LDSByteSize: 0 bytes/workgroup (compile time only)
; SGPRBlocks: 0
; VGPRBlocks: 0
; NumSGPRsForWavesPerEU: 4
; NumVGPRsForWavesPerEU: 1
; AccumOffset: 4
; Occupancy: 8
; WaveLimiterHint : 0
; COMPUTE_PGM_RSRC2:SCRATCH_EN: 0
; COMPUTE_PGM_RSRC2:USER_SGPR: 6
; COMPUTE_PGM_RSRC2:TRAP_HANDLER: 0
; COMPUTE_PGM_RSRC2:TGID_X_EN: 1
; COMPUTE_PGM_RSRC2:TGID_Y_EN: 0
; COMPUTE_PGM_RSRC2:TGID_Z_EN: 0
; COMPUTE_PGM_RSRC2:TIDIG_COMP_CNT: 0
; COMPUTE_PGM_RSRC3_GFX90A:ACCUM_OFFSET: 0
; COMPUTE_PGM_RSRC3_GFX90A:TG_SPLIT: 0
	.section	.text._ZN7rocprim17ROCPRIM_400000_NS6detail17trampoline_kernelINS0_14default_configENS1_38merge_sort_block_merge_config_selectorImNS0_10empty_typeEEEZZNS1_27merge_sort_block_merge_implIS3_PmPS5_jNS1_19radix_merge_compareILb0ELb0EmNS0_19identity_decomposerEEEEE10hipError_tT0_T1_T2_jT3_P12ihipStream_tbPNSt15iterator_traitsISE_E10value_typeEPNSK_ISF_E10value_typeEPSG_NS1_7vsmem_tEENKUlT_SE_SF_SG_E_clIS8_S8_S9_S9_EESD_ST_SE_SF_SG_EUlST_E1_NS1_11comp_targetILNS1_3genE2ELNS1_11target_archE906ELNS1_3gpuE6ELNS1_3repE0EEENS1_36merge_oddeven_config_static_selectorELNS0_4arch9wavefront6targetE1EEEvSF_,"axG",@progbits,_ZN7rocprim17ROCPRIM_400000_NS6detail17trampoline_kernelINS0_14default_configENS1_38merge_sort_block_merge_config_selectorImNS0_10empty_typeEEEZZNS1_27merge_sort_block_merge_implIS3_PmPS5_jNS1_19radix_merge_compareILb0ELb0EmNS0_19identity_decomposerEEEEE10hipError_tT0_T1_T2_jT3_P12ihipStream_tbPNSt15iterator_traitsISE_E10value_typeEPNSK_ISF_E10value_typeEPSG_NS1_7vsmem_tEENKUlT_SE_SF_SG_E_clIS8_S8_S9_S9_EESD_ST_SE_SF_SG_EUlST_E1_NS1_11comp_targetILNS1_3genE2ELNS1_11target_archE906ELNS1_3gpuE6ELNS1_3repE0EEENS1_36merge_oddeven_config_static_selectorELNS0_4arch9wavefront6targetE1EEEvSF_,comdat
	.protected	_ZN7rocprim17ROCPRIM_400000_NS6detail17trampoline_kernelINS0_14default_configENS1_38merge_sort_block_merge_config_selectorImNS0_10empty_typeEEEZZNS1_27merge_sort_block_merge_implIS3_PmPS5_jNS1_19radix_merge_compareILb0ELb0EmNS0_19identity_decomposerEEEEE10hipError_tT0_T1_T2_jT3_P12ihipStream_tbPNSt15iterator_traitsISE_E10value_typeEPNSK_ISF_E10value_typeEPSG_NS1_7vsmem_tEENKUlT_SE_SF_SG_E_clIS8_S8_S9_S9_EESD_ST_SE_SF_SG_EUlST_E1_NS1_11comp_targetILNS1_3genE2ELNS1_11target_archE906ELNS1_3gpuE6ELNS1_3repE0EEENS1_36merge_oddeven_config_static_selectorELNS0_4arch9wavefront6targetE1EEEvSF_ ; -- Begin function _ZN7rocprim17ROCPRIM_400000_NS6detail17trampoline_kernelINS0_14default_configENS1_38merge_sort_block_merge_config_selectorImNS0_10empty_typeEEEZZNS1_27merge_sort_block_merge_implIS3_PmPS5_jNS1_19radix_merge_compareILb0ELb0EmNS0_19identity_decomposerEEEEE10hipError_tT0_T1_T2_jT3_P12ihipStream_tbPNSt15iterator_traitsISE_E10value_typeEPNSK_ISF_E10value_typeEPSG_NS1_7vsmem_tEENKUlT_SE_SF_SG_E_clIS8_S8_S9_S9_EESD_ST_SE_SF_SG_EUlST_E1_NS1_11comp_targetILNS1_3genE2ELNS1_11target_archE906ELNS1_3gpuE6ELNS1_3repE0EEENS1_36merge_oddeven_config_static_selectorELNS0_4arch9wavefront6targetE1EEEvSF_
	.globl	_ZN7rocprim17ROCPRIM_400000_NS6detail17trampoline_kernelINS0_14default_configENS1_38merge_sort_block_merge_config_selectorImNS0_10empty_typeEEEZZNS1_27merge_sort_block_merge_implIS3_PmPS5_jNS1_19radix_merge_compareILb0ELb0EmNS0_19identity_decomposerEEEEE10hipError_tT0_T1_T2_jT3_P12ihipStream_tbPNSt15iterator_traitsISE_E10value_typeEPNSK_ISF_E10value_typeEPSG_NS1_7vsmem_tEENKUlT_SE_SF_SG_E_clIS8_S8_S9_S9_EESD_ST_SE_SF_SG_EUlST_E1_NS1_11comp_targetILNS1_3genE2ELNS1_11target_archE906ELNS1_3gpuE6ELNS1_3repE0EEENS1_36merge_oddeven_config_static_selectorELNS0_4arch9wavefront6targetE1EEEvSF_
	.p2align	8
	.type	_ZN7rocprim17ROCPRIM_400000_NS6detail17trampoline_kernelINS0_14default_configENS1_38merge_sort_block_merge_config_selectorImNS0_10empty_typeEEEZZNS1_27merge_sort_block_merge_implIS3_PmPS5_jNS1_19radix_merge_compareILb0ELb0EmNS0_19identity_decomposerEEEEE10hipError_tT0_T1_T2_jT3_P12ihipStream_tbPNSt15iterator_traitsISE_E10value_typeEPNSK_ISF_E10value_typeEPSG_NS1_7vsmem_tEENKUlT_SE_SF_SG_E_clIS8_S8_S9_S9_EESD_ST_SE_SF_SG_EUlST_E1_NS1_11comp_targetILNS1_3genE2ELNS1_11target_archE906ELNS1_3gpuE6ELNS1_3repE0EEENS1_36merge_oddeven_config_static_selectorELNS0_4arch9wavefront6targetE1EEEvSF_,@function
_ZN7rocprim17ROCPRIM_400000_NS6detail17trampoline_kernelINS0_14default_configENS1_38merge_sort_block_merge_config_selectorImNS0_10empty_typeEEEZZNS1_27merge_sort_block_merge_implIS3_PmPS5_jNS1_19radix_merge_compareILb0ELb0EmNS0_19identity_decomposerEEEEE10hipError_tT0_T1_T2_jT3_P12ihipStream_tbPNSt15iterator_traitsISE_E10value_typeEPNSK_ISF_E10value_typeEPSG_NS1_7vsmem_tEENKUlT_SE_SF_SG_E_clIS8_S8_S9_S9_EESD_ST_SE_SF_SG_EUlST_E1_NS1_11comp_targetILNS1_3genE2ELNS1_11target_archE906ELNS1_3gpuE6ELNS1_3repE0EEENS1_36merge_oddeven_config_static_selectorELNS0_4arch9wavefront6targetE1EEEvSF_: ; @_ZN7rocprim17ROCPRIM_400000_NS6detail17trampoline_kernelINS0_14default_configENS1_38merge_sort_block_merge_config_selectorImNS0_10empty_typeEEEZZNS1_27merge_sort_block_merge_implIS3_PmPS5_jNS1_19radix_merge_compareILb0ELb0EmNS0_19identity_decomposerEEEEE10hipError_tT0_T1_T2_jT3_P12ihipStream_tbPNSt15iterator_traitsISE_E10value_typeEPNSK_ISF_E10value_typeEPSG_NS1_7vsmem_tEENKUlT_SE_SF_SG_E_clIS8_S8_S9_S9_EESD_ST_SE_SF_SG_EUlST_E1_NS1_11comp_targetILNS1_3genE2ELNS1_11target_archE906ELNS1_3gpuE6ELNS1_3repE0EEENS1_36merge_oddeven_config_static_selectorELNS0_4arch9wavefront6targetE1EEEvSF_
; %bb.0:
	.section	.rodata,"a",@progbits
	.p2align	6, 0x0
	.amdhsa_kernel _ZN7rocprim17ROCPRIM_400000_NS6detail17trampoline_kernelINS0_14default_configENS1_38merge_sort_block_merge_config_selectorImNS0_10empty_typeEEEZZNS1_27merge_sort_block_merge_implIS3_PmPS5_jNS1_19radix_merge_compareILb0ELb0EmNS0_19identity_decomposerEEEEE10hipError_tT0_T1_T2_jT3_P12ihipStream_tbPNSt15iterator_traitsISE_E10value_typeEPNSK_ISF_E10value_typeEPSG_NS1_7vsmem_tEENKUlT_SE_SF_SG_E_clIS8_S8_S9_S9_EESD_ST_SE_SF_SG_EUlST_E1_NS1_11comp_targetILNS1_3genE2ELNS1_11target_archE906ELNS1_3gpuE6ELNS1_3repE0EEENS1_36merge_oddeven_config_static_selectorELNS0_4arch9wavefront6targetE1EEEvSF_
		.amdhsa_group_segment_fixed_size 0
		.amdhsa_private_segment_fixed_size 0
		.amdhsa_kernarg_size 48
		.amdhsa_user_sgpr_count 6
		.amdhsa_user_sgpr_private_segment_buffer 1
		.amdhsa_user_sgpr_dispatch_ptr 0
		.amdhsa_user_sgpr_queue_ptr 0
		.amdhsa_user_sgpr_kernarg_segment_ptr 1
		.amdhsa_user_sgpr_dispatch_id 0
		.amdhsa_user_sgpr_flat_scratch_init 0
		.amdhsa_user_sgpr_kernarg_preload_length 0
		.amdhsa_user_sgpr_kernarg_preload_offset 0
		.amdhsa_user_sgpr_private_segment_size 0
		.amdhsa_uses_dynamic_stack 0
		.amdhsa_system_sgpr_private_segment_wavefront_offset 0
		.amdhsa_system_sgpr_workgroup_id_x 1
		.amdhsa_system_sgpr_workgroup_id_y 0
		.amdhsa_system_sgpr_workgroup_id_z 0
		.amdhsa_system_sgpr_workgroup_info 0
		.amdhsa_system_vgpr_workitem_id 0
		.amdhsa_next_free_vgpr 1
		.amdhsa_next_free_sgpr 0
		.amdhsa_accum_offset 4
		.amdhsa_reserve_vcc 0
		.amdhsa_reserve_flat_scratch 0
		.amdhsa_float_round_mode_32 0
		.amdhsa_float_round_mode_16_64 0
		.amdhsa_float_denorm_mode_32 3
		.amdhsa_float_denorm_mode_16_64 3
		.amdhsa_dx10_clamp 1
		.amdhsa_ieee_mode 1
		.amdhsa_fp16_overflow 0
		.amdhsa_tg_split 0
		.amdhsa_exception_fp_ieee_invalid_op 0
		.amdhsa_exception_fp_denorm_src 0
		.amdhsa_exception_fp_ieee_div_zero 0
		.amdhsa_exception_fp_ieee_overflow 0
		.amdhsa_exception_fp_ieee_underflow 0
		.amdhsa_exception_fp_ieee_inexact 0
		.amdhsa_exception_int_div_zero 0
	.end_amdhsa_kernel
	.section	.text._ZN7rocprim17ROCPRIM_400000_NS6detail17trampoline_kernelINS0_14default_configENS1_38merge_sort_block_merge_config_selectorImNS0_10empty_typeEEEZZNS1_27merge_sort_block_merge_implIS3_PmPS5_jNS1_19radix_merge_compareILb0ELb0EmNS0_19identity_decomposerEEEEE10hipError_tT0_T1_T2_jT3_P12ihipStream_tbPNSt15iterator_traitsISE_E10value_typeEPNSK_ISF_E10value_typeEPSG_NS1_7vsmem_tEENKUlT_SE_SF_SG_E_clIS8_S8_S9_S9_EESD_ST_SE_SF_SG_EUlST_E1_NS1_11comp_targetILNS1_3genE2ELNS1_11target_archE906ELNS1_3gpuE6ELNS1_3repE0EEENS1_36merge_oddeven_config_static_selectorELNS0_4arch9wavefront6targetE1EEEvSF_,"axG",@progbits,_ZN7rocprim17ROCPRIM_400000_NS6detail17trampoline_kernelINS0_14default_configENS1_38merge_sort_block_merge_config_selectorImNS0_10empty_typeEEEZZNS1_27merge_sort_block_merge_implIS3_PmPS5_jNS1_19radix_merge_compareILb0ELb0EmNS0_19identity_decomposerEEEEE10hipError_tT0_T1_T2_jT3_P12ihipStream_tbPNSt15iterator_traitsISE_E10value_typeEPNSK_ISF_E10value_typeEPSG_NS1_7vsmem_tEENKUlT_SE_SF_SG_E_clIS8_S8_S9_S9_EESD_ST_SE_SF_SG_EUlST_E1_NS1_11comp_targetILNS1_3genE2ELNS1_11target_archE906ELNS1_3gpuE6ELNS1_3repE0EEENS1_36merge_oddeven_config_static_selectorELNS0_4arch9wavefront6targetE1EEEvSF_,comdat
.Lfunc_end927:
	.size	_ZN7rocprim17ROCPRIM_400000_NS6detail17trampoline_kernelINS0_14default_configENS1_38merge_sort_block_merge_config_selectorImNS0_10empty_typeEEEZZNS1_27merge_sort_block_merge_implIS3_PmPS5_jNS1_19radix_merge_compareILb0ELb0EmNS0_19identity_decomposerEEEEE10hipError_tT0_T1_T2_jT3_P12ihipStream_tbPNSt15iterator_traitsISE_E10value_typeEPNSK_ISF_E10value_typeEPSG_NS1_7vsmem_tEENKUlT_SE_SF_SG_E_clIS8_S8_S9_S9_EESD_ST_SE_SF_SG_EUlST_E1_NS1_11comp_targetILNS1_3genE2ELNS1_11target_archE906ELNS1_3gpuE6ELNS1_3repE0EEENS1_36merge_oddeven_config_static_selectorELNS0_4arch9wavefront6targetE1EEEvSF_, .Lfunc_end927-_ZN7rocprim17ROCPRIM_400000_NS6detail17trampoline_kernelINS0_14default_configENS1_38merge_sort_block_merge_config_selectorImNS0_10empty_typeEEEZZNS1_27merge_sort_block_merge_implIS3_PmPS5_jNS1_19radix_merge_compareILb0ELb0EmNS0_19identity_decomposerEEEEE10hipError_tT0_T1_T2_jT3_P12ihipStream_tbPNSt15iterator_traitsISE_E10value_typeEPNSK_ISF_E10value_typeEPSG_NS1_7vsmem_tEENKUlT_SE_SF_SG_E_clIS8_S8_S9_S9_EESD_ST_SE_SF_SG_EUlST_E1_NS1_11comp_targetILNS1_3genE2ELNS1_11target_archE906ELNS1_3gpuE6ELNS1_3repE0EEENS1_36merge_oddeven_config_static_selectorELNS0_4arch9wavefront6targetE1EEEvSF_
                                        ; -- End function
	.section	.AMDGPU.csdata,"",@progbits
; Kernel info:
; codeLenInByte = 0
; NumSgprs: 4
; NumVgprs: 0
; NumAgprs: 0
; TotalNumVgprs: 0
; ScratchSize: 0
; MemoryBound: 0
; FloatMode: 240
; IeeeMode: 1
; LDSByteSize: 0 bytes/workgroup (compile time only)
; SGPRBlocks: 0
; VGPRBlocks: 0
; NumSGPRsForWavesPerEU: 4
; NumVGPRsForWavesPerEU: 1
; AccumOffset: 4
; Occupancy: 8
; WaveLimiterHint : 0
; COMPUTE_PGM_RSRC2:SCRATCH_EN: 0
; COMPUTE_PGM_RSRC2:USER_SGPR: 6
; COMPUTE_PGM_RSRC2:TRAP_HANDLER: 0
; COMPUTE_PGM_RSRC2:TGID_X_EN: 1
; COMPUTE_PGM_RSRC2:TGID_Y_EN: 0
; COMPUTE_PGM_RSRC2:TGID_Z_EN: 0
; COMPUTE_PGM_RSRC2:TIDIG_COMP_CNT: 0
; COMPUTE_PGM_RSRC3_GFX90A:ACCUM_OFFSET: 0
; COMPUTE_PGM_RSRC3_GFX90A:TG_SPLIT: 0
	.section	.text._ZN7rocprim17ROCPRIM_400000_NS6detail17trampoline_kernelINS0_14default_configENS1_38merge_sort_block_merge_config_selectorImNS0_10empty_typeEEEZZNS1_27merge_sort_block_merge_implIS3_PmPS5_jNS1_19radix_merge_compareILb0ELb0EmNS0_19identity_decomposerEEEEE10hipError_tT0_T1_T2_jT3_P12ihipStream_tbPNSt15iterator_traitsISE_E10value_typeEPNSK_ISF_E10value_typeEPSG_NS1_7vsmem_tEENKUlT_SE_SF_SG_E_clIS8_S8_S9_S9_EESD_ST_SE_SF_SG_EUlST_E1_NS1_11comp_targetILNS1_3genE9ELNS1_11target_archE1100ELNS1_3gpuE3ELNS1_3repE0EEENS1_36merge_oddeven_config_static_selectorELNS0_4arch9wavefront6targetE1EEEvSF_,"axG",@progbits,_ZN7rocprim17ROCPRIM_400000_NS6detail17trampoline_kernelINS0_14default_configENS1_38merge_sort_block_merge_config_selectorImNS0_10empty_typeEEEZZNS1_27merge_sort_block_merge_implIS3_PmPS5_jNS1_19radix_merge_compareILb0ELb0EmNS0_19identity_decomposerEEEEE10hipError_tT0_T1_T2_jT3_P12ihipStream_tbPNSt15iterator_traitsISE_E10value_typeEPNSK_ISF_E10value_typeEPSG_NS1_7vsmem_tEENKUlT_SE_SF_SG_E_clIS8_S8_S9_S9_EESD_ST_SE_SF_SG_EUlST_E1_NS1_11comp_targetILNS1_3genE9ELNS1_11target_archE1100ELNS1_3gpuE3ELNS1_3repE0EEENS1_36merge_oddeven_config_static_selectorELNS0_4arch9wavefront6targetE1EEEvSF_,comdat
	.protected	_ZN7rocprim17ROCPRIM_400000_NS6detail17trampoline_kernelINS0_14default_configENS1_38merge_sort_block_merge_config_selectorImNS0_10empty_typeEEEZZNS1_27merge_sort_block_merge_implIS3_PmPS5_jNS1_19radix_merge_compareILb0ELb0EmNS0_19identity_decomposerEEEEE10hipError_tT0_T1_T2_jT3_P12ihipStream_tbPNSt15iterator_traitsISE_E10value_typeEPNSK_ISF_E10value_typeEPSG_NS1_7vsmem_tEENKUlT_SE_SF_SG_E_clIS8_S8_S9_S9_EESD_ST_SE_SF_SG_EUlST_E1_NS1_11comp_targetILNS1_3genE9ELNS1_11target_archE1100ELNS1_3gpuE3ELNS1_3repE0EEENS1_36merge_oddeven_config_static_selectorELNS0_4arch9wavefront6targetE1EEEvSF_ ; -- Begin function _ZN7rocprim17ROCPRIM_400000_NS6detail17trampoline_kernelINS0_14default_configENS1_38merge_sort_block_merge_config_selectorImNS0_10empty_typeEEEZZNS1_27merge_sort_block_merge_implIS3_PmPS5_jNS1_19radix_merge_compareILb0ELb0EmNS0_19identity_decomposerEEEEE10hipError_tT0_T1_T2_jT3_P12ihipStream_tbPNSt15iterator_traitsISE_E10value_typeEPNSK_ISF_E10value_typeEPSG_NS1_7vsmem_tEENKUlT_SE_SF_SG_E_clIS8_S8_S9_S9_EESD_ST_SE_SF_SG_EUlST_E1_NS1_11comp_targetILNS1_3genE9ELNS1_11target_archE1100ELNS1_3gpuE3ELNS1_3repE0EEENS1_36merge_oddeven_config_static_selectorELNS0_4arch9wavefront6targetE1EEEvSF_
	.globl	_ZN7rocprim17ROCPRIM_400000_NS6detail17trampoline_kernelINS0_14default_configENS1_38merge_sort_block_merge_config_selectorImNS0_10empty_typeEEEZZNS1_27merge_sort_block_merge_implIS3_PmPS5_jNS1_19radix_merge_compareILb0ELb0EmNS0_19identity_decomposerEEEEE10hipError_tT0_T1_T2_jT3_P12ihipStream_tbPNSt15iterator_traitsISE_E10value_typeEPNSK_ISF_E10value_typeEPSG_NS1_7vsmem_tEENKUlT_SE_SF_SG_E_clIS8_S8_S9_S9_EESD_ST_SE_SF_SG_EUlST_E1_NS1_11comp_targetILNS1_3genE9ELNS1_11target_archE1100ELNS1_3gpuE3ELNS1_3repE0EEENS1_36merge_oddeven_config_static_selectorELNS0_4arch9wavefront6targetE1EEEvSF_
	.p2align	8
	.type	_ZN7rocprim17ROCPRIM_400000_NS6detail17trampoline_kernelINS0_14default_configENS1_38merge_sort_block_merge_config_selectorImNS0_10empty_typeEEEZZNS1_27merge_sort_block_merge_implIS3_PmPS5_jNS1_19radix_merge_compareILb0ELb0EmNS0_19identity_decomposerEEEEE10hipError_tT0_T1_T2_jT3_P12ihipStream_tbPNSt15iterator_traitsISE_E10value_typeEPNSK_ISF_E10value_typeEPSG_NS1_7vsmem_tEENKUlT_SE_SF_SG_E_clIS8_S8_S9_S9_EESD_ST_SE_SF_SG_EUlST_E1_NS1_11comp_targetILNS1_3genE9ELNS1_11target_archE1100ELNS1_3gpuE3ELNS1_3repE0EEENS1_36merge_oddeven_config_static_selectorELNS0_4arch9wavefront6targetE1EEEvSF_,@function
_ZN7rocprim17ROCPRIM_400000_NS6detail17trampoline_kernelINS0_14default_configENS1_38merge_sort_block_merge_config_selectorImNS0_10empty_typeEEEZZNS1_27merge_sort_block_merge_implIS3_PmPS5_jNS1_19radix_merge_compareILb0ELb0EmNS0_19identity_decomposerEEEEE10hipError_tT0_T1_T2_jT3_P12ihipStream_tbPNSt15iterator_traitsISE_E10value_typeEPNSK_ISF_E10value_typeEPSG_NS1_7vsmem_tEENKUlT_SE_SF_SG_E_clIS8_S8_S9_S9_EESD_ST_SE_SF_SG_EUlST_E1_NS1_11comp_targetILNS1_3genE9ELNS1_11target_archE1100ELNS1_3gpuE3ELNS1_3repE0EEENS1_36merge_oddeven_config_static_selectorELNS0_4arch9wavefront6targetE1EEEvSF_: ; @_ZN7rocprim17ROCPRIM_400000_NS6detail17trampoline_kernelINS0_14default_configENS1_38merge_sort_block_merge_config_selectorImNS0_10empty_typeEEEZZNS1_27merge_sort_block_merge_implIS3_PmPS5_jNS1_19radix_merge_compareILb0ELb0EmNS0_19identity_decomposerEEEEE10hipError_tT0_T1_T2_jT3_P12ihipStream_tbPNSt15iterator_traitsISE_E10value_typeEPNSK_ISF_E10value_typeEPSG_NS1_7vsmem_tEENKUlT_SE_SF_SG_E_clIS8_S8_S9_S9_EESD_ST_SE_SF_SG_EUlST_E1_NS1_11comp_targetILNS1_3genE9ELNS1_11target_archE1100ELNS1_3gpuE3ELNS1_3repE0EEENS1_36merge_oddeven_config_static_selectorELNS0_4arch9wavefront6targetE1EEEvSF_
; %bb.0:
	.section	.rodata,"a",@progbits
	.p2align	6, 0x0
	.amdhsa_kernel _ZN7rocprim17ROCPRIM_400000_NS6detail17trampoline_kernelINS0_14default_configENS1_38merge_sort_block_merge_config_selectorImNS0_10empty_typeEEEZZNS1_27merge_sort_block_merge_implIS3_PmPS5_jNS1_19radix_merge_compareILb0ELb0EmNS0_19identity_decomposerEEEEE10hipError_tT0_T1_T2_jT3_P12ihipStream_tbPNSt15iterator_traitsISE_E10value_typeEPNSK_ISF_E10value_typeEPSG_NS1_7vsmem_tEENKUlT_SE_SF_SG_E_clIS8_S8_S9_S9_EESD_ST_SE_SF_SG_EUlST_E1_NS1_11comp_targetILNS1_3genE9ELNS1_11target_archE1100ELNS1_3gpuE3ELNS1_3repE0EEENS1_36merge_oddeven_config_static_selectorELNS0_4arch9wavefront6targetE1EEEvSF_
		.amdhsa_group_segment_fixed_size 0
		.amdhsa_private_segment_fixed_size 0
		.amdhsa_kernarg_size 48
		.amdhsa_user_sgpr_count 6
		.amdhsa_user_sgpr_private_segment_buffer 1
		.amdhsa_user_sgpr_dispatch_ptr 0
		.amdhsa_user_sgpr_queue_ptr 0
		.amdhsa_user_sgpr_kernarg_segment_ptr 1
		.amdhsa_user_sgpr_dispatch_id 0
		.amdhsa_user_sgpr_flat_scratch_init 0
		.amdhsa_user_sgpr_kernarg_preload_length 0
		.amdhsa_user_sgpr_kernarg_preload_offset 0
		.amdhsa_user_sgpr_private_segment_size 0
		.amdhsa_uses_dynamic_stack 0
		.amdhsa_system_sgpr_private_segment_wavefront_offset 0
		.amdhsa_system_sgpr_workgroup_id_x 1
		.amdhsa_system_sgpr_workgroup_id_y 0
		.amdhsa_system_sgpr_workgroup_id_z 0
		.amdhsa_system_sgpr_workgroup_info 0
		.amdhsa_system_vgpr_workitem_id 0
		.amdhsa_next_free_vgpr 1
		.amdhsa_next_free_sgpr 0
		.amdhsa_accum_offset 4
		.amdhsa_reserve_vcc 0
		.amdhsa_reserve_flat_scratch 0
		.amdhsa_float_round_mode_32 0
		.amdhsa_float_round_mode_16_64 0
		.amdhsa_float_denorm_mode_32 3
		.amdhsa_float_denorm_mode_16_64 3
		.amdhsa_dx10_clamp 1
		.amdhsa_ieee_mode 1
		.amdhsa_fp16_overflow 0
		.amdhsa_tg_split 0
		.amdhsa_exception_fp_ieee_invalid_op 0
		.amdhsa_exception_fp_denorm_src 0
		.amdhsa_exception_fp_ieee_div_zero 0
		.amdhsa_exception_fp_ieee_overflow 0
		.amdhsa_exception_fp_ieee_underflow 0
		.amdhsa_exception_fp_ieee_inexact 0
		.amdhsa_exception_int_div_zero 0
	.end_amdhsa_kernel
	.section	.text._ZN7rocprim17ROCPRIM_400000_NS6detail17trampoline_kernelINS0_14default_configENS1_38merge_sort_block_merge_config_selectorImNS0_10empty_typeEEEZZNS1_27merge_sort_block_merge_implIS3_PmPS5_jNS1_19radix_merge_compareILb0ELb0EmNS0_19identity_decomposerEEEEE10hipError_tT0_T1_T2_jT3_P12ihipStream_tbPNSt15iterator_traitsISE_E10value_typeEPNSK_ISF_E10value_typeEPSG_NS1_7vsmem_tEENKUlT_SE_SF_SG_E_clIS8_S8_S9_S9_EESD_ST_SE_SF_SG_EUlST_E1_NS1_11comp_targetILNS1_3genE9ELNS1_11target_archE1100ELNS1_3gpuE3ELNS1_3repE0EEENS1_36merge_oddeven_config_static_selectorELNS0_4arch9wavefront6targetE1EEEvSF_,"axG",@progbits,_ZN7rocprim17ROCPRIM_400000_NS6detail17trampoline_kernelINS0_14default_configENS1_38merge_sort_block_merge_config_selectorImNS0_10empty_typeEEEZZNS1_27merge_sort_block_merge_implIS3_PmPS5_jNS1_19radix_merge_compareILb0ELb0EmNS0_19identity_decomposerEEEEE10hipError_tT0_T1_T2_jT3_P12ihipStream_tbPNSt15iterator_traitsISE_E10value_typeEPNSK_ISF_E10value_typeEPSG_NS1_7vsmem_tEENKUlT_SE_SF_SG_E_clIS8_S8_S9_S9_EESD_ST_SE_SF_SG_EUlST_E1_NS1_11comp_targetILNS1_3genE9ELNS1_11target_archE1100ELNS1_3gpuE3ELNS1_3repE0EEENS1_36merge_oddeven_config_static_selectorELNS0_4arch9wavefront6targetE1EEEvSF_,comdat
.Lfunc_end928:
	.size	_ZN7rocprim17ROCPRIM_400000_NS6detail17trampoline_kernelINS0_14default_configENS1_38merge_sort_block_merge_config_selectorImNS0_10empty_typeEEEZZNS1_27merge_sort_block_merge_implIS3_PmPS5_jNS1_19radix_merge_compareILb0ELb0EmNS0_19identity_decomposerEEEEE10hipError_tT0_T1_T2_jT3_P12ihipStream_tbPNSt15iterator_traitsISE_E10value_typeEPNSK_ISF_E10value_typeEPSG_NS1_7vsmem_tEENKUlT_SE_SF_SG_E_clIS8_S8_S9_S9_EESD_ST_SE_SF_SG_EUlST_E1_NS1_11comp_targetILNS1_3genE9ELNS1_11target_archE1100ELNS1_3gpuE3ELNS1_3repE0EEENS1_36merge_oddeven_config_static_selectorELNS0_4arch9wavefront6targetE1EEEvSF_, .Lfunc_end928-_ZN7rocprim17ROCPRIM_400000_NS6detail17trampoline_kernelINS0_14default_configENS1_38merge_sort_block_merge_config_selectorImNS0_10empty_typeEEEZZNS1_27merge_sort_block_merge_implIS3_PmPS5_jNS1_19radix_merge_compareILb0ELb0EmNS0_19identity_decomposerEEEEE10hipError_tT0_T1_T2_jT3_P12ihipStream_tbPNSt15iterator_traitsISE_E10value_typeEPNSK_ISF_E10value_typeEPSG_NS1_7vsmem_tEENKUlT_SE_SF_SG_E_clIS8_S8_S9_S9_EESD_ST_SE_SF_SG_EUlST_E1_NS1_11comp_targetILNS1_3genE9ELNS1_11target_archE1100ELNS1_3gpuE3ELNS1_3repE0EEENS1_36merge_oddeven_config_static_selectorELNS0_4arch9wavefront6targetE1EEEvSF_
                                        ; -- End function
	.section	.AMDGPU.csdata,"",@progbits
; Kernel info:
; codeLenInByte = 0
; NumSgprs: 4
; NumVgprs: 0
; NumAgprs: 0
; TotalNumVgprs: 0
; ScratchSize: 0
; MemoryBound: 0
; FloatMode: 240
; IeeeMode: 1
; LDSByteSize: 0 bytes/workgroup (compile time only)
; SGPRBlocks: 0
; VGPRBlocks: 0
; NumSGPRsForWavesPerEU: 4
; NumVGPRsForWavesPerEU: 1
; AccumOffset: 4
; Occupancy: 8
; WaveLimiterHint : 0
; COMPUTE_PGM_RSRC2:SCRATCH_EN: 0
; COMPUTE_PGM_RSRC2:USER_SGPR: 6
; COMPUTE_PGM_RSRC2:TRAP_HANDLER: 0
; COMPUTE_PGM_RSRC2:TGID_X_EN: 1
; COMPUTE_PGM_RSRC2:TGID_Y_EN: 0
; COMPUTE_PGM_RSRC2:TGID_Z_EN: 0
; COMPUTE_PGM_RSRC2:TIDIG_COMP_CNT: 0
; COMPUTE_PGM_RSRC3_GFX90A:ACCUM_OFFSET: 0
; COMPUTE_PGM_RSRC3_GFX90A:TG_SPLIT: 0
	.section	.text._ZN7rocprim17ROCPRIM_400000_NS6detail17trampoline_kernelINS0_14default_configENS1_38merge_sort_block_merge_config_selectorImNS0_10empty_typeEEEZZNS1_27merge_sort_block_merge_implIS3_PmPS5_jNS1_19radix_merge_compareILb0ELb0EmNS0_19identity_decomposerEEEEE10hipError_tT0_T1_T2_jT3_P12ihipStream_tbPNSt15iterator_traitsISE_E10value_typeEPNSK_ISF_E10value_typeEPSG_NS1_7vsmem_tEENKUlT_SE_SF_SG_E_clIS8_S8_S9_S9_EESD_ST_SE_SF_SG_EUlST_E1_NS1_11comp_targetILNS1_3genE8ELNS1_11target_archE1030ELNS1_3gpuE2ELNS1_3repE0EEENS1_36merge_oddeven_config_static_selectorELNS0_4arch9wavefront6targetE1EEEvSF_,"axG",@progbits,_ZN7rocprim17ROCPRIM_400000_NS6detail17trampoline_kernelINS0_14default_configENS1_38merge_sort_block_merge_config_selectorImNS0_10empty_typeEEEZZNS1_27merge_sort_block_merge_implIS3_PmPS5_jNS1_19radix_merge_compareILb0ELb0EmNS0_19identity_decomposerEEEEE10hipError_tT0_T1_T2_jT3_P12ihipStream_tbPNSt15iterator_traitsISE_E10value_typeEPNSK_ISF_E10value_typeEPSG_NS1_7vsmem_tEENKUlT_SE_SF_SG_E_clIS8_S8_S9_S9_EESD_ST_SE_SF_SG_EUlST_E1_NS1_11comp_targetILNS1_3genE8ELNS1_11target_archE1030ELNS1_3gpuE2ELNS1_3repE0EEENS1_36merge_oddeven_config_static_selectorELNS0_4arch9wavefront6targetE1EEEvSF_,comdat
	.protected	_ZN7rocprim17ROCPRIM_400000_NS6detail17trampoline_kernelINS0_14default_configENS1_38merge_sort_block_merge_config_selectorImNS0_10empty_typeEEEZZNS1_27merge_sort_block_merge_implIS3_PmPS5_jNS1_19radix_merge_compareILb0ELb0EmNS0_19identity_decomposerEEEEE10hipError_tT0_T1_T2_jT3_P12ihipStream_tbPNSt15iterator_traitsISE_E10value_typeEPNSK_ISF_E10value_typeEPSG_NS1_7vsmem_tEENKUlT_SE_SF_SG_E_clIS8_S8_S9_S9_EESD_ST_SE_SF_SG_EUlST_E1_NS1_11comp_targetILNS1_3genE8ELNS1_11target_archE1030ELNS1_3gpuE2ELNS1_3repE0EEENS1_36merge_oddeven_config_static_selectorELNS0_4arch9wavefront6targetE1EEEvSF_ ; -- Begin function _ZN7rocprim17ROCPRIM_400000_NS6detail17trampoline_kernelINS0_14default_configENS1_38merge_sort_block_merge_config_selectorImNS0_10empty_typeEEEZZNS1_27merge_sort_block_merge_implIS3_PmPS5_jNS1_19radix_merge_compareILb0ELb0EmNS0_19identity_decomposerEEEEE10hipError_tT0_T1_T2_jT3_P12ihipStream_tbPNSt15iterator_traitsISE_E10value_typeEPNSK_ISF_E10value_typeEPSG_NS1_7vsmem_tEENKUlT_SE_SF_SG_E_clIS8_S8_S9_S9_EESD_ST_SE_SF_SG_EUlST_E1_NS1_11comp_targetILNS1_3genE8ELNS1_11target_archE1030ELNS1_3gpuE2ELNS1_3repE0EEENS1_36merge_oddeven_config_static_selectorELNS0_4arch9wavefront6targetE1EEEvSF_
	.globl	_ZN7rocprim17ROCPRIM_400000_NS6detail17trampoline_kernelINS0_14default_configENS1_38merge_sort_block_merge_config_selectorImNS0_10empty_typeEEEZZNS1_27merge_sort_block_merge_implIS3_PmPS5_jNS1_19radix_merge_compareILb0ELb0EmNS0_19identity_decomposerEEEEE10hipError_tT0_T1_T2_jT3_P12ihipStream_tbPNSt15iterator_traitsISE_E10value_typeEPNSK_ISF_E10value_typeEPSG_NS1_7vsmem_tEENKUlT_SE_SF_SG_E_clIS8_S8_S9_S9_EESD_ST_SE_SF_SG_EUlST_E1_NS1_11comp_targetILNS1_3genE8ELNS1_11target_archE1030ELNS1_3gpuE2ELNS1_3repE0EEENS1_36merge_oddeven_config_static_selectorELNS0_4arch9wavefront6targetE1EEEvSF_
	.p2align	8
	.type	_ZN7rocprim17ROCPRIM_400000_NS6detail17trampoline_kernelINS0_14default_configENS1_38merge_sort_block_merge_config_selectorImNS0_10empty_typeEEEZZNS1_27merge_sort_block_merge_implIS3_PmPS5_jNS1_19radix_merge_compareILb0ELb0EmNS0_19identity_decomposerEEEEE10hipError_tT0_T1_T2_jT3_P12ihipStream_tbPNSt15iterator_traitsISE_E10value_typeEPNSK_ISF_E10value_typeEPSG_NS1_7vsmem_tEENKUlT_SE_SF_SG_E_clIS8_S8_S9_S9_EESD_ST_SE_SF_SG_EUlST_E1_NS1_11comp_targetILNS1_3genE8ELNS1_11target_archE1030ELNS1_3gpuE2ELNS1_3repE0EEENS1_36merge_oddeven_config_static_selectorELNS0_4arch9wavefront6targetE1EEEvSF_,@function
_ZN7rocprim17ROCPRIM_400000_NS6detail17trampoline_kernelINS0_14default_configENS1_38merge_sort_block_merge_config_selectorImNS0_10empty_typeEEEZZNS1_27merge_sort_block_merge_implIS3_PmPS5_jNS1_19radix_merge_compareILb0ELb0EmNS0_19identity_decomposerEEEEE10hipError_tT0_T1_T2_jT3_P12ihipStream_tbPNSt15iterator_traitsISE_E10value_typeEPNSK_ISF_E10value_typeEPSG_NS1_7vsmem_tEENKUlT_SE_SF_SG_E_clIS8_S8_S9_S9_EESD_ST_SE_SF_SG_EUlST_E1_NS1_11comp_targetILNS1_3genE8ELNS1_11target_archE1030ELNS1_3gpuE2ELNS1_3repE0EEENS1_36merge_oddeven_config_static_selectorELNS0_4arch9wavefront6targetE1EEEvSF_: ; @_ZN7rocprim17ROCPRIM_400000_NS6detail17trampoline_kernelINS0_14default_configENS1_38merge_sort_block_merge_config_selectorImNS0_10empty_typeEEEZZNS1_27merge_sort_block_merge_implIS3_PmPS5_jNS1_19radix_merge_compareILb0ELb0EmNS0_19identity_decomposerEEEEE10hipError_tT0_T1_T2_jT3_P12ihipStream_tbPNSt15iterator_traitsISE_E10value_typeEPNSK_ISF_E10value_typeEPSG_NS1_7vsmem_tEENKUlT_SE_SF_SG_E_clIS8_S8_S9_S9_EESD_ST_SE_SF_SG_EUlST_E1_NS1_11comp_targetILNS1_3genE8ELNS1_11target_archE1030ELNS1_3gpuE2ELNS1_3repE0EEENS1_36merge_oddeven_config_static_selectorELNS0_4arch9wavefront6targetE1EEEvSF_
; %bb.0:
	.section	.rodata,"a",@progbits
	.p2align	6, 0x0
	.amdhsa_kernel _ZN7rocprim17ROCPRIM_400000_NS6detail17trampoline_kernelINS0_14default_configENS1_38merge_sort_block_merge_config_selectorImNS0_10empty_typeEEEZZNS1_27merge_sort_block_merge_implIS3_PmPS5_jNS1_19radix_merge_compareILb0ELb0EmNS0_19identity_decomposerEEEEE10hipError_tT0_T1_T2_jT3_P12ihipStream_tbPNSt15iterator_traitsISE_E10value_typeEPNSK_ISF_E10value_typeEPSG_NS1_7vsmem_tEENKUlT_SE_SF_SG_E_clIS8_S8_S9_S9_EESD_ST_SE_SF_SG_EUlST_E1_NS1_11comp_targetILNS1_3genE8ELNS1_11target_archE1030ELNS1_3gpuE2ELNS1_3repE0EEENS1_36merge_oddeven_config_static_selectorELNS0_4arch9wavefront6targetE1EEEvSF_
		.amdhsa_group_segment_fixed_size 0
		.amdhsa_private_segment_fixed_size 0
		.amdhsa_kernarg_size 48
		.amdhsa_user_sgpr_count 6
		.amdhsa_user_sgpr_private_segment_buffer 1
		.amdhsa_user_sgpr_dispatch_ptr 0
		.amdhsa_user_sgpr_queue_ptr 0
		.amdhsa_user_sgpr_kernarg_segment_ptr 1
		.amdhsa_user_sgpr_dispatch_id 0
		.amdhsa_user_sgpr_flat_scratch_init 0
		.amdhsa_user_sgpr_kernarg_preload_length 0
		.amdhsa_user_sgpr_kernarg_preload_offset 0
		.amdhsa_user_sgpr_private_segment_size 0
		.amdhsa_uses_dynamic_stack 0
		.amdhsa_system_sgpr_private_segment_wavefront_offset 0
		.amdhsa_system_sgpr_workgroup_id_x 1
		.amdhsa_system_sgpr_workgroup_id_y 0
		.amdhsa_system_sgpr_workgroup_id_z 0
		.amdhsa_system_sgpr_workgroup_info 0
		.amdhsa_system_vgpr_workitem_id 0
		.amdhsa_next_free_vgpr 1
		.amdhsa_next_free_sgpr 0
		.amdhsa_accum_offset 4
		.amdhsa_reserve_vcc 0
		.amdhsa_reserve_flat_scratch 0
		.amdhsa_float_round_mode_32 0
		.amdhsa_float_round_mode_16_64 0
		.amdhsa_float_denorm_mode_32 3
		.amdhsa_float_denorm_mode_16_64 3
		.amdhsa_dx10_clamp 1
		.amdhsa_ieee_mode 1
		.amdhsa_fp16_overflow 0
		.amdhsa_tg_split 0
		.amdhsa_exception_fp_ieee_invalid_op 0
		.amdhsa_exception_fp_denorm_src 0
		.amdhsa_exception_fp_ieee_div_zero 0
		.amdhsa_exception_fp_ieee_overflow 0
		.amdhsa_exception_fp_ieee_underflow 0
		.amdhsa_exception_fp_ieee_inexact 0
		.amdhsa_exception_int_div_zero 0
	.end_amdhsa_kernel
	.section	.text._ZN7rocprim17ROCPRIM_400000_NS6detail17trampoline_kernelINS0_14default_configENS1_38merge_sort_block_merge_config_selectorImNS0_10empty_typeEEEZZNS1_27merge_sort_block_merge_implIS3_PmPS5_jNS1_19radix_merge_compareILb0ELb0EmNS0_19identity_decomposerEEEEE10hipError_tT0_T1_T2_jT3_P12ihipStream_tbPNSt15iterator_traitsISE_E10value_typeEPNSK_ISF_E10value_typeEPSG_NS1_7vsmem_tEENKUlT_SE_SF_SG_E_clIS8_S8_S9_S9_EESD_ST_SE_SF_SG_EUlST_E1_NS1_11comp_targetILNS1_3genE8ELNS1_11target_archE1030ELNS1_3gpuE2ELNS1_3repE0EEENS1_36merge_oddeven_config_static_selectorELNS0_4arch9wavefront6targetE1EEEvSF_,"axG",@progbits,_ZN7rocprim17ROCPRIM_400000_NS6detail17trampoline_kernelINS0_14default_configENS1_38merge_sort_block_merge_config_selectorImNS0_10empty_typeEEEZZNS1_27merge_sort_block_merge_implIS3_PmPS5_jNS1_19radix_merge_compareILb0ELb0EmNS0_19identity_decomposerEEEEE10hipError_tT0_T1_T2_jT3_P12ihipStream_tbPNSt15iterator_traitsISE_E10value_typeEPNSK_ISF_E10value_typeEPSG_NS1_7vsmem_tEENKUlT_SE_SF_SG_E_clIS8_S8_S9_S9_EESD_ST_SE_SF_SG_EUlST_E1_NS1_11comp_targetILNS1_3genE8ELNS1_11target_archE1030ELNS1_3gpuE2ELNS1_3repE0EEENS1_36merge_oddeven_config_static_selectorELNS0_4arch9wavefront6targetE1EEEvSF_,comdat
.Lfunc_end929:
	.size	_ZN7rocprim17ROCPRIM_400000_NS6detail17trampoline_kernelINS0_14default_configENS1_38merge_sort_block_merge_config_selectorImNS0_10empty_typeEEEZZNS1_27merge_sort_block_merge_implIS3_PmPS5_jNS1_19radix_merge_compareILb0ELb0EmNS0_19identity_decomposerEEEEE10hipError_tT0_T1_T2_jT3_P12ihipStream_tbPNSt15iterator_traitsISE_E10value_typeEPNSK_ISF_E10value_typeEPSG_NS1_7vsmem_tEENKUlT_SE_SF_SG_E_clIS8_S8_S9_S9_EESD_ST_SE_SF_SG_EUlST_E1_NS1_11comp_targetILNS1_3genE8ELNS1_11target_archE1030ELNS1_3gpuE2ELNS1_3repE0EEENS1_36merge_oddeven_config_static_selectorELNS0_4arch9wavefront6targetE1EEEvSF_, .Lfunc_end929-_ZN7rocprim17ROCPRIM_400000_NS6detail17trampoline_kernelINS0_14default_configENS1_38merge_sort_block_merge_config_selectorImNS0_10empty_typeEEEZZNS1_27merge_sort_block_merge_implIS3_PmPS5_jNS1_19radix_merge_compareILb0ELb0EmNS0_19identity_decomposerEEEEE10hipError_tT0_T1_T2_jT3_P12ihipStream_tbPNSt15iterator_traitsISE_E10value_typeEPNSK_ISF_E10value_typeEPSG_NS1_7vsmem_tEENKUlT_SE_SF_SG_E_clIS8_S8_S9_S9_EESD_ST_SE_SF_SG_EUlST_E1_NS1_11comp_targetILNS1_3genE8ELNS1_11target_archE1030ELNS1_3gpuE2ELNS1_3repE0EEENS1_36merge_oddeven_config_static_selectorELNS0_4arch9wavefront6targetE1EEEvSF_
                                        ; -- End function
	.section	.AMDGPU.csdata,"",@progbits
; Kernel info:
; codeLenInByte = 0
; NumSgprs: 4
; NumVgprs: 0
; NumAgprs: 0
; TotalNumVgprs: 0
; ScratchSize: 0
; MemoryBound: 0
; FloatMode: 240
; IeeeMode: 1
; LDSByteSize: 0 bytes/workgroup (compile time only)
; SGPRBlocks: 0
; VGPRBlocks: 0
; NumSGPRsForWavesPerEU: 4
; NumVGPRsForWavesPerEU: 1
; AccumOffset: 4
; Occupancy: 8
; WaveLimiterHint : 0
; COMPUTE_PGM_RSRC2:SCRATCH_EN: 0
; COMPUTE_PGM_RSRC2:USER_SGPR: 6
; COMPUTE_PGM_RSRC2:TRAP_HANDLER: 0
; COMPUTE_PGM_RSRC2:TGID_X_EN: 1
; COMPUTE_PGM_RSRC2:TGID_Y_EN: 0
; COMPUTE_PGM_RSRC2:TGID_Z_EN: 0
; COMPUTE_PGM_RSRC2:TIDIG_COMP_CNT: 0
; COMPUTE_PGM_RSRC3_GFX90A:ACCUM_OFFSET: 0
; COMPUTE_PGM_RSRC3_GFX90A:TG_SPLIT: 0
	.section	.text._ZN7rocprim17ROCPRIM_400000_NS6detail17trampoline_kernelINS0_14default_configENS1_25transform_config_selectorImLb1EEEZNS1_14transform_implILb1ES3_S5_PmS7_NS0_8identityImEEEE10hipError_tT2_T3_mT4_P12ihipStream_tbEUlT_E_NS1_11comp_targetILNS1_3genE0ELNS1_11target_archE4294967295ELNS1_3gpuE0ELNS1_3repE0EEENS1_30default_config_static_selectorELNS0_4arch9wavefront6targetE1EEEvT1_,"axG",@progbits,_ZN7rocprim17ROCPRIM_400000_NS6detail17trampoline_kernelINS0_14default_configENS1_25transform_config_selectorImLb1EEEZNS1_14transform_implILb1ES3_S5_PmS7_NS0_8identityImEEEE10hipError_tT2_T3_mT4_P12ihipStream_tbEUlT_E_NS1_11comp_targetILNS1_3genE0ELNS1_11target_archE4294967295ELNS1_3gpuE0ELNS1_3repE0EEENS1_30default_config_static_selectorELNS0_4arch9wavefront6targetE1EEEvT1_,comdat
	.protected	_ZN7rocprim17ROCPRIM_400000_NS6detail17trampoline_kernelINS0_14default_configENS1_25transform_config_selectorImLb1EEEZNS1_14transform_implILb1ES3_S5_PmS7_NS0_8identityImEEEE10hipError_tT2_T3_mT4_P12ihipStream_tbEUlT_E_NS1_11comp_targetILNS1_3genE0ELNS1_11target_archE4294967295ELNS1_3gpuE0ELNS1_3repE0EEENS1_30default_config_static_selectorELNS0_4arch9wavefront6targetE1EEEvT1_ ; -- Begin function _ZN7rocprim17ROCPRIM_400000_NS6detail17trampoline_kernelINS0_14default_configENS1_25transform_config_selectorImLb1EEEZNS1_14transform_implILb1ES3_S5_PmS7_NS0_8identityImEEEE10hipError_tT2_T3_mT4_P12ihipStream_tbEUlT_E_NS1_11comp_targetILNS1_3genE0ELNS1_11target_archE4294967295ELNS1_3gpuE0ELNS1_3repE0EEENS1_30default_config_static_selectorELNS0_4arch9wavefront6targetE1EEEvT1_
	.globl	_ZN7rocprim17ROCPRIM_400000_NS6detail17trampoline_kernelINS0_14default_configENS1_25transform_config_selectorImLb1EEEZNS1_14transform_implILb1ES3_S5_PmS7_NS0_8identityImEEEE10hipError_tT2_T3_mT4_P12ihipStream_tbEUlT_E_NS1_11comp_targetILNS1_3genE0ELNS1_11target_archE4294967295ELNS1_3gpuE0ELNS1_3repE0EEENS1_30default_config_static_selectorELNS0_4arch9wavefront6targetE1EEEvT1_
	.p2align	8
	.type	_ZN7rocprim17ROCPRIM_400000_NS6detail17trampoline_kernelINS0_14default_configENS1_25transform_config_selectorImLb1EEEZNS1_14transform_implILb1ES3_S5_PmS7_NS0_8identityImEEEE10hipError_tT2_T3_mT4_P12ihipStream_tbEUlT_E_NS1_11comp_targetILNS1_3genE0ELNS1_11target_archE4294967295ELNS1_3gpuE0ELNS1_3repE0EEENS1_30default_config_static_selectorELNS0_4arch9wavefront6targetE1EEEvT1_,@function
_ZN7rocprim17ROCPRIM_400000_NS6detail17trampoline_kernelINS0_14default_configENS1_25transform_config_selectorImLb1EEEZNS1_14transform_implILb1ES3_S5_PmS7_NS0_8identityImEEEE10hipError_tT2_T3_mT4_P12ihipStream_tbEUlT_E_NS1_11comp_targetILNS1_3genE0ELNS1_11target_archE4294967295ELNS1_3gpuE0ELNS1_3repE0EEENS1_30default_config_static_selectorELNS0_4arch9wavefront6targetE1EEEvT1_: ; @_ZN7rocprim17ROCPRIM_400000_NS6detail17trampoline_kernelINS0_14default_configENS1_25transform_config_selectorImLb1EEEZNS1_14transform_implILb1ES3_S5_PmS7_NS0_8identityImEEEE10hipError_tT2_T3_mT4_P12ihipStream_tbEUlT_E_NS1_11comp_targetILNS1_3genE0ELNS1_11target_archE4294967295ELNS1_3gpuE0ELNS1_3repE0EEENS1_30default_config_static_selectorELNS0_4arch9wavefront6targetE1EEEvT1_
; %bb.0:
	.section	.rodata,"a",@progbits
	.p2align	6, 0x0
	.amdhsa_kernel _ZN7rocprim17ROCPRIM_400000_NS6detail17trampoline_kernelINS0_14default_configENS1_25transform_config_selectorImLb1EEEZNS1_14transform_implILb1ES3_S5_PmS7_NS0_8identityImEEEE10hipError_tT2_T3_mT4_P12ihipStream_tbEUlT_E_NS1_11comp_targetILNS1_3genE0ELNS1_11target_archE4294967295ELNS1_3gpuE0ELNS1_3repE0EEENS1_30default_config_static_selectorELNS0_4arch9wavefront6targetE1EEEvT1_
		.amdhsa_group_segment_fixed_size 0
		.amdhsa_private_segment_fixed_size 0
		.amdhsa_kernarg_size 40
		.amdhsa_user_sgpr_count 6
		.amdhsa_user_sgpr_private_segment_buffer 1
		.amdhsa_user_sgpr_dispatch_ptr 0
		.amdhsa_user_sgpr_queue_ptr 0
		.amdhsa_user_sgpr_kernarg_segment_ptr 1
		.amdhsa_user_sgpr_dispatch_id 0
		.amdhsa_user_sgpr_flat_scratch_init 0
		.amdhsa_user_sgpr_kernarg_preload_length 0
		.amdhsa_user_sgpr_kernarg_preload_offset 0
		.amdhsa_user_sgpr_private_segment_size 0
		.amdhsa_uses_dynamic_stack 0
		.amdhsa_system_sgpr_private_segment_wavefront_offset 0
		.amdhsa_system_sgpr_workgroup_id_x 1
		.amdhsa_system_sgpr_workgroup_id_y 0
		.amdhsa_system_sgpr_workgroup_id_z 0
		.amdhsa_system_sgpr_workgroup_info 0
		.amdhsa_system_vgpr_workitem_id 0
		.amdhsa_next_free_vgpr 1
		.amdhsa_next_free_sgpr 0
		.amdhsa_accum_offset 4
		.amdhsa_reserve_vcc 0
		.amdhsa_reserve_flat_scratch 0
		.amdhsa_float_round_mode_32 0
		.amdhsa_float_round_mode_16_64 0
		.amdhsa_float_denorm_mode_32 3
		.amdhsa_float_denorm_mode_16_64 3
		.amdhsa_dx10_clamp 1
		.amdhsa_ieee_mode 1
		.amdhsa_fp16_overflow 0
		.amdhsa_tg_split 0
		.amdhsa_exception_fp_ieee_invalid_op 0
		.amdhsa_exception_fp_denorm_src 0
		.amdhsa_exception_fp_ieee_div_zero 0
		.amdhsa_exception_fp_ieee_overflow 0
		.amdhsa_exception_fp_ieee_underflow 0
		.amdhsa_exception_fp_ieee_inexact 0
		.amdhsa_exception_int_div_zero 0
	.end_amdhsa_kernel
	.section	.text._ZN7rocprim17ROCPRIM_400000_NS6detail17trampoline_kernelINS0_14default_configENS1_25transform_config_selectorImLb1EEEZNS1_14transform_implILb1ES3_S5_PmS7_NS0_8identityImEEEE10hipError_tT2_T3_mT4_P12ihipStream_tbEUlT_E_NS1_11comp_targetILNS1_3genE0ELNS1_11target_archE4294967295ELNS1_3gpuE0ELNS1_3repE0EEENS1_30default_config_static_selectorELNS0_4arch9wavefront6targetE1EEEvT1_,"axG",@progbits,_ZN7rocprim17ROCPRIM_400000_NS6detail17trampoline_kernelINS0_14default_configENS1_25transform_config_selectorImLb1EEEZNS1_14transform_implILb1ES3_S5_PmS7_NS0_8identityImEEEE10hipError_tT2_T3_mT4_P12ihipStream_tbEUlT_E_NS1_11comp_targetILNS1_3genE0ELNS1_11target_archE4294967295ELNS1_3gpuE0ELNS1_3repE0EEENS1_30default_config_static_selectorELNS0_4arch9wavefront6targetE1EEEvT1_,comdat
.Lfunc_end930:
	.size	_ZN7rocprim17ROCPRIM_400000_NS6detail17trampoline_kernelINS0_14default_configENS1_25transform_config_selectorImLb1EEEZNS1_14transform_implILb1ES3_S5_PmS7_NS0_8identityImEEEE10hipError_tT2_T3_mT4_P12ihipStream_tbEUlT_E_NS1_11comp_targetILNS1_3genE0ELNS1_11target_archE4294967295ELNS1_3gpuE0ELNS1_3repE0EEENS1_30default_config_static_selectorELNS0_4arch9wavefront6targetE1EEEvT1_, .Lfunc_end930-_ZN7rocprim17ROCPRIM_400000_NS6detail17trampoline_kernelINS0_14default_configENS1_25transform_config_selectorImLb1EEEZNS1_14transform_implILb1ES3_S5_PmS7_NS0_8identityImEEEE10hipError_tT2_T3_mT4_P12ihipStream_tbEUlT_E_NS1_11comp_targetILNS1_3genE0ELNS1_11target_archE4294967295ELNS1_3gpuE0ELNS1_3repE0EEENS1_30default_config_static_selectorELNS0_4arch9wavefront6targetE1EEEvT1_
                                        ; -- End function
	.section	.AMDGPU.csdata,"",@progbits
; Kernel info:
; codeLenInByte = 0
; NumSgprs: 4
; NumVgprs: 0
; NumAgprs: 0
; TotalNumVgprs: 0
; ScratchSize: 0
; MemoryBound: 0
; FloatMode: 240
; IeeeMode: 1
; LDSByteSize: 0 bytes/workgroup (compile time only)
; SGPRBlocks: 0
; VGPRBlocks: 0
; NumSGPRsForWavesPerEU: 4
; NumVGPRsForWavesPerEU: 1
; AccumOffset: 4
; Occupancy: 8
; WaveLimiterHint : 0
; COMPUTE_PGM_RSRC2:SCRATCH_EN: 0
; COMPUTE_PGM_RSRC2:USER_SGPR: 6
; COMPUTE_PGM_RSRC2:TRAP_HANDLER: 0
; COMPUTE_PGM_RSRC2:TGID_X_EN: 1
; COMPUTE_PGM_RSRC2:TGID_Y_EN: 0
; COMPUTE_PGM_RSRC2:TGID_Z_EN: 0
; COMPUTE_PGM_RSRC2:TIDIG_COMP_CNT: 0
; COMPUTE_PGM_RSRC3_GFX90A:ACCUM_OFFSET: 0
; COMPUTE_PGM_RSRC3_GFX90A:TG_SPLIT: 0
	.section	.text._ZN7rocprim17ROCPRIM_400000_NS6detail17trampoline_kernelINS0_14default_configENS1_25transform_config_selectorImLb1EEEZNS1_14transform_implILb1ES3_S5_PmS7_NS0_8identityImEEEE10hipError_tT2_T3_mT4_P12ihipStream_tbEUlT_E_NS1_11comp_targetILNS1_3genE10ELNS1_11target_archE1201ELNS1_3gpuE5ELNS1_3repE0EEENS1_30default_config_static_selectorELNS0_4arch9wavefront6targetE1EEEvT1_,"axG",@progbits,_ZN7rocprim17ROCPRIM_400000_NS6detail17trampoline_kernelINS0_14default_configENS1_25transform_config_selectorImLb1EEEZNS1_14transform_implILb1ES3_S5_PmS7_NS0_8identityImEEEE10hipError_tT2_T3_mT4_P12ihipStream_tbEUlT_E_NS1_11comp_targetILNS1_3genE10ELNS1_11target_archE1201ELNS1_3gpuE5ELNS1_3repE0EEENS1_30default_config_static_selectorELNS0_4arch9wavefront6targetE1EEEvT1_,comdat
	.protected	_ZN7rocprim17ROCPRIM_400000_NS6detail17trampoline_kernelINS0_14default_configENS1_25transform_config_selectorImLb1EEEZNS1_14transform_implILb1ES3_S5_PmS7_NS0_8identityImEEEE10hipError_tT2_T3_mT4_P12ihipStream_tbEUlT_E_NS1_11comp_targetILNS1_3genE10ELNS1_11target_archE1201ELNS1_3gpuE5ELNS1_3repE0EEENS1_30default_config_static_selectorELNS0_4arch9wavefront6targetE1EEEvT1_ ; -- Begin function _ZN7rocprim17ROCPRIM_400000_NS6detail17trampoline_kernelINS0_14default_configENS1_25transform_config_selectorImLb1EEEZNS1_14transform_implILb1ES3_S5_PmS7_NS0_8identityImEEEE10hipError_tT2_T3_mT4_P12ihipStream_tbEUlT_E_NS1_11comp_targetILNS1_3genE10ELNS1_11target_archE1201ELNS1_3gpuE5ELNS1_3repE0EEENS1_30default_config_static_selectorELNS0_4arch9wavefront6targetE1EEEvT1_
	.globl	_ZN7rocprim17ROCPRIM_400000_NS6detail17trampoline_kernelINS0_14default_configENS1_25transform_config_selectorImLb1EEEZNS1_14transform_implILb1ES3_S5_PmS7_NS0_8identityImEEEE10hipError_tT2_T3_mT4_P12ihipStream_tbEUlT_E_NS1_11comp_targetILNS1_3genE10ELNS1_11target_archE1201ELNS1_3gpuE5ELNS1_3repE0EEENS1_30default_config_static_selectorELNS0_4arch9wavefront6targetE1EEEvT1_
	.p2align	8
	.type	_ZN7rocprim17ROCPRIM_400000_NS6detail17trampoline_kernelINS0_14default_configENS1_25transform_config_selectorImLb1EEEZNS1_14transform_implILb1ES3_S5_PmS7_NS0_8identityImEEEE10hipError_tT2_T3_mT4_P12ihipStream_tbEUlT_E_NS1_11comp_targetILNS1_3genE10ELNS1_11target_archE1201ELNS1_3gpuE5ELNS1_3repE0EEENS1_30default_config_static_selectorELNS0_4arch9wavefront6targetE1EEEvT1_,@function
_ZN7rocprim17ROCPRIM_400000_NS6detail17trampoline_kernelINS0_14default_configENS1_25transform_config_selectorImLb1EEEZNS1_14transform_implILb1ES3_S5_PmS7_NS0_8identityImEEEE10hipError_tT2_T3_mT4_P12ihipStream_tbEUlT_E_NS1_11comp_targetILNS1_3genE10ELNS1_11target_archE1201ELNS1_3gpuE5ELNS1_3repE0EEENS1_30default_config_static_selectorELNS0_4arch9wavefront6targetE1EEEvT1_: ; @_ZN7rocprim17ROCPRIM_400000_NS6detail17trampoline_kernelINS0_14default_configENS1_25transform_config_selectorImLb1EEEZNS1_14transform_implILb1ES3_S5_PmS7_NS0_8identityImEEEE10hipError_tT2_T3_mT4_P12ihipStream_tbEUlT_E_NS1_11comp_targetILNS1_3genE10ELNS1_11target_archE1201ELNS1_3gpuE5ELNS1_3repE0EEENS1_30default_config_static_selectorELNS0_4arch9wavefront6targetE1EEEvT1_
; %bb.0:
	.section	.rodata,"a",@progbits
	.p2align	6, 0x0
	.amdhsa_kernel _ZN7rocprim17ROCPRIM_400000_NS6detail17trampoline_kernelINS0_14default_configENS1_25transform_config_selectorImLb1EEEZNS1_14transform_implILb1ES3_S5_PmS7_NS0_8identityImEEEE10hipError_tT2_T3_mT4_P12ihipStream_tbEUlT_E_NS1_11comp_targetILNS1_3genE10ELNS1_11target_archE1201ELNS1_3gpuE5ELNS1_3repE0EEENS1_30default_config_static_selectorELNS0_4arch9wavefront6targetE1EEEvT1_
		.amdhsa_group_segment_fixed_size 0
		.amdhsa_private_segment_fixed_size 0
		.amdhsa_kernarg_size 40
		.amdhsa_user_sgpr_count 6
		.amdhsa_user_sgpr_private_segment_buffer 1
		.amdhsa_user_sgpr_dispatch_ptr 0
		.amdhsa_user_sgpr_queue_ptr 0
		.amdhsa_user_sgpr_kernarg_segment_ptr 1
		.amdhsa_user_sgpr_dispatch_id 0
		.amdhsa_user_sgpr_flat_scratch_init 0
		.amdhsa_user_sgpr_kernarg_preload_length 0
		.amdhsa_user_sgpr_kernarg_preload_offset 0
		.amdhsa_user_sgpr_private_segment_size 0
		.amdhsa_uses_dynamic_stack 0
		.amdhsa_system_sgpr_private_segment_wavefront_offset 0
		.amdhsa_system_sgpr_workgroup_id_x 1
		.amdhsa_system_sgpr_workgroup_id_y 0
		.amdhsa_system_sgpr_workgroup_id_z 0
		.amdhsa_system_sgpr_workgroup_info 0
		.amdhsa_system_vgpr_workitem_id 0
		.amdhsa_next_free_vgpr 1
		.amdhsa_next_free_sgpr 0
		.amdhsa_accum_offset 4
		.amdhsa_reserve_vcc 0
		.amdhsa_reserve_flat_scratch 0
		.amdhsa_float_round_mode_32 0
		.amdhsa_float_round_mode_16_64 0
		.amdhsa_float_denorm_mode_32 3
		.amdhsa_float_denorm_mode_16_64 3
		.amdhsa_dx10_clamp 1
		.amdhsa_ieee_mode 1
		.amdhsa_fp16_overflow 0
		.amdhsa_tg_split 0
		.amdhsa_exception_fp_ieee_invalid_op 0
		.amdhsa_exception_fp_denorm_src 0
		.amdhsa_exception_fp_ieee_div_zero 0
		.amdhsa_exception_fp_ieee_overflow 0
		.amdhsa_exception_fp_ieee_underflow 0
		.amdhsa_exception_fp_ieee_inexact 0
		.amdhsa_exception_int_div_zero 0
	.end_amdhsa_kernel
	.section	.text._ZN7rocprim17ROCPRIM_400000_NS6detail17trampoline_kernelINS0_14default_configENS1_25transform_config_selectorImLb1EEEZNS1_14transform_implILb1ES3_S5_PmS7_NS0_8identityImEEEE10hipError_tT2_T3_mT4_P12ihipStream_tbEUlT_E_NS1_11comp_targetILNS1_3genE10ELNS1_11target_archE1201ELNS1_3gpuE5ELNS1_3repE0EEENS1_30default_config_static_selectorELNS0_4arch9wavefront6targetE1EEEvT1_,"axG",@progbits,_ZN7rocprim17ROCPRIM_400000_NS6detail17trampoline_kernelINS0_14default_configENS1_25transform_config_selectorImLb1EEEZNS1_14transform_implILb1ES3_S5_PmS7_NS0_8identityImEEEE10hipError_tT2_T3_mT4_P12ihipStream_tbEUlT_E_NS1_11comp_targetILNS1_3genE10ELNS1_11target_archE1201ELNS1_3gpuE5ELNS1_3repE0EEENS1_30default_config_static_selectorELNS0_4arch9wavefront6targetE1EEEvT1_,comdat
.Lfunc_end931:
	.size	_ZN7rocprim17ROCPRIM_400000_NS6detail17trampoline_kernelINS0_14default_configENS1_25transform_config_selectorImLb1EEEZNS1_14transform_implILb1ES3_S5_PmS7_NS0_8identityImEEEE10hipError_tT2_T3_mT4_P12ihipStream_tbEUlT_E_NS1_11comp_targetILNS1_3genE10ELNS1_11target_archE1201ELNS1_3gpuE5ELNS1_3repE0EEENS1_30default_config_static_selectorELNS0_4arch9wavefront6targetE1EEEvT1_, .Lfunc_end931-_ZN7rocprim17ROCPRIM_400000_NS6detail17trampoline_kernelINS0_14default_configENS1_25transform_config_selectorImLb1EEEZNS1_14transform_implILb1ES3_S5_PmS7_NS0_8identityImEEEE10hipError_tT2_T3_mT4_P12ihipStream_tbEUlT_E_NS1_11comp_targetILNS1_3genE10ELNS1_11target_archE1201ELNS1_3gpuE5ELNS1_3repE0EEENS1_30default_config_static_selectorELNS0_4arch9wavefront6targetE1EEEvT1_
                                        ; -- End function
	.section	.AMDGPU.csdata,"",@progbits
; Kernel info:
; codeLenInByte = 0
; NumSgprs: 4
; NumVgprs: 0
; NumAgprs: 0
; TotalNumVgprs: 0
; ScratchSize: 0
; MemoryBound: 0
; FloatMode: 240
; IeeeMode: 1
; LDSByteSize: 0 bytes/workgroup (compile time only)
; SGPRBlocks: 0
; VGPRBlocks: 0
; NumSGPRsForWavesPerEU: 4
; NumVGPRsForWavesPerEU: 1
; AccumOffset: 4
; Occupancy: 8
; WaveLimiterHint : 0
; COMPUTE_PGM_RSRC2:SCRATCH_EN: 0
; COMPUTE_PGM_RSRC2:USER_SGPR: 6
; COMPUTE_PGM_RSRC2:TRAP_HANDLER: 0
; COMPUTE_PGM_RSRC2:TGID_X_EN: 1
; COMPUTE_PGM_RSRC2:TGID_Y_EN: 0
; COMPUTE_PGM_RSRC2:TGID_Z_EN: 0
; COMPUTE_PGM_RSRC2:TIDIG_COMP_CNT: 0
; COMPUTE_PGM_RSRC3_GFX90A:ACCUM_OFFSET: 0
; COMPUTE_PGM_RSRC3_GFX90A:TG_SPLIT: 0
	.section	.text._ZN7rocprim17ROCPRIM_400000_NS6detail17trampoline_kernelINS0_14default_configENS1_25transform_config_selectorImLb1EEEZNS1_14transform_implILb1ES3_S5_PmS7_NS0_8identityImEEEE10hipError_tT2_T3_mT4_P12ihipStream_tbEUlT_E_NS1_11comp_targetILNS1_3genE5ELNS1_11target_archE942ELNS1_3gpuE9ELNS1_3repE0EEENS1_30default_config_static_selectorELNS0_4arch9wavefront6targetE1EEEvT1_,"axG",@progbits,_ZN7rocprim17ROCPRIM_400000_NS6detail17trampoline_kernelINS0_14default_configENS1_25transform_config_selectorImLb1EEEZNS1_14transform_implILb1ES3_S5_PmS7_NS0_8identityImEEEE10hipError_tT2_T3_mT4_P12ihipStream_tbEUlT_E_NS1_11comp_targetILNS1_3genE5ELNS1_11target_archE942ELNS1_3gpuE9ELNS1_3repE0EEENS1_30default_config_static_selectorELNS0_4arch9wavefront6targetE1EEEvT1_,comdat
	.protected	_ZN7rocprim17ROCPRIM_400000_NS6detail17trampoline_kernelINS0_14default_configENS1_25transform_config_selectorImLb1EEEZNS1_14transform_implILb1ES3_S5_PmS7_NS0_8identityImEEEE10hipError_tT2_T3_mT4_P12ihipStream_tbEUlT_E_NS1_11comp_targetILNS1_3genE5ELNS1_11target_archE942ELNS1_3gpuE9ELNS1_3repE0EEENS1_30default_config_static_selectorELNS0_4arch9wavefront6targetE1EEEvT1_ ; -- Begin function _ZN7rocprim17ROCPRIM_400000_NS6detail17trampoline_kernelINS0_14default_configENS1_25transform_config_selectorImLb1EEEZNS1_14transform_implILb1ES3_S5_PmS7_NS0_8identityImEEEE10hipError_tT2_T3_mT4_P12ihipStream_tbEUlT_E_NS1_11comp_targetILNS1_3genE5ELNS1_11target_archE942ELNS1_3gpuE9ELNS1_3repE0EEENS1_30default_config_static_selectorELNS0_4arch9wavefront6targetE1EEEvT1_
	.globl	_ZN7rocprim17ROCPRIM_400000_NS6detail17trampoline_kernelINS0_14default_configENS1_25transform_config_selectorImLb1EEEZNS1_14transform_implILb1ES3_S5_PmS7_NS0_8identityImEEEE10hipError_tT2_T3_mT4_P12ihipStream_tbEUlT_E_NS1_11comp_targetILNS1_3genE5ELNS1_11target_archE942ELNS1_3gpuE9ELNS1_3repE0EEENS1_30default_config_static_selectorELNS0_4arch9wavefront6targetE1EEEvT1_
	.p2align	8
	.type	_ZN7rocprim17ROCPRIM_400000_NS6detail17trampoline_kernelINS0_14default_configENS1_25transform_config_selectorImLb1EEEZNS1_14transform_implILb1ES3_S5_PmS7_NS0_8identityImEEEE10hipError_tT2_T3_mT4_P12ihipStream_tbEUlT_E_NS1_11comp_targetILNS1_3genE5ELNS1_11target_archE942ELNS1_3gpuE9ELNS1_3repE0EEENS1_30default_config_static_selectorELNS0_4arch9wavefront6targetE1EEEvT1_,@function
_ZN7rocprim17ROCPRIM_400000_NS6detail17trampoline_kernelINS0_14default_configENS1_25transform_config_selectorImLb1EEEZNS1_14transform_implILb1ES3_S5_PmS7_NS0_8identityImEEEE10hipError_tT2_T3_mT4_P12ihipStream_tbEUlT_E_NS1_11comp_targetILNS1_3genE5ELNS1_11target_archE942ELNS1_3gpuE9ELNS1_3repE0EEENS1_30default_config_static_selectorELNS0_4arch9wavefront6targetE1EEEvT1_: ; @_ZN7rocprim17ROCPRIM_400000_NS6detail17trampoline_kernelINS0_14default_configENS1_25transform_config_selectorImLb1EEEZNS1_14transform_implILb1ES3_S5_PmS7_NS0_8identityImEEEE10hipError_tT2_T3_mT4_P12ihipStream_tbEUlT_E_NS1_11comp_targetILNS1_3genE5ELNS1_11target_archE942ELNS1_3gpuE9ELNS1_3repE0EEENS1_30default_config_static_selectorELNS0_4arch9wavefront6targetE1EEEvT1_
; %bb.0:
	.section	.rodata,"a",@progbits
	.p2align	6, 0x0
	.amdhsa_kernel _ZN7rocprim17ROCPRIM_400000_NS6detail17trampoline_kernelINS0_14default_configENS1_25transform_config_selectorImLb1EEEZNS1_14transform_implILb1ES3_S5_PmS7_NS0_8identityImEEEE10hipError_tT2_T3_mT4_P12ihipStream_tbEUlT_E_NS1_11comp_targetILNS1_3genE5ELNS1_11target_archE942ELNS1_3gpuE9ELNS1_3repE0EEENS1_30default_config_static_selectorELNS0_4arch9wavefront6targetE1EEEvT1_
		.amdhsa_group_segment_fixed_size 0
		.amdhsa_private_segment_fixed_size 0
		.amdhsa_kernarg_size 40
		.amdhsa_user_sgpr_count 6
		.amdhsa_user_sgpr_private_segment_buffer 1
		.amdhsa_user_sgpr_dispatch_ptr 0
		.amdhsa_user_sgpr_queue_ptr 0
		.amdhsa_user_sgpr_kernarg_segment_ptr 1
		.amdhsa_user_sgpr_dispatch_id 0
		.amdhsa_user_sgpr_flat_scratch_init 0
		.amdhsa_user_sgpr_kernarg_preload_length 0
		.amdhsa_user_sgpr_kernarg_preload_offset 0
		.amdhsa_user_sgpr_private_segment_size 0
		.amdhsa_uses_dynamic_stack 0
		.amdhsa_system_sgpr_private_segment_wavefront_offset 0
		.amdhsa_system_sgpr_workgroup_id_x 1
		.amdhsa_system_sgpr_workgroup_id_y 0
		.amdhsa_system_sgpr_workgroup_id_z 0
		.amdhsa_system_sgpr_workgroup_info 0
		.amdhsa_system_vgpr_workitem_id 0
		.amdhsa_next_free_vgpr 1
		.amdhsa_next_free_sgpr 0
		.amdhsa_accum_offset 4
		.amdhsa_reserve_vcc 0
		.amdhsa_reserve_flat_scratch 0
		.amdhsa_float_round_mode_32 0
		.amdhsa_float_round_mode_16_64 0
		.amdhsa_float_denorm_mode_32 3
		.amdhsa_float_denorm_mode_16_64 3
		.amdhsa_dx10_clamp 1
		.amdhsa_ieee_mode 1
		.amdhsa_fp16_overflow 0
		.amdhsa_tg_split 0
		.amdhsa_exception_fp_ieee_invalid_op 0
		.amdhsa_exception_fp_denorm_src 0
		.amdhsa_exception_fp_ieee_div_zero 0
		.amdhsa_exception_fp_ieee_overflow 0
		.amdhsa_exception_fp_ieee_underflow 0
		.amdhsa_exception_fp_ieee_inexact 0
		.amdhsa_exception_int_div_zero 0
	.end_amdhsa_kernel
	.section	.text._ZN7rocprim17ROCPRIM_400000_NS6detail17trampoline_kernelINS0_14default_configENS1_25transform_config_selectorImLb1EEEZNS1_14transform_implILb1ES3_S5_PmS7_NS0_8identityImEEEE10hipError_tT2_T3_mT4_P12ihipStream_tbEUlT_E_NS1_11comp_targetILNS1_3genE5ELNS1_11target_archE942ELNS1_3gpuE9ELNS1_3repE0EEENS1_30default_config_static_selectorELNS0_4arch9wavefront6targetE1EEEvT1_,"axG",@progbits,_ZN7rocprim17ROCPRIM_400000_NS6detail17trampoline_kernelINS0_14default_configENS1_25transform_config_selectorImLb1EEEZNS1_14transform_implILb1ES3_S5_PmS7_NS0_8identityImEEEE10hipError_tT2_T3_mT4_P12ihipStream_tbEUlT_E_NS1_11comp_targetILNS1_3genE5ELNS1_11target_archE942ELNS1_3gpuE9ELNS1_3repE0EEENS1_30default_config_static_selectorELNS0_4arch9wavefront6targetE1EEEvT1_,comdat
.Lfunc_end932:
	.size	_ZN7rocprim17ROCPRIM_400000_NS6detail17trampoline_kernelINS0_14default_configENS1_25transform_config_selectorImLb1EEEZNS1_14transform_implILb1ES3_S5_PmS7_NS0_8identityImEEEE10hipError_tT2_T3_mT4_P12ihipStream_tbEUlT_E_NS1_11comp_targetILNS1_3genE5ELNS1_11target_archE942ELNS1_3gpuE9ELNS1_3repE0EEENS1_30default_config_static_selectorELNS0_4arch9wavefront6targetE1EEEvT1_, .Lfunc_end932-_ZN7rocprim17ROCPRIM_400000_NS6detail17trampoline_kernelINS0_14default_configENS1_25transform_config_selectorImLb1EEEZNS1_14transform_implILb1ES3_S5_PmS7_NS0_8identityImEEEE10hipError_tT2_T3_mT4_P12ihipStream_tbEUlT_E_NS1_11comp_targetILNS1_3genE5ELNS1_11target_archE942ELNS1_3gpuE9ELNS1_3repE0EEENS1_30default_config_static_selectorELNS0_4arch9wavefront6targetE1EEEvT1_
                                        ; -- End function
	.section	.AMDGPU.csdata,"",@progbits
; Kernel info:
; codeLenInByte = 0
; NumSgprs: 4
; NumVgprs: 0
; NumAgprs: 0
; TotalNumVgprs: 0
; ScratchSize: 0
; MemoryBound: 0
; FloatMode: 240
; IeeeMode: 1
; LDSByteSize: 0 bytes/workgroup (compile time only)
; SGPRBlocks: 0
; VGPRBlocks: 0
; NumSGPRsForWavesPerEU: 4
; NumVGPRsForWavesPerEU: 1
; AccumOffset: 4
; Occupancy: 8
; WaveLimiterHint : 0
; COMPUTE_PGM_RSRC2:SCRATCH_EN: 0
; COMPUTE_PGM_RSRC2:USER_SGPR: 6
; COMPUTE_PGM_RSRC2:TRAP_HANDLER: 0
; COMPUTE_PGM_RSRC2:TGID_X_EN: 1
; COMPUTE_PGM_RSRC2:TGID_Y_EN: 0
; COMPUTE_PGM_RSRC2:TGID_Z_EN: 0
; COMPUTE_PGM_RSRC2:TIDIG_COMP_CNT: 0
; COMPUTE_PGM_RSRC3_GFX90A:ACCUM_OFFSET: 0
; COMPUTE_PGM_RSRC3_GFX90A:TG_SPLIT: 0
	.section	.text._ZN7rocprim17ROCPRIM_400000_NS6detail17trampoline_kernelINS0_14default_configENS1_25transform_config_selectorImLb1EEEZNS1_14transform_implILb1ES3_S5_PmS7_NS0_8identityImEEEE10hipError_tT2_T3_mT4_P12ihipStream_tbEUlT_E_NS1_11comp_targetILNS1_3genE4ELNS1_11target_archE910ELNS1_3gpuE8ELNS1_3repE0EEENS1_30default_config_static_selectorELNS0_4arch9wavefront6targetE1EEEvT1_,"axG",@progbits,_ZN7rocprim17ROCPRIM_400000_NS6detail17trampoline_kernelINS0_14default_configENS1_25transform_config_selectorImLb1EEEZNS1_14transform_implILb1ES3_S5_PmS7_NS0_8identityImEEEE10hipError_tT2_T3_mT4_P12ihipStream_tbEUlT_E_NS1_11comp_targetILNS1_3genE4ELNS1_11target_archE910ELNS1_3gpuE8ELNS1_3repE0EEENS1_30default_config_static_selectorELNS0_4arch9wavefront6targetE1EEEvT1_,comdat
	.protected	_ZN7rocprim17ROCPRIM_400000_NS6detail17trampoline_kernelINS0_14default_configENS1_25transform_config_selectorImLb1EEEZNS1_14transform_implILb1ES3_S5_PmS7_NS0_8identityImEEEE10hipError_tT2_T3_mT4_P12ihipStream_tbEUlT_E_NS1_11comp_targetILNS1_3genE4ELNS1_11target_archE910ELNS1_3gpuE8ELNS1_3repE0EEENS1_30default_config_static_selectorELNS0_4arch9wavefront6targetE1EEEvT1_ ; -- Begin function _ZN7rocprim17ROCPRIM_400000_NS6detail17trampoline_kernelINS0_14default_configENS1_25transform_config_selectorImLb1EEEZNS1_14transform_implILb1ES3_S5_PmS7_NS0_8identityImEEEE10hipError_tT2_T3_mT4_P12ihipStream_tbEUlT_E_NS1_11comp_targetILNS1_3genE4ELNS1_11target_archE910ELNS1_3gpuE8ELNS1_3repE0EEENS1_30default_config_static_selectorELNS0_4arch9wavefront6targetE1EEEvT1_
	.globl	_ZN7rocprim17ROCPRIM_400000_NS6detail17trampoline_kernelINS0_14default_configENS1_25transform_config_selectorImLb1EEEZNS1_14transform_implILb1ES3_S5_PmS7_NS0_8identityImEEEE10hipError_tT2_T3_mT4_P12ihipStream_tbEUlT_E_NS1_11comp_targetILNS1_3genE4ELNS1_11target_archE910ELNS1_3gpuE8ELNS1_3repE0EEENS1_30default_config_static_selectorELNS0_4arch9wavefront6targetE1EEEvT1_
	.p2align	8
	.type	_ZN7rocprim17ROCPRIM_400000_NS6detail17trampoline_kernelINS0_14default_configENS1_25transform_config_selectorImLb1EEEZNS1_14transform_implILb1ES3_S5_PmS7_NS0_8identityImEEEE10hipError_tT2_T3_mT4_P12ihipStream_tbEUlT_E_NS1_11comp_targetILNS1_3genE4ELNS1_11target_archE910ELNS1_3gpuE8ELNS1_3repE0EEENS1_30default_config_static_selectorELNS0_4arch9wavefront6targetE1EEEvT1_,@function
_ZN7rocprim17ROCPRIM_400000_NS6detail17trampoline_kernelINS0_14default_configENS1_25transform_config_selectorImLb1EEEZNS1_14transform_implILb1ES3_S5_PmS7_NS0_8identityImEEEE10hipError_tT2_T3_mT4_P12ihipStream_tbEUlT_E_NS1_11comp_targetILNS1_3genE4ELNS1_11target_archE910ELNS1_3gpuE8ELNS1_3repE0EEENS1_30default_config_static_selectorELNS0_4arch9wavefront6targetE1EEEvT1_: ; @_ZN7rocprim17ROCPRIM_400000_NS6detail17trampoline_kernelINS0_14default_configENS1_25transform_config_selectorImLb1EEEZNS1_14transform_implILb1ES3_S5_PmS7_NS0_8identityImEEEE10hipError_tT2_T3_mT4_P12ihipStream_tbEUlT_E_NS1_11comp_targetILNS1_3genE4ELNS1_11target_archE910ELNS1_3gpuE8ELNS1_3repE0EEENS1_30default_config_static_selectorELNS0_4arch9wavefront6targetE1EEEvT1_
; %bb.0:
	s_load_dwordx8 s[8:15], s[4:5], 0x0
	s_load_dword s2, s[4:5], 0x28
	s_waitcnt lgkmcnt(0)
	s_lshl_b64 s[0:1], s[10:11], 3
	s_add_u32 s4, s8, s0
	s_addc_u32 s5, s9, s1
	s_add_u32 s8, s14, s0
	s_addc_u32 s9, s15, s1
	s_lshl_b32 s0, s6, 11
	s_mov_b32 s1, 0
	s_add_i32 s7, s2, -1
	s_lshl_b64 s[2:3], s[0:1], 3
	s_add_u32 s4, s4, s2
	s_addc_u32 s5, s5, s3
	s_cmp_lg_u32 s6, s7
	s_mov_b64 s[6:7], -1
	s_cbranch_scc0 .LBB933_2
; %bb.1:
	v_lshlrev_b32_e32 v1, 4, v0
	global_load_dwordx4 v[2:5], v1, s[4:5]
	s_add_u32 s6, s8, s2
	s_addc_u32 s7, s9, s3
	s_waitcnt vmcnt(0)
	global_store_dwordx4 v1, v[2:5], s[6:7]
	s_mov_b64 s[6:7], 0
.LBB933_2:
	s_andn2_b64 vcc, exec, s[6:7]
	s_cbranch_vccnz .LBB933_11
; %bb.3:
	s_sub_i32 s6, s12, s0
	v_cmp_gt_u32_e32 vcc, s6, v0
	v_lshlrev_b32_e32 v1, 3, v0
                                        ; implicit-def: $vgpr2_vgpr3_vgpr4_vgpr5
	s_and_saveexec_b64 s[0:1], vcc
	s_cbranch_execz .LBB933_5
; %bb.4:
	global_load_dwordx2 v[2:3], v1, s[4:5]
.LBB933_5:
	s_or_b64 exec, exec, s[0:1]
	v_or_b32_e32 v0, 0x400, v0
	v_cmp_gt_u32_e64 s[0:1], s6, v0
	s_and_saveexec_b64 s[6:7], s[0:1]
	s_cbranch_execz .LBB933_7
; %bb.6:
	v_lshlrev_b32_e32 v0, 3, v0
	global_load_dwordx2 v[4:5], v0, s[4:5]
.LBB933_7:
	s_or_b64 exec, exec, s[6:7]
	s_add_u32 s2, s8, s2
	s_addc_u32 s3, s9, s3
	v_mov_b32_e32 v6, s3
	v_add_co_u32_e64 v0, s[2:3], s2, v1
	v_addc_co_u32_e64 v1, s[2:3], 0, v6, s[2:3]
	s_and_saveexec_b64 s[2:3], vcc
	s_cbranch_execz .LBB933_9
; %bb.8:
	s_waitcnt vmcnt(0)
	global_store_dwordx2 v[0:1], v[2:3], off
.LBB933_9:
	s_or_b64 exec, exec, s[2:3]
	s_and_saveexec_b64 s[2:3], s[0:1]
	s_cbranch_execz .LBB933_11
; %bb.10:
	v_add_co_u32_e32 v0, vcc, 0x2000, v0
	v_addc_co_u32_e32 v1, vcc, 0, v1, vcc
	s_waitcnt vmcnt(0)
	global_store_dwordx2 v[0:1], v[4:5], off
.LBB933_11:
	s_endpgm
	.section	.rodata,"a",@progbits
	.p2align	6, 0x0
	.amdhsa_kernel _ZN7rocprim17ROCPRIM_400000_NS6detail17trampoline_kernelINS0_14default_configENS1_25transform_config_selectorImLb1EEEZNS1_14transform_implILb1ES3_S5_PmS7_NS0_8identityImEEEE10hipError_tT2_T3_mT4_P12ihipStream_tbEUlT_E_NS1_11comp_targetILNS1_3genE4ELNS1_11target_archE910ELNS1_3gpuE8ELNS1_3repE0EEENS1_30default_config_static_selectorELNS0_4arch9wavefront6targetE1EEEvT1_
		.amdhsa_group_segment_fixed_size 0
		.amdhsa_private_segment_fixed_size 0
		.amdhsa_kernarg_size 296
		.amdhsa_user_sgpr_count 6
		.amdhsa_user_sgpr_private_segment_buffer 1
		.amdhsa_user_sgpr_dispatch_ptr 0
		.amdhsa_user_sgpr_queue_ptr 0
		.amdhsa_user_sgpr_kernarg_segment_ptr 1
		.amdhsa_user_sgpr_dispatch_id 0
		.amdhsa_user_sgpr_flat_scratch_init 0
		.amdhsa_user_sgpr_kernarg_preload_length 0
		.amdhsa_user_sgpr_kernarg_preload_offset 0
		.amdhsa_user_sgpr_private_segment_size 0
		.amdhsa_uses_dynamic_stack 0
		.amdhsa_system_sgpr_private_segment_wavefront_offset 0
		.amdhsa_system_sgpr_workgroup_id_x 1
		.amdhsa_system_sgpr_workgroup_id_y 0
		.amdhsa_system_sgpr_workgroup_id_z 0
		.amdhsa_system_sgpr_workgroup_info 0
		.amdhsa_system_vgpr_workitem_id 0
		.amdhsa_next_free_vgpr 7
		.amdhsa_next_free_sgpr 16
		.amdhsa_accum_offset 8
		.amdhsa_reserve_vcc 1
		.amdhsa_reserve_flat_scratch 0
		.amdhsa_float_round_mode_32 0
		.amdhsa_float_round_mode_16_64 0
		.amdhsa_float_denorm_mode_32 3
		.amdhsa_float_denorm_mode_16_64 3
		.amdhsa_dx10_clamp 1
		.amdhsa_ieee_mode 1
		.amdhsa_fp16_overflow 0
		.amdhsa_tg_split 0
		.amdhsa_exception_fp_ieee_invalid_op 0
		.amdhsa_exception_fp_denorm_src 0
		.amdhsa_exception_fp_ieee_div_zero 0
		.amdhsa_exception_fp_ieee_overflow 0
		.amdhsa_exception_fp_ieee_underflow 0
		.amdhsa_exception_fp_ieee_inexact 0
		.amdhsa_exception_int_div_zero 0
	.end_amdhsa_kernel
	.section	.text._ZN7rocprim17ROCPRIM_400000_NS6detail17trampoline_kernelINS0_14default_configENS1_25transform_config_selectorImLb1EEEZNS1_14transform_implILb1ES3_S5_PmS7_NS0_8identityImEEEE10hipError_tT2_T3_mT4_P12ihipStream_tbEUlT_E_NS1_11comp_targetILNS1_3genE4ELNS1_11target_archE910ELNS1_3gpuE8ELNS1_3repE0EEENS1_30default_config_static_selectorELNS0_4arch9wavefront6targetE1EEEvT1_,"axG",@progbits,_ZN7rocprim17ROCPRIM_400000_NS6detail17trampoline_kernelINS0_14default_configENS1_25transform_config_selectorImLb1EEEZNS1_14transform_implILb1ES3_S5_PmS7_NS0_8identityImEEEE10hipError_tT2_T3_mT4_P12ihipStream_tbEUlT_E_NS1_11comp_targetILNS1_3genE4ELNS1_11target_archE910ELNS1_3gpuE8ELNS1_3repE0EEENS1_30default_config_static_selectorELNS0_4arch9wavefront6targetE1EEEvT1_,comdat
.Lfunc_end933:
	.size	_ZN7rocprim17ROCPRIM_400000_NS6detail17trampoline_kernelINS0_14default_configENS1_25transform_config_selectorImLb1EEEZNS1_14transform_implILb1ES3_S5_PmS7_NS0_8identityImEEEE10hipError_tT2_T3_mT4_P12ihipStream_tbEUlT_E_NS1_11comp_targetILNS1_3genE4ELNS1_11target_archE910ELNS1_3gpuE8ELNS1_3repE0EEENS1_30default_config_static_selectorELNS0_4arch9wavefront6targetE1EEEvT1_, .Lfunc_end933-_ZN7rocprim17ROCPRIM_400000_NS6detail17trampoline_kernelINS0_14default_configENS1_25transform_config_selectorImLb1EEEZNS1_14transform_implILb1ES3_S5_PmS7_NS0_8identityImEEEE10hipError_tT2_T3_mT4_P12ihipStream_tbEUlT_E_NS1_11comp_targetILNS1_3genE4ELNS1_11target_archE910ELNS1_3gpuE8ELNS1_3repE0EEENS1_30default_config_static_selectorELNS0_4arch9wavefront6targetE1EEEvT1_
                                        ; -- End function
	.section	.AMDGPU.csdata,"",@progbits
; Kernel info:
; codeLenInByte = 280
; NumSgprs: 20
; NumVgprs: 7
; NumAgprs: 0
; TotalNumVgprs: 7
; ScratchSize: 0
; MemoryBound: 1
; FloatMode: 240
; IeeeMode: 1
; LDSByteSize: 0 bytes/workgroup (compile time only)
; SGPRBlocks: 2
; VGPRBlocks: 0
; NumSGPRsForWavesPerEU: 20
; NumVGPRsForWavesPerEU: 7
; AccumOffset: 8
; Occupancy: 8
; WaveLimiterHint : 0
; COMPUTE_PGM_RSRC2:SCRATCH_EN: 0
; COMPUTE_PGM_RSRC2:USER_SGPR: 6
; COMPUTE_PGM_RSRC2:TRAP_HANDLER: 0
; COMPUTE_PGM_RSRC2:TGID_X_EN: 1
; COMPUTE_PGM_RSRC2:TGID_Y_EN: 0
; COMPUTE_PGM_RSRC2:TGID_Z_EN: 0
; COMPUTE_PGM_RSRC2:TIDIG_COMP_CNT: 0
; COMPUTE_PGM_RSRC3_GFX90A:ACCUM_OFFSET: 1
; COMPUTE_PGM_RSRC3_GFX90A:TG_SPLIT: 0
	.section	.text._ZN7rocprim17ROCPRIM_400000_NS6detail17trampoline_kernelINS0_14default_configENS1_25transform_config_selectorImLb1EEEZNS1_14transform_implILb1ES3_S5_PmS7_NS0_8identityImEEEE10hipError_tT2_T3_mT4_P12ihipStream_tbEUlT_E_NS1_11comp_targetILNS1_3genE3ELNS1_11target_archE908ELNS1_3gpuE7ELNS1_3repE0EEENS1_30default_config_static_selectorELNS0_4arch9wavefront6targetE1EEEvT1_,"axG",@progbits,_ZN7rocprim17ROCPRIM_400000_NS6detail17trampoline_kernelINS0_14default_configENS1_25transform_config_selectorImLb1EEEZNS1_14transform_implILb1ES3_S5_PmS7_NS0_8identityImEEEE10hipError_tT2_T3_mT4_P12ihipStream_tbEUlT_E_NS1_11comp_targetILNS1_3genE3ELNS1_11target_archE908ELNS1_3gpuE7ELNS1_3repE0EEENS1_30default_config_static_selectorELNS0_4arch9wavefront6targetE1EEEvT1_,comdat
	.protected	_ZN7rocprim17ROCPRIM_400000_NS6detail17trampoline_kernelINS0_14default_configENS1_25transform_config_selectorImLb1EEEZNS1_14transform_implILb1ES3_S5_PmS7_NS0_8identityImEEEE10hipError_tT2_T3_mT4_P12ihipStream_tbEUlT_E_NS1_11comp_targetILNS1_3genE3ELNS1_11target_archE908ELNS1_3gpuE7ELNS1_3repE0EEENS1_30default_config_static_selectorELNS0_4arch9wavefront6targetE1EEEvT1_ ; -- Begin function _ZN7rocprim17ROCPRIM_400000_NS6detail17trampoline_kernelINS0_14default_configENS1_25transform_config_selectorImLb1EEEZNS1_14transform_implILb1ES3_S5_PmS7_NS0_8identityImEEEE10hipError_tT2_T3_mT4_P12ihipStream_tbEUlT_E_NS1_11comp_targetILNS1_3genE3ELNS1_11target_archE908ELNS1_3gpuE7ELNS1_3repE0EEENS1_30default_config_static_selectorELNS0_4arch9wavefront6targetE1EEEvT1_
	.globl	_ZN7rocprim17ROCPRIM_400000_NS6detail17trampoline_kernelINS0_14default_configENS1_25transform_config_selectorImLb1EEEZNS1_14transform_implILb1ES3_S5_PmS7_NS0_8identityImEEEE10hipError_tT2_T3_mT4_P12ihipStream_tbEUlT_E_NS1_11comp_targetILNS1_3genE3ELNS1_11target_archE908ELNS1_3gpuE7ELNS1_3repE0EEENS1_30default_config_static_selectorELNS0_4arch9wavefront6targetE1EEEvT1_
	.p2align	8
	.type	_ZN7rocprim17ROCPRIM_400000_NS6detail17trampoline_kernelINS0_14default_configENS1_25transform_config_selectorImLb1EEEZNS1_14transform_implILb1ES3_S5_PmS7_NS0_8identityImEEEE10hipError_tT2_T3_mT4_P12ihipStream_tbEUlT_E_NS1_11comp_targetILNS1_3genE3ELNS1_11target_archE908ELNS1_3gpuE7ELNS1_3repE0EEENS1_30default_config_static_selectorELNS0_4arch9wavefront6targetE1EEEvT1_,@function
_ZN7rocprim17ROCPRIM_400000_NS6detail17trampoline_kernelINS0_14default_configENS1_25transform_config_selectorImLb1EEEZNS1_14transform_implILb1ES3_S5_PmS7_NS0_8identityImEEEE10hipError_tT2_T3_mT4_P12ihipStream_tbEUlT_E_NS1_11comp_targetILNS1_3genE3ELNS1_11target_archE908ELNS1_3gpuE7ELNS1_3repE0EEENS1_30default_config_static_selectorELNS0_4arch9wavefront6targetE1EEEvT1_: ; @_ZN7rocprim17ROCPRIM_400000_NS6detail17trampoline_kernelINS0_14default_configENS1_25transform_config_selectorImLb1EEEZNS1_14transform_implILb1ES3_S5_PmS7_NS0_8identityImEEEE10hipError_tT2_T3_mT4_P12ihipStream_tbEUlT_E_NS1_11comp_targetILNS1_3genE3ELNS1_11target_archE908ELNS1_3gpuE7ELNS1_3repE0EEENS1_30default_config_static_selectorELNS0_4arch9wavefront6targetE1EEEvT1_
; %bb.0:
	.section	.rodata,"a",@progbits
	.p2align	6, 0x0
	.amdhsa_kernel _ZN7rocprim17ROCPRIM_400000_NS6detail17trampoline_kernelINS0_14default_configENS1_25transform_config_selectorImLb1EEEZNS1_14transform_implILb1ES3_S5_PmS7_NS0_8identityImEEEE10hipError_tT2_T3_mT4_P12ihipStream_tbEUlT_E_NS1_11comp_targetILNS1_3genE3ELNS1_11target_archE908ELNS1_3gpuE7ELNS1_3repE0EEENS1_30default_config_static_selectorELNS0_4arch9wavefront6targetE1EEEvT1_
		.amdhsa_group_segment_fixed_size 0
		.amdhsa_private_segment_fixed_size 0
		.amdhsa_kernarg_size 40
		.amdhsa_user_sgpr_count 6
		.amdhsa_user_sgpr_private_segment_buffer 1
		.amdhsa_user_sgpr_dispatch_ptr 0
		.amdhsa_user_sgpr_queue_ptr 0
		.amdhsa_user_sgpr_kernarg_segment_ptr 1
		.amdhsa_user_sgpr_dispatch_id 0
		.amdhsa_user_sgpr_flat_scratch_init 0
		.amdhsa_user_sgpr_kernarg_preload_length 0
		.amdhsa_user_sgpr_kernarg_preload_offset 0
		.amdhsa_user_sgpr_private_segment_size 0
		.amdhsa_uses_dynamic_stack 0
		.amdhsa_system_sgpr_private_segment_wavefront_offset 0
		.amdhsa_system_sgpr_workgroup_id_x 1
		.amdhsa_system_sgpr_workgroup_id_y 0
		.amdhsa_system_sgpr_workgroup_id_z 0
		.amdhsa_system_sgpr_workgroup_info 0
		.amdhsa_system_vgpr_workitem_id 0
		.amdhsa_next_free_vgpr 1
		.amdhsa_next_free_sgpr 0
		.amdhsa_accum_offset 4
		.amdhsa_reserve_vcc 0
		.amdhsa_reserve_flat_scratch 0
		.amdhsa_float_round_mode_32 0
		.amdhsa_float_round_mode_16_64 0
		.amdhsa_float_denorm_mode_32 3
		.amdhsa_float_denorm_mode_16_64 3
		.amdhsa_dx10_clamp 1
		.amdhsa_ieee_mode 1
		.amdhsa_fp16_overflow 0
		.amdhsa_tg_split 0
		.amdhsa_exception_fp_ieee_invalid_op 0
		.amdhsa_exception_fp_denorm_src 0
		.amdhsa_exception_fp_ieee_div_zero 0
		.amdhsa_exception_fp_ieee_overflow 0
		.amdhsa_exception_fp_ieee_underflow 0
		.amdhsa_exception_fp_ieee_inexact 0
		.amdhsa_exception_int_div_zero 0
	.end_amdhsa_kernel
	.section	.text._ZN7rocprim17ROCPRIM_400000_NS6detail17trampoline_kernelINS0_14default_configENS1_25transform_config_selectorImLb1EEEZNS1_14transform_implILb1ES3_S5_PmS7_NS0_8identityImEEEE10hipError_tT2_T3_mT4_P12ihipStream_tbEUlT_E_NS1_11comp_targetILNS1_3genE3ELNS1_11target_archE908ELNS1_3gpuE7ELNS1_3repE0EEENS1_30default_config_static_selectorELNS0_4arch9wavefront6targetE1EEEvT1_,"axG",@progbits,_ZN7rocprim17ROCPRIM_400000_NS6detail17trampoline_kernelINS0_14default_configENS1_25transform_config_selectorImLb1EEEZNS1_14transform_implILb1ES3_S5_PmS7_NS0_8identityImEEEE10hipError_tT2_T3_mT4_P12ihipStream_tbEUlT_E_NS1_11comp_targetILNS1_3genE3ELNS1_11target_archE908ELNS1_3gpuE7ELNS1_3repE0EEENS1_30default_config_static_selectorELNS0_4arch9wavefront6targetE1EEEvT1_,comdat
.Lfunc_end934:
	.size	_ZN7rocprim17ROCPRIM_400000_NS6detail17trampoline_kernelINS0_14default_configENS1_25transform_config_selectorImLb1EEEZNS1_14transform_implILb1ES3_S5_PmS7_NS0_8identityImEEEE10hipError_tT2_T3_mT4_P12ihipStream_tbEUlT_E_NS1_11comp_targetILNS1_3genE3ELNS1_11target_archE908ELNS1_3gpuE7ELNS1_3repE0EEENS1_30default_config_static_selectorELNS0_4arch9wavefront6targetE1EEEvT1_, .Lfunc_end934-_ZN7rocprim17ROCPRIM_400000_NS6detail17trampoline_kernelINS0_14default_configENS1_25transform_config_selectorImLb1EEEZNS1_14transform_implILb1ES3_S5_PmS7_NS0_8identityImEEEE10hipError_tT2_T3_mT4_P12ihipStream_tbEUlT_E_NS1_11comp_targetILNS1_3genE3ELNS1_11target_archE908ELNS1_3gpuE7ELNS1_3repE0EEENS1_30default_config_static_selectorELNS0_4arch9wavefront6targetE1EEEvT1_
                                        ; -- End function
	.section	.AMDGPU.csdata,"",@progbits
; Kernel info:
; codeLenInByte = 0
; NumSgprs: 4
; NumVgprs: 0
; NumAgprs: 0
; TotalNumVgprs: 0
; ScratchSize: 0
; MemoryBound: 0
; FloatMode: 240
; IeeeMode: 1
; LDSByteSize: 0 bytes/workgroup (compile time only)
; SGPRBlocks: 0
; VGPRBlocks: 0
; NumSGPRsForWavesPerEU: 4
; NumVGPRsForWavesPerEU: 1
; AccumOffset: 4
; Occupancy: 8
; WaveLimiterHint : 0
; COMPUTE_PGM_RSRC2:SCRATCH_EN: 0
; COMPUTE_PGM_RSRC2:USER_SGPR: 6
; COMPUTE_PGM_RSRC2:TRAP_HANDLER: 0
; COMPUTE_PGM_RSRC2:TGID_X_EN: 1
; COMPUTE_PGM_RSRC2:TGID_Y_EN: 0
; COMPUTE_PGM_RSRC2:TGID_Z_EN: 0
; COMPUTE_PGM_RSRC2:TIDIG_COMP_CNT: 0
; COMPUTE_PGM_RSRC3_GFX90A:ACCUM_OFFSET: 0
; COMPUTE_PGM_RSRC3_GFX90A:TG_SPLIT: 0
	.section	.text._ZN7rocprim17ROCPRIM_400000_NS6detail17trampoline_kernelINS0_14default_configENS1_25transform_config_selectorImLb1EEEZNS1_14transform_implILb1ES3_S5_PmS7_NS0_8identityImEEEE10hipError_tT2_T3_mT4_P12ihipStream_tbEUlT_E_NS1_11comp_targetILNS1_3genE2ELNS1_11target_archE906ELNS1_3gpuE6ELNS1_3repE0EEENS1_30default_config_static_selectorELNS0_4arch9wavefront6targetE1EEEvT1_,"axG",@progbits,_ZN7rocprim17ROCPRIM_400000_NS6detail17trampoline_kernelINS0_14default_configENS1_25transform_config_selectorImLb1EEEZNS1_14transform_implILb1ES3_S5_PmS7_NS0_8identityImEEEE10hipError_tT2_T3_mT4_P12ihipStream_tbEUlT_E_NS1_11comp_targetILNS1_3genE2ELNS1_11target_archE906ELNS1_3gpuE6ELNS1_3repE0EEENS1_30default_config_static_selectorELNS0_4arch9wavefront6targetE1EEEvT1_,comdat
	.protected	_ZN7rocprim17ROCPRIM_400000_NS6detail17trampoline_kernelINS0_14default_configENS1_25transform_config_selectorImLb1EEEZNS1_14transform_implILb1ES3_S5_PmS7_NS0_8identityImEEEE10hipError_tT2_T3_mT4_P12ihipStream_tbEUlT_E_NS1_11comp_targetILNS1_3genE2ELNS1_11target_archE906ELNS1_3gpuE6ELNS1_3repE0EEENS1_30default_config_static_selectorELNS0_4arch9wavefront6targetE1EEEvT1_ ; -- Begin function _ZN7rocprim17ROCPRIM_400000_NS6detail17trampoline_kernelINS0_14default_configENS1_25transform_config_selectorImLb1EEEZNS1_14transform_implILb1ES3_S5_PmS7_NS0_8identityImEEEE10hipError_tT2_T3_mT4_P12ihipStream_tbEUlT_E_NS1_11comp_targetILNS1_3genE2ELNS1_11target_archE906ELNS1_3gpuE6ELNS1_3repE0EEENS1_30default_config_static_selectorELNS0_4arch9wavefront6targetE1EEEvT1_
	.globl	_ZN7rocprim17ROCPRIM_400000_NS6detail17trampoline_kernelINS0_14default_configENS1_25transform_config_selectorImLb1EEEZNS1_14transform_implILb1ES3_S5_PmS7_NS0_8identityImEEEE10hipError_tT2_T3_mT4_P12ihipStream_tbEUlT_E_NS1_11comp_targetILNS1_3genE2ELNS1_11target_archE906ELNS1_3gpuE6ELNS1_3repE0EEENS1_30default_config_static_selectorELNS0_4arch9wavefront6targetE1EEEvT1_
	.p2align	8
	.type	_ZN7rocprim17ROCPRIM_400000_NS6detail17trampoline_kernelINS0_14default_configENS1_25transform_config_selectorImLb1EEEZNS1_14transform_implILb1ES3_S5_PmS7_NS0_8identityImEEEE10hipError_tT2_T3_mT4_P12ihipStream_tbEUlT_E_NS1_11comp_targetILNS1_3genE2ELNS1_11target_archE906ELNS1_3gpuE6ELNS1_3repE0EEENS1_30default_config_static_selectorELNS0_4arch9wavefront6targetE1EEEvT1_,@function
_ZN7rocprim17ROCPRIM_400000_NS6detail17trampoline_kernelINS0_14default_configENS1_25transform_config_selectorImLb1EEEZNS1_14transform_implILb1ES3_S5_PmS7_NS0_8identityImEEEE10hipError_tT2_T3_mT4_P12ihipStream_tbEUlT_E_NS1_11comp_targetILNS1_3genE2ELNS1_11target_archE906ELNS1_3gpuE6ELNS1_3repE0EEENS1_30default_config_static_selectorELNS0_4arch9wavefront6targetE1EEEvT1_: ; @_ZN7rocprim17ROCPRIM_400000_NS6detail17trampoline_kernelINS0_14default_configENS1_25transform_config_selectorImLb1EEEZNS1_14transform_implILb1ES3_S5_PmS7_NS0_8identityImEEEE10hipError_tT2_T3_mT4_P12ihipStream_tbEUlT_E_NS1_11comp_targetILNS1_3genE2ELNS1_11target_archE906ELNS1_3gpuE6ELNS1_3repE0EEENS1_30default_config_static_selectorELNS0_4arch9wavefront6targetE1EEEvT1_
; %bb.0:
	.section	.rodata,"a",@progbits
	.p2align	6, 0x0
	.amdhsa_kernel _ZN7rocprim17ROCPRIM_400000_NS6detail17trampoline_kernelINS0_14default_configENS1_25transform_config_selectorImLb1EEEZNS1_14transform_implILb1ES3_S5_PmS7_NS0_8identityImEEEE10hipError_tT2_T3_mT4_P12ihipStream_tbEUlT_E_NS1_11comp_targetILNS1_3genE2ELNS1_11target_archE906ELNS1_3gpuE6ELNS1_3repE0EEENS1_30default_config_static_selectorELNS0_4arch9wavefront6targetE1EEEvT1_
		.amdhsa_group_segment_fixed_size 0
		.amdhsa_private_segment_fixed_size 0
		.amdhsa_kernarg_size 40
		.amdhsa_user_sgpr_count 6
		.amdhsa_user_sgpr_private_segment_buffer 1
		.amdhsa_user_sgpr_dispatch_ptr 0
		.amdhsa_user_sgpr_queue_ptr 0
		.amdhsa_user_sgpr_kernarg_segment_ptr 1
		.amdhsa_user_sgpr_dispatch_id 0
		.amdhsa_user_sgpr_flat_scratch_init 0
		.amdhsa_user_sgpr_kernarg_preload_length 0
		.amdhsa_user_sgpr_kernarg_preload_offset 0
		.amdhsa_user_sgpr_private_segment_size 0
		.amdhsa_uses_dynamic_stack 0
		.amdhsa_system_sgpr_private_segment_wavefront_offset 0
		.amdhsa_system_sgpr_workgroup_id_x 1
		.amdhsa_system_sgpr_workgroup_id_y 0
		.amdhsa_system_sgpr_workgroup_id_z 0
		.amdhsa_system_sgpr_workgroup_info 0
		.amdhsa_system_vgpr_workitem_id 0
		.amdhsa_next_free_vgpr 1
		.amdhsa_next_free_sgpr 0
		.amdhsa_accum_offset 4
		.amdhsa_reserve_vcc 0
		.amdhsa_reserve_flat_scratch 0
		.amdhsa_float_round_mode_32 0
		.amdhsa_float_round_mode_16_64 0
		.amdhsa_float_denorm_mode_32 3
		.amdhsa_float_denorm_mode_16_64 3
		.amdhsa_dx10_clamp 1
		.amdhsa_ieee_mode 1
		.amdhsa_fp16_overflow 0
		.amdhsa_tg_split 0
		.amdhsa_exception_fp_ieee_invalid_op 0
		.amdhsa_exception_fp_denorm_src 0
		.amdhsa_exception_fp_ieee_div_zero 0
		.amdhsa_exception_fp_ieee_overflow 0
		.amdhsa_exception_fp_ieee_underflow 0
		.amdhsa_exception_fp_ieee_inexact 0
		.amdhsa_exception_int_div_zero 0
	.end_amdhsa_kernel
	.section	.text._ZN7rocprim17ROCPRIM_400000_NS6detail17trampoline_kernelINS0_14default_configENS1_25transform_config_selectorImLb1EEEZNS1_14transform_implILb1ES3_S5_PmS7_NS0_8identityImEEEE10hipError_tT2_T3_mT4_P12ihipStream_tbEUlT_E_NS1_11comp_targetILNS1_3genE2ELNS1_11target_archE906ELNS1_3gpuE6ELNS1_3repE0EEENS1_30default_config_static_selectorELNS0_4arch9wavefront6targetE1EEEvT1_,"axG",@progbits,_ZN7rocprim17ROCPRIM_400000_NS6detail17trampoline_kernelINS0_14default_configENS1_25transform_config_selectorImLb1EEEZNS1_14transform_implILb1ES3_S5_PmS7_NS0_8identityImEEEE10hipError_tT2_T3_mT4_P12ihipStream_tbEUlT_E_NS1_11comp_targetILNS1_3genE2ELNS1_11target_archE906ELNS1_3gpuE6ELNS1_3repE0EEENS1_30default_config_static_selectorELNS0_4arch9wavefront6targetE1EEEvT1_,comdat
.Lfunc_end935:
	.size	_ZN7rocprim17ROCPRIM_400000_NS6detail17trampoline_kernelINS0_14default_configENS1_25transform_config_selectorImLb1EEEZNS1_14transform_implILb1ES3_S5_PmS7_NS0_8identityImEEEE10hipError_tT2_T3_mT4_P12ihipStream_tbEUlT_E_NS1_11comp_targetILNS1_3genE2ELNS1_11target_archE906ELNS1_3gpuE6ELNS1_3repE0EEENS1_30default_config_static_selectorELNS0_4arch9wavefront6targetE1EEEvT1_, .Lfunc_end935-_ZN7rocprim17ROCPRIM_400000_NS6detail17trampoline_kernelINS0_14default_configENS1_25transform_config_selectorImLb1EEEZNS1_14transform_implILb1ES3_S5_PmS7_NS0_8identityImEEEE10hipError_tT2_T3_mT4_P12ihipStream_tbEUlT_E_NS1_11comp_targetILNS1_3genE2ELNS1_11target_archE906ELNS1_3gpuE6ELNS1_3repE0EEENS1_30default_config_static_selectorELNS0_4arch9wavefront6targetE1EEEvT1_
                                        ; -- End function
	.section	.AMDGPU.csdata,"",@progbits
; Kernel info:
; codeLenInByte = 0
; NumSgprs: 4
; NumVgprs: 0
; NumAgprs: 0
; TotalNumVgprs: 0
; ScratchSize: 0
; MemoryBound: 0
; FloatMode: 240
; IeeeMode: 1
; LDSByteSize: 0 bytes/workgroup (compile time only)
; SGPRBlocks: 0
; VGPRBlocks: 0
; NumSGPRsForWavesPerEU: 4
; NumVGPRsForWavesPerEU: 1
; AccumOffset: 4
; Occupancy: 8
; WaveLimiterHint : 0
; COMPUTE_PGM_RSRC2:SCRATCH_EN: 0
; COMPUTE_PGM_RSRC2:USER_SGPR: 6
; COMPUTE_PGM_RSRC2:TRAP_HANDLER: 0
; COMPUTE_PGM_RSRC2:TGID_X_EN: 1
; COMPUTE_PGM_RSRC2:TGID_Y_EN: 0
; COMPUTE_PGM_RSRC2:TGID_Z_EN: 0
; COMPUTE_PGM_RSRC2:TIDIG_COMP_CNT: 0
; COMPUTE_PGM_RSRC3_GFX90A:ACCUM_OFFSET: 0
; COMPUTE_PGM_RSRC3_GFX90A:TG_SPLIT: 0
	.section	.text._ZN7rocprim17ROCPRIM_400000_NS6detail17trampoline_kernelINS0_14default_configENS1_25transform_config_selectorImLb1EEEZNS1_14transform_implILb1ES3_S5_PmS7_NS0_8identityImEEEE10hipError_tT2_T3_mT4_P12ihipStream_tbEUlT_E_NS1_11comp_targetILNS1_3genE9ELNS1_11target_archE1100ELNS1_3gpuE3ELNS1_3repE0EEENS1_30default_config_static_selectorELNS0_4arch9wavefront6targetE1EEEvT1_,"axG",@progbits,_ZN7rocprim17ROCPRIM_400000_NS6detail17trampoline_kernelINS0_14default_configENS1_25transform_config_selectorImLb1EEEZNS1_14transform_implILb1ES3_S5_PmS7_NS0_8identityImEEEE10hipError_tT2_T3_mT4_P12ihipStream_tbEUlT_E_NS1_11comp_targetILNS1_3genE9ELNS1_11target_archE1100ELNS1_3gpuE3ELNS1_3repE0EEENS1_30default_config_static_selectorELNS0_4arch9wavefront6targetE1EEEvT1_,comdat
	.protected	_ZN7rocprim17ROCPRIM_400000_NS6detail17trampoline_kernelINS0_14default_configENS1_25transform_config_selectorImLb1EEEZNS1_14transform_implILb1ES3_S5_PmS7_NS0_8identityImEEEE10hipError_tT2_T3_mT4_P12ihipStream_tbEUlT_E_NS1_11comp_targetILNS1_3genE9ELNS1_11target_archE1100ELNS1_3gpuE3ELNS1_3repE0EEENS1_30default_config_static_selectorELNS0_4arch9wavefront6targetE1EEEvT1_ ; -- Begin function _ZN7rocprim17ROCPRIM_400000_NS6detail17trampoline_kernelINS0_14default_configENS1_25transform_config_selectorImLb1EEEZNS1_14transform_implILb1ES3_S5_PmS7_NS0_8identityImEEEE10hipError_tT2_T3_mT4_P12ihipStream_tbEUlT_E_NS1_11comp_targetILNS1_3genE9ELNS1_11target_archE1100ELNS1_3gpuE3ELNS1_3repE0EEENS1_30default_config_static_selectorELNS0_4arch9wavefront6targetE1EEEvT1_
	.globl	_ZN7rocprim17ROCPRIM_400000_NS6detail17trampoline_kernelINS0_14default_configENS1_25transform_config_selectorImLb1EEEZNS1_14transform_implILb1ES3_S5_PmS7_NS0_8identityImEEEE10hipError_tT2_T3_mT4_P12ihipStream_tbEUlT_E_NS1_11comp_targetILNS1_3genE9ELNS1_11target_archE1100ELNS1_3gpuE3ELNS1_3repE0EEENS1_30default_config_static_selectorELNS0_4arch9wavefront6targetE1EEEvT1_
	.p2align	8
	.type	_ZN7rocprim17ROCPRIM_400000_NS6detail17trampoline_kernelINS0_14default_configENS1_25transform_config_selectorImLb1EEEZNS1_14transform_implILb1ES3_S5_PmS7_NS0_8identityImEEEE10hipError_tT2_T3_mT4_P12ihipStream_tbEUlT_E_NS1_11comp_targetILNS1_3genE9ELNS1_11target_archE1100ELNS1_3gpuE3ELNS1_3repE0EEENS1_30default_config_static_selectorELNS0_4arch9wavefront6targetE1EEEvT1_,@function
_ZN7rocprim17ROCPRIM_400000_NS6detail17trampoline_kernelINS0_14default_configENS1_25transform_config_selectorImLb1EEEZNS1_14transform_implILb1ES3_S5_PmS7_NS0_8identityImEEEE10hipError_tT2_T3_mT4_P12ihipStream_tbEUlT_E_NS1_11comp_targetILNS1_3genE9ELNS1_11target_archE1100ELNS1_3gpuE3ELNS1_3repE0EEENS1_30default_config_static_selectorELNS0_4arch9wavefront6targetE1EEEvT1_: ; @_ZN7rocprim17ROCPRIM_400000_NS6detail17trampoline_kernelINS0_14default_configENS1_25transform_config_selectorImLb1EEEZNS1_14transform_implILb1ES3_S5_PmS7_NS0_8identityImEEEE10hipError_tT2_T3_mT4_P12ihipStream_tbEUlT_E_NS1_11comp_targetILNS1_3genE9ELNS1_11target_archE1100ELNS1_3gpuE3ELNS1_3repE0EEENS1_30default_config_static_selectorELNS0_4arch9wavefront6targetE1EEEvT1_
; %bb.0:
	.section	.rodata,"a",@progbits
	.p2align	6, 0x0
	.amdhsa_kernel _ZN7rocprim17ROCPRIM_400000_NS6detail17trampoline_kernelINS0_14default_configENS1_25transform_config_selectorImLb1EEEZNS1_14transform_implILb1ES3_S5_PmS7_NS0_8identityImEEEE10hipError_tT2_T3_mT4_P12ihipStream_tbEUlT_E_NS1_11comp_targetILNS1_3genE9ELNS1_11target_archE1100ELNS1_3gpuE3ELNS1_3repE0EEENS1_30default_config_static_selectorELNS0_4arch9wavefront6targetE1EEEvT1_
		.amdhsa_group_segment_fixed_size 0
		.amdhsa_private_segment_fixed_size 0
		.amdhsa_kernarg_size 40
		.amdhsa_user_sgpr_count 6
		.amdhsa_user_sgpr_private_segment_buffer 1
		.amdhsa_user_sgpr_dispatch_ptr 0
		.amdhsa_user_sgpr_queue_ptr 0
		.amdhsa_user_sgpr_kernarg_segment_ptr 1
		.amdhsa_user_sgpr_dispatch_id 0
		.amdhsa_user_sgpr_flat_scratch_init 0
		.amdhsa_user_sgpr_kernarg_preload_length 0
		.amdhsa_user_sgpr_kernarg_preload_offset 0
		.amdhsa_user_sgpr_private_segment_size 0
		.amdhsa_uses_dynamic_stack 0
		.amdhsa_system_sgpr_private_segment_wavefront_offset 0
		.amdhsa_system_sgpr_workgroup_id_x 1
		.amdhsa_system_sgpr_workgroup_id_y 0
		.amdhsa_system_sgpr_workgroup_id_z 0
		.amdhsa_system_sgpr_workgroup_info 0
		.amdhsa_system_vgpr_workitem_id 0
		.amdhsa_next_free_vgpr 1
		.amdhsa_next_free_sgpr 0
		.amdhsa_accum_offset 4
		.amdhsa_reserve_vcc 0
		.amdhsa_reserve_flat_scratch 0
		.amdhsa_float_round_mode_32 0
		.amdhsa_float_round_mode_16_64 0
		.amdhsa_float_denorm_mode_32 3
		.amdhsa_float_denorm_mode_16_64 3
		.amdhsa_dx10_clamp 1
		.amdhsa_ieee_mode 1
		.amdhsa_fp16_overflow 0
		.amdhsa_tg_split 0
		.amdhsa_exception_fp_ieee_invalid_op 0
		.amdhsa_exception_fp_denorm_src 0
		.amdhsa_exception_fp_ieee_div_zero 0
		.amdhsa_exception_fp_ieee_overflow 0
		.amdhsa_exception_fp_ieee_underflow 0
		.amdhsa_exception_fp_ieee_inexact 0
		.amdhsa_exception_int_div_zero 0
	.end_amdhsa_kernel
	.section	.text._ZN7rocprim17ROCPRIM_400000_NS6detail17trampoline_kernelINS0_14default_configENS1_25transform_config_selectorImLb1EEEZNS1_14transform_implILb1ES3_S5_PmS7_NS0_8identityImEEEE10hipError_tT2_T3_mT4_P12ihipStream_tbEUlT_E_NS1_11comp_targetILNS1_3genE9ELNS1_11target_archE1100ELNS1_3gpuE3ELNS1_3repE0EEENS1_30default_config_static_selectorELNS0_4arch9wavefront6targetE1EEEvT1_,"axG",@progbits,_ZN7rocprim17ROCPRIM_400000_NS6detail17trampoline_kernelINS0_14default_configENS1_25transform_config_selectorImLb1EEEZNS1_14transform_implILb1ES3_S5_PmS7_NS0_8identityImEEEE10hipError_tT2_T3_mT4_P12ihipStream_tbEUlT_E_NS1_11comp_targetILNS1_3genE9ELNS1_11target_archE1100ELNS1_3gpuE3ELNS1_3repE0EEENS1_30default_config_static_selectorELNS0_4arch9wavefront6targetE1EEEvT1_,comdat
.Lfunc_end936:
	.size	_ZN7rocprim17ROCPRIM_400000_NS6detail17trampoline_kernelINS0_14default_configENS1_25transform_config_selectorImLb1EEEZNS1_14transform_implILb1ES3_S5_PmS7_NS0_8identityImEEEE10hipError_tT2_T3_mT4_P12ihipStream_tbEUlT_E_NS1_11comp_targetILNS1_3genE9ELNS1_11target_archE1100ELNS1_3gpuE3ELNS1_3repE0EEENS1_30default_config_static_selectorELNS0_4arch9wavefront6targetE1EEEvT1_, .Lfunc_end936-_ZN7rocprim17ROCPRIM_400000_NS6detail17trampoline_kernelINS0_14default_configENS1_25transform_config_selectorImLb1EEEZNS1_14transform_implILb1ES3_S5_PmS7_NS0_8identityImEEEE10hipError_tT2_T3_mT4_P12ihipStream_tbEUlT_E_NS1_11comp_targetILNS1_3genE9ELNS1_11target_archE1100ELNS1_3gpuE3ELNS1_3repE0EEENS1_30default_config_static_selectorELNS0_4arch9wavefront6targetE1EEEvT1_
                                        ; -- End function
	.section	.AMDGPU.csdata,"",@progbits
; Kernel info:
; codeLenInByte = 0
; NumSgprs: 4
; NumVgprs: 0
; NumAgprs: 0
; TotalNumVgprs: 0
; ScratchSize: 0
; MemoryBound: 0
; FloatMode: 240
; IeeeMode: 1
; LDSByteSize: 0 bytes/workgroup (compile time only)
; SGPRBlocks: 0
; VGPRBlocks: 0
; NumSGPRsForWavesPerEU: 4
; NumVGPRsForWavesPerEU: 1
; AccumOffset: 4
; Occupancy: 8
; WaveLimiterHint : 0
; COMPUTE_PGM_RSRC2:SCRATCH_EN: 0
; COMPUTE_PGM_RSRC2:USER_SGPR: 6
; COMPUTE_PGM_RSRC2:TRAP_HANDLER: 0
; COMPUTE_PGM_RSRC2:TGID_X_EN: 1
; COMPUTE_PGM_RSRC2:TGID_Y_EN: 0
; COMPUTE_PGM_RSRC2:TGID_Z_EN: 0
; COMPUTE_PGM_RSRC2:TIDIG_COMP_CNT: 0
; COMPUTE_PGM_RSRC3_GFX90A:ACCUM_OFFSET: 0
; COMPUTE_PGM_RSRC3_GFX90A:TG_SPLIT: 0
	.section	.text._ZN7rocprim17ROCPRIM_400000_NS6detail17trampoline_kernelINS0_14default_configENS1_25transform_config_selectorImLb1EEEZNS1_14transform_implILb1ES3_S5_PmS7_NS0_8identityImEEEE10hipError_tT2_T3_mT4_P12ihipStream_tbEUlT_E_NS1_11comp_targetILNS1_3genE8ELNS1_11target_archE1030ELNS1_3gpuE2ELNS1_3repE0EEENS1_30default_config_static_selectorELNS0_4arch9wavefront6targetE1EEEvT1_,"axG",@progbits,_ZN7rocprim17ROCPRIM_400000_NS6detail17trampoline_kernelINS0_14default_configENS1_25transform_config_selectorImLb1EEEZNS1_14transform_implILb1ES3_S5_PmS7_NS0_8identityImEEEE10hipError_tT2_T3_mT4_P12ihipStream_tbEUlT_E_NS1_11comp_targetILNS1_3genE8ELNS1_11target_archE1030ELNS1_3gpuE2ELNS1_3repE0EEENS1_30default_config_static_selectorELNS0_4arch9wavefront6targetE1EEEvT1_,comdat
	.protected	_ZN7rocprim17ROCPRIM_400000_NS6detail17trampoline_kernelINS0_14default_configENS1_25transform_config_selectorImLb1EEEZNS1_14transform_implILb1ES3_S5_PmS7_NS0_8identityImEEEE10hipError_tT2_T3_mT4_P12ihipStream_tbEUlT_E_NS1_11comp_targetILNS1_3genE8ELNS1_11target_archE1030ELNS1_3gpuE2ELNS1_3repE0EEENS1_30default_config_static_selectorELNS0_4arch9wavefront6targetE1EEEvT1_ ; -- Begin function _ZN7rocprim17ROCPRIM_400000_NS6detail17trampoline_kernelINS0_14default_configENS1_25transform_config_selectorImLb1EEEZNS1_14transform_implILb1ES3_S5_PmS7_NS0_8identityImEEEE10hipError_tT2_T3_mT4_P12ihipStream_tbEUlT_E_NS1_11comp_targetILNS1_3genE8ELNS1_11target_archE1030ELNS1_3gpuE2ELNS1_3repE0EEENS1_30default_config_static_selectorELNS0_4arch9wavefront6targetE1EEEvT1_
	.globl	_ZN7rocprim17ROCPRIM_400000_NS6detail17trampoline_kernelINS0_14default_configENS1_25transform_config_selectorImLb1EEEZNS1_14transform_implILb1ES3_S5_PmS7_NS0_8identityImEEEE10hipError_tT2_T3_mT4_P12ihipStream_tbEUlT_E_NS1_11comp_targetILNS1_3genE8ELNS1_11target_archE1030ELNS1_3gpuE2ELNS1_3repE0EEENS1_30default_config_static_selectorELNS0_4arch9wavefront6targetE1EEEvT1_
	.p2align	8
	.type	_ZN7rocprim17ROCPRIM_400000_NS6detail17trampoline_kernelINS0_14default_configENS1_25transform_config_selectorImLb1EEEZNS1_14transform_implILb1ES3_S5_PmS7_NS0_8identityImEEEE10hipError_tT2_T3_mT4_P12ihipStream_tbEUlT_E_NS1_11comp_targetILNS1_3genE8ELNS1_11target_archE1030ELNS1_3gpuE2ELNS1_3repE0EEENS1_30default_config_static_selectorELNS0_4arch9wavefront6targetE1EEEvT1_,@function
_ZN7rocprim17ROCPRIM_400000_NS6detail17trampoline_kernelINS0_14default_configENS1_25transform_config_selectorImLb1EEEZNS1_14transform_implILb1ES3_S5_PmS7_NS0_8identityImEEEE10hipError_tT2_T3_mT4_P12ihipStream_tbEUlT_E_NS1_11comp_targetILNS1_3genE8ELNS1_11target_archE1030ELNS1_3gpuE2ELNS1_3repE0EEENS1_30default_config_static_selectorELNS0_4arch9wavefront6targetE1EEEvT1_: ; @_ZN7rocprim17ROCPRIM_400000_NS6detail17trampoline_kernelINS0_14default_configENS1_25transform_config_selectorImLb1EEEZNS1_14transform_implILb1ES3_S5_PmS7_NS0_8identityImEEEE10hipError_tT2_T3_mT4_P12ihipStream_tbEUlT_E_NS1_11comp_targetILNS1_3genE8ELNS1_11target_archE1030ELNS1_3gpuE2ELNS1_3repE0EEENS1_30default_config_static_selectorELNS0_4arch9wavefront6targetE1EEEvT1_
; %bb.0:
	.section	.rodata,"a",@progbits
	.p2align	6, 0x0
	.amdhsa_kernel _ZN7rocprim17ROCPRIM_400000_NS6detail17trampoline_kernelINS0_14default_configENS1_25transform_config_selectorImLb1EEEZNS1_14transform_implILb1ES3_S5_PmS7_NS0_8identityImEEEE10hipError_tT2_T3_mT4_P12ihipStream_tbEUlT_E_NS1_11comp_targetILNS1_3genE8ELNS1_11target_archE1030ELNS1_3gpuE2ELNS1_3repE0EEENS1_30default_config_static_selectorELNS0_4arch9wavefront6targetE1EEEvT1_
		.amdhsa_group_segment_fixed_size 0
		.amdhsa_private_segment_fixed_size 0
		.amdhsa_kernarg_size 40
		.amdhsa_user_sgpr_count 6
		.amdhsa_user_sgpr_private_segment_buffer 1
		.amdhsa_user_sgpr_dispatch_ptr 0
		.amdhsa_user_sgpr_queue_ptr 0
		.amdhsa_user_sgpr_kernarg_segment_ptr 1
		.amdhsa_user_sgpr_dispatch_id 0
		.amdhsa_user_sgpr_flat_scratch_init 0
		.amdhsa_user_sgpr_kernarg_preload_length 0
		.amdhsa_user_sgpr_kernarg_preload_offset 0
		.amdhsa_user_sgpr_private_segment_size 0
		.amdhsa_uses_dynamic_stack 0
		.amdhsa_system_sgpr_private_segment_wavefront_offset 0
		.amdhsa_system_sgpr_workgroup_id_x 1
		.amdhsa_system_sgpr_workgroup_id_y 0
		.amdhsa_system_sgpr_workgroup_id_z 0
		.amdhsa_system_sgpr_workgroup_info 0
		.amdhsa_system_vgpr_workitem_id 0
		.amdhsa_next_free_vgpr 1
		.amdhsa_next_free_sgpr 0
		.amdhsa_accum_offset 4
		.amdhsa_reserve_vcc 0
		.amdhsa_reserve_flat_scratch 0
		.amdhsa_float_round_mode_32 0
		.amdhsa_float_round_mode_16_64 0
		.amdhsa_float_denorm_mode_32 3
		.amdhsa_float_denorm_mode_16_64 3
		.amdhsa_dx10_clamp 1
		.amdhsa_ieee_mode 1
		.amdhsa_fp16_overflow 0
		.amdhsa_tg_split 0
		.amdhsa_exception_fp_ieee_invalid_op 0
		.amdhsa_exception_fp_denorm_src 0
		.amdhsa_exception_fp_ieee_div_zero 0
		.amdhsa_exception_fp_ieee_overflow 0
		.amdhsa_exception_fp_ieee_underflow 0
		.amdhsa_exception_fp_ieee_inexact 0
		.amdhsa_exception_int_div_zero 0
	.end_amdhsa_kernel
	.section	.text._ZN7rocprim17ROCPRIM_400000_NS6detail17trampoline_kernelINS0_14default_configENS1_25transform_config_selectorImLb1EEEZNS1_14transform_implILb1ES3_S5_PmS7_NS0_8identityImEEEE10hipError_tT2_T3_mT4_P12ihipStream_tbEUlT_E_NS1_11comp_targetILNS1_3genE8ELNS1_11target_archE1030ELNS1_3gpuE2ELNS1_3repE0EEENS1_30default_config_static_selectorELNS0_4arch9wavefront6targetE1EEEvT1_,"axG",@progbits,_ZN7rocprim17ROCPRIM_400000_NS6detail17trampoline_kernelINS0_14default_configENS1_25transform_config_selectorImLb1EEEZNS1_14transform_implILb1ES3_S5_PmS7_NS0_8identityImEEEE10hipError_tT2_T3_mT4_P12ihipStream_tbEUlT_E_NS1_11comp_targetILNS1_3genE8ELNS1_11target_archE1030ELNS1_3gpuE2ELNS1_3repE0EEENS1_30default_config_static_selectorELNS0_4arch9wavefront6targetE1EEEvT1_,comdat
.Lfunc_end937:
	.size	_ZN7rocprim17ROCPRIM_400000_NS6detail17trampoline_kernelINS0_14default_configENS1_25transform_config_selectorImLb1EEEZNS1_14transform_implILb1ES3_S5_PmS7_NS0_8identityImEEEE10hipError_tT2_T3_mT4_P12ihipStream_tbEUlT_E_NS1_11comp_targetILNS1_3genE8ELNS1_11target_archE1030ELNS1_3gpuE2ELNS1_3repE0EEENS1_30default_config_static_selectorELNS0_4arch9wavefront6targetE1EEEvT1_, .Lfunc_end937-_ZN7rocprim17ROCPRIM_400000_NS6detail17trampoline_kernelINS0_14default_configENS1_25transform_config_selectorImLb1EEEZNS1_14transform_implILb1ES3_S5_PmS7_NS0_8identityImEEEE10hipError_tT2_T3_mT4_P12ihipStream_tbEUlT_E_NS1_11comp_targetILNS1_3genE8ELNS1_11target_archE1030ELNS1_3gpuE2ELNS1_3repE0EEENS1_30default_config_static_selectorELNS0_4arch9wavefront6targetE1EEEvT1_
                                        ; -- End function
	.section	.AMDGPU.csdata,"",@progbits
; Kernel info:
; codeLenInByte = 0
; NumSgprs: 4
; NumVgprs: 0
; NumAgprs: 0
; TotalNumVgprs: 0
; ScratchSize: 0
; MemoryBound: 0
; FloatMode: 240
; IeeeMode: 1
; LDSByteSize: 0 bytes/workgroup (compile time only)
; SGPRBlocks: 0
; VGPRBlocks: 0
; NumSGPRsForWavesPerEU: 4
; NumVGPRsForWavesPerEU: 1
; AccumOffset: 4
; Occupancy: 8
; WaveLimiterHint : 0
; COMPUTE_PGM_RSRC2:SCRATCH_EN: 0
; COMPUTE_PGM_RSRC2:USER_SGPR: 6
; COMPUTE_PGM_RSRC2:TRAP_HANDLER: 0
; COMPUTE_PGM_RSRC2:TGID_X_EN: 1
; COMPUTE_PGM_RSRC2:TGID_Y_EN: 0
; COMPUTE_PGM_RSRC2:TGID_Z_EN: 0
; COMPUTE_PGM_RSRC2:TIDIG_COMP_CNT: 0
; COMPUTE_PGM_RSRC3_GFX90A:ACCUM_OFFSET: 0
; COMPUTE_PGM_RSRC3_GFX90A:TG_SPLIT: 0
	.section	.text._ZN7rocprim17ROCPRIM_400000_NS6detail17trampoline_kernelINS0_14default_configENS1_38merge_sort_block_merge_config_selectorImNS0_10empty_typeEEEZZNS1_27merge_sort_block_merge_implIS3_PmPS5_jNS1_19radix_merge_compareILb0ELb1EmNS0_19identity_decomposerEEEEE10hipError_tT0_T1_T2_jT3_P12ihipStream_tbPNSt15iterator_traitsISE_E10value_typeEPNSK_ISF_E10value_typeEPSG_NS1_7vsmem_tEENKUlT_SE_SF_SG_E_clIS8_S8_S9_S9_EESD_ST_SE_SF_SG_EUlST_E_NS1_11comp_targetILNS1_3genE0ELNS1_11target_archE4294967295ELNS1_3gpuE0ELNS1_3repE0EEENS1_48merge_mergepath_partition_config_static_selectorELNS0_4arch9wavefront6targetE1EEEvSF_,"axG",@progbits,_ZN7rocprim17ROCPRIM_400000_NS6detail17trampoline_kernelINS0_14default_configENS1_38merge_sort_block_merge_config_selectorImNS0_10empty_typeEEEZZNS1_27merge_sort_block_merge_implIS3_PmPS5_jNS1_19radix_merge_compareILb0ELb1EmNS0_19identity_decomposerEEEEE10hipError_tT0_T1_T2_jT3_P12ihipStream_tbPNSt15iterator_traitsISE_E10value_typeEPNSK_ISF_E10value_typeEPSG_NS1_7vsmem_tEENKUlT_SE_SF_SG_E_clIS8_S8_S9_S9_EESD_ST_SE_SF_SG_EUlST_E_NS1_11comp_targetILNS1_3genE0ELNS1_11target_archE4294967295ELNS1_3gpuE0ELNS1_3repE0EEENS1_48merge_mergepath_partition_config_static_selectorELNS0_4arch9wavefront6targetE1EEEvSF_,comdat
	.protected	_ZN7rocprim17ROCPRIM_400000_NS6detail17trampoline_kernelINS0_14default_configENS1_38merge_sort_block_merge_config_selectorImNS0_10empty_typeEEEZZNS1_27merge_sort_block_merge_implIS3_PmPS5_jNS1_19radix_merge_compareILb0ELb1EmNS0_19identity_decomposerEEEEE10hipError_tT0_T1_T2_jT3_P12ihipStream_tbPNSt15iterator_traitsISE_E10value_typeEPNSK_ISF_E10value_typeEPSG_NS1_7vsmem_tEENKUlT_SE_SF_SG_E_clIS8_S8_S9_S9_EESD_ST_SE_SF_SG_EUlST_E_NS1_11comp_targetILNS1_3genE0ELNS1_11target_archE4294967295ELNS1_3gpuE0ELNS1_3repE0EEENS1_48merge_mergepath_partition_config_static_selectorELNS0_4arch9wavefront6targetE1EEEvSF_ ; -- Begin function _ZN7rocprim17ROCPRIM_400000_NS6detail17trampoline_kernelINS0_14default_configENS1_38merge_sort_block_merge_config_selectorImNS0_10empty_typeEEEZZNS1_27merge_sort_block_merge_implIS3_PmPS5_jNS1_19radix_merge_compareILb0ELb1EmNS0_19identity_decomposerEEEEE10hipError_tT0_T1_T2_jT3_P12ihipStream_tbPNSt15iterator_traitsISE_E10value_typeEPNSK_ISF_E10value_typeEPSG_NS1_7vsmem_tEENKUlT_SE_SF_SG_E_clIS8_S8_S9_S9_EESD_ST_SE_SF_SG_EUlST_E_NS1_11comp_targetILNS1_3genE0ELNS1_11target_archE4294967295ELNS1_3gpuE0ELNS1_3repE0EEENS1_48merge_mergepath_partition_config_static_selectorELNS0_4arch9wavefront6targetE1EEEvSF_
	.globl	_ZN7rocprim17ROCPRIM_400000_NS6detail17trampoline_kernelINS0_14default_configENS1_38merge_sort_block_merge_config_selectorImNS0_10empty_typeEEEZZNS1_27merge_sort_block_merge_implIS3_PmPS5_jNS1_19radix_merge_compareILb0ELb1EmNS0_19identity_decomposerEEEEE10hipError_tT0_T1_T2_jT3_P12ihipStream_tbPNSt15iterator_traitsISE_E10value_typeEPNSK_ISF_E10value_typeEPSG_NS1_7vsmem_tEENKUlT_SE_SF_SG_E_clIS8_S8_S9_S9_EESD_ST_SE_SF_SG_EUlST_E_NS1_11comp_targetILNS1_3genE0ELNS1_11target_archE4294967295ELNS1_3gpuE0ELNS1_3repE0EEENS1_48merge_mergepath_partition_config_static_selectorELNS0_4arch9wavefront6targetE1EEEvSF_
	.p2align	8
	.type	_ZN7rocprim17ROCPRIM_400000_NS6detail17trampoline_kernelINS0_14default_configENS1_38merge_sort_block_merge_config_selectorImNS0_10empty_typeEEEZZNS1_27merge_sort_block_merge_implIS3_PmPS5_jNS1_19radix_merge_compareILb0ELb1EmNS0_19identity_decomposerEEEEE10hipError_tT0_T1_T2_jT3_P12ihipStream_tbPNSt15iterator_traitsISE_E10value_typeEPNSK_ISF_E10value_typeEPSG_NS1_7vsmem_tEENKUlT_SE_SF_SG_E_clIS8_S8_S9_S9_EESD_ST_SE_SF_SG_EUlST_E_NS1_11comp_targetILNS1_3genE0ELNS1_11target_archE4294967295ELNS1_3gpuE0ELNS1_3repE0EEENS1_48merge_mergepath_partition_config_static_selectorELNS0_4arch9wavefront6targetE1EEEvSF_,@function
_ZN7rocprim17ROCPRIM_400000_NS6detail17trampoline_kernelINS0_14default_configENS1_38merge_sort_block_merge_config_selectorImNS0_10empty_typeEEEZZNS1_27merge_sort_block_merge_implIS3_PmPS5_jNS1_19radix_merge_compareILb0ELb1EmNS0_19identity_decomposerEEEEE10hipError_tT0_T1_T2_jT3_P12ihipStream_tbPNSt15iterator_traitsISE_E10value_typeEPNSK_ISF_E10value_typeEPSG_NS1_7vsmem_tEENKUlT_SE_SF_SG_E_clIS8_S8_S9_S9_EESD_ST_SE_SF_SG_EUlST_E_NS1_11comp_targetILNS1_3genE0ELNS1_11target_archE4294967295ELNS1_3gpuE0ELNS1_3repE0EEENS1_48merge_mergepath_partition_config_static_selectorELNS0_4arch9wavefront6targetE1EEEvSF_: ; @_ZN7rocprim17ROCPRIM_400000_NS6detail17trampoline_kernelINS0_14default_configENS1_38merge_sort_block_merge_config_selectorImNS0_10empty_typeEEEZZNS1_27merge_sort_block_merge_implIS3_PmPS5_jNS1_19radix_merge_compareILb0ELb1EmNS0_19identity_decomposerEEEEE10hipError_tT0_T1_T2_jT3_P12ihipStream_tbPNSt15iterator_traitsISE_E10value_typeEPNSK_ISF_E10value_typeEPSG_NS1_7vsmem_tEENKUlT_SE_SF_SG_E_clIS8_S8_S9_S9_EESD_ST_SE_SF_SG_EUlST_E_NS1_11comp_targetILNS1_3genE0ELNS1_11target_archE4294967295ELNS1_3gpuE0ELNS1_3repE0EEENS1_48merge_mergepath_partition_config_static_selectorELNS0_4arch9wavefront6targetE1EEEvSF_
; %bb.0:
	.section	.rodata,"a",@progbits
	.p2align	6, 0x0
	.amdhsa_kernel _ZN7rocprim17ROCPRIM_400000_NS6detail17trampoline_kernelINS0_14default_configENS1_38merge_sort_block_merge_config_selectorImNS0_10empty_typeEEEZZNS1_27merge_sort_block_merge_implIS3_PmPS5_jNS1_19radix_merge_compareILb0ELb1EmNS0_19identity_decomposerEEEEE10hipError_tT0_T1_T2_jT3_P12ihipStream_tbPNSt15iterator_traitsISE_E10value_typeEPNSK_ISF_E10value_typeEPSG_NS1_7vsmem_tEENKUlT_SE_SF_SG_E_clIS8_S8_S9_S9_EESD_ST_SE_SF_SG_EUlST_E_NS1_11comp_targetILNS1_3genE0ELNS1_11target_archE4294967295ELNS1_3gpuE0ELNS1_3repE0EEENS1_48merge_mergepath_partition_config_static_selectorELNS0_4arch9wavefront6targetE1EEEvSF_
		.amdhsa_group_segment_fixed_size 0
		.amdhsa_private_segment_fixed_size 0
		.amdhsa_kernarg_size 40
		.amdhsa_user_sgpr_count 6
		.amdhsa_user_sgpr_private_segment_buffer 1
		.amdhsa_user_sgpr_dispatch_ptr 0
		.amdhsa_user_sgpr_queue_ptr 0
		.amdhsa_user_sgpr_kernarg_segment_ptr 1
		.amdhsa_user_sgpr_dispatch_id 0
		.amdhsa_user_sgpr_flat_scratch_init 0
		.amdhsa_user_sgpr_kernarg_preload_length 0
		.amdhsa_user_sgpr_kernarg_preload_offset 0
		.amdhsa_user_sgpr_private_segment_size 0
		.amdhsa_uses_dynamic_stack 0
		.amdhsa_system_sgpr_private_segment_wavefront_offset 0
		.amdhsa_system_sgpr_workgroup_id_x 1
		.amdhsa_system_sgpr_workgroup_id_y 0
		.amdhsa_system_sgpr_workgroup_id_z 0
		.amdhsa_system_sgpr_workgroup_info 0
		.amdhsa_system_vgpr_workitem_id 0
		.amdhsa_next_free_vgpr 1
		.amdhsa_next_free_sgpr 0
		.amdhsa_accum_offset 4
		.amdhsa_reserve_vcc 0
		.amdhsa_reserve_flat_scratch 0
		.amdhsa_float_round_mode_32 0
		.amdhsa_float_round_mode_16_64 0
		.amdhsa_float_denorm_mode_32 3
		.amdhsa_float_denorm_mode_16_64 3
		.amdhsa_dx10_clamp 1
		.amdhsa_ieee_mode 1
		.amdhsa_fp16_overflow 0
		.amdhsa_tg_split 0
		.amdhsa_exception_fp_ieee_invalid_op 0
		.amdhsa_exception_fp_denorm_src 0
		.amdhsa_exception_fp_ieee_div_zero 0
		.amdhsa_exception_fp_ieee_overflow 0
		.amdhsa_exception_fp_ieee_underflow 0
		.amdhsa_exception_fp_ieee_inexact 0
		.amdhsa_exception_int_div_zero 0
	.end_amdhsa_kernel
	.section	.text._ZN7rocprim17ROCPRIM_400000_NS6detail17trampoline_kernelINS0_14default_configENS1_38merge_sort_block_merge_config_selectorImNS0_10empty_typeEEEZZNS1_27merge_sort_block_merge_implIS3_PmPS5_jNS1_19radix_merge_compareILb0ELb1EmNS0_19identity_decomposerEEEEE10hipError_tT0_T1_T2_jT3_P12ihipStream_tbPNSt15iterator_traitsISE_E10value_typeEPNSK_ISF_E10value_typeEPSG_NS1_7vsmem_tEENKUlT_SE_SF_SG_E_clIS8_S8_S9_S9_EESD_ST_SE_SF_SG_EUlST_E_NS1_11comp_targetILNS1_3genE0ELNS1_11target_archE4294967295ELNS1_3gpuE0ELNS1_3repE0EEENS1_48merge_mergepath_partition_config_static_selectorELNS0_4arch9wavefront6targetE1EEEvSF_,"axG",@progbits,_ZN7rocprim17ROCPRIM_400000_NS6detail17trampoline_kernelINS0_14default_configENS1_38merge_sort_block_merge_config_selectorImNS0_10empty_typeEEEZZNS1_27merge_sort_block_merge_implIS3_PmPS5_jNS1_19radix_merge_compareILb0ELb1EmNS0_19identity_decomposerEEEEE10hipError_tT0_T1_T2_jT3_P12ihipStream_tbPNSt15iterator_traitsISE_E10value_typeEPNSK_ISF_E10value_typeEPSG_NS1_7vsmem_tEENKUlT_SE_SF_SG_E_clIS8_S8_S9_S9_EESD_ST_SE_SF_SG_EUlST_E_NS1_11comp_targetILNS1_3genE0ELNS1_11target_archE4294967295ELNS1_3gpuE0ELNS1_3repE0EEENS1_48merge_mergepath_partition_config_static_selectorELNS0_4arch9wavefront6targetE1EEEvSF_,comdat
.Lfunc_end938:
	.size	_ZN7rocprim17ROCPRIM_400000_NS6detail17trampoline_kernelINS0_14default_configENS1_38merge_sort_block_merge_config_selectorImNS0_10empty_typeEEEZZNS1_27merge_sort_block_merge_implIS3_PmPS5_jNS1_19radix_merge_compareILb0ELb1EmNS0_19identity_decomposerEEEEE10hipError_tT0_T1_T2_jT3_P12ihipStream_tbPNSt15iterator_traitsISE_E10value_typeEPNSK_ISF_E10value_typeEPSG_NS1_7vsmem_tEENKUlT_SE_SF_SG_E_clIS8_S8_S9_S9_EESD_ST_SE_SF_SG_EUlST_E_NS1_11comp_targetILNS1_3genE0ELNS1_11target_archE4294967295ELNS1_3gpuE0ELNS1_3repE0EEENS1_48merge_mergepath_partition_config_static_selectorELNS0_4arch9wavefront6targetE1EEEvSF_, .Lfunc_end938-_ZN7rocprim17ROCPRIM_400000_NS6detail17trampoline_kernelINS0_14default_configENS1_38merge_sort_block_merge_config_selectorImNS0_10empty_typeEEEZZNS1_27merge_sort_block_merge_implIS3_PmPS5_jNS1_19radix_merge_compareILb0ELb1EmNS0_19identity_decomposerEEEEE10hipError_tT0_T1_T2_jT3_P12ihipStream_tbPNSt15iterator_traitsISE_E10value_typeEPNSK_ISF_E10value_typeEPSG_NS1_7vsmem_tEENKUlT_SE_SF_SG_E_clIS8_S8_S9_S9_EESD_ST_SE_SF_SG_EUlST_E_NS1_11comp_targetILNS1_3genE0ELNS1_11target_archE4294967295ELNS1_3gpuE0ELNS1_3repE0EEENS1_48merge_mergepath_partition_config_static_selectorELNS0_4arch9wavefront6targetE1EEEvSF_
                                        ; -- End function
	.section	.AMDGPU.csdata,"",@progbits
; Kernel info:
; codeLenInByte = 0
; NumSgprs: 4
; NumVgprs: 0
; NumAgprs: 0
; TotalNumVgprs: 0
; ScratchSize: 0
; MemoryBound: 0
; FloatMode: 240
; IeeeMode: 1
; LDSByteSize: 0 bytes/workgroup (compile time only)
; SGPRBlocks: 0
; VGPRBlocks: 0
; NumSGPRsForWavesPerEU: 4
; NumVGPRsForWavesPerEU: 1
; AccumOffset: 4
; Occupancy: 8
; WaveLimiterHint : 0
; COMPUTE_PGM_RSRC2:SCRATCH_EN: 0
; COMPUTE_PGM_RSRC2:USER_SGPR: 6
; COMPUTE_PGM_RSRC2:TRAP_HANDLER: 0
; COMPUTE_PGM_RSRC2:TGID_X_EN: 1
; COMPUTE_PGM_RSRC2:TGID_Y_EN: 0
; COMPUTE_PGM_RSRC2:TGID_Z_EN: 0
; COMPUTE_PGM_RSRC2:TIDIG_COMP_CNT: 0
; COMPUTE_PGM_RSRC3_GFX90A:ACCUM_OFFSET: 0
; COMPUTE_PGM_RSRC3_GFX90A:TG_SPLIT: 0
	.section	.text._ZN7rocprim17ROCPRIM_400000_NS6detail17trampoline_kernelINS0_14default_configENS1_38merge_sort_block_merge_config_selectorImNS0_10empty_typeEEEZZNS1_27merge_sort_block_merge_implIS3_PmPS5_jNS1_19radix_merge_compareILb0ELb1EmNS0_19identity_decomposerEEEEE10hipError_tT0_T1_T2_jT3_P12ihipStream_tbPNSt15iterator_traitsISE_E10value_typeEPNSK_ISF_E10value_typeEPSG_NS1_7vsmem_tEENKUlT_SE_SF_SG_E_clIS8_S8_S9_S9_EESD_ST_SE_SF_SG_EUlST_E_NS1_11comp_targetILNS1_3genE10ELNS1_11target_archE1201ELNS1_3gpuE5ELNS1_3repE0EEENS1_48merge_mergepath_partition_config_static_selectorELNS0_4arch9wavefront6targetE1EEEvSF_,"axG",@progbits,_ZN7rocprim17ROCPRIM_400000_NS6detail17trampoline_kernelINS0_14default_configENS1_38merge_sort_block_merge_config_selectorImNS0_10empty_typeEEEZZNS1_27merge_sort_block_merge_implIS3_PmPS5_jNS1_19radix_merge_compareILb0ELb1EmNS0_19identity_decomposerEEEEE10hipError_tT0_T1_T2_jT3_P12ihipStream_tbPNSt15iterator_traitsISE_E10value_typeEPNSK_ISF_E10value_typeEPSG_NS1_7vsmem_tEENKUlT_SE_SF_SG_E_clIS8_S8_S9_S9_EESD_ST_SE_SF_SG_EUlST_E_NS1_11comp_targetILNS1_3genE10ELNS1_11target_archE1201ELNS1_3gpuE5ELNS1_3repE0EEENS1_48merge_mergepath_partition_config_static_selectorELNS0_4arch9wavefront6targetE1EEEvSF_,comdat
	.protected	_ZN7rocprim17ROCPRIM_400000_NS6detail17trampoline_kernelINS0_14default_configENS1_38merge_sort_block_merge_config_selectorImNS0_10empty_typeEEEZZNS1_27merge_sort_block_merge_implIS3_PmPS5_jNS1_19radix_merge_compareILb0ELb1EmNS0_19identity_decomposerEEEEE10hipError_tT0_T1_T2_jT3_P12ihipStream_tbPNSt15iterator_traitsISE_E10value_typeEPNSK_ISF_E10value_typeEPSG_NS1_7vsmem_tEENKUlT_SE_SF_SG_E_clIS8_S8_S9_S9_EESD_ST_SE_SF_SG_EUlST_E_NS1_11comp_targetILNS1_3genE10ELNS1_11target_archE1201ELNS1_3gpuE5ELNS1_3repE0EEENS1_48merge_mergepath_partition_config_static_selectorELNS0_4arch9wavefront6targetE1EEEvSF_ ; -- Begin function _ZN7rocprim17ROCPRIM_400000_NS6detail17trampoline_kernelINS0_14default_configENS1_38merge_sort_block_merge_config_selectorImNS0_10empty_typeEEEZZNS1_27merge_sort_block_merge_implIS3_PmPS5_jNS1_19radix_merge_compareILb0ELb1EmNS0_19identity_decomposerEEEEE10hipError_tT0_T1_T2_jT3_P12ihipStream_tbPNSt15iterator_traitsISE_E10value_typeEPNSK_ISF_E10value_typeEPSG_NS1_7vsmem_tEENKUlT_SE_SF_SG_E_clIS8_S8_S9_S9_EESD_ST_SE_SF_SG_EUlST_E_NS1_11comp_targetILNS1_3genE10ELNS1_11target_archE1201ELNS1_3gpuE5ELNS1_3repE0EEENS1_48merge_mergepath_partition_config_static_selectorELNS0_4arch9wavefront6targetE1EEEvSF_
	.globl	_ZN7rocprim17ROCPRIM_400000_NS6detail17trampoline_kernelINS0_14default_configENS1_38merge_sort_block_merge_config_selectorImNS0_10empty_typeEEEZZNS1_27merge_sort_block_merge_implIS3_PmPS5_jNS1_19radix_merge_compareILb0ELb1EmNS0_19identity_decomposerEEEEE10hipError_tT0_T1_T2_jT3_P12ihipStream_tbPNSt15iterator_traitsISE_E10value_typeEPNSK_ISF_E10value_typeEPSG_NS1_7vsmem_tEENKUlT_SE_SF_SG_E_clIS8_S8_S9_S9_EESD_ST_SE_SF_SG_EUlST_E_NS1_11comp_targetILNS1_3genE10ELNS1_11target_archE1201ELNS1_3gpuE5ELNS1_3repE0EEENS1_48merge_mergepath_partition_config_static_selectorELNS0_4arch9wavefront6targetE1EEEvSF_
	.p2align	8
	.type	_ZN7rocprim17ROCPRIM_400000_NS6detail17trampoline_kernelINS0_14default_configENS1_38merge_sort_block_merge_config_selectorImNS0_10empty_typeEEEZZNS1_27merge_sort_block_merge_implIS3_PmPS5_jNS1_19radix_merge_compareILb0ELb1EmNS0_19identity_decomposerEEEEE10hipError_tT0_T1_T2_jT3_P12ihipStream_tbPNSt15iterator_traitsISE_E10value_typeEPNSK_ISF_E10value_typeEPSG_NS1_7vsmem_tEENKUlT_SE_SF_SG_E_clIS8_S8_S9_S9_EESD_ST_SE_SF_SG_EUlST_E_NS1_11comp_targetILNS1_3genE10ELNS1_11target_archE1201ELNS1_3gpuE5ELNS1_3repE0EEENS1_48merge_mergepath_partition_config_static_selectorELNS0_4arch9wavefront6targetE1EEEvSF_,@function
_ZN7rocprim17ROCPRIM_400000_NS6detail17trampoline_kernelINS0_14default_configENS1_38merge_sort_block_merge_config_selectorImNS0_10empty_typeEEEZZNS1_27merge_sort_block_merge_implIS3_PmPS5_jNS1_19radix_merge_compareILb0ELb1EmNS0_19identity_decomposerEEEEE10hipError_tT0_T1_T2_jT3_P12ihipStream_tbPNSt15iterator_traitsISE_E10value_typeEPNSK_ISF_E10value_typeEPSG_NS1_7vsmem_tEENKUlT_SE_SF_SG_E_clIS8_S8_S9_S9_EESD_ST_SE_SF_SG_EUlST_E_NS1_11comp_targetILNS1_3genE10ELNS1_11target_archE1201ELNS1_3gpuE5ELNS1_3repE0EEENS1_48merge_mergepath_partition_config_static_selectorELNS0_4arch9wavefront6targetE1EEEvSF_: ; @_ZN7rocprim17ROCPRIM_400000_NS6detail17trampoline_kernelINS0_14default_configENS1_38merge_sort_block_merge_config_selectorImNS0_10empty_typeEEEZZNS1_27merge_sort_block_merge_implIS3_PmPS5_jNS1_19radix_merge_compareILb0ELb1EmNS0_19identity_decomposerEEEEE10hipError_tT0_T1_T2_jT3_P12ihipStream_tbPNSt15iterator_traitsISE_E10value_typeEPNSK_ISF_E10value_typeEPSG_NS1_7vsmem_tEENKUlT_SE_SF_SG_E_clIS8_S8_S9_S9_EESD_ST_SE_SF_SG_EUlST_E_NS1_11comp_targetILNS1_3genE10ELNS1_11target_archE1201ELNS1_3gpuE5ELNS1_3repE0EEENS1_48merge_mergepath_partition_config_static_selectorELNS0_4arch9wavefront6targetE1EEEvSF_
; %bb.0:
	.section	.rodata,"a",@progbits
	.p2align	6, 0x0
	.amdhsa_kernel _ZN7rocprim17ROCPRIM_400000_NS6detail17trampoline_kernelINS0_14default_configENS1_38merge_sort_block_merge_config_selectorImNS0_10empty_typeEEEZZNS1_27merge_sort_block_merge_implIS3_PmPS5_jNS1_19radix_merge_compareILb0ELb1EmNS0_19identity_decomposerEEEEE10hipError_tT0_T1_T2_jT3_P12ihipStream_tbPNSt15iterator_traitsISE_E10value_typeEPNSK_ISF_E10value_typeEPSG_NS1_7vsmem_tEENKUlT_SE_SF_SG_E_clIS8_S8_S9_S9_EESD_ST_SE_SF_SG_EUlST_E_NS1_11comp_targetILNS1_3genE10ELNS1_11target_archE1201ELNS1_3gpuE5ELNS1_3repE0EEENS1_48merge_mergepath_partition_config_static_selectorELNS0_4arch9wavefront6targetE1EEEvSF_
		.amdhsa_group_segment_fixed_size 0
		.amdhsa_private_segment_fixed_size 0
		.amdhsa_kernarg_size 40
		.amdhsa_user_sgpr_count 6
		.amdhsa_user_sgpr_private_segment_buffer 1
		.amdhsa_user_sgpr_dispatch_ptr 0
		.amdhsa_user_sgpr_queue_ptr 0
		.amdhsa_user_sgpr_kernarg_segment_ptr 1
		.amdhsa_user_sgpr_dispatch_id 0
		.amdhsa_user_sgpr_flat_scratch_init 0
		.amdhsa_user_sgpr_kernarg_preload_length 0
		.amdhsa_user_sgpr_kernarg_preload_offset 0
		.amdhsa_user_sgpr_private_segment_size 0
		.amdhsa_uses_dynamic_stack 0
		.amdhsa_system_sgpr_private_segment_wavefront_offset 0
		.amdhsa_system_sgpr_workgroup_id_x 1
		.amdhsa_system_sgpr_workgroup_id_y 0
		.amdhsa_system_sgpr_workgroup_id_z 0
		.amdhsa_system_sgpr_workgroup_info 0
		.amdhsa_system_vgpr_workitem_id 0
		.amdhsa_next_free_vgpr 1
		.amdhsa_next_free_sgpr 0
		.amdhsa_accum_offset 4
		.amdhsa_reserve_vcc 0
		.amdhsa_reserve_flat_scratch 0
		.amdhsa_float_round_mode_32 0
		.amdhsa_float_round_mode_16_64 0
		.amdhsa_float_denorm_mode_32 3
		.amdhsa_float_denorm_mode_16_64 3
		.amdhsa_dx10_clamp 1
		.amdhsa_ieee_mode 1
		.amdhsa_fp16_overflow 0
		.amdhsa_tg_split 0
		.amdhsa_exception_fp_ieee_invalid_op 0
		.amdhsa_exception_fp_denorm_src 0
		.amdhsa_exception_fp_ieee_div_zero 0
		.amdhsa_exception_fp_ieee_overflow 0
		.amdhsa_exception_fp_ieee_underflow 0
		.amdhsa_exception_fp_ieee_inexact 0
		.amdhsa_exception_int_div_zero 0
	.end_amdhsa_kernel
	.section	.text._ZN7rocprim17ROCPRIM_400000_NS6detail17trampoline_kernelINS0_14default_configENS1_38merge_sort_block_merge_config_selectorImNS0_10empty_typeEEEZZNS1_27merge_sort_block_merge_implIS3_PmPS5_jNS1_19radix_merge_compareILb0ELb1EmNS0_19identity_decomposerEEEEE10hipError_tT0_T1_T2_jT3_P12ihipStream_tbPNSt15iterator_traitsISE_E10value_typeEPNSK_ISF_E10value_typeEPSG_NS1_7vsmem_tEENKUlT_SE_SF_SG_E_clIS8_S8_S9_S9_EESD_ST_SE_SF_SG_EUlST_E_NS1_11comp_targetILNS1_3genE10ELNS1_11target_archE1201ELNS1_3gpuE5ELNS1_3repE0EEENS1_48merge_mergepath_partition_config_static_selectorELNS0_4arch9wavefront6targetE1EEEvSF_,"axG",@progbits,_ZN7rocprim17ROCPRIM_400000_NS6detail17trampoline_kernelINS0_14default_configENS1_38merge_sort_block_merge_config_selectorImNS0_10empty_typeEEEZZNS1_27merge_sort_block_merge_implIS3_PmPS5_jNS1_19radix_merge_compareILb0ELb1EmNS0_19identity_decomposerEEEEE10hipError_tT0_T1_T2_jT3_P12ihipStream_tbPNSt15iterator_traitsISE_E10value_typeEPNSK_ISF_E10value_typeEPSG_NS1_7vsmem_tEENKUlT_SE_SF_SG_E_clIS8_S8_S9_S9_EESD_ST_SE_SF_SG_EUlST_E_NS1_11comp_targetILNS1_3genE10ELNS1_11target_archE1201ELNS1_3gpuE5ELNS1_3repE0EEENS1_48merge_mergepath_partition_config_static_selectorELNS0_4arch9wavefront6targetE1EEEvSF_,comdat
.Lfunc_end939:
	.size	_ZN7rocprim17ROCPRIM_400000_NS6detail17trampoline_kernelINS0_14default_configENS1_38merge_sort_block_merge_config_selectorImNS0_10empty_typeEEEZZNS1_27merge_sort_block_merge_implIS3_PmPS5_jNS1_19radix_merge_compareILb0ELb1EmNS0_19identity_decomposerEEEEE10hipError_tT0_T1_T2_jT3_P12ihipStream_tbPNSt15iterator_traitsISE_E10value_typeEPNSK_ISF_E10value_typeEPSG_NS1_7vsmem_tEENKUlT_SE_SF_SG_E_clIS8_S8_S9_S9_EESD_ST_SE_SF_SG_EUlST_E_NS1_11comp_targetILNS1_3genE10ELNS1_11target_archE1201ELNS1_3gpuE5ELNS1_3repE0EEENS1_48merge_mergepath_partition_config_static_selectorELNS0_4arch9wavefront6targetE1EEEvSF_, .Lfunc_end939-_ZN7rocprim17ROCPRIM_400000_NS6detail17trampoline_kernelINS0_14default_configENS1_38merge_sort_block_merge_config_selectorImNS0_10empty_typeEEEZZNS1_27merge_sort_block_merge_implIS3_PmPS5_jNS1_19radix_merge_compareILb0ELb1EmNS0_19identity_decomposerEEEEE10hipError_tT0_T1_T2_jT3_P12ihipStream_tbPNSt15iterator_traitsISE_E10value_typeEPNSK_ISF_E10value_typeEPSG_NS1_7vsmem_tEENKUlT_SE_SF_SG_E_clIS8_S8_S9_S9_EESD_ST_SE_SF_SG_EUlST_E_NS1_11comp_targetILNS1_3genE10ELNS1_11target_archE1201ELNS1_3gpuE5ELNS1_3repE0EEENS1_48merge_mergepath_partition_config_static_selectorELNS0_4arch9wavefront6targetE1EEEvSF_
                                        ; -- End function
	.section	.AMDGPU.csdata,"",@progbits
; Kernel info:
; codeLenInByte = 0
; NumSgprs: 4
; NumVgprs: 0
; NumAgprs: 0
; TotalNumVgprs: 0
; ScratchSize: 0
; MemoryBound: 0
; FloatMode: 240
; IeeeMode: 1
; LDSByteSize: 0 bytes/workgroup (compile time only)
; SGPRBlocks: 0
; VGPRBlocks: 0
; NumSGPRsForWavesPerEU: 4
; NumVGPRsForWavesPerEU: 1
; AccumOffset: 4
; Occupancy: 8
; WaveLimiterHint : 0
; COMPUTE_PGM_RSRC2:SCRATCH_EN: 0
; COMPUTE_PGM_RSRC2:USER_SGPR: 6
; COMPUTE_PGM_RSRC2:TRAP_HANDLER: 0
; COMPUTE_PGM_RSRC2:TGID_X_EN: 1
; COMPUTE_PGM_RSRC2:TGID_Y_EN: 0
; COMPUTE_PGM_RSRC2:TGID_Z_EN: 0
; COMPUTE_PGM_RSRC2:TIDIG_COMP_CNT: 0
; COMPUTE_PGM_RSRC3_GFX90A:ACCUM_OFFSET: 0
; COMPUTE_PGM_RSRC3_GFX90A:TG_SPLIT: 0
	.section	.text._ZN7rocprim17ROCPRIM_400000_NS6detail17trampoline_kernelINS0_14default_configENS1_38merge_sort_block_merge_config_selectorImNS0_10empty_typeEEEZZNS1_27merge_sort_block_merge_implIS3_PmPS5_jNS1_19radix_merge_compareILb0ELb1EmNS0_19identity_decomposerEEEEE10hipError_tT0_T1_T2_jT3_P12ihipStream_tbPNSt15iterator_traitsISE_E10value_typeEPNSK_ISF_E10value_typeEPSG_NS1_7vsmem_tEENKUlT_SE_SF_SG_E_clIS8_S8_S9_S9_EESD_ST_SE_SF_SG_EUlST_E_NS1_11comp_targetILNS1_3genE5ELNS1_11target_archE942ELNS1_3gpuE9ELNS1_3repE0EEENS1_48merge_mergepath_partition_config_static_selectorELNS0_4arch9wavefront6targetE1EEEvSF_,"axG",@progbits,_ZN7rocprim17ROCPRIM_400000_NS6detail17trampoline_kernelINS0_14default_configENS1_38merge_sort_block_merge_config_selectorImNS0_10empty_typeEEEZZNS1_27merge_sort_block_merge_implIS3_PmPS5_jNS1_19radix_merge_compareILb0ELb1EmNS0_19identity_decomposerEEEEE10hipError_tT0_T1_T2_jT3_P12ihipStream_tbPNSt15iterator_traitsISE_E10value_typeEPNSK_ISF_E10value_typeEPSG_NS1_7vsmem_tEENKUlT_SE_SF_SG_E_clIS8_S8_S9_S9_EESD_ST_SE_SF_SG_EUlST_E_NS1_11comp_targetILNS1_3genE5ELNS1_11target_archE942ELNS1_3gpuE9ELNS1_3repE0EEENS1_48merge_mergepath_partition_config_static_selectorELNS0_4arch9wavefront6targetE1EEEvSF_,comdat
	.protected	_ZN7rocprim17ROCPRIM_400000_NS6detail17trampoline_kernelINS0_14default_configENS1_38merge_sort_block_merge_config_selectorImNS0_10empty_typeEEEZZNS1_27merge_sort_block_merge_implIS3_PmPS5_jNS1_19radix_merge_compareILb0ELb1EmNS0_19identity_decomposerEEEEE10hipError_tT0_T1_T2_jT3_P12ihipStream_tbPNSt15iterator_traitsISE_E10value_typeEPNSK_ISF_E10value_typeEPSG_NS1_7vsmem_tEENKUlT_SE_SF_SG_E_clIS8_S8_S9_S9_EESD_ST_SE_SF_SG_EUlST_E_NS1_11comp_targetILNS1_3genE5ELNS1_11target_archE942ELNS1_3gpuE9ELNS1_3repE0EEENS1_48merge_mergepath_partition_config_static_selectorELNS0_4arch9wavefront6targetE1EEEvSF_ ; -- Begin function _ZN7rocprim17ROCPRIM_400000_NS6detail17trampoline_kernelINS0_14default_configENS1_38merge_sort_block_merge_config_selectorImNS0_10empty_typeEEEZZNS1_27merge_sort_block_merge_implIS3_PmPS5_jNS1_19radix_merge_compareILb0ELb1EmNS0_19identity_decomposerEEEEE10hipError_tT0_T1_T2_jT3_P12ihipStream_tbPNSt15iterator_traitsISE_E10value_typeEPNSK_ISF_E10value_typeEPSG_NS1_7vsmem_tEENKUlT_SE_SF_SG_E_clIS8_S8_S9_S9_EESD_ST_SE_SF_SG_EUlST_E_NS1_11comp_targetILNS1_3genE5ELNS1_11target_archE942ELNS1_3gpuE9ELNS1_3repE0EEENS1_48merge_mergepath_partition_config_static_selectorELNS0_4arch9wavefront6targetE1EEEvSF_
	.globl	_ZN7rocprim17ROCPRIM_400000_NS6detail17trampoline_kernelINS0_14default_configENS1_38merge_sort_block_merge_config_selectorImNS0_10empty_typeEEEZZNS1_27merge_sort_block_merge_implIS3_PmPS5_jNS1_19radix_merge_compareILb0ELb1EmNS0_19identity_decomposerEEEEE10hipError_tT0_T1_T2_jT3_P12ihipStream_tbPNSt15iterator_traitsISE_E10value_typeEPNSK_ISF_E10value_typeEPSG_NS1_7vsmem_tEENKUlT_SE_SF_SG_E_clIS8_S8_S9_S9_EESD_ST_SE_SF_SG_EUlST_E_NS1_11comp_targetILNS1_3genE5ELNS1_11target_archE942ELNS1_3gpuE9ELNS1_3repE0EEENS1_48merge_mergepath_partition_config_static_selectorELNS0_4arch9wavefront6targetE1EEEvSF_
	.p2align	8
	.type	_ZN7rocprim17ROCPRIM_400000_NS6detail17trampoline_kernelINS0_14default_configENS1_38merge_sort_block_merge_config_selectorImNS0_10empty_typeEEEZZNS1_27merge_sort_block_merge_implIS3_PmPS5_jNS1_19radix_merge_compareILb0ELb1EmNS0_19identity_decomposerEEEEE10hipError_tT0_T1_T2_jT3_P12ihipStream_tbPNSt15iterator_traitsISE_E10value_typeEPNSK_ISF_E10value_typeEPSG_NS1_7vsmem_tEENKUlT_SE_SF_SG_E_clIS8_S8_S9_S9_EESD_ST_SE_SF_SG_EUlST_E_NS1_11comp_targetILNS1_3genE5ELNS1_11target_archE942ELNS1_3gpuE9ELNS1_3repE0EEENS1_48merge_mergepath_partition_config_static_selectorELNS0_4arch9wavefront6targetE1EEEvSF_,@function
_ZN7rocprim17ROCPRIM_400000_NS6detail17trampoline_kernelINS0_14default_configENS1_38merge_sort_block_merge_config_selectorImNS0_10empty_typeEEEZZNS1_27merge_sort_block_merge_implIS3_PmPS5_jNS1_19radix_merge_compareILb0ELb1EmNS0_19identity_decomposerEEEEE10hipError_tT0_T1_T2_jT3_P12ihipStream_tbPNSt15iterator_traitsISE_E10value_typeEPNSK_ISF_E10value_typeEPSG_NS1_7vsmem_tEENKUlT_SE_SF_SG_E_clIS8_S8_S9_S9_EESD_ST_SE_SF_SG_EUlST_E_NS1_11comp_targetILNS1_3genE5ELNS1_11target_archE942ELNS1_3gpuE9ELNS1_3repE0EEENS1_48merge_mergepath_partition_config_static_selectorELNS0_4arch9wavefront6targetE1EEEvSF_: ; @_ZN7rocprim17ROCPRIM_400000_NS6detail17trampoline_kernelINS0_14default_configENS1_38merge_sort_block_merge_config_selectorImNS0_10empty_typeEEEZZNS1_27merge_sort_block_merge_implIS3_PmPS5_jNS1_19radix_merge_compareILb0ELb1EmNS0_19identity_decomposerEEEEE10hipError_tT0_T1_T2_jT3_P12ihipStream_tbPNSt15iterator_traitsISE_E10value_typeEPNSK_ISF_E10value_typeEPSG_NS1_7vsmem_tEENKUlT_SE_SF_SG_E_clIS8_S8_S9_S9_EESD_ST_SE_SF_SG_EUlST_E_NS1_11comp_targetILNS1_3genE5ELNS1_11target_archE942ELNS1_3gpuE9ELNS1_3repE0EEENS1_48merge_mergepath_partition_config_static_selectorELNS0_4arch9wavefront6targetE1EEEvSF_
; %bb.0:
	.section	.rodata,"a",@progbits
	.p2align	6, 0x0
	.amdhsa_kernel _ZN7rocprim17ROCPRIM_400000_NS6detail17trampoline_kernelINS0_14default_configENS1_38merge_sort_block_merge_config_selectorImNS0_10empty_typeEEEZZNS1_27merge_sort_block_merge_implIS3_PmPS5_jNS1_19radix_merge_compareILb0ELb1EmNS0_19identity_decomposerEEEEE10hipError_tT0_T1_T2_jT3_P12ihipStream_tbPNSt15iterator_traitsISE_E10value_typeEPNSK_ISF_E10value_typeEPSG_NS1_7vsmem_tEENKUlT_SE_SF_SG_E_clIS8_S8_S9_S9_EESD_ST_SE_SF_SG_EUlST_E_NS1_11comp_targetILNS1_3genE5ELNS1_11target_archE942ELNS1_3gpuE9ELNS1_3repE0EEENS1_48merge_mergepath_partition_config_static_selectorELNS0_4arch9wavefront6targetE1EEEvSF_
		.amdhsa_group_segment_fixed_size 0
		.amdhsa_private_segment_fixed_size 0
		.amdhsa_kernarg_size 40
		.amdhsa_user_sgpr_count 6
		.amdhsa_user_sgpr_private_segment_buffer 1
		.amdhsa_user_sgpr_dispatch_ptr 0
		.amdhsa_user_sgpr_queue_ptr 0
		.amdhsa_user_sgpr_kernarg_segment_ptr 1
		.amdhsa_user_sgpr_dispatch_id 0
		.amdhsa_user_sgpr_flat_scratch_init 0
		.amdhsa_user_sgpr_kernarg_preload_length 0
		.amdhsa_user_sgpr_kernarg_preload_offset 0
		.amdhsa_user_sgpr_private_segment_size 0
		.amdhsa_uses_dynamic_stack 0
		.amdhsa_system_sgpr_private_segment_wavefront_offset 0
		.amdhsa_system_sgpr_workgroup_id_x 1
		.amdhsa_system_sgpr_workgroup_id_y 0
		.amdhsa_system_sgpr_workgroup_id_z 0
		.amdhsa_system_sgpr_workgroup_info 0
		.amdhsa_system_vgpr_workitem_id 0
		.amdhsa_next_free_vgpr 1
		.amdhsa_next_free_sgpr 0
		.amdhsa_accum_offset 4
		.amdhsa_reserve_vcc 0
		.amdhsa_reserve_flat_scratch 0
		.amdhsa_float_round_mode_32 0
		.amdhsa_float_round_mode_16_64 0
		.amdhsa_float_denorm_mode_32 3
		.amdhsa_float_denorm_mode_16_64 3
		.amdhsa_dx10_clamp 1
		.amdhsa_ieee_mode 1
		.amdhsa_fp16_overflow 0
		.amdhsa_tg_split 0
		.amdhsa_exception_fp_ieee_invalid_op 0
		.amdhsa_exception_fp_denorm_src 0
		.amdhsa_exception_fp_ieee_div_zero 0
		.amdhsa_exception_fp_ieee_overflow 0
		.amdhsa_exception_fp_ieee_underflow 0
		.amdhsa_exception_fp_ieee_inexact 0
		.amdhsa_exception_int_div_zero 0
	.end_amdhsa_kernel
	.section	.text._ZN7rocprim17ROCPRIM_400000_NS6detail17trampoline_kernelINS0_14default_configENS1_38merge_sort_block_merge_config_selectorImNS0_10empty_typeEEEZZNS1_27merge_sort_block_merge_implIS3_PmPS5_jNS1_19radix_merge_compareILb0ELb1EmNS0_19identity_decomposerEEEEE10hipError_tT0_T1_T2_jT3_P12ihipStream_tbPNSt15iterator_traitsISE_E10value_typeEPNSK_ISF_E10value_typeEPSG_NS1_7vsmem_tEENKUlT_SE_SF_SG_E_clIS8_S8_S9_S9_EESD_ST_SE_SF_SG_EUlST_E_NS1_11comp_targetILNS1_3genE5ELNS1_11target_archE942ELNS1_3gpuE9ELNS1_3repE0EEENS1_48merge_mergepath_partition_config_static_selectorELNS0_4arch9wavefront6targetE1EEEvSF_,"axG",@progbits,_ZN7rocprim17ROCPRIM_400000_NS6detail17trampoline_kernelINS0_14default_configENS1_38merge_sort_block_merge_config_selectorImNS0_10empty_typeEEEZZNS1_27merge_sort_block_merge_implIS3_PmPS5_jNS1_19radix_merge_compareILb0ELb1EmNS0_19identity_decomposerEEEEE10hipError_tT0_T1_T2_jT3_P12ihipStream_tbPNSt15iterator_traitsISE_E10value_typeEPNSK_ISF_E10value_typeEPSG_NS1_7vsmem_tEENKUlT_SE_SF_SG_E_clIS8_S8_S9_S9_EESD_ST_SE_SF_SG_EUlST_E_NS1_11comp_targetILNS1_3genE5ELNS1_11target_archE942ELNS1_3gpuE9ELNS1_3repE0EEENS1_48merge_mergepath_partition_config_static_selectorELNS0_4arch9wavefront6targetE1EEEvSF_,comdat
.Lfunc_end940:
	.size	_ZN7rocprim17ROCPRIM_400000_NS6detail17trampoline_kernelINS0_14default_configENS1_38merge_sort_block_merge_config_selectorImNS0_10empty_typeEEEZZNS1_27merge_sort_block_merge_implIS3_PmPS5_jNS1_19radix_merge_compareILb0ELb1EmNS0_19identity_decomposerEEEEE10hipError_tT0_T1_T2_jT3_P12ihipStream_tbPNSt15iterator_traitsISE_E10value_typeEPNSK_ISF_E10value_typeEPSG_NS1_7vsmem_tEENKUlT_SE_SF_SG_E_clIS8_S8_S9_S9_EESD_ST_SE_SF_SG_EUlST_E_NS1_11comp_targetILNS1_3genE5ELNS1_11target_archE942ELNS1_3gpuE9ELNS1_3repE0EEENS1_48merge_mergepath_partition_config_static_selectorELNS0_4arch9wavefront6targetE1EEEvSF_, .Lfunc_end940-_ZN7rocprim17ROCPRIM_400000_NS6detail17trampoline_kernelINS0_14default_configENS1_38merge_sort_block_merge_config_selectorImNS0_10empty_typeEEEZZNS1_27merge_sort_block_merge_implIS3_PmPS5_jNS1_19radix_merge_compareILb0ELb1EmNS0_19identity_decomposerEEEEE10hipError_tT0_T1_T2_jT3_P12ihipStream_tbPNSt15iterator_traitsISE_E10value_typeEPNSK_ISF_E10value_typeEPSG_NS1_7vsmem_tEENKUlT_SE_SF_SG_E_clIS8_S8_S9_S9_EESD_ST_SE_SF_SG_EUlST_E_NS1_11comp_targetILNS1_3genE5ELNS1_11target_archE942ELNS1_3gpuE9ELNS1_3repE0EEENS1_48merge_mergepath_partition_config_static_selectorELNS0_4arch9wavefront6targetE1EEEvSF_
                                        ; -- End function
	.section	.AMDGPU.csdata,"",@progbits
; Kernel info:
; codeLenInByte = 0
; NumSgprs: 4
; NumVgprs: 0
; NumAgprs: 0
; TotalNumVgprs: 0
; ScratchSize: 0
; MemoryBound: 0
; FloatMode: 240
; IeeeMode: 1
; LDSByteSize: 0 bytes/workgroup (compile time only)
; SGPRBlocks: 0
; VGPRBlocks: 0
; NumSGPRsForWavesPerEU: 4
; NumVGPRsForWavesPerEU: 1
; AccumOffset: 4
; Occupancy: 8
; WaveLimiterHint : 0
; COMPUTE_PGM_RSRC2:SCRATCH_EN: 0
; COMPUTE_PGM_RSRC2:USER_SGPR: 6
; COMPUTE_PGM_RSRC2:TRAP_HANDLER: 0
; COMPUTE_PGM_RSRC2:TGID_X_EN: 1
; COMPUTE_PGM_RSRC2:TGID_Y_EN: 0
; COMPUTE_PGM_RSRC2:TGID_Z_EN: 0
; COMPUTE_PGM_RSRC2:TIDIG_COMP_CNT: 0
; COMPUTE_PGM_RSRC3_GFX90A:ACCUM_OFFSET: 0
; COMPUTE_PGM_RSRC3_GFX90A:TG_SPLIT: 0
	.section	.text._ZN7rocprim17ROCPRIM_400000_NS6detail17trampoline_kernelINS0_14default_configENS1_38merge_sort_block_merge_config_selectorImNS0_10empty_typeEEEZZNS1_27merge_sort_block_merge_implIS3_PmPS5_jNS1_19radix_merge_compareILb0ELb1EmNS0_19identity_decomposerEEEEE10hipError_tT0_T1_T2_jT3_P12ihipStream_tbPNSt15iterator_traitsISE_E10value_typeEPNSK_ISF_E10value_typeEPSG_NS1_7vsmem_tEENKUlT_SE_SF_SG_E_clIS8_S8_S9_S9_EESD_ST_SE_SF_SG_EUlST_E_NS1_11comp_targetILNS1_3genE4ELNS1_11target_archE910ELNS1_3gpuE8ELNS1_3repE0EEENS1_48merge_mergepath_partition_config_static_selectorELNS0_4arch9wavefront6targetE1EEEvSF_,"axG",@progbits,_ZN7rocprim17ROCPRIM_400000_NS6detail17trampoline_kernelINS0_14default_configENS1_38merge_sort_block_merge_config_selectorImNS0_10empty_typeEEEZZNS1_27merge_sort_block_merge_implIS3_PmPS5_jNS1_19radix_merge_compareILb0ELb1EmNS0_19identity_decomposerEEEEE10hipError_tT0_T1_T2_jT3_P12ihipStream_tbPNSt15iterator_traitsISE_E10value_typeEPNSK_ISF_E10value_typeEPSG_NS1_7vsmem_tEENKUlT_SE_SF_SG_E_clIS8_S8_S9_S9_EESD_ST_SE_SF_SG_EUlST_E_NS1_11comp_targetILNS1_3genE4ELNS1_11target_archE910ELNS1_3gpuE8ELNS1_3repE0EEENS1_48merge_mergepath_partition_config_static_selectorELNS0_4arch9wavefront6targetE1EEEvSF_,comdat
	.protected	_ZN7rocprim17ROCPRIM_400000_NS6detail17trampoline_kernelINS0_14default_configENS1_38merge_sort_block_merge_config_selectorImNS0_10empty_typeEEEZZNS1_27merge_sort_block_merge_implIS3_PmPS5_jNS1_19radix_merge_compareILb0ELb1EmNS0_19identity_decomposerEEEEE10hipError_tT0_T1_T2_jT3_P12ihipStream_tbPNSt15iterator_traitsISE_E10value_typeEPNSK_ISF_E10value_typeEPSG_NS1_7vsmem_tEENKUlT_SE_SF_SG_E_clIS8_S8_S9_S9_EESD_ST_SE_SF_SG_EUlST_E_NS1_11comp_targetILNS1_3genE4ELNS1_11target_archE910ELNS1_3gpuE8ELNS1_3repE0EEENS1_48merge_mergepath_partition_config_static_selectorELNS0_4arch9wavefront6targetE1EEEvSF_ ; -- Begin function _ZN7rocprim17ROCPRIM_400000_NS6detail17trampoline_kernelINS0_14default_configENS1_38merge_sort_block_merge_config_selectorImNS0_10empty_typeEEEZZNS1_27merge_sort_block_merge_implIS3_PmPS5_jNS1_19radix_merge_compareILb0ELb1EmNS0_19identity_decomposerEEEEE10hipError_tT0_T1_T2_jT3_P12ihipStream_tbPNSt15iterator_traitsISE_E10value_typeEPNSK_ISF_E10value_typeEPSG_NS1_7vsmem_tEENKUlT_SE_SF_SG_E_clIS8_S8_S9_S9_EESD_ST_SE_SF_SG_EUlST_E_NS1_11comp_targetILNS1_3genE4ELNS1_11target_archE910ELNS1_3gpuE8ELNS1_3repE0EEENS1_48merge_mergepath_partition_config_static_selectorELNS0_4arch9wavefront6targetE1EEEvSF_
	.globl	_ZN7rocprim17ROCPRIM_400000_NS6detail17trampoline_kernelINS0_14default_configENS1_38merge_sort_block_merge_config_selectorImNS0_10empty_typeEEEZZNS1_27merge_sort_block_merge_implIS3_PmPS5_jNS1_19radix_merge_compareILb0ELb1EmNS0_19identity_decomposerEEEEE10hipError_tT0_T1_T2_jT3_P12ihipStream_tbPNSt15iterator_traitsISE_E10value_typeEPNSK_ISF_E10value_typeEPSG_NS1_7vsmem_tEENKUlT_SE_SF_SG_E_clIS8_S8_S9_S9_EESD_ST_SE_SF_SG_EUlST_E_NS1_11comp_targetILNS1_3genE4ELNS1_11target_archE910ELNS1_3gpuE8ELNS1_3repE0EEENS1_48merge_mergepath_partition_config_static_selectorELNS0_4arch9wavefront6targetE1EEEvSF_
	.p2align	8
	.type	_ZN7rocprim17ROCPRIM_400000_NS6detail17trampoline_kernelINS0_14default_configENS1_38merge_sort_block_merge_config_selectorImNS0_10empty_typeEEEZZNS1_27merge_sort_block_merge_implIS3_PmPS5_jNS1_19radix_merge_compareILb0ELb1EmNS0_19identity_decomposerEEEEE10hipError_tT0_T1_T2_jT3_P12ihipStream_tbPNSt15iterator_traitsISE_E10value_typeEPNSK_ISF_E10value_typeEPSG_NS1_7vsmem_tEENKUlT_SE_SF_SG_E_clIS8_S8_S9_S9_EESD_ST_SE_SF_SG_EUlST_E_NS1_11comp_targetILNS1_3genE4ELNS1_11target_archE910ELNS1_3gpuE8ELNS1_3repE0EEENS1_48merge_mergepath_partition_config_static_selectorELNS0_4arch9wavefront6targetE1EEEvSF_,@function
_ZN7rocprim17ROCPRIM_400000_NS6detail17trampoline_kernelINS0_14default_configENS1_38merge_sort_block_merge_config_selectorImNS0_10empty_typeEEEZZNS1_27merge_sort_block_merge_implIS3_PmPS5_jNS1_19radix_merge_compareILb0ELb1EmNS0_19identity_decomposerEEEEE10hipError_tT0_T1_T2_jT3_P12ihipStream_tbPNSt15iterator_traitsISE_E10value_typeEPNSK_ISF_E10value_typeEPSG_NS1_7vsmem_tEENKUlT_SE_SF_SG_E_clIS8_S8_S9_S9_EESD_ST_SE_SF_SG_EUlST_E_NS1_11comp_targetILNS1_3genE4ELNS1_11target_archE910ELNS1_3gpuE8ELNS1_3repE0EEENS1_48merge_mergepath_partition_config_static_selectorELNS0_4arch9wavefront6targetE1EEEvSF_: ; @_ZN7rocprim17ROCPRIM_400000_NS6detail17trampoline_kernelINS0_14default_configENS1_38merge_sort_block_merge_config_selectorImNS0_10empty_typeEEEZZNS1_27merge_sort_block_merge_implIS3_PmPS5_jNS1_19radix_merge_compareILb0ELb1EmNS0_19identity_decomposerEEEEE10hipError_tT0_T1_T2_jT3_P12ihipStream_tbPNSt15iterator_traitsISE_E10value_typeEPNSK_ISF_E10value_typeEPSG_NS1_7vsmem_tEENKUlT_SE_SF_SG_E_clIS8_S8_S9_S9_EESD_ST_SE_SF_SG_EUlST_E_NS1_11comp_targetILNS1_3genE4ELNS1_11target_archE910ELNS1_3gpuE8ELNS1_3repE0EEENS1_48merge_mergepath_partition_config_static_selectorELNS0_4arch9wavefront6targetE1EEEvSF_
; %bb.0:
	s_load_dword s0, s[4:5], 0x0
	v_lshl_or_b32 v0, s6, 7, v0
	s_waitcnt lgkmcnt(0)
	v_cmp_gt_u32_e32 vcc, s0, v0
	s_and_saveexec_b64 s[0:1], vcc
	s_cbranch_execz .LBB941_6
; %bb.1:
	s_load_dwordx2 s[6:7], s[4:5], 0x4
	s_load_dwordx4 s[0:3], s[4:5], 0x18
	s_waitcnt lgkmcnt(0)
	s_lshr_b32 s8, s6, 9
	s_and_b32 s8, s8, 0x7ffffe
	s_add_i32 s9, s8, -1
	s_sub_i32 s8, 0, s8
	v_and_b32_e32 v1, s8, v0
	v_lshlrev_b32_e32 v1, 10, v1
	v_min_u32_e32 v2, s7, v1
	v_add_u32_e32 v1, s6, v1
	v_min_u32_e32 v4, s7, v1
	v_add_u32_e32 v1, s6, v4
	v_and_b32_e32 v3, s9, v0
	v_min_u32_e32 v1, s7, v1
	v_sub_u32_e32 v5, v1, v2
	v_lshlrev_b32_e32 v3, 10, v3
	v_min_u32_e32 v6, v5, v3
	v_sub_u32_e32 v3, v4, v2
	v_sub_u32_e32 v1, v1, v4
	v_sub_u32_e64 v1, v6, v1 clamp
	v_min_u32_e32 v7, v6, v3
	v_cmp_lt_u32_e32 vcc, v1, v7
	s_and_saveexec_b64 s[6:7], vcc
	s_cbranch_execz .LBB941_5
; %bb.2:
	s_load_dwordx2 s[4:5], s[4:5], 0x10
	v_mov_b32_e32 v5, 0
	v_mov_b32_e32 v3, v5
	v_lshlrev_b64 v[8:9], 3, v[2:3]
	v_lshlrev_b64 v[10:11], 3, v[4:5]
	s_waitcnt lgkmcnt(0)
	v_mov_b32_e32 v12, s5
	v_add_co_u32_e32 v3, vcc, s4, v8
	v_addc_co_u32_e32 v8, vcc, v12, v9, vcc
	v_add_co_u32_e32 v9, vcc, s4, v10
	v_addc_co_u32_e32 v10, vcc, v12, v11, vcc
	s_mov_b64 s[4:5], 0
.LBB941_3:                              ; =>This Inner Loop Header: Depth=1
	v_add_u32_e32 v4, v7, v1
	v_lshrrev_b32_e32 v4, 1, v4
	v_lshlrev_b64 v[14:15], 3, v[4:5]
	v_mov_b32_e32 v13, v5
	v_xad_u32 v12, v4, -1, v6
	v_add_co_u32_e32 v14, vcc, v3, v14
	v_addc_co_u32_e32 v15, vcc, v8, v15, vcc
	v_lshlrev_b64 v[12:13], 3, v[12:13]
	v_add_co_u32_e32 v12, vcc, v9, v12
	v_addc_co_u32_e32 v13, vcc, v10, v13, vcc
	global_load_dwordx2 v[14:15], v[14:15], off
	v_add_u32_e32 v11, 1, v4
	global_load_dwordx2 v[12:13], v[12:13], off
	s_waitcnt vmcnt(1)
	v_and_b32_e32 v15, s1, v15
	v_and_b32_e32 v14, s0, v14
	s_waitcnt vmcnt(0)
	v_and_b32_e32 v13, s1, v13
	v_and_b32_e32 v12, s0, v12
	v_cmp_gt_u64_e32 vcc, v[14:15], v[12:13]
	v_cndmask_b32_e32 v7, v7, v4, vcc
	v_cndmask_b32_e32 v1, v11, v1, vcc
	v_cmp_ge_u32_e32 vcc, v1, v7
	s_or_b64 s[4:5], vcc, s[4:5]
	s_andn2_b64 exec, exec, s[4:5]
	s_cbranch_execnz .LBB941_3
; %bb.4:
	s_or_b64 exec, exec, s[4:5]
.LBB941_5:
	s_or_b64 exec, exec, s[6:7]
	v_add_u32_e32 v2, v1, v2
	v_mov_b32_e32 v1, 0
	v_lshlrev_b64 v[0:1], 2, v[0:1]
	v_mov_b32_e32 v3, s3
	v_add_co_u32_e32 v0, vcc, s2, v0
	v_addc_co_u32_e32 v1, vcc, v3, v1, vcc
	global_store_dword v[0:1], v2, off
.LBB941_6:
	s_endpgm
	.section	.rodata,"a",@progbits
	.p2align	6, 0x0
	.amdhsa_kernel _ZN7rocprim17ROCPRIM_400000_NS6detail17trampoline_kernelINS0_14default_configENS1_38merge_sort_block_merge_config_selectorImNS0_10empty_typeEEEZZNS1_27merge_sort_block_merge_implIS3_PmPS5_jNS1_19radix_merge_compareILb0ELb1EmNS0_19identity_decomposerEEEEE10hipError_tT0_T1_T2_jT3_P12ihipStream_tbPNSt15iterator_traitsISE_E10value_typeEPNSK_ISF_E10value_typeEPSG_NS1_7vsmem_tEENKUlT_SE_SF_SG_E_clIS8_S8_S9_S9_EESD_ST_SE_SF_SG_EUlST_E_NS1_11comp_targetILNS1_3genE4ELNS1_11target_archE910ELNS1_3gpuE8ELNS1_3repE0EEENS1_48merge_mergepath_partition_config_static_selectorELNS0_4arch9wavefront6targetE1EEEvSF_
		.amdhsa_group_segment_fixed_size 0
		.amdhsa_private_segment_fixed_size 0
		.amdhsa_kernarg_size 40
		.amdhsa_user_sgpr_count 6
		.amdhsa_user_sgpr_private_segment_buffer 1
		.amdhsa_user_sgpr_dispatch_ptr 0
		.amdhsa_user_sgpr_queue_ptr 0
		.amdhsa_user_sgpr_kernarg_segment_ptr 1
		.amdhsa_user_sgpr_dispatch_id 0
		.amdhsa_user_sgpr_flat_scratch_init 0
		.amdhsa_user_sgpr_kernarg_preload_length 0
		.amdhsa_user_sgpr_kernarg_preload_offset 0
		.amdhsa_user_sgpr_private_segment_size 0
		.amdhsa_uses_dynamic_stack 0
		.amdhsa_system_sgpr_private_segment_wavefront_offset 0
		.amdhsa_system_sgpr_workgroup_id_x 1
		.amdhsa_system_sgpr_workgroup_id_y 0
		.amdhsa_system_sgpr_workgroup_id_z 0
		.amdhsa_system_sgpr_workgroup_info 0
		.amdhsa_system_vgpr_workitem_id 0
		.amdhsa_next_free_vgpr 16
		.amdhsa_next_free_sgpr 10
		.amdhsa_accum_offset 16
		.amdhsa_reserve_vcc 1
		.amdhsa_reserve_flat_scratch 0
		.amdhsa_float_round_mode_32 0
		.amdhsa_float_round_mode_16_64 0
		.amdhsa_float_denorm_mode_32 3
		.amdhsa_float_denorm_mode_16_64 3
		.amdhsa_dx10_clamp 1
		.amdhsa_ieee_mode 1
		.amdhsa_fp16_overflow 0
		.amdhsa_tg_split 0
		.amdhsa_exception_fp_ieee_invalid_op 0
		.amdhsa_exception_fp_denorm_src 0
		.amdhsa_exception_fp_ieee_div_zero 0
		.amdhsa_exception_fp_ieee_overflow 0
		.amdhsa_exception_fp_ieee_underflow 0
		.amdhsa_exception_fp_ieee_inexact 0
		.amdhsa_exception_int_div_zero 0
	.end_amdhsa_kernel
	.section	.text._ZN7rocprim17ROCPRIM_400000_NS6detail17trampoline_kernelINS0_14default_configENS1_38merge_sort_block_merge_config_selectorImNS0_10empty_typeEEEZZNS1_27merge_sort_block_merge_implIS3_PmPS5_jNS1_19radix_merge_compareILb0ELb1EmNS0_19identity_decomposerEEEEE10hipError_tT0_T1_T2_jT3_P12ihipStream_tbPNSt15iterator_traitsISE_E10value_typeEPNSK_ISF_E10value_typeEPSG_NS1_7vsmem_tEENKUlT_SE_SF_SG_E_clIS8_S8_S9_S9_EESD_ST_SE_SF_SG_EUlST_E_NS1_11comp_targetILNS1_3genE4ELNS1_11target_archE910ELNS1_3gpuE8ELNS1_3repE0EEENS1_48merge_mergepath_partition_config_static_selectorELNS0_4arch9wavefront6targetE1EEEvSF_,"axG",@progbits,_ZN7rocprim17ROCPRIM_400000_NS6detail17trampoline_kernelINS0_14default_configENS1_38merge_sort_block_merge_config_selectorImNS0_10empty_typeEEEZZNS1_27merge_sort_block_merge_implIS3_PmPS5_jNS1_19radix_merge_compareILb0ELb1EmNS0_19identity_decomposerEEEEE10hipError_tT0_T1_T2_jT3_P12ihipStream_tbPNSt15iterator_traitsISE_E10value_typeEPNSK_ISF_E10value_typeEPSG_NS1_7vsmem_tEENKUlT_SE_SF_SG_E_clIS8_S8_S9_S9_EESD_ST_SE_SF_SG_EUlST_E_NS1_11comp_targetILNS1_3genE4ELNS1_11target_archE910ELNS1_3gpuE8ELNS1_3repE0EEENS1_48merge_mergepath_partition_config_static_selectorELNS0_4arch9wavefront6targetE1EEEvSF_,comdat
.Lfunc_end941:
	.size	_ZN7rocprim17ROCPRIM_400000_NS6detail17trampoline_kernelINS0_14default_configENS1_38merge_sort_block_merge_config_selectorImNS0_10empty_typeEEEZZNS1_27merge_sort_block_merge_implIS3_PmPS5_jNS1_19radix_merge_compareILb0ELb1EmNS0_19identity_decomposerEEEEE10hipError_tT0_T1_T2_jT3_P12ihipStream_tbPNSt15iterator_traitsISE_E10value_typeEPNSK_ISF_E10value_typeEPSG_NS1_7vsmem_tEENKUlT_SE_SF_SG_E_clIS8_S8_S9_S9_EESD_ST_SE_SF_SG_EUlST_E_NS1_11comp_targetILNS1_3genE4ELNS1_11target_archE910ELNS1_3gpuE8ELNS1_3repE0EEENS1_48merge_mergepath_partition_config_static_selectorELNS0_4arch9wavefront6targetE1EEEvSF_, .Lfunc_end941-_ZN7rocprim17ROCPRIM_400000_NS6detail17trampoline_kernelINS0_14default_configENS1_38merge_sort_block_merge_config_selectorImNS0_10empty_typeEEEZZNS1_27merge_sort_block_merge_implIS3_PmPS5_jNS1_19radix_merge_compareILb0ELb1EmNS0_19identity_decomposerEEEEE10hipError_tT0_T1_T2_jT3_P12ihipStream_tbPNSt15iterator_traitsISE_E10value_typeEPNSK_ISF_E10value_typeEPSG_NS1_7vsmem_tEENKUlT_SE_SF_SG_E_clIS8_S8_S9_S9_EESD_ST_SE_SF_SG_EUlST_E_NS1_11comp_targetILNS1_3genE4ELNS1_11target_archE910ELNS1_3gpuE8ELNS1_3repE0EEENS1_48merge_mergepath_partition_config_static_selectorELNS0_4arch9wavefront6targetE1EEEvSF_
                                        ; -- End function
	.section	.AMDGPU.csdata,"",@progbits
; Kernel info:
; codeLenInByte = 380
; NumSgprs: 14
; NumVgprs: 16
; NumAgprs: 0
; TotalNumVgprs: 16
; ScratchSize: 0
; MemoryBound: 0
; FloatMode: 240
; IeeeMode: 1
; LDSByteSize: 0 bytes/workgroup (compile time only)
; SGPRBlocks: 1
; VGPRBlocks: 1
; NumSGPRsForWavesPerEU: 14
; NumVGPRsForWavesPerEU: 16
; AccumOffset: 16
; Occupancy: 8
; WaveLimiterHint : 0
; COMPUTE_PGM_RSRC2:SCRATCH_EN: 0
; COMPUTE_PGM_RSRC2:USER_SGPR: 6
; COMPUTE_PGM_RSRC2:TRAP_HANDLER: 0
; COMPUTE_PGM_RSRC2:TGID_X_EN: 1
; COMPUTE_PGM_RSRC2:TGID_Y_EN: 0
; COMPUTE_PGM_RSRC2:TGID_Z_EN: 0
; COMPUTE_PGM_RSRC2:TIDIG_COMP_CNT: 0
; COMPUTE_PGM_RSRC3_GFX90A:ACCUM_OFFSET: 3
; COMPUTE_PGM_RSRC3_GFX90A:TG_SPLIT: 0
	.section	.text._ZN7rocprim17ROCPRIM_400000_NS6detail17trampoline_kernelINS0_14default_configENS1_38merge_sort_block_merge_config_selectorImNS0_10empty_typeEEEZZNS1_27merge_sort_block_merge_implIS3_PmPS5_jNS1_19radix_merge_compareILb0ELb1EmNS0_19identity_decomposerEEEEE10hipError_tT0_T1_T2_jT3_P12ihipStream_tbPNSt15iterator_traitsISE_E10value_typeEPNSK_ISF_E10value_typeEPSG_NS1_7vsmem_tEENKUlT_SE_SF_SG_E_clIS8_S8_S9_S9_EESD_ST_SE_SF_SG_EUlST_E_NS1_11comp_targetILNS1_3genE3ELNS1_11target_archE908ELNS1_3gpuE7ELNS1_3repE0EEENS1_48merge_mergepath_partition_config_static_selectorELNS0_4arch9wavefront6targetE1EEEvSF_,"axG",@progbits,_ZN7rocprim17ROCPRIM_400000_NS6detail17trampoline_kernelINS0_14default_configENS1_38merge_sort_block_merge_config_selectorImNS0_10empty_typeEEEZZNS1_27merge_sort_block_merge_implIS3_PmPS5_jNS1_19radix_merge_compareILb0ELb1EmNS0_19identity_decomposerEEEEE10hipError_tT0_T1_T2_jT3_P12ihipStream_tbPNSt15iterator_traitsISE_E10value_typeEPNSK_ISF_E10value_typeEPSG_NS1_7vsmem_tEENKUlT_SE_SF_SG_E_clIS8_S8_S9_S9_EESD_ST_SE_SF_SG_EUlST_E_NS1_11comp_targetILNS1_3genE3ELNS1_11target_archE908ELNS1_3gpuE7ELNS1_3repE0EEENS1_48merge_mergepath_partition_config_static_selectorELNS0_4arch9wavefront6targetE1EEEvSF_,comdat
	.protected	_ZN7rocprim17ROCPRIM_400000_NS6detail17trampoline_kernelINS0_14default_configENS1_38merge_sort_block_merge_config_selectorImNS0_10empty_typeEEEZZNS1_27merge_sort_block_merge_implIS3_PmPS5_jNS1_19radix_merge_compareILb0ELb1EmNS0_19identity_decomposerEEEEE10hipError_tT0_T1_T2_jT3_P12ihipStream_tbPNSt15iterator_traitsISE_E10value_typeEPNSK_ISF_E10value_typeEPSG_NS1_7vsmem_tEENKUlT_SE_SF_SG_E_clIS8_S8_S9_S9_EESD_ST_SE_SF_SG_EUlST_E_NS1_11comp_targetILNS1_3genE3ELNS1_11target_archE908ELNS1_3gpuE7ELNS1_3repE0EEENS1_48merge_mergepath_partition_config_static_selectorELNS0_4arch9wavefront6targetE1EEEvSF_ ; -- Begin function _ZN7rocprim17ROCPRIM_400000_NS6detail17trampoline_kernelINS0_14default_configENS1_38merge_sort_block_merge_config_selectorImNS0_10empty_typeEEEZZNS1_27merge_sort_block_merge_implIS3_PmPS5_jNS1_19radix_merge_compareILb0ELb1EmNS0_19identity_decomposerEEEEE10hipError_tT0_T1_T2_jT3_P12ihipStream_tbPNSt15iterator_traitsISE_E10value_typeEPNSK_ISF_E10value_typeEPSG_NS1_7vsmem_tEENKUlT_SE_SF_SG_E_clIS8_S8_S9_S9_EESD_ST_SE_SF_SG_EUlST_E_NS1_11comp_targetILNS1_3genE3ELNS1_11target_archE908ELNS1_3gpuE7ELNS1_3repE0EEENS1_48merge_mergepath_partition_config_static_selectorELNS0_4arch9wavefront6targetE1EEEvSF_
	.globl	_ZN7rocprim17ROCPRIM_400000_NS6detail17trampoline_kernelINS0_14default_configENS1_38merge_sort_block_merge_config_selectorImNS0_10empty_typeEEEZZNS1_27merge_sort_block_merge_implIS3_PmPS5_jNS1_19radix_merge_compareILb0ELb1EmNS0_19identity_decomposerEEEEE10hipError_tT0_T1_T2_jT3_P12ihipStream_tbPNSt15iterator_traitsISE_E10value_typeEPNSK_ISF_E10value_typeEPSG_NS1_7vsmem_tEENKUlT_SE_SF_SG_E_clIS8_S8_S9_S9_EESD_ST_SE_SF_SG_EUlST_E_NS1_11comp_targetILNS1_3genE3ELNS1_11target_archE908ELNS1_3gpuE7ELNS1_3repE0EEENS1_48merge_mergepath_partition_config_static_selectorELNS0_4arch9wavefront6targetE1EEEvSF_
	.p2align	8
	.type	_ZN7rocprim17ROCPRIM_400000_NS6detail17trampoline_kernelINS0_14default_configENS1_38merge_sort_block_merge_config_selectorImNS0_10empty_typeEEEZZNS1_27merge_sort_block_merge_implIS3_PmPS5_jNS1_19radix_merge_compareILb0ELb1EmNS0_19identity_decomposerEEEEE10hipError_tT0_T1_T2_jT3_P12ihipStream_tbPNSt15iterator_traitsISE_E10value_typeEPNSK_ISF_E10value_typeEPSG_NS1_7vsmem_tEENKUlT_SE_SF_SG_E_clIS8_S8_S9_S9_EESD_ST_SE_SF_SG_EUlST_E_NS1_11comp_targetILNS1_3genE3ELNS1_11target_archE908ELNS1_3gpuE7ELNS1_3repE0EEENS1_48merge_mergepath_partition_config_static_selectorELNS0_4arch9wavefront6targetE1EEEvSF_,@function
_ZN7rocprim17ROCPRIM_400000_NS6detail17trampoline_kernelINS0_14default_configENS1_38merge_sort_block_merge_config_selectorImNS0_10empty_typeEEEZZNS1_27merge_sort_block_merge_implIS3_PmPS5_jNS1_19radix_merge_compareILb0ELb1EmNS0_19identity_decomposerEEEEE10hipError_tT0_T1_T2_jT3_P12ihipStream_tbPNSt15iterator_traitsISE_E10value_typeEPNSK_ISF_E10value_typeEPSG_NS1_7vsmem_tEENKUlT_SE_SF_SG_E_clIS8_S8_S9_S9_EESD_ST_SE_SF_SG_EUlST_E_NS1_11comp_targetILNS1_3genE3ELNS1_11target_archE908ELNS1_3gpuE7ELNS1_3repE0EEENS1_48merge_mergepath_partition_config_static_selectorELNS0_4arch9wavefront6targetE1EEEvSF_: ; @_ZN7rocprim17ROCPRIM_400000_NS6detail17trampoline_kernelINS0_14default_configENS1_38merge_sort_block_merge_config_selectorImNS0_10empty_typeEEEZZNS1_27merge_sort_block_merge_implIS3_PmPS5_jNS1_19radix_merge_compareILb0ELb1EmNS0_19identity_decomposerEEEEE10hipError_tT0_T1_T2_jT3_P12ihipStream_tbPNSt15iterator_traitsISE_E10value_typeEPNSK_ISF_E10value_typeEPSG_NS1_7vsmem_tEENKUlT_SE_SF_SG_E_clIS8_S8_S9_S9_EESD_ST_SE_SF_SG_EUlST_E_NS1_11comp_targetILNS1_3genE3ELNS1_11target_archE908ELNS1_3gpuE7ELNS1_3repE0EEENS1_48merge_mergepath_partition_config_static_selectorELNS0_4arch9wavefront6targetE1EEEvSF_
; %bb.0:
	.section	.rodata,"a",@progbits
	.p2align	6, 0x0
	.amdhsa_kernel _ZN7rocprim17ROCPRIM_400000_NS6detail17trampoline_kernelINS0_14default_configENS1_38merge_sort_block_merge_config_selectorImNS0_10empty_typeEEEZZNS1_27merge_sort_block_merge_implIS3_PmPS5_jNS1_19radix_merge_compareILb0ELb1EmNS0_19identity_decomposerEEEEE10hipError_tT0_T1_T2_jT3_P12ihipStream_tbPNSt15iterator_traitsISE_E10value_typeEPNSK_ISF_E10value_typeEPSG_NS1_7vsmem_tEENKUlT_SE_SF_SG_E_clIS8_S8_S9_S9_EESD_ST_SE_SF_SG_EUlST_E_NS1_11comp_targetILNS1_3genE3ELNS1_11target_archE908ELNS1_3gpuE7ELNS1_3repE0EEENS1_48merge_mergepath_partition_config_static_selectorELNS0_4arch9wavefront6targetE1EEEvSF_
		.amdhsa_group_segment_fixed_size 0
		.amdhsa_private_segment_fixed_size 0
		.amdhsa_kernarg_size 40
		.amdhsa_user_sgpr_count 6
		.amdhsa_user_sgpr_private_segment_buffer 1
		.amdhsa_user_sgpr_dispatch_ptr 0
		.amdhsa_user_sgpr_queue_ptr 0
		.amdhsa_user_sgpr_kernarg_segment_ptr 1
		.amdhsa_user_sgpr_dispatch_id 0
		.amdhsa_user_sgpr_flat_scratch_init 0
		.amdhsa_user_sgpr_kernarg_preload_length 0
		.amdhsa_user_sgpr_kernarg_preload_offset 0
		.amdhsa_user_sgpr_private_segment_size 0
		.amdhsa_uses_dynamic_stack 0
		.amdhsa_system_sgpr_private_segment_wavefront_offset 0
		.amdhsa_system_sgpr_workgroup_id_x 1
		.amdhsa_system_sgpr_workgroup_id_y 0
		.amdhsa_system_sgpr_workgroup_id_z 0
		.amdhsa_system_sgpr_workgroup_info 0
		.amdhsa_system_vgpr_workitem_id 0
		.amdhsa_next_free_vgpr 1
		.amdhsa_next_free_sgpr 0
		.amdhsa_accum_offset 4
		.amdhsa_reserve_vcc 0
		.amdhsa_reserve_flat_scratch 0
		.amdhsa_float_round_mode_32 0
		.amdhsa_float_round_mode_16_64 0
		.amdhsa_float_denorm_mode_32 3
		.amdhsa_float_denorm_mode_16_64 3
		.amdhsa_dx10_clamp 1
		.amdhsa_ieee_mode 1
		.amdhsa_fp16_overflow 0
		.amdhsa_tg_split 0
		.amdhsa_exception_fp_ieee_invalid_op 0
		.amdhsa_exception_fp_denorm_src 0
		.amdhsa_exception_fp_ieee_div_zero 0
		.amdhsa_exception_fp_ieee_overflow 0
		.amdhsa_exception_fp_ieee_underflow 0
		.amdhsa_exception_fp_ieee_inexact 0
		.amdhsa_exception_int_div_zero 0
	.end_amdhsa_kernel
	.section	.text._ZN7rocprim17ROCPRIM_400000_NS6detail17trampoline_kernelINS0_14default_configENS1_38merge_sort_block_merge_config_selectorImNS0_10empty_typeEEEZZNS1_27merge_sort_block_merge_implIS3_PmPS5_jNS1_19radix_merge_compareILb0ELb1EmNS0_19identity_decomposerEEEEE10hipError_tT0_T1_T2_jT3_P12ihipStream_tbPNSt15iterator_traitsISE_E10value_typeEPNSK_ISF_E10value_typeEPSG_NS1_7vsmem_tEENKUlT_SE_SF_SG_E_clIS8_S8_S9_S9_EESD_ST_SE_SF_SG_EUlST_E_NS1_11comp_targetILNS1_3genE3ELNS1_11target_archE908ELNS1_3gpuE7ELNS1_3repE0EEENS1_48merge_mergepath_partition_config_static_selectorELNS0_4arch9wavefront6targetE1EEEvSF_,"axG",@progbits,_ZN7rocprim17ROCPRIM_400000_NS6detail17trampoline_kernelINS0_14default_configENS1_38merge_sort_block_merge_config_selectorImNS0_10empty_typeEEEZZNS1_27merge_sort_block_merge_implIS3_PmPS5_jNS1_19radix_merge_compareILb0ELb1EmNS0_19identity_decomposerEEEEE10hipError_tT0_T1_T2_jT3_P12ihipStream_tbPNSt15iterator_traitsISE_E10value_typeEPNSK_ISF_E10value_typeEPSG_NS1_7vsmem_tEENKUlT_SE_SF_SG_E_clIS8_S8_S9_S9_EESD_ST_SE_SF_SG_EUlST_E_NS1_11comp_targetILNS1_3genE3ELNS1_11target_archE908ELNS1_3gpuE7ELNS1_3repE0EEENS1_48merge_mergepath_partition_config_static_selectorELNS0_4arch9wavefront6targetE1EEEvSF_,comdat
.Lfunc_end942:
	.size	_ZN7rocprim17ROCPRIM_400000_NS6detail17trampoline_kernelINS0_14default_configENS1_38merge_sort_block_merge_config_selectorImNS0_10empty_typeEEEZZNS1_27merge_sort_block_merge_implIS3_PmPS5_jNS1_19radix_merge_compareILb0ELb1EmNS0_19identity_decomposerEEEEE10hipError_tT0_T1_T2_jT3_P12ihipStream_tbPNSt15iterator_traitsISE_E10value_typeEPNSK_ISF_E10value_typeEPSG_NS1_7vsmem_tEENKUlT_SE_SF_SG_E_clIS8_S8_S9_S9_EESD_ST_SE_SF_SG_EUlST_E_NS1_11comp_targetILNS1_3genE3ELNS1_11target_archE908ELNS1_3gpuE7ELNS1_3repE0EEENS1_48merge_mergepath_partition_config_static_selectorELNS0_4arch9wavefront6targetE1EEEvSF_, .Lfunc_end942-_ZN7rocprim17ROCPRIM_400000_NS6detail17trampoline_kernelINS0_14default_configENS1_38merge_sort_block_merge_config_selectorImNS0_10empty_typeEEEZZNS1_27merge_sort_block_merge_implIS3_PmPS5_jNS1_19radix_merge_compareILb0ELb1EmNS0_19identity_decomposerEEEEE10hipError_tT0_T1_T2_jT3_P12ihipStream_tbPNSt15iterator_traitsISE_E10value_typeEPNSK_ISF_E10value_typeEPSG_NS1_7vsmem_tEENKUlT_SE_SF_SG_E_clIS8_S8_S9_S9_EESD_ST_SE_SF_SG_EUlST_E_NS1_11comp_targetILNS1_3genE3ELNS1_11target_archE908ELNS1_3gpuE7ELNS1_3repE0EEENS1_48merge_mergepath_partition_config_static_selectorELNS0_4arch9wavefront6targetE1EEEvSF_
                                        ; -- End function
	.section	.AMDGPU.csdata,"",@progbits
; Kernel info:
; codeLenInByte = 0
; NumSgprs: 4
; NumVgprs: 0
; NumAgprs: 0
; TotalNumVgprs: 0
; ScratchSize: 0
; MemoryBound: 0
; FloatMode: 240
; IeeeMode: 1
; LDSByteSize: 0 bytes/workgroup (compile time only)
; SGPRBlocks: 0
; VGPRBlocks: 0
; NumSGPRsForWavesPerEU: 4
; NumVGPRsForWavesPerEU: 1
; AccumOffset: 4
; Occupancy: 8
; WaveLimiterHint : 0
; COMPUTE_PGM_RSRC2:SCRATCH_EN: 0
; COMPUTE_PGM_RSRC2:USER_SGPR: 6
; COMPUTE_PGM_RSRC2:TRAP_HANDLER: 0
; COMPUTE_PGM_RSRC2:TGID_X_EN: 1
; COMPUTE_PGM_RSRC2:TGID_Y_EN: 0
; COMPUTE_PGM_RSRC2:TGID_Z_EN: 0
; COMPUTE_PGM_RSRC2:TIDIG_COMP_CNT: 0
; COMPUTE_PGM_RSRC3_GFX90A:ACCUM_OFFSET: 0
; COMPUTE_PGM_RSRC3_GFX90A:TG_SPLIT: 0
	.section	.text._ZN7rocprim17ROCPRIM_400000_NS6detail17trampoline_kernelINS0_14default_configENS1_38merge_sort_block_merge_config_selectorImNS0_10empty_typeEEEZZNS1_27merge_sort_block_merge_implIS3_PmPS5_jNS1_19radix_merge_compareILb0ELb1EmNS0_19identity_decomposerEEEEE10hipError_tT0_T1_T2_jT3_P12ihipStream_tbPNSt15iterator_traitsISE_E10value_typeEPNSK_ISF_E10value_typeEPSG_NS1_7vsmem_tEENKUlT_SE_SF_SG_E_clIS8_S8_S9_S9_EESD_ST_SE_SF_SG_EUlST_E_NS1_11comp_targetILNS1_3genE2ELNS1_11target_archE906ELNS1_3gpuE6ELNS1_3repE0EEENS1_48merge_mergepath_partition_config_static_selectorELNS0_4arch9wavefront6targetE1EEEvSF_,"axG",@progbits,_ZN7rocprim17ROCPRIM_400000_NS6detail17trampoline_kernelINS0_14default_configENS1_38merge_sort_block_merge_config_selectorImNS0_10empty_typeEEEZZNS1_27merge_sort_block_merge_implIS3_PmPS5_jNS1_19radix_merge_compareILb0ELb1EmNS0_19identity_decomposerEEEEE10hipError_tT0_T1_T2_jT3_P12ihipStream_tbPNSt15iterator_traitsISE_E10value_typeEPNSK_ISF_E10value_typeEPSG_NS1_7vsmem_tEENKUlT_SE_SF_SG_E_clIS8_S8_S9_S9_EESD_ST_SE_SF_SG_EUlST_E_NS1_11comp_targetILNS1_3genE2ELNS1_11target_archE906ELNS1_3gpuE6ELNS1_3repE0EEENS1_48merge_mergepath_partition_config_static_selectorELNS0_4arch9wavefront6targetE1EEEvSF_,comdat
	.protected	_ZN7rocprim17ROCPRIM_400000_NS6detail17trampoline_kernelINS0_14default_configENS1_38merge_sort_block_merge_config_selectorImNS0_10empty_typeEEEZZNS1_27merge_sort_block_merge_implIS3_PmPS5_jNS1_19radix_merge_compareILb0ELb1EmNS0_19identity_decomposerEEEEE10hipError_tT0_T1_T2_jT3_P12ihipStream_tbPNSt15iterator_traitsISE_E10value_typeEPNSK_ISF_E10value_typeEPSG_NS1_7vsmem_tEENKUlT_SE_SF_SG_E_clIS8_S8_S9_S9_EESD_ST_SE_SF_SG_EUlST_E_NS1_11comp_targetILNS1_3genE2ELNS1_11target_archE906ELNS1_3gpuE6ELNS1_3repE0EEENS1_48merge_mergepath_partition_config_static_selectorELNS0_4arch9wavefront6targetE1EEEvSF_ ; -- Begin function _ZN7rocprim17ROCPRIM_400000_NS6detail17trampoline_kernelINS0_14default_configENS1_38merge_sort_block_merge_config_selectorImNS0_10empty_typeEEEZZNS1_27merge_sort_block_merge_implIS3_PmPS5_jNS1_19radix_merge_compareILb0ELb1EmNS0_19identity_decomposerEEEEE10hipError_tT0_T1_T2_jT3_P12ihipStream_tbPNSt15iterator_traitsISE_E10value_typeEPNSK_ISF_E10value_typeEPSG_NS1_7vsmem_tEENKUlT_SE_SF_SG_E_clIS8_S8_S9_S9_EESD_ST_SE_SF_SG_EUlST_E_NS1_11comp_targetILNS1_3genE2ELNS1_11target_archE906ELNS1_3gpuE6ELNS1_3repE0EEENS1_48merge_mergepath_partition_config_static_selectorELNS0_4arch9wavefront6targetE1EEEvSF_
	.globl	_ZN7rocprim17ROCPRIM_400000_NS6detail17trampoline_kernelINS0_14default_configENS1_38merge_sort_block_merge_config_selectorImNS0_10empty_typeEEEZZNS1_27merge_sort_block_merge_implIS3_PmPS5_jNS1_19radix_merge_compareILb0ELb1EmNS0_19identity_decomposerEEEEE10hipError_tT0_T1_T2_jT3_P12ihipStream_tbPNSt15iterator_traitsISE_E10value_typeEPNSK_ISF_E10value_typeEPSG_NS1_7vsmem_tEENKUlT_SE_SF_SG_E_clIS8_S8_S9_S9_EESD_ST_SE_SF_SG_EUlST_E_NS1_11comp_targetILNS1_3genE2ELNS1_11target_archE906ELNS1_3gpuE6ELNS1_3repE0EEENS1_48merge_mergepath_partition_config_static_selectorELNS0_4arch9wavefront6targetE1EEEvSF_
	.p2align	8
	.type	_ZN7rocprim17ROCPRIM_400000_NS6detail17trampoline_kernelINS0_14default_configENS1_38merge_sort_block_merge_config_selectorImNS0_10empty_typeEEEZZNS1_27merge_sort_block_merge_implIS3_PmPS5_jNS1_19radix_merge_compareILb0ELb1EmNS0_19identity_decomposerEEEEE10hipError_tT0_T1_T2_jT3_P12ihipStream_tbPNSt15iterator_traitsISE_E10value_typeEPNSK_ISF_E10value_typeEPSG_NS1_7vsmem_tEENKUlT_SE_SF_SG_E_clIS8_S8_S9_S9_EESD_ST_SE_SF_SG_EUlST_E_NS1_11comp_targetILNS1_3genE2ELNS1_11target_archE906ELNS1_3gpuE6ELNS1_3repE0EEENS1_48merge_mergepath_partition_config_static_selectorELNS0_4arch9wavefront6targetE1EEEvSF_,@function
_ZN7rocprim17ROCPRIM_400000_NS6detail17trampoline_kernelINS0_14default_configENS1_38merge_sort_block_merge_config_selectorImNS0_10empty_typeEEEZZNS1_27merge_sort_block_merge_implIS3_PmPS5_jNS1_19radix_merge_compareILb0ELb1EmNS0_19identity_decomposerEEEEE10hipError_tT0_T1_T2_jT3_P12ihipStream_tbPNSt15iterator_traitsISE_E10value_typeEPNSK_ISF_E10value_typeEPSG_NS1_7vsmem_tEENKUlT_SE_SF_SG_E_clIS8_S8_S9_S9_EESD_ST_SE_SF_SG_EUlST_E_NS1_11comp_targetILNS1_3genE2ELNS1_11target_archE906ELNS1_3gpuE6ELNS1_3repE0EEENS1_48merge_mergepath_partition_config_static_selectorELNS0_4arch9wavefront6targetE1EEEvSF_: ; @_ZN7rocprim17ROCPRIM_400000_NS6detail17trampoline_kernelINS0_14default_configENS1_38merge_sort_block_merge_config_selectorImNS0_10empty_typeEEEZZNS1_27merge_sort_block_merge_implIS3_PmPS5_jNS1_19radix_merge_compareILb0ELb1EmNS0_19identity_decomposerEEEEE10hipError_tT0_T1_T2_jT3_P12ihipStream_tbPNSt15iterator_traitsISE_E10value_typeEPNSK_ISF_E10value_typeEPSG_NS1_7vsmem_tEENKUlT_SE_SF_SG_E_clIS8_S8_S9_S9_EESD_ST_SE_SF_SG_EUlST_E_NS1_11comp_targetILNS1_3genE2ELNS1_11target_archE906ELNS1_3gpuE6ELNS1_3repE0EEENS1_48merge_mergepath_partition_config_static_selectorELNS0_4arch9wavefront6targetE1EEEvSF_
; %bb.0:
	.section	.rodata,"a",@progbits
	.p2align	6, 0x0
	.amdhsa_kernel _ZN7rocprim17ROCPRIM_400000_NS6detail17trampoline_kernelINS0_14default_configENS1_38merge_sort_block_merge_config_selectorImNS0_10empty_typeEEEZZNS1_27merge_sort_block_merge_implIS3_PmPS5_jNS1_19radix_merge_compareILb0ELb1EmNS0_19identity_decomposerEEEEE10hipError_tT0_T1_T2_jT3_P12ihipStream_tbPNSt15iterator_traitsISE_E10value_typeEPNSK_ISF_E10value_typeEPSG_NS1_7vsmem_tEENKUlT_SE_SF_SG_E_clIS8_S8_S9_S9_EESD_ST_SE_SF_SG_EUlST_E_NS1_11comp_targetILNS1_3genE2ELNS1_11target_archE906ELNS1_3gpuE6ELNS1_3repE0EEENS1_48merge_mergepath_partition_config_static_selectorELNS0_4arch9wavefront6targetE1EEEvSF_
		.amdhsa_group_segment_fixed_size 0
		.amdhsa_private_segment_fixed_size 0
		.amdhsa_kernarg_size 40
		.amdhsa_user_sgpr_count 6
		.amdhsa_user_sgpr_private_segment_buffer 1
		.amdhsa_user_sgpr_dispatch_ptr 0
		.amdhsa_user_sgpr_queue_ptr 0
		.amdhsa_user_sgpr_kernarg_segment_ptr 1
		.amdhsa_user_sgpr_dispatch_id 0
		.amdhsa_user_sgpr_flat_scratch_init 0
		.amdhsa_user_sgpr_kernarg_preload_length 0
		.amdhsa_user_sgpr_kernarg_preload_offset 0
		.amdhsa_user_sgpr_private_segment_size 0
		.amdhsa_uses_dynamic_stack 0
		.amdhsa_system_sgpr_private_segment_wavefront_offset 0
		.amdhsa_system_sgpr_workgroup_id_x 1
		.amdhsa_system_sgpr_workgroup_id_y 0
		.amdhsa_system_sgpr_workgroup_id_z 0
		.amdhsa_system_sgpr_workgroup_info 0
		.amdhsa_system_vgpr_workitem_id 0
		.amdhsa_next_free_vgpr 1
		.amdhsa_next_free_sgpr 0
		.amdhsa_accum_offset 4
		.amdhsa_reserve_vcc 0
		.amdhsa_reserve_flat_scratch 0
		.amdhsa_float_round_mode_32 0
		.amdhsa_float_round_mode_16_64 0
		.amdhsa_float_denorm_mode_32 3
		.amdhsa_float_denorm_mode_16_64 3
		.amdhsa_dx10_clamp 1
		.amdhsa_ieee_mode 1
		.amdhsa_fp16_overflow 0
		.amdhsa_tg_split 0
		.amdhsa_exception_fp_ieee_invalid_op 0
		.amdhsa_exception_fp_denorm_src 0
		.amdhsa_exception_fp_ieee_div_zero 0
		.amdhsa_exception_fp_ieee_overflow 0
		.amdhsa_exception_fp_ieee_underflow 0
		.amdhsa_exception_fp_ieee_inexact 0
		.amdhsa_exception_int_div_zero 0
	.end_amdhsa_kernel
	.section	.text._ZN7rocprim17ROCPRIM_400000_NS6detail17trampoline_kernelINS0_14default_configENS1_38merge_sort_block_merge_config_selectorImNS0_10empty_typeEEEZZNS1_27merge_sort_block_merge_implIS3_PmPS5_jNS1_19radix_merge_compareILb0ELb1EmNS0_19identity_decomposerEEEEE10hipError_tT0_T1_T2_jT3_P12ihipStream_tbPNSt15iterator_traitsISE_E10value_typeEPNSK_ISF_E10value_typeEPSG_NS1_7vsmem_tEENKUlT_SE_SF_SG_E_clIS8_S8_S9_S9_EESD_ST_SE_SF_SG_EUlST_E_NS1_11comp_targetILNS1_3genE2ELNS1_11target_archE906ELNS1_3gpuE6ELNS1_3repE0EEENS1_48merge_mergepath_partition_config_static_selectorELNS0_4arch9wavefront6targetE1EEEvSF_,"axG",@progbits,_ZN7rocprim17ROCPRIM_400000_NS6detail17trampoline_kernelINS0_14default_configENS1_38merge_sort_block_merge_config_selectorImNS0_10empty_typeEEEZZNS1_27merge_sort_block_merge_implIS3_PmPS5_jNS1_19radix_merge_compareILb0ELb1EmNS0_19identity_decomposerEEEEE10hipError_tT0_T1_T2_jT3_P12ihipStream_tbPNSt15iterator_traitsISE_E10value_typeEPNSK_ISF_E10value_typeEPSG_NS1_7vsmem_tEENKUlT_SE_SF_SG_E_clIS8_S8_S9_S9_EESD_ST_SE_SF_SG_EUlST_E_NS1_11comp_targetILNS1_3genE2ELNS1_11target_archE906ELNS1_3gpuE6ELNS1_3repE0EEENS1_48merge_mergepath_partition_config_static_selectorELNS0_4arch9wavefront6targetE1EEEvSF_,comdat
.Lfunc_end943:
	.size	_ZN7rocprim17ROCPRIM_400000_NS6detail17trampoline_kernelINS0_14default_configENS1_38merge_sort_block_merge_config_selectorImNS0_10empty_typeEEEZZNS1_27merge_sort_block_merge_implIS3_PmPS5_jNS1_19radix_merge_compareILb0ELb1EmNS0_19identity_decomposerEEEEE10hipError_tT0_T1_T2_jT3_P12ihipStream_tbPNSt15iterator_traitsISE_E10value_typeEPNSK_ISF_E10value_typeEPSG_NS1_7vsmem_tEENKUlT_SE_SF_SG_E_clIS8_S8_S9_S9_EESD_ST_SE_SF_SG_EUlST_E_NS1_11comp_targetILNS1_3genE2ELNS1_11target_archE906ELNS1_3gpuE6ELNS1_3repE0EEENS1_48merge_mergepath_partition_config_static_selectorELNS0_4arch9wavefront6targetE1EEEvSF_, .Lfunc_end943-_ZN7rocprim17ROCPRIM_400000_NS6detail17trampoline_kernelINS0_14default_configENS1_38merge_sort_block_merge_config_selectorImNS0_10empty_typeEEEZZNS1_27merge_sort_block_merge_implIS3_PmPS5_jNS1_19radix_merge_compareILb0ELb1EmNS0_19identity_decomposerEEEEE10hipError_tT0_T1_T2_jT3_P12ihipStream_tbPNSt15iterator_traitsISE_E10value_typeEPNSK_ISF_E10value_typeEPSG_NS1_7vsmem_tEENKUlT_SE_SF_SG_E_clIS8_S8_S9_S9_EESD_ST_SE_SF_SG_EUlST_E_NS1_11comp_targetILNS1_3genE2ELNS1_11target_archE906ELNS1_3gpuE6ELNS1_3repE0EEENS1_48merge_mergepath_partition_config_static_selectorELNS0_4arch9wavefront6targetE1EEEvSF_
                                        ; -- End function
	.section	.AMDGPU.csdata,"",@progbits
; Kernel info:
; codeLenInByte = 0
; NumSgprs: 4
; NumVgprs: 0
; NumAgprs: 0
; TotalNumVgprs: 0
; ScratchSize: 0
; MemoryBound: 0
; FloatMode: 240
; IeeeMode: 1
; LDSByteSize: 0 bytes/workgroup (compile time only)
; SGPRBlocks: 0
; VGPRBlocks: 0
; NumSGPRsForWavesPerEU: 4
; NumVGPRsForWavesPerEU: 1
; AccumOffset: 4
; Occupancy: 8
; WaveLimiterHint : 0
; COMPUTE_PGM_RSRC2:SCRATCH_EN: 0
; COMPUTE_PGM_RSRC2:USER_SGPR: 6
; COMPUTE_PGM_RSRC2:TRAP_HANDLER: 0
; COMPUTE_PGM_RSRC2:TGID_X_EN: 1
; COMPUTE_PGM_RSRC2:TGID_Y_EN: 0
; COMPUTE_PGM_RSRC2:TGID_Z_EN: 0
; COMPUTE_PGM_RSRC2:TIDIG_COMP_CNT: 0
; COMPUTE_PGM_RSRC3_GFX90A:ACCUM_OFFSET: 0
; COMPUTE_PGM_RSRC3_GFX90A:TG_SPLIT: 0
	.section	.text._ZN7rocprim17ROCPRIM_400000_NS6detail17trampoline_kernelINS0_14default_configENS1_38merge_sort_block_merge_config_selectorImNS0_10empty_typeEEEZZNS1_27merge_sort_block_merge_implIS3_PmPS5_jNS1_19radix_merge_compareILb0ELb1EmNS0_19identity_decomposerEEEEE10hipError_tT0_T1_T2_jT3_P12ihipStream_tbPNSt15iterator_traitsISE_E10value_typeEPNSK_ISF_E10value_typeEPSG_NS1_7vsmem_tEENKUlT_SE_SF_SG_E_clIS8_S8_S9_S9_EESD_ST_SE_SF_SG_EUlST_E_NS1_11comp_targetILNS1_3genE9ELNS1_11target_archE1100ELNS1_3gpuE3ELNS1_3repE0EEENS1_48merge_mergepath_partition_config_static_selectorELNS0_4arch9wavefront6targetE1EEEvSF_,"axG",@progbits,_ZN7rocprim17ROCPRIM_400000_NS6detail17trampoline_kernelINS0_14default_configENS1_38merge_sort_block_merge_config_selectorImNS0_10empty_typeEEEZZNS1_27merge_sort_block_merge_implIS3_PmPS5_jNS1_19radix_merge_compareILb0ELb1EmNS0_19identity_decomposerEEEEE10hipError_tT0_T1_T2_jT3_P12ihipStream_tbPNSt15iterator_traitsISE_E10value_typeEPNSK_ISF_E10value_typeEPSG_NS1_7vsmem_tEENKUlT_SE_SF_SG_E_clIS8_S8_S9_S9_EESD_ST_SE_SF_SG_EUlST_E_NS1_11comp_targetILNS1_3genE9ELNS1_11target_archE1100ELNS1_3gpuE3ELNS1_3repE0EEENS1_48merge_mergepath_partition_config_static_selectorELNS0_4arch9wavefront6targetE1EEEvSF_,comdat
	.protected	_ZN7rocprim17ROCPRIM_400000_NS6detail17trampoline_kernelINS0_14default_configENS1_38merge_sort_block_merge_config_selectorImNS0_10empty_typeEEEZZNS1_27merge_sort_block_merge_implIS3_PmPS5_jNS1_19radix_merge_compareILb0ELb1EmNS0_19identity_decomposerEEEEE10hipError_tT0_T1_T2_jT3_P12ihipStream_tbPNSt15iterator_traitsISE_E10value_typeEPNSK_ISF_E10value_typeEPSG_NS1_7vsmem_tEENKUlT_SE_SF_SG_E_clIS8_S8_S9_S9_EESD_ST_SE_SF_SG_EUlST_E_NS1_11comp_targetILNS1_3genE9ELNS1_11target_archE1100ELNS1_3gpuE3ELNS1_3repE0EEENS1_48merge_mergepath_partition_config_static_selectorELNS0_4arch9wavefront6targetE1EEEvSF_ ; -- Begin function _ZN7rocprim17ROCPRIM_400000_NS6detail17trampoline_kernelINS0_14default_configENS1_38merge_sort_block_merge_config_selectorImNS0_10empty_typeEEEZZNS1_27merge_sort_block_merge_implIS3_PmPS5_jNS1_19radix_merge_compareILb0ELb1EmNS0_19identity_decomposerEEEEE10hipError_tT0_T1_T2_jT3_P12ihipStream_tbPNSt15iterator_traitsISE_E10value_typeEPNSK_ISF_E10value_typeEPSG_NS1_7vsmem_tEENKUlT_SE_SF_SG_E_clIS8_S8_S9_S9_EESD_ST_SE_SF_SG_EUlST_E_NS1_11comp_targetILNS1_3genE9ELNS1_11target_archE1100ELNS1_3gpuE3ELNS1_3repE0EEENS1_48merge_mergepath_partition_config_static_selectorELNS0_4arch9wavefront6targetE1EEEvSF_
	.globl	_ZN7rocprim17ROCPRIM_400000_NS6detail17trampoline_kernelINS0_14default_configENS1_38merge_sort_block_merge_config_selectorImNS0_10empty_typeEEEZZNS1_27merge_sort_block_merge_implIS3_PmPS5_jNS1_19radix_merge_compareILb0ELb1EmNS0_19identity_decomposerEEEEE10hipError_tT0_T1_T2_jT3_P12ihipStream_tbPNSt15iterator_traitsISE_E10value_typeEPNSK_ISF_E10value_typeEPSG_NS1_7vsmem_tEENKUlT_SE_SF_SG_E_clIS8_S8_S9_S9_EESD_ST_SE_SF_SG_EUlST_E_NS1_11comp_targetILNS1_3genE9ELNS1_11target_archE1100ELNS1_3gpuE3ELNS1_3repE0EEENS1_48merge_mergepath_partition_config_static_selectorELNS0_4arch9wavefront6targetE1EEEvSF_
	.p2align	8
	.type	_ZN7rocprim17ROCPRIM_400000_NS6detail17trampoline_kernelINS0_14default_configENS1_38merge_sort_block_merge_config_selectorImNS0_10empty_typeEEEZZNS1_27merge_sort_block_merge_implIS3_PmPS5_jNS1_19radix_merge_compareILb0ELb1EmNS0_19identity_decomposerEEEEE10hipError_tT0_T1_T2_jT3_P12ihipStream_tbPNSt15iterator_traitsISE_E10value_typeEPNSK_ISF_E10value_typeEPSG_NS1_7vsmem_tEENKUlT_SE_SF_SG_E_clIS8_S8_S9_S9_EESD_ST_SE_SF_SG_EUlST_E_NS1_11comp_targetILNS1_3genE9ELNS1_11target_archE1100ELNS1_3gpuE3ELNS1_3repE0EEENS1_48merge_mergepath_partition_config_static_selectorELNS0_4arch9wavefront6targetE1EEEvSF_,@function
_ZN7rocprim17ROCPRIM_400000_NS6detail17trampoline_kernelINS0_14default_configENS1_38merge_sort_block_merge_config_selectorImNS0_10empty_typeEEEZZNS1_27merge_sort_block_merge_implIS3_PmPS5_jNS1_19radix_merge_compareILb0ELb1EmNS0_19identity_decomposerEEEEE10hipError_tT0_T1_T2_jT3_P12ihipStream_tbPNSt15iterator_traitsISE_E10value_typeEPNSK_ISF_E10value_typeEPSG_NS1_7vsmem_tEENKUlT_SE_SF_SG_E_clIS8_S8_S9_S9_EESD_ST_SE_SF_SG_EUlST_E_NS1_11comp_targetILNS1_3genE9ELNS1_11target_archE1100ELNS1_3gpuE3ELNS1_3repE0EEENS1_48merge_mergepath_partition_config_static_selectorELNS0_4arch9wavefront6targetE1EEEvSF_: ; @_ZN7rocprim17ROCPRIM_400000_NS6detail17trampoline_kernelINS0_14default_configENS1_38merge_sort_block_merge_config_selectorImNS0_10empty_typeEEEZZNS1_27merge_sort_block_merge_implIS3_PmPS5_jNS1_19radix_merge_compareILb0ELb1EmNS0_19identity_decomposerEEEEE10hipError_tT0_T1_T2_jT3_P12ihipStream_tbPNSt15iterator_traitsISE_E10value_typeEPNSK_ISF_E10value_typeEPSG_NS1_7vsmem_tEENKUlT_SE_SF_SG_E_clIS8_S8_S9_S9_EESD_ST_SE_SF_SG_EUlST_E_NS1_11comp_targetILNS1_3genE9ELNS1_11target_archE1100ELNS1_3gpuE3ELNS1_3repE0EEENS1_48merge_mergepath_partition_config_static_selectorELNS0_4arch9wavefront6targetE1EEEvSF_
; %bb.0:
	.section	.rodata,"a",@progbits
	.p2align	6, 0x0
	.amdhsa_kernel _ZN7rocprim17ROCPRIM_400000_NS6detail17trampoline_kernelINS0_14default_configENS1_38merge_sort_block_merge_config_selectorImNS0_10empty_typeEEEZZNS1_27merge_sort_block_merge_implIS3_PmPS5_jNS1_19radix_merge_compareILb0ELb1EmNS0_19identity_decomposerEEEEE10hipError_tT0_T1_T2_jT3_P12ihipStream_tbPNSt15iterator_traitsISE_E10value_typeEPNSK_ISF_E10value_typeEPSG_NS1_7vsmem_tEENKUlT_SE_SF_SG_E_clIS8_S8_S9_S9_EESD_ST_SE_SF_SG_EUlST_E_NS1_11comp_targetILNS1_3genE9ELNS1_11target_archE1100ELNS1_3gpuE3ELNS1_3repE0EEENS1_48merge_mergepath_partition_config_static_selectorELNS0_4arch9wavefront6targetE1EEEvSF_
		.amdhsa_group_segment_fixed_size 0
		.amdhsa_private_segment_fixed_size 0
		.amdhsa_kernarg_size 40
		.amdhsa_user_sgpr_count 6
		.amdhsa_user_sgpr_private_segment_buffer 1
		.amdhsa_user_sgpr_dispatch_ptr 0
		.amdhsa_user_sgpr_queue_ptr 0
		.amdhsa_user_sgpr_kernarg_segment_ptr 1
		.amdhsa_user_sgpr_dispatch_id 0
		.amdhsa_user_sgpr_flat_scratch_init 0
		.amdhsa_user_sgpr_kernarg_preload_length 0
		.amdhsa_user_sgpr_kernarg_preload_offset 0
		.amdhsa_user_sgpr_private_segment_size 0
		.amdhsa_uses_dynamic_stack 0
		.amdhsa_system_sgpr_private_segment_wavefront_offset 0
		.amdhsa_system_sgpr_workgroup_id_x 1
		.amdhsa_system_sgpr_workgroup_id_y 0
		.amdhsa_system_sgpr_workgroup_id_z 0
		.amdhsa_system_sgpr_workgroup_info 0
		.amdhsa_system_vgpr_workitem_id 0
		.amdhsa_next_free_vgpr 1
		.amdhsa_next_free_sgpr 0
		.amdhsa_accum_offset 4
		.amdhsa_reserve_vcc 0
		.amdhsa_reserve_flat_scratch 0
		.amdhsa_float_round_mode_32 0
		.amdhsa_float_round_mode_16_64 0
		.amdhsa_float_denorm_mode_32 3
		.amdhsa_float_denorm_mode_16_64 3
		.amdhsa_dx10_clamp 1
		.amdhsa_ieee_mode 1
		.amdhsa_fp16_overflow 0
		.amdhsa_tg_split 0
		.amdhsa_exception_fp_ieee_invalid_op 0
		.amdhsa_exception_fp_denorm_src 0
		.amdhsa_exception_fp_ieee_div_zero 0
		.amdhsa_exception_fp_ieee_overflow 0
		.amdhsa_exception_fp_ieee_underflow 0
		.amdhsa_exception_fp_ieee_inexact 0
		.amdhsa_exception_int_div_zero 0
	.end_amdhsa_kernel
	.section	.text._ZN7rocprim17ROCPRIM_400000_NS6detail17trampoline_kernelINS0_14default_configENS1_38merge_sort_block_merge_config_selectorImNS0_10empty_typeEEEZZNS1_27merge_sort_block_merge_implIS3_PmPS5_jNS1_19radix_merge_compareILb0ELb1EmNS0_19identity_decomposerEEEEE10hipError_tT0_T1_T2_jT3_P12ihipStream_tbPNSt15iterator_traitsISE_E10value_typeEPNSK_ISF_E10value_typeEPSG_NS1_7vsmem_tEENKUlT_SE_SF_SG_E_clIS8_S8_S9_S9_EESD_ST_SE_SF_SG_EUlST_E_NS1_11comp_targetILNS1_3genE9ELNS1_11target_archE1100ELNS1_3gpuE3ELNS1_3repE0EEENS1_48merge_mergepath_partition_config_static_selectorELNS0_4arch9wavefront6targetE1EEEvSF_,"axG",@progbits,_ZN7rocprim17ROCPRIM_400000_NS6detail17trampoline_kernelINS0_14default_configENS1_38merge_sort_block_merge_config_selectorImNS0_10empty_typeEEEZZNS1_27merge_sort_block_merge_implIS3_PmPS5_jNS1_19radix_merge_compareILb0ELb1EmNS0_19identity_decomposerEEEEE10hipError_tT0_T1_T2_jT3_P12ihipStream_tbPNSt15iterator_traitsISE_E10value_typeEPNSK_ISF_E10value_typeEPSG_NS1_7vsmem_tEENKUlT_SE_SF_SG_E_clIS8_S8_S9_S9_EESD_ST_SE_SF_SG_EUlST_E_NS1_11comp_targetILNS1_3genE9ELNS1_11target_archE1100ELNS1_3gpuE3ELNS1_3repE0EEENS1_48merge_mergepath_partition_config_static_selectorELNS0_4arch9wavefront6targetE1EEEvSF_,comdat
.Lfunc_end944:
	.size	_ZN7rocprim17ROCPRIM_400000_NS6detail17trampoline_kernelINS0_14default_configENS1_38merge_sort_block_merge_config_selectorImNS0_10empty_typeEEEZZNS1_27merge_sort_block_merge_implIS3_PmPS5_jNS1_19radix_merge_compareILb0ELb1EmNS0_19identity_decomposerEEEEE10hipError_tT0_T1_T2_jT3_P12ihipStream_tbPNSt15iterator_traitsISE_E10value_typeEPNSK_ISF_E10value_typeEPSG_NS1_7vsmem_tEENKUlT_SE_SF_SG_E_clIS8_S8_S9_S9_EESD_ST_SE_SF_SG_EUlST_E_NS1_11comp_targetILNS1_3genE9ELNS1_11target_archE1100ELNS1_3gpuE3ELNS1_3repE0EEENS1_48merge_mergepath_partition_config_static_selectorELNS0_4arch9wavefront6targetE1EEEvSF_, .Lfunc_end944-_ZN7rocprim17ROCPRIM_400000_NS6detail17trampoline_kernelINS0_14default_configENS1_38merge_sort_block_merge_config_selectorImNS0_10empty_typeEEEZZNS1_27merge_sort_block_merge_implIS3_PmPS5_jNS1_19radix_merge_compareILb0ELb1EmNS0_19identity_decomposerEEEEE10hipError_tT0_T1_T2_jT3_P12ihipStream_tbPNSt15iterator_traitsISE_E10value_typeEPNSK_ISF_E10value_typeEPSG_NS1_7vsmem_tEENKUlT_SE_SF_SG_E_clIS8_S8_S9_S9_EESD_ST_SE_SF_SG_EUlST_E_NS1_11comp_targetILNS1_3genE9ELNS1_11target_archE1100ELNS1_3gpuE3ELNS1_3repE0EEENS1_48merge_mergepath_partition_config_static_selectorELNS0_4arch9wavefront6targetE1EEEvSF_
                                        ; -- End function
	.section	.AMDGPU.csdata,"",@progbits
; Kernel info:
; codeLenInByte = 0
; NumSgprs: 4
; NumVgprs: 0
; NumAgprs: 0
; TotalNumVgprs: 0
; ScratchSize: 0
; MemoryBound: 0
; FloatMode: 240
; IeeeMode: 1
; LDSByteSize: 0 bytes/workgroup (compile time only)
; SGPRBlocks: 0
; VGPRBlocks: 0
; NumSGPRsForWavesPerEU: 4
; NumVGPRsForWavesPerEU: 1
; AccumOffset: 4
; Occupancy: 8
; WaveLimiterHint : 0
; COMPUTE_PGM_RSRC2:SCRATCH_EN: 0
; COMPUTE_PGM_RSRC2:USER_SGPR: 6
; COMPUTE_PGM_RSRC2:TRAP_HANDLER: 0
; COMPUTE_PGM_RSRC2:TGID_X_EN: 1
; COMPUTE_PGM_RSRC2:TGID_Y_EN: 0
; COMPUTE_PGM_RSRC2:TGID_Z_EN: 0
; COMPUTE_PGM_RSRC2:TIDIG_COMP_CNT: 0
; COMPUTE_PGM_RSRC3_GFX90A:ACCUM_OFFSET: 0
; COMPUTE_PGM_RSRC3_GFX90A:TG_SPLIT: 0
	.section	.text._ZN7rocprim17ROCPRIM_400000_NS6detail17trampoline_kernelINS0_14default_configENS1_38merge_sort_block_merge_config_selectorImNS0_10empty_typeEEEZZNS1_27merge_sort_block_merge_implIS3_PmPS5_jNS1_19radix_merge_compareILb0ELb1EmNS0_19identity_decomposerEEEEE10hipError_tT0_T1_T2_jT3_P12ihipStream_tbPNSt15iterator_traitsISE_E10value_typeEPNSK_ISF_E10value_typeEPSG_NS1_7vsmem_tEENKUlT_SE_SF_SG_E_clIS8_S8_S9_S9_EESD_ST_SE_SF_SG_EUlST_E_NS1_11comp_targetILNS1_3genE8ELNS1_11target_archE1030ELNS1_3gpuE2ELNS1_3repE0EEENS1_48merge_mergepath_partition_config_static_selectorELNS0_4arch9wavefront6targetE1EEEvSF_,"axG",@progbits,_ZN7rocprim17ROCPRIM_400000_NS6detail17trampoline_kernelINS0_14default_configENS1_38merge_sort_block_merge_config_selectorImNS0_10empty_typeEEEZZNS1_27merge_sort_block_merge_implIS3_PmPS5_jNS1_19radix_merge_compareILb0ELb1EmNS0_19identity_decomposerEEEEE10hipError_tT0_T1_T2_jT3_P12ihipStream_tbPNSt15iterator_traitsISE_E10value_typeEPNSK_ISF_E10value_typeEPSG_NS1_7vsmem_tEENKUlT_SE_SF_SG_E_clIS8_S8_S9_S9_EESD_ST_SE_SF_SG_EUlST_E_NS1_11comp_targetILNS1_3genE8ELNS1_11target_archE1030ELNS1_3gpuE2ELNS1_3repE0EEENS1_48merge_mergepath_partition_config_static_selectorELNS0_4arch9wavefront6targetE1EEEvSF_,comdat
	.protected	_ZN7rocprim17ROCPRIM_400000_NS6detail17trampoline_kernelINS0_14default_configENS1_38merge_sort_block_merge_config_selectorImNS0_10empty_typeEEEZZNS1_27merge_sort_block_merge_implIS3_PmPS5_jNS1_19radix_merge_compareILb0ELb1EmNS0_19identity_decomposerEEEEE10hipError_tT0_T1_T2_jT3_P12ihipStream_tbPNSt15iterator_traitsISE_E10value_typeEPNSK_ISF_E10value_typeEPSG_NS1_7vsmem_tEENKUlT_SE_SF_SG_E_clIS8_S8_S9_S9_EESD_ST_SE_SF_SG_EUlST_E_NS1_11comp_targetILNS1_3genE8ELNS1_11target_archE1030ELNS1_3gpuE2ELNS1_3repE0EEENS1_48merge_mergepath_partition_config_static_selectorELNS0_4arch9wavefront6targetE1EEEvSF_ ; -- Begin function _ZN7rocprim17ROCPRIM_400000_NS6detail17trampoline_kernelINS0_14default_configENS1_38merge_sort_block_merge_config_selectorImNS0_10empty_typeEEEZZNS1_27merge_sort_block_merge_implIS3_PmPS5_jNS1_19radix_merge_compareILb0ELb1EmNS0_19identity_decomposerEEEEE10hipError_tT0_T1_T2_jT3_P12ihipStream_tbPNSt15iterator_traitsISE_E10value_typeEPNSK_ISF_E10value_typeEPSG_NS1_7vsmem_tEENKUlT_SE_SF_SG_E_clIS8_S8_S9_S9_EESD_ST_SE_SF_SG_EUlST_E_NS1_11comp_targetILNS1_3genE8ELNS1_11target_archE1030ELNS1_3gpuE2ELNS1_3repE0EEENS1_48merge_mergepath_partition_config_static_selectorELNS0_4arch9wavefront6targetE1EEEvSF_
	.globl	_ZN7rocprim17ROCPRIM_400000_NS6detail17trampoline_kernelINS0_14default_configENS1_38merge_sort_block_merge_config_selectorImNS0_10empty_typeEEEZZNS1_27merge_sort_block_merge_implIS3_PmPS5_jNS1_19radix_merge_compareILb0ELb1EmNS0_19identity_decomposerEEEEE10hipError_tT0_T1_T2_jT3_P12ihipStream_tbPNSt15iterator_traitsISE_E10value_typeEPNSK_ISF_E10value_typeEPSG_NS1_7vsmem_tEENKUlT_SE_SF_SG_E_clIS8_S8_S9_S9_EESD_ST_SE_SF_SG_EUlST_E_NS1_11comp_targetILNS1_3genE8ELNS1_11target_archE1030ELNS1_3gpuE2ELNS1_3repE0EEENS1_48merge_mergepath_partition_config_static_selectorELNS0_4arch9wavefront6targetE1EEEvSF_
	.p2align	8
	.type	_ZN7rocprim17ROCPRIM_400000_NS6detail17trampoline_kernelINS0_14default_configENS1_38merge_sort_block_merge_config_selectorImNS0_10empty_typeEEEZZNS1_27merge_sort_block_merge_implIS3_PmPS5_jNS1_19radix_merge_compareILb0ELb1EmNS0_19identity_decomposerEEEEE10hipError_tT0_T1_T2_jT3_P12ihipStream_tbPNSt15iterator_traitsISE_E10value_typeEPNSK_ISF_E10value_typeEPSG_NS1_7vsmem_tEENKUlT_SE_SF_SG_E_clIS8_S8_S9_S9_EESD_ST_SE_SF_SG_EUlST_E_NS1_11comp_targetILNS1_3genE8ELNS1_11target_archE1030ELNS1_3gpuE2ELNS1_3repE0EEENS1_48merge_mergepath_partition_config_static_selectorELNS0_4arch9wavefront6targetE1EEEvSF_,@function
_ZN7rocprim17ROCPRIM_400000_NS6detail17trampoline_kernelINS0_14default_configENS1_38merge_sort_block_merge_config_selectorImNS0_10empty_typeEEEZZNS1_27merge_sort_block_merge_implIS3_PmPS5_jNS1_19radix_merge_compareILb0ELb1EmNS0_19identity_decomposerEEEEE10hipError_tT0_T1_T2_jT3_P12ihipStream_tbPNSt15iterator_traitsISE_E10value_typeEPNSK_ISF_E10value_typeEPSG_NS1_7vsmem_tEENKUlT_SE_SF_SG_E_clIS8_S8_S9_S9_EESD_ST_SE_SF_SG_EUlST_E_NS1_11comp_targetILNS1_3genE8ELNS1_11target_archE1030ELNS1_3gpuE2ELNS1_3repE0EEENS1_48merge_mergepath_partition_config_static_selectorELNS0_4arch9wavefront6targetE1EEEvSF_: ; @_ZN7rocprim17ROCPRIM_400000_NS6detail17trampoline_kernelINS0_14default_configENS1_38merge_sort_block_merge_config_selectorImNS0_10empty_typeEEEZZNS1_27merge_sort_block_merge_implIS3_PmPS5_jNS1_19radix_merge_compareILb0ELb1EmNS0_19identity_decomposerEEEEE10hipError_tT0_T1_T2_jT3_P12ihipStream_tbPNSt15iterator_traitsISE_E10value_typeEPNSK_ISF_E10value_typeEPSG_NS1_7vsmem_tEENKUlT_SE_SF_SG_E_clIS8_S8_S9_S9_EESD_ST_SE_SF_SG_EUlST_E_NS1_11comp_targetILNS1_3genE8ELNS1_11target_archE1030ELNS1_3gpuE2ELNS1_3repE0EEENS1_48merge_mergepath_partition_config_static_selectorELNS0_4arch9wavefront6targetE1EEEvSF_
; %bb.0:
	.section	.rodata,"a",@progbits
	.p2align	6, 0x0
	.amdhsa_kernel _ZN7rocprim17ROCPRIM_400000_NS6detail17trampoline_kernelINS0_14default_configENS1_38merge_sort_block_merge_config_selectorImNS0_10empty_typeEEEZZNS1_27merge_sort_block_merge_implIS3_PmPS5_jNS1_19radix_merge_compareILb0ELb1EmNS0_19identity_decomposerEEEEE10hipError_tT0_T1_T2_jT3_P12ihipStream_tbPNSt15iterator_traitsISE_E10value_typeEPNSK_ISF_E10value_typeEPSG_NS1_7vsmem_tEENKUlT_SE_SF_SG_E_clIS8_S8_S9_S9_EESD_ST_SE_SF_SG_EUlST_E_NS1_11comp_targetILNS1_3genE8ELNS1_11target_archE1030ELNS1_3gpuE2ELNS1_3repE0EEENS1_48merge_mergepath_partition_config_static_selectorELNS0_4arch9wavefront6targetE1EEEvSF_
		.amdhsa_group_segment_fixed_size 0
		.amdhsa_private_segment_fixed_size 0
		.amdhsa_kernarg_size 40
		.amdhsa_user_sgpr_count 6
		.amdhsa_user_sgpr_private_segment_buffer 1
		.amdhsa_user_sgpr_dispatch_ptr 0
		.amdhsa_user_sgpr_queue_ptr 0
		.amdhsa_user_sgpr_kernarg_segment_ptr 1
		.amdhsa_user_sgpr_dispatch_id 0
		.amdhsa_user_sgpr_flat_scratch_init 0
		.amdhsa_user_sgpr_kernarg_preload_length 0
		.amdhsa_user_sgpr_kernarg_preload_offset 0
		.amdhsa_user_sgpr_private_segment_size 0
		.amdhsa_uses_dynamic_stack 0
		.amdhsa_system_sgpr_private_segment_wavefront_offset 0
		.amdhsa_system_sgpr_workgroup_id_x 1
		.amdhsa_system_sgpr_workgroup_id_y 0
		.amdhsa_system_sgpr_workgroup_id_z 0
		.amdhsa_system_sgpr_workgroup_info 0
		.amdhsa_system_vgpr_workitem_id 0
		.amdhsa_next_free_vgpr 1
		.amdhsa_next_free_sgpr 0
		.amdhsa_accum_offset 4
		.amdhsa_reserve_vcc 0
		.amdhsa_reserve_flat_scratch 0
		.amdhsa_float_round_mode_32 0
		.amdhsa_float_round_mode_16_64 0
		.amdhsa_float_denorm_mode_32 3
		.amdhsa_float_denorm_mode_16_64 3
		.amdhsa_dx10_clamp 1
		.amdhsa_ieee_mode 1
		.amdhsa_fp16_overflow 0
		.amdhsa_tg_split 0
		.amdhsa_exception_fp_ieee_invalid_op 0
		.amdhsa_exception_fp_denorm_src 0
		.amdhsa_exception_fp_ieee_div_zero 0
		.amdhsa_exception_fp_ieee_overflow 0
		.amdhsa_exception_fp_ieee_underflow 0
		.amdhsa_exception_fp_ieee_inexact 0
		.amdhsa_exception_int_div_zero 0
	.end_amdhsa_kernel
	.section	.text._ZN7rocprim17ROCPRIM_400000_NS6detail17trampoline_kernelINS0_14default_configENS1_38merge_sort_block_merge_config_selectorImNS0_10empty_typeEEEZZNS1_27merge_sort_block_merge_implIS3_PmPS5_jNS1_19radix_merge_compareILb0ELb1EmNS0_19identity_decomposerEEEEE10hipError_tT0_T1_T2_jT3_P12ihipStream_tbPNSt15iterator_traitsISE_E10value_typeEPNSK_ISF_E10value_typeEPSG_NS1_7vsmem_tEENKUlT_SE_SF_SG_E_clIS8_S8_S9_S9_EESD_ST_SE_SF_SG_EUlST_E_NS1_11comp_targetILNS1_3genE8ELNS1_11target_archE1030ELNS1_3gpuE2ELNS1_3repE0EEENS1_48merge_mergepath_partition_config_static_selectorELNS0_4arch9wavefront6targetE1EEEvSF_,"axG",@progbits,_ZN7rocprim17ROCPRIM_400000_NS6detail17trampoline_kernelINS0_14default_configENS1_38merge_sort_block_merge_config_selectorImNS0_10empty_typeEEEZZNS1_27merge_sort_block_merge_implIS3_PmPS5_jNS1_19radix_merge_compareILb0ELb1EmNS0_19identity_decomposerEEEEE10hipError_tT0_T1_T2_jT3_P12ihipStream_tbPNSt15iterator_traitsISE_E10value_typeEPNSK_ISF_E10value_typeEPSG_NS1_7vsmem_tEENKUlT_SE_SF_SG_E_clIS8_S8_S9_S9_EESD_ST_SE_SF_SG_EUlST_E_NS1_11comp_targetILNS1_3genE8ELNS1_11target_archE1030ELNS1_3gpuE2ELNS1_3repE0EEENS1_48merge_mergepath_partition_config_static_selectorELNS0_4arch9wavefront6targetE1EEEvSF_,comdat
.Lfunc_end945:
	.size	_ZN7rocprim17ROCPRIM_400000_NS6detail17trampoline_kernelINS0_14default_configENS1_38merge_sort_block_merge_config_selectorImNS0_10empty_typeEEEZZNS1_27merge_sort_block_merge_implIS3_PmPS5_jNS1_19radix_merge_compareILb0ELb1EmNS0_19identity_decomposerEEEEE10hipError_tT0_T1_T2_jT3_P12ihipStream_tbPNSt15iterator_traitsISE_E10value_typeEPNSK_ISF_E10value_typeEPSG_NS1_7vsmem_tEENKUlT_SE_SF_SG_E_clIS8_S8_S9_S9_EESD_ST_SE_SF_SG_EUlST_E_NS1_11comp_targetILNS1_3genE8ELNS1_11target_archE1030ELNS1_3gpuE2ELNS1_3repE0EEENS1_48merge_mergepath_partition_config_static_selectorELNS0_4arch9wavefront6targetE1EEEvSF_, .Lfunc_end945-_ZN7rocprim17ROCPRIM_400000_NS6detail17trampoline_kernelINS0_14default_configENS1_38merge_sort_block_merge_config_selectorImNS0_10empty_typeEEEZZNS1_27merge_sort_block_merge_implIS3_PmPS5_jNS1_19radix_merge_compareILb0ELb1EmNS0_19identity_decomposerEEEEE10hipError_tT0_T1_T2_jT3_P12ihipStream_tbPNSt15iterator_traitsISE_E10value_typeEPNSK_ISF_E10value_typeEPSG_NS1_7vsmem_tEENKUlT_SE_SF_SG_E_clIS8_S8_S9_S9_EESD_ST_SE_SF_SG_EUlST_E_NS1_11comp_targetILNS1_3genE8ELNS1_11target_archE1030ELNS1_3gpuE2ELNS1_3repE0EEENS1_48merge_mergepath_partition_config_static_selectorELNS0_4arch9wavefront6targetE1EEEvSF_
                                        ; -- End function
	.section	.AMDGPU.csdata,"",@progbits
; Kernel info:
; codeLenInByte = 0
; NumSgprs: 4
; NumVgprs: 0
; NumAgprs: 0
; TotalNumVgprs: 0
; ScratchSize: 0
; MemoryBound: 0
; FloatMode: 240
; IeeeMode: 1
; LDSByteSize: 0 bytes/workgroup (compile time only)
; SGPRBlocks: 0
; VGPRBlocks: 0
; NumSGPRsForWavesPerEU: 4
; NumVGPRsForWavesPerEU: 1
; AccumOffset: 4
; Occupancy: 8
; WaveLimiterHint : 0
; COMPUTE_PGM_RSRC2:SCRATCH_EN: 0
; COMPUTE_PGM_RSRC2:USER_SGPR: 6
; COMPUTE_PGM_RSRC2:TRAP_HANDLER: 0
; COMPUTE_PGM_RSRC2:TGID_X_EN: 1
; COMPUTE_PGM_RSRC2:TGID_Y_EN: 0
; COMPUTE_PGM_RSRC2:TGID_Z_EN: 0
; COMPUTE_PGM_RSRC2:TIDIG_COMP_CNT: 0
; COMPUTE_PGM_RSRC3_GFX90A:ACCUM_OFFSET: 0
; COMPUTE_PGM_RSRC3_GFX90A:TG_SPLIT: 0
	.section	.text._ZN7rocprim17ROCPRIM_400000_NS6detail17trampoline_kernelINS0_14default_configENS1_38merge_sort_block_merge_config_selectorImNS0_10empty_typeEEEZZNS1_27merge_sort_block_merge_implIS3_PmPS5_jNS1_19radix_merge_compareILb0ELb1EmNS0_19identity_decomposerEEEEE10hipError_tT0_T1_T2_jT3_P12ihipStream_tbPNSt15iterator_traitsISE_E10value_typeEPNSK_ISF_E10value_typeEPSG_NS1_7vsmem_tEENKUlT_SE_SF_SG_E_clIS8_S8_S9_S9_EESD_ST_SE_SF_SG_EUlST_E0_NS1_11comp_targetILNS1_3genE0ELNS1_11target_archE4294967295ELNS1_3gpuE0ELNS1_3repE0EEENS1_38merge_mergepath_config_static_selectorELNS0_4arch9wavefront6targetE1EEEvSF_,"axG",@progbits,_ZN7rocprim17ROCPRIM_400000_NS6detail17trampoline_kernelINS0_14default_configENS1_38merge_sort_block_merge_config_selectorImNS0_10empty_typeEEEZZNS1_27merge_sort_block_merge_implIS3_PmPS5_jNS1_19radix_merge_compareILb0ELb1EmNS0_19identity_decomposerEEEEE10hipError_tT0_T1_T2_jT3_P12ihipStream_tbPNSt15iterator_traitsISE_E10value_typeEPNSK_ISF_E10value_typeEPSG_NS1_7vsmem_tEENKUlT_SE_SF_SG_E_clIS8_S8_S9_S9_EESD_ST_SE_SF_SG_EUlST_E0_NS1_11comp_targetILNS1_3genE0ELNS1_11target_archE4294967295ELNS1_3gpuE0ELNS1_3repE0EEENS1_38merge_mergepath_config_static_selectorELNS0_4arch9wavefront6targetE1EEEvSF_,comdat
	.protected	_ZN7rocprim17ROCPRIM_400000_NS6detail17trampoline_kernelINS0_14default_configENS1_38merge_sort_block_merge_config_selectorImNS0_10empty_typeEEEZZNS1_27merge_sort_block_merge_implIS3_PmPS5_jNS1_19radix_merge_compareILb0ELb1EmNS0_19identity_decomposerEEEEE10hipError_tT0_T1_T2_jT3_P12ihipStream_tbPNSt15iterator_traitsISE_E10value_typeEPNSK_ISF_E10value_typeEPSG_NS1_7vsmem_tEENKUlT_SE_SF_SG_E_clIS8_S8_S9_S9_EESD_ST_SE_SF_SG_EUlST_E0_NS1_11comp_targetILNS1_3genE0ELNS1_11target_archE4294967295ELNS1_3gpuE0ELNS1_3repE0EEENS1_38merge_mergepath_config_static_selectorELNS0_4arch9wavefront6targetE1EEEvSF_ ; -- Begin function _ZN7rocprim17ROCPRIM_400000_NS6detail17trampoline_kernelINS0_14default_configENS1_38merge_sort_block_merge_config_selectorImNS0_10empty_typeEEEZZNS1_27merge_sort_block_merge_implIS3_PmPS5_jNS1_19radix_merge_compareILb0ELb1EmNS0_19identity_decomposerEEEEE10hipError_tT0_T1_T2_jT3_P12ihipStream_tbPNSt15iterator_traitsISE_E10value_typeEPNSK_ISF_E10value_typeEPSG_NS1_7vsmem_tEENKUlT_SE_SF_SG_E_clIS8_S8_S9_S9_EESD_ST_SE_SF_SG_EUlST_E0_NS1_11comp_targetILNS1_3genE0ELNS1_11target_archE4294967295ELNS1_3gpuE0ELNS1_3repE0EEENS1_38merge_mergepath_config_static_selectorELNS0_4arch9wavefront6targetE1EEEvSF_
	.globl	_ZN7rocprim17ROCPRIM_400000_NS6detail17trampoline_kernelINS0_14default_configENS1_38merge_sort_block_merge_config_selectorImNS0_10empty_typeEEEZZNS1_27merge_sort_block_merge_implIS3_PmPS5_jNS1_19radix_merge_compareILb0ELb1EmNS0_19identity_decomposerEEEEE10hipError_tT0_T1_T2_jT3_P12ihipStream_tbPNSt15iterator_traitsISE_E10value_typeEPNSK_ISF_E10value_typeEPSG_NS1_7vsmem_tEENKUlT_SE_SF_SG_E_clIS8_S8_S9_S9_EESD_ST_SE_SF_SG_EUlST_E0_NS1_11comp_targetILNS1_3genE0ELNS1_11target_archE4294967295ELNS1_3gpuE0ELNS1_3repE0EEENS1_38merge_mergepath_config_static_selectorELNS0_4arch9wavefront6targetE1EEEvSF_
	.p2align	8
	.type	_ZN7rocprim17ROCPRIM_400000_NS6detail17trampoline_kernelINS0_14default_configENS1_38merge_sort_block_merge_config_selectorImNS0_10empty_typeEEEZZNS1_27merge_sort_block_merge_implIS3_PmPS5_jNS1_19radix_merge_compareILb0ELb1EmNS0_19identity_decomposerEEEEE10hipError_tT0_T1_T2_jT3_P12ihipStream_tbPNSt15iterator_traitsISE_E10value_typeEPNSK_ISF_E10value_typeEPSG_NS1_7vsmem_tEENKUlT_SE_SF_SG_E_clIS8_S8_S9_S9_EESD_ST_SE_SF_SG_EUlST_E0_NS1_11comp_targetILNS1_3genE0ELNS1_11target_archE4294967295ELNS1_3gpuE0ELNS1_3repE0EEENS1_38merge_mergepath_config_static_selectorELNS0_4arch9wavefront6targetE1EEEvSF_,@function
_ZN7rocprim17ROCPRIM_400000_NS6detail17trampoline_kernelINS0_14default_configENS1_38merge_sort_block_merge_config_selectorImNS0_10empty_typeEEEZZNS1_27merge_sort_block_merge_implIS3_PmPS5_jNS1_19radix_merge_compareILb0ELb1EmNS0_19identity_decomposerEEEEE10hipError_tT0_T1_T2_jT3_P12ihipStream_tbPNSt15iterator_traitsISE_E10value_typeEPNSK_ISF_E10value_typeEPSG_NS1_7vsmem_tEENKUlT_SE_SF_SG_E_clIS8_S8_S9_S9_EESD_ST_SE_SF_SG_EUlST_E0_NS1_11comp_targetILNS1_3genE0ELNS1_11target_archE4294967295ELNS1_3gpuE0ELNS1_3repE0EEENS1_38merge_mergepath_config_static_selectorELNS0_4arch9wavefront6targetE1EEEvSF_: ; @_ZN7rocprim17ROCPRIM_400000_NS6detail17trampoline_kernelINS0_14default_configENS1_38merge_sort_block_merge_config_selectorImNS0_10empty_typeEEEZZNS1_27merge_sort_block_merge_implIS3_PmPS5_jNS1_19radix_merge_compareILb0ELb1EmNS0_19identity_decomposerEEEEE10hipError_tT0_T1_T2_jT3_P12ihipStream_tbPNSt15iterator_traitsISE_E10value_typeEPNSK_ISF_E10value_typeEPSG_NS1_7vsmem_tEENKUlT_SE_SF_SG_E_clIS8_S8_S9_S9_EESD_ST_SE_SF_SG_EUlST_E0_NS1_11comp_targetILNS1_3genE0ELNS1_11target_archE4294967295ELNS1_3gpuE0ELNS1_3repE0EEENS1_38merge_mergepath_config_static_selectorELNS0_4arch9wavefront6targetE1EEEvSF_
; %bb.0:
	.section	.rodata,"a",@progbits
	.p2align	6, 0x0
	.amdhsa_kernel _ZN7rocprim17ROCPRIM_400000_NS6detail17trampoline_kernelINS0_14default_configENS1_38merge_sort_block_merge_config_selectorImNS0_10empty_typeEEEZZNS1_27merge_sort_block_merge_implIS3_PmPS5_jNS1_19radix_merge_compareILb0ELb1EmNS0_19identity_decomposerEEEEE10hipError_tT0_T1_T2_jT3_P12ihipStream_tbPNSt15iterator_traitsISE_E10value_typeEPNSK_ISF_E10value_typeEPSG_NS1_7vsmem_tEENKUlT_SE_SF_SG_E_clIS8_S8_S9_S9_EESD_ST_SE_SF_SG_EUlST_E0_NS1_11comp_targetILNS1_3genE0ELNS1_11target_archE4294967295ELNS1_3gpuE0ELNS1_3repE0EEENS1_38merge_mergepath_config_static_selectorELNS0_4arch9wavefront6targetE1EEEvSF_
		.amdhsa_group_segment_fixed_size 0
		.amdhsa_private_segment_fixed_size 0
		.amdhsa_kernarg_size 72
		.amdhsa_user_sgpr_count 6
		.amdhsa_user_sgpr_private_segment_buffer 1
		.amdhsa_user_sgpr_dispatch_ptr 0
		.amdhsa_user_sgpr_queue_ptr 0
		.amdhsa_user_sgpr_kernarg_segment_ptr 1
		.amdhsa_user_sgpr_dispatch_id 0
		.amdhsa_user_sgpr_flat_scratch_init 0
		.amdhsa_user_sgpr_kernarg_preload_length 0
		.amdhsa_user_sgpr_kernarg_preload_offset 0
		.amdhsa_user_sgpr_private_segment_size 0
		.amdhsa_uses_dynamic_stack 0
		.amdhsa_system_sgpr_private_segment_wavefront_offset 0
		.amdhsa_system_sgpr_workgroup_id_x 1
		.amdhsa_system_sgpr_workgroup_id_y 0
		.amdhsa_system_sgpr_workgroup_id_z 0
		.amdhsa_system_sgpr_workgroup_info 0
		.amdhsa_system_vgpr_workitem_id 0
		.amdhsa_next_free_vgpr 1
		.amdhsa_next_free_sgpr 0
		.amdhsa_accum_offset 4
		.amdhsa_reserve_vcc 0
		.amdhsa_reserve_flat_scratch 0
		.amdhsa_float_round_mode_32 0
		.amdhsa_float_round_mode_16_64 0
		.amdhsa_float_denorm_mode_32 3
		.amdhsa_float_denorm_mode_16_64 3
		.amdhsa_dx10_clamp 1
		.amdhsa_ieee_mode 1
		.amdhsa_fp16_overflow 0
		.amdhsa_tg_split 0
		.amdhsa_exception_fp_ieee_invalid_op 0
		.amdhsa_exception_fp_denorm_src 0
		.amdhsa_exception_fp_ieee_div_zero 0
		.amdhsa_exception_fp_ieee_overflow 0
		.amdhsa_exception_fp_ieee_underflow 0
		.amdhsa_exception_fp_ieee_inexact 0
		.amdhsa_exception_int_div_zero 0
	.end_amdhsa_kernel
	.section	.text._ZN7rocprim17ROCPRIM_400000_NS6detail17trampoline_kernelINS0_14default_configENS1_38merge_sort_block_merge_config_selectorImNS0_10empty_typeEEEZZNS1_27merge_sort_block_merge_implIS3_PmPS5_jNS1_19radix_merge_compareILb0ELb1EmNS0_19identity_decomposerEEEEE10hipError_tT0_T1_T2_jT3_P12ihipStream_tbPNSt15iterator_traitsISE_E10value_typeEPNSK_ISF_E10value_typeEPSG_NS1_7vsmem_tEENKUlT_SE_SF_SG_E_clIS8_S8_S9_S9_EESD_ST_SE_SF_SG_EUlST_E0_NS1_11comp_targetILNS1_3genE0ELNS1_11target_archE4294967295ELNS1_3gpuE0ELNS1_3repE0EEENS1_38merge_mergepath_config_static_selectorELNS0_4arch9wavefront6targetE1EEEvSF_,"axG",@progbits,_ZN7rocprim17ROCPRIM_400000_NS6detail17trampoline_kernelINS0_14default_configENS1_38merge_sort_block_merge_config_selectorImNS0_10empty_typeEEEZZNS1_27merge_sort_block_merge_implIS3_PmPS5_jNS1_19radix_merge_compareILb0ELb1EmNS0_19identity_decomposerEEEEE10hipError_tT0_T1_T2_jT3_P12ihipStream_tbPNSt15iterator_traitsISE_E10value_typeEPNSK_ISF_E10value_typeEPSG_NS1_7vsmem_tEENKUlT_SE_SF_SG_E_clIS8_S8_S9_S9_EESD_ST_SE_SF_SG_EUlST_E0_NS1_11comp_targetILNS1_3genE0ELNS1_11target_archE4294967295ELNS1_3gpuE0ELNS1_3repE0EEENS1_38merge_mergepath_config_static_selectorELNS0_4arch9wavefront6targetE1EEEvSF_,comdat
.Lfunc_end946:
	.size	_ZN7rocprim17ROCPRIM_400000_NS6detail17trampoline_kernelINS0_14default_configENS1_38merge_sort_block_merge_config_selectorImNS0_10empty_typeEEEZZNS1_27merge_sort_block_merge_implIS3_PmPS5_jNS1_19radix_merge_compareILb0ELb1EmNS0_19identity_decomposerEEEEE10hipError_tT0_T1_T2_jT3_P12ihipStream_tbPNSt15iterator_traitsISE_E10value_typeEPNSK_ISF_E10value_typeEPSG_NS1_7vsmem_tEENKUlT_SE_SF_SG_E_clIS8_S8_S9_S9_EESD_ST_SE_SF_SG_EUlST_E0_NS1_11comp_targetILNS1_3genE0ELNS1_11target_archE4294967295ELNS1_3gpuE0ELNS1_3repE0EEENS1_38merge_mergepath_config_static_selectorELNS0_4arch9wavefront6targetE1EEEvSF_, .Lfunc_end946-_ZN7rocprim17ROCPRIM_400000_NS6detail17trampoline_kernelINS0_14default_configENS1_38merge_sort_block_merge_config_selectorImNS0_10empty_typeEEEZZNS1_27merge_sort_block_merge_implIS3_PmPS5_jNS1_19radix_merge_compareILb0ELb1EmNS0_19identity_decomposerEEEEE10hipError_tT0_T1_T2_jT3_P12ihipStream_tbPNSt15iterator_traitsISE_E10value_typeEPNSK_ISF_E10value_typeEPSG_NS1_7vsmem_tEENKUlT_SE_SF_SG_E_clIS8_S8_S9_S9_EESD_ST_SE_SF_SG_EUlST_E0_NS1_11comp_targetILNS1_3genE0ELNS1_11target_archE4294967295ELNS1_3gpuE0ELNS1_3repE0EEENS1_38merge_mergepath_config_static_selectorELNS0_4arch9wavefront6targetE1EEEvSF_
                                        ; -- End function
	.section	.AMDGPU.csdata,"",@progbits
; Kernel info:
; codeLenInByte = 0
; NumSgprs: 4
; NumVgprs: 0
; NumAgprs: 0
; TotalNumVgprs: 0
; ScratchSize: 0
; MemoryBound: 0
; FloatMode: 240
; IeeeMode: 1
; LDSByteSize: 0 bytes/workgroup (compile time only)
; SGPRBlocks: 0
; VGPRBlocks: 0
; NumSGPRsForWavesPerEU: 4
; NumVGPRsForWavesPerEU: 1
; AccumOffset: 4
; Occupancy: 8
; WaveLimiterHint : 0
; COMPUTE_PGM_RSRC2:SCRATCH_EN: 0
; COMPUTE_PGM_RSRC2:USER_SGPR: 6
; COMPUTE_PGM_RSRC2:TRAP_HANDLER: 0
; COMPUTE_PGM_RSRC2:TGID_X_EN: 1
; COMPUTE_PGM_RSRC2:TGID_Y_EN: 0
; COMPUTE_PGM_RSRC2:TGID_Z_EN: 0
; COMPUTE_PGM_RSRC2:TIDIG_COMP_CNT: 0
; COMPUTE_PGM_RSRC3_GFX90A:ACCUM_OFFSET: 0
; COMPUTE_PGM_RSRC3_GFX90A:TG_SPLIT: 0
	.section	.text._ZN7rocprim17ROCPRIM_400000_NS6detail17trampoline_kernelINS0_14default_configENS1_38merge_sort_block_merge_config_selectorImNS0_10empty_typeEEEZZNS1_27merge_sort_block_merge_implIS3_PmPS5_jNS1_19radix_merge_compareILb0ELb1EmNS0_19identity_decomposerEEEEE10hipError_tT0_T1_T2_jT3_P12ihipStream_tbPNSt15iterator_traitsISE_E10value_typeEPNSK_ISF_E10value_typeEPSG_NS1_7vsmem_tEENKUlT_SE_SF_SG_E_clIS8_S8_S9_S9_EESD_ST_SE_SF_SG_EUlST_E0_NS1_11comp_targetILNS1_3genE10ELNS1_11target_archE1201ELNS1_3gpuE5ELNS1_3repE0EEENS1_38merge_mergepath_config_static_selectorELNS0_4arch9wavefront6targetE1EEEvSF_,"axG",@progbits,_ZN7rocprim17ROCPRIM_400000_NS6detail17trampoline_kernelINS0_14default_configENS1_38merge_sort_block_merge_config_selectorImNS0_10empty_typeEEEZZNS1_27merge_sort_block_merge_implIS3_PmPS5_jNS1_19radix_merge_compareILb0ELb1EmNS0_19identity_decomposerEEEEE10hipError_tT0_T1_T2_jT3_P12ihipStream_tbPNSt15iterator_traitsISE_E10value_typeEPNSK_ISF_E10value_typeEPSG_NS1_7vsmem_tEENKUlT_SE_SF_SG_E_clIS8_S8_S9_S9_EESD_ST_SE_SF_SG_EUlST_E0_NS1_11comp_targetILNS1_3genE10ELNS1_11target_archE1201ELNS1_3gpuE5ELNS1_3repE0EEENS1_38merge_mergepath_config_static_selectorELNS0_4arch9wavefront6targetE1EEEvSF_,comdat
	.protected	_ZN7rocprim17ROCPRIM_400000_NS6detail17trampoline_kernelINS0_14default_configENS1_38merge_sort_block_merge_config_selectorImNS0_10empty_typeEEEZZNS1_27merge_sort_block_merge_implIS3_PmPS5_jNS1_19radix_merge_compareILb0ELb1EmNS0_19identity_decomposerEEEEE10hipError_tT0_T1_T2_jT3_P12ihipStream_tbPNSt15iterator_traitsISE_E10value_typeEPNSK_ISF_E10value_typeEPSG_NS1_7vsmem_tEENKUlT_SE_SF_SG_E_clIS8_S8_S9_S9_EESD_ST_SE_SF_SG_EUlST_E0_NS1_11comp_targetILNS1_3genE10ELNS1_11target_archE1201ELNS1_3gpuE5ELNS1_3repE0EEENS1_38merge_mergepath_config_static_selectorELNS0_4arch9wavefront6targetE1EEEvSF_ ; -- Begin function _ZN7rocprim17ROCPRIM_400000_NS6detail17trampoline_kernelINS0_14default_configENS1_38merge_sort_block_merge_config_selectorImNS0_10empty_typeEEEZZNS1_27merge_sort_block_merge_implIS3_PmPS5_jNS1_19radix_merge_compareILb0ELb1EmNS0_19identity_decomposerEEEEE10hipError_tT0_T1_T2_jT3_P12ihipStream_tbPNSt15iterator_traitsISE_E10value_typeEPNSK_ISF_E10value_typeEPSG_NS1_7vsmem_tEENKUlT_SE_SF_SG_E_clIS8_S8_S9_S9_EESD_ST_SE_SF_SG_EUlST_E0_NS1_11comp_targetILNS1_3genE10ELNS1_11target_archE1201ELNS1_3gpuE5ELNS1_3repE0EEENS1_38merge_mergepath_config_static_selectorELNS0_4arch9wavefront6targetE1EEEvSF_
	.globl	_ZN7rocprim17ROCPRIM_400000_NS6detail17trampoline_kernelINS0_14default_configENS1_38merge_sort_block_merge_config_selectorImNS0_10empty_typeEEEZZNS1_27merge_sort_block_merge_implIS3_PmPS5_jNS1_19radix_merge_compareILb0ELb1EmNS0_19identity_decomposerEEEEE10hipError_tT0_T1_T2_jT3_P12ihipStream_tbPNSt15iterator_traitsISE_E10value_typeEPNSK_ISF_E10value_typeEPSG_NS1_7vsmem_tEENKUlT_SE_SF_SG_E_clIS8_S8_S9_S9_EESD_ST_SE_SF_SG_EUlST_E0_NS1_11comp_targetILNS1_3genE10ELNS1_11target_archE1201ELNS1_3gpuE5ELNS1_3repE0EEENS1_38merge_mergepath_config_static_selectorELNS0_4arch9wavefront6targetE1EEEvSF_
	.p2align	8
	.type	_ZN7rocprim17ROCPRIM_400000_NS6detail17trampoline_kernelINS0_14default_configENS1_38merge_sort_block_merge_config_selectorImNS0_10empty_typeEEEZZNS1_27merge_sort_block_merge_implIS3_PmPS5_jNS1_19radix_merge_compareILb0ELb1EmNS0_19identity_decomposerEEEEE10hipError_tT0_T1_T2_jT3_P12ihipStream_tbPNSt15iterator_traitsISE_E10value_typeEPNSK_ISF_E10value_typeEPSG_NS1_7vsmem_tEENKUlT_SE_SF_SG_E_clIS8_S8_S9_S9_EESD_ST_SE_SF_SG_EUlST_E0_NS1_11comp_targetILNS1_3genE10ELNS1_11target_archE1201ELNS1_3gpuE5ELNS1_3repE0EEENS1_38merge_mergepath_config_static_selectorELNS0_4arch9wavefront6targetE1EEEvSF_,@function
_ZN7rocprim17ROCPRIM_400000_NS6detail17trampoline_kernelINS0_14default_configENS1_38merge_sort_block_merge_config_selectorImNS0_10empty_typeEEEZZNS1_27merge_sort_block_merge_implIS3_PmPS5_jNS1_19radix_merge_compareILb0ELb1EmNS0_19identity_decomposerEEEEE10hipError_tT0_T1_T2_jT3_P12ihipStream_tbPNSt15iterator_traitsISE_E10value_typeEPNSK_ISF_E10value_typeEPSG_NS1_7vsmem_tEENKUlT_SE_SF_SG_E_clIS8_S8_S9_S9_EESD_ST_SE_SF_SG_EUlST_E0_NS1_11comp_targetILNS1_3genE10ELNS1_11target_archE1201ELNS1_3gpuE5ELNS1_3repE0EEENS1_38merge_mergepath_config_static_selectorELNS0_4arch9wavefront6targetE1EEEvSF_: ; @_ZN7rocprim17ROCPRIM_400000_NS6detail17trampoline_kernelINS0_14default_configENS1_38merge_sort_block_merge_config_selectorImNS0_10empty_typeEEEZZNS1_27merge_sort_block_merge_implIS3_PmPS5_jNS1_19radix_merge_compareILb0ELb1EmNS0_19identity_decomposerEEEEE10hipError_tT0_T1_T2_jT3_P12ihipStream_tbPNSt15iterator_traitsISE_E10value_typeEPNSK_ISF_E10value_typeEPSG_NS1_7vsmem_tEENKUlT_SE_SF_SG_E_clIS8_S8_S9_S9_EESD_ST_SE_SF_SG_EUlST_E0_NS1_11comp_targetILNS1_3genE10ELNS1_11target_archE1201ELNS1_3gpuE5ELNS1_3repE0EEENS1_38merge_mergepath_config_static_selectorELNS0_4arch9wavefront6targetE1EEEvSF_
; %bb.0:
	.section	.rodata,"a",@progbits
	.p2align	6, 0x0
	.amdhsa_kernel _ZN7rocprim17ROCPRIM_400000_NS6detail17trampoline_kernelINS0_14default_configENS1_38merge_sort_block_merge_config_selectorImNS0_10empty_typeEEEZZNS1_27merge_sort_block_merge_implIS3_PmPS5_jNS1_19radix_merge_compareILb0ELb1EmNS0_19identity_decomposerEEEEE10hipError_tT0_T1_T2_jT3_P12ihipStream_tbPNSt15iterator_traitsISE_E10value_typeEPNSK_ISF_E10value_typeEPSG_NS1_7vsmem_tEENKUlT_SE_SF_SG_E_clIS8_S8_S9_S9_EESD_ST_SE_SF_SG_EUlST_E0_NS1_11comp_targetILNS1_3genE10ELNS1_11target_archE1201ELNS1_3gpuE5ELNS1_3repE0EEENS1_38merge_mergepath_config_static_selectorELNS0_4arch9wavefront6targetE1EEEvSF_
		.amdhsa_group_segment_fixed_size 0
		.amdhsa_private_segment_fixed_size 0
		.amdhsa_kernarg_size 72
		.amdhsa_user_sgpr_count 6
		.amdhsa_user_sgpr_private_segment_buffer 1
		.amdhsa_user_sgpr_dispatch_ptr 0
		.amdhsa_user_sgpr_queue_ptr 0
		.amdhsa_user_sgpr_kernarg_segment_ptr 1
		.amdhsa_user_sgpr_dispatch_id 0
		.amdhsa_user_sgpr_flat_scratch_init 0
		.amdhsa_user_sgpr_kernarg_preload_length 0
		.amdhsa_user_sgpr_kernarg_preload_offset 0
		.amdhsa_user_sgpr_private_segment_size 0
		.amdhsa_uses_dynamic_stack 0
		.amdhsa_system_sgpr_private_segment_wavefront_offset 0
		.amdhsa_system_sgpr_workgroup_id_x 1
		.amdhsa_system_sgpr_workgroup_id_y 0
		.amdhsa_system_sgpr_workgroup_id_z 0
		.amdhsa_system_sgpr_workgroup_info 0
		.amdhsa_system_vgpr_workitem_id 0
		.amdhsa_next_free_vgpr 1
		.amdhsa_next_free_sgpr 0
		.amdhsa_accum_offset 4
		.amdhsa_reserve_vcc 0
		.amdhsa_reserve_flat_scratch 0
		.amdhsa_float_round_mode_32 0
		.amdhsa_float_round_mode_16_64 0
		.amdhsa_float_denorm_mode_32 3
		.amdhsa_float_denorm_mode_16_64 3
		.amdhsa_dx10_clamp 1
		.amdhsa_ieee_mode 1
		.amdhsa_fp16_overflow 0
		.amdhsa_tg_split 0
		.amdhsa_exception_fp_ieee_invalid_op 0
		.amdhsa_exception_fp_denorm_src 0
		.amdhsa_exception_fp_ieee_div_zero 0
		.amdhsa_exception_fp_ieee_overflow 0
		.amdhsa_exception_fp_ieee_underflow 0
		.amdhsa_exception_fp_ieee_inexact 0
		.amdhsa_exception_int_div_zero 0
	.end_amdhsa_kernel
	.section	.text._ZN7rocprim17ROCPRIM_400000_NS6detail17trampoline_kernelINS0_14default_configENS1_38merge_sort_block_merge_config_selectorImNS0_10empty_typeEEEZZNS1_27merge_sort_block_merge_implIS3_PmPS5_jNS1_19radix_merge_compareILb0ELb1EmNS0_19identity_decomposerEEEEE10hipError_tT0_T1_T2_jT3_P12ihipStream_tbPNSt15iterator_traitsISE_E10value_typeEPNSK_ISF_E10value_typeEPSG_NS1_7vsmem_tEENKUlT_SE_SF_SG_E_clIS8_S8_S9_S9_EESD_ST_SE_SF_SG_EUlST_E0_NS1_11comp_targetILNS1_3genE10ELNS1_11target_archE1201ELNS1_3gpuE5ELNS1_3repE0EEENS1_38merge_mergepath_config_static_selectorELNS0_4arch9wavefront6targetE1EEEvSF_,"axG",@progbits,_ZN7rocprim17ROCPRIM_400000_NS6detail17trampoline_kernelINS0_14default_configENS1_38merge_sort_block_merge_config_selectorImNS0_10empty_typeEEEZZNS1_27merge_sort_block_merge_implIS3_PmPS5_jNS1_19radix_merge_compareILb0ELb1EmNS0_19identity_decomposerEEEEE10hipError_tT0_T1_T2_jT3_P12ihipStream_tbPNSt15iterator_traitsISE_E10value_typeEPNSK_ISF_E10value_typeEPSG_NS1_7vsmem_tEENKUlT_SE_SF_SG_E_clIS8_S8_S9_S9_EESD_ST_SE_SF_SG_EUlST_E0_NS1_11comp_targetILNS1_3genE10ELNS1_11target_archE1201ELNS1_3gpuE5ELNS1_3repE0EEENS1_38merge_mergepath_config_static_selectorELNS0_4arch9wavefront6targetE1EEEvSF_,comdat
.Lfunc_end947:
	.size	_ZN7rocprim17ROCPRIM_400000_NS6detail17trampoline_kernelINS0_14default_configENS1_38merge_sort_block_merge_config_selectorImNS0_10empty_typeEEEZZNS1_27merge_sort_block_merge_implIS3_PmPS5_jNS1_19radix_merge_compareILb0ELb1EmNS0_19identity_decomposerEEEEE10hipError_tT0_T1_T2_jT3_P12ihipStream_tbPNSt15iterator_traitsISE_E10value_typeEPNSK_ISF_E10value_typeEPSG_NS1_7vsmem_tEENKUlT_SE_SF_SG_E_clIS8_S8_S9_S9_EESD_ST_SE_SF_SG_EUlST_E0_NS1_11comp_targetILNS1_3genE10ELNS1_11target_archE1201ELNS1_3gpuE5ELNS1_3repE0EEENS1_38merge_mergepath_config_static_selectorELNS0_4arch9wavefront6targetE1EEEvSF_, .Lfunc_end947-_ZN7rocprim17ROCPRIM_400000_NS6detail17trampoline_kernelINS0_14default_configENS1_38merge_sort_block_merge_config_selectorImNS0_10empty_typeEEEZZNS1_27merge_sort_block_merge_implIS3_PmPS5_jNS1_19radix_merge_compareILb0ELb1EmNS0_19identity_decomposerEEEEE10hipError_tT0_T1_T2_jT3_P12ihipStream_tbPNSt15iterator_traitsISE_E10value_typeEPNSK_ISF_E10value_typeEPSG_NS1_7vsmem_tEENKUlT_SE_SF_SG_E_clIS8_S8_S9_S9_EESD_ST_SE_SF_SG_EUlST_E0_NS1_11comp_targetILNS1_3genE10ELNS1_11target_archE1201ELNS1_3gpuE5ELNS1_3repE0EEENS1_38merge_mergepath_config_static_selectorELNS0_4arch9wavefront6targetE1EEEvSF_
                                        ; -- End function
	.section	.AMDGPU.csdata,"",@progbits
; Kernel info:
; codeLenInByte = 0
; NumSgprs: 4
; NumVgprs: 0
; NumAgprs: 0
; TotalNumVgprs: 0
; ScratchSize: 0
; MemoryBound: 0
; FloatMode: 240
; IeeeMode: 1
; LDSByteSize: 0 bytes/workgroup (compile time only)
; SGPRBlocks: 0
; VGPRBlocks: 0
; NumSGPRsForWavesPerEU: 4
; NumVGPRsForWavesPerEU: 1
; AccumOffset: 4
; Occupancy: 8
; WaveLimiterHint : 0
; COMPUTE_PGM_RSRC2:SCRATCH_EN: 0
; COMPUTE_PGM_RSRC2:USER_SGPR: 6
; COMPUTE_PGM_RSRC2:TRAP_HANDLER: 0
; COMPUTE_PGM_RSRC2:TGID_X_EN: 1
; COMPUTE_PGM_RSRC2:TGID_Y_EN: 0
; COMPUTE_PGM_RSRC2:TGID_Z_EN: 0
; COMPUTE_PGM_RSRC2:TIDIG_COMP_CNT: 0
; COMPUTE_PGM_RSRC3_GFX90A:ACCUM_OFFSET: 0
; COMPUTE_PGM_RSRC3_GFX90A:TG_SPLIT: 0
	.section	.text._ZN7rocprim17ROCPRIM_400000_NS6detail17trampoline_kernelINS0_14default_configENS1_38merge_sort_block_merge_config_selectorImNS0_10empty_typeEEEZZNS1_27merge_sort_block_merge_implIS3_PmPS5_jNS1_19radix_merge_compareILb0ELb1EmNS0_19identity_decomposerEEEEE10hipError_tT0_T1_T2_jT3_P12ihipStream_tbPNSt15iterator_traitsISE_E10value_typeEPNSK_ISF_E10value_typeEPSG_NS1_7vsmem_tEENKUlT_SE_SF_SG_E_clIS8_S8_S9_S9_EESD_ST_SE_SF_SG_EUlST_E0_NS1_11comp_targetILNS1_3genE5ELNS1_11target_archE942ELNS1_3gpuE9ELNS1_3repE0EEENS1_38merge_mergepath_config_static_selectorELNS0_4arch9wavefront6targetE1EEEvSF_,"axG",@progbits,_ZN7rocprim17ROCPRIM_400000_NS6detail17trampoline_kernelINS0_14default_configENS1_38merge_sort_block_merge_config_selectorImNS0_10empty_typeEEEZZNS1_27merge_sort_block_merge_implIS3_PmPS5_jNS1_19radix_merge_compareILb0ELb1EmNS0_19identity_decomposerEEEEE10hipError_tT0_T1_T2_jT3_P12ihipStream_tbPNSt15iterator_traitsISE_E10value_typeEPNSK_ISF_E10value_typeEPSG_NS1_7vsmem_tEENKUlT_SE_SF_SG_E_clIS8_S8_S9_S9_EESD_ST_SE_SF_SG_EUlST_E0_NS1_11comp_targetILNS1_3genE5ELNS1_11target_archE942ELNS1_3gpuE9ELNS1_3repE0EEENS1_38merge_mergepath_config_static_selectorELNS0_4arch9wavefront6targetE1EEEvSF_,comdat
	.protected	_ZN7rocprim17ROCPRIM_400000_NS6detail17trampoline_kernelINS0_14default_configENS1_38merge_sort_block_merge_config_selectorImNS0_10empty_typeEEEZZNS1_27merge_sort_block_merge_implIS3_PmPS5_jNS1_19radix_merge_compareILb0ELb1EmNS0_19identity_decomposerEEEEE10hipError_tT0_T1_T2_jT3_P12ihipStream_tbPNSt15iterator_traitsISE_E10value_typeEPNSK_ISF_E10value_typeEPSG_NS1_7vsmem_tEENKUlT_SE_SF_SG_E_clIS8_S8_S9_S9_EESD_ST_SE_SF_SG_EUlST_E0_NS1_11comp_targetILNS1_3genE5ELNS1_11target_archE942ELNS1_3gpuE9ELNS1_3repE0EEENS1_38merge_mergepath_config_static_selectorELNS0_4arch9wavefront6targetE1EEEvSF_ ; -- Begin function _ZN7rocprim17ROCPRIM_400000_NS6detail17trampoline_kernelINS0_14default_configENS1_38merge_sort_block_merge_config_selectorImNS0_10empty_typeEEEZZNS1_27merge_sort_block_merge_implIS3_PmPS5_jNS1_19radix_merge_compareILb0ELb1EmNS0_19identity_decomposerEEEEE10hipError_tT0_T1_T2_jT3_P12ihipStream_tbPNSt15iterator_traitsISE_E10value_typeEPNSK_ISF_E10value_typeEPSG_NS1_7vsmem_tEENKUlT_SE_SF_SG_E_clIS8_S8_S9_S9_EESD_ST_SE_SF_SG_EUlST_E0_NS1_11comp_targetILNS1_3genE5ELNS1_11target_archE942ELNS1_3gpuE9ELNS1_3repE0EEENS1_38merge_mergepath_config_static_selectorELNS0_4arch9wavefront6targetE1EEEvSF_
	.globl	_ZN7rocprim17ROCPRIM_400000_NS6detail17trampoline_kernelINS0_14default_configENS1_38merge_sort_block_merge_config_selectorImNS0_10empty_typeEEEZZNS1_27merge_sort_block_merge_implIS3_PmPS5_jNS1_19radix_merge_compareILb0ELb1EmNS0_19identity_decomposerEEEEE10hipError_tT0_T1_T2_jT3_P12ihipStream_tbPNSt15iterator_traitsISE_E10value_typeEPNSK_ISF_E10value_typeEPSG_NS1_7vsmem_tEENKUlT_SE_SF_SG_E_clIS8_S8_S9_S9_EESD_ST_SE_SF_SG_EUlST_E0_NS1_11comp_targetILNS1_3genE5ELNS1_11target_archE942ELNS1_3gpuE9ELNS1_3repE0EEENS1_38merge_mergepath_config_static_selectorELNS0_4arch9wavefront6targetE1EEEvSF_
	.p2align	8
	.type	_ZN7rocprim17ROCPRIM_400000_NS6detail17trampoline_kernelINS0_14default_configENS1_38merge_sort_block_merge_config_selectorImNS0_10empty_typeEEEZZNS1_27merge_sort_block_merge_implIS3_PmPS5_jNS1_19radix_merge_compareILb0ELb1EmNS0_19identity_decomposerEEEEE10hipError_tT0_T1_T2_jT3_P12ihipStream_tbPNSt15iterator_traitsISE_E10value_typeEPNSK_ISF_E10value_typeEPSG_NS1_7vsmem_tEENKUlT_SE_SF_SG_E_clIS8_S8_S9_S9_EESD_ST_SE_SF_SG_EUlST_E0_NS1_11comp_targetILNS1_3genE5ELNS1_11target_archE942ELNS1_3gpuE9ELNS1_3repE0EEENS1_38merge_mergepath_config_static_selectorELNS0_4arch9wavefront6targetE1EEEvSF_,@function
_ZN7rocprim17ROCPRIM_400000_NS6detail17trampoline_kernelINS0_14default_configENS1_38merge_sort_block_merge_config_selectorImNS0_10empty_typeEEEZZNS1_27merge_sort_block_merge_implIS3_PmPS5_jNS1_19radix_merge_compareILb0ELb1EmNS0_19identity_decomposerEEEEE10hipError_tT0_T1_T2_jT3_P12ihipStream_tbPNSt15iterator_traitsISE_E10value_typeEPNSK_ISF_E10value_typeEPSG_NS1_7vsmem_tEENKUlT_SE_SF_SG_E_clIS8_S8_S9_S9_EESD_ST_SE_SF_SG_EUlST_E0_NS1_11comp_targetILNS1_3genE5ELNS1_11target_archE942ELNS1_3gpuE9ELNS1_3repE0EEENS1_38merge_mergepath_config_static_selectorELNS0_4arch9wavefront6targetE1EEEvSF_: ; @_ZN7rocprim17ROCPRIM_400000_NS6detail17trampoline_kernelINS0_14default_configENS1_38merge_sort_block_merge_config_selectorImNS0_10empty_typeEEEZZNS1_27merge_sort_block_merge_implIS3_PmPS5_jNS1_19radix_merge_compareILb0ELb1EmNS0_19identity_decomposerEEEEE10hipError_tT0_T1_T2_jT3_P12ihipStream_tbPNSt15iterator_traitsISE_E10value_typeEPNSK_ISF_E10value_typeEPSG_NS1_7vsmem_tEENKUlT_SE_SF_SG_E_clIS8_S8_S9_S9_EESD_ST_SE_SF_SG_EUlST_E0_NS1_11comp_targetILNS1_3genE5ELNS1_11target_archE942ELNS1_3gpuE9ELNS1_3repE0EEENS1_38merge_mergepath_config_static_selectorELNS0_4arch9wavefront6targetE1EEEvSF_
; %bb.0:
	.section	.rodata,"a",@progbits
	.p2align	6, 0x0
	.amdhsa_kernel _ZN7rocprim17ROCPRIM_400000_NS6detail17trampoline_kernelINS0_14default_configENS1_38merge_sort_block_merge_config_selectorImNS0_10empty_typeEEEZZNS1_27merge_sort_block_merge_implIS3_PmPS5_jNS1_19radix_merge_compareILb0ELb1EmNS0_19identity_decomposerEEEEE10hipError_tT0_T1_T2_jT3_P12ihipStream_tbPNSt15iterator_traitsISE_E10value_typeEPNSK_ISF_E10value_typeEPSG_NS1_7vsmem_tEENKUlT_SE_SF_SG_E_clIS8_S8_S9_S9_EESD_ST_SE_SF_SG_EUlST_E0_NS1_11comp_targetILNS1_3genE5ELNS1_11target_archE942ELNS1_3gpuE9ELNS1_3repE0EEENS1_38merge_mergepath_config_static_selectorELNS0_4arch9wavefront6targetE1EEEvSF_
		.amdhsa_group_segment_fixed_size 0
		.amdhsa_private_segment_fixed_size 0
		.amdhsa_kernarg_size 72
		.amdhsa_user_sgpr_count 6
		.amdhsa_user_sgpr_private_segment_buffer 1
		.amdhsa_user_sgpr_dispatch_ptr 0
		.amdhsa_user_sgpr_queue_ptr 0
		.amdhsa_user_sgpr_kernarg_segment_ptr 1
		.amdhsa_user_sgpr_dispatch_id 0
		.amdhsa_user_sgpr_flat_scratch_init 0
		.amdhsa_user_sgpr_kernarg_preload_length 0
		.amdhsa_user_sgpr_kernarg_preload_offset 0
		.amdhsa_user_sgpr_private_segment_size 0
		.amdhsa_uses_dynamic_stack 0
		.amdhsa_system_sgpr_private_segment_wavefront_offset 0
		.amdhsa_system_sgpr_workgroup_id_x 1
		.amdhsa_system_sgpr_workgroup_id_y 0
		.amdhsa_system_sgpr_workgroup_id_z 0
		.amdhsa_system_sgpr_workgroup_info 0
		.amdhsa_system_vgpr_workitem_id 0
		.amdhsa_next_free_vgpr 1
		.amdhsa_next_free_sgpr 0
		.amdhsa_accum_offset 4
		.amdhsa_reserve_vcc 0
		.amdhsa_reserve_flat_scratch 0
		.amdhsa_float_round_mode_32 0
		.amdhsa_float_round_mode_16_64 0
		.amdhsa_float_denorm_mode_32 3
		.amdhsa_float_denorm_mode_16_64 3
		.amdhsa_dx10_clamp 1
		.amdhsa_ieee_mode 1
		.amdhsa_fp16_overflow 0
		.amdhsa_tg_split 0
		.amdhsa_exception_fp_ieee_invalid_op 0
		.amdhsa_exception_fp_denorm_src 0
		.amdhsa_exception_fp_ieee_div_zero 0
		.amdhsa_exception_fp_ieee_overflow 0
		.amdhsa_exception_fp_ieee_underflow 0
		.amdhsa_exception_fp_ieee_inexact 0
		.amdhsa_exception_int_div_zero 0
	.end_amdhsa_kernel
	.section	.text._ZN7rocprim17ROCPRIM_400000_NS6detail17trampoline_kernelINS0_14default_configENS1_38merge_sort_block_merge_config_selectorImNS0_10empty_typeEEEZZNS1_27merge_sort_block_merge_implIS3_PmPS5_jNS1_19radix_merge_compareILb0ELb1EmNS0_19identity_decomposerEEEEE10hipError_tT0_T1_T2_jT3_P12ihipStream_tbPNSt15iterator_traitsISE_E10value_typeEPNSK_ISF_E10value_typeEPSG_NS1_7vsmem_tEENKUlT_SE_SF_SG_E_clIS8_S8_S9_S9_EESD_ST_SE_SF_SG_EUlST_E0_NS1_11comp_targetILNS1_3genE5ELNS1_11target_archE942ELNS1_3gpuE9ELNS1_3repE0EEENS1_38merge_mergepath_config_static_selectorELNS0_4arch9wavefront6targetE1EEEvSF_,"axG",@progbits,_ZN7rocprim17ROCPRIM_400000_NS6detail17trampoline_kernelINS0_14default_configENS1_38merge_sort_block_merge_config_selectorImNS0_10empty_typeEEEZZNS1_27merge_sort_block_merge_implIS3_PmPS5_jNS1_19radix_merge_compareILb0ELb1EmNS0_19identity_decomposerEEEEE10hipError_tT0_T1_T2_jT3_P12ihipStream_tbPNSt15iterator_traitsISE_E10value_typeEPNSK_ISF_E10value_typeEPSG_NS1_7vsmem_tEENKUlT_SE_SF_SG_E_clIS8_S8_S9_S9_EESD_ST_SE_SF_SG_EUlST_E0_NS1_11comp_targetILNS1_3genE5ELNS1_11target_archE942ELNS1_3gpuE9ELNS1_3repE0EEENS1_38merge_mergepath_config_static_selectorELNS0_4arch9wavefront6targetE1EEEvSF_,comdat
.Lfunc_end948:
	.size	_ZN7rocprim17ROCPRIM_400000_NS6detail17trampoline_kernelINS0_14default_configENS1_38merge_sort_block_merge_config_selectorImNS0_10empty_typeEEEZZNS1_27merge_sort_block_merge_implIS3_PmPS5_jNS1_19radix_merge_compareILb0ELb1EmNS0_19identity_decomposerEEEEE10hipError_tT0_T1_T2_jT3_P12ihipStream_tbPNSt15iterator_traitsISE_E10value_typeEPNSK_ISF_E10value_typeEPSG_NS1_7vsmem_tEENKUlT_SE_SF_SG_E_clIS8_S8_S9_S9_EESD_ST_SE_SF_SG_EUlST_E0_NS1_11comp_targetILNS1_3genE5ELNS1_11target_archE942ELNS1_3gpuE9ELNS1_3repE0EEENS1_38merge_mergepath_config_static_selectorELNS0_4arch9wavefront6targetE1EEEvSF_, .Lfunc_end948-_ZN7rocprim17ROCPRIM_400000_NS6detail17trampoline_kernelINS0_14default_configENS1_38merge_sort_block_merge_config_selectorImNS0_10empty_typeEEEZZNS1_27merge_sort_block_merge_implIS3_PmPS5_jNS1_19radix_merge_compareILb0ELb1EmNS0_19identity_decomposerEEEEE10hipError_tT0_T1_T2_jT3_P12ihipStream_tbPNSt15iterator_traitsISE_E10value_typeEPNSK_ISF_E10value_typeEPSG_NS1_7vsmem_tEENKUlT_SE_SF_SG_E_clIS8_S8_S9_S9_EESD_ST_SE_SF_SG_EUlST_E0_NS1_11comp_targetILNS1_3genE5ELNS1_11target_archE942ELNS1_3gpuE9ELNS1_3repE0EEENS1_38merge_mergepath_config_static_selectorELNS0_4arch9wavefront6targetE1EEEvSF_
                                        ; -- End function
	.section	.AMDGPU.csdata,"",@progbits
; Kernel info:
; codeLenInByte = 0
; NumSgprs: 4
; NumVgprs: 0
; NumAgprs: 0
; TotalNumVgprs: 0
; ScratchSize: 0
; MemoryBound: 0
; FloatMode: 240
; IeeeMode: 1
; LDSByteSize: 0 bytes/workgroup (compile time only)
; SGPRBlocks: 0
; VGPRBlocks: 0
; NumSGPRsForWavesPerEU: 4
; NumVGPRsForWavesPerEU: 1
; AccumOffset: 4
; Occupancy: 8
; WaveLimiterHint : 0
; COMPUTE_PGM_RSRC2:SCRATCH_EN: 0
; COMPUTE_PGM_RSRC2:USER_SGPR: 6
; COMPUTE_PGM_RSRC2:TRAP_HANDLER: 0
; COMPUTE_PGM_RSRC2:TGID_X_EN: 1
; COMPUTE_PGM_RSRC2:TGID_Y_EN: 0
; COMPUTE_PGM_RSRC2:TGID_Z_EN: 0
; COMPUTE_PGM_RSRC2:TIDIG_COMP_CNT: 0
; COMPUTE_PGM_RSRC3_GFX90A:ACCUM_OFFSET: 0
; COMPUTE_PGM_RSRC3_GFX90A:TG_SPLIT: 0
	.section	.text._ZN7rocprim17ROCPRIM_400000_NS6detail17trampoline_kernelINS0_14default_configENS1_38merge_sort_block_merge_config_selectorImNS0_10empty_typeEEEZZNS1_27merge_sort_block_merge_implIS3_PmPS5_jNS1_19radix_merge_compareILb0ELb1EmNS0_19identity_decomposerEEEEE10hipError_tT0_T1_T2_jT3_P12ihipStream_tbPNSt15iterator_traitsISE_E10value_typeEPNSK_ISF_E10value_typeEPSG_NS1_7vsmem_tEENKUlT_SE_SF_SG_E_clIS8_S8_S9_S9_EESD_ST_SE_SF_SG_EUlST_E0_NS1_11comp_targetILNS1_3genE4ELNS1_11target_archE910ELNS1_3gpuE8ELNS1_3repE0EEENS1_38merge_mergepath_config_static_selectorELNS0_4arch9wavefront6targetE1EEEvSF_,"axG",@progbits,_ZN7rocprim17ROCPRIM_400000_NS6detail17trampoline_kernelINS0_14default_configENS1_38merge_sort_block_merge_config_selectorImNS0_10empty_typeEEEZZNS1_27merge_sort_block_merge_implIS3_PmPS5_jNS1_19radix_merge_compareILb0ELb1EmNS0_19identity_decomposerEEEEE10hipError_tT0_T1_T2_jT3_P12ihipStream_tbPNSt15iterator_traitsISE_E10value_typeEPNSK_ISF_E10value_typeEPSG_NS1_7vsmem_tEENKUlT_SE_SF_SG_E_clIS8_S8_S9_S9_EESD_ST_SE_SF_SG_EUlST_E0_NS1_11comp_targetILNS1_3genE4ELNS1_11target_archE910ELNS1_3gpuE8ELNS1_3repE0EEENS1_38merge_mergepath_config_static_selectorELNS0_4arch9wavefront6targetE1EEEvSF_,comdat
	.protected	_ZN7rocprim17ROCPRIM_400000_NS6detail17trampoline_kernelINS0_14default_configENS1_38merge_sort_block_merge_config_selectorImNS0_10empty_typeEEEZZNS1_27merge_sort_block_merge_implIS3_PmPS5_jNS1_19radix_merge_compareILb0ELb1EmNS0_19identity_decomposerEEEEE10hipError_tT0_T1_T2_jT3_P12ihipStream_tbPNSt15iterator_traitsISE_E10value_typeEPNSK_ISF_E10value_typeEPSG_NS1_7vsmem_tEENKUlT_SE_SF_SG_E_clIS8_S8_S9_S9_EESD_ST_SE_SF_SG_EUlST_E0_NS1_11comp_targetILNS1_3genE4ELNS1_11target_archE910ELNS1_3gpuE8ELNS1_3repE0EEENS1_38merge_mergepath_config_static_selectorELNS0_4arch9wavefront6targetE1EEEvSF_ ; -- Begin function _ZN7rocprim17ROCPRIM_400000_NS6detail17trampoline_kernelINS0_14default_configENS1_38merge_sort_block_merge_config_selectorImNS0_10empty_typeEEEZZNS1_27merge_sort_block_merge_implIS3_PmPS5_jNS1_19radix_merge_compareILb0ELb1EmNS0_19identity_decomposerEEEEE10hipError_tT0_T1_T2_jT3_P12ihipStream_tbPNSt15iterator_traitsISE_E10value_typeEPNSK_ISF_E10value_typeEPSG_NS1_7vsmem_tEENKUlT_SE_SF_SG_E_clIS8_S8_S9_S9_EESD_ST_SE_SF_SG_EUlST_E0_NS1_11comp_targetILNS1_3genE4ELNS1_11target_archE910ELNS1_3gpuE8ELNS1_3repE0EEENS1_38merge_mergepath_config_static_selectorELNS0_4arch9wavefront6targetE1EEEvSF_
	.globl	_ZN7rocprim17ROCPRIM_400000_NS6detail17trampoline_kernelINS0_14default_configENS1_38merge_sort_block_merge_config_selectorImNS0_10empty_typeEEEZZNS1_27merge_sort_block_merge_implIS3_PmPS5_jNS1_19radix_merge_compareILb0ELb1EmNS0_19identity_decomposerEEEEE10hipError_tT0_T1_T2_jT3_P12ihipStream_tbPNSt15iterator_traitsISE_E10value_typeEPNSK_ISF_E10value_typeEPSG_NS1_7vsmem_tEENKUlT_SE_SF_SG_E_clIS8_S8_S9_S9_EESD_ST_SE_SF_SG_EUlST_E0_NS1_11comp_targetILNS1_3genE4ELNS1_11target_archE910ELNS1_3gpuE8ELNS1_3repE0EEENS1_38merge_mergepath_config_static_selectorELNS0_4arch9wavefront6targetE1EEEvSF_
	.p2align	8
	.type	_ZN7rocprim17ROCPRIM_400000_NS6detail17trampoline_kernelINS0_14default_configENS1_38merge_sort_block_merge_config_selectorImNS0_10empty_typeEEEZZNS1_27merge_sort_block_merge_implIS3_PmPS5_jNS1_19radix_merge_compareILb0ELb1EmNS0_19identity_decomposerEEEEE10hipError_tT0_T1_T2_jT3_P12ihipStream_tbPNSt15iterator_traitsISE_E10value_typeEPNSK_ISF_E10value_typeEPSG_NS1_7vsmem_tEENKUlT_SE_SF_SG_E_clIS8_S8_S9_S9_EESD_ST_SE_SF_SG_EUlST_E0_NS1_11comp_targetILNS1_3genE4ELNS1_11target_archE910ELNS1_3gpuE8ELNS1_3repE0EEENS1_38merge_mergepath_config_static_selectorELNS0_4arch9wavefront6targetE1EEEvSF_,@function
_ZN7rocprim17ROCPRIM_400000_NS6detail17trampoline_kernelINS0_14default_configENS1_38merge_sort_block_merge_config_selectorImNS0_10empty_typeEEEZZNS1_27merge_sort_block_merge_implIS3_PmPS5_jNS1_19radix_merge_compareILb0ELb1EmNS0_19identity_decomposerEEEEE10hipError_tT0_T1_T2_jT3_P12ihipStream_tbPNSt15iterator_traitsISE_E10value_typeEPNSK_ISF_E10value_typeEPSG_NS1_7vsmem_tEENKUlT_SE_SF_SG_E_clIS8_S8_S9_S9_EESD_ST_SE_SF_SG_EUlST_E0_NS1_11comp_targetILNS1_3genE4ELNS1_11target_archE910ELNS1_3gpuE8ELNS1_3repE0EEENS1_38merge_mergepath_config_static_selectorELNS0_4arch9wavefront6targetE1EEEvSF_: ; @_ZN7rocprim17ROCPRIM_400000_NS6detail17trampoline_kernelINS0_14default_configENS1_38merge_sort_block_merge_config_selectorImNS0_10empty_typeEEEZZNS1_27merge_sort_block_merge_implIS3_PmPS5_jNS1_19radix_merge_compareILb0ELb1EmNS0_19identity_decomposerEEEEE10hipError_tT0_T1_T2_jT3_P12ihipStream_tbPNSt15iterator_traitsISE_E10value_typeEPNSK_ISF_E10value_typeEPSG_NS1_7vsmem_tEENKUlT_SE_SF_SG_E_clIS8_S8_S9_S9_EESD_ST_SE_SF_SG_EUlST_E0_NS1_11comp_targetILNS1_3genE4ELNS1_11target_archE910ELNS1_3gpuE8ELNS1_3repE0EEENS1_38merge_mergepath_config_static_selectorELNS0_4arch9wavefront6targetE1EEEvSF_
; %bb.0:
	s_load_dwordx2 s[14:15], s[4:5], 0x48
	s_load_dword s3, s[4:5], 0x30
	s_add_u32 s0, s4, 0x48
	s_addc_u32 s1, s5, 0
	s_waitcnt lgkmcnt(0)
	s_mul_i32 s2, s15, s8
	s_add_i32 s2, s2, s7
	s_mul_i32 s2, s2, s14
	s_add_i32 s2, s2, s6
	s_cmp_ge_u32 s2, s3
	s_cbranch_scc1 .LBB949_31
; %bb.1:
	s_load_dwordx2 s[8:9], s[4:5], 0x28
	s_load_dwordx2 s[10:11], s[4:5], 0x40
	;; [unrolled: 1-line block ×3, first 2 shown]
	s_mov_b32 s3, 0
	s_mov_b32 s25, s3
	s_waitcnt lgkmcnt(0)
	s_lshr_b32 s7, s8, 10
	s_cmp_lg_u32 s2, s7
	s_cselect_b64 s[12:13], -1, 0
	s_lshl_b64 s[16:17], s[2:3], 2
	s_add_u32 s10, s10, s16
	s_addc_u32 s11, s11, s17
	s_load_dwordx2 s[18:19], s[10:11], 0x0
	s_lshr_b32 s10, s9, 9
	s_and_b32 s10, s10, 0x7ffffe
	s_sub_i32 s11, 0, s10
	s_and_b32 s15, s2, s11
	s_lshl_b32 s16, s15, 10
	s_lshl_b32 s10, s2, 10
	;; [unrolled: 1-line block ×3, first 2 shown]
	s_sub_i32 s17, s10, s16
	s_add_i32 s15, s15, s9
	s_add_i32 s17, s15, s17
	s_waitcnt lgkmcnt(0)
	s_sub_i32 s20, s17, s18
	s_sub_i32 s17, s17, s19
	;; [unrolled: 1-line block ×3, first 2 shown]
	s_min_u32 s24, s8, s20
	s_addk_i32 s17, 0x400
	s_or_b32 s11, s2, s11
	s_min_u32 s16, s8, s15
	s_add_i32 s15, s15, s9
	s_cmp_eq_u32 s11, -1
	s_cselect_b32 s9, s15, s17
	s_cselect_b32 s11, s16, s19
	s_min_u32 s15, s9, s8
	s_mov_b32 s19, s3
	s_sub_i32 s9, s11, s18
	s_sub_i32 s16, s15, s24
	s_lshl_b64 s[20:21], s[18:19], 3
	s_add_u32 s19, s22, s20
	s_addc_u32 s20, s23, s21
	s_lshl_b64 s[24:25], s[24:25], 3
	s_add_u32 s17, s22, s24
	s_addc_u32 s18, s23, s25
	s_cmp_lt_u32 s6, s14
	v_mov_b32_e32 v9, 0
	s_cselect_b32 s3, 12, 18
	global_load_dword v1, v9, s[0:1] offset:14
	s_add_u32 s0, s0, s3
	s_addc_u32 s1, s1, 0
	global_load_ushort v2, v9, s[0:1]
	s_cmp_eq_u32 s2, s7
	s_waitcnt vmcnt(1)
	v_lshrrev_b32_e32 v3, 16, v1
	v_and_b32_e32 v1, 0xffff, v1
	v_mul_lo_u32 v1, v1, v3
	s_waitcnt vmcnt(0)
	v_mul_lo_u32 v14, v1, v2
	v_add_u32_e32 v12, v14, v0
	v_lshlrev_b32_e32 v1, 3, v0
	v_add_u32_e32 v10, v12, v14
	s_cbranch_scc1 .LBB949_3
; %bb.2:
	v_mov_b32_e32 v2, s20
	v_add_co_u32_e32 v4, vcc, s19, v1
	v_subrev_u32_e32 v8, s9, v0
	v_addc_co_u32_e32 v5, vcc, 0, v2, vcc
	v_lshlrev_b64 v[2:3], 3, v[8:9]
	v_mov_b32_e32 v6, s18
	v_add_co_u32_e32 v2, vcc, s17, v2
	v_addc_co_u32_e32 v3, vcc, v6, v3, vcc
	v_cmp_gt_u32_e32 vcc, s9, v0
	v_mov_b32_e32 v13, v9
	v_cndmask_b32_e32 v3, v3, v5, vcc
	v_cndmask_b32_e32 v2, v2, v4, vcc
	v_lshlrev_b64 v[4:5], 3, v[12:13]
	v_mov_b32_e32 v6, s20
	v_add_co_u32_e32 v7, vcc, s19, v4
	v_subrev_u32_e32 v8, s9, v12
	v_addc_co_u32_e32 v6, vcc, v6, v5, vcc
	v_lshlrev_b64 v[4:5], 3, v[8:9]
	v_mov_b32_e32 v8, s18
	v_add_co_u32_e32 v4, vcc, s17, v4
	v_addc_co_u32_e32 v5, vcc, v8, v5, vcc
	v_cmp_gt_u32_e32 vcc, s9, v12
	v_mov_b32_e32 v11, v9
	v_cndmask_b32_e32 v5, v5, v6, vcc
	v_cndmask_b32_e32 v4, v4, v7, vcc
	v_lshlrev_b64 v[6:7], 3, v[10:11]
	v_mov_b32_e32 v8, s20
	v_add_co_u32_e32 v11, vcc, s19, v6
	v_addc_co_u32_e32 v13, vcc, v8, v7, vcc
	v_subrev_u32_e32 v8, s9, v10
	v_lshlrev_b64 v[6:7], 3, v[8:9]
	v_mov_b32_e32 v8, s18
	v_add_co_u32_e32 v6, vcc, s17, v6
	v_addc_co_u32_e32 v7, vcc, v8, v7, vcc
	v_add_u32_e32 v8, v10, v14
	v_cmp_gt_u32_e32 vcc, s9, v10
	v_lshlrev_b64 v[16:17], 3, v[8:9]
	v_cndmask_b32_e32 v7, v7, v13, vcc
	v_cndmask_b32_e32 v6, v6, v11, vcc
	v_mov_b32_e32 v11, s20
	v_add_co_u32_e32 v13, vcc, s19, v16
	v_addc_co_u32_e32 v11, vcc, v11, v17, vcc
	v_cmp_gt_u32_e32 vcc, s9, v8
	v_subrev_u32_e32 v8, s9, v8
	v_lshlrev_b64 v[8:9], 3, v[8:9]
	v_mov_b32_e32 v15, s18
	v_add_co_u32_e64 v8, s[0:1], s17, v8
	v_addc_co_u32_e64 v9, s[0:1], v15, v9, s[0:1]
	v_cndmask_b32_e32 v9, v9, v11, vcc
	v_cndmask_b32_e32 v8, v8, v13, vcc
	global_load_dwordx2 v[2:3], v[2:3], off
	s_add_i32 s11, s16, s9
	global_load_dwordx2 v[4:5], v[4:5], off
	s_nop 0
	global_load_dwordx2 v[6:7], v[6:7], off
	s_nop 0
	global_load_dwordx2 v[8:9], v[8:9], off
	s_load_dwordx2 s[6:7], s[4:5], 0x10
	s_load_dwordx2 s[14:15], s[4:5], 0x38
	s_cbranch_execz .LBB949_4
	s_branch .LBB949_11
.LBB949_3:
                                        ; implicit-def: $vgpr2_vgpr3_vgpr4_vgpr5_vgpr6_vgpr7_vgpr8_vgpr9
                                        ; implicit-def: $sgpr11
	s_load_dwordx2 s[6:7], s[4:5], 0x10
	s_load_dwordx2 s[14:15], s[4:5], 0x38
.LBB949_4:
	s_add_i32 s11, s16, s9
	v_cmp_gt_u32_e32 vcc, s11, v0
                                        ; implicit-def: $vgpr2_vgpr3_vgpr4_vgpr5_vgpr6_vgpr7_vgpr8_vgpr9
	s_and_saveexec_b64 s[0:1], vcc
	s_cbranch_execnz .LBB949_32
; %bb.5:
	s_or_b64 exec, exec, s[0:1]
	v_cmp_gt_u32_e32 vcc, s11, v12
	s_and_saveexec_b64 s[2:3], vcc
	s_cbranch_execnz .LBB949_33
.LBB949_6:
	s_or_b64 exec, exec, s[2:3]
	v_cmp_gt_u32_e32 vcc, s11, v10
	s_and_saveexec_b64 s[0:1], vcc
	s_cbranch_execz .LBB949_8
.LBB949_7:
	v_mov_b32_e32 v11, 0
	s_waitcnt vmcnt(1)
	v_lshlrev_b64 v[6:7], 3, v[10:11]
	v_mov_b32_e32 v12, s20
	v_add_co_u32_e32 v13, vcc, s19, v6
	v_addc_co_u32_e32 v12, vcc, v12, v7, vcc
	v_subrev_u32_e32 v6, s9, v10
	v_mov_b32_e32 v7, v11
	v_lshlrev_b64 v[6:7], 3, v[6:7]
	v_mov_b32_e32 v11, s18
	v_add_co_u32_e32 v6, vcc, s17, v6
	v_addc_co_u32_e32 v7, vcc, v11, v7, vcc
	v_cmp_gt_u32_e32 vcc, s9, v10
	v_cndmask_b32_e32 v7, v7, v12, vcc
	v_cndmask_b32_e32 v6, v6, v13, vcc
	global_load_dwordx2 v[6:7], v[6:7], off
.LBB949_8:
	s_or_b64 exec, exec, s[0:1]
	v_add_u32_e32 v10, v10, v14
	v_cmp_gt_u32_e32 vcc, s11, v10
	s_and_saveexec_b64 s[2:3], vcc
	s_cbranch_execz .LBB949_10
; %bb.9:
	v_mov_b32_e32 v11, 0
	s_waitcnt vmcnt(0)
	v_lshlrev_b64 v[8:9], 3, v[10:11]
	v_mov_b32_e32 v12, s20
	v_add_co_u32_e32 v13, vcc, s19, v8
	v_addc_co_u32_e32 v12, vcc, v12, v9, vcc
	v_cmp_gt_u32_e32 vcc, s9, v10
	v_subrev_u32_e32 v10, s9, v10
	v_lshlrev_b64 v[8:9], 3, v[10:11]
	v_mov_b32_e32 v10, s18
	v_add_co_u32_e64 v8, s[0:1], s17, v8
	v_addc_co_u32_e64 v9, s[0:1], v10, v9, s[0:1]
	v_cndmask_b32_e32 v9, v9, v12, vcc
	v_cndmask_b32_e32 v8, v8, v13, vcc
	global_load_dwordx2 v[8:9], v[8:9], off
.LBB949_10:
	s_or_b64 exec, exec, s[2:3]
.LBB949_11:
	v_lshlrev_b32_e32 v10, 2, v0
	v_min_u32_e32 v12, s11, v10
	v_sub_u32_e64 v11, v12, s16 clamp
	v_min_u32_e32 v13, s9, v12
	v_cmp_lt_u32_e32 vcc, v11, v13
	s_waitcnt vmcnt(0)
	ds_write2st64_b64 v1, v[2:3], v[4:5] offset1:4
	ds_write2st64_b64 v1, v[6:7], v[8:9] offset0:8 offset1:12
	s_waitcnt lgkmcnt(0)
	s_barrier
	s_and_saveexec_b64 s[0:1], vcc
	s_cbranch_execz .LBB949_15
; %bb.12:
	v_lshlrev_b32_e32 v14, 3, v12
	v_lshl_add_u32 v14, s9, 3, v14
	s_mov_b64 s[2:3], 0
.LBB949_13:                             ; =>This Inner Loop Header: Depth=1
	v_add_u32_e32 v15, v13, v11
	v_lshrrev_b32_e32 v15, 1, v15
	v_not_b32_e32 v18, v15
	v_lshlrev_b32_e32 v16, 3, v15
	v_lshl_add_u32 v18, v18, 3, v14
	ds_read_b64 v[16:17], v16
	ds_read_b64 v[18:19], v18
	v_add_u32_e32 v20, 1, v15
	s_waitcnt lgkmcnt(1)
	v_and_b32_e32 v17, s15, v17
	v_and_b32_e32 v16, s14, v16
	s_waitcnt lgkmcnt(0)
	v_and_b32_e32 v19, s15, v19
	v_and_b32_e32 v18, s14, v18
	v_cmp_gt_u64_e32 vcc, v[16:17], v[18:19]
	v_cndmask_b32_e32 v13, v13, v15, vcc
	v_cndmask_b32_e32 v11, v20, v11, vcc
	v_cmp_ge_u32_e32 vcc, v11, v13
	s_or_b64 s[2:3], vcc, s[2:3]
	s_andn2_b64 exec, exec, s[2:3]
	s_cbranch_execnz .LBB949_13
; %bb.14:
	s_or_b64 exec, exec, s[2:3]
.LBB949_15:
	s_or_b64 exec, exec, s[0:1]
	v_sub_u32_e32 v12, v12, v11
	v_add_u32_e32 v12, s9, v12
	v_cmp_ge_u32_e32 vcc, s9, v11
	v_cmp_ge_u32_e64 s[0:1], s11, v12
	s_or_b64 s[0:1], vcc, s[0:1]
	s_and_saveexec_b64 s[16:17], s[0:1]
	s_cbranch_execz .LBB949_21
; %bb.16:
	v_cmp_gt_u32_e32 vcc, s9, v11
                                        ; implicit-def: $vgpr2_vgpr3
	s_and_saveexec_b64 s[0:1], vcc
	s_cbranch_execz .LBB949_18
; %bb.17:
	v_lshlrev_b32_e32 v2, 3, v11
	ds_read_b64 v[2:3], v2
.LBB949_18:
	s_or_b64 exec, exec, s[0:1]
	v_cmp_le_u32_e64 s[0:1], s11, v12
	v_cmp_gt_u32_e64 s[2:3], s11, v12
                                        ; implicit-def: $vgpr4_vgpr5
	s_and_saveexec_b64 s[4:5], s[2:3]
	s_cbranch_execz .LBB949_20
; %bb.19:
	v_lshlrev_b32_e32 v4, 3, v12
	ds_read_b64 v[4:5], v4
.LBB949_20:
	s_or_b64 exec, exec, s[4:5]
	s_waitcnt lgkmcnt(0)
	v_and_b32_e32 v7, s15, v5
	v_and_b32_e32 v6, s14, v4
	;; [unrolled: 1-line block ×4, first 2 shown]
	v_cmp_le_u64_e64 s[2:3], v[8:9], v[6:7]
	s_and_b64 s[2:3], vcc, s[2:3]
	s_or_b64 vcc, s[0:1], s[2:3]
	v_mov_b32_e32 v13, s11
	v_mov_b32_e32 v14, s9
	v_cndmask_b32_e32 v6, v12, v11, vcc
	v_cndmask_b32_e32 v7, v13, v14, vcc
	v_add_u32_e32 v8, 1, v6
	v_add_u32_e32 v6, -1, v7
	v_min_u32_e32 v6, v8, v6
	v_lshlrev_b32_e32 v6, 3, v6
	ds_read_b64 v[6:7], v6
	v_cndmask_b32_e32 v12, v8, v12, vcc
	v_cndmask_b32_e32 v11, v11, v8, vcc
	v_cmp_gt_u32_e64 s[2:3], s9, v11
	v_cmp_le_u32_e64 s[0:1], s11, v12
	s_waitcnt lgkmcnt(0)
	v_cndmask_b32_e32 v15, v7, v5, vcc
	v_cndmask_b32_e32 v16, v6, v4, vcc
	;; [unrolled: 1-line block ×4, first 2 shown]
	v_and_b32_e32 v7, s15, v15
	v_and_b32_e32 v6, s14, v16
	;; [unrolled: 1-line block ×4, first 2 shown]
	v_cmp_le_u64_e64 s[4:5], v[8:9], v[6:7]
	s_and_b64 s[2:3], s[2:3], s[4:5]
	s_or_b64 s[0:1], s[0:1], s[2:3]
	v_cndmask_b32_e64 v6, v12, v11, s[0:1]
	v_cndmask_b32_e64 v7, v13, v14, s[0:1]
	v_add_u32_e32 v8, 1, v6
	v_add_u32_e32 v6, -1, v7
	v_min_u32_e32 v6, v8, v6
	v_lshlrev_b32_e32 v6, 3, v6
	ds_read_b64 v[6:7], v6
	v_cndmask_b32_e32 v3, v5, v3, vcc
	v_cndmask_b32_e32 v2, v4, v2, vcc
	v_cndmask_b32_e64 v11, v11, v8, s[0:1]
	v_cndmask_b32_e64 v12, v8, v12, s[0:1]
	s_waitcnt lgkmcnt(0)
	v_cndmask_b32_e64 v19, v7, v15, s[0:1]
	v_cndmask_b32_e64 v20, v6, v16, s[0:1]
	;; [unrolled: 1-line block ×4, first 2 shown]
	v_and_b32_e32 v5, s15, v19
	v_and_b32_e32 v4, s14, v20
	v_and_b32_e32 v7, s15, v21
	v_and_b32_e32 v6, s14, v22
	v_cmp_gt_u32_e64 s[2:3], s9, v11
	v_cmp_le_u64_e64 s[4:5], v[6:7], v[4:5]
	v_cmp_le_u32_e32 vcc, s11, v12
	s_and_b64 s[2:3], s[2:3], s[4:5]
	s_or_b64 vcc, vcc, s[2:3]
	v_cndmask_b32_e32 v4, v12, v11, vcc
	v_cndmask_b32_e32 v5, v13, v14, vcc
	v_add_u32_e32 v13, 1, v4
	v_add_u32_e32 v4, -1, v5
	v_min_u32_e32 v4, v13, v4
	v_lshlrev_b32_e32 v4, 3, v4
	ds_read_b64 v[8:9], v4
	v_cndmask_b32_e64 v5, v15, v17, s[0:1]
	v_cndmask_b32_e64 v4, v16, v18, s[0:1]
	v_cndmask_b32_e32 v7, v19, v21, vcc
	v_cndmask_b32_e32 v6, v20, v22, vcc
	s_waitcnt lgkmcnt(0)
	v_cndmask_b32_e32 v14, v9, v19, vcc
	v_cndmask_b32_e32 v15, v8, v20, vcc
	;; [unrolled: 1-line block ×6, first 2 shown]
	v_cmp_le_u32_e32 vcc, s11, v8
	v_cmp_gt_u32_e64 s[0:1], s9, v9
	v_and_b32_e32 v9, s15, v14
	v_and_b32_e32 v8, s14, v15
	;; [unrolled: 1-line block ×4, first 2 shown]
	v_cmp_le_u64_e64 s[2:3], v[12:13], v[8:9]
	s_and_b64 s[0:1], s[0:1], s[2:3]
	s_or_b64 vcc, vcc, s[0:1]
	v_cndmask_b32_e32 v9, v14, v16, vcc
	v_cndmask_b32_e32 v8, v15, v17, vcc
.LBB949_21:
	s_or_b64 exec, exec, s[16:17]
	v_and_b32_e32 v11, 0xf8, v0
	v_lshl_add_u32 v10, v10, 3, v11
	s_barrier
	s_barrier
	ds_write2_b64 v10, v[2:3], v[4:5] offset1:1
	ds_write2_b64 v10, v[6:7], v[8:9] offset0:2 offset1:3
	v_lshrrev_b32_e32 v2, 2, v0
	v_and_b32_e32 v2, 56, v2
	v_or_b32_e32 v12, 0x100, v0
	v_add_u32_e32 v13, v1, v2
	v_lshrrev_b32_e32 v2, 2, v12
	v_and_b32_e32 v2, 0x78, v2
	v_or_b32_e32 v11, 0x200, v0
	s_mov_b32 s11, 0
	v_add_u32_e32 v6, v1, v2
	v_lshrrev_b32_e32 v2, 2, v11
	s_lshl_b64 s[0:1], s[10:11], 3
	v_and_b32_e32 v2, 0xb8, v2
	v_or_b32_e32 v10, 0x300, v0
	s_add_u32 s0, s6, s0
	v_add_u32_e32 v7, v1, v2
	v_lshrrev_b32_e32 v2, 2, v10
	s_addc_u32 s1, s7, s1
	v_and_b32_e32 v2, 0xf8, v2
	v_add_u32_e32 v14, v1, v2
	v_mov_b32_e32 v3, s1
	v_add_co_u32_e32 v2, vcc, s0, v1
	v_addc_co_u32_e32 v3, vcc, 0, v3, vcc
	s_and_b64 vcc, exec, s[12:13]
	s_waitcnt lgkmcnt(0)
	s_cbranch_vccz .LBB949_23
; %bb.22:
	s_barrier
	ds_read_b64 v[8:9], v13
	ds_read_b64 v[16:17], v6 offset:2048
	ds_read_b64 v[18:19], v7 offset:4096
	;; [unrolled: 1-line block ×3, first 2 shown]
	s_waitcnt lgkmcnt(3)
	global_store_dwordx2 v[2:3], v[8:9], off
	s_waitcnt lgkmcnt(2)
	global_store_dwordx2 v[2:3], v[16:17], off offset:2048
	v_add_co_u32_e32 v8, vcc, 0x1000, v2
	v_addc_co_u32_e32 v9, vcc, 0, v3, vcc
	s_waitcnt lgkmcnt(1)
	global_store_dwordx2 v[8:9], v[18:19], off
	s_mov_b64 s[0:1], -1
	s_cbranch_execz .LBB949_24
	s_branch .LBB949_29
.LBB949_23:
	s_mov_b64 s[0:1], 0
                                        ; implicit-def: $vgpr4_vgpr5
.LBB949_24:
	s_barrier
	s_waitcnt lgkmcnt(0)
	ds_read_b64 v[8:9], v6 offset:2048
	ds_read_b64 v[6:7], v7 offset:4096
	;; [unrolled: 1-line block ×3, first 2 shown]
	s_sub_i32 s2, s8, s10
	v_cmp_gt_u32_e32 vcc, s2, v0
	s_and_saveexec_b64 s[0:1], vcc
	s_cbranch_execnz .LBB949_34
; %bb.25:
	s_or_b64 exec, exec, s[0:1]
	v_cmp_gt_u32_e32 vcc, s2, v12
	s_and_saveexec_b64 s[0:1], vcc
	s_cbranch_execnz .LBB949_35
.LBB949_26:
	s_or_b64 exec, exec, s[0:1]
	v_cmp_gt_u32_e32 vcc, s2, v11
	s_and_saveexec_b64 s[0:1], vcc
	s_cbranch_execz .LBB949_28
.LBB949_27:
	v_add_co_u32_e32 v0, vcc, 0x1000, v2
	v_addc_co_u32_e32 v1, vcc, 0, v3, vcc
	s_waitcnt lgkmcnt(1)
	global_store_dwordx2 v[0:1], v[6:7], off
.LBB949_28:
	s_or_b64 exec, exec, s[0:1]
	v_cmp_gt_u32_e64 s[0:1], s2, v10
.LBB949_29:
	s_and_saveexec_b64 s[2:3], s[0:1]
	s_cbranch_execz .LBB949_31
; %bb.30:
	v_add_co_u32_e32 v0, vcc, 0x1000, v2
	v_addc_co_u32_e32 v1, vcc, 0, v3, vcc
	s_waitcnt lgkmcnt(0)
	global_store_dwordx2 v[0:1], v[4:5], off offset:2048
.LBB949_31:
	s_endpgm
.LBB949_32:
	s_waitcnt vmcnt(3)
	v_mov_b32_e32 v2, s20
	s_waitcnt vmcnt(2)
	v_add_co_u32_e32 v4, vcc, s19, v1
	v_mov_b32_e32 v3, 0
	v_addc_co_u32_e32 v5, vcc, 0, v2, vcc
	v_subrev_u32_e32 v2, s9, v0
	v_lshlrev_b64 v[2:3], 3, v[2:3]
	s_waitcnt vmcnt(1)
	v_mov_b32_e32 v6, s18
	v_add_co_u32_e32 v2, vcc, s17, v2
	v_addc_co_u32_e32 v3, vcc, v6, v3, vcc
	v_cmp_gt_u32_e32 vcc, s9, v0
	v_cndmask_b32_e32 v3, v3, v5, vcc
	v_cndmask_b32_e32 v2, v2, v4, vcc
	global_load_dwordx2 v[2:3], v[2:3], off
	s_or_b64 exec, exec, s[0:1]
	v_cmp_gt_u32_e32 vcc, s11, v12
	s_and_saveexec_b64 s[2:3], vcc
	s_cbranch_execz .LBB949_6
.LBB949_33:
	v_mov_b32_e32 v13, 0
	s_waitcnt vmcnt(2)
	v_lshlrev_b64 v[4:5], 3, v[12:13]
	v_mov_b32_e32 v11, s20
	v_add_co_u32_e32 v15, vcc, s19, v4
	v_addc_co_u32_e32 v11, vcc, v11, v5, vcc
	v_cmp_gt_u32_e32 vcc, s9, v12
	v_subrev_u32_e32 v12, s9, v12
	v_lshlrev_b64 v[4:5], 3, v[12:13]
	v_mov_b32_e32 v12, s18
	v_add_co_u32_e64 v4, s[0:1], s17, v4
	v_addc_co_u32_e64 v5, s[0:1], v12, v5, s[0:1]
	v_cndmask_b32_e32 v5, v5, v11, vcc
	v_cndmask_b32_e32 v4, v4, v15, vcc
	global_load_dwordx2 v[4:5], v[4:5], off
	s_or_b64 exec, exec, s[2:3]
	v_cmp_gt_u32_e32 vcc, s11, v10
	s_and_saveexec_b64 s[0:1], vcc
	s_cbranch_execnz .LBB949_7
	s_branch .LBB949_8
.LBB949_34:
	ds_read_b64 v[0:1], v13
	s_waitcnt lgkmcnt(0)
	global_store_dwordx2 v[2:3], v[0:1], off
	s_or_b64 exec, exec, s[0:1]
	v_cmp_gt_u32_e32 vcc, s2, v12
	s_and_saveexec_b64 s[0:1], vcc
	s_cbranch_execz .LBB949_26
.LBB949_35:
	s_waitcnt lgkmcnt(2)
	global_store_dwordx2 v[2:3], v[8:9], off offset:2048
	s_or_b64 exec, exec, s[0:1]
	v_cmp_gt_u32_e32 vcc, s2, v11
	s_and_saveexec_b64 s[0:1], vcc
	s_cbranch_execnz .LBB949_27
	s_branch .LBB949_28
	.section	.rodata,"a",@progbits
	.p2align	6, 0x0
	.amdhsa_kernel _ZN7rocprim17ROCPRIM_400000_NS6detail17trampoline_kernelINS0_14default_configENS1_38merge_sort_block_merge_config_selectorImNS0_10empty_typeEEEZZNS1_27merge_sort_block_merge_implIS3_PmPS5_jNS1_19radix_merge_compareILb0ELb1EmNS0_19identity_decomposerEEEEE10hipError_tT0_T1_T2_jT3_P12ihipStream_tbPNSt15iterator_traitsISE_E10value_typeEPNSK_ISF_E10value_typeEPSG_NS1_7vsmem_tEENKUlT_SE_SF_SG_E_clIS8_S8_S9_S9_EESD_ST_SE_SF_SG_EUlST_E0_NS1_11comp_targetILNS1_3genE4ELNS1_11target_archE910ELNS1_3gpuE8ELNS1_3repE0EEENS1_38merge_mergepath_config_static_selectorELNS0_4arch9wavefront6targetE1EEEvSF_
		.amdhsa_group_segment_fixed_size 8448
		.amdhsa_private_segment_fixed_size 0
		.amdhsa_kernarg_size 328
		.amdhsa_user_sgpr_count 6
		.amdhsa_user_sgpr_private_segment_buffer 1
		.amdhsa_user_sgpr_dispatch_ptr 0
		.amdhsa_user_sgpr_queue_ptr 0
		.amdhsa_user_sgpr_kernarg_segment_ptr 1
		.amdhsa_user_sgpr_dispatch_id 0
		.amdhsa_user_sgpr_flat_scratch_init 0
		.amdhsa_user_sgpr_kernarg_preload_length 0
		.amdhsa_user_sgpr_kernarg_preload_offset 0
		.amdhsa_user_sgpr_private_segment_size 0
		.amdhsa_uses_dynamic_stack 0
		.amdhsa_system_sgpr_private_segment_wavefront_offset 0
		.amdhsa_system_sgpr_workgroup_id_x 1
		.amdhsa_system_sgpr_workgroup_id_y 1
		.amdhsa_system_sgpr_workgroup_id_z 1
		.amdhsa_system_sgpr_workgroup_info 0
		.amdhsa_system_vgpr_workitem_id 0
		.amdhsa_next_free_vgpr 23
		.amdhsa_next_free_sgpr 26
		.amdhsa_accum_offset 24
		.amdhsa_reserve_vcc 1
		.amdhsa_reserve_flat_scratch 0
		.amdhsa_float_round_mode_32 0
		.amdhsa_float_round_mode_16_64 0
		.amdhsa_float_denorm_mode_32 3
		.amdhsa_float_denorm_mode_16_64 3
		.amdhsa_dx10_clamp 1
		.amdhsa_ieee_mode 1
		.amdhsa_fp16_overflow 0
		.amdhsa_tg_split 0
		.amdhsa_exception_fp_ieee_invalid_op 0
		.amdhsa_exception_fp_denorm_src 0
		.amdhsa_exception_fp_ieee_div_zero 0
		.amdhsa_exception_fp_ieee_overflow 0
		.amdhsa_exception_fp_ieee_underflow 0
		.amdhsa_exception_fp_ieee_inexact 0
		.amdhsa_exception_int_div_zero 0
	.end_amdhsa_kernel
	.section	.text._ZN7rocprim17ROCPRIM_400000_NS6detail17trampoline_kernelINS0_14default_configENS1_38merge_sort_block_merge_config_selectorImNS0_10empty_typeEEEZZNS1_27merge_sort_block_merge_implIS3_PmPS5_jNS1_19radix_merge_compareILb0ELb1EmNS0_19identity_decomposerEEEEE10hipError_tT0_T1_T2_jT3_P12ihipStream_tbPNSt15iterator_traitsISE_E10value_typeEPNSK_ISF_E10value_typeEPSG_NS1_7vsmem_tEENKUlT_SE_SF_SG_E_clIS8_S8_S9_S9_EESD_ST_SE_SF_SG_EUlST_E0_NS1_11comp_targetILNS1_3genE4ELNS1_11target_archE910ELNS1_3gpuE8ELNS1_3repE0EEENS1_38merge_mergepath_config_static_selectorELNS0_4arch9wavefront6targetE1EEEvSF_,"axG",@progbits,_ZN7rocprim17ROCPRIM_400000_NS6detail17trampoline_kernelINS0_14default_configENS1_38merge_sort_block_merge_config_selectorImNS0_10empty_typeEEEZZNS1_27merge_sort_block_merge_implIS3_PmPS5_jNS1_19radix_merge_compareILb0ELb1EmNS0_19identity_decomposerEEEEE10hipError_tT0_T1_T2_jT3_P12ihipStream_tbPNSt15iterator_traitsISE_E10value_typeEPNSK_ISF_E10value_typeEPSG_NS1_7vsmem_tEENKUlT_SE_SF_SG_E_clIS8_S8_S9_S9_EESD_ST_SE_SF_SG_EUlST_E0_NS1_11comp_targetILNS1_3genE4ELNS1_11target_archE910ELNS1_3gpuE8ELNS1_3repE0EEENS1_38merge_mergepath_config_static_selectorELNS0_4arch9wavefront6targetE1EEEvSF_,comdat
.Lfunc_end949:
	.size	_ZN7rocprim17ROCPRIM_400000_NS6detail17trampoline_kernelINS0_14default_configENS1_38merge_sort_block_merge_config_selectorImNS0_10empty_typeEEEZZNS1_27merge_sort_block_merge_implIS3_PmPS5_jNS1_19radix_merge_compareILb0ELb1EmNS0_19identity_decomposerEEEEE10hipError_tT0_T1_T2_jT3_P12ihipStream_tbPNSt15iterator_traitsISE_E10value_typeEPNSK_ISF_E10value_typeEPSG_NS1_7vsmem_tEENKUlT_SE_SF_SG_E_clIS8_S8_S9_S9_EESD_ST_SE_SF_SG_EUlST_E0_NS1_11comp_targetILNS1_3genE4ELNS1_11target_archE910ELNS1_3gpuE8ELNS1_3repE0EEENS1_38merge_mergepath_config_static_selectorELNS0_4arch9wavefront6targetE1EEEvSF_, .Lfunc_end949-_ZN7rocprim17ROCPRIM_400000_NS6detail17trampoline_kernelINS0_14default_configENS1_38merge_sort_block_merge_config_selectorImNS0_10empty_typeEEEZZNS1_27merge_sort_block_merge_implIS3_PmPS5_jNS1_19radix_merge_compareILb0ELb1EmNS0_19identity_decomposerEEEEE10hipError_tT0_T1_T2_jT3_P12ihipStream_tbPNSt15iterator_traitsISE_E10value_typeEPNSK_ISF_E10value_typeEPSG_NS1_7vsmem_tEENKUlT_SE_SF_SG_E_clIS8_S8_S9_S9_EESD_ST_SE_SF_SG_EUlST_E0_NS1_11comp_targetILNS1_3genE4ELNS1_11target_archE910ELNS1_3gpuE8ELNS1_3repE0EEENS1_38merge_mergepath_config_static_selectorELNS0_4arch9wavefront6targetE1EEEvSF_
                                        ; -- End function
	.section	.AMDGPU.csdata,"",@progbits
; Kernel info:
; codeLenInByte = 2284
; NumSgprs: 30
; NumVgprs: 23
; NumAgprs: 0
; TotalNumVgprs: 23
; ScratchSize: 0
; MemoryBound: 0
; FloatMode: 240
; IeeeMode: 1
; LDSByteSize: 8448 bytes/workgroup (compile time only)
; SGPRBlocks: 3
; VGPRBlocks: 2
; NumSGPRsForWavesPerEU: 30
; NumVGPRsForWavesPerEU: 23
; AccumOffset: 24
; Occupancy: 7
; WaveLimiterHint : 1
; COMPUTE_PGM_RSRC2:SCRATCH_EN: 0
; COMPUTE_PGM_RSRC2:USER_SGPR: 6
; COMPUTE_PGM_RSRC2:TRAP_HANDLER: 0
; COMPUTE_PGM_RSRC2:TGID_X_EN: 1
; COMPUTE_PGM_RSRC2:TGID_Y_EN: 1
; COMPUTE_PGM_RSRC2:TGID_Z_EN: 1
; COMPUTE_PGM_RSRC2:TIDIG_COMP_CNT: 0
; COMPUTE_PGM_RSRC3_GFX90A:ACCUM_OFFSET: 5
; COMPUTE_PGM_RSRC3_GFX90A:TG_SPLIT: 0
	.section	.text._ZN7rocprim17ROCPRIM_400000_NS6detail17trampoline_kernelINS0_14default_configENS1_38merge_sort_block_merge_config_selectorImNS0_10empty_typeEEEZZNS1_27merge_sort_block_merge_implIS3_PmPS5_jNS1_19radix_merge_compareILb0ELb1EmNS0_19identity_decomposerEEEEE10hipError_tT0_T1_T2_jT3_P12ihipStream_tbPNSt15iterator_traitsISE_E10value_typeEPNSK_ISF_E10value_typeEPSG_NS1_7vsmem_tEENKUlT_SE_SF_SG_E_clIS8_S8_S9_S9_EESD_ST_SE_SF_SG_EUlST_E0_NS1_11comp_targetILNS1_3genE3ELNS1_11target_archE908ELNS1_3gpuE7ELNS1_3repE0EEENS1_38merge_mergepath_config_static_selectorELNS0_4arch9wavefront6targetE1EEEvSF_,"axG",@progbits,_ZN7rocprim17ROCPRIM_400000_NS6detail17trampoline_kernelINS0_14default_configENS1_38merge_sort_block_merge_config_selectorImNS0_10empty_typeEEEZZNS1_27merge_sort_block_merge_implIS3_PmPS5_jNS1_19radix_merge_compareILb0ELb1EmNS0_19identity_decomposerEEEEE10hipError_tT0_T1_T2_jT3_P12ihipStream_tbPNSt15iterator_traitsISE_E10value_typeEPNSK_ISF_E10value_typeEPSG_NS1_7vsmem_tEENKUlT_SE_SF_SG_E_clIS8_S8_S9_S9_EESD_ST_SE_SF_SG_EUlST_E0_NS1_11comp_targetILNS1_3genE3ELNS1_11target_archE908ELNS1_3gpuE7ELNS1_3repE0EEENS1_38merge_mergepath_config_static_selectorELNS0_4arch9wavefront6targetE1EEEvSF_,comdat
	.protected	_ZN7rocprim17ROCPRIM_400000_NS6detail17trampoline_kernelINS0_14default_configENS1_38merge_sort_block_merge_config_selectorImNS0_10empty_typeEEEZZNS1_27merge_sort_block_merge_implIS3_PmPS5_jNS1_19radix_merge_compareILb0ELb1EmNS0_19identity_decomposerEEEEE10hipError_tT0_T1_T2_jT3_P12ihipStream_tbPNSt15iterator_traitsISE_E10value_typeEPNSK_ISF_E10value_typeEPSG_NS1_7vsmem_tEENKUlT_SE_SF_SG_E_clIS8_S8_S9_S9_EESD_ST_SE_SF_SG_EUlST_E0_NS1_11comp_targetILNS1_3genE3ELNS1_11target_archE908ELNS1_3gpuE7ELNS1_3repE0EEENS1_38merge_mergepath_config_static_selectorELNS0_4arch9wavefront6targetE1EEEvSF_ ; -- Begin function _ZN7rocprim17ROCPRIM_400000_NS6detail17trampoline_kernelINS0_14default_configENS1_38merge_sort_block_merge_config_selectorImNS0_10empty_typeEEEZZNS1_27merge_sort_block_merge_implIS3_PmPS5_jNS1_19radix_merge_compareILb0ELb1EmNS0_19identity_decomposerEEEEE10hipError_tT0_T1_T2_jT3_P12ihipStream_tbPNSt15iterator_traitsISE_E10value_typeEPNSK_ISF_E10value_typeEPSG_NS1_7vsmem_tEENKUlT_SE_SF_SG_E_clIS8_S8_S9_S9_EESD_ST_SE_SF_SG_EUlST_E0_NS1_11comp_targetILNS1_3genE3ELNS1_11target_archE908ELNS1_3gpuE7ELNS1_3repE0EEENS1_38merge_mergepath_config_static_selectorELNS0_4arch9wavefront6targetE1EEEvSF_
	.globl	_ZN7rocprim17ROCPRIM_400000_NS6detail17trampoline_kernelINS0_14default_configENS1_38merge_sort_block_merge_config_selectorImNS0_10empty_typeEEEZZNS1_27merge_sort_block_merge_implIS3_PmPS5_jNS1_19radix_merge_compareILb0ELb1EmNS0_19identity_decomposerEEEEE10hipError_tT0_T1_T2_jT3_P12ihipStream_tbPNSt15iterator_traitsISE_E10value_typeEPNSK_ISF_E10value_typeEPSG_NS1_7vsmem_tEENKUlT_SE_SF_SG_E_clIS8_S8_S9_S9_EESD_ST_SE_SF_SG_EUlST_E0_NS1_11comp_targetILNS1_3genE3ELNS1_11target_archE908ELNS1_3gpuE7ELNS1_3repE0EEENS1_38merge_mergepath_config_static_selectorELNS0_4arch9wavefront6targetE1EEEvSF_
	.p2align	8
	.type	_ZN7rocprim17ROCPRIM_400000_NS6detail17trampoline_kernelINS0_14default_configENS1_38merge_sort_block_merge_config_selectorImNS0_10empty_typeEEEZZNS1_27merge_sort_block_merge_implIS3_PmPS5_jNS1_19radix_merge_compareILb0ELb1EmNS0_19identity_decomposerEEEEE10hipError_tT0_T1_T2_jT3_P12ihipStream_tbPNSt15iterator_traitsISE_E10value_typeEPNSK_ISF_E10value_typeEPSG_NS1_7vsmem_tEENKUlT_SE_SF_SG_E_clIS8_S8_S9_S9_EESD_ST_SE_SF_SG_EUlST_E0_NS1_11comp_targetILNS1_3genE3ELNS1_11target_archE908ELNS1_3gpuE7ELNS1_3repE0EEENS1_38merge_mergepath_config_static_selectorELNS0_4arch9wavefront6targetE1EEEvSF_,@function
_ZN7rocprim17ROCPRIM_400000_NS6detail17trampoline_kernelINS0_14default_configENS1_38merge_sort_block_merge_config_selectorImNS0_10empty_typeEEEZZNS1_27merge_sort_block_merge_implIS3_PmPS5_jNS1_19radix_merge_compareILb0ELb1EmNS0_19identity_decomposerEEEEE10hipError_tT0_T1_T2_jT3_P12ihipStream_tbPNSt15iterator_traitsISE_E10value_typeEPNSK_ISF_E10value_typeEPSG_NS1_7vsmem_tEENKUlT_SE_SF_SG_E_clIS8_S8_S9_S9_EESD_ST_SE_SF_SG_EUlST_E0_NS1_11comp_targetILNS1_3genE3ELNS1_11target_archE908ELNS1_3gpuE7ELNS1_3repE0EEENS1_38merge_mergepath_config_static_selectorELNS0_4arch9wavefront6targetE1EEEvSF_: ; @_ZN7rocprim17ROCPRIM_400000_NS6detail17trampoline_kernelINS0_14default_configENS1_38merge_sort_block_merge_config_selectorImNS0_10empty_typeEEEZZNS1_27merge_sort_block_merge_implIS3_PmPS5_jNS1_19radix_merge_compareILb0ELb1EmNS0_19identity_decomposerEEEEE10hipError_tT0_T1_T2_jT3_P12ihipStream_tbPNSt15iterator_traitsISE_E10value_typeEPNSK_ISF_E10value_typeEPSG_NS1_7vsmem_tEENKUlT_SE_SF_SG_E_clIS8_S8_S9_S9_EESD_ST_SE_SF_SG_EUlST_E0_NS1_11comp_targetILNS1_3genE3ELNS1_11target_archE908ELNS1_3gpuE7ELNS1_3repE0EEENS1_38merge_mergepath_config_static_selectorELNS0_4arch9wavefront6targetE1EEEvSF_
; %bb.0:
	.section	.rodata,"a",@progbits
	.p2align	6, 0x0
	.amdhsa_kernel _ZN7rocprim17ROCPRIM_400000_NS6detail17trampoline_kernelINS0_14default_configENS1_38merge_sort_block_merge_config_selectorImNS0_10empty_typeEEEZZNS1_27merge_sort_block_merge_implIS3_PmPS5_jNS1_19radix_merge_compareILb0ELb1EmNS0_19identity_decomposerEEEEE10hipError_tT0_T1_T2_jT3_P12ihipStream_tbPNSt15iterator_traitsISE_E10value_typeEPNSK_ISF_E10value_typeEPSG_NS1_7vsmem_tEENKUlT_SE_SF_SG_E_clIS8_S8_S9_S9_EESD_ST_SE_SF_SG_EUlST_E0_NS1_11comp_targetILNS1_3genE3ELNS1_11target_archE908ELNS1_3gpuE7ELNS1_3repE0EEENS1_38merge_mergepath_config_static_selectorELNS0_4arch9wavefront6targetE1EEEvSF_
		.amdhsa_group_segment_fixed_size 0
		.amdhsa_private_segment_fixed_size 0
		.amdhsa_kernarg_size 72
		.amdhsa_user_sgpr_count 6
		.amdhsa_user_sgpr_private_segment_buffer 1
		.amdhsa_user_sgpr_dispatch_ptr 0
		.amdhsa_user_sgpr_queue_ptr 0
		.amdhsa_user_sgpr_kernarg_segment_ptr 1
		.amdhsa_user_sgpr_dispatch_id 0
		.amdhsa_user_sgpr_flat_scratch_init 0
		.amdhsa_user_sgpr_kernarg_preload_length 0
		.amdhsa_user_sgpr_kernarg_preload_offset 0
		.amdhsa_user_sgpr_private_segment_size 0
		.amdhsa_uses_dynamic_stack 0
		.amdhsa_system_sgpr_private_segment_wavefront_offset 0
		.amdhsa_system_sgpr_workgroup_id_x 1
		.amdhsa_system_sgpr_workgroup_id_y 0
		.amdhsa_system_sgpr_workgroup_id_z 0
		.amdhsa_system_sgpr_workgroup_info 0
		.amdhsa_system_vgpr_workitem_id 0
		.amdhsa_next_free_vgpr 1
		.amdhsa_next_free_sgpr 0
		.amdhsa_accum_offset 4
		.amdhsa_reserve_vcc 0
		.amdhsa_reserve_flat_scratch 0
		.amdhsa_float_round_mode_32 0
		.amdhsa_float_round_mode_16_64 0
		.amdhsa_float_denorm_mode_32 3
		.amdhsa_float_denorm_mode_16_64 3
		.amdhsa_dx10_clamp 1
		.amdhsa_ieee_mode 1
		.amdhsa_fp16_overflow 0
		.amdhsa_tg_split 0
		.amdhsa_exception_fp_ieee_invalid_op 0
		.amdhsa_exception_fp_denorm_src 0
		.amdhsa_exception_fp_ieee_div_zero 0
		.amdhsa_exception_fp_ieee_overflow 0
		.amdhsa_exception_fp_ieee_underflow 0
		.amdhsa_exception_fp_ieee_inexact 0
		.amdhsa_exception_int_div_zero 0
	.end_amdhsa_kernel
	.section	.text._ZN7rocprim17ROCPRIM_400000_NS6detail17trampoline_kernelINS0_14default_configENS1_38merge_sort_block_merge_config_selectorImNS0_10empty_typeEEEZZNS1_27merge_sort_block_merge_implIS3_PmPS5_jNS1_19radix_merge_compareILb0ELb1EmNS0_19identity_decomposerEEEEE10hipError_tT0_T1_T2_jT3_P12ihipStream_tbPNSt15iterator_traitsISE_E10value_typeEPNSK_ISF_E10value_typeEPSG_NS1_7vsmem_tEENKUlT_SE_SF_SG_E_clIS8_S8_S9_S9_EESD_ST_SE_SF_SG_EUlST_E0_NS1_11comp_targetILNS1_3genE3ELNS1_11target_archE908ELNS1_3gpuE7ELNS1_3repE0EEENS1_38merge_mergepath_config_static_selectorELNS0_4arch9wavefront6targetE1EEEvSF_,"axG",@progbits,_ZN7rocprim17ROCPRIM_400000_NS6detail17trampoline_kernelINS0_14default_configENS1_38merge_sort_block_merge_config_selectorImNS0_10empty_typeEEEZZNS1_27merge_sort_block_merge_implIS3_PmPS5_jNS1_19radix_merge_compareILb0ELb1EmNS0_19identity_decomposerEEEEE10hipError_tT0_T1_T2_jT3_P12ihipStream_tbPNSt15iterator_traitsISE_E10value_typeEPNSK_ISF_E10value_typeEPSG_NS1_7vsmem_tEENKUlT_SE_SF_SG_E_clIS8_S8_S9_S9_EESD_ST_SE_SF_SG_EUlST_E0_NS1_11comp_targetILNS1_3genE3ELNS1_11target_archE908ELNS1_3gpuE7ELNS1_3repE0EEENS1_38merge_mergepath_config_static_selectorELNS0_4arch9wavefront6targetE1EEEvSF_,comdat
.Lfunc_end950:
	.size	_ZN7rocprim17ROCPRIM_400000_NS6detail17trampoline_kernelINS0_14default_configENS1_38merge_sort_block_merge_config_selectorImNS0_10empty_typeEEEZZNS1_27merge_sort_block_merge_implIS3_PmPS5_jNS1_19radix_merge_compareILb0ELb1EmNS0_19identity_decomposerEEEEE10hipError_tT0_T1_T2_jT3_P12ihipStream_tbPNSt15iterator_traitsISE_E10value_typeEPNSK_ISF_E10value_typeEPSG_NS1_7vsmem_tEENKUlT_SE_SF_SG_E_clIS8_S8_S9_S9_EESD_ST_SE_SF_SG_EUlST_E0_NS1_11comp_targetILNS1_3genE3ELNS1_11target_archE908ELNS1_3gpuE7ELNS1_3repE0EEENS1_38merge_mergepath_config_static_selectorELNS0_4arch9wavefront6targetE1EEEvSF_, .Lfunc_end950-_ZN7rocprim17ROCPRIM_400000_NS6detail17trampoline_kernelINS0_14default_configENS1_38merge_sort_block_merge_config_selectorImNS0_10empty_typeEEEZZNS1_27merge_sort_block_merge_implIS3_PmPS5_jNS1_19radix_merge_compareILb0ELb1EmNS0_19identity_decomposerEEEEE10hipError_tT0_T1_T2_jT3_P12ihipStream_tbPNSt15iterator_traitsISE_E10value_typeEPNSK_ISF_E10value_typeEPSG_NS1_7vsmem_tEENKUlT_SE_SF_SG_E_clIS8_S8_S9_S9_EESD_ST_SE_SF_SG_EUlST_E0_NS1_11comp_targetILNS1_3genE3ELNS1_11target_archE908ELNS1_3gpuE7ELNS1_3repE0EEENS1_38merge_mergepath_config_static_selectorELNS0_4arch9wavefront6targetE1EEEvSF_
                                        ; -- End function
	.section	.AMDGPU.csdata,"",@progbits
; Kernel info:
; codeLenInByte = 0
; NumSgprs: 4
; NumVgprs: 0
; NumAgprs: 0
; TotalNumVgprs: 0
; ScratchSize: 0
; MemoryBound: 0
; FloatMode: 240
; IeeeMode: 1
; LDSByteSize: 0 bytes/workgroup (compile time only)
; SGPRBlocks: 0
; VGPRBlocks: 0
; NumSGPRsForWavesPerEU: 4
; NumVGPRsForWavesPerEU: 1
; AccumOffset: 4
; Occupancy: 8
; WaveLimiterHint : 0
; COMPUTE_PGM_RSRC2:SCRATCH_EN: 0
; COMPUTE_PGM_RSRC2:USER_SGPR: 6
; COMPUTE_PGM_RSRC2:TRAP_HANDLER: 0
; COMPUTE_PGM_RSRC2:TGID_X_EN: 1
; COMPUTE_PGM_RSRC2:TGID_Y_EN: 0
; COMPUTE_PGM_RSRC2:TGID_Z_EN: 0
; COMPUTE_PGM_RSRC2:TIDIG_COMP_CNT: 0
; COMPUTE_PGM_RSRC3_GFX90A:ACCUM_OFFSET: 0
; COMPUTE_PGM_RSRC3_GFX90A:TG_SPLIT: 0
	.section	.text._ZN7rocprim17ROCPRIM_400000_NS6detail17trampoline_kernelINS0_14default_configENS1_38merge_sort_block_merge_config_selectorImNS0_10empty_typeEEEZZNS1_27merge_sort_block_merge_implIS3_PmPS5_jNS1_19radix_merge_compareILb0ELb1EmNS0_19identity_decomposerEEEEE10hipError_tT0_T1_T2_jT3_P12ihipStream_tbPNSt15iterator_traitsISE_E10value_typeEPNSK_ISF_E10value_typeEPSG_NS1_7vsmem_tEENKUlT_SE_SF_SG_E_clIS8_S8_S9_S9_EESD_ST_SE_SF_SG_EUlST_E0_NS1_11comp_targetILNS1_3genE2ELNS1_11target_archE906ELNS1_3gpuE6ELNS1_3repE0EEENS1_38merge_mergepath_config_static_selectorELNS0_4arch9wavefront6targetE1EEEvSF_,"axG",@progbits,_ZN7rocprim17ROCPRIM_400000_NS6detail17trampoline_kernelINS0_14default_configENS1_38merge_sort_block_merge_config_selectorImNS0_10empty_typeEEEZZNS1_27merge_sort_block_merge_implIS3_PmPS5_jNS1_19radix_merge_compareILb0ELb1EmNS0_19identity_decomposerEEEEE10hipError_tT0_T1_T2_jT3_P12ihipStream_tbPNSt15iterator_traitsISE_E10value_typeEPNSK_ISF_E10value_typeEPSG_NS1_7vsmem_tEENKUlT_SE_SF_SG_E_clIS8_S8_S9_S9_EESD_ST_SE_SF_SG_EUlST_E0_NS1_11comp_targetILNS1_3genE2ELNS1_11target_archE906ELNS1_3gpuE6ELNS1_3repE0EEENS1_38merge_mergepath_config_static_selectorELNS0_4arch9wavefront6targetE1EEEvSF_,comdat
	.protected	_ZN7rocprim17ROCPRIM_400000_NS6detail17trampoline_kernelINS0_14default_configENS1_38merge_sort_block_merge_config_selectorImNS0_10empty_typeEEEZZNS1_27merge_sort_block_merge_implIS3_PmPS5_jNS1_19radix_merge_compareILb0ELb1EmNS0_19identity_decomposerEEEEE10hipError_tT0_T1_T2_jT3_P12ihipStream_tbPNSt15iterator_traitsISE_E10value_typeEPNSK_ISF_E10value_typeEPSG_NS1_7vsmem_tEENKUlT_SE_SF_SG_E_clIS8_S8_S9_S9_EESD_ST_SE_SF_SG_EUlST_E0_NS1_11comp_targetILNS1_3genE2ELNS1_11target_archE906ELNS1_3gpuE6ELNS1_3repE0EEENS1_38merge_mergepath_config_static_selectorELNS0_4arch9wavefront6targetE1EEEvSF_ ; -- Begin function _ZN7rocprim17ROCPRIM_400000_NS6detail17trampoline_kernelINS0_14default_configENS1_38merge_sort_block_merge_config_selectorImNS0_10empty_typeEEEZZNS1_27merge_sort_block_merge_implIS3_PmPS5_jNS1_19radix_merge_compareILb0ELb1EmNS0_19identity_decomposerEEEEE10hipError_tT0_T1_T2_jT3_P12ihipStream_tbPNSt15iterator_traitsISE_E10value_typeEPNSK_ISF_E10value_typeEPSG_NS1_7vsmem_tEENKUlT_SE_SF_SG_E_clIS8_S8_S9_S9_EESD_ST_SE_SF_SG_EUlST_E0_NS1_11comp_targetILNS1_3genE2ELNS1_11target_archE906ELNS1_3gpuE6ELNS1_3repE0EEENS1_38merge_mergepath_config_static_selectorELNS0_4arch9wavefront6targetE1EEEvSF_
	.globl	_ZN7rocprim17ROCPRIM_400000_NS6detail17trampoline_kernelINS0_14default_configENS1_38merge_sort_block_merge_config_selectorImNS0_10empty_typeEEEZZNS1_27merge_sort_block_merge_implIS3_PmPS5_jNS1_19radix_merge_compareILb0ELb1EmNS0_19identity_decomposerEEEEE10hipError_tT0_T1_T2_jT3_P12ihipStream_tbPNSt15iterator_traitsISE_E10value_typeEPNSK_ISF_E10value_typeEPSG_NS1_7vsmem_tEENKUlT_SE_SF_SG_E_clIS8_S8_S9_S9_EESD_ST_SE_SF_SG_EUlST_E0_NS1_11comp_targetILNS1_3genE2ELNS1_11target_archE906ELNS1_3gpuE6ELNS1_3repE0EEENS1_38merge_mergepath_config_static_selectorELNS0_4arch9wavefront6targetE1EEEvSF_
	.p2align	8
	.type	_ZN7rocprim17ROCPRIM_400000_NS6detail17trampoline_kernelINS0_14default_configENS1_38merge_sort_block_merge_config_selectorImNS0_10empty_typeEEEZZNS1_27merge_sort_block_merge_implIS3_PmPS5_jNS1_19radix_merge_compareILb0ELb1EmNS0_19identity_decomposerEEEEE10hipError_tT0_T1_T2_jT3_P12ihipStream_tbPNSt15iterator_traitsISE_E10value_typeEPNSK_ISF_E10value_typeEPSG_NS1_7vsmem_tEENKUlT_SE_SF_SG_E_clIS8_S8_S9_S9_EESD_ST_SE_SF_SG_EUlST_E0_NS1_11comp_targetILNS1_3genE2ELNS1_11target_archE906ELNS1_3gpuE6ELNS1_3repE0EEENS1_38merge_mergepath_config_static_selectorELNS0_4arch9wavefront6targetE1EEEvSF_,@function
_ZN7rocprim17ROCPRIM_400000_NS6detail17trampoline_kernelINS0_14default_configENS1_38merge_sort_block_merge_config_selectorImNS0_10empty_typeEEEZZNS1_27merge_sort_block_merge_implIS3_PmPS5_jNS1_19radix_merge_compareILb0ELb1EmNS0_19identity_decomposerEEEEE10hipError_tT0_T1_T2_jT3_P12ihipStream_tbPNSt15iterator_traitsISE_E10value_typeEPNSK_ISF_E10value_typeEPSG_NS1_7vsmem_tEENKUlT_SE_SF_SG_E_clIS8_S8_S9_S9_EESD_ST_SE_SF_SG_EUlST_E0_NS1_11comp_targetILNS1_3genE2ELNS1_11target_archE906ELNS1_3gpuE6ELNS1_3repE0EEENS1_38merge_mergepath_config_static_selectorELNS0_4arch9wavefront6targetE1EEEvSF_: ; @_ZN7rocprim17ROCPRIM_400000_NS6detail17trampoline_kernelINS0_14default_configENS1_38merge_sort_block_merge_config_selectorImNS0_10empty_typeEEEZZNS1_27merge_sort_block_merge_implIS3_PmPS5_jNS1_19radix_merge_compareILb0ELb1EmNS0_19identity_decomposerEEEEE10hipError_tT0_T1_T2_jT3_P12ihipStream_tbPNSt15iterator_traitsISE_E10value_typeEPNSK_ISF_E10value_typeEPSG_NS1_7vsmem_tEENKUlT_SE_SF_SG_E_clIS8_S8_S9_S9_EESD_ST_SE_SF_SG_EUlST_E0_NS1_11comp_targetILNS1_3genE2ELNS1_11target_archE906ELNS1_3gpuE6ELNS1_3repE0EEENS1_38merge_mergepath_config_static_selectorELNS0_4arch9wavefront6targetE1EEEvSF_
; %bb.0:
	.section	.rodata,"a",@progbits
	.p2align	6, 0x0
	.amdhsa_kernel _ZN7rocprim17ROCPRIM_400000_NS6detail17trampoline_kernelINS0_14default_configENS1_38merge_sort_block_merge_config_selectorImNS0_10empty_typeEEEZZNS1_27merge_sort_block_merge_implIS3_PmPS5_jNS1_19radix_merge_compareILb0ELb1EmNS0_19identity_decomposerEEEEE10hipError_tT0_T1_T2_jT3_P12ihipStream_tbPNSt15iterator_traitsISE_E10value_typeEPNSK_ISF_E10value_typeEPSG_NS1_7vsmem_tEENKUlT_SE_SF_SG_E_clIS8_S8_S9_S9_EESD_ST_SE_SF_SG_EUlST_E0_NS1_11comp_targetILNS1_3genE2ELNS1_11target_archE906ELNS1_3gpuE6ELNS1_3repE0EEENS1_38merge_mergepath_config_static_selectorELNS0_4arch9wavefront6targetE1EEEvSF_
		.amdhsa_group_segment_fixed_size 0
		.amdhsa_private_segment_fixed_size 0
		.amdhsa_kernarg_size 72
		.amdhsa_user_sgpr_count 6
		.amdhsa_user_sgpr_private_segment_buffer 1
		.amdhsa_user_sgpr_dispatch_ptr 0
		.amdhsa_user_sgpr_queue_ptr 0
		.amdhsa_user_sgpr_kernarg_segment_ptr 1
		.amdhsa_user_sgpr_dispatch_id 0
		.amdhsa_user_sgpr_flat_scratch_init 0
		.amdhsa_user_sgpr_kernarg_preload_length 0
		.amdhsa_user_sgpr_kernarg_preload_offset 0
		.amdhsa_user_sgpr_private_segment_size 0
		.amdhsa_uses_dynamic_stack 0
		.amdhsa_system_sgpr_private_segment_wavefront_offset 0
		.amdhsa_system_sgpr_workgroup_id_x 1
		.amdhsa_system_sgpr_workgroup_id_y 0
		.amdhsa_system_sgpr_workgroup_id_z 0
		.amdhsa_system_sgpr_workgroup_info 0
		.amdhsa_system_vgpr_workitem_id 0
		.amdhsa_next_free_vgpr 1
		.amdhsa_next_free_sgpr 0
		.amdhsa_accum_offset 4
		.amdhsa_reserve_vcc 0
		.amdhsa_reserve_flat_scratch 0
		.amdhsa_float_round_mode_32 0
		.amdhsa_float_round_mode_16_64 0
		.amdhsa_float_denorm_mode_32 3
		.amdhsa_float_denorm_mode_16_64 3
		.amdhsa_dx10_clamp 1
		.amdhsa_ieee_mode 1
		.amdhsa_fp16_overflow 0
		.amdhsa_tg_split 0
		.amdhsa_exception_fp_ieee_invalid_op 0
		.amdhsa_exception_fp_denorm_src 0
		.amdhsa_exception_fp_ieee_div_zero 0
		.amdhsa_exception_fp_ieee_overflow 0
		.amdhsa_exception_fp_ieee_underflow 0
		.amdhsa_exception_fp_ieee_inexact 0
		.amdhsa_exception_int_div_zero 0
	.end_amdhsa_kernel
	.section	.text._ZN7rocprim17ROCPRIM_400000_NS6detail17trampoline_kernelINS0_14default_configENS1_38merge_sort_block_merge_config_selectorImNS0_10empty_typeEEEZZNS1_27merge_sort_block_merge_implIS3_PmPS5_jNS1_19radix_merge_compareILb0ELb1EmNS0_19identity_decomposerEEEEE10hipError_tT0_T1_T2_jT3_P12ihipStream_tbPNSt15iterator_traitsISE_E10value_typeEPNSK_ISF_E10value_typeEPSG_NS1_7vsmem_tEENKUlT_SE_SF_SG_E_clIS8_S8_S9_S9_EESD_ST_SE_SF_SG_EUlST_E0_NS1_11comp_targetILNS1_3genE2ELNS1_11target_archE906ELNS1_3gpuE6ELNS1_3repE0EEENS1_38merge_mergepath_config_static_selectorELNS0_4arch9wavefront6targetE1EEEvSF_,"axG",@progbits,_ZN7rocprim17ROCPRIM_400000_NS6detail17trampoline_kernelINS0_14default_configENS1_38merge_sort_block_merge_config_selectorImNS0_10empty_typeEEEZZNS1_27merge_sort_block_merge_implIS3_PmPS5_jNS1_19radix_merge_compareILb0ELb1EmNS0_19identity_decomposerEEEEE10hipError_tT0_T1_T2_jT3_P12ihipStream_tbPNSt15iterator_traitsISE_E10value_typeEPNSK_ISF_E10value_typeEPSG_NS1_7vsmem_tEENKUlT_SE_SF_SG_E_clIS8_S8_S9_S9_EESD_ST_SE_SF_SG_EUlST_E0_NS1_11comp_targetILNS1_3genE2ELNS1_11target_archE906ELNS1_3gpuE6ELNS1_3repE0EEENS1_38merge_mergepath_config_static_selectorELNS0_4arch9wavefront6targetE1EEEvSF_,comdat
.Lfunc_end951:
	.size	_ZN7rocprim17ROCPRIM_400000_NS6detail17trampoline_kernelINS0_14default_configENS1_38merge_sort_block_merge_config_selectorImNS0_10empty_typeEEEZZNS1_27merge_sort_block_merge_implIS3_PmPS5_jNS1_19radix_merge_compareILb0ELb1EmNS0_19identity_decomposerEEEEE10hipError_tT0_T1_T2_jT3_P12ihipStream_tbPNSt15iterator_traitsISE_E10value_typeEPNSK_ISF_E10value_typeEPSG_NS1_7vsmem_tEENKUlT_SE_SF_SG_E_clIS8_S8_S9_S9_EESD_ST_SE_SF_SG_EUlST_E0_NS1_11comp_targetILNS1_3genE2ELNS1_11target_archE906ELNS1_3gpuE6ELNS1_3repE0EEENS1_38merge_mergepath_config_static_selectorELNS0_4arch9wavefront6targetE1EEEvSF_, .Lfunc_end951-_ZN7rocprim17ROCPRIM_400000_NS6detail17trampoline_kernelINS0_14default_configENS1_38merge_sort_block_merge_config_selectorImNS0_10empty_typeEEEZZNS1_27merge_sort_block_merge_implIS3_PmPS5_jNS1_19radix_merge_compareILb0ELb1EmNS0_19identity_decomposerEEEEE10hipError_tT0_T1_T2_jT3_P12ihipStream_tbPNSt15iterator_traitsISE_E10value_typeEPNSK_ISF_E10value_typeEPSG_NS1_7vsmem_tEENKUlT_SE_SF_SG_E_clIS8_S8_S9_S9_EESD_ST_SE_SF_SG_EUlST_E0_NS1_11comp_targetILNS1_3genE2ELNS1_11target_archE906ELNS1_3gpuE6ELNS1_3repE0EEENS1_38merge_mergepath_config_static_selectorELNS0_4arch9wavefront6targetE1EEEvSF_
                                        ; -- End function
	.section	.AMDGPU.csdata,"",@progbits
; Kernel info:
; codeLenInByte = 0
; NumSgprs: 4
; NumVgprs: 0
; NumAgprs: 0
; TotalNumVgprs: 0
; ScratchSize: 0
; MemoryBound: 0
; FloatMode: 240
; IeeeMode: 1
; LDSByteSize: 0 bytes/workgroup (compile time only)
; SGPRBlocks: 0
; VGPRBlocks: 0
; NumSGPRsForWavesPerEU: 4
; NumVGPRsForWavesPerEU: 1
; AccumOffset: 4
; Occupancy: 8
; WaveLimiterHint : 0
; COMPUTE_PGM_RSRC2:SCRATCH_EN: 0
; COMPUTE_PGM_RSRC2:USER_SGPR: 6
; COMPUTE_PGM_RSRC2:TRAP_HANDLER: 0
; COMPUTE_PGM_RSRC2:TGID_X_EN: 1
; COMPUTE_PGM_RSRC2:TGID_Y_EN: 0
; COMPUTE_PGM_RSRC2:TGID_Z_EN: 0
; COMPUTE_PGM_RSRC2:TIDIG_COMP_CNT: 0
; COMPUTE_PGM_RSRC3_GFX90A:ACCUM_OFFSET: 0
; COMPUTE_PGM_RSRC3_GFX90A:TG_SPLIT: 0
	.section	.text._ZN7rocprim17ROCPRIM_400000_NS6detail17trampoline_kernelINS0_14default_configENS1_38merge_sort_block_merge_config_selectorImNS0_10empty_typeEEEZZNS1_27merge_sort_block_merge_implIS3_PmPS5_jNS1_19radix_merge_compareILb0ELb1EmNS0_19identity_decomposerEEEEE10hipError_tT0_T1_T2_jT3_P12ihipStream_tbPNSt15iterator_traitsISE_E10value_typeEPNSK_ISF_E10value_typeEPSG_NS1_7vsmem_tEENKUlT_SE_SF_SG_E_clIS8_S8_S9_S9_EESD_ST_SE_SF_SG_EUlST_E0_NS1_11comp_targetILNS1_3genE9ELNS1_11target_archE1100ELNS1_3gpuE3ELNS1_3repE0EEENS1_38merge_mergepath_config_static_selectorELNS0_4arch9wavefront6targetE1EEEvSF_,"axG",@progbits,_ZN7rocprim17ROCPRIM_400000_NS6detail17trampoline_kernelINS0_14default_configENS1_38merge_sort_block_merge_config_selectorImNS0_10empty_typeEEEZZNS1_27merge_sort_block_merge_implIS3_PmPS5_jNS1_19radix_merge_compareILb0ELb1EmNS0_19identity_decomposerEEEEE10hipError_tT0_T1_T2_jT3_P12ihipStream_tbPNSt15iterator_traitsISE_E10value_typeEPNSK_ISF_E10value_typeEPSG_NS1_7vsmem_tEENKUlT_SE_SF_SG_E_clIS8_S8_S9_S9_EESD_ST_SE_SF_SG_EUlST_E0_NS1_11comp_targetILNS1_3genE9ELNS1_11target_archE1100ELNS1_3gpuE3ELNS1_3repE0EEENS1_38merge_mergepath_config_static_selectorELNS0_4arch9wavefront6targetE1EEEvSF_,comdat
	.protected	_ZN7rocprim17ROCPRIM_400000_NS6detail17trampoline_kernelINS0_14default_configENS1_38merge_sort_block_merge_config_selectorImNS0_10empty_typeEEEZZNS1_27merge_sort_block_merge_implIS3_PmPS5_jNS1_19radix_merge_compareILb0ELb1EmNS0_19identity_decomposerEEEEE10hipError_tT0_T1_T2_jT3_P12ihipStream_tbPNSt15iterator_traitsISE_E10value_typeEPNSK_ISF_E10value_typeEPSG_NS1_7vsmem_tEENKUlT_SE_SF_SG_E_clIS8_S8_S9_S9_EESD_ST_SE_SF_SG_EUlST_E0_NS1_11comp_targetILNS1_3genE9ELNS1_11target_archE1100ELNS1_3gpuE3ELNS1_3repE0EEENS1_38merge_mergepath_config_static_selectorELNS0_4arch9wavefront6targetE1EEEvSF_ ; -- Begin function _ZN7rocprim17ROCPRIM_400000_NS6detail17trampoline_kernelINS0_14default_configENS1_38merge_sort_block_merge_config_selectorImNS0_10empty_typeEEEZZNS1_27merge_sort_block_merge_implIS3_PmPS5_jNS1_19radix_merge_compareILb0ELb1EmNS0_19identity_decomposerEEEEE10hipError_tT0_T1_T2_jT3_P12ihipStream_tbPNSt15iterator_traitsISE_E10value_typeEPNSK_ISF_E10value_typeEPSG_NS1_7vsmem_tEENKUlT_SE_SF_SG_E_clIS8_S8_S9_S9_EESD_ST_SE_SF_SG_EUlST_E0_NS1_11comp_targetILNS1_3genE9ELNS1_11target_archE1100ELNS1_3gpuE3ELNS1_3repE0EEENS1_38merge_mergepath_config_static_selectorELNS0_4arch9wavefront6targetE1EEEvSF_
	.globl	_ZN7rocprim17ROCPRIM_400000_NS6detail17trampoline_kernelINS0_14default_configENS1_38merge_sort_block_merge_config_selectorImNS0_10empty_typeEEEZZNS1_27merge_sort_block_merge_implIS3_PmPS5_jNS1_19radix_merge_compareILb0ELb1EmNS0_19identity_decomposerEEEEE10hipError_tT0_T1_T2_jT3_P12ihipStream_tbPNSt15iterator_traitsISE_E10value_typeEPNSK_ISF_E10value_typeEPSG_NS1_7vsmem_tEENKUlT_SE_SF_SG_E_clIS8_S8_S9_S9_EESD_ST_SE_SF_SG_EUlST_E0_NS1_11comp_targetILNS1_3genE9ELNS1_11target_archE1100ELNS1_3gpuE3ELNS1_3repE0EEENS1_38merge_mergepath_config_static_selectorELNS0_4arch9wavefront6targetE1EEEvSF_
	.p2align	8
	.type	_ZN7rocprim17ROCPRIM_400000_NS6detail17trampoline_kernelINS0_14default_configENS1_38merge_sort_block_merge_config_selectorImNS0_10empty_typeEEEZZNS1_27merge_sort_block_merge_implIS3_PmPS5_jNS1_19radix_merge_compareILb0ELb1EmNS0_19identity_decomposerEEEEE10hipError_tT0_T1_T2_jT3_P12ihipStream_tbPNSt15iterator_traitsISE_E10value_typeEPNSK_ISF_E10value_typeEPSG_NS1_7vsmem_tEENKUlT_SE_SF_SG_E_clIS8_S8_S9_S9_EESD_ST_SE_SF_SG_EUlST_E0_NS1_11comp_targetILNS1_3genE9ELNS1_11target_archE1100ELNS1_3gpuE3ELNS1_3repE0EEENS1_38merge_mergepath_config_static_selectorELNS0_4arch9wavefront6targetE1EEEvSF_,@function
_ZN7rocprim17ROCPRIM_400000_NS6detail17trampoline_kernelINS0_14default_configENS1_38merge_sort_block_merge_config_selectorImNS0_10empty_typeEEEZZNS1_27merge_sort_block_merge_implIS3_PmPS5_jNS1_19radix_merge_compareILb0ELb1EmNS0_19identity_decomposerEEEEE10hipError_tT0_T1_T2_jT3_P12ihipStream_tbPNSt15iterator_traitsISE_E10value_typeEPNSK_ISF_E10value_typeEPSG_NS1_7vsmem_tEENKUlT_SE_SF_SG_E_clIS8_S8_S9_S9_EESD_ST_SE_SF_SG_EUlST_E0_NS1_11comp_targetILNS1_3genE9ELNS1_11target_archE1100ELNS1_3gpuE3ELNS1_3repE0EEENS1_38merge_mergepath_config_static_selectorELNS0_4arch9wavefront6targetE1EEEvSF_: ; @_ZN7rocprim17ROCPRIM_400000_NS6detail17trampoline_kernelINS0_14default_configENS1_38merge_sort_block_merge_config_selectorImNS0_10empty_typeEEEZZNS1_27merge_sort_block_merge_implIS3_PmPS5_jNS1_19radix_merge_compareILb0ELb1EmNS0_19identity_decomposerEEEEE10hipError_tT0_T1_T2_jT3_P12ihipStream_tbPNSt15iterator_traitsISE_E10value_typeEPNSK_ISF_E10value_typeEPSG_NS1_7vsmem_tEENKUlT_SE_SF_SG_E_clIS8_S8_S9_S9_EESD_ST_SE_SF_SG_EUlST_E0_NS1_11comp_targetILNS1_3genE9ELNS1_11target_archE1100ELNS1_3gpuE3ELNS1_3repE0EEENS1_38merge_mergepath_config_static_selectorELNS0_4arch9wavefront6targetE1EEEvSF_
; %bb.0:
	.section	.rodata,"a",@progbits
	.p2align	6, 0x0
	.amdhsa_kernel _ZN7rocprim17ROCPRIM_400000_NS6detail17trampoline_kernelINS0_14default_configENS1_38merge_sort_block_merge_config_selectorImNS0_10empty_typeEEEZZNS1_27merge_sort_block_merge_implIS3_PmPS5_jNS1_19radix_merge_compareILb0ELb1EmNS0_19identity_decomposerEEEEE10hipError_tT0_T1_T2_jT3_P12ihipStream_tbPNSt15iterator_traitsISE_E10value_typeEPNSK_ISF_E10value_typeEPSG_NS1_7vsmem_tEENKUlT_SE_SF_SG_E_clIS8_S8_S9_S9_EESD_ST_SE_SF_SG_EUlST_E0_NS1_11comp_targetILNS1_3genE9ELNS1_11target_archE1100ELNS1_3gpuE3ELNS1_3repE0EEENS1_38merge_mergepath_config_static_selectorELNS0_4arch9wavefront6targetE1EEEvSF_
		.amdhsa_group_segment_fixed_size 0
		.amdhsa_private_segment_fixed_size 0
		.amdhsa_kernarg_size 72
		.amdhsa_user_sgpr_count 6
		.amdhsa_user_sgpr_private_segment_buffer 1
		.amdhsa_user_sgpr_dispatch_ptr 0
		.amdhsa_user_sgpr_queue_ptr 0
		.amdhsa_user_sgpr_kernarg_segment_ptr 1
		.amdhsa_user_sgpr_dispatch_id 0
		.amdhsa_user_sgpr_flat_scratch_init 0
		.amdhsa_user_sgpr_kernarg_preload_length 0
		.amdhsa_user_sgpr_kernarg_preload_offset 0
		.amdhsa_user_sgpr_private_segment_size 0
		.amdhsa_uses_dynamic_stack 0
		.amdhsa_system_sgpr_private_segment_wavefront_offset 0
		.amdhsa_system_sgpr_workgroup_id_x 1
		.amdhsa_system_sgpr_workgroup_id_y 0
		.amdhsa_system_sgpr_workgroup_id_z 0
		.amdhsa_system_sgpr_workgroup_info 0
		.amdhsa_system_vgpr_workitem_id 0
		.amdhsa_next_free_vgpr 1
		.amdhsa_next_free_sgpr 0
		.amdhsa_accum_offset 4
		.amdhsa_reserve_vcc 0
		.amdhsa_reserve_flat_scratch 0
		.amdhsa_float_round_mode_32 0
		.amdhsa_float_round_mode_16_64 0
		.amdhsa_float_denorm_mode_32 3
		.amdhsa_float_denorm_mode_16_64 3
		.amdhsa_dx10_clamp 1
		.amdhsa_ieee_mode 1
		.amdhsa_fp16_overflow 0
		.amdhsa_tg_split 0
		.amdhsa_exception_fp_ieee_invalid_op 0
		.amdhsa_exception_fp_denorm_src 0
		.amdhsa_exception_fp_ieee_div_zero 0
		.amdhsa_exception_fp_ieee_overflow 0
		.amdhsa_exception_fp_ieee_underflow 0
		.amdhsa_exception_fp_ieee_inexact 0
		.amdhsa_exception_int_div_zero 0
	.end_amdhsa_kernel
	.section	.text._ZN7rocprim17ROCPRIM_400000_NS6detail17trampoline_kernelINS0_14default_configENS1_38merge_sort_block_merge_config_selectorImNS0_10empty_typeEEEZZNS1_27merge_sort_block_merge_implIS3_PmPS5_jNS1_19radix_merge_compareILb0ELb1EmNS0_19identity_decomposerEEEEE10hipError_tT0_T1_T2_jT3_P12ihipStream_tbPNSt15iterator_traitsISE_E10value_typeEPNSK_ISF_E10value_typeEPSG_NS1_7vsmem_tEENKUlT_SE_SF_SG_E_clIS8_S8_S9_S9_EESD_ST_SE_SF_SG_EUlST_E0_NS1_11comp_targetILNS1_3genE9ELNS1_11target_archE1100ELNS1_3gpuE3ELNS1_3repE0EEENS1_38merge_mergepath_config_static_selectorELNS0_4arch9wavefront6targetE1EEEvSF_,"axG",@progbits,_ZN7rocprim17ROCPRIM_400000_NS6detail17trampoline_kernelINS0_14default_configENS1_38merge_sort_block_merge_config_selectorImNS0_10empty_typeEEEZZNS1_27merge_sort_block_merge_implIS3_PmPS5_jNS1_19radix_merge_compareILb0ELb1EmNS0_19identity_decomposerEEEEE10hipError_tT0_T1_T2_jT3_P12ihipStream_tbPNSt15iterator_traitsISE_E10value_typeEPNSK_ISF_E10value_typeEPSG_NS1_7vsmem_tEENKUlT_SE_SF_SG_E_clIS8_S8_S9_S9_EESD_ST_SE_SF_SG_EUlST_E0_NS1_11comp_targetILNS1_3genE9ELNS1_11target_archE1100ELNS1_3gpuE3ELNS1_3repE0EEENS1_38merge_mergepath_config_static_selectorELNS0_4arch9wavefront6targetE1EEEvSF_,comdat
.Lfunc_end952:
	.size	_ZN7rocprim17ROCPRIM_400000_NS6detail17trampoline_kernelINS0_14default_configENS1_38merge_sort_block_merge_config_selectorImNS0_10empty_typeEEEZZNS1_27merge_sort_block_merge_implIS3_PmPS5_jNS1_19radix_merge_compareILb0ELb1EmNS0_19identity_decomposerEEEEE10hipError_tT0_T1_T2_jT3_P12ihipStream_tbPNSt15iterator_traitsISE_E10value_typeEPNSK_ISF_E10value_typeEPSG_NS1_7vsmem_tEENKUlT_SE_SF_SG_E_clIS8_S8_S9_S9_EESD_ST_SE_SF_SG_EUlST_E0_NS1_11comp_targetILNS1_3genE9ELNS1_11target_archE1100ELNS1_3gpuE3ELNS1_3repE0EEENS1_38merge_mergepath_config_static_selectorELNS0_4arch9wavefront6targetE1EEEvSF_, .Lfunc_end952-_ZN7rocprim17ROCPRIM_400000_NS6detail17trampoline_kernelINS0_14default_configENS1_38merge_sort_block_merge_config_selectorImNS0_10empty_typeEEEZZNS1_27merge_sort_block_merge_implIS3_PmPS5_jNS1_19radix_merge_compareILb0ELb1EmNS0_19identity_decomposerEEEEE10hipError_tT0_T1_T2_jT3_P12ihipStream_tbPNSt15iterator_traitsISE_E10value_typeEPNSK_ISF_E10value_typeEPSG_NS1_7vsmem_tEENKUlT_SE_SF_SG_E_clIS8_S8_S9_S9_EESD_ST_SE_SF_SG_EUlST_E0_NS1_11comp_targetILNS1_3genE9ELNS1_11target_archE1100ELNS1_3gpuE3ELNS1_3repE0EEENS1_38merge_mergepath_config_static_selectorELNS0_4arch9wavefront6targetE1EEEvSF_
                                        ; -- End function
	.section	.AMDGPU.csdata,"",@progbits
; Kernel info:
; codeLenInByte = 0
; NumSgprs: 4
; NumVgprs: 0
; NumAgprs: 0
; TotalNumVgprs: 0
; ScratchSize: 0
; MemoryBound: 0
; FloatMode: 240
; IeeeMode: 1
; LDSByteSize: 0 bytes/workgroup (compile time only)
; SGPRBlocks: 0
; VGPRBlocks: 0
; NumSGPRsForWavesPerEU: 4
; NumVGPRsForWavesPerEU: 1
; AccumOffset: 4
; Occupancy: 8
; WaveLimiterHint : 0
; COMPUTE_PGM_RSRC2:SCRATCH_EN: 0
; COMPUTE_PGM_RSRC2:USER_SGPR: 6
; COMPUTE_PGM_RSRC2:TRAP_HANDLER: 0
; COMPUTE_PGM_RSRC2:TGID_X_EN: 1
; COMPUTE_PGM_RSRC2:TGID_Y_EN: 0
; COMPUTE_PGM_RSRC2:TGID_Z_EN: 0
; COMPUTE_PGM_RSRC2:TIDIG_COMP_CNT: 0
; COMPUTE_PGM_RSRC3_GFX90A:ACCUM_OFFSET: 0
; COMPUTE_PGM_RSRC3_GFX90A:TG_SPLIT: 0
	.section	.text._ZN7rocprim17ROCPRIM_400000_NS6detail17trampoline_kernelINS0_14default_configENS1_38merge_sort_block_merge_config_selectorImNS0_10empty_typeEEEZZNS1_27merge_sort_block_merge_implIS3_PmPS5_jNS1_19radix_merge_compareILb0ELb1EmNS0_19identity_decomposerEEEEE10hipError_tT0_T1_T2_jT3_P12ihipStream_tbPNSt15iterator_traitsISE_E10value_typeEPNSK_ISF_E10value_typeEPSG_NS1_7vsmem_tEENKUlT_SE_SF_SG_E_clIS8_S8_S9_S9_EESD_ST_SE_SF_SG_EUlST_E0_NS1_11comp_targetILNS1_3genE8ELNS1_11target_archE1030ELNS1_3gpuE2ELNS1_3repE0EEENS1_38merge_mergepath_config_static_selectorELNS0_4arch9wavefront6targetE1EEEvSF_,"axG",@progbits,_ZN7rocprim17ROCPRIM_400000_NS6detail17trampoline_kernelINS0_14default_configENS1_38merge_sort_block_merge_config_selectorImNS0_10empty_typeEEEZZNS1_27merge_sort_block_merge_implIS3_PmPS5_jNS1_19radix_merge_compareILb0ELb1EmNS0_19identity_decomposerEEEEE10hipError_tT0_T1_T2_jT3_P12ihipStream_tbPNSt15iterator_traitsISE_E10value_typeEPNSK_ISF_E10value_typeEPSG_NS1_7vsmem_tEENKUlT_SE_SF_SG_E_clIS8_S8_S9_S9_EESD_ST_SE_SF_SG_EUlST_E0_NS1_11comp_targetILNS1_3genE8ELNS1_11target_archE1030ELNS1_3gpuE2ELNS1_3repE0EEENS1_38merge_mergepath_config_static_selectorELNS0_4arch9wavefront6targetE1EEEvSF_,comdat
	.protected	_ZN7rocprim17ROCPRIM_400000_NS6detail17trampoline_kernelINS0_14default_configENS1_38merge_sort_block_merge_config_selectorImNS0_10empty_typeEEEZZNS1_27merge_sort_block_merge_implIS3_PmPS5_jNS1_19radix_merge_compareILb0ELb1EmNS0_19identity_decomposerEEEEE10hipError_tT0_T1_T2_jT3_P12ihipStream_tbPNSt15iterator_traitsISE_E10value_typeEPNSK_ISF_E10value_typeEPSG_NS1_7vsmem_tEENKUlT_SE_SF_SG_E_clIS8_S8_S9_S9_EESD_ST_SE_SF_SG_EUlST_E0_NS1_11comp_targetILNS1_3genE8ELNS1_11target_archE1030ELNS1_3gpuE2ELNS1_3repE0EEENS1_38merge_mergepath_config_static_selectorELNS0_4arch9wavefront6targetE1EEEvSF_ ; -- Begin function _ZN7rocprim17ROCPRIM_400000_NS6detail17trampoline_kernelINS0_14default_configENS1_38merge_sort_block_merge_config_selectorImNS0_10empty_typeEEEZZNS1_27merge_sort_block_merge_implIS3_PmPS5_jNS1_19radix_merge_compareILb0ELb1EmNS0_19identity_decomposerEEEEE10hipError_tT0_T1_T2_jT3_P12ihipStream_tbPNSt15iterator_traitsISE_E10value_typeEPNSK_ISF_E10value_typeEPSG_NS1_7vsmem_tEENKUlT_SE_SF_SG_E_clIS8_S8_S9_S9_EESD_ST_SE_SF_SG_EUlST_E0_NS1_11comp_targetILNS1_3genE8ELNS1_11target_archE1030ELNS1_3gpuE2ELNS1_3repE0EEENS1_38merge_mergepath_config_static_selectorELNS0_4arch9wavefront6targetE1EEEvSF_
	.globl	_ZN7rocprim17ROCPRIM_400000_NS6detail17trampoline_kernelINS0_14default_configENS1_38merge_sort_block_merge_config_selectorImNS0_10empty_typeEEEZZNS1_27merge_sort_block_merge_implIS3_PmPS5_jNS1_19radix_merge_compareILb0ELb1EmNS0_19identity_decomposerEEEEE10hipError_tT0_T1_T2_jT3_P12ihipStream_tbPNSt15iterator_traitsISE_E10value_typeEPNSK_ISF_E10value_typeEPSG_NS1_7vsmem_tEENKUlT_SE_SF_SG_E_clIS8_S8_S9_S9_EESD_ST_SE_SF_SG_EUlST_E0_NS1_11comp_targetILNS1_3genE8ELNS1_11target_archE1030ELNS1_3gpuE2ELNS1_3repE0EEENS1_38merge_mergepath_config_static_selectorELNS0_4arch9wavefront6targetE1EEEvSF_
	.p2align	8
	.type	_ZN7rocprim17ROCPRIM_400000_NS6detail17trampoline_kernelINS0_14default_configENS1_38merge_sort_block_merge_config_selectorImNS0_10empty_typeEEEZZNS1_27merge_sort_block_merge_implIS3_PmPS5_jNS1_19radix_merge_compareILb0ELb1EmNS0_19identity_decomposerEEEEE10hipError_tT0_T1_T2_jT3_P12ihipStream_tbPNSt15iterator_traitsISE_E10value_typeEPNSK_ISF_E10value_typeEPSG_NS1_7vsmem_tEENKUlT_SE_SF_SG_E_clIS8_S8_S9_S9_EESD_ST_SE_SF_SG_EUlST_E0_NS1_11comp_targetILNS1_3genE8ELNS1_11target_archE1030ELNS1_3gpuE2ELNS1_3repE0EEENS1_38merge_mergepath_config_static_selectorELNS0_4arch9wavefront6targetE1EEEvSF_,@function
_ZN7rocprim17ROCPRIM_400000_NS6detail17trampoline_kernelINS0_14default_configENS1_38merge_sort_block_merge_config_selectorImNS0_10empty_typeEEEZZNS1_27merge_sort_block_merge_implIS3_PmPS5_jNS1_19radix_merge_compareILb0ELb1EmNS0_19identity_decomposerEEEEE10hipError_tT0_T1_T2_jT3_P12ihipStream_tbPNSt15iterator_traitsISE_E10value_typeEPNSK_ISF_E10value_typeEPSG_NS1_7vsmem_tEENKUlT_SE_SF_SG_E_clIS8_S8_S9_S9_EESD_ST_SE_SF_SG_EUlST_E0_NS1_11comp_targetILNS1_3genE8ELNS1_11target_archE1030ELNS1_3gpuE2ELNS1_3repE0EEENS1_38merge_mergepath_config_static_selectorELNS0_4arch9wavefront6targetE1EEEvSF_: ; @_ZN7rocprim17ROCPRIM_400000_NS6detail17trampoline_kernelINS0_14default_configENS1_38merge_sort_block_merge_config_selectorImNS0_10empty_typeEEEZZNS1_27merge_sort_block_merge_implIS3_PmPS5_jNS1_19radix_merge_compareILb0ELb1EmNS0_19identity_decomposerEEEEE10hipError_tT0_T1_T2_jT3_P12ihipStream_tbPNSt15iterator_traitsISE_E10value_typeEPNSK_ISF_E10value_typeEPSG_NS1_7vsmem_tEENKUlT_SE_SF_SG_E_clIS8_S8_S9_S9_EESD_ST_SE_SF_SG_EUlST_E0_NS1_11comp_targetILNS1_3genE8ELNS1_11target_archE1030ELNS1_3gpuE2ELNS1_3repE0EEENS1_38merge_mergepath_config_static_selectorELNS0_4arch9wavefront6targetE1EEEvSF_
; %bb.0:
	.section	.rodata,"a",@progbits
	.p2align	6, 0x0
	.amdhsa_kernel _ZN7rocprim17ROCPRIM_400000_NS6detail17trampoline_kernelINS0_14default_configENS1_38merge_sort_block_merge_config_selectorImNS0_10empty_typeEEEZZNS1_27merge_sort_block_merge_implIS3_PmPS5_jNS1_19radix_merge_compareILb0ELb1EmNS0_19identity_decomposerEEEEE10hipError_tT0_T1_T2_jT3_P12ihipStream_tbPNSt15iterator_traitsISE_E10value_typeEPNSK_ISF_E10value_typeEPSG_NS1_7vsmem_tEENKUlT_SE_SF_SG_E_clIS8_S8_S9_S9_EESD_ST_SE_SF_SG_EUlST_E0_NS1_11comp_targetILNS1_3genE8ELNS1_11target_archE1030ELNS1_3gpuE2ELNS1_3repE0EEENS1_38merge_mergepath_config_static_selectorELNS0_4arch9wavefront6targetE1EEEvSF_
		.amdhsa_group_segment_fixed_size 0
		.amdhsa_private_segment_fixed_size 0
		.amdhsa_kernarg_size 72
		.amdhsa_user_sgpr_count 6
		.amdhsa_user_sgpr_private_segment_buffer 1
		.amdhsa_user_sgpr_dispatch_ptr 0
		.amdhsa_user_sgpr_queue_ptr 0
		.amdhsa_user_sgpr_kernarg_segment_ptr 1
		.amdhsa_user_sgpr_dispatch_id 0
		.amdhsa_user_sgpr_flat_scratch_init 0
		.amdhsa_user_sgpr_kernarg_preload_length 0
		.amdhsa_user_sgpr_kernarg_preload_offset 0
		.amdhsa_user_sgpr_private_segment_size 0
		.amdhsa_uses_dynamic_stack 0
		.amdhsa_system_sgpr_private_segment_wavefront_offset 0
		.amdhsa_system_sgpr_workgroup_id_x 1
		.amdhsa_system_sgpr_workgroup_id_y 0
		.amdhsa_system_sgpr_workgroup_id_z 0
		.amdhsa_system_sgpr_workgroup_info 0
		.amdhsa_system_vgpr_workitem_id 0
		.amdhsa_next_free_vgpr 1
		.amdhsa_next_free_sgpr 0
		.amdhsa_accum_offset 4
		.amdhsa_reserve_vcc 0
		.amdhsa_reserve_flat_scratch 0
		.amdhsa_float_round_mode_32 0
		.amdhsa_float_round_mode_16_64 0
		.amdhsa_float_denorm_mode_32 3
		.amdhsa_float_denorm_mode_16_64 3
		.amdhsa_dx10_clamp 1
		.amdhsa_ieee_mode 1
		.amdhsa_fp16_overflow 0
		.amdhsa_tg_split 0
		.amdhsa_exception_fp_ieee_invalid_op 0
		.amdhsa_exception_fp_denorm_src 0
		.amdhsa_exception_fp_ieee_div_zero 0
		.amdhsa_exception_fp_ieee_overflow 0
		.amdhsa_exception_fp_ieee_underflow 0
		.amdhsa_exception_fp_ieee_inexact 0
		.amdhsa_exception_int_div_zero 0
	.end_amdhsa_kernel
	.section	.text._ZN7rocprim17ROCPRIM_400000_NS6detail17trampoline_kernelINS0_14default_configENS1_38merge_sort_block_merge_config_selectorImNS0_10empty_typeEEEZZNS1_27merge_sort_block_merge_implIS3_PmPS5_jNS1_19radix_merge_compareILb0ELb1EmNS0_19identity_decomposerEEEEE10hipError_tT0_T1_T2_jT3_P12ihipStream_tbPNSt15iterator_traitsISE_E10value_typeEPNSK_ISF_E10value_typeEPSG_NS1_7vsmem_tEENKUlT_SE_SF_SG_E_clIS8_S8_S9_S9_EESD_ST_SE_SF_SG_EUlST_E0_NS1_11comp_targetILNS1_3genE8ELNS1_11target_archE1030ELNS1_3gpuE2ELNS1_3repE0EEENS1_38merge_mergepath_config_static_selectorELNS0_4arch9wavefront6targetE1EEEvSF_,"axG",@progbits,_ZN7rocprim17ROCPRIM_400000_NS6detail17trampoline_kernelINS0_14default_configENS1_38merge_sort_block_merge_config_selectorImNS0_10empty_typeEEEZZNS1_27merge_sort_block_merge_implIS3_PmPS5_jNS1_19radix_merge_compareILb0ELb1EmNS0_19identity_decomposerEEEEE10hipError_tT0_T1_T2_jT3_P12ihipStream_tbPNSt15iterator_traitsISE_E10value_typeEPNSK_ISF_E10value_typeEPSG_NS1_7vsmem_tEENKUlT_SE_SF_SG_E_clIS8_S8_S9_S9_EESD_ST_SE_SF_SG_EUlST_E0_NS1_11comp_targetILNS1_3genE8ELNS1_11target_archE1030ELNS1_3gpuE2ELNS1_3repE0EEENS1_38merge_mergepath_config_static_selectorELNS0_4arch9wavefront6targetE1EEEvSF_,comdat
.Lfunc_end953:
	.size	_ZN7rocprim17ROCPRIM_400000_NS6detail17trampoline_kernelINS0_14default_configENS1_38merge_sort_block_merge_config_selectorImNS0_10empty_typeEEEZZNS1_27merge_sort_block_merge_implIS3_PmPS5_jNS1_19radix_merge_compareILb0ELb1EmNS0_19identity_decomposerEEEEE10hipError_tT0_T1_T2_jT3_P12ihipStream_tbPNSt15iterator_traitsISE_E10value_typeEPNSK_ISF_E10value_typeEPSG_NS1_7vsmem_tEENKUlT_SE_SF_SG_E_clIS8_S8_S9_S9_EESD_ST_SE_SF_SG_EUlST_E0_NS1_11comp_targetILNS1_3genE8ELNS1_11target_archE1030ELNS1_3gpuE2ELNS1_3repE0EEENS1_38merge_mergepath_config_static_selectorELNS0_4arch9wavefront6targetE1EEEvSF_, .Lfunc_end953-_ZN7rocprim17ROCPRIM_400000_NS6detail17trampoline_kernelINS0_14default_configENS1_38merge_sort_block_merge_config_selectorImNS0_10empty_typeEEEZZNS1_27merge_sort_block_merge_implIS3_PmPS5_jNS1_19radix_merge_compareILb0ELb1EmNS0_19identity_decomposerEEEEE10hipError_tT0_T1_T2_jT3_P12ihipStream_tbPNSt15iterator_traitsISE_E10value_typeEPNSK_ISF_E10value_typeEPSG_NS1_7vsmem_tEENKUlT_SE_SF_SG_E_clIS8_S8_S9_S9_EESD_ST_SE_SF_SG_EUlST_E0_NS1_11comp_targetILNS1_3genE8ELNS1_11target_archE1030ELNS1_3gpuE2ELNS1_3repE0EEENS1_38merge_mergepath_config_static_selectorELNS0_4arch9wavefront6targetE1EEEvSF_
                                        ; -- End function
	.section	.AMDGPU.csdata,"",@progbits
; Kernel info:
; codeLenInByte = 0
; NumSgprs: 4
; NumVgprs: 0
; NumAgprs: 0
; TotalNumVgprs: 0
; ScratchSize: 0
; MemoryBound: 0
; FloatMode: 240
; IeeeMode: 1
; LDSByteSize: 0 bytes/workgroup (compile time only)
; SGPRBlocks: 0
; VGPRBlocks: 0
; NumSGPRsForWavesPerEU: 4
; NumVGPRsForWavesPerEU: 1
; AccumOffset: 4
; Occupancy: 8
; WaveLimiterHint : 0
; COMPUTE_PGM_RSRC2:SCRATCH_EN: 0
; COMPUTE_PGM_RSRC2:USER_SGPR: 6
; COMPUTE_PGM_RSRC2:TRAP_HANDLER: 0
; COMPUTE_PGM_RSRC2:TGID_X_EN: 1
; COMPUTE_PGM_RSRC2:TGID_Y_EN: 0
; COMPUTE_PGM_RSRC2:TGID_Z_EN: 0
; COMPUTE_PGM_RSRC2:TIDIG_COMP_CNT: 0
; COMPUTE_PGM_RSRC3_GFX90A:ACCUM_OFFSET: 0
; COMPUTE_PGM_RSRC3_GFX90A:TG_SPLIT: 0
	.section	.text._ZN7rocprim17ROCPRIM_400000_NS6detail17trampoline_kernelINS0_14default_configENS1_38merge_sort_block_merge_config_selectorImNS0_10empty_typeEEEZZNS1_27merge_sort_block_merge_implIS3_PmPS5_jNS1_19radix_merge_compareILb0ELb1EmNS0_19identity_decomposerEEEEE10hipError_tT0_T1_T2_jT3_P12ihipStream_tbPNSt15iterator_traitsISE_E10value_typeEPNSK_ISF_E10value_typeEPSG_NS1_7vsmem_tEENKUlT_SE_SF_SG_E_clIS8_S8_S9_S9_EESD_ST_SE_SF_SG_EUlST_E1_NS1_11comp_targetILNS1_3genE0ELNS1_11target_archE4294967295ELNS1_3gpuE0ELNS1_3repE0EEENS1_36merge_oddeven_config_static_selectorELNS0_4arch9wavefront6targetE1EEEvSF_,"axG",@progbits,_ZN7rocprim17ROCPRIM_400000_NS6detail17trampoline_kernelINS0_14default_configENS1_38merge_sort_block_merge_config_selectorImNS0_10empty_typeEEEZZNS1_27merge_sort_block_merge_implIS3_PmPS5_jNS1_19radix_merge_compareILb0ELb1EmNS0_19identity_decomposerEEEEE10hipError_tT0_T1_T2_jT3_P12ihipStream_tbPNSt15iterator_traitsISE_E10value_typeEPNSK_ISF_E10value_typeEPSG_NS1_7vsmem_tEENKUlT_SE_SF_SG_E_clIS8_S8_S9_S9_EESD_ST_SE_SF_SG_EUlST_E1_NS1_11comp_targetILNS1_3genE0ELNS1_11target_archE4294967295ELNS1_3gpuE0ELNS1_3repE0EEENS1_36merge_oddeven_config_static_selectorELNS0_4arch9wavefront6targetE1EEEvSF_,comdat
	.protected	_ZN7rocprim17ROCPRIM_400000_NS6detail17trampoline_kernelINS0_14default_configENS1_38merge_sort_block_merge_config_selectorImNS0_10empty_typeEEEZZNS1_27merge_sort_block_merge_implIS3_PmPS5_jNS1_19radix_merge_compareILb0ELb1EmNS0_19identity_decomposerEEEEE10hipError_tT0_T1_T2_jT3_P12ihipStream_tbPNSt15iterator_traitsISE_E10value_typeEPNSK_ISF_E10value_typeEPSG_NS1_7vsmem_tEENKUlT_SE_SF_SG_E_clIS8_S8_S9_S9_EESD_ST_SE_SF_SG_EUlST_E1_NS1_11comp_targetILNS1_3genE0ELNS1_11target_archE4294967295ELNS1_3gpuE0ELNS1_3repE0EEENS1_36merge_oddeven_config_static_selectorELNS0_4arch9wavefront6targetE1EEEvSF_ ; -- Begin function _ZN7rocprim17ROCPRIM_400000_NS6detail17trampoline_kernelINS0_14default_configENS1_38merge_sort_block_merge_config_selectorImNS0_10empty_typeEEEZZNS1_27merge_sort_block_merge_implIS3_PmPS5_jNS1_19radix_merge_compareILb0ELb1EmNS0_19identity_decomposerEEEEE10hipError_tT0_T1_T2_jT3_P12ihipStream_tbPNSt15iterator_traitsISE_E10value_typeEPNSK_ISF_E10value_typeEPSG_NS1_7vsmem_tEENKUlT_SE_SF_SG_E_clIS8_S8_S9_S9_EESD_ST_SE_SF_SG_EUlST_E1_NS1_11comp_targetILNS1_3genE0ELNS1_11target_archE4294967295ELNS1_3gpuE0ELNS1_3repE0EEENS1_36merge_oddeven_config_static_selectorELNS0_4arch9wavefront6targetE1EEEvSF_
	.globl	_ZN7rocprim17ROCPRIM_400000_NS6detail17trampoline_kernelINS0_14default_configENS1_38merge_sort_block_merge_config_selectorImNS0_10empty_typeEEEZZNS1_27merge_sort_block_merge_implIS3_PmPS5_jNS1_19radix_merge_compareILb0ELb1EmNS0_19identity_decomposerEEEEE10hipError_tT0_T1_T2_jT3_P12ihipStream_tbPNSt15iterator_traitsISE_E10value_typeEPNSK_ISF_E10value_typeEPSG_NS1_7vsmem_tEENKUlT_SE_SF_SG_E_clIS8_S8_S9_S9_EESD_ST_SE_SF_SG_EUlST_E1_NS1_11comp_targetILNS1_3genE0ELNS1_11target_archE4294967295ELNS1_3gpuE0ELNS1_3repE0EEENS1_36merge_oddeven_config_static_selectorELNS0_4arch9wavefront6targetE1EEEvSF_
	.p2align	8
	.type	_ZN7rocprim17ROCPRIM_400000_NS6detail17trampoline_kernelINS0_14default_configENS1_38merge_sort_block_merge_config_selectorImNS0_10empty_typeEEEZZNS1_27merge_sort_block_merge_implIS3_PmPS5_jNS1_19radix_merge_compareILb0ELb1EmNS0_19identity_decomposerEEEEE10hipError_tT0_T1_T2_jT3_P12ihipStream_tbPNSt15iterator_traitsISE_E10value_typeEPNSK_ISF_E10value_typeEPSG_NS1_7vsmem_tEENKUlT_SE_SF_SG_E_clIS8_S8_S9_S9_EESD_ST_SE_SF_SG_EUlST_E1_NS1_11comp_targetILNS1_3genE0ELNS1_11target_archE4294967295ELNS1_3gpuE0ELNS1_3repE0EEENS1_36merge_oddeven_config_static_selectorELNS0_4arch9wavefront6targetE1EEEvSF_,@function
_ZN7rocprim17ROCPRIM_400000_NS6detail17trampoline_kernelINS0_14default_configENS1_38merge_sort_block_merge_config_selectorImNS0_10empty_typeEEEZZNS1_27merge_sort_block_merge_implIS3_PmPS5_jNS1_19radix_merge_compareILb0ELb1EmNS0_19identity_decomposerEEEEE10hipError_tT0_T1_T2_jT3_P12ihipStream_tbPNSt15iterator_traitsISE_E10value_typeEPNSK_ISF_E10value_typeEPSG_NS1_7vsmem_tEENKUlT_SE_SF_SG_E_clIS8_S8_S9_S9_EESD_ST_SE_SF_SG_EUlST_E1_NS1_11comp_targetILNS1_3genE0ELNS1_11target_archE4294967295ELNS1_3gpuE0ELNS1_3repE0EEENS1_36merge_oddeven_config_static_selectorELNS0_4arch9wavefront6targetE1EEEvSF_: ; @_ZN7rocprim17ROCPRIM_400000_NS6detail17trampoline_kernelINS0_14default_configENS1_38merge_sort_block_merge_config_selectorImNS0_10empty_typeEEEZZNS1_27merge_sort_block_merge_implIS3_PmPS5_jNS1_19radix_merge_compareILb0ELb1EmNS0_19identity_decomposerEEEEE10hipError_tT0_T1_T2_jT3_P12ihipStream_tbPNSt15iterator_traitsISE_E10value_typeEPNSK_ISF_E10value_typeEPSG_NS1_7vsmem_tEENKUlT_SE_SF_SG_E_clIS8_S8_S9_S9_EESD_ST_SE_SF_SG_EUlST_E1_NS1_11comp_targetILNS1_3genE0ELNS1_11target_archE4294967295ELNS1_3gpuE0ELNS1_3repE0EEENS1_36merge_oddeven_config_static_selectorELNS0_4arch9wavefront6targetE1EEEvSF_
; %bb.0:
	.section	.rodata,"a",@progbits
	.p2align	6, 0x0
	.amdhsa_kernel _ZN7rocprim17ROCPRIM_400000_NS6detail17trampoline_kernelINS0_14default_configENS1_38merge_sort_block_merge_config_selectorImNS0_10empty_typeEEEZZNS1_27merge_sort_block_merge_implIS3_PmPS5_jNS1_19radix_merge_compareILb0ELb1EmNS0_19identity_decomposerEEEEE10hipError_tT0_T1_T2_jT3_P12ihipStream_tbPNSt15iterator_traitsISE_E10value_typeEPNSK_ISF_E10value_typeEPSG_NS1_7vsmem_tEENKUlT_SE_SF_SG_E_clIS8_S8_S9_S9_EESD_ST_SE_SF_SG_EUlST_E1_NS1_11comp_targetILNS1_3genE0ELNS1_11target_archE4294967295ELNS1_3gpuE0ELNS1_3repE0EEENS1_36merge_oddeven_config_static_selectorELNS0_4arch9wavefront6targetE1EEEvSF_
		.amdhsa_group_segment_fixed_size 0
		.amdhsa_private_segment_fixed_size 0
		.amdhsa_kernarg_size 48
		.amdhsa_user_sgpr_count 6
		.amdhsa_user_sgpr_private_segment_buffer 1
		.amdhsa_user_sgpr_dispatch_ptr 0
		.amdhsa_user_sgpr_queue_ptr 0
		.amdhsa_user_sgpr_kernarg_segment_ptr 1
		.amdhsa_user_sgpr_dispatch_id 0
		.amdhsa_user_sgpr_flat_scratch_init 0
		.amdhsa_user_sgpr_kernarg_preload_length 0
		.amdhsa_user_sgpr_kernarg_preload_offset 0
		.amdhsa_user_sgpr_private_segment_size 0
		.amdhsa_uses_dynamic_stack 0
		.amdhsa_system_sgpr_private_segment_wavefront_offset 0
		.amdhsa_system_sgpr_workgroup_id_x 1
		.amdhsa_system_sgpr_workgroup_id_y 0
		.amdhsa_system_sgpr_workgroup_id_z 0
		.amdhsa_system_sgpr_workgroup_info 0
		.amdhsa_system_vgpr_workitem_id 0
		.amdhsa_next_free_vgpr 1
		.amdhsa_next_free_sgpr 0
		.amdhsa_accum_offset 4
		.amdhsa_reserve_vcc 0
		.amdhsa_reserve_flat_scratch 0
		.amdhsa_float_round_mode_32 0
		.amdhsa_float_round_mode_16_64 0
		.amdhsa_float_denorm_mode_32 3
		.amdhsa_float_denorm_mode_16_64 3
		.amdhsa_dx10_clamp 1
		.amdhsa_ieee_mode 1
		.amdhsa_fp16_overflow 0
		.amdhsa_tg_split 0
		.amdhsa_exception_fp_ieee_invalid_op 0
		.amdhsa_exception_fp_denorm_src 0
		.amdhsa_exception_fp_ieee_div_zero 0
		.amdhsa_exception_fp_ieee_overflow 0
		.amdhsa_exception_fp_ieee_underflow 0
		.amdhsa_exception_fp_ieee_inexact 0
		.amdhsa_exception_int_div_zero 0
	.end_amdhsa_kernel
	.section	.text._ZN7rocprim17ROCPRIM_400000_NS6detail17trampoline_kernelINS0_14default_configENS1_38merge_sort_block_merge_config_selectorImNS0_10empty_typeEEEZZNS1_27merge_sort_block_merge_implIS3_PmPS5_jNS1_19radix_merge_compareILb0ELb1EmNS0_19identity_decomposerEEEEE10hipError_tT0_T1_T2_jT3_P12ihipStream_tbPNSt15iterator_traitsISE_E10value_typeEPNSK_ISF_E10value_typeEPSG_NS1_7vsmem_tEENKUlT_SE_SF_SG_E_clIS8_S8_S9_S9_EESD_ST_SE_SF_SG_EUlST_E1_NS1_11comp_targetILNS1_3genE0ELNS1_11target_archE4294967295ELNS1_3gpuE0ELNS1_3repE0EEENS1_36merge_oddeven_config_static_selectorELNS0_4arch9wavefront6targetE1EEEvSF_,"axG",@progbits,_ZN7rocprim17ROCPRIM_400000_NS6detail17trampoline_kernelINS0_14default_configENS1_38merge_sort_block_merge_config_selectorImNS0_10empty_typeEEEZZNS1_27merge_sort_block_merge_implIS3_PmPS5_jNS1_19radix_merge_compareILb0ELb1EmNS0_19identity_decomposerEEEEE10hipError_tT0_T1_T2_jT3_P12ihipStream_tbPNSt15iterator_traitsISE_E10value_typeEPNSK_ISF_E10value_typeEPSG_NS1_7vsmem_tEENKUlT_SE_SF_SG_E_clIS8_S8_S9_S9_EESD_ST_SE_SF_SG_EUlST_E1_NS1_11comp_targetILNS1_3genE0ELNS1_11target_archE4294967295ELNS1_3gpuE0ELNS1_3repE0EEENS1_36merge_oddeven_config_static_selectorELNS0_4arch9wavefront6targetE1EEEvSF_,comdat
.Lfunc_end954:
	.size	_ZN7rocprim17ROCPRIM_400000_NS6detail17trampoline_kernelINS0_14default_configENS1_38merge_sort_block_merge_config_selectorImNS0_10empty_typeEEEZZNS1_27merge_sort_block_merge_implIS3_PmPS5_jNS1_19radix_merge_compareILb0ELb1EmNS0_19identity_decomposerEEEEE10hipError_tT0_T1_T2_jT3_P12ihipStream_tbPNSt15iterator_traitsISE_E10value_typeEPNSK_ISF_E10value_typeEPSG_NS1_7vsmem_tEENKUlT_SE_SF_SG_E_clIS8_S8_S9_S9_EESD_ST_SE_SF_SG_EUlST_E1_NS1_11comp_targetILNS1_3genE0ELNS1_11target_archE4294967295ELNS1_3gpuE0ELNS1_3repE0EEENS1_36merge_oddeven_config_static_selectorELNS0_4arch9wavefront6targetE1EEEvSF_, .Lfunc_end954-_ZN7rocprim17ROCPRIM_400000_NS6detail17trampoline_kernelINS0_14default_configENS1_38merge_sort_block_merge_config_selectorImNS0_10empty_typeEEEZZNS1_27merge_sort_block_merge_implIS3_PmPS5_jNS1_19radix_merge_compareILb0ELb1EmNS0_19identity_decomposerEEEEE10hipError_tT0_T1_T2_jT3_P12ihipStream_tbPNSt15iterator_traitsISE_E10value_typeEPNSK_ISF_E10value_typeEPSG_NS1_7vsmem_tEENKUlT_SE_SF_SG_E_clIS8_S8_S9_S9_EESD_ST_SE_SF_SG_EUlST_E1_NS1_11comp_targetILNS1_3genE0ELNS1_11target_archE4294967295ELNS1_3gpuE0ELNS1_3repE0EEENS1_36merge_oddeven_config_static_selectorELNS0_4arch9wavefront6targetE1EEEvSF_
                                        ; -- End function
	.section	.AMDGPU.csdata,"",@progbits
; Kernel info:
; codeLenInByte = 0
; NumSgprs: 4
; NumVgprs: 0
; NumAgprs: 0
; TotalNumVgprs: 0
; ScratchSize: 0
; MemoryBound: 0
; FloatMode: 240
; IeeeMode: 1
; LDSByteSize: 0 bytes/workgroup (compile time only)
; SGPRBlocks: 0
; VGPRBlocks: 0
; NumSGPRsForWavesPerEU: 4
; NumVGPRsForWavesPerEU: 1
; AccumOffset: 4
; Occupancy: 8
; WaveLimiterHint : 0
; COMPUTE_PGM_RSRC2:SCRATCH_EN: 0
; COMPUTE_PGM_RSRC2:USER_SGPR: 6
; COMPUTE_PGM_RSRC2:TRAP_HANDLER: 0
; COMPUTE_PGM_RSRC2:TGID_X_EN: 1
; COMPUTE_PGM_RSRC2:TGID_Y_EN: 0
; COMPUTE_PGM_RSRC2:TGID_Z_EN: 0
; COMPUTE_PGM_RSRC2:TIDIG_COMP_CNT: 0
; COMPUTE_PGM_RSRC3_GFX90A:ACCUM_OFFSET: 0
; COMPUTE_PGM_RSRC3_GFX90A:TG_SPLIT: 0
	.section	.text._ZN7rocprim17ROCPRIM_400000_NS6detail17trampoline_kernelINS0_14default_configENS1_38merge_sort_block_merge_config_selectorImNS0_10empty_typeEEEZZNS1_27merge_sort_block_merge_implIS3_PmPS5_jNS1_19radix_merge_compareILb0ELb1EmNS0_19identity_decomposerEEEEE10hipError_tT0_T1_T2_jT3_P12ihipStream_tbPNSt15iterator_traitsISE_E10value_typeEPNSK_ISF_E10value_typeEPSG_NS1_7vsmem_tEENKUlT_SE_SF_SG_E_clIS8_S8_S9_S9_EESD_ST_SE_SF_SG_EUlST_E1_NS1_11comp_targetILNS1_3genE10ELNS1_11target_archE1201ELNS1_3gpuE5ELNS1_3repE0EEENS1_36merge_oddeven_config_static_selectorELNS0_4arch9wavefront6targetE1EEEvSF_,"axG",@progbits,_ZN7rocprim17ROCPRIM_400000_NS6detail17trampoline_kernelINS0_14default_configENS1_38merge_sort_block_merge_config_selectorImNS0_10empty_typeEEEZZNS1_27merge_sort_block_merge_implIS3_PmPS5_jNS1_19radix_merge_compareILb0ELb1EmNS0_19identity_decomposerEEEEE10hipError_tT0_T1_T2_jT3_P12ihipStream_tbPNSt15iterator_traitsISE_E10value_typeEPNSK_ISF_E10value_typeEPSG_NS1_7vsmem_tEENKUlT_SE_SF_SG_E_clIS8_S8_S9_S9_EESD_ST_SE_SF_SG_EUlST_E1_NS1_11comp_targetILNS1_3genE10ELNS1_11target_archE1201ELNS1_3gpuE5ELNS1_3repE0EEENS1_36merge_oddeven_config_static_selectorELNS0_4arch9wavefront6targetE1EEEvSF_,comdat
	.protected	_ZN7rocprim17ROCPRIM_400000_NS6detail17trampoline_kernelINS0_14default_configENS1_38merge_sort_block_merge_config_selectorImNS0_10empty_typeEEEZZNS1_27merge_sort_block_merge_implIS3_PmPS5_jNS1_19radix_merge_compareILb0ELb1EmNS0_19identity_decomposerEEEEE10hipError_tT0_T1_T2_jT3_P12ihipStream_tbPNSt15iterator_traitsISE_E10value_typeEPNSK_ISF_E10value_typeEPSG_NS1_7vsmem_tEENKUlT_SE_SF_SG_E_clIS8_S8_S9_S9_EESD_ST_SE_SF_SG_EUlST_E1_NS1_11comp_targetILNS1_3genE10ELNS1_11target_archE1201ELNS1_3gpuE5ELNS1_3repE0EEENS1_36merge_oddeven_config_static_selectorELNS0_4arch9wavefront6targetE1EEEvSF_ ; -- Begin function _ZN7rocprim17ROCPRIM_400000_NS6detail17trampoline_kernelINS0_14default_configENS1_38merge_sort_block_merge_config_selectorImNS0_10empty_typeEEEZZNS1_27merge_sort_block_merge_implIS3_PmPS5_jNS1_19radix_merge_compareILb0ELb1EmNS0_19identity_decomposerEEEEE10hipError_tT0_T1_T2_jT3_P12ihipStream_tbPNSt15iterator_traitsISE_E10value_typeEPNSK_ISF_E10value_typeEPSG_NS1_7vsmem_tEENKUlT_SE_SF_SG_E_clIS8_S8_S9_S9_EESD_ST_SE_SF_SG_EUlST_E1_NS1_11comp_targetILNS1_3genE10ELNS1_11target_archE1201ELNS1_3gpuE5ELNS1_3repE0EEENS1_36merge_oddeven_config_static_selectorELNS0_4arch9wavefront6targetE1EEEvSF_
	.globl	_ZN7rocprim17ROCPRIM_400000_NS6detail17trampoline_kernelINS0_14default_configENS1_38merge_sort_block_merge_config_selectorImNS0_10empty_typeEEEZZNS1_27merge_sort_block_merge_implIS3_PmPS5_jNS1_19radix_merge_compareILb0ELb1EmNS0_19identity_decomposerEEEEE10hipError_tT0_T1_T2_jT3_P12ihipStream_tbPNSt15iterator_traitsISE_E10value_typeEPNSK_ISF_E10value_typeEPSG_NS1_7vsmem_tEENKUlT_SE_SF_SG_E_clIS8_S8_S9_S9_EESD_ST_SE_SF_SG_EUlST_E1_NS1_11comp_targetILNS1_3genE10ELNS1_11target_archE1201ELNS1_3gpuE5ELNS1_3repE0EEENS1_36merge_oddeven_config_static_selectorELNS0_4arch9wavefront6targetE1EEEvSF_
	.p2align	8
	.type	_ZN7rocprim17ROCPRIM_400000_NS6detail17trampoline_kernelINS0_14default_configENS1_38merge_sort_block_merge_config_selectorImNS0_10empty_typeEEEZZNS1_27merge_sort_block_merge_implIS3_PmPS5_jNS1_19radix_merge_compareILb0ELb1EmNS0_19identity_decomposerEEEEE10hipError_tT0_T1_T2_jT3_P12ihipStream_tbPNSt15iterator_traitsISE_E10value_typeEPNSK_ISF_E10value_typeEPSG_NS1_7vsmem_tEENKUlT_SE_SF_SG_E_clIS8_S8_S9_S9_EESD_ST_SE_SF_SG_EUlST_E1_NS1_11comp_targetILNS1_3genE10ELNS1_11target_archE1201ELNS1_3gpuE5ELNS1_3repE0EEENS1_36merge_oddeven_config_static_selectorELNS0_4arch9wavefront6targetE1EEEvSF_,@function
_ZN7rocprim17ROCPRIM_400000_NS6detail17trampoline_kernelINS0_14default_configENS1_38merge_sort_block_merge_config_selectorImNS0_10empty_typeEEEZZNS1_27merge_sort_block_merge_implIS3_PmPS5_jNS1_19radix_merge_compareILb0ELb1EmNS0_19identity_decomposerEEEEE10hipError_tT0_T1_T2_jT3_P12ihipStream_tbPNSt15iterator_traitsISE_E10value_typeEPNSK_ISF_E10value_typeEPSG_NS1_7vsmem_tEENKUlT_SE_SF_SG_E_clIS8_S8_S9_S9_EESD_ST_SE_SF_SG_EUlST_E1_NS1_11comp_targetILNS1_3genE10ELNS1_11target_archE1201ELNS1_3gpuE5ELNS1_3repE0EEENS1_36merge_oddeven_config_static_selectorELNS0_4arch9wavefront6targetE1EEEvSF_: ; @_ZN7rocprim17ROCPRIM_400000_NS6detail17trampoline_kernelINS0_14default_configENS1_38merge_sort_block_merge_config_selectorImNS0_10empty_typeEEEZZNS1_27merge_sort_block_merge_implIS3_PmPS5_jNS1_19radix_merge_compareILb0ELb1EmNS0_19identity_decomposerEEEEE10hipError_tT0_T1_T2_jT3_P12ihipStream_tbPNSt15iterator_traitsISE_E10value_typeEPNSK_ISF_E10value_typeEPSG_NS1_7vsmem_tEENKUlT_SE_SF_SG_E_clIS8_S8_S9_S9_EESD_ST_SE_SF_SG_EUlST_E1_NS1_11comp_targetILNS1_3genE10ELNS1_11target_archE1201ELNS1_3gpuE5ELNS1_3repE0EEENS1_36merge_oddeven_config_static_selectorELNS0_4arch9wavefront6targetE1EEEvSF_
; %bb.0:
	.section	.rodata,"a",@progbits
	.p2align	6, 0x0
	.amdhsa_kernel _ZN7rocprim17ROCPRIM_400000_NS6detail17trampoline_kernelINS0_14default_configENS1_38merge_sort_block_merge_config_selectorImNS0_10empty_typeEEEZZNS1_27merge_sort_block_merge_implIS3_PmPS5_jNS1_19radix_merge_compareILb0ELb1EmNS0_19identity_decomposerEEEEE10hipError_tT0_T1_T2_jT3_P12ihipStream_tbPNSt15iterator_traitsISE_E10value_typeEPNSK_ISF_E10value_typeEPSG_NS1_7vsmem_tEENKUlT_SE_SF_SG_E_clIS8_S8_S9_S9_EESD_ST_SE_SF_SG_EUlST_E1_NS1_11comp_targetILNS1_3genE10ELNS1_11target_archE1201ELNS1_3gpuE5ELNS1_3repE0EEENS1_36merge_oddeven_config_static_selectorELNS0_4arch9wavefront6targetE1EEEvSF_
		.amdhsa_group_segment_fixed_size 0
		.amdhsa_private_segment_fixed_size 0
		.amdhsa_kernarg_size 48
		.amdhsa_user_sgpr_count 6
		.amdhsa_user_sgpr_private_segment_buffer 1
		.amdhsa_user_sgpr_dispatch_ptr 0
		.amdhsa_user_sgpr_queue_ptr 0
		.amdhsa_user_sgpr_kernarg_segment_ptr 1
		.amdhsa_user_sgpr_dispatch_id 0
		.amdhsa_user_sgpr_flat_scratch_init 0
		.amdhsa_user_sgpr_kernarg_preload_length 0
		.amdhsa_user_sgpr_kernarg_preload_offset 0
		.amdhsa_user_sgpr_private_segment_size 0
		.amdhsa_uses_dynamic_stack 0
		.amdhsa_system_sgpr_private_segment_wavefront_offset 0
		.amdhsa_system_sgpr_workgroup_id_x 1
		.amdhsa_system_sgpr_workgroup_id_y 0
		.amdhsa_system_sgpr_workgroup_id_z 0
		.amdhsa_system_sgpr_workgroup_info 0
		.amdhsa_system_vgpr_workitem_id 0
		.amdhsa_next_free_vgpr 1
		.amdhsa_next_free_sgpr 0
		.amdhsa_accum_offset 4
		.amdhsa_reserve_vcc 0
		.amdhsa_reserve_flat_scratch 0
		.amdhsa_float_round_mode_32 0
		.amdhsa_float_round_mode_16_64 0
		.amdhsa_float_denorm_mode_32 3
		.amdhsa_float_denorm_mode_16_64 3
		.amdhsa_dx10_clamp 1
		.amdhsa_ieee_mode 1
		.amdhsa_fp16_overflow 0
		.amdhsa_tg_split 0
		.amdhsa_exception_fp_ieee_invalid_op 0
		.amdhsa_exception_fp_denorm_src 0
		.amdhsa_exception_fp_ieee_div_zero 0
		.amdhsa_exception_fp_ieee_overflow 0
		.amdhsa_exception_fp_ieee_underflow 0
		.amdhsa_exception_fp_ieee_inexact 0
		.amdhsa_exception_int_div_zero 0
	.end_amdhsa_kernel
	.section	.text._ZN7rocprim17ROCPRIM_400000_NS6detail17trampoline_kernelINS0_14default_configENS1_38merge_sort_block_merge_config_selectorImNS0_10empty_typeEEEZZNS1_27merge_sort_block_merge_implIS3_PmPS5_jNS1_19radix_merge_compareILb0ELb1EmNS0_19identity_decomposerEEEEE10hipError_tT0_T1_T2_jT3_P12ihipStream_tbPNSt15iterator_traitsISE_E10value_typeEPNSK_ISF_E10value_typeEPSG_NS1_7vsmem_tEENKUlT_SE_SF_SG_E_clIS8_S8_S9_S9_EESD_ST_SE_SF_SG_EUlST_E1_NS1_11comp_targetILNS1_3genE10ELNS1_11target_archE1201ELNS1_3gpuE5ELNS1_3repE0EEENS1_36merge_oddeven_config_static_selectorELNS0_4arch9wavefront6targetE1EEEvSF_,"axG",@progbits,_ZN7rocprim17ROCPRIM_400000_NS6detail17trampoline_kernelINS0_14default_configENS1_38merge_sort_block_merge_config_selectorImNS0_10empty_typeEEEZZNS1_27merge_sort_block_merge_implIS3_PmPS5_jNS1_19radix_merge_compareILb0ELb1EmNS0_19identity_decomposerEEEEE10hipError_tT0_T1_T2_jT3_P12ihipStream_tbPNSt15iterator_traitsISE_E10value_typeEPNSK_ISF_E10value_typeEPSG_NS1_7vsmem_tEENKUlT_SE_SF_SG_E_clIS8_S8_S9_S9_EESD_ST_SE_SF_SG_EUlST_E1_NS1_11comp_targetILNS1_3genE10ELNS1_11target_archE1201ELNS1_3gpuE5ELNS1_3repE0EEENS1_36merge_oddeven_config_static_selectorELNS0_4arch9wavefront6targetE1EEEvSF_,comdat
.Lfunc_end955:
	.size	_ZN7rocprim17ROCPRIM_400000_NS6detail17trampoline_kernelINS0_14default_configENS1_38merge_sort_block_merge_config_selectorImNS0_10empty_typeEEEZZNS1_27merge_sort_block_merge_implIS3_PmPS5_jNS1_19radix_merge_compareILb0ELb1EmNS0_19identity_decomposerEEEEE10hipError_tT0_T1_T2_jT3_P12ihipStream_tbPNSt15iterator_traitsISE_E10value_typeEPNSK_ISF_E10value_typeEPSG_NS1_7vsmem_tEENKUlT_SE_SF_SG_E_clIS8_S8_S9_S9_EESD_ST_SE_SF_SG_EUlST_E1_NS1_11comp_targetILNS1_3genE10ELNS1_11target_archE1201ELNS1_3gpuE5ELNS1_3repE0EEENS1_36merge_oddeven_config_static_selectorELNS0_4arch9wavefront6targetE1EEEvSF_, .Lfunc_end955-_ZN7rocprim17ROCPRIM_400000_NS6detail17trampoline_kernelINS0_14default_configENS1_38merge_sort_block_merge_config_selectorImNS0_10empty_typeEEEZZNS1_27merge_sort_block_merge_implIS3_PmPS5_jNS1_19radix_merge_compareILb0ELb1EmNS0_19identity_decomposerEEEEE10hipError_tT0_T1_T2_jT3_P12ihipStream_tbPNSt15iterator_traitsISE_E10value_typeEPNSK_ISF_E10value_typeEPSG_NS1_7vsmem_tEENKUlT_SE_SF_SG_E_clIS8_S8_S9_S9_EESD_ST_SE_SF_SG_EUlST_E1_NS1_11comp_targetILNS1_3genE10ELNS1_11target_archE1201ELNS1_3gpuE5ELNS1_3repE0EEENS1_36merge_oddeven_config_static_selectorELNS0_4arch9wavefront6targetE1EEEvSF_
                                        ; -- End function
	.section	.AMDGPU.csdata,"",@progbits
; Kernel info:
; codeLenInByte = 0
; NumSgprs: 4
; NumVgprs: 0
; NumAgprs: 0
; TotalNumVgprs: 0
; ScratchSize: 0
; MemoryBound: 0
; FloatMode: 240
; IeeeMode: 1
; LDSByteSize: 0 bytes/workgroup (compile time only)
; SGPRBlocks: 0
; VGPRBlocks: 0
; NumSGPRsForWavesPerEU: 4
; NumVGPRsForWavesPerEU: 1
; AccumOffset: 4
; Occupancy: 8
; WaveLimiterHint : 0
; COMPUTE_PGM_RSRC2:SCRATCH_EN: 0
; COMPUTE_PGM_RSRC2:USER_SGPR: 6
; COMPUTE_PGM_RSRC2:TRAP_HANDLER: 0
; COMPUTE_PGM_RSRC2:TGID_X_EN: 1
; COMPUTE_PGM_RSRC2:TGID_Y_EN: 0
; COMPUTE_PGM_RSRC2:TGID_Z_EN: 0
; COMPUTE_PGM_RSRC2:TIDIG_COMP_CNT: 0
; COMPUTE_PGM_RSRC3_GFX90A:ACCUM_OFFSET: 0
; COMPUTE_PGM_RSRC3_GFX90A:TG_SPLIT: 0
	.section	.text._ZN7rocprim17ROCPRIM_400000_NS6detail17trampoline_kernelINS0_14default_configENS1_38merge_sort_block_merge_config_selectorImNS0_10empty_typeEEEZZNS1_27merge_sort_block_merge_implIS3_PmPS5_jNS1_19radix_merge_compareILb0ELb1EmNS0_19identity_decomposerEEEEE10hipError_tT0_T1_T2_jT3_P12ihipStream_tbPNSt15iterator_traitsISE_E10value_typeEPNSK_ISF_E10value_typeEPSG_NS1_7vsmem_tEENKUlT_SE_SF_SG_E_clIS8_S8_S9_S9_EESD_ST_SE_SF_SG_EUlST_E1_NS1_11comp_targetILNS1_3genE5ELNS1_11target_archE942ELNS1_3gpuE9ELNS1_3repE0EEENS1_36merge_oddeven_config_static_selectorELNS0_4arch9wavefront6targetE1EEEvSF_,"axG",@progbits,_ZN7rocprim17ROCPRIM_400000_NS6detail17trampoline_kernelINS0_14default_configENS1_38merge_sort_block_merge_config_selectorImNS0_10empty_typeEEEZZNS1_27merge_sort_block_merge_implIS3_PmPS5_jNS1_19radix_merge_compareILb0ELb1EmNS0_19identity_decomposerEEEEE10hipError_tT0_T1_T2_jT3_P12ihipStream_tbPNSt15iterator_traitsISE_E10value_typeEPNSK_ISF_E10value_typeEPSG_NS1_7vsmem_tEENKUlT_SE_SF_SG_E_clIS8_S8_S9_S9_EESD_ST_SE_SF_SG_EUlST_E1_NS1_11comp_targetILNS1_3genE5ELNS1_11target_archE942ELNS1_3gpuE9ELNS1_3repE0EEENS1_36merge_oddeven_config_static_selectorELNS0_4arch9wavefront6targetE1EEEvSF_,comdat
	.protected	_ZN7rocprim17ROCPRIM_400000_NS6detail17trampoline_kernelINS0_14default_configENS1_38merge_sort_block_merge_config_selectorImNS0_10empty_typeEEEZZNS1_27merge_sort_block_merge_implIS3_PmPS5_jNS1_19radix_merge_compareILb0ELb1EmNS0_19identity_decomposerEEEEE10hipError_tT0_T1_T2_jT3_P12ihipStream_tbPNSt15iterator_traitsISE_E10value_typeEPNSK_ISF_E10value_typeEPSG_NS1_7vsmem_tEENKUlT_SE_SF_SG_E_clIS8_S8_S9_S9_EESD_ST_SE_SF_SG_EUlST_E1_NS1_11comp_targetILNS1_3genE5ELNS1_11target_archE942ELNS1_3gpuE9ELNS1_3repE0EEENS1_36merge_oddeven_config_static_selectorELNS0_4arch9wavefront6targetE1EEEvSF_ ; -- Begin function _ZN7rocprim17ROCPRIM_400000_NS6detail17trampoline_kernelINS0_14default_configENS1_38merge_sort_block_merge_config_selectorImNS0_10empty_typeEEEZZNS1_27merge_sort_block_merge_implIS3_PmPS5_jNS1_19radix_merge_compareILb0ELb1EmNS0_19identity_decomposerEEEEE10hipError_tT0_T1_T2_jT3_P12ihipStream_tbPNSt15iterator_traitsISE_E10value_typeEPNSK_ISF_E10value_typeEPSG_NS1_7vsmem_tEENKUlT_SE_SF_SG_E_clIS8_S8_S9_S9_EESD_ST_SE_SF_SG_EUlST_E1_NS1_11comp_targetILNS1_3genE5ELNS1_11target_archE942ELNS1_3gpuE9ELNS1_3repE0EEENS1_36merge_oddeven_config_static_selectorELNS0_4arch9wavefront6targetE1EEEvSF_
	.globl	_ZN7rocprim17ROCPRIM_400000_NS6detail17trampoline_kernelINS0_14default_configENS1_38merge_sort_block_merge_config_selectorImNS0_10empty_typeEEEZZNS1_27merge_sort_block_merge_implIS3_PmPS5_jNS1_19radix_merge_compareILb0ELb1EmNS0_19identity_decomposerEEEEE10hipError_tT0_T1_T2_jT3_P12ihipStream_tbPNSt15iterator_traitsISE_E10value_typeEPNSK_ISF_E10value_typeEPSG_NS1_7vsmem_tEENKUlT_SE_SF_SG_E_clIS8_S8_S9_S9_EESD_ST_SE_SF_SG_EUlST_E1_NS1_11comp_targetILNS1_3genE5ELNS1_11target_archE942ELNS1_3gpuE9ELNS1_3repE0EEENS1_36merge_oddeven_config_static_selectorELNS0_4arch9wavefront6targetE1EEEvSF_
	.p2align	8
	.type	_ZN7rocprim17ROCPRIM_400000_NS6detail17trampoline_kernelINS0_14default_configENS1_38merge_sort_block_merge_config_selectorImNS0_10empty_typeEEEZZNS1_27merge_sort_block_merge_implIS3_PmPS5_jNS1_19radix_merge_compareILb0ELb1EmNS0_19identity_decomposerEEEEE10hipError_tT0_T1_T2_jT3_P12ihipStream_tbPNSt15iterator_traitsISE_E10value_typeEPNSK_ISF_E10value_typeEPSG_NS1_7vsmem_tEENKUlT_SE_SF_SG_E_clIS8_S8_S9_S9_EESD_ST_SE_SF_SG_EUlST_E1_NS1_11comp_targetILNS1_3genE5ELNS1_11target_archE942ELNS1_3gpuE9ELNS1_3repE0EEENS1_36merge_oddeven_config_static_selectorELNS0_4arch9wavefront6targetE1EEEvSF_,@function
_ZN7rocprim17ROCPRIM_400000_NS6detail17trampoline_kernelINS0_14default_configENS1_38merge_sort_block_merge_config_selectorImNS0_10empty_typeEEEZZNS1_27merge_sort_block_merge_implIS3_PmPS5_jNS1_19radix_merge_compareILb0ELb1EmNS0_19identity_decomposerEEEEE10hipError_tT0_T1_T2_jT3_P12ihipStream_tbPNSt15iterator_traitsISE_E10value_typeEPNSK_ISF_E10value_typeEPSG_NS1_7vsmem_tEENKUlT_SE_SF_SG_E_clIS8_S8_S9_S9_EESD_ST_SE_SF_SG_EUlST_E1_NS1_11comp_targetILNS1_3genE5ELNS1_11target_archE942ELNS1_3gpuE9ELNS1_3repE0EEENS1_36merge_oddeven_config_static_selectorELNS0_4arch9wavefront6targetE1EEEvSF_: ; @_ZN7rocprim17ROCPRIM_400000_NS6detail17trampoline_kernelINS0_14default_configENS1_38merge_sort_block_merge_config_selectorImNS0_10empty_typeEEEZZNS1_27merge_sort_block_merge_implIS3_PmPS5_jNS1_19radix_merge_compareILb0ELb1EmNS0_19identity_decomposerEEEEE10hipError_tT0_T1_T2_jT3_P12ihipStream_tbPNSt15iterator_traitsISE_E10value_typeEPNSK_ISF_E10value_typeEPSG_NS1_7vsmem_tEENKUlT_SE_SF_SG_E_clIS8_S8_S9_S9_EESD_ST_SE_SF_SG_EUlST_E1_NS1_11comp_targetILNS1_3genE5ELNS1_11target_archE942ELNS1_3gpuE9ELNS1_3repE0EEENS1_36merge_oddeven_config_static_selectorELNS0_4arch9wavefront6targetE1EEEvSF_
; %bb.0:
	.section	.rodata,"a",@progbits
	.p2align	6, 0x0
	.amdhsa_kernel _ZN7rocprim17ROCPRIM_400000_NS6detail17trampoline_kernelINS0_14default_configENS1_38merge_sort_block_merge_config_selectorImNS0_10empty_typeEEEZZNS1_27merge_sort_block_merge_implIS3_PmPS5_jNS1_19radix_merge_compareILb0ELb1EmNS0_19identity_decomposerEEEEE10hipError_tT0_T1_T2_jT3_P12ihipStream_tbPNSt15iterator_traitsISE_E10value_typeEPNSK_ISF_E10value_typeEPSG_NS1_7vsmem_tEENKUlT_SE_SF_SG_E_clIS8_S8_S9_S9_EESD_ST_SE_SF_SG_EUlST_E1_NS1_11comp_targetILNS1_3genE5ELNS1_11target_archE942ELNS1_3gpuE9ELNS1_3repE0EEENS1_36merge_oddeven_config_static_selectorELNS0_4arch9wavefront6targetE1EEEvSF_
		.amdhsa_group_segment_fixed_size 0
		.amdhsa_private_segment_fixed_size 0
		.amdhsa_kernarg_size 48
		.amdhsa_user_sgpr_count 6
		.amdhsa_user_sgpr_private_segment_buffer 1
		.amdhsa_user_sgpr_dispatch_ptr 0
		.amdhsa_user_sgpr_queue_ptr 0
		.amdhsa_user_sgpr_kernarg_segment_ptr 1
		.amdhsa_user_sgpr_dispatch_id 0
		.amdhsa_user_sgpr_flat_scratch_init 0
		.amdhsa_user_sgpr_kernarg_preload_length 0
		.amdhsa_user_sgpr_kernarg_preload_offset 0
		.amdhsa_user_sgpr_private_segment_size 0
		.amdhsa_uses_dynamic_stack 0
		.amdhsa_system_sgpr_private_segment_wavefront_offset 0
		.amdhsa_system_sgpr_workgroup_id_x 1
		.amdhsa_system_sgpr_workgroup_id_y 0
		.amdhsa_system_sgpr_workgroup_id_z 0
		.amdhsa_system_sgpr_workgroup_info 0
		.amdhsa_system_vgpr_workitem_id 0
		.amdhsa_next_free_vgpr 1
		.amdhsa_next_free_sgpr 0
		.amdhsa_accum_offset 4
		.amdhsa_reserve_vcc 0
		.amdhsa_reserve_flat_scratch 0
		.amdhsa_float_round_mode_32 0
		.amdhsa_float_round_mode_16_64 0
		.amdhsa_float_denorm_mode_32 3
		.amdhsa_float_denorm_mode_16_64 3
		.amdhsa_dx10_clamp 1
		.amdhsa_ieee_mode 1
		.amdhsa_fp16_overflow 0
		.amdhsa_tg_split 0
		.amdhsa_exception_fp_ieee_invalid_op 0
		.amdhsa_exception_fp_denorm_src 0
		.amdhsa_exception_fp_ieee_div_zero 0
		.amdhsa_exception_fp_ieee_overflow 0
		.amdhsa_exception_fp_ieee_underflow 0
		.amdhsa_exception_fp_ieee_inexact 0
		.amdhsa_exception_int_div_zero 0
	.end_amdhsa_kernel
	.section	.text._ZN7rocprim17ROCPRIM_400000_NS6detail17trampoline_kernelINS0_14default_configENS1_38merge_sort_block_merge_config_selectorImNS0_10empty_typeEEEZZNS1_27merge_sort_block_merge_implIS3_PmPS5_jNS1_19radix_merge_compareILb0ELb1EmNS0_19identity_decomposerEEEEE10hipError_tT0_T1_T2_jT3_P12ihipStream_tbPNSt15iterator_traitsISE_E10value_typeEPNSK_ISF_E10value_typeEPSG_NS1_7vsmem_tEENKUlT_SE_SF_SG_E_clIS8_S8_S9_S9_EESD_ST_SE_SF_SG_EUlST_E1_NS1_11comp_targetILNS1_3genE5ELNS1_11target_archE942ELNS1_3gpuE9ELNS1_3repE0EEENS1_36merge_oddeven_config_static_selectorELNS0_4arch9wavefront6targetE1EEEvSF_,"axG",@progbits,_ZN7rocprim17ROCPRIM_400000_NS6detail17trampoline_kernelINS0_14default_configENS1_38merge_sort_block_merge_config_selectorImNS0_10empty_typeEEEZZNS1_27merge_sort_block_merge_implIS3_PmPS5_jNS1_19radix_merge_compareILb0ELb1EmNS0_19identity_decomposerEEEEE10hipError_tT0_T1_T2_jT3_P12ihipStream_tbPNSt15iterator_traitsISE_E10value_typeEPNSK_ISF_E10value_typeEPSG_NS1_7vsmem_tEENKUlT_SE_SF_SG_E_clIS8_S8_S9_S9_EESD_ST_SE_SF_SG_EUlST_E1_NS1_11comp_targetILNS1_3genE5ELNS1_11target_archE942ELNS1_3gpuE9ELNS1_3repE0EEENS1_36merge_oddeven_config_static_selectorELNS0_4arch9wavefront6targetE1EEEvSF_,comdat
.Lfunc_end956:
	.size	_ZN7rocprim17ROCPRIM_400000_NS6detail17trampoline_kernelINS0_14default_configENS1_38merge_sort_block_merge_config_selectorImNS0_10empty_typeEEEZZNS1_27merge_sort_block_merge_implIS3_PmPS5_jNS1_19radix_merge_compareILb0ELb1EmNS0_19identity_decomposerEEEEE10hipError_tT0_T1_T2_jT3_P12ihipStream_tbPNSt15iterator_traitsISE_E10value_typeEPNSK_ISF_E10value_typeEPSG_NS1_7vsmem_tEENKUlT_SE_SF_SG_E_clIS8_S8_S9_S9_EESD_ST_SE_SF_SG_EUlST_E1_NS1_11comp_targetILNS1_3genE5ELNS1_11target_archE942ELNS1_3gpuE9ELNS1_3repE0EEENS1_36merge_oddeven_config_static_selectorELNS0_4arch9wavefront6targetE1EEEvSF_, .Lfunc_end956-_ZN7rocprim17ROCPRIM_400000_NS6detail17trampoline_kernelINS0_14default_configENS1_38merge_sort_block_merge_config_selectorImNS0_10empty_typeEEEZZNS1_27merge_sort_block_merge_implIS3_PmPS5_jNS1_19radix_merge_compareILb0ELb1EmNS0_19identity_decomposerEEEEE10hipError_tT0_T1_T2_jT3_P12ihipStream_tbPNSt15iterator_traitsISE_E10value_typeEPNSK_ISF_E10value_typeEPSG_NS1_7vsmem_tEENKUlT_SE_SF_SG_E_clIS8_S8_S9_S9_EESD_ST_SE_SF_SG_EUlST_E1_NS1_11comp_targetILNS1_3genE5ELNS1_11target_archE942ELNS1_3gpuE9ELNS1_3repE0EEENS1_36merge_oddeven_config_static_selectorELNS0_4arch9wavefront6targetE1EEEvSF_
                                        ; -- End function
	.section	.AMDGPU.csdata,"",@progbits
; Kernel info:
; codeLenInByte = 0
; NumSgprs: 4
; NumVgprs: 0
; NumAgprs: 0
; TotalNumVgprs: 0
; ScratchSize: 0
; MemoryBound: 0
; FloatMode: 240
; IeeeMode: 1
; LDSByteSize: 0 bytes/workgroup (compile time only)
; SGPRBlocks: 0
; VGPRBlocks: 0
; NumSGPRsForWavesPerEU: 4
; NumVGPRsForWavesPerEU: 1
; AccumOffset: 4
; Occupancy: 8
; WaveLimiterHint : 0
; COMPUTE_PGM_RSRC2:SCRATCH_EN: 0
; COMPUTE_PGM_RSRC2:USER_SGPR: 6
; COMPUTE_PGM_RSRC2:TRAP_HANDLER: 0
; COMPUTE_PGM_RSRC2:TGID_X_EN: 1
; COMPUTE_PGM_RSRC2:TGID_Y_EN: 0
; COMPUTE_PGM_RSRC2:TGID_Z_EN: 0
; COMPUTE_PGM_RSRC2:TIDIG_COMP_CNT: 0
; COMPUTE_PGM_RSRC3_GFX90A:ACCUM_OFFSET: 0
; COMPUTE_PGM_RSRC3_GFX90A:TG_SPLIT: 0
	.section	.text._ZN7rocprim17ROCPRIM_400000_NS6detail17trampoline_kernelINS0_14default_configENS1_38merge_sort_block_merge_config_selectorImNS0_10empty_typeEEEZZNS1_27merge_sort_block_merge_implIS3_PmPS5_jNS1_19radix_merge_compareILb0ELb1EmNS0_19identity_decomposerEEEEE10hipError_tT0_T1_T2_jT3_P12ihipStream_tbPNSt15iterator_traitsISE_E10value_typeEPNSK_ISF_E10value_typeEPSG_NS1_7vsmem_tEENKUlT_SE_SF_SG_E_clIS8_S8_S9_S9_EESD_ST_SE_SF_SG_EUlST_E1_NS1_11comp_targetILNS1_3genE4ELNS1_11target_archE910ELNS1_3gpuE8ELNS1_3repE0EEENS1_36merge_oddeven_config_static_selectorELNS0_4arch9wavefront6targetE1EEEvSF_,"axG",@progbits,_ZN7rocprim17ROCPRIM_400000_NS6detail17trampoline_kernelINS0_14default_configENS1_38merge_sort_block_merge_config_selectorImNS0_10empty_typeEEEZZNS1_27merge_sort_block_merge_implIS3_PmPS5_jNS1_19radix_merge_compareILb0ELb1EmNS0_19identity_decomposerEEEEE10hipError_tT0_T1_T2_jT3_P12ihipStream_tbPNSt15iterator_traitsISE_E10value_typeEPNSK_ISF_E10value_typeEPSG_NS1_7vsmem_tEENKUlT_SE_SF_SG_E_clIS8_S8_S9_S9_EESD_ST_SE_SF_SG_EUlST_E1_NS1_11comp_targetILNS1_3genE4ELNS1_11target_archE910ELNS1_3gpuE8ELNS1_3repE0EEENS1_36merge_oddeven_config_static_selectorELNS0_4arch9wavefront6targetE1EEEvSF_,comdat
	.protected	_ZN7rocprim17ROCPRIM_400000_NS6detail17trampoline_kernelINS0_14default_configENS1_38merge_sort_block_merge_config_selectorImNS0_10empty_typeEEEZZNS1_27merge_sort_block_merge_implIS3_PmPS5_jNS1_19radix_merge_compareILb0ELb1EmNS0_19identity_decomposerEEEEE10hipError_tT0_T1_T2_jT3_P12ihipStream_tbPNSt15iterator_traitsISE_E10value_typeEPNSK_ISF_E10value_typeEPSG_NS1_7vsmem_tEENKUlT_SE_SF_SG_E_clIS8_S8_S9_S9_EESD_ST_SE_SF_SG_EUlST_E1_NS1_11comp_targetILNS1_3genE4ELNS1_11target_archE910ELNS1_3gpuE8ELNS1_3repE0EEENS1_36merge_oddeven_config_static_selectorELNS0_4arch9wavefront6targetE1EEEvSF_ ; -- Begin function _ZN7rocprim17ROCPRIM_400000_NS6detail17trampoline_kernelINS0_14default_configENS1_38merge_sort_block_merge_config_selectorImNS0_10empty_typeEEEZZNS1_27merge_sort_block_merge_implIS3_PmPS5_jNS1_19radix_merge_compareILb0ELb1EmNS0_19identity_decomposerEEEEE10hipError_tT0_T1_T2_jT3_P12ihipStream_tbPNSt15iterator_traitsISE_E10value_typeEPNSK_ISF_E10value_typeEPSG_NS1_7vsmem_tEENKUlT_SE_SF_SG_E_clIS8_S8_S9_S9_EESD_ST_SE_SF_SG_EUlST_E1_NS1_11comp_targetILNS1_3genE4ELNS1_11target_archE910ELNS1_3gpuE8ELNS1_3repE0EEENS1_36merge_oddeven_config_static_selectorELNS0_4arch9wavefront6targetE1EEEvSF_
	.globl	_ZN7rocprim17ROCPRIM_400000_NS6detail17trampoline_kernelINS0_14default_configENS1_38merge_sort_block_merge_config_selectorImNS0_10empty_typeEEEZZNS1_27merge_sort_block_merge_implIS3_PmPS5_jNS1_19radix_merge_compareILb0ELb1EmNS0_19identity_decomposerEEEEE10hipError_tT0_T1_T2_jT3_P12ihipStream_tbPNSt15iterator_traitsISE_E10value_typeEPNSK_ISF_E10value_typeEPSG_NS1_7vsmem_tEENKUlT_SE_SF_SG_E_clIS8_S8_S9_S9_EESD_ST_SE_SF_SG_EUlST_E1_NS1_11comp_targetILNS1_3genE4ELNS1_11target_archE910ELNS1_3gpuE8ELNS1_3repE0EEENS1_36merge_oddeven_config_static_selectorELNS0_4arch9wavefront6targetE1EEEvSF_
	.p2align	8
	.type	_ZN7rocprim17ROCPRIM_400000_NS6detail17trampoline_kernelINS0_14default_configENS1_38merge_sort_block_merge_config_selectorImNS0_10empty_typeEEEZZNS1_27merge_sort_block_merge_implIS3_PmPS5_jNS1_19radix_merge_compareILb0ELb1EmNS0_19identity_decomposerEEEEE10hipError_tT0_T1_T2_jT3_P12ihipStream_tbPNSt15iterator_traitsISE_E10value_typeEPNSK_ISF_E10value_typeEPSG_NS1_7vsmem_tEENKUlT_SE_SF_SG_E_clIS8_S8_S9_S9_EESD_ST_SE_SF_SG_EUlST_E1_NS1_11comp_targetILNS1_3genE4ELNS1_11target_archE910ELNS1_3gpuE8ELNS1_3repE0EEENS1_36merge_oddeven_config_static_selectorELNS0_4arch9wavefront6targetE1EEEvSF_,@function
_ZN7rocprim17ROCPRIM_400000_NS6detail17trampoline_kernelINS0_14default_configENS1_38merge_sort_block_merge_config_selectorImNS0_10empty_typeEEEZZNS1_27merge_sort_block_merge_implIS3_PmPS5_jNS1_19radix_merge_compareILb0ELb1EmNS0_19identity_decomposerEEEEE10hipError_tT0_T1_T2_jT3_P12ihipStream_tbPNSt15iterator_traitsISE_E10value_typeEPNSK_ISF_E10value_typeEPSG_NS1_7vsmem_tEENKUlT_SE_SF_SG_E_clIS8_S8_S9_S9_EESD_ST_SE_SF_SG_EUlST_E1_NS1_11comp_targetILNS1_3genE4ELNS1_11target_archE910ELNS1_3gpuE8ELNS1_3repE0EEENS1_36merge_oddeven_config_static_selectorELNS0_4arch9wavefront6targetE1EEEvSF_: ; @_ZN7rocprim17ROCPRIM_400000_NS6detail17trampoline_kernelINS0_14default_configENS1_38merge_sort_block_merge_config_selectorImNS0_10empty_typeEEEZZNS1_27merge_sort_block_merge_implIS3_PmPS5_jNS1_19radix_merge_compareILb0ELb1EmNS0_19identity_decomposerEEEEE10hipError_tT0_T1_T2_jT3_P12ihipStream_tbPNSt15iterator_traitsISE_E10value_typeEPNSK_ISF_E10value_typeEPSG_NS1_7vsmem_tEENKUlT_SE_SF_SG_E_clIS8_S8_S9_S9_EESD_ST_SE_SF_SG_EUlST_E1_NS1_11comp_targetILNS1_3genE4ELNS1_11target_archE910ELNS1_3gpuE8ELNS1_3repE0EEENS1_36merge_oddeven_config_static_selectorELNS0_4arch9wavefront6targetE1EEEvSF_
; %bb.0:
	s_load_dword s18, s[4:5], 0x20
	s_waitcnt lgkmcnt(0)
	s_lshr_b32 s0, s18, 8
	s_cmp_lg_u32 s6, s0
	s_cselect_b64 s[14:15], -1, 0
	s_cmp_eq_u32 s6, s0
	s_cselect_b64 s[12:13], -1, 0
	s_lshl_b32 s16, s6, 8
	s_sub_i32 s0, s18, s16
	v_cmp_gt_u32_e64 s[2:3], s0, v0
	s_or_b64 s[0:1], s[14:15], s[2:3]
	s_and_saveexec_b64 s[8:9], s[0:1]
	s_cbranch_execz .LBB957_20
; %bb.1:
	s_load_dwordx4 s[8:11], s[4:5], 0x0
	s_load_dword s19, s[4:5], 0x24
	s_mov_b32 s17, 0
	s_lshl_b64 s[0:1], s[16:17], 3
	v_lshlrev_b32_e32 v1, 3, v0
	s_waitcnt lgkmcnt(0)
	s_add_u32 s0, s8, s0
	s_addc_u32 s1, s9, s1
	global_load_dwordx2 v[2:3], v1, s[0:1]
	s_lshr_b32 s0, s19, 8
	s_sub_i32 s1, 0, s0
	s_and_b32 s1, s6, s1
	s_and_b32 s0, s1, s0
	s_lshl_b32 s20, s1, 8
	s_sub_i32 s17, 0, s19
	s_cmp_eq_u32 s0, 0
	s_cselect_b64 s[0:1], -1, 0
	s_and_b64 s[6:7], s[0:1], exec
	s_cselect_b32 s17, s19, s17
	s_add_i32 s17, s17, s20
	s_cmp_lt_u32 s17, s18
	v_add_u32_e32 v0, s16, v0
	s_cbranch_scc1 .LBB957_3
; %bb.2:
	v_cmp_gt_u32_e32 vcc, s18, v0
	s_or_b64 s[6:7], vcc, s[14:15]
	s_and_b64 s[6:7], s[6:7], exec
	s_cbranch_execz .LBB957_4
	s_branch .LBB957_18
.LBB957_3:
	s_mov_b64 s[6:7], 0
.LBB957_4:
	s_load_dwordx2 s[4:5], s[4:5], 0x28
	s_min_u32 s14, s17, s18
	s_min_u32 s16, s20, s14
	s_add_i32 s20, s20, s14
	s_add_i32 s15, s14, s19
	v_subrev_u32_e32 v0, s20, v0
	s_min_u32 s15, s15, s18
	v_add_u32_e32 v6, s16, v0
	s_and_b64 vcc, exec, s[12:13]
	s_cbranch_vccz .LBB957_12
; %bb.5:
                                        ; implicit-def: $vgpr0
	s_and_saveexec_b64 s[12:13], s[2:3]
	s_cbranch_execz .LBB957_11
; %bb.6:
	s_cmp_ge_u32 s17, s15
	v_mov_b32_e32 v7, s14
	s_cbranch_scc1 .LBB957_10
; %bb.7:
	s_waitcnt vmcnt(0) lgkmcnt(0)
	v_and_b32_e32 v1, s5, v3
	v_and_b32_e32 v0, s4, v2
	s_mov_b64 s[2:3], 0
	v_mov_b32_e32 v8, s15
	v_mov_b32_e32 v7, s14
	;; [unrolled: 1-line block ×4, first 2 shown]
.LBB957_8:                              ; =>This Inner Loop Header: Depth=1
	v_add_u32_e32 v4, v7, v8
	v_lshrrev_b32_e32 v4, 1, v4
	v_lshlrev_b64 v[10:11], 3, v[4:5]
	v_add_co_u32_e32 v10, vcc, s8, v10
	v_addc_co_u32_e32 v11, vcc, v9, v11, vcc
	global_load_dwordx2 v[10:11], v[10:11], off
	v_add_u32_e32 v12, 1, v4
	s_waitcnt vmcnt(0)
	v_and_b32_e32 v11, s5, v11
	v_and_b32_e32 v10, s4, v10
	v_cmp_gt_u64_e32 vcc, v[0:1], v[10:11]
	v_cndmask_b32_e64 v13, 0, 1, vcc
	v_cmp_le_u64_e32 vcc, v[10:11], v[0:1]
	v_cndmask_b32_e64 v10, 0, 1, vcc
	v_cndmask_b32_e64 v10, v10, v13, s[0:1]
	v_and_b32_e32 v10, 1, v10
	v_cmp_eq_u32_e32 vcc, 1, v10
	v_cndmask_b32_e32 v8, v4, v8, vcc
	v_cndmask_b32_e32 v7, v7, v12, vcc
	v_cmp_ge_u32_e32 vcc, v7, v8
	s_or_b64 s[2:3], vcc, s[2:3]
	s_andn2_b64 exec, exec, s[2:3]
	s_cbranch_execnz .LBB957_8
; %bb.9:
	s_or_b64 exec, exec, s[2:3]
.LBB957_10:
	v_add_u32_e32 v0, v7, v6
	s_or_b64 s[6:7], s[6:7], exec
.LBB957_11:
	s_or_b64 exec, exec, s[12:13]
	s_branch .LBB957_18
.LBB957_12:
                                        ; implicit-def: $vgpr0
	s_cbranch_execz .LBB957_18
; %bb.13:
	s_cmp_ge_u32 s17, s15
	v_mov_b32_e32 v7, s14
	s_cbranch_scc1 .LBB957_17
; %bb.14:
	s_waitcnt vmcnt(0) lgkmcnt(0)
	v_and_b32_e32 v1, s5, v3
	v_and_b32_e32 v0, s4, v2
	s_mov_b64 s[2:3], 0
	v_mov_b32_e32 v8, s15
	v_mov_b32_e32 v7, s14
	;; [unrolled: 1-line block ×4, first 2 shown]
.LBB957_15:                             ; =>This Inner Loop Header: Depth=1
	v_add_u32_e32 v4, v7, v8
	v_lshrrev_b32_e32 v4, 1, v4
	v_lshlrev_b64 v[10:11], 3, v[4:5]
	v_add_co_u32_e32 v10, vcc, s8, v10
	v_addc_co_u32_e32 v11, vcc, v9, v11, vcc
	global_load_dwordx2 v[10:11], v[10:11], off
	v_add_u32_e32 v12, 1, v4
	s_waitcnt vmcnt(0)
	v_and_b32_e32 v11, s5, v11
	v_and_b32_e32 v10, s4, v10
	v_cmp_gt_u64_e32 vcc, v[0:1], v[10:11]
	v_cndmask_b32_e64 v13, 0, 1, vcc
	v_cmp_le_u64_e32 vcc, v[10:11], v[0:1]
	v_cndmask_b32_e64 v10, 0, 1, vcc
	v_cndmask_b32_e64 v10, v10, v13, s[0:1]
	v_and_b32_e32 v10, 1, v10
	v_cmp_eq_u32_e32 vcc, 1, v10
	v_cndmask_b32_e32 v8, v4, v8, vcc
	v_cndmask_b32_e32 v7, v7, v12, vcc
	v_cmp_ge_u32_e32 vcc, v7, v8
	s_or_b64 s[2:3], vcc, s[2:3]
	s_andn2_b64 exec, exec, s[2:3]
	s_cbranch_execnz .LBB957_15
; %bb.16:
	s_or_b64 exec, exec, s[2:3]
.LBB957_17:
	v_add_u32_e32 v0, v7, v6
	s_mov_b64 s[6:7], -1
.LBB957_18:
	s_and_b64 exec, exec, s[6:7]
	s_cbranch_execz .LBB957_20
; %bb.19:
	v_mov_b32_e32 v1, 0
	v_lshlrev_b64 v[0:1], 3, v[0:1]
	v_mov_b32_e32 v4, s11
	v_add_co_u32_e32 v0, vcc, s10, v0
	v_addc_co_u32_e32 v1, vcc, v4, v1, vcc
	s_waitcnt vmcnt(0)
	global_store_dwordx2 v[0:1], v[2:3], off
.LBB957_20:
	s_endpgm
	.section	.rodata,"a",@progbits
	.p2align	6, 0x0
	.amdhsa_kernel _ZN7rocprim17ROCPRIM_400000_NS6detail17trampoline_kernelINS0_14default_configENS1_38merge_sort_block_merge_config_selectorImNS0_10empty_typeEEEZZNS1_27merge_sort_block_merge_implIS3_PmPS5_jNS1_19radix_merge_compareILb0ELb1EmNS0_19identity_decomposerEEEEE10hipError_tT0_T1_T2_jT3_P12ihipStream_tbPNSt15iterator_traitsISE_E10value_typeEPNSK_ISF_E10value_typeEPSG_NS1_7vsmem_tEENKUlT_SE_SF_SG_E_clIS8_S8_S9_S9_EESD_ST_SE_SF_SG_EUlST_E1_NS1_11comp_targetILNS1_3genE4ELNS1_11target_archE910ELNS1_3gpuE8ELNS1_3repE0EEENS1_36merge_oddeven_config_static_selectorELNS0_4arch9wavefront6targetE1EEEvSF_
		.amdhsa_group_segment_fixed_size 0
		.amdhsa_private_segment_fixed_size 0
		.amdhsa_kernarg_size 48
		.amdhsa_user_sgpr_count 6
		.amdhsa_user_sgpr_private_segment_buffer 1
		.amdhsa_user_sgpr_dispatch_ptr 0
		.amdhsa_user_sgpr_queue_ptr 0
		.amdhsa_user_sgpr_kernarg_segment_ptr 1
		.amdhsa_user_sgpr_dispatch_id 0
		.amdhsa_user_sgpr_flat_scratch_init 0
		.amdhsa_user_sgpr_kernarg_preload_length 0
		.amdhsa_user_sgpr_kernarg_preload_offset 0
		.amdhsa_user_sgpr_private_segment_size 0
		.amdhsa_uses_dynamic_stack 0
		.amdhsa_system_sgpr_private_segment_wavefront_offset 0
		.amdhsa_system_sgpr_workgroup_id_x 1
		.amdhsa_system_sgpr_workgroup_id_y 0
		.amdhsa_system_sgpr_workgroup_id_z 0
		.amdhsa_system_sgpr_workgroup_info 0
		.amdhsa_system_vgpr_workitem_id 0
		.amdhsa_next_free_vgpr 14
		.amdhsa_next_free_sgpr 21
		.amdhsa_accum_offset 16
		.amdhsa_reserve_vcc 1
		.amdhsa_reserve_flat_scratch 0
		.amdhsa_float_round_mode_32 0
		.amdhsa_float_round_mode_16_64 0
		.amdhsa_float_denorm_mode_32 3
		.amdhsa_float_denorm_mode_16_64 3
		.amdhsa_dx10_clamp 1
		.amdhsa_ieee_mode 1
		.amdhsa_fp16_overflow 0
		.amdhsa_tg_split 0
		.amdhsa_exception_fp_ieee_invalid_op 0
		.amdhsa_exception_fp_denorm_src 0
		.amdhsa_exception_fp_ieee_div_zero 0
		.amdhsa_exception_fp_ieee_overflow 0
		.amdhsa_exception_fp_ieee_underflow 0
		.amdhsa_exception_fp_ieee_inexact 0
		.amdhsa_exception_int_div_zero 0
	.end_amdhsa_kernel
	.section	.text._ZN7rocprim17ROCPRIM_400000_NS6detail17trampoline_kernelINS0_14default_configENS1_38merge_sort_block_merge_config_selectorImNS0_10empty_typeEEEZZNS1_27merge_sort_block_merge_implIS3_PmPS5_jNS1_19radix_merge_compareILb0ELb1EmNS0_19identity_decomposerEEEEE10hipError_tT0_T1_T2_jT3_P12ihipStream_tbPNSt15iterator_traitsISE_E10value_typeEPNSK_ISF_E10value_typeEPSG_NS1_7vsmem_tEENKUlT_SE_SF_SG_E_clIS8_S8_S9_S9_EESD_ST_SE_SF_SG_EUlST_E1_NS1_11comp_targetILNS1_3genE4ELNS1_11target_archE910ELNS1_3gpuE8ELNS1_3repE0EEENS1_36merge_oddeven_config_static_selectorELNS0_4arch9wavefront6targetE1EEEvSF_,"axG",@progbits,_ZN7rocprim17ROCPRIM_400000_NS6detail17trampoline_kernelINS0_14default_configENS1_38merge_sort_block_merge_config_selectorImNS0_10empty_typeEEEZZNS1_27merge_sort_block_merge_implIS3_PmPS5_jNS1_19radix_merge_compareILb0ELb1EmNS0_19identity_decomposerEEEEE10hipError_tT0_T1_T2_jT3_P12ihipStream_tbPNSt15iterator_traitsISE_E10value_typeEPNSK_ISF_E10value_typeEPSG_NS1_7vsmem_tEENKUlT_SE_SF_SG_E_clIS8_S8_S9_S9_EESD_ST_SE_SF_SG_EUlST_E1_NS1_11comp_targetILNS1_3genE4ELNS1_11target_archE910ELNS1_3gpuE8ELNS1_3repE0EEENS1_36merge_oddeven_config_static_selectorELNS0_4arch9wavefront6targetE1EEEvSF_,comdat
.Lfunc_end957:
	.size	_ZN7rocprim17ROCPRIM_400000_NS6detail17trampoline_kernelINS0_14default_configENS1_38merge_sort_block_merge_config_selectorImNS0_10empty_typeEEEZZNS1_27merge_sort_block_merge_implIS3_PmPS5_jNS1_19radix_merge_compareILb0ELb1EmNS0_19identity_decomposerEEEEE10hipError_tT0_T1_T2_jT3_P12ihipStream_tbPNSt15iterator_traitsISE_E10value_typeEPNSK_ISF_E10value_typeEPSG_NS1_7vsmem_tEENKUlT_SE_SF_SG_E_clIS8_S8_S9_S9_EESD_ST_SE_SF_SG_EUlST_E1_NS1_11comp_targetILNS1_3genE4ELNS1_11target_archE910ELNS1_3gpuE8ELNS1_3repE0EEENS1_36merge_oddeven_config_static_selectorELNS0_4arch9wavefront6targetE1EEEvSF_, .Lfunc_end957-_ZN7rocprim17ROCPRIM_400000_NS6detail17trampoline_kernelINS0_14default_configENS1_38merge_sort_block_merge_config_selectorImNS0_10empty_typeEEEZZNS1_27merge_sort_block_merge_implIS3_PmPS5_jNS1_19radix_merge_compareILb0ELb1EmNS0_19identity_decomposerEEEEE10hipError_tT0_T1_T2_jT3_P12ihipStream_tbPNSt15iterator_traitsISE_E10value_typeEPNSK_ISF_E10value_typeEPSG_NS1_7vsmem_tEENKUlT_SE_SF_SG_E_clIS8_S8_S9_S9_EESD_ST_SE_SF_SG_EUlST_E1_NS1_11comp_targetILNS1_3genE4ELNS1_11target_archE910ELNS1_3gpuE8ELNS1_3repE0EEENS1_36merge_oddeven_config_static_selectorELNS0_4arch9wavefront6targetE1EEEvSF_
                                        ; -- End function
	.section	.AMDGPU.csdata,"",@progbits
; Kernel info:
; codeLenInByte = 636
; NumSgprs: 25
; NumVgprs: 14
; NumAgprs: 0
; TotalNumVgprs: 14
; ScratchSize: 0
; MemoryBound: 0
; FloatMode: 240
; IeeeMode: 1
; LDSByteSize: 0 bytes/workgroup (compile time only)
; SGPRBlocks: 3
; VGPRBlocks: 1
; NumSGPRsForWavesPerEU: 25
; NumVGPRsForWavesPerEU: 14
; AccumOffset: 16
; Occupancy: 8
; WaveLimiterHint : 0
; COMPUTE_PGM_RSRC2:SCRATCH_EN: 0
; COMPUTE_PGM_RSRC2:USER_SGPR: 6
; COMPUTE_PGM_RSRC2:TRAP_HANDLER: 0
; COMPUTE_PGM_RSRC2:TGID_X_EN: 1
; COMPUTE_PGM_RSRC2:TGID_Y_EN: 0
; COMPUTE_PGM_RSRC2:TGID_Z_EN: 0
; COMPUTE_PGM_RSRC2:TIDIG_COMP_CNT: 0
; COMPUTE_PGM_RSRC3_GFX90A:ACCUM_OFFSET: 3
; COMPUTE_PGM_RSRC3_GFX90A:TG_SPLIT: 0
	.section	.text._ZN7rocprim17ROCPRIM_400000_NS6detail17trampoline_kernelINS0_14default_configENS1_38merge_sort_block_merge_config_selectorImNS0_10empty_typeEEEZZNS1_27merge_sort_block_merge_implIS3_PmPS5_jNS1_19radix_merge_compareILb0ELb1EmNS0_19identity_decomposerEEEEE10hipError_tT0_T1_T2_jT3_P12ihipStream_tbPNSt15iterator_traitsISE_E10value_typeEPNSK_ISF_E10value_typeEPSG_NS1_7vsmem_tEENKUlT_SE_SF_SG_E_clIS8_S8_S9_S9_EESD_ST_SE_SF_SG_EUlST_E1_NS1_11comp_targetILNS1_3genE3ELNS1_11target_archE908ELNS1_3gpuE7ELNS1_3repE0EEENS1_36merge_oddeven_config_static_selectorELNS0_4arch9wavefront6targetE1EEEvSF_,"axG",@progbits,_ZN7rocprim17ROCPRIM_400000_NS6detail17trampoline_kernelINS0_14default_configENS1_38merge_sort_block_merge_config_selectorImNS0_10empty_typeEEEZZNS1_27merge_sort_block_merge_implIS3_PmPS5_jNS1_19radix_merge_compareILb0ELb1EmNS0_19identity_decomposerEEEEE10hipError_tT0_T1_T2_jT3_P12ihipStream_tbPNSt15iterator_traitsISE_E10value_typeEPNSK_ISF_E10value_typeEPSG_NS1_7vsmem_tEENKUlT_SE_SF_SG_E_clIS8_S8_S9_S9_EESD_ST_SE_SF_SG_EUlST_E1_NS1_11comp_targetILNS1_3genE3ELNS1_11target_archE908ELNS1_3gpuE7ELNS1_3repE0EEENS1_36merge_oddeven_config_static_selectorELNS0_4arch9wavefront6targetE1EEEvSF_,comdat
	.protected	_ZN7rocprim17ROCPRIM_400000_NS6detail17trampoline_kernelINS0_14default_configENS1_38merge_sort_block_merge_config_selectorImNS0_10empty_typeEEEZZNS1_27merge_sort_block_merge_implIS3_PmPS5_jNS1_19radix_merge_compareILb0ELb1EmNS0_19identity_decomposerEEEEE10hipError_tT0_T1_T2_jT3_P12ihipStream_tbPNSt15iterator_traitsISE_E10value_typeEPNSK_ISF_E10value_typeEPSG_NS1_7vsmem_tEENKUlT_SE_SF_SG_E_clIS8_S8_S9_S9_EESD_ST_SE_SF_SG_EUlST_E1_NS1_11comp_targetILNS1_3genE3ELNS1_11target_archE908ELNS1_3gpuE7ELNS1_3repE0EEENS1_36merge_oddeven_config_static_selectorELNS0_4arch9wavefront6targetE1EEEvSF_ ; -- Begin function _ZN7rocprim17ROCPRIM_400000_NS6detail17trampoline_kernelINS0_14default_configENS1_38merge_sort_block_merge_config_selectorImNS0_10empty_typeEEEZZNS1_27merge_sort_block_merge_implIS3_PmPS5_jNS1_19radix_merge_compareILb0ELb1EmNS0_19identity_decomposerEEEEE10hipError_tT0_T1_T2_jT3_P12ihipStream_tbPNSt15iterator_traitsISE_E10value_typeEPNSK_ISF_E10value_typeEPSG_NS1_7vsmem_tEENKUlT_SE_SF_SG_E_clIS8_S8_S9_S9_EESD_ST_SE_SF_SG_EUlST_E1_NS1_11comp_targetILNS1_3genE3ELNS1_11target_archE908ELNS1_3gpuE7ELNS1_3repE0EEENS1_36merge_oddeven_config_static_selectorELNS0_4arch9wavefront6targetE1EEEvSF_
	.globl	_ZN7rocprim17ROCPRIM_400000_NS6detail17trampoline_kernelINS0_14default_configENS1_38merge_sort_block_merge_config_selectorImNS0_10empty_typeEEEZZNS1_27merge_sort_block_merge_implIS3_PmPS5_jNS1_19radix_merge_compareILb0ELb1EmNS0_19identity_decomposerEEEEE10hipError_tT0_T1_T2_jT3_P12ihipStream_tbPNSt15iterator_traitsISE_E10value_typeEPNSK_ISF_E10value_typeEPSG_NS1_7vsmem_tEENKUlT_SE_SF_SG_E_clIS8_S8_S9_S9_EESD_ST_SE_SF_SG_EUlST_E1_NS1_11comp_targetILNS1_3genE3ELNS1_11target_archE908ELNS1_3gpuE7ELNS1_3repE0EEENS1_36merge_oddeven_config_static_selectorELNS0_4arch9wavefront6targetE1EEEvSF_
	.p2align	8
	.type	_ZN7rocprim17ROCPRIM_400000_NS6detail17trampoline_kernelINS0_14default_configENS1_38merge_sort_block_merge_config_selectorImNS0_10empty_typeEEEZZNS1_27merge_sort_block_merge_implIS3_PmPS5_jNS1_19radix_merge_compareILb0ELb1EmNS0_19identity_decomposerEEEEE10hipError_tT0_T1_T2_jT3_P12ihipStream_tbPNSt15iterator_traitsISE_E10value_typeEPNSK_ISF_E10value_typeEPSG_NS1_7vsmem_tEENKUlT_SE_SF_SG_E_clIS8_S8_S9_S9_EESD_ST_SE_SF_SG_EUlST_E1_NS1_11comp_targetILNS1_3genE3ELNS1_11target_archE908ELNS1_3gpuE7ELNS1_3repE0EEENS1_36merge_oddeven_config_static_selectorELNS0_4arch9wavefront6targetE1EEEvSF_,@function
_ZN7rocprim17ROCPRIM_400000_NS6detail17trampoline_kernelINS0_14default_configENS1_38merge_sort_block_merge_config_selectorImNS0_10empty_typeEEEZZNS1_27merge_sort_block_merge_implIS3_PmPS5_jNS1_19radix_merge_compareILb0ELb1EmNS0_19identity_decomposerEEEEE10hipError_tT0_T1_T2_jT3_P12ihipStream_tbPNSt15iterator_traitsISE_E10value_typeEPNSK_ISF_E10value_typeEPSG_NS1_7vsmem_tEENKUlT_SE_SF_SG_E_clIS8_S8_S9_S9_EESD_ST_SE_SF_SG_EUlST_E1_NS1_11comp_targetILNS1_3genE3ELNS1_11target_archE908ELNS1_3gpuE7ELNS1_3repE0EEENS1_36merge_oddeven_config_static_selectorELNS0_4arch9wavefront6targetE1EEEvSF_: ; @_ZN7rocprim17ROCPRIM_400000_NS6detail17trampoline_kernelINS0_14default_configENS1_38merge_sort_block_merge_config_selectorImNS0_10empty_typeEEEZZNS1_27merge_sort_block_merge_implIS3_PmPS5_jNS1_19radix_merge_compareILb0ELb1EmNS0_19identity_decomposerEEEEE10hipError_tT0_T1_T2_jT3_P12ihipStream_tbPNSt15iterator_traitsISE_E10value_typeEPNSK_ISF_E10value_typeEPSG_NS1_7vsmem_tEENKUlT_SE_SF_SG_E_clIS8_S8_S9_S9_EESD_ST_SE_SF_SG_EUlST_E1_NS1_11comp_targetILNS1_3genE3ELNS1_11target_archE908ELNS1_3gpuE7ELNS1_3repE0EEENS1_36merge_oddeven_config_static_selectorELNS0_4arch9wavefront6targetE1EEEvSF_
; %bb.0:
	.section	.rodata,"a",@progbits
	.p2align	6, 0x0
	.amdhsa_kernel _ZN7rocprim17ROCPRIM_400000_NS6detail17trampoline_kernelINS0_14default_configENS1_38merge_sort_block_merge_config_selectorImNS0_10empty_typeEEEZZNS1_27merge_sort_block_merge_implIS3_PmPS5_jNS1_19radix_merge_compareILb0ELb1EmNS0_19identity_decomposerEEEEE10hipError_tT0_T1_T2_jT3_P12ihipStream_tbPNSt15iterator_traitsISE_E10value_typeEPNSK_ISF_E10value_typeEPSG_NS1_7vsmem_tEENKUlT_SE_SF_SG_E_clIS8_S8_S9_S9_EESD_ST_SE_SF_SG_EUlST_E1_NS1_11comp_targetILNS1_3genE3ELNS1_11target_archE908ELNS1_3gpuE7ELNS1_3repE0EEENS1_36merge_oddeven_config_static_selectorELNS0_4arch9wavefront6targetE1EEEvSF_
		.amdhsa_group_segment_fixed_size 0
		.amdhsa_private_segment_fixed_size 0
		.amdhsa_kernarg_size 48
		.amdhsa_user_sgpr_count 6
		.amdhsa_user_sgpr_private_segment_buffer 1
		.amdhsa_user_sgpr_dispatch_ptr 0
		.amdhsa_user_sgpr_queue_ptr 0
		.amdhsa_user_sgpr_kernarg_segment_ptr 1
		.amdhsa_user_sgpr_dispatch_id 0
		.amdhsa_user_sgpr_flat_scratch_init 0
		.amdhsa_user_sgpr_kernarg_preload_length 0
		.amdhsa_user_sgpr_kernarg_preload_offset 0
		.amdhsa_user_sgpr_private_segment_size 0
		.amdhsa_uses_dynamic_stack 0
		.amdhsa_system_sgpr_private_segment_wavefront_offset 0
		.amdhsa_system_sgpr_workgroup_id_x 1
		.amdhsa_system_sgpr_workgroup_id_y 0
		.amdhsa_system_sgpr_workgroup_id_z 0
		.amdhsa_system_sgpr_workgroup_info 0
		.amdhsa_system_vgpr_workitem_id 0
		.amdhsa_next_free_vgpr 1
		.amdhsa_next_free_sgpr 0
		.amdhsa_accum_offset 4
		.amdhsa_reserve_vcc 0
		.amdhsa_reserve_flat_scratch 0
		.amdhsa_float_round_mode_32 0
		.amdhsa_float_round_mode_16_64 0
		.amdhsa_float_denorm_mode_32 3
		.amdhsa_float_denorm_mode_16_64 3
		.amdhsa_dx10_clamp 1
		.amdhsa_ieee_mode 1
		.amdhsa_fp16_overflow 0
		.amdhsa_tg_split 0
		.amdhsa_exception_fp_ieee_invalid_op 0
		.amdhsa_exception_fp_denorm_src 0
		.amdhsa_exception_fp_ieee_div_zero 0
		.amdhsa_exception_fp_ieee_overflow 0
		.amdhsa_exception_fp_ieee_underflow 0
		.amdhsa_exception_fp_ieee_inexact 0
		.amdhsa_exception_int_div_zero 0
	.end_amdhsa_kernel
	.section	.text._ZN7rocprim17ROCPRIM_400000_NS6detail17trampoline_kernelINS0_14default_configENS1_38merge_sort_block_merge_config_selectorImNS0_10empty_typeEEEZZNS1_27merge_sort_block_merge_implIS3_PmPS5_jNS1_19radix_merge_compareILb0ELb1EmNS0_19identity_decomposerEEEEE10hipError_tT0_T1_T2_jT3_P12ihipStream_tbPNSt15iterator_traitsISE_E10value_typeEPNSK_ISF_E10value_typeEPSG_NS1_7vsmem_tEENKUlT_SE_SF_SG_E_clIS8_S8_S9_S9_EESD_ST_SE_SF_SG_EUlST_E1_NS1_11comp_targetILNS1_3genE3ELNS1_11target_archE908ELNS1_3gpuE7ELNS1_3repE0EEENS1_36merge_oddeven_config_static_selectorELNS0_4arch9wavefront6targetE1EEEvSF_,"axG",@progbits,_ZN7rocprim17ROCPRIM_400000_NS6detail17trampoline_kernelINS0_14default_configENS1_38merge_sort_block_merge_config_selectorImNS0_10empty_typeEEEZZNS1_27merge_sort_block_merge_implIS3_PmPS5_jNS1_19radix_merge_compareILb0ELb1EmNS0_19identity_decomposerEEEEE10hipError_tT0_T1_T2_jT3_P12ihipStream_tbPNSt15iterator_traitsISE_E10value_typeEPNSK_ISF_E10value_typeEPSG_NS1_7vsmem_tEENKUlT_SE_SF_SG_E_clIS8_S8_S9_S9_EESD_ST_SE_SF_SG_EUlST_E1_NS1_11comp_targetILNS1_3genE3ELNS1_11target_archE908ELNS1_3gpuE7ELNS1_3repE0EEENS1_36merge_oddeven_config_static_selectorELNS0_4arch9wavefront6targetE1EEEvSF_,comdat
.Lfunc_end958:
	.size	_ZN7rocprim17ROCPRIM_400000_NS6detail17trampoline_kernelINS0_14default_configENS1_38merge_sort_block_merge_config_selectorImNS0_10empty_typeEEEZZNS1_27merge_sort_block_merge_implIS3_PmPS5_jNS1_19radix_merge_compareILb0ELb1EmNS0_19identity_decomposerEEEEE10hipError_tT0_T1_T2_jT3_P12ihipStream_tbPNSt15iterator_traitsISE_E10value_typeEPNSK_ISF_E10value_typeEPSG_NS1_7vsmem_tEENKUlT_SE_SF_SG_E_clIS8_S8_S9_S9_EESD_ST_SE_SF_SG_EUlST_E1_NS1_11comp_targetILNS1_3genE3ELNS1_11target_archE908ELNS1_3gpuE7ELNS1_3repE0EEENS1_36merge_oddeven_config_static_selectorELNS0_4arch9wavefront6targetE1EEEvSF_, .Lfunc_end958-_ZN7rocprim17ROCPRIM_400000_NS6detail17trampoline_kernelINS0_14default_configENS1_38merge_sort_block_merge_config_selectorImNS0_10empty_typeEEEZZNS1_27merge_sort_block_merge_implIS3_PmPS5_jNS1_19radix_merge_compareILb0ELb1EmNS0_19identity_decomposerEEEEE10hipError_tT0_T1_T2_jT3_P12ihipStream_tbPNSt15iterator_traitsISE_E10value_typeEPNSK_ISF_E10value_typeEPSG_NS1_7vsmem_tEENKUlT_SE_SF_SG_E_clIS8_S8_S9_S9_EESD_ST_SE_SF_SG_EUlST_E1_NS1_11comp_targetILNS1_3genE3ELNS1_11target_archE908ELNS1_3gpuE7ELNS1_3repE0EEENS1_36merge_oddeven_config_static_selectorELNS0_4arch9wavefront6targetE1EEEvSF_
                                        ; -- End function
	.section	.AMDGPU.csdata,"",@progbits
; Kernel info:
; codeLenInByte = 0
; NumSgprs: 4
; NumVgprs: 0
; NumAgprs: 0
; TotalNumVgprs: 0
; ScratchSize: 0
; MemoryBound: 0
; FloatMode: 240
; IeeeMode: 1
; LDSByteSize: 0 bytes/workgroup (compile time only)
; SGPRBlocks: 0
; VGPRBlocks: 0
; NumSGPRsForWavesPerEU: 4
; NumVGPRsForWavesPerEU: 1
; AccumOffset: 4
; Occupancy: 8
; WaveLimiterHint : 0
; COMPUTE_PGM_RSRC2:SCRATCH_EN: 0
; COMPUTE_PGM_RSRC2:USER_SGPR: 6
; COMPUTE_PGM_RSRC2:TRAP_HANDLER: 0
; COMPUTE_PGM_RSRC2:TGID_X_EN: 1
; COMPUTE_PGM_RSRC2:TGID_Y_EN: 0
; COMPUTE_PGM_RSRC2:TGID_Z_EN: 0
; COMPUTE_PGM_RSRC2:TIDIG_COMP_CNT: 0
; COMPUTE_PGM_RSRC3_GFX90A:ACCUM_OFFSET: 0
; COMPUTE_PGM_RSRC3_GFX90A:TG_SPLIT: 0
	.section	.text._ZN7rocprim17ROCPRIM_400000_NS6detail17trampoline_kernelINS0_14default_configENS1_38merge_sort_block_merge_config_selectorImNS0_10empty_typeEEEZZNS1_27merge_sort_block_merge_implIS3_PmPS5_jNS1_19radix_merge_compareILb0ELb1EmNS0_19identity_decomposerEEEEE10hipError_tT0_T1_T2_jT3_P12ihipStream_tbPNSt15iterator_traitsISE_E10value_typeEPNSK_ISF_E10value_typeEPSG_NS1_7vsmem_tEENKUlT_SE_SF_SG_E_clIS8_S8_S9_S9_EESD_ST_SE_SF_SG_EUlST_E1_NS1_11comp_targetILNS1_3genE2ELNS1_11target_archE906ELNS1_3gpuE6ELNS1_3repE0EEENS1_36merge_oddeven_config_static_selectorELNS0_4arch9wavefront6targetE1EEEvSF_,"axG",@progbits,_ZN7rocprim17ROCPRIM_400000_NS6detail17trampoline_kernelINS0_14default_configENS1_38merge_sort_block_merge_config_selectorImNS0_10empty_typeEEEZZNS1_27merge_sort_block_merge_implIS3_PmPS5_jNS1_19radix_merge_compareILb0ELb1EmNS0_19identity_decomposerEEEEE10hipError_tT0_T1_T2_jT3_P12ihipStream_tbPNSt15iterator_traitsISE_E10value_typeEPNSK_ISF_E10value_typeEPSG_NS1_7vsmem_tEENKUlT_SE_SF_SG_E_clIS8_S8_S9_S9_EESD_ST_SE_SF_SG_EUlST_E1_NS1_11comp_targetILNS1_3genE2ELNS1_11target_archE906ELNS1_3gpuE6ELNS1_3repE0EEENS1_36merge_oddeven_config_static_selectorELNS0_4arch9wavefront6targetE1EEEvSF_,comdat
	.protected	_ZN7rocprim17ROCPRIM_400000_NS6detail17trampoline_kernelINS0_14default_configENS1_38merge_sort_block_merge_config_selectorImNS0_10empty_typeEEEZZNS1_27merge_sort_block_merge_implIS3_PmPS5_jNS1_19radix_merge_compareILb0ELb1EmNS0_19identity_decomposerEEEEE10hipError_tT0_T1_T2_jT3_P12ihipStream_tbPNSt15iterator_traitsISE_E10value_typeEPNSK_ISF_E10value_typeEPSG_NS1_7vsmem_tEENKUlT_SE_SF_SG_E_clIS8_S8_S9_S9_EESD_ST_SE_SF_SG_EUlST_E1_NS1_11comp_targetILNS1_3genE2ELNS1_11target_archE906ELNS1_3gpuE6ELNS1_3repE0EEENS1_36merge_oddeven_config_static_selectorELNS0_4arch9wavefront6targetE1EEEvSF_ ; -- Begin function _ZN7rocprim17ROCPRIM_400000_NS6detail17trampoline_kernelINS0_14default_configENS1_38merge_sort_block_merge_config_selectorImNS0_10empty_typeEEEZZNS1_27merge_sort_block_merge_implIS3_PmPS5_jNS1_19radix_merge_compareILb0ELb1EmNS0_19identity_decomposerEEEEE10hipError_tT0_T1_T2_jT3_P12ihipStream_tbPNSt15iterator_traitsISE_E10value_typeEPNSK_ISF_E10value_typeEPSG_NS1_7vsmem_tEENKUlT_SE_SF_SG_E_clIS8_S8_S9_S9_EESD_ST_SE_SF_SG_EUlST_E1_NS1_11comp_targetILNS1_3genE2ELNS1_11target_archE906ELNS1_3gpuE6ELNS1_3repE0EEENS1_36merge_oddeven_config_static_selectorELNS0_4arch9wavefront6targetE1EEEvSF_
	.globl	_ZN7rocprim17ROCPRIM_400000_NS6detail17trampoline_kernelINS0_14default_configENS1_38merge_sort_block_merge_config_selectorImNS0_10empty_typeEEEZZNS1_27merge_sort_block_merge_implIS3_PmPS5_jNS1_19radix_merge_compareILb0ELb1EmNS0_19identity_decomposerEEEEE10hipError_tT0_T1_T2_jT3_P12ihipStream_tbPNSt15iterator_traitsISE_E10value_typeEPNSK_ISF_E10value_typeEPSG_NS1_7vsmem_tEENKUlT_SE_SF_SG_E_clIS8_S8_S9_S9_EESD_ST_SE_SF_SG_EUlST_E1_NS1_11comp_targetILNS1_3genE2ELNS1_11target_archE906ELNS1_3gpuE6ELNS1_3repE0EEENS1_36merge_oddeven_config_static_selectorELNS0_4arch9wavefront6targetE1EEEvSF_
	.p2align	8
	.type	_ZN7rocprim17ROCPRIM_400000_NS6detail17trampoline_kernelINS0_14default_configENS1_38merge_sort_block_merge_config_selectorImNS0_10empty_typeEEEZZNS1_27merge_sort_block_merge_implIS3_PmPS5_jNS1_19radix_merge_compareILb0ELb1EmNS0_19identity_decomposerEEEEE10hipError_tT0_T1_T2_jT3_P12ihipStream_tbPNSt15iterator_traitsISE_E10value_typeEPNSK_ISF_E10value_typeEPSG_NS1_7vsmem_tEENKUlT_SE_SF_SG_E_clIS8_S8_S9_S9_EESD_ST_SE_SF_SG_EUlST_E1_NS1_11comp_targetILNS1_3genE2ELNS1_11target_archE906ELNS1_3gpuE6ELNS1_3repE0EEENS1_36merge_oddeven_config_static_selectorELNS0_4arch9wavefront6targetE1EEEvSF_,@function
_ZN7rocprim17ROCPRIM_400000_NS6detail17trampoline_kernelINS0_14default_configENS1_38merge_sort_block_merge_config_selectorImNS0_10empty_typeEEEZZNS1_27merge_sort_block_merge_implIS3_PmPS5_jNS1_19radix_merge_compareILb0ELb1EmNS0_19identity_decomposerEEEEE10hipError_tT0_T1_T2_jT3_P12ihipStream_tbPNSt15iterator_traitsISE_E10value_typeEPNSK_ISF_E10value_typeEPSG_NS1_7vsmem_tEENKUlT_SE_SF_SG_E_clIS8_S8_S9_S9_EESD_ST_SE_SF_SG_EUlST_E1_NS1_11comp_targetILNS1_3genE2ELNS1_11target_archE906ELNS1_3gpuE6ELNS1_3repE0EEENS1_36merge_oddeven_config_static_selectorELNS0_4arch9wavefront6targetE1EEEvSF_: ; @_ZN7rocprim17ROCPRIM_400000_NS6detail17trampoline_kernelINS0_14default_configENS1_38merge_sort_block_merge_config_selectorImNS0_10empty_typeEEEZZNS1_27merge_sort_block_merge_implIS3_PmPS5_jNS1_19radix_merge_compareILb0ELb1EmNS0_19identity_decomposerEEEEE10hipError_tT0_T1_T2_jT3_P12ihipStream_tbPNSt15iterator_traitsISE_E10value_typeEPNSK_ISF_E10value_typeEPSG_NS1_7vsmem_tEENKUlT_SE_SF_SG_E_clIS8_S8_S9_S9_EESD_ST_SE_SF_SG_EUlST_E1_NS1_11comp_targetILNS1_3genE2ELNS1_11target_archE906ELNS1_3gpuE6ELNS1_3repE0EEENS1_36merge_oddeven_config_static_selectorELNS0_4arch9wavefront6targetE1EEEvSF_
; %bb.0:
	.section	.rodata,"a",@progbits
	.p2align	6, 0x0
	.amdhsa_kernel _ZN7rocprim17ROCPRIM_400000_NS6detail17trampoline_kernelINS0_14default_configENS1_38merge_sort_block_merge_config_selectorImNS0_10empty_typeEEEZZNS1_27merge_sort_block_merge_implIS3_PmPS5_jNS1_19radix_merge_compareILb0ELb1EmNS0_19identity_decomposerEEEEE10hipError_tT0_T1_T2_jT3_P12ihipStream_tbPNSt15iterator_traitsISE_E10value_typeEPNSK_ISF_E10value_typeEPSG_NS1_7vsmem_tEENKUlT_SE_SF_SG_E_clIS8_S8_S9_S9_EESD_ST_SE_SF_SG_EUlST_E1_NS1_11comp_targetILNS1_3genE2ELNS1_11target_archE906ELNS1_3gpuE6ELNS1_3repE0EEENS1_36merge_oddeven_config_static_selectorELNS0_4arch9wavefront6targetE1EEEvSF_
		.amdhsa_group_segment_fixed_size 0
		.amdhsa_private_segment_fixed_size 0
		.amdhsa_kernarg_size 48
		.amdhsa_user_sgpr_count 6
		.amdhsa_user_sgpr_private_segment_buffer 1
		.amdhsa_user_sgpr_dispatch_ptr 0
		.amdhsa_user_sgpr_queue_ptr 0
		.amdhsa_user_sgpr_kernarg_segment_ptr 1
		.amdhsa_user_sgpr_dispatch_id 0
		.amdhsa_user_sgpr_flat_scratch_init 0
		.amdhsa_user_sgpr_kernarg_preload_length 0
		.amdhsa_user_sgpr_kernarg_preload_offset 0
		.amdhsa_user_sgpr_private_segment_size 0
		.amdhsa_uses_dynamic_stack 0
		.amdhsa_system_sgpr_private_segment_wavefront_offset 0
		.amdhsa_system_sgpr_workgroup_id_x 1
		.amdhsa_system_sgpr_workgroup_id_y 0
		.amdhsa_system_sgpr_workgroup_id_z 0
		.amdhsa_system_sgpr_workgroup_info 0
		.amdhsa_system_vgpr_workitem_id 0
		.amdhsa_next_free_vgpr 1
		.amdhsa_next_free_sgpr 0
		.amdhsa_accum_offset 4
		.amdhsa_reserve_vcc 0
		.amdhsa_reserve_flat_scratch 0
		.amdhsa_float_round_mode_32 0
		.amdhsa_float_round_mode_16_64 0
		.amdhsa_float_denorm_mode_32 3
		.amdhsa_float_denorm_mode_16_64 3
		.amdhsa_dx10_clamp 1
		.amdhsa_ieee_mode 1
		.amdhsa_fp16_overflow 0
		.amdhsa_tg_split 0
		.amdhsa_exception_fp_ieee_invalid_op 0
		.amdhsa_exception_fp_denorm_src 0
		.amdhsa_exception_fp_ieee_div_zero 0
		.amdhsa_exception_fp_ieee_overflow 0
		.amdhsa_exception_fp_ieee_underflow 0
		.amdhsa_exception_fp_ieee_inexact 0
		.amdhsa_exception_int_div_zero 0
	.end_amdhsa_kernel
	.section	.text._ZN7rocprim17ROCPRIM_400000_NS6detail17trampoline_kernelINS0_14default_configENS1_38merge_sort_block_merge_config_selectorImNS0_10empty_typeEEEZZNS1_27merge_sort_block_merge_implIS3_PmPS5_jNS1_19radix_merge_compareILb0ELb1EmNS0_19identity_decomposerEEEEE10hipError_tT0_T1_T2_jT3_P12ihipStream_tbPNSt15iterator_traitsISE_E10value_typeEPNSK_ISF_E10value_typeEPSG_NS1_7vsmem_tEENKUlT_SE_SF_SG_E_clIS8_S8_S9_S9_EESD_ST_SE_SF_SG_EUlST_E1_NS1_11comp_targetILNS1_3genE2ELNS1_11target_archE906ELNS1_3gpuE6ELNS1_3repE0EEENS1_36merge_oddeven_config_static_selectorELNS0_4arch9wavefront6targetE1EEEvSF_,"axG",@progbits,_ZN7rocprim17ROCPRIM_400000_NS6detail17trampoline_kernelINS0_14default_configENS1_38merge_sort_block_merge_config_selectorImNS0_10empty_typeEEEZZNS1_27merge_sort_block_merge_implIS3_PmPS5_jNS1_19radix_merge_compareILb0ELb1EmNS0_19identity_decomposerEEEEE10hipError_tT0_T1_T2_jT3_P12ihipStream_tbPNSt15iterator_traitsISE_E10value_typeEPNSK_ISF_E10value_typeEPSG_NS1_7vsmem_tEENKUlT_SE_SF_SG_E_clIS8_S8_S9_S9_EESD_ST_SE_SF_SG_EUlST_E1_NS1_11comp_targetILNS1_3genE2ELNS1_11target_archE906ELNS1_3gpuE6ELNS1_3repE0EEENS1_36merge_oddeven_config_static_selectorELNS0_4arch9wavefront6targetE1EEEvSF_,comdat
.Lfunc_end959:
	.size	_ZN7rocprim17ROCPRIM_400000_NS6detail17trampoline_kernelINS0_14default_configENS1_38merge_sort_block_merge_config_selectorImNS0_10empty_typeEEEZZNS1_27merge_sort_block_merge_implIS3_PmPS5_jNS1_19radix_merge_compareILb0ELb1EmNS0_19identity_decomposerEEEEE10hipError_tT0_T1_T2_jT3_P12ihipStream_tbPNSt15iterator_traitsISE_E10value_typeEPNSK_ISF_E10value_typeEPSG_NS1_7vsmem_tEENKUlT_SE_SF_SG_E_clIS8_S8_S9_S9_EESD_ST_SE_SF_SG_EUlST_E1_NS1_11comp_targetILNS1_3genE2ELNS1_11target_archE906ELNS1_3gpuE6ELNS1_3repE0EEENS1_36merge_oddeven_config_static_selectorELNS0_4arch9wavefront6targetE1EEEvSF_, .Lfunc_end959-_ZN7rocprim17ROCPRIM_400000_NS6detail17trampoline_kernelINS0_14default_configENS1_38merge_sort_block_merge_config_selectorImNS0_10empty_typeEEEZZNS1_27merge_sort_block_merge_implIS3_PmPS5_jNS1_19radix_merge_compareILb0ELb1EmNS0_19identity_decomposerEEEEE10hipError_tT0_T1_T2_jT3_P12ihipStream_tbPNSt15iterator_traitsISE_E10value_typeEPNSK_ISF_E10value_typeEPSG_NS1_7vsmem_tEENKUlT_SE_SF_SG_E_clIS8_S8_S9_S9_EESD_ST_SE_SF_SG_EUlST_E1_NS1_11comp_targetILNS1_3genE2ELNS1_11target_archE906ELNS1_3gpuE6ELNS1_3repE0EEENS1_36merge_oddeven_config_static_selectorELNS0_4arch9wavefront6targetE1EEEvSF_
                                        ; -- End function
	.section	.AMDGPU.csdata,"",@progbits
; Kernel info:
; codeLenInByte = 0
; NumSgprs: 4
; NumVgprs: 0
; NumAgprs: 0
; TotalNumVgprs: 0
; ScratchSize: 0
; MemoryBound: 0
; FloatMode: 240
; IeeeMode: 1
; LDSByteSize: 0 bytes/workgroup (compile time only)
; SGPRBlocks: 0
; VGPRBlocks: 0
; NumSGPRsForWavesPerEU: 4
; NumVGPRsForWavesPerEU: 1
; AccumOffset: 4
; Occupancy: 8
; WaveLimiterHint : 0
; COMPUTE_PGM_RSRC2:SCRATCH_EN: 0
; COMPUTE_PGM_RSRC2:USER_SGPR: 6
; COMPUTE_PGM_RSRC2:TRAP_HANDLER: 0
; COMPUTE_PGM_RSRC2:TGID_X_EN: 1
; COMPUTE_PGM_RSRC2:TGID_Y_EN: 0
; COMPUTE_PGM_RSRC2:TGID_Z_EN: 0
; COMPUTE_PGM_RSRC2:TIDIG_COMP_CNT: 0
; COMPUTE_PGM_RSRC3_GFX90A:ACCUM_OFFSET: 0
; COMPUTE_PGM_RSRC3_GFX90A:TG_SPLIT: 0
	.section	.text._ZN7rocprim17ROCPRIM_400000_NS6detail17trampoline_kernelINS0_14default_configENS1_38merge_sort_block_merge_config_selectorImNS0_10empty_typeEEEZZNS1_27merge_sort_block_merge_implIS3_PmPS5_jNS1_19radix_merge_compareILb0ELb1EmNS0_19identity_decomposerEEEEE10hipError_tT0_T1_T2_jT3_P12ihipStream_tbPNSt15iterator_traitsISE_E10value_typeEPNSK_ISF_E10value_typeEPSG_NS1_7vsmem_tEENKUlT_SE_SF_SG_E_clIS8_S8_S9_S9_EESD_ST_SE_SF_SG_EUlST_E1_NS1_11comp_targetILNS1_3genE9ELNS1_11target_archE1100ELNS1_3gpuE3ELNS1_3repE0EEENS1_36merge_oddeven_config_static_selectorELNS0_4arch9wavefront6targetE1EEEvSF_,"axG",@progbits,_ZN7rocprim17ROCPRIM_400000_NS6detail17trampoline_kernelINS0_14default_configENS1_38merge_sort_block_merge_config_selectorImNS0_10empty_typeEEEZZNS1_27merge_sort_block_merge_implIS3_PmPS5_jNS1_19radix_merge_compareILb0ELb1EmNS0_19identity_decomposerEEEEE10hipError_tT0_T1_T2_jT3_P12ihipStream_tbPNSt15iterator_traitsISE_E10value_typeEPNSK_ISF_E10value_typeEPSG_NS1_7vsmem_tEENKUlT_SE_SF_SG_E_clIS8_S8_S9_S9_EESD_ST_SE_SF_SG_EUlST_E1_NS1_11comp_targetILNS1_3genE9ELNS1_11target_archE1100ELNS1_3gpuE3ELNS1_3repE0EEENS1_36merge_oddeven_config_static_selectorELNS0_4arch9wavefront6targetE1EEEvSF_,comdat
	.protected	_ZN7rocprim17ROCPRIM_400000_NS6detail17trampoline_kernelINS0_14default_configENS1_38merge_sort_block_merge_config_selectorImNS0_10empty_typeEEEZZNS1_27merge_sort_block_merge_implIS3_PmPS5_jNS1_19radix_merge_compareILb0ELb1EmNS0_19identity_decomposerEEEEE10hipError_tT0_T1_T2_jT3_P12ihipStream_tbPNSt15iterator_traitsISE_E10value_typeEPNSK_ISF_E10value_typeEPSG_NS1_7vsmem_tEENKUlT_SE_SF_SG_E_clIS8_S8_S9_S9_EESD_ST_SE_SF_SG_EUlST_E1_NS1_11comp_targetILNS1_3genE9ELNS1_11target_archE1100ELNS1_3gpuE3ELNS1_3repE0EEENS1_36merge_oddeven_config_static_selectorELNS0_4arch9wavefront6targetE1EEEvSF_ ; -- Begin function _ZN7rocprim17ROCPRIM_400000_NS6detail17trampoline_kernelINS0_14default_configENS1_38merge_sort_block_merge_config_selectorImNS0_10empty_typeEEEZZNS1_27merge_sort_block_merge_implIS3_PmPS5_jNS1_19radix_merge_compareILb0ELb1EmNS0_19identity_decomposerEEEEE10hipError_tT0_T1_T2_jT3_P12ihipStream_tbPNSt15iterator_traitsISE_E10value_typeEPNSK_ISF_E10value_typeEPSG_NS1_7vsmem_tEENKUlT_SE_SF_SG_E_clIS8_S8_S9_S9_EESD_ST_SE_SF_SG_EUlST_E1_NS1_11comp_targetILNS1_3genE9ELNS1_11target_archE1100ELNS1_3gpuE3ELNS1_3repE0EEENS1_36merge_oddeven_config_static_selectorELNS0_4arch9wavefront6targetE1EEEvSF_
	.globl	_ZN7rocprim17ROCPRIM_400000_NS6detail17trampoline_kernelINS0_14default_configENS1_38merge_sort_block_merge_config_selectorImNS0_10empty_typeEEEZZNS1_27merge_sort_block_merge_implIS3_PmPS5_jNS1_19radix_merge_compareILb0ELb1EmNS0_19identity_decomposerEEEEE10hipError_tT0_T1_T2_jT3_P12ihipStream_tbPNSt15iterator_traitsISE_E10value_typeEPNSK_ISF_E10value_typeEPSG_NS1_7vsmem_tEENKUlT_SE_SF_SG_E_clIS8_S8_S9_S9_EESD_ST_SE_SF_SG_EUlST_E1_NS1_11comp_targetILNS1_3genE9ELNS1_11target_archE1100ELNS1_3gpuE3ELNS1_3repE0EEENS1_36merge_oddeven_config_static_selectorELNS0_4arch9wavefront6targetE1EEEvSF_
	.p2align	8
	.type	_ZN7rocprim17ROCPRIM_400000_NS6detail17trampoline_kernelINS0_14default_configENS1_38merge_sort_block_merge_config_selectorImNS0_10empty_typeEEEZZNS1_27merge_sort_block_merge_implIS3_PmPS5_jNS1_19radix_merge_compareILb0ELb1EmNS0_19identity_decomposerEEEEE10hipError_tT0_T1_T2_jT3_P12ihipStream_tbPNSt15iterator_traitsISE_E10value_typeEPNSK_ISF_E10value_typeEPSG_NS1_7vsmem_tEENKUlT_SE_SF_SG_E_clIS8_S8_S9_S9_EESD_ST_SE_SF_SG_EUlST_E1_NS1_11comp_targetILNS1_3genE9ELNS1_11target_archE1100ELNS1_3gpuE3ELNS1_3repE0EEENS1_36merge_oddeven_config_static_selectorELNS0_4arch9wavefront6targetE1EEEvSF_,@function
_ZN7rocprim17ROCPRIM_400000_NS6detail17trampoline_kernelINS0_14default_configENS1_38merge_sort_block_merge_config_selectorImNS0_10empty_typeEEEZZNS1_27merge_sort_block_merge_implIS3_PmPS5_jNS1_19radix_merge_compareILb0ELb1EmNS0_19identity_decomposerEEEEE10hipError_tT0_T1_T2_jT3_P12ihipStream_tbPNSt15iterator_traitsISE_E10value_typeEPNSK_ISF_E10value_typeEPSG_NS1_7vsmem_tEENKUlT_SE_SF_SG_E_clIS8_S8_S9_S9_EESD_ST_SE_SF_SG_EUlST_E1_NS1_11comp_targetILNS1_3genE9ELNS1_11target_archE1100ELNS1_3gpuE3ELNS1_3repE0EEENS1_36merge_oddeven_config_static_selectorELNS0_4arch9wavefront6targetE1EEEvSF_: ; @_ZN7rocprim17ROCPRIM_400000_NS6detail17trampoline_kernelINS0_14default_configENS1_38merge_sort_block_merge_config_selectorImNS0_10empty_typeEEEZZNS1_27merge_sort_block_merge_implIS3_PmPS5_jNS1_19radix_merge_compareILb0ELb1EmNS0_19identity_decomposerEEEEE10hipError_tT0_T1_T2_jT3_P12ihipStream_tbPNSt15iterator_traitsISE_E10value_typeEPNSK_ISF_E10value_typeEPSG_NS1_7vsmem_tEENKUlT_SE_SF_SG_E_clIS8_S8_S9_S9_EESD_ST_SE_SF_SG_EUlST_E1_NS1_11comp_targetILNS1_3genE9ELNS1_11target_archE1100ELNS1_3gpuE3ELNS1_3repE0EEENS1_36merge_oddeven_config_static_selectorELNS0_4arch9wavefront6targetE1EEEvSF_
; %bb.0:
	.section	.rodata,"a",@progbits
	.p2align	6, 0x0
	.amdhsa_kernel _ZN7rocprim17ROCPRIM_400000_NS6detail17trampoline_kernelINS0_14default_configENS1_38merge_sort_block_merge_config_selectorImNS0_10empty_typeEEEZZNS1_27merge_sort_block_merge_implIS3_PmPS5_jNS1_19radix_merge_compareILb0ELb1EmNS0_19identity_decomposerEEEEE10hipError_tT0_T1_T2_jT3_P12ihipStream_tbPNSt15iterator_traitsISE_E10value_typeEPNSK_ISF_E10value_typeEPSG_NS1_7vsmem_tEENKUlT_SE_SF_SG_E_clIS8_S8_S9_S9_EESD_ST_SE_SF_SG_EUlST_E1_NS1_11comp_targetILNS1_3genE9ELNS1_11target_archE1100ELNS1_3gpuE3ELNS1_3repE0EEENS1_36merge_oddeven_config_static_selectorELNS0_4arch9wavefront6targetE1EEEvSF_
		.amdhsa_group_segment_fixed_size 0
		.amdhsa_private_segment_fixed_size 0
		.amdhsa_kernarg_size 48
		.amdhsa_user_sgpr_count 6
		.amdhsa_user_sgpr_private_segment_buffer 1
		.amdhsa_user_sgpr_dispatch_ptr 0
		.amdhsa_user_sgpr_queue_ptr 0
		.amdhsa_user_sgpr_kernarg_segment_ptr 1
		.amdhsa_user_sgpr_dispatch_id 0
		.amdhsa_user_sgpr_flat_scratch_init 0
		.amdhsa_user_sgpr_kernarg_preload_length 0
		.amdhsa_user_sgpr_kernarg_preload_offset 0
		.amdhsa_user_sgpr_private_segment_size 0
		.amdhsa_uses_dynamic_stack 0
		.amdhsa_system_sgpr_private_segment_wavefront_offset 0
		.amdhsa_system_sgpr_workgroup_id_x 1
		.amdhsa_system_sgpr_workgroup_id_y 0
		.amdhsa_system_sgpr_workgroup_id_z 0
		.amdhsa_system_sgpr_workgroup_info 0
		.amdhsa_system_vgpr_workitem_id 0
		.amdhsa_next_free_vgpr 1
		.amdhsa_next_free_sgpr 0
		.amdhsa_accum_offset 4
		.amdhsa_reserve_vcc 0
		.amdhsa_reserve_flat_scratch 0
		.amdhsa_float_round_mode_32 0
		.amdhsa_float_round_mode_16_64 0
		.amdhsa_float_denorm_mode_32 3
		.amdhsa_float_denorm_mode_16_64 3
		.amdhsa_dx10_clamp 1
		.amdhsa_ieee_mode 1
		.amdhsa_fp16_overflow 0
		.amdhsa_tg_split 0
		.amdhsa_exception_fp_ieee_invalid_op 0
		.amdhsa_exception_fp_denorm_src 0
		.amdhsa_exception_fp_ieee_div_zero 0
		.amdhsa_exception_fp_ieee_overflow 0
		.amdhsa_exception_fp_ieee_underflow 0
		.amdhsa_exception_fp_ieee_inexact 0
		.amdhsa_exception_int_div_zero 0
	.end_amdhsa_kernel
	.section	.text._ZN7rocprim17ROCPRIM_400000_NS6detail17trampoline_kernelINS0_14default_configENS1_38merge_sort_block_merge_config_selectorImNS0_10empty_typeEEEZZNS1_27merge_sort_block_merge_implIS3_PmPS5_jNS1_19radix_merge_compareILb0ELb1EmNS0_19identity_decomposerEEEEE10hipError_tT0_T1_T2_jT3_P12ihipStream_tbPNSt15iterator_traitsISE_E10value_typeEPNSK_ISF_E10value_typeEPSG_NS1_7vsmem_tEENKUlT_SE_SF_SG_E_clIS8_S8_S9_S9_EESD_ST_SE_SF_SG_EUlST_E1_NS1_11comp_targetILNS1_3genE9ELNS1_11target_archE1100ELNS1_3gpuE3ELNS1_3repE0EEENS1_36merge_oddeven_config_static_selectorELNS0_4arch9wavefront6targetE1EEEvSF_,"axG",@progbits,_ZN7rocprim17ROCPRIM_400000_NS6detail17trampoline_kernelINS0_14default_configENS1_38merge_sort_block_merge_config_selectorImNS0_10empty_typeEEEZZNS1_27merge_sort_block_merge_implIS3_PmPS5_jNS1_19radix_merge_compareILb0ELb1EmNS0_19identity_decomposerEEEEE10hipError_tT0_T1_T2_jT3_P12ihipStream_tbPNSt15iterator_traitsISE_E10value_typeEPNSK_ISF_E10value_typeEPSG_NS1_7vsmem_tEENKUlT_SE_SF_SG_E_clIS8_S8_S9_S9_EESD_ST_SE_SF_SG_EUlST_E1_NS1_11comp_targetILNS1_3genE9ELNS1_11target_archE1100ELNS1_3gpuE3ELNS1_3repE0EEENS1_36merge_oddeven_config_static_selectorELNS0_4arch9wavefront6targetE1EEEvSF_,comdat
.Lfunc_end960:
	.size	_ZN7rocprim17ROCPRIM_400000_NS6detail17trampoline_kernelINS0_14default_configENS1_38merge_sort_block_merge_config_selectorImNS0_10empty_typeEEEZZNS1_27merge_sort_block_merge_implIS3_PmPS5_jNS1_19radix_merge_compareILb0ELb1EmNS0_19identity_decomposerEEEEE10hipError_tT0_T1_T2_jT3_P12ihipStream_tbPNSt15iterator_traitsISE_E10value_typeEPNSK_ISF_E10value_typeEPSG_NS1_7vsmem_tEENKUlT_SE_SF_SG_E_clIS8_S8_S9_S9_EESD_ST_SE_SF_SG_EUlST_E1_NS1_11comp_targetILNS1_3genE9ELNS1_11target_archE1100ELNS1_3gpuE3ELNS1_3repE0EEENS1_36merge_oddeven_config_static_selectorELNS0_4arch9wavefront6targetE1EEEvSF_, .Lfunc_end960-_ZN7rocprim17ROCPRIM_400000_NS6detail17trampoline_kernelINS0_14default_configENS1_38merge_sort_block_merge_config_selectorImNS0_10empty_typeEEEZZNS1_27merge_sort_block_merge_implIS3_PmPS5_jNS1_19radix_merge_compareILb0ELb1EmNS0_19identity_decomposerEEEEE10hipError_tT0_T1_T2_jT3_P12ihipStream_tbPNSt15iterator_traitsISE_E10value_typeEPNSK_ISF_E10value_typeEPSG_NS1_7vsmem_tEENKUlT_SE_SF_SG_E_clIS8_S8_S9_S9_EESD_ST_SE_SF_SG_EUlST_E1_NS1_11comp_targetILNS1_3genE9ELNS1_11target_archE1100ELNS1_3gpuE3ELNS1_3repE0EEENS1_36merge_oddeven_config_static_selectorELNS0_4arch9wavefront6targetE1EEEvSF_
                                        ; -- End function
	.section	.AMDGPU.csdata,"",@progbits
; Kernel info:
; codeLenInByte = 0
; NumSgprs: 4
; NumVgprs: 0
; NumAgprs: 0
; TotalNumVgprs: 0
; ScratchSize: 0
; MemoryBound: 0
; FloatMode: 240
; IeeeMode: 1
; LDSByteSize: 0 bytes/workgroup (compile time only)
; SGPRBlocks: 0
; VGPRBlocks: 0
; NumSGPRsForWavesPerEU: 4
; NumVGPRsForWavesPerEU: 1
; AccumOffset: 4
; Occupancy: 8
; WaveLimiterHint : 0
; COMPUTE_PGM_RSRC2:SCRATCH_EN: 0
; COMPUTE_PGM_RSRC2:USER_SGPR: 6
; COMPUTE_PGM_RSRC2:TRAP_HANDLER: 0
; COMPUTE_PGM_RSRC2:TGID_X_EN: 1
; COMPUTE_PGM_RSRC2:TGID_Y_EN: 0
; COMPUTE_PGM_RSRC2:TGID_Z_EN: 0
; COMPUTE_PGM_RSRC2:TIDIG_COMP_CNT: 0
; COMPUTE_PGM_RSRC3_GFX90A:ACCUM_OFFSET: 0
; COMPUTE_PGM_RSRC3_GFX90A:TG_SPLIT: 0
	.section	.text._ZN7rocprim17ROCPRIM_400000_NS6detail17trampoline_kernelINS0_14default_configENS1_38merge_sort_block_merge_config_selectorImNS0_10empty_typeEEEZZNS1_27merge_sort_block_merge_implIS3_PmPS5_jNS1_19radix_merge_compareILb0ELb1EmNS0_19identity_decomposerEEEEE10hipError_tT0_T1_T2_jT3_P12ihipStream_tbPNSt15iterator_traitsISE_E10value_typeEPNSK_ISF_E10value_typeEPSG_NS1_7vsmem_tEENKUlT_SE_SF_SG_E_clIS8_S8_S9_S9_EESD_ST_SE_SF_SG_EUlST_E1_NS1_11comp_targetILNS1_3genE8ELNS1_11target_archE1030ELNS1_3gpuE2ELNS1_3repE0EEENS1_36merge_oddeven_config_static_selectorELNS0_4arch9wavefront6targetE1EEEvSF_,"axG",@progbits,_ZN7rocprim17ROCPRIM_400000_NS6detail17trampoline_kernelINS0_14default_configENS1_38merge_sort_block_merge_config_selectorImNS0_10empty_typeEEEZZNS1_27merge_sort_block_merge_implIS3_PmPS5_jNS1_19radix_merge_compareILb0ELb1EmNS0_19identity_decomposerEEEEE10hipError_tT0_T1_T2_jT3_P12ihipStream_tbPNSt15iterator_traitsISE_E10value_typeEPNSK_ISF_E10value_typeEPSG_NS1_7vsmem_tEENKUlT_SE_SF_SG_E_clIS8_S8_S9_S9_EESD_ST_SE_SF_SG_EUlST_E1_NS1_11comp_targetILNS1_3genE8ELNS1_11target_archE1030ELNS1_3gpuE2ELNS1_3repE0EEENS1_36merge_oddeven_config_static_selectorELNS0_4arch9wavefront6targetE1EEEvSF_,comdat
	.protected	_ZN7rocprim17ROCPRIM_400000_NS6detail17trampoline_kernelINS0_14default_configENS1_38merge_sort_block_merge_config_selectorImNS0_10empty_typeEEEZZNS1_27merge_sort_block_merge_implIS3_PmPS5_jNS1_19radix_merge_compareILb0ELb1EmNS0_19identity_decomposerEEEEE10hipError_tT0_T1_T2_jT3_P12ihipStream_tbPNSt15iterator_traitsISE_E10value_typeEPNSK_ISF_E10value_typeEPSG_NS1_7vsmem_tEENKUlT_SE_SF_SG_E_clIS8_S8_S9_S9_EESD_ST_SE_SF_SG_EUlST_E1_NS1_11comp_targetILNS1_3genE8ELNS1_11target_archE1030ELNS1_3gpuE2ELNS1_3repE0EEENS1_36merge_oddeven_config_static_selectorELNS0_4arch9wavefront6targetE1EEEvSF_ ; -- Begin function _ZN7rocprim17ROCPRIM_400000_NS6detail17trampoline_kernelINS0_14default_configENS1_38merge_sort_block_merge_config_selectorImNS0_10empty_typeEEEZZNS1_27merge_sort_block_merge_implIS3_PmPS5_jNS1_19radix_merge_compareILb0ELb1EmNS0_19identity_decomposerEEEEE10hipError_tT0_T1_T2_jT3_P12ihipStream_tbPNSt15iterator_traitsISE_E10value_typeEPNSK_ISF_E10value_typeEPSG_NS1_7vsmem_tEENKUlT_SE_SF_SG_E_clIS8_S8_S9_S9_EESD_ST_SE_SF_SG_EUlST_E1_NS1_11comp_targetILNS1_3genE8ELNS1_11target_archE1030ELNS1_3gpuE2ELNS1_3repE0EEENS1_36merge_oddeven_config_static_selectorELNS0_4arch9wavefront6targetE1EEEvSF_
	.globl	_ZN7rocprim17ROCPRIM_400000_NS6detail17trampoline_kernelINS0_14default_configENS1_38merge_sort_block_merge_config_selectorImNS0_10empty_typeEEEZZNS1_27merge_sort_block_merge_implIS3_PmPS5_jNS1_19radix_merge_compareILb0ELb1EmNS0_19identity_decomposerEEEEE10hipError_tT0_T1_T2_jT3_P12ihipStream_tbPNSt15iterator_traitsISE_E10value_typeEPNSK_ISF_E10value_typeEPSG_NS1_7vsmem_tEENKUlT_SE_SF_SG_E_clIS8_S8_S9_S9_EESD_ST_SE_SF_SG_EUlST_E1_NS1_11comp_targetILNS1_3genE8ELNS1_11target_archE1030ELNS1_3gpuE2ELNS1_3repE0EEENS1_36merge_oddeven_config_static_selectorELNS0_4arch9wavefront6targetE1EEEvSF_
	.p2align	8
	.type	_ZN7rocprim17ROCPRIM_400000_NS6detail17trampoline_kernelINS0_14default_configENS1_38merge_sort_block_merge_config_selectorImNS0_10empty_typeEEEZZNS1_27merge_sort_block_merge_implIS3_PmPS5_jNS1_19radix_merge_compareILb0ELb1EmNS0_19identity_decomposerEEEEE10hipError_tT0_T1_T2_jT3_P12ihipStream_tbPNSt15iterator_traitsISE_E10value_typeEPNSK_ISF_E10value_typeEPSG_NS1_7vsmem_tEENKUlT_SE_SF_SG_E_clIS8_S8_S9_S9_EESD_ST_SE_SF_SG_EUlST_E1_NS1_11comp_targetILNS1_3genE8ELNS1_11target_archE1030ELNS1_3gpuE2ELNS1_3repE0EEENS1_36merge_oddeven_config_static_selectorELNS0_4arch9wavefront6targetE1EEEvSF_,@function
_ZN7rocprim17ROCPRIM_400000_NS6detail17trampoline_kernelINS0_14default_configENS1_38merge_sort_block_merge_config_selectorImNS0_10empty_typeEEEZZNS1_27merge_sort_block_merge_implIS3_PmPS5_jNS1_19radix_merge_compareILb0ELb1EmNS0_19identity_decomposerEEEEE10hipError_tT0_T1_T2_jT3_P12ihipStream_tbPNSt15iterator_traitsISE_E10value_typeEPNSK_ISF_E10value_typeEPSG_NS1_7vsmem_tEENKUlT_SE_SF_SG_E_clIS8_S8_S9_S9_EESD_ST_SE_SF_SG_EUlST_E1_NS1_11comp_targetILNS1_3genE8ELNS1_11target_archE1030ELNS1_3gpuE2ELNS1_3repE0EEENS1_36merge_oddeven_config_static_selectorELNS0_4arch9wavefront6targetE1EEEvSF_: ; @_ZN7rocprim17ROCPRIM_400000_NS6detail17trampoline_kernelINS0_14default_configENS1_38merge_sort_block_merge_config_selectorImNS0_10empty_typeEEEZZNS1_27merge_sort_block_merge_implIS3_PmPS5_jNS1_19radix_merge_compareILb0ELb1EmNS0_19identity_decomposerEEEEE10hipError_tT0_T1_T2_jT3_P12ihipStream_tbPNSt15iterator_traitsISE_E10value_typeEPNSK_ISF_E10value_typeEPSG_NS1_7vsmem_tEENKUlT_SE_SF_SG_E_clIS8_S8_S9_S9_EESD_ST_SE_SF_SG_EUlST_E1_NS1_11comp_targetILNS1_3genE8ELNS1_11target_archE1030ELNS1_3gpuE2ELNS1_3repE0EEENS1_36merge_oddeven_config_static_selectorELNS0_4arch9wavefront6targetE1EEEvSF_
; %bb.0:
	.section	.rodata,"a",@progbits
	.p2align	6, 0x0
	.amdhsa_kernel _ZN7rocprim17ROCPRIM_400000_NS6detail17trampoline_kernelINS0_14default_configENS1_38merge_sort_block_merge_config_selectorImNS0_10empty_typeEEEZZNS1_27merge_sort_block_merge_implIS3_PmPS5_jNS1_19radix_merge_compareILb0ELb1EmNS0_19identity_decomposerEEEEE10hipError_tT0_T1_T2_jT3_P12ihipStream_tbPNSt15iterator_traitsISE_E10value_typeEPNSK_ISF_E10value_typeEPSG_NS1_7vsmem_tEENKUlT_SE_SF_SG_E_clIS8_S8_S9_S9_EESD_ST_SE_SF_SG_EUlST_E1_NS1_11comp_targetILNS1_3genE8ELNS1_11target_archE1030ELNS1_3gpuE2ELNS1_3repE0EEENS1_36merge_oddeven_config_static_selectorELNS0_4arch9wavefront6targetE1EEEvSF_
		.amdhsa_group_segment_fixed_size 0
		.amdhsa_private_segment_fixed_size 0
		.amdhsa_kernarg_size 48
		.amdhsa_user_sgpr_count 6
		.amdhsa_user_sgpr_private_segment_buffer 1
		.amdhsa_user_sgpr_dispatch_ptr 0
		.amdhsa_user_sgpr_queue_ptr 0
		.amdhsa_user_sgpr_kernarg_segment_ptr 1
		.amdhsa_user_sgpr_dispatch_id 0
		.amdhsa_user_sgpr_flat_scratch_init 0
		.amdhsa_user_sgpr_kernarg_preload_length 0
		.amdhsa_user_sgpr_kernarg_preload_offset 0
		.amdhsa_user_sgpr_private_segment_size 0
		.amdhsa_uses_dynamic_stack 0
		.amdhsa_system_sgpr_private_segment_wavefront_offset 0
		.amdhsa_system_sgpr_workgroup_id_x 1
		.amdhsa_system_sgpr_workgroup_id_y 0
		.amdhsa_system_sgpr_workgroup_id_z 0
		.amdhsa_system_sgpr_workgroup_info 0
		.amdhsa_system_vgpr_workitem_id 0
		.amdhsa_next_free_vgpr 1
		.amdhsa_next_free_sgpr 0
		.amdhsa_accum_offset 4
		.amdhsa_reserve_vcc 0
		.amdhsa_reserve_flat_scratch 0
		.amdhsa_float_round_mode_32 0
		.amdhsa_float_round_mode_16_64 0
		.amdhsa_float_denorm_mode_32 3
		.amdhsa_float_denorm_mode_16_64 3
		.amdhsa_dx10_clamp 1
		.amdhsa_ieee_mode 1
		.amdhsa_fp16_overflow 0
		.amdhsa_tg_split 0
		.amdhsa_exception_fp_ieee_invalid_op 0
		.amdhsa_exception_fp_denorm_src 0
		.amdhsa_exception_fp_ieee_div_zero 0
		.amdhsa_exception_fp_ieee_overflow 0
		.amdhsa_exception_fp_ieee_underflow 0
		.amdhsa_exception_fp_ieee_inexact 0
		.amdhsa_exception_int_div_zero 0
	.end_amdhsa_kernel
	.section	.text._ZN7rocprim17ROCPRIM_400000_NS6detail17trampoline_kernelINS0_14default_configENS1_38merge_sort_block_merge_config_selectorImNS0_10empty_typeEEEZZNS1_27merge_sort_block_merge_implIS3_PmPS5_jNS1_19radix_merge_compareILb0ELb1EmNS0_19identity_decomposerEEEEE10hipError_tT0_T1_T2_jT3_P12ihipStream_tbPNSt15iterator_traitsISE_E10value_typeEPNSK_ISF_E10value_typeEPSG_NS1_7vsmem_tEENKUlT_SE_SF_SG_E_clIS8_S8_S9_S9_EESD_ST_SE_SF_SG_EUlST_E1_NS1_11comp_targetILNS1_3genE8ELNS1_11target_archE1030ELNS1_3gpuE2ELNS1_3repE0EEENS1_36merge_oddeven_config_static_selectorELNS0_4arch9wavefront6targetE1EEEvSF_,"axG",@progbits,_ZN7rocprim17ROCPRIM_400000_NS6detail17trampoline_kernelINS0_14default_configENS1_38merge_sort_block_merge_config_selectorImNS0_10empty_typeEEEZZNS1_27merge_sort_block_merge_implIS3_PmPS5_jNS1_19radix_merge_compareILb0ELb1EmNS0_19identity_decomposerEEEEE10hipError_tT0_T1_T2_jT3_P12ihipStream_tbPNSt15iterator_traitsISE_E10value_typeEPNSK_ISF_E10value_typeEPSG_NS1_7vsmem_tEENKUlT_SE_SF_SG_E_clIS8_S8_S9_S9_EESD_ST_SE_SF_SG_EUlST_E1_NS1_11comp_targetILNS1_3genE8ELNS1_11target_archE1030ELNS1_3gpuE2ELNS1_3repE0EEENS1_36merge_oddeven_config_static_selectorELNS0_4arch9wavefront6targetE1EEEvSF_,comdat
.Lfunc_end961:
	.size	_ZN7rocprim17ROCPRIM_400000_NS6detail17trampoline_kernelINS0_14default_configENS1_38merge_sort_block_merge_config_selectorImNS0_10empty_typeEEEZZNS1_27merge_sort_block_merge_implIS3_PmPS5_jNS1_19radix_merge_compareILb0ELb1EmNS0_19identity_decomposerEEEEE10hipError_tT0_T1_T2_jT3_P12ihipStream_tbPNSt15iterator_traitsISE_E10value_typeEPNSK_ISF_E10value_typeEPSG_NS1_7vsmem_tEENKUlT_SE_SF_SG_E_clIS8_S8_S9_S9_EESD_ST_SE_SF_SG_EUlST_E1_NS1_11comp_targetILNS1_3genE8ELNS1_11target_archE1030ELNS1_3gpuE2ELNS1_3repE0EEENS1_36merge_oddeven_config_static_selectorELNS0_4arch9wavefront6targetE1EEEvSF_, .Lfunc_end961-_ZN7rocprim17ROCPRIM_400000_NS6detail17trampoline_kernelINS0_14default_configENS1_38merge_sort_block_merge_config_selectorImNS0_10empty_typeEEEZZNS1_27merge_sort_block_merge_implIS3_PmPS5_jNS1_19radix_merge_compareILb0ELb1EmNS0_19identity_decomposerEEEEE10hipError_tT0_T1_T2_jT3_P12ihipStream_tbPNSt15iterator_traitsISE_E10value_typeEPNSK_ISF_E10value_typeEPSG_NS1_7vsmem_tEENKUlT_SE_SF_SG_E_clIS8_S8_S9_S9_EESD_ST_SE_SF_SG_EUlST_E1_NS1_11comp_targetILNS1_3genE8ELNS1_11target_archE1030ELNS1_3gpuE2ELNS1_3repE0EEENS1_36merge_oddeven_config_static_selectorELNS0_4arch9wavefront6targetE1EEEvSF_
                                        ; -- End function
	.section	.AMDGPU.csdata,"",@progbits
; Kernel info:
; codeLenInByte = 0
; NumSgprs: 4
; NumVgprs: 0
; NumAgprs: 0
; TotalNumVgprs: 0
; ScratchSize: 0
; MemoryBound: 0
; FloatMode: 240
; IeeeMode: 1
; LDSByteSize: 0 bytes/workgroup (compile time only)
; SGPRBlocks: 0
; VGPRBlocks: 0
; NumSGPRsForWavesPerEU: 4
; NumVGPRsForWavesPerEU: 1
; AccumOffset: 4
; Occupancy: 8
; WaveLimiterHint : 0
; COMPUTE_PGM_RSRC2:SCRATCH_EN: 0
; COMPUTE_PGM_RSRC2:USER_SGPR: 6
; COMPUTE_PGM_RSRC2:TRAP_HANDLER: 0
; COMPUTE_PGM_RSRC2:TGID_X_EN: 1
; COMPUTE_PGM_RSRC2:TGID_Y_EN: 0
; COMPUTE_PGM_RSRC2:TGID_Z_EN: 0
; COMPUTE_PGM_RSRC2:TIDIG_COMP_CNT: 0
; COMPUTE_PGM_RSRC3_GFX90A:ACCUM_OFFSET: 0
; COMPUTE_PGM_RSRC3_GFX90A:TG_SPLIT: 0
	.section	.text._ZN7rocprim17ROCPRIM_400000_NS6detail17trampoline_kernelINS0_14default_configENS1_35radix_sort_onesweep_config_selectorImNS0_10empty_typeEEEZNS1_34radix_sort_onesweep_global_offsetsIS3_Lb0EPmPS5_mNS0_19identity_decomposerEEE10hipError_tT1_T2_PT3_SE_jT4_jjP12ihipStream_tbEUlT_E_NS1_11comp_targetILNS1_3genE0ELNS1_11target_archE4294967295ELNS1_3gpuE0ELNS1_3repE0EEENS1_52radix_sort_onesweep_histogram_config_static_selectorELNS0_4arch9wavefront6targetE1EEEvSC_,"axG",@progbits,_ZN7rocprim17ROCPRIM_400000_NS6detail17trampoline_kernelINS0_14default_configENS1_35radix_sort_onesweep_config_selectorImNS0_10empty_typeEEEZNS1_34radix_sort_onesweep_global_offsetsIS3_Lb0EPmPS5_mNS0_19identity_decomposerEEE10hipError_tT1_T2_PT3_SE_jT4_jjP12ihipStream_tbEUlT_E_NS1_11comp_targetILNS1_3genE0ELNS1_11target_archE4294967295ELNS1_3gpuE0ELNS1_3repE0EEENS1_52radix_sort_onesweep_histogram_config_static_selectorELNS0_4arch9wavefront6targetE1EEEvSC_,comdat
	.protected	_ZN7rocprim17ROCPRIM_400000_NS6detail17trampoline_kernelINS0_14default_configENS1_35radix_sort_onesweep_config_selectorImNS0_10empty_typeEEEZNS1_34radix_sort_onesweep_global_offsetsIS3_Lb0EPmPS5_mNS0_19identity_decomposerEEE10hipError_tT1_T2_PT3_SE_jT4_jjP12ihipStream_tbEUlT_E_NS1_11comp_targetILNS1_3genE0ELNS1_11target_archE4294967295ELNS1_3gpuE0ELNS1_3repE0EEENS1_52radix_sort_onesweep_histogram_config_static_selectorELNS0_4arch9wavefront6targetE1EEEvSC_ ; -- Begin function _ZN7rocprim17ROCPRIM_400000_NS6detail17trampoline_kernelINS0_14default_configENS1_35radix_sort_onesweep_config_selectorImNS0_10empty_typeEEEZNS1_34radix_sort_onesweep_global_offsetsIS3_Lb0EPmPS5_mNS0_19identity_decomposerEEE10hipError_tT1_T2_PT3_SE_jT4_jjP12ihipStream_tbEUlT_E_NS1_11comp_targetILNS1_3genE0ELNS1_11target_archE4294967295ELNS1_3gpuE0ELNS1_3repE0EEENS1_52radix_sort_onesweep_histogram_config_static_selectorELNS0_4arch9wavefront6targetE1EEEvSC_
	.globl	_ZN7rocprim17ROCPRIM_400000_NS6detail17trampoline_kernelINS0_14default_configENS1_35radix_sort_onesweep_config_selectorImNS0_10empty_typeEEEZNS1_34radix_sort_onesweep_global_offsetsIS3_Lb0EPmPS5_mNS0_19identity_decomposerEEE10hipError_tT1_T2_PT3_SE_jT4_jjP12ihipStream_tbEUlT_E_NS1_11comp_targetILNS1_3genE0ELNS1_11target_archE4294967295ELNS1_3gpuE0ELNS1_3repE0EEENS1_52radix_sort_onesweep_histogram_config_static_selectorELNS0_4arch9wavefront6targetE1EEEvSC_
	.p2align	8
	.type	_ZN7rocprim17ROCPRIM_400000_NS6detail17trampoline_kernelINS0_14default_configENS1_35radix_sort_onesweep_config_selectorImNS0_10empty_typeEEEZNS1_34radix_sort_onesweep_global_offsetsIS3_Lb0EPmPS5_mNS0_19identity_decomposerEEE10hipError_tT1_T2_PT3_SE_jT4_jjP12ihipStream_tbEUlT_E_NS1_11comp_targetILNS1_3genE0ELNS1_11target_archE4294967295ELNS1_3gpuE0ELNS1_3repE0EEENS1_52radix_sort_onesweep_histogram_config_static_selectorELNS0_4arch9wavefront6targetE1EEEvSC_,@function
_ZN7rocprim17ROCPRIM_400000_NS6detail17trampoline_kernelINS0_14default_configENS1_35radix_sort_onesweep_config_selectorImNS0_10empty_typeEEEZNS1_34radix_sort_onesweep_global_offsetsIS3_Lb0EPmPS5_mNS0_19identity_decomposerEEE10hipError_tT1_T2_PT3_SE_jT4_jjP12ihipStream_tbEUlT_E_NS1_11comp_targetILNS1_3genE0ELNS1_11target_archE4294967295ELNS1_3gpuE0ELNS1_3repE0EEENS1_52radix_sort_onesweep_histogram_config_static_selectorELNS0_4arch9wavefront6targetE1EEEvSC_: ; @_ZN7rocprim17ROCPRIM_400000_NS6detail17trampoline_kernelINS0_14default_configENS1_35radix_sort_onesweep_config_selectorImNS0_10empty_typeEEEZNS1_34radix_sort_onesweep_global_offsetsIS3_Lb0EPmPS5_mNS0_19identity_decomposerEEE10hipError_tT1_T2_PT3_SE_jT4_jjP12ihipStream_tbEUlT_E_NS1_11comp_targetILNS1_3genE0ELNS1_11target_archE4294967295ELNS1_3gpuE0ELNS1_3repE0EEENS1_52radix_sort_onesweep_histogram_config_static_selectorELNS0_4arch9wavefront6targetE1EEEvSC_
; %bb.0:
	.section	.rodata,"a",@progbits
	.p2align	6, 0x0
	.amdhsa_kernel _ZN7rocprim17ROCPRIM_400000_NS6detail17trampoline_kernelINS0_14default_configENS1_35radix_sort_onesweep_config_selectorImNS0_10empty_typeEEEZNS1_34radix_sort_onesweep_global_offsetsIS3_Lb0EPmPS5_mNS0_19identity_decomposerEEE10hipError_tT1_T2_PT3_SE_jT4_jjP12ihipStream_tbEUlT_E_NS1_11comp_targetILNS1_3genE0ELNS1_11target_archE4294967295ELNS1_3gpuE0ELNS1_3repE0EEENS1_52radix_sort_onesweep_histogram_config_static_selectorELNS0_4arch9wavefront6targetE1EEEvSC_
		.amdhsa_group_segment_fixed_size 0
		.amdhsa_private_segment_fixed_size 0
		.amdhsa_kernarg_size 48
		.amdhsa_user_sgpr_count 6
		.amdhsa_user_sgpr_private_segment_buffer 1
		.amdhsa_user_sgpr_dispatch_ptr 0
		.amdhsa_user_sgpr_queue_ptr 0
		.amdhsa_user_sgpr_kernarg_segment_ptr 1
		.amdhsa_user_sgpr_dispatch_id 0
		.amdhsa_user_sgpr_flat_scratch_init 0
		.amdhsa_user_sgpr_kernarg_preload_length 0
		.amdhsa_user_sgpr_kernarg_preload_offset 0
		.amdhsa_user_sgpr_private_segment_size 0
		.amdhsa_uses_dynamic_stack 0
		.amdhsa_system_sgpr_private_segment_wavefront_offset 0
		.amdhsa_system_sgpr_workgroup_id_x 1
		.amdhsa_system_sgpr_workgroup_id_y 0
		.amdhsa_system_sgpr_workgroup_id_z 0
		.amdhsa_system_sgpr_workgroup_info 0
		.amdhsa_system_vgpr_workitem_id 0
		.amdhsa_next_free_vgpr 1
		.amdhsa_next_free_sgpr 0
		.amdhsa_accum_offset 4
		.amdhsa_reserve_vcc 0
		.amdhsa_reserve_flat_scratch 0
		.amdhsa_float_round_mode_32 0
		.amdhsa_float_round_mode_16_64 0
		.amdhsa_float_denorm_mode_32 3
		.amdhsa_float_denorm_mode_16_64 3
		.amdhsa_dx10_clamp 1
		.amdhsa_ieee_mode 1
		.amdhsa_fp16_overflow 0
		.amdhsa_tg_split 0
		.amdhsa_exception_fp_ieee_invalid_op 0
		.amdhsa_exception_fp_denorm_src 0
		.amdhsa_exception_fp_ieee_div_zero 0
		.amdhsa_exception_fp_ieee_overflow 0
		.amdhsa_exception_fp_ieee_underflow 0
		.amdhsa_exception_fp_ieee_inexact 0
		.amdhsa_exception_int_div_zero 0
	.end_amdhsa_kernel
	.section	.text._ZN7rocprim17ROCPRIM_400000_NS6detail17trampoline_kernelINS0_14default_configENS1_35radix_sort_onesweep_config_selectorImNS0_10empty_typeEEEZNS1_34radix_sort_onesweep_global_offsetsIS3_Lb0EPmPS5_mNS0_19identity_decomposerEEE10hipError_tT1_T2_PT3_SE_jT4_jjP12ihipStream_tbEUlT_E_NS1_11comp_targetILNS1_3genE0ELNS1_11target_archE4294967295ELNS1_3gpuE0ELNS1_3repE0EEENS1_52radix_sort_onesweep_histogram_config_static_selectorELNS0_4arch9wavefront6targetE1EEEvSC_,"axG",@progbits,_ZN7rocprim17ROCPRIM_400000_NS6detail17trampoline_kernelINS0_14default_configENS1_35radix_sort_onesweep_config_selectorImNS0_10empty_typeEEEZNS1_34radix_sort_onesweep_global_offsetsIS3_Lb0EPmPS5_mNS0_19identity_decomposerEEE10hipError_tT1_T2_PT3_SE_jT4_jjP12ihipStream_tbEUlT_E_NS1_11comp_targetILNS1_3genE0ELNS1_11target_archE4294967295ELNS1_3gpuE0ELNS1_3repE0EEENS1_52radix_sort_onesweep_histogram_config_static_selectorELNS0_4arch9wavefront6targetE1EEEvSC_,comdat
.Lfunc_end962:
	.size	_ZN7rocprim17ROCPRIM_400000_NS6detail17trampoline_kernelINS0_14default_configENS1_35radix_sort_onesweep_config_selectorImNS0_10empty_typeEEEZNS1_34radix_sort_onesweep_global_offsetsIS3_Lb0EPmPS5_mNS0_19identity_decomposerEEE10hipError_tT1_T2_PT3_SE_jT4_jjP12ihipStream_tbEUlT_E_NS1_11comp_targetILNS1_3genE0ELNS1_11target_archE4294967295ELNS1_3gpuE0ELNS1_3repE0EEENS1_52radix_sort_onesweep_histogram_config_static_selectorELNS0_4arch9wavefront6targetE1EEEvSC_, .Lfunc_end962-_ZN7rocprim17ROCPRIM_400000_NS6detail17trampoline_kernelINS0_14default_configENS1_35radix_sort_onesweep_config_selectorImNS0_10empty_typeEEEZNS1_34radix_sort_onesweep_global_offsetsIS3_Lb0EPmPS5_mNS0_19identity_decomposerEEE10hipError_tT1_T2_PT3_SE_jT4_jjP12ihipStream_tbEUlT_E_NS1_11comp_targetILNS1_3genE0ELNS1_11target_archE4294967295ELNS1_3gpuE0ELNS1_3repE0EEENS1_52radix_sort_onesweep_histogram_config_static_selectorELNS0_4arch9wavefront6targetE1EEEvSC_
                                        ; -- End function
	.section	.AMDGPU.csdata,"",@progbits
; Kernel info:
; codeLenInByte = 0
; NumSgprs: 4
; NumVgprs: 0
; NumAgprs: 0
; TotalNumVgprs: 0
; ScratchSize: 0
; MemoryBound: 0
; FloatMode: 240
; IeeeMode: 1
; LDSByteSize: 0 bytes/workgroup (compile time only)
; SGPRBlocks: 0
; VGPRBlocks: 0
; NumSGPRsForWavesPerEU: 4
; NumVGPRsForWavesPerEU: 1
; AccumOffset: 4
; Occupancy: 8
; WaveLimiterHint : 0
; COMPUTE_PGM_RSRC2:SCRATCH_EN: 0
; COMPUTE_PGM_RSRC2:USER_SGPR: 6
; COMPUTE_PGM_RSRC2:TRAP_HANDLER: 0
; COMPUTE_PGM_RSRC2:TGID_X_EN: 1
; COMPUTE_PGM_RSRC2:TGID_Y_EN: 0
; COMPUTE_PGM_RSRC2:TGID_Z_EN: 0
; COMPUTE_PGM_RSRC2:TIDIG_COMP_CNT: 0
; COMPUTE_PGM_RSRC3_GFX90A:ACCUM_OFFSET: 0
; COMPUTE_PGM_RSRC3_GFX90A:TG_SPLIT: 0
	.section	.text._ZN7rocprim17ROCPRIM_400000_NS6detail17trampoline_kernelINS0_14default_configENS1_35radix_sort_onesweep_config_selectorImNS0_10empty_typeEEEZNS1_34radix_sort_onesweep_global_offsetsIS3_Lb0EPmPS5_mNS0_19identity_decomposerEEE10hipError_tT1_T2_PT3_SE_jT4_jjP12ihipStream_tbEUlT_E_NS1_11comp_targetILNS1_3genE6ELNS1_11target_archE950ELNS1_3gpuE13ELNS1_3repE0EEENS1_52radix_sort_onesweep_histogram_config_static_selectorELNS0_4arch9wavefront6targetE1EEEvSC_,"axG",@progbits,_ZN7rocprim17ROCPRIM_400000_NS6detail17trampoline_kernelINS0_14default_configENS1_35radix_sort_onesweep_config_selectorImNS0_10empty_typeEEEZNS1_34radix_sort_onesweep_global_offsetsIS3_Lb0EPmPS5_mNS0_19identity_decomposerEEE10hipError_tT1_T2_PT3_SE_jT4_jjP12ihipStream_tbEUlT_E_NS1_11comp_targetILNS1_3genE6ELNS1_11target_archE950ELNS1_3gpuE13ELNS1_3repE0EEENS1_52radix_sort_onesweep_histogram_config_static_selectorELNS0_4arch9wavefront6targetE1EEEvSC_,comdat
	.protected	_ZN7rocprim17ROCPRIM_400000_NS6detail17trampoline_kernelINS0_14default_configENS1_35radix_sort_onesweep_config_selectorImNS0_10empty_typeEEEZNS1_34radix_sort_onesweep_global_offsetsIS3_Lb0EPmPS5_mNS0_19identity_decomposerEEE10hipError_tT1_T2_PT3_SE_jT4_jjP12ihipStream_tbEUlT_E_NS1_11comp_targetILNS1_3genE6ELNS1_11target_archE950ELNS1_3gpuE13ELNS1_3repE0EEENS1_52radix_sort_onesweep_histogram_config_static_selectorELNS0_4arch9wavefront6targetE1EEEvSC_ ; -- Begin function _ZN7rocprim17ROCPRIM_400000_NS6detail17trampoline_kernelINS0_14default_configENS1_35radix_sort_onesweep_config_selectorImNS0_10empty_typeEEEZNS1_34radix_sort_onesweep_global_offsetsIS3_Lb0EPmPS5_mNS0_19identity_decomposerEEE10hipError_tT1_T2_PT3_SE_jT4_jjP12ihipStream_tbEUlT_E_NS1_11comp_targetILNS1_3genE6ELNS1_11target_archE950ELNS1_3gpuE13ELNS1_3repE0EEENS1_52radix_sort_onesweep_histogram_config_static_selectorELNS0_4arch9wavefront6targetE1EEEvSC_
	.globl	_ZN7rocprim17ROCPRIM_400000_NS6detail17trampoline_kernelINS0_14default_configENS1_35radix_sort_onesweep_config_selectorImNS0_10empty_typeEEEZNS1_34radix_sort_onesweep_global_offsetsIS3_Lb0EPmPS5_mNS0_19identity_decomposerEEE10hipError_tT1_T2_PT3_SE_jT4_jjP12ihipStream_tbEUlT_E_NS1_11comp_targetILNS1_3genE6ELNS1_11target_archE950ELNS1_3gpuE13ELNS1_3repE0EEENS1_52radix_sort_onesweep_histogram_config_static_selectorELNS0_4arch9wavefront6targetE1EEEvSC_
	.p2align	8
	.type	_ZN7rocprim17ROCPRIM_400000_NS6detail17trampoline_kernelINS0_14default_configENS1_35radix_sort_onesweep_config_selectorImNS0_10empty_typeEEEZNS1_34radix_sort_onesweep_global_offsetsIS3_Lb0EPmPS5_mNS0_19identity_decomposerEEE10hipError_tT1_T2_PT3_SE_jT4_jjP12ihipStream_tbEUlT_E_NS1_11comp_targetILNS1_3genE6ELNS1_11target_archE950ELNS1_3gpuE13ELNS1_3repE0EEENS1_52radix_sort_onesweep_histogram_config_static_selectorELNS0_4arch9wavefront6targetE1EEEvSC_,@function
_ZN7rocprim17ROCPRIM_400000_NS6detail17trampoline_kernelINS0_14default_configENS1_35radix_sort_onesweep_config_selectorImNS0_10empty_typeEEEZNS1_34radix_sort_onesweep_global_offsetsIS3_Lb0EPmPS5_mNS0_19identity_decomposerEEE10hipError_tT1_T2_PT3_SE_jT4_jjP12ihipStream_tbEUlT_E_NS1_11comp_targetILNS1_3genE6ELNS1_11target_archE950ELNS1_3gpuE13ELNS1_3repE0EEENS1_52radix_sort_onesweep_histogram_config_static_selectorELNS0_4arch9wavefront6targetE1EEEvSC_: ; @_ZN7rocprim17ROCPRIM_400000_NS6detail17trampoline_kernelINS0_14default_configENS1_35radix_sort_onesweep_config_selectorImNS0_10empty_typeEEEZNS1_34radix_sort_onesweep_global_offsetsIS3_Lb0EPmPS5_mNS0_19identity_decomposerEEE10hipError_tT1_T2_PT3_SE_jT4_jjP12ihipStream_tbEUlT_E_NS1_11comp_targetILNS1_3genE6ELNS1_11target_archE950ELNS1_3gpuE13ELNS1_3repE0EEENS1_52radix_sort_onesweep_histogram_config_static_selectorELNS0_4arch9wavefront6targetE1EEEvSC_
; %bb.0:
	.section	.rodata,"a",@progbits
	.p2align	6, 0x0
	.amdhsa_kernel _ZN7rocprim17ROCPRIM_400000_NS6detail17trampoline_kernelINS0_14default_configENS1_35radix_sort_onesweep_config_selectorImNS0_10empty_typeEEEZNS1_34radix_sort_onesweep_global_offsetsIS3_Lb0EPmPS5_mNS0_19identity_decomposerEEE10hipError_tT1_T2_PT3_SE_jT4_jjP12ihipStream_tbEUlT_E_NS1_11comp_targetILNS1_3genE6ELNS1_11target_archE950ELNS1_3gpuE13ELNS1_3repE0EEENS1_52radix_sort_onesweep_histogram_config_static_selectorELNS0_4arch9wavefront6targetE1EEEvSC_
		.amdhsa_group_segment_fixed_size 0
		.amdhsa_private_segment_fixed_size 0
		.amdhsa_kernarg_size 48
		.amdhsa_user_sgpr_count 6
		.amdhsa_user_sgpr_private_segment_buffer 1
		.amdhsa_user_sgpr_dispatch_ptr 0
		.amdhsa_user_sgpr_queue_ptr 0
		.amdhsa_user_sgpr_kernarg_segment_ptr 1
		.amdhsa_user_sgpr_dispatch_id 0
		.amdhsa_user_sgpr_flat_scratch_init 0
		.amdhsa_user_sgpr_kernarg_preload_length 0
		.amdhsa_user_sgpr_kernarg_preload_offset 0
		.amdhsa_user_sgpr_private_segment_size 0
		.amdhsa_uses_dynamic_stack 0
		.amdhsa_system_sgpr_private_segment_wavefront_offset 0
		.amdhsa_system_sgpr_workgroup_id_x 1
		.amdhsa_system_sgpr_workgroup_id_y 0
		.amdhsa_system_sgpr_workgroup_id_z 0
		.amdhsa_system_sgpr_workgroup_info 0
		.amdhsa_system_vgpr_workitem_id 0
		.amdhsa_next_free_vgpr 1
		.amdhsa_next_free_sgpr 0
		.amdhsa_accum_offset 4
		.amdhsa_reserve_vcc 0
		.amdhsa_reserve_flat_scratch 0
		.amdhsa_float_round_mode_32 0
		.amdhsa_float_round_mode_16_64 0
		.amdhsa_float_denorm_mode_32 3
		.amdhsa_float_denorm_mode_16_64 3
		.amdhsa_dx10_clamp 1
		.amdhsa_ieee_mode 1
		.amdhsa_fp16_overflow 0
		.amdhsa_tg_split 0
		.amdhsa_exception_fp_ieee_invalid_op 0
		.amdhsa_exception_fp_denorm_src 0
		.amdhsa_exception_fp_ieee_div_zero 0
		.amdhsa_exception_fp_ieee_overflow 0
		.amdhsa_exception_fp_ieee_underflow 0
		.amdhsa_exception_fp_ieee_inexact 0
		.amdhsa_exception_int_div_zero 0
	.end_amdhsa_kernel
	.section	.text._ZN7rocprim17ROCPRIM_400000_NS6detail17trampoline_kernelINS0_14default_configENS1_35radix_sort_onesweep_config_selectorImNS0_10empty_typeEEEZNS1_34radix_sort_onesweep_global_offsetsIS3_Lb0EPmPS5_mNS0_19identity_decomposerEEE10hipError_tT1_T2_PT3_SE_jT4_jjP12ihipStream_tbEUlT_E_NS1_11comp_targetILNS1_3genE6ELNS1_11target_archE950ELNS1_3gpuE13ELNS1_3repE0EEENS1_52radix_sort_onesweep_histogram_config_static_selectorELNS0_4arch9wavefront6targetE1EEEvSC_,"axG",@progbits,_ZN7rocprim17ROCPRIM_400000_NS6detail17trampoline_kernelINS0_14default_configENS1_35radix_sort_onesweep_config_selectorImNS0_10empty_typeEEEZNS1_34radix_sort_onesweep_global_offsetsIS3_Lb0EPmPS5_mNS0_19identity_decomposerEEE10hipError_tT1_T2_PT3_SE_jT4_jjP12ihipStream_tbEUlT_E_NS1_11comp_targetILNS1_3genE6ELNS1_11target_archE950ELNS1_3gpuE13ELNS1_3repE0EEENS1_52radix_sort_onesweep_histogram_config_static_selectorELNS0_4arch9wavefront6targetE1EEEvSC_,comdat
.Lfunc_end963:
	.size	_ZN7rocprim17ROCPRIM_400000_NS6detail17trampoline_kernelINS0_14default_configENS1_35radix_sort_onesweep_config_selectorImNS0_10empty_typeEEEZNS1_34radix_sort_onesweep_global_offsetsIS3_Lb0EPmPS5_mNS0_19identity_decomposerEEE10hipError_tT1_T2_PT3_SE_jT4_jjP12ihipStream_tbEUlT_E_NS1_11comp_targetILNS1_3genE6ELNS1_11target_archE950ELNS1_3gpuE13ELNS1_3repE0EEENS1_52radix_sort_onesweep_histogram_config_static_selectorELNS0_4arch9wavefront6targetE1EEEvSC_, .Lfunc_end963-_ZN7rocprim17ROCPRIM_400000_NS6detail17trampoline_kernelINS0_14default_configENS1_35radix_sort_onesweep_config_selectorImNS0_10empty_typeEEEZNS1_34radix_sort_onesweep_global_offsetsIS3_Lb0EPmPS5_mNS0_19identity_decomposerEEE10hipError_tT1_T2_PT3_SE_jT4_jjP12ihipStream_tbEUlT_E_NS1_11comp_targetILNS1_3genE6ELNS1_11target_archE950ELNS1_3gpuE13ELNS1_3repE0EEENS1_52radix_sort_onesweep_histogram_config_static_selectorELNS0_4arch9wavefront6targetE1EEEvSC_
                                        ; -- End function
	.section	.AMDGPU.csdata,"",@progbits
; Kernel info:
; codeLenInByte = 0
; NumSgprs: 4
; NumVgprs: 0
; NumAgprs: 0
; TotalNumVgprs: 0
; ScratchSize: 0
; MemoryBound: 0
; FloatMode: 240
; IeeeMode: 1
; LDSByteSize: 0 bytes/workgroup (compile time only)
; SGPRBlocks: 0
; VGPRBlocks: 0
; NumSGPRsForWavesPerEU: 4
; NumVGPRsForWavesPerEU: 1
; AccumOffset: 4
; Occupancy: 8
; WaveLimiterHint : 0
; COMPUTE_PGM_RSRC2:SCRATCH_EN: 0
; COMPUTE_PGM_RSRC2:USER_SGPR: 6
; COMPUTE_PGM_RSRC2:TRAP_HANDLER: 0
; COMPUTE_PGM_RSRC2:TGID_X_EN: 1
; COMPUTE_PGM_RSRC2:TGID_Y_EN: 0
; COMPUTE_PGM_RSRC2:TGID_Z_EN: 0
; COMPUTE_PGM_RSRC2:TIDIG_COMP_CNT: 0
; COMPUTE_PGM_RSRC3_GFX90A:ACCUM_OFFSET: 0
; COMPUTE_PGM_RSRC3_GFX90A:TG_SPLIT: 0
	.section	.text._ZN7rocprim17ROCPRIM_400000_NS6detail17trampoline_kernelINS0_14default_configENS1_35radix_sort_onesweep_config_selectorImNS0_10empty_typeEEEZNS1_34radix_sort_onesweep_global_offsetsIS3_Lb0EPmPS5_mNS0_19identity_decomposerEEE10hipError_tT1_T2_PT3_SE_jT4_jjP12ihipStream_tbEUlT_E_NS1_11comp_targetILNS1_3genE5ELNS1_11target_archE942ELNS1_3gpuE9ELNS1_3repE0EEENS1_52radix_sort_onesweep_histogram_config_static_selectorELNS0_4arch9wavefront6targetE1EEEvSC_,"axG",@progbits,_ZN7rocprim17ROCPRIM_400000_NS6detail17trampoline_kernelINS0_14default_configENS1_35radix_sort_onesweep_config_selectorImNS0_10empty_typeEEEZNS1_34radix_sort_onesweep_global_offsetsIS3_Lb0EPmPS5_mNS0_19identity_decomposerEEE10hipError_tT1_T2_PT3_SE_jT4_jjP12ihipStream_tbEUlT_E_NS1_11comp_targetILNS1_3genE5ELNS1_11target_archE942ELNS1_3gpuE9ELNS1_3repE0EEENS1_52radix_sort_onesweep_histogram_config_static_selectorELNS0_4arch9wavefront6targetE1EEEvSC_,comdat
	.protected	_ZN7rocprim17ROCPRIM_400000_NS6detail17trampoline_kernelINS0_14default_configENS1_35radix_sort_onesweep_config_selectorImNS0_10empty_typeEEEZNS1_34radix_sort_onesweep_global_offsetsIS3_Lb0EPmPS5_mNS0_19identity_decomposerEEE10hipError_tT1_T2_PT3_SE_jT4_jjP12ihipStream_tbEUlT_E_NS1_11comp_targetILNS1_3genE5ELNS1_11target_archE942ELNS1_3gpuE9ELNS1_3repE0EEENS1_52radix_sort_onesweep_histogram_config_static_selectorELNS0_4arch9wavefront6targetE1EEEvSC_ ; -- Begin function _ZN7rocprim17ROCPRIM_400000_NS6detail17trampoline_kernelINS0_14default_configENS1_35radix_sort_onesweep_config_selectorImNS0_10empty_typeEEEZNS1_34radix_sort_onesweep_global_offsetsIS3_Lb0EPmPS5_mNS0_19identity_decomposerEEE10hipError_tT1_T2_PT3_SE_jT4_jjP12ihipStream_tbEUlT_E_NS1_11comp_targetILNS1_3genE5ELNS1_11target_archE942ELNS1_3gpuE9ELNS1_3repE0EEENS1_52radix_sort_onesweep_histogram_config_static_selectorELNS0_4arch9wavefront6targetE1EEEvSC_
	.globl	_ZN7rocprim17ROCPRIM_400000_NS6detail17trampoline_kernelINS0_14default_configENS1_35radix_sort_onesweep_config_selectorImNS0_10empty_typeEEEZNS1_34radix_sort_onesweep_global_offsetsIS3_Lb0EPmPS5_mNS0_19identity_decomposerEEE10hipError_tT1_T2_PT3_SE_jT4_jjP12ihipStream_tbEUlT_E_NS1_11comp_targetILNS1_3genE5ELNS1_11target_archE942ELNS1_3gpuE9ELNS1_3repE0EEENS1_52radix_sort_onesweep_histogram_config_static_selectorELNS0_4arch9wavefront6targetE1EEEvSC_
	.p2align	8
	.type	_ZN7rocprim17ROCPRIM_400000_NS6detail17trampoline_kernelINS0_14default_configENS1_35radix_sort_onesweep_config_selectorImNS0_10empty_typeEEEZNS1_34radix_sort_onesweep_global_offsetsIS3_Lb0EPmPS5_mNS0_19identity_decomposerEEE10hipError_tT1_T2_PT3_SE_jT4_jjP12ihipStream_tbEUlT_E_NS1_11comp_targetILNS1_3genE5ELNS1_11target_archE942ELNS1_3gpuE9ELNS1_3repE0EEENS1_52radix_sort_onesweep_histogram_config_static_selectorELNS0_4arch9wavefront6targetE1EEEvSC_,@function
_ZN7rocprim17ROCPRIM_400000_NS6detail17trampoline_kernelINS0_14default_configENS1_35radix_sort_onesweep_config_selectorImNS0_10empty_typeEEEZNS1_34radix_sort_onesweep_global_offsetsIS3_Lb0EPmPS5_mNS0_19identity_decomposerEEE10hipError_tT1_T2_PT3_SE_jT4_jjP12ihipStream_tbEUlT_E_NS1_11comp_targetILNS1_3genE5ELNS1_11target_archE942ELNS1_3gpuE9ELNS1_3repE0EEENS1_52radix_sort_onesweep_histogram_config_static_selectorELNS0_4arch9wavefront6targetE1EEEvSC_: ; @_ZN7rocprim17ROCPRIM_400000_NS6detail17trampoline_kernelINS0_14default_configENS1_35radix_sort_onesweep_config_selectorImNS0_10empty_typeEEEZNS1_34radix_sort_onesweep_global_offsetsIS3_Lb0EPmPS5_mNS0_19identity_decomposerEEE10hipError_tT1_T2_PT3_SE_jT4_jjP12ihipStream_tbEUlT_E_NS1_11comp_targetILNS1_3genE5ELNS1_11target_archE942ELNS1_3gpuE9ELNS1_3repE0EEENS1_52radix_sort_onesweep_histogram_config_static_selectorELNS0_4arch9wavefront6targetE1EEEvSC_
; %bb.0:
	.section	.rodata,"a",@progbits
	.p2align	6, 0x0
	.amdhsa_kernel _ZN7rocprim17ROCPRIM_400000_NS6detail17trampoline_kernelINS0_14default_configENS1_35radix_sort_onesweep_config_selectorImNS0_10empty_typeEEEZNS1_34radix_sort_onesweep_global_offsetsIS3_Lb0EPmPS5_mNS0_19identity_decomposerEEE10hipError_tT1_T2_PT3_SE_jT4_jjP12ihipStream_tbEUlT_E_NS1_11comp_targetILNS1_3genE5ELNS1_11target_archE942ELNS1_3gpuE9ELNS1_3repE0EEENS1_52radix_sort_onesweep_histogram_config_static_selectorELNS0_4arch9wavefront6targetE1EEEvSC_
		.amdhsa_group_segment_fixed_size 0
		.amdhsa_private_segment_fixed_size 0
		.amdhsa_kernarg_size 48
		.amdhsa_user_sgpr_count 6
		.amdhsa_user_sgpr_private_segment_buffer 1
		.amdhsa_user_sgpr_dispatch_ptr 0
		.amdhsa_user_sgpr_queue_ptr 0
		.amdhsa_user_sgpr_kernarg_segment_ptr 1
		.amdhsa_user_sgpr_dispatch_id 0
		.amdhsa_user_sgpr_flat_scratch_init 0
		.amdhsa_user_sgpr_kernarg_preload_length 0
		.amdhsa_user_sgpr_kernarg_preload_offset 0
		.amdhsa_user_sgpr_private_segment_size 0
		.amdhsa_uses_dynamic_stack 0
		.amdhsa_system_sgpr_private_segment_wavefront_offset 0
		.amdhsa_system_sgpr_workgroup_id_x 1
		.amdhsa_system_sgpr_workgroup_id_y 0
		.amdhsa_system_sgpr_workgroup_id_z 0
		.amdhsa_system_sgpr_workgroup_info 0
		.amdhsa_system_vgpr_workitem_id 0
		.amdhsa_next_free_vgpr 1
		.amdhsa_next_free_sgpr 0
		.amdhsa_accum_offset 4
		.amdhsa_reserve_vcc 0
		.amdhsa_reserve_flat_scratch 0
		.amdhsa_float_round_mode_32 0
		.amdhsa_float_round_mode_16_64 0
		.amdhsa_float_denorm_mode_32 3
		.amdhsa_float_denorm_mode_16_64 3
		.amdhsa_dx10_clamp 1
		.amdhsa_ieee_mode 1
		.amdhsa_fp16_overflow 0
		.amdhsa_tg_split 0
		.amdhsa_exception_fp_ieee_invalid_op 0
		.amdhsa_exception_fp_denorm_src 0
		.amdhsa_exception_fp_ieee_div_zero 0
		.amdhsa_exception_fp_ieee_overflow 0
		.amdhsa_exception_fp_ieee_underflow 0
		.amdhsa_exception_fp_ieee_inexact 0
		.amdhsa_exception_int_div_zero 0
	.end_amdhsa_kernel
	.section	.text._ZN7rocprim17ROCPRIM_400000_NS6detail17trampoline_kernelINS0_14default_configENS1_35radix_sort_onesweep_config_selectorImNS0_10empty_typeEEEZNS1_34radix_sort_onesweep_global_offsetsIS3_Lb0EPmPS5_mNS0_19identity_decomposerEEE10hipError_tT1_T2_PT3_SE_jT4_jjP12ihipStream_tbEUlT_E_NS1_11comp_targetILNS1_3genE5ELNS1_11target_archE942ELNS1_3gpuE9ELNS1_3repE0EEENS1_52radix_sort_onesweep_histogram_config_static_selectorELNS0_4arch9wavefront6targetE1EEEvSC_,"axG",@progbits,_ZN7rocprim17ROCPRIM_400000_NS6detail17trampoline_kernelINS0_14default_configENS1_35radix_sort_onesweep_config_selectorImNS0_10empty_typeEEEZNS1_34radix_sort_onesweep_global_offsetsIS3_Lb0EPmPS5_mNS0_19identity_decomposerEEE10hipError_tT1_T2_PT3_SE_jT4_jjP12ihipStream_tbEUlT_E_NS1_11comp_targetILNS1_3genE5ELNS1_11target_archE942ELNS1_3gpuE9ELNS1_3repE0EEENS1_52radix_sort_onesweep_histogram_config_static_selectorELNS0_4arch9wavefront6targetE1EEEvSC_,comdat
.Lfunc_end964:
	.size	_ZN7rocprim17ROCPRIM_400000_NS6detail17trampoline_kernelINS0_14default_configENS1_35radix_sort_onesweep_config_selectorImNS0_10empty_typeEEEZNS1_34radix_sort_onesweep_global_offsetsIS3_Lb0EPmPS5_mNS0_19identity_decomposerEEE10hipError_tT1_T2_PT3_SE_jT4_jjP12ihipStream_tbEUlT_E_NS1_11comp_targetILNS1_3genE5ELNS1_11target_archE942ELNS1_3gpuE9ELNS1_3repE0EEENS1_52radix_sort_onesweep_histogram_config_static_selectorELNS0_4arch9wavefront6targetE1EEEvSC_, .Lfunc_end964-_ZN7rocprim17ROCPRIM_400000_NS6detail17trampoline_kernelINS0_14default_configENS1_35radix_sort_onesweep_config_selectorImNS0_10empty_typeEEEZNS1_34radix_sort_onesweep_global_offsetsIS3_Lb0EPmPS5_mNS0_19identity_decomposerEEE10hipError_tT1_T2_PT3_SE_jT4_jjP12ihipStream_tbEUlT_E_NS1_11comp_targetILNS1_3genE5ELNS1_11target_archE942ELNS1_3gpuE9ELNS1_3repE0EEENS1_52radix_sort_onesweep_histogram_config_static_selectorELNS0_4arch9wavefront6targetE1EEEvSC_
                                        ; -- End function
	.section	.AMDGPU.csdata,"",@progbits
; Kernel info:
; codeLenInByte = 0
; NumSgprs: 4
; NumVgprs: 0
; NumAgprs: 0
; TotalNumVgprs: 0
; ScratchSize: 0
; MemoryBound: 0
; FloatMode: 240
; IeeeMode: 1
; LDSByteSize: 0 bytes/workgroup (compile time only)
; SGPRBlocks: 0
; VGPRBlocks: 0
; NumSGPRsForWavesPerEU: 4
; NumVGPRsForWavesPerEU: 1
; AccumOffset: 4
; Occupancy: 8
; WaveLimiterHint : 0
; COMPUTE_PGM_RSRC2:SCRATCH_EN: 0
; COMPUTE_PGM_RSRC2:USER_SGPR: 6
; COMPUTE_PGM_RSRC2:TRAP_HANDLER: 0
; COMPUTE_PGM_RSRC2:TGID_X_EN: 1
; COMPUTE_PGM_RSRC2:TGID_Y_EN: 0
; COMPUTE_PGM_RSRC2:TGID_Z_EN: 0
; COMPUTE_PGM_RSRC2:TIDIG_COMP_CNT: 0
; COMPUTE_PGM_RSRC3_GFX90A:ACCUM_OFFSET: 0
; COMPUTE_PGM_RSRC3_GFX90A:TG_SPLIT: 0
	.section	.text._ZN7rocprim17ROCPRIM_400000_NS6detail17trampoline_kernelINS0_14default_configENS1_35radix_sort_onesweep_config_selectorImNS0_10empty_typeEEEZNS1_34radix_sort_onesweep_global_offsetsIS3_Lb0EPmPS5_mNS0_19identity_decomposerEEE10hipError_tT1_T2_PT3_SE_jT4_jjP12ihipStream_tbEUlT_E_NS1_11comp_targetILNS1_3genE2ELNS1_11target_archE906ELNS1_3gpuE6ELNS1_3repE0EEENS1_52radix_sort_onesweep_histogram_config_static_selectorELNS0_4arch9wavefront6targetE1EEEvSC_,"axG",@progbits,_ZN7rocprim17ROCPRIM_400000_NS6detail17trampoline_kernelINS0_14default_configENS1_35radix_sort_onesweep_config_selectorImNS0_10empty_typeEEEZNS1_34radix_sort_onesweep_global_offsetsIS3_Lb0EPmPS5_mNS0_19identity_decomposerEEE10hipError_tT1_T2_PT3_SE_jT4_jjP12ihipStream_tbEUlT_E_NS1_11comp_targetILNS1_3genE2ELNS1_11target_archE906ELNS1_3gpuE6ELNS1_3repE0EEENS1_52radix_sort_onesweep_histogram_config_static_selectorELNS0_4arch9wavefront6targetE1EEEvSC_,comdat
	.protected	_ZN7rocprim17ROCPRIM_400000_NS6detail17trampoline_kernelINS0_14default_configENS1_35radix_sort_onesweep_config_selectorImNS0_10empty_typeEEEZNS1_34radix_sort_onesweep_global_offsetsIS3_Lb0EPmPS5_mNS0_19identity_decomposerEEE10hipError_tT1_T2_PT3_SE_jT4_jjP12ihipStream_tbEUlT_E_NS1_11comp_targetILNS1_3genE2ELNS1_11target_archE906ELNS1_3gpuE6ELNS1_3repE0EEENS1_52radix_sort_onesweep_histogram_config_static_selectorELNS0_4arch9wavefront6targetE1EEEvSC_ ; -- Begin function _ZN7rocprim17ROCPRIM_400000_NS6detail17trampoline_kernelINS0_14default_configENS1_35radix_sort_onesweep_config_selectorImNS0_10empty_typeEEEZNS1_34radix_sort_onesweep_global_offsetsIS3_Lb0EPmPS5_mNS0_19identity_decomposerEEE10hipError_tT1_T2_PT3_SE_jT4_jjP12ihipStream_tbEUlT_E_NS1_11comp_targetILNS1_3genE2ELNS1_11target_archE906ELNS1_3gpuE6ELNS1_3repE0EEENS1_52radix_sort_onesweep_histogram_config_static_selectorELNS0_4arch9wavefront6targetE1EEEvSC_
	.globl	_ZN7rocprim17ROCPRIM_400000_NS6detail17trampoline_kernelINS0_14default_configENS1_35radix_sort_onesweep_config_selectorImNS0_10empty_typeEEEZNS1_34radix_sort_onesweep_global_offsetsIS3_Lb0EPmPS5_mNS0_19identity_decomposerEEE10hipError_tT1_T2_PT3_SE_jT4_jjP12ihipStream_tbEUlT_E_NS1_11comp_targetILNS1_3genE2ELNS1_11target_archE906ELNS1_3gpuE6ELNS1_3repE0EEENS1_52radix_sort_onesweep_histogram_config_static_selectorELNS0_4arch9wavefront6targetE1EEEvSC_
	.p2align	8
	.type	_ZN7rocprim17ROCPRIM_400000_NS6detail17trampoline_kernelINS0_14default_configENS1_35radix_sort_onesweep_config_selectorImNS0_10empty_typeEEEZNS1_34radix_sort_onesweep_global_offsetsIS3_Lb0EPmPS5_mNS0_19identity_decomposerEEE10hipError_tT1_T2_PT3_SE_jT4_jjP12ihipStream_tbEUlT_E_NS1_11comp_targetILNS1_3genE2ELNS1_11target_archE906ELNS1_3gpuE6ELNS1_3repE0EEENS1_52radix_sort_onesweep_histogram_config_static_selectorELNS0_4arch9wavefront6targetE1EEEvSC_,@function
_ZN7rocprim17ROCPRIM_400000_NS6detail17trampoline_kernelINS0_14default_configENS1_35radix_sort_onesweep_config_selectorImNS0_10empty_typeEEEZNS1_34radix_sort_onesweep_global_offsetsIS3_Lb0EPmPS5_mNS0_19identity_decomposerEEE10hipError_tT1_T2_PT3_SE_jT4_jjP12ihipStream_tbEUlT_E_NS1_11comp_targetILNS1_3genE2ELNS1_11target_archE906ELNS1_3gpuE6ELNS1_3repE0EEENS1_52radix_sort_onesweep_histogram_config_static_selectorELNS0_4arch9wavefront6targetE1EEEvSC_: ; @_ZN7rocprim17ROCPRIM_400000_NS6detail17trampoline_kernelINS0_14default_configENS1_35radix_sort_onesweep_config_selectorImNS0_10empty_typeEEEZNS1_34radix_sort_onesweep_global_offsetsIS3_Lb0EPmPS5_mNS0_19identity_decomposerEEE10hipError_tT1_T2_PT3_SE_jT4_jjP12ihipStream_tbEUlT_E_NS1_11comp_targetILNS1_3genE2ELNS1_11target_archE906ELNS1_3gpuE6ELNS1_3repE0EEENS1_52radix_sort_onesweep_histogram_config_static_selectorELNS0_4arch9wavefront6targetE1EEEvSC_
; %bb.0:
	.section	.rodata,"a",@progbits
	.p2align	6, 0x0
	.amdhsa_kernel _ZN7rocprim17ROCPRIM_400000_NS6detail17trampoline_kernelINS0_14default_configENS1_35radix_sort_onesweep_config_selectorImNS0_10empty_typeEEEZNS1_34radix_sort_onesweep_global_offsetsIS3_Lb0EPmPS5_mNS0_19identity_decomposerEEE10hipError_tT1_T2_PT3_SE_jT4_jjP12ihipStream_tbEUlT_E_NS1_11comp_targetILNS1_3genE2ELNS1_11target_archE906ELNS1_3gpuE6ELNS1_3repE0EEENS1_52radix_sort_onesweep_histogram_config_static_selectorELNS0_4arch9wavefront6targetE1EEEvSC_
		.amdhsa_group_segment_fixed_size 0
		.amdhsa_private_segment_fixed_size 0
		.amdhsa_kernarg_size 48
		.amdhsa_user_sgpr_count 6
		.amdhsa_user_sgpr_private_segment_buffer 1
		.amdhsa_user_sgpr_dispatch_ptr 0
		.amdhsa_user_sgpr_queue_ptr 0
		.amdhsa_user_sgpr_kernarg_segment_ptr 1
		.amdhsa_user_sgpr_dispatch_id 0
		.amdhsa_user_sgpr_flat_scratch_init 0
		.amdhsa_user_sgpr_kernarg_preload_length 0
		.amdhsa_user_sgpr_kernarg_preload_offset 0
		.amdhsa_user_sgpr_private_segment_size 0
		.amdhsa_uses_dynamic_stack 0
		.amdhsa_system_sgpr_private_segment_wavefront_offset 0
		.amdhsa_system_sgpr_workgroup_id_x 1
		.amdhsa_system_sgpr_workgroup_id_y 0
		.amdhsa_system_sgpr_workgroup_id_z 0
		.amdhsa_system_sgpr_workgroup_info 0
		.amdhsa_system_vgpr_workitem_id 0
		.amdhsa_next_free_vgpr 1
		.amdhsa_next_free_sgpr 0
		.amdhsa_accum_offset 4
		.amdhsa_reserve_vcc 0
		.amdhsa_reserve_flat_scratch 0
		.amdhsa_float_round_mode_32 0
		.amdhsa_float_round_mode_16_64 0
		.amdhsa_float_denorm_mode_32 3
		.amdhsa_float_denorm_mode_16_64 3
		.amdhsa_dx10_clamp 1
		.amdhsa_ieee_mode 1
		.amdhsa_fp16_overflow 0
		.amdhsa_tg_split 0
		.amdhsa_exception_fp_ieee_invalid_op 0
		.amdhsa_exception_fp_denorm_src 0
		.amdhsa_exception_fp_ieee_div_zero 0
		.amdhsa_exception_fp_ieee_overflow 0
		.amdhsa_exception_fp_ieee_underflow 0
		.amdhsa_exception_fp_ieee_inexact 0
		.amdhsa_exception_int_div_zero 0
	.end_amdhsa_kernel
	.section	.text._ZN7rocprim17ROCPRIM_400000_NS6detail17trampoline_kernelINS0_14default_configENS1_35radix_sort_onesweep_config_selectorImNS0_10empty_typeEEEZNS1_34radix_sort_onesweep_global_offsetsIS3_Lb0EPmPS5_mNS0_19identity_decomposerEEE10hipError_tT1_T2_PT3_SE_jT4_jjP12ihipStream_tbEUlT_E_NS1_11comp_targetILNS1_3genE2ELNS1_11target_archE906ELNS1_3gpuE6ELNS1_3repE0EEENS1_52radix_sort_onesweep_histogram_config_static_selectorELNS0_4arch9wavefront6targetE1EEEvSC_,"axG",@progbits,_ZN7rocprim17ROCPRIM_400000_NS6detail17trampoline_kernelINS0_14default_configENS1_35radix_sort_onesweep_config_selectorImNS0_10empty_typeEEEZNS1_34radix_sort_onesweep_global_offsetsIS3_Lb0EPmPS5_mNS0_19identity_decomposerEEE10hipError_tT1_T2_PT3_SE_jT4_jjP12ihipStream_tbEUlT_E_NS1_11comp_targetILNS1_3genE2ELNS1_11target_archE906ELNS1_3gpuE6ELNS1_3repE0EEENS1_52radix_sort_onesweep_histogram_config_static_selectorELNS0_4arch9wavefront6targetE1EEEvSC_,comdat
.Lfunc_end965:
	.size	_ZN7rocprim17ROCPRIM_400000_NS6detail17trampoline_kernelINS0_14default_configENS1_35radix_sort_onesweep_config_selectorImNS0_10empty_typeEEEZNS1_34radix_sort_onesweep_global_offsetsIS3_Lb0EPmPS5_mNS0_19identity_decomposerEEE10hipError_tT1_T2_PT3_SE_jT4_jjP12ihipStream_tbEUlT_E_NS1_11comp_targetILNS1_3genE2ELNS1_11target_archE906ELNS1_3gpuE6ELNS1_3repE0EEENS1_52radix_sort_onesweep_histogram_config_static_selectorELNS0_4arch9wavefront6targetE1EEEvSC_, .Lfunc_end965-_ZN7rocprim17ROCPRIM_400000_NS6detail17trampoline_kernelINS0_14default_configENS1_35radix_sort_onesweep_config_selectorImNS0_10empty_typeEEEZNS1_34radix_sort_onesweep_global_offsetsIS3_Lb0EPmPS5_mNS0_19identity_decomposerEEE10hipError_tT1_T2_PT3_SE_jT4_jjP12ihipStream_tbEUlT_E_NS1_11comp_targetILNS1_3genE2ELNS1_11target_archE906ELNS1_3gpuE6ELNS1_3repE0EEENS1_52radix_sort_onesweep_histogram_config_static_selectorELNS0_4arch9wavefront6targetE1EEEvSC_
                                        ; -- End function
	.section	.AMDGPU.csdata,"",@progbits
; Kernel info:
; codeLenInByte = 0
; NumSgprs: 4
; NumVgprs: 0
; NumAgprs: 0
; TotalNumVgprs: 0
; ScratchSize: 0
; MemoryBound: 0
; FloatMode: 240
; IeeeMode: 1
; LDSByteSize: 0 bytes/workgroup (compile time only)
; SGPRBlocks: 0
; VGPRBlocks: 0
; NumSGPRsForWavesPerEU: 4
; NumVGPRsForWavesPerEU: 1
; AccumOffset: 4
; Occupancy: 8
; WaveLimiterHint : 0
; COMPUTE_PGM_RSRC2:SCRATCH_EN: 0
; COMPUTE_PGM_RSRC2:USER_SGPR: 6
; COMPUTE_PGM_RSRC2:TRAP_HANDLER: 0
; COMPUTE_PGM_RSRC2:TGID_X_EN: 1
; COMPUTE_PGM_RSRC2:TGID_Y_EN: 0
; COMPUTE_PGM_RSRC2:TGID_Z_EN: 0
; COMPUTE_PGM_RSRC2:TIDIG_COMP_CNT: 0
; COMPUTE_PGM_RSRC3_GFX90A:ACCUM_OFFSET: 0
; COMPUTE_PGM_RSRC3_GFX90A:TG_SPLIT: 0
	.section	.text._ZN7rocprim17ROCPRIM_400000_NS6detail17trampoline_kernelINS0_14default_configENS1_35radix_sort_onesweep_config_selectorImNS0_10empty_typeEEEZNS1_34radix_sort_onesweep_global_offsetsIS3_Lb0EPmPS5_mNS0_19identity_decomposerEEE10hipError_tT1_T2_PT3_SE_jT4_jjP12ihipStream_tbEUlT_E_NS1_11comp_targetILNS1_3genE4ELNS1_11target_archE910ELNS1_3gpuE8ELNS1_3repE0EEENS1_52radix_sort_onesweep_histogram_config_static_selectorELNS0_4arch9wavefront6targetE1EEEvSC_,"axG",@progbits,_ZN7rocprim17ROCPRIM_400000_NS6detail17trampoline_kernelINS0_14default_configENS1_35radix_sort_onesweep_config_selectorImNS0_10empty_typeEEEZNS1_34radix_sort_onesweep_global_offsetsIS3_Lb0EPmPS5_mNS0_19identity_decomposerEEE10hipError_tT1_T2_PT3_SE_jT4_jjP12ihipStream_tbEUlT_E_NS1_11comp_targetILNS1_3genE4ELNS1_11target_archE910ELNS1_3gpuE8ELNS1_3repE0EEENS1_52radix_sort_onesweep_histogram_config_static_selectorELNS0_4arch9wavefront6targetE1EEEvSC_,comdat
	.protected	_ZN7rocprim17ROCPRIM_400000_NS6detail17trampoline_kernelINS0_14default_configENS1_35radix_sort_onesweep_config_selectorImNS0_10empty_typeEEEZNS1_34radix_sort_onesweep_global_offsetsIS3_Lb0EPmPS5_mNS0_19identity_decomposerEEE10hipError_tT1_T2_PT3_SE_jT4_jjP12ihipStream_tbEUlT_E_NS1_11comp_targetILNS1_3genE4ELNS1_11target_archE910ELNS1_3gpuE8ELNS1_3repE0EEENS1_52radix_sort_onesweep_histogram_config_static_selectorELNS0_4arch9wavefront6targetE1EEEvSC_ ; -- Begin function _ZN7rocprim17ROCPRIM_400000_NS6detail17trampoline_kernelINS0_14default_configENS1_35radix_sort_onesweep_config_selectorImNS0_10empty_typeEEEZNS1_34radix_sort_onesweep_global_offsetsIS3_Lb0EPmPS5_mNS0_19identity_decomposerEEE10hipError_tT1_T2_PT3_SE_jT4_jjP12ihipStream_tbEUlT_E_NS1_11comp_targetILNS1_3genE4ELNS1_11target_archE910ELNS1_3gpuE8ELNS1_3repE0EEENS1_52radix_sort_onesweep_histogram_config_static_selectorELNS0_4arch9wavefront6targetE1EEEvSC_
	.globl	_ZN7rocprim17ROCPRIM_400000_NS6detail17trampoline_kernelINS0_14default_configENS1_35radix_sort_onesweep_config_selectorImNS0_10empty_typeEEEZNS1_34radix_sort_onesweep_global_offsetsIS3_Lb0EPmPS5_mNS0_19identity_decomposerEEE10hipError_tT1_T2_PT3_SE_jT4_jjP12ihipStream_tbEUlT_E_NS1_11comp_targetILNS1_3genE4ELNS1_11target_archE910ELNS1_3gpuE8ELNS1_3repE0EEENS1_52radix_sort_onesweep_histogram_config_static_selectorELNS0_4arch9wavefront6targetE1EEEvSC_
	.p2align	8
	.type	_ZN7rocprim17ROCPRIM_400000_NS6detail17trampoline_kernelINS0_14default_configENS1_35radix_sort_onesweep_config_selectorImNS0_10empty_typeEEEZNS1_34radix_sort_onesweep_global_offsetsIS3_Lb0EPmPS5_mNS0_19identity_decomposerEEE10hipError_tT1_T2_PT3_SE_jT4_jjP12ihipStream_tbEUlT_E_NS1_11comp_targetILNS1_3genE4ELNS1_11target_archE910ELNS1_3gpuE8ELNS1_3repE0EEENS1_52radix_sort_onesweep_histogram_config_static_selectorELNS0_4arch9wavefront6targetE1EEEvSC_,@function
_ZN7rocprim17ROCPRIM_400000_NS6detail17trampoline_kernelINS0_14default_configENS1_35radix_sort_onesweep_config_selectorImNS0_10empty_typeEEEZNS1_34radix_sort_onesweep_global_offsetsIS3_Lb0EPmPS5_mNS0_19identity_decomposerEEE10hipError_tT1_T2_PT3_SE_jT4_jjP12ihipStream_tbEUlT_E_NS1_11comp_targetILNS1_3genE4ELNS1_11target_archE910ELNS1_3gpuE8ELNS1_3repE0EEENS1_52radix_sort_onesweep_histogram_config_static_selectorELNS0_4arch9wavefront6targetE1EEEvSC_: ; @_ZN7rocprim17ROCPRIM_400000_NS6detail17trampoline_kernelINS0_14default_configENS1_35radix_sort_onesweep_config_selectorImNS0_10empty_typeEEEZNS1_34radix_sort_onesweep_global_offsetsIS3_Lb0EPmPS5_mNS0_19identity_decomposerEEE10hipError_tT1_T2_PT3_SE_jT4_jjP12ihipStream_tbEUlT_E_NS1_11comp_targetILNS1_3genE4ELNS1_11target_archE910ELNS1_3gpuE8ELNS1_3repE0EEENS1_52radix_sort_onesweep_histogram_config_static_selectorELNS0_4arch9wavefront6targetE1EEEvSC_
; %bb.0:
	s_load_dwordx2 s[10:11], s[4:5], 0x18
	s_load_dwordx4 s[0:3], s[4:5], 0x0
	s_load_dwordx2 s[8:9], s[4:5], 0x24
	s_mov_b32 s7, 0
	v_pk_mov_b32 v[2:3], s[6:7], s[6:7] op_sel:[0,1]
	s_lshl_b64 s[6:7], s[6:7], 16
	s_waitcnt lgkmcnt(0)
	v_cmp_le_u64_e32 vcc, s[10:11], v[2:3]
	s_add_u32 s6, s0, s6
	s_addc_u32 s7, s1, s7
	s_mov_b64 s[0:1], -1
	s_cbranch_vccz .LBB966_319
; %bb.1:
	s_load_dword s0, s[4:5], 0x10
	s_lshl_b32 s1, s10, 13
                                        ; implicit-def: $vgpr16_vgpr17
	s_waitcnt lgkmcnt(0)
	s_sub_i32 s16, s0, s1
	v_cmp_gt_u32_e32 vcc, s16, v0
	s_and_saveexec_b64 s[0:1], vcc
	s_cbranch_execz .LBB966_3
; %bb.2:
	v_lshlrev_b32_e32 v1, 3, v0
	global_load_dwordx2 v[16:17], v1, s[6:7]
.LBB966_3:
	s_or_b64 exec, exec, s[0:1]
	v_or_b32_e32 v24, 0x400, v0
	v_cmp_gt_u32_e32 vcc, s16, v24
                                        ; implicit-def: $vgpr14_vgpr15
	s_and_saveexec_b64 s[0:1], vcc
	s_cbranch_execz .LBB966_5
; %bb.4:
	v_lshlrev_b32_e32 v1, 3, v24
	global_load_dwordx2 v[14:15], v1, s[6:7]
.LBB966_5:
	s_or_b64 exec, exec, s[0:1]
	v_or_b32_e32 v23, 0x800, v0
	v_cmp_gt_u32_e32 vcc, s16, v23
                                        ; implicit-def: $vgpr12_vgpr13
	s_and_saveexec_b64 s[0:1], vcc
	s_cbranch_execz .LBB966_7
; %bb.6:
	v_lshlrev_b32_e32 v1, 3, v23
	global_load_dwordx2 v[12:13], v1, s[6:7]
.LBB966_7:
	s_or_b64 exec, exec, s[0:1]
	v_or_b32_e32 v22, 0xc00, v0
	v_cmp_gt_u32_e32 vcc, s16, v22
                                        ; implicit-def: $vgpr10_vgpr11
	s_and_saveexec_b64 s[0:1], vcc
	s_cbranch_execz .LBB966_9
; %bb.8:
	v_lshlrev_b32_e32 v1, 3, v22
	global_load_dwordx2 v[10:11], v1, s[6:7]
.LBB966_9:
	s_or_b64 exec, exec, s[0:1]
	v_or_b32_e32 v21, 0x1000, v0
	v_cmp_gt_u32_e32 vcc, s16, v21
                                        ; implicit-def: $vgpr8_vgpr9
	s_and_saveexec_b64 s[0:1], vcc
	s_cbranch_execz .LBB966_11
; %bb.10:
	v_lshlrev_b32_e32 v1, 3, v21
	global_load_dwordx2 v[8:9], v1, s[6:7]
.LBB966_11:
	s_or_b64 exec, exec, s[0:1]
	v_or_b32_e32 v20, 0x1400, v0
	v_cmp_gt_u32_e32 vcc, s16, v20
                                        ; implicit-def: $vgpr6_vgpr7
	s_and_saveexec_b64 s[0:1], vcc
	s_cbranch_execz .LBB966_13
; %bb.12:
	v_lshlrev_b32_e32 v1, 3, v20
	global_load_dwordx2 v[6:7], v1, s[6:7]
.LBB966_13:
	s_or_b64 exec, exec, s[0:1]
	v_or_b32_e32 v19, 0x1800, v0
	v_cmp_gt_u32_e32 vcc, s16, v19
                                        ; implicit-def: $vgpr4_vgpr5
	s_and_saveexec_b64 s[0:1], vcc
	s_cbranch_execz .LBB966_15
; %bb.14:
	v_lshlrev_b32_e32 v1, 3, v19
	global_load_dwordx2 v[4:5], v1, s[6:7]
.LBB966_15:
	s_or_b64 exec, exec, s[0:1]
	v_or_b32_e32 v18, 0x1c00, v0
	v_cmp_gt_u32_e32 vcc, s16, v18
                                        ; implicit-def: $vgpr2_vgpr3
	s_and_saveexec_b64 s[0:1], vcc
	s_cbranch_execz .LBB966_17
; %bb.16:
	v_lshlrev_b32_e32 v1, 3, v18
	global_load_dwordx2 v[2:3], v1, s[6:7]
.LBB966_17:
	s_or_b64 exec, exec, s[0:1]
	s_cmp_le_u32 s9, s8
	s_cselect_b64 s[4:5], -1, 0
	v_cmp_le_u32_e32 vcc, s16, v0
	s_and_b64 s[0:1], s[4:5], exec
	v_lshlrev_b32_e32 v25, 2, v0
	v_mov_b32_e32 v26, 0
	s_cselect_b32 s17, 8, 10
	s_or_b64 s[0:1], s[4:5], vcc
	v_and_b32_e32 v1, 3, v0
	ds_write2st64_b32 v25, v26, v26 offset1:16
	ds_write2st64_b32 v25, v26, v26 offset0:32 offset1:48
	ds_write2st64_b32 v25, v26, v26 offset0:64 offset1:80
	;; [unrolled: 1-line block ×3, first 2 shown]
	s_xor_b64 s[10:11], s[0:1], -1
	v_mov_b32_e32 v25, s17
	s_waitcnt lgkmcnt(0)
	s_barrier
	s_and_saveexec_b64 s[0:1], s[10:11]
	s_cbranch_execz .LBB966_19
; %bb.18:
	s_sub_i32 s10, s9, s8
	s_min_u32 s10, s10, 8
	s_waitcnt vmcnt(0)
	v_lshrrev_b64 v[26:27], s8, v[16:17]
	v_bfe_u32 v25, v26, 0, s10
	v_lshlrev_b32_e32 v26, 2, v1
	v_lshl_or_b32 v25, v25, 4, v26
	v_mov_b32_e32 v26, 1
	ds_add_u32 v25, v26
	v_mov_b32_e32 v25, 0
.LBB966_19:
	s_or_b64 exec, exec, s[0:1]
	v_cmp_gt_i32_e64 s[0:1], 10, v25
	s_mov_b64 s[12:13], -1
	s_and_saveexec_b64 s[10:11], s[0:1]
; %bb.20:
	v_cmp_eq_u32_e64 s[0:1], 0, v25
	s_orn2_b64 s[12:13], s[0:1], exec
; %bb.21:
	s_or_b64 exec, exec, s[10:11]
	s_and_saveexec_b64 s[10:11], s[12:13]
	s_cbranch_execz .LBB966_54
; %bb.22:
	s_add_i32 s12, s8, 8
	s_cmp_le_u32 s9, s12
	s_cselect_b64 s[0:1], -1, 0
	s_and_b64 s[14:15], s[0:1], exec
	s_cselect_b32 s13, 8, 10
	s_or_b64 s[0:1], s[0:1], vcc
	s_xor_b64 s[14:15], s[0:1], -1
	v_mov_b32_e32 v25, s13
	s_and_saveexec_b64 s[0:1], s[14:15]
	s_cbranch_execz .LBB966_24
; %bb.23:
	s_sub_i32 s13, s9, s12
	s_min_u32 s13, s13, 8
	s_waitcnt vmcnt(0)
	v_lshrrev_b64 v[26:27], s12, v[16:17]
	v_bfe_u32 v25, v26, 0, s13
	v_lshlrev_b32_e32 v26, 2, v1
	v_lshl_or_b32 v25, v25, 4, v26
	v_mov_b32_e32 v26, 1
	ds_add_u32 v25, v26 offset:4096
	v_mov_b32_e32 v25, 0
.LBB966_24:
	s_or_b64 exec, exec, s[0:1]
	v_cmp_gt_i32_e64 s[0:1], 10, v25
	s_mov_b64 s[12:13], -1
	s_and_saveexec_b64 s[14:15], s[0:1]
; %bb.25:
	v_cmp_eq_u32_e64 s[0:1], 0, v25
	s_orn2_b64 s[12:13], s[0:1], exec
; %bb.26:
	s_or_b64 exec, exec, s[14:15]
	s_and_b64 exec, exec, s[12:13]
	s_cbranch_execz .LBB966_54
; %bb.27:
	s_add_i32 s12, s8, 16
	s_cmp_le_u32 s9, s12
	s_cselect_b64 s[0:1], -1, 0
	s_and_b64 s[14:15], s[0:1], exec
	s_cselect_b32 s13, 8, 10
	s_or_b64 s[0:1], s[0:1], vcc
	s_xor_b64 s[14:15], s[0:1], -1
	v_mov_b32_e32 v25, s13
	s_and_saveexec_b64 s[0:1], s[14:15]
	s_cbranch_execz .LBB966_29
; %bb.28:
	s_sub_i32 s13, s9, s12
	s_min_u32 s13, s13, 8
	s_waitcnt vmcnt(0)
	v_lshrrev_b64 v[26:27], s12, v[16:17]
	v_bfe_u32 v25, v26, 0, s13
	v_lshlrev_b32_e32 v26, 2, v1
	v_lshl_or_b32 v25, v25, 4, v26
	v_mov_b32_e32 v26, 1
	ds_add_u32 v25, v26 offset:8192
	v_mov_b32_e32 v25, 0
.LBB966_29:
	s_or_b64 exec, exec, s[0:1]
	v_cmp_gt_i32_e64 s[0:1], 10, v25
	s_mov_b64 s[12:13], -1
	s_and_saveexec_b64 s[14:15], s[0:1]
; %bb.30:
	v_cmp_eq_u32_e64 s[0:1], 0, v25
	s_orn2_b64 s[12:13], s[0:1], exec
; %bb.31:
	s_or_b64 exec, exec, s[14:15]
	s_and_b64 exec, exec, s[12:13]
	s_cbranch_execz .LBB966_54
; %bb.32:
	s_add_i32 s12, s8, 24
	s_cmp_le_u32 s9, s12
	s_cselect_b64 s[0:1], -1, 0
	s_and_b64 s[14:15], s[0:1], exec
	s_cselect_b32 s13, 8, 10
	s_or_b64 s[0:1], s[0:1], vcc
	s_xor_b64 s[14:15], s[0:1], -1
	v_mov_b32_e32 v25, s13
	s_and_saveexec_b64 s[0:1], s[14:15]
	s_cbranch_execz .LBB966_34
; %bb.33:
	s_sub_i32 s13, s9, s12
	s_min_u32 s13, s13, 8
	s_waitcnt vmcnt(0)
	v_lshrrev_b64 v[26:27], s12, v[16:17]
	v_bfe_u32 v25, v26, 0, s13
	v_lshlrev_b32_e32 v26, 2, v1
	v_lshl_or_b32 v25, v25, 4, v26
	v_mov_b32_e32 v26, 1
	ds_add_u32 v25, v26 offset:12288
	v_mov_b32_e32 v25, 0
.LBB966_34:
	s_or_b64 exec, exec, s[0:1]
	v_cmp_gt_i32_e64 s[0:1], 10, v25
	s_mov_b64 s[12:13], -1
	s_and_saveexec_b64 s[14:15], s[0:1]
; %bb.35:
	v_cmp_eq_u32_e64 s[0:1], 0, v25
	s_orn2_b64 s[12:13], s[0:1], exec
; %bb.36:
	s_or_b64 exec, exec, s[14:15]
	s_and_b64 exec, exec, s[12:13]
	s_cbranch_execz .LBB966_54
; %bb.37:
	s_add_i32 s12, s8, 32
	s_cmp_le_u32 s9, s12
	s_cselect_b64 s[0:1], -1, 0
	s_and_b64 s[14:15], s[0:1], exec
	s_cselect_b32 s13, 8, 10
	s_or_b64 s[0:1], s[0:1], vcc
	s_xor_b64 s[14:15], s[0:1], -1
	v_mov_b32_e32 v25, s13
	s_and_saveexec_b64 s[0:1], s[14:15]
	s_cbranch_execz .LBB966_39
; %bb.38:
	s_sub_i32 s13, s9, s12
	s_min_u32 s13, s13, 8
	s_waitcnt vmcnt(0)
	v_lshrrev_b64 v[26:27], s12, v[16:17]
	v_bfe_u32 v25, v26, 0, s13
	v_lshlrev_b32_e32 v26, 2, v1
	v_lshl_or_b32 v25, v25, 4, v26
	v_mov_b32_e32 v26, 1
	ds_add_u32 v25, v26 offset:16384
	v_mov_b32_e32 v25, 0
.LBB966_39:
	s_or_b64 exec, exec, s[0:1]
	v_cmp_gt_i32_e64 s[0:1], 10, v25
	s_mov_b64 s[12:13], -1
	s_and_saveexec_b64 s[14:15], s[0:1]
; %bb.40:
	v_cmp_eq_u32_e64 s[0:1], 0, v25
	s_orn2_b64 s[12:13], s[0:1], exec
; %bb.41:
	s_or_b64 exec, exec, s[14:15]
	s_and_b64 exec, exec, s[12:13]
	s_cbranch_execz .LBB966_54
; %bb.42:
	s_add_i32 s12, s8, 40
	s_cmp_le_u32 s9, s12
	s_cselect_b64 s[0:1], -1, 0
	s_and_b64 s[14:15], s[0:1], exec
	s_cselect_b32 s13, 8, 10
	s_or_b64 s[0:1], s[0:1], vcc
	s_xor_b64 s[14:15], s[0:1], -1
	v_mov_b32_e32 v25, s13
	s_and_saveexec_b64 s[0:1], s[14:15]
	s_cbranch_execz .LBB966_44
; %bb.43:
	s_sub_i32 s13, s9, s12
	s_min_u32 s13, s13, 8
	s_waitcnt vmcnt(0)
	v_lshrrev_b64 v[26:27], s12, v[16:17]
	v_bfe_u32 v25, v26, 0, s13
	v_lshlrev_b32_e32 v26, 2, v1
	v_lshl_or_b32 v25, v25, 4, v26
	v_mov_b32_e32 v26, 1
	ds_add_u32 v25, v26 offset:20480
	v_mov_b32_e32 v25, 0
.LBB966_44:
	s_or_b64 exec, exec, s[0:1]
	v_cmp_gt_i32_e64 s[0:1], 10, v25
	s_mov_b64 s[12:13], -1
	s_and_saveexec_b64 s[14:15], s[0:1]
; %bb.45:
	v_cmp_eq_u32_e64 s[0:1], 0, v25
	s_orn2_b64 s[12:13], s[0:1], exec
; %bb.46:
	s_or_b64 exec, exec, s[14:15]
	s_and_b64 exec, exec, s[12:13]
	s_cbranch_execz .LBB966_54
; %bb.47:
	s_add_i32 s12, s8, 48
	s_cmp_le_u32 s9, s12
	s_cselect_b64 s[0:1], -1, 0
	s_and_b64 s[14:15], s[0:1], exec
	s_cselect_b32 s13, 8, 10
	s_or_b64 s[0:1], s[0:1], vcc
	s_xor_b64 s[14:15], s[0:1], -1
	v_mov_b32_e32 v25, s13
	s_and_saveexec_b64 s[0:1], s[14:15]
	s_cbranch_execz .LBB966_49
; %bb.48:
	s_sub_i32 s13, s9, s12
	s_min_u32 s13, s13, 8
	s_waitcnt vmcnt(0)
	v_lshrrev_b64 v[26:27], s12, v[16:17]
	v_bfe_u32 v25, v26, 0, s13
	v_lshlrev_b32_e32 v26, 2, v1
	v_lshl_or_b32 v25, v25, 4, v26
	v_mov_b32_e32 v26, 1
	ds_add_u32 v25, v26 offset:24576
	v_mov_b32_e32 v25, 0
.LBB966_49:
	s_or_b64 exec, exec, s[0:1]
	v_cmp_gt_i32_e64 s[0:1], 10, v25
	s_mov_b64 s[12:13], -1
	s_and_saveexec_b64 s[14:15], s[0:1]
; %bb.50:
	v_cmp_eq_u32_e64 s[0:1], 0, v25
	s_orn2_b64 s[12:13], s[0:1], exec
; %bb.51:
	s_or_b64 exec, exec, s[14:15]
	s_and_b64 exec, exec, s[12:13]
	s_cbranch_execz .LBB966_54
; %bb.52:
	s_add_i32 s0, s8, 56
	s_cmp_gt_u32 s9, s0
	s_cselect_b64 s[12:13], -1, 0
	s_xor_b64 s[14:15], vcc, -1
	s_and_b64 s[12:13], s[12:13], s[14:15]
	s_and_b64 exec, exec, s[12:13]
	s_cbranch_execz .LBB966_54
; %bb.53:
	s_sub_i32 s1, s9, s0
	s_min_u32 s1, s1, 8
	s_waitcnt vmcnt(0)
	v_lshrrev_b64 v[16:17], s0, v[16:17]
	v_bfe_u32 v16, v16, 0, s1
	v_lshlrev_b32_e32 v17, 2, v1
	v_lshl_or_b32 v16, v16, 4, v17
	v_mov_b32_e32 v17, 1
	ds_add_u32 v16, v17 offset:28672
.LBB966_54:
	s_or_b64 exec, exec, s[10:11]
	v_cmp_le_u32_e32 vcc, s16, v24
	s_or_b64 s[0:1], s[4:5], vcc
	s_xor_b64 s[10:11], s[0:1], -1
	s_waitcnt vmcnt(0)
	v_mov_b32_e32 v16, s17
	s_and_saveexec_b64 s[0:1], s[10:11]
	s_cbranch_execz .LBB966_56
; %bb.55:
	s_sub_i32 s10, s9, s8
	s_min_u32 s10, s10, 8
	v_lshrrev_b64 v[16:17], s8, v[14:15]
	v_bfe_u32 v16, v16, 0, s10
	v_lshlrev_b32_e32 v17, 2, v1
	v_lshl_or_b32 v16, v16, 4, v17
	v_mov_b32_e32 v17, 1
	ds_add_u32 v16, v17
	v_mov_b32_e32 v16, 0
.LBB966_56:
	s_or_b64 exec, exec, s[0:1]
	v_cmp_gt_i32_e64 s[0:1], 10, v16
	s_mov_b64 s[12:13], -1
	s_and_saveexec_b64 s[10:11], s[0:1]
; %bb.57:
	v_cmp_eq_u32_e64 s[0:1], 0, v16
	s_orn2_b64 s[12:13], s[0:1], exec
; %bb.58:
	s_or_b64 exec, exec, s[10:11]
	s_and_saveexec_b64 s[10:11], s[12:13]
	s_cbranch_execz .LBB966_91
; %bb.59:
	s_add_i32 s12, s8, 8
	s_cmp_le_u32 s9, s12
	s_cselect_b64 s[0:1], -1, 0
	s_and_b64 s[14:15], s[0:1], exec
	s_cselect_b32 s13, 8, 10
	s_or_b64 s[0:1], s[0:1], vcc
	s_xor_b64 s[14:15], s[0:1], -1
	v_mov_b32_e32 v16, s13
	s_and_saveexec_b64 s[0:1], s[14:15]
	s_cbranch_execz .LBB966_61
; %bb.60:
	s_sub_i32 s13, s9, s12
	s_min_u32 s13, s13, 8
	v_lshrrev_b64 v[16:17], s12, v[14:15]
	v_bfe_u32 v16, v16, 0, s13
	v_lshlrev_b32_e32 v17, 2, v1
	v_lshl_or_b32 v16, v16, 4, v17
	v_mov_b32_e32 v17, 1
	ds_add_u32 v16, v17 offset:4096
	v_mov_b32_e32 v16, 0
.LBB966_61:
	s_or_b64 exec, exec, s[0:1]
	v_cmp_gt_i32_e64 s[0:1], 10, v16
	s_mov_b64 s[12:13], -1
	s_and_saveexec_b64 s[14:15], s[0:1]
; %bb.62:
	v_cmp_eq_u32_e64 s[0:1], 0, v16
	s_orn2_b64 s[12:13], s[0:1], exec
; %bb.63:
	s_or_b64 exec, exec, s[14:15]
	s_and_b64 exec, exec, s[12:13]
	s_cbranch_execz .LBB966_91
; %bb.64:
	s_add_i32 s12, s8, 16
	s_cmp_le_u32 s9, s12
	s_cselect_b64 s[0:1], -1, 0
	s_and_b64 s[14:15], s[0:1], exec
	s_cselect_b32 s13, 8, 10
	s_or_b64 s[0:1], s[0:1], vcc
	s_xor_b64 s[14:15], s[0:1], -1
	v_mov_b32_e32 v16, s13
	s_and_saveexec_b64 s[0:1], s[14:15]
	s_cbranch_execz .LBB966_66
; %bb.65:
	s_sub_i32 s13, s9, s12
	s_min_u32 s13, s13, 8
	v_lshrrev_b64 v[16:17], s12, v[14:15]
	v_bfe_u32 v16, v16, 0, s13
	v_lshlrev_b32_e32 v17, 2, v1
	v_lshl_or_b32 v16, v16, 4, v17
	v_mov_b32_e32 v17, 1
	ds_add_u32 v16, v17 offset:8192
	v_mov_b32_e32 v16, 0
.LBB966_66:
	s_or_b64 exec, exec, s[0:1]
	v_cmp_gt_i32_e64 s[0:1], 10, v16
	s_mov_b64 s[12:13], -1
	s_and_saveexec_b64 s[14:15], s[0:1]
; %bb.67:
	v_cmp_eq_u32_e64 s[0:1], 0, v16
	s_orn2_b64 s[12:13], s[0:1], exec
; %bb.68:
	s_or_b64 exec, exec, s[14:15]
	s_and_b64 exec, exec, s[12:13]
	;; [unrolled: 33-line block ×6, first 2 shown]
	s_cbranch_execz .LBB966_91
; %bb.89:
	s_add_i32 s0, s8, 56
	s_cmp_gt_u32 s9, s0
	s_cselect_b64 s[12:13], -1, 0
	s_xor_b64 s[14:15], vcc, -1
	s_and_b64 s[12:13], s[12:13], s[14:15]
	s_and_b64 exec, exec, s[12:13]
	s_cbranch_execz .LBB966_91
; %bb.90:
	s_sub_i32 s1, s9, s0
	s_min_u32 s1, s1, 8
	v_lshrrev_b64 v[14:15], s0, v[14:15]
	v_bfe_u32 v14, v14, 0, s1
	v_lshlrev_b32_e32 v15, 2, v1
	v_lshl_or_b32 v14, v14, 4, v15
	v_mov_b32_e32 v15, 1
	ds_add_u32 v14, v15 offset:28672
.LBB966_91:
	s_or_b64 exec, exec, s[10:11]
	v_cmp_le_u32_e32 vcc, s16, v23
	s_or_b64 s[0:1], s[4:5], vcc
	s_xor_b64 s[10:11], s[0:1], -1
	v_mov_b32_e32 v14, s17
	s_and_saveexec_b64 s[0:1], s[10:11]
	s_cbranch_execz .LBB966_93
; %bb.92:
	s_sub_i32 s10, s9, s8
	s_min_u32 s10, s10, 8
	v_lshrrev_b64 v[14:15], s8, v[12:13]
	v_bfe_u32 v14, v14, 0, s10
	v_lshlrev_b32_e32 v15, 2, v1
	v_lshl_or_b32 v14, v14, 4, v15
	v_mov_b32_e32 v15, 1
	ds_add_u32 v14, v15
	v_mov_b32_e32 v14, 0
.LBB966_93:
	s_or_b64 exec, exec, s[0:1]
	v_cmp_gt_i32_e64 s[0:1], 10, v14
	s_mov_b64 s[12:13], -1
	s_and_saveexec_b64 s[10:11], s[0:1]
; %bb.94:
	v_cmp_eq_u32_e64 s[0:1], 0, v14
	s_orn2_b64 s[12:13], s[0:1], exec
; %bb.95:
	s_or_b64 exec, exec, s[10:11]
	s_and_saveexec_b64 s[10:11], s[12:13]
	s_cbranch_execz .LBB966_128
; %bb.96:
	s_add_i32 s12, s8, 8
	s_cmp_le_u32 s9, s12
	s_cselect_b64 s[0:1], -1, 0
	s_and_b64 s[14:15], s[0:1], exec
	s_cselect_b32 s13, 8, 10
	s_or_b64 s[0:1], s[0:1], vcc
	s_xor_b64 s[14:15], s[0:1], -1
	v_mov_b32_e32 v14, s13
	s_and_saveexec_b64 s[0:1], s[14:15]
	s_cbranch_execz .LBB966_98
; %bb.97:
	s_sub_i32 s13, s9, s12
	s_min_u32 s13, s13, 8
	v_lshrrev_b64 v[14:15], s12, v[12:13]
	v_bfe_u32 v14, v14, 0, s13
	v_lshlrev_b32_e32 v15, 2, v1
	v_lshl_or_b32 v14, v14, 4, v15
	v_mov_b32_e32 v15, 1
	ds_add_u32 v14, v15 offset:4096
	v_mov_b32_e32 v14, 0
.LBB966_98:
	s_or_b64 exec, exec, s[0:1]
	v_cmp_gt_i32_e64 s[0:1], 10, v14
	s_mov_b64 s[12:13], -1
	s_and_saveexec_b64 s[14:15], s[0:1]
; %bb.99:
	v_cmp_eq_u32_e64 s[0:1], 0, v14
	s_orn2_b64 s[12:13], s[0:1], exec
; %bb.100:
	s_or_b64 exec, exec, s[14:15]
	s_and_b64 exec, exec, s[12:13]
	s_cbranch_execz .LBB966_128
; %bb.101:
	s_add_i32 s12, s8, 16
	s_cmp_le_u32 s9, s12
	s_cselect_b64 s[0:1], -1, 0
	s_and_b64 s[14:15], s[0:1], exec
	s_cselect_b32 s13, 8, 10
	s_or_b64 s[0:1], s[0:1], vcc
	s_xor_b64 s[14:15], s[0:1], -1
	v_mov_b32_e32 v14, s13
	s_and_saveexec_b64 s[0:1], s[14:15]
	s_cbranch_execz .LBB966_103
; %bb.102:
	s_sub_i32 s13, s9, s12
	s_min_u32 s13, s13, 8
	v_lshrrev_b64 v[14:15], s12, v[12:13]
	v_bfe_u32 v14, v14, 0, s13
	v_lshlrev_b32_e32 v15, 2, v1
	v_lshl_or_b32 v14, v14, 4, v15
	v_mov_b32_e32 v15, 1
	ds_add_u32 v14, v15 offset:8192
	v_mov_b32_e32 v14, 0
.LBB966_103:
	s_or_b64 exec, exec, s[0:1]
	v_cmp_gt_i32_e64 s[0:1], 10, v14
	s_mov_b64 s[12:13], -1
	s_and_saveexec_b64 s[14:15], s[0:1]
; %bb.104:
	v_cmp_eq_u32_e64 s[0:1], 0, v14
	s_orn2_b64 s[12:13], s[0:1], exec
; %bb.105:
	s_or_b64 exec, exec, s[14:15]
	s_and_b64 exec, exec, s[12:13]
	;; [unrolled: 33-line block ×6, first 2 shown]
	s_cbranch_execz .LBB966_128
; %bb.126:
	s_add_i32 s0, s8, 56
	s_cmp_gt_u32 s9, s0
	s_cselect_b64 s[12:13], -1, 0
	s_xor_b64 s[14:15], vcc, -1
	s_and_b64 s[12:13], s[12:13], s[14:15]
	s_and_b64 exec, exec, s[12:13]
	s_cbranch_execz .LBB966_128
; %bb.127:
	s_sub_i32 s1, s9, s0
	s_min_u32 s1, s1, 8
	v_lshrrev_b64 v[12:13], s0, v[12:13]
	v_bfe_u32 v12, v12, 0, s1
	v_lshlrev_b32_e32 v13, 2, v1
	v_lshl_or_b32 v12, v12, 4, v13
	v_mov_b32_e32 v13, 1
	ds_add_u32 v12, v13 offset:28672
.LBB966_128:
	s_or_b64 exec, exec, s[10:11]
	v_cmp_le_u32_e32 vcc, s16, v22
	s_or_b64 s[0:1], s[4:5], vcc
	s_xor_b64 s[10:11], s[0:1], -1
	v_mov_b32_e32 v12, s17
	s_and_saveexec_b64 s[0:1], s[10:11]
	s_cbranch_execz .LBB966_130
; %bb.129:
	s_sub_i32 s10, s9, s8
	s_min_u32 s10, s10, 8
	v_lshrrev_b64 v[12:13], s8, v[10:11]
	v_bfe_u32 v12, v12, 0, s10
	v_lshlrev_b32_e32 v13, 2, v1
	v_lshl_or_b32 v12, v12, 4, v13
	v_mov_b32_e32 v13, 1
	ds_add_u32 v12, v13
	v_mov_b32_e32 v12, 0
.LBB966_130:
	s_or_b64 exec, exec, s[0:1]
	v_cmp_gt_i32_e64 s[0:1], 10, v12
	s_mov_b64 s[12:13], -1
	s_and_saveexec_b64 s[10:11], s[0:1]
; %bb.131:
	v_cmp_eq_u32_e64 s[0:1], 0, v12
	s_orn2_b64 s[12:13], s[0:1], exec
; %bb.132:
	s_or_b64 exec, exec, s[10:11]
	s_and_saveexec_b64 s[10:11], s[12:13]
	s_cbranch_execz .LBB966_165
; %bb.133:
	s_add_i32 s12, s8, 8
	s_cmp_le_u32 s9, s12
	s_cselect_b64 s[0:1], -1, 0
	s_and_b64 s[14:15], s[0:1], exec
	s_cselect_b32 s13, 8, 10
	s_or_b64 s[0:1], s[0:1], vcc
	s_xor_b64 s[14:15], s[0:1], -1
	v_mov_b32_e32 v12, s13
	s_and_saveexec_b64 s[0:1], s[14:15]
	s_cbranch_execz .LBB966_135
; %bb.134:
	s_sub_i32 s13, s9, s12
	s_min_u32 s13, s13, 8
	v_lshrrev_b64 v[12:13], s12, v[10:11]
	v_bfe_u32 v12, v12, 0, s13
	v_lshlrev_b32_e32 v13, 2, v1
	v_lshl_or_b32 v12, v12, 4, v13
	v_mov_b32_e32 v13, 1
	ds_add_u32 v12, v13 offset:4096
	v_mov_b32_e32 v12, 0
.LBB966_135:
	s_or_b64 exec, exec, s[0:1]
	v_cmp_gt_i32_e64 s[0:1], 10, v12
	s_mov_b64 s[12:13], -1
	s_and_saveexec_b64 s[14:15], s[0:1]
; %bb.136:
	v_cmp_eq_u32_e64 s[0:1], 0, v12
	s_orn2_b64 s[12:13], s[0:1], exec
; %bb.137:
	s_or_b64 exec, exec, s[14:15]
	s_and_b64 exec, exec, s[12:13]
	s_cbranch_execz .LBB966_165
; %bb.138:
	s_add_i32 s12, s8, 16
	s_cmp_le_u32 s9, s12
	s_cselect_b64 s[0:1], -1, 0
	s_and_b64 s[14:15], s[0:1], exec
	s_cselect_b32 s13, 8, 10
	s_or_b64 s[0:1], s[0:1], vcc
	s_xor_b64 s[14:15], s[0:1], -1
	v_mov_b32_e32 v12, s13
	s_and_saveexec_b64 s[0:1], s[14:15]
	s_cbranch_execz .LBB966_140
; %bb.139:
	s_sub_i32 s13, s9, s12
	s_min_u32 s13, s13, 8
	v_lshrrev_b64 v[12:13], s12, v[10:11]
	v_bfe_u32 v12, v12, 0, s13
	v_lshlrev_b32_e32 v13, 2, v1
	v_lshl_or_b32 v12, v12, 4, v13
	v_mov_b32_e32 v13, 1
	ds_add_u32 v12, v13 offset:8192
	v_mov_b32_e32 v12, 0
.LBB966_140:
	s_or_b64 exec, exec, s[0:1]
	v_cmp_gt_i32_e64 s[0:1], 10, v12
	s_mov_b64 s[12:13], -1
	s_and_saveexec_b64 s[14:15], s[0:1]
; %bb.141:
	v_cmp_eq_u32_e64 s[0:1], 0, v12
	s_orn2_b64 s[12:13], s[0:1], exec
; %bb.142:
	s_or_b64 exec, exec, s[14:15]
	s_and_b64 exec, exec, s[12:13]
	;; [unrolled: 33-line block ×6, first 2 shown]
	s_cbranch_execz .LBB966_165
; %bb.163:
	s_add_i32 s0, s8, 56
	s_cmp_gt_u32 s9, s0
	s_cselect_b64 s[12:13], -1, 0
	s_xor_b64 s[14:15], vcc, -1
	s_and_b64 s[12:13], s[12:13], s[14:15]
	s_and_b64 exec, exec, s[12:13]
	s_cbranch_execz .LBB966_165
; %bb.164:
	s_sub_i32 s1, s9, s0
	s_min_u32 s1, s1, 8
	v_lshrrev_b64 v[10:11], s0, v[10:11]
	v_bfe_u32 v10, v10, 0, s1
	v_lshlrev_b32_e32 v11, 2, v1
	v_lshl_or_b32 v10, v10, 4, v11
	v_mov_b32_e32 v11, 1
	ds_add_u32 v10, v11 offset:28672
.LBB966_165:
	s_or_b64 exec, exec, s[10:11]
	v_cmp_le_u32_e32 vcc, s16, v21
	s_or_b64 s[0:1], s[4:5], vcc
	s_xor_b64 s[10:11], s[0:1], -1
	v_mov_b32_e32 v10, s17
	s_and_saveexec_b64 s[0:1], s[10:11]
	s_cbranch_execz .LBB966_167
; %bb.166:
	s_sub_i32 s10, s9, s8
	s_min_u32 s10, s10, 8
	v_lshrrev_b64 v[10:11], s8, v[8:9]
	v_bfe_u32 v10, v10, 0, s10
	v_lshlrev_b32_e32 v11, 2, v1
	v_lshl_or_b32 v10, v10, 4, v11
	v_mov_b32_e32 v11, 1
	ds_add_u32 v10, v11
	v_mov_b32_e32 v10, 0
.LBB966_167:
	s_or_b64 exec, exec, s[0:1]
	v_cmp_gt_i32_e64 s[0:1], 10, v10
	s_mov_b64 s[12:13], -1
	s_and_saveexec_b64 s[10:11], s[0:1]
; %bb.168:
	v_cmp_eq_u32_e64 s[0:1], 0, v10
	s_orn2_b64 s[12:13], s[0:1], exec
; %bb.169:
	s_or_b64 exec, exec, s[10:11]
	s_and_saveexec_b64 s[10:11], s[12:13]
	s_cbranch_execz .LBB966_202
; %bb.170:
	s_add_i32 s12, s8, 8
	s_cmp_le_u32 s9, s12
	s_cselect_b64 s[0:1], -1, 0
	s_and_b64 s[14:15], s[0:1], exec
	s_cselect_b32 s13, 8, 10
	s_or_b64 s[0:1], s[0:1], vcc
	s_xor_b64 s[14:15], s[0:1], -1
	v_mov_b32_e32 v10, s13
	s_and_saveexec_b64 s[0:1], s[14:15]
	s_cbranch_execz .LBB966_172
; %bb.171:
	s_sub_i32 s13, s9, s12
	s_min_u32 s13, s13, 8
	v_lshrrev_b64 v[10:11], s12, v[8:9]
	v_bfe_u32 v10, v10, 0, s13
	v_lshlrev_b32_e32 v11, 2, v1
	v_lshl_or_b32 v10, v10, 4, v11
	v_mov_b32_e32 v11, 1
	ds_add_u32 v10, v11 offset:4096
	v_mov_b32_e32 v10, 0
.LBB966_172:
	s_or_b64 exec, exec, s[0:1]
	v_cmp_gt_i32_e64 s[0:1], 10, v10
	s_mov_b64 s[12:13], -1
	s_and_saveexec_b64 s[14:15], s[0:1]
; %bb.173:
	v_cmp_eq_u32_e64 s[0:1], 0, v10
	s_orn2_b64 s[12:13], s[0:1], exec
; %bb.174:
	s_or_b64 exec, exec, s[14:15]
	s_and_b64 exec, exec, s[12:13]
	s_cbranch_execz .LBB966_202
; %bb.175:
	s_add_i32 s12, s8, 16
	s_cmp_le_u32 s9, s12
	s_cselect_b64 s[0:1], -1, 0
	s_and_b64 s[14:15], s[0:1], exec
	s_cselect_b32 s13, 8, 10
	s_or_b64 s[0:1], s[0:1], vcc
	s_xor_b64 s[14:15], s[0:1], -1
	v_mov_b32_e32 v10, s13
	s_and_saveexec_b64 s[0:1], s[14:15]
	s_cbranch_execz .LBB966_177
; %bb.176:
	s_sub_i32 s13, s9, s12
	s_min_u32 s13, s13, 8
	v_lshrrev_b64 v[10:11], s12, v[8:9]
	v_bfe_u32 v10, v10, 0, s13
	v_lshlrev_b32_e32 v11, 2, v1
	v_lshl_or_b32 v10, v10, 4, v11
	v_mov_b32_e32 v11, 1
	ds_add_u32 v10, v11 offset:8192
	v_mov_b32_e32 v10, 0
.LBB966_177:
	s_or_b64 exec, exec, s[0:1]
	v_cmp_gt_i32_e64 s[0:1], 10, v10
	s_mov_b64 s[12:13], -1
	s_and_saveexec_b64 s[14:15], s[0:1]
; %bb.178:
	v_cmp_eq_u32_e64 s[0:1], 0, v10
	s_orn2_b64 s[12:13], s[0:1], exec
; %bb.179:
	s_or_b64 exec, exec, s[14:15]
	s_and_b64 exec, exec, s[12:13]
	;; [unrolled: 33-line block ×6, first 2 shown]
	s_cbranch_execz .LBB966_202
; %bb.200:
	s_add_i32 s0, s8, 56
	s_cmp_gt_u32 s9, s0
	s_cselect_b64 s[12:13], -1, 0
	s_xor_b64 s[14:15], vcc, -1
	s_and_b64 s[12:13], s[12:13], s[14:15]
	s_and_b64 exec, exec, s[12:13]
	s_cbranch_execz .LBB966_202
; %bb.201:
	s_sub_i32 s1, s9, s0
	s_min_u32 s1, s1, 8
	v_lshrrev_b64 v[8:9], s0, v[8:9]
	v_bfe_u32 v8, v8, 0, s1
	v_lshlrev_b32_e32 v9, 2, v1
	v_lshl_or_b32 v8, v8, 4, v9
	v_mov_b32_e32 v9, 1
	ds_add_u32 v8, v9 offset:28672
.LBB966_202:
	s_or_b64 exec, exec, s[10:11]
	v_cmp_le_u32_e32 vcc, s16, v20
	s_or_b64 s[0:1], s[4:5], vcc
	s_xor_b64 s[10:11], s[0:1], -1
	v_mov_b32_e32 v8, s17
	s_and_saveexec_b64 s[0:1], s[10:11]
	s_cbranch_execz .LBB966_204
; %bb.203:
	s_sub_i32 s10, s9, s8
	s_min_u32 s10, s10, 8
	v_lshrrev_b64 v[8:9], s8, v[6:7]
	v_bfe_u32 v8, v8, 0, s10
	v_lshlrev_b32_e32 v9, 2, v1
	v_lshl_or_b32 v8, v8, 4, v9
	v_mov_b32_e32 v9, 1
	ds_add_u32 v8, v9
	v_mov_b32_e32 v8, 0
.LBB966_204:
	s_or_b64 exec, exec, s[0:1]
	v_cmp_gt_i32_e64 s[0:1], 10, v8
	s_mov_b64 s[12:13], -1
	s_and_saveexec_b64 s[10:11], s[0:1]
; %bb.205:
	v_cmp_eq_u32_e64 s[0:1], 0, v8
	s_orn2_b64 s[12:13], s[0:1], exec
; %bb.206:
	s_or_b64 exec, exec, s[10:11]
	s_and_saveexec_b64 s[10:11], s[12:13]
	s_cbranch_execz .LBB966_239
; %bb.207:
	s_add_i32 s12, s8, 8
	s_cmp_le_u32 s9, s12
	s_cselect_b64 s[0:1], -1, 0
	s_and_b64 s[14:15], s[0:1], exec
	s_cselect_b32 s13, 8, 10
	s_or_b64 s[0:1], s[0:1], vcc
	s_xor_b64 s[14:15], s[0:1], -1
	v_mov_b32_e32 v8, s13
	s_and_saveexec_b64 s[0:1], s[14:15]
	s_cbranch_execz .LBB966_209
; %bb.208:
	s_sub_i32 s13, s9, s12
	s_min_u32 s13, s13, 8
	v_lshrrev_b64 v[8:9], s12, v[6:7]
	v_bfe_u32 v8, v8, 0, s13
	v_lshlrev_b32_e32 v9, 2, v1
	v_lshl_or_b32 v8, v8, 4, v9
	v_mov_b32_e32 v9, 1
	ds_add_u32 v8, v9 offset:4096
	v_mov_b32_e32 v8, 0
.LBB966_209:
	s_or_b64 exec, exec, s[0:1]
	v_cmp_gt_i32_e64 s[0:1], 10, v8
	s_mov_b64 s[12:13], -1
	s_and_saveexec_b64 s[14:15], s[0:1]
; %bb.210:
	v_cmp_eq_u32_e64 s[0:1], 0, v8
	s_orn2_b64 s[12:13], s[0:1], exec
; %bb.211:
	s_or_b64 exec, exec, s[14:15]
	s_and_b64 exec, exec, s[12:13]
	s_cbranch_execz .LBB966_239
; %bb.212:
	s_add_i32 s12, s8, 16
	s_cmp_le_u32 s9, s12
	s_cselect_b64 s[0:1], -1, 0
	s_and_b64 s[14:15], s[0:1], exec
	s_cselect_b32 s13, 8, 10
	s_or_b64 s[0:1], s[0:1], vcc
	s_xor_b64 s[14:15], s[0:1], -1
	v_mov_b32_e32 v8, s13
	s_and_saveexec_b64 s[0:1], s[14:15]
	s_cbranch_execz .LBB966_214
; %bb.213:
	s_sub_i32 s13, s9, s12
	s_min_u32 s13, s13, 8
	v_lshrrev_b64 v[8:9], s12, v[6:7]
	v_bfe_u32 v8, v8, 0, s13
	v_lshlrev_b32_e32 v9, 2, v1
	v_lshl_or_b32 v8, v8, 4, v9
	v_mov_b32_e32 v9, 1
	ds_add_u32 v8, v9 offset:8192
	v_mov_b32_e32 v8, 0
.LBB966_214:
	s_or_b64 exec, exec, s[0:1]
	v_cmp_gt_i32_e64 s[0:1], 10, v8
	s_mov_b64 s[12:13], -1
	s_and_saveexec_b64 s[14:15], s[0:1]
; %bb.215:
	v_cmp_eq_u32_e64 s[0:1], 0, v8
	s_orn2_b64 s[12:13], s[0:1], exec
; %bb.216:
	s_or_b64 exec, exec, s[14:15]
	s_and_b64 exec, exec, s[12:13]
	;; [unrolled: 33-line block ×6, first 2 shown]
	s_cbranch_execz .LBB966_239
; %bb.237:
	s_add_i32 s0, s8, 56
	s_cmp_gt_u32 s9, s0
	s_cselect_b64 s[12:13], -1, 0
	s_xor_b64 s[14:15], vcc, -1
	s_and_b64 s[12:13], s[12:13], s[14:15]
	s_and_b64 exec, exec, s[12:13]
	s_cbranch_execz .LBB966_239
; %bb.238:
	s_sub_i32 s1, s9, s0
	s_min_u32 s1, s1, 8
	v_lshrrev_b64 v[6:7], s0, v[6:7]
	v_bfe_u32 v6, v6, 0, s1
	v_lshlrev_b32_e32 v7, 2, v1
	v_lshl_or_b32 v6, v6, 4, v7
	v_mov_b32_e32 v7, 1
	ds_add_u32 v6, v7 offset:28672
.LBB966_239:
	s_or_b64 exec, exec, s[10:11]
	v_cmp_le_u32_e32 vcc, s16, v19
	s_or_b64 s[0:1], s[4:5], vcc
	s_xor_b64 s[10:11], s[0:1], -1
	v_mov_b32_e32 v6, s17
	s_and_saveexec_b64 s[0:1], s[10:11]
	s_cbranch_execz .LBB966_241
; %bb.240:
	s_sub_i32 s10, s9, s8
	s_min_u32 s10, s10, 8
	v_lshrrev_b64 v[6:7], s8, v[4:5]
	v_bfe_u32 v6, v6, 0, s10
	v_lshlrev_b32_e32 v7, 2, v1
	v_lshl_or_b32 v6, v6, 4, v7
	v_mov_b32_e32 v7, 1
	ds_add_u32 v6, v7
	v_mov_b32_e32 v6, 0
.LBB966_241:
	s_or_b64 exec, exec, s[0:1]
	v_cmp_gt_i32_e64 s[0:1], 10, v6
	s_mov_b64 s[12:13], -1
	s_and_saveexec_b64 s[10:11], s[0:1]
; %bb.242:
	v_cmp_eq_u32_e64 s[0:1], 0, v6
	s_orn2_b64 s[12:13], s[0:1], exec
; %bb.243:
	s_or_b64 exec, exec, s[10:11]
	s_and_saveexec_b64 s[10:11], s[12:13]
	s_cbranch_execz .LBB966_276
; %bb.244:
	s_add_i32 s12, s8, 8
	s_cmp_le_u32 s9, s12
	s_cselect_b64 s[0:1], -1, 0
	s_and_b64 s[14:15], s[0:1], exec
	s_cselect_b32 s13, 8, 10
	s_or_b64 s[0:1], s[0:1], vcc
	s_xor_b64 s[14:15], s[0:1], -1
	v_mov_b32_e32 v6, s13
	s_and_saveexec_b64 s[0:1], s[14:15]
	s_cbranch_execz .LBB966_246
; %bb.245:
	s_sub_i32 s13, s9, s12
	s_min_u32 s13, s13, 8
	v_lshrrev_b64 v[6:7], s12, v[4:5]
	v_bfe_u32 v6, v6, 0, s13
	v_lshlrev_b32_e32 v7, 2, v1
	v_lshl_or_b32 v6, v6, 4, v7
	v_mov_b32_e32 v7, 1
	ds_add_u32 v6, v7 offset:4096
	v_mov_b32_e32 v6, 0
.LBB966_246:
	s_or_b64 exec, exec, s[0:1]
	v_cmp_gt_i32_e64 s[0:1], 10, v6
	s_mov_b64 s[12:13], -1
	s_and_saveexec_b64 s[14:15], s[0:1]
; %bb.247:
	v_cmp_eq_u32_e64 s[0:1], 0, v6
	s_orn2_b64 s[12:13], s[0:1], exec
; %bb.248:
	s_or_b64 exec, exec, s[14:15]
	s_and_b64 exec, exec, s[12:13]
	s_cbranch_execz .LBB966_276
; %bb.249:
	s_add_i32 s12, s8, 16
	s_cmp_le_u32 s9, s12
	s_cselect_b64 s[0:1], -1, 0
	s_and_b64 s[14:15], s[0:1], exec
	s_cselect_b32 s13, 8, 10
	s_or_b64 s[0:1], s[0:1], vcc
	s_xor_b64 s[14:15], s[0:1], -1
	v_mov_b32_e32 v6, s13
	s_and_saveexec_b64 s[0:1], s[14:15]
	s_cbranch_execz .LBB966_251
; %bb.250:
	s_sub_i32 s13, s9, s12
	s_min_u32 s13, s13, 8
	v_lshrrev_b64 v[6:7], s12, v[4:5]
	v_bfe_u32 v6, v6, 0, s13
	v_lshlrev_b32_e32 v7, 2, v1
	v_lshl_or_b32 v6, v6, 4, v7
	v_mov_b32_e32 v7, 1
	ds_add_u32 v6, v7 offset:8192
	v_mov_b32_e32 v6, 0
.LBB966_251:
	s_or_b64 exec, exec, s[0:1]
	v_cmp_gt_i32_e64 s[0:1], 10, v6
	s_mov_b64 s[12:13], -1
	s_and_saveexec_b64 s[14:15], s[0:1]
; %bb.252:
	v_cmp_eq_u32_e64 s[0:1], 0, v6
	s_orn2_b64 s[12:13], s[0:1], exec
; %bb.253:
	s_or_b64 exec, exec, s[14:15]
	s_and_b64 exec, exec, s[12:13]
	;; [unrolled: 33-line block ×6, first 2 shown]
	s_cbranch_execz .LBB966_276
; %bb.274:
	s_add_i32 s0, s8, 56
	s_cmp_gt_u32 s9, s0
	s_cselect_b64 s[12:13], -1, 0
	s_xor_b64 s[14:15], vcc, -1
	s_and_b64 s[12:13], s[12:13], s[14:15]
	s_and_b64 exec, exec, s[12:13]
	s_cbranch_execz .LBB966_276
; %bb.275:
	s_sub_i32 s1, s9, s0
	s_min_u32 s1, s1, 8
	v_lshrrev_b64 v[4:5], s0, v[4:5]
	v_bfe_u32 v4, v4, 0, s1
	v_lshlrev_b32_e32 v5, 2, v1
	v_lshl_or_b32 v4, v4, 4, v5
	v_mov_b32_e32 v5, 1
	ds_add_u32 v4, v5 offset:28672
.LBB966_276:
	s_or_b64 exec, exec, s[10:11]
	v_cmp_le_u32_e32 vcc, s16, v18
	s_or_b64 s[0:1], s[4:5], vcc
	s_xor_b64 s[4:5], s[0:1], -1
	v_mov_b32_e32 v4, s17
	s_and_saveexec_b64 s[0:1], s[4:5]
	s_cbranch_execz .LBB966_278
; %bb.277:
	s_sub_i32 s4, s9, s8
	s_min_u32 s4, s4, 8
	v_lshrrev_b64 v[4:5], s8, v[2:3]
	v_bfe_u32 v4, v4, 0, s4
	v_lshlrev_b32_e32 v5, 2, v1
	v_lshl_or_b32 v4, v4, 4, v5
	v_mov_b32_e32 v5, 1
	ds_add_u32 v4, v5
	v_mov_b32_e32 v4, 0
.LBB966_278:
	s_or_b64 exec, exec, s[0:1]
	v_cmp_gt_i32_e64 s[0:1], 10, v4
	s_mov_b64 s[10:11], -1
	s_and_saveexec_b64 s[4:5], s[0:1]
; %bb.279:
	v_cmp_eq_u32_e64 s[0:1], 0, v4
	s_orn2_b64 s[10:11], s[0:1], exec
; %bb.280:
	s_or_b64 exec, exec, s[4:5]
	s_and_saveexec_b64 s[4:5], s[10:11]
	s_cbranch_execz .LBB966_313
; %bb.281:
	s_add_i32 s10, s8, 8
	s_cmp_le_u32 s9, s10
	s_cselect_b64 s[0:1], -1, 0
	s_and_b64 s[12:13], s[0:1], exec
	s_cselect_b32 s11, 8, 10
	s_or_b64 s[0:1], s[0:1], vcc
	s_xor_b64 s[12:13], s[0:1], -1
	v_mov_b32_e32 v4, s11
	s_and_saveexec_b64 s[0:1], s[12:13]
	s_cbranch_execz .LBB966_283
; %bb.282:
	s_sub_i32 s11, s9, s10
	s_min_u32 s11, s11, 8
	v_lshrrev_b64 v[4:5], s10, v[2:3]
	v_bfe_u32 v4, v4, 0, s11
	v_lshlrev_b32_e32 v5, 2, v1
	v_lshl_or_b32 v4, v4, 4, v5
	v_mov_b32_e32 v5, 1
	ds_add_u32 v4, v5 offset:4096
	v_mov_b32_e32 v4, 0
.LBB966_283:
	s_or_b64 exec, exec, s[0:1]
	v_cmp_gt_i32_e64 s[0:1], 10, v4
	s_mov_b64 s[10:11], -1
	s_and_saveexec_b64 s[12:13], s[0:1]
; %bb.284:
	v_cmp_eq_u32_e64 s[0:1], 0, v4
	s_orn2_b64 s[10:11], s[0:1], exec
; %bb.285:
	s_or_b64 exec, exec, s[12:13]
	s_and_b64 exec, exec, s[10:11]
	s_cbranch_execz .LBB966_313
; %bb.286:
	s_add_i32 s10, s8, 16
	s_cmp_le_u32 s9, s10
	s_cselect_b64 s[0:1], -1, 0
	s_and_b64 s[12:13], s[0:1], exec
	s_cselect_b32 s11, 8, 10
	s_or_b64 s[0:1], s[0:1], vcc
	s_xor_b64 s[12:13], s[0:1], -1
	v_mov_b32_e32 v4, s11
	s_and_saveexec_b64 s[0:1], s[12:13]
	s_cbranch_execz .LBB966_288
; %bb.287:
	s_sub_i32 s11, s9, s10
	s_min_u32 s11, s11, 8
	v_lshrrev_b64 v[4:5], s10, v[2:3]
	v_bfe_u32 v4, v4, 0, s11
	v_lshlrev_b32_e32 v5, 2, v1
	v_lshl_or_b32 v4, v4, 4, v5
	v_mov_b32_e32 v5, 1
	ds_add_u32 v4, v5 offset:8192
	v_mov_b32_e32 v4, 0
.LBB966_288:
	s_or_b64 exec, exec, s[0:1]
	v_cmp_gt_i32_e64 s[0:1], 10, v4
	s_mov_b64 s[10:11], -1
	s_and_saveexec_b64 s[12:13], s[0:1]
; %bb.289:
	v_cmp_eq_u32_e64 s[0:1], 0, v4
	s_orn2_b64 s[10:11], s[0:1], exec
; %bb.290:
	s_or_b64 exec, exec, s[12:13]
	s_and_b64 exec, exec, s[10:11]
	;; [unrolled: 33-line block ×6, first 2 shown]
	s_cbranch_execz .LBB966_313
; %bb.311:
	s_add_i32 s0, s8, 56
	s_cmp_gt_u32 s9, s0
	s_cselect_b64 s[10:11], -1, 0
	s_xor_b64 s[12:13], vcc, -1
	s_and_b64 s[10:11], s[10:11], s[12:13]
	s_and_b64 exec, exec, s[10:11]
	s_cbranch_execz .LBB966_313
; %bb.312:
	s_sub_i32 s1, s9, s0
	s_min_u32 s1, s1, 8
	v_lshrrev_b64 v[2:3], s0, v[2:3]
	v_bfe_u32 v2, v2, 0, s1
	v_lshlrev_b32_e32 v1, 2, v1
	v_lshl_or_b32 v1, v2, 4, v1
	v_mov_b32_e32 v2, 1
	ds_add_u32 v1, v2 offset:28672
.LBB966_313:
	s_or_b64 exec, exec, s[4:5]
	s_cmp_gt_u32 s9, s8
	s_waitcnt lgkmcnt(0)
	s_barrier
	s_cbranch_scc0 .LBB966_318
; %bb.314:
	s_movk_i32 s0, 0x100
	v_cmp_gt_u32_e32 vcc, s0, v0
	v_lshlrev_b32_e32 v1, 4, v0
	v_mov_b32_e32 v3, 0
	v_mov_b32_e32 v2, v0
	s_mov_b32 s10, s8
	s_branch .LBB966_316
.LBB966_315:                            ;   in Loop: Header=BB966_316 Depth=1
	s_or_b64 exec, exec, s[4:5]
	s_add_i32 s10, s10, 8
	v_add_u32_e32 v2, 0x100, v2
	s_cmp_lt_u32 s10, s9
	v_add_u32_e32 v1, 0x1000, v1
	s_cbranch_scc0 .LBB966_318
.LBB966_316:                            ; =>This Inner Loop Header: Depth=1
	s_and_saveexec_b64 s[4:5], vcc
	s_cbranch_execz .LBB966_315
; %bb.317:                              ;   in Loop: Header=BB966_316 Depth=1
	ds_read2_b32 v[4:5], v1 offset1:1
	ds_read2_b32 v[6:7], v1 offset0:2 offset1:3
	v_lshlrev_b64 v[8:9], 3, v[2:3]
	v_mov_b32_e32 v10, s3
	s_waitcnt lgkmcnt(1)
	v_add_u32_e32 v4, v5, v4
	s_waitcnt lgkmcnt(0)
	v_add3_u32 v4, v4, v6, v7
	v_add_co_u32_e64 v6, s[0:1], s2, v8
	v_addc_co_u32_e64 v7, s[0:1], v10, v9, s[0:1]
	v_mov_b32_e32 v5, v3
	global_atomic_add_x2 v[6:7], v[4:5], off
	s_branch .LBB966_315
.LBB966_318:
	s_mov_b64 s[0:1], 0
.LBB966_319:
	s_and_b64 vcc, exec, s[0:1]
	s_cbranch_vccz .LBB966_411
; %bb.320:
	v_lshlrev_b32_e32 v20, 3, v0
	v_mov_b32_e32 v1, s7
	v_add_co_u32_e32 v8, vcc, s6, v20
	v_addc_co_u32_e32 v1, vcc, 0, v1, vcc
	v_add_co_u32_e32 v2, vcc, 0x2000, v8
	v_addc_co_u32_e32 v3, vcc, 0, v1, vcc
	;; [unrolled: 2-line block ×7, first 2 shown]
	v_add_co_u32_e32 v26, vcc, 0xe000, v8
	global_load_dwordx2 v[16:17], v20, s[6:7]
	global_load_dwordx2 v[14:15], v[2:3], off
	global_load_dwordx2 v[12:13], v[4:5], off
	;; [unrolled: 1-line block ×3, first 2 shown]
	v_addc_co_u32_e32 v27, vcc, 0, v1, vcc
	global_load_dwordx2 v[8:9], v[18:19], off
	global_load_dwordx2 v[6:7], v[22:23], off
	;; [unrolled: 1-line block ×4, first 2 shown]
	s_cmp_eq_u32 s8, 0
	s_cselect_b64 s[0:1], -1, 0
	s_cmp_eq_u32 s9, 64
	s_cselect_b64 s[4:5], -1, 0
	s_and_b64 s[4:5], s[0:1], s[4:5]
	s_mov_b64 s[0:1], -1
	s_and_b64 vcc, exec, s[4:5]
	v_lshlrev_b32_e32 v21, 2, v0
	s_cbranch_vccnz .LBB966_408
; %bb.321:
	s_cmp_gt_u32 s9, s8
	s_cselect_b64 s[0:1], -1, 0
	v_mov_b32_e32 v1, 0
	s_and_b64 vcc, exec, s[0:1]
	ds_write2st64_b32 v21, v1, v1 offset1:16
	ds_write2st64_b32 v21, v1, v1 offset0:32 offset1:48
	ds_write2st64_b32 v21, v1, v1 offset0:64 offset1:80
	;; [unrolled: 1-line block ×3, first 2 shown]
	s_waitcnt lgkmcnt(0)
	s_barrier
	s_cbranch_vccz .LBB966_402
; %bb.322:
	s_sub_i32 s4, s9, s8
	s_min_u32 s4, s4, 8
	s_lshl_b32 s4, -1, s4
	v_and_b32_e32 v1, 3, v0
	s_not_b32 s12, s4
	s_waitcnt vmcnt(7)
	v_lshrrev_b64 v[18:19], s8, v[16:17]
	v_and_b32_e32 v18, s12, v18
	v_lshlrev_b32_e32 v22, 2, v1
	v_lshl_or_b32 v18, v18, 4, v22
	v_mov_b32_e32 v19, 1
	ds_add_u32 v18, v19
	s_add_i32 s13, s8, 8
	s_cmp_le_u32 s9, s13
	s_cselect_b64 s[4:5], -1, 0
	s_and_b64 vcc, exec, s[4:5]
	s_waitcnt vmcnt(6)
	v_lshrrev_b64 v[18:19], s8, v[14:15]
	s_cbranch_vccz .LBB966_324
; %bb.323:
	v_and_b32_e32 v19, s12, v18
	v_lshl_or_b32 v19, v19, 2, v1
	s_mov_b64 s[6:7], -1
	s_cbranch_execz .LBB966_325
	s_branch .LBB966_340
.LBB966_324:
	s_mov_b64 s[6:7], 0
                                        ; implicit-def: $vgpr19
.LBB966_325:
	s_sub_i32 s10, s9, s13
	s_min_u32 s10, s10, 8
	s_lshl_b32 s10, -1, s10
	s_not_b32 s15, s10
	v_lshrrev_b64 v[24:25], s13, v[16:17]
	v_and_b32_e32 v19, s15, v24
	v_lshl_or_b32 v23, v19, 4, v22
	v_mov_b32_e32 v19, 1
	ds_add_u32 v23, v19 offset:4096
	s_add_i32 s14, s8, 16
	s_cmp_gt_u32 s9, s14
	s_cselect_b64 s[10:11], -1, 0
	s_cmp_le_u32 s9, s14
	s_cbranch_scc1 .LBB966_332
; %bb.326:
	s_sub_i32 s16, s9, s14
	s_min_u32 s16, s16, 8
	v_lshrrev_b64 v[24:25], s14, v[16:17]
	v_bfe_u32 v23, v24, 0, s16
	v_lshl_or_b32 v23, v23, 4, v22
	ds_add_u32 v23, v19 offset:8192
	s_add_i32 s16, s8, 24
	s_cmp_le_u32 s9, s16
	s_cbranch_scc1 .LBB966_332
; %bb.327:
	s_sub_i32 s17, s9, s16
	s_min_u32 s17, s17, 8
	v_lshrrev_b64 v[24:25], s16, v[16:17]
	v_bfe_u32 v23, v24, 0, s17
	v_lshl_or_b32 v24, v23, 4, v22
	v_mov_b32_e32 v23, 1
	ds_add_u32 v24, v23 offset:12288
	s_add_i32 s16, s8, 32
	s_cmp_le_u32 s9, s16
	s_cbranch_scc1 .LBB966_332
; %bb.328:
	s_sub_i32 s17, s9, s16
	s_min_u32 s17, s17, 8
	v_lshrrev_b64 v[24:25], s16, v[16:17]
	v_bfe_u32 v24, v24, 0, s17
	v_lshl_or_b32 v24, v24, 4, v22
	ds_add_u32 v24, v23 offset:16384
	s_add_i32 s16, s8, 40
	s_cmp_le_u32 s9, s16
	s_cbranch_scc1 .LBB966_332
; %bb.329:
	s_sub_i32 s17, s9, s16
	s_min_u32 s17, s17, 8
	v_lshrrev_b64 v[24:25], s16, v[16:17]
	v_bfe_u32 v23, v24, 0, s17
	v_lshl_or_b32 v24, v23, 4, v22
	v_mov_b32_e32 v23, 1
	ds_add_u32 v24, v23 offset:20480
	s_add_i32 s16, s8, 48
	s_cmp_le_u32 s9, s16
	s_cbranch_scc1 .LBB966_332
; %bb.330:
	s_sub_i32 s17, s9, s16
	s_min_u32 s17, s17, 8
	v_lshrrev_b64 v[24:25], s16, v[16:17]
	v_bfe_u32 v24, v24, 0, s17
	v_lshl_or_b32 v24, v24, 4, v22
	ds_add_u32 v24, v23 offset:24576
	s_add_i32 s16, s8, 56
	s_cmp_le_u32 s9, s16
	s_cbranch_scc1 .LBB966_332
; %bb.331:
	s_sub_i32 s17, s9, s16
	s_min_u32 s17, s17, 8
	v_lshrrev_b64 v[24:25], s16, v[16:17]
	v_bfe_u32 v23, v24, 0, s17
	v_lshl_or_b32 v23, v23, 4, v22
	v_mov_b32_e32 v24, 1
	ds_add_u32 v23, v24 offset:28672
.LBB966_332:
	v_and_b32_e32 v18, s12, v18
	v_lshl_or_b32 v18, v18, 4, v22
	v_lshrrev_b64 v[24:25], s13, v[14:15]
	ds_add_u32 v18, v19
	v_and_b32_e32 v18, s15, v24
	v_lshl_or_b32 v18, v18, 4, v22
	ds_add_u32 v18, v19 offset:4096
	s_andn2_b64 vcc, exec, s[10:11]
	s_cbranch_vccnz .LBB966_339
; %bb.333:
	s_sub_i32 s10, s9, s14
	s_min_u32 s10, s10, 8
	v_lshrrev_b64 v[18:19], s14, v[14:15]
	v_bfe_u32 v18, v18, 0, s10
	v_lshl_or_b32 v19, v18, 4, v22
	v_mov_b32_e32 v18, 1
	ds_add_u32 v19, v18 offset:8192
	s_add_i32 s10, s8, 24
	s_cmp_gt_u32 s9, s10
	s_cbranch_scc0 .LBB966_339
; %bb.334:
	s_sub_i32 s11, s9, s10
	s_min_u32 s11, s11, 8
	v_lshrrev_b64 v[24:25], s10, v[14:15]
	v_bfe_u32 v19, v24, 0, s11
	v_lshl_or_b32 v19, v19, 4, v22
	ds_add_u32 v19, v18 offset:12288
	s_add_i32 s10, s8, 32
	s_cmp_gt_u32 s9, s10
	s_cbranch_scc0 .LBB966_339
; %bb.335:
	s_sub_i32 s11, s9, s10
	s_min_u32 s11, s11, 8
	v_lshrrev_b64 v[18:19], s10, v[14:15]
	v_bfe_u32 v18, v18, 0, s11
	v_lshl_or_b32 v19, v18, 4, v22
	v_mov_b32_e32 v18, 1
	ds_add_u32 v19, v18 offset:16384
	s_add_i32 s10, s8, 40
	s_cmp_gt_u32 s9, s10
	s_cbranch_scc0 .LBB966_339
; %bb.336:
	s_sub_i32 s11, s9, s10
	s_min_u32 s11, s11, 8
	v_lshrrev_b64 v[24:25], s10, v[14:15]
	v_bfe_u32 v19, v24, 0, s11
	v_lshl_or_b32 v19, v19, 4, v22
	ds_add_u32 v19, v18 offset:20480
	s_add_i32 s10, s8, 48
	s_cmp_gt_u32 s9, s10
	s_cbranch_scc0 .LBB966_339
; %bb.337:
	s_sub_i32 s11, s9, s10
	s_min_u32 s11, s11, 8
	v_lshrrev_b64 v[18:19], s10, v[14:15]
	v_bfe_u32 v18, v18, 0, s11
	v_lshl_or_b32 v18, v18, 4, v22
	v_mov_b32_e32 v19, 1
	ds_add_u32 v18, v19 offset:24576
	s_add_i32 s10, s8, 56
	s_cmp_gt_u32 s9, s10
	s_cbranch_scc0 .LBB966_339
; %bb.338:
	s_sub_i32 s6, s9, s10
	s_min_u32 s6, s6, 8
	v_lshrrev_b64 v[18:19], s10, v[14:15]
	v_bfe_u32 v18, v18, 0, s6
	v_lshl_or_b32 v18, v18, 2, v1
	v_add_u32_e32 v19, 0x1c00, v18
	s_mov_b64 s[6:7], -1
	s_branch .LBB966_340
.LBB966_339:
                                        ; implicit-def: $vgpr19
.LBB966_340:
	s_and_b64 vcc, exec, s[6:7]
	s_cbranch_vccz .LBB966_342
; %bb.341:
	v_lshlrev_b32_e32 v18, 2, v19
	v_mov_b32_e32 v19, 1
	ds_add_u32 v18, v19
.LBB966_342:
	s_waitcnt vmcnt(5)
	v_lshrrev_b64 v[18:19], s8, v[12:13]
	v_and_b32_e32 v18, s12, v18
	v_lshl_or_b32 v18, v18, 4, v22
	v_mov_b32_e32 v19, 1
	ds_add_u32 v18, v19
	s_and_b64 vcc, exec, s[4:5]
	s_waitcnt vmcnt(4)
	v_lshrrev_b64 v[18:19], s8, v[10:11]
	s_cbranch_vccz .LBB966_344
; %bb.343:
	v_and_b32_e32 v19, s12, v18
	v_lshl_or_b32 v19, v19, 2, v1
	s_mov_b64 s[6:7], -1
	s_cbranch_execz .LBB966_345
	s_branch .LBB966_360
.LBB966_344:
	s_mov_b64 s[6:7], 0
                                        ; implicit-def: $vgpr19
.LBB966_345:
	s_sub_i32 s10, s9, s13
	s_min_u32 s10, s10, 8
	s_lshl_b32 s10, -1, s10
	s_not_b32 s15, s10
	v_lshrrev_b64 v[24:25], s13, v[12:13]
	v_and_b32_e32 v19, s15, v24
	v_lshl_or_b32 v23, v19, 4, v22
	v_mov_b32_e32 v19, 1
	ds_add_u32 v23, v19 offset:4096
	s_add_i32 s14, s8, 16
	s_cmp_gt_u32 s9, s14
	s_cselect_b64 s[10:11], -1, 0
	s_cmp_le_u32 s9, s14
	s_cbranch_scc1 .LBB966_352
; %bb.346:
	s_sub_i32 s16, s9, s14
	s_min_u32 s16, s16, 8
	v_lshrrev_b64 v[24:25], s14, v[12:13]
	v_bfe_u32 v23, v24, 0, s16
	v_lshl_or_b32 v23, v23, 4, v22
	ds_add_u32 v23, v19 offset:8192
	s_add_i32 s16, s8, 24
	s_cmp_le_u32 s9, s16
	s_cbranch_scc1 .LBB966_352
; %bb.347:
	s_sub_i32 s17, s9, s16
	s_min_u32 s17, s17, 8
	v_lshrrev_b64 v[24:25], s16, v[12:13]
	v_bfe_u32 v23, v24, 0, s17
	v_lshl_or_b32 v24, v23, 4, v22
	v_mov_b32_e32 v23, 1
	ds_add_u32 v24, v23 offset:12288
	s_add_i32 s16, s8, 32
	s_cmp_le_u32 s9, s16
	s_cbranch_scc1 .LBB966_352
; %bb.348:
	s_sub_i32 s17, s9, s16
	s_min_u32 s17, s17, 8
	v_lshrrev_b64 v[24:25], s16, v[12:13]
	v_bfe_u32 v24, v24, 0, s17
	v_lshl_or_b32 v24, v24, 4, v22
	ds_add_u32 v24, v23 offset:16384
	s_add_i32 s16, s8, 40
	s_cmp_le_u32 s9, s16
	s_cbranch_scc1 .LBB966_352
; %bb.349:
	s_sub_i32 s17, s9, s16
	s_min_u32 s17, s17, 8
	v_lshrrev_b64 v[24:25], s16, v[12:13]
	v_bfe_u32 v23, v24, 0, s17
	v_lshl_or_b32 v24, v23, 4, v22
	v_mov_b32_e32 v23, 1
	ds_add_u32 v24, v23 offset:20480
	s_add_i32 s16, s8, 48
	s_cmp_le_u32 s9, s16
	s_cbranch_scc1 .LBB966_352
; %bb.350:
	s_sub_i32 s17, s9, s16
	s_min_u32 s17, s17, 8
	v_lshrrev_b64 v[24:25], s16, v[12:13]
	v_bfe_u32 v24, v24, 0, s17
	v_lshl_or_b32 v24, v24, 4, v22
	ds_add_u32 v24, v23 offset:24576
	s_add_i32 s16, s8, 56
	s_cmp_le_u32 s9, s16
	s_cbranch_scc1 .LBB966_352
; %bb.351:
	s_sub_i32 s17, s9, s16
	s_min_u32 s17, s17, 8
	v_lshrrev_b64 v[24:25], s16, v[12:13]
	v_bfe_u32 v23, v24, 0, s17
	v_lshl_or_b32 v23, v23, 4, v22
	v_mov_b32_e32 v24, 1
	ds_add_u32 v23, v24 offset:28672
.LBB966_352:
	v_and_b32_e32 v18, s12, v18
	v_lshl_or_b32 v18, v18, 4, v22
	v_lshrrev_b64 v[24:25], s13, v[10:11]
	ds_add_u32 v18, v19
	v_and_b32_e32 v18, s15, v24
	v_lshl_or_b32 v18, v18, 4, v22
	ds_add_u32 v18, v19 offset:4096
	s_andn2_b64 vcc, exec, s[10:11]
	s_cbranch_vccnz .LBB966_359
; %bb.353:
	s_sub_i32 s10, s9, s14
	s_min_u32 s10, s10, 8
	v_lshrrev_b64 v[18:19], s14, v[10:11]
	v_bfe_u32 v18, v18, 0, s10
	v_lshl_or_b32 v19, v18, 4, v22
	v_mov_b32_e32 v18, 1
	ds_add_u32 v19, v18 offset:8192
	s_add_i32 s10, s8, 24
	s_cmp_gt_u32 s9, s10
	s_cbranch_scc0 .LBB966_359
; %bb.354:
	s_sub_i32 s11, s9, s10
	s_min_u32 s11, s11, 8
	v_lshrrev_b64 v[24:25], s10, v[10:11]
	v_bfe_u32 v19, v24, 0, s11
	v_lshl_or_b32 v19, v19, 4, v22
	ds_add_u32 v19, v18 offset:12288
	s_add_i32 s10, s8, 32
	s_cmp_gt_u32 s9, s10
	s_cbranch_scc0 .LBB966_359
; %bb.355:
	s_sub_i32 s11, s9, s10
	s_min_u32 s11, s11, 8
	v_lshrrev_b64 v[18:19], s10, v[10:11]
	v_bfe_u32 v18, v18, 0, s11
	v_lshl_or_b32 v19, v18, 4, v22
	v_mov_b32_e32 v18, 1
	ds_add_u32 v19, v18 offset:16384
	s_add_i32 s10, s8, 40
	s_cmp_gt_u32 s9, s10
	s_cbranch_scc0 .LBB966_359
; %bb.356:
	s_sub_i32 s11, s9, s10
	s_min_u32 s11, s11, 8
	v_lshrrev_b64 v[24:25], s10, v[10:11]
	v_bfe_u32 v19, v24, 0, s11
	v_lshl_or_b32 v19, v19, 4, v22
	ds_add_u32 v19, v18 offset:20480
	s_add_i32 s10, s8, 48
	s_cmp_gt_u32 s9, s10
	s_cbranch_scc0 .LBB966_359
; %bb.357:
	s_sub_i32 s11, s9, s10
	s_min_u32 s11, s11, 8
	v_lshrrev_b64 v[18:19], s10, v[10:11]
	v_bfe_u32 v18, v18, 0, s11
	v_lshl_or_b32 v18, v18, 4, v22
	v_mov_b32_e32 v19, 1
	ds_add_u32 v18, v19 offset:24576
	s_add_i32 s10, s8, 56
	s_cmp_gt_u32 s9, s10
	s_cbranch_scc0 .LBB966_359
; %bb.358:
	s_sub_i32 s6, s9, s10
	s_min_u32 s6, s6, 8
	v_lshrrev_b64 v[18:19], s10, v[10:11]
	v_bfe_u32 v18, v18, 0, s6
	v_lshl_or_b32 v18, v18, 2, v1
	v_add_u32_e32 v19, 0x1c00, v18
	s_mov_b64 s[6:7], -1
	s_branch .LBB966_360
.LBB966_359:
                                        ; implicit-def: $vgpr19
.LBB966_360:
	s_and_b64 vcc, exec, s[6:7]
	s_cbranch_vccz .LBB966_362
; %bb.361:
	v_lshlrev_b32_e32 v18, 2, v19
	v_mov_b32_e32 v19, 1
	ds_add_u32 v18, v19
.LBB966_362:
	s_waitcnt vmcnt(3)
	v_lshrrev_b64 v[18:19], s8, v[8:9]
	v_and_b32_e32 v18, s12, v18
	v_lshl_or_b32 v18, v18, 4, v22
	v_mov_b32_e32 v19, 1
	ds_add_u32 v18, v19
	s_and_b64 vcc, exec, s[4:5]
	s_waitcnt vmcnt(2)
	v_lshrrev_b64 v[18:19], s8, v[6:7]
	s_cbranch_vccz .LBB966_364
; %bb.363:
	v_and_b32_e32 v19, s12, v18
	v_lshl_or_b32 v19, v19, 2, v1
	s_mov_b64 s[6:7], -1
	s_cbranch_execz .LBB966_365
	s_branch .LBB966_380
.LBB966_364:
	s_mov_b64 s[6:7], 0
                                        ; implicit-def: $vgpr19
.LBB966_365:
	s_sub_i32 s10, s9, s13
	s_min_u32 s10, s10, 8
	s_lshl_b32 s10, -1, s10
	s_not_b32 s15, s10
	v_lshrrev_b64 v[24:25], s13, v[8:9]
	v_and_b32_e32 v19, s15, v24
	v_lshl_or_b32 v23, v19, 4, v22
	v_mov_b32_e32 v19, 1
	ds_add_u32 v23, v19 offset:4096
	s_add_i32 s14, s8, 16
	s_cmp_gt_u32 s9, s14
	s_cselect_b64 s[10:11], -1, 0
	s_cmp_le_u32 s9, s14
	s_cbranch_scc1 .LBB966_372
; %bb.366:
	s_sub_i32 s16, s9, s14
	s_min_u32 s16, s16, 8
	v_lshrrev_b64 v[24:25], s14, v[8:9]
	v_bfe_u32 v23, v24, 0, s16
	v_lshl_or_b32 v23, v23, 4, v22
	ds_add_u32 v23, v19 offset:8192
	s_add_i32 s16, s8, 24
	s_cmp_le_u32 s9, s16
	s_cbranch_scc1 .LBB966_372
; %bb.367:
	s_sub_i32 s17, s9, s16
	s_min_u32 s17, s17, 8
	v_lshrrev_b64 v[24:25], s16, v[8:9]
	v_bfe_u32 v23, v24, 0, s17
	v_lshl_or_b32 v24, v23, 4, v22
	v_mov_b32_e32 v23, 1
	ds_add_u32 v24, v23 offset:12288
	s_add_i32 s16, s8, 32
	s_cmp_le_u32 s9, s16
	s_cbranch_scc1 .LBB966_372
; %bb.368:
	s_sub_i32 s17, s9, s16
	s_min_u32 s17, s17, 8
	v_lshrrev_b64 v[24:25], s16, v[8:9]
	v_bfe_u32 v24, v24, 0, s17
	v_lshl_or_b32 v24, v24, 4, v22
	ds_add_u32 v24, v23 offset:16384
	s_add_i32 s16, s8, 40
	s_cmp_le_u32 s9, s16
	s_cbranch_scc1 .LBB966_372
; %bb.369:
	s_sub_i32 s17, s9, s16
	s_min_u32 s17, s17, 8
	v_lshrrev_b64 v[24:25], s16, v[8:9]
	v_bfe_u32 v23, v24, 0, s17
	v_lshl_or_b32 v24, v23, 4, v22
	v_mov_b32_e32 v23, 1
	ds_add_u32 v24, v23 offset:20480
	s_add_i32 s16, s8, 48
	s_cmp_le_u32 s9, s16
	s_cbranch_scc1 .LBB966_372
; %bb.370:
	s_sub_i32 s17, s9, s16
	s_min_u32 s17, s17, 8
	v_lshrrev_b64 v[24:25], s16, v[8:9]
	v_bfe_u32 v24, v24, 0, s17
	v_lshl_or_b32 v24, v24, 4, v22
	ds_add_u32 v24, v23 offset:24576
	s_add_i32 s16, s8, 56
	s_cmp_le_u32 s9, s16
	s_cbranch_scc1 .LBB966_372
; %bb.371:
	s_sub_i32 s17, s9, s16
	s_min_u32 s17, s17, 8
	v_lshrrev_b64 v[24:25], s16, v[8:9]
	v_bfe_u32 v23, v24, 0, s17
	v_lshl_or_b32 v23, v23, 4, v22
	v_mov_b32_e32 v24, 1
	ds_add_u32 v23, v24 offset:28672
.LBB966_372:
	v_and_b32_e32 v18, s12, v18
	v_lshl_or_b32 v18, v18, 4, v22
	v_lshrrev_b64 v[24:25], s13, v[6:7]
	ds_add_u32 v18, v19
	v_and_b32_e32 v18, s15, v24
	v_lshl_or_b32 v18, v18, 4, v22
	ds_add_u32 v18, v19 offset:4096
	s_andn2_b64 vcc, exec, s[10:11]
	s_cbranch_vccnz .LBB966_379
; %bb.373:
	s_sub_i32 s10, s9, s14
	s_min_u32 s10, s10, 8
	v_lshrrev_b64 v[18:19], s14, v[6:7]
	v_bfe_u32 v18, v18, 0, s10
	v_lshl_or_b32 v19, v18, 4, v22
	v_mov_b32_e32 v18, 1
	ds_add_u32 v19, v18 offset:8192
	s_add_i32 s10, s8, 24
	s_cmp_gt_u32 s9, s10
	s_cbranch_scc0 .LBB966_379
; %bb.374:
	s_sub_i32 s11, s9, s10
	s_min_u32 s11, s11, 8
	v_lshrrev_b64 v[24:25], s10, v[6:7]
	v_bfe_u32 v19, v24, 0, s11
	v_lshl_or_b32 v19, v19, 4, v22
	ds_add_u32 v19, v18 offset:12288
	s_add_i32 s10, s8, 32
	s_cmp_gt_u32 s9, s10
	s_cbranch_scc0 .LBB966_379
; %bb.375:
	s_sub_i32 s11, s9, s10
	s_min_u32 s11, s11, 8
	v_lshrrev_b64 v[18:19], s10, v[6:7]
	v_bfe_u32 v18, v18, 0, s11
	v_lshl_or_b32 v19, v18, 4, v22
	v_mov_b32_e32 v18, 1
	ds_add_u32 v19, v18 offset:16384
	s_add_i32 s10, s8, 40
	s_cmp_gt_u32 s9, s10
	s_cbranch_scc0 .LBB966_379
; %bb.376:
	s_sub_i32 s11, s9, s10
	s_min_u32 s11, s11, 8
	v_lshrrev_b64 v[24:25], s10, v[6:7]
	v_bfe_u32 v19, v24, 0, s11
	v_lshl_or_b32 v19, v19, 4, v22
	ds_add_u32 v19, v18 offset:20480
	s_add_i32 s10, s8, 48
	s_cmp_gt_u32 s9, s10
	s_cbranch_scc0 .LBB966_379
; %bb.377:
	s_sub_i32 s11, s9, s10
	s_min_u32 s11, s11, 8
	v_lshrrev_b64 v[18:19], s10, v[6:7]
	v_bfe_u32 v18, v18, 0, s11
	v_lshl_or_b32 v18, v18, 4, v22
	v_mov_b32_e32 v19, 1
	ds_add_u32 v18, v19 offset:24576
	s_add_i32 s10, s8, 56
	s_cmp_gt_u32 s9, s10
	s_cbranch_scc0 .LBB966_379
; %bb.378:
	s_sub_i32 s6, s9, s10
	s_min_u32 s6, s6, 8
	v_lshrrev_b64 v[18:19], s10, v[6:7]
	v_bfe_u32 v18, v18, 0, s6
	v_lshl_or_b32 v18, v18, 2, v1
	v_add_u32_e32 v19, 0x1c00, v18
	s_mov_b64 s[6:7], -1
	s_branch .LBB966_380
.LBB966_379:
                                        ; implicit-def: $vgpr19
.LBB966_380:
	s_and_b64 vcc, exec, s[6:7]
	s_cbranch_vccz .LBB966_382
; %bb.381:
	v_lshlrev_b32_e32 v18, 2, v19
	v_mov_b32_e32 v19, 1
	ds_add_u32 v18, v19
.LBB966_382:
	s_waitcnt vmcnt(1)
	v_lshrrev_b64 v[18:19], s8, v[4:5]
	v_and_b32_e32 v18, s12, v18
	v_lshl_or_b32 v18, v18, 4, v22
	v_mov_b32_e32 v19, 1
	ds_add_u32 v18, v19
	s_and_b64 vcc, exec, s[4:5]
	s_waitcnt vmcnt(0)
	v_lshrrev_b64 v[18:19], s8, v[2:3]
	s_cbranch_vccz .LBB966_384
; %bb.383:
	v_and_b32_e32 v19, s12, v18
	v_lshl_or_b32 v19, v19, 2, v1
	s_mov_b64 s[4:5], -1
	s_cbranch_execz .LBB966_385
	s_branch .LBB966_400
.LBB966_384:
	s_mov_b64 s[4:5], 0
                                        ; implicit-def: $vgpr19
.LBB966_385:
	s_sub_i32 s6, s9, s13
	s_min_u32 s6, s6, 8
	s_lshl_b32 s6, -1, s6
	s_not_b32 s11, s6
	v_lshrrev_b64 v[24:25], s13, v[4:5]
	v_and_b32_e32 v19, s11, v24
	v_lshl_or_b32 v23, v19, 4, v22
	v_mov_b32_e32 v19, 1
	ds_add_u32 v23, v19 offset:4096
	s_add_i32 s10, s8, 16
	s_cmp_gt_u32 s9, s10
	s_cselect_b64 s[6:7], -1, 0
	s_cmp_le_u32 s9, s10
	s_cbranch_scc1 .LBB966_392
; %bb.386:
	s_sub_i32 s14, s9, s10
	s_min_u32 s14, s14, 8
	v_lshrrev_b64 v[24:25], s10, v[4:5]
	v_bfe_u32 v23, v24, 0, s14
	v_lshl_or_b32 v23, v23, 4, v22
	ds_add_u32 v23, v19 offset:8192
	s_add_i32 s14, s8, 24
	s_cmp_le_u32 s9, s14
	s_cbranch_scc1 .LBB966_392
; %bb.387:
	s_sub_i32 s15, s9, s14
	s_min_u32 s15, s15, 8
	v_lshrrev_b64 v[24:25], s14, v[4:5]
	v_bfe_u32 v23, v24, 0, s15
	v_lshl_or_b32 v24, v23, 4, v22
	v_mov_b32_e32 v23, 1
	ds_add_u32 v24, v23 offset:12288
	s_add_i32 s14, s8, 32
	s_cmp_le_u32 s9, s14
	s_cbranch_scc1 .LBB966_392
; %bb.388:
	s_sub_i32 s15, s9, s14
	s_min_u32 s15, s15, 8
	v_lshrrev_b64 v[24:25], s14, v[4:5]
	v_bfe_u32 v24, v24, 0, s15
	v_lshl_or_b32 v24, v24, 4, v22
	ds_add_u32 v24, v23 offset:16384
	s_add_i32 s14, s8, 40
	s_cmp_le_u32 s9, s14
	s_cbranch_scc1 .LBB966_392
; %bb.389:
	s_sub_i32 s15, s9, s14
	s_min_u32 s15, s15, 8
	v_lshrrev_b64 v[24:25], s14, v[4:5]
	v_bfe_u32 v23, v24, 0, s15
	v_lshl_or_b32 v24, v23, 4, v22
	v_mov_b32_e32 v23, 1
	ds_add_u32 v24, v23 offset:20480
	s_add_i32 s14, s8, 48
	s_cmp_le_u32 s9, s14
	s_cbranch_scc1 .LBB966_392
; %bb.390:
	s_sub_i32 s15, s9, s14
	s_min_u32 s15, s15, 8
	v_lshrrev_b64 v[24:25], s14, v[4:5]
	v_bfe_u32 v24, v24, 0, s15
	v_lshl_or_b32 v24, v24, 4, v22
	ds_add_u32 v24, v23 offset:24576
	s_add_i32 s14, s8, 56
	s_cmp_le_u32 s9, s14
	s_cbranch_scc1 .LBB966_392
; %bb.391:
	s_sub_i32 s15, s9, s14
	s_min_u32 s15, s15, 8
	v_lshrrev_b64 v[24:25], s14, v[4:5]
	v_bfe_u32 v23, v24, 0, s15
	v_lshl_or_b32 v23, v23, 4, v22
	v_mov_b32_e32 v24, 1
	ds_add_u32 v23, v24 offset:28672
.LBB966_392:
	v_and_b32_e32 v18, s12, v18
	v_lshl_or_b32 v18, v18, 4, v22
	v_lshrrev_b64 v[24:25], s13, v[2:3]
	ds_add_u32 v18, v19
	v_and_b32_e32 v18, s11, v24
	v_lshl_or_b32 v18, v18, 4, v22
	ds_add_u32 v18, v19 offset:4096
	s_andn2_b64 vcc, exec, s[6:7]
	s_cbranch_vccnz .LBB966_399
; %bb.393:
	s_sub_i32 s6, s9, s10
	s_min_u32 s6, s6, 8
	v_lshrrev_b64 v[18:19], s10, v[2:3]
	v_bfe_u32 v18, v18, 0, s6
	v_lshl_or_b32 v19, v18, 4, v22
	v_mov_b32_e32 v18, 1
	ds_add_u32 v19, v18 offset:8192
	s_add_i32 s6, s8, 24
	s_cmp_gt_u32 s9, s6
	s_cbranch_scc0 .LBB966_399
; %bb.394:
	s_sub_i32 s7, s9, s6
	s_min_u32 s7, s7, 8
	v_lshrrev_b64 v[24:25], s6, v[2:3]
	v_bfe_u32 v19, v24, 0, s7
	v_lshl_or_b32 v19, v19, 4, v22
	ds_add_u32 v19, v18 offset:12288
	s_add_i32 s6, s8, 32
	s_cmp_gt_u32 s9, s6
	s_cbranch_scc0 .LBB966_399
; %bb.395:
	s_sub_i32 s7, s9, s6
	s_min_u32 s7, s7, 8
	v_lshrrev_b64 v[18:19], s6, v[2:3]
	v_bfe_u32 v18, v18, 0, s7
	v_lshl_or_b32 v19, v18, 4, v22
	v_mov_b32_e32 v18, 1
	ds_add_u32 v19, v18 offset:16384
	s_add_i32 s6, s8, 40
	s_cmp_gt_u32 s9, s6
	s_cbranch_scc0 .LBB966_399
; %bb.396:
	s_sub_i32 s7, s9, s6
	s_min_u32 s7, s7, 8
	v_lshrrev_b64 v[24:25], s6, v[2:3]
	v_bfe_u32 v19, v24, 0, s7
	v_lshl_or_b32 v19, v19, 4, v22
	ds_add_u32 v19, v18 offset:20480
	s_add_i32 s6, s8, 48
	s_cmp_gt_u32 s9, s6
	s_cbranch_scc0 .LBB966_399
; %bb.397:
	s_sub_i32 s7, s9, s6
	s_min_u32 s7, s7, 8
	v_lshrrev_b64 v[18:19], s6, v[2:3]
	v_bfe_u32 v18, v18, 0, s7
	v_lshl_or_b32 v18, v18, 4, v22
	v_mov_b32_e32 v19, 1
	ds_add_u32 v18, v19 offset:24576
	s_add_i32 s6, s8, 56
	s_cmp_gt_u32 s9, s6
	s_cbranch_scc0 .LBB966_399
; %bb.398:
	s_sub_i32 s4, s9, s6
	s_min_u32 s4, s4, 8
	v_lshrrev_b64 v[18:19], s6, v[2:3]
	v_bfe_u32 v18, v18, 0, s4
	v_lshl_or_b32 v1, v18, 2, v1
	v_add_u32_e32 v19, 0x1c00, v1
	s_mov_b64 s[4:5], -1
	s_branch .LBB966_400
.LBB966_399:
                                        ; implicit-def: $vgpr19
.LBB966_400:
	s_and_b64 vcc, exec, s[4:5]
	s_cbranch_vccz .LBB966_402
; %bb.401:
	v_lshlrev_b32_e32 v1, 2, v19
	v_mov_b32_e32 v18, 1
	ds_add_u32 v1, v18
.LBB966_402:
	s_and_b64 vcc, exec, s[0:1]
	s_waitcnt lgkmcnt(0)
	s_barrier
	s_cbranch_vccz .LBB966_407
; %bb.403:
	s_movk_i32 s0, 0x100
	v_cmp_gt_u32_e32 vcc, s0, v0
	v_lshlrev_b32_e32 v1, 4, v0
	v_mov_b32_e32 v19, 0
	v_mov_b32_e32 v18, v0
	s_branch .LBB966_405
.LBB966_404:                            ;   in Loop: Header=BB966_405 Depth=1
	s_or_b64 exec, exec, s[4:5]
	s_add_i32 s8, s8, 8
	v_add_u32_e32 v18, 0x100, v18
	s_cmp_ge_u32 s8, s9
	v_add_u32_e32 v1, 0x1000, v1
	s_cbranch_scc1 .LBB966_407
.LBB966_405:                            ; =>This Inner Loop Header: Depth=1
	s_and_saveexec_b64 s[4:5], vcc
	s_cbranch_execz .LBB966_404
; %bb.406:                              ;   in Loop: Header=BB966_405 Depth=1
	ds_read2_b32 v[22:23], v1 offset1:1
	ds_read2_b32 v[24:25], v1 offset0:2 offset1:3
	v_lshlrev_b64 v[26:27], 3, v[18:19]
	v_mov_b32_e32 v28, s3
	s_waitcnt lgkmcnt(1)
	v_add_u32_e32 v22, v23, v22
	s_waitcnt lgkmcnt(0)
	v_add3_u32 v22, v22, v24, v25
	v_add_co_u32_e64 v24, s[0:1], s2, v26
	v_addc_co_u32_e64 v25, s[0:1], v28, v27, s[0:1]
	v_mov_b32_e32 v23, v19
	global_atomic_add_x2 v[24:25], v[22:23], off
	s_branch .LBB966_404
.LBB966_407:
	s_mov_b64 s[0:1], 0
.LBB966_408:
	s_and_b64 vcc, exec, s[0:1]
	s_cbranch_vccz .LBB966_411
; %bb.409:
	v_and_b32_e32 v18, 3, v0
	s_waitcnt vmcnt(7)
	v_lshlrev_b32_e32 v19, 2, v16
	s_movk_i32 s0, 0x3fc
	v_mov_b32_e32 v1, 0
	v_and_or_b32 v19, v19, s0, v18
	ds_write2st64_b32 v21, v1, v1 offset1:16
	ds_write2st64_b32 v21, v1, v1 offset0:32 offset1:48
	ds_write2st64_b32 v21, v1, v1 offset0:64 offset1:80
	ds_write2st64_b32 v21, v1, v1 offset0:96 offset1:112
	v_lshlrev_b32_e32 v19, 2, v19
	v_mov_b32_e32 v21, 1
	s_waitcnt lgkmcnt(0)
	s_barrier
	ds_add_u32 v19, v21
	v_bfe_u32 v19, v16, 8, 8
	v_lshl_or_b32 v19, v19, 2, v18
	v_lshlrev_b32_e32 v19, 2, v19
	ds_add_u32 v19, v21 offset:4096
	v_bfe_u32 v19, v16, 16, 8
	v_lshl_or_b32 v19, v19, 2, v18
	v_lshlrev_b32_e32 v19, 2, v19
	ds_add_u32 v19, v21 offset:8192
	v_lshrrev_b32_e32 v19, 24, v16
	v_lshl_or_b32 v19, v19, 2, v18
	v_alignbit_b32 v16, v17, v16, 30
	v_lshlrev_b32_e32 v19, 2, v19
	v_and_or_b32 v16, v16, s0, v18
	ds_add_u32 v19, v21 offset:12288
	v_lshlrev_b32_e32 v16, 2, v16
	ds_add_u32 v16, v21 offset:16384
	v_bfe_u32 v16, v17, 8, 8
	v_lshl_or_b32 v16, v16, 2, v18
	v_lshlrev_b32_e32 v16, 2, v16
	ds_add_u32 v16, v21 offset:20480
	v_bfe_u32 v16, v17, 16, 8
	v_lshl_or_b32 v16, v16, 2, v18
	v_lshlrev_b32_e32 v16, 2, v16
	ds_add_u32 v16, v21 offset:24576
	v_lshrrev_b32_e32 v16, 24, v17
	v_lshl_or_b32 v16, v16, 2, v18
	v_lshlrev_b32_e32 v16, 2, v16
	ds_add_u32 v16, v21 offset:28672
	s_waitcnt vmcnt(6)
	v_lshlrev_b32_e32 v16, 2, v14
	v_and_or_b32 v16, v16, s0, v18
	v_lshlrev_b32_e32 v16, 2, v16
	ds_add_u32 v16, v21
	v_bfe_u32 v16, v14, 8, 8
	v_lshl_or_b32 v16, v16, 2, v18
	v_lshlrev_b32_e32 v16, 2, v16
	ds_add_u32 v16, v21 offset:4096
	v_bfe_u32 v16, v14, 16, 8
	v_lshl_or_b32 v16, v16, 2, v18
	v_lshlrev_b32_e32 v16, 2, v16
	ds_add_u32 v16, v21 offset:8192
	v_lshrrev_b32_e32 v16, 24, v14
	v_lshl_or_b32 v16, v16, 2, v18
	v_alignbit_b32 v14, v15, v14, 30
	v_lshlrev_b32_e32 v16, 2, v16
	v_and_or_b32 v14, v14, s0, v18
	ds_add_u32 v16, v21 offset:12288
	v_lshlrev_b32_e32 v14, 2, v14
	ds_add_u32 v14, v21 offset:16384
	v_bfe_u32 v14, v15, 8, 8
	v_lshl_or_b32 v14, v14, 2, v18
	v_lshlrev_b32_e32 v14, 2, v14
	ds_add_u32 v14, v21 offset:20480
	v_bfe_u32 v14, v15, 16, 8
	v_lshl_or_b32 v14, v14, 2, v18
	v_lshlrev_b32_e32 v14, 2, v14
	ds_add_u32 v14, v21 offset:24576
	v_lshrrev_b32_e32 v14, 24, v15
	v_lshl_or_b32 v14, v14, 2, v18
	v_lshlrev_b32_e32 v14, 2, v14
	ds_add_u32 v14, v21 offset:28672
	s_waitcnt vmcnt(5)
	v_lshlrev_b32_e32 v14, 2, v12
	v_and_or_b32 v14, v14, s0, v18
	v_lshlrev_b32_e32 v14, 2, v14
	;; [unrolled: 33-line block ×7, first 2 shown]
	ds_add_u32 v4, v21
	v_bfe_u32 v4, v2, 8, 8
	v_lshl_or_b32 v4, v4, 2, v18
	v_lshlrev_b32_e32 v4, 2, v4
	ds_add_u32 v4, v21 offset:4096
	v_bfe_u32 v4, v2, 16, 8
	v_lshl_or_b32 v4, v4, 2, v18
	v_lshlrev_b32_e32 v4, 2, v4
	ds_add_u32 v4, v21 offset:8192
	v_lshrrev_b32_e32 v4, 24, v2
	v_lshl_or_b32 v4, v4, 2, v18
	v_alignbit_b32 v2, v3, v2, 30
	v_lshlrev_b32_e32 v4, 2, v4
	v_and_or_b32 v2, v2, s0, v18
	ds_add_u32 v4, v21 offset:12288
	v_lshlrev_b32_e32 v2, 2, v2
	ds_add_u32 v2, v21 offset:16384
	v_bfe_u32 v2, v3, 8, 8
	v_lshl_or_b32 v2, v2, 2, v18
	v_lshlrev_b32_e32 v2, 2, v2
	ds_add_u32 v2, v21 offset:20480
	v_bfe_u32 v2, v3, 16, 8
	v_lshl_or_b32 v2, v2, 2, v18
	v_lshlrev_b32_e32 v2, 2, v2
	ds_add_u32 v2, v21 offset:24576
	v_lshrrev_b32_e32 v2, 24, v3
	v_lshl_or_b32 v2, v2, 2, v18
	v_lshlrev_b32_e32 v2, 2, v2
	ds_add_u32 v2, v21 offset:28672
	s_movk_i32 s0, 0x100
	v_cmp_gt_u32_e32 vcc, s0, v0
	s_waitcnt lgkmcnt(0)
	s_barrier
	s_and_saveexec_b64 s[0:1], vcc
	s_cbranch_execz .LBB966_411
; %bb.410:
	v_lshlrev_b32_e32 v6, 4, v0
	ds_read2_b32 v[2:3], v6 offset1:1
	ds_read2_b32 v[4:5], v6 offset0:2 offset1:3
	v_add_u32_e32 v7, 0x1000, v6
	v_add_u32_e32 v8, 0x1008, v6
	;; [unrolled: 1-line block ×3, first 2 shown]
	s_waitcnt lgkmcnt(1)
	v_add_u32_e32 v0, v3, v2
	s_waitcnt lgkmcnt(0)
	v_add3_u32 v0, v0, v4, v5
	global_atomic_add_x2 v20, v[0:1], s[2:3]
	ds_read2_b32 v[2:3], v7 offset1:1
	ds_read2_b32 v[4:5], v8 offset1:1
	v_add_u32_e32 v7, 0x2000, v6
	v_add_u32_e32 v8, 0x2008, v6
	s_waitcnt lgkmcnt(1)
	v_add_u32_e32 v0, v3, v2
	s_waitcnt lgkmcnt(0)
	v_add3_u32 v0, v0, v4, v5
	global_atomic_add_x2 v20, v[0:1], s[2:3] offset:2048
	ds_read2_b32 v[2:3], v7 offset1:1
	ds_read2_b32 v[4:5], v8 offset1:1
	v_or_b32_e32 v7, 0x1000, v20
	v_add_u32_e32 v8, 0x3000, v6
	s_waitcnt lgkmcnt(1)
	v_add_u32_e32 v0, v3, v2
	s_waitcnt lgkmcnt(0)
	v_add3_u32 v0, v0, v4, v5
	global_atomic_add_x2 v7, v[0:1], s[2:3]
	ds_read2_b32 v[2:3], v8 offset1:1
	ds_read2_b32 v[4:5], v9 offset1:1
	v_or_b32_e32 v7, 0x1800, v20
	v_or_b32_e32 v8, 0x4000, v6
	;; [unrolled: 1-line block ×3, first 2 shown]
	s_waitcnt lgkmcnt(1)
	v_add_u32_e32 v0, v3, v2
	s_waitcnt lgkmcnt(0)
	v_add3_u32 v0, v0, v4, v5
	global_atomic_add_x2 v7, v[0:1], s[2:3]
	ds_read2_b32 v[2:3], v8 offset1:1
	ds_read2_b32 v[4:5], v9 offset1:1
	v_or_b32_e32 v7, 0x2000, v20
	v_add_u32_e32 v8, 0x5000, v6
	v_add_u32_e32 v9, 0x5008, v6
	s_waitcnt lgkmcnt(1)
	v_add_u32_e32 v0, v3, v2
	s_waitcnt lgkmcnt(0)
	v_add3_u32 v0, v0, v4, v5
	global_atomic_add_x2 v7, v[0:1], s[2:3]
	ds_read2_b32 v[2:3], v8 offset1:1
	ds_read2_b32 v[4:5], v9 offset1:1
	v_or_b32_e32 v7, 0x2800, v20
	v_add_u32_e32 v8, 0x6000, v6
	v_add_u32_e32 v9, 0x6008, v6
	;; [unrolled: 10-line block ×3, first 2 shown]
	s_waitcnt lgkmcnt(1)
	v_add_u32_e32 v0, v3, v2
	s_waitcnt lgkmcnt(0)
	v_add3_u32 v0, v0, v4, v5
	global_atomic_add_x2 v7, v[0:1], s[2:3]
	ds_read2_b32 v[2:3], v8 offset1:1
	ds_read2_b32 v[4:5], v6 offset1:1
	s_waitcnt lgkmcnt(1)
	v_add_u32_e32 v0, v3, v2
	s_waitcnt lgkmcnt(0)
	v_add3_u32 v0, v0, v4, v5
	v_or_b32_e32 v2, 0x3800, v20
	global_atomic_add_x2 v2, v[0:1], s[2:3]
.LBB966_411:
	s_endpgm
	.section	.rodata,"a",@progbits
	.p2align	6, 0x0
	.amdhsa_kernel _ZN7rocprim17ROCPRIM_400000_NS6detail17trampoline_kernelINS0_14default_configENS1_35radix_sort_onesweep_config_selectorImNS0_10empty_typeEEEZNS1_34radix_sort_onesweep_global_offsetsIS3_Lb0EPmPS5_mNS0_19identity_decomposerEEE10hipError_tT1_T2_PT3_SE_jT4_jjP12ihipStream_tbEUlT_E_NS1_11comp_targetILNS1_3genE4ELNS1_11target_archE910ELNS1_3gpuE8ELNS1_3repE0EEENS1_52radix_sort_onesweep_histogram_config_static_selectorELNS0_4arch9wavefront6targetE1EEEvSC_
		.amdhsa_group_segment_fixed_size 32768
		.amdhsa_private_segment_fixed_size 0
		.amdhsa_kernarg_size 48
		.amdhsa_user_sgpr_count 6
		.amdhsa_user_sgpr_private_segment_buffer 1
		.amdhsa_user_sgpr_dispatch_ptr 0
		.amdhsa_user_sgpr_queue_ptr 0
		.amdhsa_user_sgpr_kernarg_segment_ptr 1
		.amdhsa_user_sgpr_dispatch_id 0
		.amdhsa_user_sgpr_flat_scratch_init 0
		.amdhsa_user_sgpr_kernarg_preload_length 0
		.amdhsa_user_sgpr_kernarg_preload_offset 0
		.amdhsa_user_sgpr_private_segment_size 0
		.amdhsa_uses_dynamic_stack 0
		.amdhsa_system_sgpr_private_segment_wavefront_offset 0
		.amdhsa_system_sgpr_workgroup_id_x 1
		.amdhsa_system_sgpr_workgroup_id_y 0
		.amdhsa_system_sgpr_workgroup_id_z 0
		.amdhsa_system_sgpr_workgroup_info 0
		.amdhsa_system_vgpr_workitem_id 0
		.amdhsa_next_free_vgpr 29
		.amdhsa_next_free_sgpr 18
		.amdhsa_accum_offset 32
		.amdhsa_reserve_vcc 1
		.amdhsa_reserve_flat_scratch 0
		.amdhsa_float_round_mode_32 0
		.amdhsa_float_round_mode_16_64 0
		.amdhsa_float_denorm_mode_32 3
		.amdhsa_float_denorm_mode_16_64 3
		.amdhsa_dx10_clamp 1
		.amdhsa_ieee_mode 1
		.amdhsa_fp16_overflow 0
		.amdhsa_tg_split 0
		.amdhsa_exception_fp_ieee_invalid_op 0
		.amdhsa_exception_fp_denorm_src 0
		.amdhsa_exception_fp_ieee_div_zero 0
		.amdhsa_exception_fp_ieee_overflow 0
		.amdhsa_exception_fp_ieee_underflow 0
		.amdhsa_exception_fp_ieee_inexact 0
		.amdhsa_exception_int_div_zero 0
	.end_amdhsa_kernel
	.section	.text._ZN7rocprim17ROCPRIM_400000_NS6detail17trampoline_kernelINS0_14default_configENS1_35radix_sort_onesweep_config_selectorImNS0_10empty_typeEEEZNS1_34radix_sort_onesweep_global_offsetsIS3_Lb0EPmPS5_mNS0_19identity_decomposerEEE10hipError_tT1_T2_PT3_SE_jT4_jjP12ihipStream_tbEUlT_E_NS1_11comp_targetILNS1_3genE4ELNS1_11target_archE910ELNS1_3gpuE8ELNS1_3repE0EEENS1_52radix_sort_onesweep_histogram_config_static_selectorELNS0_4arch9wavefront6targetE1EEEvSC_,"axG",@progbits,_ZN7rocprim17ROCPRIM_400000_NS6detail17trampoline_kernelINS0_14default_configENS1_35radix_sort_onesweep_config_selectorImNS0_10empty_typeEEEZNS1_34radix_sort_onesweep_global_offsetsIS3_Lb0EPmPS5_mNS0_19identity_decomposerEEE10hipError_tT1_T2_PT3_SE_jT4_jjP12ihipStream_tbEUlT_E_NS1_11comp_targetILNS1_3genE4ELNS1_11target_archE910ELNS1_3gpuE8ELNS1_3repE0EEENS1_52radix_sort_onesweep_histogram_config_static_selectorELNS0_4arch9wavefront6targetE1EEEvSC_,comdat
.Lfunc_end966:
	.size	_ZN7rocprim17ROCPRIM_400000_NS6detail17trampoline_kernelINS0_14default_configENS1_35radix_sort_onesweep_config_selectorImNS0_10empty_typeEEEZNS1_34radix_sort_onesweep_global_offsetsIS3_Lb0EPmPS5_mNS0_19identity_decomposerEEE10hipError_tT1_T2_PT3_SE_jT4_jjP12ihipStream_tbEUlT_E_NS1_11comp_targetILNS1_3genE4ELNS1_11target_archE910ELNS1_3gpuE8ELNS1_3repE0EEENS1_52radix_sort_onesweep_histogram_config_static_selectorELNS0_4arch9wavefront6targetE1EEEvSC_, .Lfunc_end966-_ZN7rocprim17ROCPRIM_400000_NS6detail17trampoline_kernelINS0_14default_configENS1_35radix_sort_onesweep_config_selectorImNS0_10empty_typeEEEZNS1_34radix_sort_onesweep_global_offsetsIS3_Lb0EPmPS5_mNS0_19identity_decomposerEEE10hipError_tT1_T2_PT3_SE_jT4_jjP12ihipStream_tbEUlT_E_NS1_11comp_targetILNS1_3genE4ELNS1_11target_archE910ELNS1_3gpuE8ELNS1_3repE0EEENS1_52radix_sort_onesweep_histogram_config_static_selectorELNS0_4arch9wavefront6targetE1EEEvSC_
                                        ; -- End function
	.section	.AMDGPU.csdata,"",@progbits
; Kernel info:
; codeLenInByte = 15024
; NumSgprs: 22
; NumVgprs: 29
; NumAgprs: 0
; TotalNumVgprs: 29
; ScratchSize: 0
; MemoryBound: 0
; FloatMode: 240
; IeeeMode: 1
; LDSByteSize: 32768 bytes/workgroup (compile time only)
; SGPRBlocks: 2
; VGPRBlocks: 3
; NumSGPRsForWavesPerEU: 22
; NumVGPRsForWavesPerEU: 29
; AccumOffset: 32
; Occupancy: 8
; WaveLimiterHint : 1
; COMPUTE_PGM_RSRC2:SCRATCH_EN: 0
; COMPUTE_PGM_RSRC2:USER_SGPR: 6
; COMPUTE_PGM_RSRC2:TRAP_HANDLER: 0
; COMPUTE_PGM_RSRC2:TGID_X_EN: 1
; COMPUTE_PGM_RSRC2:TGID_Y_EN: 0
; COMPUTE_PGM_RSRC2:TGID_Z_EN: 0
; COMPUTE_PGM_RSRC2:TIDIG_COMP_CNT: 0
; COMPUTE_PGM_RSRC3_GFX90A:ACCUM_OFFSET: 7
; COMPUTE_PGM_RSRC3_GFX90A:TG_SPLIT: 0
	.section	.text._ZN7rocprim17ROCPRIM_400000_NS6detail17trampoline_kernelINS0_14default_configENS1_35radix_sort_onesweep_config_selectorImNS0_10empty_typeEEEZNS1_34radix_sort_onesweep_global_offsetsIS3_Lb0EPmPS5_mNS0_19identity_decomposerEEE10hipError_tT1_T2_PT3_SE_jT4_jjP12ihipStream_tbEUlT_E_NS1_11comp_targetILNS1_3genE3ELNS1_11target_archE908ELNS1_3gpuE7ELNS1_3repE0EEENS1_52radix_sort_onesweep_histogram_config_static_selectorELNS0_4arch9wavefront6targetE1EEEvSC_,"axG",@progbits,_ZN7rocprim17ROCPRIM_400000_NS6detail17trampoline_kernelINS0_14default_configENS1_35radix_sort_onesweep_config_selectorImNS0_10empty_typeEEEZNS1_34radix_sort_onesweep_global_offsetsIS3_Lb0EPmPS5_mNS0_19identity_decomposerEEE10hipError_tT1_T2_PT3_SE_jT4_jjP12ihipStream_tbEUlT_E_NS1_11comp_targetILNS1_3genE3ELNS1_11target_archE908ELNS1_3gpuE7ELNS1_3repE0EEENS1_52radix_sort_onesweep_histogram_config_static_selectorELNS0_4arch9wavefront6targetE1EEEvSC_,comdat
	.protected	_ZN7rocprim17ROCPRIM_400000_NS6detail17trampoline_kernelINS0_14default_configENS1_35radix_sort_onesweep_config_selectorImNS0_10empty_typeEEEZNS1_34radix_sort_onesweep_global_offsetsIS3_Lb0EPmPS5_mNS0_19identity_decomposerEEE10hipError_tT1_T2_PT3_SE_jT4_jjP12ihipStream_tbEUlT_E_NS1_11comp_targetILNS1_3genE3ELNS1_11target_archE908ELNS1_3gpuE7ELNS1_3repE0EEENS1_52radix_sort_onesweep_histogram_config_static_selectorELNS0_4arch9wavefront6targetE1EEEvSC_ ; -- Begin function _ZN7rocprim17ROCPRIM_400000_NS6detail17trampoline_kernelINS0_14default_configENS1_35radix_sort_onesweep_config_selectorImNS0_10empty_typeEEEZNS1_34radix_sort_onesweep_global_offsetsIS3_Lb0EPmPS5_mNS0_19identity_decomposerEEE10hipError_tT1_T2_PT3_SE_jT4_jjP12ihipStream_tbEUlT_E_NS1_11comp_targetILNS1_3genE3ELNS1_11target_archE908ELNS1_3gpuE7ELNS1_3repE0EEENS1_52radix_sort_onesweep_histogram_config_static_selectorELNS0_4arch9wavefront6targetE1EEEvSC_
	.globl	_ZN7rocprim17ROCPRIM_400000_NS6detail17trampoline_kernelINS0_14default_configENS1_35radix_sort_onesweep_config_selectorImNS0_10empty_typeEEEZNS1_34radix_sort_onesweep_global_offsetsIS3_Lb0EPmPS5_mNS0_19identity_decomposerEEE10hipError_tT1_T2_PT3_SE_jT4_jjP12ihipStream_tbEUlT_E_NS1_11comp_targetILNS1_3genE3ELNS1_11target_archE908ELNS1_3gpuE7ELNS1_3repE0EEENS1_52radix_sort_onesweep_histogram_config_static_selectorELNS0_4arch9wavefront6targetE1EEEvSC_
	.p2align	8
	.type	_ZN7rocprim17ROCPRIM_400000_NS6detail17trampoline_kernelINS0_14default_configENS1_35radix_sort_onesweep_config_selectorImNS0_10empty_typeEEEZNS1_34radix_sort_onesweep_global_offsetsIS3_Lb0EPmPS5_mNS0_19identity_decomposerEEE10hipError_tT1_T2_PT3_SE_jT4_jjP12ihipStream_tbEUlT_E_NS1_11comp_targetILNS1_3genE3ELNS1_11target_archE908ELNS1_3gpuE7ELNS1_3repE0EEENS1_52radix_sort_onesweep_histogram_config_static_selectorELNS0_4arch9wavefront6targetE1EEEvSC_,@function
_ZN7rocprim17ROCPRIM_400000_NS6detail17trampoline_kernelINS0_14default_configENS1_35radix_sort_onesweep_config_selectorImNS0_10empty_typeEEEZNS1_34radix_sort_onesweep_global_offsetsIS3_Lb0EPmPS5_mNS0_19identity_decomposerEEE10hipError_tT1_T2_PT3_SE_jT4_jjP12ihipStream_tbEUlT_E_NS1_11comp_targetILNS1_3genE3ELNS1_11target_archE908ELNS1_3gpuE7ELNS1_3repE0EEENS1_52radix_sort_onesweep_histogram_config_static_selectorELNS0_4arch9wavefront6targetE1EEEvSC_: ; @_ZN7rocprim17ROCPRIM_400000_NS6detail17trampoline_kernelINS0_14default_configENS1_35radix_sort_onesweep_config_selectorImNS0_10empty_typeEEEZNS1_34radix_sort_onesweep_global_offsetsIS3_Lb0EPmPS5_mNS0_19identity_decomposerEEE10hipError_tT1_T2_PT3_SE_jT4_jjP12ihipStream_tbEUlT_E_NS1_11comp_targetILNS1_3genE3ELNS1_11target_archE908ELNS1_3gpuE7ELNS1_3repE0EEENS1_52radix_sort_onesweep_histogram_config_static_selectorELNS0_4arch9wavefront6targetE1EEEvSC_
; %bb.0:
	.section	.rodata,"a",@progbits
	.p2align	6, 0x0
	.amdhsa_kernel _ZN7rocprim17ROCPRIM_400000_NS6detail17trampoline_kernelINS0_14default_configENS1_35radix_sort_onesweep_config_selectorImNS0_10empty_typeEEEZNS1_34radix_sort_onesweep_global_offsetsIS3_Lb0EPmPS5_mNS0_19identity_decomposerEEE10hipError_tT1_T2_PT3_SE_jT4_jjP12ihipStream_tbEUlT_E_NS1_11comp_targetILNS1_3genE3ELNS1_11target_archE908ELNS1_3gpuE7ELNS1_3repE0EEENS1_52radix_sort_onesweep_histogram_config_static_selectorELNS0_4arch9wavefront6targetE1EEEvSC_
		.amdhsa_group_segment_fixed_size 0
		.amdhsa_private_segment_fixed_size 0
		.amdhsa_kernarg_size 48
		.amdhsa_user_sgpr_count 6
		.amdhsa_user_sgpr_private_segment_buffer 1
		.amdhsa_user_sgpr_dispatch_ptr 0
		.amdhsa_user_sgpr_queue_ptr 0
		.amdhsa_user_sgpr_kernarg_segment_ptr 1
		.amdhsa_user_sgpr_dispatch_id 0
		.amdhsa_user_sgpr_flat_scratch_init 0
		.amdhsa_user_sgpr_kernarg_preload_length 0
		.amdhsa_user_sgpr_kernarg_preload_offset 0
		.amdhsa_user_sgpr_private_segment_size 0
		.amdhsa_uses_dynamic_stack 0
		.amdhsa_system_sgpr_private_segment_wavefront_offset 0
		.amdhsa_system_sgpr_workgroup_id_x 1
		.amdhsa_system_sgpr_workgroup_id_y 0
		.amdhsa_system_sgpr_workgroup_id_z 0
		.amdhsa_system_sgpr_workgroup_info 0
		.amdhsa_system_vgpr_workitem_id 0
		.amdhsa_next_free_vgpr 1
		.amdhsa_next_free_sgpr 0
		.amdhsa_accum_offset 4
		.amdhsa_reserve_vcc 0
		.amdhsa_reserve_flat_scratch 0
		.amdhsa_float_round_mode_32 0
		.amdhsa_float_round_mode_16_64 0
		.amdhsa_float_denorm_mode_32 3
		.amdhsa_float_denorm_mode_16_64 3
		.amdhsa_dx10_clamp 1
		.amdhsa_ieee_mode 1
		.amdhsa_fp16_overflow 0
		.amdhsa_tg_split 0
		.amdhsa_exception_fp_ieee_invalid_op 0
		.amdhsa_exception_fp_denorm_src 0
		.amdhsa_exception_fp_ieee_div_zero 0
		.amdhsa_exception_fp_ieee_overflow 0
		.amdhsa_exception_fp_ieee_underflow 0
		.amdhsa_exception_fp_ieee_inexact 0
		.amdhsa_exception_int_div_zero 0
	.end_amdhsa_kernel
	.section	.text._ZN7rocprim17ROCPRIM_400000_NS6detail17trampoline_kernelINS0_14default_configENS1_35radix_sort_onesweep_config_selectorImNS0_10empty_typeEEEZNS1_34radix_sort_onesweep_global_offsetsIS3_Lb0EPmPS5_mNS0_19identity_decomposerEEE10hipError_tT1_T2_PT3_SE_jT4_jjP12ihipStream_tbEUlT_E_NS1_11comp_targetILNS1_3genE3ELNS1_11target_archE908ELNS1_3gpuE7ELNS1_3repE0EEENS1_52radix_sort_onesweep_histogram_config_static_selectorELNS0_4arch9wavefront6targetE1EEEvSC_,"axG",@progbits,_ZN7rocprim17ROCPRIM_400000_NS6detail17trampoline_kernelINS0_14default_configENS1_35radix_sort_onesweep_config_selectorImNS0_10empty_typeEEEZNS1_34radix_sort_onesweep_global_offsetsIS3_Lb0EPmPS5_mNS0_19identity_decomposerEEE10hipError_tT1_T2_PT3_SE_jT4_jjP12ihipStream_tbEUlT_E_NS1_11comp_targetILNS1_3genE3ELNS1_11target_archE908ELNS1_3gpuE7ELNS1_3repE0EEENS1_52radix_sort_onesweep_histogram_config_static_selectorELNS0_4arch9wavefront6targetE1EEEvSC_,comdat
.Lfunc_end967:
	.size	_ZN7rocprim17ROCPRIM_400000_NS6detail17trampoline_kernelINS0_14default_configENS1_35radix_sort_onesweep_config_selectorImNS0_10empty_typeEEEZNS1_34radix_sort_onesweep_global_offsetsIS3_Lb0EPmPS5_mNS0_19identity_decomposerEEE10hipError_tT1_T2_PT3_SE_jT4_jjP12ihipStream_tbEUlT_E_NS1_11comp_targetILNS1_3genE3ELNS1_11target_archE908ELNS1_3gpuE7ELNS1_3repE0EEENS1_52radix_sort_onesweep_histogram_config_static_selectorELNS0_4arch9wavefront6targetE1EEEvSC_, .Lfunc_end967-_ZN7rocprim17ROCPRIM_400000_NS6detail17trampoline_kernelINS0_14default_configENS1_35radix_sort_onesweep_config_selectorImNS0_10empty_typeEEEZNS1_34radix_sort_onesweep_global_offsetsIS3_Lb0EPmPS5_mNS0_19identity_decomposerEEE10hipError_tT1_T2_PT3_SE_jT4_jjP12ihipStream_tbEUlT_E_NS1_11comp_targetILNS1_3genE3ELNS1_11target_archE908ELNS1_3gpuE7ELNS1_3repE0EEENS1_52radix_sort_onesweep_histogram_config_static_selectorELNS0_4arch9wavefront6targetE1EEEvSC_
                                        ; -- End function
	.section	.AMDGPU.csdata,"",@progbits
; Kernel info:
; codeLenInByte = 0
; NumSgprs: 4
; NumVgprs: 0
; NumAgprs: 0
; TotalNumVgprs: 0
; ScratchSize: 0
; MemoryBound: 0
; FloatMode: 240
; IeeeMode: 1
; LDSByteSize: 0 bytes/workgroup (compile time only)
; SGPRBlocks: 0
; VGPRBlocks: 0
; NumSGPRsForWavesPerEU: 4
; NumVGPRsForWavesPerEU: 1
; AccumOffset: 4
; Occupancy: 8
; WaveLimiterHint : 0
; COMPUTE_PGM_RSRC2:SCRATCH_EN: 0
; COMPUTE_PGM_RSRC2:USER_SGPR: 6
; COMPUTE_PGM_RSRC2:TRAP_HANDLER: 0
; COMPUTE_PGM_RSRC2:TGID_X_EN: 1
; COMPUTE_PGM_RSRC2:TGID_Y_EN: 0
; COMPUTE_PGM_RSRC2:TGID_Z_EN: 0
; COMPUTE_PGM_RSRC2:TIDIG_COMP_CNT: 0
; COMPUTE_PGM_RSRC3_GFX90A:ACCUM_OFFSET: 0
; COMPUTE_PGM_RSRC3_GFX90A:TG_SPLIT: 0
	.section	.text._ZN7rocprim17ROCPRIM_400000_NS6detail17trampoline_kernelINS0_14default_configENS1_35radix_sort_onesweep_config_selectorImNS0_10empty_typeEEEZNS1_34radix_sort_onesweep_global_offsetsIS3_Lb0EPmPS5_mNS0_19identity_decomposerEEE10hipError_tT1_T2_PT3_SE_jT4_jjP12ihipStream_tbEUlT_E_NS1_11comp_targetILNS1_3genE10ELNS1_11target_archE1201ELNS1_3gpuE5ELNS1_3repE0EEENS1_52radix_sort_onesweep_histogram_config_static_selectorELNS0_4arch9wavefront6targetE1EEEvSC_,"axG",@progbits,_ZN7rocprim17ROCPRIM_400000_NS6detail17trampoline_kernelINS0_14default_configENS1_35radix_sort_onesweep_config_selectorImNS0_10empty_typeEEEZNS1_34radix_sort_onesweep_global_offsetsIS3_Lb0EPmPS5_mNS0_19identity_decomposerEEE10hipError_tT1_T2_PT3_SE_jT4_jjP12ihipStream_tbEUlT_E_NS1_11comp_targetILNS1_3genE10ELNS1_11target_archE1201ELNS1_3gpuE5ELNS1_3repE0EEENS1_52radix_sort_onesweep_histogram_config_static_selectorELNS0_4arch9wavefront6targetE1EEEvSC_,comdat
	.protected	_ZN7rocprim17ROCPRIM_400000_NS6detail17trampoline_kernelINS0_14default_configENS1_35radix_sort_onesweep_config_selectorImNS0_10empty_typeEEEZNS1_34radix_sort_onesweep_global_offsetsIS3_Lb0EPmPS5_mNS0_19identity_decomposerEEE10hipError_tT1_T2_PT3_SE_jT4_jjP12ihipStream_tbEUlT_E_NS1_11comp_targetILNS1_3genE10ELNS1_11target_archE1201ELNS1_3gpuE5ELNS1_3repE0EEENS1_52radix_sort_onesweep_histogram_config_static_selectorELNS0_4arch9wavefront6targetE1EEEvSC_ ; -- Begin function _ZN7rocprim17ROCPRIM_400000_NS6detail17trampoline_kernelINS0_14default_configENS1_35radix_sort_onesweep_config_selectorImNS0_10empty_typeEEEZNS1_34radix_sort_onesweep_global_offsetsIS3_Lb0EPmPS5_mNS0_19identity_decomposerEEE10hipError_tT1_T2_PT3_SE_jT4_jjP12ihipStream_tbEUlT_E_NS1_11comp_targetILNS1_3genE10ELNS1_11target_archE1201ELNS1_3gpuE5ELNS1_3repE0EEENS1_52radix_sort_onesweep_histogram_config_static_selectorELNS0_4arch9wavefront6targetE1EEEvSC_
	.globl	_ZN7rocprim17ROCPRIM_400000_NS6detail17trampoline_kernelINS0_14default_configENS1_35radix_sort_onesweep_config_selectorImNS0_10empty_typeEEEZNS1_34radix_sort_onesweep_global_offsetsIS3_Lb0EPmPS5_mNS0_19identity_decomposerEEE10hipError_tT1_T2_PT3_SE_jT4_jjP12ihipStream_tbEUlT_E_NS1_11comp_targetILNS1_3genE10ELNS1_11target_archE1201ELNS1_3gpuE5ELNS1_3repE0EEENS1_52radix_sort_onesweep_histogram_config_static_selectorELNS0_4arch9wavefront6targetE1EEEvSC_
	.p2align	8
	.type	_ZN7rocprim17ROCPRIM_400000_NS6detail17trampoline_kernelINS0_14default_configENS1_35radix_sort_onesweep_config_selectorImNS0_10empty_typeEEEZNS1_34radix_sort_onesweep_global_offsetsIS3_Lb0EPmPS5_mNS0_19identity_decomposerEEE10hipError_tT1_T2_PT3_SE_jT4_jjP12ihipStream_tbEUlT_E_NS1_11comp_targetILNS1_3genE10ELNS1_11target_archE1201ELNS1_3gpuE5ELNS1_3repE0EEENS1_52radix_sort_onesweep_histogram_config_static_selectorELNS0_4arch9wavefront6targetE1EEEvSC_,@function
_ZN7rocprim17ROCPRIM_400000_NS6detail17trampoline_kernelINS0_14default_configENS1_35radix_sort_onesweep_config_selectorImNS0_10empty_typeEEEZNS1_34radix_sort_onesweep_global_offsetsIS3_Lb0EPmPS5_mNS0_19identity_decomposerEEE10hipError_tT1_T2_PT3_SE_jT4_jjP12ihipStream_tbEUlT_E_NS1_11comp_targetILNS1_3genE10ELNS1_11target_archE1201ELNS1_3gpuE5ELNS1_3repE0EEENS1_52radix_sort_onesweep_histogram_config_static_selectorELNS0_4arch9wavefront6targetE1EEEvSC_: ; @_ZN7rocprim17ROCPRIM_400000_NS6detail17trampoline_kernelINS0_14default_configENS1_35radix_sort_onesweep_config_selectorImNS0_10empty_typeEEEZNS1_34radix_sort_onesweep_global_offsetsIS3_Lb0EPmPS5_mNS0_19identity_decomposerEEE10hipError_tT1_T2_PT3_SE_jT4_jjP12ihipStream_tbEUlT_E_NS1_11comp_targetILNS1_3genE10ELNS1_11target_archE1201ELNS1_3gpuE5ELNS1_3repE0EEENS1_52radix_sort_onesweep_histogram_config_static_selectorELNS0_4arch9wavefront6targetE1EEEvSC_
; %bb.0:
	.section	.rodata,"a",@progbits
	.p2align	6, 0x0
	.amdhsa_kernel _ZN7rocprim17ROCPRIM_400000_NS6detail17trampoline_kernelINS0_14default_configENS1_35radix_sort_onesweep_config_selectorImNS0_10empty_typeEEEZNS1_34radix_sort_onesweep_global_offsetsIS3_Lb0EPmPS5_mNS0_19identity_decomposerEEE10hipError_tT1_T2_PT3_SE_jT4_jjP12ihipStream_tbEUlT_E_NS1_11comp_targetILNS1_3genE10ELNS1_11target_archE1201ELNS1_3gpuE5ELNS1_3repE0EEENS1_52radix_sort_onesweep_histogram_config_static_selectorELNS0_4arch9wavefront6targetE1EEEvSC_
		.amdhsa_group_segment_fixed_size 0
		.amdhsa_private_segment_fixed_size 0
		.amdhsa_kernarg_size 48
		.amdhsa_user_sgpr_count 6
		.amdhsa_user_sgpr_private_segment_buffer 1
		.amdhsa_user_sgpr_dispatch_ptr 0
		.amdhsa_user_sgpr_queue_ptr 0
		.amdhsa_user_sgpr_kernarg_segment_ptr 1
		.amdhsa_user_sgpr_dispatch_id 0
		.amdhsa_user_sgpr_flat_scratch_init 0
		.amdhsa_user_sgpr_kernarg_preload_length 0
		.amdhsa_user_sgpr_kernarg_preload_offset 0
		.amdhsa_user_sgpr_private_segment_size 0
		.amdhsa_uses_dynamic_stack 0
		.amdhsa_system_sgpr_private_segment_wavefront_offset 0
		.amdhsa_system_sgpr_workgroup_id_x 1
		.amdhsa_system_sgpr_workgroup_id_y 0
		.amdhsa_system_sgpr_workgroup_id_z 0
		.amdhsa_system_sgpr_workgroup_info 0
		.amdhsa_system_vgpr_workitem_id 0
		.amdhsa_next_free_vgpr 1
		.amdhsa_next_free_sgpr 0
		.amdhsa_accum_offset 4
		.amdhsa_reserve_vcc 0
		.amdhsa_reserve_flat_scratch 0
		.amdhsa_float_round_mode_32 0
		.amdhsa_float_round_mode_16_64 0
		.amdhsa_float_denorm_mode_32 3
		.amdhsa_float_denorm_mode_16_64 3
		.amdhsa_dx10_clamp 1
		.amdhsa_ieee_mode 1
		.amdhsa_fp16_overflow 0
		.amdhsa_tg_split 0
		.amdhsa_exception_fp_ieee_invalid_op 0
		.amdhsa_exception_fp_denorm_src 0
		.amdhsa_exception_fp_ieee_div_zero 0
		.amdhsa_exception_fp_ieee_overflow 0
		.amdhsa_exception_fp_ieee_underflow 0
		.amdhsa_exception_fp_ieee_inexact 0
		.amdhsa_exception_int_div_zero 0
	.end_amdhsa_kernel
	.section	.text._ZN7rocprim17ROCPRIM_400000_NS6detail17trampoline_kernelINS0_14default_configENS1_35radix_sort_onesweep_config_selectorImNS0_10empty_typeEEEZNS1_34radix_sort_onesweep_global_offsetsIS3_Lb0EPmPS5_mNS0_19identity_decomposerEEE10hipError_tT1_T2_PT3_SE_jT4_jjP12ihipStream_tbEUlT_E_NS1_11comp_targetILNS1_3genE10ELNS1_11target_archE1201ELNS1_3gpuE5ELNS1_3repE0EEENS1_52radix_sort_onesweep_histogram_config_static_selectorELNS0_4arch9wavefront6targetE1EEEvSC_,"axG",@progbits,_ZN7rocprim17ROCPRIM_400000_NS6detail17trampoline_kernelINS0_14default_configENS1_35radix_sort_onesweep_config_selectorImNS0_10empty_typeEEEZNS1_34radix_sort_onesweep_global_offsetsIS3_Lb0EPmPS5_mNS0_19identity_decomposerEEE10hipError_tT1_T2_PT3_SE_jT4_jjP12ihipStream_tbEUlT_E_NS1_11comp_targetILNS1_3genE10ELNS1_11target_archE1201ELNS1_3gpuE5ELNS1_3repE0EEENS1_52radix_sort_onesweep_histogram_config_static_selectorELNS0_4arch9wavefront6targetE1EEEvSC_,comdat
.Lfunc_end968:
	.size	_ZN7rocprim17ROCPRIM_400000_NS6detail17trampoline_kernelINS0_14default_configENS1_35radix_sort_onesweep_config_selectorImNS0_10empty_typeEEEZNS1_34radix_sort_onesweep_global_offsetsIS3_Lb0EPmPS5_mNS0_19identity_decomposerEEE10hipError_tT1_T2_PT3_SE_jT4_jjP12ihipStream_tbEUlT_E_NS1_11comp_targetILNS1_3genE10ELNS1_11target_archE1201ELNS1_3gpuE5ELNS1_3repE0EEENS1_52radix_sort_onesweep_histogram_config_static_selectorELNS0_4arch9wavefront6targetE1EEEvSC_, .Lfunc_end968-_ZN7rocprim17ROCPRIM_400000_NS6detail17trampoline_kernelINS0_14default_configENS1_35radix_sort_onesweep_config_selectorImNS0_10empty_typeEEEZNS1_34radix_sort_onesweep_global_offsetsIS3_Lb0EPmPS5_mNS0_19identity_decomposerEEE10hipError_tT1_T2_PT3_SE_jT4_jjP12ihipStream_tbEUlT_E_NS1_11comp_targetILNS1_3genE10ELNS1_11target_archE1201ELNS1_3gpuE5ELNS1_3repE0EEENS1_52radix_sort_onesweep_histogram_config_static_selectorELNS0_4arch9wavefront6targetE1EEEvSC_
                                        ; -- End function
	.section	.AMDGPU.csdata,"",@progbits
; Kernel info:
; codeLenInByte = 0
; NumSgprs: 4
; NumVgprs: 0
; NumAgprs: 0
; TotalNumVgprs: 0
; ScratchSize: 0
; MemoryBound: 0
; FloatMode: 240
; IeeeMode: 1
; LDSByteSize: 0 bytes/workgroup (compile time only)
; SGPRBlocks: 0
; VGPRBlocks: 0
; NumSGPRsForWavesPerEU: 4
; NumVGPRsForWavesPerEU: 1
; AccumOffset: 4
; Occupancy: 8
; WaveLimiterHint : 0
; COMPUTE_PGM_RSRC2:SCRATCH_EN: 0
; COMPUTE_PGM_RSRC2:USER_SGPR: 6
; COMPUTE_PGM_RSRC2:TRAP_HANDLER: 0
; COMPUTE_PGM_RSRC2:TGID_X_EN: 1
; COMPUTE_PGM_RSRC2:TGID_Y_EN: 0
; COMPUTE_PGM_RSRC2:TGID_Z_EN: 0
; COMPUTE_PGM_RSRC2:TIDIG_COMP_CNT: 0
; COMPUTE_PGM_RSRC3_GFX90A:ACCUM_OFFSET: 0
; COMPUTE_PGM_RSRC3_GFX90A:TG_SPLIT: 0
	.section	.text._ZN7rocprim17ROCPRIM_400000_NS6detail17trampoline_kernelINS0_14default_configENS1_35radix_sort_onesweep_config_selectorImNS0_10empty_typeEEEZNS1_34radix_sort_onesweep_global_offsetsIS3_Lb0EPmPS5_mNS0_19identity_decomposerEEE10hipError_tT1_T2_PT3_SE_jT4_jjP12ihipStream_tbEUlT_E_NS1_11comp_targetILNS1_3genE9ELNS1_11target_archE1100ELNS1_3gpuE3ELNS1_3repE0EEENS1_52radix_sort_onesweep_histogram_config_static_selectorELNS0_4arch9wavefront6targetE1EEEvSC_,"axG",@progbits,_ZN7rocprim17ROCPRIM_400000_NS6detail17trampoline_kernelINS0_14default_configENS1_35radix_sort_onesweep_config_selectorImNS0_10empty_typeEEEZNS1_34radix_sort_onesweep_global_offsetsIS3_Lb0EPmPS5_mNS0_19identity_decomposerEEE10hipError_tT1_T2_PT3_SE_jT4_jjP12ihipStream_tbEUlT_E_NS1_11comp_targetILNS1_3genE9ELNS1_11target_archE1100ELNS1_3gpuE3ELNS1_3repE0EEENS1_52radix_sort_onesweep_histogram_config_static_selectorELNS0_4arch9wavefront6targetE1EEEvSC_,comdat
	.protected	_ZN7rocprim17ROCPRIM_400000_NS6detail17trampoline_kernelINS0_14default_configENS1_35radix_sort_onesweep_config_selectorImNS0_10empty_typeEEEZNS1_34radix_sort_onesweep_global_offsetsIS3_Lb0EPmPS5_mNS0_19identity_decomposerEEE10hipError_tT1_T2_PT3_SE_jT4_jjP12ihipStream_tbEUlT_E_NS1_11comp_targetILNS1_3genE9ELNS1_11target_archE1100ELNS1_3gpuE3ELNS1_3repE0EEENS1_52radix_sort_onesweep_histogram_config_static_selectorELNS0_4arch9wavefront6targetE1EEEvSC_ ; -- Begin function _ZN7rocprim17ROCPRIM_400000_NS6detail17trampoline_kernelINS0_14default_configENS1_35radix_sort_onesweep_config_selectorImNS0_10empty_typeEEEZNS1_34radix_sort_onesweep_global_offsetsIS3_Lb0EPmPS5_mNS0_19identity_decomposerEEE10hipError_tT1_T2_PT3_SE_jT4_jjP12ihipStream_tbEUlT_E_NS1_11comp_targetILNS1_3genE9ELNS1_11target_archE1100ELNS1_3gpuE3ELNS1_3repE0EEENS1_52radix_sort_onesweep_histogram_config_static_selectorELNS0_4arch9wavefront6targetE1EEEvSC_
	.globl	_ZN7rocprim17ROCPRIM_400000_NS6detail17trampoline_kernelINS0_14default_configENS1_35radix_sort_onesweep_config_selectorImNS0_10empty_typeEEEZNS1_34radix_sort_onesweep_global_offsetsIS3_Lb0EPmPS5_mNS0_19identity_decomposerEEE10hipError_tT1_T2_PT3_SE_jT4_jjP12ihipStream_tbEUlT_E_NS1_11comp_targetILNS1_3genE9ELNS1_11target_archE1100ELNS1_3gpuE3ELNS1_3repE0EEENS1_52radix_sort_onesweep_histogram_config_static_selectorELNS0_4arch9wavefront6targetE1EEEvSC_
	.p2align	8
	.type	_ZN7rocprim17ROCPRIM_400000_NS6detail17trampoline_kernelINS0_14default_configENS1_35radix_sort_onesweep_config_selectorImNS0_10empty_typeEEEZNS1_34radix_sort_onesweep_global_offsetsIS3_Lb0EPmPS5_mNS0_19identity_decomposerEEE10hipError_tT1_T2_PT3_SE_jT4_jjP12ihipStream_tbEUlT_E_NS1_11comp_targetILNS1_3genE9ELNS1_11target_archE1100ELNS1_3gpuE3ELNS1_3repE0EEENS1_52radix_sort_onesweep_histogram_config_static_selectorELNS0_4arch9wavefront6targetE1EEEvSC_,@function
_ZN7rocprim17ROCPRIM_400000_NS6detail17trampoline_kernelINS0_14default_configENS1_35radix_sort_onesweep_config_selectorImNS0_10empty_typeEEEZNS1_34radix_sort_onesweep_global_offsetsIS3_Lb0EPmPS5_mNS0_19identity_decomposerEEE10hipError_tT1_T2_PT3_SE_jT4_jjP12ihipStream_tbEUlT_E_NS1_11comp_targetILNS1_3genE9ELNS1_11target_archE1100ELNS1_3gpuE3ELNS1_3repE0EEENS1_52radix_sort_onesweep_histogram_config_static_selectorELNS0_4arch9wavefront6targetE1EEEvSC_: ; @_ZN7rocprim17ROCPRIM_400000_NS6detail17trampoline_kernelINS0_14default_configENS1_35radix_sort_onesweep_config_selectorImNS0_10empty_typeEEEZNS1_34radix_sort_onesweep_global_offsetsIS3_Lb0EPmPS5_mNS0_19identity_decomposerEEE10hipError_tT1_T2_PT3_SE_jT4_jjP12ihipStream_tbEUlT_E_NS1_11comp_targetILNS1_3genE9ELNS1_11target_archE1100ELNS1_3gpuE3ELNS1_3repE0EEENS1_52radix_sort_onesweep_histogram_config_static_selectorELNS0_4arch9wavefront6targetE1EEEvSC_
; %bb.0:
	.section	.rodata,"a",@progbits
	.p2align	6, 0x0
	.amdhsa_kernel _ZN7rocprim17ROCPRIM_400000_NS6detail17trampoline_kernelINS0_14default_configENS1_35radix_sort_onesweep_config_selectorImNS0_10empty_typeEEEZNS1_34radix_sort_onesweep_global_offsetsIS3_Lb0EPmPS5_mNS0_19identity_decomposerEEE10hipError_tT1_T2_PT3_SE_jT4_jjP12ihipStream_tbEUlT_E_NS1_11comp_targetILNS1_3genE9ELNS1_11target_archE1100ELNS1_3gpuE3ELNS1_3repE0EEENS1_52radix_sort_onesweep_histogram_config_static_selectorELNS0_4arch9wavefront6targetE1EEEvSC_
		.amdhsa_group_segment_fixed_size 0
		.amdhsa_private_segment_fixed_size 0
		.amdhsa_kernarg_size 48
		.amdhsa_user_sgpr_count 6
		.amdhsa_user_sgpr_private_segment_buffer 1
		.amdhsa_user_sgpr_dispatch_ptr 0
		.amdhsa_user_sgpr_queue_ptr 0
		.amdhsa_user_sgpr_kernarg_segment_ptr 1
		.amdhsa_user_sgpr_dispatch_id 0
		.amdhsa_user_sgpr_flat_scratch_init 0
		.amdhsa_user_sgpr_kernarg_preload_length 0
		.amdhsa_user_sgpr_kernarg_preload_offset 0
		.amdhsa_user_sgpr_private_segment_size 0
		.amdhsa_uses_dynamic_stack 0
		.amdhsa_system_sgpr_private_segment_wavefront_offset 0
		.amdhsa_system_sgpr_workgroup_id_x 1
		.amdhsa_system_sgpr_workgroup_id_y 0
		.amdhsa_system_sgpr_workgroup_id_z 0
		.amdhsa_system_sgpr_workgroup_info 0
		.amdhsa_system_vgpr_workitem_id 0
		.amdhsa_next_free_vgpr 1
		.amdhsa_next_free_sgpr 0
		.amdhsa_accum_offset 4
		.amdhsa_reserve_vcc 0
		.amdhsa_reserve_flat_scratch 0
		.amdhsa_float_round_mode_32 0
		.amdhsa_float_round_mode_16_64 0
		.amdhsa_float_denorm_mode_32 3
		.amdhsa_float_denorm_mode_16_64 3
		.amdhsa_dx10_clamp 1
		.amdhsa_ieee_mode 1
		.amdhsa_fp16_overflow 0
		.amdhsa_tg_split 0
		.amdhsa_exception_fp_ieee_invalid_op 0
		.amdhsa_exception_fp_denorm_src 0
		.amdhsa_exception_fp_ieee_div_zero 0
		.amdhsa_exception_fp_ieee_overflow 0
		.amdhsa_exception_fp_ieee_underflow 0
		.amdhsa_exception_fp_ieee_inexact 0
		.amdhsa_exception_int_div_zero 0
	.end_amdhsa_kernel
	.section	.text._ZN7rocprim17ROCPRIM_400000_NS6detail17trampoline_kernelINS0_14default_configENS1_35radix_sort_onesweep_config_selectorImNS0_10empty_typeEEEZNS1_34radix_sort_onesweep_global_offsetsIS3_Lb0EPmPS5_mNS0_19identity_decomposerEEE10hipError_tT1_T2_PT3_SE_jT4_jjP12ihipStream_tbEUlT_E_NS1_11comp_targetILNS1_3genE9ELNS1_11target_archE1100ELNS1_3gpuE3ELNS1_3repE0EEENS1_52radix_sort_onesweep_histogram_config_static_selectorELNS0_4arch9wavefront6targetE1EEEvSC_,"axG",@progbits,_ZN7rocprim17ROCPRIM_400000_NS6detail17trampoline_kernelINS0_14default_configENS1_35radix_sort_onesweep_config_selectorImNS0_10empty_typeEEEZNS1_34radix_sort_onesweep_global_offsetsIS3_Lb0EPmPS5_mNS0_19identity_decomposerEEE10hipError_tT1_T2_PT3_SE_jT4_jjP12ihipStream_tbEUlT_E_NS1_11comp_targetILNS1_3genE9ELNS1_11target_archE1100ELNS1_3gpuE3ELNS1_3repE0EEENS1_52radix_sort_onesweep_histogram_config_static_selectorELNS0_4arch9wavefront6targetE1EEEvSC_,comdat
.Lfunc_end969:
	.size	_ZN7rocprim17ROCPRIM_400000_NS6detail17trampoline_kernelINS0_14default_configENS1_35radix_sort_onesweep_config_selectorImNS0_10empty_typeEEEZNS1_34radix_sort_onesweep_global_offsetsIS3_Lb0EPmPS5_mNS0_19identity_decomposerEEE10hipError_tT1_T2_PT3_SE_jT4_jjP12ihipStream_tbEUlT_E_NS1_11comp_targetILNS1_3genE9ELNS1_11target_archE1100ELNS1_3gpuE3ELNS1_3repE0EEENS1_52radix_sort_onesweep_histogram_config_static_selectorELNS0_4arch9wavefront6targetE1EEEvSC_, .Lfunc_end969-_ZN7rocprim17ROCPRIM_400000_NS6detail17trampoline_kernelINS0_14default_configENS1_35radix_sort_onesweep_config_selectorImNS0_10empty_typeEEEZNS1_34radix_sort_onesweep_global_offsetsIS3_Lb0EPmPS5_mNS0_19identity_decomposerEEE10hipError_tT1_T2_PT3_SE_jT4_jjP12ihipStream_tbEUlT_E_NS1_11comp_targetILNS1_3genE9ELNS1_11target_archE1100ELNS1_3gpuE3ELNS1_3repE0EEENS1_52radix_sort_onesweep_histogram_config_static_selectorELNS0_4arch9wavefront6targetE1EEEvSC_
                                        ; -- End function
	.section	.AMDGPU.csdata,"",@progbits
; Kernel info:
; codeLenInByte = 0
; NumSgprs: 4
; NumVgprs: 0
; NumAgprs: 0
; TotalNumVgprs: 0
; ScratchSize: 0
; MemoryBound: 0
; FloatMode: 240
; IeeeMode: 1
; LDSByteSize: 0 bytes/workgroup (compile time only)
; SGPRBlocks: 0
; VGPRBlocks: 0
; NumSGPRsForWavesPerEU: 4
; NumVGPRsForWavesPerEU: 1
; AccumOffset: 4
; Occupancy: 8
; WaveLimiterHint : 0
; COMPUTE_PGM_RSRC2:SCRATCH_EN: 0
; COMPUTE_PGM_RSRC2:USER_SGPR: 6
; COMPUTE_PGM_RSRC2:TRAP_HANDLER: 0
; COMPUTE_PGM_RSRC2:TGID_X_EN: 1
; COMPUTE_PGM_RSRC2:TGID_Y_EN: 0
; COMPUTE_PGM_RSRC2:TGID_Z_EN: 0
; COMPUTE_PGM_RSRC2:TIDIG_COMP_CNT: 0
; COMPUTE_PGM_RSRC3_GFX90A:ACCUM_OFFSET: 0
; COMPUTE_PGM_RSRC3_GFX90A:TG_SPLIT: 0
	.section	.text._ZN7rocprim17ROCPRIM_400000_NS6detail17trampoline_kernelINS0_14default_configENS1_35radix_sort_onesweep_config_selectorImNS0_10empty_typeEEEZNS1_34radix_sort_onesweep_global_offsetsIS3_Lb0EPmPS5_mNS0_19identity_decomposerEEE10hipError_tT1_T2_PT3_SE_jT4_jjP12ihipStream_tbEUlT_E_NS1_11comp_targetILNS1_3genE8ELNS1_11target_archE1030ELNS1_3gpuE2ELNS1_3repE0EEENS1_52radix_sort_onesweep_histogram_config_static_selectorELNS0_4arch9wavefront6targetE1EEEvSC_,"axG",@progbits,_ZN7rocprim17ROCPRIM_400000_NS6detail17trampoline_kernelINS0_14default_configENS1_35radix_sort_onesweep_config_selectorImNS0_10empty_typeEEEZNS1_34radix_sort_onesweep_global_offsetsIS3_Lb0EPmPS5_mNS0_19identity_decomposerEEE10hipError_tT1_T2_PT3_SE_jT4_jjP12ihipStream_tbEUlT_E_NS1_11comp_targetILNS1_3genE8ELNS1_11target_archE1030ELNS1_3gpuE2ELNS1_3repE0EEENS1_52radix_sort_onesweep_histogram_config_static_selectorELNS0_4arch9wavefront6targetE1EEEvSC_,comdat
	.protected	_ZN7rocprim17ROCPRIM_400000_NS6detail17trampoline_kernelINS0_14default_configENS1_35radix_sort_onesweep_config_selectorImNS0_10empty_typeEEEZNS1_34radix_sort_onesweep_global_offsetsIS3_Lb0EPmPS5_mNS0_19identity_decomposerEEE10hipError_tT1_T2_PT3_SE_jT4_jjP12ihipStream_tbEUlT_E_NS1_11comp_targetILNS1_3genE8ELNS1_11target_archE1030ELNS1_3gpuE2ELNS1_3repE0EEENS1_52radix_sort_onesweep_histogram_config_static_selectorELNS0_4arch9wavefront6targetE1EEEvSC_ ; -- Begin function _ZN7rocprim17ROCPRIM_400000_NS6detail17trampoline_kernelINS0_14default_configENS1_35radix_sort_onesweep_config_selectorImNS0_10empty_typeEEEZNS1_34radix_sort_onesweep_global_offsetsIS3_Lb0EPmPS5_mNS0_19identity_decomposerEEE10hipError_tT1_T2_PT3_SE_jT4_jjP12ihipStream_tbEUlT_E_NS1_11comp_targetILNS1_3genE8ELNS1_11target_archE1030ELNS1_3gpuE2ELNS1_3repE0EEENS1_52radix_sort_onesweep_histogram_config_static_selectorELNS0_4arch9wavefront6targetE1EEEvSC_
	.globl	_ZN7rocprim17ROCPRIM_400000_NS6detail17trampoline_kernelINS0_14default_configENS1_35radix_sort_onesweep_config_selectorImNS0_10empty_typeEEEZNS1_34radix_sort_onesweep_global_offsetsIS3_Lb0EPmPS5_mNS0_19identity_decomposerEEE10hipError_tT1_T2_PT3_SE_jT4_jjP12ihipStream_tbEUlT_E_NS1_11comp_targetILNS1_3genE8ELNS1_11target_archE1030ELNS1_3gpuE2ELNS1_3repE0EEENS1_52radix_sort_onesweep_histogram_config_static_selectorELNS0_4arch9wavefront6targetE1EEEvSC_
	.p2align	8
	.type	_ZN7rocprim17ROCPRIM_400000_NS6detail17trampoline_kernelINS0_14default_configENS1_35radix_sort_onesweep_config_selectorImNS0_10empty_typeEEEZNS1_34radix_sort_onesweep_global_offsetsIS3_Lb0EPmPS5_mNS0_19identity_decomposerEEE10hipError_tT1_T2_PT3_SE_jT4_jjP12ihipStream_tbEUlT_E_NS1_11comp_targetILNS1_3genE8ELNS1_11target_archE1030ELNS1_3gpuE2ELNS1_3repE0EEENS1_52radix_sort_onesweep_histogram_config_static_selectorELNS0_4arch9wavefront6targetE1EEEvSC_,@function
_ZN7rocprim17ROCPRIM_400000_NS6detail17trampoline_kernelINS0_14default_configENS1_35radix_sort_onesweep_config_selectorImNS0_10empty_typeEEEZNS1_34radix_sort_onesweep_global_offsetsIS3_Lb0EPmPS5_mNS0_19identity_decomposerEEE10hipError_tT1_T2_PT3_SE_jT4_jjP12ihipStream_tbEUlT_E_NS1_11comp_targetILNS1_3genE8ELNS1_11target_archE1030ELNS1_3gpuE2ELNS1_3repE0EEENS1_52radix_sort_onesweep_histogram_config_static_selectorELNS0_4arch9wavefront6targetE1EEEvSC_: ; @_ZN7rocprim17ROCPRIM_400000_NS6detail17trampoline_kernelINS0_14default_configENS1_35radix_sort_onesweep_config_selectorImNS0_10empty_typeEEEZNS1_34radix_sort_onesweep_global_offsetsIS3_Lb0EPmPS5_mNS0_19identity_decomposerEEE10hipError_tT1_T2_PT3_SE_jT4_jjP12ihipStream_tbEUlT_E_NS1_11comp_targetILNS1_3genE8ELNS1_11target_archE1030ELNS1_3gpuE2ELNS1_3repE0EEENS1_52radix_sort_onesweep_histogram_config_static_selectorELNS0_4arch9wavefront6targetE1EEEvSC_
; %bb.0:
	.section	.rodata,"a",@progbits
	.p2align	6, 0x0
	.amdhsa_kernel _ZN7rocprim17ROCPRIM_400000_NS6detail17trampoline_kernelINS0_14default_configENS1_35radix_sort_onesweep_config_selectorImNS0_10empty_typeEEEZNS1_34radix_sort_onesweep_global_offsetsIS3_Lb0EPmPS5_mNS0_19identity_decomposerEEE10hipError_tT1_T2_PT3_SE_jT4_jjP12ihipStream_tbEUlT_E_NS1_11comp_targetILNS1_3genE8ELNS1_11target_archE1030ELNS1_3gpuE2ELNS1_3repE0EEENS1_52radix_sort_onesweep_histogram_config_static_selectorELNS0_4arch9wavefront6targetE1EEEvSC_
		.amdhsa_group_segment_fixed_size 0
		.amdhsa_private_segment_fixed_size 0
		.amdhsa_kernarg_size 48
		.amdhsa_user_sgpr_count 6
		.amdhsa_user_sgpr_private_segment_buffer 1
		.amdhsa_user_sgpr_dispatch_ptr 0
		.amdhsa_user_sgpr_queue_ptr 0
		.amdhsa_user_sgpr_kernarg_segment_ptr 1
		.amdhsa_user_sgpr_dispatch_id 0
		.amdhsa_user_sgpr_flat_scratch_init 0
		.amdhsa_user_sgpr_kernarg_preload_length 0
		.amdhsa_user_sgpr_kernarg_preload_offset 0
		.amdhsa_user_sgpr_private_segment_size 0
		.amdhsa_uses_dynamic_stack 0
		.amdhsa_system_sgpr_private_segment_wavefront_offset 0
		.amdhsa_system_sgpr_workgroup_id_x 1
		.amdhsa_system_sgpr_workgroup_id_y 0
		.amdhsa_system_sgpr_workgroup_id_z 0
		.amdhsa_system_sgpr_workgroup_info 0
		.amdhsa_system_vgpr_workitem_id 0
		.amdhsa_next_free_vgpr 1
		.amdhsa_next_free_sgpr 0
		.amdhsa_accum_offset 4
		.amdhsa_reserve_vcc 0
		.amdhsa_reserve_flat_scratch 0
		.amdhsa_float_round_mode_32 0
		.amdhsa_float_round_mode_16_64 0
		.amdhsa_float_denorm_mode_32 3
		.amdhsa_float_denorm_mode_16_64 3
		.amdhsa_dx10_clamp 1
		.amdhsa_ieee_mode 1
		.amdhsa_fp16_overflow 0
		.amdhsa_tg_split 0
		.amdhsa_exception_fp_ieee_invalid_op 0
		.amdhsa_exception_fp_denorm_src 0
		.amdhsa_exception_fp_ieee_div_zero 0
		.amdhsa_exception_fp_ieee_overflow 0
		.amdhsa_exception_fp_ieee_underflow 0
		.amdhsa_exception_fp_ieee_inexact 0
		.amdhsa_exception_int_div_zero 0
	.end_amdhsa_kernel
	.section	.text._ZN7rocprim17ROCPRIM_400000_NS6detail17trampoline_kernelINS0_14default_configENS1_35radix_sort_onesweep_config_selectorImNS0_10empty_typeEEEZNS1_34radix_sort_onesweep_global_offsetsIS3_Lb0EPmPS5_mNS0_19identity_decomposerEEE10hipError_tT1_T2_PT3_SE_jT4_jjP12ihipStream_tbEUlT_E_NS1_11comp_targetILNS1_3genE8ELNS1_11target_archE1030ELNS1_3gpuE2ELNS1_3repE0EEENS1_52radix_sort_onesweep_histogram_config_static_selectorELNS0_4arch9wavefront6targetE1EEEvSC_,"axG",@progbits,_ZN7rocprim17ROCPRIM_400000_NS6detail17trampoline_kernelINS0_14default_configENS1_35radix_sort_onesweep_config_selectorImNS0_10empty_typeEEEZNS1_34radix_sort_onesweep_global_offsetsIS3_Lb0EPmPS5_mNS0_19identity_decomposerEEE10hipError_tT1_T2_PT3_SE_jT4_jjP12ihipStream_tbEUlT_E_NS1_11comp_targetILNS1_3genE8ELNS1_11target_archE1030ELNS1_3gpuE2ELNS1_3repE0EEENS1_52radix_sort_onesweep_histogram_config_static_selectorELNS0_4arch9wavefront6targetE1EEEvSC_,comdat
.Lfunc_end970:
	.size	_ZN7rocprim17ROCPRIM_400000_NS6detail17trampoline_kernelINS0_14default_configENS1_35radix_sort_onesweep_config_selectorImNS0_10empty_typeEEEZNS1_34radix_sort_onesweep_global_offsetsIS3_Lb0EPmPS5_mNS0_19identity_decomposerEEE10hipError_tT1_T2_PT3_SE_jT4_jjP12ihipStream_tbEUlT_E_NS1_11comp_targetILNS1_3genE8ELNS1_11target_archE1030ELNS1_3gpuE2ELNS1_3repE0EEENS1_52radix_sort_onesweep_histogram_config_static_selectorELNS0_4arch9wavefront6targetE1EEEvSC_, .Lfunc_end970-_ZN7rocprim17ROCPRIM_400000_NS6detail17trampoline_kernelINS0_14default_configENS1_35radix_sort_onesweep_config_selectorImNS0_10empty_typeEEEZNS1_34radix_sort_onesweep_global_offsetsIS3_Lb0EPmPS5_mNS0_19identity_decomposerEEE10hipError_tT1_T2_PT3_SE_jT4_jjP12ihipStream_tbEUlT_E_NS1_11comp_targetILNS1_3genE8ELNS1_11target_archE1030ELNS1_3gpuE2ELNS1_3repE0EEENS1_52radix_sort_onesweep_histogram_config_static_selectorELNS0_4arch9wavefront6targetE1EEEvSC_
                                        ; -- End function
	.section	.AMDGPU.csdata,"",@progbits
; Kernel info:
; codeLenInByte = 0
; NumSgprs: 4
; NumVgprs: 0
; NumAgprs: 0
; TotalNumVgprs: 0
; ScratchSize: 0
; MemoryBound: 0
; FloatMode: 240
; IeeeMode: 1
; LDSByteSize: 0 bytes/workgroup (compile time only)
; SGPRBlocks: 0
; VGPRBlocks: 0
; NumSGPRsForWavesPerEU: 4
; NumVGPRsForWavesPerEU: 1
; AccumOffset: 4
; Occupancy: 8
; WaveLimiterHint : 0
; COMPUTE_PGM_RSRC2:SCRATCH_EN: 0
; COMPUTE_PGM_RSRC2:USER_SGPR: 6
; COMPUTE_PGM_RSRC2:TRAP_HANDLER: 0
; COMPUTE_PGM_RSRC2:TGID_X_EN: 1
; COMPUTE_PGM_RSRC2:TGID_Y_EN: 0
; COMPUTE_PGM_RSRC2:TGID_Z_EN: 0
; COMPUTE_PGM_RSRC2:TIDIG_COMP_CNT: 0
; COMPUTE_PGM_RSRC3_GFX90A:ACCUM_OFFSET: 0
; COMPUTE_PGM_RSRC3_GFX90A:TG_SPLIT: 0
	.section	.text._ZN7rocprim17ROCPRIM_400000_NS6detail17trampoline_kernelINS0_14default_configENS1_35radix_sort_onesweep_config_selectorImNS0_10empty_typeEEEZNS1_34radix_sort_onesweep_global_offsetsIS3_Lb0EPmPS5_mNS0_19identity_decomposerEEE10hipError_tT1_T2_PT3_SE_jT4_jjP12ihipStream_tbEUlT_E0_NS1_11comp_targetILNS1_3genE0ELNS1_11target_archE4294967295ELNS1_3gpuE0ELNS1_3repE0EEENS1_52radix_sort_onesweep_histogram_config_static_selectorELNS0_4arch9wavefront6targetE1EEEvSC_,"axG",@progbits,_ZN7rocprim17ROCPRIM_400000_NS6detail17trampoline_kernelINS0_14default_configENS1_35radix_sort_onesweep_config_selectorImNS0_10empty_typeEEEZNS1_34radix_sort_onesweep_global_offsetsIS3_Lb0EPmPS5_mNS0_19identity_decomposerEEE10hipError_tT1_T2_PT3_SE_jT4_jjP12ihipStream_tbEUlT_E0_NS1_11comp_targetILNS1_3genE0ELNS1_11target_archE4294967295ELNS1_3gpuE0ELNS1_3repE0EEENS1_52radix_sort_onesweep_histogram_config_static_selectorELNS0_4arch9wavefront6targetE1EEEvSC_,comdat
	.protected	_ZN7rocprim17ROCPRIM_400000_NS6detail17trampoline_kernelINS0_14default_configENS1_35radix_sort_onesweep_config_selectorImNS0_10empty_typeEEEZNS1_34radix_sort_onesweep_global_offsetsIS3_Lb0EPmPS5_mNS0_19identity_decomposerEEE10hipError_tT1_T2_PT3_SE_jT4_jjP12ihipStream_tbEUlT_E0_NS1_11comp_targetILNS1_3genE0ELNS1_11target_archE4294967295ELNS1_3gpuE0ELNS1_3repE0EEENS1_52radix_sort_onesweep_histogram_config_static_selectorELNS0_4arch9wavefront6targetE1EEEvSC_ ; -- Begin function _ZN7rocprim17ROCPRIM_400000_NS6detail17trampoline_kernelINS0_14default_configENS1_35radix_sort_onesweep_config_selectorImNS0_10empty_typeEEEZNS1_34radix_sort_onesweep_global_offsetsIS3_Lb0EPmPS5_mNS0_19identity_decomposerEEE10hipError_tT1_T2_PT3_SE_jT4_jjP12ihipStream_tbEUlT_E0_NS1_11comp_targetILNS1_3genE0ELNS1_11target_archE4294967295ELNS1_3gpuE0ELNS1_3repE0EEENS1_52radix_sort_onesweep_histogram_config_static_selectorELNS0_4arch9wavefront6targetE1EEEvSC_
	.globl	_ZN7rocprim17ROCPRIM_400000_NS6detail17trampoline_kernelINS0_14default_configENS1_35radix_sort_onesweep_config_selectorImNS0_10empty_typeEEEZNS1_34radix_sort_onesweep_global_offsetsIS3_Lb0EPmPS5_mNS0_19identity_decomposerEEE10hipError_tT1_T2_PT3_SE_jT4_jjP12ihipStream_tbEUlT_E0_NS1_11comp_targetILNS1_3genE0ELNS1_11target_archE4294967295ELNS1_3gpuE0ELNS1_3repE0EEENS1_52radix_sort_onesweep_histogram_config_static_selectorELNS0_4arch9wavefront6targetE1EEEvSC_
	.p2align	8
	.type	_ZN7rocprim17ROCPRIM_400000_NS6detail17trampoline_kernelINS0_14default_configENS1_35radix_sort_onesweep_config_selectorImNS0_10empty_typeEEEZNS1_34radix_sort_onesweep_global_offsetsIS3_Lb0EPmPS5_mNS0_19identity_decomposerEEE10hipError_tT1_T2_PT3_SE_jT4_jjP12ihipStream_tbEUlT_E0_NS1_11comp_targetILNS1_3genE0ELNS1_11target_archE4294967295ELNS1_3gpuE0ELNS1_3repE0EEENS1_52radix_sort_onesweep_histogram_config_static_selectorELNS0_4arch9wavefront6targetE1EEEvSC_,@function
_ZN7rocprim17ROCPRIM_400000_NS6detail17trampoline_kernelINS0_14default_configENS1_35radix_sort_onesweep_config_selectorImNS0_10empty_typeEEEZNS1_34radix_sort_onesweep_global_offsetsIS3_Lb0EPmPS5_mNS0_19identity_decomposerEEE10hipError_tT1_T2_PT3_SE_jT4_jjP12ihipStream_tbEUlT_E0_NS1_11comp_targetILNS1_3genE0ELNS1_11target_archE4294967295ELNS1_3gpuE0ELNS1_3repE0EEENS1_52radix_sort_onesweep_histogram_config_static_selectorELNS0_4arch9wavefront6targetE1EEEvSC_: ; @_ZN7rocprim17ROCPRIM_400000_NS6detail17trampoline_kernelINS0_14default_configENS1_35radix_sort_onesweep_config_selectorImNS0_10empty_typeEEEZNS1_34radix_sort_onesweep_global_offsetsIS3_Lb0EPmPS5_mNS0_19identity_decomposerEEE10hipError_tT1_T2_PT3_SE_jT4_jjP12ihipStream_tbEUlT_E0_NS1_11comp_targetILNS1_3genE0ELNS1_11target_archE4294967295ELNS1_3gpuE0ELNS1_3repE0EEENS1_52radix_sort_onesweep_histogram_config_static_selectorELNS0_4arch9wavefront6targetE1EEEvSC_
; %bb.0:
	.section	.rodata,"a",@progbits
	.p2align	6, 0x0
	.amdhsa_kernel _ZN7rocprim17ROCPRIM_400000_NS6detail17trampoline_kernelINS0_14default_configENS1_35radix_sort_onesweep_config_selectorImNS0_10empty_typeEEEZNS1_34radix_sort_onesweep_global_offsetsIS3_Lb0EPmPS5_mNS0_19identity_decomposerEEE10hipError_tT1_T2_PT3_SE_jT4_jjP12ihipStream_tbEUlT_E0_NS1_11comp_targetILNS1_3genE0ELNS1_11target_archE4294967295ELNS1_3gpuE0ELNS1_3repE0EEENS1_52radix_sort_onesweep_histogram_config_static_selectorELNS0_4arch9wavefront6targetE1EEEvSC_
		.amdhsa_group_segment_fixed_size 0
		.amdhsa_private_segment_fixed_size 0
		.amdhsa_kernarg_size 8
		.amdhsa_user_sgpr_count 6
		.amdhsa_user_sgpr_private_segment_buffer 1
		.amdhsa_user_sgpr_dispatch_ptr 0
		.amdhsa_user_sgpr_queue_ptr 0
		.amdhsa_user_sgpr_kernarg_segment_ptr 1
		.amdhsa_user_sgpr_dispatch_id 0
		.amdhsa_user_sgpr_flat_scratch_init 0
		.amdhsa_user_sgpr_kernarg_preload_length 0
		.amdhsa_user_sgpr_kernarg_preload_offset 0
		.amdhsa_user_sgpr_private_segment_size 0
		.amdhsa_uses_dynamic_stack 0
		.amdhsa_system_sgpr_private_segment_wavefront_offset 0
		.amdhsa_system_sgpr_workgroup_id_x 1
		.amdhsa_system_sgpr_workgroup_id_y 0
		.amdhsa_system_sgpr_workgroup_id_z 0
		.amdhsa_system_sgpr_workgroup_info 0
		.amdhsa_system_vgpr_workitem_id 0
		.amdhsa_next_free_vgpr 1
		.amdhsa_next_free_sgpr 0
		.amdhsa_accum_offset 4
		.amdhsa_reserve_vcc 0
		.amdhsa_reserve_flat_scratch 0
		.amdhsa_float_round_mode_32 0
		.amdhsa_float_round_mode_16_64 0
		.amdhsa_float_denorm_mode_32 3
		.amdhsa_float_denorm_mode_16_64 3
		.amdhsa_dx10_clamp 1
		.amdhsa_ieee_mode 1
		.amdhsa_fp16_overflow 0
		.amdhsa_tg_split 0
		.amdhsa_exception_fp_ieee_invalid_op 0
		.amdhsa_exception_fp_denorm_src 0
		.amdhsa_exception_fp_ieee_div_zero 0
		.amdhsa_exception_fp_ieee_overflow 0
		.amdhsa_exception_fp_ieee_underflow 0
		.amdhsa_exception_fp_ieee_inexact 0
		.amdhsa_exception_int_div_zero 0
	.end_amdhsa_kernel
	.section	.text._ZN7rocprim17ROCPRIM_400000_NS6detail17trampoline_kernelINS0_14default_configENS1_35radix_sort_onesweep_config_selectorImNS0_10empty_typeEEEZNS1_34radix_sort_onesweep_global_offsetsIS3_Lb0EPmPS5_mNS0_19identity_decomposerEEE10hipError_tT1_T2_PT3_SE_jT4_jjP12ihipStream_tbEUlT_E0_NS1_11comp_targetILNS1_3genE0ELNS1_11target_archE4294967295ELNS1_3gpuE0ELNS1_3repE0EEENS1_52radix_sort_onesweep_histogram_config_static_selectorELNS0_4arch9wavefront6targetE1EEEvSC_,"axG",@progbits,_ZN7rocprim17ROCPRIM_400000_NS6detail17trampoline_kernelINS0_14default_configENS1_35radix_sort_onesweep_config_selectorImNS0_10empty_typeEEEZNS1_34radix_sort_onesweep_global_offsetsIS3_Lb0EPmPS5_mNS0_19identity_decomposerEEE10hipError_tT1_T2_PT3_SE_jT4_jjP12ihipStream_tbEUlT_E0_NS1_11comp_targetILNS1_3genE0ELNS1_11target_archE4294967295ELNS1_3gpuE0ELNS1_3repE0EEENS1_52radix_sort_onesweep_histogram_config_static_selectorELNS0_4arch9wavefront6targetE1EEEvSC_,comdat
.Lfunc_end971:
	.size	_ZN7rocprim17ROCPRIM_400000_NS6detail17trampoline_kernelINS0_14default_configENS1_35radix_sort_onesweep_config_selectorImNS0_10empty_typeEEEZNS1_34radix_sort_onesweep_global_offsetsIS3_Lb0EPmPS5_mNS0_19identity_decomposerEEE10hipError_tT1_T2_PT3_SE_jT4_jjP12ihipStream_tbEUlT_E0_NS1_11comp_targetILNS1_3genE0ELNS1_11target_archE4294967295ELNS1_3gpuE0ELNS1_3repE0EEENS1_52radix_sort_onesweep_histogram_config_static_selectorELNS0_4arch9wavefront6targetE1EEEvSC_, .Lfunc_end971-_ZN7rocprim17ROCPRIM_400000_NS6detail17trampoline_kernelINS0_14default_configENS1_35radix_sort_onesweep_config_selectorImNS0_10empty_typeEEEZNS1_34radix_sort_onesweep_global_offsetsIS3_Lb0EPmPS5_mNS0_19identity_decomposerEEE10hipError_tT1_T2_PT3_SE_jT4_jjP12ihipStream_tbEUlT_E0_NS1_11comp_targetILNS1_3genE0ELNS1_11target_archE4294967295ELNS1_3gpuE0ELNS1_3repE0EEENS1_52radix_sort_onesweep_histogram_config_static_selectorELNS0_4arch9wavefront6targetE1EEEvSC_
                                        ; -- End function
	.section	.AMDGPU.csdata,"",@progbits
; Kernel info:
; codeLenInByte = 0
; NumSgprs: 4
; NumVgprs: 0
; NumAgprs: 0
; TotalNumVgprs: 0
; ScratchSize: 0
; MemoryBound: 0
; FloatMode: 240
; IeeeMode: 1
; LDSByteSize: 0 bytes/workgroup (compile time only)
; SGPRBlocks: 0
; VGPRBlocks: 0
; NumSGPRsForWavesPerEU: 4
; NumVGPRsForWavesPerEU: 1
; AccumOffset: 4
; Occupancy: 8
; WaveLimiterHint : 0
; COMPUTE_PGM_RSRC2:SCRATCH_EN: 0
; COMPUTE_PGM_RSRC2:USER_SGPR: 6
; COMPUTE_PGM_RSRC2:TRAP_HANDLER: 0
; COMPUTE_PGM_RSRC2:TGID_X_EN: 1
; COMPUTE_PGM_RSRC2:TGID_Y_EN: 0
; COMPUTE_PGM_RSRC2:TGID_Z_EN: 0
; COMPUTE_PGM_RSRC2:TIDIG_COMP_CNT: 0
; COMPUTE_PGM_RSRC3_GFX90A:ACCUM_OFFSET: 0
; COMPUTE_PGM_RSRC3_GFX90A:TG_SPLIT: 0
	.section	.text._ZN7rocprim17ROCPRIM_400000_NS6detail17trampoline_kernelINS0_14default_configENS1_35radix_sort_onesweep_config_selectorImNS0_10empty_typeEEEZNS1_34radix_sort_onesweep_global_offsetsIS3_Lb0EPmPS5_mNS0_19identity_decomposerEEE10hipError_tT1_T2_PT3_SE_jT4_jjP12ihipStream_tbEUlT_E0_NS1_11comp_targetILNS1_3genE6ELNS1_11target_archE950ELNS1_3gpuE13ELNS1_3repE0EEENS1_52radix_sort_onesweep_histogram_config_static_selectorELNS0_4arch9wavefront6targetE1EEEvSC_,"axG",@progbits,_ZN7rocprim17ROCPRIM_400000_NS6detail17trampoline_kernelINS0_14default_configENS1_35radix_sort_onesweep_config_selectorImNS0_10empty_typeEEEZNS1_34radix_sort_onesweep_global_offsetsIS3_Lb0EPmPS5_mNS0_19identity_decomposerEEE10hipError_tT1_T2_PT3_SE_jT4_jjP12ihipStream_tbEUlT_E0_NS1_11comp_targetILNS1_3genE6ELNS1_11target_archE950ELNS1_3gpuE13ELNS1_3repE0EEENS1_52radix_sort_onesweep_histogram_config_static_selectorELNS0_4arch9wavefront6targetE1EEEvSC_,comdat
	.protected	_ZN7rocprim17ROCPRIM_400000_NS6detail17trampoline_kernelINS0_14default_configENS1_35radix_sort_onesweep_config_selectorImNS0_10empty_typeEEEZNS1_34radix_sort_onesweep_global_offsetsIS3_Lb0EPmPS5_mNS0_19identity_decomposerEEE10hipError_tT1_T2_PT3_SE_jT4_jjP12ihipStream_tbEUlT_E0_NS1_11comp_targetILNS1_3genE6ELNS1_11target_archE950ELNS1_3gpuE13ELNS1_3repE0EEENS1_52radix_sort_onesweep_histogram_config_static_selectorELNS0_4arch9wavefront6targetE1EEEvSC_ ; -- Begin function _ZN7rocprim17ROCPRIM_400000_NS6detail17trampoline_kernelINS0_14default_configENS1_35radix_sort_onesweep_config_selectorImNS0_10empty_typeEEEZNS1_34radix_sort_onesweep_global_offsetsIS3_Lb0EPmPS5_mNS0_19identity_decomposerEEE10hipError_tT1_T2_PT3_SE_jT4_jjP12ihipStream_tbEUlT_E0_NS1_11comp_targetILNS1_3genE6ELNS1_11target_archE950ELNS1_3gpuE13ELNS1_3repE0EEENS1_52radix_sort_onesweep_histogram_config_static_selectorELNS0_4arch9wavefront6targetE1EEEvSC_
	.globl	_ZN7rocprim17ROCPRIM_400000_NS6detail17trampoline_kernelINS0_14default_configENS1_35radix_sort_onesweep_config_selectorImNS0_10empty_typeEEEZNS1_34radix_sort_onesweep_global_offsetsIS3_Lb0EPmPS5_mNS0_19identity_decomposerEEE10hipError_tT1_T2_PT3_SE_jT4_jjP12ihipStream_tbEUlT_E0_NS1_11comp_targetILNS1_3genE6ELNS1_11target_archE950ELNS1_3gpuE13ELNS1_3repE0EEENS1_52radix_sort_onesweep_histogram_config_static_selectorELNS0_4arch9wavefront6targetE1EEEvSC_
	.p2align	8
	.type	_ZN7rocprim17ROCPRIM_400000_NS6detail17trampoline_kernelINS0_14default_configENS1_35radix_sort_onesweep_config_selectorImNS0_10empty_typeEEEZNS1_34radix_sort_onesweep_global_offsetsIS3_Lb0EPmPS5_mNS0_19identity_decomposerEEE10hipError_tT1_T2_PT3_SE_jT4_jjP12ihipStream_tbEUlT_E0_NS1_11comp_targetILNS1_3genE6ELNS1_11target_archE950ELNS1_3gpuE13ELNS1_3repE0EEENS1_52radix_sort_onesweep_histogram_config_static_selectorELNS0_4arch9wavefront6targetE1EEEvSC_,@function
_ZN7rocprim17ROCPRIM_400000_NS6detail17trampoline_kernelINS0_14default_configENS1_35radix_sort_onesweep_config_selectorImNS0_10empty_typeEEEZNS1_34radix_sort_onesweep_global_offsetsIS3_Lb0EPmPS5_mNS0_19identity_decomposerEEE10hipError_tT1_T2_PT3_SE_jT4_jjP12ihipStream_tbEUlT_E0_NS1_11comp_targetILNS1_3genE6ELNS1_11target_archE950ELNS1_3gpuE13ELNS1_3repE0EEENS1_52radix_sort_onesweep_histogram_config_static_selectorELNS0_4arch9wavefront6targetE1EEEvSC_: ; @_ZN7rocprim17ROCPRIM_400000_NS6detail17trampoline_kernelINS0_14default_configENS1_35radix_sort_onesweep_config_selectorImNS0_10empty_typeEEEZNS1_34radix_sort_onesweep_global_offsetsIS3_Lb0EPmPS5_mNS0_19identity_decomposerEEE10hipError_tT1_T2_PT3_SE_jT4_jjP12ihipStream_tbEUlT_E0_NS1_11comp_targetILNS1_3genE6ELNS1_11target_archE950ELNS1_3gpuE13ELNS1_3repE0EEENS1_52radix_sort_onesweep_histogram_config_static_selectorELNS0_4arch9wavefront6targetE1EEEvSC_
; %bb.0:
	.section	.rodata,"a",@progbits
	.p2align	6, 0x0
	.amdhsa_kernel _ZN7rocprim17ROCPRIM_400000_NS6detail17trampoline_kernelINS0_14default_configENS1_35radix_sort_onesweep_config_selectorImNS0_10empty_typeEEEZNS1_34radix_sort_onesweep_global_offsetsIS3_Lb0EPmPS5_mNS0_19identity_decomposerEEE10hipError_tT1_T2_PT3_SE_jT4_jjP12ihipStream_tbEUlT_E0_NS1_11comp_targetILNS1_3genE6ELNS1_11target_archE950ELNS1_3gpuE13ELNS1_3repE0EEENS1_52radix_sort_onesweep_histogram_config_static_selectorELNS0_4arch9wavefront6targetE1EEEvSC_
		.amdhsa_group_segment_fixed_size 0
		.amdhsa_private_segment_fixed_size 0
		.amdhsa_kernarg_size 8
		.amdhsa_user_sgpr_count 6
		.amdhsa_user_sgpr_private_segment_buffer 1
		.amdhsa_user_sgpr_dispatch_ptr 0
		.amdhsa_user_sgpr_queue_ptr 0
		.amdhsa_user_sgpr_kernarg_segment_ptr 1
		.amdhsa_user_sgpr_dispatch_id 0
		.amdhsa_user_sgpr_flat_scratch_init 0
		.amdhsa_user_sgpr_kernarg_preload_length 0
		.amdhsa_user_sgpr_kernarg_preload_offset 0
		.amdhsa_user_sgpr_private_segment_size 0
		.amdhsa_uses_dynamic_stack 0
		.amdhsa_system_sgpr_private_segment_wavefront_offset 0
		.amdhsa_system_sgpr_workgroup_id_x 1
		.amdhsa_system_sgpr_workgroup_id_y 0
		.amdhsa_system_sgpr_workgroup_id_z 0
		.amdhsa_system_sgpr_workgroup_info 0
		.amdhsa_system_vgpr_workitem_id 0
		.amdhsa_next_free_vgpr 1
		.amdhsa_next_free_sgpr 0
		.amdhsa_accum_offset 4
		.amdhsa_reserve_vcc 0
		.amdhsa_reserve_flat_scratch 0
		.amdhsa_float_round_mode_32 0
		.amdhsa_float_round_mode_16_64 0
		.amdhsa_float_denorm_mode_32 3
		.amdhsa_float_denorm_mode_16_64 3
		.amdhsa_dx10_clamp 1
		.amdhsa_ieee_mode 1
		.amdhsa_fp16_overflow 0
		.amdhsa_tg_split 0
		.amdhsa_exception_fp_ieee_invalid_op 0
		.amdhsa_exception_fp_denorm_src 0
		.amdhsa_exception_fp_ieee_div_zero 0
		.amdhsa_exception_fp_ieee_overflow 0
		.amdhsa_exception_fp_ieee_underflow 0
		.amdhsa_exception_fp_ieee_inexact 0
		.amdhsa_exception_int_div_zero 0
	.end_amdhsa_kernel
	.section	.text._ZN7rocprim17ROCPRIM_400000_NS6detail17trampoline_kernelINS0_14default_configENS1_35radix_sort_onesweep_config_selectorImNS0_10empty_typeEEEZNS1_34radix_sort_onesweep_global_offsetsIS3_Lb0EPmPS5_mNS0_19identity_decomposerEEE10hipError_tT1_T2_PT3_SE_jT4_jjP12ihipStream_tbEUlT_E0_NS1_11comp_targetILNS1_3genE6ELNS1_11target_archE950ELNS1_3gpuE13ELNS1_3repE0EEENS1_52radix_sort_onesweep_histogram_config_static_selectorELNS0_4arch9wavefront6targetE1EEEvSC_,"axG",@progbits,_ZN7rocprim17ROCPRIM_400000_NS6detail17trampoline_kernelINS0_14default_configENS1_35radix_sort_onesweep_config_selectorImNS0_10empty_typeEEEZNS1_34radix_sort_onesweep_global_offsetsIS3_Lb0EPmPS5_mNS0_19identity_decomposerEEE10hipError_tT1_T2_PT3_SE_jT4_jjP12ihipStream_tbEUlT_E0_NS1_11comp_targetILNS1_3genE6ELNS1_11target_archE950ELNS1_3gpuE13ELNS1_3repE0EEENS1_52radix_sort_onesweep_histogram_config_static_selectorELNS0_4arch9wavefront6targetE1EEEvSC_,comdat
.Lfunc_end972:
	.size	_ZN7rocprim17ROCPRIM_400000_NS6detail17trampoline_kernelINS0_14default_configENS1_35radix_sort_onesweep_config_selectorImNS0_10empty_typeEEEZNS1_34radix_sort_onesweep_global_offsetsIS3_Lb0EPmPS5_mNS0_19identity_decomposerEEE10hipError_tT1_T2_PT3_SE_jT4_jjP12ihipStream_tbEUlT_E0_NS1_11comp_targetILNS1_3genE6ELNS1_11target_archE950ELNS1_3gpuE13ELNS1_3repE0EEENS1_52radix_sort_onesweep_histogram_config_static_selectorELNS0_4arch9wavefront6targetE1EEEvSC_, .Lfunc_end972-_ZN7rocprim17ROCPRIM_400000_NS6detail17trampoline_kernelINS0_14default_configENS1_35radix_sort_onesweep_config_selectorImNS0_10empty_typeEEEZNS1_34radix_sort_onesweep_global_offsetsIS3_Lb0EPmPS5_mNS0_19identity_decomposerEEE10hipError_tT1_T2_PT3_SE_jT4_jjP12ihipStream_tbEUlT_E0_NS1_11comp_targetILNS1_3genE6ELNS1_11target_archE950ELNS1_3gpuE13ELNS1_3repE0EEENS1_52radix_sort_onesweep_histogram_config_static_selectorELNS0_4arch9wavefront6targetE1EEEvSC_
                                        ; -- End function
	.section	.AMDGPU.csdata,"",@progbits
; Kernel info:
; codeLenInByte = 0
; NumSgprs: 4
; NumVgprs: 0
; NumAgprs: 0
; TotalNumVgprs: 0
; ScratchSize: 0
; MemoryBound: 0
; FloatMode: 240
; IeeeMode: 1
; LDSByteSize: 0 bytes/workgroup (compile time only)
; SGPRBlocks: 0
; VGPRBlocks: 0
; NumSGPRsForWavesPerEU: 4
; NumVGPRsForWavesPerEU: 1
; AccumOffset: 4
; Occupancy: 8
; WaveLimiterHint : 0
; COMPUTE_PGM_RSRC2:SCRATCH_EN: 0
; COMPUTE_PGM_RSRC2:USER_SGPR: 6
; COMPUTE_PGM_RSRC2:TRAP_HANDLER: 0
; COMPUTE_PGM_RSRC2:TGID_X_EN: 1
; COMPUTE_PGM_RSRC2:TGID_Y_EN: 0
; COMPUTE_PGM_RSRC2:TGID_Z_EN: 0
; COMPUTE_PGM_RSRC2:TIDIG_COMP_CNT: 0
; COMPUTE_PGM_RSRC3_GFX90A:ACCUM_OFFSET: 0
; COMPUTE_PGM_RSRC3_GFX90A:TG_SPLIT: 0
	.section	.text._ZN7rocprim17ROCPRIM_400000_NS6detail17trampoline_kernelINS0_14default_configENS1_35radix_sort_onesweep_config_selectorImNS0_10empty_typeEEEZNS1_34radix_sort_onesweep_global_offsetsIS3_Lb0EPmPS5_mNS0_19identity_decomposerEEE10hipError_tT1_T2_PT3_SE_jT4_jjP12ihipStream_tbEUlT_E0_NS1_11comp_targetILNS1_3genE5ELNS1_11target_archE942ELNS1_3gpuE9ELNS1_3repE0EEENS1_52radix_sort_onesweep_histogram_config_static_selectorELNS0_4arch9wavefront6targetE1EEEvSC_,"axG",@progbits,_ZN7rocprim17ROCPRIM_400000_NS6detail17trampoline_kernelINS0_14default_configENS1_35radix_sort_onesweep_config_selectorImNS0_10empty_typeEEEZNS1_34radix_sort_onesweep_global_offsetsIS3_Lb0EPmPS5_mNS0_19identity_decomposerEEE10hipError_tT1_T2_PT3_SE_jT4_jjP12ihipStream_tbEUlT_E0_NS1_11comp_targetILNS1_3genE5ELNS1_11target_archE942ELNS1_3gpuE9ELNS1_3repE0EEENS1_52radix_sort_onesweep_histogram_config_static_selectorELNS0_4arch9wavefront6targetE1EEEvSC_,comdat
	.protected	_ZN7rocprim17ROCPRIM_400000_NS6detail17trampoline_kernelINS0_14default_configENS1_35radix_sort_onesweep_config_selectorImNS0_10empty_typeEEEZNS1_34radix_sort_onesweep_global_offsetsIS3_Lb0EPmPS5_mNS0_19identity_decomposerEEE10hipError_tT1_T2_PT3_SE_jT4_jjP12ihipStream_tbEUlT_E0_NS1_11comp_targetILNS1_3genE5ELNS1_11target_archE942ELNS1_3gpuE9ELNS1_3repE0EEENS1_52radix_sort_onesweep_histogram_config_static_selectorELNS0_4arch9wavefront6targetE1EEEvSC_ ; -- Begin function _ZN7rocprim17ROCPRIM_400000_NS6detail17trampoline_kernelINS0_14default_configENS1_35radix_sort_onesweep_config_selectorImNS0_10empty_typeEEEZNS1_34radix_sort_onesweep_global_offsetsIS3_Lb0EPmPS5_mNS0_19identity_decomposerEEE10hipError_tT1_T2_PT3_SE_jT4_jjP12ihipStream_tbEUlT_E0_NS1_11comp_targetILNS1_3genE5ELNS1_11target_archE942ELNS1_3gpuE9ELNS1_3repE0EEENS1_52radix_sort_onesweep_histogram_config_static_selectorELNS0_4arch9wavefront6targetE1EEEvSC_
	.globl	_ZN7rocprim17ROCPRIM_400000_NS6detail17trampoline_kernelINS0_14default_configENS1_35radix_sort_onesweep_config_selectorImNS0_10empty_typeEEEZNS1_34radix_sort_onesweep_global_offsetsIS3_Lb0EPmPS5_mNS0_19identity_decomposerEEE10hipError_tT1_T2_PT3_SE_jT4_jjP12ihipStream_tbEUlT_E0_NS1_11comp_targetILNS1_3genE5ELNS1_11target_archE942ELNS1_3gpuE9ELNS1_3repE0EEENS1_52radix_sort_onesweep_histogram_config_static_selectorELNS0_4arch9wavefront6targetE1EEEvSC_
	.p2align	8
	.type	_ZN7rocprim17ROCPRIM_400000_NS6detail17trampoline_kernelINS0_14default_configENS1_35radix_sort_onesweep_config_selectorImNS0_10empty_typeEEEZNS1_34radix_sort_onesweep_global_offsetsIS3_Lb0EPmPS5_mNS0_19identity_decomposerEEE10hipError_tT1_T2_PT3_SE_jT4_jjP12ihipStream_tbEUlT_E0_NS1_11comp_targetILNS1_3genE5ELNS1_11target_archE942ELNS1_3gpuE9ELNS1_3repE0EEENS1_52radix_sort_onesweep_histogram_config_static_selectorELNS0_4arch9wavefront6targetE1EEEvSC_,@function
_ZN7rocprim17ROCPRIM_400000_NS6detail17trampoline_kernelINS0_14default_configENS1_35radix_sort_onesweep_config_selectorImNS0_10empty_typeEEEZNS1_34radix_sort_onesweep_global_offsetsIS3_Lb0EPmPS5_mNS0_19identity_decomposerEEE10hipError_tT1_T2_PT3_SE_jT4_jjP12ihipStream_tbEUlT_E0_NS1_11comp_targetILNS1_3genE5ELNS1_11target_archE942ELNS1_3gpuE9ELNS1_3repE0EEENS1_52radix_sort_onesweep_histogram_config_static_selectorELNS0_4arch9wavefront6targetE1EEEvSC_: ; @_ZN7rocprim17ROCPRIM_400000_NS6detail17trampoline_kernelINS0_14default_configENS1_35radix_sort_onesweep_config_selectorImNS0_10empty_typeEEEZNS1_34radix_sort_onesweep_global_offsetsIS3_Lb0EPmPS5_mNS0_19identity_decomposerEEE10hipError_tT1_T2_PT3_SE_jT4_jjP12ihipStream_tbEUlT_E0_NS1_11comp_targetILNS1_3genE5ELNS1_11target_archE942ELNS1_3gpuE9ELNS1_3repE0EEENS1_52radix_sort_onesweep_histogram_config_static_selectorELNS0_4arch9wavefront6targetE1EEEvSC_
; %bb.0:
	.section	.rodata,"a",@progbits
	.p2align	6, 0x0
	.amdhsa_kernel _ZN7rocprim17ROCPRIM_400000_NS6detail17trampoline_kernelINS0_14default_configENS1_35radix_sort_onesweep_config_selectorImNS0_10empty_typeEEEZNS1_34radix_sort_onesweep_global_offsetsIS3_Lb0EPmPS5_mNS0_19identity_decomposerEEE10hipError_tT1_T2_PT3_SE_jT4_jjP12ihipStream_tbEUlT_E0_NS1_11comp_targetILNS1_3genE5ELNS1_11target_archE942ELNS1_3gpuE9ELNS1_3repE0EEENS1_52radix_sort_onesweep_histogram_config_static_selectorELNS0_4arch9wavefront6targetE1EEEvSC_
		.amdhsa_group_segment_fixed_size 0
		.amdhsa_private_segment_fixed_size 0
		.amdhsa_kernarg_size 8
		.amdhsa_user_sgpr_count 6
		.amdhsa_user_sgpr_private_segment_buffer 1
		.amdhsa_user_sgpr_dispatch_ptr 0
		.amdhsa_user_sgpr_queue_ptr 0
		.amdhsa_user_sgpr_kernarg_segment_ptr 1
		.amdhsa_user_sgpr_dispatch_id 0
		.amdhsa_user_sgpr_flat_scratch_init 0
		.amdhsa_user_sgpr_kernarg_preload_length 0
		.amdhsa_user_sgpr_kernarg_preload_offset 0
		.amdhsa_user_sgpr_private_segment_size 0
		.amdhsa_uses_dynamic_stack 0
		.amdhsa_system_sgpr_private_segment_wavefront_offset 0
		.amdhsa_system_sgpr_workgroup_id_x 1
		.amdhsa_system_sgpr_workgroup_id_y 0
		.amdhsa_system_sgpr_workgroup_id_z 0
		.amdhsa_system_sgpr_workgroup_info 0
		.amdhsa_system_vgpr_workitem_id 0
		.amdhsa_next_free_vgpr 1
		.amdhsa_next_free_sgpr 0
		.amdhsa_accum_offset 4
		.amdhsa_reserve_vcc 0
		.amdhsa_reserve_flat_scratch 0
		.amdhsa_float_round_mode_32 0
		.amdhsa_float_round_mode_16_64 0
		.amdhsa_float_denorm_mode_32 3
		.amdhsa_float_denorm_mode_16_64 3
		.amdhsa_dx10_clamp 1
		.amdhsa_ieee_mode 1
		.amdhsa_fp16_overflow 0
		.amdhsa_tg_split 0
		.amdhsa_exception_fp_ieee_invalid_op 0
		.amdhsa_exception_fp_denorm_src 0
		.amdhsa_exception_fp_ieee_div_zero 0
		.amdhsa_exception_fp_ieee_overflow 0
		.amdhsa_exception_fp_ieee_underflow 0
		.amdhsa_exception_fp_ieee_inexact 0
		.amdhsa_exception_int_div_zero 0
	.end_amdhsa_kernel
	.section	.text._ZN7rocprim17ROCPRIM_400000_NS6detail17trampoline_kernelINS0_14default_configENS1_35radix_sort_onesweep_config_selectorImNS0_10empty_typeEEEZNS1_34radix_sort_onesweep_global_offsetsIS3_Lb0EPmPS5_mNS0_19identity_decomposerEEE10hipError_tT1_T2_PT3_SE_jT4_jjP12ihipStream_tbEUlT_E0_NS1_11comp_targetILNS1_3genE5ELNS1_11target_archE942ELNS1_3gpuE9ELNS1_3repE0EEENS1_52radix_sort_onesweep_histogram_config_static_selectorELNS0_4arch9wavefront6targetE1EEEvSC_,"axG",@progbits,_ZN7rocprim17ROCPRIM_400000_NS6detail17trampoline_kernelINS0_14default_configENS1_35radix_sort_onesweep_config_selectorImNS0_10empty_typeEEEZNS1_34radix_sort_onesweep_global_offsetsIS3_Lb0EPmPS5_mNS0_19identity_decomposerEEE10hipError_tT1_T2_PT3_SE_jT4_jjP12ihipStream_tbEUlT_E0_NS1_11comp_targetILNS1_3genE5ELNS1_11target_archE942ELNS1_3gpuE9ELNS1_3repE0EEENS1_52radix_sort_onesweep_histogram_config_static_selectorELNS0_4arch9wavefront6targetE1EEEvSC_,comdat
.Lfunc_end973:
	.size	_ZN7rocprim17ROCPRIM_400000_NS6detail17trampoline_kernelINS0_14default_configENS1_35radix_sort_onesweep_config_selectorImNS0_10empty_typeEEEZNS1_34radix_sort_onesweep_global_offsetsIS3_Lb0EPmPS5_mNS0_19identity_decomposerEEE10hipError_tT1_T2_PT3_SE_jT4_jjP12ihipStream_tbEUlT_E0_NS1_11comp_targetILNS1_3genE5ELNS1_11target_archE942ELNS1_3gpuE9ELNS1_3repE0EEENS1_52radix_sort_onesweep_histogram_config_static_selectorELNS0_4arch9wavefront6targetE1EEEvSC_, .Lfunc_end973-_ZN7rocprim17ROCPRIM_400000_NS6detail17trampoline_kernelINS0_14default_configENS1_35radix_sort_onesweep_config_selectorImNS0_10empty_typeEEEZNS1_34radix_sort_onesweep_global_offsetsIS3_Lb0EPmPS5_mNS0_19identity_decomposerEEE10hipError_tT1_T2_PT3_SE_jT4_jjP12ihipStream_tbEUlT_E0_NS1_11comp_targetILNS1_3genE5ELNS1_11target_archE942ELNS1_3gpuE9ELNS1_3repE0EEENS1_52radix_sort_onesweep_histogram_config_static_selectorELNS0_4arch9wavefront6targetE1EEEvSC_
                                        ; -- End function
	.section	.AMDGPU.csdata,"",@progbits
; Kernel info:
; codeLenInByte = 0
; NumSgprs: 4
; NumVgprs: 0
; NumAgprs: 0
; TotalNumVgprs: 0
; ScratchSize: 0
; MemoryBound: 0
; FloatMode: 240
; IeeeMode: 1
; LDSByteSize: 0 bytes/workgroup (compile time only)
; SGPRBlocks: 0
; VGPRBlocks: 0
; NumSGPRsForWavesPerEU: 4
; NumVGPRsForWavesPerEU: 1
; AccumOffset: 4
; Occupancy: 8
; WaveLimiterHint : 0
; COMPUTE_PGM_RSRC2:SCRATCH_EN: 0
; COMPUTE_PGM_RSRC2:USER_SGPR: 6
; COMPUTE_PGM_RSRC2:TRAP_HANDLER: 0
; COMPUTE_PGM_RSRC2:TGID_X_EN: 1
; COMPUTE_PGM_RSRC2:TGID_Y_EN: 0
; COMPUTE_PGM_RSRC2:TGID_Z_EN: 0
; COMPUTE_PGM_RSRC2:TIDIG_COMP_CNT: 0
; COMPUTE_PGM_RSRC3_GFX90A:ACCUM_OFFSET: 0
; COMPUTE_PGM_RSRC3_GFX90A:TG_SPLIT: 0
	.section	.text._ZN7rocprim17ROCPRIM_400000_NS6detail17trampoline_kernelINS0_14default_configENS1_35radix_sort_onesweep_config_selectorImNS0_10empty_typeEEEZNS1_34radix_sort_onesweep_global_offsetsIS3_Lb0EPmPS5_mNS0_19identity_decomposerEEE10hipError_tT1_T2_PT3_SE_jT4_jjP12ihipStream_tbEUlT_E0_NS1_11comp_targetILNS1_3genE2ELNS1_11target_archE906ELNS1_3gpuE6ELNS1_3repE0EEENS1_52radix_sort_onesweep_histogram_config_static_selectorELNS0_4arch9wavefront6targetE1EEEvSC_,"axG",@progbits,_ZN7rocprim17ROCPRIM_400000_NS6detail17trampoline_kernelINS0_14default_configENS1_35radix_sort_onesweep_config_selectorImNS0_10empty_typeEEEZNS1_34radix_sort_onesweep_global_offsetsIS3_Lb0EPmPS5_mNS0_19identity_decomposerEEE10hipError_tT1_T2_PT3_SE_jT4_jjP12ihipStream_tbEUlT_E0_NS1_11comp_targetILNS1_3genE2ELNS1_11target_archE906ELNS1_3gpuE6ELNS1_3repE0EEENS1_52radix_sort_onesweep_histogram_config_static_selectorELNS0_4arch9wavefront6targetE1EEEvSC_,comdat
	.protected	_ZN7rocprim17ROCPRIM_400000_NS6detail17trampoline_kernelINS0_14default_configENS1_35radix_sort_onesweep_config_selectorImNS0_10empty_typeEEEZNS1_34radix_sort_onesweep_global_offsetsIS3_Lb0EPmPS5_mNS0_19identity_decomposerEEE10hipError_tT1_T2_PT3_SE_jT4_jjP12ihipStream_tbEUlT_E0_NS1_11comp_targetILNS1_3genE2ELNS1_11target_archE906ELNS1_3gpuE6ELNS1_3repE0EEENS1_52radix_sort_onesweep_histogram_config_static_selectorELNS0_4arch9wavefront6targetE1EEEvSC_ ; -- Begin function _ZN7rocprim17ROCPRIM_400000_NS6detail17trampoline_kernelINS0_14default_configENS1_35radix_sort_onesweep_config_selectorImNS0_10empty_typeEEEZNS1_34radix_sort_onesweep_global_offsetsIS3_Lb0EPmPS5_mNS0_19identity_decomposerEEE10hipError_tT1_T2_PT3_SE_jT4_jjP12ihipStream_tbEUlT_E0_NS1_11comp_targetILNS1_3genE2ELNS1_11target_archE906ELNS1_3gpuE6ELNS1_3repE0EEENS1_52radix_sort_onesweep_histogram_config_static_selectorELNS0_4arch9wavefront6targetE1EEEvSC_
	.globl	_ZN7rocprim17ROCPRIM_400000_NS6detail17trampoline_kernelINS0_14default_configENS1_35radix_sort_onesweep_config_selectorImNS0_10empty_typeEEEZNS1_34radix_sort_onesweep_global_offsetsIS3_Lb0EPmPS5_mNS0_19identity_decomposerEEE10hipError_tT1_T2_PT3_SE_jT4_jjP12ihipStream_tbEUlT_E0_NS1_11comp_targetILNS1_3genE2ELNS1_11target_archE906ELNS1_3gpuE6ELNS1_3repE0EEENS1_52radix_sort_onesweep_histogram_config_static_selectorELNS0_4arch9wavefront6targetE1EEEvSC_
	.p2align	8
	.type	_ZN7rocprim17ROCPRIM_400000_NS6detail17trampoline_kernelINS0_14default_configENS1_35radix_sort_onesweep_config_selectorImNS0_10empty_typeEEEZNS1_34radix_sort_onesweep_global_offsetsIS3_Lb0EPmPS5_mNS0_19identity_decomposerEEE10hipError_tT1_T2_PT3_SE_jT4_jjP12ihipStream_tbEUlT_E0_NS1_11comp_targetILNS1_3genE2ELNS1_11target_archE906ELNS1_3gpuE6ELNS1_3repE0EEENS1_52radix_sort_onesweep_histogram_config_static_selectorELNS0_4arch9wavefront6targetE1EEEvSC_,@function
_ZN7rocprim17ROCPRIM_400000_NS6detail17trampoline_kernelINS0_14default_configENS1_35radix_sort_onesweep_config_selectorImNS0_10empty_typeEEEZNS1_34radix_sort_onesweep_global_offsetsIS3_Lb0EPmPS5_mNS0_19identity_decomposerEEE10hipError_tT1_T2_PT3_SE_jT4_jjP12ihipStream_tbEUlT_E0_NS1_11comp_targetILNS1_3genE2ELNS1_11target_archE906ELNS1_3gpuE6ELNS1_3repE0EEENS1_52radix_sort_onesweep_histogram_config_static_selectorELNS0_4arch9wavefront6targetE1EEEvSC_: ; @_ZN7rocprim17ROCPRIM_400000_NS6detail17trampoline_kernelINS0_14default_configENS1_35radix_sort_onesweep_config_selectorImNS0_10empty_typeEEEZNS1_34radix_sort_onesweep_global_offsetsIS3_Lb0EPmPS5_mNS0_19identity_decomposerEEE10hipError_tT1_T2_PT3_SE_jT4_jjP12ihipStream_tbEUlT_E0_NS1_11comp_targetILNS1_3genE2ELNS1_11target_archE906ELNS1_3gpuE6ELNS1_3repE0EEENS1_52radix_sort_onesweep_histogram_config_static_selectorELNS0_4arch9wavefront6targetE1EEEvSC_
; %bb.0:
	.section	.rodata,"a",@progbits
	.p2align	6, 0x0
	.amdhsa_kernel _ZN7rocprim17ROCPRIM_400000_NS6detail17trampoline_kernelINS0_14default_configENS1_35radix_sort_onesweep_config_selectorImNS0_10empty_typeEEEZNS1_34radix_sort_onesweep_global_offsetsIS3_Lb0EPmPS5_mNS0_19identity_decomposerEEE10hipError_tT1_T2_PT3_SE_jT4_jjP12ihipStream_tbEUlT_E0_NS1_11comp_targetILNS1_3genE2ELNS1_11target_archE906ELNS1_3gpuE6ELNS1_3repE0EEENS1_52radix_sort_onesweep_histogram_config_static_selectorELNS0_4arch9wavefront6targetE1EEEvSC_
		.amdhsa_group_segment_fixed_size 0
		.amdhsa_private_segment_fixed_size 0
		.amdhsa_kernarg_size 8
		.amdhsa_user_sgpr_count 6
		.amdhsa_user_sgpr_private_segment_buffer 1
		.amdhsa_user_sgpr_dispatch_ptr 0
		.amdhsa_user_sgpr_queue_ptr 0
		.amdhsa_user_sgpr_kernarg_segment_ptr 1
		.amdhsa_user_sgpr_dispatch_id 0
		.amdhsa_user_sgpr_flat_scratch_init 0
		.amdhsa_user_sgpr_kernarg_preload_length 0
		.amdhsa_user_sgpr_kernarg_preload_offset 0
		.amdhsa_user_sgpr_private_segment_size 0
		.amdhsa_uses_dynamic_stack 0
		.amdhsa_system_sgpr_private_segment_wavefront_offset 0
		.amdhsa_system_sgpr_workgroup_id_x 1
		.amdhsa_system_sgpr_workgroup_id_y 0
		.amdhsa_system_sgpr_workgroup_id_z 0
		.amdhsa_system_sgpr_workgroup_info 0
		.amdhsa_system_vgpr_workitem_id 0
		.amdhsa_next_free_vgpr 1
		.amdhsa_next_free_sgpr 0
		.amdhsa_accum_offset 4
		.amdhsa_reserve_vcc 0
		.amdhsa_reserve_flat_scratch 0
		.amdhsa_float_round_mode_32 0
		.amdhsa_float_round_mode_16_64 0
		.amdhsa_float_denorm_mode_32 3
		.amdhsa_float_denorm_mode_16_64 3
		.amdhsa_dx10_clamp 1
		.amdhsa_ieee_mode 1
		.amdhsa_fp16_overflow 0
		.amdhsa_tg_split 0
		.amdhsa_exception_fp_ieee_invalid_op 0
		.amdhsa_exception_fp_denorm_src 0
		.amdhsa_exception_fp_ieee_div_zero 0
		.amdhsa_exception_fp_ieee_overflow 0
		.amdhsa_exception_fp_ieee_underflow 0
		.amdhsa_exception_fp_ieee_inexact 0
		.amdhsa_exception_int_div_zero 0
	.end_amdhsa_kernel
	.section	.text._ZN7rocprim17ROCPRIM_400000_NS6detail17trampoline_kernelINS0_14default_configENS1_35radix_sort_onesweep_config_selectorImNS0_10empty_typeEEEZNS1_34radix_sort_onesweep_global_offsetsIS3_Lb0EPmPS5_mNS0_19identity_decomposerEEE10hipError_tT1_T2_PT3_SE_jT4_jjP12ihipStream_tbEUlT_E0_NS1_11comp_targetILNS1_3genE2ELNS1_11target_archE906ELNS1_3gpuE6ELNS1_3repE0EEENS1_52radix_sort_onesweep_histogram_config_static_selectorELNS0_4arch9wavefront6targetE1EEEvSC_,"axG",@progbits,_ZN7rocprim17ROCPRIM_400000_NS6detail17trampoline_kernelINS0_14default_configENS1_35radix_sort_onesweep_config_selectorImNS0_10empty_typeEEEZNS1_34radix_sort_onesweep_global_offsetsIS3_Lb0EPmPS5_mNS0_19identity_decomposerEEE10hipError_tT1_T2_PT3_SE_jT4_jjP12ihipStream_tbEUlT_E0_NS1_11comp_targetILNS1_3genE2ELNS1_11target_archE906ELNS1_3gpuE6ELNS1_3repE0EEENS1_52radix_sort_onesweep_histogram_config_static_selectorELNS0_4arch9wavefront6targetE1EEEvSC_,comdat
.Lfunc_end974:
	.size	_ZN7rocprim17ROCPRIM_400000_NS6detail17trampoline_kernelINS0_14default_configENS1_35radix_sort_onesweep_config_selectorImNS0_10empty_typeEEEZNS1_34radix_sort_onesweep_global_offsetsIS3_Lb0EPmPS5_mNS0_19identity_decomposerEEE10hipError_tT1_T2_PT3_SE_jT4_jjP12ihipStream_tbEUlT_E0_NS1_11comp_targetILNS1_3genE2ELNS1_11target_archE906ELNS1_3gpuE6ELNS1_3repE0EEENS1_52radix_sort_onesweep_histogram_config_static_selectorELNS0_4arch9wavefront6targetE1EEEvSC_, .Lfunc_end974-_ZN7rocprim17ROCPRIM_400000_NS6detail17trampoline_kernelINS0_14default_configENS1_35radix_sort_onesweep_config_selectorImNS0_10empty_typeEEEZNS1_34radix_sort_onesweep_global_offsetsIS3_Lb0EPmPS5_mNS0_19identity_decomposerEEE10hipError_tT1_T2_PT3_SE_jT4_jjP12ihipStream_tbEUlT_E0_NS1_11comp_targetILNS1_3genE2ELNS1_11target_archE906ELNS1_3gpuE6ELNS1_3repE0EEENS1_52radix_sort_onesweep_histogram_config_static_selectorELNS0_4arch9wavefront6targetE1EEEvSC_
                                        ; -- End function
	.section	.AMDGPU.csdata,"",@progbits
; Kernel info:
; codeLenInByte = 0
; NumSgprs: 4
; NumVgprs: 0
; NumAgprs: 0
; TotalNumVgprs: 0
; ScratchSize: 0
; MemoryBound: 0
; FloatMode: 240
; IeeeMode: 1
; LDSByteSize: 0 bytes/workgroup (compile time only)
; SGPRBlocks: 0
; VGPRBlocks: 0
; NumSGPRsForWavesPerEU: 4
; NumVGPRsForWavesPerEU: 1
; AccumOffset: 4
; Occupancy: 8
; WaveLimiterHint : 0
; COMPUTE_PGM_RSRC2:SCRATCH_EN: 0
; COMPUTE_PGM_RSRC2:USER_SGPR: 6
; COMPUTE_PGM_RSRC2:TRAP_HANDLER: 0
; COMPUTE_PGM_RSRC2:TGID_X_EN: 1
; COMPUTE_PGM_RSRC2:TGID_Y_EN: 0
; COMPUTE_PGM_RSRC2:TGID_Z_EN: 0
; COMPUTE_PGM_RSRC2:TIDIG_COMP_CNT: 0
; COMPUTE_PGM_RSRC3_GFX90A:ACCUM_OFFSET: 0
; COMPUTE_PGM_RSRC3_GFX90A:TG_SPLIT: 0
	.section	.text._ZN7rocprim17ROCPRIM_400000_NS6detail17trampoline_kernelINS0_14default_configENS1_35radix_sort_onesweep_config_selectorImNS0_10empty_typeEEEZNS1_34radix_sort_onesweep_global_offsetsIS3_Lb0EPmPS5_mNS0_19identity_decomposerEEE10hipError_tT1_T2_PT3_SE_jT4_jjP12ihipStream_tbEUlT_E0_NS1_11comp_targetILNS1_3genE4ELNS1_11target_archE910ELNS1_3gpuE8ELNS1_3repE0EEENS1_52radix_sort_onesweep_histogram_config_static_selectorELNS0_4arch9wavefront6targetE1EEEvSC_,"axG",@progbits,_ZN7rocprim17ROCPRIM_400000_NS6detail17trampoline_kernelINS0_14default_configENS1_35radix_sort_onesweep_config_selectorImNS0_10empty_typeEEEZNS1_34radix_sort_onesweep_global_offsetsIS3_Lb0EPmPS5_mNS0_19identity_decomposerEEE10hipError_tT1_T2_PT3_SE_jT4_jjP12ihipStream_tbEUlT_E0_NS1_11comp_targetILNS1_3genE4ELNS1_11target_archE910ELNS1_3gpuE8ELNS1_3repE0EEENS1_52radix_sort_onesweep_histogram_config_static_selectorELNS0_4arch9wavefront6targetE1EEEvSC_,comdat
	.protected	_ZN7rocprim17ROCPRIM_400000_NS6detail17trampoline_kernelINS0_14default_configENS1_35radix_sort_onesweep_config_selectorImNS0_10empty_typeEEEZNS1_34radix_sort_onesweep_global_offsetsIS3_Lb0EPmPS5_mNS0_19identity_decomposerEEE10hipError_tT1_T2_PT3_SE_jT4_jjP12ihipStream_tbEUlT_E0_NS1_11comp_targetILNS1_3genE4ELNS1_11target_archE910ELNS1_3gpuE8ELNS1_3repE0EEENS1_52radix_sort_onesweep_histogram_config_static_selectorELNS0_4arch9wavefront6targetE1EEEvSC_ ; -- Begin function _ZN7rocprim17ROCPRIM_400000_NS6detail17trampoline_kernelINS0_14default_configENS1_35radix_sort_onesweep_config_selectorImNS0_10empty_typeEEEZNS1_34radix_sort_onesweep_global_offsetsIS3_Lb0EPmPS5_mNS0_19identity_decomposerEEE10hipError_tT1_T2_PT3_SE_jT4_jjP12ihipStream_tbEUlT_E0_NS1_11comp_targetILNS1_3genE4ELNS1_11target_archE910ELNS1_3gpuE8ELNS1_3repE0EEENS1_52radix_sort_onesweep_histogram_config_static_selectorELNS0_4arch9wavefront6targetE1EEEvSC_
	.globl	_ZN7rocprim17ROCPRIM_400000_NS6detail17trampoline_kernelINS0_14default_configENS1_35radix_sort_onesweep_config_selectorImNS0_10empty_typeEEEZNS1_34radix_sort_onesweep_global_offsetsIS3_Lb0EPmPS5_mNS0_19identity_decomposerEEE10hipError_tT1_T2_PT3_SE_jT4_jjP12ihipStream_tbEUlT_E0_NS1_11comp_targetILNS1_3genE4ELNS1_11target_archE910ELNS1_3gpuE8ELNS1_3repE0EEENS1_52radix_sort_onesweep_histogram_config_static_selectorELNS0_4arch9wavefront6targetE1EEEvSC_
	.p2align	8
	.type	_ZN7rocprim17ROCPRIM_400000_NS6detail17trampoline_kernelINS0_14default_configENS1_35radix_sort_onesweep_config_selectorImNS0_10empty_typeEEEZNS1_34radix_sort_onesweep_global_offsetsIS3_Lb0EPmPS5_mNS0_19identity_decomposerEEE10hipError_tT1_T2_PT3_SE_jT4_jjP12ihipStream_tbEUlT_E0_NS1_11comp_targetILNS1_3genE4ELNS1_11target_archE910ELNS1_3gpuE8ELNS1_3repE0EEENS1_52radix_sort_onesweep_histogram_config_static_selectorELNS0_4arch9wavefront6targetE1EEEvSC_,@function
_ZN7rocprim17ROCPRIM_400000_NS6detail17trampoline_kernelINS0_14default_configENS1_35radix_sort_onesweep_config_selectorImNS0_10empty_typeEEEZNS1_34radix_sort_onesweep_global_offsetsIS3_Lb0EPmPS5_mNS0_19identity_decomposerEEE10hipError_tT1_T2_PT3_SE_jT4_jjP12ihipStream_tbEUlT_E0_NS1_11comp_targetILNS1_3genE4ELNS1_11target_archE910ELNS1_3gpuE8ELNS1_3repE0EEENS1_52radix_sort_onesweep_histogram_config_static_selectorELNS0_4arch9wavefront6targetE1EEEvSC_: ; @_ZN7rocprim17ROCPRIM_400000_NS6detail17trampoline_kernelINS0_14default_configENS1_35radix_sort_onesweep_config_selectorImNS0_10empty_typeEEEZNS1_34radix_sort_onesweep_global_offsetsIS3_Lb0EPmPS5_mNS0_19identity_decomposerEEE10hipError_tT1_T2_PT3_SE_jT4_jjP12ihipStream_tbEUlT_E0_NS1_11comp_targetILNS1_3genE4ELNS1_11target_archE910ELNS1_3gpuE8ELNS1_3repE0EEENS1_52radix_sort_onesweep_histogram_config_static_selectorELNS0_4arch9wavefront6targetE1EEEvSC_
; %bb.0:
	s_load_dwordx2 s[0:1], s[4:5], 0x0
	s_lshl_b32 s2, s6, 8
	s_mov_b32 s3, 0
	s_lshl_b64 s[2:3], s[2:3], 3
	v_lshlrev_b32_e32 v5, 3, v0
	s_waitcnt lgkmcnt(0)
	s_add_u32 s14, s0, s2
	s_movk_i32 s0, 0x100
	s_addc_u32 s15, s1, s3
	v_cmp_gt_u32_e32 vcc, s0, v0
                                        ; implicit-def: $vgpr2_vgpr3
	s_and_saveexec_b64 s[0:1], vcc
	s_cbranch_execz .LBB975_2
; %bb.1:
	global_load_dwordx2 v[2:3], v5, s[14:15]
.LBB975_2:
	s_or_b64 exec, exec, s[0:1]
	s_waitcnt vmcnt(0)
	v_mov_b32_dpp v4, v2 row_shr:1 row_mask:0xf bank_mask:0xf
	v_add_co_u32_e64 v4, s[0:1], v2, v4
	v_mbcnt_lo_u32_b32 v1, -1, 0
	v_addc_co_u32_e64 v8, s[0:1], 0, v3, s[0:1]
	v_mbcnt_hi_u32_b32 v6, -1, v1
	v_mov_b32_dpp v7, v3 row_shr:1 row_mask:0xf bank_mask:0xf
	v_add_co_u32_e64 v9, s[0:1], 0, v4
	v_and_b32_e32 v1, 15, v6
	v_addc_co_u32_e64 v7, s[0:1], v7, v8, s[0:1]
	v_cmp_eq_u32_e64 s[0:1], 0, v1
	v_cndmask_b32_e64 v4, v4, v2, s[0:1]
	v_cndmask_b32_e64 v7, v7, v3, s[0:1]
	v_cndmask_b32_e64 v8, v9, v2, s[0:1]
	v_mov_b32_dpp v9, v4 row_shr:2 row_mask:0xf bank_mask:0xf
	v_mov_b32_dpp v10, v7 row_shr:2 row_mask:0xf bank_mask:0xf
	v_add_co_u32_e64 v9, s[2:3], v9, v8
	v_cmp_lt_u32_e64 s[4:5], 1, v1
	v_addc_co_u32_e64 v10, s[2:3], v10, v7, s[2:3]
	v_cndmask_b32_e64 v4, v4, v9, s[4:5]
	v_cndmask_b32_e64 v7, v7, v10, s[4:5]
	v_cndmask_b32_e64 v8, v8, v9, s[4:5]
	v_mov_b32_dpp v9, v4 row_shr:4 row_mask:0xf bank_mask:0xf
	v_mov_b32_dpp v10, v7 row_shr:4 row_mask:0xf bank_mask:0xf
	v_add_co_u32_e64 v9, s[2:3], v9, v8
	v_cmp_lt_u32_e64 s[6:7], 3, v1
	v_addc_co_u32_e64 v10, s[2:3], v10, v7, s[2:3]
	;; [unrolled: 8-line block ×3, first 2 shown]
	v_cndmask_b32_e64 v11, v4, v9, s[8:9]
	v_cndmask_b32_e64 v1, v7, v10, s[8:9]
	;; [unrolled: 1-line block ×3, first 2 shown]
	v_mov_b32_dpp v7, v11 row_bcast:15 row_mask:0xf bank_mask:0xf
	v_mov_b32_dpp v8, v1 row_bcast:15 row_mask:0xf bank_mask:0xf
	v_and_b32_e32 v10, 16, v6
	v_add_co_u32_e64 v7, s[2:3], v7, v4
	v_addc_co_u32_e64 v9, s[2:3], v8, v1, s[2:3]
	v_cmp_eq_u32_e64 s[10:11], 0, v10
	v_cndmask_b32_e64 v10, v9, v1, s[10:11]
	v_cndmask_b32_e64 v8, v7, v11, s[10:11]
	v_cmp_eq_u32_e64 s[2:3], 0, v6
	v_mov_b32_dpp v10, v10 row_bcast:31 row_mask:0xf bank_mask:0xf
	v_mov_b32_dpp v8, v8 row_bcast:31 row_mask:0xf bank_mask:0xf
	v_cmp_ne_u32_e64 s[12:13], 0, v6
	s_and_saveexec_b64 s[16:17], s[12:13]
; %bb.3:
	v_cndmask_b32_e64 v1, v9, v1, s[10:11]
	v_cndmask_b32_e64 v2, v7, v4, s[10:11]
	v_cmp_lt_u32_e64 s[10:11], 31, v6
	v_cndmask_b32_e64 v4, 0, v8, s[10:11]
	v_cndmask_b32_e64 v3, 0, v10, s[10:11]
	v_add_co_u32_e64 v2, s[10:11], v4, v2
	v_addc_co_u32_e64 v3, s[10:11], v3, v1, s[10:11]
; %bb.4:
	s_or_b64 exec, exec, s[16:17]
	v_and_b32_e32 v1, 63, v0
	v_lshrrev_b32_e32 v4, 6, v0
	v_cmp_eq_u32_e64 s[10:11], 63, v1
	s_and_saveexec_b64 s[12:13], s[10:11]
	s_cbranch_execz .LBB975_6
; %bb.5:
	v_lshlrev_b32_e32 v1, 3, v4
	ds_write_b64 v1, v[2:3]
.LBB975_6:
	s_or_b64 exec, exec, s[12:13]
	v_cmp_gt_u32_e64 s[10:11], 16, v0
	s_waitcnt lgkmcnt(0)
	s_barrier
	s_and_saveexec_b64 s[12:13], s[10:11]
	s_cbranch_execz .LBB975_8
; %bb.7:
	ds_read_b64 v[8:9], v5
	s_waitcnt lgkmcnt(0)
	s_nop 0
	v_mov_b32_dpp v1, v8 row_shr:1 row_mask:0xf bank_mask:0xf
	v_add_co_u32_e64 v1, s[10:11], v8, v1
	v_addc_co_u32_e64 v10, s[10:11], 0, v9, s[10:11]
	v_mov_b32_dpp v7, v9 row_shr:1 row_mask:0xf bank_mask:0xf
	v_add_co_u32_e64 v11, s[10:11], 0, v1
	v_addc_co_u32_e64 v7, s[10:11], v7, v10, s[10:11]
	v_cndmask_b32_e64 v1, v1, v8, s[0:1]
	v_cndmask_b32_e64 v7, v7, v9, s[0:1]
	v_cndmask_b32_e64 v10, v11, v8, s[0:1]
	v_mov_b32_dpp v11, v1 row_shr:2 row_mask:0xf bank_mask:0xf
	v_mov_b32_dpp v12, v7 row_shr:2 row_mask:0xf bank_mask:0xf
	v_add_co_u32_e64 v11, s[10:11], v11, v10
	v_addc_co_u32_e64 v12, s[10:11], v12, v7, s[10:11]
	v_cndmask_b32_e64 v1, v1, v11, s[4:5]
	v_cndmask_b32_e64 v7, v7, v12, s[4:5]
	v_cndmask_b32_e64 v10, v10, v11, s[4:5]
	v_mov_b32_dpp v11, v1 row_shr:4 row_mask:0xf bank_mask:0xf
	v_mov_b32_dpp v12, v7 row_shr:4 row_mask:0xf bank_mask:0xf
	v_add_co_u32_e64 v11, s[4:5], v11, v10
	v_addc_co_u32_e64 v12, s[4:5], v12, v7, s[4:5]
	v_cndmask_b32_e64 v1, v1, v11, s[6:7]
	v_cndmask_b32_e64 v7, v7, v12, s[6:7]
	v_cndmask_b32_e64 v10, v10, v11, s[6:7]
	v_mov_b32_dpp v1, v1 row_shr:8 row_mask:0xf bank_mask:0xf
	v_mov_b32_dpp v12, v7 row_shr:8 row_mask:0xf bank_mask:0xf
	v_cndmask_b32_e64 v1, 0, v1, s[8:9]
	v_cndmask_b32_e64 v11, 0, v12, s[8:9]
	v_add_co_u32_e64 v1, s[4:5], v1, v10
	v_addc_co_u32_e64 v7, s[4:5], v11, v7, s[4:5]
	v_cndmask_b32_e64 v9, v7, v9, s[0:1]
	v_cndmask_b32_e64 v8, v1, v8, s[0:1]
	ds_write_b64 v5, v[8:9]
.LBB975_8:
	s_or_b64 exec, exec, s[12:13]
	v_cmp_lt_u32_e64 s[0:1], 63, v0
	v_pk_mov_b32 v[0:1], 0, 0
	s_waitcnt lgkmcnt(0)
	s_barrier
	s_and_saveexec_b64 s[4:5], s[0:1]
	s_cbranch_execz .LBB975_10
; %bb.9:
	v_lshl_add_u32 v0, v4, 3, -8
	ds_read_b64 v[0:1], v0
.LBB975_10:
	s_or_b64 exec, exec, s[4:5]
	s_waitcnt lgkmcnt(0)
	v_add_co_u32_e64 v2, s[0:1], v0, v2
	v_addc_co_u32_e64 v3, s[0:1], v1, v3, s[0:1]
	v_add_u32_e32 v4, -1, v6
	v_and_b32_e32 v7, 64, v6
	v_cmp_lt_i32_e64 s[0:1], v4, v7
	v_cndmask_b32_e64 v4, v4, v6, s[0:1]
	v_lshlrev_b32_e32 v4, 2, v4
	ds_bpermute_b32 v2, v4, v2
	ds_bpermute_b32 v3, v4, v3
	s_and_saveexec_b64 s[0:1], vcc
	s_cbranch_execz .LBB975_12
; %bb.11:
	s_waitcnt lgkmcnt(0)
	v_cndmask_b32_e64 v1, v3, v1, s[2:3]
	v_cndmask_b32_e64 v0, v2, v0, s[2:3]
	global_store_dwordx2 v5, v[0:1], s[14:15]
.LBB975_12:
	s_endpgm
	.section	.rodata,"a",@progbits
	.p2align	6, 0x0
	.amdhsa_kernel _ZN7rocprim17ROCPRIM_400000_NS6detail17trampoline_kernelINS0_14default_configENS1_35radix_sort_onesweep_config_selectorImNS0_10empty_typeEEEZNS1_34radix_sort_onesweep_global_offsetsIS3_Lb0EPmPS5_mNS0_19identity_decomposerEEE10hipError_tT1_T2_PT3_SE_jT4_jjP12ihipStream_tbEUlT_E0_NS1_11comp_targetILNS1_3genE4ELNS1_11target_archE910ELNS1_3gpuE8ELNS1_3repE0EEENS1_52radix_sort_onesweep_histogram_config_static_selectorELNS0_4arch9wavefront6targetE1EEEvSC_
		.amdhsa_group_segment_fixed_size 128
		.amdhsa_private_segment_fixed_size 0
		.amdhsa_kernarg_size 8
		.amdhsa_user_sgpr_count 6
		.amdhsa_user_sgpr_private_segment_buffer 1
		.amdhsa_user_sgpr_dispatch_ptr 0
		.amdhsa_user_sgpr_queue_ptr 0
		.amdhsa_user_sgpr_kernarg_segment_ptr 1
		.amdhsa_user_sgpr_dispatch_id 0
		.amdhsa_user_sgpr_flat_scratch_init 0
		.amdhsa_user_sgpr_kernarg_preload_length 0
		.amdhsa_user_sgpr_kernarg_preload_offset 0
		.amdhsa_user_sgpr_private_segment_size 0
		.amdhsa_uses_dynamic_stack 0
		.amdhsa_system_sgpr_private_segment_wavefront_offset 0
		.amdhsa_system_sgpr_workgroup_id_x 1
		.amdhsa_system_sgpr_workgroup_id_y 0
		.amdhsa_system_sgpr_workgroup_id_z 0
		.amdhsa_system_sgpr_workgroup_info 0
		.amdhsa_system_vgpr_workitem_id 0
		.amdhsa_next_free_vgpr 13
		.amdhsa_next_free_sgpr 18
		.amdhsa_accum_offset 16
		.amdhsa_reserve_vcc 1
		.amdhsa_reserve_flat_scratch 0
		.amdhsa_float_round_mode_32 0
		.amdhsa_float_round_mode_16_64 0
		.amdhsa_float_denorm_mode_32 3
		.amdhsa_float_denorm_mode_16_64 3
		.amdhsa_dx10_clamp 1
		.amdhsa_ieee_mode 1
		.amdhsa_fp16_overflow 0
		.amdhsa_tg_split 0
		.amdhsa_exception_fp_ieee_invalid_op 0
		.amdhsa_exception_fp_denorm_src 0
		.amdhsa_exception_fp_ieee_div_zero 0
		.amdhsa_exception_fp_ieee_overflow 0
		.amdhsa_exception_fp_ieee_underflow 0
		.amdhsa_exception_fp_ieee_inexact 0
		.amdhsa_exception_int_div_zero 0
	.end_amdhsa_kernel
	.section	.text._ZN7rocprim17ROCPRIM_400000_NS6detail17trampoline_kernelINS0_14default_configENS1_35radix_sort_onesweep_config_selectorImNS0_10empty_typeEEEZNS1_34radix_sort_onesweep_global_offsetsIS3_Lb0EPmPS5_mNS0_19identity_decomposerEEE10hipError_tT1_T2_PT3_SE_jT4_jjP12ihipStream_tbEUlT_E0_NS1_11comp_targetILNS1_3genE4ELNS1_11target_archE910ELNS1_3gpuE8ELNS1_3repE0EEENS1_52radix_sort_onesweep_histogram_config_static_selectorELNS0_4arch9wavefront6targetE1EEEvSC_,"axG",@progbits,_ZN7rocprim17ROCPRIM_400000_NS6detail17trampoline_kernelINS0_14default_configENS1_35radix_sort_onesweep_config_selectorImNS0_10empty_typeEEEZNS1_34radix_sort_onesweep_global_offsetsIS3_Lb0EPmPS5_mNS0_19identity_decomposerEEE10hipError_tT1_T2_PT3_SE_jT4_jjP12ihipStream_tbEUlT_E0_NS1_11comp_targetILNS1_3genE4ELNS1_11target_archE910ELNS1_3gpuE8ELNS1_3repE0EEENS1_52radix_sort_onesweep_histogram_config_static_selectorELNS0_4arch9wavefront6targetE1EEEvSC_,comdat
.Lfunc_end975:
	.size	_ZN7rocprim17ROCPRIM_400000_NS6detail17trampoline_kernelINS0_14default_configENS1_35radix_sort_onesweep_config_selectorImNS0_10empty_typeEEEZNS1_34radix_sort_onesweep_global_offsetsIS3_Lb0EPmPS5_mNS0_19identity_decomposerEEE10hipError_tT1_T2_PT3_SE_jT4_jjP12ihipStream_tbEUlT_E0_NS1_11comp_targetILNS1_3genE4ELNS1_11target_archE910ELNS1_3gpuE8ELNS1_3repE0EEENS1_52radix_sort_onesweep_histogram_config_static_selectorELNS0_4arch9wavefront6targetE1EEEvSC_, .Lfunc_end975-_ZN7rocprim17ROCPRIM_400000_NS6detail17trampoline_kernelINS0_14default_configENS1_35radix_sort_onesweep_config_selectorImNS0_10empty_typeEEEZNS1_34radix_sort_onesweep_global_offsetsIS3_Lb0EPmPS5_mNS0_19identity_decomposerEEE10hipError_tT1_T2_PT3_SE_jT4_jjP12ihipStream_tbEUlT_E0_NS1_11comp_targetILNS1_3genE4ELNS1_11target_archE910ELNS1_3gpuE8ELNS1_3repE0EEENS1_52radix_sort_onesweep_histogram_config_static_selectorELNS0_4arch9wavefront6targetE1EEEvSC_
                                        ; -- End function
	.section	.AMDGPU.csdata,"",@progbits
; Kernel info:
; codeLenInByte = 1012
; NumSgprs: 22
; NumVgprs: 13
; NumAgprs: 0
; TotalNumVgprs: 13
; ScratchSize: 0
; MemoryBound: 0
; FloatMode: 240
; IeeeMode: 1
; LDSByteSize: 128 bytes/workgroup (compile time only)
; SGPRBlocks: 2
; VGPRBlocks: 1
; NumSGPRsForWavesPerEU: 22
; NumVGPRsForWavesPerEU: 13
; AccumOffset: 16
; Occupancy: 8
; WaveLimiterHint : 0
; COMPUTE_PGM_RSRC2:SCRATCH_EN: 0
; COMPUTE_PGM_RSRC2:USER_SGPR: 6
; COMPUTE_PGM_RSRC2:TRAP_HANDLER: 0
; COMPUTE_PGM_RSRC2:TGID_X_EN: 1
; COMPUTE_PGM_RSRC2:TGID_Y_EN: 0
; COMPUTE_PGM_RSRC2:TGID_Z_EN: 0
; COMPUTE_PGM_RSRC2:TIDIG_COMP_CNT: 0
; COMPUTE_PGM_RSRC3_GFX90A:ACCUM_OFFSET: 3
; COMPUTE_PGM_RSRC3_GFX90A:TG_SPLIT: 0
	.section	.text._ZN7rocprim17ROCPRIM_400000_NS6detail17trampoline_kernelINS0_14default_configENS1_35radix_sort_onesweep_config_selectorImNS0_10empty_typeEEEZNS1_34radix_sort_onesweep_global_offsetsIS3_Lb0EPmPS5_mNS0_19identity_decomposerEEE10hipError_tT1_T2_PT3_SE_jT4_jjP12ihipStream_tbEUlT_E0_NS1_11comp_targetILNS1_3genE3ELNS1_11target_archE908ELNS1_3gpuE7ELNS1_3repE0EEENS1_52radix_sort_onesweep_histogram_config_static_selectorELNS0_4arch9wavefront6targetE1EEEvSC_,"axG",@progbits,_ZN7rocprim17ROCPRIM_400000_NS6detail17trampoline_kernelINS0_14default_configENS1_35radix_sort_onesweep_config_selectorImNS0_10empty_typeEEEZNS1_34radix_sort_onesweep_global_offsetsIS3_Lb0EPmPS5_mNS0_19identity_decomposerEEE10hipError_tT1_T2_PT3_SE_jT4_jjP12ihipStream_tbEUlT_E0_NS1_11comp_targetILNS1_3genE3ELNS1_11target_archE908ELNS1_3gpuE7ELNS1_3repE0EEENS1_52radix_sort_onesweep_histogram_config_static_selectorELNS0_4arch9wavefront6targetE1EEEvSC_,comdat
	.protected	_ZN7rocprim17ROCPRIM_400000_NS6detail17trampoline_kernelINS0_14default_configENS1_35radix_sort_onesweep_config_selectorImNS0_10empty_typeEEEZNS1_34radix_sort_onesweep_global_offsetsIS3_Lb0EPmPS5_mNS0_19identity_decomposerEEE10hipError_tT1_T2_PT3_SE_jT4_jjP12ihipStream_tbEUlT_E0_NS1_11comp_targetILNS1_3genE3ELNS1_11target_archE908ELNS1_3gpuE7ELNS1_3repE0EEENS1_52radix_sort_onesweep_histogram_config_static_selectorELNS0_4arch9wavefront6targetE1EEEvSC_ ; -- Begin function _ZN7rocprim17ROCPRIM_400000_NS6detail17trampoline_kernelINS0_14default_configENS1_35radix_sort_onesweep_config_selectorImNS0_10empty_typeEEEZNS1_34radix_sort_onesweep_global_offsetsIS3_Lb0EPmPS5_mNS0_19identity_decomposerEEE10hipError_tT1_T2_PT3_SE_jT4_jjP12ihipStream_tbEUlT_E0_NS1_11comp_targetILNS1_3genE3ELNS1_11target_archE908ELNS1_3gpuE7ELNS1_3repE0EEENS1_52radix_sort_onesweep_histogram_config_static_selectorELNS0_4arch9wavefront6targetE1EEEvSC_
	.globl	_ZN7rocprim17ROCPRIM_400000_NS6detail17trampoline_kernelINS0_14default_configENS1_35radix_sort_onesweep_config_selectorImNS0_10empty_typeEEEZNS1_34radix_sort_onesweep_global_offsetsIS3_Lb0EPmPS5_mNS0_19identity_decomposerEEE10hipError_tT1_T2_PT3_SE_jT4_jjP12ihipStream_tbEUlT_E0_NS1_11comp_targetILNS1_3genE3ELNS1_11target_archE908ELNS1_3gpuE7ELNS1_3repE0EEENS1_52radix_sort_onesweep_histogram_config_static_selectorELNS0_4arch9wavefront6targetE1EEEvSC_
	.p2align	8
	.type	_ZN7rocprim17ROCPRIM_400000_NS6detail17trampoline_kernelINS0_14default_configENS1_35radix_sort_onesweep_config_selectorImNS0_10empty_typeEEEZNS1_34radix_sort_onesweep_global_offsetsIS3_Lb0EPmPS5_mNS0_19identity_decomposerEEE10hipError_tT1_T2_PT3_SE_jT4_jjP12ihipStream_tbEUlT_E0_NS1_11comp_targetILNS1_3genE3ELNS1_11target_archE908ELNS1_3gpuE7ELNS1_3repE0EEENS1_52radix_sort_onesweep_histogram_config_static_selectorELNS0_4arch9wavefront6targetE1EEEvSC_,@function
_ZN7rocprim17ROCPRIM_400000_NS6detail17trampoline_kernelINS0_14default_configENS1_35radix_sort_onesweep_config_selectorImNS0_10empty_typeEEEZNS1_34radix_sort_onesweep_global_offsetsIS3_Lb0EPmPS5_mNS0_19identity_decomposerEEE10hipError_tT1_T2_PT3_SE_jT4_jjP12ihipStream_tbEUlT_E0_NS1_11comp_targetILNS1_3genE3ELNS1_11target_archE908ELNS1_3gpuE7ELNS1_3repE0EEENS1_52radix_sort_onesweep_histogram_config_static_selectorELNS0_4arch9wavefront6targetE1EEEvSC_: ; @_ZN7rocprim17ROCPRIM_400000_NS6detail17trampoline_kernelINS0_14default_configENS1_35radix_sort_onesweep_config_selectorImNS0_10empty_typeEEEZNS1_34radix_sort_onesweep_global_offsetsIS3_Lb0EPmPS5_mNS0_19identity_decomposerEEE10hipError_tT1_T2_PT3_SE_jT4_jjP12ihipStream_tbEUlT_E0_NS1_11comp_targetILNS1_3genE3ELNS1_11target_archE908ELNS1_3gpuE7ELNS1_3repE0EEENS1_52radix_sort_onesweep_histogram_config_static_selectorELNS0_4arch9wavefront6targetE1EEEvSC_
; %bb.0:
	.section	.rodata,"a",@progbits
	.p2align	6, 0x0
	.amdhsa_kernel _ZN7rocprim17ROCPRIM_400000_NS6detail17trampoline_kernelINS0_14default_configENS1_35radix_sort_onesweep_config_selectorImNS0_10empty_typeEEEZNS1_34radix_sort_onesweep_global_offsetsIS3_Lb0EPmPS5_mNS0_19identity_decomposerEEE10hipError_tT1_T2_PT3_SE_jT4_jjP12ihipStream_tbEUlT_E0_NS1_11comp_targetILNS1_3genE3ELNS1_11target_archE908ELNS1_3gpuE7ELNS1_3repE0EEENS1_52radix_sort_onesweep_histogram_config_static_selectorELNS0_4arch9wavefront6targetE1EEEvSC_
		.amdhsa_group_segment_fixed_size 0
		.amdhsa_private_segment_fixed_size 0
		.amdhsa_kernarg_size 8
		.amdhsa_user_sgpr_count 6
		.amdhsa_user_sgpr_private_segment_buffer 1
		.amdhsa_user_sgpr_dispatch_ptr 0
		.amdhsa_user_sgpr_queue_ptr 0
		.amdhsa_user_sgpr_kernarg_segment_ptr 1
		.amdhsa_user_sgpr_dispatch_id 0
		.amdhsa_user_sgpr_flat_scratch_init 0
		.amdhsa_user_sgpr_kernarg_preload_length 0
		.amdhsa_user_sgpr_kernarg_preload_offset 0
		.amdhsa_user_sgpr_private_segment_size 0
		.amdhsa_uses_dynamic_stack 0
		.amdhsa_system_sgpr_private_segment_wavefront_offset 0
		.amdhsa_system_sgpr_workgroup_id_x 1
		.amdhsa_system_sgpr_workgroup_id_y 0
		.amdhsa_system_sgpr_workgroup_id_z 0
		.amdhsa_system_sgpr_workgroup_info 0
		.amdhsa_system_vgpr_workitem_id 0
		.amdhsa_next_free_vgpr 1
		.amdhsa_next_free_sgpr 0
		.amdhsa_accum_offset 4
		.amdhsa_reserve_vcc 0
		.amdhsa_reserve_flat_scratch 0
		.amdhsa_float_round_mode_32 0
		.amdhsa_float_round_mode_16_64 0
		.amdhsa_float_denorm_mode_32 3
		.amdhsa_float_denorm_mode_16_64 3
		.amdhsa_dx10_clamp 1
		.amdhsa_ieee_mode 1
		.amdhsa_fp16_overflow 0
		.amdhsa_tg_split 0
		.amdhsa_exception_fp_ieee_invalid_op 0
		.amdhsa_exception_fp_denorm_src 0
		.amdhsa_exception_fp_ieee_div_zero 0
		.amdhsa_exception_fp_ieee_overflow 0
		.amdhsa_exception_fp_ieee_underflow 0
		.amdhsa_exception_fp_ieee_inexact 0
		.amdhsa_exception_int_div_zero 0
	.end_amdhsa_kernel
	.section	.text._ZN7rocprim17ROCPRIM_400000_NS6detail17trampoline_kernelINS0_14default_configENS1_35radix_sort_onesweep_config_selectorImNS0_10empty_typeEEEZNS1_34radix_sort_onesweep_global_offsetsIS3_Lb0EPmPS5_mNS0_19identity_decomposerEEE10hipError_tT1_T2_PT3_SE_jT4_jjP12ihipStream_tbEUlT_E0_NS1_11comp_targetILNS1_3genE3ELNS1_11target_archE908ELNS1_3gpuE7ELNS1_3repE0EEENS1_52radix_sort_onesweep_histogram_config_static_selectorELNS0_4arch9wavefront6targetE1EEEvSC_,"axG",@progbits,_ZN7rocprim17ROCPRIM_400000_NS6detail17trampoline_kernelINS0_14default_configENS1_35radix_sort_onesweep_config_selectorImNS0_10empty_typeEEEZNS1_34radix_sort_onesweep_global_offsetsIS3_Lb0EPmPS5_mNS0_19identity_decomposerEEE10hipError_tT1_T2_PT3_SE_jT4_jjP12ihipStream_tbEUlT_E0_NS1_11comp_targetILNS1_3genE3ELNS1_11target_archE908ELNS1_3gpuE7ELNS1_3repE0EEENS1_52radix_sort_onesweep_histogram_config_static_selectorELNS0_4arch9wavefront6targetE1EEEvSC_,comdat
.Lfunc_end976:
	.size	_ZN7rocprim17ROCPRIM_400000_NS6detail17trampoline_kernelINS0_14default_configENS1_35radix_sort_onesweep_config_selectorImNS0_10empty_typeEEEZNS1_34radix_sort_onesweep_global_offsetsIS3_Lb0EPmPS5_mNS0_19identity_decomposerEEE10hipError_tT1_T2_PT3_SE_jT4_jjP12ihipStream_tbEUlT_E0_NS1_11comp_targetILNS1_3genE3ELNS1_11target_archE908ELNS1_3gpuE7ELNS1_3repE0EEENS1_52radix_sort_onesweep_histogram_config_static_selectorELNS0_4arch9wavefront6targetE1EEEvSC_, .Lfunc_end976-_ZN7rocprim17ROCPRIM_400000_NS6detail17trampoline_kernelINS0_14default_configENS1_35radix_sort_onesweep_config_selectorImNS0_10empty_typeEEEZNS1_34radix_sort_onesweep_global_offsetsIS3_Lb0EPmPS5_mNS0_19identity_decomposerEEE10hipError_tT1_T2_PT3_SE_jT4_jjP12ihipStream_tbEUlT_E0_NS1_11comp_targetILNS1_3genE3ELNS1_11target_archE908ELNS1_3gpuE7ELNS1_3repE0EEENS1_52radix_sort_onesweep_histogram_config_static_selectorELNS0_4arch9wavefront6targetE1EEEvSC_
                                        ; -- End function
	.section	.AMDGPU.csdata,"",@progbits
; Kernel info:
; codeLenInByte = 0
; NumSgprs: 4
; NumVgprs: 0
; NumAgprs: 0
; TotalNumVgprs: 0
; ScratchSize: 0
; MemoryBound: 0
; FloatMode: 240
; IeeeMode: 1
; LDSByteSize: 0 bytes/workgroup (compile time only)
; SGPRBlocks: 0
; VGPRBlocks: 0
; NumSGPRsForWavesPerEU: 4
; NumVGPRsForWavesPerEU: 1
; AccumOffset: 4
; Occupancy: 8
; WaveLimiterHint : 0
; COMPUTE_PGM_RSRC2:SCRATCH_EN: 0
; COMPUTE_PGM_RSRC2:USER_SGPR: 6
; COMPUTE_PGM_RSRC2:TRAP_HANDLER: 0
; COMPUTE_PGM_RSRC2:TGID_X_EN: 1
; COMPUTE_PGM_RSRC2:TGID_Y_EN: 0
; COMPUTE_PGM_RSRC2:TGID_Z_EN: 0
; COMPUTE_PGM_RSRC2:TIDIG_COMP_CNT: 0
; COMPUTE_PGM_RSRC3_GFX90A:ACCUM_OFFSET: 0
; COMPUTE_PGM_RSRC3_GFX90A:TG_SPLIT: 0
	.section	.text._ZN7rocprim17ROCPRIM_400000_NS6detail17trampoline_kernelINS0_14default_configENS1_35radix_sort_onesweep_config_selectorImNS0_10empty_typeEEEZNS1_34radix_sort_onesweep_global_offsetsIS3_Lb0EPmPS5_mNS0_19identity_decomposerEEE10hipError_tT1_T2_PT3_SE_jT4_jjP12ihipStream_tbEUlT_E0_NS1_11comp_targetILNS1_3genE10ELNS1_11target_archE1201ELNS1_3gpuE5ELNS1_3repE0EEENS1_52radix_sort_onesweep_histogram_config_static_selectorELNS0_4arch9wavefront6targetE1EEEvSC_,"axG",@progbits,_ZN7rocprim17ROCPRIM_400000_NS6detail17trampoline_kernelINS0_14default_configENS1_35radix_sort_onesweep_config_selectorImNS0_10empty_typeEEEZNS1_34radix_sort_onesweep_global_offsetsIS3_Lb0EPmPS5_mNS0_19identity_decomposerEEE10hipError_tT1_T2_PT3_SE_jT4_jjP12ihipStream_tbEUlT_E0_NS1_11comp_targetILNS1_3genE10ELNS1_11target_archE1201ELNS1_3gpuE5ELNS1_3repE0EEENS1_52radix_sort_onesweep_histogram_config_static_selectorELNS0_4arch9wavefront6targetE1EEEvSC_,comdat
	.protected	_ZN7rocprim17ROCPRIM_400000_NS6detail17trampoline_kernelINS0_14default_configENS1_35radix_sort_onesweep_config_selectorImNS0_10empty_typeEEEZNS1_34radix_sort_onesweep_global_offsetsIS3_Lb0EPmPS5_mNS0_19identity_decomposerEEE10hipError_tT1_T2_PT3_SE_jT4_jjP12ihipStream_tbEUlT_E0_NS1_11comp_targetILNS1_3genE10ELNS1_11target_archE1201ELNS1_3gpuE5ELNS1_3repE0EEENS1_52radix_sort_onesweep_histogram_config_static_selectorELNS0_4arch9wavefront6targetE1EEEvSC_ ; -- Begin function _ZN7rocprim17ROCPRIM_400000_NS6detail17trampoline_kernelINS0_14default_configENS1_35radix_sort_onesweep_config_selectorImNS0_10empty_typeEEEZNS1_34radix_sort_onesweep_global_offsetsIS3_Lb0EPmPS5_mNS0_19identity_decomposerEEE10hipError_tT1_T2_PT3_SE_jT4_jjP12ihipStream_tbEUlT_E0_NS1_11comp_targetILNS1_3genE10ELNS1_11target_archE1201ELNS1_3gpuE5ELNS1_3repE0EEENS1_52radix_sort_onesweep_histogram_config_static_selectorELNS0_4arch9wavefront6targetE1EEEvSC_
	.globl	_ZN7rocprim17ROCPRIM_400000_NS6detail17trampoline_kernelINS0_14default_configENS1_35radix_sort_onesweep_config_selectorImNS0_10empty_typeEEEZNS1_34radix_sort_onesweep_global_offsetsIS3_Lb0EPmPS5_mNS0_19identity_decomposerEEE10hipError_tT1_T2_PT3_SE_jT4_jjP12ihipStream_tbEUlT_E0_NS1_11comp_targetILNS1_3genE10ELNS1_11target_archE1201ELNS1_3gpuE5ELNS1_3repE0EEENS1_52radix_sort_onesweep_histogram_config_static_selectorELNS0_4arch9wavefront6targetE1EEEvSC_
	.p2align	8
	.type	_ZN7rocprim17ROCPRIM_400000_NS6detail17trampoline_kernelINS0_14default_configENS1_35radix_sort_onesweep_config_selectorImNS0_10empty_typeEEEZNS1_34radix_sort_onesweep_global_offsetsIS3_Lb0EPmPS5_mNS0_19identity_decomposerEEE10hipError_tT1_T2_PT3_SE_jT4_jjP12ihipStream_tbEUlT_E0_NS1_11comp_targetILNS1_3genE10ELNS1_11target_archE1201ELNS1_3gpuE5ELNS1_3repE0EEENS1_52radix_sort_onesweep_histogram_config_static_selectorELNS0_4arch9wavefront6targetE1EEEvSC_,@function
_ZN7rocprim17ROCPRIM_400000_NS6detail17trampoline_kernelINS0_14default_configENS1_35radix_sort_onesweep_config_selectorImNS0_10empty_typeEEEZNS1_34radix_sort_onesweep_global_offsetsIS3_Lb0EPmPS5_mNS0_19identity_decomposerEEE10hipError_tT1_T2_PT3_SE_jT4_jjP12ihipStream_tbEUlT_E0_NS1_11comp_targetILNS1_3genE10ELNS1_11target_archE1201ELNS1_3gpuE5ELNS1_3repE0EEENS1_52radix_sort_onesweep_histogram_config_static_selectorELNS0_4arch9wavefront6targetE1EEEvSC_: ; @_ZN7rocprim17ROCPRIM_400000_NS6detail17trampoline_kernelINS0_14default_configENS1_35radix_sort_onesweep_config_selectorImNS0_10empty_typeEEEZNS1_34radix_sort_onesweep_global_offsetsIS3_Lb0EPmPS5_mNS0_19identity_decomposerEEE10hipError_tT1_T2_PT3_SE_jT4_jjP12ihipStream_tbEUlT_E0_NS1_11comp_targetILNS1_3genE10ELNS1_11target_archE1201ELNS1_3gpuE5ELNS1_3repE0EEENS1_52radix_sort_onesweep_histogram_config_static_selectorELNS0_4arch9wavefront6targetE1EEEvSC_
; %bb.0:
	.section	.rodata,"a",@progbits
	.p2align	6, 0x0
	.amdhsa_kernel _ZN7rocprim17ROCPRIM_400000_NS6detail17trampoline_kernelINS0_14default_configENS1_35radix_sort_onesweep_config_selectorImNS0_10empty_typeEEEZNS1_34radix_sort_onesweep_global_offsetsIS3_Lb0EPmPS5_mNS0_19identity_decomposerEEE10hipError_tT1_T2_PT3_SE_jT4_jjP12ihipStream_tbEUlT_E0_NS1_11comp_targetILNS1_3genE10ELNS1_11target_archE1201ELNS1_3gpuE5ELNS1_3repE0EEENS1_52radix_sort_onesweep_histogram_config_static_selectorELNS0_4arch9wavefront6targetE1EEEvSC_
		.amdhsa_group_segment_fixed_size 0
		.amdhsa_private_segment_fixed_size 0
		.amdhsa_kernarg_size 8
		.amdhsa_user_sgpr_count 6
		.amdhsa_user_sgpr_private_segment_buffer 1
		.amdhsa_user_sgpr_dispatch_ptr 0
		.amdhsa_user_sgpr_queue_ptr 0
		.amdhsa_user_sgpr_kernarg_segment_ptr 1
		.amdhsa_user_sgpr_dispatch_id 0
		.amdhsa_user_sgpr_flat_scratch_init 0
		.amdhsa_user_sgpr_kernarg_preload_length 0
		.amdhsa_user_sgpr_kernarg_preload_offset 0
		.amdhsa_user_sgpr_private_segment_size 0
		.amdhsa_uses_dynamic_stack 0
		.amdhsa_system_sgpr_private_segment_wavefront_offset 0
		.amdhsa_system_sgpr_workgroup_id_x 1
		.amdhsa_system_sgpr_workgroup_id_y 0
		.amdhsa_system_sgpr_workgroup_id_z 0
		.amdhsa_system_sgpr_workgroup_info 0
		.amdhsa_system_vgpr_workitem_id 0
		.amdhsa_next_free_vgpr 1
		.amdhsa_next_free_sgpr 0
		.amdhsa_accum_offset 4
		.amdhsa_reserve_vcc 0
		.amdhsa_reserve_flat_scratch 0
		.amdhsa_float_round_mode_32 0
		.amdhsa_float_round_mode_16_64 0
		.amdhsa_float_denorm_mode_32 3
		.amdhsa_float_denorm_mode_16_64 3
		.amdhsa_dx10_clamp 1
		.amdhsa_ieee_mode 1
		.amdhsa_fp16_overflow 0
		.amdhsa_tg_split 0
		.amdhsa_exception_fp_ieee_invalid_op 0
		.amdhsa_exception_fp_denorm_src 0
		.amdhsa_exception_fp_ieee_div_zero 0
		.amdhsa_exception_fp_ieee_overflow 0
		.amdhsa_exception_fp_ieee_underflow 0
		.amdhsa_exception_fp_ieee_inexact 0
		.amdhsa_exception_int_div_zero 0
	.end_amdhsa_kernel
	.section	.text._ZN7rocprim17ROCPRIM_400000_NS6detail17trampoline_kernelINS0_14default_configENS1_35radix_sort_onesweep_config_selectorImNS0_10empty_typeEEEZNS1_34radix_sort_onesweep_global_offsetsIS3_Lb0EPmPS5_mNS0_19identity_decomposerEEE10hipError_tT1_T2_PT3_SE_jT4_jjP12ihipStream_tbEUlT_E0_NS1_11comp_targetILNS1_3genE10ELNS1_11target_archE1201ELNS1_3gpuE5ELNS1_3repE0EEENS1_52radix_sort_onesweep_histogram_config_static_selectorELNS0_4arch9wavefront6targetE1EEEvSC_,"axG",@progbits,_ZN7rocprim17ROCPRIM_400000_NS6detail17trampoline_kernelINS0_14default_configENS1_35radix_sort_onesweep_config_selectorImNS0_10empty_typeEEEZNS1_34radix_sort_onesweep_global_offsetsIS3_Lb0EPmPS5_mNS0_19identity_decomposerEEE10hipError_tT1_T2_PT3_SE_jT4_jjP12ihipStream_tbEUlT_E0_NS1_11comp_targetILNS1_3genE10ELNS1_11target_archE1201ELNS1_3gpuE5ELNS1_3repE0EEENS1_52radix_sort_onesweep_histogram_config_static_selectorELNS0_4arch9wavefront6targetE1EEEvSC_,comdat
.Lfunc_end977:
	.size	_ZN7rocprim17ROCPRIM_400000_NS6detail17trampoline_kernelINS0_14default_configENS1_35radix_sort_onesweep_config_selectorImNS0_10empty_typeEEEZNS1_34radix_sort_onesweep_global_offsetsIS3_Lb0EPmPS5_mNS0_19identity_decomposerEEE10hipError_tT1_T2_PT3_SE_jT4_jjP12ihipStream_tbEUlT_E0_NS1_11comp_targetILNS1_3genE10ELNS1_11target_archE1201ELNS1_3gpuE5ELNS1_3repE0EEENS1_52radix_sort_onesweep_histogram_config_static_selectorELNS0_4arch9wavefront6targetE1EEEvSC_, .Lfunc_end977-_ZN7rocprim17ROCPRIM_400000_NS6detail17trampoline_kernelINS0_14default_configENS1_35radix_sort_onesweep_config_selectorImNS0_10empty_typeEEEZNS1_34radix_sort_onesweep_global_offsetsIS3_Lb0EPmPS5_mNS0_19identity_decomposerEEE10hipError_tT1_T2_PT3_SE_jT4_jjP12ihipStream_tbEUlT_E0_NS1_11comp_targetILNS1_3genE10ELNS1_11target_archE1201ELNS1_3gpuE5ELNS1_3repE0EEENS1_52radix_sort_onesweep_histogram_config_static_selectorELNS0_4arch9wavefront6targetE1EEEvSC_
                                        ; -- End function
	.section	.AMDGPU.csdata,"",@progbits
; Kernel info:
; codeLenInByte = 0
; NumSgprs: 4
; NumVgprs: 0
; NumAgprs: 0
; TotalNumVgprs: 0
; ScratchSize: 0
; MemoryBound: 0
; FloatMode: 240
; IeeeMode: 1
; LDSByteSize: 0 bytes/workgroup (compile time only)
; SGPRBlocks: 0
; VGPRBlocks: 0
; NumSGPRsForWavesPerEU: 4
; NumVGPRsForWavesPerEU: 1
; AccumOffset: 4
; Occupancy: 8
; WaveLimiterHint : 0
; COMPUTE_PGM_RSRC2:SCRATCH_EN: 0
; COMPUTE_PGM_RSRC2:USER_SGPR: 6
; COMPUTE_PGM_RSRC2:TRAP_HANDLER: 0
; COMPUTE_PGM_RSRC2:TGID_X_EN: 1
; COMPUTE_PGM_RSRC2:TGID_Y_EN: 0
; COMPUTE_PGM_RSRC2:TGID_Z_EN: 0
; COMPUTE_PGM_RSRC2:TIDIG_COMP_CNT: 0
; COMPUTE_PGM_RSRC3_GFX90A:ACCUM_OFFSET: 0
; COMPUTE_PGM_RSRC3_GFX90A:TG_SPLIT: 0
	.section	.text._ZN7rocprim17ROCPRIM_400000_NS6detail17trampoline_kernelINS0_14default_configENS1_35radix_sort_onesweep_config_selectorImNS0_10empty_typeEEEZNS1_34radix_sort_onesweep_global_offsetsIS3_Lb0EPmPS5_mNS0_19identity_decomposerEEE10hipError_tT1_T2_PT3_SE_jT4_jjP12ihipStream_tbEUlT_E0_NS1_11comp_targetILNS1_3genE9ELNS1_11target_archE1100ELNS1_3gpuE3ELNS1_3repE0EEENS1_52radix_sort_onesweep_histogram_config_static_selectorELNS0_4arch9wavefront6targetE1EEEvSC_,"axG",@progbits,_ZN7rocprim17ROCPRIM_400000_NS6detail17trampoline_kernelINS0_14default_configENS1_35radix_sort_onesweep_config_selectorImNS0_10empty_typeEEEZNS1_34radix_sort_onesweep_global_offsetsIS3_Lb0EPmPS5_mNS0_19identity_decomposerEEE10hipError_tT1_T2_PT3_SE_jT4_jjP12ihipStream_tbEUlT_E0_NS1_11comp_targetILNS1_3genE9ELNS1_11target_archE1100ELNS1_3gpuE3ELNS1_3repE0EEENS1_52radix_sort_onesweep_histogram_config_static_selectorELNS0_4arch9wavefront6targetE1EEEvSC_,comdat
	.protected	_ZN7rocprim17ROCPRIM_400000_NS6detail17trampoline_kernelINS0_14default_configENS1_35radix_sort_onesweep_config_selectorImNS0_10empty_typeEEEZNS1_34radix_sort_onesweep_global_offsetsIS3_Lb0EPmPS5_mNS0_19identity_decomposerEEE10hipError_tT1_T2_PT3_SE_jT4_jjP12ihipStream_tbEUlT_E0_NS1_11comp_targetILNS1_3genE9ELNS1_11target_archE1100ELNS1_3gpuE3ELNS1_3repE0EEENS1_52radix_sort_onesweep_histogram_config_static_selectorELNS0_4arch9wavefront6targetE1EEEvSC_ ; -- Begin function _ZN7rocprim17ROCPRIM_400000_NS6detail17trampoline_kernelINS0_14default_configENS1_35radix_sort_onesweep_config_selectorImNS0_10empty_typeEEEZNS1_34radix_sort_onesweep_global_offsetsIS3_Lb0EPmPS5_mNS0_19identity_decomposerEEE10hipError_tT1_T2_PT3_SE_jT4_jjP12ihipStream_tbEUlT_E0_NS1_11comp_targetILNS1_3genE9ELNS1_11target_archE1100ELNS1_3gpuE3ELNS1_3repE0EEENS1_52radix_sort_onesweep_histogram_config_static_selectorELNS0_4arch9wavefront6targetE1EEEvSC_
	.globl	_ZN7rocprim17ROCPRIM_400000_NS6detail17trampoline_kernelINS0_14default_configENS1_35radix_sort_onesweep_config_selectorImNS0_10empty_typeEEEZNS1_34radix_sort_onesweep_global_offsetsIS3_Lb0EPmPS5_mNS0_19identity_decomposerEEE10hipError_tT1_T2_PT3_SE_jT4_jjP12ihipStream_tbEUlT_E0_NS1_11comp_targetILNS1_3genE9ELNS1_11target_archE1100ELNS1_3gpuE3ELNS1_3repE0EEENS1_52radix_sort_onesweep_histogram_config_static_selectorELNS0_4arch9wavefront6targetE1EEEvSC_
	.p2align	8
	.type	_ZN7rocprim17ROCPRIM_400000_NS6detail17trampoline_kernelINS0_14default_configENS1_35radix_sort_onesweep_config_selectorImNS0_10empty_typeEEEZNS1_34radix_sort_onesweep_global_offsetsIS3_Lb0EPmPS5_mNS0_19identity_decomposerEEE10hipError_tT1_T2_PT3_SE_jT4_jjP12ihipStream_tbEUlT_E0_NS1_11comp_targetILNS1_3genE9ELNS1_11target_archE1100ELNS1_3gpuE3ELNS1_3repE0EEENS1_52radix_sort_onesweep_histogram_config_static_selectorELNS0_4arch9wavefront6targetE1EEEvSC_,@function
_ZN7rocprim17ROCPRIM_400000_NS6detail17trampoline_kernelINS0_14default_configENS1_35radix_sort_onesweep_config_selectorImNS0_10empty_typeEEEZNS1_34radix_sort_onesweep_global_offsetsIS3_Lb0EPmPS5_mNS0_19identity_decomposerEEE10hipError_tT1_T2_PT3_SE_jT4_jjP12ihipStream_tbEUlT_E0_NS1_11comp_targetILNS1_3genE9ELNS1_11target_archE1100ELNS1_3gpuE3ELNS1_3repE0EEENS1_52radix_sort_onesweep_histogram_config_static_selectorELNS0_4arch9wavefront6targetE1EEEvSC_: ; @_ZN7rocprim17ROCPRIM_400000_NS6detail17trampoline_kernelINS0_14default_configENS1_35radix_sort_onesweep_config_selectorImNS0_10empty_typeEEEZNS1_34radix_sort_onesweep_global_offsetsIS3_Lb0EPmPS5_mNS0_19identity_decomposerEEE10hipError_tT1_T2_PT3_SE_jT4_jjP12ihipStream_tbEUlT_E0_NS1_11comp_targetILNS1_3genE9ELNS1_11target_archE1100ELNS1_3gpuE3ELNS1_3repE0EEENS1_52radix_sort_onesweep_histogram_config_static_selectorELNS0_4arch9wavefront6targetE1EEEvSC_
; %bb.0:
	.section	.rodata,"a",@progbits
	.p2align	6, 0x0
	.amdhsa_kernel _ZN7rocprim17ROCPRIM_400000_NS6detail17trampoline_kernelINS0_14default_configENS1_35radix_sort_onesweep_config_selectorImNS0_10empty_typeEEEZNS1_34radix_sort_onesweep_global_offsetsIS3_Lb0EPmPS5_mNS0_19identity_decomposerEEE10hipError_tT1_T2_PT3_SE_jT4_jjP12ihipStream_tbEUlT_E0_NS1_11comp_targetILNS1_3genE9ELNS1_11target_archE1100ELNS1_3gpuE3ELNS1_3repE0EEENS1_52radix_sort_onesweep_histogram_config_static_selectorELNS0_4arch9wavefront6targetE1EEEvSC_
		.amdhsa_group_segment_fixed_size 0
		.amdhsa_private_segment_fixed_size 0
		.amdhsa_kernarg_size 8
		.amdhsa_user_sgpr_count 6
		.amdhsa_user_sgpr_private_segment_buffer 1
		.amdhsa_user_sgpr_dispatch_ptr 0
		.amdhsa_user_sgpr_queue_ptr 0
		.amdhsa_user_sgpr_kernarg_segment_ptr 1
		.amdhsa_user_sgpr_dispatch_id 0
		.amdhsa_user_sgpr_flat_scratch_init 0
		.amdhsa_user_sgpr_kernarg_preload_length 0
		.amdhsa_user_sgpr_kernarg_preload_offset 0
		.amdhsa_user_sgpr_private_segment_size 0
		.amdhsa_uses_dynamic_stack 0
		.amdhsa_system_sgpr_private_segment_wavefront_offset 0
		.amdhsa_system_sgpr_workgroup_id_x 1
		.amdhsa_system_sgpr_workgroup_id_y 0
		.amdhsa_system_sgpr_workgroup_id_z 0
		.amdhsa_system_sgpr_workgroup_info 0
		.amdhsa_system_vgpr_workitem_id 0
		.amdhsa_next_free_vgpr 1
		.amdhsa_next_free_sgpr 0
		.amdhsa_accum_offset 4
		.amdhsa_reserve_vcc 0
		.amdhsa_reserve_flat_scratch 0
		.amdhsa_float_round_mode_32 0
		.amdhsa_float_round_mode_16_64 0
		.amdhsa_float_denorm_mode_32 3
		.amdhsa_float_denorm_mode_16_64 3
		.amdhsa_dx10_clamp 1
		.amdhsa_ieee_mode 1
		.amdhsa_fp16_overflow 0
		.amdhsa_tg_split 0
		.amdhsa_exception_fp_ieee_invalid_op 0
		.amdhsa_exception_fp_denorm_src 0
		.amdhsa_exception_fp_ieee_div_zero 0
		.amdhsa_exception_fp_ieee_overflow 0
		.amdhsa_exception_fp_ieee_underflow 0
		.amdhsa_exception_fp_ieee_inexact 0
		.amdhsa_exception_int_div_zero 0
	.end_amdhsa_kernel
	.section	.text._ZN7rocprim17ROCPRIM_400000_NS6detail17trampoline_kernelINS0_14default_configENS1_35radix_sort_onesweep_config_selectorImNS0_10empty_typeEEEZNS1_34radix_sort_onesweep_global_offsetsIS3_Lb0EPmPS5_mNS0_19identity_decomposerEEE10hipError_tT1_T2_PT3_SE_jT4_jjP12ihipStream_tbEUlT_E0_NS1_11comp_targetILNS1_3genE9ELNS1_11target_archE1100ELNS1_3gpuE3ELNS1_3repE0EEENS1_52radix_sort_onesweep_histogram_config_static_selectorELNS0_4arch9wavefront6targetE1EEEvSC_,"axG",@progbits,_ZN7rocprim17ROCPRIM_400000_NS6detail17trampoline_kernelINS0_14default_configENS1_35radix_sort_onesweep_config_selectorImNS0_10empty_typeEEEZNS1_34radix_sort_onesweep_global_offsetsIS3_Lb0EPmPS5_mNS0_19identity_decomposerEEE10hipError_tT1_T2_PT3_SE_jT4_jjP12ihipStream_tbEUlT_E0_NS1_11comp_targetILNS1_3genE9ELNS1_11target_archE1100ELNS1_3gpuE3ELNS1_3repE0EEENS1_52radix_sort_onesweep_histogram_config_static_selectorELNS0_4arch9wavefront6targetE1EEEvSC_,comdat
.Lfunc_end978:
	.size	_ZN7rocprim17ROCPRIM_400000_NS6detail17trampoline_kernelINS0_14default_configENS1_35radix_sort_onesweep_config_selectorImNS0_10empty_typeEEEZNS1_34radix_sort_onesweep_global_offsetsIS3_Lb0EPmPS5_mNS0_19identity_decomposerEEE10hipError_tT1_T2_PT3_SE_jT4_jjP12ihipStream_tbEUlT_E0_NS1_11comp_targetILNS1_3genE9ELNS1_11target_archE1100ELNS1_3gpuE3ELNS1_3repE0EEENS1_52radix_sort_onesweep_histogram_config_static_selectorELNS0_4arch9wavefront6targetE1EEEvSC_, .Lfunc_end978-_ZN7rocprim17ROCPRIM_400000_NS6detail17trampoline_kernelINS0_14default_configENS1_35radix_sort_onesweep_config_selectorImNS0_10empty_typeEEEZNS1_34radix_sort_onesweep_global_offsetsIS3_Lb0EPmPS5_mNS0_19identity_decomposerEEE10hipError_tT1_T2_PT3_SE_jT4_jjP12ihipStream_tbEUlT_E0_NS1_11comp_targetILNS1_3genE9ELNS1_11target_archE1100ELNS1_3gpuE3ELNS1_3repE0EEENS1_52radix_sort_onesweep_histogram_config_static_selectorELNS0_4arch9wavefront6targetE1EEEvSC_
                                        ; -- End function
	.section	.AMDGPU.csdata,"",@progbits
; Kernel info:
; codeLenInByte = 0
; NumSgprs: 4
; NumVgprs: 0
; NumAgprs: 0
; TotalNumVgprs: 0
; ScratchSize: 0
; MemoryBound: 0
; FloatMode: 240
; IeeeMode: 1
; LDSByteSize: 0 bytes/workgroup (compile time only)
; SGPRBlocks: 0
; VGPRBlocks: 0
; NumSGPRsForWavesPerEU: 4
; NumVGPRsForWavesPerEU: 1
; AccumOffset: 4
; Occupancy: 8
; WaveLimiterHint : 0
; COMPUTE_PGM_RSRC2:SCRATCH_EN: 0
; COMPUTE_PGM_RSRC2:USER_SGPR: 6
; COMPUTE_PGM_RSRC2:TRAP_HANDLER: 0
; COMPUTE_PGM_RSRC2:TGID_X_EN: 1
; COMPUTE_PGM_RSRC2:TGID_Y_EN: 0
; COMPUTE_PGM_RSRC2:TGID_Z_EN: 0
; COMPUTE_PGM_RSRC2:TIDIG_COMP_CNT: 0
; COMPUTE_PGM_RSRC3_GFX90A:ACCUM_OFFSET: 0
; COMPUTE_PGM_RSRC3_GFX90A:TG_SPLIT: 0
	.section	.text._ZN7rocprim17ROCPRIM_400000_NS6detail17trampoline_kernelINS0_14default_configENS1_35radix_sort_onesweep_config_selectorImNS0_10empty_typeEEEZNS1_34radix_sort_onesweep_global_offsetsIS3_Lb0EPmPS5_mNS0_19identity_decomposerEEE10hipError_tT1_T2_PT3_SE_jT4_jjP12ihipStream_tbEUlT_E0_NS1_11comp_targetILNS1_3genE8ELNS1_11target_archE1030ELNS1_3gpuE2ELNS1_3repE0EEENS1_52radix_sort_onesweep_histogram_config_static_selectorELNS0_4arch9wavefront6targetE1EEEvSC_,"axG",@progbits,_ZN7rocprim17ROCPRIM_400000_NS6detail17trampoline_kernelINS0_14default_configENS1_35radix_sort_onesweep_config_selectorImNS0_10empty_typeEEEZNS1_34radix_sort_onesweep_global_offsetsIS3_Lb0EPmPS5_mNS0_19identity_decomposerEEE10hipError_tT1_T2_PT3_SE_jT4_jjP12ihipStream_tbEUlT_E0_NS1_11comp_targetILNS1_3genE8ELNS1_11target_archE1030ELNS1_3gpuE2ELNS1_3repE0EEENS1_52radix_sort_onesweep_histogram_config_static_selectorELNS0_4arch9wavefront6targetE1EEEvSC_,comdat
	.protected	_ZN7rocprim17ROCPRIM_400000_NS6detail17trampoline_kernelINS0_14default_configENS1_35radix_sort_onesweep_config_selectorImNS0_10empty_typeEEEZNS1_34radix_sort_onesweep_global_offsetsIS3_Lb0EPmPS5_mNS0_19identity_decomposerEEE10hipError_tT1_T2_PT3_SE_jT4_jjP12ihipStream_tbEUlT_E0_NS1_11comp_targetILNS1_3genE8ELNS1_11target_archE1030ELNS1_3gpuE2ELNS1_3repE0EEENS1_52radix_sort_onesweep_histogram_config_static_selectorELNS0_4arch9wavefront6targetE1EEEvSC_ ; -- Begin function _ZN7rocprim17ROCPRIM_400000_NS6detail17trampoline_kernelINS0_14default_configENS1_35radix_sort_onesweep_config_selectorImNS0_10empty_typeEEEZNS1_34radix_sort_onesweep_global_offsetsIS3_Lb0EPmPS5_mNS0_19identity_decomposerEEE10hipError_tT1_T2_PT3_SE_jT4_jjP12ihipStream_tbEUlT_E0_NS1_11comp_targetILNS1_3genE8ELNS1_11target_archE1030ELNS1_3gpuE2ELNS1_3repE0EEENS1_52radix_sort_onesweep_histogram_config_static_selectorELNS0_4arch9wavefront6targetE1EEEvSC_
	.globl	_ZN7rocprim17ROCPRIM_400000_NS6detail17trampoline_kernelINS0_14default_configENS1_35radix_sort_onesweep_config_selectorImNS0_10empty_typeEEEZNS1_34radix_sort_onesweep_global_offsetsIS3_Lb0EPmPS5_mNS0_19identity_decomposerEEE10hipError_tT1_T2_PT3_SE_jT4_jjP12ihipStream_tbEUlT_E0_NS1_11comp_targetILNS1_3genE8ELNS1_11target_archE1030ELNS1_3gpuE2ELNS1_3repE0EEENS1_52radix_sort_onesweep_histogram_config_static_selectorELNS0_4arch9wavefront6targetE1EEEvSC_
	.p2align	8
	.type	_ZN7rocprim17ROCPRIM_400000_NS6detail17trampoline_kernelINS0_14default_configENS1_35radix_sort_onesweep_config_selectorImNS0_10empty_typeEEEZNS1_34radix_sort_onesweep_global_offsetsIS3_Lb0EPmPS5_mNS0_19identity_decomposerEEE10hipError_tT1_T2_PT3_SE_jT4_jjP12ihipStream_tbEUlT_E0_NS1_11comp_targetILNS1_3genE8ELNS1_11target_archE1030ELNS1_3gpuE2ELNS1_3repE0EEENS1_52radix_sort_onesweep_histogram_config_static_selectorELNS0_4arch9wavefront6targetE1EEEvSC_,@function
_ZN7rocprim17ROCPRIM_400000_NS6detail17trampoline_kernelINS0_14default_configENS1_35radix_sort_onesweep_config_selectorImNS0_10empty_typeEEEZNS1_34radix_sort_onesweep_global_offsetsIS3_Lb0EPmPS5_mNS0_19identity_decomposerEEE10hipError_tT1_T2_PT3_SE_jT4_jjP12ihipStream_tbEUlT_E0_NS1_11comp_targetILNS1_3genE8ELNS1_11target_archE1030ELNS1_3gpuE2ELNS1_3repE0EEENS1_52radix_sort_onesweep_histogram_config_static_selectorELNS0_4arch9wavefront6targetE1EEEvSC_: ; @_ZN7rocprim17ROCPRIM_400000_NS6detail17trampoline_kernelINS0_14default_configENS1_35radix_sort_onesweep_config_selectorImNS0_10empty_typeEEEZNS1_34radix_sort_onesweep_global_offsetsIS3_Lb0EPmPS5_mNS0_19identity_decomposerEEE10hipError_tT1_T2_PT3_SE_jT4_jjP12ihipStream_tbEUlT_E0_NS1_11comp_targetILNS1_3genE8ELNS1_11target_archE1030ELNS1_3gpuE2ELNS1_3repE0EEENS1_52radix_sort_onesweep_histogram_config_static_selectorELNS0_4arch9wavefront6targetE1EEEvSC_
; %bb.0:
	.section	.rodata,"a",@progbits
	.p2align	6, 0x0
	.amdhsa_kernel _ZN7rocprim17ROCPRIM_400000_NS6detail17trampoline_kernelINS0_14default_configENS1_35radix_sort_onesweep_config_selectorImNS0_10empty_typeEEEZNS1_34radix_sort_onesweep_global_offsetsIS3_Lb0EPmPS5_mNS0_19identity_decomposerEEE10hipError_tT1_T2_PT3_SE_jT4_jjP12ihipStream_tbEUlT_E0_NS1_11comp_targetILNS1_3genE8ELNS1_11target_archE1030ELNS1_3gpuE2ELNS1_3repE0EEENS1_52radix_sort_onesweep_histogram_config_static_selectorELNS0_4arch9wavefront6targetE1EEEvSC_
		.amdhsa_group_segment_fixed_size 0
		.amdhsa_private_segment_fixed_size 0
		.amdhsa_kernarg_size 8
		.amdhsa_user_sgpr_count 6
		.amdhsa_user_sgpr_private_segment_buffer 1
		.amdhsa_user_sgpr_dispatch_ptr 0
		.amdhsa_user_sgpr_queue_ptr 0
		.amdhsa_user_sgpr_kernarg_segment_ptr 1
		.amdhsa_user_sgpr_dispatch_id 0
		.amdhsa_user_sgpr_flat_scratch_init 0
		.amdhsa_user_sgpr_kernarg_preload_length 0
		.amdhsa_user_sgpr_kernarg_preload_offset 0
		.amdhsa_user_sgpr_private_segment_size 0
		.amdhsa_uses_dynamic_stack 0
		.amdhsa_system_sgpr_private_segment_wavefront_offset 0
		.amdhsa_system_sgpr_workgroup_id_x 1
		.amdhsa_system_sgpr_workgroup_id_y 0
		.amdhsa_system_sgpr_workgroup_id_z 0
		.amdhsa_system_sgpr_workgroup_info 0
		.amdhsa_system_vgpr_workitem_id 0
		.amdhsa_next_free_vgpr 1
		.amdhsa_next_free_sgpr 0
		.amdhsa_accum_offset 4
		.amdhsa_reserve_vcc 0
		.amdhsa_reserve_flat_scratch 0
		.amdhsa_float_round_mode_32 0
		.amdhsa_float_round_mode_16_64 0
		.amdhsa_float_denorm_mode_32 3
		.amdhsa_float_denorm_mode_16_64 3
		.amdhsa_dx10_clamp 1
		.amdhsa_ieee_mode 1
		.amdhsa_fp16_overflow 0
		.amdhsa_tg_split 0
		.amdhsa_exception_fp_ieee_invalid_op 0
		.amdhsa_exception_fp_denorm_src 0
		.amdhsa_exception_fp_ieee_div_zero 0
		.amdhsa_exception_fp_ieee_overflow 0
		.amdhsa_exception_fp_ieee_underflow 0
		.amdhsa_exception_fp_ieee_inexact 0
		.amdhsa_exception_int_div_zero 0
	.end_amdhsa_kernel
	.section	.text._ZN7rocprim17ROCPRIM_400000_NS6detail17trampoline_kernelINS0_14default_configENS1_35radix_sort_onesweep_config_selectorImNS0_10empty_typeEEEZNS1_34radix_sort_onesweep_global_offsetsIS3_Lb0EPmPS5_mNS0_19identity_decomposerEEE10hipError_tT1_T2_PT3_SE_jT4_jjP12ihipStream_tbEUlT_E0_NS1_11comp_targetILNS1_3genE8ELNS1_11target_archE1030ELNS1_3gpuE2ELNS1_3repE0EEENS1_52radix_sort_onesweep_histogram_config_static_selectorELNS0_4arch9wavefront6targetE1EEEvSC_,"axG",@progbits,_ZN7rocprim17ROCPRIM_400000_NS6detail17trampoline_kernelINS0_14default_configENS1_35radix_sort_onesweep_config_selectorImNS0_10empty_typeEEEZNS1_34radix_sort_onesweep_global_offsetsIS3_Lb0EPmPS5_mNS0_19identity_decomposerEEE10hipError_tT1_T2_PT3_SE_jT4_jjP12ihipStream_tbEUlT_E0_NS1_11comp_targetILNS1_3genE8ELNS1_11target_archE1030ELNS1_3gpuE2ELNS1_3repE0EEENS1_52radix_sort_onesweep_histogram_config_static_selectorELNS0_4arch9wavefront6targetE1EEEvSC_,comdat
.Lfunc_end979:
	.size	_ZN7rocprim17ROCPRIM_400000_NS6detail17trampoline_kernelINS0_14default_configENS1_35radix_sort_onesweep_config_selectorImNS0_10empty_typeEEEZNS1_34radix_sort_onesweep_global_offsetsIS3_Lb0EPmPS5_mNS0_19identity_decomposerEEE10hipError_tT1_T2_PT3_SE_jT4_jjP12ihipStream_tbEUlT_E0_NS1_11comp_targetILNS1_3genE8ELNS1_11target_archE1030ELNS1_3gpuE2ELNS1_3repE0EEENS1_52radix_sort_onesweep_histogram_config_static_selectorELNS0_4arch9wavefront6targetE1EEEvSC_, .Lfunc_end979-_ZN7rocprim17ROCPRIM_400000_NS6detail17trampoline_kernelINS0_14default_configENS1_35radix_sort_onesweep_config_selectorImNS0_10empty_typeEEEZNS1_34radix_sort_onesweep_global_offsetsIS3_Lb0EPmPS5_mNS0_19identity_decomposerEEE10hipError_tT1_T2_PT3_SE_jT4_jjP12ihipStream_tbEUlT_E0_NS1_11comp_targetILNS1_3genE8ELNS1_11target_archE1030ELNS1_3gpuE2ELNS1_3repE0EEENS1_52radix_sort_onesweep_histogram_config_static_selectorELNS0_4arch9wavefront6targetE1EEEvSC_
                                        ; -- End function
	.section	.AMDGPU.csdata,"",@progbits
; Kernel info:
; codeLenInByte = 0
; NumSgprs: 4
; NumVgprs: 0
; NumAgprs: 0
; TotalNumVgprs: 0
; ScratchSize: 0
; MemoryBound: 0
; FloatMode: 240
; IeeeMode: 1
; LDSByteSize: 0 bytes/workgroup (compile time only)
; SGPRBlocks: 0
; VGPRBlocks: 0
; NumSGPRsForWavesPerEU: 4
; NumVGPRsForWavesPerEU: 1
; AccumOffset: 4
; Occupancy: 8
; WaveLimiterHint : 0
; COMPUTE_PGM_RSRC2:SCRATCH_EN: 0
; COMPUTE_PGM_RSRC2:USER_SGPR: 6
; COMPUTE_PGM_RSRC2:TRAP_HANDLER: 0
; COMPUTE_PGM_RSRC2:TGID_X_EN: 1
; COMPUTE_PGM_RSRC2:TGID_Y_EN: 0
; COMPUTE_PGM_RSRC2:TGID_Z_EN: 0
; COMPUTE_PGM_RSRC2:TIDIG_COMP_CNT: 0
; COMPUTE_PGM_RSRC3_GFX90A:ACCUM_OFFSET: 0
; COMPUTE_PGM_RSRC3_GFX90A:TG_SPLIT: 0
	.section	.text._ZN7rocprim17ROCPRIM_400000_NS6detail17trampoline_kernelINS0_14default_configENS1_35radix_sort_onesweep_config_selectorImNS0_10empty_typeEEEZZNS1_29radix_sort_onesweep_iterationIS3_Lb0EPmS8_PS5_S9_mNS0_19identity_decomposerENS1_16block_id_wrapperIjLb1EEEEE10hipError_tT1_PNSt15iterator_traitsISE_E10value_typeET2_T3_PNSF_ISK_E10value_typeET4_T5_PSP_SQ_PNS1_23onesweep_lookback_stateEbbT6_jjT7_P12ihipStream_tbENKUlT_T0_SE_SJ_E_clIS8_S8_S9_S9_EEDaSX_SY_SE_SJ_EUlSX_E_NS1_11comp_targetILNS1_3genE0ELNS1_11target_archE4294967295ELNS1_3gpuE0ELNS1_3repE0EEENS1_47radix_sort_onesweep_sort_config_static_selectorELNS0_4arch9wavefront6targetE1EEEvSE_,"axG",@progbits,_ZN7rocprim17ROCPRIM_400000_NS6detail17trampoline_kernelINS0_14default_configENS1_35radix_sort_onesweep_config_selectorImNS0_10empty_typeEEEZZNS1_29radix_sort_onesweep_iterationIS3_Lb0EPmS8_PS5_S9_mNS0_19identity_decomposerENS1_16block_id_wrapperIjLb1EEEEE10hipError_tT1_PNSt15iterator_traitsISE_E10value_typeET2_T3_PNSF_ISK_E10value_typeET4_T5_PSP_SQ_PNS1_23onesweep_lookback_stateEbbT6_jjT7_P12ihipStream_tbENKUlT_T0_SE_SJ_E_clIS8_S8_S9_S9_EEDaSX_SY_SE_SJ_EUlSX_E_NS1_11comp_targetILNS1_3genE0ELNS1_11target_archE4294967295ELNS1_3gpuE0ELNS1_3repE0EEENS1_47radix_sort_onesweep_sort_config_static_selectorELNS0_4arch9wavefront6targetE1EEEvSE_,comdat
	.protected	_ZN7rocprim17ROCPRIM_400000_NS6detail17trampoline_kernelINS0_14default_configENS1_35radix_sort_onesweep_config_selectorImNS0_10empty_typeEEEZZNS1_29radix_sort_onesweep_iterationIS3_Lb0EPmS8_PS5_S9_mNS0_19identity_decomposerENS1_16block_id_wrapperIjLb1EEEEE10hipError_tT1_PNSt15iterator_traitsISE_E10value_typeET2_T3_PNSF_ISK_E10value_typeET4_T5_PSP_SQ_PNS1_23onesweep_lookback_stateEbbT6_jjT7_P12ihipStream_tbENKUlT_T0_SE_SJ_E_clIS8_S8_S9_S9_EEDaSX_SY_SE_SJ_EUlSX_E_NS1_11comp_targetILNS1_3genE0ELNS1_11target_archE4294967295ELNS1_3gpuE0ELNS1_3repE0EEENS1_47radix_sort_onesweep_sort_config_static_selectorELNS0_4arch9wavefront6targetE1EEEvSE_ ; -- Begin function _ZN7rocprim17ROCPRIM_400000_NS6detail17trampoline_kernelINS0_14default_configENS1_35radix_sort_onesweep_config_selectorImNS0_10empty_typeEEEZZNS1_29radix_sort_onesweep_iterationIS3_Lb0EPmS8_PS5_S9_mNS0_19identity_decomposerENS1_16block_id_wrapperIjLb1EEEEE10hipError_tT1_PNSt15iterator_traitsISE_E10value_typeET2_T3_PNSF_ISK_E10value_typeET4_T5_PSP_SQ_PNS1_23onesweep_lookback_stateEbbT6_jjT7_P12ihipStream_tbENKUlT_T0_SE_SJ_E_clIS8_S8_S9_S9_EEDaSX_SY_SE_SJ_EUlSX_E_NS1_11comp_targetILNS1_3genE0ELNS1_11target_archE4294967295ELNS1_3gpuE0ELNS1_3repE0EEENS1_47radix_sort_onesweep_sort_config_static_selectorELNS0_4arch9wavefront6targetE1EEEvSE_
	.globl	_ZN7rocprim17ROCPRIM_400000_NS6detail17trampoline_kernelINS0_14default_configENS1_35radix_sort_onesweep_config_selectorImNS0_10empty_typeEEEZZNS1_29radix_sort_onesweep_iterationIS3_Lb0EPmS8_PS5_S9_mNS0_19identity_decomposerENS1_16block_id_wrapperIjLb1EEEEE10hipError_tT1_PNSt15iterator_traitsISE_E10value_typeET2_T3_PNSF_ISK_E10value_typeET4_T5_PSP_SQ_PNS1_23onesweep_lookback_stateEbbT6_jjT7_P12ihipStream_tbENKUlT_T0_SE_SJ_E_clIS8_S8_S9_S9_EEDaSX_SY_SE_SJ_EUlSX_E_NS1_11comp_targetILNS1_3genE0ELNS1_11target_archE4294967295ELNS1_3gpuE0ELNS1_3repE0EEENS1_47radix_sort_onesweep_sort_config_static_selectorELNS0_4arch9wavefront6targetE1EEEvSE_
	.p2align	8
	.type	_ZN7rocprim17ROCPRIM_400000_NS6detail17trampoline_kernelINS0_14default_configENS1_35radix_sort_onesweep_config_selectorImNS0_10empty_typeEEEZZNS1_29radix_sort_onesweep_iterationIS3_Lb0EPmS8_PS5_S9_mNS0_19identity_decomposerENS1_16block_id_wrapperIjLb1EEEEE10hipError_tT1_PNSt15iterator_traitsISE_E10value_typeET2_T3_PNSF_ISK_E10value_typeET4_T5_PSP_SQ_PNS1_23onesweep_lookback_stateEbbT6_jjT7_P12ihipStream_tbENKUlT_T0_SE_SJ_E_clIS8_S8_S9_S9_EEDaSX_SY_SE_SJ_EUlSX_E_NS1_11comp_targetILNS1_3genE0ELNS1_11target_archE4294967295ELNS1_3gpuE0ELNS1_3repE0EEENS1_47radix_sort_onesweep_sort_config_static_selectorELNS0_4arch9wavefront6targetE1EEEvSE_,@function
_ZN7rocprim17ROCPRIM_400000_NS6detail17trampoline_kernelINS0_14default_configENS1_35radix_sort_onesweep_config_selectorImNS0_10empty_typeEEEZZNS1_29radix_sort_onesweep_iterationIS3_Lb0EPmS8_PS5_S9_mNS0_19identity_decomposerENS1_16block_id_wrapperIjLb1EEEEE10hipError_tT1_PNSt15iterator_traitsISE_E10value_typeET2_T3_PNSF_ISK_E10value_typeET4_T5_PSP_SQ_PNS1_23onesweep_lookback_stateEbbT6_jjT7_P12ihipStream_tbENKUlT_T0_SE_SJ_E_clIS8_S8_S9_S9_EEDaSX_SY_SE_SJ_EUlSX_E_NS1_11comp_targetILNS1_3genE0ELNS1_11target_archE4294967295ELNS1_3gpuE0ELNS1_3repE0EEENS1_47radix_sort_onesweep_sort_config_static_selectorELNS0_4arch9wavefront6targetE1EEEvSE_: ; @_ZN7rocprim17ROCPRIM_400000_NS6detail17trampoline_kernelINS0_14default_configENS1_35radix_sort_onesweep_config_selectorImNS0_10empty_typeEEEZZNS1_29radix_sort_onesweep_iterationIS3_Lb0EPmS8_PS5_S9_mNS0_19identity_decomposerENS1_16block_id_wrapperIjLb1EEEEE10hipError_tT1_PNSt15iterator_traitsISE_E10value_typeET2_T3_PNSF_ISK_E10value_typeET4_T5_PSP_SQ_PNS1_23onesweep_lookback_stateEbbT6_jjT7_P12ihipStream_tbENKUlT_T0_SE_SJ_E_clIS8_S8_S9_S9_EEDaSX_SY_SE_SJ_EUlSX_E_NS1_11comp_targetILNS1_3genE0ELNS1_11target_archE4294967295ELNS1_3gpuE0ELNS1_3repE0EEENS1_47radix_sort_onesweep_sort_config_static_selectorELNS0_4arch9wavefront6targetE1EEEvSE_
; %bb.0:
	.section	.rodata,"a",@progbits
	.p2align	6, 0x0
	.amdhsa_kernel _ZN7rocprim17ROCPRIM_400000_NS6detail17trampoline_kernelINS0_14default_configENS1_35radix_sort_onesweep_config_selectorImNS0_10empty_typeEEEZZNS1_29radix_sort_onesweep_iterationIS3_Lb0EPmS8_PS5_S9_mNS0_19identity_decomposerENS1_16block_id_wrapperIjLb1EEEEE10hipError_tT1_PNSt15iterator_traitsISE_E10value_typeET2_T3_PNSF_ISK_E10value_typeET4_T5_PSP_SQ_PNS1_23onesweep_lookback_stateEbbT6_jjT7_P12ihipStream_tbENKUlT_T0_SE_SJ_E_clIS8_S8_S9_S9_EEDaSX_SY_SE_SJ_EUlSX_E_NS1_11comp_targetILNS1_3genE0ELNS1_11target_archE4294967295ELNS1_3gpuE0ELNS1_3repE0EEENS1_47radix_sort_onesweep_sort_config_static_selectorELNS0_4arch9wavefront6targetE1EEEvSE_
		.amdhsa_group_segment_fixed_size 0
		.amdhsa_private_segment_fixed_size 0
		.amdhsa_kernarg_size 88
		.amdhsa_user_sgpr_count 6
		.amdhsa_user_sgpr_private_segment_buffer 1
		.amdhsa_user_sgpr_dispatch_ptr 0
		.amdhsa_user_sgpr_queue_ptr 0
		.amdhsa_user_sgpr_kernarg_segment_ptr 1
		.amdhsa_user_sgpr_dispatch_id 0
		.amdhsa_user_sgpr_flat_scratch_init 0
		.amdhsa_user_sgpr_kernarg_preload_length 0
		.amdhsa_user_sgpr_kernarg_preload_offset 0
		.amdhsa_user_sgpr_private_segment_size 0
		.amdhsa_uses_dynamic_stack 0
		.amdhsa_system_sgpr_private_segment_wavefront_offset 0
		.amdhsa_system_sgpr_workgroup_id_x 1
		.amdhsa_system_sgpr_workgroup_id_y 0
		.amdhsa_system_sgpr_workgroup_id_z 0
		.amdhsa_system_sgpr_workgroup_info 0
		.amdhsa_system_vgpr_workitem_id 0
		.amdhsa_next_free_vgpr 1
		.amdhsa_next_free_sgpr 0
		.amdhsa_accum_offset 4
		.amdhsa_reserve_vcc 0
		.amdhsa_reserve_flat_scratch 0
		.amdhsa_float_round_mode_32 0
		.amdhsa_float_round_mode_16_64 0
		.amdhsa_float_denorm_mode_32 3
		.amdhsa_float_denorm_mode_16_64 3
		.amdhsa_dx10_clamp 1
		.amdhsa_ieee_mode 1
		.amdhsa_fp16_overflow 0
		.amdhsa_tg_split 0
		.amdhsa_exception_fp_ieee_invalid_op 0
		.amdhsa_exception_fp_denorm_src 0
		.amdhsa_exception_fp_ieee_div_zero 0
		.amdhsa_exception_fp_ieee_overflow 0
		.amdhsa_exception_fp_ieee_underflow 0
		.amdhsa_exception_fp_ieee_inexact 0
		.amdhsa_exception_int_div_zero 0
	.end_amdhsa_kernel
	.section	.text._ZN7rocprim17ROCPRIM_400000_NS6detail17trampoline_kernelINS0_14default_configENS1_35radix_sort_onesweep_config_selectorImNS0_10empty_typeEEEZZNS1_29radix_sort_onesweep_iterationIS3_Lb0EPmS8_PS5_S9_mNS0_19identity_decomposerENS1_16block_id_wrapperIjLb1EEEEE10hipError_tT1_PNSt15iterator_traitsISE_E10value_typeET2_T3_PNSF_ISK_E10value_typeET4_T5_PSP_SQ_PNS1_23onesweep_lookback_stateEbbT6_jjT7_P12ihipStream_tbENKUlT_T0_SE_SJ_E_clIS8_S8_S9_S9_EEDaSX_SY_SE_SJ_EUlSX_E_NS1_11comp_targetILNS1_3genE0ELNS1_11target_archE4294967295ELNS1_3gpuE0ELNS1_3repE0EEENS1_47radix_sort_onesweep_sort_config_static_selectorELNS0_4arch9wavefront6targetE1EEEvSE_,"axG",@progbits,_ZN7rocprim17ROCPRIM_400000_NS6detail17trampoline_kernelINS0_14default_configENS1_35radix_sort_onesweep_config_selectorImNS0_10empty_typeEEEZZNS1_29radix_sort_onesweep_iterationIS3_Lb0EPmS8_PS5_S9_mNS0_19identity_decomposerENS1_16block_id_wrapperIjLb1EEEEE10hipError_tT1_PNSt15iterator_traitsISE_E10value_typeET2_T3_PNSF_ISK_E10value_typeET4_T5_PSP_SQ_PNS1_23onesweep_lookback_stateEbbT6_jjT7_P12ihipStream_tbENKUlT_T0_SE_SJ_E_clIS8_S8_S9_S9_EEDaSX_SY_SE_SJ_EUlSX_E_NS1_11comp_targetILNS1_3genE0ELNS1_11target_archE4294967295ELNS1_3gpuE0ELNS1_3repE0EEENS1_47radix_sort_onesweep_sort_config_static_selectorELNS0_4arch9wavefront6targetE1EEEvSE_,comdat
.Lfunc_end980:
	.size	_ZN7rocprim17ROCPRIM_400000_NS6detail17trampoline_kernelINS0_14default_configENS1_35radix_sort_onesweep_config_selectorImNS0_10empty_typeEEEZZNS1_29radix_sort_onesweep_iterationIS3_Lb0EPmS8_PS5_S9_mNS0_19identity_decomposerENS1_16block_id_wrapperIjLb1EEEEE10hipError_tT1_PNSt15iterator_traitsISE_E10value_typeET2_T3_PNSF_ISK_E10value_typeET4_T5_PSP_SQ_PNS1_23onesweep_lookback_stateEbbT6_jjT7_P12ihipStream_tbENKUlT_T0_SE_SJ_E_clIS8_S8_S9_S9_EEDaSX_SY_SE_SJ_EUlSX_E_NS1_11comp_targetILNS1_3genE0ELNS1_11target_archE4294967295ELNS1_3gpuE0ELNS1_3repE0EEENS1_47radix_sort_onesweep_sort_config_static_selectorELNS0_4arch9wavefront6targetE1EEEvSE_, .Lfunc_end980-_ZN7rocprim17ROCPRIM_400000_NS6detail17trampoline_kernelINS0_14default_configENS1_35radix_sort_onesweep_config_selectorImNS0_10empty_typeEEEZZNS1_29radix_sort_onesweep_iterationIS3_Lb0EPmS8_PS5_S9_mNS0_19identity_decomposerENS1_16block_id_wrapperIjLb1EEEEE10hipError_tT1_PNSt15iterator_traitsISE_E10value_typeET2_T3_PNSF_ISK_E10value_typeET4_T5_PSP_SQ_PNS1_23onesweep_lookback_stateEbbT6_jjT7_P12ihipStream_tbENKUlT_T0_SE_SJ_E_clIS8_S8_S9_S9_EEDaSX_SY_SE_SJ_EUlSX_E_NS1_11comp_targetILNS1_3genE0ELNS1_11target_archE4294967295ELNS1_3gpuE0ELNS1_3repE0EEENS1_47radix_sort_onesweep_sort_config_static_selectorELNS0_4arch9wavefront6targetE1EEEvSE_
                                        ; -- End function
	.section	.AMDGPU.csdata,"",@progbits
; Kernel info:
; codeLenInByte = 0
; NumSgprs: 4
; NumVgprs: 0
; NumAgprs: 0
; TotalNumVgprs: 0
; ScratchSize: 0
; MemoryBound: 0
; FloatMode: 240
; IeeeMode: 1
; LDSByteSize: 0 bytes/workgroup (compile time only)
; SGPRBlocks: 0
; VGPRBlocks: 0
; NumSGPRsForWavesPerEU: 4
; NumVGPRsForWavesPerEU: 1
; AccumOffset: 4
; Occupancy: 8
; WaveLimiterHint : 0
; COMPUTE_PGM_RSRC2:SCRATCH_EN: 0
; COMPUTE_PGM_RSRC2:USER_SGPR: 6
; COMPUTE_PGM_RSRC2:TRAP_HANDLER: 0
; COMPUTE_PGM_RSRC2:TGID_X_EN: 1
; COMPUTE_PGM_RSRC2:TGID_Y_EN: 0
; COMPUTE_PGM_RSRC2:TGID_Z_EN: 0
; COMPUTE_PGM_RSRC2:TIDIG_COMP_CNT: 0
; COMPUTE_PGM_RSRC3_GFX90A:ACCUM_OFFSET: 0
; COMPUTE_PGM_RSRC3_GFX90A:TG_SPLIT: 0
	.section	.text._ZN7rocprim17ROCPRIM_400000_NS6detail17trampoline_kernelINS0_14default_configENS1_35radix_sort_onesweep_config_selectorImNS0_10empty_typeEEEZZNS1_29radix_sort_onesweep_iterationIS3_Lb0EPmS8_PS5_S9_mNS0_19identity_decomposerENS1_16block_id_wrapperIjLb1EEEEE10hipError_tT1_PNSt15iterator_traitsISE_E10value_typeET2_T3_PNSF_ISK_E10value_typeET4_T5_PSP_SQ_PNS1_23onesweep_lookback_stateEbbT6_jjT7_P12ihipStream_tbENKUlT_T0_SE_SJ_E_clIS8_S8_S9_S9_EEDaSX_SY_SE_SJ_EUlSX_E_NS1_11comp_targetILNS1_3genE6ELNS1_11target_archE950ELNS1_3gpuE13ELNS1_3repE0EEENS1_47radix_sort_onesweep_sort_config_static_selectorELNS0_4arch9wavefront6targetE1EEEvSE_,"axG",@progbits,_ZN7rocprim17ROCPRIM_400000_NS6detail17trampoline_kernelINS0_14default_configENS1_35radix_sort_onesweep_config_selectorImNS0_10empty_typeEEEZZNS1_29radix_sort_onesweep_iterationIS3_Lb0EPmS8_PS5_S9_mNS0_19identity_decomposerENS1_16block_id_wrapperIjLb1EEEEE10hipError_tT1_PNSt15iterator_traitsISE_E10value_typeET2_T3_PNSF_ISK_E10value_typeET4_T5_PSP_SQ_PNS1_23onesweep_lookback_stateEbbT6_jjT7_P12ihipStream_tbENKUlT_T0_SE_SJ_E_clIS8_S8_S9_S9_EEDaSX_SY_SE_SJ_EUlSX_E_NS1_11comp_targetILNS1_3genE6ELNS1_11target_archE950ELNS1_3gpuE13ELNS1_3repE0EEENS1_47radix_sort_onesweep_sort_config_static_selectorELNS0_4arch9wavefront6targetE1EEEvSE_,comdat
	.protected	_ZN7rocprim17ROCPRIM_400000_NS6detail17trampoline_kernelINS0_14default_configENS1_35radix_sort_onesweep_config_selectorImNS0_10empty_typeEEEZZNS1_29radix_sort_onesweep_iterationIS3_Lb0EPmS8_PS5_S9_mNS0_19identity_decomposerENS1_16block_id_wrapperIjLb1EEEEE10hipError_tT1_PNSt15iterator_traitsISE_E10value_typeET2_T3_PNSF_ISK_E10value_typeET4_T5_PSP_SQ_PNS1_23onesweep_lookback_stateEbbT6_jjT7_P12ihipStream_tbENKUlT_T0_SE_SJ_E_clIS8_S8_S9_S9_EEDaSX_SY_SE_SJ_EUlSX_E_NS1_11comp_targetILNS1_3genE6ELNS1_11target_archE950ELNS1_3gpuE13ELNS1_3repE0EEENS1_47radix_sort_onesweep_sort_config_static_selectorELNS0_4arch9wavefront6targetE1EEEvSE_ ; -- Begin function _ZN7rocprim17ROCPRIM_400000_NS6detail17trampoline_kernelINS0_14default_configENS1_35radix_sort_onesweep_config_selectorImNS0_10empty_typeEEEZZNS1_29radix_sort_onesweep_iterationIS3_Lb0EPmS8_PS5_S9_mNS0_19identity_decomposerENS1_16block_id_wrapperIjLb1EEEEE10hipError_tT1_PNSt15iterator_traitsISE_E10value_typeET2_T3_PNSF_ISK_E10value_typeET4_T5_PSP_SQ_PNS1_23onesweep_lookback_stateEbbT6_jjT7_P12ihipStream_tbENKUlT_T0_SE_SJ_E_clIS8_S8_S9_S9_EEDaSX_SY_SE_SJ_EUlSX_E_NS1_11comp_targetILNS1_3genE6ELNS1_11target_archE950ELNS1_3gpuE13ELNS1_3repE0EEENS1_47radix_sort_onesweep_sort_config_static_selectorELNS0_4arch9wavefront6targetE1EEEvSE_
	.globl	_ZN7rocprim17ROCPRIM_400000_NS6detail17trampoline_kernelINS0_14default_configENS1_35radix_sort_onesweep_config_selectorImNS0_10empty_typeEEEZZNS1_29radix_sort_onesweep_iterationIS3_Lb0EPmS8_PS5_S9_mNS0_19identity_decomposerENS1_16block_id_wrapperIjLb1EEEEE10hipError_tT1_PNSt15iterator_traitsISE_E10value_typeET2_T3_PNSF_ISK_E10value_typeET4_T5_PSP_SQ_PNS1_23onesweep_lookback_stateEbbT6_jjT7_P12ihipStream_tbENKUlT_T0_SE_SJ_E_clIS8_S8_S9_S9_EEDaSX_SY_SE_SJ_EUlSX_E_NS1_11comp_targetILNS1_3genE6ELNS1_11target_archE950ELNS1_3gpuE13ELNS1_3repE0EEENS1_47radix_sort_onesweep_sort_config_static_selectorELNS0_4arch9wavefront6targetE1EEEvSE_
	.p2align	8
	.type	_ZN7rocprim17ROCPRIM_400000_NS6detail17trampoline_kernelINS0_14default_configENS1_35radix_sort_onesweep_config_selectorImNS0_10empty_typeEEEZZNS1_29radix_sort_onesweep_iterationIS3_Lb0EPmS8_PS5_S9_mNS0_19identity_decomposerENS1_16block_id_wrapperIjLb1EEEEE10hipError_tT1_PNSt15iterator_traitsISE_E10value_typeET2_T3_PNSF_ISK_E10value_typeET4_T5_PSP_SQ_PNS1_23onesweep_lookback_stateEbbT6_jjT7_P12ihipStream_tbENKUlT_T0_SE_SJ_E_clIS8_S8_S9_S9_EEDaSX_SY_SE_SJ_EUlSX_E_NS1_11comp_targetILNS1_3genE6ELNS1_11target_archE950ELNS1_3gpuE13ELNS1_3repE0EEENS1_47radix_sort_onesweep_sort_config_static_selectorELNS0_4arch9wavefront6targetE1EEEvSE_,@function
_ZN7rocprim17ROCPRIM_400000_NS6detail17trampoline_kernelINS0_14default_configENS1_35radix_sort_onesweep_config_selectorImNS0_10empty_typeEEEZZNS1_29radix_sort_onesweep_iterationIS3_Lb0EPmS8_PS5_S9_mNS0_19identity_decomposerENS1_16block_id_wrapperIjLb1EEEEE10hipError_tT1_PNSt15iterator_traitsISE_E10value_typeET2_T3_PNSF_ISK_E10value_typeET4_T5_PSP_SQ_PNS1_23onesweep_lookback_stateEbbT6_jjT7_P12ihipStream_tbENKUlT_T0_SE_SJ_E_clIS8_S8_S9_S9_EEDaSX_SY_SE_SJ_EUlSX_E_NS1_11comp_targetILNS1_3genE6ELNS1_11target_archE950ELNS1_3gpuE13ELNS1_3repE0EEENS1_47radix_sort_onesweep_sort_config_static_selectorELNS0_4arch9wavefront6targetE1EEEvSE_: ; @_ZN7rocprim17ROCPRIM_400000_NS6detail17trampoline_kernelINS0_14default_configENS1_35radix_sort_onesweep_config_selectorImNS0_10empty_typeEEEZZNS1_29radix_sort_onesweep_iterationIS3_Lb0EPmS8_PS5_S9_mNS0_19identity_decomposerENS1_16block_id_wrapperIjLb1EEEEE10hipError_tT1_PNSt15iterator_traitsISE_E10value_typeET2_T3_PNSF_ISK_E10value_typeET4_T5_PSP_SQ_PNS1_23onesweep_lookback_stateEbbT6_jjT7_P12ihipStream_tbENKUlT_T0_SE_SJ_E_clIS8_S8_S9_S9_EEDaSX_SY_SE_SJ_EUlSX_E_NS1_11comp_targetILNS1_3genE6ELNS1_11target_archE950ELNS1_3gpuE13ELNS1_3repE0EEENS1_47radix_sort_onesweep_sort_config_static_selectorELNS0_4arch9wavefront6targetE1EEEvSE_
; %bb.0:
	.section	.rodata,"a",@progbits
	.p2align	6, 0x0
	.amdhsa_kernel _ZN7rocprim17ROCPRIM_400000_NS6detail17trampoline_kernelINS0_14default_configENS1_35radix_sort_onesweep_config_selectorImNS0_10empty_typeEEEZZNS1_29radix_sort_onesweep_iterationIS3_Lb0EPmS8_PS5_S9_mNS0_19identity_decomposerENS1_16block_id_wrapperIjLb1EEEEE10hipError_tT1_PNSt15iterator_traitsISE_E10value_typeET2_T3_PNSF_ISK_E10value_typeET4_T5_PSP_SQ_PNS1_23onesweep_lookback_stateEbbT6_jjT7_P12ihipStream_tbENKUlT_T0_SE_SJ_E_clIS8_S8_S9_S9_EEDaSX_SY_SE_SJ_EUlSX_E_NS1_11comp_targetILNS1_3genE6ELNS1_11target_archE950ELNS1_3gpuE13ELNS1_3repE0EEENS1_47radix_sort_onesweep_sort_config_static_selectorELNS0_4arch9wavefront6targetE1EEEvSE_
		.amdhsa_group_segment_fixed_size 0
		.amdhsa_private_segment_fixed_size 0
		.amdhsa_kernarg_size 88
		.amdhsa_user_sgpr_count 6
		.amdhsa_user_sgpr_private_segment_buffer 1
		.amdhsa_user_sgpr_dispatch_ptr 0
		.amdhsa_user_sgpr_queue_ptr 0
		.amdhsa_user_sgpr_kernarg_segment_ptr 1
		.amdhsa_user_sgpr_dispatch_id 0
		.amdhsa_user_sgpr_flat_scratch_init 0
		.amdhsa_user_sgpr_kernarg_preload_length 0
		.amdhsa_user_sgpr_kernarg_preload_offset 0
		.amdhsa_user_sgpr_private_segment_size 0
		.amdhsa_uses_dynamic_stack 0
		.amdhsa_system_sgpr_private_segment_wavefront_offset 0
		.amdhsa_system_sgpr_workgroup_id_x 1
		.amdhsa_system_sgpr_workgroup_id_y 0
		.amdhsa_system_sgpr_workgroup_id_z 0
		.amdhsa_system_sgpr_workgroup_info 0
		.amdhsa_system_vgpr_workitem_id 0
		.amdhsa_next_free_vgpr 1
		.amdhsa_next_free_sgpr 0
		.amdhsa_accum_offset 4
		.amdhsa_reserve_vcc 0
		.amdhsa_reserve_flat_scratch 0
		.amdhsa_float_round_mode_32 0
		.amdhsa_float_round_mode_16_64 0
		.amdhsa_float_denorm_mode_32 3
		.amdhsa_float_denorm_mode_16_64 3
		.amdhsa_dx10_clamp 1
		.amdhsa_ieee_mode 1
		.amdhsa_fp16_overflow 0
		.amdhsa_tg_split 0
		.amdhsa_exception_fp_ieee_invalid_op 0
		.amdhsa_exception_fp_denorm_src 0
		.amdhsa_exception_fp_ieee_div_zero 0
		.amdhsa_exception_fp_ieee_overflow 0
		.amdhsa_exception_fp_ieee_underflow 0
		.amdhsa_exception_fp_ieee_inexact 0
		.amdhsa_exception_int_div_zero 0
	.end_amdhsa_kernel
	.section	.text._ZN7rocprim17ROCPRIM_400000_NS6detail17trampoline_kernelINS0_14default_configENS1_35radix_sort_onesweep_config_selectorImNS0_10empty_typeEEEZZNS1_29radix_sort_onesweep_iterationIS3_Lb0EPmS8_PS5_S9_mNS0_19identity_decomposerENS1_16block_id_wrapperIjLb1EEEEE10hipError_tT1_PNSt15iterator_traitsISE_E10value_typeET2_T3_PNSF_ISK_E10value_typeET4_T5_PSP_SQ_PNS1_23onesweep_lookback_stateEbbT6_jjT7_P12ihipStream_tbENKUlT_T0_SE_SJ_E_clIS8_S8_S9_S9_EEDaSX_SY_SE_SJ_EUlSX_E_NS1_11comp_targetILNS1_3genE6ELNS1_11target_archE950ELNS1_3gpuE13ELNS1_3repE0EEENS1_47radix_sort_onesweep_sort_config_static_selectorELNS0_4arch9wavefront6targetE1EEEvSE_,"axG",@progbits,_ZN7rocprim17ROCPRIM_400000_NS6detail17trampoline_kernelINS0_14default_configENS1_35radix_sort_onesweep_config_selectorImNS0_10empty_typeEEEZZNS1_29radix_sort_onesweep_iterationIS3_Lb0EPmS8_PS5_S9_mNS0_19identity_decomposerENS1_16block_id_wrapperIjLb1EEEEE10hipError_tT1_PNSt15iterator_traitsISE_E10value_typeET2_T3_PNSF_ISK_E10value_typeET4_T5_PSP_SQ_PNS1_23onesweep_lookback_stateEbbT6_jjT7_P12ihipStream_tbENKUlT_T0_SE_SJ_E_clIS8_S8_S9_S9_EEDaSX_SY_SE_SJ_EUlSX_E_NS1_11comp_targetILNS1_3genE6ELNS1_11target_archE950ELNS1_3gpuE13ELNS1_3repE0EEENS1_47radix_sort_onesweep_sort_config_static_selectorELNS0_4arch9wavefront6targetE1EEEvSE_,comdat
.Lfunc_end981:
	.size	_ZN7rocprim17ROCPRIM_400000_NS6detail17trampoline_kernelINS0_14default_configENS1_35radix_sort_onesweep_config_selectorImNS0_10empty_typeEEEZZNS1_29radix_sort_onesweep_iterationIS3_Lb0EPmS8_PS5_S9_mNS0_19identity_decomposerENS1_16block_id_wrapperIjLb1EEEEE10hipError_tT1_PNSt15iterator_traitsISE_E10value_typeET2_T3_PNSF_ISK_E10value_typeET4_T5_PSP_SQ_PNS1_23onesweep_lookback_stateEbbT6_jjT7_P12ihipStream_tbENKUlT_T0_SE_SJ_E_clIS8_S8_S9_S9_EEDaSX_SY_SE_SJ_EUlSX_E_NS1_11comp_targetILNS1_3genE6ELNS1_11target_archE950ELNS1_3gpuE13ELNS1_3repE0EEENS1_47radix_sort_onesweep_sort_config_static_selectorELNS0_4arch9wavefront6targetE1EEEvSE_, .Lfunc_end981-_ZN7rocprim17ROCPRIM_400000_NS6detail17trampoline_kernelINS0_14default_configENS1_35radix_sort_onesweep_config_selectorImNS0_10empty_typeEEEZZNS1_29radix_sort_onesweep_iterationIS3_Lb0EPmS8_PS5_S9_mNS0_19identity_decomposerENS1_16block_id_wrapperIjLb1EEEEE10hipError_tT1_PNSt15iterator_traitsISE_E10value_typeET2_T3_PNSF_ISK_E10value_typeET4_T5_PSP_SQ_PNS1_23onesweep_lookback_stateEbbT6_jjT7_P12ihipStream_tbENKUlT_T0_SE_SJ_E_clIS8_S8_S9_S9_EEDaSX_SY_SE_SJ_EUlSX_E_NS1_11comp_targetILNS1_3genE6ELNS1_11target_archE950ELNS1_3gpuE13ELNS1_3repE0EEENS1_47radix_sort_onesweep_sort_config_static_selectorELNS0_4arch9wavefront6targetE1EEEvSE_
                                        ; -- End function
	.section	.AMDGPU.csdata,"",@progbits
; Kernel info:
; codeLenInByte = 0
; NumSgprs: 4
; NumVgprs: 0
; NumAgprs: 0
; TotalNumVgprs: 0
; ScratchSize: 0
; MemoryBound: 0
; FloatMode: 240
; IeeeMode: 1
; LDSByteSize: 0 bytes/workgroup (compile time only)
; SGPRBlocks: 0
; VGPRBlocks: 0
; NumSGPRsForWavesPerEU: 4
; NumVGPRsForWavesPerEU: 1
; AccumOffset: 4
; Occupancy: 8
; WaveLimiterHint : 0
; COMPUTE_PGM_RSRC2:SCRATCH_EN: 0
; COMPUTE_PGM_RSRC2:USER_SGPR: 6
; COMPUTE_PGM_RSRC2:TRAP_HANDLER: 0
; COMPUTE_PGM_RSRC2:TGID_X_EN: 1
; COMPUTE_PGM_RSRC2:TGID_Y_EN: 0
; COMPUTE_PGM_RSRC2:TGID_Z_EN: 0
; COMPUTE_PGM_RSRC2:TIDIG_COMP_CNT: 0
; COMPUTE_PGM_RSRC3_GFX90A:ACCUM_OFFSET: 0
; COMPUTE_PGM_RSRC3_GFX90A:TG_SPLIT: 0
	.section	.text._ZN7rocprim17ROCPRIM_400000_NS6detail17trampoline_kernelINS0_14default_configENS1_35radix_sort_onesweep_config_selectorImNS0_10empty_typeEEEZZNS1_29radix_sort_onesweep_iterationIS3_Lb0EPmS8_PS5_S9_mNS0_19identity_decomposerENS1_16block_id_wrapperIjLb1EEEEE10hipError_tT1_PNSt15iterator_traitsISE_E10value_typeET2_T3_PNSF_ISK_E10value_typeET4_T5_PSP_SQ_PNS1_23onesweep_lookback_stateEbbT6_jjT7_P12ihipStream_tbENKUlT_T0_SE_SJ_E_clIS8_S8_S9_S9_EEDaSX_SY_SE_SJ_EUlSX_E_NS1_11comp_targetILNS1_3genE5ELNS1_11target_archE942ELNS1_3gpuE9ELNS1_3repE0EEENS1_47radix_sort_onesweep_sort_config_static_selectorELNS0_4arch9wavefront6targetE1EEEvSE_,"axG",@progbits,_ZN7rocprim17ROCPRIM_400000_NS6detail17trampoline_kernelINS0_14default_configENS1_35radix_sort_onesweep_config_selectorImNS0_10empty_typeEEEZZNS1_29radix_sort_onesweep_iterationIS3_Lb0EPmS8_PS5_S9_mNS0_19identity_decomposerENS1_16block_id_wrapperIjLb1EEEEE10hipError_tT1_PNSt15iterator_traitsISE_E10value_typeET2_T3_PNSF_ISK_E10value_typeET4_T5_PSP_SQ_PNS1_23onesweep_lookback_stateEbbT6_jjT7_P12ihipStream_tbENKUlT_T0_SE_SJ_E_clIS8_S8_S9_S9_EEDaSX_SY_SE_SJ_EUlSX_E_NS1_11comp_targetILNS1_3genE5ELNS1_11target_archE942ELNS1_3gpuE9ELNS1_3repE0EEENS1_47radix_sort_onesweep_sort_config_static_selectorELNS0_4arch9wavefront6targetE1EEEvSE_,comdat
	.protected	_ZN7rocprim17ROCPRIM_400000_NS6detail17trampoline_kernelINS0_14default_configENS1_35radix_sort_onesweep_config_selectorImNS0_10empty_typeEEEZZNS1_29radix_sort_onesweep_iterationIS3_Lb0EPmS8_PS5_S9_mNS0_19identity_decomposerENS1_16block_id_wrapperIjLb1EEEEE10hipError_tT1_PNSt15iterator_traitsISE_E10value_typeET2_T3_PNSF_ISK_E10value_typeET4_T5_PSP_SQ_PNS1_23onesweep_lookback_stateEbbT6_jjT7_P12ihipStream_tbENKUlT_T0_SE_SJ_E_clIS8_S8_S9_S9_EEDaSX_SY_SE_SJ_EUlSX_E_NS1_11comp_targetILNS1_3genE5ELNS1_11target_archE942ELNS1_3gpuE9ELNS1_3repE0EEENS1_47radix_sort_onesweep_sort_config_static_selectorELNS0_4arch9wavefront6targetE1EEEvSE_ ; -- Begin function _ZN7rocprim17ROCPRIM_400000_NS6detail17trampoline_kernelINS0_14default_configENS1_35radix_sort_onesweep_config_selectorImNS0_10empty_typeEEEZZNS1_29radix_sort_onesweep_iterationIS3_Lb0EPmS8_PS5_S9_mNS0_19identity_decomposerENS1_16block_id_wrapperIjLb1EEEEE10hipError_tT1_PNSt15iterator_traitsISE_E10value_typeET2_T3_PNSF_ISK_E10value_typeET4_T5_PSP_SQ_PNS1_23onesweep_lookback_stateEbbT6_jjT7_P12ihipStream_tbENKUlT_T0_SE_SJ_E_clIS8_S8_S9_S9_EEDaSX_SY_SE_SJ_EUlSX_E_NS1_11comp_targetILNS1_3genE5ELNS1_11target_archE942ELNS1_3gpuE9ELNS1_3repE0EEENS1_47radix_sort_onesweep_sort_config_static_selectorELNS0_4arch9wavefront6targetE1EEEvSE_
	.globl	_ZN7rocprim17ROCPRIM_400000_NS6detail17trampoline_kernelINS0_14default_configENS1_35radix_sort_onesweep_config_selectorImNS0_10empty_typeEEEZZNS1_29radix_sort_onesweep_iterationIS3_Lb0EPmS8_PS5_S9_mNS0_19identity_decomposerENS1_16block_id_wrapperIjLb1EEEEE10hipError_tT1_PNSt15iterator_traitsISE_E10value_typeET2_T3_PNSF_ISK_E10value_typeET4_T5_PSP_SQ_PNS1_23onesweep_lookback_stateEbbT6_jjT7_P12ihipStream_tbENKUlT_T0_SE_SJ_E_clIS8_S8_S9_S9_EEDaSX_SY_SE_SJ_EUlSX_E_NS1_11comp_targetILNS1_3genE5ELNS1_11target_archE942ELNS1_3gpuE9ELNS1_3repE0EEENS1_47radix_sort_onesweep_sort_config_static_selectorELNS0_4arch9wavefront6targetE1EEEvSE_
	.p2align	8
	.type	_ZN7rocprim17ROCPRIM_400000_NS6detail17trampoline_kernelINS0_14default_configENS1_35radix_sort_onesweep_config_selectorImNS0_10empty_typeEEEZZNS1_29radix_sort_onesweep_iterationIS3_Lb0EPmS8_PS5_S9_mNS0_19identity_decomposerENS1_16block_id_wrapperIjLb1EEEEE10hipError_tT1_PNSt15iterator_traitsISE_E10value_typeET2_T3_PNSF_ISK_E10value_typeET4_T5_PSP_SQ_PNS1_23onesweep_lookback_stateEbbT6_jjT7_P12ihipStream_tbENKUlT_T0_SE_SJ_E_clIS8_S8_S9_S9_EEDaSX_SY_SE_SJ_EUlSX_E_NS1_11comp_targetILNS1_3genE5ELNS1_11target_archE942ELNS1_3gpuE9ELNS1_3repE0EEENS1_47radix_sort_onesweep_sort_config_static_selectorELNS0_4arch9wavefront6targetE1EEEvSE_,@function
_ZN7rocprim17ROCPRIM_400000_NS6detail17trampoline_kernelINS0_14default_configENS1_35radix_sort_onesweep_config_selectorImNS0_10empty_typeEEEZZNS1_29radix_sort_onesweep_iterationIS3_Lb0EPmS8_PS5_S9_mNS0_19identity_decomposerENS1_16block_id_wrapperIjLb1EEEEE10hipError_tT1_PNSt15iterator_traitsISE_E10value_typeET2_T3_PNSF_ISK_E10value_typeET4_T5_PSP_SQ_PNS1_23onesweep_lookback_stateEbbT6_jjT7_P12ihipStream_tbENKUlT_T0_SE_SJ_E_clIS8_S8_S9_S9_EEDaSX_SY_SE_SJ_EUlSX_E_NS1_11comp_targetILNS1_3genE5ELNS1_11target_archE942ELNS1_3gpuE9ELNS1_3repE0EEENS1_47radix_sort_onesweep_sort_config_static_selectorELNS0_4arch9wavefront6targetE1EEEvSE_: ; @_ZN7rocprim17ROCPRIM_400000_NS6detail17trampoline_kernelINS0_14default_configENS1_35radix_sort_onesweep_config_selectorImNS0_10empty_typeEEEZZNS1_29radix_sort_onesweep_iterationIS3_Lb0EPmS8_PS5_S9_mNS0_19identity_decomposerENS1_16block_id_wrapperIjLb1EEEEE10hipError_tT1_PNSt15iterator_traitsISE_E10value_typeET2_T3_PNSF_ISK_E10value_typeET4_T5_PSP_SQ_PNS1_23onesweep_lookback_stateEbbT6_jjT7_P12ihipStream_tbENKUlT_T0_SE_SJ_E_clIS8_S8_S9_S9_EEDaSX_SY_SE_SJ_EUlSX_E_NS1_11comp_targetILNS1_3genE5ELNS1_11target_archE942ELNS1_3gpuE9ELNS1_3repE0EEENS1_47radix_sort_onesweep_sort_config_static_selectorELNS0_4arch9wavefront6targetE1EEEvSE_
; %bb.0:
	.section	.rodata,"a",@progbits
	.p2align	6, 0x0
	.amdhsa_kernel _ZN7rocprim17ROCPRIM_400000_NS6detail17trampoline_kernelINS0_14default_configENS1_35radix_sort_onesweep_config_selectorImNS0_10empty_typeEEEZZNS1_29radix_sort_onesweep_iterationIS3_Lb0EPmS8_PS5_S9_mNS0_19identity_decomposerENS1_16block_id_wrapperIjLb1EEEEE10hipError_tT1_PNSt15iterator_traitsISE_E10value_typeET2_T3_PNSF_ISK_E10value_typeET4_T5_PSP_SQ_PNS1_23onesweep_lookback_stateEbbT6_jjT7_P12ihipStream_tbENKUlT_T0_SE_SJ_E_clIS8_S8_S9_S9_EEDaSX_SY_SE_SJ_EUlSX_E_NS1_11comp_targetILNS1_3genE5ELNS1_11target_archE942ELNS1_3gpuE9ELNS1_3repE0EEENS1_47radix_sort_onesweep_sort_config_static_selectorELNS0_4arch9wavefront6targetE1EEEvSE_
		.amdhsa_group_segment_fixed_size 0
		.amdhsa_private_segment_fixed_size 0
		.amdhsa_kernarg_size 88
		.amdhsa_user_sgpr_count 6
		.amdhsa_user_sgpr_private_segment_buffer 1
		.amdhsa_user_sgpr_dispatch_ptr 0
		.amdhsa_user_sgpr_queue_ptr 0
		.amdhsa_user_sgpr_kernarg_segment_ptr 1
		.amdhsa_user_sgpr_dispatch_id 0
		.amdhsa_user_sgpr_flat_scratch_init 0
		.amdhsa_user_sgpr_kernarg_preload_length 0
		.amdhsa_user_sgpr_kernarg_preload_offset 0
		.amdhsa_user_sgpr_private_segment_size 0
		.amdhsa_uses_dynamic_stack 0
		.amdhsa_system_sgpr_private_segment_wavefront_offset 0
		.amdhsa_system_sgpr_workgroup_id_x 1
		.amdhsa_system_sgpr_workgroup_id_y 0
		.amdhsa_system_sgpr_workgroup_id_z 0
		.amdhsa_system_sgpr_workgroup_info 0
		.amdhsa_system_vgpr_workitem_id 0
		.amdhsa_next_free_vgpr 1
		.amdhsa_next_free_sgpr 0
		.amdhsa_accum_offset 4
		.amdhsa_reserve_vcc 0
		.amdhsa_reserve_flat_scratch 0
		.amdhsa_float_round_mode_32 0
		.amdhsa_float_round_mode_16_64 0
		.amdhsa_float_denorm_mode_32 3
		.amdhsa_float_denorm_mode_16_64 3
		.amdhsa_dx10_clamp 1
		.amdhsa_ieee_mode 1
		.amdhsa_fp16_overflow 0
		.amdhsa_tg_split 0
		.amdhsa_exception_fp_ieee_invalid_op 0
		.amdhsa_exception_fp_denorm_src 0
		.amdhsa_exception_fp_ieee_div_zero 0
		.amdhsa_exception_fp_ieee_overflow 0
		.amdhsa_exception_fp_ieee_underflow 0
		.amdhsa_exception_fp_ieee_inexact 0
		.amdhsa_exception_int_div_zero 0
	.end_amdhsa_kernel
	.section	.text._ZN7rocprim17ROCPRIM_400000_NS6detail17trampoline_kernelINS0_14default_configENS1_35radix_sort_onesweep_config_selectorImNS0_10empty_typeEEEZZNS1_29radix_sort_onesweep_iterationIS3_Lb0EPmS8_PS5_S9_mNS0_19identity_decomposerENS1_16block_id_wrapperIjLb1EEEEE10hipError_tT1_PNSt15iterator_traitsISE_E10value_typeET2_T3_PNSF_ISK_E10value_typeET4_T5_PSP_SQ_PNS1_23onesweep_lookback_stateEbbT6_jjT7_P12ihipStream_tbENKUlT_T0_SE_SJ_E_clIS8_S8_S9_S9_EEDaSX_SY_SE_SJ_EUlSX_E_NS1_11comp_targetILNS1_3genE5ELNS1_11target_archE942ELNS1_3gpuE9ELNS1_3repE0EEENS1_47radix_sort_onesweep_sort_config_static_selectorELNS0_4arch9wavefront6targetE1EEEvSE_,"axG",@progbits,_ZN7rocprim17ROCPRIM_400000_NS6detail17trampoline_kernelINS0_14default_configENS1_35radix_sort_onesweep_config_selectorImNS0_10empty_typeEEEZZNS1_29radix_sort_onesweep_iterationIS3_Lb0EPmS8_PS5_S9_mNS0_19identity_decomposerENS1_16block_id_wrapperIjLb1EEEEE10hipError_tT1_PNSt15iterator_traitsISE_E10value_typeET2_T3_PNSF_ISK_E10value_typeET4_T5_PSP_SQ_PNS1_23onesweep_lookback_stateEbbT6_jjT7_P12ihipStream_tbENKUlT_T0_SE_SJ_E_clIS8_S8_S9_S9_EEDaSX_SY_SE_SJ_EUlSX_E_NS1_11comp_targetILNS1_3genE5ELNS1_11target_archE942ELNS1_3gpuE9ELNS1_3repE0EEENS1_47radix_sort_onesweep_sort_config_static_selectorELNS0_4arch9wavefront6targetE1EEEvSE_,comdat
.Lfunc_end982:
	.size	_ZN7rocprim17ROCPRIM_400000_NS6detail17trampoline_kernelINS0_14default_configENS1_35radix_sort_onesweep_config_selectorImNS0_10empty_typeEEEZZNS1_29radix_sort_onesweep_iterationIS3_Lb0EPmS8_PS5_S9_mNS0_19identity_decomposerENS1_16block_id_wrapperIjLb1EEEEE10hipError_tT1_PNSt15iterator_traitsISE_E10value_typeET2_T3_PNSF_ISK_E10value_typeET4_T5_PSP_SQ_PNS1_23onesweep_lookback_stateEbbT6_jjT7_P12ihipStream_tbENKUlT_T0_SE_SJ_E_clIS8_S8_S9_S9_EEDaSX_SY_SE_SJ_EUlSX_E_NS1_11comp_targetILNS1_3genE5ELNS1_11target_archE942ELNS1_3gpuE9ELNS1_3repE0EEENS1_47radix_sort_onesweep_sort_config_static_selectorELNS0_4arch9wavefront6targetE1EEEvSE_, .Lfunc_end982-_ZN7rocprim17ROCPRIM_400000_NS6detail17trampoline_kernelINS0_14default_configENS1_35radix_sort_onesweep_config_selectorImNS0_10empty_typeEEEZZNS1_29radix_sort_onesweep_iterationIS3_Lb0EPmS8_PS5_S9_mNS0_19identity_decomposerENS1_16block_id_wrapperIjLb1EEEEE10hipError_tT1_PNSt15iterator_traitsISE_E10value_typeET2_T3_PNSF_ISK_E10value_typeET4_T5_PSP_SQ_PNS1_23onesweep_lookback_stateEbbT6_jjT7_P12ihipStream_tbENKUlT_T0_SE_SJ_E_clIS8_S8_S9_S9_EEDaSX_SY_SE_SJ_EUlSX_E_NS1_11comp_targetILNS1_3genE5ELNS1_11target_archE942ELNS1_3gpuE9ELNS1_3repE0EEENS1_47radix_sort_onesweep_sort_config_static_selectorELNS0_4arch9wavefront6targetE1EEEvSE_
                                        ; -- End function
	.section	.AMDGPU.csdata,"",@progbits
; Kernel info:
; codeLenInByte = 0
; NumSgprs: 4
; NumVgprs: 0
; NumAgprs: 0
; TotalNumVgprs: 0
; ScratchSize: 0
; MemoryBound: 0
; FloatMode: 240
; IeeeMode: 1
; LDSByteSize: 0 bytes/workgroup (compile time only)
; SGPRBlocks: 0
; VGPRBlocks: 0
; NumSGPRsForWavesPerEU: 4
; NumVGPRsForWavesPerEU: 1
; AccumOffset: 4
; Occupancy: 8
; WaveLimiterHint : 0
; COMPUTE_PGM_RSRC2:SCRATCH_EN: 0
; COMPUTE_PGM_RSRC2:USER_SGPR: 6
; COMPUTE_PGM_RSRC2:TRAP_HANDLER: 0
; COMPUTE_PGM_RSRC2:TGID_X_EN: 1
; COMPUTE_PGM_RSRC2:TGID_Y_EN: 0
; COMPUTE_PGM_RSRC2:TGID_Z_EN: 0
; COMPUTE_PGM_RSRC2:TIDIG_COMP_CNT: 0
; COMPUTE_PGM_RSRC3_GFX90A:ACCUM_OFFSET: 0
; COMPUTE_PGM_RSRC3_GFX90A:TG_SPLIT: 0
	.section	.text._ZN7rocprim17ROCPRIM_400000_NS6detail17trampoline_kernelINS0_14default_configENS1_35radix_sort_onesweep_config_selectorImNS0_10empty_typeEEEZZNS1_29radix_sort_onesweep_iterationIS3_Lb0EPmS8_PS5_S9_mNS0_19identity_decomposerENS1_16block_id_wrapperIjLb1EEEEE10hipError_tT1_PNSt15iterator_traitsISE_E10value_typeET2_T3_PNSF_ISK_E10value_typeET4_T5_PSP_SQ_PNS1_23onesweep_lookback_stateEbbT6_jjT7_P12ihipStream_tbENKUlT_T0_SE_SJ_E_clIS8_S8_S9_S9_EEDaSX_SY_SE_SJ_EUlSX_E_NS1_11comp_targetILNS1_3genE2ELNS1_11target_archE906ELNS1_3gpuE6ELNS1_3repE0EEENS1_47radix_sort_onesweep_sort_config_static_selectorELNS0_4arch9wavefront6targetE1EEEvSE_,"axG",@progbits,_ZN7rocprim17ROCPRIM_400000_NS6detail17trampoline_kernelINS0_14default_configENS1_35radix_sort_onesweep_config_selectorImNS0_10empty_typeEEEZZNS1_29radix_sort_onesweep_iterationIS3_Lb0EPmS8_PS5_S9_mNS0_19identity_decomposerENS1_16block_id_wrapperIjLb1EEEEE10hipError_tT1_PNSt15iterator_traitsISE_E10value_typeET2_T3_PNSF_ISK_E10value_typeET4_T5_PSP_SQ_PNS1_23onesweep_lookback_stateEbbT6_jjT7_P12ihipStream_tbENKUlT_T0_SE_SJ_E_clIS8_S8_S9_S9_EEDaSX_SY_SE_SJ_EUlSX_E_NS1_11comp_targetILNS1_3genE2ELNS1_11target_archE906ELNS1_3gpuE6ELNS1_3repE0EEENS1_47radix_sort_onesweep_sort_config_static_selectorELNS0_4arch9wavefront6targetE1EEEvSE_,comdat
	.protected	_ZN7rocprim17ROCPRIM_400000_NS6detail17trampoline_kernelINS0_14default_configENS1_35radix_sort_onesweep_config_selectorImNS0_10empty_typeEEEZZNS1_29radix_sort_onesweep_iterationIS3_Lb0EPmS8_PS5_S9_mNS0_19identity_decomposerENS1_16block_id_wrapperIjLb1EEEEE10hipError_tT1_PNSt15iterator_traitsISE_E10value_typeET2_T3_PNSF_ISK_E10value_typeET4_T5_PSP_SQ_PNS1_23onesweep_lookback_stateEbbT6_jjT7_P12ihipStream_tbENKUlT_T0_SE_SJ_E_clIS8_S8_S9_S9_EEDaSX_SY_SE_SJ_EUlSX_E_NS1_11comp_targetILNS1_3genE2ELNS1_11target_archE906ELNS1_3gpuE6ELNS1_3repE0EEENS1_47radix_sort_onesweep_sort_config_static_selectorELNS0_4arch9wavefront6targetE1EEEvSE_ ; -- Begin function _ZN7rocprim17ROCPRIM_400000_NS6detail17trampoline_kernelINS0_14default_configENS1_35radix_sort_onesweep_config_selectorImNS0_10empty_typeEEEZZNS1_29radix_sort_onesweep_iterationIS3_Lb0EPmS8_PS5_S9_mNS0_19identity_decomposerENS1_16block_id_wrapperIjLb1EEEEE10hipError_tT1_PNSt15iterator_traitsISE_E10value_typeET2_T3_PNSF_ISK_E10value_typeET4_T5_PSP_SQ_PNS1_23onesweep_lookback_stateEbbT6_jjT7_P12ihipStream_tbENKUlT_T0_SE_SJ_E_clIS8_S8_S9_S9_EEDaSX_SY_SE_SJ_EUlSX_E_NS1_11comp_targetILNS1_3genE2ELNS1_11target_archE906ELNS1_3gpuE6ELNS1_3repE0EEENS1_47radix_sort_onesweep_sort_config_static_selectorELNS0_4arch9wavefront6targetE1EEEvSE_
	.globl	_ZN7rocprim17ROCPRIM_400000_NS6detail17trampoline_kernelINS0_14default_configENS1_35radix_sort_onesweep_config_selectorImNS0_10empty_typeEEEZZNS1_29radix_sort_onesweep_iterationIS3_Lb0EPmS8_PS5_S9_mNS0_19identity_decomposerENS1_16block_id_wrapperIjLb1EEEEE10hipError_tT1_PNSt15iterator_traitsISE_E10value_typeET2_T3_PNSF_ISK_E10value_typeET4_T5_PSP_SQ_PNS1_23onesweep_lookback_stateEbbT6_jjT7_P12ihipStream_tbENKUlT_T0_SE_SJ_E_clIS8_S8_S9_S9_EEDaSX_SY_SE_SJ_EUlSX_E_NS1_11comp_targetILNS1_3genE2ELNS1_11target_archE906ELNS1_3gpuE6ELNS1_3repE0EEENS1_47radix_sort_onesweep_sort_config_static_selectorELNS0_4arch9wavefront6targetE1EEEvSE_
	.p2align	8
	.type	_ZN7rocprim17ROCPRIM_400000_NS6detail17trampoline_kernelINS0_14default_configENS1_35radix_sort_onesweep_config_selectorImNS0_10empty_typeEEEZZNS1_29radix_sort_onesweep_iterationIS3_Lb0EPmS8_PS5_S9_mNS0_19identity_decomposerENS1_16block_id_wrapperIjLb1EEEEE10hipError_tT1_PNSt15iterator_traitsISE_E10value_typeET2_T3_PNSF_ISK_E10value_typeET4_T5_PSP_SQ_PNS1_23onesweep_lookback_stateEbbT6_jjT7_P12ihipStream_tbENKUlT_T0_SE_SJ_E_clIS8_S8_S9_S9_EEDaSX_SY_SE_SJ_EUlSX_E_NS1_11comp_targetILNS1_3genE2ELNS1_11target_archE906ELNS1_3gpuE6ELNS1_3repE0EEENS1_47radix_sort_onesweep_sort_config_static_selectorELNS0_4arch9wavefront6targetE1EEEvSE_,@function
_ZN7rocprim17ROCPRIM_400000_NS6detail17trampoline_kernelINS0_14default_configENS1_35radix_sort_onesweep_config_selectorImNS0_10empty_typeEEEZZNS1_29radix_sort_onesweep_iterationIS3_Lb0EPmS8_PS5_S9_mNS0_19identity_decomposerENS1_16block_id_wrapperIjLb1EEEEE10hipError_tT1_PNSt15iterator_traitsISE_E10value_typeET2_T3_PNSF_ISK_E10value_typeET4_T5_PSP_SQ_PNS1_23onesweep_lookback_stateEbbT6_jjT7_P12ihipStream_tbENKUlT_T0_SE_SJ_E_clIS8_S8_S9_S9_EEDaSX_SY_SE_SJ_EUlSX_E_NS1_11comp_targetILNS1_3genE2ELNS1_11target_archE906ELNS1_3gpuE6ELNS1_3repE0EEENS1_47radix_sort_onesweep_sort_config_static_selectorELNS0_4arch9wavefront6targetE1EEEvSE_: ; @_ZN7rocprim17ROCPRIM_400000_NS6detail17trampoline_kernelINS0_14default_configENS1_35radix_sort_onesweep_config_selectorImNS0_10empty_typeEEEZZNS1_29radix_sort_onesweep_iterationIS3_Lb0EPmS8_PS5_S9_mNS0_19identity_decomposerENS1_16block_id_wrapperIjLb1EEEEE10hipError_tT1_PNSt15iterator_traitsISE_E10value_typeET2_T3_PNSF_ISK_E10value_typeET4_T5_PSP_SQ_PNS1_23onesweep_lookback_stateEbbT6_jjT7_P12ihipStream_tbENKUlT_T0_SE_SJ_E_clIS8_S8_S9_S9_EEDaSX_SY_SE_SJ_EUlSX_E_NS1_11comp_targetILNS1_3genE2ELNS1_11target_archE906ELNS1_3gpuE6ELNS1_3repE0EEENS1_47radix_sort_onesweep_sort_config_static_selectorELNS0_4arch9wavefront6targetE1EEEvSE_
; %bb.0:
	.section	.rodata,"a",@progbits
	.p2align	6, 0x0
	.amdhsa_kernel _ZN7rocprim17ROCPRIM_400000_NS6detail17trampoline_kernelINS0_14default_configENS1_35radix_sort_onesweep_config_selectorImNS0_10empty_typeEEEZZNS1_29radix_sort_onesweep_iterationIS3_Lb0EPmS8_PS5_S9_mNS0_19identity_decomposerENS1_16block_id_wrapperIjLb1EEEEE10hipError_tT1_PNSt15iterator_traitsISE_E10value_typeET2_T3_PNSF_ISK_E10value_typeET4_T5_PSP_SQ_PNS1_23onesweep_lookback_stateEbbT6_jjT7_P12ihipStream_tbENKUlT_T0_SE_SJ_E_clIS8_S8_S9_S9_EEDaSX_SY_SE_SJ_EUlSX_E_NS1_11comp_targetILNS1_3genE2ELNS1_11target_archE906ELNS1_3gpuE6ELNS1_3repE0EEENS1_47radix_sort_onesweep_sort_config_static_selectorELNS0_4arch9wavefront6targetE1EEEvSE_
		.amdhsa_group_segment_fixed_size 0
		.amdhsa_private_segment_fixed_size 0
		.amdhsa_kernarg_size 88
		.amdhsa_user_sgpr_count 6
		.amdhsa_user_sgpr_private_segment_buffer 1
		.amdhsa_user_sgpr_dispatch_ptr 0
		.amdhsa_user_sgpr_queue_ptr 0
		.amdhsa_user_sgpr_kernarg_segment_ptr 1
		.amdhsa_user_sgpr_dispatch_id 0
		.amdhsa_user_sgpr_flat_scratch_init 0
		.amdhsa_user_sgpr_kernarg_preload_length 0
		.amdhsa_user_sgpr_kernarg_preload_offset 0
		.amdhsa_user_sgpr_private_segment_size 0
		.amdhsa_uses_dynamic_stack 0
		.amdhsa_system_sgpr_private_segment_wavefront_offset 0
		.amdhsa_system_sgpr_workgroup_id_x 1
		.amdhsa_system_sgpr_workgroup_id_y 0
		.amdhsa_system_sgpr_workgroup_id_z 0
		.amdhsa_system_sgpr_workgroup_info 0
		.amdhsa_system_vgpr_workitem_id 0
		.amdhsa_next_free_vgpr 1
		.amdhsa_next_free_sgpr 0
		.amdhsa_accum_offset 4
		.amdhsa_reserve_vcc 0
		.amdhsa_reserve_flat_scratch 0
		.amdhsa_float_round_mode_32 0
		.amdhsa_float_round_mode_16_64 0
		.amdhsa_float_denorm_mode_32 3
		.amdhsa_float_denorm_mode_16_64 3
		.amdhsa_dx10_clamp 1
		.amdhsa_ieee_mode 1
		.amdhsa_fp16_overflow 0
		.amdhsa_tg_split 0
		.amdhsa_exception_fp_ieee_invalid_op 0
		.amdhsa_exception_fp_denorm_src 0
		.amdhsa_exception_fp_ieee_div_zero 0
		.amdhsa_exception_fp_ieee_overflow 0
		.amdhsa_exception_fp_ieee_underflow 0
		.amdhsa_exception_fp_ieee_inexact 0
		.amdhsa_exception_int_div_zero 0
	.end_amdhsa_kernel
	.section	.text._ZN7rocprim17ROCPRIM_400000_NS6detail17trampoline_kernelINS0_14default_configENS1_35radix_sort_onesweep_config_selectorImNS0_10empty_typeEEEZZNS1_29radix_sort_onesweep_iterationIS3_Lb0EPmS8_PS5_S9_mNS0_19identity_decomposerENS1_16block_id_wrapperIjLb1EEEEE10hipError_tT1_PNSt15iterator_traitsISE_E10value_typeET2_T3_PNSF_ISK_E10value_typeET4_T5_PSP_SQ_PNS1_23onesweep_lookback_stateEbbT6_jjT7_P12ihipStream_tbENKUlT_T0_SE_SJ_E_clIS8_S8_S9_S9_EEDaSX_SY_SE_SJ_EUlSX_E_NS1_11comp_targetILNS1_3genE2ELNS1_11target_archE906ELNS1_3gpuE6ELNS1_3repE0EEENS1_47radix_sort_onesweep_sort_config_static_selectorELNS0_4arch9wavefront6targetE1EEEvSE_,"axG",@progbits,_ZN7rocprim17ROCPRIM_400000_NS6detail17trampoline_kernelINS0_14default_configENS1_35radix_sort_onesweep_config_selectorImNS0_10empty_typeEEEZZNS1_29radix_sort_onesweep_iterationIS3_Lb0EPmS8_PS5_S9_mNS0_19identity_decomposerENS1_16block_id_wrapperIjLb1EEEEE10hipError_tT1_PNSt15iterator_traitsISE_E10value_typeET2_T3_PNSF_ISK_E10value_typeET4_T5_PSP_SQ_PNS1_23onesweep_lookback_stateEbbT6_jjT7_P12ihipStream_tbENKUlT_T0_SE_SJ_E_clIS8_S8_S9_S9_EEDaSX_SY_SE_SJ_EUlSX_E_NS1_11comp_targetILNS1_3genE2ELNS1_11target_archE906ELNS1_3gpuE6ELNS1_3repE0EEENS1_47radix_sort_onesweep_sort_config_static_selectorELNS0_4arch9wavefront6targetE1EEEvSE_,comdat
.Lfunc_end983:
	.size	_ZN7rocprim17ROCPRIM_400000_NS6detail17trampoline_kernelINS0_14default_configENS1_35radix_sort_onesweep_config_selectorImNS0_10empty_typeEEEZZNS1_29radix_sort_onesweep_iterationIS3_Lb0EPmS8_PS5_S9_mNS0_19identity_decomposerENS1_16block_id_wrapperIjLb1EEEEE10hipError_tT1_PNSt15iterator_traitsISE_E10value_typeET2_T3_PNSF_ISK_E10value_typeET4_T5_PSP_SQ_PNS1_23onesweep_lookback_stateEbbT6_jjT7_P12ihipStream_tbENKUlT_T0_SE_SJ_E_clIS8_S8_S9_S9_EEDaSX_SY_SE_SJ_EUlSX_E_NS1_11comp_targetILNS1_3genE2ELNS1_11target_archE906ELNS1_3gpuE6ELNS1_3repE0EEENS1_47radix_sort_onesweep_sort_config_static_selectorELNS0_4arch9wavefront6targetE1EEEvSE_, .Lfunc_end983-_ZN7rocprim17ROCPRIM_400000_NS6detail17trampoline_kernelINS0_14default_configENS1_35radix_sort_onesweep_config_selectorImNS0_10empty_typeEEEZZNS1_29radix_sort_onesweep_iterationIS3_Lb0EPmS8_PS5_S9_mNS0_19identity_decomposerENS1_16block_id_wrapperIjLb1EEEEE10hipError_tT1_PNSt15iterator_traitsISE_E10value_typeET2_T3_PNSF_ISK_E10value_typeET4_T5_PSP_SQ_PNS1_23onesweep_lookback_stateEbbT6_jjT7_P12ihipStream_tbENKUlT_T0_SE_SJ_E_clIS8_S8_S9_S9_EEDaSX_SY_SE_SJ_EUlSX_E_NS1_11comp_targetILNS1_3genE2ELNS1_11target_archE906ELNS1_3gpuE6ELNS1_3repE0EEENS1_47radix_sort_onesweep_sort_config_static_selectorELNS0_4arch9wavefront6targetE1EEEvSE_
                                        ; -- End function
	.section	.AMDGPU.csdata,"",@progbits
; Kernel info:
; codeLenInByte = 0
; NumSgprs: 4
; NumVgprs: 0
; NumAgprs: 0
; TotalNumVgprs: 0
; ScratchSize: 0
; MemoryBound: 0
; FloatMode: 240
; IeeeMode: 1
; LDSByteSize: 0 bytes/workgroup (compile time only)
; SGPRBlocks: 0
; VGPRBlocks: 0
; NumSGPRsForWavesPerEU: 4
; NumVGPRsForWavesPerEU: 1
; AccumOffset: 4
; Occupancy: 8
; WaveLimiterHint : 0
; COMPUTE_PGM_RSRC2:SCRATCH_EN: 0
; COMPUTE_PGM_RSRC2:USER_SGPR: 6
; COMPUTE_PGM_RSRC2:TRAP_HANDLER: 0
; COMPUTE_PGM_RSRC2:TGID_X_EN: 1
; COMPUTE_PGM_RSRC2:TGID_Y_EN: 0
; COMPUTE_PGM_RSRC2:TGID_Z_EN: 0
; COMPUTE_PGM_RSRC2:TIDIG_COMP_CNT: 0
; COMPUTE_PGM_RSRC3_GFX90A:ACCUM_OFFSET: 0
; COMPUTE_PGM_RSRC3_GFX90A:TG_SPLIT: 0
	.section	.text._ZN7rocprim17ROCPRIM_400000_NS6detail17trampoline_kernelINS0_14default_configENS1_35radix_sort_onesweep_config_selectorImNS0_10empty_typeEEEZZNS1_29radix_sort_onesweep_iterationIS3_Lb0EPmS8_PS5_S9_mNS0_19identity_decomposerENS1_16block_id_wrapperIjLb1EEEEE10hipError_tT1_PNSt15iterator_traitsISE_E10value_typeET2_T3_PNSF_ISK_E10value_typeET4_T5_PSP_SQ_PNS1_23onesweep_lookback_stateEbbT6_jjT7_P12ihipStream_tbENKUlT_T0_SE_SJ_E_clIS8_S8_S9_S9_EEDaSX_SY_SE_SJ_EUlSX_E_NS1_11comp_targetILNS1_3genE4ELNS1_11target_archE910ELNS1_3gpuE8ELNS1_3repE0EEENS1_47radix_sort_onesweep_sort_config_static_selectorELNS0_4arch9wavefront6targetE1EEEvSE_,"axG",@progbits,_ZN7rocprim17ROCPRIM_400000_NS6detail17trampoline_kernelINS0_14default_configENS1_35radix_sort_onesweep_config_selectorImNS0_10empty_typeEEEZZNS1_29radix_sort_onesweep_iterationIS3_Lb0EPmS8_PS5_S9_mNS0_19identity_decomposerENS1_16block_id_wrapperIjLb1EEEEE10hipError_tT1_PNSt15iterator_traitsISE_E10value_typeET2_T3_PNSF_ISK_E10value_typeET4_T5_PSP_SQ_PNS1_23onesweep_lookback_stateEbbT6_jjT7_P12ihipStream_tbENKUlT_T0_SE_SJ_E_clIS8_S8_S9_S9_EEDaSX_SY_SE_SJ_EUlSX_E_NS1_11comp_targetILNS1_3genE4ELNS1_11target_archE910ELNS1_3gpuE8ELNS1_3repE0EEENS1_47radix_sort_onesweep_sort_config_static_selectorELNS0_4arch9wavefront6targetE1EEEvSE_,comdat
	.protected	_ZN7rocprim17ROCPRIM_400000_NS6detail17trampoline_kernelINS0_14default_configENS1_35radix_sort_onesweep_config_selectorImNS0_10empty_typeEEEZZNS1_29radix_sort_onesweep_iterationIS3_Lb0EPmS8_PS5_S9_mNS0_19identity_decomposerENS1_16block_id_wrapperIjLb1EEEEE10hipError_tT1_PNSt15iterator_traitsISE_E10value_typeET2_T3_PNSF_ISK_E10value_typeET4_T5_PSP_SQ_PNS1_23onesweep_lookback_stateEbbT6_jjT7_P12ihipStream_tbENKUlT_T0_SE_SJ_E_clIS8_S8_S9_S9_EEDaSX_SY_SE_SJ_EUlSX_E_NS1_11comp_targetILNS1_3genE4ELNS1_11target_archE910ELNS1_3gpuE8ELNS1_3repE0EEENS1_47radix_sort_onesweep_sort_config_static_selectorELNS0_4arch9wavefront6targetE1EEEvSE_ ; -- Begin function _ZN7rocprim17ROCPRIM_400000_NS6detail17trampoline_kernelINS0_14default_configENS1_35radix_sort_onesweep_config_selectorImNS0_10empty_typeEEEZZNS1_29radix_sort_onesweep_iterationIS3_Lb0EPmS8_PS5_S9_mNS0_19identity_decomposerENS1_16block_id_wrapperIjLb1EEEEE10hipError_tT1_PNSt15iterator_traitsISE_E10value_typeET2_T3_PNSF_ISK_E10value_typeET4_T5_PSP_SQ_PNS1_23onesweep_lookback_stateEbbT6_jjT7_P12ihipStream_tbENKUlT_T0_SE_SJ_E_clIS8_S8_S9_S9_EEDaSX_SY_SE_SJ_EUlSX_E_NS1_11comp_targetILNS1_3genE4ELNS1_11target_archE910ELNS1_3gpuE8ELNS1_3repE0EEENS1_47radix_sort_onesweep_sort_config_static_selectorELNS0_4arch9wavefront6targetE1EEEvSE_
	.globl	_ZN7rocprim17ROCPRIM_400000_NS6detail17trampoline_kernelINS0_14default_configENS1_35radix_sort_onesweep_config_selectorImNS0_10empty_typeEEEZZNS1_29radix_sort_onesweep_iterationIS3_Lb0EPmS8_PS5_S9_mNS0_19identity_decomposerENS1_16block_id_wrapperIjLb1EEEEE10hipError_tT1_PNSt15iterator_traitsISE_E10value_typeET2_T3_PNSF_ISK_E10value_typeET4_T5_PSP_SQ_PNS1_23onesweep_lookback_stateEbbT6_jjT7_P12ihipStream_tbENKUlT_T0_SE_SJ_E_clIS8_S8_S9_S9_EEDaSX_SY_SE_SJ_EUlSX_E_NS1_11comp_targetILNS1_3genE4ELNS1_11target_archE910ELNS1_3gpuE8ELNS1_3repE0EEENS1_47radix_sort_onesweep_sort_config_static_selectorELNS0_4arch9wavefront6targetE1EEEvSE_
	.p2align	8
	.type	_ZN7rocprim17ROCPRIM_400000_NS6detail17trampoline_kernelINS0_14default_configENS1_35radix_sort_onesweep_config_selectorImNS0_10empty_typeEEEZZNS1_29radix_sort_onesweep_iterationIS3_Lb0EPmS8_PS5_S9_mNS0_19identity_decomposerENS1_16block_id_wrapperIjLb1EEEEE10hipError_tT1_PNSt15iterator_traitsISE_E10value_typeET2_T3_PNSF_ISK_E10value_typeET4_T5_PSP_SQ_PNS1_23onesweep_lookback_stateEbbT6_jjT7_P12ihipStream_tbENKUlT_T0_SE_SJ_E_clIS8_S8_S9_S9_EEDaSX_SY_SE_SJ_EUlSX_E_NS1_11comp_targetILNS1_3genE4ELNS1_11target_archE910ELNS1_3gpuE8ELNS1_3repE0EEENS1_47radix_sort_onesweep_sort_config_static_selectorELNS0_4arch9wavefront6targetE1EEEvSE_,@function
_ZN7rocprim17ROCPRIM_400000_NS6detail17trampoline_kernelINS0_14default_configENS1_35radix_sort_onesweep_config_selectorImNS0_10empty_typeEEEZZNS1_29radix_sort_onesweep_iterationIS3_Lb0EPmS8_PS5_S9_mNS0_19identity_decomposerENS1_16block_id_wrapperIjLb1EEEEE10hipError_tT1_PNSt15iterator_traitsISE_E10value_typeET2_T3_PNSF_ISK_E10value_typeET4_T5_PSP_SQ_PNS1_23onesweep_lookback_stateEbbT6_jjT7_P12ihipStream_tbENKUlT_T0_SE_SJ_E_clIS8_S8_S9_S9_EEDaSX_SY_SE_SJ_EUlSX_E_NS1_11comp_targetILNS1_3genE4ELNS1_11target_archE910ELNS1_3gpuE8ELNS1_3repE0EEENS1_47radix_sort_onesweep_sort_config_static_selectorELNS0_4arch9wavefront6targetE1EEEvSE_: ; @_ZN7rocprim17ROCPRIM_400000_NS6detail17trampoline_kernelINS0_14default_configENS1_35radix_sort_onesweep_config_selectorImNS0_10empty_typeEEEZZNS1_29radix_sort_onesweep_iterationIS3_Lb0EPmS8_PS5_S9_mNS0_19identity_decomposerENS1_16block_id_wrapperIjLb1EEEEE10hipError_tT1_PNSt15iterator_traitsISE_E10value_typeET2_T3_PNSF_ISK_E10value_typeET4_T5_PSP_SQ_PNS1_23onesweep_lookback_stateEbbT6_jjT7_P12ihipStream_tbENKUlT_T0_SE_SJ_E_clIS8_S8_S9_S9_EEDaSX_SY_SE_SJ_EUlSX_E_NS1_11comp_targetILNS1_3genE4ELNS1_11target_archE910ELNS1_3gpuE8ELNS1_3repE0EEENS1_47radix_sort_onesweep_sort_config_static_selectorELNS0_4arch9wavefront6targetE1EEEvSE_
; %bb.0:
	s_load_dwordx4 s[16:19], s[4:5], 0x28
	s_load_dwordx2 s[14:15], s[4:5], 0x38
	s_load_dwordx4 s[20:23], s[4:5], 0x44
	v_and_b32_e32 v2, 0x3ff, v0
	v_cmp_eq_u32_e64 s[0:1], 0, v2
	s_and_saveexec_b64 s[2:3], s[0:1]
	s_cbranch_execz .LBB984_4
; %bb.1:
	s_mov_b64 s[10:11], exec
	v_mbcnt_lo_u32_b32 v1, s10, 0
	v_mbcnt_hi_u32_b32 v1, s11, v1
	v_cmp_eq_u32_e32 vcc, 0, v1
                                        ; implicit-def: $vgpr3
	s_and_saveexec_b64 s[8:9], vcc
	s_cbranch_execz .LBB984_3
; %bb.2:
	s_load_dwordx2 s[12:13], s[4:5], 0x50
	s_bcnt1_i32_b64 s7, s[10:11]
	v_mov_b32_e32 v3, 0
	v_mov_b32_e32 v4, s7
	s_waitcnt lgkmcnt(0)
	global_atomic_add v3, v3, v4, s[12:13] glc
.LBB984_3:
	s_or_b64 exec, exec, s[8:9]
	s_waitcnt vmcnt(0)
	v_readfirstlane_b32 s7, v3
	v_add_u32_e32 v1, s7, v1
	v_mov_b32_e32 v3, 0
	ds_write_b32 v3, v1 offset:20544
.LBB984_4:
	s_or_b64 exec, exec, s[2:3]
	v_mov_b32_e32 v1, 0
	s_load_dwordx4 s[24:27], s[4:5], 0x0
	s_load_dword s2, s[4:5], 0x20
	s_waitcnt lgkmcnt(0)
	s_barrier
	ds_read_b32 v1, v1 offset:20544
	v_mbcnt_lo_u32_b32 v29, -1, 0
	v_lshlrev_b32_e32 v28, 3, v2
	s_waitcnt lgkmcnt(0)
	s_barrier
	v_cmp_le_u32_e32 vcc, s22, v1
	v_readfirstlane_b32 s28, v1
	s_cbranch_vccz .LBB984_65
; %bb.5:
	s_lshl_b32 s3, s22, 13
	s_sub_i32 s7, s2, s3
	s_lshl_b32 s2, s28, 13
	s_mov_b32 s3, 0
	s_lshl_b64 s[2:3], s[2:3], 3
	v_mbcnt_hi_u32_b32 v1, -1, v29
	s_add_u32 s2, s24, s2
	v_and_b32_e32 v3, 63, v1
	s_addc_u32 s3, s25, s3
	v_lshlrev_b32_e32 v5, 3, v3
	v_and_b32_e32 v4, 0x1e00, v28
	v_mov_b32_e32 v6, s3
	v_add_co_u32_e32 v5, vcc, s2, v5
	v_addc_co_u32_e32 v6, vcc, 0, v6, vcc
	v_lshlrev_b32_e32 v7, 3, v4
	v_add_co_u32_e32 v20, vcc, v5, v7
	v_addc_co_u32_e32 v21, vcc, 0, v6, vcc
	v_or_b32_e32 v3, v3, v4
	v_pk_mov_b32 v[4:5], -1, -1
	v_cmp_gt_u32_e32 vcc, s7, v3
	v_pk_mov_b32 v[6:7], v[4:5], v[4:5] op_sel:[0,1]
	s_and_saveexec_b64 s[2:3], vcc
	s_cbranch_execz .LBB984_7
; %bb.6:
	global_load_dwordx2 v[6:7], v[20:21], off
.LBB984_7:
	s_or_b64 exec, exec, s[2:3]
	v_or_b32_e32 v8, 64, v3
	v_cmp_gt_u32_e32 vcc, s7, v8
	s_and_saveexec_b64 s[2:3], vcc
	s_cbranch_execz .LBB984_9
; %bb.8:
	global_load_dwordx2 v[4:5], v[20:21], off offset:512
.LBB984_9:
	s_or_b64 exec, exec, s[2:3]
	v_or_b32_e32 v8, 0x80, v3
	v_cmp_gt_u32_e32 vcc, s7, v8
	v_pk_mov_b32 v[8:9], -1, -1
	v_pk_mov_b32 v[10:11], v[8:9], v[8:9] op_sel:[0,1]
	s_and_saveexec_b64 s[2:3], vcc
	s_cbranch_execz .LBB984_11
; %bb.10:
	global_load_dwordx2 v[10:11], v[20:21], off offset:1024
.LBB984_11:
	s_or_b64 exec, exec, s[2:3]
	v_or_b32_e32 v12, 0xc0, v3
	v_cmp_gt_u32_e32 vcc, s7, v12
	s_and_saveexec_b64 s[2:3], vcc
	s_cbranch_execz .LBB984_13
; %bb.12:
	global_load_dwordx2 v[8:9], v[20:21], off offset:1536
.LBB984_13:
	s_or_b64 exec, exec, s[2:3]
	v_or_b32_e32 v12, 0x100, v3
	v_cmp_gt_u32_e32 vcc, s7, v12
	v_pk_mov_b32 v[12:13], -1, -1
	v_pk_mov_b32 v[14:15], v[12:13], v[12:13] op_sel:[0,1]
	s_and_saveexec_b64 s[2:3], vcc
	s_cbranch_execz .LBB984_15
; %bb.14:
	global_load_dwordx2 v[14:15], v[20:21], off offset:2048
.LBB984_15:
	;; [unrolled: 18-line block ×3, first 2 shown]
	s_or_b64 exec, exec, s[2:3]
	v_or_b32_e32 v3, 0x1c0, v3
	v_cmp_gt_u32_e32 vcc, s7, v3
	s_and_saveexec_b64 s[2:3], vcc
	s_cbranch_execz .LBB984_21
; %bb.20:
	global_load_dwordx2 v[16:17], v[20:21], off offset:3584
.LBB984_21:
	s_or_b64 exec, exec, s[2:3]
	s_load_dword s2, s[4:5], 0x64
	s_load_dword s29, s[4:5], 0x58
	s_add_u32 s3, s4, 0x58
	s_addc_u32 s8, s5, 0
	v_mov_b32_e32 v20, 0
	s_waitcnt lgkmcnt(0)
	s_lshr_b32 s9, s2, 16
	s_cmp_lt_u32 s6, s29
	s_cselect_b32 s2, 12, 18
	s_add_u32 s2, s3, s2
	s_addc_u32 s3, s8, 0
	global_load_ushort v24, v20, s[2:3]
	s_lshl_b32 s2, -1, s21
	s_waitcnt vmcnt(1)
	v_lshrrev_b64 v[22:23], s20, v[6:7]
	s_not_b32 s30, s2
	v_and_b32_e32 v22, s30, v22
	v_and_b32_e32 v26, 1, v22
	v_bfe_u32 v21, v0, 10, 10
	v_bfe_u32 v25, v0, 20, 10
	v_add_co_u32_e32 v27, vcc, -1, v26
	v_mad_u32_u24 v23, v25, s9, v21
	v_lshlrev_b32_e32 v21, 30, v22
	v_addc_co_u32_e64 v30, s[2:3], 0, -1, vcc
	v_cmp_ne_u32_e32 vcc, 0, v26
	v_cmp_gt_i64_e64 s[2:3], 0, v[20:21]
	v_not_b32_e32 v26, v21
	v_lshlrev_b32_e32 v21, 29, v22
	v_xor_b32_e32 v30, vcc_hi, v30
	v_xor_b32_e32 v27, vcc_lo, v27
	v_ashrrev_i32_e32 v26, 31, v26
	v_cmp_gt_i64_e32 vcc, 0, v[20:21]
	v_not_b32_e32 v31, v21
	v_lshlrev_b32_e32 v21, 28, v22
	v_and_b32_e32 v30, exec_hi, v30
	v_and_b32_e32 v27, exec_lo, v27
	v_xor_b32_e32 v32, s3, v26
	v_xor_b32_e32 v26, s2, v26
	v_ashrrev_i32_e32 v31, 31, v31
	v_cmp_gt_i64_e64 s[2:3], 0, v[20:21]
	v_not_b32_e32 v33, v21
	v_lshlrev_b32_e32 v21, 27, v22
	v_and_b32_e32 v30, v30, v32
	v_and_b32_e32 v26, v27, v26
	v_xor_b32_e32 v27, vcc_hi, v31
	v_xor_b32_e32 v31, vcc_lo, v31
	v_ashrrev_i32_e32 v32, 31, v33
	v_cmp_gt_i64_e32 vcc, 0, v[20:21]
	v_not_b32_e32 v33, v21
	v_lshlrev_b32_e32 v21, 26, v22
	v_and_b32_e32 v27, v30, v27
	v_and_b32_e32 v26, v26, v31
	v_xor_b32_e32 v30, s3, v32
	v_xor_b32_e32 v31, s2, v32
	v_ashrrev_i32_e32 v32, 31, v33
	v_cmp_gt_i64_e64 s[2:3], 0, v[20:21]
	v_not_b32_e32 v33, v21
	v_lshlrev_b32_e32 v21, 25, v22
	v_and_b32_e32 v27, v27, v30
	v_and_b32_e32 v26, v26, v31
	v_xor_b32_e32 v30, vcc_hi, v32
	v_xor_b32_e32 v31, vcc_lo, v32
	v_ashrrev_i32_e32 v32, 31, v33
	v_not_b32_e32 v33, v21
	v_mul_u32_u24_e32 v3, 5, v2
	v_lshl_add_u32 v25, v22, 4, v22
	v_cmp_gt_i64_e32 vcc, 0, v[20:21]
	v_lshlrev_b32_e32 v21, 24, v22
	v_and_b32_e32 v22, v27, v30
	v_and_b32_e32 v26, v26, v31
	v_xor_b32_e32 v27, s3, v32
	v_ashrrev_i32_e32 v31, 31, v33
	v_lshlrev_b32_e32 v3, 2, v3
	v_xor_b32_e32 v30, s2, v32
	v_cmp_gt_i64_e64 s[2:3], 0, v[20:21]
	v_not_b32_e32 v21, v21
	v_and_b32_e32 v22, v22, v27
	v_xor_b32_e32 v27, vcc_hi, v31
	v_and_b32_e32 v26, v26, v30
	v_xor_b32_e32 v30, vcc_lo, v31
	v_ashrrev_i32_e32 v21, 31, v21
	v_and_b32_e32 v31, v22, v27
	v_and_b32_e32 v26, v26, v30
	ds_write2_b32 v3, v20, v20 offset0:16 offset1:17
	ds_write2_b32 v3, v20, v20 offset0:18 offset1:19
	ds_write_b32 v3, v20 offset:80
	s_waitcnt lgkmcnt(0)
	s_barrier
	s_waitcnt lgkmcnt(0)
	; wave barrier
	s_waitcnt vmcnt(0)
	v_mad_u64_u32 v[22:23], s[8:9], v23, v24, v[2:3]
	v_lshrrev_b32_e32 v27, 6, v22
	v_xor_b32_e32 v22, s3, v21
	v_xor_b32_e32 v21, s2, v21
	v_and_b32_e32 v23, v31, v22
	v_and_b32_e32 v22, v26, v21
	v_mbcnt_lo_u32_b32 v21, v22, 0
	v_mbcnt_hi_u32_b32 v30, v23, v21
	v_cmp_eq_u32_e32 vcc, 0, v30
	v_cmp_ne_u64_e64 s[2:3], 0, v[22:23]
	v_add_lshl_u32 v24, v27, v25, 2
	s_and_b64 s[8:9], s[2:3], vcc
	s_and_saveexec_b64 s[2:3], s[8:9]
	s_cbranch_execz .LBB984_23
; %bb.22:
	v_bcnt_u32_b32 v21, v22, 0
	v_bcnt_u32_b32 v21, v23, v21
	ds_write_b32 v24, v21 offset:64
.LBB984_23:
	s_or_b64 exec, exec, s[2:3]
	v_lshrrev_b64 v[22:23], s20, v[4:5]
	v_and_b32_e32 v22, s30, v22
	v_lshl_add_u32 v21, v22, 4, v22
	v_add_lshl_u32 v25, v27, v21, 2
	v_and_b32_e32 v21, 1, v22
	v_add_co_u32_e32 v23, vcc, -1, v21
	v_addc_co_u32_e64 v26, s[2:3], 0, -1, vcc
	v_cmp_ne_u32_e32 vcc, 0, v21
	v_xor_b32_e32 v21, vcc_hi, v26
	v_and_b32_e32 v26, exec_hi, v21
	v_lshlrev_b32_e32 v21, 30, v22
	v_xor_b32_e32 v23, vcc_lo, v23
	v_cmp_gt_i64_e32 vcc, 0, v[20:21]
	v_not_b32_e32 v21, v21
	v_ashrrev_i32_e32 v21, 31, v21
	v_and_b32_e32 v23, exec_lo, v23
	v_xor_b32_e32 v32, vcc_hi, v21
	v_xor_b32_e32 v21, vcc_lo, v21
	v_and_b32_e32 v23, v23, v21
	v_lshlrev_b32_e32 v21, 29, v22
	v_cmp_gt_i64_e32 vcc, 0, v[20:21]
	v_not_b32_e32 v21, v21
	v_ashrrev_i32_e32 v21, 31, v21
	v_and_b32_e32 v26, v26, v32
	v_xor_b32_e32 v32, vcc_hi, v21
	v_xor_b32_e32 v21, vcc_lo, v21
	v_and_b32_e32 v23, v23, v21
	v_lshlrev_b32_e32 v21, 28, v22
	v_cmp_gt_i64_e32 vcc, 0, v[20:21]
	v_not_b32_e32 v21, v21
	v_ashrrev_i32_e32 v21, 31, v21
	v_and_b32_e32 v26, v26, v32
	v_xor_b32_e32 v32, vcc_hi, v21
	v_xor_b32_e32 v21, vcc_lo, v21
	v_and_b32_e32 v23, v23, v21
	v_lshlrev_b32_e32 v21, 27, v22
	v_cmp_gt_i64_e32 vcc, 0, v[20:21]
	v_not_b32_e32 v21, v21
	v_ashrrev_i32_e32 v21, 31, v21
	v_and_b32_e32 v26, v26, v32
	v_xor_b32_e32 v32, vcc_hi, v21
	v_xor_b32_e32 v21, vcc_lo, v21
	v_and_b32_e32 v23, v23, v21
	v_lshlrev_b32_e32 v21, 26, v22
	v_cmp_gt_i64_e32 vcc, 0, v[20:21]
	v_not_b32_e32 v21, v21
	v_ashrrev_i32_e32 v21, 31, v21
	v_and_b32_e32 v26, v26, v32
	v_xor_b32_e32 v32, vcc_hi, v21
	v_xor_b32_e32 v21, vcc_lo, v21
	v_and_b32_e32 v23, v23, v21
	v_lshlrev_b32_e32 v21, 25, v22
	v_cmp_gt_i64_e32 vcc, 0, v[20:21]
	v_not_b32_e32 v21, v21
	v_ashrrev_i32_e32 v21, 31, v21
	v_and_b32_e32 v26, v26, v32
	v_xor_b32_e32 v32, vcc_hi, v21
	v_xor_b32_e32 v21, vcc_lo, v21
	v_and_b32_e32 v23, v23, v21
	v_lshlrev_b32_e32 v21, 24, v22
	v_cmp_gt_i64_e32 vcc, 0, v[20:21]
	v_not_b32_e32 v20, v21
	v_ashrrev_i32_e32 v20, 31, v20
	v_xor_b32_e32 v21, vcc_hi, v20
	v_xor_b32_e32 v20, vcc_lo, v20
	; wave barrier
	ds_read_b32 v31, v25 offset:64
	v_and_b32_e32 v26, v26, v32
	v_and_b32_e32 v20, v23, v20
	v_and_b32_e32 v21, v26, v21
	v_mbcnt_lo_u32_b32 v22, v20, 0
	v_mbcnt_hi_u32_b32 v32, v21, v22
	v_cmp_eq_u32_e32 vcc, 0, v32
	v_cmp_ne_u64_e64 s[2:3], 0, v[20:21]
	s_and_b64 s[8:9], s[2:3], vcc
	; wave barrier
	s_and_saveexec_b64 s[2:3], s[8:9]
	s_cbranch_execz .LBB984_25
; %bb.24:
	v_bcnt_u32_b32 v20, v20, 0
	v_bcnt_u32_b32 v20, v21, v20
	s_waitcnt lgkmcnt(0)
	v_add_u32_e32 v20, v31, v20
	ds_write_b32 v25, v20 offset:64
.LBB984_25:
	s_or_b64 exec, exec, s[2:3]
	v_lshrrev_b64 v[20:21], s20, v[10:11]
	v_and_b32_e32 v22, s30, v20
	v_and_b32_e32 v21, 1, v22
	v_add_co_u32_e32 v23, vcc, -1, v21
	v_addc_co_u32_e64 v34, s[2:3], 0, -1, vcc
	v_cmp_ne_u32_e32 vcc, 0, v21
	v_lshl_add_u32 v20, v22, 4, v22
	v_xor_b32_e32 v21, vcc_hi, v34
	v_add_lshl_u32 v26, v27, v20, 2
	v_mov_b32_e32 v20, 0
	v_and_b32_e32 v34, exec_hi, v21
	v_lshlrev_b32_e32 v21, 30, v22
	v_xor_b32_e32 v23, vcc_lo, v23
	v_cmp_gt_i64_e32 vcc, 0, v[20:21]
	v_not_b32_e32 v21, v21
	v_ashrrev_i32_e32 v21, 31, v21
	v_and_b32_e32 v23, exec_lo, v23
	v_xor_b32_e32 v35, vcc_hi, v21
	v_xor_b32_e32 v21, vcc_lo, v21
	v_and_b32_e32 v23, v23, v21
	v_lshlrev_b32_e32 v21, 29, v22
	v_cmp_gt_i64_e32 vcc, 0, v[20:21]
	v_not_b32_e32 v21, v21
	v_ashrrev_i32_e32 v21, 31, v21
	v_and_b32_e32 v34, v34, v35
	v_xor_b32_e32 v35, vcc_hi, v21
	v_xor_b32_e32 v21, vcc_lo, v21
	v_and_b32_e32 v23, v23, v21
	v_lshlrev_b32_e32 v21, 28, v22
	v_cmp_gt_i64_e32 vcc, 0, v[20:21]
	v_not_b32_e32 v21, v21
	v_ashrrev_i32_e32 v21, 31, v21
	v_and_b32_e32 v34, v34, v35
	v_xor_b32_e32 v35, vcc_hi, v21
	v_xor_b32_e32 v21, vcc_lo, v21
	v_and_b32_e32 v23, v23, v21
	v_lshlrev_b32_e32 v21, 27, v22
	v_cmp_gt_i64_e32 vcc, 0, v[20:21]
	v_not_b32_e32 v21, v21
	v_ashrrev_i32_e32 v21, 31, v21
	v_and_b32_e32 v34, v34, v35
	v_xor_b32_e32 v35, vcc_hi, v21
	v_xor_b32_e32 v21, vcc_lo, v21
	v_and_b32_e32 v23, v23, v21
	v_lshlrev_b32_e32 v21, 26, v22
	v_cmp_gt_i64_e32 vcc, 0, v[20:21]
	v_not_b32_e32 v21, v21
	v_ashrrev_i32_e32 v21, 31, v21
	v_and_b32_e32 v34, v34, v35
	v_xor_b32_e32 v35, vcc_hi, v21
	v_xor_b32_e32 v21, vcc_lo, v21
	v_and_b32_e32 v23, v23, v21
	v_lshlrev_b32_e32 v21, 25, v22
	v_cmp_gt_i64_e32 vcc, 0, v[20:21]
	v_not_b32_e32 v21, v21
	v_ashrrev_i32_e32 v21, 31, v21
	v_and_b32_e32 v34, v34, v35
	v_xor_b32_e32 v35, vcc_hi, v21
	v_xor_b32_e32 v21, vcc_lo, v21
	v_and_b32_e32 v34, v34, v35
	v_and_b32_e32 v35, v23, v21
	v_lshlrev_b32_e32 v21, 24, v22
	v_cmp_gt_i64_e32 vcc, 0, v[20:21]
	v_not_b32_e32 v21, v21
	v_ashrrev_i32_e32 v21, 31, v21
	v_xor_b32_e32 v22, vcc_hi, v21
	v_xor_b32_e32 v21, vcc_lo, v21
	; wave barrier
	ds_read_b32 v33, v26 offset:64
	v_and_b32_e32 v23, v34, v22
	v_and_b32_e32 v22, v35, v21
	v_mbcnt_lo_u32_b32 v21, v22, 0
	v_mbcnt_hi_u32_b32 v34, v23, v21
	v_cmp_eq_u32_e32 vcc, 0, v34
	v_cmp_ne_u64_e64 s[2:3], 0, v[22:23]
	s_and_b64 s[8:9], s[2:3], vcc
	; wave barrier
	s_and_saveexec_b64 s[2:3], s[8:9]
	s_cbranch_execz .LBB984_27
; %bb.26:
	v_bcnt_u32_b32 v21, v22, 0
	v_bcnt_u32_b32 v21, v23, v21
	s_waitcnt lgkmcnt(0)
	v_add_u32_e32 v21, v33, v21
	ds_write_b32 v26, v21 offset:64
.LBB984_27:
	s_or_b64 exec, exec, s[2:3]
	v_lshrrev_b64 v[22:23], s20, v[8:9]
	v_and_b32_e32 v22, s30, v22
	v_lshl_add_u32 v21, v22, 4, v22
	v_add_lshl_u32 v39, v27, v21, 2
	v_and_b32_e32 v21, 1, v22
	v_add_co_u32_e32 v23, vcc, -1, v21
	v_addc_co_u32_e64 v36, s[2:3], 0, -1, vcc
	v_cmp_ne_u32_e32 vcc, 0, v21
	v_xor_b32_e32 v21, vcc_hi, v36
	v_and_b32_e32 v36, exec_hi, v21
	v_lshlrev_b32_e32 v21, 30, v22
	v_xor_b32_e32 v23, vcc_lo, v23
	v_cmp_gt_i64_e32 vcc, 0, v[20:21]
	v_not_b32_e32 v21, v21
	v_ashrrev_i32_e32 v21, 31, v21
	v_and_b32_e32 v23, exec_lo, v23
	v_xor_b32_e32 v37, vcc_hi, v21
	v_xor_b32_e32 v21, vcc_lo, v21
	v_and_b32_e32 v23, v23, v21
	v_lshlrev_b32_e32 v21, 29, v22
	v_cmp_gt_i64_e32 vcc, 0, v[20:21]
	v_not_b32_e32 v21, v21
	v_ashrrev_i32_e32 v21, 31, v21
	v_and_b32_e32 v36, v36, v37
	v_xor_b32_e32 v37, vcc_hi, v21
	v_xor_b32_e32 v21, vcc_lo, v21
	v_and_b32_e32 v23, v23, v21
	v_lshlrev_b32_e32 v21, 28, v22
	v_cmp_gt_i64_e32 vcc, 0, v[20:21]
	v_not_b32_e32 v21, v21
	v_ashrrev_i32_e32 v21, 31, v21
	v_and_b32_e32 v36, v36, v37
	;; [unrolled: 8-line block ×5, first 2 shown]
	v_xor_b32_e32 v37, vcc_hi, v21
	v_xor_b32_e32 v21, vcc_lo, v21
	v_and_b32_e32 v23, v23, v21
	v_lshlrev_b32_e32 v21, 24, v22
	v_cmp_gt_i64_e32 vcc, 0, v[20:21]
	v_not_b32_e32 v20, v21
	v_ashrrev_i32_e32 v20, 31, v20
	v_xor_b32_e32 v21, vcc_hi, v20
	v_xor_b32_e32 v20, vcc_lo, v20
	; wave barrier
	ds_read_b32 v35, v39 offset:64
	v_and_b32_e32 v36, v36, v37
	v_and_b32_e32 v20, v23, v20
	;; [unrolled: 1-line block ×3, first 2 shown]
	v_mbcnt_lo_u32_b32 v22, v20, 0
	v_mbcnt_hi_u32_b32 v36, v21, v22
	v_cmp_eq_u32_e32 vcc, 0, v36
	v_cmp_ne_u64_e64 s[2:3], 0, v[20:21]
	s_and_b64 s[8:9], s[2:3], vcc
	; wave barrier
	s_and_saveexec_b64 s[2:3], s[8:9]
	s_cbranch_execz .LBB984_29
; %bb.28:
	v_bcnt_u32_b32 v20, v20, 0
	v_bcnt_u32_b32 v20, v21, v20
	s_waitcnt lgkmcnt(0)
	v_add_u32_e32 v20, v35, v20
	ds_write_b32 v39, v20 offset:64
.LBB984_29:
	s_or_b64 exec, exec, s[2:3]
	v_lshrrev_b64 v[20:21], s20, v[14:15]
	v_and_b32_e32 v22, s30, v20
	v_and_b32_e32 v21, 1, v22
	v_add_co_u32_e32 v23, vcc, -1, v21
	v_addc_co_u32_e64 v38, s[2:3], 0, -1, vcc
	v_cmp_ne_u32_e32 vcc, 0, v21
	v_lshl_add_u32 v20, v22, 4, v22
	v_xor_b32_e32 v21, vcc_hi, v38
	v_add_lshl_u32 v42, v27, v20, 2
	v_mov_b32_e32 v20, 0
	v_and_b32_e32 v38, exec_hi, v21
	v_lshlrev_b32_e32 v21, 30, v22
	v_xor_b32_e32 v23, vcc_lo, v23
	v_cmp_gt_i64_e32 vcc, 0, v[20:21]
	v_not_b32_e32 v21, v21
	v_ashrrev_i32_e32 v21, 31, v21
	v_and_b32_e32 v23, exec_lo, v23
	v_xor_b32_e32 v40, vcc_hi, v21
	v_xor_b32_e32 v21, vcc_lo, v21
	v_and_b32_e32 v23, v23, v21
	v_lshlrev_b32_e32 v21, 29, v22
	v_cmp_gt_i64_e32 vcc, 0, v[20:21]
	v_not_b32_e32 v21, v21
	v_ashrrev_i32_e32 v21, 31, v21
	v_and_b32_e32 v38, v38, v40
	v_xor_b32_e32 v40, vcc_hi, v21
	v_xor_b32_e32 v21, vcc_lo, v21
	v_and_b32_e32 v23, v23, v21
	v_lshlrev_b32_e32 v21, 28, v22
	v_cmp_gt_i64_e32 vcc, 0, v[20:21]
	v_not_b32_e32 v21, v21
	v_ashrrev_i32_e32 v21, 31, v21
	v_and_b32_e32 v38, v38, v40
	;; [unrolled: 8-line block ×5, first 2 shown]
	v_xor_b32_e32 v40, vcc_hi, v21
	v_xor_b32_e32 v21, vcc_lo, v21
	v_and_b32_e32 v38, v38, v40
	v_and_b32_e32 v40, v23, v21
	v_lshlrev_b32_e32 v21, 24, v22
	v_cmp_gt_i64_e32 vcc, 0, v[20:21]
	v_not_b32_e32 v21, v21
	v_ashrrev_i32_e32 v21, 31, v21
	v_xor_b32_e32 v22, vcc_hi, v21
	v_xor_b32_e32 v21, vcc_lo, v21
	; wave barrier
	ds_read_b32 v37, v42 offset:64
	v_and_b32_e32 v23, v38, v22
	v_and_b32_e32 v22, v40, v21
	v_mbcnt_lo_u32_b32 v21, v22, 0
	v_mbcnt_hi_u32_b32 v38, v23, v21
	v_cmp_eq_u32_e32 vcc, 0, v38
	v_cmp_ne_u64_e64 s[2:3], 0, v[22:23]
	s_and_b64 s[8:9], s[2:3], vcc
	; wave barrier
	s_and_saveexec_b64 s[2:3], s[8:9]
	s_cbranch_execz .LBB984_31
; %bb.30:
	v_bcnt_u32_b32 v21, v22, 0
	v_bcnt_u32_b32 v21, v23, v21
	s_waitcnt lgkmcnt(0)
	v_add_u32_e32 v21, v37, v21
	ds_write_b32 v42, v21 offset:64
.LBB984_31:
	s_or_b64 exec, exec, s[2:3]
	v_lshrrev_b64 v[22:23], s20, v[12:13]
	v_and_b32_e32 v22, s30, v22
	v_lshl_add_u32 v21, v22, 4, v22
	v_add_lshl_u32 v45, v27, v21, 2
	v_and_b32_e32 v21, 1, v22
	v_add_co_u32_e32 v23, vcc, -1, v21
	v_addc_co_u32_e64 v41, s[2:3], 0, -1, vcc
	v_cmp_ne_u32_e32 vcc, 0, v21
	v_xor_b32_e32 v21, vcc_hi, v41
	v_and_b32_e32 v41, exec_hi, v21
	v_lshlrev_b32_e32 v21, 30, v22
	v_xor_b32_e32 v23, vcc_lo, v23
	v_cmp_gt_i64_e32 vcc, 0, v[20:21]
	v_not_b32_e32 v21, v21
	v_ashrrev_i32_e32 v21, 31, v21
	v_and_b32_e32 v23, exec_lo, v23
	v_xor_b32_e32 v43, vcc_hi, v21
	v_xor_b32_e32 v21, vcc_lo, v21
	v_and_b32_e32 v23, v23, v21
	v_lshlrev_b32_e32 v21, 29, v22
	v_cmp_gt_i64_e32 vcc, 0, v[20:21]
	v_not_b32_e32 v21, v21
	v_ashrrev_i32_e32 v21, 31, v21
	v_and_b32_e32 v41, v41, v43
	v_xor_b32_e32 v43, vcc_hi, v21
	v_xor_b32_e32 v21, vcc_lo, v21
	v_and_b32_e32 v23, v23, v21
	v_lshlrev_b32_e32 v21, 28, v22
	v_cmp_gt_i64_e32 vcc, 0, v[20:21]
	v_not_b32_e32 v21, v21
	v_ashrrev_i32_e32 v21, 31, v21
	v_and_b32_e32 v41, v41, v43
	;; [unrolled: 8-line block ×5, first 2 shown]
	v_xor_b32_e32 v43, vcc_hi, v21
	v_xor_b32_e32 v21, vcc_lo, v21
	v_and_b32_e32 v23, v23, v21
	v_lshlrev_b32_e32 v21, 24, v22
	v_cmp_gt_i64_e32 vcc, 0, v[20:21]
	v_not_b32_e32 v20, v21
	v_ashrrev_i32_e32 v20, 31, v20
	v_xor_b32_e32 v21, vcc_hi, v20
	v_xor_b32_e32 v20, vcc_lo, v20
	; wave barrier
	ds_read_b32 v40, v45 offset:64
	v_and_b32_e32 v41, v41, v43
	v_and_b32_e32 v20, v23, v20
	;; [unrolled: 1-line block ×3, first 2 shown]
	v_mbcnt_lo_u32_b32 v22, v20, 0
	v_mbcnt_hi_u32_b32 v41, v21, v22
	v_cmp_eq_u32_e32 vcc, 0, v41
	v_cmp_ne_u64_e64 s[2:3], 0, v[20:21]
	s_and_b64 s[8:9], s[2:3], vcc
	; wave barrier
	s_and_saveexec_b64 s[2:3], s[8:9]
	s_cbranch_execz .LBB984_33
; %bb.32:
	v_bcnt_u32_b32 v20, v20, 0
	v_bcnt_u32_b32 v20, v21, v20
	s_waitcnt lgkmcnt(0)
	v_add_u32_e32 v20, v40, v20
	ds_write_b32 v45, v20 offset:64
.LBB984_33:
	s_or_b64 exec, exec, s[2:3]
	v_lshrrev_b64 v[20:21], s20, v[18:19]
	v_and_b32_e32 v22, s30, v20
	v_and_b32_e32 v21, 1, v22
	v_add_co_u32_e32 v23, vcc, -1, v21
	v_addc_co_u32_e64 v44, s[2:3], 0, -1, vcc
	v_cmp_ne_u32_e32 vcc, 0, v21
	v_lshl_add_u32 v20, v22, 4, v22
	v_xor_b32_e32 v21, vcc_hi, v44
	v_add_lshl_u32 v48, v27, v20, 2
	v_mov_b32_e32 v20, 0
	v_and_b32_e32 v44, exec_hi, v21
	v_lshlrev_b32_e32 v21, 30, v22
	v_xor_b32_e32 v23, vcc_lo, v23
	v_cmp_gt_i64_e32 vcc, 0, v[20:21]
	v_not_b32_e32 v21, v21
	v_ashrrev_i32_e32 v21, 31, v21
	v_and_b32_e32 v23, exec_lo, v23
	v_xor_b32_e32 v46, vcc_hi, v21
	v_xor_b32_e32 v21, vcc_lo, v21
	v_and_b32_e32 v23, v23, v21
	v_lshlrev_b32_e32 v21, 29, v22
	v_cmp_gt_i64_e32 vcc, 0, v[20:21]
	v_not_b32_e32 v21, v21
	v_ashrrev_i32_e32 v21, 31, v21
	v_and_b32_e32 v44, v44, v46
	v_xor_b32_e32 v46, vcc_hi, v21
	v_xor_b32_e32 v21, vcc_lo, v21
	v_and_b32_e32 v23, v23, v21
	v_lshlrev_b32_e32 v21, 28, v22
	v_cmp_gt_i64_e32 vcc, 0, v[20:21]
	v_not_b32_e32 v21, v21
	v_ashrrev_i32_e32 v21, 31, v21
	v_and_b32_e32 v44, v44, v46
	;; [unrolled: 8-line block ×5, first 2 shown]
	v_xor_b32_e32 v46, vcc_hi, v21
	v_xor_b32_e32 v21, vcc_lo, v21
	v_and_b32_e32 v44, v44, v46
	v_and_b32_e32 v46, v23, v21
	v_lshlrev_b32_e32 v21, 24, v22
	v_cmp_gt_i64_e32 vcc, 0, v[20:21]
	v_not_b32_e32 v21, v21
	v_ashrrev_i32_e32 v21, 31, v21
	v_xor_b32_e32 v22, vcc_hi, v21
	v_xor_b32_e32 v21, vcc_lo, v21
	; wave barrier
	ds_read_b32 v43, v48 offset:64
	v_and_b32_e32 v23, v44, v22
	v_and_b32_e32 v22, v46, v21
	v_mbcnt_lo_u32_b32 v21, v22, 0
	v_mbcnt_hi_u32_b32 v44, v23, v21
	v_cmp_eq_u32_e32 vcc, 0, v44
	v_cmp_ne_u64_e64 s[2:3], 0, v[22:23]
	s_and_b64 s[8:9], s[2:3], vcc
	; wave barrier
	s_and_saveexec_b64 s[2:3], s[8:9]
	s_cbranch_execz .LBB984_35
; %bb.34:
	v_bcnt_u32_b32 v21, v22, 0
	v_bcnt_u32_b32 v21, v23, v21
	s_waitcnt lgkmcnt(0)
	v_add_u32_e32 v21, v43, v21
	ds_write_b32 v48, v21 offset:64
.LBB984_35:
	s_or_b64 exec, exec, s[2:3]
	v_lshrrev_b64 v[22:23], s20, v[16:17]
	v_and_b32_e32 v22, s30, v22
	v_lshl_add_u32 v21, v22, 4, v22
	v_add_lshl_u32 v27, v27, v21, 2
	v_and_b32_e32 v21, 1, v22
	v_add_co_u32_e32 v23, vcc, -1, v21
	v_addc_co_u32_e64 v47, s[2:3], 0, -1, vcc
	v_cmp_ne_u32_e32 vcc, 0, v21
	v_xor_b32_e32 v21, vcc_hi, v47
	v_and_b32_e32 v47, exec_hi, v21
	v_lshlrev_b32_e32 v21, 30, v22
	v_xor_b32_e32 v23, vcc_lo, v23
	v_cmp_gt_i64_e32 vcc, 0, v[20:21]
	v_not_b32_e32 v21, v21
	v_ashrrev_i32_e32 v21, 31, v21
	v_and_b32_e32 v23, exec_lo, v23
	v_xor_b32_e32 v50, vcc_hi, v21
	v_xor_b32_e32 v21, vcc_lo, v21
	v_and_b32_e32 v23, v23, v21
	v_lshlrev_b32_e32 v21, 29, v22
	v_cmp_gt_i64_e32 vcc, 0, v[20:21]
	v_not_b32_e32 v21, v21
	v_ashrrev_i32_e32 v21, 31, v21
	v_and_b32_e32 v47, v47, v50
	v_xor_b32_e32 v50, vcc_hi, v21
	v_xor_b32_e32 v21, vcc_lo, v21
	v_and_b32_e32 v23, v23, v21
	v_lshlrev_b32_e32 v21, 28, v22
	v_cmp_gt_i64_e32 vcc, 0, v[20:21]
	v_not_b32_e32 v21, v21
	v_ashrrev_i32_e32 v21, 31, v21
	v_and_b32_e32 v47, v47, v50
	;; [unrolled: 8-line block ×5, first 2 shown]
	v_xor_b32_e32 v50, vcc_hi, v21
	v_xor_b32_e32 v21, vcc_lo, v21
	v_and_b32_e32 v23, v23, v21
	v_lshlrev_b32_e32 v21, 24, v22
	v_cmp_gt_i64_e32 vcc, 0, v[20:21]
	v_not_b32_e32 v20, v21
	v_ashrrev_i32_e32 v20, 31, v20
	v_xor_b32_e32 v21, vcc_hi, v20
	v_xor_b32_e32 v20, vcc_lo, v20
	; wave barrier
	ds_read_b32 v46, v27 offset:64
	v_and_b32_e32 v47, v47, v50
	v_and_b32_e32 v20, v23, v20
	;; [unrolled: 1-line block ×3, first 2 shown]
	v_mbcnt_lo_u32_b32 v22, v20, 0
	v_mbcnt_hi_u32_b32 v47, v21, v22
	v_cmp_eq_u32_e32 vcc, 0, v47
	v_cmp_ne_u64_e64 s[2:3], 0, v[20:21]
	v_add_u32_e32 v49, 64, v3
	s_and_b64 s[8:9], s[2:3], vcc
	; wave barrier
	s_and_saveexec_b64 s[2:3], s[8:9]
	s_cbranch_execz .LBB984_37
; %bb.36:
	v_bcnt_u32_b32 v20, v20, 0
	v_bcnt_u32_b32 v20, v21, v20
	s_waitcnt lgkmcnt(0)
	v_add_u32_e32 v20, v46, v20
	ds_write_b32 v27, v20 offset:64
.LBB984_37:
	s_or_b64 exec, exec, s[2:3]
	; wave barrier
	s_waitcnt lgkmcnt(0)
	s_barrier
	ds_read2_b32 v[22:23], v3 offset0:16 offset1:17
	ds_read2_b32 v[20:21], v49 offset0:2 offset1:3
	ds_read_b32 v50, v49 offset:16
	v_cmp_lt_u32_e64 s[12:13], 31, v1
	s_waitcnt lgkmcnt(1)
	v_add3_u32 v51, v23, v22, v20
	s_waitcnt lgkmcnt(0)
	v_add3_u32 v50, v51, v21, v50
	v_and_b32_e32 v51, 15, v1
	v_cmp_eq_u32_e32 vcc, 0, v51
	v_mov_b32_dpp v52, v50 row_shr:1 row_mask:0xf bank_mask:0xf
	v_cndmask_b32_e64 v52, v52, 0, vcc
	v_add_u32_e32 v50, v52, v50
	v_cmp_lt_u32_e64 s[2:3], 1, v51
	v_cmp_lt_u32_e64 s[10:11], 3, v51
	v_mov_b32_dpp v52, v50 row_shr:2 row_mask:0xf bank_mask:0xf
	v_cndmask_b32_e64 v52, 0, v52, s[2:3]
	v_add_u32_e32 v50, v50, v52
	v_cmp_lt_u32_e64 s[8:9], 7, v51
	s_nop 0
	v_mov_b32_dpp v52, v50 row_shr:4 row_mask:0xf bank_mask:0xf
	v_cndmask_b32_e64 v52, 0, v52, s[10:11]
	v_add_u32_e32 v50, v50, v52
	s_nop 1
	v_mov_b32_dpp v52, v50 row_shr:8 row_mask:0xf bank_mask:0xf
	v_cndmask_b32_e64 v51, 0, v52, s[8:9]
	v_add_u32_e32 v50, v50, v51
	v_bfe_i32 v52, v1, 4, 1
	s_nop 0
	v_mov_b32_dpp v51, v50 row_bcast:15 row_mask:0xf bank_mask:0xf
	v_and_b32_e32 v51, v52, v51
	v_add_u32_e32 v50, v50, v51
	v_and_b32_e32 v52, 63, v2
	s_nop 0
	v_mov_b32_dpp v51, v50 row_bcast:31 row_mask:0xf bank_mask:0xf
	v_cndmask_b32_e64 v51, 0, v51, s[12:13]
	v_add_u32_e32 v50, v50, v51
	v_lshrrev_b32_e32 v51, 6, v2
	v_cmp_eq_u32_e64 s[12:13], 63, v52
	s_and_saveexec_b64 s[22:23], s[12:13]
	s_cbranch_execz .LBB984_39
; %bb.38:
	v_lshlrev_b32_e32 v52, 2, v51
	ds_write_b32 v52, v50
.LBB984_39:
	s_or_b64 exec, exec, s[22:23]
	v_cmp_gt_u32_e64 s[12:13], 16, v2
	s_waitcnt lgkmcnt(0)
	s_barrier
	s_and_saveexec_b64 s[22:23], s[12:13]
	s_cbranch_execz .LBB984_41
; %bb.40:
	v_lshlrev_b32_e32 v52, 2, v2
	ds_read_b32 v53, v52
	s_waitcnt lgkmcnt(0)
	s_nop 0
	v_mov_b32_dpp v54, v53 row_shr:1 row_mask:0xf bank_mask:0xf
	v_cndmask_b32_e64 v54, v54, 0, vcc
	v_add_u32_e32 v53, v54, v53
	s_nop 1
	v_mov_b32_dpp v54, v53 row_shr:2 row_mask:0xf bank_mask:0xf
	v_cndmask_b32_e64 v54, 0, v54, s[2:3]
	v_add_u32_e32 v53, v53, v54
	s_nop 1
	v_mov_b32_dpp v54, v53 row_shr:4 row_mask:0xf bank_mask:0xf
	v_cndmask_b32_e64 v54, 0, v54, s[10:11]
	;; [unrolled: 4-line block ×3, first 2 shown]
	v_add_u32_e32 v53, v53, v54
	ds_write_b32 v52, v53
.LBB984_41:
	s_or_b64 exec, exec, s[22:23]
	v_cmp_lt_u32_e32 vcc, 63, v2
	v_mov_b32_e32 v52, 0
	s_waitcnt lgkmcnt(0)
	s_barrier
	s_and_saveexec_b64 s[2:3], vcc
	s_cbranch_execz .LBB984_43
; %bb.42:
	v_lshl_add_u32 v51, v51, 2, -4
	ds_read_b32 v52, v51
.LBB984_43:
	s_or_b64 exec, exec, s[2:3]
	v_add_u32_e32 v51, -1, v1
	v_and_b32_e32 v53, 64, v1
	v_cmp_lt_i32_e32 vcc, v51, v53
	v_cndmask_b32_e32 v51, v51, v1, vcc
	s_waitcnt lgkmcnt(0)
	v_add_u32_e32 v50, v52, v50
	v_lshlrev_b32_e32 v51, 2, v51
	ds_bpermute_b32 v50, v51, v50
	v_cmp_eq_u32_e32 vcc, 0, v1
	s_movk_i32 s8, 0xff
	s_movk_i32 s2, 0x100
	v_cmp_gt_u32_e64 s[2:3], s2, v2
	s_waitcnt lgkmcnt(0)
	v_cndmask_b32_e32 v1, v50, v52, vcc
	v_cndmask_b32_e64 v1, v1, 0, s[0:1]
	v_add_u32_e32 v22, v1, v22
	v_add_u32_e32 v23, v22, v23
	;; [unrolled: 1-line block ×4, first 2 shown]
	ds_write2_b32 v3, v1, v22 offset0:16 offset1:17
	ds_write2_b32 v49, v23, v20 offset0:2 offset1:3
	ds_write_b32 v49, v21 offset:16
	s_waitcnt lgkmcnt(0)
	s_barrier
	ds_read_b32 v51, v24 offset:64
	ds_read_b32 v1, v25 offset:64
	;; [unrolled: 1-line block ×8, first 2 shown]
	v_cmp_lt_u32_e32 vcc, s8, v2
	v_pk_mov_b32 v[20:21], 0, 0
                                        ; implicit-def: $vgpr39
	s_and_saveexec_b64 s[10:11], s[2:3]
	s_cbranch_execz .LBB984_47
; %bb.44:
	v_mul_u32_u24_e32 v3, 17, v2
	v_lshlrev_b32_e32 v21, 2, v3
	ds_read_b32 v20, v21 offset:64
	v_cmp_ne_u32_e64 s[8:9], s8, v2
	v_mov_b32_e32 v3, 0x2000
	s_and_saveexec_b64 s[12:13], s[8:9]
	s_cbranch_execz .LBB984_46
; %bb.45:
	ds_read_b32 v3, v21 offset:132
.LBB984_46:
	s_or_b64 exec, exec, s[12:13]
	s_waitcnt lgkmcnt(0)
	v_sub_u32_e32 v39, v3, v20
	v_mov_b32_e32 v21, 0
.LBB984_47:
	s_or_b64 exec, exec, s[10:11]
	s_waitcnt lgkmcnt(0)
	s_barrier
	s_and_saveexec_b64 s[8:9], vcc
	s_xor_b64 s[8:9], exec, s[8:9]
; %bb.48:
	v_mov_b32_e32 v3, 0
; %bb.49:
	s_andn2_saveexec_b64 s[8:9], s[8:9]
	s_cbranch_execz .LBB984_59
; %bb.50:
	v_lshl_or_b32 v22, s28, 8, v2
	v_mov_b32_e32 v23, 0
	v_lshlrev_b64 v[24:25], 2, v[22:23]
	v_mov_b32_e32 v3, s15
	v_add_co_u32_e32 v24, vcc, s14, v24
	v_addc_co_u32_e32 v25, vcc, v3, v25, vcc
	v_or_b32_e32 v22, 2.0, v39
	s_mov_b64 s[10:11], 0
	s_brev_b32 s31, 1
	s_mov_b32 s33, s28
	v_mov_b32_e32 v53, 0
	global_store_dword v[24:25], v22, off
                                        ; implicit-def: $sgpr12_sgpr13
	s_branch .LBB984_52
.LBB984_51:                             ;   in Loop: Header=BB984_52 Depth=1
	s_or_b64 exec, exec, s[12:13]
	v_and_b32_e32 v26, 0x3fffffff, v54
	v_add_u32_e32 v53, v26, v53
	v_cmp_eq_u32_e64 s[12:13], s31, v22
	s_and_b64 s[22:23], exec, s[12:13]
	s_or_b64 s[10:11], s[22:23], s[10:11]
	s_andn2_b64 exec, exec, s[10:11]
	s_cbranch_execz .LBB984_58
.LBB984_52:                             ; =>This Loop Header: Depth=1
                                        ;     Child Loop BB984_55 Depth 2
	s_or_b64 s[12:13], s[12:13], exec
	s_cmp_eq_u32 s33, 0
	s_cbranch_scc1 .LBB984_57
; %bb.53:                               ;   in Loop: Header=BB984_52 Depth=1
	s_add_i32 s33, s33, -1
	v_lshl_or_b32 v22, s33, 8, v2
	v_lshlrev_b64 v[26:27], 2, v[22:23]
	v_add_co_u32_e32 v26, vcc, s14, v26
	v_addc_co_u32_e32 v27, vcc, v3, v27, vcc
	global_load_dword v54, v[26:27], off glc
	s_waitcnt vmcnt(0)
	v_and_b32_e32 v22, -2.0, v54
	v_cmp_eq_u32_e32 vcc, 0, v22
	s_and_saveexec_b64 s[12:13], vcc
	s_cbranch_execz .LBB984_51
; %bb.54:                               ;   in Loop: Header=BB984_52 Depth=1
	s_mov_b64 s[22:23], 0
.LBB984_55:                             ;   Parent Loop BB984_52 Depth=1
                                        ; =>  This Inner Loop Header: Depth=2
	global_load_dword v54, v[26:27], off glc
	s_waitcnt vmcnt(0)
	v_and_b32_e32 v22, -2.0, v54
	v_cmp_ne_u32_e32 vcc, 0, v22
	s_or_b64 s[22:23], vcc, s[22:23]
	s_andn2_b64 exec, exec, s[22:23]
	s_cbranch_execnz .LBB984_55
; %bb.56:                               ;   in Loop: Header=BB984_52 Depth=1
	s_or_b64 exec, exec, s[22:23]
	s_branch .LBB984_51
.LBB984_57:                             ;   in Loop: Header=BB984_52 Depth=1
                                        ; implicit-def: $sgpr33
	s_and_b64 s[22:23], exec, s[12:13]
	s_or_b64 s[10:11], s[22:23], s[10:11]
	s_andn2_b64 exec, exec, s[10:11]
	s_cbranch_execnz .LBB984_52
.LBB984_58:
	s_or_b64 exec, exec, s[10:11]
	v_add_u32_e32 v3, v53, v39
	v_or_b32_e32 v3, 0x80000000, v3
	global_store_dword v[24:25], v3, off
	global_load_dwordx2 v[22:23], v28, s[16:17]
	v_sub_co_u32_e32 v24, vcc, v53, v20
	v_subb_co_u32_e32 v25, vcc, 0, v21, vcc
	v_mov_b32_e32 v3, 0
	s_waitcnt vmcnt(0)
	v_add_co_u32_e32 v22, vcc, v24, v22
	v_addc_co_u32_e32 v23, vcc, v25, v23, vcc
	ds_write_b64 v28, v[22:23]
.LBB984_59:
	s_or_b64 exec, exec, s[8:9]
	v_add_u32_e32 v23, v51, v30
	v_add3_u32 v30, v38, v42, v37
	v_add3_u32 v35, v36, v50, v35
	v_lshlrev_b64 v[36:37], 3, v[2:3]
	v_add3_u32 v31, v32, v1, v31
	v_mov_b32_e32 v1, s27
	v_add_co_u32_e32 v22, vcc, s26, v36
	v_add_u32_e32 v24, 0x800, v28
	v_add3_u32 v25, v47, v52, v46
	v_add3_u32 v26, v44, v48, v43
	;; [unrolled: 1-line block ×4, first 2 shown]
	v_addc_co_u32_e32 v1, vcc, v1, v37, vcc
	s_mov_b32 s10, 0
	v_mov_b32_e32 v32, v2
	s_branch .LBB984_61
.LBB984_60:                             ;   in Loop: Header=BB984_61 Depth=1
	s_or_b64 exec, exec, s[8:9]
	s_addk_i32 s10, 0xf800
	v_add_co_u32_e32 v22, vcc, 0x4000, v22
	v_addc_co_u32_e32 v1, vcc, 0, v1, vcc
	s_cmpk_eq_i32 s10, 0xe000
	v_add_u32_e32 v32, 0x800, v32
	s_barrier
	s_cbranch_scc1 .LBB984_66
.LBB984_61:                             ; =>This Inner Loop Header: Depth=1
	v_add_u32_e32 v34, s10, v23
	v_min_u32_e32 v34, 0x800, v34
	v_lshlrev_b32_e32 v34, 3, v34
	ds_write_b64 v34, v[6:7] offset:2048
	v_add_u32_e32 v34, s10, v31
	v_min_u32_e32 v34, 0x800, v34
	v_lshlrev_b32_e32 v34, 3, v34
	ds_write_b64 v34, v[4:5] offset:2048
	;; [unrolled: 4-line block ×7, first 2 shown]
	v_add_u32_e32 v34, s10, v25
	v_min_u32_e32 v34, 0x800, v34
	v_lshlrev_b32_e32 v34, 3, v34
	v_cmp_gt_u32_e32 vcc, s7, v32
	ds_write_b64 v34, v[16:17] offset:2048
	s_waitcnt lgkmcnt(0)
	s_barrier
	s_and_saveexec_b64 s[8:9], vcc
	s_cbranch_execz .LBB984_63
; %bb.62:                               ;   in Loop: Header=BB984_61 Depth=1
	ds_read_b64 v[36:37], v28 offset:2048
	s_waitcnt lgkmcnt(0)
	v_lshrrev_b64 v[40:41], s20, v[36:37]
	v_and_b32_e32 v34, s30, v40
	v_lshlrev_b32_e32 v34, 3, v34
	ds_read_b64 v[40:41], v34
	s_waitcnt lgkmcnt(0)
	v_lshlrev_b64 v[40:41], 3, v[40:41]
	v_add_co_u32_e32 v40, vcc, v22, v40
	v_addc_co_u32_e32 v41, vcc, v1, v41, vcc
	global_store_dwordx2 v[40:41], v[36:37], off
.LBB984_63:                             ;   in Loop: Header=BB984_61 Depth=1
	s_or_b64 exec, exec, s[8:9]
	v_add_u32_e32 v34, 0x400, v32
	v_cmp_gt_u32_e32 vcc, s7, v34
	s_and_saveexec_b64 s[8:9], vcc
	s_cbranch_execz .LBB984_60
; %bb.64:                               ;   in Loop: Header=BB984_61 Depth=1
	ds_read_b64 v[36:37], v24 offset:8192
	s_waitcnt lgkmcnt(0)
	v_lshrrev_b64 v[40:41], s20, v[36:37]
	v_and_b32_e32 v34, s30, v40
	v_lshlrev_b32_e32 v34, 3, v34
	ds_read_b64 v[40:41], v34
	s_waitcnt lgkmcnt(0)
	v_lshlrev_b64 v[40:41], 3, v[40:41]
	v_add_co_u32_e32 v34, vcc, v22, v40
	v_addc_co_u32_e32 v38, vcc, v1, v41, vcc
	v_add_co_u32_e32 v40, vcc, 0x2000, v34
	v_addc_co_u32_e32 v41, vcc, 0, v38, vcc
	global_store_dwordx2 v[40:41], v[36:37], off
	s_branch .LBB984_60
.LBB984_65:
	s_mov_b64 s[2:3], 0
                                        ; implicit-def: $vgpr20_vgpr21
                                        ; implicit-def: $vgpr39
	s_cbranch_execnz .LBB984_67
	s_branch .LBB984_108
.LBB984_66:
	s_add_i32 s29, s29, -1
	s_cmp_eq_u32 s29, s28
	s_cselect_b64 s[8:9], -1, 0
	s_and_b64 s[2:3], s[2:3], s[8:9]
	s_branch .LBB984_108
.LBB984_67:
	s_lshl_b32 s2, s28, 13
	s_mov_b32 s3, 0
	v_mbcnt_hi_u32_b32 v3, -1, v29
	s_lshl_b64 s[2:3], s[2:3], 3
	v_and_b32_e32 v1, 63, v3
	s_add_u32 s2, s24, s2
	v_lshlrev_b32_e32 v1, 3, v1
	v_add_co_u32_e32 v1, vcc, s2, v1
	s_load_dword s12, s[4:5], 0x58
	s_load_dword s2, s[4:5], 0x64
	s_addc_u32 s3, s25, s3
	v_mov_b32_e32 v4, s3
	v_lshlrev_b32_e32 v5, 6, v2
	s_add_u32 s3, s4, 0x58
	v_addc_co_u32_e32 v4, vcc, 0, v4, vcc
	v_and_b32_e32 v5, 0xf000, v5
	s_addc_u32 s4, s5, 0
	s_waitcnt lgkmcnt(0)
	s_lshr_b32 s5, s2, 16
	v_add_co_u32_e32 v20, vcc, v1, v5
	s_cmp_lt_u32 s6, s12
	v_addc_co_u32_e32 v21, vcc, 0, v4, vcc
	s_cselect_b32 s2, 12, 18
	global_load_dwordx2 v[4:5], v[20:21], off
	s_add_u32 s2, s3, s2
	v_mov_b32_e32 v18, 0
	s_addc_u32 s3, s4, 0
	global_load_ushort v23, v18, s[2:3]
	v_mul_u32_u24_e32 v6, 5, v2
	v_lshlrev_b32_e32 v22, 2, v6
	v_bfe_u32 v1, v0, 10, 10
	v_bfe_u32 v0, v0, 20, 10
	ds_write2_b32 v22, v18, v18 offset0:16 offset1:17
	ds_write2_b32 v22, v18, v18 offset0:18 offset1:19
	ds_write_b32 v22, v18 offset:80
	v_mad_u32_u24 v24, v0, s5, v1
	global_load_dwordx2 v[0:1], v[20:21], off offset:512
	global_load_dwordx2 v[6:7], v[20:21], off offset:1024
	global_load_dwordx2 v[8:9], v[20:21], off offset:1536
	global_load_dwordx2 v[10:11], v[20:21], off offset:2048
	global_load_dwordx2 v[12:13], v[20:21], off offset:2560
	global_load_dwordx2 v[14:15], v[20:21], off offset:3072
	global_load_dwordx2 v[16:17], v[20:21], off offset:3584
	s_lshl_b32 s2, -1, s21
	s_not_b32 s13, s2
	s_waitcnt lgkmcnt(0)
	s_barrier
	s_waitcnt lgkmcnt(0)
	; wave barrier
	s_waitcnt vmcnt(8)
	v_lshrrev_b64 v[20:21], s20, v[4:5]
	v_and_b32_e32 v25, s13, v20
	v_and_b32_e32 v27, 1, v25
	v_lshlrev_b32_e32 v19, 30, v25
	s_waitcnt vmcnt(7)
	v_mad_u64_u32 v[20:21], s[2:3], v24, v23, v[2:3]
	v_add_co_u32_e32 v21, vcc, -1, v27
	v_addc_co_u32_e64 v23, s[2:3], 0, -1, vcc
	v_cmp_ne_u32_e32 vcc, 0, v27
	v_cmp_gt_i64_e64 s[2:3], 0, v[18:19]
	v_not_b32_e32 v24, v19
	v_lshlrev_b32_e32 v19, 29, v25
	v_lshl_add_u32 v26, v25, 4, v25
	v_lshrrev_b32_e32 v34, 6, v20
	v_xor_b32_e32 v20, vcc_hi, v23
	v_xor_b32_e32 v21, vcc_lo, v21
	v_ashrrev_i32_e32 v24, 31, v24
	v_cmp_gt_i64_e32 vcc, 0, v[18:19]
	v_not_b32_e32 v27, v19
	v_lshlrev_b32_e32 v19, 28, v25
	v_add_lshl_u32 v23, v34, v26, 2
	v_and_b32_e32 v20, exec_hi, v20
	v_and_b32_e32 v21, exec_lo, v21
	v_xor_b32_e32 v26, s3, v24
	v_xor_b32_e32 v24, s2, v24
	v_ashrrev_i32_e32 v27, 31, v27
	v_cmp_gt_i64_e64 s[2:3], 0, v[18:19]
	v_not_b32_e32 v29, v19
	v_lshlrev_b32_e32 v19, 27, v25
	v_and_b32_e32 v20, v20, v26
	v_and_b32_e32 v21, v21, v24
	v_xor_b32_e32 v24, vcc_hi, v27
	v_xor_b32_e32 v26, vcc_lo, v27
	v_ashrrev_i32_e32 v27, 31, v29
	v_cmp_gt_i64_e32 vcc, 0, v[18:19]
	v_not_b32_e32 v19, v19
	v_and_b32_e32 v20, v20, v24
	v_and_b32_e32 v21, v21, v26
	v_xor_b32_e32 v24, s3, v27
	v_xor_b32_e32 v26, s2, v27
	v_ashrrev_i32_e32 v19, 31, v19
	v_and_b32_e32 v20, v20, v24
	v_and_b32_e32 v21, v21, v26
	v_xor_b32_e32 v24, vcc_hi, v19
	v_xor_b32_e32 v19, vcc_lo, v19
	v_and_b32_e32 v21, v21, v19
	v_lshlrev_b32_e32 v19, 26, v25
	v_cmp_gt_i64_e32 vcc, 0, v[18:19]
	v_not_b32_e32 v19, v19
	v_ashrrev_i32_e32 v19, 31, v19
	v_and_b32_e32 v20, v20, v24
	v_xor_b32_e32 v24, vcc_hi, v19
	v_xor_b32_e32 v19, vcc_lo, v19
	v_and_b32_e32 v21, v21, v19
	v_lshlrev_b32_e32 v19, 25, v25
	v_cmp_gt_i64_e32 vcc, 0, v[18:19]
	v_not_b32_e32 v19, v19
	v_ashrrev_i32_e32 v19, 31, v19
	v_and_b32_e32 v20, v20, v24
	v_xor_b32_e32 v24, vcc_hi, v19
	v_xor_b32_e32 v19, vcc_lo, v19
	v_and_b32_e32 v20, v20, v24
	v_and_b32_e32 v24, v21, v19
	v_lshlrev_b32_e32 v19, 24, v25
	v_cmp_gt_i64_e32 vcc, 0, v[18:19]
	v_not_b32_e32 v19, v19
	v_ashrrev_i32_e32 v19, 31, v19
	v_xor_b32_e32 v21, vcc_hi, v19
	v_xor_b32_e32 v19, vcc_lo, v19
	v_and_b32_e32 v21, v20, v21
	v_and_b32_e32 v20, v24, v19
	v_mbcnt_lo_u32_b32 v19, v20, 0
	v_mbcnt_hi_u32_b32 v26, v21, v19
	v_cmp_eq_u32_e32 vcc, 0, v26
	v_cmp_ne_u64_e64 s[2:3], 0, v[20:21]
	s_and_b64 s[4:5], s[2:3], vcc
	s_and_saveexec_b64 s[2:3], s[4:5]
	s_cbranch_execz .LBB984_69
; %bb.68:
	v_bcnt_u32_b32 v19, v20, 0
	v_bcnt_u32_b32 v19, v21, v19
	ds_write_b32 v23, v19 offset:64
.LBB984_69:
	s_or_b64 exec, exec, s[2:3]
	s_waitcnt vmcnt(6)
	v_lshrrev_b64 v[20:21], s20, v[0:1]
	v_and_b32_e32 v20, s13, v20
	v_lshl_add_u32 v19, v20, 4, v20
	v_add_lshl_u32 v24, v34, v19, 2
	v_and_b32_e32 v19, 1, v20
	v_add_co_u32_e32 v21, vcc, -1, v19
	v_addc_co_u32_e64 v25, s[2:3], 0, -1, vcc
	v_cmp_ne_u32_e32 vcc, 0, v19
	v_xor_b32_e32 v19, vcc_hi, v25
	v_and_b32_e32 v25, exec_hi, v19
	v_lshlrev_b32_e32 v19, 30, v20
	v_xor_b32_e32 v21, vcc_lo, v21
	v_cmp_gt_i64_e32 vcc, 0, v[18:19]
	v_not_b32_e32 v19, v19
	v_ashrrev_i32_e32 v19, 31, v19
	v_and_b32_e32 v21, exec_lo, v21
	v_xor_b32_e32 v29, vcc_hi, v19
	v_xor_b32_e32 v19, vcc_lo, v19
	v_and_b32_e32 v21, v21, v19
	v_lshlrev_b32_e32 v19, 29, v20
	v_cmp_gt_i64_e32 vcc, 0, v[18:19]
	v_not_b32_e32 v19, v19
	v_ashrrev_i32_e32 v19, 31, v19
	v_and_b32_e32 v25, v25, v29
	v_xor_b32_e32 v29, vcc_hi, v19
	v_xor_b32_e32 v19, vcc_lo, v19
	v_and_b32_e32 v21, v21, v19
	v_lshlrev_b32_e32 v19, 28, v20
	v_cmp_gt_i64_e32 vcc, 0, v[18:19]
	v_not_b32_e32 v19, v19
	v_ashrrev_i32_e32 v19, 31, v19
	v_and_b32_e32 v25, v25, v29
	;; [unrolled: 8-line block ×5, first 2 shown]
	v_xor_b32_e32 v29, vcc_hi, v19
	v_xor_b32_e32 v19, vcc_lo, v19
	v_and_b32_e32 v21, v21, v19
	v_lshlrev_b32_e32 v19, 24, v20
	v_cmp_gt_i64_e32 vcc, 0, v[18:19]
	v_not_b32_e32 v18, v19
	v_ashrrev_i32_e32 v18, 31, v18
	v_xor_b32_e32 v19, vcc_hi, v18
	v_xor_b32_e32 v18, vcc_lo, v18
	; wave barrier
	ds_read_b32 v27, v24 offset:64
	v_and_b32_e32 v25, v25, v29
	v_and_b32_e32 v18, v21, v18
	;; [unrolled: 1-line block ×3, first 2 shown]
	v_mbcnt_lo_u32_b32 v20, v18, 0
	v_mbcnt_hi_u32_b32 v29, v19, v20
	v_cmp_eq_u32_e32 vcc, 0, v29
	v_cmp_ne_u64_e64 s[2:3], 0, v[18:19]
	s_and_b64 s[4:5], s[2:3], vcc
	; wave barrier
	s_and_saveexec_b64 s[2:3], s[4:5]
	s_cbranch_execz .LBB984_71
; %bb.70:
	v_bcnt_u32_b32 v18, v18, 0
	v_bcnt_u32_b32 v18, v19, v18
	s_waitcnt lgkmcnt(0)
	v_add_u32_e32 v18, v27, v18
	ds_write_b32 v24, v18 offset:64
.LBB984_71:
	s_or_b64 exec, exec, s[2:3]
	s_waitcnt vmcnt(5)
	v_lshrrev_b64 v[18:19], s20, v[6:7]
	v_and_b32_e32 v20, s13, v18
	v_and_b32_e32 v19, 1, v20
	v_add_co_u32_e32 v21, vcc, -1, v19
	v_addc_co_u32_e64 v31, s[2:3], 0, -1, vcc
	v_cmp_ne_u32_e32 vcc, 0, v19
	v_lshl_add_u32 v18, v20, 4, v20
	v_xor_b32_e32 v19, vcc_hi, v31
	v_add_lshl_u32 v25, v34, v18, 2
	v_mov_b32_e32 v18, 0
	v_and_b32_e32 v31, exec_hi, v19
	v_lshlrev_b32_e32 v19, 30, v20
	v_xor_b32_e32 v21, vcc_lo, v21
	v_cmp_gt_i64_e32 vcc, 0, v[18:19]
	v_not_b32_e32 v19, v19
	v_ashrrev_i32_e32 v19, 31, v19
	v_and_b32_e32 v21, exec_lo, v21
	v_xor_b32_e32 v32, vcc_hi, v19
	v_xor_b32_e32 v19, vcc_lo, v19
	v_and_b32_e32 v21, v21, v19
	v_lshlrev_b32_e32 v19, 29, v20
	v_cmp_gt_i64_e32 vcc, 0, v[18:19]
	v_not_b32_e32 v19, v19
	v_ashrrev_i32_e32 v19, 31, v19
	v_and_b32_e32 v31, v31, v32
	v_xor_b32_e32 v32, vcc_hi, v19
	v_xor_b32_e32 v19, vcc_lo, v19
	v_and_b32_e32 v21, v21, v19
	v_lshlrev_b32_e32 v19, 28, v20
	v_cmp_gt_i64_e32 vcc, 0, v[18:19]
	v_not_b32_e32 v19, v19
	v_ashrrev_i32_e32 v19, 31, v19
	v_and_b32_e32 v31, v31, v32
	;; [unrolled: 8-line block ×5, first 2 shown]
	v_xor_b32_e32 v32, vcc_hi, v19
	v_xor_b32_e32 v19, vcc_lo, v19
	v_and_b32_e32 v31, v31, v32
	v_and_b32_e32 v32, v21, v19
	v_lshlrev_b32_e32 v19, 24, v20
	v_cmp_gt_i64_e32 vcc, 0, v[18:19]
	v_not_b32_e32 v19, v19
	v_ashrrev_i32_e32 v19, 31, v19
	v_xor_b32_e32 v20, vcc_hi, v19
	v_xor_b32_e32 v19, vcc_lo, v19
	; wave barrier
	ds_read_b32 v30, v25 offset:64
	v_and_b32_e32 v21, v31, v20
	v_and_b32_e32 v20, v32, v19
	v_mbcnt_lo_u32_b32 v19, v20, 0
	v_mbcnt_hi_u32_b32 v31, v21, v19
	v_cmp_eq_u32_e32 vcc, 0, v31
	v_cmp_ne_u64_e64 s[2:3], 0, v[20:21]
	s_and_b64 s[4:5], s[2:3], vcc
	; wave barrier
	s_and_saveexec_b64 s[2:3], s[4:5]
	s_cbranch_execz .LBB984_73
; %bb.72:
	v_bcnt_u32_b32 v19, v20, 0
	v_bcnt_u32_b32 v19, v21, v19
	s_waitcnt lgkmcnt(0)
	v_add_u32_e32 v19, v30, v19
	ds_write_b32 v25, v19 offset:64
.LBB984_73:
	s_or_b64 exec, exec, s[2:3]
	s_waitcnt vmcnt(4)
	v_lshrrev_b64 v[20:21], s20, v[8:9]
	v_and_b32_e32 v20, s13, v20
	v_lshl_add_u32 v19, v20, 4, v20
	v_add_lshl_u32 v37, v34, v19, 2
	v_and_b32_e32 v19, 1, v20
	v_add_co_u32_e32 v21, vcc, -1, v19
	v_addc_co_u32_e64 v33, s[2:3], 0, -1, vcc
	v_cmp_ne_u32_e32 vcc, 0, v19
	v_xor_b32_e32 v19, vcc_hi, v33
	v_and_b32_e32 v33, exec_hi, v19
	v_lshlrev_b32_e32 v19, 30, v20
	v_xor_b32_e32 v21, vcc_lo, v21
	v_cmp_gt_i64_e32 vcc, 0, v[18:19]
	v_not_b32_e32 v19, v19
	v_ashrrev_i32_e32 v19, 31, v19
	v_and_b32_e32 v21, exec_lo, v21
	v_xor_b32_e32 v35, vcc_hi, v19
	v_xor_b32_e32 v19, vcc_lo, v19
	v_and_b32_e32 v21, v21, v19
	v_lshlrev_b32_e32 v19, 29, v20
	v_cmp_gt_i64_e32 vcc, 0, v[18:19]
	v_not_b32_e32 v19, v19
	v_ashrrev_i32_e32 v19, 31, v19
	v_and_b32_e32 v33, v33, v35
	v_xor_b32_e32 v35, vcc_hi, v19
	v_xor_b32_e32 v19, vcc_lo, v19
	v_and_b32_e32 v21, v21, v19
	v_lshlrev_b32_e32 v19, 28, v20
	v_cmp_gt_i64_e32 vcc, 0, v[18:19]
	v_not_b32_e32 v19, v19
	v_ashrrev_i32_e32 v19, 31, v19
	v_and_b32_e32 v33, v33, v35
	;; [unrolled: 8-line block ×5, first 2 shown]
	v_xor_b32_e32 v35, vcc_hi, v19
	v_xor_b32_e32 v19, vcc_lo, v19
	v_and_b32_e32 v21, v21, v19
	v_lshlrev_b32_e32 v19, 24, v20
	v_cmp_gt_i64_e32 vcc, 0, v[18:19]
	v_not_b32_e32 v18, v19
	v_ashrrev_i32_e32 v18, 31, v18
	v_xor_b32_e32 v19, vcc_hi, v18
	v_xor_b32_e32 v18, vcc_lo, v18
	; wave barrier
	ds_read_b32 v32, v37 offset:64
	v_and_b32_e32 v33, v33, v35
	v_and_b32_e32 v18, v21, v18
	;; [unrolled: 1-line block ×3, first 2 shown]
	v_mbcnt_lo_u32_b32 v20, v18, 0
	v_mbcnt_hi_u32_b32 v33, v19, v20
	v_cmp_eq_u32_e32 vcc, 0, v33
	v_cmp_ne_u64_e64 s[2:3], 0, v[18:19]
	s_and_b64 s[4:5], s[2:3], vcc
	; wave barrier
	s_and_saveexec_b64 s[2:3], s[4:5]
	s_cbranch_execz .LBB984_75
; %bb.74:
	v_bcnt_u32_b32 v18, v18, 0
	v_bcnt_u32_b32 v18, v19, v18
	s_waitcnt lgkmcnt(0)
	v_add_u32_e32 v18, v32, v18
	ds_write_b32 v37, v18 offset:64
.LBB984_75:
	s_or_b64 exec, exec, s[2:3]
	s_waitcnt vmcnt(3)
	v_lshrrev_b64 v[18:19], s20, v[10:11]
	v_and_b32_e32 v20, s13, v18
	v_and_b32_e32 v19, 1, v20
	v_add_co_u32_e32 v21, vcc, -1, v19
	v_addc_co_u32_e64 v36, s[2:3], 0, -1, vcc
	v_cmp_ne_u32_e32 vcc, 0, v19
	v_lshl_add_u32 v18, v20, 4, v20
	v_xor_b32_e32 v19, vcc_hi, v36
	v_add_lshl_u32 v39, v34, v18, 2
	v_mov_b32_e32 v18, 0
	v_and_b32_e32 v36, exec_hi, v19
	v_lshlrev_b32_e32 v19, 30, v20
	v_xor_b32_e32 v21, vcc_lo, v21
	v_cmp_gt_i64_e32 vcc, 0, v[18:19]
	v_not_b32_e32 v19, v19
	v_ashrrev_i32_e32 v19, 31, v19
	v_and_b32_e32 v21, exec_lo, v21
	v_xor_b32_e32 v38, vcc_hi, v19
	v_xor_b32_e32 v19, vcc_lo, v19
	v_and_b32_e32 v21, v21, v19
	v_lshlrev_b32_e32 v19, 29, v20
	v_cmp_gt_i64_e32 vcc, 0, v[18:19]
	v_not_b32_e32 v19, v19
	v_ashrrev_i32_e32 v19, 31, v19
	v_and_b32_e32 v36, v36, v38
	v_xor_b32_e32 v38, vcc_hi, v19
	v_xor_b32_e32 v19, vcc_lo, v19
	v_and_b32_e32 v21, v21, v19
	v_lshlrev_b32_e32 v19, 28, v20
	v_cmp_gt_i64_e32 vcc, 0, v[18:19]
	v_not_b32_e32 v19, v19
	v_ashrrev_i32_e32 v19, 31, v19
	v_and_b32_e32 v36, v36, v38
	;; [unrolled: 8-line block ×5, first 2 shown]
	v_xor_b32_e32 v38, vcc_hi, v19
	v_xor_b32_e32 v19, vcc_lo, v19
	v_and_b32_e32 v36, v36, v38
	v_and_b32_e32 v38, v21, v19
	v_lshlrev_b32_e32 v19, 24, v20
	v_cmp_gt_i64_e32 vcc, 0, v[18:19]
	v_not_b32_e32 v19, v19
	v_ashrrev_i32_e32 v19, 31, v19
	v_xor_b32_e32 v20, vcc_hi, v19
	v_xor_b32_e32 v19, vcc_lo, v19
	; wave barrier
	ds_read_b32 v35, v39 offset:64
	v_and_b32_e32 v21, v36, v20
	v_and_b32_e32 v20, v38, v19
	v_mbcnt_lo_u32_b32 v19, v20, 0
	v_mbcnt_hi_u32_b32 v36, v21, v19
	v_cmp_eq_u32_e32 vcc, 0, v36
	v_cmp_ne_u64_e64 s[2:3], 0, v[20:21]
	s_and_b64 s[4:5], s[2:3], vcc
	; wave barrier
	s_and_saveexec_b64 s[2:3], s[4:5]
	s_cbranch_execz .LBB984_77
; %bb.76:
	v_bcnt_u32_b32 v19, v20, 0
	v_bcnt_u32_b32 v19, v21, v19
	s_waitcnt lgkmcnt(0)
	v_add_u32_e32 v19, v35, v19
	ds_write_b32 v39, v19 offset:64
.LBB984_77:
	s_or_b64 exec, exec, s[2:3]
	s_waitcnt vmcnt(2)
	v_lshrrev_b64 v[20:21], s20, v[12:13]
	v_and_b32_e32 v20, s13, v20
	v_lshl_add_u32 v19, v20, 4, v20
	v_add_lshl_u32 v43, v34, v19, 2
	v_and_b32_e32 v19, 1, v20
	v_add_co_u32_e32 v21, vcc, -1, v19
	v_addc_co_u32_e64 v40, s[2:3], 0, -1, vcc
	v_cmp_ne_u32_e32 vcc, 0, v19
	v_xor_b32_e32 v19, vcc_hi, v40
	v_and_b32_e32 v40, exec_hi, v19
	v_lshlrev_b32_e32 v19, 30, v20
	v_xor_b32_e32 v21, vcc_lo, v21
	v_cmp_gt_i64_e32 vcc, 0, v[18:19]
	v_not_b32_e32 v19, v19
	v_ashrrev_i32_e32 v19, 31, v19
	v_and_b32_e32 v21, exec_lo, v21
	v_xor_b32_e32 v41, vcc_hi, v19
	v_xor_b32_e32 v19, vcc_lo, v19
	v_and_b32_e32 v21, v21, v19
	v_lshlrev_b32_e32 v19, 29, v20
	v_cmp_gt_i64_e32 vcc, 0, v[18:19]
	v_not_b32_e32 v19, v19
	v_ashrrev_i32_e32 v19, 31, v19
	v_and_b32_e32 v40, v40, v41
	v_xor_b32_e32 v41, vcc_hi, v19
	v_xor_b32_e32 v19, vcc_lo, v19
	v_and_b32_e32 v21, v21, v19
	v_lshlrev_b32_e32 v19, 28, v20
	v_cmp_gt_i64_e32 vcc, 0, v[18:19]
	v_not_b32_e32 v19, v19
	v_ashrrev_i32_e32 v19, 31, v19
	v_and_b32_e32 v40, v40, v41
	;; [unrolled: 8-line block ×5, first 2 shown]
	v_xor_b32_e32 v41, vcc_hi, v19
	v_xor_b32_e32 v19, vcc_lo, v19
	v_and_b32_e32 v21, v21, v19
	v_lshlrev_b32_e32 v19, 24, v20
	v_cmp_gt_i64_e32 vcc, 0, v[18:19]
	v_not_b32_e32 v18, v19
	v_ashrrev_i32_e32 v18, 31, v18
	v_xor_b32_e32 v19, vcc_hi, v18
	v_xor_b32_e32 v18, vcc_lo, v18
	; wave barrier
	ds_read_b32 v38, v43 offset:64
	v_and_b32_e32 v40, v40, v41
	v_and_b32_e32 v18, v21, v18
	v_and_b32_e32 v19, v40, v19
	v_mbcnt_lo_u32_b32 v20, v18, 0
	v_mbcnt_hi_u32_b32 v40, v19, v20
	v_cmp_eq_u32_e32 vcc, 0, v40
	v_cmp_ne_u64_e64 s[2:3], 0, v[18:19]
	s_and_b64 s[4:5], s[2:3], vcc
	; wave barrier
	s_and_saveexec_b64 s[2:3], s[4:5]
	s_cbranch_execz .LBB984_79
; %bb.78:
	v_bcnt_u32_b32 v18, v18, 0
	v_bcnt_u32_b32 v18, v19, v18
	s_waitcnt lgkmcnt(0)
	v_add_u32_e32 v18, v38, v18
	ds_write_b32 v43, v18 offset:64
.LBB984_79:
	s_or_b64 exec, exec, s[2:3]
	s_waitcnt vmcnt(1)
	v_lshrrev_b64 v[18:19], s20, v[14:15]
	v_and_b32_e32 v20, s13, v18
	v_and_b32_e32 v19, 1, v20
	v_add_co_u32_e32 v21, vcc, -1, v19
	v_addc_co_u32_e64 v42, s[2:3], 0, -1, vcc
	v_cmp_ne_u32_e32 vcc, 0, v19
	v_lshl_add_u32 v18, v20, 4, v20
	v_xor_b32_e32 v19, vcc_hi, v42
	v_add_lshl_u32 v45, v34, v18, 2
	v_mov_b32_e32 v18, 0
	v_and_b32_e32 v42, exec_hi, v19
	v_lshlrev_b32_e32 v19, 30, v20
	v_xor_b32_e32 v21, vcc_lo, v21
	v_cmp_gt_i64_e32 vcc, 0, v[18:19]
	v_not_b32_e32 v19, v19
	v_ashrrev_i32_e32 v19, 31, v19
	v_and_b32_e32 v21, exec_lo, v21
	v_xor_b32_e32 v44, vcc_hi, v19
	v_xor_b32_e32 v19, vcc_lo, v19
	v_and_b32_e32 v21, v21, v19
	v_lshlrev_b32_e32 v19, 29, v20
	v_cmp_gt_i64_e32 vcc, 0, v[18:19]
	v_not_b32_e32 v19, v19
	v_ashrrev_i32_e32 v19, 31, v19
	v_and_b32_e32 v42, v42, v44
	v_xor_b32_e32 v44, vcc_hi, v19
	v_xor_b32_e32 v19, vcc_lo, v19
	v_and_b32_e32 v21, v21, v19
	v_lshlrev_b32_e32 v19, 28, v20
	v_cmp_gt_i64_e32 vcc, 0, v[18:19]
	v_not_b32_e32 v19, v19
	v_ashrrev_i32_e32 v19, 31, v19
	v_and_b32_e32 v42, v42, v44
	v_xor_b32_e32 v44, vcc_hi, v19
	v_xor_b32_e32 v19, vcc_lo, v19
	v_and_b32_e32 v21, v21, v19
	v_lshlrev_b32_e32 v19, 27, v20
	v_cmp_gt_i64_e32 vcc, 0, v[18:19]
	v_not_b32_e32 v19, v19
	v_ashrrev_i32_e32 v19, 31, v19
	v_and_b32_e32 v42, v42, v44
	v_xor_b32_e32 v44, vcc_hi, v19
	v_xor_b32_e32 v19, vcc_lo, v19
	v_and_b32_e32 v21, v21, v19
	v_lshlrev_b32_e32 v19, 26, v20
	v_cmp_gt_i64_e32 vcc, 0, v[18:19]
	v_not_b32_e32 v19, v19
	v_ashrrev_i32_e32 v19, 31, v19
	v_and_b32_e32 v42, v42, v44
	v_xor_b32_e32 v44, vcc_hi, v19
	v_xor_b32_e32 v19, vcc_lo, v19
	v_and_b32_e32 v21, v21, v19
	v_lshlrev_b32_e32 v19, 25, v20
	v_cmp_gt_i64_e32 vcc, 0, v[18:19]
	v_not_b32_e32 v19, v19
	v_ashrrev_i32_e32 v19, 31, v19
	v_and_b32_e32 v42, v42, v44
	v_xor_b32_e32 v44, vcc_hi, v19
	v_xor_b32_e32 v19, vcc_lo, v19
	v_and_b32_e32 v42, v42, v44
	v_and_b32_e32 v44, v21, v19
	v_lshlrev_b32_e32 v19, 24, v20
	v_cmp_gt_i64_e32 vcc, 0, v[18:19]
	v_not_b32_e32 v19, v19
	v_ashrrev_i32_e32 v19, 31, v19
	v_xor_b32_e32 v20, vcc_hi, v19
	v_xor_b32_e32 v19, vcc_lo, v19
	; wave barrier
	ds_read_b32 v41, v45 offset:64
	v_and_b32_e32 v21, v42, v20
	v_and_b32_e32 v20, v44, v19
	v_mbcnt_lo_u32_b32 v19, v20, 0
	v_mbcnt_hi_u32_b32 v42, v21, v19
	v_cmp_eq_u32_e32 vcc, 0, v42
	v_cmp_ne_u64_e64 s[2:3], 0, v[20:21]
	s_and_b64 s[4:5], s[2:3], vcc
	; wave barrier
	s_and_saveexec_b64 s[2:3], s[4:5]
	s_cbranch_execz .LBB984_81
; %bb.80:
	v_bcnt_u32_b32 v19, v20, 0
	v_bcnt_u32_b32 v19, v21, v19
	s_waitcnt lgkmcnt(0)
	v_add_u32_e32 v19, v41, v19
	ds_write_b32 v45, v19 offset:64
.LBB984_81:
	s_or_b64 exec, exec, s[2:3]
	s_waitcnt vmcnt(0)
	v_lshrrev_b64 v[20:21], s20, v[16:17]
	v_and_b32_e32 v20, s13, v20
	v_lshl_add_u32 v19, v20, 4, v20
	v_add_lshl_u32 v46, v34, v19, 2
	v_and_b32_e32 v19, 1, v20
	v_add_co_u32_e32 v21, vcc, -1, v19
	v_addc_co_u32_e64 v44, s[2:3], 0, -1, vcc
	v_cmp_ne_u32_e32 vcc, 0, v19
	v_xor_b32_e32 v19, vcc_hi, v44
	v_and_b32_e32 v44, exec_hi, v19
	v_lshlrev_b32_e32 v19, 30, v20
	v_xor_b32_e32 v21, vcc_lo, v21
	v_cmp_gt_i64_e32 vcc, 0, v[18:19]
	v_not_b32_e32 v19, v19
	v_ashrrev_i32_e32 v19, 31, v19
	v_and_b32_e32 v21, exec_lo, v21
	v_xor_b32_e32 v48, vcc_hi, v19
	v_xor_b32_e32 v19, vcc_lo, v19
	v_and_b32_e32 v21, v21, v19
	v_lshlrev_b32_e32 v19, 29, v20
	v_cmp_gt_i64_e32 vcc, 0, v[18:19]
	v_not_b32_e32 v19, v19
	v_ashrrev_i32_e32 v19, 31, v19
	v_and_b32_e32 v44, v44, v48
	v_xor_b32_e32 v48, vcc_hi, v19
	v_xor_b32_e32 v19, vcc_lo, v19
	v_and_b32_e32 v21, v21, v19
	v_lshlrev_b32_e32 v19, 28, v20
	v_cmp_gt_i64_e32 vcc, 0, v[18:19]
	v_not_b32_e32 v19, v19
	v_ashrrev_i32_e32 v19, 31, v19
	v_and_b32_e32 v44, v44, v48
	v_xor_b32_e32 v48, vcc_hi, v19
	v_xor_b32_e32 v19, vcc_lo, v19
	v_and_b32_e32 v21, v21, v19
	v_lshlrev_b32_e32 v19, 27, v20
	v_cmp_gt_i64_e32 vcc, 0, v[18:19]
	v_not_b32_e32 v19, v19
	v_ashrrev_i32_e32 v19, 31, v19
	v_and_b32_e32 v44, v44, v48
	v_xor_b32_e32 v48, vcc_hi, v19
	v_xor_b32_e32 v19, vcc_lo, v19
	v_and_b32_e32 v21, v21, v19
	v_lshlrev_b32_e32 v19, 26, v20
	v_cmp_gt_i64_e32 vcc, 0, v[18:19]
	v_not_b32_e32 v19, v19
	v_ashrrev_i32_e32 v19, 31, v19
	v_and_b32_e32 v44, v44, v48
	v_xor_b32_e32 v48, vcc_hi, v19
	v_xor_b32_e32 v19, vcc_lo, v19
	v_and_b32_e32 v21, v21, v19
	v_lshlrev_b32_e32 v19, 25, v20
	v_cmp_gt_i64_e32 vcc, 0, v[18:19]
	v_not_b32_e32 v19, v19
	v_ashrrev_i32_e32 v19, 31, v19
	v_and_b32_e32 v44, v44, v48
	v_xor_b32_e32 v48, vcc_hi, v19
	v_xor_b32_e32 v19, vcc_lo, v19
	v_and_b32_e32 v21, v21, v19
	v_lshlrev_b32_e32 v19, 24, v20
	v_cmp_gt_i64_e32 vcc, 0, v[18:19]
	v_not_b32_e32 v18, v19
	v_ashrrev_i32_e32 v18, 31, v18
	v_xor_b32_e32 v19, vcc_hi, v18
	v_xor_b32_e32 v18, vcc_lo, v18
	; wave barrier
	ds_read_b32 v34, v46 offset:64
	v_and_b32_e32 v44, v44, v48
	v_and_b32_e32 v18, v21, v18
	;; [unrolled: 1-line block ×3, first 2 shown]
	v_mbcnt_lo_u32_b32 v20, v18, 0
	v_mbcnt_hi_u32_b32 v44, v19, v20
	v_cmp_eq_u32_e32 vcc, 0, v44
	v_cmp_ne_u64_e64 s[2:3], 0, v[18:19]
	v_add_u32_e32 v47, 64, v22
	s_and_b64 s[4:5], s[2:3], vcc
	; wave barrier
	s_and_saveexec_b64 s[2:3], s[4:5]
	s_cbranch_execz .LBB984_83
; %bb.82:
	v_bcnt_u32_b32 v18, v18, 0
	v_bcnt_u32_b32 v18, v19, v18
	s_waitcnt lgkmcnt(0)
	v_add_u32_e32 v18, v34, v18
	ds_write_b32 v46, v18 offset:64
.LBB984_83:
	s_or_b64 exec, exec, s[2:3]
	; wave barrier
	s_waitcnt lgkmcnt(0)
	s_barrier
	ds_read2_b32 v[20:21], v22 offset0:16 offset1:17
	ds_read2_b32 v[18:19], v47 offset0:2 offset1:3
	ds_read_b32 v48, v47 offset:16
	v_cmp_lt_u32_e64 s[8:9], 31, v3
	s_waitcnt lgkmcnt(1)
	v_add3_u32 v49, v21, v20, v18
	s_waitcnt lgkmcnt(0)
	v_add3_u32 v48, v49, v19, v48
	v_and_b32_e32 v49, 15, v3
	v_cmp_eq_u32_e32 vcc, 0, v49
	v_mov_b32_dpp v50, v48 row_shr:1 row_mask:0xf bank_mask:0xf
	v_cndmask_b32_e64 v50, v50, 0, vcc
	v_add_u32_e32 v48, v50, v48
	v_cmp_lt_u32_e64 s[2:3], 1, v49
	v_cmp_lt_u32_e64 s[4:5], 3, v49
	v_mov_b32_dpp v50, v48 row_shr:2 row_mask:0xf bank_mask:0xf
	v_cndmask_b32_e64 v50, 0, v50, s[2:3]
	v_add_u32_e32 v48, v48, v50
	v_cmp_lt_u32_e64 s[6:7], 7, v49
	s_nop 0
	v_mov_b32_dpp v50, v48 row_shr:4 row_mask:0xf bank_mask:0xf
	v_cndmask_b32_e64 v50, 0, v50, s[4:5]
	v_add_u32_e32 v48, v48, v50
	s_nop 1
	v_mov_b32_dpp v50, v48 row_shr:8 row_mask:0xf bank_mask:0xf
	v_cndmask_b32_e64 v49, 0, v50, s[6:7]
	v_add_u32_e32 v48, v48, v49
	v_bfe_i32 v50, v3, 4, 1
	s_nop 0
	v_mov_b32_dpp v49, v48 row_bcast:15 row_mask:0xf bank_mask:0xf
	v_and_b32_e32 v49, v50, v49
	v_add_u32_e32 v48, v48, v49
	v_and_b32_e32 v50, 63, v2
	s_nop 0
	v_mov_b32_dpp v49, v48 row_bcast:31 row_mask:0xf bank_mask:0xf
	v_cndmask_b32_e64 v49, 0, v49, s[8:9]
	v_add_u32_e32 v48, v48, v49
	v_lshrrev_b32_e32 v49, 6, v2
	v_cmp_eq_u32_e64 s[8:9], 63, v50
	s_and_saveexec_b64 s[10:11], s[8:9]
	s_cbranch_execz .LBB984_85
; %bb.84:
	v_lshlrev_b32_e32 v50, 2, v49
	ds_write_b32 v50, v48
.LBB984_85:
	s_or_b64 exec, exec, s[10:11]
	v_cmp_gt_u32_e64 s[8:9], 16, v2
	s_waitcnt lgkmcnt(0)
	s_barrier
	s_and_saveexec_b64 s[10:11], s[8:9]
	s_cbranch_execz .LBB984_87
; %bb.86:
	v_lshlrev_b32_e32 v50, 2, v2
	ds_read_b32 v51, v50
	s_waitcnt lgkmcnt(0)
	s_nop 0
	v_mov_b32_dpp v52, v51 row_shr:1 row_mask:0xf bank_mask:0xf
	v_cndmask_b32_e64 v52, v52, 0, vcc
	v_add_u32_e32 v51, v52, v51
	s_nop 1
	v_mov_b32_dpp v52, v51 row_shr:2 row_mask:0xf bank_mask:0xf
	v_cndmask_b32_e64 v52, 0, v52, s[2:3]
	v_add_u32_e32 v51, v51, v52
	s_nop 1
	v_mov_b32_dpp v52, v51 row_shr:4 row_mask:0xf bank_mask:0xf
	v_cndmask_b32_e64 v52, 0, v52, s[4:5]
	;; [unrolled: 4-line block ×3, first 2 shown]
	v_add_u32_e32 v51, v51, v52
	ds_write_b32 v50, v51
.LBB984_87:
	s_or_b64 exec, exec, s[10:11]
	v_cmp_lt_u32_e32 vcc, 63, v2
	v_mov_b32_e32 v50, 0
	s_waitcnt lgkmcnt(0)
	s_barrier
	s_and_saveexec_b64 s[2:3], vcc
	s_cbranch_execz .LBB984_89
; %bb.88:
	v_lshl_add_u32 v49, v49, 2, -4
	ds_read_b32 v50, v49
.LBB984_89:
	s_or_b64 exec, exec, s[2:3]
	v_add_u32_e32 v49, -1, v3
	v_and_b32_e32 v51, 64, v3
	v_cmp_lt_i32_e32 vcc, v49, v51
	v_cndmask_b32_e32 v49, v49, v3, vcc
	s_waitcnt lgkmcnt(0)
	v_add_u32_e32 v48, v50, v48
	v_lshlrev_b32_e32 v49, 2, v49
	ds_bpermute_b32 v48, v49, v48
	v_cmp_eq_u32_e32 vcc, 0, v3
	s_movk_i32 s2, 0xff
	s_waitcnt lgkmcnt(0)
	v_cndmask_b32_e32 v3, v48, v50, vcc
	v_cndmask_b32_e64 v3, v3, 0, s[0:1]
	v_add_u32_e32 v20, v3, v20
	v_add_u32_e32 v21, v20, v21
	;; [unrolled: 1-line block ×4, first 2 shown]
	ds_write2_b32 v22, v3, v20 offset0:16 offset1:17
	ds_write2_b32 v47, v21, v18 offset0:2 offset1:3
	ds_write_b32 v47, v19 offset:16
	s_waitcnt lgkmcnt(0)
	s_barrier
	ds_read_b32 v50, v23 offset:64
	ds_read_b32 v47, v24 offset:64
	;; [unrolled: 1-line block ×8, first 2 shown]
	s_movk_i32 s0, 0x100
	v_cmp_lt_u32_e32 vcc, s2, v2
	v_cmp_gt_u32_e64 s[0:1], s0, v2
	v_pk_mov_b32 v[20:21], 0, 0
                                        ; implicit-def: $vgpr39
	s_and_saveexec_b64 s[4:5], s[0:1]
	s_cbranch_execz .LBB984_93
; %bb.90:
	v_mul_u32_u24_e32 v3, 17, v2
	v_lshlrev_b32_e32 v18, 2, v3
	ds_read_b32 v20, v18 offset:64
	v_cmp_ne_u32_e64 s[2:3], s2, v2
	v_mov_b32_e32 v3, 0x2000
	s_and_saveexec_b64 s[6:7], s[2:3]
	s_cbranch_execz .LBB984_92
; %bb.91:
	ds_read_b32 v3, v18 offset:132
.LBB984_92:
	s_or_b64 exec, exec, s[6:7]
	s_waitcnt lgkmcnt(0)
	v_sub_u32_e32 v39, v3, v20
	v_mov_b32_e32 v21, 0
.LBB984_93:
	s_or_b64 exec, exec, s[4:5]
	s_waitcnt lgkmcnt(0)
	s_barrier
	s_and_saveexec_b64 s[2:3], vcc
	s_xor_b64 s[2:3], exec, s[2:3]
; %bb.94:
	v_mov_b32_e32 v3, 0
; %bb.95:
	s_andn2_saveexec_b64 s[2:3], s[2:3]
	s_cbranch_execz .LBB984_105
; %bb.96:
	v_lshl_or_b32 v18, s28, 8, v2
	v_mov_b32_e32 v19, 0
	v_lshlrev_b64 v[22:23], 2, v[18:19]
	v_mov_b32_e32 v3, s15
	v_add_co_u32_e32 v22, vcc, s14, v22
	v_addc_co_u32_e32 v23, vcc, v3, v23, vcc
	v_or_b32_e32 v18, 2.0, v39
	s_mov_b64 s[4:5], 0
	s_brev_b32 s10, 1
	s_mov_b32 s11, s28
	v_mov_b32_e32 v51, 0
	global_store_dword v[22:23], v18, off
                                        ; implicit-def: $sgpr6_sgpr7
	s_branch .LBB984_99
.LBB984_97:                             ;   in Loop: Header=BB984_99 Depth=1
	s_or_b64 exec, exec, s[8:9]
.LBB984_98:                             ;   in Loop: Header=BB984_99 Depth=1
	s_or_b64 exec, exec, s[6:7]
	v_and_b32_e32 v24, 0x3fffffff, v52
	v_add_u32_e32 v51, v24, v51
	v_cmp_eq_u32_e64 s[6:7], s10, v18
	s_and_b64 s[8:9], exec, s[6:7]
	s_or_b64 s[4:5], s[8:9], s[4:5]
	s_andn2_b64 exec, exec, s[4:5]
	s_cbranch_execz .LBB984_104
.LBB984_99:                             ; =>This Loop Header: Depth=1
                                        ;     Child Loop BB984_102 Depth 2
	s_or_b64 s[6:7], s[6:7], exec
	s_cmp_eq_u32 s11, 0
	s_cbranch_scc1 .LBB984_103
; %bb.100:                              ;   in Loop: Header=BB984_99 Depth=1
	s_add_i32 s11, s11, -1
	v_lshl_or_b32 v18, s11, 8, v2
	v_lshlrev_b64 v[24:25], 2, v[18:19]
	v_add_co_u32_e32 v24, vcc, s14, v24
	v_addc_co_u32_e32 v25, vcc, v3, v25, vcc
	global_load_dword v52, v[24:25], off glc
	s_waitcnt vmcnt(0)
	v_and_b32_e32 v18, -2.0, v52
	v_cmp_eq_u32_e32 vcc, 0, v18
	s_and_saveexec_b64 s[6:7], vcc
	s_cbranch_execz .LBB984_98
; %bb.101:                              ;   in Loop: Header=BB984_99 Depth=1
	s_mov_b64 s[8:9], 0
.LBB984_102:                            ;   Parent Loop BB984_99 Depth=1
                                        ; =>  This Inner Loop Header: Depth=2
	global_load_dword v52, v[24:25], off glc
	s_waitcnt vmcnt(0)
	v_and_b32_e32 v18, -2.0, v52
	v_cmp_ne_u32_e32 vcc, 0, v18
	s_or_b64 s[8:9], vcc, s[8:9]
	s_andn2_b64 exec, exec, s[8:9]
	s_cbranch_execnz .LBB984_102
	s_branch .LBB984_97
.LBB984_103:                            ;   in Loop: Header=BB984_99 Depth=1
                                        ; implicit-def: $sgpr11
	s_and_b64 s[8:9], exec, s[6:7]
	s_or_b64 s[4:5], s[8:9], s[4:5]
	s_andn2_b64 exec, exec, s[4:5]
	s_cbranch_execnz .LBB984_99
.LBB984_104:
	s_or_b64 exec, exec, s[4:5]
	v_add_u32_e32 v3, v51, v39
	v_or_b32_e32 v3, 0x80000000, v3
	global_store_dword v[22:23], v3, off
	global_load_dwordx2 v[18:19], v28, s[16:17]
	v_sub_co_u32_e32 v22, vcc, v51, v20
	v_subb_co_u32_e32 v23, vcc, 0, v21, vcc
	v_mov_b32_e32 v3, 0
	s_waitcnt vmcnt(0)
	v_add_co_u32_e32 v18, vcc, v22, v18
	v_addc_co_u32_e32 v19, vcc, v23, v19, vcc
	ds_write_b64 v28, v[18:19]
.LBB984_105:
	s_or_b64 exec, exec, s[2:3]
	v_lshlrev_b64 v[18:19], 3, v[2:3]
	v_add3_u32 v27, v29, v47, v27
	v_mov_b32_e32 v29, s27
	v_add_co_u32_e32 v18, vcc, s26, v18
	v_add_u32_e32 v22, v50, v26
	v_add_u32_e32 v23, 0x800, v28
	v_add3_u32 v24, v44, v46, v34
	v_add3_u32 v25, v42, v45, v41
	;; [unrolled: 1-line block ×6, first 2 shown]
	v_addc_co_u32_e32 v19, vcc, v29, v19, vcc
	s_mov_b32 s2, 0
.LBB984_106:                            ; =>This Inner Loop Header: Depth=1
	v_add_u32_e32 v29, s2, v22
	v_add_u32_e32 v36, s2, v34
	;; [unrolled: 1-line block ×8, first 2 shown]
	v_min_u32_e32 v29, 0x800, v29
	v_min_u32_e32 v36, 0x800, v36
	;; [unrolled: 1-line block ×8, first 2 shown]
	v_lshlrev_b32_e32 v29, 3, v29
	v_lshlrev_b32_e32 v36, 3, v36
	;; [unrolled: 1-line block ×8, first 2 shown]
	ds_write_b64 v29, v[4:5] offset:2048
	ds_write_b64 v31, v[0:1] offset:2048
	;; [unrolled: 1-line block ×8, first 2 shown]
	s_waitcnt lgkmcnt(0)
	s_barrier
	ds_read_b64 v[36:37], v28 offset:2048
	s_addk_i32 s2, 0xf800
	s_cmpk_lg_i32 s2, 0xe000
	s_waitcnt lgkmcnt(0)
	v_lshrrev_b64 v[40:41], s20, v[36:37]
	v_and_b32_e32 v29, s13, v40
	v_lshlrev_b32_e32 v29, 3, v29
	ds_read_b64 v[40:41], v29
	ds_read_b64 v[42:43], v23 offset:8192
	s_waitcnt lgkmcnt(1)
	v_lshlrev_b64 v[40:41], 3, v[40:41]
	s_waitcnt lgkmcnt(0)
	v_lshrrev_b64 v[44:45], s20, v[42:43]
	v_add_co_u32_e32 v40, vcc, v18, v40
	v_and_b32_e32 v29, s13, v44
	v_addc_co_u32_e32 v41, vcc, v19, v41, vcc
	v_lshlrev_b32_e32 v29, 3, v29
	global_store_dwordx2 v[40:41], v[36:37], off
	ds_read_b64 v[36:37], v29
	s_waitcnt lgkmcnt(0)
	v_lshlrev_b64 v[36:37], 3, v[36:37]
	v_add_co_u32_e32 v29, vcc, v18, v36
	v_addc_co_u32_e32 v31, vcc, v19, v37, vcc
	v_add_co_u32_e32 v36, vcc, 0x2000, v29
	v_addc_co_u32_e32 v37, vcc, 0, v31, vcc
	;; [unrolled: 2-line block ×3, first 2 shown]
	global_store_dwordx2 v[36:37], v[42:43], off
	s_barrier
	s_cbranch_scc1 .LBB984_106
; %bb.107:
	s_add_i32 s12, s12, -1
	s_cmp_eq_u32 s12, s28
	s_cselect_b64 s[2:3], -1, 0
	s_and_b64 s[2:3], s[0:1], s[2:3]
.LBB984_108:
	s_and_saveexec_b64 s[0:1], s[2:3]
	s_cbranch_execnz .LBB984_110
; %bb.109:
	s_endpgm
.LBB984_110:
	v_lshlrev_b64 v[0:1], 3, v[2:3]
	ds_read_b64 v[2:3], v28
	v_add_co_u32_e32 v4, vcc, v20, v39
	v_addc_co_u32_e32 v5, vcc, 0, v21, vcc
	v_mov_b32_e32 v6, s19
	v_add_co_u32_e32 v0, vcc, s18, v0
	v_addc_co_u32_e32 v1, vcc, v6, v1, vcc
	s_waitcnt lgkmcnt(0)
	v_add_co_u32_e32 v2, vcc, v4, v2
	v_addc_co_u32_e32 v3, vcc, v5, v3, vcc
	global_store_dwordx2 v[0:1], v[2:3], off
	s_endpgm
	.section	.rodata,"a",@progbits
	.p2align	6, 0x0
	.amdhsa_kernel _ZN7rocprim17ROCPRIM_400000_NS6detail17trampoline_kernelINS0_14default_configENS1_35radix_sort_onesweep_config_selectorImNS0_10empty_typeEEEZZNS1_29radix_sort_onesweep_iterationIS3_Lb0EPmS8_PS5_S9_mNS0_19identity_decomposerENS1_16block_id_wrapperIjLb1EEEEE10hipError_tT1_PNSt15iterator_traitsISE_E10value_typeET2_T3_PNSF_ISK_E10value_typeET4_T5_PSP_SQ_PNS1_23onesweep_lookback_stateEbbT6_jjT7_P12ihipStream_tbENKUlT_T0_SE_SJ_E_clIS8_S8_S9_S9_EEDaSX_SY_SE_SJ_EUlSX_E_NS1_11comp_targetILNS1_3genE4ELNS1_11target_archE910ELNS1_3gpuE8ELNS1_3repE0EEENS1_47radix_sort_onesweep_sort_config_static_selectorELNS0_4arch9wavefront6targetE1EEEvSE_
		.amdhsa_group_segment_fixed_size 20552
		.amdhsa_private_segment_fixed_size 0
		.amdhsa_kernarg_size 344
		.amdhsa_user_sgpr_count 6
		.amdhsa_user_sgpr_private_segment_buffer 1
		.amdhsa_user_sgpr_dispatch_ptr 0
		.amdhsa_user_sgpr_queue_ptr 0
		.amdhsa_user_sgpr_kernarg_segment_ptr 1
		.amdhsa_user_sgpr_dispatch_id 0
		.amdhsa_user_sgpr_flat_scratch_init 0
		.amdhsa_user_sgpr_kernarg_preload_length 0
		.amdhsa_user_sgpr_kernarg_preload_offset 0
		.amdhsa_user_sgpr_private_segment_size 0
		.amdhsa_uses_dynamic_stack 0
		.amdhsa_system_sgpr_private_segment_wavefront_offset 0
		.amdhsa_system_sgpr_workgroup_id_x 1
		.amdhsa_system_sgpr_workgroup_id_y 0
		.amdhsa_system_sgpr_workgroup_id_z 0
		.amdhsa_system_sgpr_workgroup_info 0
		.amdhsa_system_vgpr_workitem_id 2
		.amdhsa_next_free_vgpr 55
		.amdhsa_next_free_sgpr 34
		.amdhsa_accum_offset 56
		.amdhsa_reserve_vcc 1
		.amdhsa_reserve_flat_scratch 0
		.amdhsa_float_round_mode_32 0
		.amdhsa_float_round_mode_16_64 0
		.amdhsa_float_denorm_mode_32 3
		.amdhsa_float_denorm_mode_16_64 3
		.amdhsa_dx10_clamp 1
		.amdhsa_ieee_mode 1
		.amdhsa_fp16_overflow 0
		.amdhsa_tg_split 0
		.amdhsa_exception_fp_ieee_invalid_op 0
		.amdhsa_exception_fp_denorm_src 0
		.amdhsa_exception_fp_ieee_div_zero 0
		.amdhsa_exception_fp_ieee_overflow 0
		.amdhsa_exception_fp_ieee_underflow 0
		.amdhsa_exception_fp_ieee_inexact 0
		.amdhsa_exception_int_div_zero 0
	.end_amdhsa_kernel
	.section	.text._ZN7rocprim17ROCPRIM_400000_NS6detail17trampoline_kernelINS0_14default_configENS1_35radix_sort_onesweep_config_selectorImNS0_10empty_typeEEEZZNS1_29radix_sort_onesweep_iterationIS3_Lb0EPmS8_PS5_S9_mNS0_19identity_decomposerENS1_16block_id_wrapperIjLb1EEEEE10hipError_tT1_PNSt15iterator_traitsISE_E10value_typeET2_T3_PNSF_ISK_E10value_typeET4_T5_PSP_SQ_PNS1_23onesweep_lookback_stateEbbT6_jjT7_P12ihipStream_tbENKUlT_T0_SE_SJ_E_clIS8_S8_S9_S9_EEDaSX_SY_SE_SJ_EUlSX_E_NS1_11comp_targetILNS1_3genE4ELNS1_11target_archE910ELNS1_3gpuE8ELNS1_3repE0EEENS1_47radix_sort_onesweep_sort_config_static_selectorELNS0_4arch9wavefront6targetE1EEEvSE_,"axG",@progbits,_ZN7rocprim17ROCPRIM_400000_NS6detail17trampoline_kernelINS0_14default_configENS1_35radix_sort_onesweep_config_selectorImNS0_10empty_typeEEEZZNS1_29radix_sort_onesweep_iterationIS3_Lb0EPmS8_PS5_S9_mNS0_19identity_decomposerENS1_16block_id_wrapperIjLb1EEEEE10hipError_tT1_PNSt15iterator_traitsISE_E10value_typeET2_T3_PNSF_ISK_E10value_typeET4_T5_PSP_SQ_PNS1_23onesweep_lookback_stateEbbT6_jjT7_P12ihipStream_tbENKUlT_T0_SE_SJ_E_clIS8_S8_S9_S9_EEDaSX_SY_SE_SJ_EUlSX_E_NS1_11comp_targetILNS1_3genE4ELNS1_11target_archE910ELNS1_3gpuE8ELNS1_3repE0EEENS1_47radix_sort_onesweep_sort_config_static_selectorELNS0_4arch9wavefront6targetE1EEEvSE_,comdat
.Lfunc_end984:
	.size	_ZN7rocprim17ROCPRIM_400000_NS6detail17trampoline_kernelINS0_14default_configENS1_35radix_sort_onesweep_config_selectorImNS0_10empty_typeEEEZZNS1_29radix_sort_onesweep_iterationIS3_Lb0EPmS8_PS5_S9_mNS0_19identity_decomposerENS1_16block_id_wrapperIjLb1EEEEE10hipError_tT1_PNSt15iterator_traitsISE_E10value_typeET2_T3_PNSF_ISK_E10value_typeET4_T5_PSP_SQ_PNS1_23onesweep_lookback_stateEbbT6_jjT7_P12ihipStream_tbENKUlT_T0_SE_SJ_E_clIS8_S8_S9_S9_EEDaSX_SY_SE_SJ_EUlSX_E_NS1_11comp_targetILNS1_3genE4ELNS1_11target_archE910ELNS1_3gpuE8ELNS1_3repE0EEENS1_47radix_sort_onesweep_sort_config_static_selectorELNS0_4arch9wavefront6targetE1EEEvSE_, .Lfunc_end984-_ZN7rocprim17ROCPRIM_400000_NS6detail17trampoline_kernelINS0_14default_configENS1_35radix_sort_onesweep_config_selectorImNS0_10empty_typeEEEZZNS1_29radix_sort_onesweep_iterationIS3_Lb0EPmS8_PS5_S9_mNS0_19identity_decomposerENS1_16block_id_wrapperIjLb1EEEEE10hipError_tT1_PNSt15iterator_traitsISE_E10value_typeET2_T3_PNSF_ISK_E10value_typeET4_T5_PSP_SQ_PNS1_23onesweep_lookback_stateEbbT6_jjT7_P12ihipStream_tbENKUlT_T0_SE_SJ_E_clIS8_S8_S9_S9_EEDaSX_SY_SE_SJ_EUlSX_E_NS1_11comp_targetILNS1_3genE4ELNS1_11target_archE910ELNS1_3gpuE8ELNS1_3repE0EEENS1_47radix_sort_onesweep_sort_config_static_selectorELNS0_4arch9wavefront6targetE1EEEvSE_
                                        ; -- End function
	.section	.AMDGPU.csdata,"",@progbits
; Kernel info:
; codeLenInByte = 10292
; NumSgprs: 38
; NumVgprs: 55
; NumAgprs: 0
; TotalNumVgprs: 55
; ScratchSize: 0
; MemoryBound: 0
; FloatMode: 240
; IeeeMode: 1
; LDSByteSize: 20552 bytes/workgroup (compile time only)
; SGPRBlocks: 4
; VGPRBlocks: 6
; NumSGPRsForWavesPerEU: 38
; NumVGPRsForWavesPerEU: 55
; AccumOffset: 56
; Occupancy: 8
; WaveLimiterHint : 1
; COMPUTE_PGM_RSRC2:SCRATCH_EN: 0
; COMPUTE_PGM_RSRC2:USER_SGPR: 6
; COMPUTE_PGM_RSRC2:TRAP_HANDLER: 0
; COMPUTE_PGM_RSRC2:TGID_X_EN: 1
; COMPUTE_PGM_RSRC2:TGID_Y_EN: 0
; COMPUTE_PGM_RSRC2:TGID_Z_EN: 0
; COMPUTE_PGM_RSRC2:TIDIG_COMP_CNT: 2
; COMPUTE_PGM_RSRC3_GFX90A:ACCUM_OFFSET: 13
; COMPUTE_PGM_RSRC3_GFX90A:TG_SPLIT: 0
	.section	.text._ZN7rocprim17ROCPRIM_400000_NS6detail17trampoline_kernelINS0_14default_configENS1_35radix_sort_onesweep_config_selectorImNS0_10empty_typeEEEZZNS1_29radix_sort_onesweep_iterationIS3_Lb0EPmS8_PS5_S9_mNS0_19identity_decomposerENS1_16block_id_wrapperIjLb1EEEEE10hipError_tT1_PNSt15iterator_traitsISE_E10value_typeET2_T3_PNSF_ISK_E10value_typeET4_T5_PSP_SQ_PNS1_23onesweep_lookback_stateEbbT6_jjT7_P12ihipStream_tbENKUlT_T0_SE_SJ_E_clIS8_S8_S9_S9_EEDaSX_SY_SE_SJ_EUlSX_E_NS1_11comp_targetILNS1_3genE3ELNS1_11target_archE908ELNS1_3gpuE7ELNS1_3repE0EEENS1_47radix_sort_onesweep_sort_config_static_selectorELNS0_4arch9wavefront6targetE1EEEvSE_,"axG",@progbits,_ZN7rocprim17ROCPRIM_400000_NS6detail17trampoline_kernelINS0_14default_configENS1_35radix_sort_onesweep_config_selectorImNS0_10empty_typeEEEZZNS1_29radix_sort_onesweep_iterationIS3_Lb0EPmS8_PS5_S9_mNS0_19identity_decomposerENS1_16block_id_wrapperIjLb1EEEEE10hipError_tT1_PNSt15iterator_traitsISE_E10value_typeET2_T3_PNSF_ISK_E10value_typeET4_T5_PSP_SQ_PNS1_23onesweep_lookback_stateEbbT6_jjT7_P12ihipStream_tbENKUlT_T0_SE_SJ_E_clIS8_S8_S9_S9_EEDaSX_SY_SE_SJ_EUlSX_E_NS1_11comp_targetILNS1_3genE3ELNS1_11target_archE908ELNS1_3gpuE7ELNS1_3repE0EEENS1_47radix_sort_onesweep_sort_config_static_selectorELNS0_4arch9wavefront6targetE1EEEvSE_,comdat
	.protected	_ZN7rocprim17ROCPRIM_400000_NS6detail17trampoline_kernelINS0_14default_configENS1_35radix_sort_onesweep_config_selectorImNS0_10empty_typeEEEZZNS1_29radix_sort_onesweep_iterationIS3_Lb0EPmS8_PS5_S9_mNS0_19identity_decomposerENS1_16block_id_wrapperIjLb1EEEEE10hipError_tT1_PNSt15iterator_traitsISE_E10value_typeET2_T3_PNSF_ISK_E10value_typeET4_T5_PSP_SQ_PNS1_23onesweep_lookback_stateEbbT6_jjT7_P12ihipStream_tbENKUlT_T0_SE_SJ_E_clIS8_S8_S9_S9_EEDaSX_SY_SE_SJ_EUlSX_E_NS1_11comp_targetILNS1_3genE3ELNS1_11target_archE908ELNS1_3gpuE7ELNS1_3repE0EEENS1_47radix_sort_onesweep_sort_config_static_selectorELNS0_4arch9wavefront6targetE1EEEvSE_ ; -- Begin function _ZN7rocprim17ROCPRIM_400000_NS6detail17trampoline_kernelINS0_14default_configENS1_35radix_sort_onesweep_config_selectorImNS0_10empty_typeEEEZZNS1_29radix_sort_onesweep_iterationIS3_Lb0EPmS8_PS5_S9_mNS0_19identity_decomposerENS1_16block_id_wrapperIjLb1EEEEE10hipError_tT1_PNSt15iterator_traitsISE_E10value_typeET2_T3_PNSF_ISK_E10value_typeET4_T5_PSP_SQ_PNS1_23onesweep_lookback_stateEbbT6_jjT7_P12ihipStream_tbENKUlT_T0_SE_SJ_E_clIS8_S8_S9_S9_EEDaSX_SY_SE_SJ_EUlSX_E_NS1_11comp_targetILNS1_3genE3ELNS1_11target_archE908ELNS1_3gpuE7ELNS1_3repE0EEENS1_47radix_sort_onesweep_sort_config_static_selectorELNS0_4arch9wavefront6targetE1EEEvSE_
	.globl	_ZN7rocprim17ROCPRIM_400000_NS6detail17trampoline_kernelINS0_14default_configENS1_35radix_sort_onesweep_config_selectorImNS0_10empty_typeEEEZZNS1_29radix_sort_onesweep_iterationIS3_Lb0EPmS8_PS5_S9_mNS0_19identity_decomposerENS1_16block_id_wrapperIjLb1EEEEE10hipError_tT1_PNSt15iterator_traitsISE_E10value_typeET2_T3_PNSF_ISK_E10value_typeET4_T5_PSP_SQ_PNS1_23onesweep_lookback_stateEbbT6_jjT7_P12ihipStream_tbENKUlT_T0_SE_SJ_E_clIS8_S8_S9_S9_EEDaSX_SY_SE_SJ_EUlSX_E_NS1_11comp_targetILNS1_3genE3ELNS1_11target_archE908ELNS1_3gpuE7ELNS1_3repE0EEENS1_47radix_sort_onesweep_sort_config_static_selectorELNS0_4arch9wavefront6targetE1EEEvSE_
	.p2align	8
	.type	_ZN7rocprim17ROCPRIM_400000_NS6detail17trampoline_kernelINS0_14default_configENS1_35radix_sort_onesweep_config_selectorImNS0_10empty_typeEEEZZNS1_29radix_sort_onesweep_iterationIS3_Lb0EPmS8_PS5_S9_mNS0_19identity_decomposerENS1_16block_id_wrapperIjLb1EEEEE10hipError_tT1_PNSt15iterator_traitsISE_E10value_typeET2_T3_PNSF_ISK_E10value_typeET4_T5_PSP_SQ_PNS1_23onesweep_lookback_stateEbbT6_jjT7_P12ihipStream_tbENKUlT_T0_SE_SJ_E_clIS8_S8_S9_S9_EEDaSX_SY_SE_SJ_EUlSX_E_NS1_11comp_targetILNS1_3genE3ELNS1_11target_archE908ELNS1_3gpuE7ELNS1_3repE0EEENS1_47radix_sort_onesweep_sort_config_static_selectorELNS0_4arch9wavefront6targetE1EEEvSE_,@function
_ZN7rocprim17ROCPRIM_400000_NS6detail17trampoline_kernelINS0_14default_configENS1_35radix_sort_onesweep_config_selectorImNS0_10empty_typeEEEZZNS1_29radix_sort_onesweep_iterationIS3_Lb0EPmS8_PS5_S9_mNS0_19identity_decomposerENS1_16block_id_wrapperIjLb1EEEEE10hipError_tT1_PNSt15iterator_traitsISE_E10value_typeET2_T3_PNSF_ISK_E10value_typeET4_T5_PSP_SQ_PNS1_23onesweep_lookback_stateEbbT6_jjT7_P12ihipStream_tbENKUlT_T0_SE_SJ_E_clIS8_S8_S9_S9_EEDaSX_SY_SE_SJ_EUlSX_E_NS1_11comp_targetILNS1_3genE3ELNS1_11target_archE908ELNS1_3gpuE7ELNS1_3repE0EEENS1_47radix_sort_onesweep_sort_config_static_selectorELNS0_4arch9wavefront6targetE1EEEvSE_: ; @_ZN7rocprim17ROCPRIM_400000_NS6detail17trampoline_kernelINS0_14default_configENS1_35radix_sort_onesweep_config_selectorImNS0_10empty_typeEEEZZNS1_29radix_sort_onesweep_iterationIS3_Lb0EPmS8_PS5_S9_mNS0_19identity_decomposerENS1_16block_id_wrapperIjLb1EEEEE10hipError_tT1_PNSt15iterator_traitsISE_E10value_typeET2_T3_PNSF_ISK_E10value_typeET4_T5_PSP_SQ_PNS1_23onesweep_lookback_stateEbbT6_jjT7_P12ihipStream_tbENKUlT_T0_SE_SJ_E_clIS8_S8_S9_S9_EEDaSX_SY_SE_SJ_EUlSX_E_NS1_11comp_targetILNS1_3genE3ELNS1_11target_archE908ELNS1_3gpuE7ELNS1_3repE0EEENS1_47radix_sort_onesweep_sort_config_static_selectorELNS0_4arch9wavefront6targetE1EEEvSE_
; %bb.0:
	.section	.rodata,"a",@progbits
	.p2align	6, 0x0
	.amdhsa_kernel _ZN7rocprim17ROCPRIM_400000_NS6detail17trampoline_kernelINS0_14default_configENS1_35radix_sort_onesweep_config_selectorImNS0_10empty_typeEEEZZNS1_29radix_sort_onesweep_iterationIS3_Lb0EPmS8_PS5_S9_mNS0_19identity_decomposerENS1_16block_id_wrapperIjLb1EEEEE10hipError_tT1_PNSt15iterator_traitsISE_E10value_typeET2_T3_PNSF_ISK_E10value_typeET4_T5_PSP_SQ_PNS1_23onesweep_lookback_stateEbbT6_jjT7_P12ihipStream_tbENKUlT_T0_SE_SJ_E_clIS8_S8_S9_S9_EEDaSX_SY_SE_SJ_EUlSX_E_NS1_11comp_targetILNS1_3genE3ELNS1_11target_archE908ELNS1_3gpuE7ELNS1_3repE0EEENS1_47radix_sort_onesweep_sort_config_static_selectorELNS0_4arch9wavefront6targetE1EEEvSE_
		.amdhsa_group_segment_fixed_size 0
		.amdhsa_private_segment_fixed_size 0
		.amdhsa_kernarg_size 88
		.amdhsa_user_sgpr_count 6
		.amdhsa_user_sgpr_private_segment_buffer 1
		.amdhsa_user_sgpr_dispatch_ptr 0
		.amdhsa_user_sgpr_queue_ptr 0
		.amdhsa_user_sgpr_kernarg_segment_ptr 1
		.amdhsa_user_sgpr_dispatch_id 0
		.amdhsa_user_sgpr_flat_scratch_init 0
		.amdhsa_user_sgpr_kernarg_preload_length 0
		.amdhsa_user_sgpr_kernarg_preload_offset 0
		.amdhsa_user_sgpr_private_segment_size 0
		.amdhsa_uses_dynamic_stack 0
		.amdhsa_system_sgpr_private_segment_wavefront_offset 0
		.amdhsa_system_sgpr_workgroup_id_x 1
		.amdhsa_system_sgpr_workgroup_id_y 0
		.amdhsa_system_sgpr_workgroup_id_z 0
		.amdhsa_system_sgpr_workgroup_info 0
		.amdhsa_system_vgpr_workitem_id 0
		.amdhsa_next_free_vgpr 1
		.amdhsa_next_free_sgpr 0
		.amdhsa_accum_offset 4
		.amdhsa_reserve_vcc 0
		.amdhsa_reserve_flat_scratch 0
		.amdhsa_float_round_mode_32 0
		.amdhsa_float_round_mode_16_64 0
		.amdhsa_float_denorm_mode_32 3
		.amdhsa_float_denorm_mode_16_64 3
		.amdhsa_dx10_clamp 1
		.amdhsa_ieee_mode 1
		.amdhsa_fp16_overflow 0
		.amdhsa_tg_split 0
		.amdhsa_exception_fp_ieee_invalid_op 0
		.amdhsa_exception_fp_denorm_src 0
		.amdhsa_exception_fp_ieee_div_zero 0
		.amdhsa_exception_fp_ieee_overflow 0
		.amdhsa_exception_fp_ieee_underflow 0
		.amdhsa_exception_fp_ieee_inexact 0
		.amdhsa_exception_int_div_zero 0
	.end_amdhsa_kernel
	.section	.text._ZN7rocprim17ROCPRIM_400000_NS6detail17trampoline_kernelINS0_14default_configENS1_35radix_sort_onesweep_config_selectorImNS0_10empty_typeEEEZZNS1_29radix_sort_onesweep_iterationIS3_Lb0EPmS8_PS5_S9_mNS0_19identity_decomposerENS1_16block_id_wrapperIjLb1EEEEE10hipError_tT1_PNSt15iterator_traitsISE_E10value_typeET2_T3_PNSF_ISK_E10value_typeET4_T5_PSP_SQ_PNS1_23onesweep_lookback_stateEbbT6_jjT7_P12ihipStream_tbENKUlT_T0_SE_SJ_E_clIS8_S8_S9_S9_EEDaSX_SY_SE_SJ_EUlSX_E_NS1_11comp_targetILNS1_3genE3ELNS1_11target_archE908ELNS1_3gpuE7ELNS1_3repE0EEENS1_47radix_sort_onesweep_sort_config_static_selectorELNS0_4arch9wavefront6targetE1EEEvSE_,"axG",@progbits,_ZN7rocprim17ROCPRIM_400000_NS6detail17trampoline_kernelINS0_14default_configENS1_35radix_sort_onesweep_config_selectorImNS0_10empty_typeEEEZZNS1_29radix_sort_onesweep_iterationIS3_Lb0EPmS8_PS5_S9_mNS0_19identity_decomposerENS1_16block_id_wrapperIjLb1EEEEE10hipError_tT1_PNSt15iterator_traitsISE_E10value_typeET2_T3_PNSF_ISK_E10value_typeET4_T5_PSP_SQ_PNS1_23onesweep_lookback_stateEbbT6_jjT7_P12ihipStream_tbENKUlT_T0_SE_SJ_E_clIS8_S8_S9_S9_EEDaSX_SY_SE_SJ_EUlSX_E_NS1_11comp_targetILNS1_3genE3ELNS1_11target_archE908ELNS1_3gpuE7ELNS1_3repE0EEENS1_47radix_sort_onesweep_sort_config_static_selectorELNS0_4arch9wavefront6targetE1EEEvSE_,comdat
.Lfunc_end985:
	.size	_ZN7rocprim17ROCPRIM_400000_NS6detail17trampoline_kernelINS0_14default_configENS1_35radix_sort_onesweep_config_selectorImNS0_10empty_typeEEEZZNS1_29radix_sort_onesweep_iterationIS3_Lb0EPmS8_PS5_S9_mNS0_19identity_decomposerENS1_16block_id_wrapperIjLb1EEEEE10hipError_tT1_PNSt15iterator_traitsISE_E10value_typeET2_T3_PNSF_ISK_E10value_typeET4_T5_PSP_SQ_PNS1_23onesweep_lookback_stateEbbT6_jjT7_P12ihipStream_tbENKUlT_T0_SE_SJ_E_clIS8_S8_S9_S9_EEDaSX_SY_SE_SJ_EUlSX_E_NS1_11comp_targetILNS1_3genE3ELNS1_11target_archE908ELNS1_3gpuE7ELNS1_3repE0EEENS1_47radix_sort_onesweep_sort_config_static_selectorELNS0_4arch9wavefront6targetE1EEEvSE_, .Lfunc_end985-_ZN7rocprim17ROCPRIM_400000_NS6detail17trampoline_kernelINS0_14default_configENS1_35radix_sort_onesweep_config_selectorImNS0_10empty_typeEEEZZNS1_29radix_sort_onesweep_iterationIS3_Lb0EPmS8_PS5_S9_mNS0_19identity_decomposerENS1_16block_id_wrapperIjLb1EEEEE10hipError_tT1_PNSt15iterator_traitsISE_E10value_typeET2_T3_PNSF_ISK_E10value_typeET4_T5_PSP_SQ_PNS1_23onesweep_lookback_stateEbbT6_jjT7_P12ihipStream_tbENKUlT_T0_SE_SJ_E_clIS8_S8_S9_S9_EEDaSX_SY_SE_SJ_EUlSX_E_NS1_11comp_targetILNS1_3genE3ELNS1_11target_archE908ELNS1_3gpuE7ELNS1_3repE0EEENS1_47radix_sort_onesweep_sort_config_static_selectorELNS0_4arch9wavefront6targetE1EEEvSE_
                                        ; -- End function
	.section	.AMDGPU.csdata,"",@progbits
; Kernel info:
; codeLenInByte = 0
; NumSgprs: 4
; NumVgprs: 0
; NumAgprs: 0
; TotalNumVgprs: 0
; ScratchSize: 0
; MemoryBound: 0
; FloatMode: 240
; IeeeMode: 1
; LDSByteSize: 0 bytes/workgroup (compile time only)
; SGPRBlocks: 0
; VGPRBlocks: 0
; NumSGPRsForWavesPerEU: 4
; NumVGPRsForWavesPerEU: 1
; AccumOffset: 4
; Occupancy: 8
; WaveLimiterHint : 0
; COMPUTE_PGM_RSRC2:SCRATCH_EN: 0
; COMPUTE_PGM_RSRC2:USER_SGPR: 6
; COMPUTE_PGM_RSRC2:TRAP_HANDLER: 0
; COMPUTE_PGM_RSRC2:TGID_X_EN: 1
; COMPUTE_PGM_RSRC2:TGID_Y_EN: 0
; COMPUTE_PGM_RSRC2:TGID_Z_EN: 0
; COMPUTE_PGM_RSRC2:TIDIG_COMP_CNT: 0
; COMPUTE_PGM_RSRC3_GFX90A:ACCUM_OFFSET: 0
; COMPUTE_PGM_RSRC3_GFX90A:TG_SPLIT: 0
	.section	.text._ZN7rocprim17ROCPRIM_400000_NS6detail17trampoline_kernelINS0_14default_configENS1_35radix_sort_onesweep_config_selectorImNS0_10empty_typeEEEZZNS1_29radix_sort_onesweep_iterationIS3_Lb0EPmS8_PS5_S9_mNS0_19identity_decomposerENS1_16block_id_wrapperIjLb1EEEEE10hipError_tT1_PNSt15iterator_traitsISE_E10value_typeET2_T3_PNSF_ISK_E10value_typeET4_T5_PSP_SQ_PNS1_23onesweep_lookback_stateEbbT6_jjT7_P12ihipStream_tbENKUlT_T0_SE_SJ_E_clIS8_S8_S9_S9_EEDaSX_SY_SE_SJ_EUlSX_E_NS1_11comp_targetILNS1_3genE10ELNS1_11target_archE1201ELNS1_3gpuE5ELNS1_3repE0EEENS1_47radix_sort_onesweep_sort_config_static_selectorELNS0_4arch9wavefront6targetE1EEEvSE_,"axG",@progbits,_ZN7rocprim17ROCPRIM_400000_NS6detail17trampoline_kernelINS0_14default_configENS1_35radix_sort_onesweep_config_selectorImNS0_10empty_typeEEEZZNS1_29radix_sort_onesweep_iterationIS3_Lb0EPmS8_PS5_S9_mNS0_19identity_decomposerENS1_16block_id_wrapperIjLb1EEEEE10hipError_tT1_PNSt15iterator_traitsISE_E10value_typeET2_T3_PNSF_ISK_E10value_typeET4_T5_PSP_SQ_PNS1_23onesweep_lookback_stateEbbT6_jjT7_P12ihipStream_tbENKUlT_T0_SE_SJ_E_clIS8_S8_S9_S9_EEDaSX_SY_SE_SJ_EUlSX_E_NS1_11comp_targetILNS1_3genE10ELNS1_11target_archE1201ELNS1_3gpuE5ELNS1_3repE0EEENS1_47radix_sort_onesweep_sort_config_static_selectorELNS0_4arch9wavefront6targetE1EEEvSE_,comdat
	.protected	_ZN7rocprim17ROCPRIM_400000_NS6detail17trampoline_kernelINS0_14default_configENS1_35radix_sort_onesweep_config_selectorImNS0_10empty_typeEEEZZNS1_29radix_sort_onesweep_iterationIS3_Lb0EPmS8_PS5_S9_mNS0_19identity_decomposerENS1_16block_id_wrapperIjLb1EEEEE10hipError_tT1_PNSt15iterator_traitsISE_E10value_typeET2_T3_PNSF_ISK_E10value_typeET4_T5_PSP_SQ_PNS1_23onesweep_lookback_stateEbbT6_jjT7_P12ihipStream_tbENKUlT_T0_SE_SJ_E_clIS8_S8_S9_S9_EEDaSX_SY_SE_SJ_EUlSX_E_NS1_11comp_targetILNS1_3genE10ELNS1_11target_archE1201ELNS1_3gpuE5ELNS1_3repE0EEENS1_47radix_sort_onesweep_sort_config_static_selectorELNS0_4arch9wavefront6targetE1EEEvSE_ ; -- Begin function _ZN7rocprim17ROCPRIM_400000_NS6detail17trampoline_kernelINS0_14default_configENS1_35radix_sort_onesweep_config_selectorImNS0_10empty_typeEEEZZNS1_29radix_sort_onesweep_iterationIS3_Lb0EPmS8_PS5_S9_mNS0_19identity_decomposerENS1_16block_id_wrapperIjLb1EEEEE10hipError_tT1_PNSt15iterator_traitsISE_E10value_typeET2_T3_PNSF_ISK_E10value_typeET4_T5_PSP_SQ_PNS1_23onesweep_lookback_stateEbbT6_jjT7_P12ihipStream_tbENKUlT_T0_SE_SJ_E_clIS8_S8_S9_S9_EEDaSX_SY_SE_SJ_EUlSX_E_NS1_11comp_targetILNS1_3genE10ELNS1_11target_archE1201ELNS1_3gpuE5ELNS1_3repE0EEENS1_47radix_sort_onesweep_sort_config_static_selectorELNS0_4arch9wavefront6targetE1EEEvSE_
	.globl	_ZN7rocprim17ROCPRIM_400000_NS6detail17trampoline_kernelINS0_14default_configENS1_35radix_sort_onesweep_config_selectorImNS0_10empty_typeEEEZZNS1_29radix_sort_onesweep_iterationIS3_Lb0EPmS8_PS5_S9_mNS0_19identity_decomposerENS1_16block_id_wrapperIjLb1EEEEE10hipError_tT1_PNSt15iterator_traitsISE_E10value_typeET2_T3_PNSF_ISK_E10value_typeET4_T5_PSP_SQ_PNS1_23onesweep_lookback_stateEbbT6_jjT7_P12ihipStream_tbENKUlT_T0_SE_SJ_E_clIS8_S8_S9_S9_EEDaSX_SY_SE_SJ_EUlSX_E_NS1_11comp_targetILNS1_3genE10ELNS1_11target_archE1201ELNS1_3gpuE5ELNS1_3repE0EEENS1_47radix_sort_onesweep_sort_config_static_selectorELNS0_4arch9wavefront6targetE1EEEvSE_
	.p2align	8
	.type	_ZN7rocprim17ROCPRIM_400000_NS6detail17trampoline_kernelINS0_14default_configENS1_35radix_sort_onesweep_config_selectorImNS0_10empty_typeEEEZZNS1_29radix_sort_onesweep_iterationIS3_Lb0EPmS8_PS5_S9_mNS0_19identity_decomposerENS1_16block_id_wrapperIjLb1EEEEE10hipError_tT1_PNSt15iterator_traitsISE_E10value_typeET2_T3_PNSF_ISK_E10value_typeET4_T5_PSP_SQ_PNS1_23onesweep_lookback_stateEbbT6_jjT7_P12ihipStream_tbENKUlT_T0_SE_SJ_E_clIS8_S8_S9_S9_EEDaSX_SY_SE_SJ_EUlSX_E_NS1_11comp_targetILNS1_3genE10ELNS1_11target_archE1201ELNS1_3gpuE5ELNS1_3repE0EEENS1_47radix_sort_onesweep_sort_config_static_selectorELNS0_4arch9wavefront6targetE1EEEvSE_,@function
_ZN7rocprim17ROCPRIM_400000_NS6detail17trampoline_kernelINS0_14default_configENS1_35radix_sort_onesweep_config_selectorImNS0_10empty_typeEEEZZNS1_29radix_sort_onesweep_iterationIS3_Lb0EPmS8_PS5_S9_mNS0_19identity_decomposerENS1_16block_id_wrapperIjLb1EEEEE10hipError_tT1_PNSt15iterator_traitsISE_E10value_typeET2_T3_PNSF_ISK_E10value_typeET4_T5_PSP_SQ_PNS1_23onesweep_lookback_stateEbbT6_jjT7_P12ihipStream_tbENKUlT_T0_SE_SJ_E_clIS8_S8_S9_S9_EEDaSX_SY_SE_SJ_EUlSX_E_NS1_11comp_targetILNS1_3genE10ELNS1_11target_archE1201ELNS1_3gpuE5ELNS1_3repE0EEENS1_47radix_sort_onesweep_sort_config_static_selectorELNS0_4arch9wavefront6targetE1EEEvSE_: ; @_ZN7rocprim17ROCPRIM_400000_NS6detail17trampoline_kernelINS0_14default_configENS1_35radix_sort_onesweep_config_selectorImNS0_10empty_typeEEEZZNS1_29radix_sort_onesweep_iterationIS3_Lb0EPmS8_PS5_S9_mNS0_19identity_decomposerENS1_16block_id_wrapperIjLb1EEEEE10hipError_tT1_PNSt15iterator_traitsISE_E10value_typeET2_T3_PNSF_ISK_E10value_typeET4_T5_PSP_SQ_PNS1_23onesweep_lookback_stateEbbT6_jjT7_P12ihipStream_tbENKUlT_T0_SE_SJ_E_clIS8_S8_S9_S9_EEDaSX_SY_SE_SJ_EUlSX_E_NS1_11comp_targetILNS1_3genE10ELNS1_11target_archE1201ELNS1_3gpuE5ELNS1_3repE0EEENS1_47radix_sort_onesweep_sort_config_static_selectorELNS0_4arch9wavefront6targetE1EEEvSE_
; %bb.0:
	.section	.rodata,"a",@progbits
	.p2align	6, 0x0
	.amdhsa_kernel _ZN7rocprim17ROCPRIM_400000_NS6detail17trampoline_kernelINS0_14default_configENS1_35radix_sort_onesweep_config_selectorImNS0_10empty_typeEEEZZNS1_29radix_sort_onesweep_iterationIS3_Lb0EPmS8_PS5_S9_mNS0_19identity_decomposerENS1_16block_id_wrapperIjLb1EEEEE10hipError_tT1_PNSt15iterator_traitsISE_E10value_typeET2_T3_PNSF_ISK_E10value_typeET4_T5_PSP_SQ_PNS1_23onesweep_lookback_stateEbbT6_jjT7_P12ihipStream_tbENKUlT_T0_SE_SJ_E_clIS8_S8_S9_S9_EEDaSX_SY_SE_SJ_EUlSX_E_NS1_11comp_targetILNS1_3genE10ELNS1_11target_archE1201ELNS1_3gpuE5ELNS1_3repE0EEENS1_47radix_sort_onesweep_sort_config_static_selectorELNS0_4arch9wavefront6targetE1EEEvSE_
		.amdhsa_group_segment_fixed_size 0
		.amdhsa_private_segment_fixed_size 0
		.amdhsa_kernarg_size 88
		.amdhsa_user_sgpr_count 6
		.amdhsa_user_sgpr_private_segment_buffer 1
		.amdhsa_user_sgpr_dispatch_ptr 0
		.amdhsa_user_sgpr_queue_ptr 0
		.amdhsa_user_sgpr_kernarg_segment_ptr 1
		.amdhsa_user_sgpr_dispatch_id 0
		.amdhsa_user_sgpr_flat_scratch_init 0
		.amdhsa_user_sgpr_kernarg_preload_length 0
		.amdhsa_user_sgpr_kernarg_preload_offset 0
		.amdhsa_user_sgpr_private_segment_size 0
		.amdhsa_uses_dynamic_stack 0
		.amdhsa_system_sgpr_private_segment_wavefront_offset 0
		.amdhsa_system_sgpr_workgroup_id_x 1
		.amdhsa_system_sgpr_workgroup_id_y 0
		.amdhsa_system_sgpr_workgroup_id_z 0
		.amdhsa_system_sgpr_workgroup_info 0
		.amdhsa_system_vgpr_workitem_id 0
		.amdhsa_next_free_vgpr 1
		.amdhsa_next_free_sgpr 0
		.amdhsa_accum_offset 4
		.amdhsa_reserve_vcc 0
		.amdhsa_reserve_flat_scratch 0
		.amdhsa_float_round_mode_32 0
		.amdhsa_float_round_mode_16_64 0
		.amdhsa_float_denorm_mode_32 3
		.amdhsa_float_denorm_mode_16_64 3
		.amdhsa_dx10_clamp 1
		.amdhsa_ieee_mode 1
		.amdhsa_fp16_overflow 0
		.amdhsa_tg_split 0
		.amdhsa_exception_fp_ieee_invalid_op 0
		.amdhsa_exception_fp_denorm_src 0
		.amdhsa_exception_fp_ieee_div_zero 0
		.amdhsa_exception_fp_ieee_overflow 0
		.amdhsa_exception_fp_ieee_underflow 0
		.amdhsa_exception_fp_ieee_inexact 0
		.amdhsa_exception_int_div_zero 0
	.end_amdhsa_kernel
	.section	.text._ZN7rocprim17ROCPRIM_400000_NS6detail17trampoline_kernelINS0_14default_configENS1_35radix_sort_onesweep_config_selectorImNS0_10empty_typeEEEZZNS1_29radix_sort_onesweep_iterationIS3_Lb0EPmS8_PS5_S9_mNS0_19identity_decomposerENS1_16block_id_wrapperIjLb1EEEEE10hipError_tT1_PNSt15iterator_traitsISE_E10value_typeET2_T3_PNSF_ISK_E10value_typeET4_T5_PSP_SQ_PNS1_23onesweep_lookback_stateEbbT6_jjT7_P12ihipStream_tbENKUlT_T0_SE_SJ_E_clIS8_S8_S9_S9_EEDaSX_SY_SE_SJ_EUlSX_E_NS1_11comp_targetILNS1_3genE10ELNS1_11target_archE1201ELNS1_3gpuE5ELNS1_3repE0EEENS1_47radix_sort_onesweep_sort_config_static_selectorELNS0_4arch9wavefront6targetE1EEEvSE_,"axG",@progbits,_ZN7rocprim17ROCPRIM_400000_NS6detail17trampoline_kernelINS0_14default_configENS1_35radix_sort_onesweep_config_selectorImNS0_10empty_typeEEEZZNS1_29radix_sort_onesweep_iterationIS3_Lb0EPmS8_PS5_S9_mNS0_19identity_decomposerENS1_16block_id_wrapperIjLb1EEEEE10hipError_tT1_PNSt15iterator_traitsISE_E10value_typeET2_T3_PNSF_ISK_E10value_typeET4_T5_PSP_SQ_PNS1_23onesweep_lookback_stateEbbT6_jjT7_P12ihipStream_tbENKUlT_T0_SE_SJ_E_clIS8_S8_S9_S9_EEDaSX_SY_SE_SJ_EUlSX_E_NS1_11comp_targetILNS1_3genE10ELNS1_11target_archE1201ELNS1_3gpuE5ELNS1_3repE0EEENS1_47radix_sort_onesweep_sort_config_static_selectorELNS0_4arch9wavefront6targetE1EEEvSE_,comdat
.Lfunc_end986:
	.size	_ZN7rocprim17ROCPRIM_400000_NS6detail17trampoline_kernelINS0_14default_configENS1_35radix_sort_onesweep_config_selectorImNS0_10empty_typeEEEZZNS1_29radix_sort_onesweep_iterationIS3_Lb0EPmS8_PS5_S9_mNS0_19identity_decomposerENS1_16block_id_wrapperIjLb1EEEEE10hipError_tT1_PNSt15iterator_traitsISE_E10value_typeET2_T3_PNSF_ISK_E10value_typeET4_T5_PSP_SQ_PNS1_23onesweep_lookback_stateEbbT6_jjT7_P12ihipStream_tbENKUlT_T0_SE_SJ_E_clIS8_S8_S9_S9_EEDaSX_SY_SE_SJ_EUlSX_E_NS1_11comp_targetILNS1_3genE10ELNS1_11target_archE1201ELNS1_3gpuE5ELNS1_3repE0EEENS1_47radix_sort_onesweep_sort_config_static_selectorELNS0_4arch9wavefront6targetE1EEEvSE_, .Lfunc_end986-_ZN7rocprim17ROCPRIM_400000_NS6detail17trampoline_kernelINS0_14default_configENS1_35radix_sort_onesweep_config_selectorImNS0_10empty_typeEEEZZNS1_29radix_sort_onesweep_iterationIS3_Lb0EPmS8_PS5_S9_mNS0_19identity_decomposerENS1_16block_id_wrapperIjLb1EEEEE10hipError_tT1_PNSt15iterator_traitsISE_E10value_typeET2_T3_PNSF_ISK_E10value_typeET4_T5_PSP_SQ_PNS1_23onesweep_lookback_stateEbbT6_jjT7_P12ihipStream_tbENKUlT_T0_SE_SJ_E_clIS8_S8_S9_S9_EEDaSX_SY_SE_SJ_EUlSX_E_NS1_11comp_targetILNS1_3genE10ELNS1_11target_archE1201ELNS1_3gpuE5ELNS1_3repE0EEENS1_47radix_sort_onesweep_sort_config_static_selectorELNS0_4arch9wavefront6targetE1EEEvSE_
                                        ; -- End function
	.section	.AMDGPU.csdata,"",@progbits
; Kernel info:
; codeLenInByte = 0
; NumSgprs: 4
; NumVgprs: 0
; NumAgprs: 0
; TotalNumVgprs: 0
; ScratchSize: 0
; MemoryBound: 0
; FloatMode: 240
; IeeeMode: 1
; LDSByteSize: 0 bytes/workgroup (compile time only)
; SGPRBlocks: 0
; VGPRBlocks: 0
; NumSGPRsForWavesPerEU: 4
; NumVGPRsForWavesPerEU: 1
; AccumOffset: 4
; Occupancy: 8
; WaveLimiterHint : 0
; COMPUTE_PGM_RSRC2:SCRATCH_EN: 0
; COMPUTE_PGM_RSRC2:USER_SGPR: 6
; COMPUTE_PGM_RSRC2:TRAP_HANDLER: 0
; COMPUTE_PGM_RSRC2:TGID_X_EN: 1
; COMPUTE_PGM_RSRC2:TGID_Y_EN: 0
; COMPUTE_PGM_RSRC2:TGID_Z_EN: 0
; COMPUTE_PGM_RSRC2:TIDIG_COMP_CNT: 0
; COMPUTE_PGM_RSRC3_GFX90A:ACCUM_OFFSET: 0
; COMPUTE_PGM_RSRC3_GFX90A:TG_SPLIT: 0
	.section	.text._ZN7rocprim17ROCPRIM_400000_NS6detail17trampoline_kernelINS0_14default_configENS1_35radix_sort_onesweep_config_selectorImNS0_10empty_typeEEEZZNS1_29radix_sort_onesweep_iterationIS3_Lb0EPmS8_PS5_S9_mNS0_19identity_decomposerENS1_16block_id_wrapperIjLb1EEEEE10hipError_tT1_PNSt15iterator_traitsISE_E10value_typeET2_T3_PNSF_ISK_E10value_typeET4_T5_PSP_SQ_PNS1_23onesweep_lookback_stateEbbT6_jjT7_P12ihipStream_tbENKUlT_T0_SE_SJ_E_clIS8_S8_S9_S9_EEDaSX_SY_SE_SJ_EUlSX_E_NS1_11comp_targetILNS1_3genE9ELNS1_11target_archE1100ELNS1_3gpuE3ELNS1_3repE0EEENS1_47radix_sort_onesweep_sort_config_static_selectorELNS0_4arch9wavefront6targetE1EEEvSE_,"axG",@progbits,_ZN7rocprim17ROCPRIM_400000_NS6detail17trampoline_kernelINS0_14default_configENS1_35radix_sort_onesweep_config_selectorImNS0_10empty_typeEEEZZNS1_29radix_sort_onesweep_iterationIS3_Lb0EPmS8_PS5_S9_mNS0_19identity_decomposerENS1_16block_id_wrapperIjLb1EEEEE10hipError_tT1_PNSt15iterator_traitsISE_E10value_typeET2_T3_PNSF_ISK_E10value_typeET4_T5_PSP_SQ_PNS1_23onesweep_lookback_stateEbbT6_jjT7_P12ihipStream_tbENKUlT_T0_SE_SJ_E_clIS8_S8_S9_S9_EEDaSX_SY_SE_SJ_EUlSX_E_NS1_11comp_targetILNS1_3genE9ELNS1_11target_archE1100ELNS1_3gpuE3ELNS1_3repE0EEENS1_47radix_sort_onesweep_sort_config_static_selectorELNS0_4arch9wavefront6targetE1EEEvSE_,comdat
	.protected	_ZN7rocprim17ROCPRIM_400000_NS6detail17trampoline_kernelINS0_14default_configENS1_35radix_sort_onesweep_config_selectorImNS0_10empty_typeEEEZZNS1_29radix_sort_onesweep_iterationIS3_Lb0EPmS8_PS5_S9_mNS0_19identity_decomposerENS1_16block_id_wrapperIjLb1EEEEE10hipError_tT1_PNSt15iterator_traitsISE_E10value_typeET2_T3_PNSF_ISK_E10value_typeET4_T5_PSP_SQ_PNS1_23onesweep_lookback_stateEbbT6_jjT7_P12ihipStream_tbENKUlT_T0_SE_SJ_E_clIS8_S8_S9_S9_EEDaSX_SY_SE_SJ_EUlSX_E_NS1_11comp_targetILNS1_3genE9ELNS1_11target_archE1100ELNS1_3gpuE3ELNS1_3repE0EEENS1_47radix_sort_onesweep_sort_config_static_selectorELNS0_4arch9wavefront6targetE1EEEvSE_ ; -- Begin function _ZN7rocprim17ROCPRIM_400000_NS6detail17trampoline_kernelINS0_14default_configENS1_35radix_sort_onesweep_config_selectorImNS0_10empty_typeEEEZZNS1_29radix_sort_onesweep_iterationIS3_Lb0EPmS8_PS5_S9_mNS0_19identity_decomposerENS1_16block_id_wrapperIjLb1EEEEE10hipError_tT1_PNSt15iterator_traitsISE_E10value_typeET2_T3_PNSF_ISK_E10value_typeET4_T5_PSP_SQ_PNS1_23onesweep_lookback_stateEbbT6_jjT7_P12ihipStream_tbENKUlT_T0_SE_SJ_E_clIS8_S8_S9_S9_EEDaSX_SY_SE_SJ_EUlSX_E_NS1_11comp_targetILNS1_3genE9ELNS1_11target_archE1100ELNS1_3gpuE3ELNS1_3repE0EEENS1_47radix_sort_onesweep_sort_config_static_selectorELNS0_4arch9wavefront6targetE1EEEvSE_
	.globl	_ZN7rocprim17ROCPRIM_400000_NS6detail17trampoline_kernelINS0_14default_configENS1_35radix_sort_onesweep_config_selectorImNS0_10empty_typeEEEZZNS1_29radix_sort_onesweep_iterationIS3_Lb0EPmS8_PS5_S9_mNS0_19identity_decomposerENS1_16block_id_wrapperIjLb1EEEEE10hipError_tT1_PNSt15iterator_traitsISE_E10value_typeET2_T3_PNSF_ISK_E10value_typeET4_T5_PSP_SQ_PNS1_23onesweep_lookback_stateEbbT6_jjT7_P12ihipStream_tbENKUlT_T0_SE_SJ_E_clIS8_S8_S9_S9_EEDaSX_SY_SE_SJ_EUlSX_E_NS1_11comp_targetILNS1_3genE9ELNS1_11target_archE1100ELNS1_3gpuE3ELNS1_3repE0EEENS1_47radix_sort_onesweep_sort_config_static_selectorELNS0_4arch9wavefront6targetE1EEEvSE_
	.p2align	8
	.type	_ZN7rocprim17ROCPRIM_400000_NS6detail17trampoline_kernelINS0_14default_configENS1_35radix_sort_onesweep_config_selectorImNS0_10empty_typeEEEZZNS1_29radix_sort_onesweep_iterationIS3_Lb0EPmS8_PS5_S9_mNS0_19identity_decomposerENS1_16block_id_wrapperIjLb1EEEEE10hipError_tT1_PNSt15iterator_traitsISE_E10value_typeET2_T3_PNSF_ISK_E10value_typeET4_T5_PSP_SQ_PNS1_23onesweep_lookback_stateEbbT6_jjT7_P12ihipStream_tbENKUlT_T0_SE_SJ_E_clIS8_S8_S9_S9_EEDaSX_SY_SE_SJ_EUlSX_E_NS1_11comp_targetILNS1_3genE9ELNS1_11target_archE1100ELNS1_3gpuE3ELNS1_3repE0EEENS1_47radix_sort_onesweep_sort_config_static_selectorELNS0_4arch9wavefront6targetE1EEEvSE_,@function
_ZN7rocprim17ROCPRIM_400000_NS6detail17trampoline_kernelINS0_14default_configENS1_35radix_sort_onesweep_config_selectorImNS0_10empty_typeEEEZZNS1_29radix_sort_onesweep_iterationIS3_Lb0EPmS8_PS5_S9_mNS0_19identity_decomposerENS1_16block_id_wrapperIjLb1EEEEE10hipError_tT1_PNSt15iterator_traitsISE_E10value_typeET2_T3_PNSF_ISK_E10value_typeET4_T5_PSP_SQ_PNS1_23onesweep_lookback_stateEbbT6_jjT7_P12ihipStream_tbENKUlT_T0_SE_SJ_E_clIS8_S8_S9_S9_EEDaSX_SY_SE_SJ_EUlSX_E_NS1_11comp_targetILNS1_3genE9ELNS1_11target_archE1100ELNS1_3gpuE3ELNS1_3repE0EEENS1_47radix_sort_onesweep_sort_config_static_selectorELNS0_4arch9wavefront6targetE1EEEvSE_: ; @_ZN7rocprim17ROCPRIM_400000_NS6detail17trampoline_kernelINS0_14default_configENS1_35radix_sort_onesweep_config_selectorImNS0_10empty_typeEEEZZNS1_29radix_sort_onesweep_iterationIS3_Lb0EPmS8_PS5_S9_mNS0_19identity_decomposerENS1_16block_id_wrapperIjLb1EEEEE10hipError_tT1_PNSt15iterator_traitsISE_E10value_typeET2_T3_PNSF_ISK_E10value_typeET4_T5_PSP_SQ_PNS1_23onesweep_lookback_stateEbbT6_jjT7_P12ihipStream_tbENKUlT_T0_SE_SJ_E_clIS8_S8_S9_S9_EEDaSX_SY_SE_SJ_EUlSX_E_NS1_11comp_targetILNS1_3genE9ELNS1_11target_archE1100ELNS1_3gpuE3ELNS1_3repE0EEENS1_47radix_sort_onesweep_sort_config_static_selectorELNS0_4arch9wavefront6targetE1EEEvSE_
; %bb.0:
	.section	.rodata,"a",@progbits
	.p2align	6, 0x0
	.amdhsa_kernel _ZN7rocprim17ROCPRIM_400000_NS6detail17trampoline_kernelINS0_14default_configENS1_35radix_sort_onesweep_config_selectorImNS0_10empty_typeEEEZZNS1_29radix_sort_onesweep_iterationIS3_Lb0EPmS8_PS5_S9_mNS0_19identity_decomposerENS1_16block_id_wrapperIjLb1EEEEE10hipError_tT1_PNSt15iterator_traitsISE_E10value_typeET2_T3_PNSF_ISK_E10value_typeET4_T5_PSP_SQ_PNS1_23onesweep_lookback_stateEbbT6_jjT7_P12ihipStream_tbENKUlT_T0_SE_SJ_E_clIS8_S8_S9_S9_EEDaSX_SY_SE_SJ_EUlSX_E_NS1_11comp_targetILNS1_3genE9ELNS1_11target_archE1100ELNS1_3gpuE3ELNS1_3repE0EEENS1_47radix_sort_onesweep_sort_config_static_selectorELNS0_4arch9wavefront6targetE1EEEvSE_
		.amdhsa_group_segment_fixed_size 0
		.amdhsa_private_segment_fixed_size 0
		.amdhsa_kernarg_size 88
		.amdhsa_user_sgpr_count 6
		.amdhsa_user_sgpr_private_segment_buffer 1
		.amdhsa_user_sgpr_dispatch_ptr 0
		.amdhsa_user_sgpr_queue_ptr 0
		.amdhsa_user_sgpr_kernarg_segment_ptr 1
		.amdhsa_user_sgpr_dispatch_id 0
		.amdhsa_user_sgpr_flat_scratch_init 0
		.amdhsa_user_sgpr_kernarg_preload_length 0
		.amdhsa_user_sgpr_kernarg_preload_offset 0
		.amdhsa_user_sgpr_private_segment_size 0
		.amdhsa_uses_dynamic_stack 0
		.amdhsa_system_sgpr_private_segment_wavefront_offset 0
		.amdhsa_system_sgpr_workgroup_id_x 1
		.amdhsa_system_sgpr_workgroup_id_y 0
		.amdhsa_system_sgpr_workgroup_id_z 0
		.amdhsa_system_sgpr_workgroup_info 0
		.amdhsa_system_vgpr_workitem_id 0
		.amdhsa_next_free_vgpr 1
		.amdhsa_next_free_sgpr 0
		.amdhsa_accum_offset 4
		.amdhsa_reserve_vcc 0
		.amdhsa_reserve_flat_scratch 0
		.amdhsa_float_round_mode_32 0
		.amdhsa_float_round_mode_16_64 0
		.amdhsa_float_denorm_mode_32 3
		.amdhsa_float_denorm_mode_16_64 3
		.amdhsa_dx10_clamp 1
		.amdhsa_ieee_mode 1
		.amdhsa_fp16_overflow 0
		.amdhsa_tg_split 0
		.amdhsa_exception_fp_ieee_invalid_op 0
		.amdhsa_exception_fp_denorm_src 0
		.amdhsa_exception_fp_ieee_div_zero 0
		.amdhsa_exception_fp_ieee_overflow 0
		.amdhsa_exception_fp_ieee_underflow 0
		.amdhsa_exception_fp_ieee_inexact 0
		.amdhsa_exception_int_div_zero 0
	.end_amdhsa_kernel
	.section	.text._ZN7rocprim17ROCPRIM_400000_NS6detail17trampoline_kernelINS0_14default_configENS1_35radix_sort_onesweep_config_selectorImNS0_10empty_typeEEEZZNS1_29radix_sort_onesweep_iterationIS3_Lb0EPmS8_PS5_S9_mNS0_19identity_decomposerENS1_16block_id_wrapperIjLb1EEEEE10hipError_tT1_PNSt15iterator_traitsISE_E10value_typeET2_T3_PNSF_ISK_E10value_typeET4_T5_PSP_SQ_PNS1_23onesweep_lookback_stateEbbT6_jjT7_P12ihipStream_tbENKUlT_T0_SE_SJ_E_clIS8_S8_S9_S9_EEDaSX_SY_SE_SJ_EUlSX_E_NS1_11comp_targetILNS1_3genE9ELNS1_11target_archE1100ELNS1_3gpuE3ELNS1_3repE0EEENS1_47radix_sort_onesweep_sort_config_static_selectorELNS0_4arch9wavefront6targetE1EEEvSE_,"axG",@progbits,_ZN7rocprim17ROCPRIM_400000_NS6detail17trampoline_kernelINS0_14default_configENS1_35radix_sort_onesweep_config_selectorImNS0_10empty_typeEEEZZNS1_29radix_sort_onesweep_iterationIS3_Lb0EPmS8_PS5_S9_mNS0_19identity_decomposerENS1_16block_id_wrapperIjLb1EEEEE10hipError_tT1_PNSt15iterator_traitsISE_E10value_typeET2_T3_PNSF_ISK_E10value_typeET4_T5_PSP_SQ_PNS1_23onesweep_lookback_stateEbbT6_jjT7_P12ihipStream_tbENKUlT_T0_SE_SJ_E_clIS8_S8_S9_S9_EEDaSX_SY_SE_SJ_EUlSX_E_NS1_11comp_targetILNS1_3genE9ELNS1_11target_archE1100ELNS1_3gpuE3ELNS1_3repE0EEENS1_47radix_sort_onesweep_sort_config_static_selectorELNS0_4arch9wavefront6targetE1EEEvSE_,comdat
.Lfunc_end987:
	.size	_ZN7rocprim17ROCPRIM_400000_NS6detail17trampoline_kernelINS0_14default_configENS1_35radix_sort_onesweep_config_selectorImNS0_10empty_typeEEEZZNS1_29radix_sort_onesweep_iterationIS3_Lb0EPmS8_PS5_S9_mNS0_19identity_decomposerENS1_16block_id_wrapperIjLb1EEEEE10hipError_tT1_PNSt15iterator_traitsISE_E10value_typeET2_T3_PNSF_ISK_E10value_typeET4_T5_PSP_SQ_PNS1_23onesweep_lookback_stateEbbT6_jjT7_P12ihipStream_tbENKUlT_T0_SE_SJ_E_clIS8_S8_S9_S9_EEDaSX_SY_SE_SJ_EUlSX_E_NS1_11comp_targetILNS1_3genE9ELNS1_11target_archE1100ELNS1_3gpuE3ELNS1_3repE0EEENS1_47radix_sort_onesweep_sort_config_static_selectorELNS0_4arch9wavefront6targetE1EEEvSE_, .Lfunc_end987-_ZN7rocprim17ROCPRIM_400000_NS6detail17trampoline_kernelINS0_14default_configENS1_35radix_sort_onesweep_config_selectorImNS0_10empty_typeEEEZZNS1_29radix_sort_onesweep_iterationIS3_Lb0EPmS8_PS5_S9_mNS0_19identity_decomposerENS1_16block_id_wrapperIjLb1EEEEE10hipError_tT1_PNSt15iterator_traitsISE_E10value_typeET2_T3_PNSF_ISK_E10value_typeET4_T5_PSP_SQ_PNS1_23onesweep_lookback_stateEbbT6_jjT7_P12ihipStream_tbENKUlT_T0_SE_SJ_E_clIS8_S8_S9_S9_EEDaSX_SY_SE_SJ_EUlSX_E_NS1_11comp_targetILNS1_3genE9ELNS1_11target_archE1100ELNS1_3gpuE3ELNS1_3repE0EEENS1_47radix_sort_onesweep_sort_config_static_selectorELNS0_4arch9wavefront6targetE1EEEvSE_
                                        ; -- End function
	.section	.AMDGPU.csdata,"",@progbits
; Kernel info:
; codeLenInByte = 0
; NumSgprs: 4
; NumVgprs: 0
; NumAgprs: 0
; TotalNumVgprs: 0
; ScratchSize: 0
; MemoryBound: 0
; FloatMode: 240
; IeeeMode: 1
; LDSByteSize: 0 bytes/workgroup (compile time only)
; SGPRBlocks: 0
; VGPRBlocks: 0
; NumSGPRsForWavesPerEU: 4
; NumVGPRsForWavesPerEU: 1
; AccumOffset: 4
; Occupancy: 8
; WaveLimiterHint : 0
; COMPUTE_PGM_RSRC2:SCRATCH_EN: 0
; COMPUTE_PGM_RSRC2:USER_SGPR: 6
; COMPUTE_PGM_RSRC2:TRAP_HANDLER: 0
; COMPUTE_PGM_RSRC2:TGID_X_EN: 1
; COMPUTE_PGM_RSRC2:TGID_Y_EN: 0
; COMPUTE_PGM_RSRC2:TGID_Z_EN: 0
; COMPUTE_PGM_RSRC2:TIDIG_COMP_CNT: 0
; COMPUTE_PGM_RSRC3_GFX90A:ACCUM_OFFSET: 0
; COMPUTE_PGM_RSRC3_GFX90A:TG_SPLIT: 0
	.section	.text._ZN7rocprim17ROCPRIM_400000_NS6detail17trampoline_kernelINS0_14default_configENS1_35radix_sort_onesweep_config_selectorImNS0_10empty_typeEEEZZNS1_29radix_sort_onesweep_iterationIS3_Lb0EPmS8_PS5_S9_mNS0_19identity_decomposerENS1_16block_id_wrapperIjLb1EEEEE10hipError_tT1_PNSt15iterator_traitsISE_E10value_typeET2_T3_PNSF_ISK_E10value_typeET4_T5_PSP_SQ_PNS1_23onesweep_lookback_stateEbbT6_jjT7_P12ihipStream_tbENKUlT_T0_SE_SJ_E_clIS8_S8_S9_S9_EEDaSX_SY_SE_SJ_EUlSX_E_NS1_11comp_targetILNS1_3genE8ELNS1_11target_archE1030ELNS1_3gpuE2ELNS1_3repE0EEENS1_47radix_sort_onesweep_sort_config_static_selectorELNS0_4arch9wavefront6targetE1EEEvSE_,"axG",@progbits,_ZN7rocprim17ROCPRIM_400000_NS6detail17trampoline_kernelINS0_14default_configENS1_35radix_sort_onesweep_config_selectorImNS0_10empty_typeEEEZZNS1_29radix_sort_onesweep_iterationIS3_Lb0EPmS8_PS5_S9_mNS0_19identity_decomposerENS1_16block_id_wrapperIjLb1EEEEE10hipError_tT1_PNSt15iterator_traitsISE_E10value_typeET2_T3_PNSF_ISK_E10value_typeET4_T5_PSP_SQ_PNS1_23onesweep_lookback_stateEbbT6_jjT7_P12ihipStream_tbENKUlT_T0_SE_SJ_E_clIS8_S8_S9_S9_EEDaSX_SY_SE_SJ_EUlSX_E_NS1_11comp_targetILNS1_3genE8ELNS1_11target_archE1030ELNS1_3gpuE2ELNS1_3repE0EEENS1_47radix_sort_onesweep_sort_config_static_selectorELNS0_4arch9wavefront6targetE1EEEvSE_,comdat
	.protected	_ZN7rocprim17ROCPRIM_400000_NS6detail17trampoline_kernelINS0_14default_configENS1_35radix_sort_onesweep_config_selectorImNS0_10empty_typeEEEZZNS1_29radix_sort_onesweep_iterationIS3_Lb0EPmS8_PS5_S9_mNS0_19identity_decomposerENS1_16block_id_wrapperIjLb1EEEEE10hipError_tT1_PNSt15iterator_traitsISE_E10value_typeET2_T3_PNSF_ISK_E10value_typeET4_T5_PSP_SQ_PNS1_23onesweep_lookback_stateEbbT6_jjT7_P12ihipStream_tbENKUlT_T0_SE_SJ_E_clIS8_S8_S9_S9_EEDaSX_SY_SE_SJ_EUlSX_E_NS1_11comp_targetILNS1_3genE8ELNS1_11target_archE1030ELNS1_3gpuE2ELNS1_3repE0EEENS1_47radix_sort_onesweep_sort_config_static_selectorELNS0_4arch9wavefront6targetE1EEEvSE_ ; -- Begin function _ZN7rocprim17ROCPRIM_400000_NS6detail17trampoline_kernelINS0_14default_configENS1_35radix_sort_onesweep_config_selectorImNS0_10empty_typeEEEZZNS1_29radix_sort_onesweep_iterationIS3_Lb0EPmS8_PS5_S9_mNS0_19identity_decomposerENS1_16block_id_wrapperIjLb1EEEEE10hipError_tT1_PNSt15iterator_traitsISE_E10value_typeET2_T3_PNSF_ISK_E10value_typeET4_T5_PSP_SQ_PNS1_23onesweep_lookback_stateEbbT6_jjT7_P12ihipStream_tbENKUlT_T0_SE_SJ_E_clIS8_S8_S9_S9_EEDaSX_SY_SE_SJ_EUlSX_E_NS1_11comp_targetILNS1_3genE8ELNS1_11target_archE1030ELNS1_3gpuE2ELNS1_3repE0EEENS1_47radix_sort_onesweep_sort_config_static_selectorELNS0_4arch9wavefront6targetE1EEEvSE_
	.globl	_ZN7rocprim17ROCPRIM_400000_NS6detail17trampoline_kernelINS0_14default_configENS1_35radix_sort_onesweep_config_selectorImNS0_10empty_typeEEEZZNS1_29radix_sort_onesweep_iterationIS3_Lb0EPmS8_PS5_S9_mNS0_19identity_decomposerENS1_16block_id_wrapperIjLb1EEEEE10hipError_tT1_PNSt15iterator_traitsISE_E10value_typeET2_T3_PNSF_ISK_E10value_typeET4_T5_PSP_SQ_PNS1_23onesweep_lookback_stateEbbT6_jjT7_P12ihipStream_tbENKUlT_T0_SE_SJ_E_clIS8_S8_S9_S9_EEDaSX_SY_SE_SJ_EUlSX_E_NS1_11comp_targetILNS1_3genE8ELNS1_11target_archE1030ELNS1_3gpuE2ELNS1_3repE0EEENS1_47radix_sort_onesweep_sort_config_static_selectorELNS0_4arch9wavefront6targetE1EEEvSE_
	.p2align	8
	.type	_ZN7rocprim17ROCPRIM_400000_NS6detail17trampoline_kernelINS0_14default_configENS1_35radix_sort_onesweep_config_selectorImNS0_10empty_typeEEEZZNS1_29radix_sort_onesweep_iterationIS3_Lb0EPmS8_PS5_S9_mNS0_19identity_decomposerENS1_16block_id_wrapperIjLb1EEEEE10hipError_tT1_PNSt15iterator_traitsISE_E10value_typeET2_T3_PNSF_ISK_E10value_typeET4_T5_PSP_SQ_PNS1_23onesweep_lookback_stateEbbT6_jjT7_P12ihipStream_tbENKUlT_T0_SE_SJ_E_clIS8_S8_S9_S9_EEDaSX_SY_SE_SJ_EUlSX_E_NS1_11comp_targetILNS1_3genE8ELNS1_11target_archE1030ELNS1_3gpuE2ELNS1_3repE0EEENS1_47radix_sort_onesweep_sort_config_static_selectorELNS0_4arch9wavefront6targetE1EEEvSE_,@function
_ZN7rocprim17ROCPRIM_400000_NS6detail17trampoline_kernelINS0_14default_configENS1_35radix_sort_onesweep_config_selectorImNS0_10empty_typeEEEZZNS1_29radix_sort_onesweep_iterationIS3_Lb0EPmS8_PS5_S9_mNS0_19identity_decomposerENS1_16block_id_wrapperIjLb1EEEEE10hipError_tT1_PNSt15iterator_traitsISE_E10value_typeET2_T3_PNSF_ISK_E10value_typeET4_T5_PSP_SQ_PNS1_23onesweep_lookback_stateEbbT6_jjT7_P12ihipStream_tbENKUlT_T0_SE_SJ_E_clIS8_S8_S9_S9_EEDaSX_SY_SE_SJ_EUlSX_E_NS1_11comp_targetILNS1_3genE8ELNS1_11target_archE1030ELNS1_3gpuE2ELNS1_3repE0EEENS1_47radix_sort_onesweep_sort_config_static_selectorELNS0_4arch9wavefront6targetE1EEEvSE_: ; @_ZN7rocprim17ROCPRIM_400000_NS6detail17trampoline_kernelINS0_14default_configENS1_35radix_sort_onesweep_config_selectorImNS0_10empty_typeEEEZZNS1_29radix_sort_onesweep_iterationIS3_Lb0EPmS8_PS5_S9_mNS0_19identity_decomposerENS1_16block_id_wrapperIjLb1EEEEE10hipError_tT1_PNSt15iterator_traitsISE_E10value_typeET2_T3_PNSF_ISK_E10value_typeET4_T5_PSP_SQ_PNS1_23onesweep_lookback_stateEbbT6_jjT7_P12ihipStream_tbENKUlT_T0_SE_SJ_E_clIS8_S8_S9_S9_EEDaSX_SY_SE_SJ_EUlSX_E_NS1_11comp_targetILNS1_3genE8ELNS1_11target_archE1030ELNS1_3gpuE2ELNS1_3repE0EEENS1_47radix_sort_onesweep_sort_config_static_selectorELNS0_4arch9wavefront6targetE1EEEvSE_
; %bb.0:
	.section	.rodata,"a",@progbits
	.p2align	6, 0x0
	.amdhsa_kernel _ZN7rocprim17ROCPRIM_400000_NS6detail17trampoline_kernelINS0_14default_configENS1_35radix_sort_onesweep_config_selectorImNS0_10empty_typeEEEZZNS1_29radix_sort_onesweep_iterationIS3_Lb0EPmS8_PS5_S9_mNS0_19identity_decomposerENS1_16block_id_wrapperIjLb1EEEEE10hipError_tT1_PNSt15iterator_traitsISE_E10value_typeET2_T3_PNSF_ISK_E10value_typeET4_T5_PSP_SQ_PNS1_23onesweep_lookback_stateEbbT6_jjT7_P12ihipStream_tbENKUlT_T0_SE_SJ_E_clIS8_S8_S9_S9_EEDaSX_SY_SE_SJ_EUlSX_E_NS1_11comp_targetILNS1_3genE8ELNS1_11target_archE1030ELNS1_3gpuE2ELNS1_3repE0EEENS1_47radix_sort_onesweep_sort_config_static_selectorELNS0_4arch9wavefront6targetE1EEEvSE_
		.amdhsa_group_segment_fixed_size 0
		.amdhsa_private_segment_fixed_size 0
		.amdhsa_kernarg_size 88
		.amdhsa_user_sgpr_count 6
		.amdhsa_user_sgpr_private_segment_buffer 1
		.amdhsa_user_sgpr_dispatch_ptr 0
		.amdhsa_user_sgpr_queue_ptr 0
		.amdhsa_user_sgpr_kernarg_segment_ptr 1
		.amdhsa_user_sgpr_dispatch_id 0
		.amdhsa_user_sgpr_flat_scratch_init 0
		.amdhsa_user_sgpr_kernarg_preload_length 0
		.amdhsa_user_sgpr_kernarg_preload_offset 0
		.amdhsa_user_sgpr_private_segment_size 0
		.amdhsa_uses_dynamic_stack 0
		.amdhsa_system_sgpr_private_segment_wavefront_offset 0
		.amdhsa_system_sgpr_workgroup_id_x 1
		.amdhsa_system_sgpr_workgroup_id_y 0
		.amdhsa_system_sgpr_workgroup_id_z 0
		.amdhsa_system_sgpr_workgroup_info 0
		.amdhsa_system_vgpr_workitem_id 0
		.amdhsa_next_free_vgpr 1
		.amdhsa_next_free_sgpr 0
		.amdhsa_accum_offset 4
		.amdhsa_reserve_vcc 0
		.amdhsa_reserve_flat_scratch 0
		.amdhsa_float_round_mode_32 0
		.amdhsa_float_round_mode_16_64 0
		.amdhsa_float_denorm_mode_32 3
		.amdhsa_float_denorm_mode_16_64 3
		.amdhsa_dx10_clamp 1
		.amdhsa_ieee_mode 1
		.amdhsa_fp16_overflow 0
		.amdhsa_tg_split 0
		.amdhsa_exception_fp_ieee_invalid_op 0
		.amdhsa_exception_fp_denorm_src 0
		.amdhsa_exception_fp_ieee_div_zero 0
		.amdhsa_exception_fp_ieee_overflow 0
		.amdhsa_exception_fp_ieee_underflow 0
		.amdhsa_exception_fp_ieee_inexact 0
		.amdhsa_exception_int_div_zero 0
	.end_amdhsa_kernel
	.section	.text._ZN7rocprim17ROCPRIM_400000_NS6detail17trampoline_kernelINS0_14default_configENS1_35radix_sort_onesweep_config_selectorImNS0_10empty_typeEEEZZNS1_29radix_sort_onesweep_iterationIS3_Lb0EPmS8_PS5_S9_mNS0_19identity_decomposerENS1_16block_id_wrapperIjLb1EEEEE10hipError_tT1_PNSt15iterator_traitsISE_E10value_typeET2_T3_PNSF_ISK_E10value_typeET4_T5_PSP_SQ_PNS1_23onesweep_lookback_stateEbbT6_jjT7_P12ihipStream_tbENKUlT_T0_SE_SJ_E_clIS8_S8_S9_S9_EEDaSX_SY_SE_SJ_EUlSX_E_NS1_11comp_targetILNS1_3genE8ELNS1_11target_archE1030ELNS1_3gpuE2ELNS1_3repE0EEENS1_47radix_sort_onesweep_sort_config_static_selectorELNS0_4arch9wavefront6targetE1EEEvSE_,"axG",@progbits,_ZN7rocprim17ROCPRIM_400000_NS6detail17trampoline_kernelINS0_14default_configENS1_35radix_sort_onesweep_config_selectorImNS0_10empty_typeEEEZZNS1_29radix_sort_onesweep_iterationIS3_Lb0EPmS8_PS5_S9_mNS0_19identity_decomposerENS1_16block_id_wrapperIjLb1EEEEE10hipError_tT1_PNSt15iterator_traitsISE_E10value_typeET2_T3_PNSF_ISK_E10value_typeET4_T5_PSP_SQ_PNS1_23onesweep_lookback_stateEbbT6_jjT7_P12ihipStream_tbENKUlT_T0_SE_SJ_E_clIS8_S8_S9_S9_EEDaSX_SY_SE_SJ_EUlSX_E_NS1_11comp_targetILNS1_3genE8ELNS1_11target_archE1030ELNS1_3gpuE2ELNS1_3repE0EEENS1_47radix_sort_onesweep_sort_config_static_selectorELNS0_4arch9wavefront6targetE1EEEvSE_,comdat
.Lfunc_end988:
	.size	_ZN7rocprim17ROCPRIM_400000_NS6detail17trampoline_kernelINS0_14default_configENS1_35radix_sort_onesweep_config_selectorImNS0_10empty_typeEEEZZNS1_29radix_sort_onesweep_iterationIS3_Lb0EPmS8_PS5_S9_mNS0_19identity_decomposerENS1_16block_id_wrapperIjLb1EEEEE10hipError_tT1_PNSt15iterator_traitsISE_E10value_typeET2_T3_PNSF_ISK_E10value_typeET4_T5_PSP_SQ_PNS1_23onesweep_lookback_stateEbbT6_jjT7_P12ihipStream_tbENKUlT_T0_SE_SJ_E_clIS8_S8_S9_S9_EEDaSX_SY_SE_SJ_EUlSX_E_NS1_11comp_targetILNS1_3genE8ELNS1_11target_archE1030ELNS1_3gpuE2ELNS1_3repE0EEENS1_47radix_sort_onesweep_sort_config_static_selectorELNS0_4arch9wavefront6targetE1EEEvSE_, .Lfunc_end988-_ZN7rocprim17ROCPRIM_400000_NS6detail17trampoline_kernelINS0_14default_configENS1_35radix_sort_onesweep_config_selectorImNS0_10empty_typeEEEZZNS1_29radix_sort_onesweep_iterationIS3_Lb0EPmS8_PS5_S9_mNS0_19identity_decomposerENS1_16block_id_wrapperIjLb1EEEEE10hipError_tT1_PNSt15iterator_traitsISE_E10value_typeET2_T3_PNSF_ISK_E10value_typeET4_T5_PSP_SQ_PNS1_23onesweep_lookback_stateEbbT6_jjT7_P12ihipStream_tbENKUlT_T0_SE_SJ_E_clIS8_S8_S9_S9_EEDaSX_SY_SE_SJ_EUlSX_E_NS1_11comp_targetILNS1_3genE8ELNS1_11target_archE1030ELNS1_3gpuE2ELNS1_3repE0EEENS1_47radix_sort_onesweep_sort_config_static_selectorELNS0_4arch9wavefront6targetE1EEEvSE_
                                        ; -- End function
	.section	.AMDGPU.csdata,"",@progbits
; Kernel info:
; codeLenInByte = 0
; NumSgprs: 4
; NumVgprs: 0
; NumAgprs: 0
; TotalNumVgprs: 0
; ScratchSize: 0
; MemoryBound: 0
; FloatMode: 240
; IeeeMode: 1
; LDSByteSize: 0 bytes/workgroup (compile time only)
; SGPRBlocks: 0
; VGPRBlocks: 0
; NumSGPRsForWavesPerEU: 4
; NumVGPRsForWavesPerEU: 1
; AccumOffset: 4
; Occupancy: 8
; WaveLimiterHint : 0
; COMPUTE_PGM_RSRC2:SCRATCH_EN: 0
; COMPUTE_PGM_RSRC2:USER_SGPR: 6
; COMPUTE_PGM_RSRC2:TRAP_HANDLER: 0
; COMPUTE_PGM_RSRC2:TGID_X_EN: 1
; COMPUTE_PGM_RSRC2:TGID_Y_EN: 0
; COMPUTE_PGM_RSRC2:TGID_Z_EN: 0
; COMPUTE_PGM_RSRC2:TIDIG_COMP_CNT: 0
; COMPUTE_PGM_RSRC3_GFX90A:ACCUM_OFFSET: 0
; COMPUTE_PGM_RSRC3_GFX90A:TG_SPLIT: 0
	.section	.text._ZN7rocprim17ROCPRIM_400000_NS6detail17trampoline_kernelINS0_14default_configENS1_35radix_sort_onesweep_config_selectorImNS0_10empty_typeEEEZZNS1_29radix_sort_onesweep_iterationIS3_Lb0EPmS8_PS5_S9_mNS0_19identity_decomposerENS1_16block_id_wrapperIjLb0EEEEE10hipError_tT1_PNSt15iterator_traitsISE_E10value_typeET2_T3_PNSF_ISK_E10value_typeET4_T5_PSP_SQ_PNS1_23onesweep_lookback_stateEbbT6_jjT7_P12ihipStream_tbENKUlT_T0_SE_SJ_E_clIS8_S8_S9_S9_EEDaSX_SY_SE_SJ_EUlSX_E_NS1_11comp_targetILNS1_3genE0ELNS1_11target_archE4294967295ELNS1_3gpuE0ELNS1_3repE0EEENS1_47radix_sort_onesweep_sort_config_static_selectorELNS0_4arch9wavefront6targetE1EEEvSE_,"axG",@progbits,_ZN7rocprim17ROCPRIM_400000_NS6detail17trampoline_kernelINS0_14default_configENS1_35radix_sort_onesweep_config_selectorImNS0_10empty_typeEEEZZNS1_29radix_sort_onesweep_iterationIS3_Lb0EPmS8_PS5_S9_mNS0_19identity_decomposerENS1_16block_id_wrapperIjLb0EEEEE10hipError_tT1_PNSt15iterator_traitsISE_E10value_typeET2_T3_PNSF_ISK_E10value_typeET4_T5_PSP_SQ_PNS1_23onesweep_lookback_stateEbbT6_jjT7_P12ihipStream_tbENKUlT_T0_SE_SJ_E_clIS8_S8_S9_S9_EEDaSX_SY_SE_SJ_EUlSX_E_NS1_11comp_targetILNS1_3genE0ELNS1_11target_archE4294967295ELNS1_3gpuE0ELNS1_3repE0EEENS1_47radix_sort_onesweep_sort_config_static_selectorELNS0_4arch9wavefront6targetE1EEEvSE_,comdat
	.protected	_ZN7rocprim17ROCPRIM_400000_NS6detail17trampoline_kernelINS0_14default_configENS1_35radix_sort_onesweep_config_selectorImNS0_10empty_typeEEEZZNS1_29radix_sort_onesweep_iterationIS3_Lb0EPmS8_PS5_S9_mNS0_19identity_decomposerENS1_16block_id_wrapperIjLb0EEEEE10hipError_tT1_PNSt15iterator_traitsISE_E10value_typeET2_T3_PNSF_ISK_E10value_typeET4_T5_PSP_SQ_PNS1_23onesweep_lookback_stateEbbT6_jjT7_P12ihipStream_tbENKUlT_T0_SE_SJ_E_clIS8_S8_S9_S9_EEDaSX_SY_SE_SJ_EUlSX_E_NS1_11comp_targetILNS1_3genE0ELNS1_11target_archE4294967295ELNS1_3gpuE0ELNS1_3repE0EEENS1_47radix_sort_onesweep_sort_config_static_selectorELNS0_4arch9wavefront6targetE1EEEvSE_ ; -- Begin function _ZN7rocprim17ROCPRIM_400000_NS6detail17trampoline_kernelINS0_14default_configENS1_35radix_sort_onesweep_config_selectorImNS0_10empty_typeEEEZZNS1_29radix_sort_onesweep_iterationIS3_Lb0EPmS8_PS5_S9_mNS0_19identity_decomposerENS1_16block_id_wrapperIjLb0EEEEE10hipError_tT1_PNSt15iterator_traitsISE_E10value_typeET2_T3_PNSF_ISK_E10value_typeET4_T5_PSP_SQ_PNS1_23onesweep_lookback_stateEbbT6_jjT7_P12ihipStream_tbENKUlT_T0_SE_SJ_E_clIS8_S8_S9_S9_EEDaSX_SY_SE_SJ_EUlSX_E_NS1_11comp_targetILNS1_3genE0ELNS1_11target_archE4294967295ELNS1_3gpuE0ELNS1_3repE0EEENS1_47radix_sort_onesweep_sort_config_static_selectorELNS0_4arch9wavefront6targetE1EEEvSE_
	.globl	_ZN7rocprim17ROCPRIM_400000_NS6detail17trampoline_kernelINS0_14default_configENS1_35radix_sort_onesweep_config_selectorImNS0_10empty_typeEEEZZNS1_29radix_sort_onesweep_iterationIS3_Lb0EPmS8_PS5_S9_mNS0_19identity_decomposerENS1_16block_id_wrapperIjLb0EEEEE10hipError_tT1_PNSt15iterator_traitsISE_E10value_typeET2_T3_PNSF_ISK_E10value_typeET4_T5_PSP_SQ_PNS1_23onesweep_lookback_stateEbbT6_jjT7_P12ihipStream_tbENKUlT_T0_SE_SJ_E_clIS8_S8_S9_S9_EEDaSX_SY_SE_SJ_EUlSX_E_NS1_11comp_targetILNS1_3genE0ELNS1_11target_archE4294967295ELNS1_3gpuE0ELNS1_3repE0EEENS1_47radix_sort_onesweep_sort_config_static_selectorELNS0_4arch9wavefront6targetE1EEEvSE_
	.p2align	8
	.type	_ZN7rocprim17ROCPRIM_400000_NS6detail17trampoline_kernelINS0_14default_configENS1_35radix_sort_onesweep_config_selectorImNS0_10empty_typeEEEZZNS1_29radix_sort_onesweep_iterationIS3_Lb0EPmS8_PS5_S9_mNS0_19identity_decomposerENS1_16block_id_wrapperIjLb0EEEEE10hipError_tT1_PNSt15iterator_traitsISE_E10value_typeET2_T3_PNSF_ISK_E10value_typeET4_T5_PSP_SQ_PNS1_23onesweep_lookback_stateEbbT6_jjT7_P12ihipStream_tbENKUlT_T0_SE_SJ_E_clIS8_S8_S9_S9_EEDaSX_SY_SE_SJ_EUlSX_E_NS1_11comp_targetILNS1_3genE0ELNS1_11target_archE4294967295ELNS1_3gpuE0ELNS1_3repE0EEENS1_47radix_sort_onesweep_sort_config_static_selectorELNS0_4arch9wavefront6targetE1EEEvSE_,@function
_ZN7rocprim17ROCPRIM_400000_NS6detail17trampoline_kernelINS0_14default_configENS1_35radix_sort_onesweep_config_selectorImNS0_10empty_typeEEEZZNS1_29radix_sort_onesweep_iterationIS3_Lb0EPmS8_PS5_S9_mNS0_19identity_decomposerENS1_16block_id_wrapperIjLb0EEEEE10hipError_tT1_PNSt15iterator_traitsISE_E10value_typeET2_T3_PNSF_ISK_E10value_typeET4_T5_PSP_SQ_PNS1_23onesweep_lookback_stateEbbT6_jjT7_P12ihipStream_tbENKUlT_T0_SE_SJ_E_clIS8_S8_S9_S9_EEDaSX_SY_SE_SJ_EUlSX_E_NS1_11comp_targetILNS1_3genE0ELNS1_11target_archE4294967295ELNS1_3gpuE0ELNS1_3repE0EEENS1_47radix_sort_onesweep_sort_config_static_selectorELNS0_4arch9wavefront6targetE1EEEvSE_: ; @_ZN7rocprim17ROCPRIM_400000_NS6detail17trampoline_kernelINS0_14default_configENS1_35radix_sort_onesweep_config_selectorImNS0_10empty_typeEEEZZNS1_29radix_sort_onesweep_iterationIS3_Lb0EPmS8_PS5_S9_mNS0_19identity_decomposerENS1_16block_id_wrapperIjLb0EEEEE10hipError_tT1_PNSt15iterator_traitsISE_E10value_typeET2_T3_PNSF_ISK_E10value_typeET4_T5_PSP_SQ_PNS1_23onesweep_lookback_stateEbbT6_jjT7_P12ihipStream_tbENKUlT_T0_SE_SJ_E_clIS8_S8_S9_S9_EEDaSX_SY_SE_SJ_EUlSX_E_NS1_11comp_targetILNS1_3genE0ELNS1_11target_archE4294967295ELNS1_3gpuE0ELNS1_3repE0EEENS1_47radix_sort_onesweep_sort_config_static_selectorELNS0_4arch9wavefront6targetE1EEEvSE_
; %bb.0:
	.section	.rodata,"a",@progbits
	.p2align	6, 0x0
	.amdhsa_kernel _ZN7rocprim17ROCPRIM_400000_NS6detail17trampoline_kernelINS0_14default_configENS1_35radix_sort_onesweep_config_selectorImNS0_10empty_typeEEEZZNS1_29radix_sort_onesweep_iterationIS3_Lb0EPmS8_PS5_S9_mNS0_19identity_decomposerENS1_16block_id_wrapperIjLb0EEEEE10hipError_tT1_PNSt15iterator_traitsISE_E10value_typeET2_T3_PNSF_ISK_E10value_typeET4_T5_PSP_SQ_PNS1_23onesweep_lookback_stateEbbT6_jjT7_P12ihipStream_tbENKUlT_T0_SE_SJ_E_clIS8_S8_S9_S9_EEDaSX_SY_SE_SJ_EUlSX_E_NS1_11comp_targetILNS1_3genE0ELNS1_11target_archE4294967295ELNS1_3gpuE0ELNS1_3repE0EEENS1_47radix_sort_onesweep_sort_config_static_selectorELNS0_4arch9wavefront6targetE1EEEvSE_
		.amdhsa_group_segment_fixed_size 0
		.amdhsa_private_segment_fixed_size 0
		.amdhsa_kernarg_size 88
		.amdhsa_user_sgpr_count 6
		.amdhsa_user_sgpr_private_segment_buffer 1
		.amdhsa_user_sgpr_dispatch_ptr 0
		.amdhsa_user_sgpr_queue_ptr 0
		.amdhsa_user_sgpr_kernarg_segment_ptr 1
		.amdhsa_user_sgpr_dispatch_id 0
		.amdhsa_user_sgpr_flat_scratch_init 0
		.amdhsa_user_sgpr_kernarg_preload_length 0
		.amdhsa_user_sgpr_kernarg_preload_offset 0
		.amdhsa_user_sgpr_private_segment_size 0
		.amdhsa_uses_dynamic_stack 0
		.amdhsa_system_sgpr_private_segment_wavefront_offset 0
		.amdhsa_system_sgpr_workgroup_id_x 1
		.amdhsa_system_sgpr_workgroup_id_y 0
		.amdhsa_system_sgpr_workgroup_id_z 0
		.amdhsa_system_sgpr_workgroup_info 0
		.amdhsa_system_vgpr_workitem_id 0
		.amdhsa_next_free_vgpr 1
		.amdhsa_next_free_sgpr 0
		.amdhsa_accum_offset 4
		.amdhsa_reserve_vcc 0
		.amdhsa_reserve_flat_scratch 0
		.amdhsa_float_round_mode_32 0
		.amdhsa_float_round_mode_16_64 0
		.amdhsa_float_denorm_mode_32 3
		.amdhsa_float_denorm_mode_16_64 3
		.amdhsa_dx10_clamp 1
		.amdhsa_ieee_mode 1
		.amdhsa_fp16_overflow 0
		.amdhsa_tg_split 0
		.amdhsa_exception_fp_ieee_invalid_op 0
		.amdhsa_exception_fp_denorm_src 0
		.amdhsa_exception_fp_ieee_div_zero 0
		.amdhsa_exception_fp_ieee_overflow 0
		.amdhsa_exception_fp_ieee_underflow 0
		.amdhsa_exception_fp_ieee_inexact 0
		.amdhsa_exception_int_div_zero 0
	.end_amdhsa_kernel
	.section	.text._ZN7rocprim17ROCPRIM_400000_NS6detail17trampoline_kernelINS0_14default_configENS1_35radix_sort_onesweep_config_selectorImNS0_10empty_typeEEEZZNS1_29radix_sort_onesweep_iterationIS3_Lb0EPmS8_PS5_S9_mNS0_19identity_decomposerENS1_16block_id_wrapperIjLb0EEEEE10hipError_tT1_PNSt15iterator_traitsISE_E10value_typeET2_T3_PNSF_ISK_E10value_typeET4_T5_PSP_SQ_PNS1_23onesweep_lookback_stateEbbT6_jjT7_P12ihipStream_tbENKUlT_T0_SE_SJ_E_clIS8_S8_S9_S9_EEDaSX_SY_SE_SJ_EUlSX_E_NS1_11comp_targetILNS1_3genE0ELNS1_11target_archE4294967295ELNS1_3gpuE0ELNS1_3repE0EEENS1_47radix_sort_onesweep_sort_config_static_selectorELNS0_4arch9wavefront6targetE1EEEvSE_,"axG",@progbits,_ZN7rocprim17ROCPRIM_400000_NS6detail17trampoline_kernelINS0_14default_configENS1_35radix_sort_onesweep_config_selectorImNS0_10empty_typeEEEZZNS1_29radix_sort_onesweep_iterationIS3_Lb0EPmS8_PS5_S9_mNS0_19identity_decomposerENS1_16block_id_wrapperIjLb0EEEEE10hipError_tT1_PNSt15iterator_traitsISE_E10value_typeET2_T3_PNSF_ISK_E10value_typeET4_T5_PSP_SQ_PNS1_23onesweep_lookback_stateEbbT6_jjT7_P12ihipStream_tbENKUlT_T0_SE_SJ_E_clIS8_S8_S9_S9_EEDaSX_SY_SE_SJ_EUlSX_E_NS1_11comp_targetILNS1_3genE0ELNS1_11target_archE4294967295ELNS1_3gpuE0ELNS1_3repE0EEENS1_47radix_sort_onesweep_sort_config_static_selectorELNS0_4arch9wavefront6targetE1EEEvSE_,comdat
.Lfunc_end989:
	.size	_ZN7rocprim17ROCPRIM_400000_NS6detail17trampoline_kernelINS0_14default_configENS1_35radix_sort_onesweep_config_selectorImNS0_10empty_typeEEEZZNS1_29radix_sort_onesweep_iterationIS3_Lb0EPmS8_PS5_S9_mNS0_19identity_decomposerENS1_16block_id_wrapperIjLb0EEEEE10hipError_tT1_PNSt15iterator_traitsISE_E10value_typeET2_T3_PNSF_ISK_E10value_typeET4_T5_PSP_SQ_PNS1_23onesweep_lookback_stateEbbT6_jjT7_P12ihipStream_tbENKUlT_T0_SE_SJ_E_clIS8_S8_S9_S9_EEDaSX_SY_SE_SJ_EUlSX_E_NS1_11comp_targetILNS1_3genE0ELNS1_11target_archE4294967295ELNS1_3gpuE0ELNS1_3repE0EEENS1_47radix_sort_onesweep_sort_config_static_selectorELNS0_4arch9wavefront6targetE1EEEvSE_, .Lfunc_end989-_ZN7rocprim17ROCPRIM_400000_NS6detail17trampoline_kernelINS0_14default_configENS1_35radix_sort_onesweep_config_selectorImNS0_10empty_typeEEEZZNS1_29radix_sort_onesweep_iterationIS3_Lb0EPmS8_PS5_S9_mNS0_19identity_decomposerENS1_16block_id_wrapperIjLb0EEEEE10hipError_tT1_PNSt15iterator_traitsISE_E10value_typeET2_T3_PNSF_ISK_E10value_typeET4_T5_PSP_SQ_PNS1_23onesweep_lookback_stateEbbT6_jjT7_P12ihipStream_tbENKUlT_T0_SE_SJ_E_clIS8_S8_S9_S9_EEDaSX_SY_SE_SJ_EUlSX_E_NS1_11comp_targetILNS1_3genE0ELNS1_11target_archE4294967295ELNS1_3gpuE0ELNS1_3repE0EEENS1_47radix_sort_onesweep_sort_config_static_selectorELNS0_4arch9wavefront6targetE1EEEvSE_
                                        ; -- End function
	.section	.AMDGPU.csdata,"",@progbits
; Kernel info:
; codeLenInByte = 0
; NumSgprs: 4
; NumVgprs: 0
; NumAgprs: 0
; TotalNumVgprs: 0
; ScratchSize: 0
; MemoryBound: 0
; FloatMode: 240
; IeeeMode: 1
; LDSByteSize: 0 bytes/workgroup (compile time only)
; SGPRBlocks: 0
; VGPRBlocks: 0
; NumSGPRsForWavesPerEU: 4
; NumVGPRsForWavesPerEU: 1
; AccumOffset: 4
; Occupancy: 8
; WaveLimiterHint : 0
; COMPUTE_PGM_RSRC2:SCRATCH_EN: 0
; COMPUTE_PGM_RSRC2:USER_SGPR: 6
; COMPUTE_PGM_RSRC2:TRAP_HANDLER: 0
; COMPUTE_PGM_RSRC2:TGID_X_EN: 1
; COMPUTE_PGM_RSRC2:TGID_Y_EN: 0
; COMPUTE_PGM_RSRC2:TGID_Z_EN: 0
; COMPUTE_PGM_RSRC2:TIDIG_COMP_CNT: 0
; COMPUTE_PGM_RSRC3_GFX90A:ACCUM_OFFSET: 0
; COMPUTE_PGM_RSRC3_GFX90A:TG_SPLIT: 0
	.section	.text._ZN7rocprim17ROCPRIM_400000_NS6detail17trampoline_kernelINS0_14default_configENS1_35radix_sort_onesweep_config_selectorImNS0_10empty_typeEEEZZNS1_29radix_sort_onesweep_iterationIS3_Lb0EPmS8_PS5_S9_mNS0_19identity_decomposerENS1_16block_id_wrapperIjLb0EEEEE10hipError_tT1_PNSt15iterator_traitsISE_E10value_typeET2_T3_PNSF_ISK_E10value_typeET4_T5_PSP_SQ_PNS1_23onesweep_lookback_stateEbbT6_jjT7_P12ihipStream_tbENKUlT_T0_SE_SJ_E_clIS8_S8_S9_S9_EEDaSX_SY_SE_SJ_EUlSX_E_NS1_11comp_targetILNS1_3genE6ELNS1_11target_archE950ELNS1_3gpuE13ELNS1_3repE0EEENS1_47radix_sort_onesweep_sort_config_static_selectorELNS0_4arch9wavefront6targetE1EEEvSE_,"axG",@progbits,_ZN7rocprim17ROCPRIM_400000_NS6detail17trampoline_kernelINS0_14default_configENS1_35radix_sort_onesweep_config_selectorImNS0_10empty_typeEEEZZNS1_29radix_sort_onesweep_iterationIS3_Lb0EPmS8_PS5_S9_mNS0_19identity_decomposerENS1_16block_id_wrapperIjLb0EEEEE10hipError_tT1_PNSt15iterator_traitsISE_E10value_typeET2_T3_PNSF_ISK_E10value_typeET4_T5_PSP_SQ_PNS1_23onesweep_lookback_stateEbbT6_jjT7_P12ihipStream_tbENKUlT_T0_SE_SJ_E_clIS8_S8_S9_S9_EEDaSX_SY_SE_SJ_EUlSX_E_NS1_11comp_targetILNS1_3genE6ELNS1_11target_archE950ELNS1_3gpuE13ELNS1_3repE0EEENS1_47radix_sort_onesweep_sort_config_static_selectorELNS0_4arch9wavefront6targetE1EEEvSE_,comdat
	.protected	_ZN7rocprim17ROCPRIM_400000_NS6detail17trampoline_kernelINS0_14default_configENS1_35radix_sort_onesweep_config_selectorImNS0_10empty_typeEEEZZNS1_29radix_sort_onesweep_iterationIS3_Lb0EPmS8_PS5_S9_mNS0_19identity_decomposerENS1_16block_id_wrapperIjLb0EEEEE10hipError_tT1_PNSt15iterator_traitsISE_E10value_typeET2_T3_PNSF_ISK_E10value_typeET4_T5_PSP_SQ_PNS1_23onesweep_lookback_stateEbbT6_jjT7_P12ihipStream_tbENKUlT_T0_SE_SJ_E_clIS8_S8_S9_S9_EEDaSX_SY_SE_SJ_EUlSX_E_NS1_11comp_targetILNS1_3genE6ELNS1_11target_archE950ELNS1_3gpuE13ELNS1_3repE0EEENS1_47radix_sort_onesweep_sort_config_static_selectorELNS0_4arch9wavefront6targetE1EEEvSE_ ; -- Begin function _ZN7rocprim17ROCPRIM_400000_NS6detail17trampoline_kernelINS0_14default_configENS1_35radix_sort_onesweep_config_selectorImNS0_10empty_typeEEEZZNS1_29radix_sort_onesweep_iterationIS3_Lb0EPmS8_PS5_S9_mNS0_19identity_decomposerENS1_16block_id_wrapperIjLb0EEEEE10hipError_tT1_PNSt15iterator_traitsISE_E10value_typeET2_T3_PNSF_ISK_E10value_typeET4_T5_PSP_SQ_PNS1_23onesweep_lookback_stateEbbT6_jjT7_P12ihipStream_tbENKUlT_T0_SE_SJ_E_clIS8_S8_S9_S9_EEDaSX_SY_SE_SJ_EUlSX_E_NS1_11comp_targetILNS1_3genE6ELNS1_11target_archE950ELNS1_3gpuE13ELNS1_3repE0EEENS1_47radix_sort_onesweep_sort_config_static_selectorELNS0_4arch9wavefront6targetE1EEEvSE_
	.globl	_ZN7rocprim17ROCPRIM_400000_NS6detail17trampoline_kernelINS0_14default_configENS1_35radix_sort_onesweep_config_selectorImNS0_10empty_typeEEEZZNS1_29radix_sort_onesweep_iterationIS3_Lb0EPmS8_PS5_S9_mNS0_19identity_decomposerENS1_16block_id_wrapperIjLb0EEEEE10hipError_tT1_PNSt15iterator_traitsISE_E10value_typeET2_T3_PNSF_ISK_E10value_typeET4_T5_PSP_SQ_PNS1_23onesweep_lookback_stateEbbT6_jjT7_P12ihipStream_tbENKUlT_T0_SE_SJ_E_clIS8_S8_S9_S9_EEDaSX_SY_SE_SJ_EUlSX_E_NS1_11comp_targetILNS1_3genE6ELNS1_11target_archE950ELNS1_3gpuE13ELNS1_3repE0EEENS1_47radix_sort_onesweep_sort_config_static_selectorELNS0_4arch9wavefront6targetE1EEEvSE_
	.p2align	8
	.type	_ZN7rocprim17ROCPRIM_400000_NS6detail17trampoline_kernelINS0_14default_configENS1_35radix_sort_onesweep_config_selectorImNS0_10empty_typeEEEZZNS1_29radix_sort_onesweep_iterationIS3_Lb0EPmS8_PS5_S9_mNS0_19identity_decomposerENS1_16block_id_wrapperIjLb0EEEEE10hipError_tT1_PNSt15iterator_traitsISE_E10value_typeET2_T3_PNSF_ISK_E10value_typeET4_T5_PSP_SQ_PNS1_23onesweep_lookback_stateEbbT6_jjT7_P12ihipStream_tbENKUlT_T0_SE_SJ_E_clIS8_S8_S9_S9_EEDaSX_SY_SE_SJ_EUlSX_E_NS1_11comp_targetILNS1_3genE6ELNS1_11target_archE950ELNS1_3gpuE13ELNS1_3repE0EEENS1_47radix_sort_onesweep_sort_config_static_selectorELNS0_4arch9wavefront6targetE1EEEvSE_,@function
_ZN7rocprim17ROCPRIM_400000_NS6detail17trampoline_kernelINS0_14default_configENS1_35radix_sort_onesweep_config_selectorImNS0_10empty_typeEEEZZNS1_29radix_sort_onesweep_iterationIS3_Lb0EPmS8_PS5_S9_mNS0_19identity_decomposerENS1_16block_id_wrapperIjLb0EEEEE10hipError_tT1_PNSt15iterator_traitsISE_E10value_typeET2_T3_PNSF_ISK_E10value_typeET4_T5_PSP_SQ_PNS1_23onesweep_lookback_stateEbbT6_jjT7_P12ihipStream_tbENKUlT_T0_SE_SJ_E_clIS8_S8_S9_S9_EEDaSX_SY_SE_SJ_EUlSX_E_NS1_11comp_targetILNS1_3genE6ELNS1_11target_archE950ELNS1_3gpuE13ELNS1_3repE0EEENS1_47radix_sort_onesweep_sort_config_static_selectorELNS0_4arch9wavefront6targetE1EEEvSE_: ; @_ZN7rocprim17ROCPRIM_400000_NS6detail17trampoline_kernelINS0_14default_configENS1_35radix_sort_onesweep_config_selectorImNS0_10empty_typeEEEZZNS1_29radix_sort_onesweep_iterationIS3_Lb0EPmS8_PS5_S9_mNS0_19identity_decomposerENS1_16block_id_wrapperIjLb0EEEEE10hipError_tT1_PNSt15iterator_traitsISE_E10value_typeET2_T3_PNSF_ISK_E10value_typeET4_T5_PSP_SQ_PNS1_23onesweep_lookback_stateEbbT6_jjT7_P12ihipStream_tbENKUlT_T0_SE_SJ_E_clIS8_S8_S9_S9_EEDaSX_SY_SE_SJ_EUlSX_E_NS1_11comp_targetILNS1_3genE6ELNS1_11target_archE950ELNS1_3gpuE13ELNS1_3repE0EEENS1_47radix_sort_onesweep_sort_config_static_selectorELNS0_4arch9wavefront6targetE1EEEvSE_
; %bb.0:
	.section	.rodata,"a",@progbits
	.p2align	6, 0x0
	.amdhsa_kernel _ZN7rocprim17ROCPRIM_400000_NS6detail17trampoline_kernelINS0_14default_configENS1_35radix_sort_onesweep_config_selectorImNS0_10empty_typeEEEZZNS1_29radix_sort_onesweep_iterationIS3_Lb0EPmS8_PS5_S9_mNS0_19identity_decomposerENS1_16block_id_wrapperIjLb0EEEEE10hipError_tT1_PNSt15iterator_traitsISE_E10value_typeET2_T3_PNSF_ISK_E10value_typeET4_T5_PSP_SQ_PNS1_23onesweep_lookback_stateEbbT6_jjT7_P12ihipStream_tbENKUlT_T0_SE_SJ_E_clIS8_S8_S9_S9_EEDaSX_SY_SE_SJ_EUlSX_E_NS1_11comp_targetILNS1_3genE6ELNS1_11target_archE950ELNS1_3gpuE13ELNS1_3repE0EEENS1_47radix_sort_onesweep_sort_config_static_selectorELNS0_4arch9wavefront6targetE1EEEvSE_
		.amdhsa_group_segment_fixed_size 0
		.amdhsa_private_segment_fixed_size 0
		.amdhsa_kernarg_size 88
		.amdhsa_user_sgpr_count 6
		.amdhsa_user_sgpr_private_segment_buffer 1
		.amdhsa_user_sgpr_dispatch_ptr 0
		.amdhsa_user_sgpr_queue_ptr 0
		.amdhsa_user_sgpr_kernarg_segment_ptr 1
		.amdhsa_user_sgpr_dispatch_id 0
		.amdhsa_user_sgpr_flat_scratch_init 0
		.amdhsa_user_sgpr_kernarg_preload_length 0
		.amdhsa_user_sgpr_kernarg_preload_offset 0
		.amdhsa_user_sgpr_private_segment_size 0
		.amdhsa_uses_dynamic_stack 0
		.amdhsa_system_sgpr_private_segment_wavefront_offset 0
		.amdhsa_system_sgpr_workgroup_id_x 1
		.amdhsa_system_sgpr_workgroup_id_y 0
		.amdhsa_system_sgpr_workgroup_id_z 0
		.amdhsa_system_sgpr_workgroup_info 0
		.amdhsa_system_vgpr_workitem_id 0
		.amdhsa_next_free_vgpr 1
		.amdhsa_next_free_sgpr 0
		.amdhsa_accum_offset 4
		.amdhsa_reserve_vcc 0
		.amdhsa_reserve_flat_scratch 0
		.amdhsa_float_round_mode_32 0
		.amdhsa_float_round_mode_16_64 0
		.amdhsa_float_denorm_mode_32 3
		.amdhsa_float_denorm_mode_16_64 3
		.amdhsa_dx10_clamp 1
		.amdhsa_ieee_mode 1
		.amdhsa_fp16_overflow 0
		.amdhsa_tg_split 0
		.amdhsa_exception_fp_ieee_invalid_op 0
		.amdhsa_exception_fp_denorm_src 0
		.amdhsa_exception_fp_ieee_div_zero 0
		.amdhsa_exception_fp_ieee_overflow 0
		.amdhsa_exception_fp_ieee_underflow 0
		.amdhsa_exception_fp_ieee_inexact 0
		.amdhsa_exception_int_div_zero 0
	.end_amdhsa_kernel
	.section	.text._ZN7rocprim17ROCPRIM_400000_NS6detail17trampoline_kernelINS0_14default_configENS1_35radix_sort_onesweep_config_selectorImNS0_10empty_typeEEEZZNS1_29radix_sort_onesweep_iterationIS3_Lb0EPmS8_PS5_S9_mNS0_19identity_decomposerENS1_16block_id_wrapperIjLb0EEEEE10hipError_tT1_PNSt15iterator_traitsISE_E10value_typeET2_T3_PNSF_ISK_E10value_typeET4_T5_PSP_SQ_PNS1_23onesweep_lookback_stateEbbT6_jjT7_P12ihipStream_tbENKUlT_T0_SE_SJ_E_clIS8_S8_S9_S9_EEDaSX_SY_SE_SJ_EUlSX_E_NS1_11comp_targetILNS1_3genE6ELNS1_11target_archE950ELNS1_3gpuE13ELNS1_3repE0EEENS1_47radix_sort_onesweep_sort_config_static_selectorELNS0_4arch9wavefront6targetE1EEEvSE_,"axG",@progbits,_ZN7rocprim17ROCPRIM_400000_NS6detail17trampoline_kernelINS0_14default_configENS1_35radix_sort_onesweep_config_selectorImNS0_10empty_typeEEEZZNS1_29radix_sort_onesweep_iterationIS3_Lb0EPmS8_PS5_S9_mNS0_19identity_decomposerENS1_16block_id_wrapperIjLb0EEEEE10hipError_tT1_PNSt15iterator_traitsISE_E10value_typeET2_T3_PNSF_ISK_E10value_typeET4_T5_PSP_SQ_PNS1_23onesweep_lookback_stateEbbT6_jjT7_P12ihipStream_tbENKUlT_T0_SE_SJ_E_clIS8_S8_S9_S9_EEDaSX_SY_SE_SJ_EUlSX_E_NS1_11comp_targetILNS1_3genE6ELNS1_11target_archE950ELNS1_3gpuE13ELNS1_3repE0EEENS1_47radix_sort_onesweep_sort_config_static_selectorELNS0_4arch9wavefront6targetE1EEEvSE_,comdat
.Lfunc_end990:
	.size	_ZN7rocprim17ROCPRIM_400000_NS6detail17trampoline_kernelINS0_14default_configENS1_35radix_sort_onesweep_config_selectorImNS0_10empty_typeEEEZZNS1_29radix_sort_onesweep_iterationIS3_Lb0EPmS8_PS5_S9_mNS0_19identity_decomposerENS1_16block_id_wrapperIjLb0EEEEE10hipError_tT1_PNSt15iterator_traitsISE_E10value_typeET2_T3_PNSF_ISK_E10value_typeET4_T5_PSP_SQ_PNS1_23onesweep_lookback_stateEbbT6_jjT7_P12ihipStream_tbENKUlT_T0_SE_SJ_E_clIS8_S8_S9_S9_EEDaSX_SY_SE_SJ_EUlSX_E_NS1_11comp_targetILNS1_3genE6ELNS1_11target_archE950ELNS1_3gpuE13ELNS1_3repE0EEENS1_47radix_sort_onesweep_sort_config_static_selectorELNS0_4arch9wavefront6targetE1EEEvSE_, .Lfunc_end990-_ZN7rocprim17ROCPRIM_400000_NS6detail17trampoline_kernelINS0_14default_configENS1_35radix_sort_onesweep_config_selectorImNS0_10empty_typeEEEZZNS1_29radix_sort_onesweep_iterationIS3_Lb0EPmS8_PS5_S9_mNS0_19identity_decomposerENS1_16block_id_wrapperIjLb0EEEEE10hipError_tT1_PNSt15iterator_traitsISE_E10value_typeET2_T3_PNSF_ISK_E10value_typeET4_T5_PSP_SQ_PNS1_23onesweep_lookback_stateEbbT6_jjT7_P12ihipStream_tbENKUlT_T0_SE_SJ_E_clIS8_S8_S9_S9_EEDaSX_SY_SE_SJ_EUlSX_E_NS1_11comp_targetILNS1_3genE6ELNS1_11target_archE950ELNS1_3gpuE13ELNS1_3repE0EEENS1_47radix_sort_onesweep_sort_config_static_selectorELNS0_4arch9wavefront6targetE1EEEvSE_
                                        ; -- End function
	.section	.AMDGPU.csdata,"",@progbits
; Kernel info:
; codeLenInByte = 0
; NumSgprs: 4
; NumVgprs: 0
; NumAgprs: 0
; TotalNumVgprs: 0
; ScratchSize: 0
; MemoryBound: 0
; FloatMode: 240
; IeeeMode: 1
; LDSByteSize: 0 bytes/workgroup (compile time only)
; SGPRBlocks: 0
; VGPRBlocks: 0
; NumSGPRsForWavesPerEU: 4
; NumVGPRsForWavesPerEU: 1
; AccumOffset: 4
; Occupancy: 8
; WaveLimiterHint : 0
; COMPUTE_PGM_RSRC2:SCRATCH_EN: 0
; COMPUTE_PGM_RSRC2:USER_SGPR: 6
; COMPUTE_PGM_RSRC2:TRAP_HANDLER: 0
; COMPUTE_PGM_RSRC2:TGID_X_EN: 1
; COMPUTE_PGM_RSRC2:TGID_Y_EN: 0
; COMPUTE_PGM_RSRC2:TGID_Z_EN: 0
; COMPUTE_PGM_RSRC2:TIDIG_COMP_CNT: 0
; COMPUTE_PGM_RSRC3_GFX90A:ACCUM_OFFSET: 0
; COMPUTE_PGM_RSRC3_GFX90A:TG_SPLIT: 0
	.section	.text._ZN7rocprim17ROCPRIM_400000_NS6detail17trampoline_kernelINS0_14default_configENS1_35radix_sort_onesweep_config_selectorImNS0_10empty_typeEEEZZNS1_29radix_sort_onesweep_iterationIS3_Lb0EPmS8_PS5_S9_mNS0_19identity_decomposerENS1_16block_id_wrapperIjLb0EEEEE10hipError_tT1_PNSt15iterator_traitsISE_E10value_typeET2_T3_PNSF_ISK_E10value_typeET4_T5_PSP_SQ_PNS1_23onesweep_lookback_stateEbbT6_jjT7_P12ihipStream_tbENKUlT_T0_SE_SJ_E_clIS8_S8_S9_S9_EEDaSX_SY_SE_SJ_EUlSX_E_NS1_11comp_targetILNS1_3genE5ELNS1_11target_archE942ELNS1_3gpuE9ELNS1_3repE0EEENS1_47radix_sort_onesweep_sort_config_static_selectorELNS0_4arch9wavefront6targetE1EEEvSE_,"axG",@progbits,_ZN7rocprim17ROCPRIM_400000_NS6detail17trampoline_kernelINS0_14default_configENS1_35radix_sort_onesweep_config_selectorImNS0_10empty_typeEEEZZNS1_29radix_sort_onesweep_iterationIS3_Lb0EPmS8_PS5_S9_mNS0_19identity_decomposerENS1_16block_id_wrapperIjLb0EEEEE10hipError_tT1_PNSt15iterator_traitsISE_E10value_typeET2_T3_PNSF_ISK_E10value_typeET4_T5_PSP_SQ_PNS1_23onesweep_lookback_stateEbbT6_jjT7_P12ihipStream_tbENKUlT_T0_SE_SJ_E_clIS8_S8_S9_S9_EEDaSX_SY_SE_SJ_EUlSX_E_NS1_11comp_targetILNS1_3genE5ELNS1_11target_archE942ELNS1_3gpuE9ELNS1_3repE0EEENS1_47radix_sort_onesweep_sort_config_static_selectorELNS0_4arch9wavefront6targetE1EEEvSE_,comdat
	.protected	_ZN7rocprim17ROCPRIM_400000_NS6detail17trampoline_kernelINS0_14default_configENS1_35radix_sort_onesweep_config_selectorImNS0_10empty_typeEEEZZNS1_29radix_sort_onesweep_iterationIS3_Lb0EPmS8_PS5_S9_mNS0_19identity_decomposerENS1_16block_id_wrapperIjLb0EEEEE10hipError_tT1_PNSt15iterator_traitsISE_E10value_typeET2_T3_PNSF_ISK_E10value_typeET4_T5_PSP_SQ_PNS1_23onesweep_lookback_stateEbbT6_jjT7_P12ihipStream_tbENKUlT_T0_SE_SJ_E_clIS8_S8_S9_S9_EEDaSX_SY_SE_SJ_EUlSX_E_NS1_11comp_targetILNS1_3genE5ELNS1_11target_archE942ELNS1_3gpuE9ELNS1_3repE0EEENS1_47radix_sort_onesweep_sort_config_static_selectorELNS0_4arch9wavefront6targetE1EEEvSE_ ; -- Begin function _ZN7rocprim17ROCPRIM_400000_NS6detail17trampoline_kernelINS0_14default_configENS1_35radix_sort_onesweep_config_selectorImNS0_10empty_typeEEEZZNS1_29radix_sort_onesweep_iterationIS3_Lb0EPmS8_PS5_S9_mNS0_19identity_decomposerENS1_16block_id_wrapperIjLb0EEEEE10hipError_tT1_PNSt15iterator_traitsISE_E10value_typeET2_T3_PNSF_ISK_E10value_typeET4_T5_PSP_SQ_PNS1_23onesweep_lookback_stateEbbT6_jjT7_P12ihipStream_tbENKUlT_T0_SE_SJ_E_clIS8_S8_S9_S9_EEDaSX_SY_SE_SJ_EUlSX_E_NS1_11comp_targetILNS1_3genE5ELNS1_11target_archE942ELNS1_3gpuE9ELNS1_3repE0EEENS1_47radix_sort_onesweep_sort_config_static_selectorELNS0_4arch9wavefront6targetE1EEEvSE_
	.globl	_ZN7rocprim17ROCPRIM_400000_NS6detail17trampoline_kernelINS0_14default_configENS1_35radix_sort_onesweep_config_selectorImNS0_10empty_typeEEEZZNS1_29radix_sort_onesweep_iterationIS3_Lb0EPmS8_PS5_S9_mNS0_19identity_decomposerENS1_16block_id_wrapperIjLb0EEEEE10hipError_tT1_PNSt15iterator_traitsISE_E10value_typeET2_T3_PNSF_ISK_E10value_typeET4_T5_PSP_SQ_PNS1_23onesweep_lookback_stateEbbT6_jjT7_P12ihipStream_tbENKUlT_T0_SE_SJ_E_clIS8_S8_S9_S9_EEDaSX_SY_SE_SJ_EUlSX_E_NS1_11comp_targetILNS1_3genE5ELNS1_11target_archE942ELNS1_3gpuE9ELNS1_3repE0EEENS1_47radix_sort_onesweep_sort_config_static_selectorELNS0_4arch9wavefront6targetE1EEEvSE_
	.p2align	8
	.type	_ZN7rocprim17ROCPRIM_400000_NS6detail17trampoline_kernelINS0_14default_configENS1_35radix_sort_onesweep_config_selectorImNS0_10empty_typeEEEZZNS1_29radix_sort_onesweep_iterationIS3_Lb0EPmS8_PS5_S9_mNS0_19identity_decomposerENS1_16block_id_wrapperIjLb0EEEEE10hipError_tT1_PNSt15iterator_traitsISE_E10value_typeET2_T3_PNSF_ISK_E10value_typeET4_T5_PSP_SQ_PNS1_23onesweep_lookback_stateEbbT6_jjT7_P12ihipStream_tbENKUlT_T0_SE_SJ_E_clIS8_S8_S9_S9_EEDaSX_SY_SE_SJ_EUlSX_E_NS1_11comp_targetILNS1_3genE5ELNS1_11target_archE942ELNS1_3gpuE9ELNS1_3repE0EEENS1_47radix_sort_onesweep_sort_config_static_selectorELNS0_4arch9wavefront6targetE1EEEvSE_,@function
_ZN7rocprim17ROCPRIM_400000_NS6detail17trampoline_kernelINS0_14default_configENS1_35radix_sort_onesweep_config_selectorImNS0_10empty_typeEEEZZNS1_29radix_sort_onesweep_iterationIS3_Lb0EPmS8_PS5_S9_mNS0_19identity_decomposerENS1_16block_id_wrapperIjLb0EEEEE10hipError_tT1_PNSt15iterator_traitsISE_E10value_typeET2_T3_PNSF_ISK_E10value_typeET4_T5_PSP_SQ_PNS1_23onesweep_lookback_stateEbbT6_jjT7_P12ihipStream_tbENKUlT_T0_SE_SJ_E_clIS8_S8_S9_S9_EEDaSX_SY_SE_SJ_EUlSX_E_NS1_11comp_targetILNS1_3genE5ELNS1_11target_archE942ELNS1_3gpuE9ELNS1_3repE0EEENS1_47radix_sort_onesweep_sort_config_static_selectorELNS0_4arch9wavefront6targetE1EEEvSE_: ; @_ZN7rocprim17ROCPRIM_400000_NS6detail17trampoline_kernelINS0_14default_configENS1_35radix_sort_onesweep_config_selectorImNS0_10empty_typeEEEZZNS1_29radix_sort_onesweep_iterationIS3_Lb0EPmS8_PS5_S9_mNS0_19identity_decomposerENS1_16block_id_wrapperIjLb0EEEEE10hipError_tT1_PNSt15iterator_traitsISE_E10value_typeET2_T3_PNSF_ISK_E10value_typeET4_T5_PSP_SQ_PNS1_23onesweep_lookback_stateEbbT6_jjT7_P12ihipStream_tbENKUlT_T0_SE_SJ_E_clIS8_S8_S9_S9_EEDaSX_SY_SE_SJ_EUlSX_E_NS1_11comp_targetILNS1_3genE5ELNS1_11target_archE942ELNS1_3gpuE9ELNS1_3repE0EEENS1_47radix_sort_onesweep_sort_config_static_selectorELNS0_4arch9wavefront6targetE1EEEvSE_
; %bb.0:
	.section	.rodata,"a",@progbits
	.p2align	6, 0x0
	.amdhsa_kernel _ZN7rocprim17ROCPRIM_400000_NS6detail17trampoline_kernelINS0_14default_configENS1_35radix_sort_onesweep_config_selectorImNS0_10empty_typeEEEZZNS1_29radix_sort_onesweep_iterationIS3_Lb0EPmS8_PS5_S9_mNS0_19identity_decomposerENS1_16block_id_wrapperIjLb0EEEEE10hipError_tT1_PNSt15iterator_traitsISE_E10value_typeET2_T3_PNSF_ISK_E10value_typeET4_T5_PSP_SQ_PNS1_23onesweep_lookback_stateEbbT6_jjT7_P12ihipStream_tbENKUlT_T0_SE_SJ_E_clIS8_S8_S9_S9_EEDaSX_SY_SE_SJ_EUlSX_E_NS1_11comp_targetILNS1_3genE5ELNS1_11target_archE942ELNS1_3gpuE9ELNS1_3repE0EEENS1_47radix_sort_onesweep_sort_config_static_selectorELNS0_4arch9wavefront6targetE1EEEvSE_
		.amdhsa_group_segment_fixed_size 0
		.amdhsa_private_segment_fixed_size 0
		.amdhsa_kernarg_size 88
		.amdhsa_user_sgpr_count 6
		.amdhsa_user_sgpr_private_segment_buffer 1
		.amdhsa_user_sgpr_dispatch_ptr 0
		.amdhsa_user_sgpr_queue_ptr 0
		.amdhsa_user_sgpr_kernarg_segment_ptr 1
		.amdhsa_user_sgpr_dispatch_id 0
		.amdhsa_user_sgpr_flat_scratch_init 0
		.amdhsa_user_sgpr_kernarg_preload_length 0
		.amdhsa_user_sgpr_kernarg_preload_offset 0
		.amdhsa_user_sgpr_private_segment_size 0
		.amdhsa_uses_dynamic_stack 0
		.amdhsa_system_sgpr_private_segment_wavefront_offset 0
		.amdhsa_system_sgpr_workgroup_id_x 1
		.amdhsa_system_sgpr_workgroup_id_y 0
		.amdhsa_system_sgpr_workgroup_id_z 0
		.amdhsa_system_sgpr_workgroup_info 0
		.amdhsa_system_vgpr_workitem_id 0
		.amdhsa_next_free_vgpr 1
		.amdhsa_next_free_sgpr 0
		.amdhsa_accum_offset 4
		.amdhsa_reserve_vcc 0
		.amdhsa_reserve_flat_scratch 0
		.amdhsa_float_round_mode_32 0
		.amdhsa_float_round_mode_16_64 0
		.amdhsa_float_denorm_mode_32 3
		.amdhsa_float_denorm_mode_16_64 3
		.amdhsa_dx10_clamp 1
		.amdhsa_ieee_mode 1
		.amdhsa_fp16_overflow 0
		.amdhsa_tg_split 0
		.amdhsa_exception_fp_ieee_invalid_op 0
		.amdhsa_exception_fp_denorm_src 0
		.amdhsa_exception_fp_ieee_div_zero 0
		.amdhsa_exception_fp_ieee_overflow 0
		.amdhsa_exception_fp_ieee_underflow 0
		.amdhsa_exception_fp_ieee_inexact 0
		.amdhsa_exception_int_div_zero 0
	.end_amdhsa_kernel
	.section	.text._ZN7rocprim17ROCPRIM_400000_NS6detail17trampoline_kernelINS0_14default_configENS1_35radix_sort_onesweep_config_selectorImNS0_10empty_typeEEEZZNS1_29radix_sort_onesweep_iterationIS3_Lb0EPmS8_PS5_S9_mNS0_19identity_decomposerENS1_16block_id_wrapperIjLb0EEEEE10hipError_tT1_PNSt15iterator_traitsISE_E10value_typeET2_T3_PNSF_ISK_E10value_typeET4_T5_PSP_SQ_PNS1_23onesweep_lookback_stateEbbT6_jjT7_P12ihipStream_tbENKUlT_T0_SE_SJ_E_clIS8_S8_S9_S9_EEDaSX_SY_SE_SJ_EUlSX_E_NS1_11comp_targetILNS1_3genE5ELNS1_11target_archE942ELNS1_3gpuE9ELNS1_3repE0EEENS1_47radix_sort_onesweep_sort_config_static_selectorELNS0_4arch9wavefront6targetE1EEEvSE_,"axG",@progbits,_ZN7rocprim17ROCPRIM_400000_NS6detail17trampoline_kernelINS0_14default_configENS1_35radix_sort_onesweep_config_selectorImNS0_10empty_typeEEEZZNS1_29radix_sort_onesweep_iterationIS3_Lb0EPmS8_PS5_S9_mNS0_19identity_decomposerENS1_16block_id_wrapperIjLb0EEEEE10hipError_tT1_PNSt15iterator_traitsISE_E10value_typeET2_T3_PNSF_ISK_E10value_typeET4_T5_PSP_SQ_PNS1_23onesweep_lookback_stateEbbT6_jjT7_P12ihipStream_tbENKUlT_T0_SE_SJ_E_clIS8_S8_S9_S9_EEDaSX_SY_SE_SJ_EUlSX_E_NS1_11comp_targetILNS1_3genE5ELNS1_11target_archE942ELNS1_3gpuE9ELNS1_3repE0EEENS1_47radix_sort_onesweep_sort_config_static_selectorELNS0_4arch9wavefront6targetE1EEEvSE_,comdat
.Lfunc_end991:
	.size	_ZN7rocprim17ROCPRIM_400000_NS6detail17trampoline_kernelINS0_14default_configENS1_35radix_sort_onesweep_config_selectorImNS0_10empty_typeEEEZZNS1_29radix_sort_onesweep_iterationIS3_Lb0EPmS8_PS5_S9_mNS0_19identity_decomposerENS1_16block_id_wrapperIjLb0EEEEE10hipError_tT1_PNSt15iterator_traitsISE_E10value_typeET2_T3_PNSF_ISK_E10value_typeET4_T5_PSP_SQ_PNS1_23onesweep_lookback_stateEbbT6_jjT7_P12ihipStream_tbENKUlT_T0_SE_SJ_E_clIS8_S8_S9_S9_EEDaSX_SY_SE_SJ_EUlSX_E_NS1_11comp_targetILNS1_3genE5ELNS1_11target_archE942ELNS1_3gpuE9ELNS1_3repE0EEENS1_47radix_sort_onesweep_sort_config_static_selectorELNS0_4arch9wavefront6targetE1EEEvSE_, .Lfunc_end991-_ZN7rocprim17ROCPRIM_400000_NS6detail17trampoline_kernelINS0_14default_configENS1_35radix_sort_onesweep_config_selectorImNS0_10empty_typeEEEZZNS1_29radix_sort_onesweep_iterationIS3_Lb0EPmS8_PS5_S9_mNS0_19identity_decomposerENS1_16block_id_wrapperIjLb0EEEEE10hipError_tT1_PNSt15iterator_traitsISE_E10value_typeET2_T3_PNSF_ISK_E10value_typeET4_T5_PSP_SQ_PNS1_23onesweep_lookback_stateEbbT6_jjT7_P12ihipStream_tbENKUlT_T0_SE_SJ_E_clIS8_S8_S9_S9_EEDaSX_SY_SE_SJ_EUlSX_E_NS1_11comp_targetILNS1_3genE5ELNS1_11target_archE942ELNS1_3gpuE9ELNS1_3repE0EEENS1_47radix_sort_onesweep_sort_config_static_selectorELNS0_4arch9wavefront6targetE1EEEvSE_
                                        ; -- End function
	.section	.AMDGPU.csdata,"",@progbits
; Kernel info:
; codeLenInByte = 0
; NumSgprs: 4
; NumVgprs: 0
; NumAgprs: 0
; TotalNumVgprs: 0
; ScratchSize: 0
; MemoryBound: 0
; FloatMode: 240
; IeeeMode: 1
; LDSByteSize: 0 bytes/workgroup (compile time only)
; SGPRBlocks: 0
; VGPRBlocks: 0
; NumSGPRsForWavesPerEU: 4
; NumVGPRsForWavesPerEU: 1
; AccumOffset: 4
; Occupancy: 8
; WaveLimiterHint : 0
; COMPUTE_PGM_RSRC2:SCRATCH_EN: 0
; COMPUTE_PGM_RSRC2:USER_SGPR: 6
; COMPUTE_PGM_RSRC2:TRAP_HANDLER: 0
; COMPUTE_PGM_RSRC2:TGID_X_EN: 1
; COMPUTE_PGM_RSRC2:TGID_Y_EN: 0
; COMPUTE_PGM_RSRC2:TGID_Z_EN: 0
; COMPUTE_PGM_RSRC2:TIDIG_COMP_CNT: 0
; COMPUTE_PGM_RSRC3_GFX90A:ACCUM_OFFSET: 0
; COMPUTE_PGM_RSRC3_GFX90A:TG_SPLIT: 0
	.section	.text._ZN7rocprim17ROCPRIM_400000_NS6detail17trampoline_kernelINS0_14default_configENS1_35radix_sort_onesweep_config_selectorImNS0_10empty_typeEEEZZNS1_29radix_sort_onesweep_iterationIS3_Lb0EPmS8_PS5_S9_mNS0_19identity_decomposerENS1_16block_id_wrapperIjLb0EEEEE10hipError_tT1_PNSt15iterator_traitsISE_E10value_typeET2_T3_PNSF_ISK_E10value_typeET4_T5_PSP_SQ_PNS1_23onesweep_lookback_stateEbbT6_jjT7_P12ihipStream_tbENKUlT_T0_SE_SJ_E_clIS8_S8_S9_S9_EEDaSX_SY_SE_SJ_EUlSX_E_NS1_11comp_targetILNS1_3genE2ELNS1_11target_archE906ELNS1_3gpuE6ELNS1_3repE0EEENS1_47radix_sort_onesweep_sort_config_static_selectorELNS0_4arch9wavefront6targetE1EEEvSE_,"axG",@progbits,_ZN7rocprim17ROCPRIM_400000_NS6detail17trampoline_kernelINS0_14default_configENS1_35radix_sort_onesweep_config_selectorImNS0_10empty_typeEEEZZNS1_29radix_sort_onesweep_iterationIS3_Lb0EPmS8_PS5_S9_mNS0_19identity_decomposerENS1_16block_id_wrapperIjLb0EEEEE10hipError_tT1_PNSt15iterator_traitsISE_E10value_typeET2_T3_PNSF_ISK_E10value_typeET4_T5_PSP_SQ_PNS1_23onesweep_lookback_stateEbbT6_jjT7_P12ihipStream_tbENKUlT_T0_SE_SJ_E_clIS8_S8_S9_S9_EEDaSX_SY_SE_SJ_EUlSX_E_NS1_11comp_targetILNS1_3genE2ELNS1_11target_archE906ELNS1_3gpuE6ELNS1_3repE0EEENS1_47radix_sort_onesweep_sort_config_static_selectorELNS0_4arch9wavefront6targetE1EEEvSE_,comdat
	.protected	_ZN7rocprim17ROCPRIM_400000_NS6detail17trampoline_kernelINS0_14default_configENS1_35radix_sort_onesweep_config_selectorImNS0_10empty_typeEEEZZNS1_29radix_sort_onesweep_iterationIS3_Lb0EPmS8_PS5_S9_mNS0_19identity_decomposerENS1_16block_id_wrapperIjLb0EEEEE10hipError_tT1_PNSt15iterator_traitsISE_E10value_typeET2_T3_PNSF_ISK_E10value_typeET4_T5_PSP_SQ_PNS1_23onesweep_lookback_stateEbbT6_jjT7_P12ihipStream_tbENKUlT_T0_SE_SJ_E_clIS8_S8_S9_S9_EEDaSX_SY_SE_SJ_EUlSX_E_NS1_11comp_targetILNS1_3genE2ELNS1_11target_archE906ELNS1_3gpuE6ELNS1_3repE0EEENS1_47radix_sort_onesweep_sort_config_static_selectorELNS0_4arch9wavefront6targetE1EEEvSE_ ; -- Begin function _ZN7rocprim17ROCPRIM_400000_NS6detail17trampoline_kernelINS0_14default_configENS1_35radix_sort_onesweep_config_selectorImNS0_10empty_typeEEEZZNS1_29radix_sort_onesweep_iterationIS3_Lb0EPmS8_PS5_S9_mNS0_19identity_decomposerENS1_16block_id_wrapperIjLb0EEEEE10hipError_tT1_PNSt15iterator_traitsISE_E10value_typeET2_T3_PNSF_ISK_E10value_typeET4_T5_PSP_SQ_PNS1_23onesweep_lookback_stateEbbT6_jjT7_P12ihipStream_tbENKUlT_T0_SE_SJ_E_clIS8_S8_S9_S9_EEDaSX_SY_SE_SJ_EUlSX_E_NS1_11comp_targetILNS1_3genE2ELNS1_11target_archE906ELNS1_3gpuE6ELNS1_3repE0EEENS1_47radix_sort_onesweep_sort_config_static_selectorELNS0_4arch9wavefront6targetE1EEEvSE_
	.globl	_ZN7rocprim17ROCPRIM_400000_NS6detail17trampoline_kernelINS0_14default_configENS1_35radix_sort_onesweep_config_selectorImNS0_10empty_typeEEEZZNS1_29radix_sort_onesweep_iterationIS3_Lb0EPmS8_PS5_S9_mNS0_19identity_decomposerENS1_16block_id_wrapperIjLb0EEEEE10hipError_tT1_PNSt15iterator_traitsISE_E10value_typeET2_T3_PNSF_ISK_E10value_typeET4_T5_PSP_SQ_PNS1_23onesweep_lookback_stateEbbT6_jjT7_P12ihipStream_tbENKUlT_T0_SE_SJ_E_clIS8_S8_S9_S9_EEDaSX_SY_SE_SJ_EUlSX_E_NS1_11comp_targetILNS1_3genE2ELNS1_11target_archE906ELNS1_3gpuE6ELNS1_3repE0EEENS1_47radix_sort_onesweep_sort_config_static_selectorELNS0_4arch9wavefront6targetE1EEEvSE_
	.p2align	8
	.type	_ZN7rocprim17ROCPRIM_400000_NS6detail17trampoline_kernelINS0_14default_configENS1_35radix_sort_onesweep_config_selectorImNS0_10empty_typeEEEZZNS1_29radix_sort_onesweep_iterationIS3_Lb0EPmS8_PS5_S9_mNS0_19identity_decomposerENS1_16block_id_wrapperIjLb0EEEEE10hipError_tT1_PNSt15iterator_traitsISE_E10value_typeET2_T3_PNSF_ISK_E10value_typeET4_T5_PSP_SQ_PNS1_23onesweep_lookback_stateEbbT6_jjT7_P12ihipStream_tbENKUlT_T0_SE_SJ_E_clIS8_S8_S9_S9_EEDaSX_SY_SE_SJ_EUlSX_E_NS1_11comp_targetILNS1_3genE2ELNS1_11target_archE906ELNS1_3gpuE6ELNS1_3repE0EEENS1_47radix_sort_onesweep_sort_config_static_selectorELNS0_4arch9wavefront6targetE1EEEvSE_,@function
_ZN7rocprim17ROCPRIM_400000_NS6detail17trampoline_kernelINS0_14default_configENS1_35radix_sort_onesweep_config_selectorImNS0_10empty_typeEEEZZNS1_29radix_sort_onesweep_iterationIS3_Lb0EPmS8_PS5_S9_mNS0_19identity_decomposerENS1_16block_id_wrapperIjLb0EEEEE10hipError_tT1_PNSt15iterator_traitsISE_E10value_typeET2_T3_PNSF_ISK_E10value_typeET4_T5_PSP_SQ_PNS1_23onesweep_lookback_stateEbbT6_jjT7_P12ihipStream_tbENKUlT_T0_SE_SJ_E_clIS8_S8_S9_S9_EEDaSX_SY_SE_SJ_EUlSX_E_NS1_11comp_targetILNS1_3genE2ELNS1_11target_archE906ELNS1_3gpuE6ELNS1_3repE0EEENS1_47radix_sort_onesweep_sort_config_static_selectorELNS0_4arch9wavefront6targetE1EEEvSE_: ; @_ZN7rocprim17ROCPRIM_400000_NS6detail17trampoline_kernelINS0_14default_configENS1_35radix_sort_onesweep_config_selectorImNS0_10empty_typeEEEZZNS1_29radix_sort_onesweep_iterationIS3_Lb0EPmS8_PS5_S9_mNS0_19identity_decomposerENS1_16block_id_wrapperIjLb0EEEEE10hipError_tT1_PNSt15iterator_traitsISE_E10value_typeET2_T3_PNSF_ISK_E10value_typeET4_T5_PSP_SQ_PNS1_23onesweep_lookback_stateEbbT6_jjT7_P12ihipStream_tbENKUlT_T0_SE_SJ_E_clIS8_S8_S9_S9_EEDaSX_SY_SE_SJ_EUlSX_E_NS1_11comp_targetILNS1_3genE2ELNS1_11target_archE906ELNS1_3gpuE6ELNS1_3repE0EEENS1_47radix_sort_onesweep_sort_config_static_selectorELNS0_4arch9wavefront6targetE1EEEvSE_
; %bb.0:
	.section	.rodata,"a",@progbits
	.p2align	6, 0x0
	.amdhsa_kernel _ZN7rocprim17ROCPRIM_400000_NS6detail17trampoline_kernelINS0_14default_configENS1_35radix_sort_onesweep_config_selectorImNS0_10empty_typeEEEZZNS1_29radix_sort_onesweep_iterationIS3_Lb0EPmS8_PS5_S9_mNS0_19identity_decomposerENS1_16block_id_wrapperIjLb0EEEEE10hipError_tT1_PNSt15iterator_traitsISE_E10value_typeET2_T3_PNSF_ISK_E10value_typeET4_T5_PSP_SQ_PNS1_23onesweep_lookback_stateEbbT6_jjT7_P12ihipStream_tbENKUlT_T0_SE_SJ_E_clIS8_S8_S9_S9_EEDaSX_SY_SE_SJ_EUlSX_E_NS1_11comp_targetILNS1_3genE2ELNS1_11target_archE906ELNS1_3gpuE6ELNS1_3repE0EEENS1_47radix_sort_onesweep_sort_config_static_selectorELNS0_4arch9wavefront6targetE1EEEvSE_
		.amdhsa_group_segment_fixed_size 0
		.amdhsa_private_segment_fixed_size 0
		.amdhsa_kernarg_size 88
		.amdhsa_user_sgpr_count 6
		.amdhsa_user_sgpr_private_segment_buffer 1
		.amdhsa_user_sgpr_dispatch_ptr 0
		.amdhsa_user_sgpr_queue_ptr 0
		.amdhsa_user_sgpr_kernarg_segment_ptr 1
		.amdhsa_user_sgpr_dispatch_id 0
		.amdhsa_user_sgpr_flat_scratch_init 0
		.amdhsa_user_sgpr_kernarg_preload_length 0
		.amdhsa_user_sgpr_kernarg_preload_offset 0
		.amdhsa_user_sgpr_private_segment_size 0
		.amdhsa_uses_dynamic_stack 0
		.amdhsa_system_sgpr_private_segment_wavefront_offset 0
		.amdhsa_system_sgpr_workgroup_id_x 1
		.amdhsa_system_sgpr_workgroup_id_y 0
		.amdhsa_system_sgpr_workgroup_id_z 0
		.amdhsa_system_sgpr_workgroup_info 0
		.amdhsa_system_vgpr_workitem_id 0
		.amdhsa_next_free_vgpr 1
		.amdhsa_next_free_sgpr 0
		.amdhsa_accum_offset 4
		.amdhsa_reserve_vcc 0
		.amdhsa_reserve_flat_scratch 0
		.amdhsa_float_round_mode_32 0
		.amdhsa_float_round_mode_16_64 0
		.amdhsa_float_denorm_mode_32 3
		.amdhsa_float_denorm_mode_16_64 3
		.amdhsa_dx10_clamp 1
		.amdhsa_ieee_mode 1
		.amdhsa_fp16_overflow 0
		.amdhsa_tg_split 0
		.amdhsa_exception_fp_ieee_invalid_op 0
		.amdhsa_exception_fp_denorm_src 0
		.amdhsa_exception_fp_ieee_div_zero 0
		.amdhsa_exception_fp_ieee_overflow 0
		.amdhsa_exception_fp_ieee_underflow 0
		.amdhsa_exception_fp_ieee_inexact 0
		.amdhsa_exception_int_div_zero 0
	.end_amdhsa_kernel
	.section	.text._ZN7rocprim17ROCPRIM_400000_NS6detail17trampoline_kernelINS0_14default_configENS1_35radix_sort_onesweep_config_selectorImNS0_10empty_typeEEEZZNS1_29radix_sort_onesweep_iterationIS3_Lb0EPmS8_PS5_S9_mNS0_19identity_decomposerENS1_16block_id_wrapperIjLb0EEEEE10hipError_tT1_PNSt15iterator_traitsISE_E10value_typeET2_T3_PNSF_ISK_E10value_typeET4_T5_PSP_SQ_PNS1_23onesweep_lookback_stateEbbT6_jjT7_P12ihipStream_tbENKUlT_T0_SE_SJ_E_clIS8_S8_S9_S9_EEDaSX_SY_SE_SJ_EUlSX_E_NS1_11comp_targetILNS1_3genE2ELNS1_11target_archE906ELNS1_3gpuE6ELNS1_3repE0EEENS1_47radix_sort_onesweep_sort_config_static_selectorELNS0_4arch9wavefront6targetE1EEEvSE_,"axG",@progbits,_ZN7rocprim17ROCPRIM_400000_NS6detail17trampoline_kernelINS0_14default_configENS1_35radix_sort_onesweep_config_selectorImNS0_10empty_typeEEEZZNS1_29radix_sort_onesweep_iterationIS3_Lb0EPmS8_PS5_S9_mNS0_19identity_decomposerENS1_16block_id_wrapperIjLb0EEEEE10hipError_tT1_PNSt15iterator_traitsISE_E10value_typeET2_T3_PNSF_ISK_E10value_typeET4_T5_PSP_SQ_PNS1_23onesweep_lookback_stateEbbT6_jjT7_P12ihipStream_tbENKUlT_T0_SE_SJ_E_clIS8_S8_S9_S9_EEDaSX_SY_SE_SJ_EUlSX_E_NS1_11comp_targetILNS1_3genE2ELNS1_11target_archE906ELNS1_3gpuE6ELNS1_3repE0EEENS1_47radix_sort_onesweep_sort_config_static_selectorELNS0_4arch9wavefront6targetE1EEEvSE_,comdat
.Lfunc_end992:
	.size	_ZN7rocprim17ROCPRIM_400000_NS6detail17trampoline_kernelINS0_14default_configENS1_35radix_sort_onesweep_config_selectorImNS0_10empty_typeEEEZZNS1_29radix_sort_onesweep_iterationIS3_Lb0EPmS8_PS5_S9_mNS0_19identity_decomposerENS1_16block_id_wrapperIjLb0EEEEE10hipError_tT1_PNSt15iterator_traitsISE_E10value_typeET2_T3_PNSF_ISK_E10value_typeET4_T5_PSP_SQ_PNS1_23onesweep_lookback_stateEbbT6_jjT7_P12ihipStream_tbENKUlT_T0_SE_SJ_E_clIS8_S8_S9_S9_EEDaSX_SY_SE_SJ_EUlSX_E_NS1_11comp_targetILNS1_3genE2ELNS1_11target_archE906ELNS1_3gpuE6ELNS1_3repE0EEENS1_47radix_sort_onesweep_sort_config_static_selectorELNS0_4arch9wavefront6targetE1EEEvSE_, .Lfunc_end992-_ZN7rocprim17ROCPRIM_400000_NS6detail17trampoline_kernelINS0_14default_configENS1_35radix_sort_onesweep_config_selectorImNS0_10empty_typeEEEZZNS1_29radix_sort_onesweep_iterationIS3_Lb0EPmS8_PS5_S9_mNS0_19identity_decomposerENS1_16block_id_wrapperIjLb0EEEEE10hipError_tT1_PNSt15iterator_traitsISE_E10value_typeET2_T3_PNSF_ISK_E10value_typeET4_T5_PSP_SQ_PNS1_23onesweep_lookback_stateEbbT6_jjT7_P12ihipStream_tbENKUlT_T0_SE_SJ_E_clIS8_S8_S9_S9_EEDaSX_SY_SE_SJ_EUlSX_E_NS1_11comp_targetILNS1_3genE2ELNS1_11target_archE906ELNS1_3gpuE6ELNS1_3repE0EEENS1_47radix_sort_onesweep_sort_config_static_selectorELNS0_4arch9wavefront6targetE1EEEvSE_
                                        ; -- End function
	.section	.AMDGPU.csdata,"",@progbits
; Kernel info:
; codeLenInByte = 0
; NumSgprs: 4
; NumVgprs: 0
; NumAgprs: 0
; TotalNumVgprs: 0
; ScratchSize: 0
; MemoryBound: 0
; FloatMode: 240
; IeeeMode: 1
; LDSByteSize: 0 bytes/workgroup (compile time only)
; SGPRBlocks: 0
; VGPRBlocks: 0
; NumSGPRsForWavesPerEU: 4
; NumVGPRsForWavesPerEU: 1
; AccumOffset: 4
; Occupancy: 8
; WaveLimiterHint : 0
; COMPUTE_PGM_RSRC2:SCRATCH_EN: 0
; COMPUTE_PGM_RSRC2:USER_SGPR: 6
; COMPUTE_PGM_RSRC2:TRAP_HANDLER: 0
; COMPUTE_PGM_RSRC2:TGID_X_EN: 1
; COMPUTE_PGM_RSRC2:TGID_Y_EN: 0
; COMPUTE_PGM_RSRC2:TGID_Z_EN: 0
; COMPUTE_PGM_RSRC2:TIDIG_COMP_CNT: 0
; COMPUTE_PGM_RSRC3_GFX90A:ACCUM_OFFSET: 0
; COMPUTE_PGM_RSRC3_GFX90A:TG_SPLIT: 0
	.section	.text._ZN7rocprim17ROCPRIM_400000_NS6detail17trampoline_kernelINS0_14default_configENS1_35radix_sort_onesweep_config_selectorImNS0_10empty_typeEEEZZNS1_29radix_sort_onesweep_iterationIS3_Lb0EPmS8_PS5_S9_mNS0_19identity_decomposerENS1_16block_id_wrapperIjLb0EEEEE10hipError_tT1_PNSt15iterator_traitsISE_E10value_typeET2_T3_PNSF_ISK_E10value_typeET4_T5_PSP_SQ_PNS1_23onesweep_lookback_stateEbbT6_jjT7_P12ihipStream_tbENKUlT_T0_SE_SJ_E_clIS8_S8_S9_S9_EEDaSX_SY_SE_SJ_EUlSX_E_NS1_11comp_targetILNS1_3genE4ELNS1_11target_archE910ELNS1_3gpuE8ELNS1_3repE0EEENS1_47radix_sort_onesweep_sort_config_static_selectorELNS0_4arch9wavefront6targetE1EEEvSE_,"axG",@progbits,_ZN7rocprim17ROCPRIM_400000_NS6detail17trampoline_kernelINS0_14default_configENS1_35radix_sort_onesweep_config_selectorImNS0_10empty_typeEEEZZNS1_29radix_sort_onesweep_iterationIS3_Lb0EPmS8_PS5_S9_mNS0_19identity_decomposerENS1_16block_id_wrapperIjLb0EEEEE10hipError_tT1_PNSt15iterator_traitsISE_E10value_typeET2_T3_PNSF_ISK_E10value_typeET4_T5_PSP_SQ_PNS1_23onesweep_lookback_stateEbbT6_jjT7_P12ihipStream_tbENKUlT_T0_SE_SJ_E_clIS8_S8_S9_S9_EEDaSX_SY_SE_SJ_EUlSX_E_NS1_11comp_targetILNS1_3genE4ELNS1_11target_archE910ELNS1_3gpuE8ELNS1_3repE0EEENS1_47radix_sort_onesweep_sort_config_static_selectorELNS0_4arch9wavefront6targetE1EEEvSE_,comdat
	.protected	_ZN7rocprim17ROCPRIM_400000_NS6detail17trampoline_kernelINS0_14default_configENS1_35radix_sort_onesweep_config_selectorImNS0_10empty_typeEEEZZNS1_29radix_sort_onesweep_iterationIS3_Lb0EPmS8_PS5_S9_mNS0_19identity_decomposerENS1_16block_id_wrapperIjLb0EEEEE10hipError_tT1_PNSt15iterator_traitsISE_E10value_typeET2_T3_PNSF_ISK_E10value_typeET4_T5_PSP_SQ_PNS1_23onesweep_lookback_stateEbbT6_jjT7_P12ihipStream_tbENKUlT_T0_SE_SJ_E_clIS8_S8_S9_S9_EEDaSX_SY_SE_SJ_EUlSX_E_NS1_11comp_targetILNS1_3genE4ELNS1_11target_archE910ELNS1_3gpuE8ELNS1_3repE0EEENS1_47radix_sort_onesweep_sort_config_static_selectorELNS0_4arch9wavefront6targetE1EEEvSE_ ; -- Begin function _ZN7rocprim17ROCPRIM_400000_NS6detail17trampoline_kernelINS0_14default_configENS1_35radix_sort_onesweep_config_selectorImNS0_10empty_typeEEEZZNS1_29radix_sort_onesweep_iterationIS3_Lb0EPmS8_PS5_S9_mNS0_19identity_decomposerENS1_16block_id_wrapperIjLb0EEEEE10hipError_tT1_PNSt15iterator_traitsISE_E10value_typeET2_T3_PNSF_ISK_E10value_typeET4_T5_PSP_SQ_PNS1_23onesweep_lookback_stateEbbT6_jjT7_P12ihipStream_tbENKUlT_T0_SE_SJ_E_clIS8_S8_S9_S9_EEDaSX_SY_SE_SJ_EUlSX_E_NS1_11comp_targetILNS1_3genE4ELNS1_11target_archE910ELNS1_3gpuE8ELNS1_3repE0EEENS1_47radix_sort_onesweep_sort_config_static_selectorELNS0_4arch9wavefront6targetE1EEEvSE_
	.globl	_ZN7rocprim17ROCPRIM_400000_NS6detail17trampoline_kernelINS0_14default_configENS1_35radix_sort_onesweep_config_selectorImNS0_10empty_typeEEEZZNS1_29radix_sort_onesweep_iterationIS3_Lb0EPmS8_PS5_S9_mNS0_19identity_decomposerENS1_16block_id_wrapperIjLb0EEEEE10hipError_tT1_PNSt15iterator_traitsISE_E10value_typeET2_T3_PNSF_ISK_E10value_typeET4_T5_PSP_SQ_PNS1_23onesweep_lookback_stateEbbT6_jjT7_P12ihipStream_tbENKUlT_T0_SE_SJ_E_clIS8_S8_S9_S9_EEDaSX_SY_SE_SJ_EUlSX_E_NS1_11comp_targetILNS1_3genE4ELNS1_11target_archE910ELNS1_3gpuE8ELNS1_3repE0EEENS1_47radix_sort_onesweep_sort_config_static_selectorELNS0_4arch9wavefront6targetE1EEEvSE_
	.p2align	8
	.type	_ZN7rocprim17ROCPRIM_400000_NS6detail17trampoline_kernelINS0_14default_configENS1_35radix_sort_onesweep_config_selectorImNS0_10empty_typeEEEZZNS1_29radix_sort_onesweep_iterationIS3_Lb0EPmS8_PS5_S9_mNS0_19identity_decomposerENS1_16block_id_wrapperIjLb0EEEEE10hipError_tT1_PNSt15iterator_traitsISE_E10value_typeET2_T3_PNSF_ISK_E10value_typeET4_T5_PSP_SQ_PNS1_23onesweep_lookback_stateEbbT6_jjT7_P12ihipStream_tbENKUlT_T0_SE_SJ_E_clIS8_S8_S9_S9_EEDaSX_SY_SE_SJ_EUlSX_E_NS1_11comp_targetILNS1_3genE4ELNS1_11target_archE910ELNS1_3gpuE8ELNS1_3repE0EEENS1_47radix_sort_onesweep_sort_config_static_selectorELNS0_4arch9wavefront6targetE1EEEvSE_,@function
_ZN7rocprim17ROCPRIM_400000_NS6detail17trampoline_kernelINS0_14default_configENS1_35radix_sort_onesweep_config_selectorImNS0_10empty_typeEEEZZNS1_29radix_sort_onesweep_iterationIS3_Lb0EPmS8_PS5_S9_mNS0_19identity_decomposerENS1_16block_id_wrapperIjLb0EEEEE10hipError_tT1_PNSt15iterator_traitsISE_E10value_typeET2_T3_PNSF_ISK_E10value_typeET4_T5_PSP_SQ_PNS1_23onesweep_lookback_stateEbbT6_jjT7_P12ihipStream_tbENKUlT_T0_SE_SJ_E_clIS8_S8_S9_S9_EEDaSX_SY_SE_SJ_EUlSX_E_NS1_11comp_targetILNS1_3genE4ELNS1_11target_archE910ELNS1_3gpuE8ELNS1_3repE0EEENS1_47radix_sort_onesweep_sort_config_static_selectorELNS0_4arch9wavefront6targetE1EEEvSE_: ; @_ZN7rocprim17ROCPRIM_400000_NS6detail17trampoline_kernelINS0_14default_configENS1_35radix_sort_onesweep_config_selectorImNS0_10empty_typeEEEZZNS1_29radix_sort_onesweep_iterationIS3_Lb0EPmS8_PS5_S9_mNS0_19identity_decomposerENS1_16block_id_wrapperIjLb0EEEEE10hipError_tT1_PNSt15iterator_traitsISE_E10value_typeET2_T3_PNSF_ISK_E10value_typeET4_T5_PSP_SQ_PNS1_23onesweep_lookback_stateEbbT6_jjT7_P12ihipStream_tbENKUlT_T0_SE_SJ_E_clIS8_S8_S9_S9_EEDaSX_SY_SE_SJ_EUlSX_E_NS1_11comp_targetILNS1_3genE4ELNS1_11target_archE910ELNS1_3gpuE8ELNS1_3repE0EEENS1_47radix_sort_onesweep_sort_config_static_selectorELNS0_4arch9wavefront6targetE1EEEvSE_
; %bb.0:
	s_load_dwordx2 s[24:25], s[4:5], 0x38
	s_load_dwordx4 s[16:19], s[4:5], 0x44
	s_load_dwordx4 s[20:23], s[4:5], 0x0
	;; [unrolled: 1-line block ×3, first 2 shown]
	v_mbcnt_lo_u32_b32 v28, -1, 0
	s_waitcnt lgkmcnt(0)
	s_cmp_ge_u32 s6, s18
	s_cbranch_scc0 .LBB993_61
; %bb.1:
	s_load_dword s2, s[4:5], 0x20
	s_lshl_b32 s3, s18, 13
	s_lshl_b32 s0, s6, 13
	s_mov_b32 s1, 0
	s_lshl_b64 s[0:1], s[0:1], 3
	s_waitcnt lgkmcnt(0)
	s_sub_i32 s7, s2, s3
	v_mbcnt_hi_u32_b32 v1, -1, v28
	v_and_b32_e32 v2, 0x3ff, v0
	s_add_u32 s0, s20, s0
	v_and_b32_e32 v3, 63, v1
	s_addc_u32 s1, s21, s1
	v_lshlrev_b32_e32 v29, 3, v2
	v_lshlrev_b32_e32 v5, 3, v3
	v_and_b32_e32 v4, 0x1e00, v29
	v_mov_b32_e32 v6, s1
	v_add_co_u32_e32 v5, vcc, s0, v5
	v_addc_co_u32_e32 v6, vcc, 0, v6, vcc
	v_lshlrev_b32_e32 v7, 3, v4
	v_add_co_u32_e32 v20, vcc, v5, v7
	v_addc_co_u32_e32 v21, vcc, 0, v6, vcc
	v_or_b32_e32 v3, v3, v4
	v_pk_mov_b32 v[4:5], -1, -1
	v_cmp_gt_u32_e32 vcc, s7, v3
	v_pk_mov_b32 v[6:7], v[4:5], v[4:5] op_sel:[0,1]
	s_and_saveexec_b64 s[0:1], vcc
	s_cbranch_execz .LBB993_3
; %bb.2:
	global_load_dwordx2 v[6:7], v[20:21], off
.LBB993_3:
	s_or_b64 exec, exec, s[0:1]
	v_or_b32_e32 v8, 64, v3
	v_cmp_gt_u32_e32 vcc, s7, v8
	s_and_saveexec_b64 s[0:1], vcc
	s_cbranch_execz .LBB993_5
; %bb.4:
	global_load_dwordx2 v[4:5], v[20:21], off offset:512
.LBB993_5:
	s_or_b64 exec, exec, s[0:1]
	v_or_b32_e32 v8, 0x80, v3
	v_cmp_gt_u32_e32 vcc, s7, v8
	v_pk_mov_b32 v[8:9], -1, -1
	v_pk_mov_b32 v[10:11], v[8:9], v[8:9] op_sel:[0,1]
	s_and_saveexec_b64 s[0:1], vcc
	s_cbranch_execz .LBB993_7
; %bb.6:
	global_load_dwordx2 v[10:11], v[20:21], off offset:1024
.LBB993_7:
	s_or_b64 exec, exec, s[0:1]
	v_or_b32_e32 v12, 0xc0, v3
	v_cmp_gt_u32_e32 vcc, s7, v12
	s_and_saveexec_b64 s[0:1], vcc
	s_cbranch_execz .LBB993_9
; %bb.8:
	global_load_dwordx2 v[8:9], v[20:21], off offset:1536
.LBB993_9:
	s_or_b64 exec, exec, s[0:1]
	v_or_b32_e32 v12, 0x100, v3
	v_cmp_gt_u32_e32 vcc, s7, v12
	v_pk_mov_b32 v[12:13], -1, -1
	v_pk_mov_b32 v[14:15], v[12:13], v[12:13] op_sel:[0,1]
	s_and_saveexec_b64 s[0:1], vcc
	s_cbranch_execz .LBB993_11
; %bb.10:
	global_load_dwordx2 v[14:15], v[20:21], off offset:2048
.LBB993_11:
	;; [unrolled: 18-line block ×3, first 2 shown]
	s_or_b64 exec, exec, s[0:1]
	v_or_b32_e32 v3, 0x1c0, v3
	v_cmp_gt_u32_e32 vcc, s7, v3
	s_and_saveexec_b64 s[0:1], vcc
	s_cbranch_execz .LBB993_17
; %bb.16:
	global_load_dwordx2 v[16:17], v[20:21], off offset:3584
.LBB993_17:
	s_or_b64 exec, exec, s[0:1]
	s_load_dword s0, s[4:5], 0x64
	s_load_dword s26, s[4:5], 0x58
	s_add_u32 s1, s4, 0x58
	s_addc_u32 s2, s5, 0
	v_mov_b32_e32 v20, 0
	s_waitcnt lgkmcnt(0)
	s_lshr_b32 s3, s0, 16
	s_cmp_lt_u32 s6, s26
	s_cselect_b32 s0, 12, 18
	s_add_u32 s0, s1, s0
	s_addc_u32 s1, s2, 0
	global_load_ushort v24, v20, s[0:1]
	s_lshl_b32 s0, -1, s17
	s_waitcnt vmcnt(1)
	v_lshrrev_b64 v[22:23], s16, v[6:7]
	s_not_b32 s27, s0
	v_and_b32_e32 v22, s27, v22
	v_and_b32_e32 v26, 1, v22
	v_bfe_u32 v21, v0, 10, 10
	v_bfe_u32 v25, v0, 20, 10
	v_add_co_u32_e32 v27, vcc, -1, v26
	v_mad_u32_u24 v23, v25, s3, v21
	v_lshlrev_b32_e32 v21, 30, v22
	v_addc_co_u32_e64 v30, s[0:1], 0, -1, vcc
	v_cmp_ne_u32_e32 vcc, 0, v26
	v_cmp_gt_i64_e64 s[0:1], 0, v[20:21]
	v_not_b32_e32 v26, v21
	v_lshlrev_b32_e32 v21, 29, v22
	v_xor_b32_e32 v30, vcc_hi, v30
	v_xor_b32_e32 v27, vcc_lo, v27
	v_ashrrev_i32_e32 v26, 31, v26
	v_cmp_gt_i64_e32 vcc, 0, v[20:21]
	v_not_b32_e32 v31, v21
	v_lshlrev_b32_e32 v21, 28, v22
	v_and_b32_e32 v30, exec_hi, v30
	v_and_b32_e32 v27, exec_lo, v27
	v_xor_b32_e32 v32, s1, v26
	v_xor_b32_e32 v26, s0, v26
	v_ashrrev_i32_e32 v31, 31, v31
	v_cmp_gt_i64_e64 s[0:1], 0, v[20:21]
	v_not_b32_e32 v33, v21
	v_lshlrev_b32_e32 v21, 27, v22
	v_and_b32_e32 v30, v30, v32
	v_and_b32_e32 v26, v27, v26
	v_xor_b32_e32 v27, vcc_hi, v31
	v_xor_b32_e32 v31, vcc_lo, v31
	v_ashrrev_i32_e32 v32, 31, v33
	v_cmp_gt_i64_e32 vcc, 0, v[20:21]
	v_not_b32_e32 v33, v21
	v_lshlrev_b32_e32 v21, 26, v22
	v_and_b32_e32 v27, v30, v27
	v_and_b32_e32 v26, v26, v31
	v_xor_b32_e32 v30, s1, v32
	v_xor_b32_e32 v31, s0, v32
	v_ashrrev_i32_e32 v32, 31, v33
	v_cmp_gt_i64_e64 s[0:1], 0, v[20:21]
	v_not_b32_e32 v33, v21
	v_lshlrev_b32_e32 v21, 25, v22
	v_and_b32_e32 v27, v27, v30
	v_and_b32_e32 v26, v26, v31
	v_xor_b32_e32 v30, vcc_hi, v32
	v_xor_b32_e32 v31, vcc_lo, v32
	v_ashrrev_i32_e32 v32, 31, v33
	v_not_b32_e32 v33, v21
	v_mul_u32_u24_e32 v3, 5, v2
	v_lshl_add_u32 v25, v22, 4, v22
	v_cmp_gt_i64_e32 vcc, 0, v[20:21]
	v_lshlrev_b32_e32 v21, 24, v22
	v_and_b32_e32 v22, v27, v30
	v_and_b32_e32 v26, v26, v31
	v_xor_b32_e32 v27, s1, v32
	v_ashrrev_i32_e32 v31, 31, v33
	v_lshlrev_b32_e32 v3, 2, v3
	v_xor_b32_e32 v30, s0, v32
	v_cmp_gt_i64_e64 s[0:1], 0, v[20:21]
	v_not_b32_e32 v21, v21
	v_and_b32_e32 v22, v22, v27
	v_xor_b32_e32 v27, vcc_hi, v31
	v_and_b32_e32 v26, v26, v30
	v_xor_b32_e32 v30, vcc_lo, v31
	v_ashrrev_i32_e32 v21, 31, v21
	v_and_b32_e32 v31, v22, v27
	v_and_b32_e32 v26, v26, v30
	ds_write2_b32 v3, v20, v20 offset0:16 offset1:17
	ds_write2_b32 v3, v20, v20 offset0:18 offset1:19
	ds_write_b32 v3, v20 offset:80
	s_waitcnt lgkmcnt(0)
	s_barrier
	s_waitcnt lgkmcnt(0)
	; wave barrier
	s_waitcnt vmcnt(0)
	v_mad_u64_u32 v[22:23], s[2:3], v23, v24, v[2:3]
	v_lshrrev_b32_e32 v27, 6, v22
	v_xor_b32_e32 v22, s1, v21
	v_xor_b32_e32 v21, s0, v21
	v_and_b32_e32 v23, v31, v22
	v_and_b32_e32 v22, v26, v21
	v_mbcnt_lo_u32_b32 v21, v22, 0
	v_mbcnt_hi_u32_b32 v30, v23, v21
	v_cmp_eq_u32_e32 vcc, 0, v30
	v_cmp_ne_u64_e64 s[0:1], 0, v[22:23]
	v_add_lshl_u32 v24, v27, v25, 2
	s_and_b64 s[2:3], s[0:1], vcc
	s_and_saveexec_b64 s[0:1], s[2:3]
	s_cbranch_execz .LBB993_19
; %bb.18:
	v_bcnt_u32_b32 v21, v22, 0
	v_bcnt_u32_b32 v21, v23, v21
	ds_write_b32 v24, v21 offset:64
.LBB993_19:
	s_or_b64 exec, exec, s[0:1]
	v_lshrrev_b64 v[22:23], s16, v[4:5]
	v_and_b32_e32 v22, s27, v22
	v_lshl_add_u32 v21, v22, 4, v22
	v_add_lshl_u32 v25, v27, v21, 2
	v_and_b32_e32 v21, 1, v22
	v_add_co_u32_e32 v23, vcc, -1, v21
	v_addc_co_u32_e64 v26, s[0:1], 0, -1, vcc
	v_cmp_ne_u32_e32 vcc, 0, v21
	v_xor_b32_e32 v21, vcc_hi, v26
	v_and_b32_e32 v26, exec_hi, v21
	v_lshlrev_b32_e32 v21, 30, v22
	v_xor_b32_e32 v23, vcc_lo, v23
	v_cmp_gt_i64_e32 vcc, 0, v[20:21]
	v_not_b32_e32 v21, v21
	v_ashrrev_i32_e32 v21, 31, v21
	v_and_b32_e32 v23, exec_lo, v23
	v_xor_b32_e32 v32, vcc_hi, v21
	v_xor_b32_e32 v21, vcc_lo, v21
	v_and_b32_e32 v23, v23, v21
	v_lshlrev_b32_e32 v21, 29, v22
	v_cmp_gt_i64_e32 vcc, 0, v[20:21]
	v_not_b32_e32 v21, v21
	v_ashrrev_i32_e32 v21, 31, v21
	v_and_b32_e32 v26, v26, v32
	v_xor_b32_e32 v32, vcc_hi, v21
	v_xor_b32_e32 v21, vcc_lo, v21
	v_and_b32_e32 v23, v23, v21
	v_lshlrev_b32_e32 v21, 28, v22
	v_cmp_gt_i64_e32 vcc, 0, v[20:21]
	v_not_b32_e32 v21, v21
	v_ashrrev_i32_e32 v21, 31, v21
	v_and_b32_e32 v26, v26, v32
	;; [unrolled: 8-line block ×5, first 2 shown]
	v_xor_b32_e32 v32, vcc_hi, v21
	v_xor_b32_e32 v21, vcc_lo, v21
	v_and_b32_e32 v23, v23, v21
	v_lshlrev_b32_e32 v21, 24, v22
	v_cmp_gt_i64_e32 vcc, 0, v[20:21]
	v_not_b32_e32 v20, v21
	v_ashrrev_i32_e32 v20, 31, v20
	v_xor_b32_e32 v21, vcc_hi, v20
	v_xor_b32_e32 v20, vcc_lo, v20
	; wave barrier
	ds_read_b32 v31, v25 offset:64
	v_and_b32_e32 v26, v26, v32
	v_and_b32_e32 v20, v23, v20
	;; [unrolled: 1-line block ×3, first 2 shown]
	v_mbcnt_lo_u32_b32 v22, v20, 0
	v_mbcnt_hi_u32_b32 v32, v21, v22
	v_cmp_eq_u32_e32 vcc, 0, v32
	v_cmp_ne_u64_e64 s[0:1], 0, v[20:21]
	s_and_b64 s[2:3], s[0:1], vcc
	; wave barrier
	s_and_saveexec_b64 s[0:1], s[2:3]
	s_cbranch_execz .LBB993_21
; %bb.20:
	v_bcnt_u32_b32 v20, v20, 0
	v_bcnt_u32_b32 v20, v21, v20
	s_waitcnt lgkmcnt(0)
	v_add_u32_e32 v20, v31, v20
	ds_write_b32 v25, v20 offset:64
.LBB993_21:
	s_or_b64 exec, exec, s[0:1]
	v_lshrrev_b64 v[20:21], s16, v[10:11]
	v_and_b32_e32 v22, s27, v20
	v_and_b32_e32 v21, 1, v22
	v_add_co_u32_e32 v23, vcc, -1, v21
	v_addc_co_u32_e64 v34, s[0:1], 0, -1, vcc
	v_cmp_ne_u32_e32 vcc, 0, v21
	v_lshl_add_u32 v20, v22, 4, v22
	v_xor_b32_e32 v21, vcc_hi, v34
	v_add_lshl_u32 v26, v27, v20, 2
	v_mov_b32_e32 v20, 0
	v_and_b32_e32 v34, exec_hi, v21
	v_lshlrev_b32_e32 v21, 30, v22
	v_xor_b32_e32 v23, vcc_lo, v23
	v_cmp_gt_i64_e32 vcc, 0, v[20:21]
	v_not_b32_e32 v21, v21
	v_ashrrev_i32_e32 v21, 31, v21
	v_and_b32_e32 v23, exec_lo, v23
	v_xor_b32_e32 v35, vcc_hi, v21
	v_xor_b32_e32 v21, vcc_lo, v21
	v_and_b32_e32 v23, v23, v21
	v_lshlrev_b32_e32 v21, 29, v22
	v_cmp_gt_i64_e32 vcc, 0, v[20:21]
	v_not_b32_e32 v21, v21
	v_ashrrev_i32_e32 v21, 31, v21
	v_and_b32_e32 v34, v34, v35
	v_xor_b32_e32 v35, vcc_hi, v21
	v_xor_b32_e32 v21, vcc_lo, v21
	v_and_b32_e32 v23, v23, v21
	v_lshlrev_b32_e32 v21, 28, v22
	v_cmp_gt_i64_e32 vcc, 0, v[20:21]
	v_not_b32_e32 v21, v21
	v_ashrrev_i32_e32 v21, 31, v21
	v_and_b32_e32 v34, v34, v35
	;; [unrolled: 8-line block ×5, first 2 shown]
	v_xor_b32_e32 v35, vcc_hi, v21
	v_xor_b32_e32 v21, vcc_lo, v21
	v_and_b32_e32 v34, v34, v35
	v_and_b32_e32 v35, v23, v21
	v_lshlrev_b32_e32 v21, 24, v22
	v_cmp_gt_i64_e32 vcc, 0, v[20:21]
	v_not_b32_e32 v21, v21
	v_ashrrev_i32_e32 v21, 31, v21
	v_xor_b32_e32 v22, vcc_hi, v21
	v_xor_b32_e32 v21, vcc_lo, v21
	; wave barrier
	ds_read_b32 v33, v26 offset:64
	v_and_b32_e32 v23, v34, v22
	v_and_b32_e32 v22, v35, v21
	v_mbcnt_lo_u32_b32 v21, v22, 0
	v_mbcnt_hi_u32_b32 v34, v23, v21
	v_cmp_eq_u32_e32 vcc, 0, v34
	v_cmp_ne_u64_e64 s[0:1], 0, v[22:23]
	s_and_b64 s[2:3], s[0:1], vcc
	; wave barrier
	s_and_saveexec_b64 s[0:1], s[2:3]
	s_cbranch_execz .LBB993_23
; %bb.22:
	v_bcnt_u32_b32 v21, v22, 0
	v_bcnt_u32_b32 v21, v23, v21
	s_waitcnt lgkmcnt(0)
	v_add_u32_e32 v21, v33, v21
	ds_write_b32 v26, v21 offset:64
.LBB993_23:
	s_or_b64 exec, exec, s[0:1]
	v_lshrrev_b64 v[22:23], s16, v[8:9]
	v_and_b32_e32 v22, s27, v22
	v_lshl_add_u32 v21, v22, 4, v22
	v_add_lshl_u32 v38, v27, v21, 2
	v_and_b32_e32 v21, 1, v22
	v_add_co_u32_e32 v23, vcc, -1, v21
	v_addc_co_u32_e64 v36, s[0:1], 0, -1, vcc
	v_cmp_ne_u32_e32 vcc, 0, v21
	v_xor_b32_e32 v21, vcc_hi, v36
	v_and_b32_e32 v36, exec_hi, v21
	v_lshlrev_b32_e32 v21, 30, v22
	v_xor_b32_e32 v23, vcc_lo, v23
	v_cmp_gt_i64_e32 vcc, 0, v[20:21]
	v_not_b32_e32 v21, v21
	v_ashrrev_i32_e32 v21, 31, v21
	v_and_b32_e32 v23, exec_lo, v23
	v_xor_b32_e32 v37, vcc_hi, v21
	v_xor_b32_e32 v21, vcc_lo, v21
	v_and_b32_e32 v23, v23, v21
	v_lshlrev_b32_e32 v21, 29, v22
	v_cmp_gt_i64_e32 vcc, 0, v[20:21]
	v_not_b32_e32 v21, v21
	v_ashrrev_i32_e32 v21, 31, v21
	v_and_b32_e32 v36, v36, v37
	v_xor_b32_e32 v37, vcc_hi, v21
	v_xor_b32_e32 v21, vcc_lo, v21
	v_and_b32_e32 v23, v23, v21
	v_lshlrev_b32_e32 v21, 28, v22
	v_cmp_gt_i64_e32 vcc, 0, v[20:21]
	v_not_b32_e32 v21, v21
	v_ashrrev_i32_e32 v21, 31, v21
	v_and_b32_e32 v36, v36, v37
	;; [unrolled: 8-line block ×5, first 2 shown]
	v_xor_b32_e32 v37, vcc_hi, v21
	v_xor_b32_e32 v21, vcc_lo, v21
	v_and_b32_e32 v23, v23, v21
	v_lshlrev_b32_e32 v21, 24, v22
	v_cmp_gt_i64_e32 vcc, 0, v[20:21]
	v_not_b32_e32 v20, v21
	v_ashrrev_i32_e32 v20, 31, v20
	v_xor_b32_e32 v21, vcc_hi, v20
	v_xor_b32_e32 v20, vcc_lo, v20
	; wave barrier
	ds_read_b32 v35, v38 offset:64
	v_and_b32_e32 v36, v36, v37
	v_and_b32_e32 v20, v23, v20
	v_and_b32_e32 v21, v36, v21
	v_mbcnt_lo_u32_b32 v22, v20, 0
	v_mbcnt_hi_u32_b32 v36, v21, v22
	v_cmp_eq_u32_e32 vcc, 0, v36
	v_cmp_ne_u64_e64 s[0:1], 0, v[20:21]
	s_and_b64 s[2:3], s[0:1], vcc
	; wave barrier
	s_and_saveexec_b64 s[0:1], s[2:3]
	s_cbranch_execz .LBB993_25
; %bb.24:
	v_bcnt_u32_b32 v20, v20, 0
	v_bcnt_u32_b32 v20, v21, v20
	s_waitcnt lgkmcnt(0)
	v_add_u32_e32 v20, v35, v20
	ds_write_b32 v38, v20 offset:64
.LBB993_25:
	s_or_b64 exec, exec, s[0:1]
	v_lshrrev_b64 v[20:21], s16, v[14:15]
	v_and_b32_e32 v22, s27, v20
	v_and_b32_e32 v21, 1, v22
	v_add_co_u32_e32 v23, vcc, -1, v21
	v_addc_co_u32_e64 v39, s[0:1], 0, -1, vcc
	v_cmp_ne_u32_e32 vcc, 0, v21
	v_lshl_add_u32 v20, v22, 4, v22
	v_xor_b32_e32 v21, vcc_hi, v39
	v_add_lshl_u32 v42, v27, v20, 2
	v_mov_b32_e32 v20, 0
	v_and_b32_e32 v39, exec_hi, v21
	v_lshlrev_b32_e32 v21, 30, v22
	v_xor_b32_e32 v23, vcc_lo, v23
	v_cmp_gt_i64_e32 vcc, 0, v[20:21]
	v_not_b32_e32 v21, v21
	v_ashrrev_i32_e32 v21, 31, v21
	v_and_b32_e32 v23, exec_lo, v23
	v_xor_b32_e32 v40, vcc_hi, v21
	v_xor_b32_e32 v21, vcc_lo, v21
	v_and_b32_e32 v23, v23, v21
	v_lshlrev_b32_e32 v21, 29, v22
	v_cmp_gt_i64_e32 vcc, 0, v[20:21]
	v_not_b32_e32 v21, v21
	v_ashrrev_i32_e32 v21, 31, v21
	v_and_b32_e32 v39, v39, v40
	v_xor_b32_e32 v40, vcc_hi, v21
	v_xor_b32_e32 v21, vcc_lo, v21
	v_and_b32_e32 v23, v23, v21
	v_lshlrev_b32_e32 v21, 28, v22
	v_cmp_gt_i64_e32 vcc, 0, v[20:21]
	v_not_b32_e32 v21, v21
	v_ashrrev_i32_e32 v21, 31, v21
	v_and_b32_e32 v39, v39, v40
	;; [unrolled: 8-line block ×5, first 2 shown]
	v_xor_b32_e32 v40, vcc_hi, v21
	v_xor_b32_e32 v21, vcc_lo, v21
	v_and_b32_e32 v39, v39, v40
	v_and_b32_e32 v40, v23, v21
	v_lshlrev_b32_e32 v21, 24, v22
	v_cmp_gt_i64_e32 vcc, 0, v[20:21]
	v_not_b32_e32 v21, v21
	v_ashrrev_i32_e32 v21, 31, v21
	v_xor_b32_e32 v22, vcc_hi, v21
	v_xor_b32_e32 v21, vcc_lo, v21
	; wave barrier
	ds_read_b32 v37, v42 offset:64
	v_and_b32_e32 v23, v39, v22
	v_and_b32_e32 v22, v40, v21
	v_mbcnt_lo_u32_b32 v21, v22, 0
	v_mbcnt_hi_u32_b32 v39, v23, v21
	v_cmp_eq_u32_e32 vcc, 0, v39
	v_cmp_ne_u64_e64 s[0:1], 0, v[22:23]
	s_and_b64 s[2:3], s[0:1], vcc
	; wave barrier
	s_and_saveexec_b64 s[0:1], s[2:3]
	s_cbranch_execz .LBB993_27
; %bb.26:
	v_bcnt_u32_b32 v21, v22, 0
	v_bcnt_u32_b32 v21, v23, v21
	s_waitcnt lgkmcnt(0)
	v_add_u32_e32 v21, v37, v21
	ds_write_b32 v42, v21 offset:64
.LBB993_27:
	s_or_b64 exec, exec, s[0:1]
	v_lshrrev_b64 v[22:23], s16, v[12:13]
	v_and_b32_e32 v22, s27, v22
	v_lshl_add_u32 v21, v22, 4, v22
	v_add_lshl_u32 v45, v27, v21, 2
	v_and_b32_e32 v21, 1, v22
	v_add_co_u32_e32 v23, vcc, -1, v21
	v_addc_co_u32_e64 v41, s[0:1], 0, -1, vcc
	v_cmp_ne_u32_e32 vcc, 0, v21
	v_xor_b32_e32 v21, vcc_hi, v41
	v_and_b32_e32 v41, exec_hi, v21
	v_lshlrev_b32_e32 v21, 30, v22
	v_xor_b32_e32 v23, vcc_lo, v23
	v_cmp_gt_i64_e32 vcc, 0, v[20:21]
	v_not_b32_e32 v21, v21
	v_ashrrev_i32_e32 v21, 31, v21
	v_and_b32_e32 v23, exec_lo, v23
	v_xor_b32_e32 v43, vcc_hi, v21
	v_xor_b32_e32 v21, vcc_lo, v21
	v_and_b32_e32 v23, v23, v21
	v_lshlrev_b32_e32 v21, 29, v22
	v_cmp_gt_i64_e32 vcc, 0, v[20:21]
	v_not_b32_e32 v21, v21
	v_ashrrev_i32_e32 v21, 31, v21
	v_and_b32_e32 v41, v41, v43
	v_xor_b32_e32 v43, vcc_hi, v21
	v_xor_b32_e32 v21, vcc_lo, v21
	v_and_b32_e32 v23, v23, v21
	v_lshlrev_b32_e32 v21, 28, v22
	v_cmp_gt_i64_e32 vcc, 0, v[20:21]
	v_not_b32_e32 v21, v21
	v_ashrrev_i32_e32 v21, 31, v21
	v_and_b32_e32 v41, v41, v43
	;; [unrolled: 8-line block ×5, first 2 shown]
	v_xor_b32_e32 v43, vcc_hi, v21
	v_xor_b32_e32 v21, vcc_lo, v21
	v_and_b32_e32 v23, v23, v21
	v_lshlrev_b32_e32 v21, 24, v22
	v_cmp_gt_i64_e32 vcc, 0, v[20:21]
	v_not_b32_e32 v20, v21
	v_ashrrev_i32_e32 v20, 31, v20
	v_xor_b32_e32 v21, vcc_hi, v20
	v_xor_b32_e32 v20, vcc_lo, v20
	; wave barrier
	ds_read_b32 v40, v45 offset:64
	v_and_b32_e32 v41, v41, v43
	v_and_b32_e32 v20, v23, v20
	;; [unrolled: 1-line block ×3, first 2 shown]
	v_mbcnt_lo_u32_b32 v22, v20, 0
	v_mbcnt_hi_u32_b32 v41, v21, v22
	v_cmp_eq_u32_e32 vcc, 0, v41
	v_cmp_ne_u64_e64 s[0:1], 0, v[20:21]
	s_and_b64 s[2:3], s[0:1], vcc
	; wave barrier
	s_and_saveexec_b64 s[0:1], s[2:3]
	s_cbranch_execz .LBB993_29
; %bb.28:
	v_bcnt_u32_b32 v20, v20, 0
	v_bcnt_u32_b32 v20, v21, v20
	s_waitcnt lgkmcnt(0)
	v_add_u32_e32 v20, v40, v20
	ds_write_b32 v45, v20 offset:64
.LBB993_29:
	s_or_b64 exec, exec, s[0:1]
	v_lshrrev_b64 v[20:21], s16, v[18:19]
	v_and_b32_e32 v22, s27, v20
	v_and_b32_e32 v21, 1, v22
	v_add_co_u32_e32 v23, vcc, -1, v21
	v_addc_co_u32_e64 v44, s[0:1], 0, -1, vcc
	v_cmp_ne_u32_e32 vcc, 0, v21
	v_lshl_add_u32 v20, v22, 4, v22
	v_xor_b32_e32 v21, vcc_hi, v44
	v_add_lshl_u32 v48, v27, v20, 2
	v_mov_b32_e32 v20, 0
	v_and_b32_e32 v44, exec_hi, v21
	v_lshlrev_b32_e32 v21, 30, v22
	v_xor_b32_e32 v23, vcc_lo, v23
	v_cmp_gt_i64_e32 vcc, 0, v[20:21]
	v_not_b32_e32 v21, v21
	v_ashrrev_i32_e32 v21, 31, v21
	v_and_b32_e32 v23, exec_lo, v23
	v_xor_b32_e32 v46, vcc_hi, v21
	v_xor_b32_e32 v21, vcc_lo, v21
	v_and_b32_e32 v23, v23, v21
	v_lshlrev_b32_e32 v21, 29, v22
	v_cmp_gt_i64_e32 vcc, 0, v[20:21]
	v_not_b32_e32 v21, v21
	v_ashrrev_i32_e32 v21, 31, v21
	v_and_b32_e32 v44, v44, v46
	v_xor_b32_e32 v46, vcc_hi, v21
	v_xor_b32_e32 v21, vcc_lo, v21
	v_and_b32_e32 v23, v23, v21
	v_lshlrev_b32_e32 v21, 28, v22
	v_cmp_gt_i64_e32 vcc, 0, v[20:21]
	v_not_b32_e32 v21, v21
	v_ashrrev_i32_e32 v21, 31, v21
	v_and_b32_e32 v44, v44, v46
	;; [unrolled: 8-line block ×5, first 2 shown]
	v_xor_b32_e32 v46, vcc_hi, v21
	v_xor_b32_e32 v21, vcc_lo, v21
	v_and_b32_e32 v44, v44, v46
	v_and_b32_e32 v46, v23, v21
	v_lshlrev_b32_e32 v21, 24, v22
	v_cmp_gt_i64_e32 vcc, 0, v[20:21]
	v_not_b32_e32 v21, v21
	v_ashrrev_i32_e32 v21, 31, v21
	v_xor_b32_e32 v22, vcc_hi, v21
	v_xor_b32_e32 v21, vcc_lo, v21
	; wave barrier
	ds_read_b32 v43, v48 offset:64
	v_and_b32_e32 v23, v44, v22
	v_and_b32_e32 v22, v46, v21
	v_mbcnt_lo_u32_b32 v21, v22, 0
	v_mbcnt_hi_u32_b32 v44, v23, v21
	v_cmp_eq_u32_e32 vcc, 0, v44
	v_cmp_ne_u64_e64 s[0:1], 0, v[22:23]
	s_and_b64 s[2:3], s[0:1], vcc
	; wave barrier
	s_and_saveexec_b64 s[0:1], s[2:3]
	s_cbranch_execz .LBB993_31
; %bb.30:
	v_bcnt_u32_b32 v21, v22, 0
	v_bcnt_u32_b32 v21, v23, v21
	s_waitcnt lgkmcnt(0)
	v_add_u32_e32 v21, v43, v21
	ds_write_b32 v48, v21 offset:64
.LBB993_31:
	s_or_b64 exec, exec, s[0:1]
	v_lshrrev_b64 v[22:23], s16, v[16:17]
	v_and_b32_e32 v22, s27, v22
	v_lshl_add_u32 v21, v22, 4, v22
	v_add_lshl_u32 v27, v27, v21, 2
	v_and_b32_e32 v21, 1, v22
	v_add_co_u32_e32 v23, vcc, -1, v21
	v_addc_co_u32_e64 v47, s[0:1], 0, -1, vcc
	v_cmp_ne_u32_e32 vcc, 0, v21
	v_xor_b32_e32 v21, vcc_hi, v47
	v_and_b32_e32 v47, exec_hi, v21
	v_lshlrev_b32_e32 v21, 30, v22
	v_xor_b32_e32 v23, vcc_lo, v23
	v_cmp_gt_i64_e32 vcc, 0, v[20:21]
	v_not_b32_e32 v21, v21
	v_ashrrev_i32_e32 v21, 31, v21
	v_and_b32_e32 v23, exec_lo, v23
	v_xor_b32_e32 v50, vcc_hi, v21
	v_xor_b32_e32 v21, vcc_lo, v21
	v_and_b32_e32 v23, v23, v21
	v_lshlrev_b32_e32 v21, 29, v22
	v_cmp_gt_i64_e32 vcc, 0, v[20:21]
	v_not_b32_e32 v21, v21
	v_ashrrev_i32_e32 v21, 31, v21
	v_and_b32_e32 v47, v47, v50
	v_xor_b32_e32 v50, vcc_hi, v21
	v_xor_b32_e32 v21, vcc_lo, v21
	v_and_b32_e32 v23, v23, v21
	v_lshlrev_b32_e32 v21, 28, v22
	v_cmp_gt_i64_e32 vcc, 0, v[20:21]
	v_not_b32_e32 v21, v21
	v_ashrrev_i32_e32 v21, 31, v21
	v_and_b32_e32 v47, v47, v50
	;; [unrolled: 8-line block ×5, first 2 shown]
	v_xor_b32_e32 v50, vcc_hi, v21
	v_xor_b32_e32 v21, vcc_lo, v21
	v_and_b32_e32 v23, v23, v21
	v_lshlrev_b32_e32 v21, 24, v22
	v_cmp_gt_i64_e32 vcc, 0, v[20:21]
	v_not_b32_e32 v20, v21
	v_ashrrev_i32_e32 v20, 31, v20
	v_xor_b32_e32 v21, vcc_hi, v20
	v_xor_b32_e32 v20, vcc_lo, v20
	; wave barrier
	ds_read_b32 v46, v27 offset:64
	v_and_b32_e32 v47, v47, v50
	v_and_b32_e32 v20, v23, v20
	;; [unrolled: 1-line block ×3, first 2 shown]
	v_mbcnt_lo_u32_b32 v22, v20, 0
	v_mbcnt_hi_u32_b32 v47, v21, v22
	v_cmp_eq_u32_e32 vcc, 0, v47
	v_cmp_ne_u64_e64 s[0:1], 0, v[20:21]
	v_add_u32_e32 v49, 64, v3
	s_and_b64 s[2:3], s[0:1], vcc
	; wave barrier
	s_and_saveexec_b64 s[0:1], s[2:3]
	s_cbranch_execz .LBB993_33
; %bb.32:
	v_bcnt_u32_b32 v20, v20, 0
	v_bcnt_u32_b32 v20, v21, v20
	s_waitcnt lgkmcnt(0)
	v_add_u32_e32 v20, v46, v20
	ds_write_b32 v27, v20 offset:64
.LBB993_33:
	s_or_b64 exec, exec, s[0:1]
	; wave barrier
	s_waitcnt lgkmcnt(0)
	s_barrier
	ds_read2_b32 v[22:23], v3 offset0:16 offset1:17
	ds_read2_b32 v[20:21], v49 offset0:2 offset1:3
	ds_read_b32 v50, v49 offset:16
	v_cmp_lt_u32_e64 s[10:11], 31, v1
	s_waitcnt lgkmcnt(1)
	v_add3_u32 v51, v23, v22, v20
	s_waitcnt lgkmcnt(0)
	v_add3_u32 v50, v51, v21, v50
	v_and_b32_e32 v51, 15, v1
	v_cmp_eq_u32_e32 vcc, 0, v51
	v_mov_b32_dpp v52, v50 row_shr:1 row_mask:0xf bank_mask:0xf
	v_cndmask_b32_e64 v52, v52, 0, vcc
	v_add_u32_e32 v50, v52, v50
	v_cmp_lt_u32_e64 s[0:1], 1, v51
	v_cmp_lt_u32_e64 s[2:3], 3, v51
	v_mov_b32_dpp v52, v50 row_shr:2 row_mask:0xf bank_mask:0xf
	v_cndmask_b32_e64 v52, 0, v52, s[0:1]
	v_add_u32_e32 v50, v50, v52
	v_cmp_lt_u32_e64 s[8:9], 7, v51
	s_nop 0
	v_mov_b32_dpp v52, v50 row_shr:4 row_mask:0xf bank_mask:0xf
	v_cndmask_b32_e64 v52, 0, v52, s[2:3]
	v_add_u32_e32 v50, v50, v52
	s_nop 1
	v_mov_b32_dpp v52, v50 row_shr:8 row_mask:0xf bank_mask:0xf
	v_cndmask_b32_e64 v51, 0, v52, s[8:9]
	v_add_u32_e32 v50, v50, v51
	v_bfe_i32 v52, v1, 4, 1
	s_nop 0
	v_mov_b32_dpp v51, v50 row_bcast:15 row_mask:0xf bank_mask:0xf
	v_and_b32_e32 v51, v52, v51
	v_add_u32_e32 v50, v50, v51
	v_and_b32_e32 v52, 63, v2
	s_nop 0
	v_mov_b32_dpp v51, v50 row_bcast:31 row_mask:0xf bank_mask:0xf
	v_cndmask_b32_e64 v51, 0, v51, s[10:11]
	v_add_u32_e32 v50, v50, v51
	v_lshrrev_b32_e32 v51, 6, v2
	v_cmp_eq_u32_e64 s[10:11], 63, v52
	s_and_saveexec_b64 s[18:19], s[10:11]
	s_cbranch_execz .LBB993_35
; %bb.34:
	v_lshlrev_b32_e32 v52, 2, v51
	ds_write_b32 v52, v50
.LBB993_35:
	s_or_b64 exec, exec, s[18:19]
	v_cmp_gt_u32_e64 s[10:11], 16, v2
	s_waitcnt lgkmcnt(0)
	s_barrier
	s_and_saveexec_b64 s[18:19], s[10:11]
	s_cbranch_execz .LBB993_37
; %bb.36:
	v_lshlrev_b32_e32 v52, 2, v2
	ds_read_b32 v53, v52
	s_waitcnt lgkmcnt(0)
	s_nop 0
	v_mov_b32_dpp v54, v53 row_shr:1 row_mask:0xf bank_mask:0xf
	v_cndmask_b32_e64 v54, v54, 0, vcc
	v_add_u32_e32 v53, v54, v53
	s_nop 1
	v_mov_b32_dpp v54, v53 row_shr:2 row_mask:0xf bank_mask:0xf
	v_cndmask_b32_e64 v54, 0, v54, s[0:1]
	v_add_u32_e32 v53, v53, v54
	s_nop 1
	v_mov_b32_dpp v54, v53 row_shr:4 row_mask:0xf bank_mask:0xf
	v_cndmask_b32_e64 v54, 0, v54, s[2:3]
	;; [unrolled: 4-line block ×3, first 2 shown]
	v_add_u32_e32 v53, v53, v54
	ds_write_b32 v52, v53
.LBB993_37:
	s_or_b64 exec, exec, s[18:19]
	v_cmp_lt_u32_e32 vcc, 63, v2
	v_mov_b32_e32 v52, 0
	s_waitcnt lgkmcnt(0)
	s_barrier
	s_and_saveexec_b64 s[0:1], vcc
	s_cbranch_execz .LBB993_39
; %bb.38:
	v_lshl_add_u32 v51, v51, 2, -4
	ds_read_b32 v52, v51
.LBB993_39:
	s_or_b64 exec, exec, s[0:1]
	v_add_u32_e32 v51, -1, v1
	v_and_b32_e32 v53, 64, v1
	v_cmp_lt_i32_e32 vcc, v51, v53
	v_cndmask_b32_e32 v51, v51, v1, vcc
	s_waitcnt lgkmcnt(0)
	v_add_u32_e32 v50, v52, v50
	v_lshlrev_b32_e32 v51, 2, v51
	ds_bpermute_b32 v50, v51, v50
	v_cmp_eq_u32_e32 vcc, 0, v1
	s_movk_i32 s2, 0xff
	s_movk_i32 s0, 0x100
	v_cmp_gt_u32_e64 s[0:1], s0, v2
	s_waitcnt lgkmcnt(0)
	v_cndmask_b32_e32 v1, v50, v52, vcc
	v_cmp_ne_u32_e32 vcc, 0, v2
	v_cndmask_b32_e32 v1, 0, v1, vcc
	v_add_u32_e32 v22, v1, v22
	v_add_u32_e32 v23, v22, v23
	;; [unrolled: 1-line block ×4, first 2 shown]
	ds_write2_b32 v3, v1, v22 offset0:16 offset1:17
	ds_write2_b32 v49, v23, v20 offset0:2 offset1:3
	ds_write_b32 v49, v21 offset:16
	s_waitcnt lgkmcnt(0)
	s_barrier
	ds_read_b32 v51, v24 offset:64
	ds_read_b32 v1, v25 offset:64
	;; [unrolled: 1-line block ×8, first 2 shown]
	v_cmp_lt_u32_e32 vcc, s2, v2
	v_pk_mov_b32 v[20:21], 0, 0
                                        ; implicit-def: $vgpr38
	s_and_saveexec_b64 s[8:9], s[0:1]
	s_cbranch_execz .LBB993_43
; %bb.40:
	v_mul_u32_u24_e32 v3, 17, v2
	v_lshlrev_b32_e32 v21, 2, v3
	ds_read_b32 v20, v21 offset:64
	v_cmp_ne_u32_e64 s[2:3], s2, v2
	v_mov_b32_e32 v3, 0x2000
	s_and_saveexec_b64 s[10:11], s[2:3]
	s_cbranch_execz .LBB993_42
; %bb.41:
	ds_read_b32 v3, v21 offset:132
.LBB993_42:
	s_or_b64 exec, exec, s[10:11]
	s_waitcnt lgkmcnt(0)
	v_sub_u32_e32 v38, v3, v20
	v_mov_b32_e32 v21, 0
.LBB993_43:
	s_or_b64 exec, exec, s[8:9]
	s_waitcnt lgkmcnt(0)
	s_barrier
	s_and_saveexec_b64 s[2:3], vcc
	s_xor_b64 s[2:3], exec, s[2:3]
; %bb.44:
	v_mov_b32_e32 v3, 0
; %bb.45:
	s_andn2_saveexec_b64 s[2:3], s[2:3]
	s_cbranch_execz .LBB993_55
; %bb.46:
	v_lshl_or_b32 v22, s6, 8, v2
	v_mov_b32_e32 v23, 0
	v_lshlrev_b64 v[24:25], 2, v[22:23]
	v_mov_b32_e32 v3, s25
	v_add_co_u32_e32 v24, vcc, s24, v24
	v_addc_co_u32_e32 v25, vcc, v3, v25, vcc
	v_or_b32_e32 v22, 2.0, v38
	s_mov_b64 s[8:9], 0
	s_brev_b32 s28, 1
	s_mov_b32 s29, s6
	v_mov_b32_e32 v53, 0
	global_store_dword v[24:25], v22, off
                                        ; implicit-def: $sgpr10_sgpr11
	s_branch .LBB993_48
.LBB993_47:                             ;   in Loop: Header=BB993_48 Depth=1
	s_or_b64 exec, exec, s[10:11]
	v_and_b32_e32 v26, 0x3fffffff, v54
	v_add_u32_e32 v53, v26, v53
	v_cmp_eq_u32_e64 s[10:11], s28, v22
	s_and_b64 s[18:19], exec, s[10:11]
	s_or_b64 s[8:9], s[18:19], s[8:9]
	s_andn2_b64 exec, exec, s[8:9]
	s_cbranch_execz .LBB993_54
.LBB993_48:                             ; =>This Loop Header: Depth=1
                                        ;     Child Loop BB993_51 Depth 2
	s_or_b64 s[10:11], s[10:11], exec
	s_cmp_eq_u32 s29, 0
	s_cbranch_scc1 .LBB993_53
; %bb.49:                               ;   in Loop: Header=BB993_48 Depth=1
	s_add_i32 s29, s29, -1
	v_lshl_or_b32 v22, s29, 8, v2
	v_lshlrev_b64 v[26:27], 2, v[22:23]
	v_add_co_u32_e32 v26, vcc, s24, v26
	v_addc_co_u32_e32 v27, vcc, v3, v27, vcc
	global_load_dword v54, v[26:27], off glc
	s_waitcnt vmcnt(0)
	v_and_b32_e32 v22, -2.0, v54
	v_cmp_eq_u32_e32 vcc, 0, v22
	s_and_saveexec_b64 s[10:11], vcc
	s_cbranch_execz .LBB993_47
; %bb.50:                               ;   in Loop: Header=BB993_48 Depth=1
	s_mov_b64 s[18:19], 0
.LBB993_51:                             ;   Parent Loop BB993_48 Depth=1
                                        ; =>  This Inner Loop Header: Depth=2
	global_load_dword v54, v[26:27], off glc
	s_waitcnt vmcnt(0)
	v_and_b32_e32 v22, -2.0, v54
	v_cmp_ne_u32_e32 vcc, 0, v22
	s_or_b64 s[18:19], vcc, s[18:19]
	s_andn2_b64 exec, exec, s[18:19]
	s_cbranch_execnz .LBB993_51
; %bb.52:                               ;   in Loop: Header=BB993_48 Depth=1
	s_or_b64 exec, exec, s[18:19]
	s_branch .LBB993_47
.LBB993_53:                             ;   in Loop: Header=BB993_48 Depth=1
                                        ; implicit-def: $sgpr29
	s_and_b64 s[18:19], exec, s[10:11]
	s_or_b64 s[8:9], s[18:19], s[8:9]
	s_andn2_b64 exec, exec, s[8:9]
	s_cbranch_execnz .LBB993_48
.LBB993_54:
	s_or_b64 exec, exec, s[8:9]
	v_add_u32_e32 v3, v53, v38
	v_or_b32_e32 v3, 0x80000000, v3
	global_store_dword v[24:25], v3, off
	global_load_dwordx2 v[22:23], v29, s[12:13]
	v_sub_co_u32_e32 v24, vcc, v53, v20
	v_subb_co_u32_e32 v25, vcc, 0, v21, vcc
	v_mov_b32_e32 v3, 0
	s_waitcnt vmcnt(0)
	v_add_co_u32_e32 v22, vcc, v24, v22
	v_addc_co_u32_e32 v23, vcc, v25, v23, vcc
	ds_write_b64 v29, v[22:23]
.LBB993_55:
	s_or_b64 exec, exec, s[2:3]
	v_add_u32_e32 v23, v51, v30
	v_add3_u32 v30, v39, v42, v37
	v_add3_u32 v35, v36, v50, v35
	v_lshlrev_b64 v[36:37], 3, v[2:3]
	v_add3_u32 v31, v32, v1, v31
	v_mov_b32_e32 v1, s23
	v_add_co_u32_e32 v22, vcc, s22, v36
	v_add_u32_e32 v24, 0x800, v29
	v_add3_u32 v25, v47, v52, v46
	v_add3_u32 v26, v44, v48, v43
	;; [unrolled: 1-line block ×4, first 2 shown]
	v_addc_co_u32_e32 v1, vcc, v1, v37, vcc
	s_mov_b32 s8, 0
	v_mov_b32_e32 v32, v2
	s_branch .LBB993_57
.LBB993_56:                             ;   in Loop: Header=BB993_57 Depth=1
	s_or_b64 exec, exec, s[2:3]
	s_addk_i32 s8, 0xf800
	v_add_co_u32_e32 v22, vcc, 0x4000, v22
	v_addc_co_u32_e32 v1, vcc, 0, v1, vcc
	s_cmpk_eq_i32 s8, 0xe000
	v_add_u32_e32 v32, 0x800, v32
	s_barrier
	s_cbranch_scc1 .LBB993_62
.LBB993_57:                             ; =>This Inner Loop Header: Depth=1
	v_add_u32_e32 v34, s8, v23
	v_min_u32_e32 v34, 0x800, v34
	v_lshlrev_b32_e32 v34, 3, v34
	ds_write_b64 v34, v[6:7] offset:2048
	v_add_u32_e32 v34, s8, v31
	v_min_u32_e32 v34, 0x800, v34
	v_lshlrev_b32_e32 v34, 3, v34
	ds_write_b64 v34, v[4:5] offset:2048
	;; [unrolled: 4-line block ×7, first 2 shown]
	v_add_u32_e32 v34, s8, v25
	v_min_u32_e32 v34, 0x800, v34
	v_lshlrev_b32_e32 v34, 3, v34
	v_cmp_gt_u32_e32 vcc, s7, v32
	ds_write_b64 v34, v[16:17] offset:2048
	s_waitcnt lgkmcnt(0)
	s_barrier
	s_and_saveexec_b64 s[2:3], vcc
	s_cbranch_execz .LBB993_59
; %bb.58:                               ;   in Loop: Header=BB993_57 Depth=1
	ds_read_b64 v[36:37], v29 offset:2048
	s_waitcnt lgkmcnt(0)
	v_lshrrev_b64 v[40:41], s16, v[36:37]
	v_and_b32_e32 v34, s27, v40
	v_lshlrev_b32_e32 v34, 3, v34
	ds_read_b64 v[40:41], v34
	s_waitcnt lgkmcnt(0)
	v_lshlrev_b64 v[40:41], 3, v[40:41]
	v_add_co_u32_e32 v40, vcc, v22, v40
	v_addc_co_u32_e32 v41, vcc, v1, v41, vcc
	global_store_dwordx2 v[40:41], v[36:37], off
.LBB993_59:                             ;   in Loop: Header=BB993_57 Depth=1
	s_or_b64 exec, exec, s[2:3]
	v_add_u32_e32 v34, 0x400, v32
	v_cmp_gt_u32_e32 vcc, s7, v34
	s_and_saveexec_b64 s[2:3], vcc
	s_cbranch_execz .LBB993_56
; %bb.60:                               ;   in Loop: Header=BB993_57 Depth=1
	ds_read_b64 v[36:37], v24 offset:8192
	s_waitcnt lgkmcnt(0)
	v_lshrrev_b64 v[40:41], s16, v[36:37]
	v_and_b32_e32 v34, s27, v40
	v_lshlrev_b32_e32 v34, 3, v34
	ds_read_b64 v[40:41], v34
	s_waitcnt lgkmcnt(0)
	v_lshlrev_b64 v[40:41], 3, v[40:41]
	v_add_co_u32_e32 v34, vcc, v22, v40
	v_addc_co_u32_e32 v39, vcc, v1, v41, vcc
	v_add_co_u32_e32 v40, vcc, 0x2000, v34
	v_addc_co_u32_e32 v41, vcc, 0, v39, vcc
	global_store_dwordx2 v[40:41], v[36:37], off
	s_branch .LBB993_56
.LBB993_61:
	s_mov_b64 s[0:1], 0
                                        ; implicit-def: $vgpr2
                                        ; implicit-def: $vgpr20_vgpr21
                                        ; implicit-def: $vgpr38
	s_cbranch_execnz .LBB993_63
	s_branch .LBB993_104
.LBB993_62:
	s_add_i32 s26, s26, -1
	s_cmp_eq_u32 s26, s6
	s_cselect_b64 s[2:3], -1, 0
	s_and_b64 s[0:1], s[0:1], s[2:3]
	s_branch .LBB993_104
.LBB993_63:
	s_lshl_b32 s0, s6, 13
	s_mov_b32 s1, 0
	v_mbcnt_hi_u32_b32 v3, -1, v28
	s_lshl_b64 s[0:1], s[0:1], 3
	v_and_b32_e32 v1, 63, v3
	s_add_u32 s0, s20, s0
	v_lshlrev_b32_e32 v1, 3, v1
	v_add_co_u32_e32 v1, vcc, s0, v1
	s_load_dword s7, s[4:5], 0x58
	s_load_dword s0, s[4:5], 0x64
	v_and_b32_e32 v2, 0x3ff, v0
	s_addc_u32 s1, s21, s1
	v_mov_b32_e32 v4, s1
	v_lshlrev_b32_e32 v5, 6, v2
	s_add_u32 s1, s4, 0x58
	v_addc_co_u32_e32 v4, vcc, 0, v4, vcc
	v_and_b32_e32 v5, 0xf000, v5
	s_addc_u32 s2, s5, 0
	s_waitcnt lgkmcnt(0)
	s_lshr_b32 s3, s0, 16
	v_add_co_u32_e32 v20, vcc, v1, v5
	s_cmp_lt_u32 s6, s7
	v_addc_co_u32_e32 v21, vcc, 0, v4, vcc
	s_cselect_b32 s0, 12, 18
	global_load_dwordx2 v[4:5], v[20:21], off
	s_add_u32 s0, s1, s0
	v_mov_b32_e32 v18, 0
	s_addc_u32 s1, s2, 0
	global_load_ushort v23, v18, s[0:1]
	v_mul_u32_u24_e32 v6, 5, v2
	v_lshlrev_b32_e32 v22, 2, v6
	v_bfe_u32 v1, v0, 10, 10
	v_bfe_u32 v0, v0, 20, 10
	ds_write2_b32 v22, v18, v18 offset0:16 offset1:17
	ds_write2_b32 v22, v18, v18 offset0:18 offset1:19
	ds_write_b32 v22, v18 offset:80
	v_mad_u32_u24 v24, v0, s3, v1
	global_load_dwordx2 v[0:1], v[20:21], off offset:512
	global_load_dwordx2 v[6:7], v[20:21], off offset:1024
	;; [unrolled: 1-line block ×7, first 2 shown]
	s_lshl_b32 s0, -1, s17
	s_not_b32 s17, s0
	s_waitcnt lgkmcnt(0)
	s_barrier
	s_waitcnt lgkmcnt(0)
	; wave barrier
	s_waitcnt vmcnt(8)
	v_lshrrev_b64 v[20:21], s16, v[4:5]
	v_and_b32_e32 v25, s17, v20
	v_and_b32_e32 v27, 1, v25
	v_lshlrev_b32_e32 v19, 30, v25
	s_waitcnt vmcnt(7)
	v_mad_u64_u32 v[20:21], s[0:1], v24, v23, v[2:3]
	v_add_co_u32_e32 v21, vcc, -1, v27
	v_addc_co_u32_e64 v23, s[0:1], 0, -1, vcc
	v_cmp_ne_u32_e32 vcc, 0, v27
	v_cmp_gt_i64_e64 s[0:1], 0, v[18:19]
	v_not_b32_e32 v24, v19
	v_lshlrev_b32_e32 v19, 29, v25
	v_lshl_add_u32 v26, v25, 4, v25
	v_lshrrev_b32_e32 v33, 6, v20
	v_xor_b32_e32 v20, vcc_hi, v23
	v_xor_b32_e32 v21, vcc_lo, v21
	v_ashrrev_i32_e32 v24, 31, v24
	v_cmp_gt_i64_e32 vcc, 0, v[18:19]
	v_not_b32_e32 v27, v19
	v_lshlrev_b32_e32 v19, 28, v25
	v_add_lshl_u32 v23, v33, v26, 2
	v_and_b32_e32 v20, exec_hi, v20
	v_and_b32_e32 v21, exec_lo, v21
	v_xor_b32_e32 v26, s1, v24
	v_xor_b32_e32 v24, s0, v24
	v_ashrrev_i32_e32 v27, 31, v27
	v_cmp_gt_i64_e64 s[0:1], 0, v[18:19]
	v_not_b32_e32 v28, v19
	v_lshlrev_b32_e32 v19, 27, v25
	v_and_b32_e32 v20, v20, v26
	v_and_b32_e32 v21, v21, v24
	v_xor_b32_e32 v24, vcc_hi, v27
	v_xor_b32_e32 v26, vcc_lo, v27
	v_ashrrev_i32_e32 v27, 31, v28
	v_cmp_gt_i64_e32 vcc, 0, v[18:19]
	v_not_b32_e32 v19, v19
	v_and_b32_e32 v20, v20, v24
	v_and_b32_e32 v21, v21, v26
	v_xor_b32_e32 v24, s1, v27
	v_xor_b32_e32 v26, s0, v27
	v_ashrrev_i32_e32 v19, 31, v19
	v_and_b32_e32 v20, v20, v24
	v_and_b32_e32 v21, v21, v26
	v_xor_b32_e32 v24, vcc_hi, v19
	v_xor_b32_e32 v19, vcc_lo, v19
	v_and_b32_e32 v21, v21, v19
	v_lshlrev_b32_e32 v19, 26, v25
	v_cmp_gt_i64_e32 vcc, 0, v[18:19]
	v_not_b32_e32 v19, v19
	v_ashrrev_i32_e32 v19, 31, v19
	v_and_b32_e32 v20, v20, v24
	v_xor_b32_e32 v24, vcc_hi, v19
	v_xor_b32_e32 v19, vcc_lo, v19
	v_and_b32_e32 v21, v21, v19
	v_lshlrev_b32_e32 v19, 25, v25
	v_cmp_gt_i64_e32 vcc, 0, v[18:19]
	v_not_b32_e32 v19, v19
	v_ashrrev_i32_e32 v19, 31, v19
	v_and_b32_e32 v20, v20, v24
	v_xor_b32_e32 v24, vcc_hi, v19
	v_xor_b32_e32 v19, vcc_lo, v19
	v_and_b32_e32 v20, v20, v24
	v_and_b32_e32 v24, v21, v19
	v_lshlrev_b32_e32 v19, 24, v25
	v_cmp_gt_i64_e32 vcc, 0, v[18:19]
	v_not_b32_e32 v19, v19
	v_ashrrev_i32_e32 v19, 31, v19
	v_xor_b32_e32 v21, vcc_hi, v19
	v_xor_b32_e32 v19, vcc_lo, v19
	v_and_b32_e32 v21, v20, v21
	v_and_b32_e32 v20, v24, v19
	v_mbcnt_lo_u32_b32 v19, v20, 0
	v_mbcnt_hi_u32_b32 v26, v21, v19
	v_cmp_eq_u32_e32 vcc, 0, v26
	v_cmp_ne_u64_e64 s[0:1], 0, v[20:21]
	s_and_b64 s[2:3], s[0:1], vcc
	s_and_saveexec_b64 s[0:1], s[2:3]
	s_cbranch_execz .LBB993_65
; %bb.64:
	v_bcnt_u32_b32 v19, v20, 0
	v_bcnt_u32_b32 v19, v21, v19
	ds_write_b32 v23, v19 offset:64
.LBB993_65:
	s_or_b64 exec, exec, s[0:1]
	s_waitcnt vmcnt(6)
	v_lshrrev_b64 v[20:21], s16, v[0:1]
	v_and_b32_e32 v20, s17, v20
	v_lshl_add_u32 v19, v20, 4, v20
	v_add_lshl_u32 v24, v33, v19, 2
	v_and_b32_e32 v19, 1, v20
	v_add_co_u32_e32 v21, vcc, -1, v19
	v_addc_co_u32_e64 v25, s[0:1], 0, -1, vcc
	v_cmp_ne_u32_e32 vcc, 0, v19
	v_xor_b32_e32 v19, vcc_hi, v25
	v_and_b32_e32 v25, exec_hi, v19
	v_lshlrev_b32_e32 v19, 30, v20
	v_xor_b32_e32 v21, vcc_lo, v21
	v_cmp_gt_i64_e32 vcc, 0, v[18:19]
	v_not_b32_e32 v19, v19
	v_ashrrev_i32_e32 v19, 31, v19
	v_and_b32_e32 v21, exec_lo, v21
	v_xor_b32_e32 v28, vcc_hi, v19
	v_xor_b32_e32 v19, vcc_lo, v19
	v_and_b32_e32 v21, v21, v19
	v_lshlrev_b32_e32 v19, 29, v20
	v_cmp_gt_i64_e32 vcc, 0, v[18:19]
	v_not_b32_e32 v19, v19
	v_ashrrev_i32_e32 v19, 31, v19
	v_and_b32_e32 v25, v25, v28
	v_xor_b32_e32 v28, vcc_hi, v19
	v_xor_b32_e32 v19, vcc_lo, v19
	v_and_b32_e32 v21, v21, v19
	v_lshlrev_b32_e32 v19, 28, v20
	v_cmp_gt_i64_e32 vcc, 0, v[18:19]
	v_not_b32_e32 v19, v19
	v_ashrrev_i32_e32 v19, 31, v19
	v_and_b32_e32 v25, v25, v28
	;; [unrolled: 8-line block ×5, first 2 shown]
	v_xor_b32_e32 v28, vcc_hi, v19
	v_xor_b32_e32 v19, vcc_lo, v19
	v_and_b32_e32 v21, v21, v19
	v_lshlrev_b32_e32 v19, 24, v20
	v_cmp_gt_i64_e32 vcc, 0, v[18:19]
	v_not_b32_e32 v18, v19
	v_ashrrev_i32_e32 v18, 31, v18
	v_xor_b32_e32 v19, vcc_hi, v18
	v_xor_b32_e32 v18, vcc_lo, v18
	; wave barrier
	ds_read_b32 v27, v24 offset:64
	v_and_b32_e32 v25, v25, v28
	v_and_b32_e32 v18, v21, v18
	;; [unrolled: 1-line block ×3, first 2 shown]
	v_mbcnt_lo_u32_b32 v20, v18, 0
	v_mbcnt_hi_u32_b32 v28, v19, v20
	v_cmp_eq_u32_e32 vcc, 0, v28
	v_cmp_ne_u64_e64 s[0:1], 0, v[18:19]
	s_and_b64 s[2:3], s[0:1], vcc
	; wave barrier
	s_and_saveexec_b64 s[0:1], s[2:3]
	s_cbranch_execz .LBB993_67
; %bb.66:
	v_bcnt_u32_b32 v18, v18, 0
	v_bcnt_u32_b32 v18, v19, v18
	s_waitcnt lgkmcnt(0)
	v_add_u32_e32 v18, v27, v18
	ds_write_b32 v24, v18 offset:64
.LBB993_67:
	s_or_b64 exec, exec, s[0:1]
	s_waitcnt vmcnt(5)
	v_lshrrev_b64 v[18:19], s16, v[6:7]
	v_and_b32_e32 v20, s17, v18
	v_and_b32_e32 v19, 1, v20
	v_add_co_u32_e32 v21, vcc, -1, v19
	v_addc_co_u32_e64 v30, s[0:1], 0, -1, vcc
	v_cmp_ne_u32_e32 vcc, 0, v19
	v_lshl_add_u32 v18, v20, 4, v20
	v_xor_b32_e32 v19, vcc_hi, v30
	v_add_lshl_u32 v25, v33, v18, 2
	v_mov_b32_e32 v18, 0
	v_and_b32_e32 v30, exec_hi, v19
	v_lshlrev_b32_e32 v19, 30, v20
	v_xor_b32_e32 v21, vcc_lo, v21
	v_cmp_gt_i64_e32 vcc, 0, v[18:19]
	v_not_b32_e32 v19, v19
	v_ashrrev_i32_e32 v19, 31, v19
	v_and_b32_e32 v21, exec_lo, v21
	v_xor_b32_e32 v31, vcc_hi, v19
	v_xor_b32_e32 v19, vcc_lo, v19
	v_and_b32_e32 v21, v21, v19
	v_lshlrev_b32_e32 v19, 29, v20
	v_cmp_gt_i64_e32 vcc, 0, v[18:19]
	v_not_b32_e32 v19, v19
	v_ashrrev_i32_e32 v19, 31, v19
	v_and_b32_e32 v30, v30, v31
	v_xor_b32_e32 v31, vcc_hi, v19
	v_xor_b32_e32 v19, vcc_lo, v19
	v_and_b32_e32 v21, v21, v19
	v_lshlrev_b32_e32 v19, 28, v20
	v_cmp_gt_i64_e32 vcc, 0, v[18:19]
	v_not_b32_e32 v19, v19
	v_ashrrev_i32_e32 v19, 31, v19
	v_and_b32_e32 v30, v30, v31
	;; [unrolled: 8-line block ×5, first 2 shown]
	v_xor_b32_e32 v31, vcc_hi, v19
	v_xor_b32_e32 v19, vcc_lo, v19
	v_and_b32_e32 v30, v30, v31
	v_and_b32_e32 v31, v21, v19
	v_lshlrev_b32_e32 v19, 24, v20
	v_cmp_gt_i64_e32 vcc, 0, v[18:19]
	v_not_b32_e32 v19, v19
	v_ashrrev_i32_e32 v19, 31, v19
	v_xor_b32_e32 v20, vcc_hi, v19
	v_xor_b32_e32 v19, vcc_lo, v19
	; wave barrier
	ds_read_b32 v29, v25 offset:64
	v_and_b32_e32 v21, v30, v20
	v_and_b32_e32 v20, v31, v19
	v_mbcnt_lo_u32_b32 v19, v20, 0
	v_mbcnt_hi_u32_b32 v30, v21, v19
	v_cmp_eq_u32_e32 vcc, 0, v30
	v_cmp_ne_u64_e64 s[0:1], 0, v[20:21]
	s_and_b64 s[2:3], s[0:1], vcc
	; wave barrier
	s_and_saveexec_b64 s[0:1], s[2:3]
	s_cbranch_execz .LBB993_69
; %bb.68:
	v_bcnt_u32_b32 v19, v20, 0
	v_bcnt_u32_b32 v19, v21, v19
	s_waitcnt lgkmcnt(0)
	v_add_u32_e32 v19, v29, v19
	ds_write_b32 v25, v19 offset:64
.LBB993_69:
	s_or_b64 exec, exec, s[0:1]
	s_waitcnt vmcnt(4)
	v_lshrrev_b64 v[20:21], s16, v[8:9]
	v_and_b32_e32 v20, s17, v20
	v_lshl_add_u32 v19, v20, 4, v20
	v_add_lshl_u32 v36, v33, v19, 2
	v_and_b32_e32 v19, 1, v20
	v_add_co_u32_e32 v21, vcc, -1, v19
	v_addc_co_u32_e64 v32, s[0:1], 0, -1, vcc
	v_cmp_ne_u32_e32 vcc, 0, v19
	v_xor_b32_e32 v19, vcc_hi, v32
	v_and_b32_e32 v32, exec_hi, v19
	v_lshlrev_b32_e32 v19, 30, v20
	v_xor_b32_e32 v21, vcc_lo, v21
	v_cmp_gt_i64_e32 vcc, 0, v[18:19]
	v_not_b32_e32 v19, v19
	v_ashrrev_i32_e32 v19, 31, v19
	v_and_b32_e32 v21, exec_lo, v21
	v_xor_b32_e32 v34, vcc_hi, v19
	v_xor_b32_e32 v19, vcc_lo, v19
	v_and_b32_e32 v21, v21, v19
	v_lshlrev_b32_e32 v19, 29, v20
	v_cmp_gt_i64_e32 vcc, 0, v[18:19]
	v_not_b32_e32 v19, v19
	v_ashrrev_i32_e32 v19, 31, v19
	v_and_b32_e32 v32, v32, v34
	v_xor_b32_e32 v34, vcc_hi, v19
	v_xor_b32_e32 v19, vcc_lo, v19
	v_and_b32_e32 v21, v21, v19
	v_lshlrev_b32_e32 v19, 28, v20
	v_cmp_gt_i64_e32 vcc, 0, v[18:19]
	v_not_b32_e32 v19, v19
	v_ashrrev_i32_e32 v19, 31, v19
	v_and_b32_e32 v32, v32, v34
	;; [unrolled: 8-line block ×5, first 2 shown]
	v_xor_b32_e32 v34, vcc_hi, v19
	v_xor_b32_e32 v19, vcc_lo, v19
	v_and_b32_e32 v21, v21, v19
	v_lshlrev_b32_e32 v19, 24, v20
	v_cmp_gt_i64_e32 vcc, 0, v[18:19]
	v_not_b32_e32 v18, v19
	v_ashrrev_i32_e32 v18, 31, v18
	v_xor_b32_e32 v19, vcc_hi, v18
	v_xor_b32_e32 v18, vcc_lo, v18
	; wave barrier
	ds_read_b32 v31, v36 offset:64
	v_and_b32_e32 v32, v32, v34
	v_and_b32_e32 v18, v21, v18
	;; [unrolled: 1-line block ×3, first 2 shown]
	v_mbcnt_lo_u32_b32 v20, v18, 0
	v_mbcnt_hi_u32_b32 v32, v19, v20
	v_cmp_eq_u32_e32 vcc, 0, v32
	v_cmp_ne_u64_e64 s[0:1], 0, v[18:19]
	s_and_b64 s[2:3], s[0:1], vcc
	; wave barrier
	s_and_saveexec_b64 s[0:1], s[2:3]
	s_cbranch_execz .LBB993_71
; %bb.70:
	v_bcnt_u32_b32 v18, v18, 0
	v_bcnt_u32_b32 v18, v19, v18
	s_waitcnt lgkmcnt(0)
	v_add_u32_e32 v18, v31, v18
	ds_write_b32 v36, v18 offset:64
.LBB993_71:
	s_or_b64 exec, exec, s[0:1]
	s_waitcnt vmcnt(3)
	v_lshrrev_b64 v[18:19], s16, v[10:11]
	v_and_b32_e32 v20, s17, v18
	v_and_b32_e32 v19, 1, v20
	v_add_co_u32_e32 v21, vcc, -1, v19
	v_addc_co_u32_e64 v35, s[0:1], 0, -1, vcc
	v_cmp_ne_u32_e32 vcc, 0, v19
	v_lshl_add_u32 v18, v20, 4, v20
	v_xor_b32_e32 v19, vcc_hi, v35
	v_add_lshl_u32 v38, v33, v18, 2
	v_mov_b32_e32 v18, 0
	v_and_b32_e32 v35, exec_hi, v19
	v_lshlrev_b32_e32 v19, 30, v20
	v_xor_b32_e32 v21, vcc_lo, v21
	v_cmp_gt_i64_e32 vcc, 0, v[18:19]
	v_not_b32_e32 v19, v19
	v_ashrrev_i32_e32 v19, 31, v19
	v_and_b32_e32 v21, exec_lo, v21
	v_xor_b32_e32 v37, vcc_hi, v19
	v_xor_b32_e32 v19, vcc_lo, v19
	v_and_b32_e32 v21, v21, v19
	v_lshlrev_b32_e32 v19, 29, v20
	v_cmp_gt_i64_e32 vcc, 0, v[18:19]
	v_not_b32_e32 v19, v19
	v_ashrrev_i32_e32 v19, 31, v19
	v_and_b32_e32 v35, v35, v37
	v_xor_b32_e32 v37, vcc_hi, v19
	v_xor_b32_e32 v19, vcc_lo, v19
	v_and_b32_e32 v21, v21, v19
	v_lshlrev_b32_e32 v19, 28, v20
	v_cmp_gt_i64_e32 vcc, 0, v[18:19]
	v_not_b32_e32 v19, v19
	v_ashrrev_i32_e32 v19, 31, v19
	v_and_b32_e32 v35, v35, v37
	;; [unrolled: 8-line block ×5, first 2 shown]
	v_xor_b32_e32 v37, vcc_hi, v19
	v_xor_b32_e32 v19, vcc_lo, v19
	v_and_b32_e32 v35, v35, v37
	v_and_b32_e32 v37, v21, v19
	v_lshlrev_b32_e32 v19, 24, v20
	v_cmp_gt_i64_e32 vcc, 0, v[18:19]
	v_not_b32_e32 v19, v19
	v_ashrrev_i32_e32 v19, 31, v19
	v_xor_b32_e32 v20, vcc_hi, v19
	v_xor_b32_e32 v19, vcc_lo, v19
	; wave barrier
	ds_read_b32 v34, v38 offset:64
	v_and_b32_e32 v21, v35, v20
	v_and_b32_e32 v20, v37, v19
	v_mbcnt_lo_u32_b32 v19, v20, 0
	v_mbcnt_hi_u32_b32 v35, v21, v19
	v_cmp_eq_u32_e32 vcc, 0, v35
	v_cmp_ne_u64_e64 s[0:1], 0, v[20:21]
	s_and_b64 s[2:3], s[0:1], vcc
	; wave barrier
	s_and_saveexec_b64 s[0:1], s[2:3]
	s_cbranch_execz .LBB993_73
; %bb.72:
	v_bcnt_u32_b32 v19, v20, 0
	v_bcnt_u32_b32 v19, v21, v19
	s_waitcnt lgkmcnt(0)
	v_add_u32_e32 v19, v34, v19
	ds_write_b32 v38, v19 offset:64
.LBB993_73:
	s_or_b64 exec, exec, s[0:1]
	s_waitcnt vmcnt(2)
	v_lshrrev_b64 v[20:21], s16, v[12:13]
	v_and_b32_e32 v20, s17, v20
	v_lshl_add_u32 v19, v20, 4, v20
	v_add_lshl_u32 v42, v33, v19, 2
	v_and_b32_e32 v19, 1, v20
	v_add_co_u32_e32 v21, vcc, -1, v19
	v_addc_co_u32_e64 v39, s[0:1], 0, -1, vcc
	v_cmp_ne_u32_e32 vcc, 0, v19
	v_xor_b32_e32 v19, vcc_hi, v39
	v_and_b32_e32 v39, exec_hi, v19
	v_lshlrev_b32_e32 v19, 30, v20
	v_xor_b32_e32 v21, vcc_lo, v21
	v_cmp_gt_i64_e32 vcc, 0, v[18:19]
	v_not_b32_e32 v19, v19
	v_ashrrev_i32_e32 v19, 31, v19
	v_and_b32_e32 v21, exec_lo, v21
	v_xor_b32_e32 v40, vcc_hi, v19
	v_xor_b32_e32 v19, vcc_lo, v19
	v_and_b32_e32 v21, v21, v19
	v_lshlrev_b32_e32 v19, 29, v20
	v_cmp_gt_i64_e32 vcc, 0, v[18:19]
	v_not_b32_e32 v19, v19
	v_ashrrev_i32_e32 v19, 31, v19
	v_and_b32_e32 v39, v39, v40
	v_xor_b32_e32 v40, vcc_hi, v19
	v_xor_b32_e32 v19, vcc_lo, v19
	v_and_b32_e32 v21, v21, v19
	v_lshlrev_b32_e32 v19, 28, v20
	v_cmp_gt_i64_e32 vcc, 0, v[18:19]
	v_not_b32_e32 v19, v19
	v_ashrrev_i32_e32 v19, 31, v19
	v_and_b32_e32 v39, v39, v40
	;; [unrolled: 8-line block ×5, first 2 shown]
	v_xor_b32_e32 v40, vcc_hi, v19
	v_xor_b32_e32 v19, vcc_lo, v19
	v_and_b32_e32 v21, v21, v19
	v_lshlrev_b32_e32 v19, 24, v20
	v_cmp_gt_i64_e32 vcc, 0, v[18:19]
	v_not_b32_e32 v18, v19
	v_ashrrev_i32_e32 v18, 31, v18
	v_xor_b32_e32 v19, vcc_hi, v18
	v_xor_b32_e32 v18, vcc_lo, v18
	; wave barrier
	ds_read_b32 v37, v42 offset:64
	v_and_b32_e32 v39, v39, v40
	v_and_b32_e32 v18, v21, v18
	;; [unrolled: 1-line block ×3, first 2 shown]
	v_mbcnt_lo_u32_b32 v20, v18, 0
	v_mbcnt_hi_u32_b32 v39, v19, v20
	v_cmp_eq_u32_e32 vcc, 0, v39
	v_cmp_ne_u64_e64 s[0:1], 0, v[18:19]
	s_and_b64 s[2:3], s[0:1], vcc
	; wave barrier
	s_and_saveexec_b64 s[0:1], s[2:3]
	s_cbranch_execz .LBB993_75
; %bb.74:
	v_bcnt_u32_b32 v18, v18, 0
	v_bcnt_u32_b32 v18, v19, v18
	s_waitcnt lgkmcnt(0)
	v_add_u32_e32 v18, v37, v18
	ds_write_b32 v42, v18 offset:64
.LBB993_75:
	s_or_b64 exec, exec, s[0:1]
	s_waitcnt vmcnt(1)
	v_lshrrev_b64 v[18:19], s16, v[14:15]
	v_and_b32_e32 v20, s17, v18
	v_and_b32_e32 v19, 1, v20
	v_add_co_u32_e32 v21, vcc, -1, v19
	v_addc_co_u32_e64 v41, s[0:1], 0, -1, vcc
	v_cmp_ne_u32_e32 vcc, 0, v19
	v_lshl_add_u32 v18, v20, 4, v20
	v_xor_b32_e32 v19, vcc_hi, v41
	v_add_lshl_u32 v44, v33, v18, 2
	v_mov_b32_e32 v18, 0
	v_and_b32_e32 v41, exec_hi, v19
	v_lshlrev_b32_e32 v19, 30, v20
	v_xor_b32_e32 v21, vcc_lo, v21
	v_cmp_gt_i64_e32 vcc, 0, v[18:19]
	v_not_b32_e32 v19, v19
	v_ashrrev_i32_e32 v19, 31, v19
	v_and_b32_e32 v21, exec_lo, v21
	v_xor_b32_e32 v43, vcc_hi, v19
	v_xor_b32_e32 v19, vcc_lo, v19
	v_and_b32_e32 v21, v21, v19
	v_lshlrev_b32_e32 v19, 29, v20
	v_cmp_gt_i64_e32 vcc, 0, v[18:19]
	v_not_b32_e32 v19, v19
	v_ashrrev_i32_e32 v19, 31, v19
	v_and_b32_e32 v41, v41, v43
	v_xor_b32_e32 v43, vcc_hi, v19
	v_xor_b32_e32 v19, vcc_lo, v19
	v_and_b32_e32 v21, v21, v19
	v_lshlrev_b32_e32 v19, 28, v20
	v_cmp_gt_i64_e32 vcc, 0, v[18:19]
	v_not_b32_e32 v19, v19
	v_ashrrev_i32_e32 v19, 31, v19
	v_and_b32_e32 v41, v41, v43
	;; [unrolled: 8-line block ×5, first 2 shown]
	v_xor_b32_e32 v43, vcc_hi, v19
	v_xor_b32_e32 v19, vcc_lo, v19
	v_and_b32_e32 v41, v41, v43
	v_and_b32_e32 v43, v21, v19
	v_lshlrev_b32_e32 v19, 24, v20
	v_cmp_gt_i64_e32 vcc, 0, v[18:19]
	v_not_b32_e32 v19, v19
	v_ashrrev_i32_e32 v19, 31, v19
	v_xor_b32_e32 v20, vcc_hi, v19
	v_xor_b32_e32 v19, vcc_lo, v19
	; wave barrier
	ds_read_b32 v40, v44 offset:64
	v_and_b32_e32 v21, v41, v20
	v_and_b32_e32 v20, v43, v19
	v_mbcnt_lo_u32_b32 v19, v20, 0
	v_mbcnt_hi_u32_b32 v41, v21, v19
	v_cmp_eq_u32_e32 vcc, 0, v41
	v_cmp_ne_u64_e64 s[0:1], 0, v[20:21]
	s_and_b64 s[2:3], s[0:1], vcc
	; wave barrier
	s_and_saveexec_b64 s[0:1], s[2:3]
	s_cbranch_execz .LBB993_77
; %bb.76:
	v_bcnt_u32_b32 v19, v20, 0
	v_bcnt_u32_b32 v19, v21, v19
	s_waitcnt lgkmcnt(0)
	v_add_u32_e32 v19, v40, v19
	ds_write_b32 v44, v19 offset:64
.LBB993_77:
	s_or_b64 exec, exec, s[0:1]
	s_waitcnt vmcnt(0)
	v_lshrrev_b64 v[20:21], s16, v[16:17]
	v_and_b32_e32 v20, s17, v20
	v_lshl_add_u32 v19, v20, 4, v20
	v_add_lshl_u32 v45, v33, v19, 2
	v_and_b32_e32 v19, 1, v20
	v_add_co_u32_e32 v21, vcc, -1, v19
	v_addc_co_u32_e64 v43, s[0:1], 0, -1, vcc
	v_cmp_ne_u32_e32 vcc, 0, v19
	v_xor_b32_e32 v19, vcc_hi, v43
	v_and_b32_e32 v43, exec_hi, v19
	v_lshlrev_b32_e32 v19, 30, v20
	v_xor_b32_e32 v21, vcc_lo, v21
	v_cmp_gt_i64_e32 vcc, 0, v[18:19]
	v_not_b32_e32 v19, v19
	v_ashrrev_i32_e32 v19, 31, v19
	v_and_b32_e32 v21, exec_lo, v21
	v_xor_b32_e32 v47, vcc_hi, v19
	v_xor_b32_e32 v19, vcc_lo, v19
	v_and_b32_e32 v21, v21, v19
	v_lshlrev_b32_e32 v19, 29, v20
	v_cmp_gt_i64_e32 vcc, 0, v[18:19]
	v_not_b32_e32 v19, v19
	v_ashrrev_i32_e32 v19, 31, v19
	v_and_b32_e32 v43, v43, v47
	v_xor_b32_e32 v47, vcc_hi, v19
	v_xor_b32_e32 v19, vcc_lo, v19
	v_and_b32_e32 v21, v21, v19
	v_lshlrev_b32_e32 v19, 28, v20
	v_cmp_gt_i64_e32 vcc, 0, v[18:19]
	v_not_b32_e32 v19, v19
	v_ashrrev_i32_e32 v19, 31, v19
	v_and_b32_e32 v43, v43, v47
	;; [unrolled: 8-line block ×5, first 2 shown]
	v_xor_b32_e32 v47, vcc_hi, v19
	v_xor_b32_e32 v19, vcc_lo, v19
	v_and_b32_e32 v21, v21, v19
	v_lshlrev_b32_e32 v19, 24, v20
	v_cmp_gt_i64_e32 vcc, 0, v[18:19]
	v_not_b32_e32 v18, v19
	v_ashrrev_i32_e32 v18, 31, v18
	v_xor_b32_e32 v19, vcc_hi, v18
	v_xor_b32_e32 v18, vcc_lo, v18
	; wave barrier
	ds_read_b32 v33, v45 offset:64
	v_and_b32_e32 v43, v43, v47
	v_and_b32_e32 v18, v21, v18
	;; [unrolled: 1-line block ×3, first 2 shown]
	v_mbcnt_lo_u32_b32 v20, v18, 0
	v_mbcnt_hi_u32_b32 v43, v19, v20
	v_cmp_eq_u32_e32 vcc, 0, v43
	v_cmp_ne_u64_e64 s[0:1], 0, v[18:19]
	v_add_u32_e32 v46, 64, v22
	s_and_b64 s[2:3], s[0:1], vcc
	; wave barrier
	s_and_saveexec_b64 s[0:1], s[2:3]
	s_cbranch_execz .LBB993_79
; %bb.78:
	v_bcnt_u32_b32 v18, v18, 0
	v_bcnt_u32_b32 v18, v19, v18
	s_waitcnt lgkmcnt(0)
	v_add_u32_e32 v18, v33, v18
	ds_write_b32 v45, v18 offset:64
.LBB993_79:
	s_or_b64 exec, exec, s[0:1]
	; wave barrier
	s_waitcnt lgkmcnt(0)
	s_barrier
	ds_read2_b32 v[20:21], v22 offset0:16 offset1:17
	ds_read2_b32 v[18:19], v46 offset0:2 offset1:3
	ds_read_b32 v47, v46 offset:16
	v_cmp_lt_u32_e64 s[8:9], 31, v3
	s_waitcnt lgkmcnt(1)
	v_add3_u32 v48, v21, v20, v18
	s_waitcnt lgkmcnt(0)
	v_add3_u32 v47, v48, v19, v47
	v_and_b32_e32 v48, 15, v3
	v_cmp_eq_u32_e32 vcc, 0, v48
	v_mov_b32_dpp v49, v47 row_shr:1 row_mask:0xf bank_mask:0xf
	v_cndmask_b32_e64 v49, v49, 0, vcc
	v_add_u32_e32 v47, v49, v47
	v_cmp_lt_u32_e64 s[0:1], 1, v48
	v_cmp_lt_u32_e64 s[2:3], 3, v48
	v_mov_b32_dpp v49, v47 row_shr:2 row_mask:0xf bank_mask:0xf
	v_cndmask_b32_e64 v49, 0, v49, s[0:1]
	v_add_u32_e32 v47, v47, v49
	v_cmp_lt_u32_e64 s[4:5], 7, v48
	s_nop 0
	v_mov_b32_dpp v49, v47 row_shr:4 row_mask:0xf bank_mask:0xf
	v_cndmask_b32_e64 v49, 0, v49, s[2:3]
	v_add_u32_e32 v47, v47, v49
	s_nop 1
	v_mov_b32_dpp v49, v47 row_shr:8 row_mask:0xf bank_mask:0xf
	v_cndmask_b32_e64 v48, 0, v49, s[4:5]
	v_add_u32_e32 v47, v47, v48
	v_bfe_i32 v49, v3, 4, 1
	s_nop 0
	v_mov_b32_dpp v48, v47 row_bcast:15 row_mask:0xf bank_mask:0xf
	v_and_b32_e32 v48, v49, v48
	v_add_u32_e32 v47, v47, v48
	v_and_b32_e32 v49, 63, v2
	s_nop 0
	v_mov_b32_dpp v48, v47 row_bcast:31 row_mask:0xf bank_mask:0xf
	v_cndmask_b32_e64 v48, 0, v48, s[8:9]
	v_add_u32_e32 v47, v47, v48
	v_lshrrev_b32_e32 v48, 6, v2
	v_cmp_eq_u32_e64 s[8:9], 63, v49
	s_and_saveexec_b64 s[10:11], s[8:9]
	s_cbranch_execz .LBB993_81
; %bb.80:
	v_lshlrev_b32_e32 v49, 2, v48
	ds_write_b32 v49, v47
.LBB993_81:
	s_or_b64 exec, exec, s[10:11]
	v_cmp_gt_u32_e64 s[8:9], 16, v2
	s_waitcnt lgkmcnt(0)
	s_barrier
	s_and_saveexec_b64 s[10:11], s[8:9]
	s_cbranch_execz .LBB993_83
; %bb.82:
	v_lshlrev_b32_e32 v49, 2, v2
	ds_read_b32 v50, v49
	s_waitcnt lgkmcnt(0)
	s_nop 0
	v_mov_b32_dpp v51, v50 row_shr:1 row_mask:0xf bank_mask:0xf
	v_cndmask_b32_e64 v51, v51, 0, vcc
	v_add_u32_e32 v50, v51, v50
	s_nop 1
	v_mov_b32_dpp v51, v50 row_shr:2 row_mask:0xf bank_mask:0xf
	v_cndmask_b32_e64 v51, 0, v51, s[0:1]
	v_add_u32_e32 v50, v50, v51
	s_nop 1
	v_mov_b32_dpp v51, v50 row_shr:4 row_mask:0xf bank_mask:0xf
	v_cndmask_b32_e64 v51, 0, v51, s[2:3]
	;; [unrolled: 4-line block ×3, first 2 shown]
	v_add_u32_e32 v50, v50, v51
	ds_write_b32 v49, v50
.LBB993_83:
	s_or_b64 exec, exec, s[10:11]
	v_cmp_lt_u32_e32 vcc, 63, v2
	v_mov_b32_e32 v49, 0
	s_waitcnt lgkmcnt(0)
	s_barrier
	s_and_saveexec_b64 s[0:1], vcc
	s_cbranch_execz .LBB993_85
; %bb.84:
	v_lshl_add_u32 v48, v48, 2, -4
	ds_read_b32 v49, v48
.LBB993_85:
	s_or_b64 exec, exec, s[0:1]
	v_add_u32_e32 v48, -1, v3
	v_and_b32_e32 v50, 64, v3
	v_cmp_lt_i32_e32 vcc, v48, v50
	v_cndmask_b32_e32 v48, v48, v3, vcc
	s_waitcnt lgkmcnt(0)
	v_add_u32_e32 v47, v49, v47
	v_lshlrev_b32_e32 v48, 2, v48
	ds_bpermute_b32 v47, v48, v47
	v_cmp_eq_u32_e32 vcc, 0, v3
	s_movk_i32 s2, 0xff
	s_movk_i32 s0, 0x100
	v_cmp_gt_u32_e64 s[0:1], s0, v2
	s_waitcnt lgkmcnt(0)
	v_cndmask_b32_e32 v3, v47, v49, vcc
	v_cmp_ne_u32_e32 vcc, 0, v2
	v_cndmask_b32_e32 v3, 0, v3, vcc
	v_add_u32_e32 v20, v3, v20
	v_add_u32_e32 v21, v20, v21
	v_add_u32_e32 v18, v21, v18
	v_add_u32_e32 v19, v18, v19
	ds_write2_b32 v22, v3, v20 offset0:16 offset1:17
	ds_write2_b32 v46, v21, v18 offset0:2 offset1:3
	ds_write_b32 v46, v19 offset:16
	s_waitcnt lgkmcnt(0)
	s_barrier
	ds_read_b32 v49, v23 offset:64
	ds_read_b32 v46, v24 offset:64
	;; [unrolled: 1-line block ×8, first 2 shown]
	v_cmp_lt_u32_e32 vcc, s2, v2
	v_pk_mov_b32 v[20:21], 0, 0
                                        ; implicit-def: $vgpr38
	s_and_saveexec_b64 s[4:5], s[0:1]
	s_cbranch_execz .LBB993_89
; %bb.86:
	v_mul_u32_u24_e32 v3, 17, v2
	v_lshlrev_b32_e32 v18, 2, v3
	ds_read_b32 v20, v18 offset:64
	v_cmp_ne_u32_e64 s[2:3], s2, v2
	v_mov_b32_e32 v3, 0x2000
	s_and_saveexec_b64 s[8:9], s[2:3]
	s_cbranch_execz .LBB993_88
; %bb.87:
	ds_read_b32 v3, v18 offset:132
.LBB993_88:
	s_or_b64 exec, exec, s[8:9]
	s_waitcnt lgkmcnt(0)
	v_sub_u32_e32 v38, v3, v20
	v_mov_b32_e32 v21, 0
.LBB993_89:
	s_or_b64 exec, exec, s[4:5]
	s_waitcnt lgkmcnt(0)
	s_barrier
	s_and_saveexec_b64 s[2:3], vcc
	s_xor_b64 s[2:3], exec, s[2:3]
; %bb.90:
	v_mov_b32_e32 v3, 0
; %bb.91:
	s_andn2_saveexec_b64 s[2:3], s[2:3]
	s_cbranch_execz .LBB993_101
; %bb.92:
	v_lshl_or_b32 v18, s6, 8, v2
	v_mov_b32_e32 v19, 0
	v_lshlrev_b64 v[22:23], 2, v[18:19]
	v_mov_b32_e32 v3, s25
	v_add_co_u32_e32 v22, vcc, s24, v22
	v_addc_co_u32_e32 v23, vcc, v3, v23, vcc
	v_or_b32_e32 v18, 2.0, v38
	s_mov_b64 s[4:5], 0
	s_brev_b32 s18, 1
	s_mov_b32 s19, s6
	v_mov_b32_e32 v50, 0
	global_store_dword v[22:23], v18, off
                                        ; implicit-def: $sgpr8_sgpr9
	s_branch .LBB993_95
.LBB993_93:                             ;   in Loop: Header=BB993_95 Depth=1
	s_or_b64 exec, exec, s[10:11]
.LBB993_94:                             ;   in Loop: Header=BB993_95 Depth=1
	s_or_b64 exec, exec, s[8:9]
	v_and_b32_e32 v24, 0x3fffffff, v51
	v_add_u32_e32 v50, v24, v50
	v_cmp_eq_u32_e64 s[8:9], s18, v18
	s_and_b64 s[10:11], exec, s[8:9]
	s_or_b64 s[4:5], s[10:11], s[4:5]
	s_andn2_b64 exec, exec, s[4:5]
	s_cbranch_execz .LBB993_100
.LBB993_95:                             ; =>This Loop Header: Depth=1
                                        ;     Child Loop BB993_98 Depth 2
	s_or_b64 s[8:9], s[8:9], exec
	s_cmp_eq_u32 s19, 0
	s_cbranch_scc1 .LBB993_99
; %bb.96:                               ;   in Loop: Header=BB993_95 Depth=1
	s_add_i32 s19, s19, -1
	v_lshl_or_b32 v18, s19, 8, v2
	v_lshlrev_b64 v[24:25], 2, v[18:19]
	v_add_co_u32_e32 v24, vcc, s24, v24
	v_addc_co_u32_e32 v25, vcc, v3, v25, vcc
	global_load_dword v51, v[24:25], off glc
	s_waitcnt vmcnt(0)
	v_and_b32_e32 v18, -2.0, v51
	v_cmp_eq_u32_e32 vcc, 0, v18
	s_and_saveexec_b64 s[8:9], vcc
	s_cbranch_execz .LBB993_94
; %bb.97:                               ;   in Loop: Header=BB993_95 Depth=1
	s_mov_b64 s[10:11], 0
.LBB993_98:                             ;   Parent Loop BB993_95 Depth=1
                                        ; =>  This Inner Loop Header: Depth=2
	global_load_dword v51, v[24:25], off glc
	s_waitcnt vmcnt(0)
	v_and_b32_e32 v18, -2.0, v51
	v_cmp_ne_u32_e32 vcc, 0, v18
	s_or_b64 s[10:11], vcc, s[10:11]
	s_andn2_b64 exec, exec, s[10:11]
	s_cbranch_execnz .LBB993_98
	s_branch .LBB993_93
.LBB993_99:                             ;   in Loop: Header=BB993_95 Depth=1
                                        ; implicit-def: $sgpr19
	s_and_b64 s[10:11], exec, s[8:9]
	s_or_b64 s[4:5], s[10:11], s[4:5]
	s_andn2_b64 exec, exec, s[4:5]
	s_cbranch_execnz .LBB993_95
.LBB993_100:
	s_or_b64 exec, exec, s[4:5]
	v_add_u32_e32 v3, v50, v38
	v_or_b32_e32 v3, 0x80000000, v3
	global_store_dword v[22:23], v3, off
	v_lshlrev_b32_e32 v22, 3, v2
	global_load_dwordx2 v[18:19], v22, s[12:13]
	v_sub_co_u32_e32 v23, vcc, v50, v20
	v_subb_co_u32_e32 v24, vcc, 0, v21, vcc
	v_mov_b32_e32 v3, 0
	s_waitcnt vmcnt(0)
	v_add_co_u32_e32 v18, vcc, v23, v18
	v_addc_co_u32_e32 v19, vcc, v24, v19, vcc
	ds_write_b64 v22, v[18:19]
.LBB993_101:
	s_or_b64 exec, exec, s[2:3]
	v_lshlrev_b64 v[18:19], 3, v[2:3]
	v_lshlrev_b32_e32 v23, 3, v2
	v_add3_u32 v27, v28, v46, v27
	v_mov_b32_e32 v28, s23
	v_add_co_u32_e32 v18, vcc, s22, v18
	v_add_u32_e32 v22, v49, v26
	v_add_u32_e32 v24, 0x800, v23
	v_add3_u32 v25, v43, v45, v33
	v_add3_u32 v26, v41, v44, v40
	;; [unrolled: 1-line block ×6, first 2 shown]
	v_addc_co_u32_e32 v19, vcc, v28, v19, vcc
	s_mov_b32 s2, 0
.LBB993_102:                            ; =>This Inner Loop Header: Depth=1
	v_add_u32_e32 v28, s2, v22
	v_add_u32_e32 v36, s2, v34
	;; [unrolled: 1-line block ×8, first 2 shown]
	v_min_u32_e32 v28, 0x800, v28
	v_min_u32_e32 v36, 0x800, v36
	;; [unrolled: 1-line block ×8, first 2 shown]
	v_lshlrev_b32_e32 v28, 3, v28
	v_lshlrev_b32_e32 v36, 3, v36
	v_lshlrev_b32_e32 v37, 3, v37
	v_lshlrev_b32_e32 v40, 3, v40
	v_lshlrev_b32_e32 v30, 3, v30
	v_lshlrev_b32_e32 v32, 3, v32
	v_lshlrev_b32_e32 v35, 3, v35
	v_lshlrev_b32_e32 v39, 3, v39
	ds_write_b64 v28, v[4:5] offset:2048
	ds_write_b64 v30, v[0:1] offset:2048
	;; [unrolled: 1-line block ×8, first 2 shown]
	s_waitcnt lgkmcnt(0)
	s_barrier
	ds_read_b64 v[36:37], v23 offset:2048
	ds_read_b64 v[40:41], v24 offset:8192
	s_addk_i32 s2, 0xf800
	s_cmpk_lg_i32 s2, 0xe000
	s_waitcnt lgkmcnt(1)
	v_lshrrev_b64 v[42:43], s16, v[36:37]
	s_waitcnt lgkmcnt(0)
	v_lshrrev_b64 v[44:45], s16, v[40:41]
	v_and_b32_e32 v28, s17, v42
	v_and_b32_e32 v30, s17, v44
	v_lshlrev_b32_e32 v28, 3, v28
	v_lshlrev_b32_e32 v30, 3, v30
	ds_read_b64 v[42:43], v28
	ds_read_b64 v[44:45], v30
	s_waitcnt lgkmcnt(1)
	v_lshlrev_b64 v[42:43], 3, v[42:43]
	v_add_co_u32_e32 v42, vcc, v18, v42
	s_waitcnt lgkmcnt(0)
	v_lshlrev_b64 v[44:45], 3, v[44:45]
	v_addc_co_u32_e32 v43, vcc, v19, v43, vcc
	v_add_co_u32_e32 v28, vcc, v18, v44
	v_addc_co_u32_e32 v30, vcc, v19, v45, vcc
	global_store_dwordx2 v[42:43], v[36:37], off
	v_add_co_u32_e32 v36, vcc, 0x2000, v28
	v_addc_co_u32_e32 v37, vcc, 0, v30, vcc
	v_add_co_u32_e32 v18, vcc, 0x4000, v18
	v_addc_co_u32_e32 v19, vcc, 0, v19, vcc
	global_store_dwordx2 v[36:37], v[40:41], off
	s_barrier
	s_cbranch_scc1 .LBB993_102
; %bb.103:
	s_add_i32 s7, s7, -1
	s_cmp_eq_u32 s7, s6
	s_cselect_b64 s[2:3], -1, 0
	s_and_b64 s[0:1], s[0:1], s[2:3]
.LBB993_104:
	s_and_saveexec_b64 s[2:3], s[0:1]
	s_cbranch_execnz .LBB993_106
; %bb.105:
	s_endpgm
.LBB993_106:
	v_lshlrev_b32_e32 v6, 3, v2
	v_lshlrev_b64 v[0:1], 3, v[2:3]
	ds_read_b64 v[2:3], v6
	v_add_co_u32_e32 v4, vcc, v20, v38
	v_addc_co_u32_e32 v5, vcc, 0, v21, vcc
	v_mov_b32_e32 v7, s15
	v_add_co_u32_e32 v0, vcc, s14, v0
	v_addc_co_u32_e32 v1, vcc, v7, v1, vcc
	s_waitcnt lgkmcnt(0)
	v_add_co_u32_e32 v2, vcc, v4, v2
	v_addc_co_u32_e32 v3, vcc, v5, v3, vcc
	global_store_dwordx2 v[0:1], v[2:3], off
	s_endpgm
	.section	.rodata,"a",@progbits
	.p2align	6, 0x0
	.amdhsa_kernel _ZN7rocprim17ROCPRIM_400000_NS6detail17trampoline_kernelINS0_14default_configENS1_35radix_sort_onesweep_config_selectorImNS0_10empty_typeEEEZZNS1_29radix_sort_onesweep_iterationIS3_Lb0EPmS8_PS5_S9_mNS0_19identity_decomposerENS1_16block_id_wrapperIjLb0EEEEE10hipError_tT1_PNSt15iterator_traitsISE_E10value_typeET2_T3_PNSF_ISK_E10value_typeET4_T5_PSP_SQ_PNS1_23onesweep_lookback_stateEbbT6_jjT7_P12ihipStream_tbENKUlT_T0_SE_SJ_E_clIS8_S8_S9_S9_EEDaSX_SY_SE_SJ_EUlSX_E_NS1_11comp_targetILNS1_3genE4ELNS1_11target_archE910ELNS1_3gpuE8ELNS1_3repE0EEENS1_47radix_sort_onesweep_sort_config_static_selectorELNS0_4arch9wavefront6targetE1EEEvSE_
		.amdhsa_group_segment_fixed_size 20552
		.amdhsa_private_segment_fixed_size 0
		.amdhsa_kernarg_size 344
		.amdhsa_user_sgpr_count 6
		.amdhsa_user_sgpr_private_segment_buffer 1
		.amdhsa_user_sgpr_dispatch_ptr 0
		.amdhsa_user_sgpr_queue_ptr 0
		.amdhsa_user_sgpr_kernarg_segment_ptr 1
		.amdhsa_user_sgpr_dispatch_id 0
		.amdhsa_user_sgpr_flat_scratch_init 0
		.amdhsa_user_sgpr_kernarg_preload_length 0
		.amdhsa_user_sgpr_kernarg_preload_offset 0
		.amdhsa_user_sgpr_private_segment_size 0
		.amdhsa_uses_dynamic_stack 0
		.amdhsa_system_sgpr_private_segment_wavefront_offset 0
		.amdhsa_system_sgpr_workgroup_id_x 1
		.amdhsa_system_sgpr_workgroup_id_y 0
		.amdhsa_system_sgpr_workgroup_id_z 0
		.amdhsa_system_sgpr_workgroup_info 0
		.amdhsa_system_vgpr_workitem_id 2
		.amdhsa_next_free_vgpr 55
		.amdhsa_next_free_sgpr 30
		.amdhsa_accum_offset 56
		.amdhsa_reserve_vcc 1
		.amdhsa_reserve_flat_scratch 0
		.amdhsa_float_round_mode_32 0
		.amdhsa_float_round_mode_16_64 0
		.amdhsa_float_denorm_mode_32 3
		.amdhsa_float_denorm_mode_16_64 3
		.amdhsa_dx10_clamp 1
		.amdhsa_ieee_mode 1
		.amdhsa_fp16_overflow 0
		.amdhsa_tg_split 0
		.amdhsa_exception_fp_ieee_invalid_op 0
		.amdhsa_exception_fp_denorm_src 0
		.amdhsa_exception_fp_ieee_div_zero 0
		.amdhsa_exception_fp_ieee_overflow 0
		.amdhsa_exception_fp_ieee_underflow 0
		.amdhsa_exception_fp_ieee_inexact 0
		.amdhsa_exception_int_div_zero 0
	.end_amdhsa_kernel
	.section	.text._ZN7rocprim17ROCPRIM_400000_NS6detail17trampoline_kernelINS0_14default_configENS1_35radix_sort_onesweep_config_selectorImNS0_10empty_typeEEEZZNS1_29radix_sort_onesweep_iterationIS3_Lb0EPmS8_PS5_S9_mNS0_19identity_decomposerENS1_16block_id_wrapperIjLb0EEEEE10hipError_tT1_PNSt15iterator_traitsISE_E10value_typeET2_T3_PNSF_ISK_E10value_typeET4_T5_PSP_SQ_PNS1_23onesweep_lookback_stateEbbT6_jjT7_P12ihipStream_tbENKUlT_T0_SE_SJ_E_clIS8_S8_S9_S9_EEDaSX_SY_SE_SJ_EUlSX_E_NS1_11comp_targetILNS1_3genE4ELNS1_11target_archE910ELNS1_3gpuE8ELNS1_3repE0EEENS1_47radix_sort_onesweep_sort_config_static_selectorELNS0_4arch9wavefront6targetE1EEEvSE_,"axG",@progbits,_ZN7rocprim17ROCPRIM_400000_NS6detail17trampoline_kernelINS0_14default_configENS1_35radix_sort_onesweep_config_selectorImNS0_10empty_typeEEEZZNS1_29radix_sort_onesweep_iterationIS3_Lb0EPmS8_PS5_S9_mNS0_19identity_decomposerENS1_16block_id_wrapperIjLb0EEEEE10hipError_tT1_PNSt15iterator_traitsISE_E10value_typeET2_T3_PNSF_ISK_E10value_typeET4_T5_PSP_SQ_PNS1_23onesweep_lookback_stateEbbT6_jjT7_P12ihipStream_tbENKUlT_T0_SE_SJ_E_clIS8_S8_S9_S9_EEDaSX_SY_SE_SJ_EUlSX_E_NS1_11comp_targetILNS1_3genE4ELNS1_11target_archE910ELNS1_3gpuE8ELNS1_3repE0EEENS1_47radix_sort_onesweep_sort_config_static_selectorELNS0_4arch9wavefront6targetE1EEEvSE_,comdat
.Lfunc_end993:
	.size	_ZN7rocprim17ROCPRIM_400000_NS6detail17trampoline_kernelINS0_14default_configENS1_35radix_sort_onesweep_config_selectorImNS0_10empty_typeEEEZZNS1_29radix_sort_onesweep_iterationIS3_Lb0EPmS8_PS5_S9_mNS0_19identity_decomposerENS1_16block_id_wrapperIjLb0EEEEE10hipError_tT1_PNSt15iterator_traitsISE_E10value_typeET2_T3_PNSF_ISK_E10value_typeET4_T5_PSP_SQ_PNS1_23onesweep_lookback_stateEbbT6_jjT7_P12ihipStream_tbENKUlT_T0_SE_SJ_E_clIS8_S8_S9_S9_EEDaSX_SY_SE_SJ_EUlSX_E_NS1_11comp_targetILNS1_3genE4ELNS1_11target_archE910ELNS1_3gpuE8ELNS1_3repE0EEENS1_47radix_sort_onesweep_sort_config_static_selectorELNS0_4arch9wavefront6targetE1EEEvSE_, .Lfunc_end993-_ZN7rocprim17ROCPRIM_400000_NS6detail17trampoline_kernelINS0_14default_configENS1_35radix_sort_onesweep_config_selectorImNS0_10empty_typeEEEZZNS1_29radix_sort_onesweep_iterationIS3_Lb0EPmS8_PS5_S9_mNS0_19identity_decomposerENS1_16block_id_wrapperIjLb0EEEEE10hipError_tT1_PNSt15iterator_traitsISE_E10value_typeET2_T3_PNSF_ISK_E10value_typeET4_T5_PSP_SQ_PNS1_23onesweep_lookback_stateEbbT6_jjT7_P12ihipStream_tbENKUlT_T0_SE_SJ_E_clIS8_S8_S9_S9_EEDaSX_SY_SE_SJ_EUlSX_E_NS1_11comp_targetILNS1_3genE4ELNS1_11target_archE910ELNS1_3gpuE8ELNS1_3repE0EEENS1_47radix_sort_onesweep_sort_config_static_selectorELNS0_4arch9wavefront6targetE1EEEvSE_
                                        ; -- End function
	.section	.AMDGPU.csdata,"",@progbits
; Kernel info:
; codeLenInByte = 10176
; NumSgprs: 34
; NumVgprs: 55
; NumAgprs: 0
; TotalNumVgprs: 55
; ScratchSize: 0
; MemoryBound: 0
; FloatMode: 240
; IeeeMode: 1
; LDSByteSize: 20552 bytes/workgroup (compile time only)
; SGPRBlocks: 4
; VGPRBlocks: 6
; NumSGPRsForWavesPerEU: 34
; NumVGPRsForWavesPerEU: 55
; AccumOffset: 56
; Occupancy: 8
; WaveLimiterHint : 1
; COMPUTE_PGM_RSRC2:SCRATCH_EN: 0
; COMPUTE_PGM_RSRC2:USER_SGPR: 6
; COMPUTE_PGM_RSRC2:TRAP_HANDLER: 0
; COMPUTE_PGM_RSRC2:TGID_X_EN: 1
; COMPUTE_PGM_RSRC2:TGID_Y_EN: 0
; COMPUTE_PGM_RSRC2:TGID_Z_EN: 0
; COMPUTE_PGM_RSRC2:TIDIG_COMP_CNT: 2
; COMPUTE_PGM_RSRC3_GFX90A:ACCUM_OFFSET: 13
; COMPUTE_PGM_RSRC3_GFX90A:TG_SPLIT: 0
	.section	.text._ZN7rocprim17ROCPRIM_400000_NS6detail17trampoline_kernelINS0_14default_configENS1_35radix_sort_onesweep_config_selectorImNS0_10empty_typeEEEZZNS1_29radix_sort_onesweep_iterationIS3_Lb0EPmS8_PS5_S9_mNS0_19identity_decomposerENS1_16block_id_wrapperIjLb0EEEEE10hipError_tT1_PNSt15iterator_traitsISE_E10value_typeET2_T3_PNSF_ISK_E10value_typeET4_T5_PSP_SQ_PNS1_23onesweep_lookback_stateEbbT6_jjT7_P12ihipStream_tbENKUlT_T0_SE_SJ_E_clIS8_S8_S9_S9_EEDaSX_SY_SE_SJ_EUlSX_E_NS1_11comp_targetILNS1_3genE3ELNS1_11target_archE908ELNS1_3gpuE7ELNS1_3repE0EEENS1_47radix_sort_onesweep_sort_config_static_selectorELNS0_4arch9wavefront6targetE1EEEvSE_,"axG",@progbits,_ZN7rocprim17ROCPRIM_400000_NS6detail17trampoline_kernelINS0_14default_configENS1_35radix_sort_onesweep_config_selectorImNS0_10empty_typeEEEZZNS1_29radix_sort_onesweep_iterationIS3_Lb0EPmS8_PS5_S9_mNS0_19identity_decomposerENS1_16block_id_wrapperIjLb0EEEEE10hipError_tT1_PNSt15iterator_traitsISE_E10value_typeET2_T3_PNSF_ISK_E10value_typeET4_T5_PSP_SQ_PNS1_23onesweep_lookback_stateEbbT6_jjT7_P12ihipStream_tbENKUlT_T0_SE_SJ_E_clIS8_S8_S9_S9_EEDaSX_SY_SE_SJ_EUlSX_E_NS1_11comp_targetILNS1_3genE3ELNS1_11target_archE908ELNS1_3gpuE7ELNS1_3repE0EEENS1_47radix_sort_onesweep_sort_config_static_selectorELNS0_4arch9wavefront6targetE1EEEvSE_,comdat
	.protected	_ZN7rocprim17ROCPRIM_400000_NS6detail17trampoline_kernelINS0_14default_configENS1_35radix_sort_onesweep_config_selectorImNS0_10empty_typeEEEZZNS1_29radix_sort_onesweep_iterationIS3_Lb0EPmS8_PS5_S9_mNS0_19identity_decomposerENS1_16block_id_wrapperIjLb0EEEEE10hipError_tT1_PNSt15iterator_traitsISE_E10value_typeET2_T3_PNSF_ISK_E10value_typeET4_T5_PSP_SQ_PNS1_23onesweep_lookback_stateEbbT6_jjT7_P12ihipStream_tbENKUlT_T0_SE_SJ_E_clIS8_S8_S9_S9_EEDaSX_SY_SE_SJ_EUlSX_E_NS1_11comp_targetILNS1_3genE3ELNS1_11target_archE908ELNS1_3gpuE7ELNS1_3repE0EEENS1_47radix_sort_onesweep_sort_config_static_selectorELNS0_4arch9wavefront6targetE1EEEvSE_ ; -- Begin function _ZN7rocprim17ROCPRIM_400000_NS6detail17trampoline_kernelINS0_14default_configENS1_35radix_sort_onesweep_config_selectorImNS0_10empty_typeEEEZZNS1_29radix_sort_onesweep_iterationIS3_Lb0EPmS8_PS5_S9_mNS0_19identity_decomposerENS1_16block_id_wrapperIjLb0EEEEE10hipError_tT1_PNSt15iterator_traitsISE_E10value_typeET2_T3_PNSF_ISK_E10value_typeET4_T5_PSP_SQ_PNS1_23onesweep_lookback_stateEbbT6_jjT7_P12ihipStream_tbENKUlT_T0_SE_SJ_E_clIS8_S8_S9_S9_EEDaSX_SY_SE_SJ_EUlSX_E_NS1_11comp_targetILNS1_3genE3ELNS1_11target_archE908ELNS1_3gpuE7ELNS1_3repE0EEENS1_47radix_sort_onesweep_sort_config_static_selectorELNS0_4arch9wavefront6targetE1EEEvSE_
	.globl	_ZN7rocprim17ROCPRIM_400000_NS6detail17trampoline_kernelINS0_14default_configENS1_35radix_sort_onesweep_config_selectorImNS0_10empty_typeEEEZZNS1_29radix_sort_onesweep_iterationIS3_Lb0EPmS8_PS5_S9_mNS0_19identity_decomposerENS1_16block_id_wrapperIjLb0EEEEE10hipError_tT1_PNSt15iterator_traitsISE_E10value_typeET2_T3_PNSF_ISK_E10value_typeET4_T5_PSP_SQ_PNS1_23onesweep_lookback_stateEbbT6_jjT7_P12ihipStream_tbENKUlT_T0_SE_SJ_E_clIS8_S8_S9_S9_EEDaSX_SY_SE_SJ_EUlSX_E_NS1_11comp_targetILNS1_3genE3ELNS1_11target_archE908ELNS1_3gpuE7ELNS1_3repE0EEENS1_47radix_sort_onesweep_sort_config_static_selectorELNS0_4arch9wavefront6targetE1EEEvSE_
	.p2align	8
	.type	_ZN7rocprim17ROCPRIM_400000_NS6detail17trampoline_kernelINS0_14default_configENS1_35radix_sort_onesweep_config_selectorImNS0_10empty_typeEEEZZNS1_29radix_sort_onesweep_iterationIS3_Lb0EPmS8_PS5_S9_mNS0_19identity_decomposerENS1_16block_id_wrapperIjLb0EEEEE10hipError_tT1_PNSt15iterator_traitsISE_E10value_typeET2_T3_PNSF_ISK_E10value_typeET4_T5_PSP_SQ_PNS1_23onesweep_lookback_stateEbbT6_jjT7_P12ihipStream_tbENKUlT_T0_SE_SJ_E_clIS8_S8_S9_S9_EEDaSX_SY_SE_SJ_EUlSX_E_NS1_11comp_targetILNS1_3genE3ELNS1_11target_archE908ELNS1_3gpuE7ELNS1_3repE0EEENS1_47radix_sort_onesweep_sort_config_static_selectorELNS0_4arch9wavefront6targetE1EEEvSE_,@function
_ZN7rocprim17ROCPRIM_400000_NS6detail17trampoline_kernelINS0_14default_configENS1_35radix_sort_onesweep_config_selectorImNS0_10empty_typeEEEZZNS1_29radix_sort_onesweep_iterationIS3_Lb0EPmS8_PS5_S9_mNS0_19identity_decomposerENS1_16block_id_wrapperIjLb0EEEEE10hipError_tT1_PNSt15iterator_traitsISE_E10value_typeET2_T3_PNSF_ISK_E10value_typeET4_T5_PSP_SQ_PNS1_23onesweep_lookback_stateEbbT6_jjT7_P12ihipStream_tbENKUlT_T0_SE_SJ_E_clIS8_S8_S9_S9_EEDaSX_SY_SE_SJ_EUlSX_E_NS1_11comp_targetILNS1_3genE3ELNS1_11target_archE908ELNS1_3gpuE7ELNS1_3repE0EEENS1_47radix_sort_onesweep_sort_config_static_selectorELNS0_4arch9wavefront6targetE1EEEvSE_: ; @_ZN7rocprim17ROCPRIM_400000_NS6detail17trampoline_kernelINS0_14default_configENS1_35radix_sort_onesweep_config_selectorImNS0_10empty_typeEEEZZNS1_29radix_sort_onesweep_iterationIS3_Lb0EPmS8_PS5_S9_mNS0_19identity_decomposerENS1_16block_id_wrapperIjLb0EEEEE10hipError_tT1_PNSt15iterator_traitsISE_E10value_typeET2_T3_PNSF_ISK_E10value_typeET4_T5_PSP_SQ_PNS1_23onesweep_lookback_stateEbbT6_jjT7_P12ihipStream_tbENKUlT_T0_SE_SJ_E_clIS8_S8_S9_S9_EEDaSX_SY_SE_SJ_EUlSX_E_NS1_11comp_targetILNS1_3genE3ELNS1_11target_archE908ELNS1_3gpuE7ELNS1_3repE0EEENS1_47radix_sort_onesweep_sort_config_static_selectorELNS0_4arch9wavefront6targetE1EEEvSE_
; %bb.0:
	.section	.rodata,"a",@progbits
	.p2align	6, 0x0
	.amdhsa_kernel _ZN7rocprim17ROCPRIM_400000_NS6detail17trampoline_kernelINS0_14default_configENS1_35radix_sort_onesweep_config_selectorImNS0_10empty_typeEEEZZNS1_29radix_sort_onesweep_iterationIS3_Lb0EPmS8_PS5_S9_mNS0_19identity_decomposerENS1_16block_id_wrapperIjLb0EEEEE10hipError_tT1_PNSt15iterator_traitsISE_E10value_typeET2_T3_PNSF_ISK_E10value_typeET4_T5_PSP_SQ_PNS1_23onesweep_lookback_stateEbbT6_jjT7_P12ihipStream_tbENKUlT_T0_SE_SJ_E_clIS8_S8_S9_S9_EEDaSX_SY_SE_SJ_EUlSX_E_NS1_11comp_targetILNS1_3genE3ELNS1_11target_archE908ELNS1_3gpuE7ELNS1_3repE0EEENS1_47radix_sort_onesweep_sort_config_static_selectorELNS0_4arch9wavefront6targetE1EEEvSE_
		.amdhsa_group_segment_fixed_size 0
		.amdhsa_private_segment_fixed_size 0
		.amdhsa_kernarg_size 88
		.amdhsa_user_sgpr_count 6
		.amdhsa_user_sgpr_private_segment_buffer 1
		.amdhsa_user_sgpr_dispatch_ptr 0
		.amdhsa_user_sgpr_queue_ptr 0
		.amdhsa_user_sgpr_kernarg_segment_ptr 1
		.amdhsa_user_sgpr_dispatch_id 0
		.amdhsa_user_sgpr_flat_scratch_init 0
		.amdhsa_user_sgpr_kernarg_preload_length 0
		.amdhsa_user_sgpr_kernarg_preload_offset 0
		.amdhsa_user_sgpr_private_segment_size 0
		.amdhsa_uses_dynamic_stack 0
		.amdhsa_system_sgpr_private_segment_wavefront_offset 0
		.amdhsa_system_sgpr_workgroup_id_x 1
		.amdhsa_system_sgpr_workgroup_id_y 0
		.amdhsa_system_sgpr_workgroup_id_z 0
		.amdhsa_system_sgpr_workgroup_info 0
		.amdhsa_system_vgpr_workitem_id 0
		.amdhsa_next_free_vgpr 1
		.amdhsa_next_free_sgpr 0
		.amdhsa_accum_offset 4
		.amdhsa_reserve_vcc 0
		.amdhsa_reserve_flat_scratch 0
		.amdhsa_float_round_mode_32 0
		.amdhsa_float_round_mode_16_64 0
		.amdhsa_float_denorm_mode_32 3
		.amdhsa_float_denorm_mode_16_64 3
		.amdhsa_dx10_clamp 1
		.amdhsa_ieee_mode 1
		.amdhsa_fp16_overflow 0
		.amdhsa_tg_split 0
		.amdhsa_exception_fp_ieee_invalid_op 0
		.amdhsa_exception_fp_denorm_src 0
		.amdhsa_exception_fp_ieee_div_zero 0
		.amdhsa_exception_fp_ieee_overflow 0
		.amdhsa_exception_fp_ieee_underflow 0
		.amdhsa_exception_fp_ieee_inexact 0
		.amdhsa_exception_int_div_zero 0
	.end_amdhsa_kernel
	.section	.text._ZN7rocprim17ROCPRIM_400000_NS6detail17trampoline_kernelINS0_14default_configENS1_35radix_sort_onesweep_config_selectorImNS0_10empty_typeEEEZZNS1_29radix_sort_onesweep_iterationIS3_Lb0EPmS8_PS5_S9_mNS0_19identity_decomposerENS1_16block_id_wrapperIjLb0EEEEE10hipError_tT1_PNSt15iterator_traitsISE_E10value_typeET2_T3_PNSF_ISK_E10value_typeET4_T5_PSP_SQ_PNS1_23onesweep_lookback_stateEbbT6_jjT7_P12ihipStream_tbENKUlT_T0_SE_SJ_E_clIS8_S8_S9_S9_EEDaSX_SY_SE_SJ_EUlSX_E_NS1_11comp_targetILNS1_3genE3ELNS1_11target_archE908ELNS1_3gpuE7ELNS1_3repE0EEENS1_47radix_sort_onesweep_sort_config_static_selectorELNS0_4arch9wavefront6targetE1EEEvSE_,"axG",@progbits,_ZN7rocprim17ROCPRIM_400000_NS6detail17trampoline_kernelINS0_14default_configENS1_35radix_sort_onesweep_config_selectorImNS0_10empty_typeEEEZZNS1_29radix_sort_onesweep_iterationIS3_Lb0EPmS8_PS5_S9_mNS0_19identity_decomposerENS1_16block_id_wrapperIjLb0EEEEE10hipError_tT1_PNSt15iterator_traitsISE_E10value_typeET2_T3_PNSF_ISK_E10value_typeET4_T5_PSP_SQ_PNS1_23onesweep_lookback_stateEbbT6_jjT7_P12ihipStream_tbENKUlT_T0_SE_SJ_E_clIS8_S8_S9_S9_EEDaSX_SY_SE_SJ_EUlSX_E_NS1_11comp_targetILNS1_3genE3ELNS1_11target_archE908ELNS1_3gpuE7ELNS1_3repE0EEENS1_47radix_sort_onesweep_sort_config_static_selectorELNS0_4arch9wavefront6targetE1EEEvSE_,comdat
.Lfunc_end994:
	.size	_ZN7rocprim17ROCPRIM_400000_NS6detail17trampoline_kernelINS0_14default_configENS1_35radix_sort_onesweep_config_selectorImNS0_10empty_typeEEEZZNS1_29radix_sort_onesweep_iterationIS3_Lb0EPmS8_PS5_S9_mNS0_19identity_decomposerENS1_16block_id_wrapperIjLb0EEEEE10hipError_tT1_PNSt15iterator_traitsISE_E10value_typeET2_T3_PNSF_ISK_E10value_typeET4_T5_PSP_SQ_PNS1_23onesweep_lookback_stateEbbT6_jjT7_P12ihipStream_tbENKUlT_T0_SE_SJ_E_clIS8_S8_S9_S9_EEDaSX_SY_SE_SJ_EUlSX_E_NS1_11comp_targetILNS1_3genE3ELNS1_11target_archE908ELNS1_3gpuE7ELNS1_3repE0EEENS1_47radix_sort_onesweep_sort_config_static_selectorELNS0_4arch9wavefront6targetE1EEEvSE_, .Lfunc_end994-_ZN7rocprim17ROCPRIM_400000_NS6detail17trampoline_kernelINS0_14default_configENS1_35radix_sort_onesweep_config_selectorImNS0_10empty_typeEEEZZNS1_29radix_sort_onesweep_iterationIS3_Lb0EPmS8_PS5_S9_mNS0_19identity_decomposerENS1_16block_id_wrapperIjLb0EEEEE10hipError_tT1_PNSt15iterator_traitsISE_E10value_typeET2_T3_PNSF_ISK_E10value_typeET4_T5_PSP_SQ_PNS1_23onesweep_lookback_stateEbbT6_jjT7_P12ihipStream_tbENKUlT_T0_SE_SJ_E_clIS8_S8_S9_S9_EEDaSX_SY_SE_SJ_EUlSX_E_NS1_11comp_targetILNS1_3genE3ELNS1_11target_archE908ELNS1_3gpuE7ELNS1_3repE0EEENS1_47radix_sort_onesweep_sort_config_static_selectorELNS0_4arch9wavefront6targetE1EEEvSE_
                                        ; -- End function
	.section	.AMDGPU.csdata,"",@progbits
; Kernel info:
; codeLenInByte = 0
; NumSgprs: 4
; NumVgprs: 0
; NumAgprs: 0
; TotalNumVgprs: 0
; ScratchSize: 0
; MemoryBound: 0
; FloatMode: 240
; IeeeMode: 1
; LDSByteSize: 0 bytes/workgroup (compile time only)
; SGPRBlocks: 0
; VGPRBlocks: 0
; NumSGPRsForWavesPerEU: 4
; NumVGPRsForWavesPerEU: 1
; AccumOffset: 4
; Occupancy: 8
; WaveLimiterHint : 0
; COMPUTE_PGM_RSRC2:SCRATCH_EN: 0
; COMPUTE_PGM_RSRC2:USER_SGPR: 6
; COMPUTE_PGM_RSRC2:TRAP_HANDLER: 0
; COMPUTE_PGM_RSRC2:TGID_X_EN: 1
; COMPUTE_PGM_RSRC2:TGID_Y_EN: 0
; COMPUTE_PGM_RSRC2:TGID_Z_EN: 0
; COMPUTE_PGM_RSRC2:TIDIG_COMP_CNT: 0
; COMPUTE_PGM_RSRC3_GFX90A:ACCUM_OFFSET: 0
; COMPUTE_PGM_RSRC3_GFX90A:TG_SPLIT: 0
	.section	.text._ZN7rocprim17ROCPRIM_400000_NS6detail17trampoline_kernelINS0_14default_configENS1_35radix_sort_onesweep_config_selectorImNS0_10empty_typeEEEZZNS1_29radix_sort_onesweep_iterationIS3_Lb0EPmS8_PS5_S9_mNS0_19identity_decomposerENS1_16block_id_wrapperIjLb0EEEEE10hipError_tT1_PNSt15iterator_traitsISE_E10value_typeET2_T3_PNSF_ISK_E10value_typeET4_T5_PSP_SQ_PNS1_23onesweep_lookback_stateEbbT6_jjT7_P12ihipStream_tbENKUlT_T0_SE_SJ_E_clIS8_S8_S9_S9_EEDaSX_SY_SE_SJ_EUlSX_E_NS1_11comp_targetILNS1_3genE10ELNS1_11target_archE1201ELNS1_3gpuE5ELNS1_3repE0EEENS1_47radix_sort_onesweep_sort_config_static_selectorELNS0_4arch9wavefront6targetE1EEEvSE_,"axG",@progbits,_ZN7rocprim17ROCPRIM_400000_NS6detail17trampoline_kernelINS0_14default_configENS1_35radix_sort_onesweep_config_selectorImNS0_10empty_typeEEEZZNS1_29radix_sort_onesweep_iterationIS3_Lb0EPmS8_PS5_S9_mNS0_19identity_decomposerENS1_16block_id_wrapperIjLb0EEEEE10hipError_tT1_PNSt15iterator_traitsISE_E10value_typeET2_T3_PNSF_ISK_E10value_typeET4_T5_PSP_SQ_PNS1_23onesweep_lookback_stateEbbT6_jjT7_P12ihipStream_tbENKUlT_T0_SE_SJ_E_clIS8_S8_S9_S9_EEDaSX_SY_SE_SJ_EUlSX_E_NS1_11comp_targetILNS1_3genE10ELNS1_11target_archE1201ELNS1_3gpuE5ELNS1_3repE0EEENS1_47radix_sort_onesweep_sort_config_static_selectorELNS0_4arch9wavefront6targetE1EEEvSE_,comdat
	.protected	_ZN7rocprim17ROCPRIM_400000_NS6detail17trampoline_kernelINS0_14default_configENS1_35radix_sort_onesweep_config_selectorImNS0_10empty_typeEEEZZNS1_29radix_sort_onesweep_iterationIS3_Lb0EPmS8_PS5_S9_mNS0_19identity_decomposerENS1_16block_id_wrapperIjLb0EEEEE10hipError_tT1_PNSt15iterator_traitsISE_E10value_typeET2_T3_PNSF_ISK_E10value_typeET4_T5_PSP_SQ_PNS1_23onesweep_lookback_stateEbbT6_jjT7_P12ihipStream_tbENKUlT_T0_SE_SJ_E_clIS8_S8_S9_S9_EEDaSX_SY_SE_SJ_EUlSX_E_NS1_11comp_targetILNS1_3genE10ELNS1_11target_archE1201ELNS1_3gpuE5ELNS1_3repE0EEENS1_47radix_sort_onesweep_sort_config_static_selectorELNS0_4arch9wavefront6targetE1EEEvSE_ ; -- Begin function _ZN7rocprim17ROCPRIM_400000_NS6detail17trampoline_kernelINS0_14default_configENS1_35radix_sort_onesweep_config_selectorImNS0_10empty_typeEEEZZNS1_29radix_sort_onesweep_iterationIS3_Lb0EPmS8_PS5_S9_mNS0_19identity_decomposerENS1_16block_id_wrapperIjLb0EEEEE10hipError_tT1_PNSt15iterator_traitsISE_E10value_typeET2_T3_PNSF_ISK_E10value_typeET4_T5_PSP_SQ_PNS1_23onesweep_lookback_stateEbbT6_jjT7_P12ihipStream_tbENKUlT_T0_SE_SJ_E_clIS8_S8_S9_S9_EEDaSX_SY_SE_SJ_EUlSX_E_NS1_11comp_targetILNS1_3genE10ELNS1_11target_archE1201ELNS1_3gpuE5ELNS1_3repE0EEENS1_47radix_sort_onesweep_sort_config_static_selectorELNS0_4arch9wavefront6targetE1EEEvSE_
	.globl	_ZN7rocprim17ROCPRIM_400000_NS6detail17trampoline_kernelINS0_14default_configENS1_35radix_sort_onesweep_config_selectorImNS0_10empty_typeEEEZZNS1_29radix_sort_onesweep_iterationIS3_Lb0EPmS8_PS5_S9_mNS0_19identity_decomposerENS1_16block_id_wrapperIjLb0EEEEE10hipError_tT1_PNSt15iterator_traitsISE_E10value_typeET2_T3_PNSF_ISK_E10value_typeET4_T5_PSP_SQ_PNS1_23onesweep_lookback_stateEbbT6_jjT7_P12ihipStream_tbENKUlT_T0_SE_SJ_E_clIS8_S8_S9_S9_EEDaSX_SY_SE_SJ_EUlSX_E_NS1_11comp_targetILNS1_3genE10ELNS1_11target_archE1201ELNS1_3gpuE5ELNS1_3repE0EEENS1_47radix_sort_onesweep_sort_config_static_selectorELNS0_4arch9wavefront6targetE1EEEvSE_
	.p2align	8
	.type	_ZN7rocprim17ROCPRIM_400000_NS6detail17trampoline_kernelINS0_14default_configENS1_35radix_sort_onesweep_config_selectorImNS0_10empty_typeEEEZZNS1_29radix_sort_onesweep_iterationIS3_Lb0EPmS8_PS5_S9_mNS0_19identity_decomposerENS1_16block_id_wrapperIjLb0EEEEE10hipError_tT1_PNSt15iterator_traitsISE_E10value_typeET2_T3_PNSF_ISK_E10value_typeET4_T5_PSP_SQ_PNS1_23onesweep_lookback_stateEbbT6_jjT7_P12ihipStream_tbENKUlT_T0_SE_SJ_E_clIS8_S8_S9_S9_EEDaSX_SY_SE_SJ_EUlSX_E_NS1_11comp_targetILNS1_3genE10ELNS1_11target_archE1201ELNS1_3gpuE5ELNS1_3repE0EEENS1_47radix_sort_onesweep_sort_config_static_selectorELNS0_4arch9wavefront6targetE1EEEvSE_,@function
_ZN7rocprim17ROCPRIM_400000_NS6detail17trampoline_kernelINS0_14default_configENS1_35radix_sort_onesweep_config_selectorImNS0_10empty_typeEEEZZNS1_29radix_sort_onesweep_iterationIS3_Lb0EPmS8_PS5_S9_mNS0_19identity_decomposerENS1_16block_id_wrapperIjLb0EEEEE10hipError_tT1_PNSt15iterator_traitsISE_E10value_typeET2_T3_PNSF_ISK_E10value_typeET4_T5_PSP_SQ_PNS1_23onesweep_lookback_stateEbbT6_jjT7_P12ihipStream_tbENKUlT_T0_SE_SJ_E_clIS8_S8_S9_S9_EEDaSX_SY_SE_SJ_EUlSX_E_NS1_11comp_targetILNS1_3genE10ELNS1_11target_archE1201ELNS1_3gpuE5ELNS1_3repE0EEENS1_47radix_sort_onesweep_sort_config_static_selectorELNS0_4arch9wavefront6targetE1EEEvSE_: ; @_ZN7rocprim17ROCPRIM_400000_NS6detail17trampoline_kernelINS0_14default_configENS1_35radix_sort_onesweep_config_selectorImNS0_10empty_typeEEEZZNS1_29radix_sort_onesweep_iterationIS3_Lb0EPmS8_PS5_S9_mNS0_19identity_decomposerENS1_16block_id_wrapperIjLb0EEEEE10hipError_tT1_PNSt15iterator_traitsISE_E10value_typeET2_T3_PNSF_ISK_E10value_typeET4_T5_PSP_SQ_PNS1_23onesweep_lookback_stateEbbT6_jjT7_P12ihipStream_tbENKUlT_T0_SE_SJ_E_clIS8_S8_S9_S9_EEDaSX_SY_SE_SJ_EUlSX_E_NS1_11comp_targetILNS1_3genE10ELNS1_11target_archE1201ELNS1_3gpuE5ELNS1_3repE0EEENS1_47radix_sort_onesweep_sort_config_static_selectorELNS0_4arch9wavefront6targetE1EEEvSE_
; %bb.0:
	.section	.rodata,"a",@progbits
	.p2align	6, 0x0
	.amdhsa_kernel _ZN7rocprim17ROCPRIM_400000_NS6detail17trampoline_kernelINS0_14default_configENS1_35radix_sort_onesweep_config_selectorImNS0_10empty_typeEEEZZNS1_29radix_sort_onesweep_iterationIS3_Lb0EPmS8_PS5_S9_mNS0_19identity_decomposerENS1_16block_id_wrapperIjLb0EEEEE10hipError_tT1_PNSt15iterator_traitsISE_E10value_typeET2_T3_PNSF_ISK_E10value_typeET4_T5_PSP_SQ_PNS1_23onesweep_lookback_stateEbbT6_jjT7_P12ihipStream_tbENKUlT_T0_SE_SJ_E_clIS8_S8_S9_S9_EEDaSX_SY_SE_SJ_EUlSX_E_NS1_11comp_targetILNS1_3genE10ELNS1_11target_archE1201ELNS1_3gpuE5ELNS1_3repE0EEENS1_47radix_sort_onesweep_sort_config_static_selectorELNS0_4arch9wavefront6targetE1EEEvSE_
		.amdhsa_group_segment_fixed_size 0
		.amdhsa_private_segment_fixed_size 0
		.amdhsa_kernarg_size 88
		.amdhsa_user_sgpr_count 6
		.amdhsa_user_sgpr_private_segment_buffer 1
		.amdhsa_user_sgpr_dispatch_ptr 0
		.amdhsa_user_sgpr_queue_ptr 0
		.amdhsa_user_sgpr_kernarg_segment_ptr 1
		.amdhsa_user_sgpr_dispatch_id 0
		.amdhsa_user_sgpr_flat_scratch_init 0
		.amdhsa_user_sgpr_kernarg_preload_length 0
		.amdhsa_user_sgpr_kernarg_preload_offset 0
		.amdhsa_user_sgpr_private_segment_size 0
		.amdhsa_uses_dynamic_stack 0
		.amdhsa_system_sgpr_private_segment_wavefront_offset 0
		.amdhsa_system_sgpr_workgroup_id_x 1
		.amdhsa_system_sgpr_workgroup_id_y 0
		.amdhsa_system_sgpr_workgroup_id_z 0
		.amdhsa_system_sgpr_workgroup_info 0
		.amdhsa_system_vgpr_workitem_id 0
		.amdhsa_next_free_vgpr 1
		.amdhsa_next_free_sgpr 0
		.amdhsa_accum_offset 4
		.amdhsa_reserve_vcc 0
		.amdhsa_reserve_flat_scratch 0
		.amdhsa_float_round_mode_32 0
		.amdhsa_float_round_mode_16_64 0
		.amdhsa_float_denorm_mode_32 3
		.amdhsa_float_denorm_mode_16_64 3
		.amdhsa_dx10_clamp 1
		.amdhsa_ieee_mode 1
		.amdhsa_fp16_overflow 0
		.amdhsa_tg_split 0
		.amdhsa_exception_fp_ieee_invalid_op 0
		.amdhsa_exception_fp_denorm_src 0
		.amdhsa_exception_fp_ieee_div_zero 0
		.amdhsa_exception_fp_ieee_overflow 0
		.amdhsa_exception_fp_ieee_underflow 0
		.amdhsa_exception_fp_ieee_inexact 0
		.amdhsa_exception_int_div_zero 0
	.end_amdhsa_kernel
	.section	.text._ZN7rocprim17ROCPRIM_400000_NS6detail17trampoline_kernelINS0_14default_configENS1_35radix_sort_onesweep_config_selectorImNS0_10empty_typeEEEZZNS1_29radix_sort_onesweep_iterationIS3_Lb0EPmS8_PS5_S9_mNS0_19identity_decomposerENS1_16block_id_wrapperIjLb0EEEEE10hipError_tT1_PNSt15iterator_traitsISE_E10value_typeET2_T3_PNSF_ISK_E10value_typeET4_T5_PSP_SQ_PNS1_23onesweep_lookback_stateEbbT6_jjT7_P12ihipStream_tbENKUlT_T0_SE_SJ_E_clIS8_S8_S9_S9_EEDaSX_SY_SE_SJ_EUlSX_E_NS1_11comp_targetILNS1_3genE10ELNS1_11target_archE1201ELNS1_3gpuE5ELNS1_3repE0EEENS1_47radix_sort_onesweep_sort_config_static_selectorELNS0_4arch9wavefront6targetE1EEEvSE_,"axG",@progbits,_ZN7rocprim17ROCPRIM_400000_NS6detail17trampoline_kernelINS0_14default_configENS1_35radix_sort_onesweep_config_selectorImNS0_10empty_typeEEEZZNS1_29radix_sort_onesweep_iterationIS3_Lb0EPmS8_PS5_S9_mNS0_19identity_decomposerENS1_16block_id_wrapperIjLb0EEEEE10hipError_tT1_PNSt15iterator_traitsISE_E10value_typeET2_T3_PNSF_ISK_E10value_typeET4_T5_PSP_SQ_PNS1_23onesweep_lookback_stateEbbT6_jjT7_P12ihipStream_tbENKUlT_T0_SE_SJ_E_clIS8_S8_S9_S9_EEDaSX_SY_SE_SJ_EUlSX_E_NS1_11comp_targetILNS1_3genE10ELNS1_11target_archE1201ELNS1_3gpuE5ELNS1_3repE0EEENS1_47radix_sort_onesweep_sort_config_static_selectorELNS0_4arch9wavefront6targetE1EEEvSE_,comdat
.Lfunc_end995:
	.size	_ZN7rocprim17ROCPRIM_400000_NS6detail17trampoline_kernelINS0_14default_configENS1_35radix_sort_onesweep_config_selectorImNS0_10empty_typeEEEZZNS1_29radix_sort_onesweep_iterationIS3_Lb0EPmS8_PS5_S9_mNS0_19identity_decomposerENS1_16block_id_wrapperIjLb0EEEEE10hipError_tT1_PNSt15iterator_traitsISE_E10value_typeET2_T3_PNSF_ISK_E10value_typeET4_T5_PSP_SQ_PNS1_23onesweep_lookback_stateEbbT6_jjT7_P12ihipStream_tbENKUlT_T0_SE_SJ_E_clIS8_S8_S9_S9_EEDaSX_SY_SE_SJ_EUlSX_E_NS1_11comp_targetILNS1_3genE10ELNS1_11target_archE1201ELNS1_3gpuE5ELNS1_3repE0EEENS1_47radix_sort_onesweep_sort_config_static_selectorELNS0_4arch9wavefront6targetE1EEEvSE_, .Lfunc_end995-_ZN7rocprim17ROCPRIM_400000_NS6detail17trampoline_kernelINS0_14default_configENS1_35radix_sort_onesweep_config_selectorImNS0_10empty_typeEEEZZNS1_29radix_sort_onesweep_iterationIS3_Lb0EPmS8_PS5_S9_mNS0_19identity_decomposerENS1_16block_id_wrapperIjLb0EEEEE10hipError_tT1_PNSt15iterator_traitsISE_E10value_typeET2_T3_PNSF_ISK_E10value_typeET4_T5_PSP_SQ_PNS1_23onesweep_lookback_stateEbbT6_jjT7_P12ihipStream_tbENKUlT_T0_SE_SJ_E_clIS8_S8_S9_S9_EEDaSX_SY_SE_SJ_EUlSX_E_NS1_11comp_targetILNS1_3genE10ELNS1_11target_archE1201ELNS1_3gpuE5ELNS1_3repE0EEENS1_47radix_sort_onesweep_sort_config_static_selectorELNS0_4arch9wavefront6targetE1EEEvSE_
                                        ; -- End function
	.section	.AMDGPU.csdata,"",@progbits
; Kernel info:
; codeLenInByte = 0
; NumSgprs: 4
; NumVgprs: 0
; NumAgprs: 0
; TotalNumVgprs: 0
; ScratchSize: 0
; MemoryBound: 0
; FloatMode: 240
; IeeeMode: 1
; LDSByteSize: 0 bytes/workgroup (compile time only)
; SGPRBlocks: 0
; VGPRBlocks: 0
; NumSGPRsForWavesPerEU: 4
; NumVGPRsForWavesPerEU: 1
; AccumOffset: 4
; Occupancy: 8
; WaveLimiterHint : 0
; COMPUTE_PGM_RSRC2:SCRATCH_EN: 0
; COMPUTE_PGM_RSRC2:USER_SGPR: 6
; COMPUTE_PGM_RSRC2:TRAP_HANDLER: 0
; COMPUTE_PGM_RSRC2:TGID_X_EN: 1
; COMPUTE_PGM_RSRC2:TGID_Y_EN: 0
; COMPUTE_PGM_RSRC2:TGID_Z_EN: 0
; COMPUTE_PGM_RSRC2:TIDIG_COMP_CNT: 0
; COMPUTE_PGM_RSRC3_GFX90A:ACCUM_OFFSET: 0
; COMPUTE_PGM_RSRC3_GFX90A:TG_SPLIT: 0
	.section	.text._ZN7rocprim17ROCPRIM_400000_NS6detail17trampoline_kernelINS0_14default_configENS1_35radix_sort_onesweep_config_selectorImNS0_10empty_typeEEEZZNS1_29radix_sort_onesweep_iterationIS3_Lb0EPmS8_PS5_S9_mNS0_19identity_decomposerENS1_16block_id_wrapperIjLb0EEEEE10hipError_tT1_PNSt15iterator_traitsISE_E10value_typeET2_T3_PNSF_ISK_E10value_typeET4_T5_PSP_SQ_PNS1_23onesweep_lookback_stateEbbT6_jjT7_P12ihipStream_tbENKUlT_T0_SE_SJ_E_clIS8_S8_S9_S9_EEDaSX_SY_SE_SJ_EUlSX_E_NS1_11comp_targetILNS1_3genE9ELNS1_11target_archE1100ELNS1_3gpuE3ELNS1_3repE0EEENS1_47radix_sort_onesweep_sort_config_static_selectorELNS0_4arch9wavefront6targetE1EEEvSE_,"axG",@progbits,_ZN7rocprim17ROCPRIM_400000_NS6detail17trampoline_kernelINS0_14default_configENS1_35radix_sort_onesweep_config_selectorImNS0_10empty_typeEEEZZNS1_29radix_sort_onesweep_iterationIS3_Lb0EPmS8_PS5_S9_mNS0_19identity_decomposerENS1_16block_id_wrapperIjLb0EEEEE10hipError_tT1_PNSt15iterator_traitsISE_E10value_typeET2_T3_PNSF_ISK_E10value_typeET4_T5_PSP_SQ_PNS1_23onesweep_lookback_stateEbbT6_jjT7_P12ihipStream_tbENKUlT_T0_SE_SJ_E_clIS8_S8_S9_S9_EEDaSX_SY_SE_SJ_EUlSX_E_NS1_11comp_targetILNS1_3genE9ELNS1_11target_archE1100ELNS1_3gpuE3ELNS1_3repE0EEENS1_47radix_sort_onesweep_sort_config_static_selectorELNS0_4arch9wavefront6targetE1EEEvSE_,comdat
	.protected	_ZN7rocprim17ROCPRIM_400000_NS6detail17trampoline_kernelINS0_14default_configENS1_35radix_sort_onesweep_config_selectorImNS0_10empty_typeEEEZZNS1_29radix_sort_onesweep_iterationIS3_Lb0EPmS8_PS5_S9_mNS0_19identity_decomposerENS1_16block_id_wrapperIjLb0EEEEE10hipError_tT1_PNSt15iterator_traitsISE_E10value_typeET2_T3_PNSF_ISK_E10value_typeET4_T5_PSP_SQ_PNS1_23onesweep_lookback_stateEbbT6_jjT7_P12ihipStream_tbENKUlT_T0_SE_SJ_E_clIS8_S8_S9_S9_EEDaSX_SY_SE_SJ_EUlSX_E_NS1_11comp_targetILNS1_3genE9ELNS1_11target_archE1100ELNS1_3gpuE3ELNS1_3repE0EEENS1_47radix_sort_onesweep_sort_config_static_selectorELNS0_4arch9wavefront6targetE1EEEvSE_ ; -- Begin function _ZN7rocprim17ROCPRIM_400000_NS6detail17trampoline_kernelINS0_14default_configENS1_35radix_sort_onesweep_config_selectorImNS0_10empty_typeEEEZZNS1_29radix_sort_onesweep_iterationIS3_Lb0EPmS8_PS5_S9_mNS0_19identity_decomposerENS1_16block_id_wrapperIjLb0EEEEE10hipError_tT1_PNSt15iterator_traitsISE_E10value_typeET2_T3_PNSF_ISK_E10value_typeET4_T5_PSP_SQ_PNS1_23onesweep_lookback_stateEbbT6_jjT7_P12ihipStream_tbENKUlT_T0_SE_SJ_E_clIS8_S8_S9_S9_EEDaSX_SY_SE_SJ_EUlSX_E_NS1_11comp_targetILNS1_3genE9ELNS1_11target_archE1100ELNS1_3gpuE3ELNS1_3repE0EEENS1_47radix_sort_onesweep_sort_config_static_selectorELNS0_4arch9wavefront6targetE1EEEvSE_
	.globl	_ZN7rocprim17ROCPRIM_400000_NS6detail17trampoline_kernelINS0_14default_configENS1_35radix_sort_onesweep_config_selectorImNS0_10empty_typeEEEZZNS1_29radix_sort_onesweep_iterationIS3_Lb0EPmS8_PS5_S9_mNS0_19identity_decomposerENS1_16block_id_wrapperIjLb0EEEEE10hipError_tT1_PNSt15iterator_traitsISE_E10value_typeET2_T3_PNSF_ISK_E10value_typeET4_T5_PSP_SQ_PNS1_23onesweep_lookback_stateEbbT6_jjT7_P12ihipStream_tbENKUlT_T0_SE_SJ_E_clIS8_S8_S9_S9_EEDaSX_SY_SE_SJ_EUlSX_E_NS1_11comp_targetILNS1_3genE9ELNS1_11target_archE1100ELNS1_3gpuE3ELNS1_3repE0EEENS1_47radix_sort_onesweep_sort_config_static_selectorELNS0_4arch9wavefront6targetE1EEEvSE_
	.p2align	8
	.type	_ZN7rocprim17ROCPRIM_400000_NS6detail17trampoline_kernelINS0_14default_configENS1_35radix_sort_onesweep_config_selectorImNS0_10empty_typeEEEZZNS1_29radix_sort_onesweep_iterationIS3_Lb0EPmS8_PS5_S9_mNS0_19identity_decomposerENS1_16block_id_wrapperIjLb0EEEEE10hipError_tT1_PNSt15iterator_traitsISE_E10value_typeET2_T3_PNSF_ISK_E10value_typeET4_T5_PSP_SQ_PNS1_23onesweep_lookback_stateEbbT6_jjT7_P12ihipStream_tbENKUlT_T0_SE_SJ_E_clIS8_S8_S9_S9_EEDaSX_SY_SE_SJ_EUlSX_E_NS1_11comp_targetILNS1_3genE9ELNS1_11target_archE1100ELNS1_3gpuE3ELNS1_3repE0EEENS1_47radix_sort_onesweep_sort_config_static_selectorELNS0_4arch9wavefront6targetE1EEEvSE_,@function
_ZN7rocprim17ROCPRIM_400000_NS6detail17trampoline_kernelINS0_14default_configENS1_35radix_sort_onesweep_config_selectorImNS0_10empty_typeEEEZZNS1_29radix_sort_onesweep_iterationIS3_Lb0EPmS8_PS5_S9_mNS0_19identity_decomposerENS1_16block_id_wrapperIjLb0EEEEE10hipError_tT1_PNSt15iterator_traitsISE_E10value_typeET2_T3_PNSF_ISK_E10value_typeET4_T5_PSP_SQ_PNS1_23onesweep_lookback_stateEbbT6_jjT7_P12ihipStream_tbENKUlT_T0_SE_SJ_E_clIS8_S8_S9_S9_EEDaSX_SY_SE_SJ_EUlSX_E_NS1_11comp_targetILNS1_3genE9ELNS1_11target_archE1100ELNS1_3gpuE3ELNS1_3repE0EEENS1_47radix_sort_onesweep_sort_config_static_selectorELNS0_4arch9wavefront6targetE1EEEvSE_: ; @_ZN7rocprim17ROCPRIM_400000_NS6detail17trampoline_kernelINS0_14default_configENS1_35radix_sort_onesweep_config_selectorImNS0_10empty_typeEEEZZNS1_29radix_sort_onesweep_iterationIS3_Lb0EPmS8_PS5_S9_mNS0_19identity_decomposerENS1_16block_id_wrapperIjLb0EEEEE10hipError_tT1_PNSt15iterator_traitsISE_E10value_typeET2_T3_PNSF_ISK_E10value_typeET4_T5_PSP_SQ_PNS1_23onesweep_lookback_stateEbbT6_jjT7_P12ihipStream_tbENKUlT_T0_SE_SJ_E_clIS8_S8_S9_S9_EEDaSX_SY_SE_SJ_EUlSX_E_NS1_11comp_targetILNS1_3genE9ELNS1_11target_archE1100ELNS1_3gpuE3ELNS1_3repE0EEENS1_47radix_sort_onesweep_sort_config_static_selectorELNS0_4arch9wavefront6targetE1EEEvSE_
; %bb.0:
	.section	.rodata,"a",@progbits
	.p2align	6, 0x0
	.amdhsa_kernel _ZN7rocprim17ROCPRIM_400000_NS6detail17trampoline_kernelINS0_14default_configENS1_35radix_sort_onesweep_config_selectorImNS0_10empty_typeEEEZZNS1_29radix_sort_onesweep_iterationIS3_Lb0EPmS8_PS5_S9_mNS0_19identity_decomposerENS1_16block_id_wrapperIjLb0EEEEE10hipError_tT1_PNSt15iterator_traitsISE_E10value_typeET2_T3_PNSF_ISK_E10value_typeET4_T5_PSP_SQ_PNS1_23onesweep_lookback_stateEbbT6_jjT7_P12ihipStream_tbENKUlT_T0_SE_SJ_E_clIS8_S8_S9_S9_EEDaSX_SY_SE_SJ_EUlSX_E_NS1_11comp_targetILNS1_3genE9ELNS1_11target_archE1100ELNS1_3gpuE3ELNS1_3repE0EEENS1_47radix_sort_onesweep_sort_config_static_selectorELNS0_4arch9wavefront6targetE1EEEvSE_
		.amdhsa_group_segment_fixed_size 0
		.amdhsa_private_segment_fixed_size 0
		.amdhsa_kernarg_size 88
		.amdhsa_user_sgpr_count 6
		.amdhsa_user_sgpr_private_segment_buffer 1
		.amdhsa_user_sgpr_dispatch_ptr 0
		.amdhsa_user_sgpr_queue_ptr 0
		.amdhsa_user_sgpr_kernarg_segment_ptr 1
		.amdhsa_user_sgpr_dispatch_id 0
		.amdhsa_user_sgpr_flat_scratch_init 0
		.amdhsa_user_sgpr_kernarg_preload_length 0
		.amdhsa_user_sgpr_kernarg_preload_offset 0
		.amdhsa_user_sgpr_private_segment_size 0
		.amdhsa_uses_dynamic_stack 0
		.amdhsa_system_sgpr_private_segment_wavefront_offset 0
		.amdhsa_system_sgpr_workgroup_id_x 1
		.amdhsa_system_sgpr_workgroup_id_y 0
		.amdhsa_system_sgpr_workgroup_id_z 0
		.amdhsa_system_sgpr_workgroup_info 0
		.amdhsa_system_vgpr_workitem_id 0
		.amdhsa_next_free_vgpr 1
		.amdhsa_next_free_sgpr 0
		.amdhsa_accum_offset 4
		.amdhsa_reserve_vcc 0
		.amdhsa_reserve_flat_scratch 0
		.amdhsa_float_round_mode_32 0
		.amdhsa_float_round_mode_16_64 0
		.amdhsa_float_denorm_mode_32 3
		.amdhsa_float_denorm_mode_16_64 3
		.amdhsa_dx10_clamp 1
		.amdhsa_ieee_mode 1
		.amdhsa_fp16_overflow 0
		.amdhsa_tg_split 0
		.amdhsa_exception_fp_ieee_invalid_op 0
		.amdhsa_exception_fp_denorm_src 0
		.amdhsa_exception_fp_ieee_div_zero 0
		.amdhsa_exception_fp_ieee_overflow 0
		.amdhsa_exception_fp_ieee_underflow 0
		.amdhsa_exception_fp_ieee_inexact 0
		.amdhsa_exception_int_div_zero 0
	.end_amdhsa_kernel
	.section	.text._ZN7rocprim17ROCPRIM_400000_NS6detail17trampoline_kernelINS0_14default_configENS1_35radix_sort_onesweep_config_selectorImNS0_10empty_typeEEEZZNS1_29radix_sort_onesweep_iterationIS3_Lb0EPmS8_PS5_S9_mNS0_19identity_decomposerENS1_16block_id_wrapperIjLb0EEEEE10hipError_tT1_PNSt15iterator_traitsISE_E10value_typeET2_T3_PNSF_ISK_E10value_typeET4_T5_PSP_SQ_PNS1_23onesweep_lookback_stateEbbT6_jjT7_P12ihipStream_tbENKUlT_T0_SE_SJ_E_clIS8_S8_S9_S9_EEDaSX_SY_SE_SJ_EUlSX_E_NS1_11comp_targetILNS1_3genE9ELNS1_11target_archE1100ELNS1_3gpuE3ELNS1_3repE0EEENS1_47radix_sort_onesweep_sort_config_static_selectorELNS0_4arch9wavefront6targetE1EEEvSE_,"axG",@progbits,_ZN7rocprim17ROCPRIM_400000_NS6detail17trampoline_kernelINS0_14default_configENS1_35radix_sort_onesweep_config_selectorImNS0_10empty_typeEEEZZNS1_29radix_sort_onesweep_iterationIS3_Lb0EPmS8_PS5_S9_mNS0_19identity_decomposerENS1_16block_id_wrapperIjLb0EEEEE10hipError_tT1_PNSt15iterator_traitsISE_E10value_typeET2_T3_PNSF_ISK_E10value_typeET4_T5_PSP_SQ_PNS1_23onesweep_lookback_stateEbbT6_jjT7_P12ihipStream_tbENKUlT_T0_SE_SJ_E_clIS8_S8_S9_S9_EEDaSX_SY_SE_SJ_EUlSX_E_NS1_11comp_targetILNS1_3genE9ELNS1_11target_archE1100ELNS1_3gpuE3ELNS1_3repE0EEENS1_47radix_sort_onesweep_sort_config_static_selectorELNS0_4arch9wavefront6targetE1EEEvSE_,comdat
.Lfunc_end996:
	.size	_ZN7rocprim17ROCPRIM_400000_NS6detail17trampoline_kernelINS0_14default_configENS1_35radix_sort_onesweep_config_selectorImNS0_10empty_typeEEEZZNS1_29radix_sort_onesweep_iterationIS3_Lb0EPmS8_PS5_S9_mNS0_19identity_decomposerENS1_16block_id_wrapperIjLb0EEEEE10hipError_tT1_PNSt15iterator_traitsISE_E10value_typeET2_T3_PNSF_ISK_E10value_typeET4_T5_PSP_SQ_PNS1_23onesweep_lookback_stateEbbT6_jjT7_P12ihipStream_tbENKUlT_T0_SE_SJ_E_clIS8_S8_S9_S9_EEDaSX_SY_SE_SJ_EUlSX_E_NS1_11comp_targetILNS1_3genE9ELNS1_11target_archE1100ELNS1_3gpuE3ELNS1_3repE0EEENS1_47radix_sort_onesweep_sort_config_static_selectorELNS0_4arch9wavefront6targetE1EEEvSE_, .Lfunc_end996-_ZN7rocprim17ROCPRIM_400000_NS6detail17trampoline_kernelINS0_14default_configENS1_35radix_sort_onesweep_config_selectorImNS0_10empty_typeEEEZZNS1_29radix_sort_onesweep_iterationIS3_Lb0EPmS8_PS5_S9_mNS0_19identity_decomposerENS1_16block_id_wrapperIjLb0EEEEE10hipError_tT1_PNSt15iterator_traitsISE_E10value_typeET2_T3_PNSF_ISK_E10value_typeET4_T5_PSP_SQ_PNS1_23onesweep_lookback_stateEbbT6_jjT7_P12ihipStream_tbENKUlT_T0_SE_SJ_E_clIS8_S8_S9_S9_EEDaSX_SY_SE_SJ_EUlSX_E_NS1_11comp_targetILNS1_3genE9ELNS1_11target_archE1100ELNS1_3gpuE3ELNS1_3repE0EEENS1_47radix_sort_onesweep_sort_config_static_selectorELNS0_4arch9wavefront6targetE1EEEvSE_
                                        ; -- End function
	.section	.AMDGPU.csdata,"",@progbits
; Kernel info:
; codeLenInByte = 0
; NumSgprs: 4
; NumVgprs: 0
; NumAgprs: 0
; TotalNumVgprs: 0
; ScratchSize: 0
; MemoryBound: 0
; FloatMode: 240
; IeeeMode: 1
; LDSByteSize: 0 bytes/workgroup (compile time only)
; SGPRBlocks: 0
; VGPRBlocks: 0
; NumSGPRsForWavesPerEU: 4
; NumVGPRsForWavesPerEU: 1
; AccumOffset: 4
; Occupancy: 8
; WaveLimiterHint : 0
; COMPUTE_PGM_RSRC2:SCRATCH_EN: 0
; COMPUTE_PGM_RSRC2:USER_SGPR: 6
; COMPUTE_PGM_RSRC2:TRAP_HANDLER: 0
; COMPUTE_PGM_RSRC2:TGID_X_EN: 1
; COMPUTE_PGM_RSRC2:TGID_Y_EN: 0
; COMPUTE_PGM_RSRC2:TGID_Z_EN: 0
; COMPUTE_PGM_RSRC2:TIDIG_COMP_CNT: 0
; COMPUTE_PGM_RSRC3_GFX90A:ACCUM_OFFSET: 0
; COMPUTE_PGM_RSRC3_GFX90A:TG_SPLIT: 0
	.section	.text._ZN7rocprim17ROCPRIM_400000_NS6detail17trampoline_kernelINS0_14default_configENS1_35radix_sort_onesweep_config_selectorImNS0_10empty_typeEEEZZNS1_29radix_sort_onesweep_iterationIS3_Lb0EPmS8_PS5_S9_mNS0_19identity_decomposerENS1_16block_id_wrapperIjLb0EEEEE10hipError_tT1_PNSt15iterator_traitsISE_E10value_typeET2_T3_PNSF_ISK_E10value_typeET4_T5_PSP_SQ_PNS1_23onesweep_lookback_stateEbbT6_jjT7_P12ihipStream_tbENKUlT_T0_SE_SJ_E_clIS8_S8_S9_S9_EEDaSX_SY_SE_SJ_EUlSX_E_NS1_11comp_targetILNS1_3genE8ELNS1_11target_archE1030ELNS1_3gpuE2ELNS1_3repE0EEENS1_47radix_sort_onesweep_sort_config_static_selectorELNS0_4arch9wavefront6targetE1EEEvSE_,"axG",@progbits,_ZN7rocprim17ROCPRIM_400000_NS6detail17trampoline_kernelINS0_14default_configENS1_35radix_sort_onesweep_config_selectorImNS0_10empty_typeEEEZZNS1_29radix_sort_onesweep_iterationIS3_Lb0EPmS8_PS5_S9_mNS0_19identity_decomposerENS1_16block_id_wrapperIjLb0EEEEE10hipError_tT1_PNSt15iterator_traitsISE_E10value_typeET2_T3_PNSF_ISK_E10value_typeET4_T5_PSP_SQ_PNS1_23onesweep_lookback_stateEbbT6_jjT7_P12ihipStream_tbENKUlT_T0_SE_SJ_E_clIS8_S8_S9_S9_EEDaSX_SY_SE_SJ_EUlSX_E_NS1_11comp_targetILNS1_3genE8ELNS1_11target_archE1030ELNS1_3gpuE2ELNS1_3repE0EEENS1_47radix_sort_onesweep_sort_config_static_selectorELNS0_4arch9wavefront6targetE1EEEvSE_,comdat
	.protected	_ZN7rocprim17ROCPRIM_400000_NS6detail17trampoline_kernelINS0_14default_configENS1_35radix_sort_onesweep_config_selectorImNS0_10empty_typeEEEZZNS1_29radix_sort_onesweep_iterationIS3_Lb0EPmS8_PS5_S9_mNS0_19identity_decomposerENS1_16block_id_wrapperIjLb0EEEEE10hipError_tT1_PNSt15iterator_traitsISE_E10value_typeET2_T3_PNSF_ISK_E10value_typeET4_T5_PSP_SQ_PNS1_23onesweep_lookback_stateEbbT6_jjT7_P12ihipStream_tbENKUlT_T0_SE_SJ_E_clIS8_S8_S9_S9_EEDaSX_SY_SE_SJ_EUlSX_E_NS1_11comp_targetILNS1_3genE8ELNS1_11target_archE1030ELNS1_3gpuE2ELNS1_3repE0EEENS1_47radix_sort_onesweep_sort_config_static_selectorELNS0_4arch9wavefront6targetE1EEEvSE_ ; -- Begin function _ZN7rocprim17ROCPRIM_400000_NS6detail17trampoline_kernelINS0_14default_configENS1_35radix_sort_onesweep_config_selectorImNS0_10empty_typeEEEZZNS1_29radix_sort_onesweep_iterationIS3_Lb0EPmS8_PS5_S9_mNS0_19identity_decomposerENS1_16block_id_wrapperIjLb0EEEEE10hipError_tT1_PNSt15iterator_traitsISE_E10value_typeET2_T3_PNSF_ISK_E10value_typeET4_T5_PSP_SQ_PNS1_23onesweep_lookback_stateEbbT6_jjT7_P12ihipStream_tbENKUlT_T0_SE_SJ_E_clIS8_S8_S9_S9_EEDaSX_SY_SE_SJ_EUlSX_E_NS1_11comp_targetILNS1_3genE8ELNS1_11target_archE1030ELNS1_3gpuE2ELNS1_3repE0EEENS1_47radix_sort_onesweep_sort_config_static_selectorELNS0_4arch9wavefront6targetE1EEEvSE_
	.globl	_ZN7rocprim17ROCPRIM_400000_NS6detail17trampoline_kernelINS0_14default_configENS1_35radix_sort_onesweep_config_selectorImNS0_10empty_typeEEEZZNS1_29radix_sort_onesweep_iterationIS3_Lb0EPmS8_PS5_S9_mNS0_19identity_decomposerENS1_16block_id_wrapperIjLb0EEEEE10hipError_tT1_PNSt15iterator_traitsISE_E10value_typeET2_T3_PNSF_ISK_E10value_typeET4_T5_PSP_SQ_PNS1_23onesweep_lookback_stateEbbT6_jjT7_P12ihipStream_tbENKUlT_T0_SE_SJ_E_clIS8_S8_S9_S9_EEDaSX_SY_SE_SJ_EUlSX_E_NS1_11comp_targetILNS1_3genE8ELNS1_11target_archE1030ELNS1_3gpuE2ELNS1_3repE0EEENS1_47radix_sort_onesweep_sort_config_static_selectorELNS0_4arch9wavefront6targetE1EEEvSE_
	.p2align	8
	.type	_ZN7rocprim17ROCPRIM_400000_NS6detail17trampoline_kernelINS0_14default_configENS1_35radix_sort_onesweep_config_selectorImNS0_10empty_typeEEEZZNS1_29radix_sort_onesweep_iterationIS3_Lb0EPmS8_PS5_S9_mNS0_19identity_decomposerENS1_16block_id_wrapperIjLb0EEEEE10hipError_tT1_PNSt15iterator_traitsISE_E10value_typeET2_T3_PNSF_ISK_E10value_typeET4_T5_PSP_SQ_PNS1_23onesweep_lookback_stateEbbT6_jjT7_P12ihipStream_tbENKUlT_T0_SE_SJ_E_clIS8_S8_S9_S9_EEDaSX_SY_SE_SJ_EUlSX_E_NS1_11comp_targetILNS1_3genE8ELNS1_11target_archE1030ELNS1_3gpuE2ELNS1_3repE0EEENS1_47radix_sort_onesweep_sort_config_static_selectorELNS0_4arch9wavefront6targetE1EEEvSE_,@function
_ZN7rocprim17ROCPRIM_400000_NS6detail17trampoline_kernelINS0_14default_configENS1_35radix_sort_onesweep_config_selectorImNS0_10empty_typeEEEZZNS1_29radix_sort_onesweep_iterationIS3_Lb0EPmS8_PS5_S9_mNS0_19identity_decomposerENS1_16block_id_wrapperIjLb0EEEEE10hipError_tT1_PNSt15iterator_traitsISE_E10value_typeET2_T3_PNSF_ISK_E10value_typeET4_T5_PSP_SQ_PNS1_23onesweep_lookback_stateEbbT6_jjT7_P12ihipStream_tbENKUlT_T0_SE_SJ_E_clIS8_S8_S9_S9_EEDaSX_SY_SE_SJ_EUlSX_E_NS1_11comp_targetILNS1_3genE8ELNS1_11target_archE1030ELNS1_3gpuE2ELNS1_3repE0EEENS1_47radix_sort_onesweep_sort_config_static_selectorELNS0_4arch9wavefront6targetE1EEEvSE_: ; @_ZN7rocprim17ROCPRIM_400000_NS6detail17trampoline_kernelINS0_14default_configENS1_35radix_sort_onesweep_config_selectorImNS0_10empty_typeEEEZZNS1_29radix_sort_onesweep_iterationIS3_Lb0EPmS8_PS5_S9_mNS0_19identity_decomposerENS1_16block_id_wrapperIjLb0EEEEE10hipError_tT1_PNSt15iterator_traitsISE_E10value_typeET2_T3_PNSF_ISK_E10value_typeET4_T5_PSP_SQ_PNS1_23onesweep_lookback_stateEbbT6_jjT7_P12ihipStream_tbENKUlT_T0_SE_SJ_E_clIS8_S8_S9_S9_EEDaSX_SY_SE_SJ_EUlSX_E_NS1_11comp_targetILNS1_3genE8ELNS1_11target_archE1030ELNS1_3gpuE2ELNS1_3repE0EEENS1_47radix_sort_onesweep_sort_config_static_selectorELNS0_4arch9wavefront6targetE1EEEvSE_
; %bb.0:
	.section	.rodata,"a",@progbits
	.p2align	6, 0x0
	.amdhsa_kernel _ZN7rocprim17ROCPRIM_400000_NS6detail17trampoline_kernelINS0_14default_configENS1_35radix_sort_onesweep_config_selectorImNS0_10empty_typeEEEZZNS1_29radix_sort_onesweep_iterationIS3_Lb0EPmS8_PS5_S9_mNS0_19identity_decomposerENS1_16block_id_wrapperIjLb0EEEEE10hipError_tT1_PNSt15iterator_traitsISE_E10value_typeET2_T3_PNSF_ISK_E10value_typeET4_T5_PSP_SQ_PNS1_23onesweep_lookback_stateEbbT6_jjT7_P12ihipStream_tbENKUlT_T0_SE_SJ_E_clIS8_S8_S9_S9_EEDaSX_SY_SE_SJ_EUlSX_E_NS1_11comp_targetILNS1_3genE8ELNS1_11target_archE1030ELNS1_3gpuE2ELNS1_3repE0EEENS1_47radix_sort_onesweep_sort_config_static_selectorELNS0_4arch9wavefront6targetE1EEEvSE_
		.amdhsa_group_segment_fixed_size 0
		.amdhsa_private_segment_fixed_size 0
		.amdhsa_kernarg_size 88
		.amdhsa_user_sgpr_count 6
		.amdhsa_user_sgpr_private_segment_buffer 1
		.amdhsa_user_sgpr_dispatch_ptr 0
		.amdhsa_user_sgpr_queue_ptr 0
		.amdhsa_user_sgpr_kernarg_segment_ptr 1
		.amdhsa_user_sgpr_dispatch_id 0
		.amdhsa_user_sgpr_flat_scratch_init 0
		.amdhsa_user_sgpr_kernarg_preload_length 0
		.amdhsa_user_sgpr_kernarg_preload_offset 0
		.amdhsa_user_sgpr_private_segment_size 0
		.amdhsa_uses_dynamic_stack 0
		.amdhsa_system_sgpr_private_segment_wavefront_offset 0
		.amdhsa_system_sgpr_workgroup_id_x 1
		.amdhsa_system_sgpr_workgroup_id_y 0
		.amdhsa_system_sgpr_workgroup_id_z 0
		.amdhsa_system_sgpr_workgroup_info 0
		.amdhsa_system_vgpr_workitem_id 0
		.amdhsa_next_free_vgpr 1
		.amdhsa_next_free_sgpr 0
		.amdhsa_accum_offset 4
		.amdhsa_reserve_vcc 0
		.amdhsa_reserve_flat_scratch 0
		.amdhsa_float_round_mode_32 0
		.amdhsa_float_round_mode_16_64 0
		.amdhsa_float_denorm_mode_32 3
		.amdhsa_float_denorm_mode_16_64 3
		.amdhsa_dx10_clamp 1
		.amdhsa_ieee_mode 1
		.amdhsa_fp16_overflow 0
		.amdhsa_tg_split 0
		.amdhsa_exception_fp_ieee_invalid_op 0
		.amdhsa_exception_fp_denorm_src 0
		.amdhsa_exception_fp_ieee_div_zero 0
		.amdhsa_exception_fp_ieee_overflow 0
		.amdhsa_exception_fp_ieee_underflow 0
		.amdhsa_exception_fp_ieee_inexact 0
		.amdhsa_exception_int_div_zero 0
	.end_amdhsa_kernel
	.section	.text._ZN7rocprim17ROCPRIM_400000_NS6detail17trampoline_kernelINS0_14default_configENS1_35radix_sort_onesweep_config_selectorImNS0_10empty_typeEEEZZNS1_29radix_sort_onesweep_iterationIS3_Lb0EPmS8_PS5_S9_mNS0_19identity_decomposerENS1_16block_id_wrapperIjLb0EEEEE10hipError_tT1_PNSt15iterator_traitsISE_E10value_typeET2_T3_PNSF_ISK_E10value_typeET4_T5_PSP_SQ_PNS1_23onesweep_lookback_stateEbbT6_jjT7_P12ihipStream_tbENKUlT_T0_SE_SJ_E_clIS8_S8_S9_S9_EEDaSX_SY_SE_SJ_EUlSX_E_NS1_11comp_targetILNS1_3genE8ELNS1_11target_archE1030ELNS1_3gpuE2ELNS1_3repE0EEENS1_47radix_sort_onesweep_sort_config_static_selectorELNS0_4arch9wavefront6targetE1EEEvSE_,"axG",@progbits,_ZN7rocprim17ROCPRIM_400000_NS6detail17trampoline_kernelINS0_14default_configENS1_35radix_sort_onesweep_config_selectorImNS0_10empty_typeEEEZZNS1_29radix_sort_onesweep_iterationIS3_Lb0EPmS8_PS5_S9_mNS0_19identity_decomposerENS1_16block_id_wrapperIjLb0EEEEE10hipError_tT1_PNSt15iterator_traitsISE_E10value_typeET2_T3_PNSF_ISK_E10value_typeET4_T5_PSP_SQ_PNS1_23onesweep_lookback_stateEbbT6_jjT7_P12ihipStream_tbENKUlT_T0_SE_SJ_E_clIS8_S8_S9_S9_EEDaSX_SY_SE_SJ_EUlSX_E_NS1_11comp_targetILNS1_3genE8ELNS1_11target_archE1030ELNS1_3gpuE2ELNS1_3repE0EEENS1_47radix_sort_onesweep_sort_config_static_selectorELNS0_4arch9wavefront6targetE1EEEvSE_,comdat
.Lfunc_end997:
	.size	_ZN7rocprim17ROCPRIM_400000_NS6detail17trampoline_kernelINS0_14default_configENS1_35radix_sort_onesweep_config_selectorImNS0_10empty_typeEEEZZNS1_29radix_sort_onesweep_iterationIS3_Lb0EPmS8_PS5_S9_mNS0_19identity_decomposerENS1_16block_id_wrapperIjLb0EEEEE10hipError_tT1_PNSt15iterator_traitsISE_E10value_typeET2_T3_PNSF_ISK_E10value_typeET4_T5_PSP_SQ_PNS1_23onesweep_lookback_stateEbbT6_jjT7_P12ihipStream_tbENKUlT_T0_SE_SJ_E_clIS8_S8_S9_S9_EEDaSX_SY_SE_SJ_EUlSX_E_NS1_11comp_targetILNS1_3genE8ELNS1_11target_archE1030ELNS1_3gpuE2ELNS1_3repE0EEENS1_47radix_sort_onesweep_sort_config_static_selectorELNS0_4arch9wavefront6targetE1EEEvSE_, .Lfunc_end997-_ZN7rocprim17ROCPRIM_400000_NS6detail17trampoline_kernelINS0_14default_configENS1_35radix_sort_onesweep_config_selectorImNS0_10empty_typeEEEZZNS1_29radix_sort_onesweep_iterationIS3_Lb0EPmS8_PS5_S9_mNS0_19identity_decomposerENS1_16block_id_wrapperIjLb0EEEEE10hipError_tT1_PNSt15iterator_traitsISE_E10value_typeET2_T3_PNSF_ISK_E10value_typeET4_T5_PSP_SQ_PNS1_23onesweep_lookback_stateEbbT6_jjT7_P12ihipStream_tbENKUlT_T0_SE_SJ_E_clIS8_S8_S9_S9_EEDaSX_SY_SE_SJ_EUlSX_E_NS1_11comp_targetILNS1_3genE8ELNS1_11target_archE1030ELNS1_3gpuE2ELNS1_3repE0EEENS1_47radix_sort_onesweep_sort_config_static_selectorELNS0_4arch9wavefront6targetE1EEEvSE_
                                        ; -- End function
	.section	.AMDGPU.csdata,"",@progbits
; Kernel info:
; codeLenInByte = 0
; NumSgprs: 4
; NumVgprs: 0
; NumAgprs: 0
; TotalNumVgprs: 0
; ScratchSize: 0
; MemoryBound: 0
; FloatMode: 240
; IeeeMode: 1
; LDSByteSize: 0 bytes/workgroup (compile time only)
; SGPRBlocks: 0
; VGPRBlocks: 0
; NumSGPRsForWavesPerEU: 4
; NumVGPRsForWavesPerEU: 1
; AccumOffset: 4
; Occupancy: 8
; WaveLimiterHint : 0
; COMPUTE_PGM_RSRC2:SCRATCH_EN: 0
; COMPUTE_PGM_RSRC2:USER_SGPR: 6
; COMPUTE_PGM_RSRC2:TRAP_HANDLER: 0
; COMPUTE_PGM_RSRC2:TGID_X_EN: 1
; COMPUTE_PGM_RSRC2:TGID_Y_EN: 0
; COMPUTE_PGM_RSRC2:TGID_Z_EN: 0
; COMPUTE_PGM_RSRC2:TIDIG_COMP_CNT: 0
; COMPUTE_PGM_RSRC3_GFX90A:ACCUM_OFFSET: 0
; COMPUTE_PGM_RSRC3_GFX90A:TG_SPLIT: 0
	.section	.text._ZN7rocprim17ROCPRIM_400000_NS6detail17trampoline_kernelINS0_13kernel_configILj256ELj4ELj4294967295EEENS1_37radix_sort_block_sort_config_selectorIxNS0_10empty_typeEEEZNS1_21radix_sort_block_sortIS4_Lb0EPxS9_PS6_SA_NS0_19identity_decomposerEEE10hipError_tT1_T2_T3_T4_jRjT5_jjP12ihipStream_tbEUlT_E_NS1_11comp_targetILNS1_3genE0ELNS1_11target_archE4294967295ELNS1_3gpuE0ELNS1_3repE0EEENS1_44radix_sort_block_sort_config_static_selectorELNS0_4arch9wavefront6targetE1EEEvSD_,"axG",@progbits,_ZN7rocprim17ROCPRIM_400000_NS6detail17trampoline_kernelINS0_13kernel_configILj256ELj4ELj4294967295EEENS1_37radix_sort_block_sort_config_selectorIxNS0_10empty_typeEEEZNS1_21radix_sort_block_sortIS4_Lb0EPxS9_PS6_SA_NS0_19identity_decomposerEEE10hipError_tT1_T2_T3_T4_jRjT5_jjP12ihipStream_tbEUlT_E_NS1_11comp_targetILNS1_3genE0ELNS1_11target_archE4294967295ELNS1_3gpuE0ELNS1_3repE0EEENS1_44radix_sort_block_sort_config_static_selectorELNS0_4arch9wavefront6targetE1EEEvSD_,comdat
	.protected	_ZN7rocprim17ROCPRIM_400000_NS6detail17trampoline_kernelINS0_13kernel_configILj256ELj4ELj4294967295EEENS1_37radix_sort_block_sort_config_selectorIxNS0_10empty_typeEEEZNS1_21radix_sort_block_sortIS4_Lb0EPxS9_PS6_SA_NS0_19identity_decomposerEEE10hipError_tT1_T2_T3_T4_jRjT5_jjP12ihipStream_tbEUlT_E_NS1_11comp_targetILNS1_3genE0ELNS1_11target_archE4294967295ELNS1_3gpuE0ELNS1_3repE0EEENS1_44radix_sort_block_sort_config_static_selectorELNS0_4arch9wavefront6targetE1EEEvSD_ ; -- Begin function _ZN7rocprim17ROCPRIM_400000_NS6detail17trampoline_kernelINS0_13kernel_configILj256ELj4ELj4294967295EEENS1_37radix_sort_block_sort_config_selectorIxNS0_10empty_typeEEEZNS1_21radix_sort_block_sortIS4_Lb0EPxS9_PS6_SA_NS0_19identity_decomposerEEE10hipError_tT1_T2_T3_T4_jRjT5_jjP12ihipStream_tbEUlT_E_NS1_11comp_targetILNS1_3genE0ELNS1_11target_archE4294967295ELNS1_3gpuE0ELNS1_3repE0EEENS1_44radix_sort_block_sort_config_static_selectorELNS0_4arch9wavefront6targetE1EEEvSD_
	.globl	_ZN7rocprim17ROCPRIM_400000_NS6detail17trampoline_kernelINS0_13kernel_configILj256ELj4ELj4294967295EEENS1_37radix_sort_block_sort_config_selectorIxNS0_10empty_typeEEEZNS1_21radix_sort_block_sortIS4_Lb0EPxS9_PS6_SA_NS0_19identity_decomposerEEE10hipError_tT1_T2_T3_T4_jRjT5_jjP12ihipStream_tbEUlT_E_NS1_11comp_targetILNS1_3genE0ELNS1_11target_archE4294967295ELNS1_3gpuE0ELNS1_3repE0EEENS1_44radix_sort_block_sort_config_static_selectorELNS0_4arch9wavefront6targetE1EEEvSD_
	.p2align	8
	.type	_ZN7rocprim17ROCPRIM_400000_NS6detail17trampoline_kernelINS0_13kernel_configILj256ELj4ELj4294967295EEENS1_37radix_sort_block_sort_config_selectorIxNS0_10empty_typeEEEZNS1_21radix_sort_block_sortIS4_Lb0EPxS9_PS6_SA_NS0_19identity_decomposerEEE10hipError_tT1_T2_T3_T4_jRjT5_jjP12ihipStream_tbEUlT_E_NS1_11comp_targetILNS1_3genE0ELNS1_11target_archE4294967295ELNS1_3gpuE0ELNS1_3repE0EEENS1_44radix_sort_block_sort_config_static_selectorELNS0_4arch9wavefront6targetE1EEEvSD_,@function
_ZN7rocprim17ROCPRIM_400000_NS6detail17trampoline_kernelINS0_13kernel_configILj256ELj4ELj4294967295EEENS1_37radix_sort_block_sort_config_selectorIxNS0_10empty_typeEEEZNS1_21radix_sort_block_sortIS4_Lb0EPxS9_PS6_SA_NS0_19identity_decomposerEEE10hipError_tT1_T2_T3_T4_jRjT5_jjP12ihipStream_tbEUlT_E_NS1_11comp_targetILNS1_3genE0ELNS1_11target_archE4294967295ELNS1_3gpuE0ELNS1_3repE0EEENS1_44radix_sort_block_sort_config_static_selectorELNS0_4arch9wavefront6targetE1EEEvSD_: ; @_ZN7rocprim17ROCPRIM_400000_NS6detail17trampoline_kernelINS0_13kernel_configILj256ELj4ELj4294967295EEENS1_37radix_sort_block_sort_config_selectorIxNS0_10empty_typeEEEZNS1_21radix_sort_block_sortIS4_Lb0EPxS9_PS6_SA_NS0_19identity_decomposerEEE10hipError_tT1_T2_T3_T4_jRjT5_jjP12ihipStream_tbEUlT_E_NS1_11comp_targetILNS1_3genE0ELNS1_11target_archE4294967295ELNS1_3gpuE0ELNS1_3repE0EEENS1_44radix_sort_block_sort_config_static_selectorELNS0_4arch9wavefront6targetE1EEEvSD_
; %bb.0:
	.section	.rodata,"a",@progbits
	.p2align	6, 0x0
	.amdhsa_kernel _ZN7rocprim17ROCPRIM_400000_NS6detail17trampoline_kernelINS0_13kernel_configILj256ELj4ELj4294967295EEENS1_37radix_sort_block_sort_config_selectorIxNS0_10empty_typeEEEZNS1_21radix_sort_block_sortIS4_Lb0EPxS9_PS6_SA_NS0_19identity_decomposerEEE10hipError_tT1_T2_T3_T4_jRjT5_jjP12ihipStream_tbEUlT_E_NS1_11comp_targetILNS1_3genE0ELNS1_11target_archE4294967295ELNS1_3gpuE0ELNS1_3repE0EEENS1_44radix_sort_block_sort_config_static_selectorELNS0_4arch9wavefront6targetE1EEEvSD_
		.amdhsa_group_segment_fixed_size 0
		.amdhsa_private_segment_fixed_size 0
		.amdhsa_kernarg_size 48
		.amdhsa_user_sgpr_count 6
		.amdhsa_user_sgpr_private_segment_buffer 1
		.amdhsa_user_sgpr_dispatch_ptr 0
		.amdhsa_user_sgpr_queue_ptr 0
		.amdhsa_user_sgpr_kernarg_segment_ptr 1
		.amdhsa_user_sgpr_dispatch_id 0
		.amdhsa_user_sgpr_flat_scratch_init 0
		.amdhsa_user_sgpr_kernarg_preload_length 0
		.amdhsa_user_sgpr_kernarg_preload_offset 0
		.amdhsa_user_sgpr_private_segment_size 0
		.amdhsa_uses_dynamic_stack 0
		.amdhsa_system_sgpr_private_segment_wavefront_offset 0
		.amdhsa_system_sgpr_workgroup_id_x 1
		.amdhsa_system_sgpr_workgroup_id_y 0
		.amdhsa_system_sgpr_workgroup_id_z 0
		.amdhsa_system_sgpr_workgroup_info 0
		.amdhsa_system_vgpr_workitem_id 0
		.amdhsa_next_free_vgpr 1
		.amdhsa_next_free_sgpr 0
		.amdhsa_accum_offset 4
		.amdhsa_reserve_vcc 0
		.amdhsa_reserve_flat_scratch 0
		.amdhsa_float_round_mode_32 0
		.amdhsa_float_round_mode_16_64 0
		.amdhsa_float_denorm_mode_32 3
		.amdhsa_float_denorm_mode_16_64 3
		.amdhsa_dx10_clamp 1
		.amdhsa_ieee_mode 1
		.amdhsa_fp16_overflow 0
		.amdhsa_tg_split 0
		.amdhsa_exception_fp_ieee_invalid_op 0
		.amdhsa_exception_fp_denorm_src 0
		.amdhsa_exception_fp_ieee_div_zero 0
		.amdhsa_exception_fp_ieee_overflow 0
		.amdhsa_exception_fp_ieee_underflow 0
		.amdhsa_exception_fp_ieee_inexact 0
		.amdhsa_exception_int_div_zero 0
	.end_amdhsa_kernel
	.section	.text._ZN7rocprim17ROCPRIM_400000_NS6detail17trampoline_kernelINS0_13kernel_configILj256ELj4ELj4294967295EEENS1_37radix_sort_block_sort_config_selectorIxNS0_10empty_typeEEEZNS1_21radix_sort_block_sortIS4_Lb0EPxS9_PS6_SA_NS0_19identity_decomposerEEE10hipError_tT1_T2_T3_T4_jRjT5_jjP12ihipStream_tbEUlT_E_NS1_11comp_targetILNS1_3genE0ELNS1_11target_archE4294967295ELNS1_3gpuE0ELNS1_3repE0EEENS1_44radix_sort_block_sort_config_static_selectorELNS0_4arch9wavefront6targetE1EEEvSD_,"axG",@progbits,_ZN7rocprim17ROCPRIM_400000_NS6detail17trampoline_kernelINS0_13kernel_configILj256ELj4ELj4294967295EEENS1_37radix_sort_block_sort_config_selectorIxNS0_10empty_typeEEEZNS1_21radix_sort_block_sortIS4_Lb0EPxS9_PS6_SA_NS0_19identity_decomposerEEE10hipError_tT1_T2_T3_T4_jRjT5_jjP12ihipStream_tbEUlT_E_NS1_11comp_targetILNS1_3genE0ELNS1_11target_archE4294967295ELNS1_3gpuE0ELNS1_3repE0EEENS1_44radix_sort_block_sort_config_static_selectorELNS0_4arch9wavefront6targetE1EEEvSD_,comdat
.Lfunc_end998:
	.size	_ZN7rocprim17ROCPRIM_400000_NS6detail17trampoline_kernelINS0_13kernel_configILj256ELj4ELj4294967295EEENS1_37radix_sort_block_sort_config_selectorIxNS0_10empty_typeEEEZNS1_21radix_sort_block_sortIS4_Lb0EPxS9_PS6_SA_NS0_19identity_decomposerEEE10hipError_tT1_T2_T3_T4_jRjT5_jjP12ihipStream_tbEUlT_E_NS1_11comp_targetILNS1_3genE0ELNS1_11target_archE4294967295ELNS1_3gpuE0ELNS1_3repE0EEENS1_44radix_sort_block_sort_config_static_selectorELNS0_4arch9wavefront6targetE1EEEvSD_, .Lfunc_end998-_ZN7rocprim17ROCPRIM_400000_NS6detail17trampoline_kernelINS0_13kernel_configILj256ELj4ELj4294967295EEENS1_37radix_sort_block_sort_config_selectorIxNS0_10empty_typeEEEZNS1_21radix_sort_block_sortIS4_Lb0EPxS9_PS6_SA_NS0_19identity_decomposerEEE10hipError_tT1_T2_T3_T4_jRjT5_jjP12ihipStream_tbEUlT_E_NS1_11comp_targetILNS1_3genE0ELNS1_11target_archE4294967295ELNS1_3gpuE0ELNS1_3repE0EEENS1_44radix_sort_block_sort_config_static_selectorELNS0_4arch9wavefront6targetE1EEEvSD_
                                        ; -- End function
	.section	.AMDGPU.csdata,"",@progbits
; Kernel info:
; codeLenInByte = 0
; NumSgprs: 4
; NumVgprs: 0
; NumAgprs: 0
; TotalNumVgprs: 0
; ScratchSize: 0
; MemoryBound: 0
; FloatMode: 240
; IeeeMode: 1
; LDSByteSize: 0 bytes/workgroup (compile time only)
; SGPRBlocks: 0
; VGPRBlocks: 0
; NumSGPRsForWavesPerEU: 4
; NumVGPRsForWavesPerEU: 1
; AccumOffset: 4
; Occupancy: 8
; WaveLimiterHint : 0
; COMPUTE_PGM_RSRC2:SCRATCH_EN: 0
; COMPUTE_PGM_RSRC2:USER_SGPR: 6
; COMPUTE_PGM_RSRC2:TRAP_HANDLER: 0
; COMPUTE_PGM_RSRC2:TGID_X_EN: 1
; COMPUTE_PGM_RSRC2:TGID_Y_EN: 0
; COMPUTE_PGM_RSRC2:TGID_Z_EN: 0
; COMPUTE_PGM_RSRC2:TIDIG_COMP_CNT: 0
; COMPUTE_PGM_RSRC3_GFX90A:ACCUM_OFFSET: 0
; COMPUTE_PGM_RSRC3_GFX90A:TG_SPLIT: 0
	.section	.text._ZN7rocprim17ROCPRIM_400000_NS6detail17trampoline_kernelINS0_13kernel_configILj256ELj4ELj4294967295EEENS1_37radix_sort_block_sort_config_selectorIxNS0_10empty_typeEEEZNS1_21radix_sort_block_sortIS4_Lb0EPxS9_PS6_SA_NS0_19identity_decomposerEEE10hipError_tT1_T2_T3_T4_jRjT5_jjP12ihipStream_tbEUlT_E_NS1_11comp_targetILNS1_3genE5ELNS1_11target_archE942ELNS1_3gpuE9ELNS1_3repE0EEENS1_44radix_sort_block_sort_config_static_selectorELNS0_4arch9wavefront6targetE1EEEvSD_,"axG",@progbits,_ZN7rocprim17ROCPRIM_400000_NS6detail17trampoline_kernelINS0_13kernel_configILj256ELj4ELj4294967295EEENS1_37radix_sort_block_sort_config_selectorIxNS0_10empty_typeEEEZNS1_21radix_sort_block_sortIS4_Lb0EPxS9_PS6_SA_NS0_19identity_decomposerEEE10hipError_tT1_T2_T3_T4_jRjT5_jjP12ihipStream_tbEUlT_E_NS1_11comp_targetILNS1_3genE5ELNS1_11target_archE942ELNS1_3gpuE9ELNS1_3repE0EEENS1_44radix_sort_block_sort_config_static_selectorELNS0_4arch9wavefront6targetE1EEEvSD_,comdat
	.protected	_ZN7rocprim17ROCPRIM_400000_NS6detail17trampoline_kernelINS0_13kernel_configILj256ELj4ELj4294967295EEENS1_37radix_sort_block_sort_config_selectorIxNS0_10empty_typeEEEZNS1_21radix_sort_block_sortIS4_Lb0EPxS9_PS6_SA_NS0_19identity_decomposerEEE10hipError_tT1_T2_T3_T4_jRjT5_jjP12ihipStream_tbEUlT_E_NS1_11comp_targetILNS1_3genE5ELNS1_11target_archE942ELNS1_3gpuE9ELNS1_3repE0EEENS1_44radix_sort_block_sort_config_static_selectorELNS0_4arch9wavefront6targetE1EEEvSD_ ; -- Begin function _ZN7rocprim17ROCPRIM_400000_NS6detail17trampoline_kernelINS0_13kernel_configILj256ELj4ELj4294967295EEENS1_37radix_sort_block_sort_config_selectorIxNS0_10empty_typeEEEZNS1_21radix_sort_block_sortIS4_Lb0EPxS9_PS6_SA_NS0_19identity_decomposerEEE10hipError_tT1_T2_T3_T4_jRjT5_jjP12ihipStream_tbEUlT_E_NS1_11comp_targetILNS1_3genE5ELNS1_11target_archE942ELNS1_3gpuE9ELNS1_3repE0EEENS1_44radix_sort_block_sort_config_static_selectorELNS0_4arch9wavefront6targetE1EEEvSD_
	.globl	_ZN7rocprim17ROCPRIM_400000_NS6detail17trampoline_kernelINS0_13kernel_configILj256ELj4ELj4294967295EEENS1_37radix_sort_block_sort_config_selectorIxNS0_10empty_typeEEEZNS1_21radix_sort_block_sortIS4_Lb0EPxS9_PS6_SA_NS0_19identity_decomposerEEE10hipError_tT1_T2_T3_T4_jRjT5_jjP12ihipStream_tbEUlT_E_NS1_11comp_targetILNS1_3genE5ELNS1_11target_archE942ELNS1_3gpuE9ELNS1_3repE0EEENS1_44radix_sort_block_sort_config_static_selectorELNS0_4arch9wavefront6targetE1EEEvSD_
	.p2align	8
	.type	_ZN7rocprim17ROCPRIM_400000_NS6detail17trampoline_kernelINS0_13kernel_configILj256ELj4ELj4294967295EEENS1_37radix_sort_block_sort_config_selectorIxNS0_10empty_typeEEEZNS1_21radix_sort_block_sortIS4_Lb0EPxS9_PS6_SA_NS0_19identity_decomposerEEE10hipError_tT1_T2_T3_T4_jRjT5_jjP12ihipStream_tbEUlT_E_NS1_11comp_targetILNS1_3genE5ELNS1_11target_archE942ELNS1_3gpuE9ELNS1_3repE0EEENS1_44radix_sort_block_sort_config_static_selectorELNS0_4arch9wavefront6targetE1EEEvSD_,@function
_ZN7rocprim17ROCPRIM_400000_NS6detail17trampoline_kernelINS0_13kernel_configILj256ELj4ELj4294967295EEENS1_37radix_sort_block_sort_config_selectorIxNS0_10empty_typeEEEZNS1_21radix_sort_block_sortIS4_Lb0EPxS9_PS6_SA_NS0_19identity_decomposerEEE10hipError_tT1_T2_T3_T4_jRjT5_jjP12ihipStream_tbEUlT_E_NS1_11comp_targetILNS1_3genE5ELNS1_11target_archE942ELNS1_3gpuE9ELNS1_3repE0EEENS1_44radix_sort_block_sort_config_static_selectorELNS0_4arch9wavefront6targetE1EEEvSD_: ; @_ZN7rocprim17ROCPRIM_400000_NS6detail17trampoline_kernelINS0_13kernel_configILj256ELj4ELj4294967295EEENS1_37radix_sort_block_sort_config_selectorIxNS0_10empty_typeEEEZNS1_21radix_sort_block_sortIS4_Lb0EPxS9_PS6_SA_NS0_19identity_decomposerEEE10hipError_tT1_T2_T3_T4_jRjT5_jjP12ihipStream_tbEUlT_E_NS1_11comp_targetILNS1_3genE5ELNS1_11target_archE942ELNS1_3gpuE9ELNS1_3repE0EEENS1_44radix_sort_block_sort_config_static_selectorELNS0_4arch9wavefront6targetE1EEEvSD_
; %bb.0:
	.section	.rodata,"a",@progbits
	.p2align	6, 0x0
	.amdhsa_kernel _ZN7rocprim17ROCPRIM_400000_NS6detail17trampoline_kernelINS0_13kernel_configILj256ELj4ELj4294967295EEENS1_37radix_sort_block_sort_config_selectorIxNS0_10empty_typeEEEZNS1_21radix_sort_block_sortIS4_Lb0EPxS9_PS6_SA_NS0_19identity_decomposerEEE10hipError_tT1_T2_T3_T4_jRjT5_jjP12ihipStream_tbEUlT_E_NS1_11comp_targetILNS1_3genE5ELNS1_11target_archE942ELNS1_3gpuE9ELNS1_3repE0EEENS1_44radix_sort_block_sort_config_static_selectorELNS0_4arch9wavefront6targetE1EEEvSD_
		.amdhsa_group_segment_fixed_size 0
		.amdhsa_private_segment_fixed_size 0
		.amdhsa_kernarg_size 48
		.amdhsa_user_sgpr_count 6
		.amdhsa_user_sgpr_private_segment_buffer 1
		.amdhsa_user_sgpr_dispatch_ptr 0
		.amdhsa_user_sgpr_queue_ptr 0
		.amdhsa_user_sgpr_kernarg_segment_ptr 1
		.amdhsa_user_sgpr_dispatch_id 0
		.amdhsa_user_sgpr_flat_scratch_init 0
		.amdhsa_user_sgpr_kernarg_preload_length 0
		.amdhsa_user_sgpr_kernarg_preload_offset 0
		.amdhsa_user_sgpr_private_segment_size 0
		.amdhsa_uses_dynamic_stack 0
		.amdhsa_system_sgpr_private_segment_wavefront_offset 0
		.amdhsa_system_sgpr_workgroup_id_x 1
		.amdhsa_system_sgpr_workgroup_id_y 0
		.amdhsa_system_sgpr_workgroup_id_z 0
		.amdhsa_system_sgpr_workgroup_info 0
		.amdhsa_system_vgpr_workitem_id 0
		.amdhsa_next_free_vgpr 1
		.amdhsa_next_free_sgpr 0
		.amdhsa_accum_offset 4
		.amdhsa_reserve_vcc 0
		.amdhsa_reserve_flat_scratch 0
		.amdhsa_float_round_mode_32 0
		.amdhsa_float_round_mode_16_64 0
		.amdhsa_float_denorm_mode_32 3
		.amdhsa_float_denorm_mode_16_64 3
		.amdhsa_dx10_clamp 1
		.amdhsa_ieee_mode 1
		.amdhsa_fp16_overflow 0
		.amdhsa_tg_split 0
		.amdhsa_exception_fp_ieee_invalid_op 0
		.amdhsa_exception_fp_denorm_src 0
		.amdhsa_exception_fp_ieee_div_zero 0
		.amdhsa_exception_fp_ieee_overflow 0
		.amdhsa_exception_fp_ieee_underflow 0
		.amdhsa_exception_fp_ieee_inexact 0
		.amdhsa_exception_int_div_zero 0
	.end_amdhsa_kernel
	.section	.text._ZN7rocprim17ROCPRIM_400000_NS6detail17trampoline_kernelINS0_13kernel_configILj256ELj4ELj4294967295EEENS1_37radix_sort_block_sort_config_selectorIxNS0_10empty_typeEEEZNS1_21radix_sort_block_sortIS4_Lb0EPxS9_PS6_SA_NS0_19identity_decomposerEEE10hipError_tT1_T2_T3_T4_jRjT5_jjP12ihipStream_tbEUlT_E_NS1_11comp_targetILNS1_3genE5ELNS1_11target_archE942ELNS1_3gpuE9ELNS1_3repE0EEENS1_44radix_sort_block_sort_config_static_selectorELNS0_4arch9wavefront6targetE1EEEvSD_,"axG",@progbits,_ZN7rocprim17ROCPRIM_400000_NS6detail17trampoline_kernelINS0_13kernel_configILj256ELj4ELj4294967295EEENS1_37radix_sort_block_sort_config_selectorIxNS0_10empty_typeEEEZNS1_21radix_sort_block_sortIS4_Lb0EPxS9_PS6_SA_NS0_19identity_decomposerEEE10hipError_tT1_T2_T3_T4_jRjT5_jjP12ihipStream_tbEUlT_E_NS1_11comp_targetILNS1_3genE5ELNS1_11target_archE942ELNS1_3gpuE9ELNS1_3repE0EEENS1_44radix_sort_block_sort_config_static_selectorELNS0_4arch9wavefront6targetE1EEEvSD_,comdat
.Lfunc_end999:
	.size	_ZN7rocprim17ROCPRIM_400000_NS6detail17trampoline_kernelINS0_13kernel_configILj256ELj4ELj4294967295EEENS1_37radix_sort_block_sort_config_selectorIxNS0_10empty_typeEEEZNS1_21radix_sort_block_sortIS4_Lb0EPxS9_PS6_SA_NS0_19identity_decomposerEEE10hipError_tT1_T2_T3_T4_jRjT5_jjP12ihipStream_tbEUlT_E_NS1_11comp_targetILNS1_3genE5ELNS1_11target_archE942ELNS1_3gpuE9ELNS1_3repE0EEENS1_44radix_sort_block_sort_config_static_selectorELNS0_4arch9wavefront6targetE1EEEvSD_, .Lfunc_end999-_ZN7rocprim17ROCPRIM_400000_NS6detail17trampoline_kernelINS0_13kernel_configILj256ELj4ELj4294967295EEENS1_37radix_sort_block_sort_config_selectorIxNS0_10empty_typeEEEZNS1_21radix_sort_block_sortIS4_Lb0EPxS9_PS6_SA_NS0_19identity_decomposerEEE10hipError_tT1_T2_T3_T4_jRjT5_jjP12ihipStream_tbEUlT_E_NS1_11comp_targetILNS1_3genE5ELNS1_11target_archE942ELNS1_3gpuE9ELNS1_3repE0EEENS1_44radix_sort_block_sort_config_static_selectorELNS0_4arch9wavefront6targetE1EEEvSD_
                                        ; -- End function
	.section	.AMDGPU.csdata,"",@progbits
; Kernel info:
; codeLenInByte = 0
; NumSgprs: 4
; NumVgprs: 0
; NumAgprs: 0
; TotalNumVgprs: 0
; ScratchSize: 0
; MemoryBound: 0
; FloatMode: 240
; IeeeMode: 1
; LDSByteSize: 0 bytes/workgroup (compile time only)
; SGPRBlocks: 0
; VGPRBlocks: 0
; NumSGPRsForWavesPerEU: 4
; NumVGPRsForWavesPerEU: 1
; AccumOffset: 4
; Occupancy: 8
; WaveLimiterHint : 0
; COMPUTE_PGM_RSRC2:SCRATCH_EN: 0
; COMPUTE_PGM_RSRC2:USER_SGPR: 6
; COMPUTE_PGM_RSRC2:TRAP_HANDLER: 0
; COMPUTE_PGM_RSRC2:TGID_X_EN: 1
; COMPUTE_PGM_RSRC2:TGID_Y_EN: 0
; COMPUTE_PGM_RSRC2:TGID_Z_EN: 0
; COMPUTE_PGM_RSRC2:TIDIG_COMP_CNT: 0
; COMPUTE_PGM_RSRC3_GFX90A:ACCUM_OFFSET: 0
; COMPUTE_PGM_RSRC3_GFX90A:TG_SPLIT: 0
	.section	.text._ZN7rocprim17ROCPRIM_400000_NS6detail17trampoline_kernelINS0_13kernel_configILj256ELj4ELj4294967295EEENS1_37radix_sort_block_sort_config_selectorIxNS0_10empty_typeEEEZNS1_21radix_sort_block_sortIS4_Lb0EPxS9_PS6_SA_NS0_19identity_decomposerEEE10hipError_tT1_T2_T3_T4_jRjT5_jjP12ihipStream_tbEUlT_E_NS1_11comp_targetILNS1_3genE4ELNS1_11target_archE910ELNS1_3gpuE8ELNS1_3repE0EEENS1_44radix_sort_block_sort_config_static_selectorELNS0_4arch9wavefront6targetE1EEEvSD_,"axG",@progbits,_ZN7rocprim17ROCPRIM_400000_NS6detail17trampoline_kernelINS0_13kernel_configILj256ELj4ELj4294967295EEENS1_37radix_sort_block_sort_config_selectorIxNS0_10empty_typeEEEZNS1_21radix_sort_block_sortIS4_Lb0EPxS9_PS6_SA_NS0_19identity_decomposerEEE10hipError_tT1_T2_T3_T4_jRjT5_jjP12ihipStream_tbEUlT_E_NS1_11comp_targetILNS1_3genE4ELNS1_11target_archE910ELNS1_3gpuE8ELNS1_3repE0EEENS1_44radix_sort_block_sort_config_static_selectorELNS0_4arch9wavefront6targetE1EEEvSD_,comdat
	.protected	_ZN7rocprim17ROCPRIM_400000_NS6detail17trampoline_kernelINS0_13kernel_configILj256ELj4ELj4294967295EEENS1_37radix_sort_block_sort_config_selectorIxNS0_10empty_typeEEEZNS1_21radix_sort_block_sortIS4_Lb0EPxS9_PS6_SA_NS0_19identity_decomposerEEE10hipError_tT1_T2_T3_T4_jRjT5_jjP12ihipStream_tbEUlT_E_NS1_11comp_targetILNS1_3genE4ELNS1_11target_archE910ELNS1_3gpuE8ELNS1_3repE0EEENS1_44radix_sort_block_sort_config_static_selectorELNS0_4arch9wavefront6targetE1EEEvSD_ ; -- Begin function _ZN7rocprim17ROCPRIM_400000_NS6detail17trampoline_kernelINS0_13kernel_configILj256ELj4ELj4294967295EEENS1_37radix_sort_block_sort_config_selectorIxNS0_10empty_typeEEEZNS1_21radix_sort_block_sortIS4_Lb0EPxS9_PS6_SA_NS0_19identity_decomposerEEE10hipError_tT1_T2_T3_T4_jRjT5_jjP12ihipStream_tbEUlT_E_NS1_11comp_targetILNS1_3genE4ELNS1_11target_archE910ELNS1_3gpuE8ELNS1_3repE0EEENS1_44radix_sort_block_sort_config_static_selectorELNS0_4arch9wavefront6targetE1EEEvSD_
	.globl	_ZN7rocprim17ROCPRIM_400000_NS6detail17trampoline_kernelINS0_13kernel_configILj256ELj4ELj4294967295EEENS1_37radix_sort_block_sort_config_selectorIxNS0_10empty_typeEEEZNS1_21radix_sort_block_sortIS4_Lb0EPxS9_PS6_SA_NS0_19identity_decomposerEEE10hipError_tT1_T2_T3_T4_jRjT5_jjP12ihipStream_tbEUlT_E_NS1_11comp_targetILNS1_3genE4ELNS1_11target_archE910ELNS1_3gpuE8ELNS1_3repE0EEENS1_44radix_sort_block_sort_config_static_selectorELNS0_4arch9wavefront6targetE1EEEvSD_
	.p2align	8
	.type	_ZN7rocprim17ROCPRIM_400000_NS6detail17trampoline_kernelINS0_13kernel_configILj256ELj4ELj4294967295EEENS1_37radix_sort_block_sort_config_selectorIxNS0_10empty_typeEEEZNS1_21radix_sort_block_sortIS4_Lb0EPxS9_PS6_SA_NS0_19identity_decomposerEEE10hipError_tT1_T2_T3_T4_jRjT5_jjP12ihipStream_tbEUlT_E_NS1_11comp_targetILNS1_3genE4ELNS1_11target_archE910ELNS1_3gpuE8ELNS1_3repE0EEENS1_44radix_sort_block_sort_config_static_selectorELNS0_4arch9wavefront6targetE1EEEvSD_,@function
_ZN7rocprim17ROCPRIM_400000_NS6detail17trampoline_kernelINS0_13kernel_configILj256ELj4ELj4294967295EEENS1_37radix_sort_block_sort_config_selectorIxNS0_10empty_typeEEEZNS1_21radix_sort_block_sortIS4_Lb0EPxS9_PS6_SA_NS0_19identity_decomposerEEE10hipError_tT1_T2_T3_T4_jRjT5_jjP12ihipStream_tbEUlT_E_NS1_11comp_targetILNS1_3genE4ELNS1_11target_archE910ELNS1_3gpuE8ELNS1_3repE0EEENS1_44radix_sort_block_sort_config_static_selectorELNS0_4arch9wavefront6targetE1EEEvSD_: ; @_ZN7rocprim17ROCPRIM_400000_NS6detail17trampoline_kernelINS0_13kernel_configILj256ELj4ELj4294967295EEENS1_37radix_sort_block_sort_config_selectorIxNS0_10empty_typeEEEZNS1_21radix_sort_block_sortIS4_Lb0EPxS9_PS6_SA_NS0_19identity_decomposerEEE10hipError_tT1_T2_T3_T4_jRjT5_jjP12ihipStream_tbEUlT_E_NS1_11comp_targetILNS1_3genE4ELNS1_11target_archE910ELNS1_3gpuE8ELNS1_3repE0EEENS1_44radix_sort_block_sort_config_static_selectorELNS0_4arch9wavefront6targetE1EEEvSD_
; %bb.0:
	s_load_dword s7, s[4:5], 0x20
	s_load_dwordx4 s[28:31], s[4:5], 0x0
	s_lshl_b32 s0, s6, 10
	s_mov_b32 s1, 0
	v_mbcnt_lo_u32_b32 v1, -1, 0
	s_waitcnt lgkmcnt(0)
	s_lshr_b32 s2, s7, 10
	s_cmp_lg_u32 s6, s2
	s_cselect_b64 s[34:35], -1, 0
	s_lshl_b64 s[36:37], s[0:1], 3
	v_mbcnt_hi_u32_b32 v1, -1, v1
	v_and_b32_e32 v10, 0x3ff, v0
	s_add_u32 s1, s28, s36
	v_and_b32_e32 v14, 63, v1
	s_addc_u32 s3, s29, s37
	v_lshlrev_b32_e32 v11, 2, v10
	v_lshlrev_b32_e32 v2, 3, v14
	v_and_b32_e32 v16, 0x300, v11
	v_mov_b32_e32 v3, s3
	v_add_co_u32_e32 v2, vcc, s1, v2
	v_addc_co_u32_e32 v3, vcc, 0, v3, vcc
	v_lshlrev_b32_e32 v4, 3, v16
	v_add_co_u32_e32 v12, vcc, v2, v4
	s_cmp_eq_u32 s6, s2
	v_addc_co_u32_e32 v13, vcc, 0, v3, vcc
	v_or_b32_e32 v15, v14, v16
	s_cbranch_scc1 .LBB1000_2
; %bb.1:
	global_load_dwordx2 v[2:3], v[12:13], off
	global_load_dwordx2 v[4:5], v[12:13], off offset:512
	global_load_dwordx2 v[6:7], v[12:13], off offset:1024
	;; [unrolled: 1-line block ×3, first 2 shown]
	v_or_b32_e32 v18, v14, v16
	v_or_b32_e32 v14, 64, v18
	;; [unrolled: 1-line block ×4, first 2 shown]
	s_load_dwordx2 s[28:29], s[4:5], 0x28
	s_sub_i32 s33, s7, s0
	s_cbranch_execz .LBB1000_3
	s_branch .LBB1000_12
.LBB1000_2:
                                        ; implicit-def: $vgpr2_vgpr3_vgpr4_vgpr5_vgpr6_vgpr7_vgpr8_vgpr9
                                        ; implicit-def: $vgpr18
                                        ; implicit-def: $vgpr14
                                        ; implicit-def: $vgpr16
                                        ; implicit-def: $vgpr17
	s_load_dwordx2 s[28:29], s[4:5], 0x28
	s_sub_i32 s33, s7, s0
.LBB1000_3:
	s_brev_b32 s9, -2
	s_mov_b32 s8, -1
	s_mov_b32 s10, s8
	s_mov_b32 s11, s9
	;; [unrolled: 1-line block ×6, first 2 shown]
	s_waitcnt vmcnt(0)
	v_pk_mov_b32 v[2:3], s[8:9], s[8:9] op_sel:[0,1]
	v_cmp_gt_u32_e32 vcc, s33, v15
	v_pk_mov_b32 v[4:5], s[10:11], s[10:11] op_sel:[0,1]
	v_pk_mov_b32 v[6:7], s[12:13], s[12:13] op_sel:[0,1]
	;; [unrolled: 1-line block ×3, first 2 shown]
	s_and_saveexec_b64 s[0:1], vcc
	s_cbranch_execz .LBB1000_5
; %bb.4:
	global_load_dwordx2 v[2:3], v[12:13], off
	v_mov_b32_e32 v4, -1
	v_bfrev_b32_e32 v5, -2
	v_mov_b32_e32 v6, v4
	v_mov_b32_e32 v7, v5
	;; [unrolled: 1-line block ×4, first 2 shown]
.LBB1000_5:
	s_or_b64 exec, exec, s[0:1]
	v_or_b32_e32 v14, 64, v15
	v_cmp_gt_u32_e32 vcc, s33, v14
	s_and_saveexec_b64 s[0:1], vcc
	s_cbranch_execz .LBB1000_7
; %bb.6:
	global_load_dwordx2 v[4:5], v[12:13], off offset:512
.LBB1000_7:
	s_or_b64 exec, exec, s[0:1]
	v_or_b32_e32 v16, 0x80, v15
	v_cmp_gt_u32_e32 vcc, s33, v16
	s_and_saveexec_b64 s[0:1], vcc
	s_cbranch_execz .LBB1000_9
; %bb.8:
	global_load_dwordx2 v[6:7], v[12:13], off offset:1024
.LBB1000_9:
	;; [unrolled: 8-line block ×3, first 2 shown]
	s_or_b64 exec, exec, s[0:1]
	v_mov_b32_e32 v18, v15
.LBB1000_12:
	s_load_dword s2, s[4:5], 0x3c
	s_waitcnt lgkmcnt(0)
	s_add_i32 s38, s29, s28
	s_getpc_b64 s[0:1]
	s_add_u32 s0, s0, _ZN7rocprim17ROCPRIM_400000_NS16block_radix_sortIxLj256ELj4ENS0_10empty_typeELj1ELj1ELj0ELNS0_26block_radix_rank_algorithmE1ELNS0_18block_padding_hintE2ELNS0_4arch9wavefront6targetE1EE19radix_bits_per_passE@rel32@lo+4
	s_addc_u32 s1, s1, _ZN7rocprim17ROCPRIM_400000_NS16block_radix_sortIxLj256ELj4ENS0_10empty_typeELj1ELj1ELj0ELNS0_26block_radix_rank_algorithmE1ELNS0_18block_padding_hintE2ELNS0_4arch9wavefront6targetE1EE19radix_bits_per_passE@rel32@hi+12
	s_load_dword s39, s[0:1], 0x0
	v_bfe_u32 v12, v0, 10, 10
	s_lshr_b32 s0, s2, 16
	v_bfe_u32 v0, v0, 20, 10
	s_and_b32 s1, s2, 0xffff
	v_mad_u32_u24 v0, v0, s0, v12
	v_mad_u64_u32 v[12:13], s[0:1], v0, s1, v[10:11]
	v_and_b32_e32 v0, 15, v1
	v_cmp_eq_u32_e64 s[0:1], 0, v0
	v_cmp_lt_u32_e64 s[2:3], 1, v0
	v_cmp_lt_u32_e64 s[4:5], 3, v0
	;; [unrolled: 1-line block ×3, first 2 shown]
	v_and_b32_e32 v0, 16, v1
	v_cmp_eq_u32_e64 s[8:9], 0, v0
	v_and_b32_e32 v0, 0x3c0, v10
	v_min_u32_e32 v0, 0xc0, v0
	v_or_b32_e32 v0, 63, v0
	v_lshrrev_b32_e32 v26, 6, v12
	v_cmp_eq_u32_e64 s[12:13], v0, v10
	v_add_u32_e32 v0, -1, v1
	v_and_b32_e32 v12, 64, v1
	v_cmp_lt_i32_e32 vcc, v0, v12
	v_cndmask_b32_e32 v0, v0, v1, vcc
	s_mov_b32 s26, 0
	v_lshlrev_b32_e32 v27, 2, v0
	v_lshrrev_b32_e32 v0, 4, v10
	v_lshlrev_b32_e32 v11, 2, v11
	v_cmp_lt_u32_e64 s[10:11], 31, v1
	v_cmp_eq_u32_e64 s[18:19], 0, v1
	v_and_b32_e32 v28, 60, v0
	v_mul_i32_i24_e32 v0, -12, v10
	v_and_b32_e32 v1, 3, v1
	s_mov_b32 s27, s26
	s_mov_b32 s40, s26
	;; [unrolled: 1-line block ×3, first 2 shown]
	s_waitcnt vmcnt(0)
	v_xor_b32_e32 v3, 0x80000000, v3
	v_xor_b32_e32 v5, 0x80000000, v5
	;; [unrolled: 1-line block ×4, first 2 shown]
	v_cmp_gt_u32_e64 s[14:15], 4, v10
	v_cmp_lt_u32_e64 s[16:17], 63, v10
	v_cmp_eq_u32_e64 s[20:21], 0, v10
	v_cmp_eq_u32_e64 s[22:23], 0, v1
	v_cmp_lt_u32_e64 s[24:25], 1, v1
	v_add_u32_e32 v29, -4, v28
	v_lshlrev_b32_e32 v30, 3, v18
	v_lshlrev_b32_e32 v31, 3, v14
	;; [unrolled: 1-line block ×4, first 2 shown]
	v_pk_mov_b32 v[12:13], s[26:27], s[26:27] op_sel:[0,1]
	v_pk_mov_b32 v[14:15], s[40:41], s[40:41] op_sel:[0,1]
	v_add_u32_e32 v34, v11, v0
	v_mov_b32_e32 v16, 0
	s_branch .LBB1000_14
.LBB1000_13:                            ;   in Loop: Header=BB1000_14 Depth=1
	s_barrier
	ds_write_b64 v0, v[24:25]
	ds_write_b64 v1, v[22:23]
	;; [unrolled: 1-line block ×4, first 2 shown]
	s_waitcnt lgkmcnt(0)
	s_barrier
	ds_read_b64 v[2:3], v30
	ds_read_b64 v[4:5], v31
	;; [unrolled: 1-line block ×4, first 2 shown]
	s_add_i32 s29, s29, -8
	s_waitcnt lgkmcnt(0)
	s_barrier
	s_cbranch_execz .LBB1000_30
.LBB1000_14:                            ; =>This Inner Loop Header: Depth=1
	s_waitcnt lgkmcnt(0)
	s_min_u32 s26, s39, s29
	v_pk_mov_b32 v[24:25], v[2:3], v[2:3] op_sel:[0,1]
	s_lshl_b32 s26, -1, s26
	s_not_b32 s40, s26
	v_lshrrev_b64 v[0:1], s28, v[24:25]
	v_and_b32_e32 v0, s40, v0
	v_lshl_add_u32 v1, v0, 2, v26
	v_pk_mov_b32 v[22:23], v[4:5], v[4:5] op_sel:[0,1]
	v_lshl_add_u32 v4, v1, 2, 16
	v_and_b32_e32 v1, 1, v0
	v_add_co_u32_e32 v2, vcc, -1, v1
	v_addc_co_u32_e64 v3, s[26:27], 0, -1, vcc
	v_cmp_ne_u32_e32 vcc, 0, v1
	v_lshlrev_b32_e32 v17, 30, v0
	v_xor_b32_e32 v1, vcc_hi, v3
	v_not_b32_e32 v3, v17
	v_xor_b32_e32 v2, vcc_lo, v2
	v_cmp_gt_i64_e32 vcc, 0, v[16:17]
	v_ashrrev_i32_e32 v3, 31, v3
	v_and_b32_e32 v2, exec_lo, v2
	v_xor_b32_e32 v5, vcc_hi, v3
	v_xor_b32_e32 v3, vcc_lo, v3
	v_lshlrev_b32_e32 v17, 29, v0
	v_and_b32_e32 v2, v2, v3
	v_not_b32_e32 v3, v17
	v_and_b32_e32 v1, exec_hi, v1
	v_cmp_gt_i64_e32 vcc, 0, v[16:17]
	v_ashrrev_i32_e32 v3, 31, v3
	v_and_b32_e32 v1, v1, v5
	v_xor_b32_e32 v5, vcc_hi, v3
	v_xor_b32_e32 v3, vcc_lo, v3
	v_lshlrev_b32_e32 v17, 28, v0
	v_and_b32_e32 v2, v2, v3
	v_not_b32_e32 v3, v17
	v_cmp_gt_i64_e32 vcc, 0, v[16:17]
	v_ashrrev_i32_e32 v3, 31, v3
	v_and_b32_e32 v1, v1, v5
	v_xor_b32_e32 v5, vcc_hi, v3
	v_xor_b32_e32 v3, vcc_lo, v3
	v_lshlrev_b32_e32 v17, 27, v0
	v_and_b32_e32 v2, v2, v3
	v_not_b32_e32 v3, v17
	;; [unrolled: 8-line block ×3, first 2 shown]
	v_cmp_gt_i64_e32 vcc, 0, v[16:17]
	v_ashrrev_i32_e32 v3, 31, v3
	v_and_b32_e32 v1, v1, v5
	v_xor_b32_e32 v5, vcc_hi, v3
	v_xor_b32_e32 v3, vcc_lo, v3
	v_lshlrev_b32_e32 v17, 25, v0
	v_and_b32_e32 v2, v2, v3
	v_cmp_gt_i64_e32 vcc, 0, v[16:17]
	v_not_b32_e32 v3, v17
	v_lshlrev_b32_e32 v17, 24, v0
	v_ashrrev_i32_e32 v3, 31, v3
	v_not_b32_e32 v0, v17
	v_and_b32_e32 v1, v1, v5
	v_xor_b32_e32 v5, vcc_hi, v3
	v_xor_b32_e32 v3, vcc_lo, v3
	v_cmp_gt_i64_e32 vcc, 0, v[16:17]
	v_ashrrev_i32_e32 v0, 31, v0
	v_and_b32_e32 v2, v2, v3
	v_xor_b32_e32 v3, vcc_hi, v0
	v_xor_b32_e32 v0, vcc_lo, v0
	v_and_b32_e32 v1, v1, v5
	v_and_b32_e32 v0, v2, v0
	v_and_b32_e32 v1, v1, v3
	v_mbcnt_lo_u32_b32 v2, v0, 0
	v_mbcnt_hi_u32_b32 v5, v1, v2
	v_cmp_eq_u32_e32 vcc, 0, v5
	v_cmp_ne_u64_e64 s[26:27], 0, v[0:1]
	v_pk_mov_b32 v[18:19], v[8:9], v[8:9] op_sel:[0,1]
	v_pk_mov_b32 v[20:21], v[6:7], v[6:7] op_sel:[0,1]
	s_and_b64 s[42:43], s[26:27], vcc
	ds_write2_b64 v11, v[12:13], v[14:15] offset0:2 offset1:3
	s_waitcnt lgkmcnt(0)
	s_barrier
	s_waitcnt lgkmcnt(0)
	; wave barrier
	s_and_saveexec_b64 s[26:27], s[42:43]
	s_cbranch_execz .LBB1000_16
; %bb.15:                               ;   in Loop: Header=BB1000_14 Depth=1
	v_bcnt_u32_b32 v0, v0, 0
	v_bcnt_u32_b32 v0, v1, v0
	ds_write_b32 v4, v0
.LBB1000_16:                            ;   in Loop: Header=BB1000_14 Depth=1
	s_or_b64 exec, exec, s[26:27]
	v_lshrrev_b64 v[0:1], s28, v[22:23]
	v_and_b32_e32 v0, s40, v0
	v_lshlrev_b32_e32 v1, 2, v0
	v_add_lshl_u32 v1, v1, v26, 2
	; wave barrier
	v_add_u32_e32 v7, 16, v1
	ds_read_b32 v6, v1 offset:16
	v_and_b32_e32 v1, 1, v0
	v_add_co_u32_e32 v2, vcc, -1, v1
	v_addc_co_u32_e64 v3, s[26:27], 0, -1, vcc
	v_cmp_ne_u32_e32 vcc, 0, v1
	v_lshlrev_b32_e32 v17, 30, v0
	v_xor_b32_e32 v1, vcc_hi, v3
	v_not_b32_e32 v3, v17
	v_xor_b32_e32 v2, vcc_lo, v2
	v_cmp_gt_i64_e32 vcc, 0, v[16:17]
	v_ashrrev_i32_e32 v3, 31, v3
	v_and_b32_e32 v2, exec_lo, v2
	v_xor_b32_e32 v8, vcc_hi, v3
	v_xor_b32_e32 v3, vcc_lo, v3
	v_lshlrev_b32_e32 v17, 29, v0
	v_and_b32_e32 v2, v2, v3
	v_not_b32_e32 v3, v17
	v_and_b32_e32 v1, exec_hi, v1
	v_cmp_gt_i64_e32 vcc, 0, v[16:17]
	v_ashrrev_i32_e32 v3, 31, v3
	v_and_b32_e32 v1, v1, v8
	v_xor_b32_e32 v8, vcc_hi, v3
	v_xor_b32_e32 v3, vcc_lo, v3
	v_lshlrev_b32_e32 v17, 28, v0
	v_and_b32_e32 v2, v2, v3
	v_not_b32_e32 v3, v17
	v_cmp_gt_i64_e32 vcc, 0, v[16:17]
	v_ashrrev_i32_e32 v3, 31, v3
	v_and_b32_e32 v1, v1, v8
	v_xor_b32_e32 v8, vcc_hi, v3
	v_xor_b32_e32 v3, vcc_lo, v3
	v_lshlrev_b32_e32 v17, 27, v0
	v_and_b32_e32 v2, v2, v3
	v_not_b32_e32 v3, v17
	;; [unrolled: 8-line block ×3, first 2 shown]
	v_cmp_gt_i64_e32 vcc, 0, v[16:17]
	v_ashrrev_i32_e32 v3, 31, v3
	v_and_b32_e32 v1, v1, v8
	v_xor_b32_e32 v8, vcc_hi, v3
	v_xor_b32_e32 v3, vcc_lo, v3
	v_lshlrev_b32_e32 v17, 25, v0
	v_and_b32_e32 v2, v2, v3
	v_cmp_gt_i64_e32 vcc, 0, v[16:17]
	v_not_b32_e32 v3, v17
	v_lshlrev_b32_e32 v17, 24, v0
	v_ashrrev_i32_e32 v3, 31, v3
	v_not_b32_e32 v0, v17
	v_and_b32_e32 v1, v1, v8
	v_xor_b32_e32 v8, vcc_hi, v3
	v_xor_b32_e32 v3, vcc_lo, v3
	v_cmp_gt_i64_e32 vcc, 0, v[16:17]
	v_ashrrev_i32_e32 v0, 31, v0
	v_and_b32_e32 v2, v2, v3
	v_xor_b32_e32 v3, vcc_hi, v0
	v_xor_b32_e32 v0, vcc_lo, v0
	v_and_b32_e32 v1, v1, v8
	v_and_b32_e32 v0, v2, v0
	;; [unrolled: 1-line block ×3, first 2 shown]
	v_mbcnt_lo_u32_b32 v2, v0, 0
	v_mbcnt_hi_u32_b32 v8, v1, v2
	v_cmp_eq_u32_e32 vcc, 0, v8
	v_cmp_ne_u64_e64 s[26:27], 0, v[0:1]
	s_and_b64 s[42:43], s[26:27], vcc
	; wave barrier
	s_and_saveexec_b64 s[26:27], s[42:43]
	s_cbranch_execz .LBB1000_18
; %bb.17:                               ;   in Loop: Header=BB1000_14 Depth=1
	v_bcnt_u32_b32 v0, v0, 0
	v_bcnt_u32_b32 v0, v1, v0
	s_waitcnt lgkmcnt(0)
	v_add_u32_e32 v0, v6, v0
	ds_write_b32 v7, v0
.LBB1000_18:                            ;   in Loop: Header=BB1000_14 Depth=1
	s_or_b64 exec, exec, s[26:27]
	v_lshrrev_b64 v[0:1], s28, v[20:21]
	v_and_b32_e32 v0, s40, v0
	v_lshlrev_b32_e32 v1, 2, v0
	v_add_lshl_u32 v1, v1, v26, 2
	; wave barrier
	v_add_u32_e32 v35, 16, v1
	ds_read_b32 v9, v1 offset:16
	v_and_b32_e32 v1, 1, v0
	v_add_co_u32_e32 v2, vcc, -1, v1
	v_addc_co_u32_e64 v3, s[26:27], 0, -1, vcc
	v_cmp_ne_u32_e32 vcc, 0, v1
	v_lshlrev_b32_e32 v17, 30, v0
	v_xor_b32_e32 v1, vcc_hi, v3
	v_not_b32_e32 v3, v17
	v_xor_b32_e32 v2, vcc_lo, v2
	v_cmp_gt_i64_e32 vcc, 0, v[16:17]
	v_ashrrev_i32_e32 v3, 31, v3
	v_and_b32_e32 v1, exec_hi, v1
	v_xor_b32_e32 v17, vcc_hi, v3
	v_and_b32_e32 v2, exec_lo, v2
	v_xor_b32_e32 v3, vcc_lo, v3
	v_and_b32_e32 v1, v1, v17
	v_lshlrev_b32_e32 v17, 29, v0
	v_and_b32_e32 v2, v2, v3
	v_not_b32_e32 v3, v17
	v_cmp_gt_i64_e32 vcc, 0, v[16:17]
	v_ashrrev_i32_e32 v3, 31, v3
	v_xor_b32_e32 v17, vcc_hi, v3
	v_xor_b32_e32 v3, vcc_lo, v3
	v_and_b32_e32 v1, v1, v17
	v_lshlrev_b32_e32 v17, 28, v0
	v_and_b32_e32 v2, v2, v3
	v_not_b32_e32 v3, v17
	v_cmp_gt_i64_e32 vcc, 0, v[16:17]
	v_ashrrev_i32_e32 v3, 31, v3
	v_xor_b32_e32 v17, vcc_hi, v3
	;; [unrolled: 8-line block ×5, first 2 shown]
	v_and_b32_e32 v1, v1, v17
	v_lshlrev_b32_e32 v17, 24, v0
	v_not_b32_e32 v0, v17
	v_xor_b32_e32 v3, vcc_lo, v3
	v_cmp_gt_i64_e32 vcc, 0, v[16:17]
	v_ashrrev_i32_e32 v0, 31, v0
	v_and_b32_e32 v2, v2, v3
	v_xor_b32_e32 v3, vcc_hi, v0
	v_xor_b32_e32 v0, vcc_lo, v0
	v_and_b32_e32 v0, v2, v0
	v_and_b32_e32 v1, v1, v3
	v_mbcnt_lo_u32_b32 v2, v0, 0
	v_mbcnt_hi_u32_b32 v36, v1, v2
	v_cmp_eq_u32_e32 vcc, 0, v36
	v_cmp_ne_u64_e64 s[26:27], 0, v[0:1]
	s_and_b64 s[42:43], s[26:27], vcc
	; wave barrier
	s_and_saveexec_b64 s[26:27], s[42:43]
	s_cbranch_execz .LBB1000_20
; %bb.19:                               ;   in Loop: Header=BB1000_14 Depth=1
	v_bcnt_u32_b32 v0, v0, 0
	v_bcnt_u32_b32 v0, v1, v0
	s_waitcnt lgkmcnt(0)
	v_add_u32_e32 v0, v9, v0
	ds_write_b32 v35, v0
.LBB1000_20:                            ;   in Loop: Header=BB1000_14 Depth=1
	s_or_b64 exec, exec, s[26:27]
	v_lshrrev_b64 v[0:1], s28, v[18:19]
	v_and_b32_e32 v0, s40, v0
	v_lshlrev_b32_e32 v1, 2, v0
	v_add_lshl_u32 v1, v1, v26, 2
	; wave barrier
	v_add_u32_e32 v38, 16, v1
	ds_read_b32 v37, v1 offset:16
	v_and_b32_e32 v1, 1, v0
	v_add_co_u32_e32 v2, vcc, -1, v1
	v_addc_co_u32_e64 v3, s[26:27], 0, -1, vcc
	v_cmp_ne_u32_e32 vcc, 0, v1
	v_lshlrev_b32_e32 v17, 30, v0
	v_xor_b32_e32 v1, vcc_hi, v3
	v_not_b32_e32 v3, v17
	v_xor_b32_e32 v2, vcc_lo, v2
	v_cmp_gt_i64_e32 vcc, 0, v[16:17]
	v_ashrrev_i32_e32 v3, 31, v3
	v_and_b32_e32 v1, exec_hi, v1
	v_xor_b32_e32 v17, vcc_hi, v3
	v_and_b32_e32 v2, exec_lo, v2
	v_xor_b32_e32 v3, vcc_lo, v3
	v_and_b32_e32 v1, v1, v17
	v_lshlrev_b32_e32 v17, 29, v0
	v_and_b32_e32 v2, v2, v3
	v_not_b32_e32 v3, v17
	v_cmp_gt_i64_e32 vcc, 0, v[16:17]
	v_ashrrev_i32_e32 v3, 31, v3
	v_xor_b32_e32 v17, vcc_hi, v3
	v_xor_b32_e32 v3, vcc_lo, v3
	v_and_b32_e32 v1, v1, v17
	v_lshlrev_b32_e32 v17, 28, v0
	v_and_b32_e32 v2, v2, v3
	v_not_b32_e32 v3, v17
	v_cmp_gt_i64_e32 vcc, 0, v[16:17]
	v_ashrrev_i32_e32 v3, 31, v3
	v_xor_b32_e32 v17, vcc_hi, v3
	;; [unrolled: 8-line block ×5, first 2 shown]
	v_and_b32_e32 v1, v1, v17
	v_lshlrev_b32_e32 v17, 24, v0
	v_not_b32_e32 v0, v17
	v_xor_b32_e32 v3, vcc_lo, v3
	v_cmp_gt_i64_e32 vcc, 0, v[16:17]
	v_ashrrev_i32_e32 v0, 31, v0
	v_and_b32_e32 v2, v2, v3
	v_xor_b32_e32 v3, vcc_hi, v0
	v_xor_b32_e32 v0, vcc_lo, v0
	v_and_b32_e32 v0, v2, v0
	v_and_b32_e32 v1, v1, v3
	v_mbcnt_lo_u32_b32 v2, v0, 0
	v_mbcnt_hi_u32_b32 v17, v1, v2
	v_cmp_eq_u32_e32 vcc, 0, v17
	v_cmp_ne_u64_e64 s[26:27], 0, v[0:1]
	s_and_b64 s[40:41], s[26:27], vcc
	; wave barrier
	s_and_saveexec_b64 s[26:27], s[40:41]
	s_cbranch_execz .LBB1000_22
; %bb.21:                               ;   in Loop: Header=BB1000_14 Depth=1
	v_bcnt_u32_b32 v0, v0, 0
	v_bcnt_u32_b32 v0, v1, v0
	s_waitcnt lgkmcnt(0)
	v_add_u32_e32 v0, v37, v0
	ds_write_b32 v38, v0
.LBB1000_22:                            ;   in Loop: Header=BB1000_14 Depth=1
	s_or_b64 exec, exec, s[26:27]
	; wave barrier
	s_waitcnt lgkmcnt(0)
	s_barrier
	ds_read2_b64 v[0:3], v11 offset0:2 offset1:3
	s_waitcnt lgkmcnt(0)
	v_add_u32_e32 v39, v1, v0
	v_add3_u32 v3, v39, v2, v3
	s_nop 1
	v_mov_b32_dpp v39, v3 row_shr:1 row_mask:0xf bank_mask:0xf
	v_cndmask_b32_e64 v39, v39, 0, s[0:1]
	v_add_u32_e32 v3, v39, v3
	s_nop 1
	v_mov_b32_dpp v39, v3 row_shr:2 row_mask:0xf bank_mask:0xf
	v_cndmask_b32_e64 v39, 0, v39, s[2:3]
	v_add_u32_e32 v3, v3, v39
	;; [unrolled: 4-line block ×4, first 2 shown]
	s_nop 1
	v_mov_b32_dpp v39, v3 row_bcast:15 row_mask:0xf bank_mask:0xf
	v_cndmask_b32_e64 v39, v39, 0, s[8:9]
	v_add_u32_e32 v3, v3, v39
	s_nop 1
	v_mov_b32_dpp v39, v3 row_bcast:31 row_mask:0xf bank_mask:0xf
	v_cndmask_b32_e64 v39, 0, v39, s[10:11]
	v_add_u32_e32 v3, v3, v39
	s_and_saveexec_b64 s[26:27], s[12:13]
	s_cbranch_execz .LBB1000_24
; %bb.23:                               ;   in Loop: Header=BB1000_14 Depth=1
	ds_write_b32 v28, v3
.LBB1000_24:                            ;   in Loop: Header=BB1000_14 Depth=1
	s_or_b64 exec, exec, s[26:27]
	s_waitcnt lgkmcnt(0)
	s_barrier
	s_and_saveexec_b64 s[26:27], s[14:15]
	s_cbranch_execz .LBB1000_26
; %bb.25:                               ;   in Loop: Header=BB1000_14 Depth=1
	ds_read_b32 v39, v34
	s_waitcnt lgkmcnt(0)
	s_nop 0
	v_mov_b32_dpp v40, v39 row_shr:1 row_mask:0xf bank_mask:0xf
	v_cndmask_b32_e64 v40, v40, 0, s[22:23]
	v_add_u32_e32 v39, v40, v39
	s_nop 1
	v_mov_b32_dpp v40, v39 row_shr:2 row_mask:0xf bank_mask:0xf
	v_cndmask_b32_e64 v40, 0, v40, s[24:25]
	v_add_u32_e32 v39, v39, v40
	ds_write_b32 v34, v39
.LBB1000_26:                            ;   in Loop: Header=BB1000_14 Depth=1
	s_or_b64 exec, exec, s[26:27]
	v_mov_b32_e32 v39, 0
	s_waitcnt lgkmcnt(0)
	s_barrier
	s_and_saveexec_b64 s[26:27], s[16:17]
	s_cbranch_execz .LBB1000_28
; %bb.27:                               ;   in Loop: Header=BB1000_14 Depth=1
	ds_read_b32 v39, v29
.LBB1000_28:                            ;   in Loop: Header=BB1000_14 Depth=1
	s_or_b64 exec, exec, s[26:27]
	s_waitcnt lgkmcnt(0)
	v_add_u32_e32 v3, v39, v3
	ds_bpermute_b32 v3, v27, v3
	s_add_i32 s28, s28, 8
	s_cmp_ge_u32 s28, s38
	s_waitcnt lgkmcnt(0)
	v_cndmask_b32_e64 v3, v3, v39, s[18:19]
	v_cndmask_b32_e64 v40, v3, 0, s[20:21]
	v_add_u32_e32 v41, v40, v0
	v_add_u32_e32 v0, v41, v1
	;; [unrolled: 1-line block ×3, first 2 shown]
	ds_write2_b64 v11, v[40:41], v[0:1] offset0:2 offset1:3
	s_waitcnt lgkmcnt(0)
	s_barrier
	ds_read_b32 v0, v4
	ds_read_b32 v1, v7
	ds_read_b32 v2, v35
	ds_read_b32 v3, v38
	v_lshlrev_b32_e32 v4, 3, v5
	s_waitcnt lgkmcnt(3)
	v_lshl_add_u32 v0, v0, 3, v4
	v_lshlrev_b32_e32 v4, 3, v8
	v_lshlrev_b32_e32 v5, 3, v6
	s_waitcnt lgkmcnt(2)
	v_lshlrev_b32_e32 v1, 3, v1
	v_add3_u32 v1, v4, v5, v1
	v_lshlrev_b32_e32 v4, 3, v36
	v_lshlrev_b32_e32 v5, 3, v9
	s_waitcnt lgkmcnt(1)
	v_lshlrev_b32_e32 v2, 3, v2
	v_add3_u32 v35, v4, v5, v2
	;; [unrolled: 5-line block ×3, first 2 shown]
	s_cbranch_scc0 .LBB1000_13
; %bb.29:
                                        ; implicit-def: $vgpr8_vgpr9
                                        ; implicit-def: $sgpr28
.LBB1000_30:
	v_lshlrev_b32_e32 v8, 3, v10
	s_barrier
	ds_write_b64 v0, v[24:25]
	ds_write_b64 v1, v[22:23]
	;; [unrolled: 1-line block ×4, first 2 shown]
	s_waitcnt lgkmcnt(0)
	s_barrier
	ds_read2st64_b64 v[4:7], v8 offset1:4
	ds_read2st64_b64 v[0:3], v8 offset0:8 offset1:12
	s_add_u32 s0, s30, s36
	s_addc_u32 s1, s31, s37
	v_mov_b32_e32 v9, s1
	v_add_co_u32_e64 v8, s[0:1], s0, v8
	s_waitcnt lgkmcnt(1)
	v_xor_b32_e32 v5, 0x80000000, v5
	v_xor_b32_e32 v7, 0x80000000, v7
	s_waitcnt lgkmcnt(0)
	v_xor_b32_e32 v1, 0x80000000, v1
	s_andn2_b64 vcc, exec, s[34:35]
	v_addc_co_u32_e64 v9, s[0:1], 0, v9, s[0:1]
	s_cbranch_vccnz .LBB1000_32
; %bb.31:
	v_add_co_u32_e32 v12, vcc, 0x1000, v8
	v_addc_co_u32_e32 v13, vcc, 0, v9, vcc
	s_mov_b64 s[0:1], -1
	global_store_dwordx2 v[8:9], v[4:5], off
	global_store_dwordx2 v[8:9], v[6:7], off offset:2048
	global_store_dwordx2 v[12:13], v[0:1], off
	s_cbranch_execz .LBB1000_33
	s_branch .LBB1000_40
.LBB1000_32:
	s_mov_b64 s[0:1], 0
.LBB1000_33:
	v_cmp_gt_u32_e32 vcc, s33, v10
	s_and_saveexec_b64 s[0:1], vcc
	s_cbranch_execz .LBB1000_35
; %bb.34:
	global_store_dwordx2 v[8:9], v[4:5], off
.LBB1000_35:
	s_or_b64 exec, exec, s[0:1]
	v_add_u32_e32 v4, 0x100, v10
	v_cmp_gt_u32_e32 vcc, s33, v4
	s_and_saveexec_b64 s[0:1], vcc
	s_cbranch_execz .LBB1000_37
; %bb.36:
	global_store_dwordx2 v[8:9], v[6:7], off offset:2048
.LBB1000_37:
	s_or_b64 exec, exec, s[0:1]
	v_add_u32_e32 v4, 0x200, v10
	v_cmp_gt_u32_e32 vcc, s33, v4
	s_and_saveexec_b64 s[0:1], vcc
	s_cbranch_execz .LBB1000_39
; %bb.38:
	v_add_co_u32_e32 v4, vcc, 0x1000, v8
	v_addc_co_u32_e32 v5, vcc, 0, v9, vcc
	global_store_dwordx2 v[4:5], v[0:1], off
.LBB1000_39:
	s_or_b64 exec, exec, s[0:1]
	v_add_u32_e32 v0, 0x300, v10
	v_cmp_gt_u32_e64 s[0:1], s33, v0
.LBB1000_40:
	s_and_saveexec_b64 s[2:3], s[0:1]
	s_cbranch_execnz .LBB1000_42
; %bb.41:
	s_endpgm
.LBB1000_42:
	v_add_co_u32_e32 v0, vcc, 0x1000, v8
	v_xor_b32_e32 v3, 0x80000000, v3
	v_addc_co_u32_e32 v1, vcc, 0, v9, vcc
	global_store_dwordx2 v[0:1], v[2:3], off offset:2048
	s_endpgm
	.section	.rodata,"a",@progbits
	.p2align	6, 0x0
	.amdhsa_kernel _ZN7rocprim17ROCPRIM_400000_NS6detail17trampoline_kernelINS0_13kernel_configILj256ELj4ELj4294967295EEENS1_37radix_sort_block_sort_config_selectorIxNS0_10empty_typeEEEZNS1_21radix_sort_block_sortIS4_Lb0EPxS9_PS6_SA_NS0_19identity_decomposerEEE10hipError_tT1_T2_T3_T4_jRjT5_jjP12ihipStream_tbEUlT_E_NS1_11comp_targetILNS1_3genE4ELNS1_11target_archE910ELNS1_3gpuE8ELNS1_3repE0EEENS1_44radix_sort_block_sort_config_static_selectorELNS0_4arch9wavefront6targetE1EEEvSD_
		.amdhsa_group_segment_fixed_size 8192
		.amdhsa_private_segment_fixed_size 0
		.amdhsa_kernarg_size 304
		.amdhsa_user_sgpr_count 6
		.amdhsa_user_sgpr_private_segment_buffer 1
		.amdhsa_user_sgpr_dispatch_ptr 0
		.amdhsa_user_sgpr_queue_ptr 0
		.amdhsa_user_sgpr_kernarg_segment_ptr 1
		.amdhsa_user_sgpr_dispatch_id 0
		.amdhsa_user_sgpr_flat_scratch_init 0
		.amdhsa_user_sgpr_kernarg_preload_length 0
		.amdhsa_user_sgpr_kernarg_preload_offset 0
		.amdhsa_user_sgpr_private_segment_size 0
		.amdhsa_uses_dynamic_stack 0
		.amdhsa_system_sgpr_private_segment_wavefront_offset 0
		.amdhsa_system_sgpr_workgroup_id_x 1
		.amdhsa_system_sgpr_workgroup_id_y 0
		.amdhsa_system_sgpr_workgroup_id_z 0
		.amdhsa_system_sgpr_workgroup_info 0
		.amdhsa_system_vgpr_workitem_id 2
		.amdhsa_next_free_vgpr 42
		.amdhsa_next_free_sgpr 44
		.amdhsa_accum_offset 44
		.amdhsa_reserve_vcc 1
		.amdhsa_reserve_flat_scratch 0
		.amdhsa_float_round_mode_32 0
		.amdhsa_float_round_mode_16_64 0
		.amdhsa_float_denorm_mode_32 3
		.amdhsa_float_denorm_mode_16_64 3
		.amdhsa_dx10_clamp 1
		.amdhsa_ieee_mode 1
		.amdhsa_fp16_overflow 0
		.amdhsa_tg_split 0
		.amdhsa_exception_fp_ieee_invalid_op 0
		.amdhsa_exception_fp_denorm_src 0
		.amdhsa_exception_fp_ieee_div_zero 0
		.amdhsa_exception_fp_ieee_overflow 0
		.amdhsa_exception_fp_ieee_underflow 0
		.amdhsa_exception_fp_ieee_inexact 0
		.amdhsa_exception_int_div_zero 0
	.end_amdhsa_kernel
	.section	.text._ZN7rocprim17ROCPRIM_400000_NS6detail17trampoline_kernelINS0_13kernel_configILj256ELj4ELj4294967295EEENS1_37radix_sort_block_sort_config_selectorIxNS0_10empty_typeEEEZNS1_21radix_sort_block_sortIS4_Lb0EPxS9_PS6_SA_NS0_19identity_decomposerEEE10hipError_tT1_T2_T3_T4_jRjT5_jjP12ihipStream_tbEUlT_E_NS1_11comp_targetILNS1_3genE4ELNS1_11target_archE910ELNS1_3gpuE8ELNS1_3repE0EEENS1_44radix_sort_block_sort_config_static_selectorELNS0_4arch9wavefront6targetE1EEEvSD_,"axG",@progbits,_ZN7rocprim17ROCPRIM_400000_NS6detail17trampoline_kernelINS0_13kernel_configILj256ELj4ELj4294967295EEENS1_37radix_sort_block_sort_config_selectorIxNS0_10empty_typeEEEZNS1_21radix_sort_block_sortIS4_Lb0EPxS9_PS6_SA_NS0_19identity_decomposerEEE10hipError_tT1_T2_T3_T4_jRjT5_jjP12ihipStream_tbEUlT_E_NS1_11comp_targetILNS1_3genE4ELNS1_11target_archE910ELNS1_3gpuE8ELNS1_3repE0EEENS1_44radix_sort_block_sort_config_static_selectorELNS0_4arch9wavefront6targetE1EEEvSD_,comdat
.Lfunc_end1000:
	.size	_ZN7rocprim17ROCPRIM_400000_NS6detail17trampoline_kernelINS0_13kernel_configILj256ELj4ELj4294967295EEENS1_37radix_sort_block_sort_config_selectorIxNS0_10empty_typeEEEZNS1_21radix_sort_block_sortIS4_Lb0EPxS9_PS6_SA_NS0_19identity_decomposerEEE10hipError_tT1_T2_T3_T4_jRjT5_jjP12ihipStream_tbEUlT_E_NS1_11comp_targetILNS1_3genE4ELNS1_11target_archE910ELNS1_3gpuE8ELNS1_3repE0EEENS1_44radix_sort_block_sort_config_static_selectorELNS0_4arch9wavefront6targetE1EEEvSD_, .Lfunc_end1000-_ZN7rocprim17ROCPRIM_400000_NS6detail17trampoline_kernelINS0_13kernel_configILj256ELj4ELj4294967295EEENS1_37radix_sort_block_sort_config_selectorIxNS0_10empty_typeEEEZNS1_21radix_sort_block_sortIS4_Lb0EPxS9_PS6_SA_NS0_19identity_decomposerEEE10hipError_tT1_T2_T3_T4_jRjT5_jjP12ihipStream_tbEUlT_E_NS1_11comp_targetILNS1_3genE4ELNS1_11target_archE910ELNS1_3gpuE8ELNS1_3repE0EEENS1_44radix_sort_block_sort_config_static_selectorELNS0_4arch9wavefront6targetE1EEEvSD_
                                        ; -- End function
	.section	.AMDGPU.csdata,"",@progbits
; Kernel info:
; codeLenInByte = 3284
; NumSgprs: 48
; NumVgprs: 42
; NumAgprs: 0
; TotalNumVgprs: 42
; ScratchSize: 0
; MemoryBound: 1
; FloatMode: 240
; IeeeMode: 1
; LDSByteSize: 8192 bytes/workgroup (compile time only)
; SGPRBlocks: 5
; VGPRBlocks: 5
; NumSGPRsForWavesPerEU: 48
; NumVGPRsForWavesPerEU: 42
; AccumOffset: 44
; Occupancy: 8
; WaveLimiterHint : 1
; COMPUTE_PGM_RSRC2:SCRATCH_EN: 0
; COMPUTE_PGM_RSRC2:USER_SGPR: 6
; COMPUTE_PGM_RSRC2:TRAP_HANDLER: 0
; COMPUTE_PGM_RSRC2:TGID_X_EN: 1
; COMPUTE_PGM_RSRC2:TGID_Y_EN: 0
; COMPUTE_PGM_RSRC2:TGID_Z_EN: 0
; COMPUTE_PGM_RSRC2:TIDIG_COMP_CNT: 2
; COMPUTE_PGM_RSRC3_GFX90A:ACCUM_OFFSET: 10
; COMPUTE_PGM_RSRC3_GFX90A:TG_SPLIT: 0
	.section	.text._ZN7rocprim17ROCPRIM_400000_NS6detail17trampoline_kernelINS0_13kernel_configILj256ELj4ELj4294967295EEENS1_37radix_sort_block_sort_config_selectorIxNS0_10empty_typeEEEZNS1_21radix_sort_block_sortIS4_Lb0EPxS9_PS6_SA_NS0_19identity_decomposerEEE10hipError_tT1_T2_T3_T4_jRjT5_jjP12ihipStream_tbEUlT_E_NS1_11comp_targetILNS1_3genE3ELNS1_11target_archE908ELNS1_3gpuE7ELNS1_3repE0EEENS1_44radix_sort_block_sort_config_static_selectorELNS0_4arch9wavefront6targetE1EEEvSD_,"axG",@progbits,_ZN7rocprim17ROCPRIM_400000_NS6detail17trampoline_kernelINS0_13kernel_configILj256ELj4ELj4294967295EEENS1_37radix_sort_block_sort_config_selectorIxNS0_10empty_typeEEEZNS1_21radix_sort_block_sortIS4_Lb0EPxS9_PS6_SA_NS0_19identity_decomposerEEE10hipError_tT1_T2_T3_T4_jRjT5_jjP12ihipStream_tbEUlT_E_NS1_11comp_targetILNS1_3genE3ELNS1_11target_archE908ELNS1_3gpuE7ELNS1_3repE0EEENS1_44radix_sort_block_sort_config_static_selectorELNS0_4arch9wavefront6targetE1EEEvSD_,comdat
	.protected	_ZN7rocprim17ROCPRIM_400000_NS6detail17trampoline_kernelINS0_13kernel_configILj256ELj4ELj4294967295EEENS1_37radix_sort_block_sort_config_selectorIxNS0_10empty_typeEEEZNS1_21radix_sort_block_sortIS4_Lb0EPxS9_PS6_SA_NS0_19identity_decomposerEEE10hipError_tT1_T2_T3_T4_jRjT5_jjP12ihipStream_tbEUlT_E_NS1_11comp_targetILNS1_3genE3ELNS1_11target_archE908ELNS1_3gpuE7ELNS1_3repE0EEENS1_44radix_sort_block_sort_config_static_selectorELNS0_4arch9wavefront6targetE1EEEvSD_ ; -- Begin function _ZN7rocprim17ROCPRIM_400000_NS6detail17trampoline_kernelINS0_13kernel_configILj256ELj4ELj4294967295EEENS1_37radix_sort_block_sort_config_selectorIxNS0_10empty_typeEEEZNS1_21radix_sort_block_sortIS4_Lb0EPxS9_PS6_SA_NS0_19identity_decomposerEEE10hipError_tT1_T2_T3_T4_jRjT5_jjP12ihipStream_tbEUlT_E_NS1_11comp_targetILNS1_3genE3ELNS1_11target_archE908ELNS1_3gpuE7ELNS1_3repE0EEENS1_44radix_sort_block_sort_config_static_selectorELNS0_4arch9wavefront6targetE1EEEvSD_
	.globl	_ZN7rocprim17ROCPRIM_400000_NS6detail17trampoline_kernelINS0_13kernel_configILj256ELj4ELj4294967295EEENS1_37radix_sort_block_sort_config_selectorIxNS0_10empty_typeEEEZNS1_21radix_sort_block_sortIS4_Lb0EPxS9_PS6_SA_NS0_19identity_decomposerEEE10hipError_tT1_T2_T3_T4_jRjT5_jjP12ihipStream_tbEUlT_E_NS1_11comp_targetILNS1_3genE3ELNS1_11target_archE908ELNS1_3gpuE7ELNS1_3repE0EEENS1_44radix_sort_block_sort_config_static_selectorELNS0_4arch9wavefront6targetE1EEEvSD_
	.p2align	8
	.type	_ZN7rocprim17ROCPRIM_400000_NS6detail17trampoline_kernelINS0_13kernel_configILj256ELj4ELj4294967295EEENS1_37radix_sort_block_sort_config_selectorIxNS0_10empty_typeEEEZNS1_21radix_sort_block_sortIS4_Lb0EPxS9_PS6_SA_NS0_19identity_decomposerEEE10hipError_tT1_T2_T3_T4_jRjT5_jjP12ihipStream_tbEUlT_E_NS1_11comp_targetILNS1_3genE3ELNS1_11target_archE908ELNS1_3gpuE7ELNS1_3repE0EEENS1_44radix_sort_block_sort_config_static_selectorELNS0_4arch9wavefront6targetE1EEEvSD_,@function
_ZN7rocprim17ROCPRIM_400000_NS6detail17trampoline_kernelINS0_13kernel_configILj256ELj4ELj4294967295EEENS1_37radix_sort_block_sort_config_selectorIxNS0_10empty_typeEEEZNS1_21radix_sort_block_sortIS4_Lb0EPxS9_PS6_SA_NS0_19identity_decomposerEEE10hipError_tT1_T2_T3_T4_jRjT5_jjP12ihipStream_tbEUlT_E_NS1_11comp_targetILNS1_3genE3ELNS1_11target_archE908ELNS1_3gpuE7ELNS1_3repE0EEENS1_44radix_sort_block_sort_config_static_selectorELNS0_4arch9wavefront6targetE1EEEvSD_: ; @_ZN7rocprim17ROCPRIM_400000_NS6detail17trampoline_kernelINS0_13kernel_configILj256ELj4ELj4294967295EEENS1_37radix_sort_block_sort_config_selectorIxNS0_10empty_typeEEEZNS1_21radix_sort_block_sortIS4_Lb0EPxS9_PS6_SA_NS0_19identity_decomposerEEE10hipError_tT1_T2_T3_T4_jRjT5_jjP12ihipStream_tbEUlT_E_NS1_11comp_targetILNS1_3genE3ELNS1_11target_archE908ELNS1_3gpuE7ELNS1_3repE0EEENS1_44radix_sort_block_sort_config_static_selectorELNS0_4arch9wavefront6targetE1EEEvSD_
; %bb.0:
	.section	.rodata,"a",@progbits
	.p2align	6, 0x0
	.amdhsa_kernel _ZN7rocprim17ROCPRIM_400000_NS6detail17trampoline_kernelINS0_13kernel_configILj256ELj4ELj4294967295EEENS1_37radix_sort_block_sort_config_selectorIxNS0_10empty_typeEEEZNS1_21radix_sort_block_sortIS4_Lb0EPxS9_PS6_SA_NS0_19identity_decomposerEEE10hipError_tT1_T2_T3_T4_jRjT5_jjP12ihipStream_tbEUlT_E_NS1_11comp_targetILNS1_3genE3ELNS1_11target_archE908ELNS1_3gpuE7ELNS1_3repE0EEENS1_44radix_sort_block_sort_config_static_selectorELNS0_4arch9wavefront6targetE1EEEvSD_
		.amdhsa_group_segment_fixed_size 0
		.amdhsa_private_segment_fixed_size 0
		.amdhsa_kernarg_size 48
		.amdhsa_user_sgpr_count 6
		.amdhsa_user_sgpr_private_segment_buffer 1
		.amdhsa_user_sgpr_dispatch_ptr 0
		.amdhsa_user_sgpr_queue_ptr 0
		.amdhsa_user_sgpr_kernarg_segment_ptr 1
		.amdhsa_user_sgpr_dispatch_id 0
		.amdhsa_user_sgpr_flat_scratch_init 0
		.amdhsa_user_sgpr_kernarg_preload_length 0
		.amdhsa_user_sgpr_kernarg_preload_offset 0
		.amdhsa_user_sgpr_private_segment_size 0
		.amdhsa_uses_dynamic_stack 0
		.amdhsa_system_sgpr_private_segment_wavefront_offset 0
		.amdhsa_system_sgpr_workgroup_id_x 1
		.amdhsa_system_sgpr_workgroup_id_y 0
		.amdhsa_system_sgpr_workgroup_id_z 0
		.amdhsa_system_sgpr_workgroup_info 0
		.amdhsa_system_vgpr_workitem_id 0
		.amdhsa_next_free_vgpr 1
		.amdhsa_next_free_sgpr 0
		.amdhsa_accum_offset 4
		.amdhsa_reserve_vcc 0
		.amdhsa_reserve_flat_scratch 0
		.amdhsa_float_round_mode_32 0
		.amdhsa_float_round_mode_16_64 0
		.amdhsa_float_denorm_mode_32 3
		.amdhsa_float_denorm_mode_16_64 3
		.amdhsa_dx10_clamp 1
		.amdhsa_ieee_mode 1
		.amdhsa_fp16_overflow 0
		.amdhsa_tg_split 0
		.amdhsa_exception_fp_ieee_invalid_op 0
		.amdhsa_exception_fp_denorm_src 0
		.amdhsa_exception_fp_ieee_div_zero 0
		.amdhsa_exception_fp_ieee_overflow 0
		.amdhsa_exception_fp_ieee_underflow 0
		.amdhsa_exception_fp_ieee_inexact 0
		.amdhsa_exception_int_div_zero 0
	.end_amdhsa_kernel
	.section	.text._ZN7rocprim17ROCPRIM_400000_NS6detail17trampoline_kernelINS0_13kernel_configILj256ELj4ELj4294967295EEENS1_37radix_sort_block_sort_config_selectorIxNS0_10empty_typeEEEZNS1_21radix_sort_block_sortIS4_Lb0EPxS9_PS6_SA_NS0_19identity_decomposerEEE10hipError_tT1_T2_T3_T4_jRjT5_jjP12ihipStream_tbEUlT_E_NS1_11comp_targetILNS1_3genE3ELNS1_11target_archE908ELNS1_3gpuE7ELNS1_3repE0EEENS1_44radix_sort_block_sort_config_static_selectorELNS0_4arch9wavefront6targetE1EEEvSD_,"axG",@progbits,_ZN7rocprim17ROCPRIM_400000_NS6detail17trampoline_kernelINS0_13kernel_configILj256ELj4ELj4294967295EEENS1_37radix_sort_block_sort_config_selectorIxNS0_10empty_typeEEEZNS1_21radix_sort_block_sortIS4_Lb0EPxS9_PS6_SA_NS0_19identity_decomposerEEE10hipError_tT1_T2_T3_T4_jRjT5_jjP12ihipStream_tbEUlT_E_NS1_11comp_targetILNS1_3genE3ELNS1_11target_archE908ELNS1_3gpuE7ELNS1_3repE0EEENS1_44radix_sort_block_sort_config_static_selectorELNS0_4arch9wavefront6targetE1EEEvSD_,comdat
.Lfunc_end1001:
	.size	_ZN7rocprim17ROCPRIM_400000_NS6detail17trampoline_kernelINS0_13kernel_configILj256ELj4ELj4294967295EEENS1_37radix_sort_block_sort_config_selectorIxNS0_10empty_typeEEEZNS1_21radix_sort_block_sortIS4_Lb0EPxS9_PS6_SA_NS0_19identity_decomposerEEE10hipError_tT1_T2_T3_T4_jRjT5_jjP12ihipStream_tbEUlT_E_NS1_11comp_targetILNS1_3genE3ELNS1_11target_archE908ELNS1_3gpuE7ELNS1_3repE0EEENS1_44radix_sort_block_sort_config_static_selectorELNS0_4arch9wavefront6targetE1EEEvSD_, .Lfunc_end1001-_ZN7rocprim17ROCPRIM_400000_NS6detail17trampoline_kernelINS0_13kernel_configILj256ELj4ELj4294967295EEENS1_37radix_sort_block_sort_config_selectorIxNS0_10empty_typeEEEZNS1_21radix_sort_block_sortIS4_Lb0EPxS9_PS6_SA_NS0_19identity_decomposerEEE10hipError_tT1_T2_T3_T4_jRjT5_jjP12ihipStream_tbEUlT_E_NS1_11comp_targetILNS1_3genE3ELNS1_11target_archE908ELNS1_3gpuE7ELNS1_3repE0EEENS1_44radix_sort_block_sort_config_static_selectorELNS0_4arch9wavefront6targetE1EEEvSD_
                                        ; -- End function
	.section	.AMDGPU.csdata,"",@progbits
; Kernel info:
; codeLenInByte = 0
; NumSgprs: 4
; NumVgprs: 0
; NumAgprs: 0
; TotalNumVgprs: 0
; ScratchSize: 0
; MemoryBound: 0
; FloatMode: 240
; IeeeMode: 1
; LDSByteSize: 0 bytes/workgroup (compile time only)
; SGPRBlocks: 0
; VGPRBlocks: 0
; NumSGPRsForWavesPerEU: 4
; NumVGPRsForWavesPerEU: 1
; AccumOffset: 4
; Occupancy: 8
; WaveLimiterHint : 0
; COMPUTE_PGM_RSRC2:SCRATCH_EN: 0
; COMPUTE_PGM_RSRC2:USER_SGPR: 6
; COMPUTE_PGM_RSRC2:TRAP_HANDLER: 0
; COMPUTE_PGM_RSRC2:TGID_X_EN: 1
; COMPUTE_PGM_RSRC2:TGID_Y_EN: 0
; COMPUTE_PGM_RSRC2:TGID_Z_EN: 0
; COMPUTE_PGM_RSRC2:TIDIG_COMP_CNT: 0
; COMPUTE_PGM_RSRC3_GFX90A:ACCUM_OFFSET: 0
; COMPUTE_PGM_RSRC3_GFX90A:TG_SPLIT: 0
	.section	.text._ZN7rocprim17ROCPRIM_400000_NS6detail17trampoline_kernelINS0_13kernel_configILj256ELj4ELj4294967295EEENS1_37radix_sort_block_sort_config_selectorIxNS0_10empty_typeEEEZNS1_21radix_sort_block_sortIS4_Lb0EPxS9_PS6_SA_NS0_19identity_decomposerEEE10hipError_tT1_T2_T3_T4_jRjT5_jjP12ihipStream_tbEUlT_E_NS1_11comp_targetILNS1_3genE2ELNS1_11target_archE906ELNS1_3gpuE6ELNS1_3repE0EEENS1_44radix_sort_block_sort_config_static_selectorELNS0_4arch9wavefront6targetE1EEEvSD_,"axG",@progbits,_ZN7rocprim17ROCPRIM_400000_NS6detail17trampoline_kernelINS0_13kernel_configILj256ELj4ELj4294967295EEENS1_37radix_sort_block_sort_config_selectorIxNS0_10empty_typeEEEZNS1_21radix_sort_block_sortIS4_Lb0EPxS9_PS6_SA_NS0_19identity_decomposerEEE10hipError_tT1_T2_T3_T4_jRjT5_jjP12ihipStream_tbEUlT_E_NS1_11comp_targetILNS1_3genE2ELNS1_11target_archE906ELNS1_3gpuE6ELNS1_3repE0EEENS1_44radix_sort_block_sort_config_static_selectorELNS0_4arch9wavefront6targetE1EEEvSD_,comdat
	.protected	_ZN7rocprim17ROCPRIM_400000_NS6detail17trampoline_kernelINS0_13kernel_configILj256ELj4ELj4294967295EEENS1_37radix_sort_block_sort_config_selectorIxNS0_10empty_typeEEEZNS1_21radix_sort_block_sortIS4_Lb0EPxS9_PS6_SA_NS0_19identity_decomposerEEE10hipError_tT1_T2_T3_T4_jRjT5_jjP12ihipStream_tbEUlT_E_NS1_11comp_targetILNS1_3genE2ELNS1_11target_archE906ELNS1_3gpuE6ELNS1_3repE0EEENS1_44radix_sort_block_sort_config_static_selectorELNS0_4arch9wavefront6targetE1EEEvSD_ ; -- Begin function _ZN7rocprim17ROCPRIM_400000_NS6detail17trampoline_kernelINS0_13kernel_configILj256ELj4ELj4294967295EEENS1_37radix_sort_block_sort_config_selectorIxNS0_10empty_typeEEEZNS1_21radix_sort_block_sortIS4_Lb0EPxS9_PS6_SA_NS0_19identity_decomposerEEE10hipError_tT1_T2_T3_T4_jRjT5_jjP12ihipStream_tbEUlT_E_NS1_11comp_targetILNS1_3genE2ELNS1_11target_archE906ELNS1_3gpuE6ELNS1_3repE0EEENS1_44radix_sort_block_sort_config_static_selectorELNS0_4arch9wavefront6targetE1EEEvSD_
	.globl	_ZN7rocprim17ROCPRIM_400000_NS6detail17trampoline_kernelINS0_13kernel_configILj256ELj4ELj4294967295EEENS1_37radix_sort_block_sort_config_selectorIxNS0_10empty_typeEEEZNS1_21radix_sort_block_sortIS4_Lb0EPxS9_PS6_SA_NS0_19identity_decomposerEEE10hipError_tT1_T2_T3_T4_jRjT5_jjP12ihipStream_tbEUlT_E_NS1_11comp_targetILNS1_3genE2ELNS1_11target_archE906ELNS1_3gpuE6ELNS1_3repE0EEENS1_44radix_sort_block_sort_config_static_selectorELNS0_4arch9wavefront6targetE1EEEvSD_
	.p2align	8
	.type	_ZN7rocprim17ROCPRIM_400000_NS6detail17trampoline_kernelINS0_13kernel_configILj256ELj4ELj4294967295EEENS1_37radix_sort_block_sort_config_selectorIxNS0_10empty_typeEEEZNS1_21radix_sort_block_sortIS4_Lb0EPxS9_PS6_SA_NS0_19identity_decomposerEEE10hipError_tT1_T2_T3_T4_jRjT5_jjP12ihipStream_tbEUlT_E_NS1_11comp_targetILNS1_3genE2ELNS1_11target_archE906ELNS1_3gpuE6ELNS1_3repE0EEENS1_44radix_sort_block_sort_config_static_selectorELNS0_4arch9wavefront6targetE1EEEvSD_,@function
_ZN7rocprim17ROCPRIM_400000_NS6detail17trampoline_kernelINS0_13kernel_configILj256ELj4ELj4294967295EEENS1_37radix_sort_block_sort_config_selectorIxNS0_10empty_typeEEEZNS1_21radix_sort_block_sortIS4_Lb0EPxS9_PS6_SA_NS0_19identity_decomposerEEE10hipError_tT1_T2_T3_T4_jRjT5_jjP12ihipStream_tbEUlT_E_NS1_11comp_targetILNS1_3genE2ELNS1_11target_archE906ELNS1_3gpuE6ELNS1_3repE0EEENS1_44radix_sort_block_sort_config_static_selectorELNS0_4arch9wavefront6targetE1EEEvSD_: ; @_ZN7rocprim17ROCPRIM_400000_NS6detail17trampoline_kernelINS0_13kernel_configILj256ELj4ELj4294967295EEENS1_37radix_sort_block_sort_config_selectorIxNS0_10empty_typeEEEZNS1_21radix_sort_block_sortIS4_Lb0EPxS9_PS6_SA_NS0_19identity_decomposerEEE10hipError_tT1_T2_T3_T4_jRjT5_jjP12ihipStream_tbEUlT_E_NS1_11comp_targetILNS1_3genE2ELNS1_11target_archE906ELNS1_3gpuE6ELNS1_3repE0EEENS1_44radix_sort_block_sort_config_static_selectorELNS0_4arch9wavefront6targetE1EEEvSD_
; %bb.0:
	.section	.rodata,"a",@progbits
	.p2align	6, 0x0
	.amdhsa_kernel _ZN7rocprim17ROCPRIM_400000_NS6detail17trampoline_kernelINS0_13kernel_configILj256ELj4ELj4294967295EEENS1_37radix_sort_block_sort_config_selectorIxNS0_10empty_typeEEEZNS1_21radix_sort_block_sortIS4_Lb0EPxS9_PS6_SA_NS0_19identity_decomposerEEE10hipError_tT1_T2_T3_T4_jRjT5_jjP12ihipStream_tbEUlT_E_NS1_11comp_targetILNS1_3genE2ELNS1_11target_archE906ELNS1_3gpuE6ELNS1_3repE0EEENS1_44radix_sort_block_sort_config_static_selectorELNS0_4arch9wavefront6targetE1EEEvSD_
		.amdhsa_group_segment_fixed_size 0
		.amdhsa_private_segment_fixed_size 0
		.amdhsa_kernarg_size 48
		.amdhsa_user_sgpr_count 6
		.amdhsa_user_sgpr_private_segment_buffer 1
		.amdhsa_user_sgpr_dispatch_ptr 0
		.amdhsa_user_sgpr_queue_ptr 0
		.amdhsa_user_sgpr_kernarg_segment_ptr 1
		.amdhsa_user_sgpr_dispatch_id 0
		.amdhsa_user_sgpr_flat_scratch_init 0
		.amdhsa_user_sgpr_kernarg_preload_length 0
		.amdhsa_user_sgpr_kernarg_preload_offset 0
		.amdhsa_user_sgpr_private_segment_size 0
		.amdhsa_uses_dynamic_stack 0
		.amdhsa_system_sgpr_private_segment_wavefront_offset 0
		.amdhsa_system_sgpr_workgroup_id_x 1
		.amdhsa_system_sgpr_workgroup_id_y 0
		.amdhsa_system_sgpr_workgroup_id_z 0
		.amdhsa_system_sgpr_workgroup_info 0
		.amdhsa_system_vgpr_workitem_id 0
		.amdhsa_next_free_vgpr 1
		.amdhsa_next_free_sgpr 0
		.amdhsa_accum_offset 4
		.amdhsa_reserve_vcc 0
		.amdhsa_reserve_flat_scratch 0
		.amdhsa_float_round_mode_32 0
		.amdhsa_float_round_mode_16_64 0
		.amdhsa_float_denorm_mode_32 3
		.amdhsa_float_denorm_mode_16_64 3
		.amdhsa_dx10_clamp 1
		.amdhsa_ieee_mode 1
		.amdhsa_fp16_overflow 0
		.amdhsa_tg_split 0
		.amdhsa_exception_fp_ieee_invalid_op 0
		.amdhsa_exception_fp_denorm_src 0
		.amdhsa_exception_fp_ieee_div_zero 0
		.amdhsa_exception_fp_ieee_overflow 0
		.amdhsa_exception_fp_ieee_underflow 0
		.amdhsa_exception_fp_ieee_inexact 0
		.amdhsa_exception_int_div_zero 0
	.end_amdhsa_kernel
	.section	.text._ZN7rocprim17ROCPRIM_400000_NS6detail17trampoline_kernelINS0_13kernel_configILj256ELj4ELj4294967295EEENS1_37radix_sort_block_sort_config_selectorIxNS0_10empty_typeEEEZNS1_21radix_sort_block_sortIS4_Lb0EPxS9_PS6_SA_NS0_19identity_decomposerEEE10hipError_tT1_T2_T3_T4_jRjT5_jjP12ihipStream_tbEUlT_E_NS1_11comp_targetILNS1_3genE2ELNS1_11target_archE906ELNS1_3gpuE6ELNS1_3repE0EEENS1_44radix_sort_block_sort_config_static_selectorELNS0_4arch9wavefront6targetE1EEEvSD_,"axG",@progbits,_ZN7rocprim17ROCPRIM_400000_NS6detail17trampoline_kernelINS0_13kernel_configILj256ELj4ELj4294967295EEENS1_37radix_sort_block_sort_config_selectorIxNS0_10empty_typeEEEZNS1_21radix_sort_block_sortIS4_Lb0EPxS9_PS6_SA_NS0_19identity_decomposerEEE10hipError_tT1_T2_T3_T4_jRjT5_jjP12ihipStream_tbEUlT_E_NS1_11comp_targetILNS1_3genE2ELNS1_11target_archE906ELNS1_3gpuE6ELNS1_3repE0EEENS1_44radix_sort_block_sort_config_static_selectorELNS0_4arch9wavefront6targetE1EEEvSD_,comdat
.Lfunc_end1002:
	.size	_ZN7rocprim17ROCPRIM_400000_NS6detail17trampoline_kernelINS0_13kernel_configILj256ELj4ELj4294967295EEENS1_37radix_sort_block_sort_config_selectorIxNS0_10empty_typeEEEZNS1_21radix_sort_block_sortIS4_Lb0EPxS9_PS6_SA_NS0_19identity_decomposerEEE10hipError_tT1_T2_T3_T4_jRjT5_jjP12ihipStream_tbEUlT_E_NS1_11comp_targetILNS1_3genE2ELNS1_11target_archE906ELNS1_3gpuE6ELNS1_3repE0EEENS1_44radix_sort_block_sort_config_static_selectorELNS0_4arch9wavefront6targetE1EEEvSD_, .Lfunc_end1002-_ZN7rocprim17ROCPRIM_400000_NS6detail17trampoline_kernelINS0_13kernel_configILj256ELj4ELj4294967295EEENS1_37radix_sort_block_sort_config_selectorIxNS0_10empty_typeEEEZNS1_21radix_sort_block_sortIS4_Lb0EPxS9_PS6_SA_NS0_19identity_decomposerEEE10hipError_tT1_T2_T3_T4_jRjT5_jjP12ihipStream_tbEUlT_E_NS1_11comp_targetILNS1_3genE2ELNS1_11target_archE906ELNS1_3gpuE6ELNS1_3repE0EEENS1_44radix_sort_block_sort_config_static_selectorELNS0_4arch9wavefront6targetE1EEEvSD_
                                        ; -- End function
	.section	.AMDGPU.csdata,"",@progbits
; Kernel info:
; codeLenInByte = 0
; NumSgprs: 4
; NumVgprs: 0
; NumAgprs: 0
; TotalNumVgprs: 0
; ScratchSize: 0
; MemoryBound: 0
; FloatMode: 240
; IeeeMode: 1
; LDSByteSize: 0 bytes/workgroup (compile time only)
; SGPRBlocks: 0
; VGPRBlocks: 0
; NumSGPRsForWavesPerEU: 4
; NumVGPRsForWavesPerEU: 1
; AccumOffset: 4
; Occupancy: 8
; WaveLimiterHint : 0
; COMPUTE_PGM_RSRC2:SCRATCH_EN: 0
; COMPUTE_PGM_RSRC2:USER_SGPR: 6
; COMPUTE_PGM_RSRC2:TRAP_HANDLER: 0
; COMPUTE_PGM_RSRC2:TGID_X_EN: 1
; COMPUTE_PGM_RSRC2:TGID_Y_EN: 0
; COMPUTE_PGM_RSRC2:TGID_Z_EN: 0
; COMPUTE_PGM_RSRC2:TIDIG_COMP_CNT: 0
; COMPUTE_PGM_RSRC3_GFX90A:ACCUM_OFFSET: 0
; COMPUTE_PGM_RSRC3_GFX90A:TG_SPLIT: 0
	.section	.text._ZN7rocprim17ROCPRIM_400000_NS6detail17trampoline_kernelINS0_13kernel_configILj256ELj4ELj4294967295EEENS1_37radix_sort_block_sort_config_selectorIxNS0_10empty_typeEEEZNS1_21radix_sort_block_sortIS4_Lb0EPxS9_PS6_SA_NS0_19identity_decomposerEEE10hipError_tT1_T2_T3_T4_jRjT5_jjP12ihipStream_tbEUlT_E_NS1_11comp_targetILNS1_3genE10ELNS1_11target_archE1201ELNS1_3gpuE5ELNS1_3repE0EEENS1_44radix_sort_block_sort_config_static_selectorELNS0_4arch9wavefront6targetE1EEEvSD_,"axG",@progbits,_ZN7rocprim17ROCPRIM_400000_NS6detail17trampoline_kernelINS0_13kernel_configILj256ELj4ELj4294967295EEENS1_37radix_sort_block_sort_config_selectorIxNS0_10empty_typeEEEZNS1_21radix_sort_block_sortIS4_Lb0EPxS9_PS6_SA_NS0_19identity_decomposerEEE10hipError_tT1_T2_T3_T4_jRjT5_jjP12ihipStream_tbEUlT_E_NS1_11comp_targetILNS1_3genE10ELNS1_11target_archE1201ELNS1_3gpuE5ELNS1_3repE0EEENS1_44radix_sort_block_sort_config_static_selectorELNS0_4arch9wavefront6targetE1EEEvSD_,comdat
	.protected	_ZN7rocprim17ROCPRIM_400000_NS6detail17trampoline_kernelINS0_13kernel_configILj256ELj4ELj4294967295EEENS1_37radix_sort_block_sort_config_selectorIxNS0_10empty_typeEEEZNS1_21radix_sort_block_sortIS4_Lb0EPxS9_PS6_SA_NS0_19identity_decomposerEEE10hipError_tT1_T2_T3_T4_jRjT5_jjP12ihipStream_tbEUlT_E_NS1_11comp_targetILNS1_3genE10ELNS1_11target_archE1201ELNS1_3gpuE5ELNS1_3repE0EEENS1_44radix_sort_block_sort_config_static_selectorELNS0_4arch9wavefront6targetE1EEEvSD_ ; -- Begin function _ZN7rocprim17ROCPRIM_400000_NS6detail17trampoline_kernelINS0_13kernel_configILj256ELj4ELj4294967295EEENS1_37radix_sort_block_sort_config_selectorIxNS0_10empty_typeEEEZNS1_21radix_sort_block_sortIS4_Lb0EPxS9_PS6_SA_NS0_19identity_decomposerEEE10hipError_tT1_T2_T3_T4_jRjT5_jjP12ihipStream_tbEUlT_E_NS1_11comp_targetILNS1_3genE10ELNS1_11target_archE1201ELNS1_3gpuE5ELNS1_3repE0EEENS1_44radix_sort_block_sort_config_static_selectorELNS0_4arch9wavefront6targetE1EEEvSD_
	.globl	_ZN7rocprim17ROCPRIM_400000_NS6detail17trampoline_kernelINS0_13kernel_configILj256ELj4ELj4294967295EEENS1_37radix_sort_block_sort_config_selectorIxNS0_10empty_typeEEEZNS1_21radix_sort_block_sortIS4_Lb0EPxS9_PS6_SA_NS0_19identity_decomposerEEE10hipError_tT1_T2_T3_T4_jRjT5_jjP12ihipStream_tbEUlT_E_NS1_11comp_targetILNS1_3genE10ELNS1_11target_archE1201ELNS1_3gpuE5ELNS1_3repE0EEENS1_44radix_sort_block_sort_config_static_selectorELNS0_4arch9wavefront6targetE1EEEvSD_
	.p2align	8
	.type	_ZN7rocprim17ROCPRIM_400000_NS6detail17trampoline_kernelINS0_13kernel_configILj256ELj4ELj4294967295EEENS1_37radix_sort_block_sort_config_selectorIxNS0_10empty_typeEEEZNS1_21radix_sort_block_sortIS4_Lb0EPxS9_PS6_SA_NS0_19identity_decomposerEEE10hipError_tT1_T2_T3_T4_jRjT5_jjP12ihipStream_tbEUlT_E_NS1_11comp_targetILNS1_3genE10ELNS1_11target_archE1201ELNS1_3gpuE5ELNS1_3repE0EEENS1_44radix_sort_block_sort_config_static_selectorELNS0_4arch9wavefront6targetE1EEEvSD_,@function
_ZN7rocprim17ROCPRIM_400000_NS6detail17trampoline_kernelINS0_13kernel_configILj256ELj4ELj4294967295EEENS1_37radix_sort_block_sort_config_selectorIxNS0_10empty_typeEEEZNS1_21radix_sort_block_sortIS4_Lb0EPxS9_PS6_SA_NS0_19identity_decomposerEEE10hipError_tT1_T2_T3_T4_jRjT5_jjP12ihipStream_tbEUlT_E_NS1_11comp_targetILNS1_3genE10ELNS1_11target_archE1201ELNS1_3gpuE5ELNS1_3repE0EEENS1_44radix_sort_block_sort_config_static_selectorELNS0_4arch9wavefront6targetE1EEEvSD_: ; @_ZN7rocprim17ROCPRIM_400000_NS6detail17trampoline_kernelINS0_13kernel_configILj256ELj4ELj4294967295EEENS1_37radix_sort_block_sort_config_selectorIxNS0_10empty_typeEEEZNS1_21radix_sort_block_sortIS4_Lb0EPxS9_PS6_SA_NS0_19identity_decomposerEEE10hipError_tT1_T2_T3_T4_jRjT5_jjP12ihipStream_tbEUlT_E_NS1_11comp_targetILNS1_3genE10ELNS1_11target_archE1201ELNS1_3gpuE5ELNS1_3repE0EEENS1_44radix_sort_block_sort_config_static_selectorELNS0_4arch9wavefront6targetE1EEEvSD_
; %bb.0:
	.section	.rodata,"a",@progbits
	.p2align	6, 0x0
	.amdhsa_kernel _ZN7rocprim17ROCPRIM_400000_NS6detail17trampoline_kernelINS0_13kernel_configILj256ELj4ELj4294967295EEENS1_37radix_sort_block_sort_config_selectorIxNS0_10empty_typeEEEZNS1_21radix_sort_block_sortIS4_Lb0EPxS9_PS6_SA_NS0_19identity_decomposerEEE10hipError_tT1_T2_T3_T4_jRjT5_jjP12ihipStream_tbEUlT_E_NS1_11comp_targetILNS1_3genE10ELNS1_11target_archE1201ELNS1_3gpuE5ELNS1_3repE0EEENS1_44radix_sort_block_sort_config_static_selectorELNS0_4arch9wavefront6targetE1EEEvSD_
		.amdhsa_group_segment_fixed_size 0
		.amdhsa_private_segment_fixed_size 0
		.amdhsa_kernarg_size 48
		.amdhsa_user_sgpr_count 6
		.amdhsa_user_sgpr_private_segment_buffer 1
		.amdhsa_user_sgpr_dispatch_ptr 0
		.amdhsa_user_sgpr_queue_ptr 0
		.amdhsa_user_sgpr_kernarg_segment_ptr 1
		.amdhsa_user_sgpr_dispatch_id 0
		.amdhsa_user_sgpr_flat_scratch_init 0
		.amdhsa_user_sgpr_kernarg_preload_length 0
		.amdhsa_user_sgpr_kernarg_preload_offset 0
		.amdhsa_user_sgpr_private_segment_size 0
		.amdhsa_uses_dynamic_stack 0
		.amdhsa_system_sgpr_private_segment_wavefront_offset 0
		.amdhsa_system_sgpr_workgroup_id_x 1
		.amdhsa_system_sgpr_workgroup_id_y 0
		.amdhsa_system_sgpr_workgroup_id_z 0
		.amdhsa_system_sgpr_workgroup_info 0
		.amdhsa_system_vgpr_workitem_id 0
		.amdhsa_next_free_vgpr 1
		.amdhsa_next_free_sgpr 0
		.amdhsa_accum_offset 4
		.amdhsa_reserve_vcc 0
		.amdhsa_reserve_flat_scratch 0
		.amdhsa_float_round_mode_32 0
		.amdhsa_float_round_mode_16_64 0
		.amdhsa_float_denorm_mode_32 3
		.amdhsa_float_denorm_mode_16_64 3
		.amdhsa_dx10_clamp 1
		.amdhsa_ieee_mode 1
		.amdhsa_fp16_overflow 0
		.amdhsa_tg_split 0
		.amdhsa_exception_fp_ieee_invalid_op 0
		.amdhsa_exception_fp_denorm_src 0
		.amdhsa_exception_fp_ieee_div_zero 0
		.amdhsa_exception_fp_ieee_overflow 0
		.amdhsa_exception_fp_ieee_underflow 0
		.amdhsa_exception_fp_ieee_inexact 0
		.amdhsa_exception_int_div_zero 0
	.end_amdhsa_kernel
	.section	.text._ZN7rocprim17ROCPRIM_400000_NS6detail17trampoline_kernelINS0_13kernel_configILj256ELj4ELj4294967295EEENS1_37radix_sort_block_sort_config_selectorIxNS0_10empty_typeEEEZNS1_21radix_sort_block_sortIS4_Lb0EPxS9_PS6_SA_NS0_19identity_decomposerEEE10hipError_tT1_T2_T3_T4_jRjT5_jjP12ihipStream_tbEUlT_E_NS1_11comp_targetILNS1_3genE10ELNS1_11target_archE1201ELNS1_3gpuE5ELNS1_3repE0EEENS1_44radix_sort_block_sort_config_static_selectorELNS0_4arch9wavefront6targetE1EEEvSD_,"axG",@progbits,_ZN7rocprim17ROCPRIM_400000_NS6detail17trampoline_kernelINS0_13kernel_configILj256ELj4ELj4294967295EEENS1_37radix_sort_block_sort_config_selectorIxNS0_10empty_typeEEEZNS1_21radix_sort_block_sortIS4_Lb0EPxS9_PS6_SA_NS0_19identity_decomposerEEE10hipError_tT1_T2_T3_T4_jRjT5_jjP12ihipStream_tbEUlT_E_NS1_11comp_targetILNS1_3genE10ELNS1_11target_archE1201ELNS1_3gpuE5ELNS1_3repE0EEENS1_44radix_sort_block_sort_config_static_selectorELNS0_4arch9wavefront6targetE1EEEvSD_,comdat
.Lfunc_end1003:
	.size	_ZN7rocprim17ROCPRIM_400000_NS6detail17trampoline_kernelINS0_13kernel_configILj256ELj4ELj4294967295EEENS1_37radix_sort_block_sort_config_selectorIxNS0_10empty_typeEEEZNS1_21radix_sort_block_sortIS4_Lb0EPxS9_PS6_SA_NS0_19identity_decomposerEEE10hipError_tT1_T2_T3_T4_jRjT5_jjP12ihipStream_tbEUlT_E_NS1_11comp_targetILNS1_3genE10ELNS1_11target_archE1201ELNS1_3gpuE5ELNS1_3repE0EEENS1_44radix_sort_block_sort_config_static_selectorELNS0_4arch9wavefront6targetE1EEEvSD_, .Lfunc_end1003-_ZN7rocprim17ROCPRIM_400000_NS6detail17trampoline_kernelINS0_13kernel_configILj256ELj4ELj4294967295EEENS1_37radix_sort_block_sort_config_selectorIxNS0_10empty_typeEEEZNS1_21radix_sort_block_sortIS4_Lb0EPxS9_PS6_SA_NS0_19identity_decomposerEEE10hipError_tT1_T2_T3_T4_jRjT5_jjP12ihipStream_tbEUlT_E_NS1_11comp_targetILNS1_3genE10ELNS1_11target_archE1201ELNS1_3gpuE5ELNS1_3repE0EEENS1_44radix_sort_block_sort_config_static_selectorELNS0_4arch9wavefront6targetE1EEEvSD_
                                        ; -- End function
	.section	.AMDGPU.csdata,"",@progbits
; Kernel info:
; codeLenInByte = 0
; NumSgprs: 4
; NumVgprs: 0
; NumAgprs: 0
; TotalNumVgprs: 0
; ScratchSize: 0
; MemoryBound: 0
; FloatMode: 240
; IeeeMode: 1
; LDSByteSize: 0 bytes/workgroup (compile time only)
; SGPRBlocks: 0
; VGPRBlocks: 0
; NumSGPRsForWavesPerEU: 4
; NumVGPRsForWavesPerEU: 1
; AccumOffset: 4
; Occupancy: 8
; WaveLimiterHint : 0
; COMPUTE_PGM_RSRC2:SCRATCH_EN: 0
; COMPUTE_PGM_RSRC2:USER_SGPR: 6
; COMPUTE_PGM_RSRC2:TRAP_HANDLER: 0
; COMPUTE_PGM_RSRC2:TGID_X_EN: 1
; COMPUTE_PGM_RSRC2:TGID_Y_EN: 0
; COMPUTE_PGM_RSRC2:TGID_Z_EN: 0
; COMPUTE_PGM_RSRC2:TIDIG_COMP_CNT: 0
; COMPUTE_PGM_RSRC3_GFX90A:ACCUM_OFFSET: 0
; COMPUTE_PGM_RSRC3_GFX90A:TG_SPLIT: 0
	.section	.text._ZN7rocprim17ROCPRIM_400000_NS6detail17trampoline_kernelINS0_13kernel_configILj256ELj4ELj4294967295EEENS1_37radix_sort_block_sort_config_selectorIxNS0_10empty_typeEEEZNS1_21radix_sort_block_sortIS4_Lb0EPxS9_PS6_SA_NS0_19identity_decomposerEEE10hipError_tT1_T2_T3_T4_jRjT5_jjP12ihipStream_tbEUlT_E_NS1_11comp_targetILNS1_3genE10ELNS1_11target_archE1200ELNS1_3gpuE4ELNS1_3repE0EEENS1_44radix_sort_block_sort_config_static_selectorELNS0_4arch9wavefront6targetE1EEEvSD_,"axG",@progbits,_ZN7rocprim17ROCPRIM_400000_NS6detail17trampoline_kernelINS0_13kernel_configILj256ELj4ELj4294967295EEENS1_37radix_sort_block_sort_config_selectorIxNS0_10empty_typeEEEZNS1_21radix_sort_block_sortIS4_Lb0EPxS9_PS6_SA_NS0_19identity_decomposerEEE10hipError_tT1_T2_T3_T4_jRjT5_jjP12ihipStream_tbEUlT_E_NS1_11comp_targetILNS1_3genE10ELNS1_11target_archE1200ELNS1_3gpuE4ELNS1_3repE0EEENS1_44radix_sort_block_sort_config_static_selectorELNS0_4arch9wavefront6targetE1EEEvSD_,comdat
	.protected	_ZN7rocprim17ROCPRIM_400000_NS6detail17trampoline_kernelINS0_13kernel_configILj256ELj4ELj4294967295EEENS1_37radix_sort_block_sort_config_selectorIxNS0_10empty_typeEEEZNS1_21radix_sort_block_sortIS4_Lb0EPxS9_PS6_SA_NS0_19identity_decomposerEEE10hipError_tT1_T2_T3_T4_jRjT5_jjP12ihipStream_tbEUlT_E_NS1_11comp_targetILNS1_3genE10ELNS1_11target_archE1200ELNS1_3gpuE4ELNS1_3repE0EEENS1_44radix_sort_block_sort_config_static_selectorELNS0_4arch9wavefront6targetE1EEEvSD_ ; -- Begin function _ZN7rocprim17ROCPRIM_400000_NS6detail17trampoline_kernelINS0_13kernel_configILj256ELj4ELj4294967295EEENS1_37radix_sort_block_sort_config_selectorIxNS0_10empty_typeEEEZNS1_21radix_sort_block_sortIS4_Lb0EPxS9_PS6_SA_NS0_19identity_decomposerEEE10hipError_tT1_T2_T3_T4_jRjT5_jjP12ihipStream_tbEUlT_E_NS1_11comp_targetILNS1_3genE10ELNS1_11target_archE1200ELNS1_3gpuE4ELNS1_3repE0EEENS1_44radix_sort_block_sort_config_static_selectorELNS0_4arch9wavefront6targetE1EEEvSD_
	.globl	_ZN7rocprim17ROCPRIM_400000_NS6detail17trampoline_kernelINS0_13kernel_configILj256ELj4ELj4294967295EEENS1_37radix_sort_block_sort_config_selectorIxNS0_10empty_typeEEEZNS1_21radix_sort_block_sortIS4_Lb0EPxS9_PS6_SA_NS0_19identity_decomposerEEE10hipError_tT1_T2_T3_T4_jRjT5_jjP12ihipStream_tbEUlT_E_NS1_11comp_targetILNS1_3genE10ELNS1_11target_archE1200ELNS1_3gpuE4ELNS1_3repE0EEENS1_44radix_sort_block_sort_config_static_selectorELNS0_4arch9wavefront6targetE1EEEvSD_
	.p2align	8
	.type	_ZN7rocprim17ROCPRIM_400000_NS6detail17trampoline_kernelINS0_13kernel_configILj256ELj4ELj4294967295EEENS1_37radix_sort_block_sort_config_selectorIxNS0_10empty_typeEEEZNS1_21radix_sort_block_sortIS4_Lb0EPxS9_PS6_SA_NS0_19identity_decomposerEEE10hipError_tT1_T2_T3_T4_jRjT5_jjP12ihipStream_tbEUlT_E_NS1_11comp_targetILNS1_3genE10ELNS1_11target_archE1200ELNS1_3gpuE4ELNS1_3repE0EEENS1_44radix_sort_block_sort_config_static_selectorELNS0_4arch9wavefront6targetE1EEEvSD_,@function
_ZN7rocprim17ROCPRIM_400000_NS6detail17trampoline_kernelINS0_13kernel_configILj256ELj4ELj4294967295EEENS1_37radix_sort_block_sort_config_selectorIxNS0_10empty_typeEEEZNS1_21radix_sort_block_sortIS4_Lb0EPxS9_PS6_SA_NS0_19identity_decomposerEEE10hipError_tT1_T2_T3_T4_jRjT5_jjP12ihipStream_tbEUlT_E_NS1_11comp_targetILNS1_3genE10ELNS1_11target_archE1200ELNS1_3gpuE4ELNS1_3repE0EEENS1_44radix_sort_block_sort_config_static_selectorELNS0_4arch9wavefront6targetE1EEEvSD_: ; @_ZN7rocprim17ROCPRIM_400000_NS6detail17trampoline_kernelINS0_13kernel_configILj256ELj4ELj4294967295EEENS1_37radix_sort_block_sort_config_selectorIxNS0_10empty_typeEEEZNS1_21radix_sort_block_sortIS4_Lb0EPxS9_PS6_SA_NS0_19identity_decomposerEEE10hipError_tT1_T2_T3_T4_jRjT5_jjP12ihipStream_tbEUlT_E_NS1_11comp_targetILNS1_3genE10ELNS1_11target_archE1200ELNS1_3gpuE4ELNS1_3repE0EEENS1_44radix_sort_block_sort_config_static_selectorELNS0_4arch9wavefront6targetE1EEEvSD_
; %bb.0:
	.section	.rodata,"a",@progbits
	.p2align	6, 0x0
	.amdhsa_kernel _ZN7rocprim17ROCPRIM_400000_NS6detail17trampoline_kernelINS0_13kernel_configILj256ELj4ELj4294967295EEENS1_37radix_sort_block_sort_config_selectorIxNS0_10empty_typeEEEZNS1_21radix_sort_block_sortIS4_Lb0EPxS9_PS6_SA_NS0_19identity_decomposerEEE10hipError_tT1_T2_T3_T4_jRjT5_jjP12ihipStream_tbEUlT_E_NS1_11comp_targetILNS1_3genE10ELNS1_11target_archE1200ELNS1_3gpuE4ELNS1_3repE0EEENS1_44radix_sort_block_sort_config_static_selectorELNS0_4arch9wavefront6targetE1EEEvSD_
		.amdhsa_group_segment_fixed_size 0
		.amdhsa_private_segment_fixed_size 0
		.amdhsa_kernarg_size 48
		.amdhsa_user_sgpr_count 6
		.amdhsa_user_sgpr_private_segment_buffer 1
		.amdhsa_user_sgpr_dispatch_ptr 0
		.amdhsa_user_sgpr_queue_ptr 0
		.amdhsa_user_sgpr_kernarg_segment_ptr 1
		.amdhsa_user_sgpr_dispatch_id 0
		.amdhsa_user_sgpr_flat_scratch_init 0
		.amdhsa_user_sgpr_kernarg_preload_length 0
		.amdhsa_user_sgpr_kernarg_preload_offset 0
		.amdhsa_user_sgpr_private_segment_size 0
		.amdhsa_uses_dynamic_stack 0
		.amdhsa_system_sgpr_private_segment_wavefront_offset 0
		.amdhsa_system_sgpr_workgroup_id_x 1
		.amdhsa_system_sgpr_workgroup_id_y 0
		.amdhsa_system_sgpr_workgroup_id_z 0
		.amdhsa_system_sgpr_workgroup_info 0
		.amdhsa_system_vgpr_workitem_id 0
		.amdhsa_next_free_vgpr 1
		.amdhsa_next_free_sgpr 0
		.amdhsa_accum_offset 4
		.amdhsa_reserve_vcc 0
		.amdhsa_reserve_flat_scratch 0
		.amdhsa_float_round_mode_32 0
		.amdhsa_float_round_mode_16_64 0
		.amdhsa_float_denorm_mode_32 3
		.amdhsa_float_denorm_mode_16_64 3
		.amdhsa_dx10_clamp 1
		.amdhsa_ieee_mode 1
		.amdhsa_fp16_overflow 0
		.amdhsa_tg_split 0
		.amdhsa_exception_fp_ieee_invalid_op 0
		.amdhsa_exception_fp_denorm_src 0
		.amdhsa_exception_fp_ieee_div_zero 0
		.amdhsa_exception_fp_ieee_overflow 0
		.amdhsa_exception_fp_ieee_underflow 0
		.amdhsa_exception_fp_ieee_inexact 0
		.amdhsa_exception_int_div_zero 0
	.end_amdhsa_kernel
	.section	.text._ZN7rocprim17ROCPRIM_400000_NS6detail17trampoline_kernelINS0_13kernel_configILj256ELj4ELj4294967295EEENS1_37radix_sort_block_sort_config_selectorIxNS0_10empty_typeEEEZNS1_21radix_sort_block_sortIS4_Lb0EPxS9_PS6_SA_NS0_19identity_decomposerEEE10hipError_tT1_T2_T3_T4_jRjT5_jjP12ihipStream_tbEUlT_E_NS1_11comp_targetILNS1_3genE10ELNS1_11target_archE1200ELNS1_3gpuE4ELNS1_3repE0EEENS1_44radix_sort_block_sort_config_static_selectorELNS0_4arch9wavefront6targetE1EEEvSD_,"axG",@progbits,_ZN7rocprim17ROCPRIM_400000_NS6detail17trampoline_kernelINS0_13kernel_configILj256ELj4ELj4294967295EEENS1_37radix_sort_block_sort_config_selectorIxNS0_10empty_typeEEEZNS1_21radix_sort_block_sortIS4_Lb0EPxS9_PS6_SA_NS0_19identity_decomposerEEE10hipError_tT1_T2_T3_T4_jRjT5_jjP12ihipStream_tbEUlT_E_NS1_11comp_targetILNS1_3genE10ELNS1_11target_archE1200ELNS1_3gpuE4ELNS1_3repE0EEENS1_44radix_sort_block_sort_config_static_selectorELNS0_4arch9wavefront6targetE1EEEvSD_,comdat
.Lfunc_end1004:
	.size	_ZN7rocprim17ROCPRIM_400000_NS6detail17trampoline_kernelINS0_13kernel_configILj256ELj4ELj4294967295EEENS1_37radix_sort_block_sort_config_selectorIxNS0_10empty_typeEEEZNS1_21radix_sort_block_sortIS4_Lb0EPxS9_PS6_SA_NS0_19identity_decomposerEEE10hipError_tT1_T2_T3_T4_jRjT5_jjP12ihipStream_tbEUlT_E_NS1_11comp_targetILNS1_3genE10ELNS1_11target_archE1200ELNS1_3gpuE4ELNS1_3repE0EEENS1_44radix_sort_block_sort_config_static_selectorELNS0_4arch9wavefront6targetE1EEEvSD_, .Lfunc_end1004-_ZN7rocprim17ROCPRIM_400000_NS6detail17trampoline_kernelINS0_13kernel_configILj256ELj4ELj4294967295EEENS1_37radix_sort_block_sort_config_selectorIxNS0_10empty_typeEEEZNS1_21radix_sort_block_sortIS4_Lb0EPxS9_PS6_SA_NS0_19identity_decomposerEEE10hipError_tT1_T2_T3_T4_jRjT5_jjP12ihipStream_tbEUlT_E_NS1_11comp_targetILNS1_3genE10ELNS1_11target_archE1200ELNS1_3gpuE4ELNS1_3repE0EEENS1_44radix_sort_block_sort_config_static_selectorELNS0_4arch9wavefront6targetE1EEEvSD_
                                        ; -- End function
	.section	.AMDGPU.csdata,"",@progbits
; Kernel info:
; codeLenInByte = 0
; NumSgprs: 4
; NumVgprs: 0
; NumAgprs: 0
; TotalNumVgprs: 0
; ScratchSize: 0
; MemoryBound: 0
; FloatMode: 240
; IeeeMode: 1
; LDSByteSize: 0 bytes/workgroup (compile time only)
; SGPRBlocks: 0
; VGPRBlocks: 0
; NumSGPRsForWavesPerEU: 4
; NumVGPRsForWavesPerEU: 1
; AccumOffset: 4
; Occupancy: 8
; WaveLimiterHint : 0
; COMPUTE_PGM_RSRC2:SCRATCH_EN: 0
; COMPUTE_PGM_RSRC2:USER_SGPR: 6
; COMPUTE_PGM_RSRC2:TRAP_HANDLER: 0
; COMPUTE_PGM_RSRC2:TGID_X_EN: 1
; COMPUTE_PGM_RSRC2:TGID_Y_EN: 0
; COMPUTE_PGM_RSRC2:TGID_Z_EN: 0
; COMPUTE_PGM_RSRC2:TIDIG_COMP_CNT: 0
; COMPUTE_PGM_RSRC3_GFX90A:ACCUM_OFFSET: 0
; COMPUTE_PGM_RSRC3_GFX90A:TG_SPLIT: 0
	.section	.text._ZN7rocprim17ROCPRIM_400000_NS6detail17trampoline_kernelINS0_13kernel_configILj256ELj4ELj4294967295EEENS1_37radix_sort_block_sort_config_selectorIxNS0_10empty_typeEEEZNS1_21radix_sort_block_sortIS4_Lb0EPxS9_PS6_SA_NS0_19identity_decomposerEEE10hipError_tT1_T2_T3_T4_jRjT5_jjP12ihipStream_tbEUlT_E_NS1_11comp_targetILNS1_3genE9ELNS1_11target_archE1100ELNS1_3gpuE3ELNS1_3repE0EEENS1_44radix_sort_block_sort_config_static_selectorELNS0_4arch9wavefront6targetE1EEEvSD_,"axG",@progbits,_ZN7rocprim17ROCPRIM_400000_NS6detail17trampoline_kernelINS0_13kernel_configILj256ELj4ELj4294967295EEENS1_37radix_sort_block_sort_config_selectorIxNS0_10empty_typeEEEZNS1_21radix_sort_block_sortIS4_Lb0EPxS9_PS6_SA_NS0_19identity_decomposerEEE10hipError_tT1_T2_T3_T4_jRjT5_jjP12ihipStream_tbEUlT_E_NS1_11comp_targetILNS1_3genE9ELNS1_11target_archE1100ELNS1_3gpuE3ELNS1_3repE0EEENS1_44radix_sort_block_sort_config_static_selectorELNS0_4arch9wavefront6targetE1EEEvSD_,comdat
	.protected	_ZN7rocprim17ROCPRIM_400000_NS6detail17trampoline_kernelINS0_13kernel_configILj256ELj4ELj4294967295EEENS1_37radix_sort_block_sort_config_selectorIxNS0_10empty_typeEEEZNS1_21radix_sort_block_sortIS4_Lb0EPxS9_PS6_SA_NS0_19identity_decomposerEEE10hipError_tT1_T2_T3_T4_jRjT5_jjP12ihipStream_tbEUlT_E_NS1_11comp_targetILNS1_3genE9ELNS1_11target_archE1100ELNS1_3gpuE3ELNS1_3repE0EEENS1_44radix_sort_block_sort_config_static_selectorELNS0_4arch9wavefront6targetE1EEEvSD_ ; -- Begin function _ZN7rocprim17ROCPRIM_400000_NS6detail17trampoline_kernelINS0_13kernel_configILj256ELj4ELj4294967295EEENS1_37radix_sort_block_sort_config_selectorIxNS0_10empty_typeEEEZNS1_21radix_sort_block_sortIS4_Lb0EPxS9_PS6_SA_NS0_19identity_decomposerEEE10hipError_tT1_T2_T3_T4_jRjT5_jjP12ihipStream_tbEUlT_E_NS1_11comp_targetILNS1_3genE9ELNS1_11target_archE1100ELNS1_3gpuE3ELNS1_3repE0EEENS1_44radix_sort_block_sort_config_static_selectorELNS0_4arch9wavefront6targetE1EEEvSD_
	.globl	_ZN7rocprim17ROCPRIM_400000_NS6detail17trampoline_kernelINS0_13kernel_configILj256ELj4ELj4294967295EEENS1_37radix_sort_block_sort_config_selectorIxNS0_10empty_typeEEEZNS1_21radix_sort_block_sortIS4_Lb0EPxS9_PS6_SA_NS0_19identity_decomposerEEE10hipError_tT1_T2_T3_T4_jRjT5_jjP12ihipStream_tbEUlT_E_NS1_11comp_targetILNS1_3genE9ELNS1_11target_archE1100ELNS1_3gpuE3ELNS1_3repE0EEENS1_44radix_sort_block_sort_config_static_selectorELNS0_4arch9wavefront6targetE1EEEvSD_
	.p2align	8
	.type	_ZN7rocprim17ROCPRIM_400000_NS6detail17trampoline_kernelINS0_13kernel_configILj256ELj4ELj4294967295EEENS1_37radix_sort_block_sort_config_selectorIxNS0_10empty_typeEEEZNS1_21radix_sort_block_sortIS4_Lb0EPxS9_PS6_SA_NS0_19identity_decomposerEEE10hipError_tT1_T2_T3_T4_jRjT5_jjP12ihipStream_tbEUlT_E_NS1_11comp_targetILNS1_3genE9ELNS1_11target_archE1100ELNS1_3gpuE3ELNS1_3repE0EEENS1_44radix_sort_block_sort_config_static_selectorELNS0_4arch9wavefront6targetE1EEEvSD_,@function
_ZN7rocprim17ROCPRIM_400000_NS6detail17trampoline_kernelINS0_13kernel_configILj256ELj4ELj4294967295EEENS1_37radix_sort_block_sort_config_selectorIxNS0_10empty_typeEEEZNS1_21radix_sort_block_sortIS4_Lb0EPxS9_PS6_SA_NS0_19identity_decomposerEEE10hipError_tT1_T2_T3_T4_jRjT5_jjP12ihipStream_tbEUlT_E_NS1_11comp_targetILNS1_3genE9ELNS1_11target_archE1100ELNS1_3gpuE3ELNS1_3repE0EEENS1_44radix_sort_block_sort_config_static_selectorELNS0_4arch9wavefront6targetE1EEEvSD_: ; @_ZN7rocprim17ROCPRIM_400000_NS6detail17trampoline_kernelINS0_13kernel_configILj256ELj4ELj4294967295EEENS1_37radix_sort_block_sort_config_selectorIxNS0_10empty_typeEEEZNS1_21radix_sort_block_sortIS4_Lb0EPxS9_PS6_SA_NS0_19identity_decomposerEEE10hipError_tT1_T2_T3_T4_jRjT5_jjP12ihipStream_tbEUlT_E_NS1_11comp_targetILNS1_3genE9ELNS1_11target_archE1100ELNS1_3gpuE3ELNS1_3repE0EEENS1_44radix_sort_block_sort_config_static_selectorELNS0_4arch9wavefront6targetE1EEEvSD_
; %bb.0:
	.section	.rodata,"a",@progbits
	.p2align	6, 0x0
	.amdhsa_kernel _ZN7rocprim17ROCPRIM_400000_NS6detail17trampoline_kernelINS0_13kernel_configILj256ELj4ELj4294967295EEENS1_37radix_sort_block_sort_config_selectorIxNS0_10empty_typeEEEZNS1_21radix_sort_block_sortIS4_Lb0EPxS9_PS6_SA_NS0_19identity_decomposerEEE10hipError_tT1_T2_T3_T4_jRjT5_jjP12ihipStream_tbEUlT_E_NS1_11comp_targetILNS1_3genE9ELNS1_11target_archE1100ELNS1_3gpuE3ELNS1_3repE0EEENS1_44radix_sort_block_sort_config_static_selectorELNS0_4arch9wavefront6targetE1EEEvSD_
		.amdhsa_group_segment_fixed_size 0
		.amdhsa_private_segment_fixed_size 0
		.amdhsa_kernarg_size 48
		.amdhsa_user_sgpr_count 6
		.amdhsa_user_sgpr_private_segment_buffer 1
		.amdhsa_user_sgpr_dispatch_ptr 0
		.amdhsa_user_sgpr_queue_ptr 0
		.amdhsa_user_sgpr_kernarg_segment_ptr 1
		.amdhsa_user_sgpr_dispatch_id 0
		.amdhsa_user_sgpr_flat_scratch_init 0
		.amdhsa_user_sgpr_kernarg_preload_length 0
		.amdhsa_user_sgpr_kernarg_preload_offset 0
		.amdhsa_user_sgpr_private_segment_size 0
		.amdhsa_uses_dynamic_stack 0
		.amdhsa_system_sgpr_private_segment_wavefront_offset 0
		.amdhsa_system_sgpr_workgroup_id_x 1
		.amdhsa_system_sgpr_workgroup_id_y 0
		.amdhsa_system_sgpr_workgroup_id_z 0
		.amdhsa_system_sgpr_workgroup_info 0
		.amdhsa_system_vgpr_workitem_id 0
		.amdhsa_next_free_vgpr 1
		.amdhsa_next_free_sgpr 0
		.amdhsa_accum_offset 4
		.amdhsa_reserve_vcc 0
		.amdhsa_reserve_flat_scratch 0
		.amdhsa_float_round_mode_32 0
		.amdhsa_float_round_mode_16_64 0
		.amdhsa_float_denorm_mode_32 3
		.amdhsa_float_denorm_mode_16_64 3
		.amdhsa_dx10_clamp 1
		.amdhsa_ieee_mode 1
		.amdhsa_fp16_overflow 0
		.amdhsa_tg_split 0
		.amdhsa_exception_fp_ieee_invalid_op 0
		.amdhsa_exception_fp_denorm_src 0
		.amdhsa_exception_fp_ieee_div_zero 0
		.amdhsa_exception_fp_ieee_overflow 0
		.amdhsa_exception_fp_ieee_underflow 0
		.amdhsa_exception_fp_ieee_inexact 0
		.amdhsa_exception_int_div_zero 0
	.end_amdhsa_kernel
	.section	.text._ZN7rocprim17ROCPRIM_400000_NS6detail17trampoline_kernelINS0_13kernel_configILj256ELj4ELj4294967295EEENS1_37radix_sort_block_sort_config_selectorIxNS0_10empty_typeEEEZNS1_21radix_sort_block_sortIS4_Lb0EPxS9_PS6_SA_NS0_19identity_decomposerEEE10hipError_tT1_T2_T3_T4_jRjT5_jjP12ihipStream_tbEUlT_E_NS1_11comp_targetILNS1_3genE9ELNS1_11target_archE1100ELNS1_3gpuE3ELNS1_3repE0EEENS1_44radix_sort_block_sort_config_static_selectorELNS0_4arch9wavefront6targetE1EEEvSD_,"axG",@progbits,_ZN7rocprim17ROCPRIM_400000_NS6detail17trampoline_kernelINS0_13kernel_configILj256ELj4ELj4294967295EEENS1_37radix_sort_block_sort_config_selectorIxNS0_10empty_typeEEEZNS1_21radix_sort_block_sortIS4_Lb0EPxS9_PS6_SA_NS0_19identity_decomposerEEE10hipError_tT1_T2_T3_T4_jRjT5_jjP12ihipStream_tbEUlT_E_NS1_11comp_targetILNS1_3genE9ELNS1_11target_archE1100ELNS1_3gpuE3ELNS1_3repE0EEENS1_44radix_sort_block_sort_config_static_selectorELNS0_4arch9wavefront6targetE1EEEvSD_,comdat
.Lfunc_end1005:
	.size	_ZN7rocprim17ROCPRIM_400000_NS6detail17trampoline_kernelINS0_13kernel_configILj256ELj4ELj4294967295EEENS1_37radix_sort_block_sort_config_selectorIxNS0_10empty_typeEEEZNS1_21radix_sort_block_sortIS4_Lb0EPxS9_PS6_SA_NS0_19identity_decomposerEEE10hipError_tT1_T2_T3_T4_jRjT5_jjP12ihipStream_tbEUlT_E_NS1_11comp_targetILNS1_3genE9ELNS1_11target_archE1100ELNS1_3gpuE3ELNS1_3repE0EEENS1_44radix_sort_block_sort_config_static_selectorELNS0_4arch9wavefront6targetE1EEEvSD_, .Lfunc_end1005-_ZN7rocprim17ROCPRIM_400000_NS6detail17trampoline_kernelINS0_13kernel_configILj256ELj4ELj4294967295EEENS1_37radix_sort_block_sort_config_selectorIxNS0_10empty_typeEEEZNS1_21radix_sort_block_sortIS4_Lb0EPxS9_PS6_SA_NS0_19identity_decomposerEEE10hipError_tT1_T2_T3_T4_jRjT5_jjP12ihipStream_tbEUlT_E_NS1_11comp_targetILNS1_3genE9ELNS1_11target_archE1100ELNS1_3gpuE3ELNS1_3repE0EEENS1_44radix_sort_block_sort_config_static_selectorELNS0_4arch9wavefront6targetE1EEEvSD_
                                        ; -- End function
	.section	.AMDGPU.csdata,"",@progbits
; Kernel info:
; codeLenInByte = 0
; NumSgprs: 4
; NumVgprs: 0
; NumAgprs: 0
; TotalNumVgprs: 0
; ScratchSize: 0
; MemoryBound: 0
; FloatMode: 240
; IeeeMode: 1
; LDSByteSize: 0 bytes/workgroup (compile time only)
; SGPRBlocks: 0
; VGPRBlocks: 0
; NumSGPRsForWavesPerEU: 4
; NumVGPRsForWavesPerEU: 1
; AccumOffset: 4
; Occupancy: 8
; WaveLimiterHint : 0
; COMPUTE_PGM_RSRC2:SCRATCH_EN: 0
; COMPUTE_PGM_RSRC2:USER_SGPR: 6
; COMPUTE_PGM_RSRC2:TRAP_HANDLER: 0
; COMPUTE_PGM_RSRC2:TGID_X_EN: 1
; COMPUTE_PGM_RSRC2:TGID_Y_EN: 0
; COMPUTE_PGM_RSRC2:TGID_Z_EN: 0
; COMPUTE_PGM_RSRC2:TIDIG_COMP_CNT: 0
; COMPUTE_PGM_RSRC3_GFX90A:ACCUM_OFFSET: 0
; COMPUTE_PGM_RSRC3_GFX90A:TG_SPLIT: 0
	.section	.text._ZN7rocprim17ROCPRIM_400000_NS6detail17trampoline_kernelINS0_13kernel_configILj256ELj4ELj4294967295EEENS1_37radix_sort_block_sort_config_selectorIxNS0_10empty_typeEEEZNS1_21radix_sort_block_sortIS4_Lb0EPxS9_PS6_SA_NS0_19identity_decomposerEEE10hipError_tT1_T2_T3_T4_jRjT5_jjP12ihipStream_tbEUlT_E_NS1_11comp_targetILNS1_3genE8ELNS1_11target_archE1030ELNS1_3gpuE2ELNS1_3repE0EEENS1_44radix_sort_block_sort_config_static_selectorELNS0_4arch9wavefront6targetE1EEEvSD_,"axG",@progbits,_ZN7rocprim17ROCPRIM_400000_NS6detail17trampoline_kernelINS0_13kernel_configILj256ELj4ELj4294967295EEENS1_37radix_sort_block_sort_config_selectorIxNS0_10empty_typeEEEZNS1_21radix_sort_block_sortIS4_Lb0EPxS9_PS6_SA_NS0_19identity_decomposerEEE10hipError_tT1_T2_T3_T4_jRjT5_jjP12ihipStream_tbEUlT_E_NS1_11comp_targetILNS1_3genE8ELNS1_11target_archE1030ELNS1_3gpuE2ELNS1_3repE0EEENS1_44radix_sort_block_sort_config_static_selectorELNS0_4arch9wavefront6targetE1EEEvSD_,comdat
	.protected	_ZN7rocprim17ROCPRIM_400000_NS6detail17trampoline_kernelINS0_13kernel_configILj256ELj4ELj4294967295EEENS1_37radix_sort_block_sort_config_selectorIxNS0_10empty_typeEEEZNS1_21radix_sort_block_sortIS4_Lb0EPxS9_PS6_SA_NS0_19identity_decomposerEEE10hipError_tT1_T2_T3_T4_jRjT5_jjP12ihipStream_tbEUlT_E_NS1_11comp_targetILNS1_3genE8ELNS1_11target_archE1030ELNS1_3gpuE2ELNS1_3repE0EEENS1_44radix_sort_block_sort_config_static_selectorELNS0_4arch9wavefront6targetE1EEEvSD_ ; -- Begin function _ZN7rocprim17ROCPRIM_400000_NS6detail17trampoline_kernelINS0_13kernel_configILj256ELj4ELj4294967295EEENS1_37radix_sort_block_sort_config_selectorIxNS0_10empty_typeEEEZNS1_21radix_sort_block_sortIS4_Lb0EPxS9_PS6_SA_NS0_19identity_decomposerEEE10hipError_tT1_T2_T3_T4_jRjT5_jjP12ihipStream_tbEUlT_E_NS1_11comp_targetILNS1_3genE8ELNS1_11target_archE1030ELNS1_3gpuE2ELNS1_3repE0EEENS1_44radix_sort_block_sort_config_static_selectorELNS0_4arch9wavefront6targetE1EEEvSD_
	.globl	_ZN7rocprim17ROCPRIM_400000_NS6detail17trampoline_kernelINS0_13kernel_configILj256ELj4ELj4294967295EEENS1_37radix_sort_block_sort_config_selectorIxNS0_10empty_typeEEEZNS1_21radix_sort_block_sortIS4_Lb0EPxS9_PS6_SA_NS0_19identity_decomposerEEE10hipError_tT1_T2_T3_T4_jRjT5_jjP12ihipStream_tbEUlT_E_NS1_11comp_targetILNS1_3genE8ELNS1_11target_archE1030ELNS1_3gpuE2ELNS1_3repE0EEENS1_44radix_sort_block_sort_config_static_selectorELNS0_4arch9wavefront6targetE1EEEvSD_
	.p2align	8
	.type	_ZN7rocprim17ROCPRIM_400000_NS6detail17trampoline_kernelINS0_13kernel_configILj256ELj4ELj4294967295EEENS1_37radix_sort_block_sort_config_selectorIxNS0_10empty_typeEEEZNS1_21radix_sort_block_sortIS4_Lb0EPxS9_PS6_SA_NS0_19identity_decomposerEEE10hipError_tT1_T2_T3_T4_jRjT5_jjP12ihipStream_tbEUlT_E_NS1_11comp_targetILNS1_3genE8ELNS1_11target_archE1030ELNS1_3gpuE2ELNS1_3repE0EEENS1_44radix_sort_block_sort_config_static_selectorELNS0_4arch9wavefront6targetE1EEEvSD_,@function
_ZN7rocprim17ROCPRIM_400000_NS6detail17trampoline_kernelINS0_13kernel_configILj256ELj4ELj4294967295EEENS1_37radix_sort_block_sort_config_selectorIxNS0_10empty_typeEEEZNS1_21radix_sort_block_sortIS4_Lb0EPxS9_PS6_SA_NS0_19identity_decomposerEEE10hipError_tT1_T2_T3_T4_jRjT5_jjP12ihipStream_tbEUlT_E_NS1_11comp_targetILNS1_3genE8ELNS1_11target_archE1030ELNS1_3gpuE2ELNS1_3repE0EEENS1_44radix_sort_block_sort_config_static_selectorELNS0_4arch9wavefront6targetE1EEEvSD_: ; @_ZN7rocprim17ROCPRIM_400000_NS6detail17trampoline_kernelINS0_13kernel_configILj256ELj4ELj4294967295EEENS1_37radix_sort_block_sort_config_selectorIxNS0_10empty_typeEEEZNS1_21radix_sort_block_sortIS4_Lb0EPxS9_PS6_SA_NS0_19identity_decomposerEEE10hipError_tT1_T2_T3_T4_jRjT5_jjP12ihipStream_tbEUlT_E_NS1_11comp_targetILNS1_3genE8ELNS1_11target_archE1030ELNS1_3gpuE2ELNS1_3repE0EEENS1_44radix_sort_block_sort_config_static_selectorELNS0_4arch9wavefront6targetE1EEEvSD_
; %bb.0:
	.section	.rodata,"a",@progbits
	.p2align	6, 0x0
	.amdhsa_kernel _ZN7rocprim17ROCPRIM_400000_NS6detail17trampoline_kernelINS0_13kernel_configILj256ELj4ELj4294967295EEENS1_37radix_sort_block_sort_config_selectorIxNS0_10empty_typeEEEZNS1_21radix_sort_block_sortIS4_Lb0EPxS9_PS6_SA_NS0_19identity_decomposerEEE10hipError_tT1_T2_T3_T4_jRjT5_jjP12ihipStream_tbEUlT_E_NS1_11comp_targetILNS1_3genE8ELNS1_11target_archE1030ELNS1_3gpuE2ELNS1_3repE0EEENS1_44radix_sort_block_sort_config_static_selectorELNS0_4arch9wavefront6targetE1EEEvSD_
		.amdhsa_group_segment_fixed_size 0
		.amdhsa_private_segment_fixed_size 0
		.amdhsa_kernarg_size 48
		.amdhsa_user_sgpr_count 6
		.amdhsa_user_sgpr_private_segment_buffer 1
		.amdhsa_user_sgpr_dispatch_ptr 0
		.amdhsa_user_sgpr_queue_ptr 0
		.amdhsa_user_sgpr_kernarg_segment_ptr 1
		.amdhsa_user_sgpr_dispatch_id 0
		.amdhsa_user_sgpr_flat_scratch_init 0
		.amdhsa_user_sgpr_kernarg_preload_length 0
		.amdhsa_user_sgpr_kernarg_preload_offset 0
		.amdhsa_user_sgpr_private_segment_size 0
		.amdhsa_uses_dynamic_stack 0
		.amdhsa_system_sgpr_private_segment_wavefront_offset 0
		.amdhsa_system_sgpr_workgroup_id_x 1
		.amdhsa_system_sgpr_workgroup_id_y 0
		.amdhsa_system_sgpr_workgroup_id_z 0
		.amdhsa_system_sgpr_workgroup_info 0
		.amdhsa_system_vgpr_workitem_id 0
		.amdhsa_next_free_vgpr 1
		.amdhsa_next_free_sgpr 0
		.amdhsa_accum_offset 4
		.amdhsa_reserve_vcc 0
		.amdhsa_reserve_flat_scratch 0
		.amdhsa_float_round_mode_32 0
		.amdhsa_float_round_mode_16_64 0
		.amdhsa_float_denorm_mode_32 3
		.amdhsa_float_denorm_mode_16_64 3
		.amdhsa_dx10_clamp 1
		.amdhsa_ieee_mode 1
		.amdhsa_fp16_overflow 0
		.amdhsa_tg_split 0
		.amdhsa_exception_fp_ieee_invalid_op 0
		.amdhsa_exception_fp_denorm_src 0
		.amdhsa_exception_fp_ieee_div_zero 0
		.amdhsa_exception_fp_ieee_overflow 0
		.amdhsa_exception_fp_ieee_underflow 0
		.amdhsa_exception_fp_ieee_inexact 0
		.amdhsa_exception_int_div_zero 0
	.end_amdhsa_kernel
	.section	.text._ZN7rocprim17ROCPRIM_400000_NS6detail17trampoline_kernelINS0_13kernel_configILj256ELj4ELj4294967295EEENS1_37radix_sort_block_sort_config_selectorIxNS0_10empty_typeEEEZNS1_21radix_sort_block_sortIS4_Lb0EPxS9_PS6_SA_NS0_19identity_decomposerEEE10hipError_tT1_T2_T3_T4_jRjT5_jjP12ihipStream_tbEUlT_E_NS1_11comp_targetILNS1_3genE8ELNS1_11target_archE1030ELNS1_3gpuE2ELNS1_3repE0EEENS1_44radix_sort_block_sort_config_static_selectorELNS0_4arch9wavefront6targetE1EEEvSD_,"axG",@progbits,_ZN7rocprim17ROCPRIM_400000_NS6detail17trampoline_kernelINS0_13kernel_configILj256ELj4ELj4294967295EEENS1_37radix_sort_block_sort_config_selectorIxNS0_10empty_typeEEEZNS1_21radix_sort_block_sortIS4_Lb0EPxS9_PS6_SA_NS0_19identity_decomposerEEE10hipError_tT1_T2_T3_T4_jRjT5_jjP12ihipStream_tbEUlT_E_NS1_11comp_targetILNS1_3genE8ELNS1_11target_archE1030ELNS1_3gpuE2ELNS1_3repE0EEENS1_44radix_sort_block_sort_config_static_selectorELNS0_4arch9wavefront6targetE1EEEvSD_,comdat
.Lfunc_end1006:
	.size	_ZN7rocprim17ROCPRIM_400000_NS6detail17trampoline_kernelINS0_13kernel_configILj256ELj4ELj4294967295EEENS1_37radix_sort_block_sort_config_selectorIxNS0_10empty_typeEEEZNS1_21radix_sort_block_sortIS4_Lb0EPxS9_PS6_SA_NS0_19identity_decomposerEEE10hipError_tT1_T2_T3_T4_jRjT5_jjP12ihipStream_tbEUlT_E_NS1_11comp_targetILNS1_3genE8ELNS1_11target_archE1030ELNS1_3gpuE2ELNS1_3repE0EEENS1_44radix_sort_block_sort_config_static_selectorELNS0_4arch9wavefront6targetE1EEEvSD_, .Lfunc_end1006-_ZN7rocprim17ROCPRIM_400000_NS6detail17trampoline_kernelINS0_13kernel_configILj256ELj4ELj4294967295EEENS1_37radix_sort_block_sort_config_selectorIxNS0_10empty_typeEEEZNS1_21radix_sort_block_sortIS4_Lb0EPxS9_PS6_SA_NS0_19identity_decomposerEEE10hipError_tT1_T2_T3_T4_jRjT5_jjP12ihipStream_tbEUlT_E_NS1_11comp_targetILNS1_3genE8ELNS1_11target_archE1030ELNS1_3gpuE2ELNS1_3repE0EEENS1_44radix_sort_block_sort_config_static_selectorELNS0_4arch9wavefront6targetE1EEEvSD_
                                        ; -- End function
	.section	.AMDGPU.csdata,"",@progbits
; Kernel info:
; codeLenInByte = 0
; NumSgprs: 4
; NumVgprs: 0
; NumAgprs: 0
; TotalNumVgprs: 0
; ScratchSize: 0
; MemoryBound: 0
; FloatMode: 240
; IeeeMode: 1
; LDSByteSize: 0 bytes/workgroup (compile time only)
; SGPRBlocks: 0
; VGPRBlocks: 0
; NumSGPRsForWavesPerEU: 4
; NumVGPRsForWavesPerEU: 1
; AccumOffset: 4
; Occupancy: 8
; WaveLimiterHint : 0
; COMPUTE_PGM_RSRC2:SCRATCH_EN: 0
; COMPUTE_PGM_RSRC2:USER_SGPR: 6
; COMPUTE_PGM_RSRC2:TRAP_HANDLER: 0
; COMPUTE_PGM_RSRC2:TGID_X_EN: 1
; COMPUTE_PGM_RSRC2:TGID_Y_EN: 0
; COMPUTE_PGM_RSRC2:TGID_Z_EN: 0
; COMPUTE_PGM_RSRC2:TIDIG_COMP_CNT: 0
; COMPUTE_PGM_RSRC3_GFX90A:ACCUM_OFFSET: 0
; COMPUTE_PGM_RSRC3_GFX90A:TG_SPLIT: 0
	.section	.text._ZN7rocprim17ROCPRIM_400000_NS6detail44device_merge_sort_compile_time_verifier_archINS1_11comp_targetILNS1_3genE0ELNS1_11target_archE4294967295ELNS1_3gpuE0ELNS1_3repE0EEES8_NS1_28merge_sort_block_sort_configILj256ELj4ELNS0_20block_sort_algorithmE0EEENS0_14default_configENS1_37merge_sort_block_sort_config_selectorIxNS0_10empty_typeEEENS1_38merge_sort_block_merge_config_selectorIxSE_EEEEvv,"axG",@progbits,_ZN7rocprim17ROCPRIM_400000_NS6detail44device_merge_sort_compile_time_verifier_archINS1_11comp_targetILNS1_3genE0ELNS1_11target_archE4294967295ELNS1_3gpuE0ELNS1_3repE0EEES8_NS1_28merge_sort_block_sort_configILj256ELj4ELNS0_20block_sort_algorithmE0EEENS0_14default_configENS1_37merge_sort_block_sort_config_selectorIxNS0_10empty_typeEEENS1_38merge_sort_block_merge_config_selectorIxSE_EEEEvv,comdat
	.protected	_ZN7rocprim17ROCPRIM_400000_NS6detail44device_merge_sort_compile_time_verifier_archINS1_11comp_targetILNS1_3genE0ELNS1_11target_archE4294967295ELNS1_3gpuE0ELNS1_3repE0EEES8_NS1_28merge_sort_block_sort_configILj256ELj4ELNS0_20block_sort_algorithmE0EEENS0_14default_configENS1_37merge_sort_block_sort_config_selectorIxNS0_10empty_typeEEENS1_38merge_sort_block_merge_config_selectorIxSE_EEEEvv ; -- Begin function _ZN7rocprim17ROCPRIM_400000_NS6detail44device_merge_sort_compile_time_verifier_archINS1_11comp_targetILNS1_3genE0ELNS1_11target_archE4294967295ELNS1_3gpuE0ELNS1_3repE0EEES8_NS1_28merge_sort_block_sort_configILj256ELj4ELNS0_20block_sort_algorithmE0EEENS0_14default_configENS1_37merge_sort_block_sort_config_selectorIxNS0_10empty_typeEEENS1_38merge_sort_block_merge_config_selectorIxSE_EEEEvv
	.globl	_ZN7rocprim17ROCPRIM_400000_NS6detail44device_merge_sort_compile_time_verifier_archINS1_11comp_targetILNS1_3genE0ELNS1_11target_archE4294967295ELNS1_3gpuE0ELNS1_3repE0EEES8_NS1_28merge_sort_block_sort_configILj256ELj4ELNS0_20block_sort_algorithmE0EEENS0_14default_configENS1_37merge_sort_block_sort_config_selectorIxNS0_10empty_typeEEENS1_38merge_sort_block_merge_config_selectorIxSE_EEEEvv
	.p2align	8
	.type	_ZN7rocprim17ROCPRIM_400000_NS6detail44device_merge_sort_compile_time_verifier_archINS1_11comp_targetILNS1_3genE0ELNS1_11target_archE4294967295ELNS1_3gpuE0ELNS1_3repE0EEES8_NS1_28merge_sort_block_sort_configILj256ELj4ELNS0_20block_sort_algorithmE0EEENS0_14default_configENS1_37merge_sort_block_sort_config_selectorIxNS0_10empty_typeEEENS1_38merge_sort_block_merge_config_selectorIxSE_EEEEvv,@function
_ZN7rocprim17ROCPRIM_400000_NS6detail44device_merge_sort_compile_time_verifier_archINS1_11comp_targetILNS1_3genE0ELNS1_11target_archE4294967295ELNS1_3gpuE0ELNS1_3repE0EEES8_NS1_28merge_sort_block_sort_configILj256ELj4ELNS0_20block_sort_algorithmE0EEENS0_14default_configENS1_37merge_sort_block_sort_config_selectorIxNS0_10empty_typeEEENS1_38merge_sort_block_merge_config_selectorIxSE_EEEEvv: ; @_ZN7rocprim17ROCPRIM_400000_NS6detail44device_merge_sort_compile_time_verifier_archINS1_11comp_targetILNS1_3genE0ELNS1_11target_archE4294967295ELNS1_3gpuE0ELNS1_3repE0EEES8_NS1_28merge_sort_block_sort_configILj256ELj4ELNS0_20block_sort_algorithmE0EEENS0_14default_configENS1_37merge_sort_block_sort_config_selectorIxNS0_10empty_typeEEENS1_38merge_sort_block_merge_config_selectorIxSE_EEEEvv
; %bb.0:
	s_endpgm
	.section	.rodata,"a",@progbits
	.p2align	6, 0x0
	.amdhsa_kernel _ZN7rocprim17ROCPRIM_400000_NS6detail44device_merge_sort_compile_time_verifier_archINS1_11comp_targetILNS1_3genE0ELNS1_11target_archE4294967295ELNS1_3gpuE0ELNS1_3repE0EEES8_NS1_28merge_sort_block_sort_configILj256ELj4ELNS0_20block_sort_algorithmE0EEENS0_14default_configENS1_37merge_sort_block_sort_config_selectorIxNS0_10empty_typeEEENS1_38merge_sort_block_merge_config_selectorIxSE_EEEEvv
		.amdhsa_group_segment_fixed_size 0
		.amdhsa_private_segment_fixed_size 0
		.amdhsa_kernarg_size 0
		.amdhsa_user_sgpr_count 4
		.amdhsa_user_sgpr_private_segment_buffer 1
		.amdhsa_user_sgpr_dispatch_ptr 0
		.amdhsa_user_sgpr_queue_ptr 0
		.amdhsa_user_sgpr_kernarg_segment_ptr 0
		.amdhsa_user_sgpr_dispatch_id 0
		.amdhsa_user_sgpr_flat_scratch_init 0
		.amdhsa_user_sgpr_kernarg_preload_length 0
		.amdhsa_user_sgpr_kernarg_preload_offset 0
		.amdhsa_user_sgpr_private_segment_size 0
		.amdhsa_uses_dynamic_stack 0
		.amdhsa_system_sgpr_private_segment_wavefront_offset 0
		.amdhsa_system_sgpr_workgroup_id_x 1
		.amdhsa_system_sgpr_workgroup_id_y 0
		.amdhsa_system_sgpr_workgroup_id_z 0
		.amdhsa_system_sgpr_workgroup_info 0
		.amdhsa_system_vgpr_workitem_id 0
		.amdhsa_next_free_vgpr 1
		.amdhsa_next_free_sgpr 0
		.amdhsa_accum_offset 4
		.amdhsa_reserve_vcc 0
		.amdhsa_reserve_flat_scratch 0
		.amdhsa_float_round_mode_32 0
		.amdhsa_float_round_mode_16_64 0
		.amdhsa_float_denorm_mode_32 3
		.amdhsa_float_denorm_mode_16_64 3
		.amdhsa_dx10_clamp 1
		.amdhsa_ieee_mode 1
		.amdhsa_fp16_overflow 0
		.amdhsa_tg_split 0
		.amdhsa_exception_fp_ieee_invalid_op 0
		.amdhsa_exception_fp_denorm_src 0
		.amdhsa_exception_fp_ieee_div_zero 0
		.amdhsa_exception_fp_ieee_overflow 0
		.amdhsa_exception_fp_ieee_underflow 0
		.amdhsa_exception_fp_ieee_inexact 0
		.amdhsa_exception_int_div_zero 0
	.end_amdhsa_kernel
	.section	.text._ZN7rocprim17ROCPRIM_400000_NS6detail44device_merge_sort_compile_time_verifier_archINS1_11comp_targetILNS1_3genE0ELNS1_11target_archE4294967295ELNS1_3gpuE0ELNS1_3repE0EEES8_NS1_28merge_sort_block_sort_configILj256ELj4ELNS0_20block_sort_algorithmE0EEENS0_14default_configENS1_37merge_sort_block_sort_config_selectorIxNS0_10empty_typeEEENS1_38merge_sort_block_merge_config_selectorIxSE_EEEEvv,"axG",@progbits,_ZN7rocprim17ROCPRIM_400000_NS6detail44device_merge_sort_compile_time_verifier_archINS1_11comp_targetILNS1_3genE0ELNS1_11target_archE4294967295ELNS1_3gpuE0ELNS1_3repE0EEES8_NS1_28merge_sort_block_sort_configILj256ELj4ELNS0_20block_sort_algorithmE0EEENS0_14default_configENS1_37merge_sort_block_sort_config_selectorIxNS0_10empty_typeEEENS1_38merge_sort_block_merge_config_selectorIxSE_EEEEvv,comdat
.Lfunc_end1007:
	.size	_ZN7rocprim17ROCPRIM_400000_NS6detail44device_merge_sort_compile_time_verifier_archINS1_11comp_targetILNS1_3genE0ELNS1_11target_archE4294967295ELNS1_3gpuE0ELNS1_3repE0EEES8_NS1_28merge_sort_block_sort_configILj256ELj4ELNS0_20block_sort_algorithmE0EEENS0_14default_configENS1_37merge_sort_block_sort_config_selectorIxNS0_10empty_typeEEENS1_38merge_sort_block_merge_config_selectorIxSE_EEEEvv, .Lfunc_end1007-_ZN7rocprim17ROCPRIM_400000_NS6detail44device_merge_sort_compile_time_verifier_archINS1_11comp_targetILNS1_3genE0ELNS1_11target_archE4294967295ELNS1_3gpuE0ELNS1_3repE0EEES8_NS1_28merge_sort_block_sort_configILj256ELj4ELNS0_20block_sort_algorithmE0EEENS0_14default_configENS1_37merge_sort_block_sort_config_selectorIxNS0_10empty_typeEEENS1_38merge_sort_block_merge_config_selectorIxSE_EEEEvv
                                        ; -- End function
	.section	.AMDGPU.csdata,"",@progbits
; Kernel info:
; codeLenInByte = 4
; NumSgprs: 4
; NumVgprs: 0
; NumAgprs: 0
; TotalNumVgprs: 0
; ScratchSize: 0
; MemoryBound: 0
; FloatMode: 240
; IeeeMode: 1
; LDSByteSize: 0 bytes/workgroup (compile time only)
; SGPRBlocks: 0
; VGPRBlocks: 0
; NumSGPRsForWavesPerEU: 4
; NumVGPRsForWavesPerEU: 1
; AccumOffset: 4
; Occupancy: 8
; WaveLimiterHint : 0
; COMPUTE_PGM_RSRC2:SCRATCH_EN: 0
; COMPUTE_PGM_RSRC2:USER_SGPR: 4
; COMPUTE_PGM_RSRC2:TRAP_HANDLER: 0
; COMPUTE_PGM_RSRC2:TGID_X_EN: 1
; COMPUTE_PGM_RSRC2:TGID_Y_EN: 0
; COMPUTE_PGM_RSRC2:TGID_Z_EN: 0
; COMPUTE_PGM_RSRC2:TIDIG_COMP_CNT: 0
; COMPUTE_PGM_RSRC3_GFX90A:ACCUM_OFFSET: 0
; COMPUTE_PGM_RSRC3_GFX90A:TG_SPLIT: 0
	.section	.text._ZN7rocprim17ROCPRIM_400000_NS6detail44device_merge_sort_compile_time_verifier_archINS1_11comp_targetILNS1_3genE5ELNS1_11target_archE942ELNS1_3gpuE9ELNS1_3repE0EEES8_NS1_28merge_sort_block_sort_configILj256ELj4ELNS0_20block_sort_algorithmE0EEENS0_14default_configENS1_37merge_sort_block_sort_config_selectorIxNS0_10empty_typeEEENS1_38merge_sort_block_merge_config_selectorIxSE_EEEEvv,"axG",@progbits,_ZN7rocprim17ROCPRIM_400000_NS6detail44device_merge_sort_compile_time_verifier_archINS1_11comp_targetILNS1_3genE5ELNS1_11target_archE942ELNS1_3gpuE9ELNS1_3repE0EEES8_NS1_28merge_sort_block_sort_configILj256ELj4ELNS0_20block_sort_algorithmE0EEENS0_14default_configENS1_37merge_sort_block_sort_config_selectorIxNS0_10empty_typeEEENS1_38merge_sort_block_merge_config_selectorIxSE_EEEEvv,comdat
	.protected	_ZN7rocprim17ROCPRIM_400000_NS6detail44device_merge_sort_compile_time_verifier_archINS1_11comp_targetILNS1_3genE5ELNS1_11target_archE942ELNS1_3gpuE9ELNS1_3repE0EEES8_NS1_28merge_sort_block_sort_configILj256ELj4ELNS0_20block_sort_algorithmE0EEENS0_14default_configENS1_37merge_sort_block_sort_config_selectorIxNS0_10empty_typeEEENS1_38merge_sort_block_merge_config_selectorIxSE_EEEEvv ; -- Begin function _ZN7rocprim17ROCPRIM_400000_NS6detail44device_merge_sort_compile_time_verifier_archINS1_11comp_targetILNS1_3genE5ELNS1_11target_archE942ELNS1_3gpuE9ELNS1_3repE0EEES8_NS1_28merge_sort_block_sort_configILj256ELj4ELNS0_20block_sort_algorithmE0EEENS0_14default_configENS1_37merge_sort_block_sort_config_selectorIxNS0_10empty_typeEEENS1_38merge_sort_block_merge_config_selectorIxSE_EEEEvv
	.globl	_ZN7rocprim17ROCPRIM_400000_NS6detail44device_merge_sort_compile_time_verifier_archINS1_11comp_targetILNS1_3genE5ELNS1_11target_archE942ELNS1_3gpuE9ELNS1_3repE0EEES8_NS1_28merge_sort_block_sort_configILj256ELj4ELNS0_20block_sort_algorithmE0EEENS0_14default_configENS1_37merge_sort_block_sort_config_selectorIxNS0_10empty_typeEEENS1_38merge_sort_block_merge_config_selectorIxSE_EEEEvv
	.p2align	8
	.type	_ZN7rocprim17ROCPRIM_400000_NS6detail44device_merge_sort_compile_time_verifier_archINS1_11comp_targetILNS1_3genE5ELNS1_11target_archE942ELNS1_3gpuE9ELNS1_3repE0EEES8_NS1_28merge_sort_block_sort_configILj256ELj4ELNS0_20block_sort_algorithmE0EEENS0_14default_configENS1_37merge_sort_block_sort_config_selectorIxNS0_10empty_typeEEENS1_38merge_sort_block_merge_config_selectorIxSE_EEEEvv,@function
_ZN7rocprim17ROCPRIM_400000_NS6detail44device_merge_sort_compile_time_verifier_archINS1_11comp_targetILNS1_3genE5ELNS1_11target_archE942ELNS1_3gpuE9ELNS1_3repE0EEES8_NS1_28merge_sort_block_sort_configILj256ELj4ELNS0_20block_sort_algorithmE0EEENS0_14default_configENS1_37merge_sort_block_sort_config_selectorIxNS0_10empty_typeEEENS1_38merge_sort_block_merge_config_selectorIxSE_EEEEvv: ; @_ZN7rocprim17ROCPRIM_400000_NS6detail44device_merge_sort_compile_time_verifier_archINS1_11comp_targetILNS1_3genE5ELNS1_11target_archE942ELNS1_3gpuE9ELNS1_3repE0EEES8_NS1_28merge_sort_block_sort_configILj256ELj4ELNS0_20block_sort_algorithmE0EEENS0_14default_configENS1_37merge_sort_block_sort_config_selectorIxNS0_10empty_typeEEENS1_38merge_sort_block_merge_config_selectorIxSE_EEEEvv
; %bb.0:
	s_endpgm
	.section	.rodata,"a",@progbits
	.p2align	6, 0x0
	.amdhsa_kernel _ZN7rocprim17ROCPRIM_400000_NS6detail44device_merge_sort_compile_time_verifier_archINS1_11comp_targetILNS1_3genE5ELNS1_11target_archE942ELNS1_3gpuE9ELNS1_3repE0EEES8_NS1_28merge_sort_block_sort_configILj256ELj4ELNS0_20block_sort_algorithmE0EEENS0_14default_configENS1_37merge_sort_block_sort_config_selectorIxNS0_10empty_typeEEENS1_38merge_sort_block_merge_config_selectorIxSE_EEEEvv
		.amdhsa_group_segment_fixed_size 0
		.amdhsa_private_segment_fixed_size 0
		.amdhsa_kernarg_size 0
		.amdhsa_user_sgpr_count 4
		.amdhsa_user_sgpr_private_segment_buffer 1
		.amdhsa_user_sgpr_dispatch_ptr 0
		.amdhsa_user_sgpr_queue_ptr 0
		.amdhsa_user_sgpr_kernarg_segment_ptr 0
		.amdhsa_user_sgpr_dispatch_id 0
		.amdhsa_user_sgpr_flat_scratch_init 0
		.amdhsa_user_sgpr_kernarg_preload_length 0
		.amdhsa_user_sgpr_kernarg_preload_offset 0
		.amdhsa_user_sgpr_private_segment_size 0
		.amdhsa_uses_dynamic_stack 0
		.amdhsa_system_sgpr_private_segment_wavefront_offset 0
		.amdhsa_system_sgpr_workgroup_id_x 1
		.amdhsa_system_sgpr_workgroup_id_y 0
		.amdhsa_system_sgpr_workgroup_id_z 0
		.amdhsa_system_sgpr_workgroup_info 0
		.amdhsa_system_vgpr_workitem_id 0
		.amdhsa_next_free_vgpr 1
		.amdhsa_next_free_sgpr 0
		.amdhsa_accum_offset 4
		.amdhsa_reserve_vcc 0
		.amdhsa_reserve_flat_scratch 0
		.amdhsa_float_round_mode_32 0
		.amdhsa_float_round_mode_16_64 0
		.amdhsa_float_denorm_mode_32 3
		.amdhsa_float_denorm_mode_16_64 3
		.amdhsa_dx10_clamp 1
		.amdhsa_ieee_mode 1
		.amdhsa_fp16_overflow 0
		.amdhsa_tg_split 0
		.amdhsa_exception_fp_ieee_invalid_op 0
		.amdhsa_exception_fp_denorm_src 0
		.amdhsa_exception_fp_ieee_div_zero 0
		.amdhsa_exception_fp_ieee_overflow 0
		.amdhsa_exception_fp_ieee_underflow 0
		.amdhsa_exception_fp_ieee_inexact 0
		.amdhsa_exception_int_div_zero 0
	.end_amdhsa_kernel
	.section	.text._ZN7rocprim17ROCPRIM_400000_NS6detail44device_merge_sort_compile_time_verifier_archINS1_11comp_targetILNS1_3genE5ELNS1_11target_archE942ELNS1_3gpuE9ELNS1_3repE0EEES8_NS1_28merge_sort_block_sort_configILj256ELj4ELNS0_20block_sort_algorithmE0EEENS0_14default_configENS1_37merge_sort_block_sort_config_selectorIxNS0_10empty_typeEEENS1_38merge_sort_block_merge_config_selectorIxSE_EEEEvv,"axG",@progbits,_ZN7rocprim17ROCPRIM_400000_NS6detail44device_merge_sort_compile_time_verifier_archINS1_11comp_targetILNS1_3genE5ELNS1_11target_archE942ELNS1_3gpuE9ELNS1_3repE0EEES8_NS1_28merge_sort_block_sort_configILj256ELj4ELNS0_20block_sort_algorithmE0EEENS0_14default_configENS1_37merge_sort_block_sort_config_selectorIxNS0_10empty_typeEEENS1_38merge_sort_block_merge_config_selectorIxSE_EEEEvv,comdat
.Lfunc_end1008:
	.size	_ZN7rocprim17ROCPRIM_400000_NS6detail44device_merge_sort_compile_time_verifier_archINS1_11comp_targetILNS1_3genE5ELNS1_11target_archE942ELNS1_3gpuE9ELNS1_3repE0EEES8_NS1_28merge_sort_block_sort_configILj256ELj4ELNS0_20block_sort_algorithmE0EEENS0_14default_configENS1_37merge_sort_block_sort_config_selectorIxNS0_10empty_typeEEENS1_38merge_sort_block_merge_config_selectorIxSE_EEEEvv, .Lfunc_end1008-_ZN7rocprim17ROCPRIM_400000_NS6detail44device_merge_sort_compile_time_verifier_archINS1_11comp_targetILNS1_3genE5ELNS1_11target_archE942ELNS1_3gpuE9ELNS1_3repE0EEES8_NS1_28merge_sort_block_sort_configILj256ELj4ELNS0_20block_sort_algorithmE0EEENS0_14default_configENS1_37merge_sort_block_sort_config_selectorIxNS0_10empty_typeEEENS1_38merge_sort_block_merge_config_selectorIxSE_EEEEvv
                                        ; -- End function
	.section	.AMDGPU.csdata,"",@progbits
; Kernel info:
; codeLenInByte = 4
; NumSgprs: 4
; NumVgprs: 0
; NumAgprs: 0
; TotalNumVgprs: 0
; ScratchSize: 0
; MemoryBound: 0
; FloatMode: 240
; IeeeMode: 1
; LDSByteSize: 0 bytes/workgroup (compile time only)
; SGPRBlocks: 0
; VGPRBlocks: 0
; NumSGPRsForWavesPerEU: 4
; NumVGPRsForWavesPerEU: 1
; AccumOffset: 4
; Occupancy: 8
; WaveLimiterHint : 0
; COMPUTE_PGM_RSRC2:SCRATCH_EN: 0
; COMPUTE_PGM_RSRC2:USER_SGPR: 4
; COMPUTE_PGM_RSRC2:TRAP_HANDLER: 0
; COMPUTE_PGM_RSRC2:TGID_X_EN: 1
; COMPUTE_PGM_RSRC2:TGID_Y_EN: 0
; COMPUTE_PGM_RSRC2:TGID_Z_EN: 0
; COMPUTE_PGM_RSRC2:TIDIG_COMP_CNT: 0
; COMPUTE_PGM_RSRC3_GFX90A:ACCUM_OFFSET: 0
; COMPUTE_PGM_RSRC3_GFX90A:TG_SPLIT: 0
	.section	.text._ZN7rocprim17ROCPRIM_400000_NS6detail44device_merge_sort_compile_time_verifier_archINS1_11comp_targetILNS1_3genE4ELNS1_11target_archE910ELNS1_3gpuE8ELNS1_3repE0EEES8_NS1_28merge_sort_block_sort_configILj256ELj4ELNS0_20block_sort_algorithmE0EEENS0_14default_configENS1_37merge_sort_block_sort_config_selectorIxNS0_10empty_typeEEENS1_38merge_sort_block_merge_config_selectorIxSE_EEEEvv,"axG",@progbits,_ZN7rocprim17ROCPRIM_400000_NS6detail44device_merge_sort_compile_time_verifier_archINS1_11comp_targetILNS1_3genE4ELNS1_11target_archE910ELNS1_3gpuE8ELNS1_3repE0EEES8_NS1_28merge_sort_block_sort_configILj256ELj4ELNS0_20block_sort_algorithmE0EEENS0_14default_configENS1_37merge_sort_block_sort_config_selectorIxNS0_10empty_typeEEENS1_38merge_sort_block_merge_config_selectorIxSE_EEEEvv,comdat
	.protected	_ZN7rocprim17ROCPRIM_400000_NS6detail44device_merge_sort_compile_time_verifier_archINS1_11comp_targetILNS1_3genE4ELNS1_11target_archE910ELNS1_3gpuE8ELNS1_3repE0EEES8_NS1_28merge_sort_block_sort_configILj256ELj4ELNS0_20block_sort_algorithmE0EEENS0_14default_configENS1_37merge_sort_block_sort_config_selectorIxNS0_10empty_typeEEENS1_38merge_sort_block_merge_config_selectorIxSE_EEEEvv ; -- Begin function _ZN7rocprim17ROCPRIM_400000_NS6detail44device_merge_sort_compile_time_verifier_archINS1_11comp_targetILNS1_3genE4ELNS1_11target_archE910ELNS1_3gpuE8ELNS1_3repE0EEES8_NS1_28merge_sort_block_sort_configILj256ELj4ELNS0_20block_sort_algorithmE0EEENS0_14default_configENS1_37merge_sort_block_sort_config_selectorIxNS0_10empty_typeEEENS1_38merge_sort_block_merge_config_selectorIxSE_EEEEvv
	.globl	_ZN7rocprim17ROCPRIM_400000_NS6detail44device_merge_sort_compile_time_verifier_archINS1_11comp_targetILNS1_3genE4ELNS1_11target_archE910ELNS1_3gpuE8ELNS1_3repE0EEES8_NS1_28merge_sort_block_sort_configILj256ELj4ELNS0_20block_sort_algorithmE0EEENS0_14default_configENS1_37merge_sort_block_sort_config_selectorIxNS0_10empty_typeEEENS1_38merge_sort_block_merge_config_selectorIxSE_EEEEvv
	.p2align	8
	.type	_ZN7rocprim17ROCPRIM_400000_NS6detail44device_merge_sort_compile_time_verifier_archINS1_11comp_targetILNS1_3genE4ELNS1_11target_archE910ELNS1_3gpuE8ELNS1_3repE0EEES8_NS1_28merge_sort_block_sort_configILj256ELj4ELNS0_20block_sort_algorithmE0EEENS0_14default_configENS1_37merge_sort_block_sort_config_selectorIxNS0_10empty_typeEEENS1_38merge_sort_block_merge_config_selectorIxSE_EEEEvv,@function
_ZN7rocprim17ROCPRIM_400000_NS6detail44device_merge_sort_compile_time_verifier_archINS1_11comp_targetILNS1_3genE4ELNS1_11target_archE910ELNS1_3gpuE8ELNS1_3repE0EEES8_NS1_28merge_sort_block_sort_configILj256ELj4ELNS0_20block_sort_algorithmE0EEENS0_14default_configENS1_37merge_sort_block_sort_config_selectorIxNS0_10empty_typeEEENS1_38merge_sort_block_merge_config_selectorIxSE_EEEEvv: ; @_ZN7rocprim17ROCPRIM_400000_NS6detail44device_merge_sort_compile_time_verifier_archINS1_11comp_targetILNS1_3genE4ELNS1_11target_archE910ELNS1_3gpuE8ELNS1_3repE0EEES8_NS1_28merge_sort_block_sort_configILj256ELj4ELNS0_20block_sort_algorithmE0EEENS0_14default_configENS1_37merge_sort_block_sort_config_selectorIxNS0_10empty_typeEEENS1_38merge_sort_block_merge_config_selectorIxSE_EEEEvv
; %bb.0:
	s_endpgm
	.section	.rodata,"a",@progbits
	.p2align	6, 0x0
	.amdhsa_kernel _ZN7rocprim17ROCPRIM_400000_NS6detail44device_merge_sort_compile_time_verifier_archINS1_11comp_targetILNS1_3genE4ELNS1_11target_archE910ELNS1_3gpuE8ELNS1_3repE0EEES8_NS1_28merge_sort_block_sort_configILj256ELj4ELNS0_20block_sort_algorithmE0EEENS0_14default_configENS1_37merge_sort_block_sort_config_selectorIxNS0_10empty_typeEEENS1_38merge_sort_block_merge_config_selectorIxSE_EEEEvv
		.amdhsa_group_segment_fixed_size 0
		.amdhsa_private_segment_fixed_size 0
		.amdhsa_kernarg_size 0
		.amdhsa_user_sgpr_count 4
		.amdhsa_user_sgpr_private_segment_buffer 1
		.amdhsa_user_sgpr_dispatch_ptr 0
		.amdhsa_user_sgpr_queue_ptr 0
		.amdhsa_user_sgpr_kernarg_segment_ptr 0
		.amdhsa_user_sgpr_dispatch_id 0
		.amdhsa_user_sgpr_flat_scratch_init 0
		.amdhsa_user_sgpr_kernarg_preload_length 0
		.amdhsa_user_sgpr_kernarg_preload_offset 0
		.amdhsa_user_sgpr_private_segment_size 0
		.amdhsa_uses_dynamic_stack 0
		.amdhsa_system_sgpr_private_segment_wavefront_offset 0
		.amdhsa_system_sgpr_workgroup_id_x 1
		.amdhsa_system_sgpr_workgroup_id_y 0
		.amdhsa_system_sgpr_workgroup_id_z 0
		.amdhsa_system_sgpr_workgroup_info 0
		.amdhsa_system_vgpr_workitem_id 0
		.amdhsa_next_free_vgpr 1
		.amdhsa_next_free_sgpr 0
		.amdhsa_accum_offset 4
		.amdhsa_reserve_vcc 0
		.amdhsa_reserve_flat_scratch 0
		.amdhsa_float_round_mode_32 0
		.amdhsa_float_round_mode_16_64 0
		.amdhsa_float_denorm_mode_32 3
		.amdhsa_float_denorm_mode_16_64 3
		.amdhsa_dx10_clamp 1
		.amdhsa_ieee_mode 1
		.amdhsa_fp16_overflow 0
		.amdhsa_tg_split 0
		.amdhsa_exception_fp_ieee_invalid_op 0
		.amdhsa_exception_fp_denorm_src 0
		.amdhsa_exception_fp_ieee_div_zero 0
		.amdhsa_exception_fp_ieee_overflow 0
		.amdhsa_exception_fp_ieee_underflow 0
		.amdhsa_exception_fp_ieee_inexact 0
		.amdhsa_exception_int_div_zero 0
	.end_amdhsa_kernel
	.section	.text._ZN7rocprim17ROCPRIM_400000_NS6detail44device_merge_sort_compile_time_verifier_archINS1_11comp_targetILNS1_3genE4ELNS1_11target_archE910ELNS1_3gpuE8ELNS1_3repE0EEES8_NS1_28merge_sort_block_sort_configILj256ELj4ELNS0_20block_sort_algorithmE0EEENS0_14default_configENS1_37merge_sort_block_sort_config_selectorIxNS0_10empty_typeEEENS1_38merge_sort_block_merge_config_selectorIxSE_EEEEvv,"axG",@progbits,_ZN7rocprim17ROCPRIM_400000_NS6detail44device_merge_sort_compile_time_verifier_archINS1_11comp_targetILNS1_3genE4ELNS1_11target_archE910ELNS1_3gpuE8ELNS1_3repE0EEES8_NS1_28merge_sort_block_sort_configILj256ELj4ELNS0_20block_sort_algorithmE0EEENS0_14default_configENS1_37merge_sort_block_sort_config_selectorIxNS0_10empty_typeEEENS1_38merge_sort_block_merge_config_selectorIxSE_EEEEvv,comdat
.Lfunc_end1009:
	.size	_ZN7rocprim17ROCPRIM_400000_NS6detail44device_merge_sort_compile_time_verifier_archINS1_11comp_targetILNS1_3genE4ELNS1_11target_archE910ELNS1_3gpuE8ELNS1_3repE0EEES8_NS1_28merge_sort_block_sort_configILj256ELj4ELNS0_20block_sort_algorithmE0EEENS0_14default_configENS1_37merge_sort_block_sort_config_selectorIxNS0_10empty_typeEEENS1_38merge_sort_block_merge_config_selectorIxSE_EEEEvv, .Lfunc_end1009-_ZN7rocprim17ROCPRIM_400000_NS6detail44device_merge_sort_compile_time_verifier_archINS1_11comp_targetILNS1_3genE4ELNS1_11target_archE910ELNS1_3gpuE8ELNS1_3repE0EEES8_NS1_28merge_sort_block_sort_configILj256ELj4ELNS0_20block_sort_algorithmE0EEENS0_14default_configENS1_37merge_sort_block_sort_config_selectorIxNS0_10empty_typeEEENS1_38merge_sort_block_merge_config_selectorIxSE_EEEEvv
                                        ; -- End function
	.section	.AMDGPU.csdata,"",@progbits
; Kernel info:
; codeLenInByte = 4
; NumSgprs: 4
; NumVgprs: 0
; NumAgprs: 0
; TotalNumVgprs: 0
; ScratchSize: 0
; MemoryBound: 0
; FloatMode: 240
; IeeeMode: 1
; LDSByteSize: 0 bytes/workgroup (compile time only)
; SGPRBlocks: 0
; VGPRBlocks: 0
; NumSGPRsForWavesPerEU: 4
; NumVGPRsForWavesPerEU: 1
; AccumOffset: 4
; Occupancy: 8
; WaveLimiterHint : 0
; COMPUTE_PGM_RSRC2:SCRATCH_EN: 0
; COMPUTE_PGM_RSRC2:USER_SGPR: 4
; COMPUTE_PGM_RSRC2:TRAP_HANDLER: 0
; COMPUTE_PGM_RSRC2:TGID_X_EN: 1
; COMPUTE_PGM_RSRC2:TGID_Y_EN: 0
; COMPUTE_PGM_RSRC2:TGID_Z_EN: 0
; COMPUTE_PGM_RSRC2:TIDIG_COMP_CNT: 0
; COMPUTE_PGM_RSRC3_GFX90A:ACCUM_OFFSET: 0
; COMPUTE_PGM_RSRC3_GFX90A:TG_SPLIT: 0
	.section	.text._ZN7rocprim17ROCPRIM_400000_NS6detail44device_merge_sort_compile_time_verifier_archINS1_11comp_targetILNS1_3genE3ELNS1_11target_archE908ELNS1_3gpuE7ELNS1_3repE0EEES8_NS1_28merge_sort_block_sort_configILj256ELj4ELNS0_20block_sort_algorithmE0EEENS0_14default_configENS1_37merge_sort_block_sort_config_selectorIxNS0_10empty_typeEEENS1_38merge_sort_block_merge_config_selectorIxSE_EEEEvv,"axG",@progbits,_ZN7rocprim17ROCPRIM_400000_NS6detail44device_merge_sort_compile_time_verifier_archINS1_11comp_targetILNS1_3genE3ELNS1_11target_archE908ELNS1_3gpuE7ELNS1_3repE0EEES8_NS1_28merge_sort_block_sort_configILj256ELj4ELNS0_20block_sort_algorithmE0EEENS0_14default_configENS1_37merge_sort_block_sort_config_selectorIxNS0_10empty_typeEEENS1_38merge_sort_block_merge_config_selectorIxSE_EEEEvv,comdat
	.protected	_ZN7rocprim17ROCPRIM_400000_NS6detail44device_merge_sort_compile_time_verifier_archINS1_11comp_targetILNS1_3genE3ELNS1_11target_archE908ELNS1_3gpuE7ELNS1_3repE0EEES8_NS1_28merge_sort_block_sort_configILj256ELj4ELNS0_20block_sort_algorithmE0EEENS0_14default_configENS1_37merge_sort_block_sort_config_selectorIxNS0_10empty_typeEEENS1_38merge_sort_block_merge_config_selectorIxSE_EEEEvv ; -- Begin function _ZN7rocprim17ROCPRIM_400000_NS6detail44device_merge_sort_compile_time_verifier_archINS1_11comp_targetILNS1_3genE3ELNS1_11target_archE908ELNS1_3gpuE7ELNS1_3repE0EEES8_NS1_28merge_sort_block_sort_configILj256ELj4ELNS0_20block_sort_algorithmE0EEENS0_14default_configENS1_37merge_sort_block_sort_config_selectorIxNS0_10empty_typeEEENS1_38merge_sort_block_merge_config_selectorIxSE_EEEEvv
	.globl	_ZN7rocprim17ROCPRIM_400000_NS6detail44device_merge_sort_compile_time_verifier_archINS1_11comp_targetILNS1_3genE3ELNS1_11target_archE908ELNS1_3gpuE7ELNS1_3repE0EEES8_NS1_28merge_sort_block_sort_configILj256ELj4ELNS0_20block_sort_algorithmE0EEENS0_14default_configENS1_37merge_sort_block_sort_config_selectorIxNS0_10empty_typeEEENS1_38merge_sort_block_merge_config_selectorIxSE_EEEEvv
	.p2align	8
	.type	_ZN7rocprim17ROCPRIM_400000_NS6detail44device_merge_sort_compile_time_verifier_archINS1_11comp_targetILNS1_3genE3ELNS1_11target_archE908ELNS1_3gpuE7ELNS1_3repE0EEES8_NS1_28merge_sort_block_sort_configILj256ELj4ELNS0_20block_sort_algorithmE0EEENS0_14default_configENS1_37merge_sort_block_sort_config_selectorIxNS0_10empty_typeEEENS1_38merge_sort_block_merge_config_selectorIxSE_EEEEvv,@function
_ZN7rocprim17ROCPRIM_400000_NS6detail44device_merge_sort_compile_time_verifier_archINS1_11comp_targetILNS1_3genE3ELNS1_11target_archE908ELNS1_3gpuE7ELNS1_3repE0EEES8_NS1_28merge_sort_block_sort_configILj256ELj4ELNS0_20block_sort_algorithmE0EEENS0_14default_configENS1_37merge_sort_block_sort_config_selectorIxNS0_10empty_typeEEENS1_38merge_sort_block_merge_config_selectorIxSE_EEEEvv: ; @_ZN7rocprim17ROCPRIM_400000_NS6detail44device_merge_sort_compile_time_verifier_archINS1_11comp_targetILNS1_3genE3ELNS1_11target_archE908ELNS1_3gpuE7ELNS1_3repE0EEES8_NS1_28merge_sort_block_sort_configILj256ELj4ELNS0_20block_sort_algorithmE0EEENS0_14default_configENS1_37merge_sort_block_sort_config_selectorIxNS0_10empty_typeEEENS1_38merge_sort_block_merge_config_selectorIxSE_EEEEvv
; %bb.0:
	s_endpgm
	.section	.rodata,"a",@progbits
	.p2align	6, 0x0
	.amdhsa_kernel _ZN7rocprim17ROCPRIM_400000_NS6detail44device_merge_sort_compile_time_verifier_archINS1_11comp_targetILNS1_3genE3ELNS1_11target_archE908ELNS1_3gpuE7ELNS1_3repE0EEES8_NS1_28merge_sort_block_sort_configILj256ELj4ELNS0_20block_sort_algorithmE0EEENS0_14default_configENS1_37merge_sort_block_sort_config_selectorIxNS0_10empty_typeEEENS1_38merge_sort_block_merge_config_selectorIxSE_EEEEvv
		.amdhsa_group_segment_fixed_size 0
		.amdhsa_private_segment_fixed_size 0
		.amdhsa_kernarg_size 0
		.amdhsa_user_sgpr_count 4
		.amdhsa_user_sgpr_private_segment_buffer 1
		.amdhsa_user_sgpr_dispatch_ptr 0
		.amdhsa_user_sgpr_queue_ptr 0
		.amdhsa_user_sgpr_kernarg_segment_ptr 0
		.amdhsa_user_sgpr_dispatch_id 0
		.amdhsa_user_sgpr_flat_scratch_init 0
		.amdhsa_user_sgpr_kernarg_preload_length 0
		.amdhsa_user_sgpr_kernarg_preload_offset 0
		.amdhsa_user_sgpr_private_segment_size 0
		.amdhsa_uses_dynamic_stack 0
		.amdhsa_system_sgpr_private_segment_wavefront_offset 0
		.amdhsa_system_sgpr_workgroup_id_x 1
		.amdhsa_system_sgpr_workgroup_id_y 0
		.amdhsa_system_sgpr_workgroup_id_z 0
		.amdhsa_system_sgpr_workgroup_info 0
		.amdhsa_system_vgpr_workitem_id 0
		.amdhsa_next_free_vgpr 1
		.amdhsa_next_free_sgpr 0
		.amdhsa_accum_offset 4
		.amdhsa_reserve_vcc 0
		.amdhsa_reserve_flat_scratch 0
		.amdhsa_float_round_mode_32 0
		.amdhsa_float_round_mode_16_64 0
		.amdhsa_float_denorm_mode_32 3
		.amdhsa_float_denorm_mode_16_64 3
		.amdhsa_dx10_clamp 1
		.amdhsa_ieee_mode 1
		.amdhsa_fp16_overflow 0
		.amdhsa_tg_split 0
		.amdhsa_exception_fp_ieee_invalid_op 0
		.amdhsa_exception_fp_denorm_src 0
		.amdhsa_exception_fp_ieee_div_zero 0
		.amdhsa_exception_fp_ieee_overflow 0
		.amdhsa_exception_fp_ieee_underflow 0
		.amdhsa_exception_fp_ieee_inexact 0
		.amdhsa_exception_int_div_zero 0
	.end_amdhsa_kernel
	.section	.text._ZN7rocprim17ROCPRIM_400000_NS6detail44device_merge_sort_compile_time_verifier_archINS1_11comp_targetILNS1_3genE3ELNS1_11target_archE908ELNS1_3gpuE7ELNS1_3repE0EEES8_NS1_28merge_sort_block_sort_configILj256ELj4ELNS0_20block_sort_algorithmE0EEENS0_14default_configENS1_37merge_sort_block_sort_config_selectorIxNS0_10empty_typeEEENS1_38merge_sort_block_merge_config_selectorIxSE_EEEEvv,"axG",@progbits,_ZN7rocprim17ROCPRIM_400000_NS6detail44device_merge_sort_compile_time_verifier_archINS1_11comp_targetILNS1_3genE3ELNS1_11target_archE908ELNS1_3gpuE7ELNS1_3repE0EEES8_NS1_28merge_sort_block_sort_configILj256ELj4ELNS0_20block_sort_algorithmE0EEENS0_14default_configENS1_37merge_sort_block_sort_config_selectorIxNS0_10empty_typeEEENS1_38merge_sort_block_merge_config_selectorIxSE_EEEEvv,comdat
.Lfunc_end1010:
	.size	_ZN7rocprim17ROCPRIM_400000_NS6detail44device_merge_sort_compile_time_verifier_archINS1_11comp_targetILNS1_3genE3ELNS1_11target_archE908ELNS1_3gpuE7ELNS1_3repE0EEES8_NS1_28merge_sort_block_sort_configILj256ELj4ELNS0_20block_sort_algorithmE0EEENS0_14default_configENS1_37merge_sort_block_sort_config_selectorIxNS0_10empty_typeEEENS1_38merge_sort_block_merge_config_selectorIxSE_EEEEvv, .Lfunc_end1010-_ZN7rocprim17ROCPRIM_400000_NS6detail44device_merge_sort_compile_time_verifier_archINS1_11comp_targetILNS1_3genE3ELNS1_11target_archE908ELNS1_3gpuE7ELNS1_3repE0EEES8_NS1_28merge_sort_block_sort_configILj256ELj4ELNS0_20block_sort_algorithmE0EEENS0_14default_configENS1_37merge_sort_block_sort_config_selectorIxNS0_10empty_typeEEENS1_38merge_sort_block_merge_config_selectorIxSE_EEEEvv
                                        ; -- End function
	.section	.AMDGPU.csdata,"",@progbits
; Kernel info:
; codeLenInByte = 4
; NumSgprs: 4
; NumVgprs: 0
; NumAgprs: 0
; TotalNumVgprs: 0
; ScratchSize: 0
; MemoryBound: 0
; FloatMode: 240
; IeeeMode: 1
; LDSByteSize: 0 bytes/workgroup (compile time only)
; SGPRBlocks: 0
; VGPRBlocks: 0
; NumSGPRsForWavesPerEU: 4
; NumVGPRsForWavesPerEU: 1
; AccumOffset: 4
; Occupancy: 8
; WaveLimiterHint : 0
; COMPUTE_PGM_RSRC2:SCRATCH_EN: 0
; COMPUTE_PGM_RSRC2:USER_SGPR: 4
; COMPUTE_PGM_RSRC2:TRAP_HANDLER: 0
; COMPUTE_PGM_RSRC2:TGID_X_EN: 1
; COMPUTE_PGM_RSRC2:TGID_Y_EN: 0
; COMPUTE_PGM_RSRC2:TGID_Z_EN: 0
; COMPUTE_PGM_RSRC2:TIDIG_COMP_CNT: 0
; COMPUTE_PGM_RSRC3_GFX90A:ACCUM_OFFSET: 0
; COMPUTE_PGM_RSRC3_GFX90A:TG_SPLIT: 0
	.section	.text._ZN7rocprim17ROCPRIM_400000_NS6detail44device_merge_sort_compile_time_verifier_archINS1_11comp_targetILNS1_3genE2ELNS1_11target_archE906ELNS1_3gpuE6ELNS1_3repE0EEES8_NS1_28merge_sort_block_sort_configILj256ELj4ELNS0_20block_sort_algorithmE0EEENS0_14default_configENS1_37merge_sort_block_sort_config_selectorIxNS0_10empty_typeEEENS1_38merge_sort_block_merge_config_selectorIxSE_EEEEvv,"axG",@progbits,_ZN7rocprim17ROCPRIM_400000_NS6detail44device_merge_sort_compile_time_verifier_archINS1_11comp_targetILNS1_3genE2ELNS1_11target_archE906ELNS1_3gpuE6ELNS1_3repE0EEES8_NS1_28merge_sort_block_sort_configILj256ELj4ELNS0_20block_sort_algorithmE0EEENS0_14default_configENS1_37merge_sort_block_sort_config_selectorIxNS0_10empty_typeEEENS1_38merge_sort_block_merge_config_selectorIxSE_EEEEvv,comdat
	.protected	_ZN7rocprim17ROCPRIM_400000_NS6detail44device_merge_sort_compile_time_verifier_archINS1_11comp_targetILNS1_3genE2ELNS1_11target_archE906ELNS1_3gpuE6ELNS1_3repE0EEES8_NS1_28merge_sort_block_sort_configILj256ELj4ELNS0_20block_sort_algorithmE0EEENS0_14default_configENS1_37merge_sort_block_sort_config_selectorIxNS0_10empty_typeEEENS1_38merge_sort_block_merge_config_selectorIxSE_EEEEvv ; -- Begin function _ZN7rocprim17ROCPRIM_400000_NS6detail44device_merge_sort_compile_time_verifier_archINS1_11comp_targetILNS1_3genE2ELNS1_11target_archE906ELNS1_3gpuE6ELNS1_3repE0EEES8_NS1_28merge_sort_block_sort_configILj256ELj4ELNS0_20block_sort_algorithmE0EEENS0_14default_configENS1_37merge_sort_block_sort_config_selectorIxNS0_10empty_typeEEENS1_38merge_sort_block_merge_config_selectorIxSE_EEEEvv
	.globl	_ZN7rocprim17ROCPRIM_400000_NS6detail44device_merge_sort_compile_time_verifier_archINS1_11comp_targetILNS1_3genE2ELNS1_11target_archE906ELNS1_3gpuE6ELNS1_3repE0EEES8_NS1_28merge_sort_block_sort_configILj256ELj4ELNS0_20block_sort_algorithmE0EEENS0_14default_configENS1_37merge_sort_block_sort_config_selectorIxNS0_10empty_typeEEENS1_38merge_sort_block_merge_config_selectorIxSE_EEEEvv
	.p2align	8
	.type	_ZN7rocprim17ROCPRIM_400000_NS6detail44device_merge_sort_compile_time_verifier_archINS1_11comp_targetILNS1_3genE2ELNS1_11target_archE906ELNS1_3gpuE6ELNS1_3repE0EEES8_NS1_28merge_sort_block_sort_configILj256ELj4ELNS0_20block_sort_algorithmE0EEENS0_14default_configENS1_37merge_sort_block_sort_config_selectorIxNS0_10empty_typeEEENS1_38merge_sort_block_merge_config_selectorIxSE_EEEEvv,@function
_ZN7rocprim17ROCPRIM_400000_NS6detail44device_merge_sort_compile_time_verifier_archINS1_11comp_targetILNS1_3genE2ELNS1_11target_archE906ELNS1_3gpuE6ELNS1_3repE0EEES8_NS1_28merge_sort_block_sort_configILj256ELj4ELNS0_20block_sort_algorithmE0EEENS0_14default_configENS1_37merge_sort_block_sort_config_selectorIxNS0_10empty_typeEEENS1_38merge_sort_block_merge_config_selectorIxSE_EEEEvv: ; @_ZN7rocprim17ROCPRIM_400000_NS6detail44device_merge_sort_compile_time_verifier_archINS1_11comp_targetILNS1_3genE2ELNS1_11target_archE906ELNS1_3gpuE6ELNS1_3repE0EEES8_NS1_28merge_sort_block_sort_configILj256ELj4ELNS0_20block_sort_algorithmE0EEENS0_14default_configENS1_37merge_sort_block_sort_config_selectorIxNS0_10empty_typeEEENS1_38merge_sort_block_merge_config_selectorIxSE_EEEEvv
; %bb.0:
	s_endpgm
	.section	.rodata,"a",@progbits
	.p2align	6, 0x0
	.amdhsa_kernel _ZN7rocprim17ROCPRIM_400000_NS6detail44device_merge_sort_compile_time_verifier_archINS1_11comp_targetILNS1_3genE2ELNS1_11target_archE906ELNS1_3gpuE6ELNS1_3repE0EEES8_NS1_28merge_sort_block_sort_configILj256ELj4ELNS0_20block_sort_algorithmE0EEENS0_14default_configENS1_37merge_sort_block_sort_config_selectorIxNS0_10empty_typeEEENS1_38merge_sort_block_merge_config_selectorIxSE_EEEEvv
		.amdhsa_group_segment_fixed_size 0
		.amdhsa_private_segment_fixed_size 0
		.amdhsa_kernarg_size 0
		.amdhsa_user_sgpr_count 4
		.amdhsa_user_sgpr_private_segment_buffer 1
		.amdhsa_user_sgpr_dispatch_ptr 0
		.amdhsa_user_sgpr_queue_ptr 0
		.amdhsa_user_sgpr_kernarg_segment_ptr 0
		.amdhsa_user_sgpr_dispatch_id 0
		.amdhsa_user_sgpr_flat_scratch_init 0
		.amdhsa_user_sgpr_kernarg_preload_length 0
		.amdhsa_user_sgpr_kernarg_preload_offset 0
		.amdhsa_user_sgpr_private_segment_size 0
		.amdhsa_uses_dynamic_stack 0
		.amdhsa_system_sgpr_private_segment_wavefront_offset 0
		.amdhsa_system_sgpr_workgroup_id_x 1
		.amdhsa_system_sgpr_workgroup_id_y 0
		.amdhsa_system_sgpr_workgroup_id_z 0
		.amdhsa_system_sgpr_workgroup_info 0
		.amdhsa_system_vgpr_workitem_id 0
		.amdhsa_next_free_vgpr 1
		.amdhsa_next_free_sgpr 0
		.amdhsa_accum_offset 4
		.amdhsa_reserve_vcc 0
		.amdhsa_reserve_flat_scratch 0
		.amdhsa_float_round_mode_32 0
		.amdhsa_float_round_mode_16_64 0
		.amdhsa_float_denorm_mode_32 3
		.amdhsa_float_denorm_mode_16_64 3
		.amdhsa_dx10_clamp 1
		.amdhsa_ieee_mode 1
		.amdhsa_fp16_overflow 0
		.amdhsa_tg_split 0
		.amdhsa_exception_fp_ieee_invalid_op 0
		.amdhsa_exception_fp_denorm_src 0
		.amdhsa_exception_fp_ieee_div_zero 0
		.amdhsa_exception_fp_ieee_overflow 0
		.amdhsa_exception_fp_ieee_underflow 0
		.amdhsa_exception_fp_ieee_inexact 0
		.amdhsa_exception_int_div_zero 0
	.end_amdhsa_kernel
	.section	.text._ZN7rocprim17ROCPRIM_400000_NS6detail44device_merge_sort_compile_time_verifier_archINS1_11comp_targetILNS1_3genE2ELNS1_11target_archE906ELNS1_3gpuE6ELNS1_3repE0EEES8_NS1_28merge_sort_block_sort_configILj256ELj4ELNS0_20block_sort_algorithmE0EEENS0_14default_configENS1_37merge_sort_block_sort_config_selectorIxNS0_10empty_typeEEENS1_38merge_sort_block_merge_config_selectorIxSE_EEEEvv,"axG",@progbits,_ZN7rocprim17ROCPRIM_400000_NS6detail44device_merge_sort_compile_time_verifier_archINS1_11comp_targetILNS1_3genE2ELNS1_11target_archE906ELNS1_3gpuE6ELNS1_3repE0EEES8_NS1_28merge_sort_block_sort_configILj256ELj4ELNS0_20block_sort_algorithmE0EEENS0_14default_configENS1_37merge_sort_block_sort_config_selectorIxNS0_10empty_typeEEENS1_38merge_sort_block_merge_config_selectorIxSE_EEEEvv,comdat
.Lfunc_end1011:
	.size	_ZN7rocprim17ROCPRIM_400000_NS6detail44device_merge_sort_compile_time_verifier_archINS1_11comp_targetILNS1_3genE2ELNS1_11target_archE906ELNS1_3gpuE6ELNS1_3repE0EEES8_NS1_28merge_sort_block_sort_configILj256ELj4ELNS0_20block_sort_algorithmE0EEENS0_14default_configENS1_37merge_sort_block_sort_config_selectorIxNS0_10empty_typeEEENS1_38merge_sort_block_merge_config_selectorIxSE_EEEEvv, .Lfunc_end1011-_ZN7rocprim17ROCPRIM_400000_NS6detail44device_merge_sort_compile_time_verifier_archINS1_11comp_targetILNS1_3genE2ELNS1_11target_archE906ELNS1_3gpuE6ELNS1_3repE0EEES8_NS1_28merge_sort_block_sort_configILj256ELj4ELNS0_20block_sort_algorithmE0EEENS0_14default_configENS1_37merge_sort_block_sort_config_selectorIxNS0_10empty_typeEEENS1_38merge_sort_block_merge_config_selectorIxSE_EEEEvv
                                        ; -- End function
	.section	.AMDGPU.csdata,"",@progbits
; Kernel info:
; codeLenInByte = 4
; NumSgprs: 4
; NumVgprs: 0
; NumAgprs: 0
; TotalNumVgprs: 0
; ScratchSize: 0
; MemoryBound: 0
; FloatMode: 240
; IeeeMode: 1
; LDSByteSize: 0 bytes/workgroup (compile time only)
; SGPRBlocks: 0
; VGPRBlocks: 0
; NumSGPRsForWavesPerEU: 4
; NumVGPRsForWavesPerEU: 1
; AccumOffset: 4
; Occupancy: 8
; WaveLimiterHint : 0
; COMPUTE_PGM_RSRC2:SCRATCH_EN: 0
; COMPUTE_PGM_RSRC2:USER_SGPR: 4
; COMPUTE_PGM_RSRC2:TRAP_HANDLER: 0
; COMPUTE_PGM_RSRC2:TGID_X_EN: 1
; COMPUTE_PGM_RSRC2:TGID_Y_EN: 0
; COMPUTE_PGM_RSRC2:TGID_Z_EN: 0
; COMPUTE_PGM_RSRC2:TIDIG_COMP_CNT: 0
; COMPUTE_PGM_RSRC3_GFX90A:ACCUM_OFFSET: 0
; COMPUTE_PGM_RSRC3_GFX90A:TG_SPLIT: 0
	.section	.text._ZN7rocprim17ROCPRIM_400000_NS6detail44device_merge_sort_compile_time_verifier_archINS1_11comp_targetILNS1_3genE10ELNS1_11target_archE1201ELNS1_3gpuE5ELNS1_3repE0EEES8_NS1_28merge_sort_block_sort_configILj256ELj4ELNS0_20block_sort_algorithmE0EEENS0_14default_configENS1_37merge_sort_block_sort_config_selectorIxNS0_10empty_typeEEENS1_38merge_sort_block_merge_config_selectorIxSE_EEEEvv,"axG",@progbits,_ZN7rocprim17ROCPRIM_400000_NS6detail44device_merge_sort_compile_time_verifier_archINS1_11comp_targetILNS1_3genE10ELNS1_11target_archE1201ELNS1_3gpuE5ELNS1_3repE0EEES8_NS1_28merge_sort_block_sort_configILj256ELj4ELNS0_20block_sort_algorithmE0EEENS0_14default_configENS1_37merge_sort_block_sort_config_selectorIxNS0_10empty_typeEEENS1_38merge_sort_block_merge_config_selectorIxSE_EEEEvv,comdat
	.protected	_ZN7rocprim17ROCPRIM_400000_NS6detail44device_merge_sort_compile_time_verifier_archINS1_11comp_targetILNS1_3genE10ELNS1_11target_archE1201ELNS1_3gpuE5ELNS1_3repE0EEES8_NS1_28merge_sort_block_sort_configILj256ELj4ELNS0_20block_sort_algorithmE0EEENS0_14default_configENS1_37merge_sort_block_sort_config_selectorIxNS0_10empty_typeEEENS1_38merge_sort_block_merge_config_selectorIxSE_EEEEvv ; -- Begin function _ZN7rocprim17ROCPRIM_400000_NS6detail44device_merge_sort_compile_time_verifier_archINS1_11comp_targetILNS1_3genE10ELNS1_11target_archE1201ELNS1_3gpuE5ELNS1_3repE0EEES8_NS1_28merge_sort_block_sort_configILj256ELj4ELNS0_20block_sort_algorithmE0EEENS0_14default_configENS1_37merge_sort_block_sort_config_selectorIxNS0_10empty_typeEEENS1_38merge_sort_block_merge_config_selectorIxSE_EEEEvv
	.globl	_ZN7rocprim17ROCPRIM_400000_NS6detail44device_merge_sort_compile_time_verifier_archINS1_11comp_targetILNS1_3genE10ELNS1_11target_archE1201ELNS1_3gpuE5ELNS1_3repE0EEES8_NS1_28merge_sort_block_sort_configILj256ELj4ELNS0_20block_sort_algorithmE0EEENS0_14default_configENS1_37merge_sort_block_sort_config_selectorIxNS0_10empty_typeEEENS1_38merge_sort_block_merge_config_selectorIxSE_EEEEvv
	.p2align	8
	.type	_ZN7rocprim17ROCPRIM_400000_NS6detail44device_merge_sort_compile_time_verifier_archINS1_11comp_targetILNS1_3genE10ELNS1_11target_archE1201ELNS1_3gpuE5ELNS1_3repE0EEES8_NS1_28merge_sort_block_sort_configILj256ELj4ELNS0_20block_sort_algorithmE0EEENS0_14default_configENS1_37merge_sort_block_sort_config_selectorIxNS0_10empty_typeEEENS1_38merge_sort_block_merge_config_selectorIxSE_EEEEvv,@function
_ZN7rocprim17ROCPRIM_400000_NS6detail44device_merge_sort_compile_time_verifier_archINS1_11comp_targetILNS1_3genE10ELNS1_11target_archE1201ELNS1_3gpuE5ELNS1_3repE0EEES8_NS1_28merge_sort_block_sort_configILj256ELj4ELNS0_20block_sort_algorithmE0EEENS0_14default_configENS1_37merge_sort_block_sort_config_selectorIxNS0_10empty_typeEEENS1_38merge_sort_block_merge_config_selectorIxSE_EEEEvv: ; @_ZN7rocprim17ROCPRIM_400000_NS6detail44device_merge_sort_compile_time_verifier_archINS1_11comp_targetILNS1_3genE10ELNS1_11target_archE1201ELNS1_3gpuE5ELNS1_3repE0EEES8_NS1_28merge_sort_block_sort_configILj256ELj4ELNS0_20block_sort_algorithmE0EEENS0_14default_configENS1_37merge_sort_block_sort_config_selectorIxNS0_10empty_typeEEENS1_38merge_sort_block_merge_config_selectorIxSE_EEEEvv
; %bb.0:
	s_endpgm
	.section	.rodata,"a",@progbits
	.p2align	6, 0x0
	.amdhsa_kernel _ZN7rocprim17ROCPRIM_400000_NS6detail44device_merge_sort_compile_time_verifier_archINS1_11comp_targetILNS1_3genE10ELNS1_11target_archE1201ELNS1_3gpuE5ELNS1_3repE0EEES8_NS1_28merge_sort_block_sort_configILj256ELj4ELNS0_20block_sort_algorithmE0EEENS0_14default_configENS1_37merge_sort_block_sort_config_selectorIxNS0_10empty_typeEEENS1_38merge_sort_block_merge_config_selectorIxSE_EEEEvv
		.amdhsa_group_segment_fixed_size 0
		.amdhsa_private_segment_fixed_size 0
		.amdhsa_kernarg_size 0
		.amdhsa_user_sgpr_count 4
		.amdhsa_user_sgpr_private_segment_buffer 1
		.amdhsa_user_sgpr_dispatch_ptr 0
		.amdhsa_user_sgpr_queue_ptr 0
		.amdhsa_user_sgpr_kernarg_segment_ptr 0
		.amdhsa_user_sgpr_dispatch_id 0
		.amdhsa_user_sgpr_flat_scratch_init 0
		.amdhsa_user_sgpr_kernarg_preload_length 0
		.amdhsa_user_sgpr_kernarg_preload_offset 0
		.amdhsa_user_sgpr_private_segment_size 0
		.amdhsa_uses_dynamic_stack 0
		.amdhsa_system_sgpr_private_segment_wavefront_offset 0
		.amdhsa_system_sgpr_workgroup_id_x 1
		.amdhsa_system_sgpr_workgroup_id_y 0
		.amdhsa_system_sgpr_workgroup_id_z 0
		.amdhsa_system_sgpr_workgroup_info 0
		.amdhsa_system_vgpr_workitem_id 0
		.amdhsa_next_free_vgpr 1
		.amdhsa_next_free_sgpr 0
		.amdhsa_accum_offset 4
		.amdhsa_reserve_vcc 0
		.amdhsa_reserve_flat_scratch 0
		.amdhsa_float_round_mode_32 0
		.amdhsa_float_round_mode_16_64 0
		.amdhsa_float_denorm_mode_32 3
		.amdhsa_float_denorm_mode_16_64 3
		.amdhsa_dx10_clamp 1
		.amdhsa_ieee_mode 1
		.amdhsa_fp16_overflow 0
		.amdhsa_tg_split 0
		.amdhsa_exception_fp_ieee_invalid_op 0
		.amdhsa_exception_fp_denorm_src 0
		.amdhsa_exception_fp_ieee_div_zero 0
		.amdhsa_exception_fp_ieee_overflow 0
		.amdhsa_exception_fp_ieee_underflow 0
		.amdhsa_exception_fp_ieee_inexact 0
		.amdhsa_exception_int_div_zero 0
	.end_amdhsa_kernel
	.section	.text._ZN7rocprim17ROCPRIM_400000_NS6detail44device_merge_sort_compile_time_verifier_archINS1_11comp_targetILNS1_3genE10ELNS1_11target_archE1201ELNS1_3gpuE5ELNS1_3repE0EEES8_NS1_28merge_sort_block_sort_configILj256ELj4ELNS0_20block_sort_algorithmE0EEENS0_14default_configENS1_37merge_sort_block_sort_config_selectorIxNS0_10empty_typeEEENS1_38merge_sort_block_merge_config_selectorIxSE_EEEEvv,"axG",@progbits,_ZN7rocprim17ROCPRIM_400000_NS6detail44device_merge_sort_compile_time_verifier_archINS1_11comp_targetILNS1_3genE10ELNS1_11target_archE1201ELNS1_3gpuE5ELNS1_3repE0EEES8_NS1_28merge_sort_block_sort_configILj256ELj4ELNS0_20block_sort_algorithmE0EEENS0_14default_configENS1_37merge_sort_block_sort_config_selectorIxNS0_10empty_typeEEENS1_38merge_sort_block_merge_config_selectorIxSE_EEEEvv,comdat
.Lfunc_end1012:
	.size	_ZN7rocprim17ROCPRIM_400000_NS6detail44device_merge_sort_compile_time_verifier_archINS1_11comp_targetILNS1_3genE10ELNS1_11target_archE1201ELNS1_3gpuE5ELNS1_3repE0EEES8_NS1_28merge_sort_block_sort_configILj256ELj4ELNS0_20block_sort_algorithmE0EEENS0_14default_configENS1_37merge_sort_block_sort_config_selectorIxNS0_10empty_typeEEENS1_38merge_sort_block_merge_config_selectorIxSE_EEEEvv, .Lfunc_end1012-_ZN7rocprim17ROCPRIM_400000_NS6detail44device_merge_sort_compile_time_verifier_archINS1_11comp_targetILNS1_3genE10ELNS1_11target_archE1201ELNS1_3gpuE5ELNS1_3repE0EEES8_NS1_28merge_sort_block_sort_configILj256ELj4ELNS0_20block_sort_algorithmE0EEENS0_14default_configENS1_37merge_sort_block_sort_config_selectorIxNS0_10empty_typeEEENS1_38merge_sort_block_merge_config_selectorIxSE_EEEEvv
                                        ; -- End function
	.section	.AMDGPU.csdata,"",@progbits
; Kernel info:
; codeLenInByte = 4
; NumSgprs: 4
; NumVgprs: 0
; NumAgprs: 0
; TotalNumVgprs: 0
; ScratchSize: 0
; MemoryBound: 0
; FloatMode: 240
; IeeeMode: 1
; LDSByteSize: 0 bytes/workgroup (compile time only)
; SGPRBlocks: 0
; VGPRBlocks: 0
; NumSGPRsForWavesPerEU: 4
; NumVGPRsForWavesPerEU: 1
; AccumOffset: 4
; Occupancy: 8
; WaveLimiterHint : 0
; COMPUTE_PGM_RSRC2:SCRATCH_EN: 0
; COMPUTE_PGM_RSRC2:USER_SGPR: 4
; COMPUTE_PGM_RSRC2:TRAP_HANDLER: 0
; COMPUTE_PGM_RSRC2:TGID_X_EN: 1
; COMPUTE_PGM_RSRC2:TGID_Y_EN: 0
; COMPUTE_PGM_RSRC2:TGID_Z_EN: 0
; COMPUTE_PGM_RSRC2:TIDIG_COMP_CNT: 0
; COMPUTE_PGM_RSRC3_GFX90A:ACCUM_OFFSET: 0
; COMPUTE_PGM_RSRC3_GFX90A:TG_SPLIT: 0
	.section	.text._ZN7rocprim17ROCPRIM_400000_NS6detail44device_merge_sort_compile_time_verifier_archINS1_11comp_targetILNS1_3genE10ELNS1_11target_archE1200ELNS1_3gpuE4ELNS1_3repE0EEENS3_ILS4_10ELS5_1201ELS6_5ELS7_0EEENS1_28merge_sort_block_sort_configILj256ELj4ELNS0_20block_sort_algorithmE0EEENS0_14default_configENS1_37merge_sort_block_sort_config_selectorIxNS0_10empty_typeEEENS1_38merge_sort_block_merge_config_selectorIxSF_EEEEvv,"axG",@progbits,_ZN7rocprim17ROCPRIM_400000_NS6detail44device_merge_sort_compile_time_verifier_archINS1_11comp_targetILNS1_3genE10ELNS1_11target_archE1200ELNS1_3gpuE4ELNS1_3repE0EEENS3_ILS4_10ELS5_1201ELS6_5ELS7_0EEENS1_28merge_sort_block_sort_configILj256ELj4ELNS0_20block_sort_algorithmE0EEENS0_14default_configENS1_37merge_sort_block_sort_config_selectorIxNS0_10empty_typeEEENS1_38merge_sort_block_merge_config_selectorIxSF_EEEEvv,comdat
	.protected	_ZN7rocprim17ROCPRIM_400000_NS6detail44device_merge_sort_compile_time_verifier_archINS1_11comp_targetILNS1_3genE10ELNS1_11target_archE1200ELNS1_3gpuE4ELNS1_3repE0EEENS3_ILS4_10ELS5_1201ELS6_5ELS7_0EEENS1_28merge_sort_block_sort_configILj256ELj4ELNS0_20block_sort_algorithmE0EEENS0_14default_configENS1_37merge_sort_block_sort_config_selectorIxNS0_10empty_typeEEENS1_38merge_sort_block_merge_config_selectorIxSF_EEEEvv ; -- Begin function _ZN7rocprim17ROCPRIM_400000_NS6detail44device_merge_sort_compile_time_verifier_archINS1_11comp_targetILNS1_3genE10ELNS1_11target_archE1200ELNS1_3gpuE4ELNS1_3repE0EEENS3_ILS4_10ELS5_1201ELS6_5ELS7_0EEENS1_28merge_sort_block_sort_configILj256ELj4ELNS0_20block_sort_algorithmE0EEENS0_14default_configENS1_37merge_sort_block_sort_config_selectorIxNS0_10empty_typeEEENS1_38merge_sort_block_merge_config_selectorIxSF_EEEEvv
	.globl	_ZN7rocprim17ROCPRIM_400000_NS6detail44device_merge_sort_compile_time_verifier_archINS1_11comp_targetILNS1_3genE10ELNS1_11target_archE1200ELNS1_3gpuE4ELNS1_3repE0EEENS3_ILS4_10ELS5_1201ELS6_5ELS7_0EEENS1_28merge_sort_block_sort_configILj256ELj4ELNS0_20block_sort_algorithmE0EEENS0_14default_configENS1_37merge_sort_block_sort_config_selectorIxNS0_10empty_typeEEENS1_38merge_sort_block_merge_config_selectorIxSF_EEEEvv
	.p2align	8
	.type	_ZN7rocprim17ROCPRIM_400000_NS6detail44device_merge_sort_compile_time_verifier_archINS1_11comp_targetILNS1_3genE10ELNS1_11target_archE1200ELNS1_3gpuE4ELNS1_3repE0EEENS3_ILS4_10ELS5_1201ELS6_5ELS7_0EEENS1_28merge_sort_block_sort_configILj256ELj4ELNS0_20block_sort_algorithmE0EEENS0_14default_configENS1_37merge_sort_block_sort_config_selectorIxNS0_10empty_typeEEENS1_38merge_sort_block_merge_config_selectorIxSF_EEEEvv,@function
_ZN7rocprim17ROCPRIM_400000_NS6detail44device_merge_sort_compile_time_verifier_archINS1_11comp_targetILNS1_3genE10ELNS1_11target_archE1200ELNS1_3gpuE4ELNS1_3repE0EEENS3_ILS4_10ELS5_1201ELS6_5ELS7_0EEENS1_28merge_sort_block_sort_configILj256ELj4ELNS0_20block_sort_algorithmE0EEENS0_14default_configENS1_37merge_sort_block_sort_config_selectorIxNS0_10empty_typeEEENS1_38merge_sort_block_merge_config_selectorIxSF_EEEEvv: ; @_ZN7rocprim17ROCPRIM_400000_NS6detail44device_merge_sort_compile_time_verifier_archINS1_11comp_targetILNS1_3genE10ELNS1_11target_archE1200ELNS1_3gpuE4ELNS1_3repE0EEENS3_ILS4_10ELS5_1201ELS6_5ELS7_0EEENS1_28merge_sort_block_sort_configILj256ELj4ELNS0_20block_sort_algorithmE0EEENS0_14default_configENS1_37merge_sort_block_sort_config_selectorIxNS0_10empty_typeEEENS1_38merge_sort_block_merge_config_selectorIxSF_EEEEvv
; %bb.0:
	s_endpgm
	.section	.rodata,"a",@progbits
	.p2align	6, 0x0
	.amdhsa_kernel _ZN7rocprim17ROCPRIM_400000_NS6detail44device_merge_sort_compile_time_verifier_archINS1_11comp_targetILNS1_3genE10ELNS1_11target_archE1200ELNS1_3gpuE4ELNS1_3repE0EEENS3_ILS4_10ELS5_1201ELS6_5ELS7_0EEENS1_28merge_sort_block_sort_configILj256ELj4ELNS0_20block_sort_algorithmE0EEENS0_14default_configENS1_37merge_sort_block_sort_config_selectorIxNS0_10empty_typeEEENS1_38merge_sort_block_merge_config_selectorIxSF_EEEEvv
		.amdhsa_group_segment_fixed_size 0
		.amdhsa_private_segment_fixed_size 0
		.amdhsa_kernarg_size 0
		.amdhsa_user_sgpr_count 4
		.amdhsa_user_sgpr_private_segment_buffer 1
		.amdhsa_user_sgpr_dispatch_ptr 0
		.amdhsa_user_sgpr_queue_ptr 0
		.amdhsa_user_sgpr_kernarg_segment_ptr 0
		.amdhsa_user_sgpr_dispatch_id 0
		.amdhsa_user_sgpr_flat_scratch_init 0
		.amdhsa_user_sgpr_kernarg_preload_length 0
		.amdhsa_user_sgpr_kernarg_preload_offset 0
		.amdhsa_user_sgpr_private_segment_size 0
		.amdhsa_uses_dynamic_stack 0
		.amdhsa_system_sgpr_private_segment_wavefront_offset 0
		.amdhsa_system_sgpr_workgroup_id_x 1
		.amdhsa_system_sgpr_workgroup_id_y 0
		.amdhsa_system_sgpr_workgroup_id_z 0
		.amdhsa_system_sgpr_workgroup_info 0
		.amdhsa_system_vgpr_workitem_id 0
		.amdhsa_next_free_vgpr 1
		.amdhsa_next_free_sgpr 0
		.amdhsa_accum_offset 4
		.amdhsa_reserve_vcc 0
		.amdhsa_reserve_flat_scratch 0
		.amdhsa_float_round_mode_32 0
		.amdhsa_float_round_mode_16_64 0
		.amdhsa_float_denorm_mode_32 3
		.amdhsa_float_denorm_mode_16_64 3
		.amdhsa_dx10_clamp 1
		.amdhsa_ieee_mode 1
		.amdhsa_fp16_overflow 0
		.amdhsa_tg_split 0
		.amdhsa_exception_fp_ieee_invalid_op 0
		.amdhsa_exception_fp_denorm_src 0
		.amdhsa_exception_fp_ieee_div_zero 0
		.amdhsa_exception_fp_ieee_overflow 0
		.amdhsa_exception_fp_ieee_underflow 0
		.amdhsa_exception_fp_ieee_inexact 0
		.amdhsa_exception_int_div_zero 0
	.end_amdhsa_kernel
	.section	.text._ZN7rocprim17ROCPRIM_400000_NS6detail44device_merge_sort_compile_time_verifier_archINS1_11comp_targetILNS1_3genE10ELNS1_11target_archE1200ELNS1_3gpuE4ELNS1_3repE0EEENS3_ILS4_10ELS5_1201ELS6_5ELS7_0EEENS1_28merge_sort_block_sort_configILj256ELj4ELNS0_20block_sort_algorithmE0EEENS0_14default_configENS1_37merge_sort_block_sort_config_selectorIxNS0_10empty_typeEEENS1_38merge_sort_block_merge_config_selectorIxSF_EEEEvv,"axG",@progbits,_ZN7rocprim17ROCPRIM_400000_NS6detail44device_merge_sort_compile_time_verifier_archINS1_11comp_targetILNS1_3genE10ELNS1_11target_archE1200ELNS1_3gpuE4ELNS1_3repE0EEENS3_ILS4_10ELS5_1201ELS6_5ELS7_0EEENS1_28merge_sort_block_sort_configILj256ELj4ELNS0_20block_sort_algorithmE0EEENS0_14default_configENS1_37merge_sort_block_sort_config_selectorIxNS0_10empty_typeEEENS1_38merge_sort_block_merge_config_selectorIxSF_EEEEvv,comdat
.Lfunc_end1013:
	.size	_ZN7rocprim17ROCPRIM_400000_NS6detail44device_merge_sort_compile_time_verifier_archINS1_11comp_targetILNS1_3genE10ELNS1_11target_archE1200ELNS1_3gpuE4ELNS1_3repE0EEENS3_ILS4_10ELS5_1201ELS6_5ELS7_0EEENS1_28merge_sort_block_sort_configILj256ELj4ELNS0_20block_sort_algorithmE0EEENS0_14default_configENS1_37merge_sort_block_sort_config_selectorIxNS0_10empty_typeEEENS1_38merge_sort_block_merge_config_selectorIxSF_EEEEvv, .Lfunc_end1013-_ZN7rocprim17ROCPRIM_400000_NS6detail44device_merge_sort_compile_time_verifier_archINS1_11comp_targetILNS1_3genE10ELNS1_11target_archE1200ELNS1_3gpuE4ELNS1_3repE0EEENS3_ILS4_10ELS5_1201ELS6_5ELS7_0EEENS1_28merge_sort_block_sort_configILj256ELj4ELNS0_20block_sort_algorithmE0EEENS0_14default_configENS1_37merge_sort_block_sort_config_selectorIxNS0_10empty_typeEEENS1_38merge_sort_block_merge_config_selectorIxSF_EEEEvv
                                        ; -- End function
	.section	.AMDGPU.csdata,"",@progbits
; Kernel info:
; codeLenInByte = 4
; NumSgprs: 4
; NumVgprs: 0
; NumAgprs: 0
; TotalNumVgprs: 0
; ScratchSize: 0
; MemoryBound: 0
; FloatMode: 240
; IeeeMode: 1
; LDSByteSize: 0 bytes/workgroup (compile time only)
; SGPRBlocks: 0
; VGPRBlocks: 0
; NumSGPRsForWavesPerEU: 4
; NumVGPRsForWavesPerEU: 1
; AccumOffset: 4
; Occupancy: 8
; WaveLimiterHint : 0
; COMPUTE_PGM_RSRC2:SCRATCH_EN: 0
; COMPUTE_PGM_RSRC2:USER_SGPR: 4
; COMPUTE_PGM_RSRC2:TRAP_HANDLER: 0
; COMPUTE_PGM_RSRC2:TGID_X_EN: 1
; COMPUTE_PGM_RSRC2:TGID_Y_EN: 0
; COMPUTE_PGM_RSRC2:TGID_Z_EN: 0
; COMPUTE_PGM_RSRC2:TIDIG_COMP_CNT: 0
; COMPUTE_PGM_RSRC3_GFX90A:ACCUM_OFFSET: 0
; COMPUTE_PGM_RSRC3_GFX90A:TG_SPLIT: 0
	.section	.text._ZN7rocprim17ROCPRIM_400000_NS6detail44device_merge_sort_compile_time_verifier_archINS1_11comp_targetILNS1_3genE9ELNS1_11target_archE1100ELNS1_3gpuE3ELNS1_3repE0EEES8_NS1_28merge_sort_block_sort_configILj256ELj4ELNS0_20block_sort_algorithmE0EEENS0_14default_configENS1_37merge_sort_block_sort_config_selectorIxNS0_10empty_typeEEENS1_38merge_sort_block_merge_config_selectorIxSE_EEEEvv,"axG",@progbits,_ZN7rocprim17ROCPRIM_400000_NS6detail44device_merge_sort_compile_time_verifier_archINS1_11comp_targetILNS1_3genE9ELNS1_11target_archE1100ELNS1_3gpuE3ELNS1_3repE0EEES8_NS1_28merge_sort_block_sort_configILj256ELj4ELNS0_20block_sort_algorithmE0EEENS0_14default_configENS1_37merge_sort_block_sort_config_selectorIxNS0_10empty_typeEEENS1_38merge_sort_block_merge_config_selectorIxSE_EEEEvv,comdat
	.protected	_ZN7rocprim17ROCPRIM_400000_NS6detail44device_merge_sort_compile_time_verifier_archINS1_11comp_targetILNS1_3genE9ELNS1_11target_archE1100ELNS1_3gpuE3ELNS1_3repE0EEES8_NS1_28merge_sort_block_sort_configILj256ELj4ELNS0_20block_sort_algorithmE0EEENS0_14default_configENS1_37merge_sort_block_sort_config_selectorIxNS0_10empty_typeEEENS1_38merge_sort_block_merge_config_selectorIxSE_EEEEvv ; -- Begin function _ZN7rocprim17ROCPRIM_400000_NS6detail44device_merge_sort_compile_time_verifier_archINS1_11comp_targetILNS1_3genE9ELNS1_11target_archE1100ELNS1_3gpuE3ELNS1_3repE0EEES8_NS1_28merge_sort_block_sort_configILj256ELj4ELNS0_20block_sort_algorithmE0EEENS0_14default_configENS1_37merge_sort_block_sort_config_selectorIxNS0_10empty_typeEEENS1_38merge_sort_block_merge_config_selectorIxSE_EEEEvv
	.globl	_ZN7rocprim17ROCPRIM_400000_NS6detail44device_merge_sort_compile_time_verifier_archINS1_11comp_targetILNS1_3genE9ELNS1_11target_archE1100ELNS1_3gpuE3ELNS1_3repE0EEES8_NS1_28merge_sort_block_sort_configILj256ELj4ELNS0_20block_sort_algorithmE0EEENS0_14default_configENS1_37merge_sort_block_sort_config_selectorIxNS0_10empty_typeEEENS1_38merge_sort_block_merge_config_selectorIxSE_EEEEvv
	.p2align	8
	.type	_ZN7rocprim17ROCPRIM_400000_NS6detail44device_merge_sort_compile_time_verifier_archINS1_11comp_targetILNS1_3genE9ELNS1_11target_archE1100ELNS1_3gpuE3ELNS1_3repE0EEES8_NS1_28merge_sort_block_sort_configILj256ELj4ELNS0_20block_sort_algorithmE0EEENS0_14default_configENS1_37merge_sort_block_sort_config_selectorIxNS0_10empty_typeEEENS1_38merge_sort_block_merge_config_selectorIxSE_EEEEvv,@function
_ZN7rocprim17ROCPRIM_400000_NS6detail44device_merge_sort_compile_time_verifier_archINS1_11comp_targetILNS1_3genE9ELNS1_11target_archE1100ELNS1_3gpuE3ELNS1_3repE0EEES8_NS1_28merge_sort_block_sort_configILj256ELj4ELNS0_20block_sort_algorithmE0EEENS0_14default_configENS1_37merge_sort_block_sort_config_selectorIxNS0_10empty_typeEEENS1_38merge_sort_block_merge_config_selectorIxSE_EEEEvv: ; @_ZN7rocprim17ROCPRIM_400000_NS6detail44device_merge_sort_compile_time_verifier_archINS1_11comp_targetILNS1_3genE9ELNS1_11target_archE1100ELNS1_3gpuE3ELNS1_3repE0EEES8_NS1_28merge_sort_block_sort_configILj256ELj4ELNS0_20block_sort_algorithmE0EEENS0_14default_configENS1_37merge_sort_block_sort_config_selectorIxNS0_10empty_typeEEENS1_38merge_sort_block_merge_config_selectorIxSE_EEEEvv
; %bb.0:
	s_endpgm
	.section	.rodata,"a",@progbits
	.p2align	6, 0x0
	.amdhsa_kernel _ZN7rocprim17ROCPRIM_400000_NS6detail44device_merge_sort_compile_time_verifier_archINS1_11comp_targetILNS1_3genE9ELNS1_11target_archE1100ELNS1_3gpuE3ELNS1_3repE0EEES8_NS1_28merge_sort_block_sort_configILj256ELj4ELNS0_20block_sort_algorithmE0EEENS0_14default_configENS1_37merge_sort_block_sort_config_selectorIxNS0_10empty_typeEEENS1_38merge_sort_block_merge_config_selectorIxSE_EEEEvv
		.amdhsa_group_segment_fixed_size 0
		.amdhsa_private_segment_fixed_size 0
		.amdhsa_kernarg_size 0
		.amdhsa_user_sgpr_count 4
		.amdhsa_user_sgpr_private_segment_buffer 1
		.amdhsa_user_sgpr_dispatch_ptr 0
		.amdhsa_user_sgpr_queue_ptr 0
		.amdhsa_user_sgpr_kernarg_segment_ptr 0
		.amdhsa_user_sgpr_dispatch_id 0
		.amdhsa_user_sgpr_flat_scratch_init 0
		.amdhsa_user_sgpr_kernarg_preload_length 0
		.amdhsa_user_sgpr_kernarg_preload_offset 0
		.amdhsa_user_sgpr_private_segment_size 0
		.amdhsa_uses_dynamic_stack 0
		.amdhsa_system_sgpr_private_segment_wavefront_offset 0
		.amdhsa_system_sgpr_workgroup_id_x 1
		.amdhsa_system_sgpr_workgroup_id_y 0
		.amdhsa_system_sgpr_workgroup_id_z 0
		.amdhsa_system_sgpr_workgroup_info 0
		.amdhsa_system_vgpr_workitem_id 0
		.amdhsa_next_free_vgpr 1
		.amdhsa_next_free_sgpr 0
		.amdhsa_accum_offset 4
		.amdhsa_reserve_vcc 0
		.amdhsa_reserve_flat_scratch 0
		.amdhsa_float_round_mode_32 0
		.amdhsa_float_round_mode_16_64 0
		.amdhsa_float_denorm_mode_32 3
		.amdhsa_float_denorm_mode_16_64 3
		.amdhsa_dx10_clamp 1
		.amdhsa_ieee_mode 1
		.amdhsa_fp16_overflow 0
		.amdhsa_tg_split 0
		.amdhsa_exception_fp_ieee_invalid_op 0
		.amdhsa_exception_fp_denorm_src 0
		.amdhsa_exception_fp_ieee_div_zero 0
		.amdhsa_exception_fp_ieee_overflow 0
		.amdhsa_exception_fp_ieee_underflow 0
		.amdhsa_exception_fp_ieee_inexact 0
		.amdhsa_exception_int_div_zero 0
	.end_amdhsa_kernel
	.section	.text._ZN7rocprim17ROCPRIM_400000_NS6detail44device_merge_sort_compile_time_verifier_archINS1_11comp_targetILNS1_3genE9ELNS1_11target_archE1100ELNS1_3gpuE3ELNS1_3repE0EEES8_NS1_28merge_sort_block_sort_configILj256ELj4ELNS0_20block_sort_algorithmE0EEENS0_14default_configENS1_37merge_sort_block_sort_config_selectorIxNS0_10empty_typeEEENS1_38merge_sort_block_merge_config_selectorIxSE_EEEEvv,"axG",@progbits,_ZN7rocprim17ROCPRIM_400000_NS6detail44device_merge_sort_compile_time_verifier_archINS1_11comp_targetILNS1_3genE9ELNS1_11target_archE1100ELNS1_3gpuE3ELNS1_3repE0EEES8_NS1_28merge_sort_block_sort_configILj256ELj4ELNS0_20block_sort_algorithmE0EEENS0_14default_configENS1_37merge_sort_block_sort_config_selectorIxNS0_10empty_typeEEENS1_38merge_sort_block_merge_config_selectorIxSE_EEEEvv,comdat
.Lfunc_end1014:
	.size	_ZN7rocprim17ROCPRIM_400000_NS6detail44device_merge_sort_compile_time_verifier_archINS1_11comp_targetILNS1_3genE9ELNS1_11target_archE1100ELNS1_3gpuE3ELNS1_3repE0EEES8_NS1_28merge_sort_block_sort_configILj256ELj4ELNS0_20block_sort_algorithmE0EEENS0_14default_configENS1_37merge_sort_block_sort_config_selectorIxNS0_10empty_typeEEENS1_38merge_sort_block_merge_config_selectorIxSE_EEEEvv, .Lfunc_end1014-_ZN7rocprim17ROCPRIM_400000_NS6detail44device_merge_sort_compile_time_verifier_archINS1_11comp_targetILNS1_3genE9ELNS1_11target_archE1100ELNS1_3gpuE3ELNS1_3repE0EEES8_NS1_28merge_sort_block_sort_configILj256ELj4ELNS0_20block_sort_algorithmE0EEENS0_14default_configENS1_37merge_sort_block_sort_config_selectorIxNS0_10empty_typeEEENS1_38merge_sort_block_merge_config_selectorIxSE_EEEEvv
                                        ; -- End function
	.section	.AMDGPU.csdata,"",@progbits
; Kernel info:
; codeLenInByte = 4
; NumSgprs: 4
; NumVgprs: 0
; NumAgprs: 0
; TotalNumVgprs: 0
; ScratchSize: 0
; MemoryBound: 0
; FloatMode: 240
; IeeeMode: 1
; LDSByteSize: 0 bytes/workgroup (compile time only)
; SGPRBlocks: 0
; VGPRBlocks: 0
; NumSGPRsForWavesPerEU: 4
; NumVGPRsForWavesPerEU: 1
; AccumOffset: 4
; Occupancy: 8
; WaveLimiterHint : 0
; COMPUTE_PGM_RSRC2:SCRATCH_EN: 0
; COMPUTE_PGM_RSRC2:USER_SGPR: 4
; COMPUTE_PGM_RSRC2:TRAP_HANDLER: 0
; COMPUTE_PGM_RSRC2:TGID_X_EN: 1
; COMPUTE_PGM_RSRC2:TGID_Y_EN: 0
; COMPUTE_PGM_RSRC2:TGID_Z_EN: 0
; COMPUTE_PGM_RSRC2:TIDIG_COMP_CNT: 0
; COMPUTE_PGM_RSRC3_GFX90A:ACCUM_OFFSET: 0
; COMPUTE_PGM_RSRC3_GFX90A:TG_SPLIT: 0
	.section	.text._ZN7rocprim17ROCPRIM_400000_NS6detail44device_merge_sort_compile_time_verifier_archINS1_11comp_targetILNS1_3genE8ELNS1_11target_archE1030ELNS1_3gpuE2ELNS1_3repE0EEES8_NS1_28merge_sort_block_sort_configILj256ELj4ELNS0_20block_sort_algorithmE0EEENS0_14default_configENS1_37merge_sort_block_sort_config_selectorIxNS0_10empty_typeEEENS1_38merge_sort_block_merge_config_selectorIxSE_EEEEvv,"axG",@progbits,_ZN7rocprim17ROCPRIM_400000_NS6detail44device_merge_sort_compile_time_verifier_archINS1_11comp_targetILNS1_3genE8ELNS1_11target_archE1030ELNS1_3gpuE2ELNS1_3repE0EEES8_NS1_28merge_sort_block_sort_configILj256ELj4ELNS0_20block_sort_algorithmE0EEENS0_14default_configENS1_37merge_sort_block_sort_config_selectorIxNS0_10empty_typeEEENS1_38merge_sort_block_merge_config_selectorIxSE_EEEEvv,comdat
	.protected	_ZN7rocprim17ROCPRIM_400000_NS6detail44device_merge_sort_compile_time_verifier_archINS1_11comp_targetILNS1_3genE8ELNS1_11target_archE1030ELNS1_3gpuE2ELNS1_3repE0EEES8_NS1_28merge_sort_block_sort_configILj256ELj4ELNS0_20block_sort_algorithmE0EEENS0_14default_configENS1_37merge_sort_block_sort_config_selectorIxNS0_10empty_typeEEENS1_38merge_sort_block_merge_config_selectorIxSE_EEEEvv ; -- Begin function _ZN7rocprim17ROCPRIM_400000_NS6detail44device_merge_sort_compile_time_verifier_archINS1_11comp_targetILNS1_3genE8ELNS1_11target_archE1030ELNS1_3gpuE2ELNS1_3repE0EEES8_NS1_28merge_sort_block_sort_configILj256ELj4ELNS0_20block_sort_algorithmE0EEENS0_14default_configENS1_37merge_sort_block_sort_config_selectorIxNS0_10empty_typeEEENS1_38merge_sort_block_merge_config_selectorIxSE_EEEEvv
	.globl	_ZN7rocprim17ROCPRIM_400000_NS6detail44device_merge_sort_compile_time_verifier_archINS1_11comp_targetILNS1_3genE8ELNS1_11target_archE1030ELNS1_3gpuE2ELNS1_3repE0EEES8_NS1_28merge_sort_block_sort_configILj256ELj4ELNS0_20block_sort_algorithmE0EEENS0_14default_configENS1_37merge_sort_block_sort_config_selectorIxNS0_10empty_typeEEENS1_38merge_sort_block_merge_config_selectorIxSE_EEEEvv
	.p2align	8
	.type	_ZN7rocprim17ROCPRIM_400000_NS6detail44device_merge_sort_compile_time_verifier_archINS1_11comp_targetILNS1_3genE8ELNS1_11target_archE1030ELNS1_3gpuE2ELNS1_3repE0EEES8_NS1_28merge_sort_block_sort_configILj256ELj4ELNS0_20block_sort_algorithmE0EEENS0_14default_configENS1_37merge_sort_block_sort_config_selectorIxNS0_10empty_typeEEENS1_38merge_sort_block_merge_config_selectorIxSE_EEEEvv,@function
_ZN7rocprim17ROCPRIM_400000_NS6detail44device_merge_sort_compile_time_verifier_archINS1_11comp_targetILNS1_3genE8ELNS1_11target_archE1030ELNS1_3gpuE2ELNS1_3repE0EEES8_NS1_28merge_sort_block_sort_configILj256ELj4ELNS0_20block_sort_algorithmE0EEENS0_14default_configENS1_37merge_sort_block_sort_config_selectorIxNS0_10empty_typeEEENS1_38merge_sort_block_merge_config_selectorIxSE_EEEEvv: ; @_ZN7rocprim17ROCPRIM_400000_NS6detail44device_merge_sort_compile_time_verifier_archINS1_11comp_targetILNS1_3genE8ELNS1_11target_archE1030ELNS1_3gpuE2ELNS1_3repE0EEES8_NS1_28merge_sort_block_sort_configILj256ELj4ELNS0_20block_sort_algorithmE0EEENS0_14default_configENS1_37merge_sort_block_sort_config_selectorIxNS0_10empty_typeEEENS1_38merge_sort_block_merge_config_selectorIxSE_EEEEvv
; %bb.0:
	s_endpgm
	.section	.rodata,"a",@progbits
	.p2align	6, 0x0
	.amdhsa_kernel _ZN7rocprim17ROCPRIM_400000_NS6detail44device_merge_sort_compile_time_verifier_archINS1_11comp_targetILNS1_3genE8ELNS1_11target_archE1030ELNS1_3gpuE2ELNS1_3repE0EEES8_NS1_28merge_sort_block_sort_configILj256ELj4ELNS0_20block_sort_algorithmE0EEENS0_14default_configENS1_37merge_sort_block_sort_config_selectorIxNS0_10empty_typeEEENS1_38merge_sort_block_merge_config_selectorIxSE_EEEEvv
		.amdhsa_group_segment_fixed_size 0
		.amdhsa_private_segment_fixed_size 0
		.amdhsa_kernarg_size 0
		.amdhsa_user_sgpr_count 4
		.amdhsa_user_sgpr_private_segment_buffer 1
		.amdhsa_user_sgpr_dispatch_ptr 0
		.amdhsa_user_sgpr_queue_ptr 0
		.amdhsa_user_sgpr_kernarg_segment_ptr 0
		.amdhsa_user_sgpr_dispatch_id 0
		.amdhsa_user_sgpr_flat_scratch_init 0
		.amdhsa_user_sgpr_kernarg_preload_length 0
		.amdhsa_user_sgpr_kernarg_preload_offset 0
		.amdhsa_user_sgpr_private_segment_size 0
		.amdhsa_uses_dynamic_stack 0
		.amdhsa_system_sgpr_private_segment_wavefront_offset 0
		.amdhsa_system_sgpr_workgroup_id_x 1
		.amdhsa_system_sgpr_workgroup_id_y 0
		.amdhsa_system_sgpr_workgroup_id_z 0
		.amdhsa_system_sgpr_workgroup_info 0
		.amdhsa_system_vgpr_workitem_id 0
		.amdhsa_next_free_vgpr 1
		.amdhsa_next_free_sgpr 0
		.amdhsa_accum_offset 4
		.amdhsa_reserve_vcc 0
		.amdhsa_reserve_flat_scratch 0
		.amdhsa_float_round_mode_32 0
		.amdhsa_float_round_mode_16_64 0
		.amdhsa_float_denorm_mode_32 3
		.amdhsa_float_denorm_mode_16_64 3
		.amdhsa_dx10_clamp 1
		.amdhsa_ieee_mode 1
		.amdhsa_fp16_overflow 0
		.amdhsa_tg_split 0
		.amdhsa_exception_fp_ieee_invalid_op 0
		.amdhsa_exception_fp_denorm_src 0
		.amdhsa_exception_fp_ieee_div_zero 0
		.amdhsa_exception_fp_ieee_overflow 0
		.amdhsa_exception_fp_ieee_underflow 0
		.amdhsa_exception_fp_ieee_inexact 0
		.amdhsa_exception_int_div_zero 0
	.end_amdhsa_kernel
	.section	.text._ZN7rocprim17ROCPRIM_400000_NS6detail44device_merge_sort_compile_time_verifier_archINS1_11comp_targetILNS1_3genE8ELNS1_11target_archE1030ELNS1_3gpuE2ELNS1_3repE0EEES8_NS1_28merge_sort_block_sort_configILj256ELj4ELNS0_20block_sort_algorithmE0EEENS0_14default_configENS1_37merge_sort_block_sort_config_selectorIxNS0_10empty_typeEEENS1_38merge_sort_block_merge_config_selectorIxSE_EEEEvv,"axG",@progbits,_ZN7rocprim17ROCPRIM_400000_NS6detail44device_merge_sort_compile_time_verifier_archINS1_11comp_targetILNS1_3genE8ELNS1_11target_archE1030ELNS1_3gpuE2ELNS1_3repE0EEES8_NS1_28merge_sort_block_sort_configILj256ELj4ELNS0_20block_sort_algorithmE0EEENS0_14default_configENS1_37merge_sort_block_sort_config_selectorIxNS0_10empty_typeEEENS1_38merge_sort_block_merge_config_selectorIxSE_EEEEvv,comdat
.Lfunc_end1015:
	.size	_ZN7rocprim17ROCPRIM_400000_NS6detail44device_merge_sort_compile_time_verifier_archINS1_11comp_targetILNS1_3genE8ELNS1_11target_archE1030ELNS1_3gpuE2ELNS1_3repE0EEES8_NS1_28merge_sort_block_sort_configILj256ELj4ELNS0_20block_sort_algorithmE0EEENS0_14default_configENS1_37merge_sort_block_sort_config_selectorIxNS0_10empty_typeEEENS1_38merge_sort_block_merge_config_selectorIxSE_EEEEvv, .Lfunc_end1015-_ZN7rocprim17ROCPRIM_400000_NS6detail44device_merge_sort_compile_time_verifier_archINS1_11comp_targetILNS1_3genE8ELNS1_11target_archE1030ELNS1_3gpuE2ELNS1_3repE0EEES8_NS1_28merge_sort_block_sort_configILj256ELj4ELNS0_20block_sort_algorithmE0EEENS0_14default_configENS1_37merge_sort_block_sort_config_selectorIxNS0_10empty_typeEEENS1_38merge_sort_block_merge_config_selectorIxSE_EEEEvv
                                        ; -- End function
	.section	.AMDGPU.csdata,"",@progbits
; Kernel info:
; codeLenInByte = 4
; NumSgprs: 4
; NumVgprs: 0
; NumAgprs: 0
; TotalNumVgprs: 0
; ScratchSize: 0
; MemoryBound: 0
; FloatMode: 240
; IeeeMode: 1
; LDSByteSize: 0 bytes/workgroup (compile time only)
; SGPRBlocks: 0
; VGPRBlocks: 0
; NumSGPRsForWavesPerEU: 4
; NumVGPRsForWavesPerEU: 1
; AccumOffset: 4
; Occupancy: 8
; WaveLimiterHint : 0
; COMPUTE_PGM_RSRC2:SCRATCH_EN: 0
; COMPUTE_PGM_RSRC2:USER_SGPR: 4
; COMPUTE_PGM_RSRC2:TRAP_HANDLER: 0
; COMPUTE_PGM_RSRC2:TGID_X_EN: 1
; COMPUTE_PGM_RSRC2:TGID_Y_EN: 0
; COMPUTE_PGM_RSRC2:TGID_Z_EN: 0
; COMPUTE_PGM_RSRC2:TIDIG_COMP_CNT: 0
; COMPUTE_PGM_RSRC3_GFX90A:ACCUM_OFFSET: 0
; COMPUTE_PGM_RSRC3_GFX90A:TG_SPLIT: 0
	.section	.text._ZN7rocprim17ROCPRIM_400000_NS6detail17trampoline_kernelINS0_14default_configENS1_38merge_sort_block_merge_config_selectorIxNS0_10empty_typeEEEZZNS1_27merge_sort_block_merge_implIS3_PxPS5_jNS1_19radix_merge_compareILb0ELb0ExNS0_19identity_decomposerEEEEE10hipError_tT0_T1_T2_jT3_P12ihipStream_tbPNSt15iterator_traitsISE_E10value_typeEPNSK_ISF_E10value_typeEPSG_NS1_7vsmem_tEENKUlT_SE_SF_SG_E_clIS8_S8_S9_S9_EESD_ST_SE_SF_SG_EUlST_E_NS1_11comp_targetILNS1_3genE0ELNS1_11target_archE4294967295ELNS1_3gpuE0ELNS1_3repE0EEENS1_48merge_mergepath_partition_config_static_selectorELNS0_4arch9wavefront6targetE1EEEvSF_,"axG",@progbits,_ZN7rocprim17ROCPRIM_400000_NS6detail17trampoline_kernelINS0_14default_configENS1_38merge_sort_block_merge_config_selectorIxNS0_10empty_typeEEEZZNS1_27merge_sort_block_merge_implIS3_PxPS5_jNS1_19radix_merge_compareILb0ELb0ExNS0_19identity_decomposerEEEEE10hipError_tT0_T1_T2_jT3_P12ihipStream_tbPNSt15iterator_traitsISE_E10value_typeEPNSK_ISF_E10value_typeEPSG_NS1_7vsmem_tEENKUlT_SE_SF_SG_E_clIS8_S8_S9_S9_EESD_ST_SE_SF_SG_EUlST_E_NS1_11comp_targetILNS1_3genE0ELNS1_11target_archE4294967295ELNS1_3gpuE0ELNS1_3repE0EEENS1_48merge_mergepath_partition_config_static_selectorELNS0_4arch9wavefront6targetE1EEEvSF_,comdat
	.protected	_ZN7rocprim17ROCPRIM_400000_NS6detail17trampoline_kernelINS0_14default_configENS1_38merge_sort_block_merge_config_selectorIxNS0_10empty_typeEEEZZNS1_27merge_sort_block_merge_implIS3_PxPS5_jNS1_19radix_merge_compareILb0ELb0ExNS0_19identity_decomposerEEEEE10hipError_tT0_T1_T2_jT3_P12ihipStream_tbPNSt15iterator_traitsISE_E10value_typeEPNSK_ISF_E10value_typeEPSG_NS1_7vsmem_tEENKUlT_SE_SF_SG_E_clIS8_S8_S9_S9_EESD_ST_SE_SF_SG_EUlST_E_NS1_11comp_targetILNS1_3genE0ELNS1_11target_archE4294967295ELNS1_3gpuE0ELNS1_3repE0EEENS1_48merge_mergepath_partition_config_static_selectorELNS0_4arch9wavefront6targetE1EEEvSF_ ; -- Begin function _ZN7rocprim17ROCPRIM_400000_NS6detail17trampoline_kernelINS0_14default_configENS1_38merge_sort_block_merge_config_selectorIxNS0_10empty_typeEEEZZNS1_27merge_sort_block_merge_implIS3_PxPS5_jNS1_19radix_merge_compareILb0ELb0ExNS0_19identity_decomposerEEEEE10hipError_tT0_T1_T2_jT3_P12ihipStream_tbPNSt15iterator_traitsISE_E10value_typeEPNSK_ISF_E10value_typeEPSG_NS1_7vsmem_tEENKUlT_SE_SF_SG_E_clIS8_S8_S9_S9_EESD_ST_SE_SF_SG_EUlST_E_NS1_11comp_targetILNS1_3genE0ELNS1_11target_archE4294967295ELNS1_3gpuE0ELNS1_3repE0EEENS1_48merge_mergepath_partition_config_static_selectorELNS0_4arch9wavefront6targetE1EEEvSF_
	.globl	_ZN7rocprim17ROCPRIM_400000_NS6detail17trampoline_kernelINS0_14default_configENS1_38merge_sort_block_merge_config_selectorIxNS0_10empty_typeEEEZZNS1_27merge_sort_block_merge_implIS3_PxPS5_jNS1_19radix_merge_compareILb0ELb0ExNS0_19identity_decomposerEEEEE10hipError_tT0_T1_T2_jT3_P12ihipStream_tbPNSt15iterator_traitsISE_E10value_typeEPNSK_ISF_E10value_typeEPSG_NS1_7vsmem_tEENKUlT_SE_SF_SG_E_clIS8_S8_S9_S9_EESD_ST_SE_SF_SG_EUlST_E_NS1_11comp_targetILNS1_3genE0ELNS1_11target_archE4294967295ELNS1_3gpuE0ELNS1_3repE0EEENS1_48merge_mergepath_partition_config_static_selectorELNS0_4arch9wavefront6targetE1EEEvSF_
	.p2align	8
	.type	_ZN7rocprim17ROCPRIM_400000_NS6detail17trampoline_kernelINS0_14default_configENS1_38merge_sort_block_merge_config_selectorIxNS0_10empty_typeEEEZZNS1_27merge_sort_block_merge_implIS3_PxPS5_jNS1_19radix_merge_compareILb0ELb0ExNS0_19identity_decomposerEEEEE10hipError_tT0_T1_T2_jT3_P12ihipStream_tbPNSt15iterator_traitsISE_E10value_typeEPNSK_ISF_E10value_typeEPSG_NS1_7vsmem_tEENKUlT_SE_SF_SG_E_clIS8_S8_S9_S9_EESD_ST_SE_SF_SG_EUlST_E_NS1_11comp_targetILNS1_3genE0ELNS1_11target_archE4294967295ELNS1_3gpuE0ELNS1_3repE0EEENS1_48merge_mergepath_partition_config_static_selectorELNS0_4arch9wavefront6targetE1EEEvSF_,@function
_ZN7rocprim17ROCPRIM_400000_NS6detail17trampoline_kernelINS0_14default_configENS1_38merge_sort_block_merge_config_selectorIxNS0_10empty_typeEEEZZNS1_27merge_sort_block_merge_implIS3_PxPS5_jNS1_19radix_merge_compareILb0ELb0ExNS0_19identity_decomposerEEEEE10hipError_tT0_T1_T2_jT3_P12ihipStream_tbPNSt15iterator_traitsISE_E10value_typeEPNSK_ISF_E10value_typeEPSG_NS1_7vsmem_tEENKUlT_SE_SF_SG_E_clIS8_S8_S9_S9_EESD_ST_SE_SF_SG_EUlST_E_NS1_11comp_targetILNS1_3genE0ELNS1_11target_archE4294967295ELNS1_3gpuE0ELNS1_3repE0EEENS1_48merge_mergepath_partition_config_static_selectorELNS0_4arch9wavefront6targetE1EEEvSF_: ; @_ZN7rocprim17ROCPRIM_400000_NS6detail17trampoline_kernelINS0_14default_configENS1_38merge_sort_block_merge_config_selectorIxNS0_10empty_typeEEEZZNS1_27merge_sort_block_merge_implIS3_PxPS5_jNS1_19radix_merge_compareILb0ELb0ExNS0_19identity_decomposerEEEEE10hipError_tT0_T1_T2_jT3_P12ihipStream_tbPNSt15iterator_traitsISE_E10value_typeEPNSK_ISF_E10value_typeEPSG_NS1_7vsmem_tEENKUlT_SE_SF_SG_E_clIS8_S8_S9_S9_EESD_ST_SE_SF_SG_EUlST_E_NS1_11comp_targetILNS1_3genE0ELNS1_11target_archE4294967295ELNS1_3gpuE0ELNS1_3repE0EEENS1_48merge_mergepath_partition_config_static_selectorELNS0_4arch9wavefront6targetE1EEEvSF_
; %bb.0:
	.section	.rodata,"a",@progbits
	.p2align	6, 0x0
	.amdhsa_kernel _ZN7rocprim17ROCPRIM_400000_NS6detail17trampoline_kernelINS0_14default_configENS1_38merge_sort_block_merge_config_selectorIxNS0_10empty_typeEEEZZNS1_27merge_sort_block_merge_implIS3_PxPS5_jNS1_19radix_merge_compareILb0ELb0ExNS0_19identity_decomposerEEEEE10hipError_tT0_T1_T2_jT3_P12ihipStream_tbPNSt15iterator_traitsISE_E10value_typeEPNSK_ISF_E10value_typeEPSG_NS1_7vsmem_tEENKUlT_SE_SF_SG_E_clIS8_S8_S9_S9_EESD_ST_SE_SF_SG_EUlST_E_NS1_11comp_targetILNS1_3genE0ELNS1_11target_archE4294967295ELNS1_3gpuE0ELNS1_3repE0EEENS1_48merge_mergepath_partition_config_static_selectorELNS0_4arch9wavefront6targetE1EEEvSF_
		.amdhsa_group_segment_fixed_size 0
		.amdhsa_private_segment_fixed_size 0
		.amdhsa_kernarg_size 40
		.amdhsa_user_sgpr_count 6
		.amdhsa_user_sgpr_private_segment_buffer 1
		.amdhsa_user_sgpr_dispatch_ptr 0
		.amdhsa_user_sgpr_queue_ptr 0
		.amdhsa_user_sgpr_kernarg_segment_ptr 1
		.amdhsa_user_sgpr_dispatch_id 0
		.amdhsa_user_sgpr_flat_scratch_init 0
		.amdhsa_user_sgpr_kernarg_preload_length 0
		.amdhsa_user_sgpr_kernarg_preload_offset 0
		.amdhsa_user_sgpr_private_segment_size 0
		.amdhsa_uses_dynamic_stack 0
		.amdhsa_system_sgpr_private_segment_wavefront_offset 0
		.amdhsa_system_sgpr_workgroup_id_x 1
		.amdhsa_system_sgpr_workgroup_id_y 0
		.amdhsa_system_sgpr_workgroup_id_z 0
		.amdhsa_system_sgpr_workgroup_info 0
		.amdhsa_system_vgpr_workitem_id 0
		.amdhsa_next_free_vgpr 1
		.amdhsa_next_free_sgpr 0
		.amdhsa_accum_offset 4
		.amdhsa_reserve_vcc 0
		.amdhsa_reserve_flat_scratch 0
		.amdhsa_float_round_mode_32 0
		.amdhsa_float_round_mode_16_64 0
		.amdhsa_float_denorm_mode_32 3
		.amdhsa_float_denorm_mode_16_64 3
		.amdhsa_dx10_clamp 1
		.amdhsa_ieee_mode 1
		.amdhsa_fp16_overflow 0
		.amdhsa_tg_split 0
		.amdhsa_exception_fp_ieee_invalid_op 0
		.amdhsa_exception_fp_denorm_src 0
		.amdhsa_exception_fp_ieee_div_zero 0
		.amdhsa_exception_fp_ieee_overflow 0
		.amdhsa_exception_fp_ieee_underflow 0
		.amdhsa_exception_fp_ieee_inexact 0
		.amdhsa_exception_int_div_zero 0
	.end_amdhsa_kernel
	.section	.text._ZN7rocprim17ROCPRIM_400000_NS6detail17trampoline_kernelINS0_14default_configENS1_38merge_sort_block_merge_config_selectorIxNS0_10empty_typeEEEZZNS1_27merge_sort_block_merge_implIS3_PxPS5_jNS1_19radix_merge_compareILb0ELb0ExNS0_19identity_decomposerEEEEE10hipError_tT0_T1_T2_jT3_P12ihipStream_tbPNSt15iterator_traitsISE_E10value_typeEPNSK_ISF_E10value_typeEPSG_NS1_7vsmem_tEENKUlT_SE_SF_SG_E_clIS8_S8_S9_S9_EESD_ST_SE_SF_SG_EUlST_E_NS1_11comp_targetILNS1_3genE0ELNS1_11target_archE4294967295ELNS1_3gpuE0ELNS1_3repE0EEENS1_48merge_mergepath_partition_config_static_selectorELNS0_4arch9wavefront6targetE1EEEvSF_,"axG",@progbits,_ZN7rocprim17ROCPRIM_400000_NS6detail17trampoline_kernelINS0_14default_configENS1_38merge_sort_block_merge_config_selectorIxNS0_10empty_typeEEEZZNS1_27merge_sort_block_merge_implIS3_PxPS5_jNS1_19radix_merge_compareILb0ELb0ExNS0_19identity_decomposerEEEEE10hipError_tT0_T1_T2_jT3_P12ihipStream_tbPNSt15iterator_traitsISE_E10value_typeEPNSK_ISF_E10value_typeEPSG_NS1_7vsmem_tEENKUlT_SE_SF_SG_E_clIS8_S8_S9_S9_EESD_ST_SE_SF_SG_EUlST_E_NS1_11comp_targetILNS1_3genE0ELNS1_11target_archE4294967295ELNS1_3gpuE0ELNS1_3repE0EEENS1_48merge_mergepath_partition_config_static_selectorELNS0_4arch9wavefront6targetE1EEEvSF_,comdat
.Lfunc_end1016:
	.size	_ZN7rocprim17ROCPRIM_400000_NS6detail17trampoline_kernelINS0_14default_configENS1_38merge_sort_block_merge_config_selectorIxNS0_10empty_typeEEEZZNS1_27merge_sort_block_merge_implIS3_PxPS5_jNS1_19radix_merge_compareILb0ELb0ExNS0_19identity_decomposerEEEEE10hipError_tT0_T1_T2_jT3_P12ihipStream_tbPNSt15iterator_traitsISE_E10value_typeEPNSK_ISF_E10value_typeEPSG_NS1_7vsmem_tEENKUlT_SE_SF_SG_E_clIS8_S8_S9_S9_EESD_ST_SE_SF_SG_EUlST_E_NS1_11comp_targetILNS1_3genE0ELNS1_11target_archE4294967295ELNS1_3gpuE0ELNS1_3repE0EEENS1_48merge_mergepath_partition_config_static_selectorELNS0_4arch9wavefront6targetE1EEEvSF_, .Lfunc_end1016-_ZN7rocprim17ROCPRIM_400000_NS6detail17trampoline_kernelINS0_14default_configENS1_38merge_sort_block_merge_config_selectorIxNS0_10empty_typeEEEZZNS1_27merge_sort_block_merge_implIS3_PxPS5_jNS1_19radix_merge_compareILb0ELb0ExNS0_19identity_decomposerEEEEE10hipError_tT0_T1_T2_jT3_P12ihipStream_tbPNSt15iterator_traitsISE_E10value_typeEPNSK_ISF_E10value_typeEPSG_NS1_7vsmem_tEENKUlT_SE_SF_SG_E_clIS8_S8_S9_S9_EESD_ST_SE_SF_SG_EUlST_E_NS1_11comp_targetILNS1_3genE0ELNS1_11target_archE4294967295ELNS1_3gpuE0ELNS1_3repE0EEENS1_48merge_mergepath_partition_config_static_selectorELNS0_4arch9wavefront6targetE1EEEvSF_
                                        ; -- End function
	.section	.AMDGPU.csdata,"",@progbits
; Kernel info:
; codeLenInByte = 0
; NumSgprs: 4
; NumVgprs: 0
; NumAgprs: 0
; TotalNumVgprs: 0
; ScratchSize: 0
; MemoryBound: 0
; FloatMode: 240
; IeeeMode: 1
; LDSByteSize: 0 bytes/workgroup (compile time only)
; SGPRBlocks: 0
; VGPRBlocks: 0
; NumSGPRsForWavesPerEU: 4
; NumVGPRsForWavesPerEU: 1
; AccumOffset: 4
; Occupancy: 8
; WaveLimiterHint : 0
; COMPUTE_PGM_RSRC2:SCRATCH_EN: 0
; COMPUTE_PGM_RSRC2:USER_SGPR: 6
; COMPUTE_PGM_RSRC2:TRAP_HANDLER: 0
; COMPUTE_PGM_RSRC2:TGID_X_EN: 1
; COMPUTE_PGM_RSRC2:TGID_Y_EN: 0
; COMPUTE_PGM_RSRC2:TGID_Z_EN: 0
; COMPUTE_PGM_RSRC2:TIDIG_COMP_CNT: 0
; COMPUTE_PGM_RSRC3_GFX90A:ACCUM_OFFSET: 0
; COMPUTE_PGM_RSRC3_GFX90A:TG_SPLIT: 0
	.section	.text._ZN7rocprim17ROCPRIM_400000_NS6detail17trampoline_kernelINS0_14default_configENS1_38merge_sort_block_merge_config_selectorIxNS0_10empty_typeEEEZZNS1_27merge_sort_block_merge_implIS3_PxPS5_jNS1_19radix_merge_compareILb0ELb0ExNS0_19identity_decomposerEEEEE10hipError_tT0_T1_T2_jT3_P12ihipStream_tbPNSt15iterator_traitsISE_E10value_typeEPNSK_ISF_E10value_typeEPSG_NS1_7vsmem_tEENKUlT_SE_SF_SG_E_clIS8_S8_S9_S9_EESD_ST_SE_SF_SG_EUlST_E_NS1_11comp_targetILNS1_3genE10ELNS1_11target_archE1201ELNS1_3gpuE5ELNS1_3repE0EEENS1_48merge_mergepath_partition_config_static_selectorELNS0_4arch9wavefront6targetE1EEEvSF_,"axG",@progbits,_ZN7rocprim17ROCPRIM_400000_NS6detail17trampoline_kernelINS0_14default_configENS1_38merge_sort_block_merge_config_selectorIxNS0_10empty_typeEEEZZNS1_27merge_sort_block_merge_implIS3_PxPS5_jNS1_19radix_merge_compareILb0ELb0ExNS0_19identity_decomposerEEEEE10hipError_tT0_T1_T2_jT3_P12ihipStream_tbPNSt15iterator_traitsISE_E10value_typeEPNSK_ISF_E10value_typeEPSG_NS1_7vsmem_tEENKUlT_SE_SF_SG_E_clIS8_S8_S9_S9_EESD_ST_SE_SF_SG_EUlST_E_NS1_11comp_targetILNS1_3genE10ELNS1_11target_archE1201ELNS1_3gpuE5ELNS1_3repE0EEENS1_48merge_mergepath_partition_config_static_selectorELNS0_4arch9wavefront6targetE1EEEvSF_,comdat
	.protected	_ZN7rocprim17ROCPRIM_400000_NS6detail17trampoline_kernelINS0_14default_configENS1_38merge_sort_block_merge_config_selectorIxNS0_10empty_typeEEEZZNS1_27merge_sort_block_merge_implIS3_PxPS5_jNS1_19radix_merge_compareILb0ELb0ExNS0_19identity_decomposerEEEEE10hipError_tT0_T1_T2_jT3_P12ihipStream_tbPNSt15iterator_traitsISE_E10value_typeEPNSK_ISF_E10value_typeEPSG_NS1_7vsmem_tEENKUlT_SE_SF_SG_E_clIS8_S8_S9_S9_EESD_ST_SE_SF_SG_EUlST_E_NS1_11comp_targetILNS1_3genE10ELNS1_11target_archE1201ELNS1_3gpuE5ELNS1_3repE0EEENS1_48merge_mergepath_partition_config_static_selectorELNS0_4arch9wavefront6targetE1EEEvSF_ ; -- Begin function _ZN7rocprim17ROCPRIM_400000_NS6detail17trampoline_kernelINS0_14default_configENS1_38merge_sort_block_merge_config_selectorIxNS0_10empty_typeEEEZZNS1_27merge_sort_block_merge_implIS3_PxPS5_jNS1_19radix_merge_compareILb0ELb0ExNS0_19identity_decomposerEEEEE10hipError_tT0_T1_T2_jT3_P12ihipStream_tbPNSt15iterator_traitsISE_E10value_typeEPNSK_ISF_E10value_typeEPSG_NS1_7vsmem_tEENKUlT_SE_SF_SG_E_clIS8_S8_S9_S9_EESD_ST_SE_SF_SG_EUlST_E_NS1_11comp_targetILNS1_3genE10ELNS1_11target_archE1201ELNS1_3gpuE5ELNS1_3repE0EEENS1_48merge_mergepath_partition_config_static_selectorELNS0_4arch9wavefront6targetE1EEEvSF_
	.globl	_ZN7rocprim17ROCPRIM_400000_NS6detail17trampoline_kernelINS0_14default_configENS1_38merge_sort_block_merge_config_selectorIxNS0_10empty_typeEEEZZNS1_27merge_sort_block_merge_implIS3_PxPS5_jNS1_19radix_merge_compareILb0ELb0ExNS0_19identity_decomposerEEEEE10hipError_tT0_T1_T2_jT3_P12ihipStream_tbPNSt15iterator_traitsISE_E10value_typeEPNSK_ISF_E10value_typeEPSG_NS1_7vsmem_tEENKUlT_SE_SF_SG_E_clIS8_S8_S9_S9_EESD_ST_SE_SF_SG_EUlST_E_NS1_11comp_targetILNS1_3genE10ELNS1_11target_archE1201ELNS1_3gpuE5ELNS1_3repE0EEENS1_48merge_mergepath_partition_config_static_selectorELNS0_4arch9wavefront6targetE1EEEvSF_
	.p2align	8
	.type	_ZN7rocprim17ROCPRIM_400000_NS6detail17trampoline_kernelINS0_14default_configENS1_38merge_sort_block_merge_config_selectorIxNS0_10empty_typeEEEZZNS1_27merge_sort_block_merge_implIS3_PxPS5_jNS1_19radix_merge_compareILb0ELb0ExNS0_19identity_decomposerEEEEE10hipError_tT0_T1_T2_jT3_P12ihipStream_tbPNSt15iterator_traitsISE_E10value_typeEPNSK_ISF_E10value_typeEPSG_NS1_7vsmem_tEENKUlT_SE_SF_SG_E_clIS8_S8_S9_S9_EESD_ST_SE_SF_SG_EUlST_E_NS1_11comp_targetILNS1_3genE10ELNS1_11target_archE1201ELNS1_3gpuE5ELNS1_3repE0EEENS1_48merge_mergepath_partition_config_static_selectorELNS0_4arch9wavefront6targetE1EEEvSF_,@function
_ZN7rocprim17ROCPRIM_400000_NS6detail17trampoline_kernelINS0_14default_configENS1_38merge_sort_block_merge_config_selectorIxNS0_10empty_typeEEEZZNS1_27merge_sort_block_merge_implIS3_PxPS5_jNS1_19radix_merge_compareILb0ELb0ExNS0_19identity_decomposerEEEEE10hipError_tT0_T1_T2_jT3_P12ihipStream_tbPNSt15iterator_traitsISE_E10value_typeEPNSK_ISF_E10value_typeEPSG_NS1_7vsmem_tEENKUlT_SE_SF_SG_E_clIS8_S8_S9_S9_EESD_ST_SE_SF_SG_EUlST_E_NS1_11comp_targetILNS1_3genE10ELNS1_11target_archE1201ELNS1_3gpuE5ELNS1_3repE0EEENS1_48merge_mergepath_partition_config_static_selectorELNS0_4arch9wavefront6targetE1EEEvSF_: ; @_ZN7rocprim17ROCPRIM_400000_NS6detail17trampoline_kernelINS0_14default_configENS1_38merge_sort_block_merge_config_selectorIxNS0_10empty_typeEEEZZNS1_27merge_sort_block_merge_implIS3_PxPS5_jNS1_19radix_merge_compareILb0ELb0ExNS0_19identity_decomposerEEEEE10hipError_tT0_T1_T2_jT3_P12ihipStream_tbPNSt15iterator_traitsISE_E10value_typeEPNSK_ISF_E10value_typeEPSG_NS1_7vsmem_tEENKUlT_SE_SF_SG_E_clIS8_S8_S9_S9_EESD_ST_SE_SF_SG_EUlST_E_NS1_11comp_targetILNS1_3genE10ELNS1_11target_archE1201ELNS1_3gpuE5ELNS1_3repE0EEENS1_48merge_mergepath_partition_config_static_selectorELNS0_4arch9wavefront6targetE1EEEvSF_
; %bb.0:
	.section	.rodata,"a",@progbits
	.p2align	6, 0x0
	.amdhsa_kernel _ZN7rocprim17ROCPRIM_400000_NS6detail17trampoline_kernelINS0_14default_configENS1_38merge_sort_block_merge_config_selectorIxNS0_10empty_typeEEEZZNS1_27merge_sort_block_merge_implIS3_PxPS5_jNS1_19radix_merge_compareILb0ELb0ExNS0_19identity_decomposerEEEEE10hipError_tT0_T1_T2_jT3_P12ihipStream_tbPNSt15iterator_traitsISE_E10value_typeEPNSK_ISF_E10value_typeEPSG_NS1_7vsmem_tEENKUlT_SE_SF_SG_E_clIS8_S8_S9_S9_EESD_ST_SE_SF_SG_EUlST_E_NS1_11comp_targetILNS1_3genE10ELNS1_11target_archE1201ELNS1_3gpuE5ELNS1_3repE0EEENS1_48merge_mergepath_partition_config_static_selectorELNS0_4arch9wavefront6targetE1EEEvSF_
		.amdhsa_group_segment_fixed_size 0
		.amdhsa_private_segment_fixed_size 0
		.amdhsa_kernarg_size 40
		.amdhsa_user_sgpr_count 6
		.amdhsa_user_sgpr_private_segment_buffer 1
		.amdhsa_user_sgpr_dispatch_ptr 0
		.amdhsa_user_sgpr_queue_ptr 0
		.amdhsa_user_sgpr_kernarg_segment_ptr 1
		.amdhsa_user_sgpr_dispatch_id 0
		.amdhsa_user_sgpr_flat_scratch_init 0
		.amdhsa_user_sgpr_kernarg_preload_length 0
		.amdhsa_user_sgpr_kernarg_preload_offset 0
		.amdhsa_user_sgpr_private_segment_size 0
		.amdhsa_uses_dynamic_stack 0
		.amdhsa_system_sgpr_private_segment_wavefront_offset 0
		.amdhsa_system_sgpr_workgroup_id_x 1
		.amdhsa_system_sgpr_workgroup_id_y 0
		.amdhsa_system_sgpr_workgroup_id_z 0
		.amdhsa_system_sgpr_workgroup_info 0
		.amdhsa_system_vgpr_workitem_id 0
		.amdhsa_next_free_vgpr 1
		.amdhsa_next_free_sgpr 0
		.amdhsa_accum_offset 4
		.amdhsa_reserve_vcc 0
		.amdhsa_reserve_flat_scratch 0
		.amdhsa_float_round_mode_32 0
		.amdhsa_float_round_mode_16_64 0
		.amdhsa_float_denorm_mode_32 3
		.amdhsa_float_denorm_mode_16_64 3
		.amdhsa_dx10_clamp 1
		.amdhsa_ieee_mode 1
		.amdhsa_fp16_overflow 0
		.amdhsa_tg_split 0
		.amdhsa_exception_fp_ieee_invalid_op 0
		.amdhsa_exception_fp_denorm_src 0
		.amdhsa_exception_fp_ieee_div_zero 0
		.amdhsa_exception_fp_ieee_overflow 0
		.amdhsa_exception_fp_ieee_underflow 0
		.amdhsa_exception_fp_ieee_inexact 0
		.amdhsa_exception_int_div_zero 0
	.end_amdhsa_kernel
	.section	.text._ZN7rocprim17ROCPRIM_400000_NS6detail17trampoline_kernelINS0_14default_configENS1_38merge_sort_block_merge_config_selectorIxNS0_10empty_typeEEEZZNS1_27merge_sort_block_merge_implIS3_PxPS5_jNS1_19radix_merge_compareILb0ELb0ExNS0_19identity_decomposerEEEEE10hipError_tT0_T1_T2_jT3_P12ihipStream_tbPNSt15iterator_traitsISE_E10value_typeEPNSK_ISF_E10value_typeEPSG_NS1_7vsmem_tEENKUlT_SE_SF_SG_E_clIS8_S8_S9_S9_EESD_ST_SE_SF_SG_EUlST_E_NS1_11comp_targetILNS1_3genE10ELNS1_11target_archE1201ELNS1_3gpuE5ELNS1_3repE0EEENS1_48merge_mergepath_partition_config_static_selectorELNS0_4arch9wavefront6targetE1EEEvSF_,"axG",@progbits,_ZN7rocprim17ROCPRIM_400000_NS6detail17trampoline_kernelINS0_14default_configENS1_38merge_sort_block_merge_config_selectorIxNS0_10empty_typeEEEZZNS1_27merge_sort_block_merge_implIS3_PxPS5_jNS1_19radix_merge_compareILb0ELb0ExNS0_19identity_decomposerEEEEE10hipError_tT0_T1_T2_jT3_P12ihipStream_tbPNSt15iterator_traitsISE_E10value_typeEPNSK_ISF_E10value_typeEPSG_NS1_7vsmem_tEENKUlT_SE_SF_SG_E_clIS8_S8_S9_S9_EESD_ST_SE_SF_SG_EUlST_E_NS1_11comp_targetILNS1_3genE10ELNS1_11target_archE1201ELNS1_3gpuE5ELNS1_3repE0EEENS1_48merge_mergepath_partition_config_static_selectorELNS0_4arch9wavefront6targetE1EEEvSF_,comdat
.Lfunc_end1017:
	.size	_ZN7rocprim17ROCPRIM_400000_NS6detail17trampoline_kernelINS0_14default_configENS1_38merge_sort_block_merge_config_selectorIxNS0_10empty_typeEEEZZNS1_27merge_sort_block_merge_implIS3_PxPS5_jNS1_19radix_merge_compareILb0ELb0ExNS0_19identity_decomposerEEEEE10hipError_tT0_T1_T2_jT3_P12ihipStream_tbPNSt15iterator_traitsISE_E10value_typeEPNSK_ISF_E10value_typeEPSG_NS1_7vsmem_tEENKUlT_SE_SF_SG_E_clIS8_S8_S9_S9_EESD_ST_SE_SF_SG_EUlST_E_NS1_11comp_targetILNS1_3genE10ELNS1_11target_archE1201ELNS1_3gpuE5ELNS1_3repE0EEENS1_48merge_mergepath_partition_config_static_selectorELNS0_4arch9wavefront6targetE1EEEvSF_, .Lfunc_end1017-_ZN7rocprim17ROCPRIM_400000_NS6detail17trampoline_kernelINS0_14default_configENS1_38merge_sort_block_merge_config_selectorIxNS0_10empty_typeEEEZZNS1_27merge_sort_block_merge_implIS3_PxPS5_jNS1_19radix_merge_compareILb0ELb0ExNS0_19identity_decomposerEEEEE10hipError_tT0_T1_T2_jT3_P12ihipStream_tbPNSt15iterator_traitsISE_E10value_typeEPNSK_ISF_E10value_typeEPSG_NS1_7vsmem_tEENKUlT_SE_SF_SG_E_clIS8_S8_S9_S9_EESD_ST_SE_SF_SG_EUlST_E_NS1_11comp_targetILNS1_3genE10ELNS1_11target_archE1201ELNS1_3gpuE5ELNS1_3repE0EEENS1_48merge_mergepath_partition_config_static_selectorELNS0_4arch9wavefront6targetE1EEEvSF_
                                        ; -- End function
	.section	.AMDGPU.csdata,"",@progbits
; Kernel info:
; codeLenInByte = 0
; NumSgprs: 4
; NumVgprs: 0
; NumAgprs: 0
; TotalNumVgprs: 0
; ScratchSize: 0
; MemoryBound: 0
; FloatMode: 240
; IeeeMode: 1
; LDSByteSize: 0 bytes/workgroup (compile time only)
; SGPRBlocks: 0
; VGPRBlocks: 0
; NumSGPRsForWavesPerEU: 4
; NumVGPRsForWavesPerEU: 1
; AccumOffset: 4
; Occupancy: 8
; WaveLimiterHint : 0
; COMPUTE_PGM_RSRC2:SCRATCH_EN: 0
; COMPUTE_PGM_RSRC2:USER_SGPR: 6
; COMPUTE_PGM_RSRC2:TRAP_HANDLER: 0
; COMPUTE_PGM_RSRC2:TGID_X_EN: 1
; COMPUTE_PGM_RSRC2:TGID_Y_EN: 0
; COMPUTE_PGM_RSRC2:TGID_Z_EN: 0
; COMPUTE_PGM_RSRC2:TIDIG_COMP_CNT: 0
; COMPUTE_PGM_RSRC3_GFX90A:ACCUM_OFFSET: 0
; COMPUTE_PGM_RSRC3_GFX90A:TG_SPLIT: 0
	.section	.text._ZN7rocprim17ROCPRIM_400000_NS6detail17trampoline_kernelINS0_14default_configENS1_38merge_sort_block_merge_config_selectorIxNS0_10empty_typeEEEZZNS1_27merge_sort_block_merge_implIS3_PxPS5_jNS1_19radix_merge_compareILb0ELb0ExNS0_19identity_decomposerEEEEE10hipError_tT0_T1_T2_jT3_P12ihipStream_tbPNSt15iterator_traitsISE_E10value_typeEPNSK_ISF_E10value_typeEPSG_NS1_7vsmem_tEENKUlT_SE_SF_SG_E_clIS8_S8_S9_S9_EESD_ST_SE_SF_SG_EUlST_E_NS1_11comp_targetILNS1_3genE5ELNS1_11target_archE942ELNS1_3gpuE9ELNS1_3repE0EEENS1_48merge_mergepath_partition_config_static_selectorELNS0_4arch9wavefront6targetE1EEEvSF_,"axG",@progbits,_ZN7rocprim17ROCPRIM_400000_NS6detail17trampoline_kernelINS0_14default_configENS1_38merge_sort_block_merge_config_selectorIxNS0_10empty_typeEEEZZNS1_27merge_sort_block_merge_implIS3_PxPS5_jNS1_19radix_merge_compareILb0ELb0ExNS0_19identity_decomposerEEEEE10hipError_tT0_T1_T2_jT3_P12ihipStream_tbPNSt15iterator_traitsISE_E10value_typeEPNSK_ISF_E10value_typeEPSG_NS1_7vsmem_tEENKUlT_SE_SF_SG_E_clIS8_S8_S9_S9_EESD_ST_SE_SF_SG_EUlST_E_NS1_11comp_targetILNS1_3genE5ELNS1_11target_archE942ELNS1_3gpuE9ELNS1_3repE0EEENS1_48merge_mergepath_partition_config_static_selectorELNS0_4arch9wavefront6targetE1EEEvSF_,comdat
	.protected	_ZN7rocprim17ROCPRIM_400000_NS6detail17trampoline_kernelINS0_14default_configENS1_38merge_sort_block_merge_config_selectorIxNS0_10empty_typeEEEZZNS1_27merge_sort_block_merge_implIS3_PxPS5_jNS1_19radix_merge_compareILb0ELb0ExNS0_19identity_decomposerEEEEE10hipError_tT0_T1_T2_jT3_P12ihipStream_tbPNSt15iterator_traitsISE_E10value_typeEPNSK_ISF_E10value_typeEPSG_NS1_7vsmem_tEENKUlT_SE_SF_SG_E_clIS8_S8_S9_S9_EESD_ST_SE_SF_SG_EUlST_E_NS1_11comp_targetILNS1_3genE5ELNS1_11target_archE942ELNS1_3gpuE9ELNS1_3repE0EEENS1_48merge_mergepath_partition_config_static_selectorELNS0_4arch9wavefront6targetE1EEEvSF_ ; -- Begin function _ZN7rocprim17ROCPRIM_400000_NS6detail17trampoline_kernelINS0_14default_configENS1_38merge_sort_block_merge_config_selectorIxNS0_10empty_typeEEEZZNS1_27merge_sort_block_merge_implIS3_PxPS5_jNS1_19radix_merge_compareILb0ELb0ExNS0_19identity_decomposerEEEEE10hipError_tT0_T1_T2_jT3_P12ihipStream_tbPNSt15iterator_traitsISE_E10value_typeEPNSK_ISF_E10value_typeEPSG_NS1_7vsmem_tEENKUlT_SE_SF_SG_E_clIS8_S8_S9_S9_EESD_ST_SE_SF_SG_EUlST_E_NS1_11comp_targetILNS1_3genE5ELNS1_11target_archE942ELNS1_3gpuE9ELNS1_3repE0EEENS1_48merge_mergepath_partition_config_static_selectorELNS0_4arch9wavefront6targetE1EEEvSF_
	.globl	_ZN7rocprim17ROCPRIM_400000_NS6detail17trampoline_kernelINS0_14default_configENS1_38merge_sort_block_merge_config_selectorIxNS0_10empty_typeEEEZZNS1_27merge_sort_block_merge_implIS3_PxPS5_jNS1_19radix_merge_compareILb0ELb0ExNS0_19identity_decomposerEEEEE10hipError_tT0_T1_T2_jT3_P12ihipStream_tbPNSt15iterator_traitsISE_E10value_typeEPNSK_ISF_E10value_typeEPSG_NS1_7vsmem_tEENKUlT_SE_SF_SG_E_clIS8_S8_S9_S9_EESD_ST_SE_SF_SG_EUlST_E_NS1_11comp_targetILNS1_3genE5ELNS1_11target_archE942ELNS1_3gpuE9ELNS1_3repE0EEENS1_48merge_mergepath_partition_config_static_selectorELNS0_4arch9wavefront6targetE1EEEvSF_
	.p2align	8
	.type	_ZN7rocprim17ROCPRIM_400000_NS6detail17trampoline_kernelINS0_14default_configENS1_38merge_sort_block_merge_config_selectorIxNS0_10empty_typeEEEZZNS1_27merge_sort_block_merge_implIS3_PxPS5_jNS1_19radix_merge_compareILb0ELb0ExNS0_19identity_decomposerEEEEE10hipError_tT0_T1_T2_jT3_P12ihipStream_tbPNSt15iterator_traitsISE_E10value_typeEPNSK_ISF_E10value_typeEPSG_NS1_7vsmem_tEENKUlT_SE_SF_SG_E_clIS8_S8_S9_S9_EESD_ST_SE_SF_SG_EUlST_E_NS1_11comp_targetILNS1_3genE5ELNS1_11target_archE942ELNS1_3gpuE9ELNS1_3repE0EEENS1_48merge_mergepath_partition_config_static_selectorELNS0_4arch9wavefront6targetE1EEEvSF_,@function
_ZN7rocprim17ROCPRIM_400000_NS6detail17trampoline_kernelINS0_14default_configENS1_38merge_sort_block_merge_config_selectorIxNS0_10empty_typeEEEZZNS1_27merge_sort_block_merge_implIS3_PxPS5_jNS1_19radix_merge_compareILb0ELb0ExNS0_19identity_decomposerEEEEE10hipError_tT0_T1_T2_jT3_P12ihipStream_tbPNSt15iterator_traitsISE_E10value_typeEPNSK_ISF_E10value_typeEPSG_NS1_7vsmem_tEENKUlT_SE_SF_SG_E_clIS8_S8_S9_S9_EESD_ST_SE_SF_SG_EUlST_E_NS1_11comp_targetILNS1_3genE5ELNS1_11target_archE942ELNS1_3gpuE9ELNS1_3repE0EEENS1_48merge_mergepath_partition_config_static_selectorELNS0_4arch9wavefront6targetE1EEEvSF_: ; @_ZN7rocprim17ROCPRIM_400000_NS6detail17trampoline_kernelINS0_14default_configENS1_38merge_sort_block_merge_config_selectorIxNS0_10empty_typeEEEZZNS1_27merge_sort_block_merge_implIS3_PxPS5_jNS1_19radix_merge_compareILb0ELb0ExNS0_19identity_decomposerEEEEE10hipError_tT0_T1_T2_jT3_P12ihipStream_tbPNSt15iterator_traitsISE_E10value_typeEPNSK_ISF_E10value_typeEPSG_NS1_7vsmem_tEENKUlT_SE_SF_SG_E_clIS8_S8_S9_S9_EESD_ST_SE_SF_SG_EUlST_E_NS1_11comp_targetILNS1_3genE5ELNS1_11target_archE942ELNS1_3gpuE9ELNS1_3repE0EEENS1_48merge_mergepath_partition_config_static_selectorELNS0_4arch9wavefront6targetE1EEEvSF_
; %bb.0:
	.section	.rodata,"a",@progbits
	.p2align	6, 0x0
	.amdhsa_kernel _ZN7rocprim17ROCPRIM_400000_NS6detail17trampoline_kernelINS0_14default_configENS1_38merge_sort_block_merge_config_selectorIxNS0_10empty_typeEEEZZNS1_27merge_sort_block_merge_implIS3_PxPS5_jNS1_19radix_merge_compareILb0ELb0ExNS0_19identity_decomposerEEEEE10hipError_tT0_T1_T2_jT3_P12ihipStream_tbPNSt15iterator_traitsISE_E10value_typeEPNSK_ISF_E10value_typeEPSG_NS1_7vsmem_tEENKUlT_SE_SF_SG_E_clIS8_S8_S9_S9_EESD_ST_SE_SF_SG_EUlST_E_NS1_11comp_targetILNS1_3genE5ELNS1_11target_archE942ELNS1_3gpuE9ELNS1_3repE0EEENS1_48merge_mergepath_partition_config_static_selectorELNS0_4arch9wavefront6targetE1EEEvSF_
		.amdhsa_group_segment_fixed_size 0
		.amdhsa_private_segment_fixed_size 0
		.amdhsa_kernarg_size 40
		.amdhsa_user_sgpr_count 6
		.amdhsa_user_sgpr_private_segment_buffer 1
		.amdhsa_user_sgpr_dispatch_ptr 0
		.amdhsa_user_sgpr_queue_ptr 0
		.amdhsa_user_sgpr_kernarg_segment_ptr 1
		.amdhsa_user_sgpr_dispatch_id 0
		.amdhsa_user_sgpr_flat_scratch_init 0
		.amdhsa_user_sgpr_kernarg_preload_length 0
		.amdhsa_user_sgpr_kernarg_preload_offset 0
		.amdhsa_user_sgpr_private_segment_size 0
		.amdhsa_uses_dynamic_stack 0
		.amdhsa_system_sgpr_private_segment_wavefront_offset 0
		.amdhsa_system_sgpr_workgroup_id_x 1
		.amdhsa_system_sgpr_workgroup_id_y 0
		.amdhsa_system_sgpr_workgroup_id_z 0
		.amdhsa_system_sgpr_workgroup_info 0
		.amdhsa_system_vgpr_workitem_id 0
		.amdhsa_next_free_vgpr 1
		.amdhsa_next_free_sgpr 0
		.amdhsa_accum_offset 4
		.amdhsa_reserve_vcc 0
		.amdhsa_reserve_flat_scratch 0
		.amdhsa_float_round_mode_32 0
		.amdhsa_float_round_mode_16_64 0
		.amdhsa_float_denorm_mode_32 3
		.amdhsa_float_denorm_mode_16_64 3
		.amdhsa_dx10_clamp 1
		.amdhsa_ieee_mode 1
		.amdhsa_fp16_overflow 0
		.amdhsa_tg_split 0
		.amdhsa_exception_fp_ieee_invalid_op 0
		.amdhsa_exception_fp_denorm_src 0
		.amdhsa_exception_fp_ieee_div_zero 0
		.amdhsa_exception_fp_ieee_overflow 0
		.amdhsa_exception_fp_ieee_underflow 0
		.amdhsa_exception_fp_ieee_inexact 0
		.amdhsa_exception_int_div_zero 0
	.end_amdhsa_kernel
	.section	.text._ZN7rocprim17ROCPRIM_400000_NS6detail17trampoline_kernelINS0_14default_configENS1_38merge_sort_block_merge_config_selectorIxNS0_10empty_typeEEEZZNS1_27merge_sort_block_merge_implIS3_PxPS5_jNS1_19radix_merge_compareILb0ELb0ExNS0_19identity_decomposerEEEEE10hipError_tT0_T1_T2_jT3_P12ihipStream_tbPNSt15iterator_traitsISE_E10value_typeEPNSK_ISF_E10value_typeEPSG_NS1_7vsmem_tEENKUlT_SE_SF_SG_E_clIS8_S8_S9_S9_EESD_ST_SE_SF_SG_EUlST_E_NS1_11comp_targetILNS1_3genE5ELNS1_11target_archE942ELNS1_3gpuE9ELNS1_3repE0EEENS1_48merge_mergepath_partition_config_static_selectorELNS0_4arch9wavefront6targetE1EEEvSF_,"axG",@progbits,_ZN7rocprim17ROCPRIM_400000_NS6detail17trampoline_kernelINS0_14default_configENS1_38merge_sort_block_merge_config_selectorIxNS0_10empty_typeEEEZZNS1_27merge_sort_block_merge_implIS3_PxPS5_jNS1_19radix_merge_compareILb0ELb0ExNS0_19identity_decomposerEEEEE10hipError_tT0_T1_T2_jT3_P12ihipStream_tbPNSt15iterator_traitsISE_E10value_typeEPNSK_ISF_E10value_typeEPSG_NS1_7vsmem_tEENKUlT_SE_SF_SG_E_clIS8_S8_S9_S9_EESD_ST_SE_SF_SG_EUlST_E_NS1_11comp_targetILNS1_3genE5ELNS1_11target_archE942ELNS1_3gpuE9ELNS1_3repE0EEENS1_48merge_mergepath_partition_config_static_selectorELNS0_4arch9wavefront6targetE1EEEvSF_,comdat
.Lfunc_end1018:
	.size	_ZN7rocprim17ROCPRIM_400000_NS6detail17trampoline_kernelINS0_14default_configENS1_38merge_sort_block_merge_config_selectorIxNS0_10empty_typeEEEZZNS1_27merge_sort_block_merge_implIS3_PxPS5_jNS1_19radix_merge_compareILb0ELb0ExNS0_19identity_decomposerEEEEE10hipError_tT0_T1_T2_jT3_P12ihipStream_tbPNSt15iterator_traitsISE_E10value_typeEPNSK_ISF_E10value_typeEPSG_NS1_7vsmem_tEENKUlT_SE_SF_SG_E_clIS8_S8_S9_S9_EESD_ST_SE_SF_SG_EUlST_E_NS1_11comp_targetILNS1_3genE5ELNS1_11target_archE942ELNS1_3gpuE9ELNS1_3repE0EEENS1_48merge_mergepath_partition_config_static_selectorELNS0_4arch9wavefront6targetE1EEEvSF_, .Lfunc_end1018-_ZN7rocprim17ROCPRIM_400000_NS6detail17trampoline_kernelINS0_14default_configENS1_38merge_sort_block_merge_config_selectorIxNS0_10empty_typeEEEZZNS1_27merge_sort_block_merge_implIS3_PxPS5_jNS1_19radix_merge_compareILb0ELb0ExNS0_19identity_decomposerEEEEE10hipError_tT0_T1_T2_jT3_P12ihipStream_tbPNSt15iterator_traitsISE_E10value_typeEPNSK_ISF_E10value_typeEPSG_NS1_7vsmem_tEENKUlT_SE_SF_SG_E_clIS8_S8_S9_S9_EESD_ST_SE_SF_SG_EUlST_E_NS1_11comp_targetILNS1_3genE5ELNS1_11target_archE942ELNS1_3gpuE9ELNS1_3repE0EEENS1_48merge_mergepath_partition_config_static_selectorELNS0_4arch9wavefront6targetE1EEEvSF_
                                        ; -- End function
	.section	.AMDGPU.csdata,"",@progbits
; Kernel info:
; codeLenInByte = 0
; NumSgprs: 4
; NumVgprs: 0
; NumAgprs: 0
; TotalNumVgprs: 0
; ScratchSize: 0
; MemoryBound: 0
; FloatMode: 240
; IeeeMode: 1
; LDSByteSize: 0 bytes/workgroup (compile time only)
; SGPRBlocks: 0
; VGPRBlocks: 0
; NumSGPRsForWavesPerEU: 4
; NumVGPRsForWavesPerEU: 1
; AccumOffset: 4
; Occupancy: 8
; WaveLimiterHint : 0
; COMPUTE_PGM_RSRC2:SCRATCH_EN: 0
; COMPUTE_PGM_RSRC2:USER_SGPR: 6
; COMPUTE_PGM_RSRC2:TRAP_HANDLER: 0
; COMPUTE_PGM_RSRC2:TGID_X_EN: 1
; COMPUTE_PGM_RSRC2:TGID_Y_EN: 0
; COMPUTE_PGM_RSRC2:TGID_Z_EN: 0
; COMPUTE_PGM_RSRC2:TIDIG_COMP_CNT: 0
; COMPUTE_PGM_RSRC3_GFX90A:ACCUM_OFFSET: 0
; COMPUTE_PGM_RSRC3_GFX90A:TG_SPLIT: 0
	.section	.text._ZN7rocprim17ROCPRIM_400000_NS6detail17trampoline_kernelINS0_14default_configENS1_38merge_sort_block_merge_config_selectorIxNS0_10empty_typeEEEZZNS1_27merge_sort_block_merge_implIS3_PxPS5_jNS1_19radix_merge_compareILb0ELb0ExNS0_19identity_decomposerEEEEE10hipError_tT0_T1_T2_jT3_P12ihipStream_tbPNSt15iterator_traitsISE_E10value_typeEPNSK_ISF_E10value_typeEPSG_NS1_7vsmem_tEENKUlT_SE_SF_SG_E_clIS8_S8_S9_S9_EESD_ST_SE_SF_SG_EUlST_E_NS1_11comp_targetILNS1_3genE4ELNS1_11target_archE910ELNS1_3gpuE8ELNS1_3repE0EEENS1_48merge_mergepath_partition_config_static_selectorELNS0_4arch9wavefront6targetE1EEEvSF_,"axG",@progbits,_ZN7rocprim17ROCPRIM_400000_NS6detail17trampoline_kernelINS0_14default_configENS1_38merge_sort_block_merge_config_selectorIxNS0_10empty_typeEEEZZNS1_27merge_sort_block_merge_implIS3_PxPS5_jNS1_19radix_merge_compareILb0ELb0ExNS0_19identity_decomposerEEEEE10hipError_tT0_T1_T2_jT3_P12ihipStream_tbPNSt15iterator_traitsISE_E10value_typeEPNSK_ISF_E10value_typeEPSG_NS1_7vsmem_tEENKUlT_SE_SF_SG_E_clIS8_S8_S9_S9_EESD_ST_SE_SF_SG_EUlST_E_NS1_11comp_targetILNS1_3genE4ELNS1_11target_archE910ELNS1_3gpuE8ELNS1_3repE0EEENS1_48merge_mergepath_partition_config_static_selectorELNS0_4arch9wavefront6targetE1EEEvSF_,comdat
	.protected	_ZN7rocprim17ROCPRIM_400000_NS6detail17trampoline_kernelINS0_14default_configENS1_38merge_sort_block_merge_config_selectorIxNS0_10empty_typeEEEZZNS1_27merge_sort_block_merge_implIS3_PxPS5_jNS1_19radix_merge_compareILb0ELb0ExNS0_19identity_decomposerEEEEE10hipError_tT0_T1_T2_jT3_P12ihipStream_tbPNSt15iterator_traitsISE_E10value_typeEPNSK_ISF_E10value_typeEPSG_NS1_7vsmem_tEENKUlT_SE_SF_SG_E_clIS8_S8_S9_S9_EESD_ST_SE_SF_SG_EUlST_E_NS1_11comp_targetILNS1_3genE4ELNS1_11target_archE910ELNS1_3gpuE8ELNS1_3repE0EEENS1_48merge_mergepath_partition_config_static_selectorELNS0_4arch9wavefront6targetE1EEEvSF_ ; -- Begin function _ZN7rocprim17ROCPRIM_400000_NS6detail17trampoline_kernelINS0_14default_configENS1_38merge_sort_block_merge_config_selectorIxNS0_10empty_typeEEEZZNS1_27merge_sort_block_merge_implIS3_PxPS5_jNS1_19radix_merge_compareILb0ELb0ExNS0_19identity_decomposerEEEEE10hipError_tT0_T1_T2_jT3_P12ihipStream_tbPNSt15iterator_traitsISE_E10value_typeEPNSK_ISF_E10value_typeEPSG_NS1_7vsmem_tEENKUlT_SE_SF_SG_E_clIS8_S8_S9_S9_EESD_ST_SE_SF_SG_EUlST_E_NS1_11comp_targetILNS1_3genE4ELNS1_11target_archE910ELNS1_3gpuE8ELNS1_3repE0EEENS1_48merge_mergepath_partition_config_static_selectorELNS0_4arch9wavefront6targetE1EEEvSF_
	.globl	_ZN7rocprim17ROCPRIM_400000_NS6detail17trampoline_kernelINS0_14default_configENS1_38merge_sort_block_merge_config_selectorIxNS0_10empty_typeEEEZZNS1_27merge_sort_block_merge_implIS3_PxPS5_jNS1_19radix_merge_compareILb0ELb0ExNS0_19identity_decomposerEEEEE10hipError_tT0_T1_T2_jT3_P12ihipStream_tbPNSt15iterator_traitsISE_E10value_typeEPNSK_ISF_E10value_typeEPSG_NS1_7vsmem_tEENKUlT_SE_SF_SG_E_clIS8_S8_S9_S9_EESD_ST_SE_SF_SG_EUlST_E_NS1_11comp_targetILNS1_3genE4ELNS1_11target_archE910ELNS1_3gpuE8ELNS1_3repE0EEENS1_48merge_mergepath_partition_config_static_selectorELNS0_4arch9wavefront6targetE1EEEvSF_
	.p2align	8
	.type	_ZN7rocprim17ROCPRIM_400000_NS6detail17trampoline_kernelINS0_14default_configENS1_38merge_sort_block_merge_config_selectorIxNS0_10empty_typeEEEZZNS1_27merge_sort_block_merge_implIS3_PxPS5_jNS1_19radix_merge_compareILb0ELb0ExNS0_19identity_decomposerEEEEE10hipError_tT0_T1_T2_jT3_P12ihipStream_tbPNSt15iterator_traitsISE_E10value_typeEPNSK_ISF_E10value_typeEPSG_NS1_7vsmem_tEENKUlT_SE_SF_SG_E_clIS8_S8_S9_S9_EESD_ST_SE_SF_SG_EUlST_E_NS1_11comp_targetILNS1_3genE4ELNS1_11target_archE910ELNS1_3gpuE8ELNS1_3repE0EEENS1_48merge_mergepath_partition_config_static_selectorELNS0_4arch9wavefront6targetE1EEEvSF_,@function
_ZN7rocprim17ROCPRIM_400000_NS6detail17trampoline_kernelINS0_14default_configENS1_38merge_sort_block_merge_config_selectorIxNS0_10empty_typeEEEZZNS1_27merge_sort_block_merge_implIS3_PxPS5_jNS1_19radix_merge_compareILb0ELb0ExNS0_19identity_decomposerEEEEE10hipError_tT0_T1_T2_jT3_P12ihipStream_tbPNSt15iterator_traitsISE_E10value_typeEPNSK_ISF_E10value_typeEPSG_NS1_7vsmem_tEENKUlT_SE_SF_SG_E_clIS8_S8_S9_S9_EESD_ST_SE_SF_SG_EUlST_E_NS1_11comp_targetILNS1_3genE4ELNS1_11target_archE910ELNS1_3gpuE8ELNS1_3repE0EEENS1_48merge_mergepath_partition_config_static_selectorELNS0_4arch9wavefront6targetE1EEEvSF_: ; @_ZN7rocprim17ROCPRIM_400000_NS6detail17trampoline_kernelINS0_14default_configENS1_38merge_sort_block_merge_config_selectorIxNS0_10empty_typeEEEZZNS1_27merge_sort_block_merge_implIS3_PxPS5_jNS1_19radix_merge_compareILb0ELb0ExNS0_19identity_decomposerEEEEE10hipError_tT0_T1_T2_jT3_P12ihipStream_tbPNSt15iterator_traitsISE_E10value_typeEPNSK_ISF_E10value_typeEPSG_NS1_7vsmem_tEENKUlT_SE_SF_SG_E_clIS8_S8_S9_S9_EESD_ST_SE_SF_SG_EUlST_E_NS1_11comp_targetILNS1_3genE4ELNS1_11target_archE910ELNS1_3gpuE8ELNS1_3repE0EEENS1_48merge_mergepath_partition_config_static_selectorELNS0_4arch9wavefront6targetE1EEEvSF_
; %bb.0:
	s_load_dword s0, s[4:5], 0x0
	v_lshl_or_b32 v0, s6, 7, v0
	s_waitcnt lgkmcnt(0)
	v_cmp_gt_u32_e32 vcc, s0, v0
	s_and_saveexec_b64 s[0:1], vcc
	s_cbranch_execz .LBB1019_6
; %bb.1:
	s_load_dwordx2 s[2:3], s[4:5], 0x4
	s_load_dwordx2 s[0:1], s[4:5], 0x20
	s_waitcnt lgkmcnt(0)
	s_lshr_b32 s6, s2, 9
	s_and_b32 s6, s6, 0x7ffffe
	s_add_i32 s7, s6, -1
	s_sub_i32 s6, 0, s6
	v_and_b32_e32 v1, s6, v0
	v_lshlrev_b32_e32 v1, 10, v1
	v_min_u32_e32 v2, s3, v1
	v_add_u32_e32 v1, s2, v1
	v_min_u32_e32 v4, s3, v1
	v_add_u32_e32 v1, s2, v4
	v_and_b32_e32 v3, s7, v0
	v_min_u32_e32 v1, s3, v1
	v_sub_u32_e32 v5, v1, v2
	v_lshlrev_b32_e32 v3, 10, v3
	v_min_u32_e32 v6, v5, v3
	v_sub_u32_e32 v3, v4, v2
	v_sub_u32_e32 v1, v1, v4
	v_sub_u32_e64 v1, v6, v1 clamp
	v_min_u32_e32 v7, v6, v3
	v_cmp_lt_u32_e32 vcc, v1, v7
	s_and_saveexec_b64 s[2:3], vcc
	s_cbranch_execz .LBB1019_5
; %bb.2:
	s_load_dwordx2 s[4:5], s[4:5], 0x10
	v_mov_b32_e32 v5, 0
	v_mov_b32_e32 v3, v5
	v_lshlrev_b64 v[8:9], 3, v[2:3]
	v_lshlrev_b64 v[10:11], 3, v[4:5]
	s_waitcnt lgkmcnt(0)
	v_mov_b32_e32 v12, s5
	v_add_co_u32_e32 v3, vcc, s4, v8
	v_addc_co_u32_e32 v8, vcc, v12, v9, vcc
	v_add_co_u32_e32 v9, vcc, s4, v10
	v_addc_co_u32_e32 v10, vcc, v12, v11, vcc
	s_mov_b64 s[4:5], 0
.LBB1019_3:                             ; =>This Inner Loop Header: Depth=1
	v_add_u32_e32 v4, v7, v1
	v_lshrrev_b32_e32 v4, 1, v4
	v_lshlrev_b64 v[14:15], 3, v[4:5]
	v_mov_b32_e32 v13, v5
	v_xad_u32 v12, v4, -1, v6
	v_add_co_u32_e32 v14, vcc, v3, v14
	v_addc_co_u32_e32 v15, vcc, v8, v15, vcc
	v_lshlrev_b64 v[12:13], 3, v[12:13]
	v_add_co_u32_e32 v12, vcc, v9, v12
	v_addc_co_u32_e32 v13, vcc, v10, v13, vcc
	global_load_dwordx2 v[16:17], v[14:15], off
	global_load_dwordx2 v[18:19], v[12:13], off
	v_add_u32_e32 v11, 1, v4
	s_waitcnt vmcnt(0)
	v_cmp_gt_i64_e32 vcc, v[16:17], v[18:19]
	v_cndmask_b32_e32 v7, v7, v4, vcc
	v_cndmask_b32_e32 v1, v11, v1, vcc
	v_cmp_ge_u32_e32 vcc, v1, v7
	s_or_b64 s[4:5], vcc, s[4:5]
	s_andn2_b64 exec, exec, s[4:5]
	s_cbranch_execnz .LBB1019_3
; %bb.4:
	s_or_b64 exec, exec, s[4:5]
.LBB1019_5:
	s_or_b64 exec, exec, s[2:3]
	v_add_u32_e32 v2, v1, v2
	v_mov_b32_e32 v1, 0
	v_lshlrev_b64 v[0:1], 2, v[0:1]
	v_mov_b32_e32 v3, s1
	v_add_co_u32_e32 v0, vcc, s0, v0
	v_addc_co_u32_e32 v1, vcc, v3, v1, vcc
	global_store_dword v[0:1], v2, off
.LBB1019_6:
	s_endpgm
	.section	.rodata,"a",@progbits
	.p2align	6, 0x0
	.amdhsa_kernel _ZN7rocprim17ROCPRIM_400000_NS6detail17trampoline_kernelINS0_14default_configENS1_38merge_sort_block_merge_config_selectorIxNS0_10empty_typeEEEZZNS1_27merge_sort_block_merge_implIS3_PxPS5_jNS1_19radix_merge_compareILb0ELb0ExNS0_19identity_decomposerEEEEE10hipError_tT0_T1_T2_jT3_P12ihipStream_tbPNSt15iterator_traitsISE_E10value_typeEPNSK_ISF_E10value_typeEPSG_NS1_7vsmem_tEENKUlT_SE_SF_SG_E_clIS8_S8_S9_S9_EESD_ST_SE_SF_SG_EUlST_E_NS1_11comp_targetILNS1_3genE4ELNS1_11target_archE910ELNS1_3gpuE8ELNS1_3repE0EEENS1_48merge_mergepath_partition_config_static_selectorELNS0_4arch9wavefront6targetE1EEEvSF_
		.amdhsa_group_segment_fixed_size 0
		.amdhsa_private_segment_fixed_size 0
		.amdhsa_kernarg_size 40
		.amdhsa_user_sgpr_count 6
		.amdhsa_user_sgpr_private_segment_buffer 1
		.amdhsa_user_sgpr_dispatch_ptr 0
		.amdhsa_user_sgpr_queue_ptr 0
		.amdhsa_user_sgpr_kernarg_segment_ptr 1
		.amdhsa_user_sgpr_dispatch_id 0
		.amdhsa_user_sgpr_flat_scratch_init 0
		.amdhsa_user_sgpr_kernarg_preload_length 0
		.amdhsa_user_sgpr_kernarg_preload_offset 0
		.amdhsa_user_sgpr_private_segment_size 0
		.amdhsa_uses_dynamic_stack 0
		.amdhsa_system_sgpr_private_segment_wavefront_offset 0
		.amdhsa_system_sgpr_workgroup_id_x 1
		.amdhsa_system_sgpr_workgroup_id_y 0
		.amdhsa_system_sgpr_workgroup_id_z 0
		.amdhsa_system_sgpr_workgroup_info 0
		.amdhsa_system_vgpr_workitem_id 0
		.amdhsa_next_free_vgpr 20
		.amdhsa_next_free_sgpr 8
		.amdhsa_accum_offset 20
		.amdhsa_reserve_vcc 1
		.amdhsa_reserve_flat_scratch 0
		.amdhsa_float_round_mode_32 0
		.amdhsa_float_round_mode_16_64 0
		.amdhsa_float_denorm_mode_32 3
		.amdhsa_float_denorm_mode_16_64 3
		.amdhsa_dx10_clamp 1
		.amdhsa_ieee_mode 1
		.amdhsa_fp16_overflow 0
		.amdhsa_tg_split 0
		.amdhsa_exception_fp_ieee_invalid_op 0
		.amdhsa_exception_fp_denorm_src 0
		.amdhsa_exception_fp_ieee_div_zero 0
		.amdhsa_exception_fp_ieee_overflow 0
		.amdhsa_exception_fp_ieee_underflow 0
		.amdhsa_exception_fp_ieee_inexact 0
		.amdhsa_exception_int_div_zero 0
	.end_amdhsa_kernel
	.section	.text._ZN7rocprim17ROCPRIM_400000_NS6detail17trampoline_kernelINS0_14default_configENS1_38merge_sort_block_merge_config_selectorIxNS0_10empty_typeEEEZZNS1_27merge_sort_block_merge_implIS3_PxPS5_jNS1_19radix_merge_compareILb0ELb0ExNS0_19identity_decomposerEEEEE10hipError_tT0_T1_T2_jT3_P12ihipStream_tbPNSt15iterator_traitsISE_E10value_typeEPNSK_ISF_E10value_typeEPSG_NS1_7vsmem_tEENKUlT_SE_SF_SG_E_clIS8_S8_S9_S9_EESD_ST_SE_SF_SG_EUlST_E_NS1_11comp_targetILNS1_3genE4ELNS1_11target_archE910ELNS1_3gpuE8ELNS1_3repE0EEENS1_48merge_mergepath_partition_config_static_selectorELNS0_4arch9wavefront6targetE1EEEvSF_,"axG",@progbits,_ZN7rocprim17ROCPRIM_400000_NS6detail17trampoline_kernelINS0_14default_configENS1_38merge_sort_block_merge_config_selectorIxNS0_10empty_typeEEEZZNS1_27merge_sort_block_merge_implIS3_PxPS5_jNS1_19radix_merge_compareILb0ELb0ExNS0_19identity_decomposerEEEEE10hipError_tT0_T1_T2_jT3_P12ihipStream_tbPNSt15iterator_traitsISE_E10value_typeEPNSK_ISF_E10value_typeEPSG_NS1_7vsmem_tEENKUlT_SE_SF_SG_E_clIS8_S8_S9_S9_EESD_ST_SE_SF_SG_EUlST_E_NS1_11comp_targetILNS1_3genE4ELNS1_11target_archE910ELNS1_3gpuE8ELNS1_3repE0EEENS1_48merge_mergepath_partition_config_static_selectorELNS0_4arch9wavefront6targetE1EEEvSF_,comdat
.Lfunc_end1019:
	.size	_ZN7rocprim17ROCPRIM_400000_NS6detail17trampoline_kernelINS0_14default_configENS1_38merge_sort_block_merge_config_selectorIxNS0_10empty_typeEEEZZNS1_27merge_sort_block_merge_implIS3_PxPS5_jNS1_19radix_merge_compareILb0ELb0ExNS0_19identity_decomposerEEEEE10hipError_tT0_T1_T2_jT3_P12ihipStream_tbPNSt15iterator_traitsISE_E10value_typeEPNSK_ISF_E10value_typeEPSG_NS1_7vsmem_tEENKUlT_SE_SF_SG_E_clIS8_S8_S9_S9_EESD_ST_SE_SF_SG_EUlST_E_NS1_11comp_targetILNS1_3genE4ELNS1_11target_archE910ELNS1_3gpuE8ELNS1_3repE0EEENS1_48merge_mergepath_partition_config_static_selectorELNS0_4arch9wavefront6targetE1EEEvSF_, .Lfunc_end1019-_ZN7rocprim17ROCPRIM_400000_NS6detail17trampoline_kernelINS0_14default_configENS1_38merge_sort_block_merge_config_selectorIxNS0_10empty_typeEEEZZNS1_27merge_sort_block_merge_implIS3_PxPS5_jNS1_19radix_merge_compareILb0ELb0ExNS0_19identity_decomposerEEEEE10hipError_tT0_T1_T2_jT3_P12ihipStream_tbPNSt15iterator_traitsISE_E10value_typeEPNSK_ISF_E10value_typeEPSG_NS1_7vsmem_tEENKUlT_SE_SF_SG_E_clIS8_S8_S9_S9_EESD_ST_SE_SF_SG_EUlST_E_NS1_11comp_targetILNS1_3genE4ELNS1_11target_archE910ELNS1_3gpuE8ELNS1_3repE0EEENS1_48merge_mergepath_partition_config_static_selectorELNS0_4arch9wavefront6targetE1EEEvSF_
                                        ; -- End function
	.section	.AMDGPU.csdata,"",@progbits
; Kernel info:
; codeLenInByte = 360
; NumSgprs: 12
; NumVgprs: 20
; NumAgprs: 0
; TotalNumVgprs: 20
; ScratchSize: 0
; MemoryBound: 0
; FloatMode: 240
; IeeeMode: 1
; LDSByteSize: 0 bytes/workgroup (compile time only)
; SGPRBlocks: 1
; VGPRBlocks: 2
; NumSGPRsForWavesPerEU: 12
; NumVGPRsForWavesPerEU: 20
; AccumOffset: 20
; Occupancy: 8
; WaveLimiterHint : 0
; COMPUTE_PGM_RSRC2:SCRATCH_EN: 0
; COMPUTE_PGM_RSRC2:USER_SGPR: 6
; COMPUTE_PGM_RSRC2:TRAP_HANDLER: 0
; COMPUTE_PGM_RSRC2:TGID_X_EN: 1
; COMPUTE_PGM_RSRC2:TGID_Y_EN: 0
; COMPUTE_PGM_RSRC2:TGID_Z_EN: 0
; COMPUTE_PGM_RSRC2:TIDIG_COMP_CNT: 0
; COMPUTE_PGM_RSRC3_GFX90A:ACCUM_OFFSET: 4
; COMPUTE_PGM_RSRC3_GFX90A:TG_SPLIT: 0
	.section	.text._ZN7rocprim17ROCPRIM_400000_NS6detail17trampoline_kernelINS0_14default_configENS1_38merge_sort_block_merge_config_selectorIxNS0_10empty_typeEEEZZNS1_27merge_sort_block_merge_implIS3_PxPS5_jNS1_19radix_merge_compareILb0ELb0ExNS0_19identity_decomposerEEEEE10hipError_tT0_T1_T2_jT3_P12ihipStream_tbPNSt15iterator_traitsISE_E10value_typeEPNSK_ISF_E10value_typeEPSG_NS1_7vsmem_tEENKUlT_SE_SF_SG_E_clIS8_S8_S9_S9_EESD_ST_SE_SF_SG_EUlST_E_NS1_11comp_targetILNS1_3genE3ELNS1_11target_archE908ELNS1_3gpuE7ELNS1_3repE0EEENS1_48merge_mergepath_partition_config_static_selectorELNS0_4arch9wavefront6targetE1EEEvSF_,"axG",@progbits,_ZN7rocprim17ROCPRIM_400000_NS6detail17trampoline_kernelINS0_14default_configENS1_38merge_sort_block_merge_config_selectorIxNS0_10empty_typeEEEZZNS1_27merge_sort_block_merge_implIS3_PxPS5_jNS1_19radix_merge_compareILb0ELb0ExNS0_19identity_decomposerEEEEE10hipError_tT0_T1_T2_jT3_P12ihipStream_tbPNSt15iterator_traitsISE_E10value_typeEPNSK_ISF_E10value_typeEPSG_NS1_7vsmem_tEENKUlT_SE_SF_SG_E_clIS8_S8_S9_S9_EESD_ST_SE_SF_SG_EUlST_E_NS1_11comp_targetILNS1_3genE3ELNS1_11target_archE908ELNS1_3gpuE7ELNS1_3repE0EEENS1_48merge_mergepath_partition_config_static_selectorELNS0_4arch9wavefront6targetE1EEEvSF_,comdat
	.protected	_ZN7rocprim17ROCPRIM_400000_NS6detail17trampoline_kernelINS0_14default_configENS1_38merge_sort_block_merge_config_selectorIxNS0_10empty_typeEEEZZNS1_27merge_sort_block_merge_implIS3_PxPS5_jNS1_19radix_merge_compareILb0ELb0ExNS0_19identity_decomposerEEEEE10hipError_tT0_T1_T2_jT3_P12ihipStream_tbPNSt15iterator_traitsISE_E10value_typeEPNSK_ISF_E10value_typeEPSG_NS1_7vsmem_tEENKUlT_SE_SF_SG_E_clIS8_S8_S9_S9_EESD_ST_SE_SF_SG_EUlST_E_NS1_11comp_targetILNS1_3genE3ELNS1_11target_archE908ELNS1_3gpuE7ELNS1_3repE0EEENS1_48merge_mergepath_partition_config_static_selectorELNS0_4arch9wavefront6targetE1EEEvSF_ ; -- Begin function _ZN7rocprim17ROCPRIM_400000_NS6detail17trampoline_kernelINS0_14default_configENS1_38merge_sort_block_merge_config_selectorIxNS0_10empty_typeEEEZZNS1_27merge_sort_block_merge_implIS3_PxPS5_jNS1_19radix_merge_compareILb0ELb0ExNS0_19identity_decomposerEEEEE10hipError_tT0_T1_T2_jT3_P12ihipStream_tbPNSt15iterator_traitsISE_E10value_typeEPNSK_ISF_E10value_typeEPSG_NS1_7vsmem_tEENKUlT_SE_SF_SG_E_clIS8_S8_S9_S9_EESD_ST_SE_SF_SG_EUlST_E_NS1_11comp_targetILNS1_3genE3ELNS1_11target_archE908ELNS1_3gpuE7ELNS1_3repE0EEENS1_48merge_mergepath_partition_config_static_selectorELNS0_4arch9wavefront6targetE1EEEvSF_
	.globl	_ZN7rocprim17ROCPRIM_400000_NS6detail17trampoline_kernelINS0_14default_configENS1_38merge_sort_block_merge_config_selectorIxNS0_10empty_typeEEEZZNS1_27merge_sort_block_merge_implIS3_PxPS5_jNS1_19radix_merge_compareILb0ELb0ExNS0_19identity_decomposerEEEEE10hipError_tT0_T1_T2_jT3_P12ihipStream_tbPNSt15iterator_traitsISE_E10value_typeEPNSK_ISF_E10value_typeEPSG_NS1_7vsmem_tEENKUlT_SE_SF_SG_E_clIS8_S8_S9_S9_EESD_ST_SE_SF_SG_EUlST_E_NS1_11comp_targetILNS1_3genE3ELNS1_11target_archE908ELNS1_3gpuE7ELNS1_3repE0EEENS1_48merge_mergepath_partition_config_static_selectorELNS0_4arch9wavefront6targetE1EEEvSF_
	.p2align	8
	.type	_ZN7rocprim17ROCPRIM_400000_NS6detail17trampoline_kernelINS0_14default_configENS1_38merge_sort_block_merge_config_selectorIxNS0_10empty_typeEEEZZNS1_27merge_sort_block_merge_implIS3_PxPS5_jNS1_19radix_merge_compareILb0ELb0ExNS0_19identity_decomposerEEEEE10hipError_tT0_T1_T2_jT3_P12ihipStream_tbPNSt15iterator_traitsISE_E10value_typeEPNSK_ISF_E10value_typeEPSG_NS1_7vsmem_tEENKUlT_SE_SF_SG_E_clIS8_S8_S9_S9_EESD_ST_SE_SF_SG_EUlST_E_NS1_11comp_targetILNS1_3genE3ELNS1_11target_archE908ELNS1_3gpuE7ELNS1_3repE0EEENS1_48merge_mergepath_partition_config_static_selectorELNS0_4arch9wavefront6targetE1EEEvSF_,@function
_ZN7rocprim17ROCPRIM_400000_NS6detail17trampoline_kernelINS0_14default_configENS1_38merge_sort_block_merge_config_selectorIxNS0_10empty_typeEEEZZNS1_27merge_sort_block_merge_implIS3_PxPS5_jNS1_19radix_merge_compareILb0ELb0ExNS0_19identity_decomposerEEEEE10hipError_tT0_T1_T2_jT3_P12ihipStream_tbPNSt15iterator_traitsISE_E10value_typeEPNSK_ISF_E10value_typeEPSG_NS1_7vsmem_tEENKUlT_SE_SF_SG_E_clIS8_S8_S9_S9_EESD_ST_SE_SF_SG_EUlST_E_NS1_11comp_targetILNS1_3genE3ELNS1_11target_archE908ELNS1_3gpuE7ELNS1_3repE0EEENS1_48merge_mergepath_partition_config_static_selectorELNS0_4arch9wavefront6targetE1EEEvSF_: ; @_ZN7rocprim17ROCPRIM_400000_NS6detail17trampoline_kernelINS0_14default_configENS1_38merge_sort_block_merge_config_selectorIxNS0_10empty_typeEEEZZNS1_27merge_sort_block_merge_implIS3_PxPS5_jNS1_19radix_merge_compareILb0ELb0ExNS0_19identity_decomposerEEEEE10hipError_tT0_T1_T2_jT3_P12ihipStream_tbPNSt15iterator_traitsISE_E10value_typeEPNSK_ISF_E10value_typeEPSG_NS1_7vsmem_tEENKUlT_SE_SF_SG_E_clIS8_S8_S9_S9_EESD_ST_SE_SF_SG_EUlST_E_NS1_11comp_targetILNS1_3genE3ELNS1_11target_archE908ELNS1_3gpuE7ELNS1_3repE0EEENS1_48merge_mergepath_partition_config_static_selectorELNS0_4arch9wavefront6targetE1EEEvSF_
; %bb.0:
	.section	.rodata,"a",@progbits
	.p2align	6, 0x0
	.amdhsa_kernel _ZN7rocprim17ROCPRIM_400000_NS6detail17trampoline_kernelINS0_14default_configENS1_38merge_sort_block_merge_config_selectorIxNS0_10empty_typeEEEZZNS1_27merge_sort_block_merge_implIS3_PxPS5_jNS1_19radix_merge_compareILb0ELb0ExNS0_19identity_decomposerEEEEE10hipError_tT0_T1_T2_jT3_P12ihipStream_tbPNSt15iterator_traitsISE_E10value_typeEPNSK_ISF_E10value_typeEPSG_NS1_7vsmem_tEENKUlT_SE_SF_SG_E_clIS8_S8_S9_S9_EESD_ST_SE_SF_SG_EUlST_E_NS1_11comp_targetILNS1_3genE3ELNS1_11target_archE908ELNS1_3gpuE7ELNS1_3repE0EEENS1_48merge_mergepath_partition_config_static_selectorELNS0_4arch9wavefront6targetE1EEEvSF_
		.amdhsa_group_segment_fixed_size 0
		.amdhsa_private_segment_fixed_size 0
		.amdhsa_kernarg_size 40
		.amdhsa_user_sgpr_count 6
		.amdhsa_user_sgpr_private_segment_buffer 1
		.amdhsa_user_sgpr_dispatch_ptr 0
		.amdhsa_user_sgpr_queue_ptr 0
		.amdhsa_user_sgpr_kernarg_segment_ptr 1
		.amdhsa_user_sgpr_dispatch_id 0
		.amdhsa_user_sgpr_flat_scratch_init 0
		.amdhsa_user_sgpr_kernarg_preload_length 0
		.amdhsa_user_sgpr_kernarg_preload_offset 0
		.amdhsa_user_sgpr_private_segment_size 0
		.amdhsa_uses_dynamic_stack 0
		.amdhsa_system_sgpr_private_segment_wavefront_offset 0
		.amdhsa_system_sgpr_workgroup_id_x 1
		.amdhsa_system_sgpr_workgroup_id_y 0
		.amdhsa_system_sgpr_workgroup_id_z 0
		.amdhsa_system_sgpr_workgroup_info 0
		.amdhsa_system_vgpr_workitem_id 0
		.amdhsa_next_free_vgpr 1
		.amdhsa_next_free_sgpr 0
		.amdhsa_accum_offset 4
		.amdhsa_reserve_vcc 0
		.amdhsa_reserve_flat_scratch 0
		.amdhsa_float_round_mode_32 0
		.amdhsa_float_round_mode_16_64 0
		.amdhsa_float_denorm_mode_32 3
		.amdhsa_float_denorm_mode_16_64 3
		.amdhsa_dx10_clamp 1
		.amdhsa_ieee_mode 1
		.amdhsa_fp16_overflow 0
		.amdhsa_tg_split 0
		.amdhsa_exception_fp_ieee_invalid_op 0
		.amdhsa_exception_fp_denorm_src 0
		.amdhsa_exception_fp_ieee_div_zero 0
		.amdhsa_exception_fp_ieee_overflow 0
		.amdhsa_exception_fp_ieee_underflow 0
		.amdhsa_exception_fp_ieee_inexact 0
		.amdhsa_exception_int_div_zero 0
	.end_amdhsa_kernel
	.section	.text._ZN7rocprim17ROCPRIM_400000_NS6detail17trampoline_kernelINS0_14default_configENS1_38merge_sort_block_merge_config_selectorIxNS0_10empty_typeEEEZZNS1_27merge_sort_block_merge_implIS3_PxPS5_jNS1_19radix_merge_compareILb0ELb0ExNS0_19identity_decomposerEEEEE10hipError_tT0_T1_T2_jT3_P12ihipStream_tbPNSt15iterator_traitsISE_E10value_typeEPNSK_ISF_E10value_typeEPSG_NS1_7vsmem_tEENKUlT_SE_SF_SG_E_clIS8_S8_S9_S9_EESD_ST_SE_SF_SG_EUlST_E_NS1_11comp_targetILNS1_3genE3ELNS1_11target_archE908ELNS1_3gpuE7ELNS1_3repE0EEENS1_48merge_mergepath_partition_config_static_selectorELNS0_4arch9wavefront6targetE1EEEvSF_,"axG",@progbits,_ZN7rocprim17ROCPRIM_400000_NS6detail17trampoline_kernelINS0_14default_configENS1_38merge_sort_block_merge_config_selectorIxNS0_10empty_typeEEEZZNS1_27merge_sort_block_merge_implIS3_PxPS5_jNS1_19radix_merge_compareILb0ELb0ExNS0_19identity_decomposerEEEEE10hipError_tT0_T1_T2_jT3_P12ihipStream_tbPNSt15iterator_traitsISE_E10value_typeEPNSK_ISF_E10value_typeEPSG_NS1_7vsmem_tEENKUlT_SE_SF_SG_E_clIS8_S8_S9_S9_EESD_ST_SE_SF_SG_EUlST_E_NS1_11comp_targetILNS1_3genE3ELNS1_11target_archE908ELNS1_3gpuE7ELNS1_3repE0EEENS1_48merge_mergepath_partition_config_static_selectorELNS0_4arch9wavefront6targetE1EEEvSF_,comdat
.Lfunc_end1020:
	.size	_ZN7rocprim17ROCPRIM_400000_NS6detail17trampoline_kernelINS0_14default_configENS1_38merge_sort_block_merge_config_selectorIxNS0_10empty_typeEEEZZNS1_27merge_sort_block_merge_implIS3_PxPS5_jNS1_19radix_merge_compareILb0ELb0ExNS0_19identity_decomposerEEEEE10hipError_tT0_T1_T2_jT3_P12ihipStream_tbPNSt15iterator_traitsISE_E10value_typeEPNSK_ISF_E10value_typeEPSG_NS1_7vsmem_tEENKUlT_SE_SF_SG_E_clIS8_S8_S9_S9_EESD_ST_SE_SF_SG_EUlST_E_NS1_11comp_targetILNS1_3genE3ELNS1_11target_archE908ELNS1_3gpuE7ELNS1_3repE0EEENS1_48merge_mergepath_partition_config_static_selectorELNS0_4arch9wavefront6targetE1EEEvSF_, .Lfunc_end1020-_ZN7rocprim17ROCPRIM_400000_NS6detail17trampoline_kernelINS0_14default_configENS1_38merge_sort_block_merge_config_selectorIxNS0_10empty_typeEEEZZNS1_27merge_sort_block_merge_implIS3_PxPS5_jNS1_19radix_merge_compareILb0ELb0ExNS0_19identity_decomposerEEEEE10hipError_tT0_T1_T2_jT3_P12ihipStream_tbPNSt15iterator_traitsISE_E10value_typeEPNSK_ISF_E10value_typeEPSG_NS1_7vsmem_tEENKUlT_SE_SF_SG_E_clIS8_S8_S9_S9_EESD_ST_SE_SF_SG_EUlST_E_NS1_11comp_targetILNS1_3genE3ELNS1_11target_archE908ELNS1_3gpuE7ELNS1_3repE0EEENS1_48merge_mergepath_partition_config_static_selectorELNS0_4arch9wavefront6targetE1EEEvSF_
                                        ; -- End function
	.section	.AMDGPU.csdata,"",@progbits
; Kernel info:
; codeLenInByte = 0
; NumSgprs: 4
; NumVgprs: 0
; NumAgprs: 0
; TotalNumVgprs: 0
; ScratchSize: 0
; MemoryBound: 0
; FloatMode: 240
; IeeeMode: 1
; LDSByteSize: 0 bytes/workgroup (compile time only)
; SGPRBlocks: 0
; VGPRBlocks: 0
; NumSGPRsForWavesPerEU: 4
; NumVGPRsForWavesPerEU: 1
; AccumOffset: 4
; Occupancy: 8
; WaveLimiterHint : 0
; COMPUTE_PGM_RSRC2:SCRATCH_EN: 0
; COMPUTE_PGM_RSRC2:USER_SGPR: 6
; COMPUTE_PGM_RSRC2:TRAP_HANDLER: 0
; COMPUTE_PGM_RSRC2:TGID_X_EN: 1
; COMPUTE_PGM_RSRC2:TGID_Y_EN: 0
; COMPUTE_PGM_RSRC2:TGID_Z_EN: 0
; COMPUTE_PGM_RSRC2:TIDIG_COMP_CNT: 0
; COMPUTE_PGM_RSRC3_GFX90A:ACCUM_OFFSET: 0
; COMPUTE_PGM_RSRC3_GFX90A:TG_SPLIT: 0
	.section	.text._ZN7rocprim17ROCPRIM_400000_NS6detail17trampoline_kernelINS0_14default_configENS1_38merge_sort_block_merge_config_selectorIxNS0_10empty_typeEEEZZNS1_27merge_sort_block_merge_implIS3_PxPS5_jNS1_19radix_merge_compareILb0ELb0ExNS0_19identity_decomposerEEEEE10hipError_tT0_T1_T2_jT3_P12ihipStream_tbPNSt15iterator_traitsISE_E10value_typeEPNSK_ISF_E10value_typeEPSG_NS1_7vsmem_tEENKUlT_SE_SF_SG_E_clIS8_S8_S9_S9_EESD_ST_SE_SF_SG_EUlST_E_NS1_11comp_targetILNS1_3genE2ELNS1_11target_archE906ELNS1_3gpuE6ELNS1_3repE0EEENS1_48merge_mergepath_partition_config_static_selectorELNS0_4arch9wavefront6targetE1EEEvSF_,"axG",@progbits,_ZN7rocprim17ROCPRIM_400000_NS6detail17trampoline_kernelINS0_14default_configENS1_38merge_sort_block_merge_config_selectorIxNS0_10empty_typeEEEZZNS1_27merge_sort_block_merge_implIS3_PxPS5_jNS1_19radix_merge_compareILb0ELb0ExNS0_19identity_decomposerEEEEE10hipError_tT0_T1_T2_jT3_P12ihipStream_tbPNSt15iterator_traitsISE_E10value_typeEPNSK_ISF_E10value_typeEPSG_NS1_7vsmem_tEENKUlT_SE_SF_SG_E_clIS8_S8_S9_S9_EESD_ST_SE_SF_SG_EUlST_E_NS1_11comp_targetILNS1_3genE2ELNS1_11target_archE906ELNS1_3gpuE6ELNS1_3repE0EEENS1_48merge_mergepath_partition_config_static_selectorELNS0_4arch9wavefront6targetE1EEEvSF_,comdat
	.protected	_ZN7rocprim17ROCPRIM_400000_NS6detail17trampoline_kernelINS0_14default_configENS1_38merge_sort_block_merge_config_selectorIxNS0_10empty_typeEEEZZNS1_27merge_sort_block_merge_implIS3_PxPS5_jNS1_19radix_merge_compareILb0ELb0ExNS0_19identity_decomposerEEEEE10hipError_tT0_T1_T2_jT3_P12ihipStream_tbPNSt15iterator_traitsISE_E10value_typeEPNSK_ISF_E10value_typeEPSG_NS1_7vsmem_tEENKUlT_SE_SF_SG_E_clIS8_S8_S9_S9_EESD_ST_SE_SF_SG_EUlST_E_NS1_11comp_targetILNS1_3genE2ELNS1_11target_archE906ELNS1_3gpuE6ELNS1_3repE0EEENS1_48merge_mergepath_partition_config_static_selectorELNS0_4arch9wavefront6targetE1EEEvSF_ ; -- Begin function _ZN7rocprim17ROCPRIM_400000_NS6detail17trampoline_kernelINS0_14default_configENS1_38merge_sort_block_merge_config_selectorIxNS0_10empty_typeEEEZZNS1_27merge_sort_block_merge_implIS3_PxPS5_jNS1_19radix_merge_compareILb0ELb0ExNS0_19identity_decomposerEEEEE10hipError_tT0_T1_T2_jT3_P12ihipStream_tbPNSt15iterator_traitsISE_E10value_typeEPNSK_ISF_E10value_typeEPSG_NS1_7vsmem_tEENKUlT_SE_SF_SG_E_clIS8_S8_S9_S9_EESD_ST_SE_SF_SG_EUlST_E_NS1_11comp_targetILNS1_3genE2ELNS1_11target_archE906ELNS1_3gpuE6ELNS1_3repE0EEENS1_48merge_mergepath_partition_config_static_selectorELNS0_4arch9wavefront6targetE1EEEvSF_
	.globl	_ZN7rocprim17ROCPRIM_400000_NS6detail17trampoline_kernelINS0_14default_configENS1_38merge_sort_block_merge_config_selectorIxNS0_10empty_typeEEEZZNS1_27merge_sort_block_merge_implIS3_PxPS5_jNS1_19radix_merge_compareILb0ELb0ExNS0_19identity_decomposerEEEEE10hipError_tT0_T1_T2_jT3_P12ihipStream_tbPNSt15iterator_traitsISE_E10value_typeEPNSK_ISF_E10value_typeEPSG_NS1_7vsmem_tEENKUlT_SE_SF_SG_E_clIS8_S8_S9_S9_EESD_ST_SE_SF_SG_EUlST_E_NS1_11comp_targetILNS1_3genE2ELNS1_11target_archE906ELNS1_3gpuE6ELNS1_3repE0EEENS1_48merge_mergepath_partition_config_static_selectorELNS0_4arch9wavefront6targetE1EEEvSF_
	.p2align	8
	.type	_ZN7rocprim17ROCPRIM_400000_NS6detail17trampoline_kernelINS0_14default_configENS1_38merge_sort_block_merge_config_selectorIxNS0_10empty_typeEEEZZNS1_27merge_sort_block_merge_implIS3_PxPS5_jNS1_19radix_merge_compareILb0ELb0ExNS0_19identity_decomposerEEEEE10hipError_tT0_T1_T2_jT3_P12ihipStream_tbPNSt15iterator_traitsISE_E10value_typeEPNSK_ISF_E10value_typeEPSG_NS1_7vsmem_tEENKUlT_SE_SF_SG_E_clIS8_S8_S9_S9_EESD_ST_SE_SF_SG_EUlST_E_NS1_11comp_targetILNS1_3genE2ELNS1_11target_archE906ELNS1_3gpuE6ELNS1_3repE0EEENS1_48merge_mergepath_partition_config_static_selectorELNS0_4arch9wavefront6targetE1EEEvSF_,@function
_ZN7rocprim17ROCPRIM_400000_NS6detail17trampoline_kernelINS0_14default_configENS1_38merge_sort_block_merge_config_selectorIxNS0_10empty_typeEEEZZNS1_27merge_sort_block_merge_implIS3_PxPS5_jNS1_19radix_merge_compareILb0ELb0ExNS0_19identity_decomposerEEEEE10hipError_tT0_T1_T2_jT3_P12ihipStream_tbPNSt15iterator_traitsISE_E10value_typeEPNSK_ISF_E10value_typeEPSG_NS1_7vsmem_tEENKUlT_SE_SF_SG_E_clIS8_S8_S9_S9_EESD_ST_SE_SF_SG_EUlST_E_NS1_11comp_targetILNS1_3genE2ELNS1_11target_archE906ELNS1_3gpuE6ELNS1_3repE0EEENS1_48merge_mergepath_partition_config_static_selectorELNS0_4arch9wavefront6targetE1EEEvSF_: ; @_ZN7rocprim17ROCPRIM_400000_NS6detail17trampoline_kernelINS0_14default_configENS1_38merge_sort_block_merge_config_selectorIxNS0_10empty_typeEEEZZNS1_27merge_sort_block_merge_implIS3_PxPS5_jNS1_19radix_merge_compareILb0ELb0ExNS0_19identity_decomposerEEEEE10hipError_tT0_T1_T2_jT3_P12ihipStream_tbPNSt15iterator_traitsISE_E10value_typeEPNSK_ISF_E10value_typeEPSG_NS1_7vsmem_tEENKUlT_SE_SF_SG_E_clIS8_S8_S9_S9_EESD_ST_SE_SF_SG_EUlST_E_NS1_11comp_targetILNS1_3genE2ELNS1_11target_archE906ELNS1_3gpuE6ELNS1_3repE0EEENS1_48merge_mergepath_partition_config_static_selectorELNS0_4arch9wavefront6targetE1EEEvSF_
; %bb.0:
	.section	.rodata,"a",@progbits
	.p2align	6, 0x0
	.amdhsa_kernel _ZN7rocprim17ROCPRIM_400000_NS6detail17trampoline_kernelINS0_14default_configENS1_38merge_sort_block_merge_config_selectorIxNS0_10empty_typeEEEZZNS1_27merge_sort_block_merge_implIS3_PxPS5_jNS1_19radix_merge_compareILb0ELb0ExNS0_19identity_decomposerEEEEE10hipError_tT0_T1_T2_jT3_P12ihipStream_tbPNSt15iterator_traitsISE_E10value_typeEPNSK_ISF_E10value_typeEPSG_NS1_7vsmem_tEENKUlT_SE_SF_SG_E_clIS8_S8_S9_S9_EESD_ST_SE_SF_SG_EUlST_E_NS1_11comp_targetILNS1_3genE2ELNS1_11target_archE906ELNS1_3gpuE6ELNS1_3repE0EEENS1_48merge_mergepath_partition_config_static_selectorELNS0_4arch9wavefront6targetE1EEEvSF_
		.amdhsa_group_segment_fixed_size 0
		.amdhsa_private_segment_fixed_size 0
		.amdhsa_kernarg_size 40
		.amdhsa_user_sgpr_count 6
		.amdhsa_user_sgpr_private_segment_buffer 1
		.amdhsa_user_sgpr_dispatch_ptr 0
		.amdhsa_user_sgpr_queue_ptr 0
		.amdhsa_user_sgpr_kernarg_segment_ptr 1
		.amdhsa_user_sgpr_dispatch_id 0
		.amdhsa_user_sgpr_flat_scratch_init 0
		.amdhsa_user_sgpr_kernarg_preload_length 0
		.amdhsa_user_sgpr_kernarg_preload_offset 0
		.amdhsa_user_sgpr_private_segment_size 0
		.amdhsa_uses_dynamic_stack 0
		.amdhsa_system_sgpr_private_segment_wavefront_offset 0
		.amdhsa_system_sgpr_workgroup_id_x 1
		.amdhsa_system_sgpr_workgroup_id_y 0
		.amdhsa_system_sgpr_workgroup_id_z 0
		.amdhsa_system_sgpr_workgroup_info 0
		.amdhsa_system_vgpr_workitem_id 0
		.amdhsa_next_free_vgpr 1
		.amdhsa_next_free_sgpr 0
		.amdhsa_accum_offset 4
		.amdhsa_reserve_vcc 0
		.amdhsa_reserve_flat_scratch 0
		.amdhsa_float_round_mode_32 0
		.amdhsa_float_round_mode_16_64 0
		.amdhsa_float_denorm_mode_32 3
		.amdhsa_float_denorm_mode_16_64 3
		.amdhsa_dx10_clamp 1
		.amdhsa_ieee_mode 1
		.amdhsa_fp16_overflow 0
		.amdhsa_tg_split 0
		.amdhsa_exception_fp_ieee_invalid_op 0
		.amdhsa_exception_fp_denorm_src 0
		.amdhsa_exception_fp_ieee_div_zero 0
		.amdhsa_exception_fp_ieee_overflow 0
		.amdhsa_exception_fp_ieee_underflow 0
		.amdhsa_exception_fp_ieee_inexact 0
		.amdhsa_exception_int_div_zero 0
	.end_amdhsa_kernel
	.section	.text._ZN7rocprim17ROCPRIM_400000_NS6detail17trampoline_kernelINS0_14default_configENS1_38merge_sort_block_merge_config_selectorIxNS0_10empty_typeEEEZZNS1_27merge_sort_block_merge_implIS3_PxPS5_jNS1_19radix_merge_compareILb0ELb0ExNS0_19identity_decomposerEEEEE10hipError_tT0_T1_T2_jT3_P12ihipStream_tbPNSt15iterator_traitsISE_E10value_typeEPNSK_ISF_E10value_typeEPSG_NS1_7vsmem_tEENKUlT_SE_SF_SG_E_clIS8_S8_S9_S9_EESD_ST_SE_SF_SG_EUlST_E_NS1_11comp_targetILNS1_3genE2ELNS1_11target_archE906ELNS1_3gpuE6ELNS1_3repE0EEENS1_48merge_mergepath_partition_config_static_selectorELNS0_4arch9wavefront6targetE1EEEvSF_,"axG",@progbits,_ZN7rocprim17ROCPRIM_400000_NS6detail17trampoline_kernelINS0_14default_configENS1_38merge_sort_block_merge_config_selectorIxNS0_10empty_typeEEEZZNS1_27merge_sort_block_merge_implIS3_PxPS5_jNS1_19radix_merge_compareILb0ELb0ExNS0_19identity_decomposerEEEEE10hipError_tT0_T1_T2_jT3_P12ihipStream_tbPNSt15iterator_traitsISE_E10value_typeEPNSK_ISF_E10value_typeEPSG_NS1_7vsmem_tEENKUlT_SE_SF_SG_E_clIS8_S8_S9_S9_EESD_ST_SE_SF_SG_EUlST_E_NS1_11comp_targetILNS1_3genE2ELNS1_11target_archE906ELNS1_3gpuE6ELNS1_3repE0EEENS1_48merge_mergepath_partition_config_static_selectorELNS0_4arch9wavefront6targetE1EEEvSF_,comdat
.Lfunc_end1021:
	.size	_ZN7rocprim17ROCPRIM_400000_NS6detail17trampoline_kernelINS0_14default_configENS1_38merge_sort_block_merge_config_selectorIxNS0_10empty_typeEEEZZNS1_27merge_sort_block_merge_implIS3_PxPS5_jNS1_19radix_merge_compareILb0ELb0ExNS0_19identity_decomposerEEEEE10hipError_tT0_T1_T2_jT3_P12ihipStream_tbPNSt15iterator_traitsISE_E10value_typeEPNSK_ISF_E10value_typeEPSG_NS1_7vsmem_tEENKUlT_SE_SF_SG_E_clIS8_S8_S9_S9_EESD_ST_SE_SF_SG_EUlST_E_NS1_11comp_targetILNS1_3genE2ELNS1_11target_archE906ELNS1_3gpuE6ELNS1_3repE0EEENS1_48merge_mergepath_partition_config_static_selectorELNS0_4arch9wavefront6targetE1EEEvSF_, .Lfunc_end1021-_ZN7rocprim17ROCPRIM_400000_NS6detail17trampoline_kernelINS0_14default_configENS1_38merge_sort_block_merge_config_selectorIxNS0_10empty_typeEEEZZNS1_27merge_sort_block_merge_implIS3_PxPS5_jNS1_19radix_merge_compareILb0ELb0ExNS0_19identity_decomposerEEEEE10hipError_tT0_T1_T2_jT3_P12ihipStream_tbPNSt15iterator_traitsISE_E10value_typeEPNSK_ISF_E10value_typeEPSG_NS1_7vsmem_tEENKUlT_SE_SF_SG_E_clIS8_S8_S9_S9_EESD_ST_SE_SF_SG_EUlST_E_NS1_11comp_targetILNS1_3genE2ELNS1_11target_archE906ELNS1_3gpuE6ELNS1_3repE0EEENS1_48merge_mergepath_partition_config_static_selectorELNS0_4arch9wavefront6targetE1EEEvSF_
                                        ; -- End function
	.section	.AMDGPU.csdata,"",@progbits
; Kernel info:
; codeLenInByte = 0
; NumSgprs: 4
; NumVgprs: 0
; NumAgprs: 0
; TotalNumVgprs: 0
; ScratchSize: 0
; MemoryBound: 0
; FloatMode: 240
; IeeeMode: 1
; LDSByteSize: 0 bytes/workgroup (compile time only)
; SGPRBlocks: 0
; VGPRBlocks: 0
; NumSGPRsForWavesPerEU: 4
; NumVGPRsForWavesPerEU: 1
; AccumOffset: 4
; Occupancy: 8
; WaveLimiterHint : 0
; COMPUTE_PGM_RSRC2:SCRATCH_EN: 0
; COMPUTE_PGM_RSRC2:USER_SGPR: 6
; COMPUTE_PGM_RSRC2:TRAP_HANDLER: 0
; COMPUTE_PGM_RSRC2:TGID_X_EN: 1
; COMPUTE_PGM_RSRC2:TGID_Y_EN: 0
; COMPUTE_PGM_RSRC2:TGID_Z_EN: 0
; COMPUTE_PGM_RSRC2:TIDIG_COMP_CNT: 0
; COMPUTE_PGM_RSRC3_GFX90A:ACCUM_OFFSET: 0
; COMPUTE_PGM_RSRC3_GFX90A:TG_SPLIT: 0
	.section	.text._ZN7rocprim17ROCPRIM_400000_NS6detail17trampoline_kernelINS0_14default_configENS1_38merge_sort_block_merge_config_selectorIxNS0_10empty_typeEEEZZNS1_27merge_sort_block_merge_implIS3_PxPS5_jNS1_19radix_merge_compareILb0ELb0ExNS0_19identity_decomposerEEEEE10hipError_tT0_T1_T2_jT3_P12ihipStream_tbPNSt15iterator_traitsISE_E10value_typeEPNSK_ISF_E10value_typeEPSG_NS1_7vsmem_tEENKUlT_SE_SF_SG_E_clIS8_S8_S9_S9_EESD_ST_SE_SF_SG_EUlST_E_NS1_11comp_targetILNS1_3genE9ELNS1_11target_archE1100ELNS1_3gpuE3ELNS1_3repE0EEENS1_48merge_mergepath_partition_config_static_selectorELNS0_4arch9wavefront6targetE1EEEvSF_,"axG",@progbits,_ZN7rocprim17ROCPRIM_400000_NS6detail17trampoline_kernelINS0_14default_configENS1_38merge_sort_block_merge_config_selectorIxNS0_10empty_typeEEEZZNS1_27merge_sort_block_merge_implIS3_PxPS5_jNS1_19radix_merge_compareILb0ELb0ExNS0_19identity_decomposerEEEEE10hipError_tT0_T1_T2_jT3_P12ihipStream_tbPNSt15iterator_traitsISE_E10value_typeEPNSK_ISF_E10value_typeEPSG_NS1_7vsmem_tEENKUlT_SE_SF_SG_E_clIS8_S8_S9_S9_EESD_ST_SE_SF_SG_EUlST_E_NS1_11comp_targetILNS1_3genE9ELNS1_11target_archE1100ELNS1_3gpuE3ELNS1_3repE0EEENS1_48merge_mergepath_partition_config_static_selectorELNS0_4arch9wavefront6targetE1EEEvSF_,comdat
	.protected	_ZN7rocprim17ROCPRIM_400000_NS6detail17trampoline_kernelINS0_14default_configENS1_38merge_sort_block_merge_config_selectorIxNS0_10empty_typeEEEZZNS1_27merge_sort_block_merge_implIS3_PxPS5_jNS1_19radix_merge_compareILb0ELb0ExNS0_19identity_decomposerEEEEE10hipError_tT0_T1_T2_jT3_P12ihipStream_tbPNSt15iterator_traitsISE_E10value_typeEPNSK_ISF_E10value_typeEPSG_NS1_7vsmem_tEENKUlT_SE_SF_SG_E_clIS8_S8_S9_S9_EESD_ST_SE_SF_SG_EUlST_E_NS1_11comp_targetILNS1_3genE9ELNS1_11target_archE1100ELNS1_3gpuE3ELNS1_3repE0EEENS1_48merge_mergepath_partition_config_static_selectorELNS0_4arch9wavefront6targetE1EEEvSF_ ; -- Begin function _ZN7rocprim17ROCPRIM_400000_NS6detail17trampoline_kernelINS0_14default_configENS1_38merge_sort_block_merge_config_selectorIxNS0_10empty_typeEEEZZNS1_27merge_sort_block_merge_implIS3_PxPS5_jNS1_19radix_merge_compareILb0ELb0ExNS0_19identity_decomposerEEEEE10hipError_tT0_T1_T2_jT3_P12ihipStream_tbPNSt15iterator_traitsISE_E10value_typeEPNSK_ISF_E10value_typeEPSG_NS1_7vsmem_tEENKUlT_SE_SF_SG_E_clIS8_S8_S9_S9_EESD_ST_SE_SF_SG_EUlST_E_NS1_11comp_targetILNS1_3genE9ELNS1_11target_archE1100ELNS1_3gpuE3ELNS1_3repE0EEENS1_48merge_mergepath_partition_config_static_selectorELNS0_4arch9wavefront6targetE1EEEvSF_
	.globl	_ZN7rocprim17ROCPRIM_400000_NS6detail17trampoline_kernelINS0_14default_configENS1_38merge_sort_block_merge_config_selectorIxNS0_10empty_typeEEEZZNS1_27merge_sort_block_merge_implIS3_PxPS5_jNS1_19radix_merge_compareILb0ELb0ExNS0_19identity_decomposerEEEEE10hipError_tT0_T1_T2_jT3_P12ihipStream_tbPNSt15iterator_traitsISE_E10value_typeEPNSK_ISF_E10value_typeEPSG_NS1_7vsmem_tEENKUlT_SE_SF_SG_E_clIS8_S8_S9_S9_EESD_ST_SE_SF_SG_EUlST_E_NS1_11comp_targetILNS1_3genE9ELNS1_11target_archE1100ELNS1_3gpuE3ELNS1_3repE0EEENS1_48merge_mergepath_partition_config_static_selectorELNS0_4arch9wavefront6targetE1EEEvSF_
	.p2align	8
	.type	_ZN7rocprim17ROCPRIM_400000_NS6detail17trampoline_kernelINS0_14default_configENS1_38merge_sort_block_merge_config_selectorIxNS0_10empty_typeEEEZZNS1_27merge_sort_block_merge_implIS3_PxPS5_jNS1_19radix_merge_compareILb0ELb0ExNS0_19identity_decomposerEEEEE10hipError_tT0_T1_T2_jT3_P12ihipStream_tbPNSt15iterator_traitsISE_E10value_typeEPNSK_ISF_E10value_typeEPSG_NS1_7vsmem_tEENKUlT_SE_SF_SG_E_clIS8_S8_S9_S9_EESD_ST_SE_SF_SG_EUlST_E_NS1_11comp_targetILNS1_3genE9ELNS1_11target_archE1100ELNS1_3gpuE3ELNS1_3repE0EEENS1_48merge_mergepath_partition_config_static_selectorELNS0_4arch9wavefront6targetE1EEEvSF_,@function
_ZN7rocprim17ROCPRIM_400000_NS6detail17trampoline_kernelINS0_14default_configENS1_38merge_sort_block_merge_config_selectorIxNS0_10empty_typeEEEZZNS1_27merge_sort_block_merge_implIS3_PxPS5_jNS1_19radix_merge_compareILb0ELb0ExNS0_19identity_decomposerEEEEE10hipError_tT0_T1_T2_jT3_P12ihipStream_tbPNSt15iterator_traitsISE_E10value_typeEPNSK_ISF_E10value_typeEPSG_NS1_7vsmem_tEENKUlT_SE_SF_SG_E_clIS8_S8_S9_S9_EESD_ST_SE_SF_SG_EUlST_E_NS1_11comp_targetILNS1_3genE9ELNS1_11target_archE1100ELNS1_3gpuE3ELNS1_3repE0EEENS1_48merge_mergepath_partition_config_static_selectorELNS0_4arch9wavefront6targetE1EEEvSF_: ; @_ZN7rocprim17ROCPRIM_400000_NS6detail17trampoline_kernelINS0_14default_configENS1_38merge_sort_block_merge_config_selectorIxNS0_10empty_typeEEEZZNS1_27merge_sort_block_merge_implIS3_PxPS5_jNS1_19radix_merge_compareILb0ELb0ExNS0_19identity_decomposerEEEEE10hipError_tT0_T1_T2_jT3_P12ihipStream_tbPNSt15iterator_traitsISE_E10value_typeEPNSK_ISF_E10value_typeEPSG_NS1_7vsmem_tEENKUlT_SE_SF_SG_E_clIS8_S8_S9_S9_EESD_ST_SE_SF_SG_EUlST_E_NS1_11comp_targetILNS1_3genE9ELNS1_11target_archE1100ELNS1_3gpuE3ELNS1_3repE0EEENS1_48merge_mergepath_partition_config_static_selectorELNS0_4arch9wavefront6targetE1EEEvSF_
; %bb.0:
	.section	.rodata,"a",@progbits
	.p2align	6, 0x0
	.amdhsa_kernel _ZN7rocprim17ROCPRIM_400000_NS6detail17trampoline_kernelINS0_14default_configENS1_38merge_sort_block_merge_config_selectorIxNS0_10empty_typeEEEZZNS1_27merge_sort_block_merge_implIS3_PxPS5_jNS1_19radix_merge_compareILb0ELb0ExNS0_19identity_decomposerEEEEE10hipError_tT0_T1_T2_jT3_P12ihipStream_tbPNSt15iterator_traitsISE_E10value_typeEPNSK_ISF_E10value_typeEPSG_NS1_7vsmem_tEENKUlT_SE_SF_SG_E_clIS8_S8_S9_S9_EESD_ST_SE_SF_SG_EUlST_E_NS1_11comp_targetILNS1_3genE9ELNS1_11target_archE1100ELNS1_3gpuE3ELNS1_3repE0EEENS1_48merge_mergepath_partition_config_static_selectorELNS0_4arch9wavefront6targetE1EEEvSF_
		.amdhsa_group_segment_fixed_size 0
		.amdhsa_private_segment_fixed_size 0
		.amdhsa_kernarg_size 40
		.amdhsa_user_sgpr_count 6
		.amdhsa_user_sgpr_private_segment_buffer 1
		.amdhsa_user_sgpr_dispatch_ptr 0
		.amdhsa_user_sgpr_queue_ptr 0
		.amdhsa_user_sgpr_kernarg_segment_ptr 1
		.amdhsa_user_sgpr_dispatch_id 0
		.amdhsa_user_sgpr_flat_scratch_init 0
		.amdhsa_user_sgpr_kernarg_preload_length 0
		.amdhsa_user_sgpr_kernarg_preload_offset 0
		.amdhsa_user_sgpr_private_segment_size 0
		.amdhsa_uses_dynamic_stack 0
		.amdhsa_system_sgpr_private_segment_wavefront_offset 0
		.amdhsa_system_sgpr_workgroup_id_x 1
		.amdhsa_system_sgpr_workgroup_id_y 0
		.amdhsa_system_sgpr_workgroup_id_z 0
		.amdhsa_system_sgpr_workgroup_info 0
		.amdhsa_system_vgpr_workitem_id 0
		.amdhsa_next_free_vgpr 1
		.amdhsa_next_free_sgpr 0
		.amdhsa_accum_offset 4
		.amdhsa_reserve_vcc 0
		.amdhsa_reserve_flat_scratch 0
		.amdhsa_float_round_mode_32 0
		.amdhsa_float_round_mode_16_64 0
		.amdhsa_float_denorm_mode_32 3
		.amdhsa_float_denorm_mode_16_64 3
		.amdhsa_dx10_clamp 1
		.amdhsa_ieee_mode 1
		.amdhsa_fp16_overflow 0
		.amdhsa_tg_split 0
		.amdhsa_exception_fp_ieee_invalid_op 0
		.amdhsa_exception_fp_denorm_src 0
		.amdhsa_exception_fp_ieee_div_zero 0
		.amdhsa_exception_fp_ieee_overflow 0
		.amdhsa_exception_fp_ieee_underflow 0
		.amdhsa_exception_fp_ieee_inexact 0
		.amdhsa_exception_int_div_zero 0
	.end_amdhsa_kernel
	.section	.text._ZN7rocprim17ROCPRIM_400000_NS6detail17trampoline_kernelINS0_14default_configENS1_38merge_sort_block_merge_config_selectorIxNS0_10empty_typeEEEZZNS1_27merge_sort_block_merge_implIS3_PxPS5_jNS1_19radix_merge_compareILb0ELb0ExNS0_19identity_decomposerEEEEE10hipError_tT0_T1_T2_jT3_P12ihipStream_tbPNSt15iterator_traitsISE_E10value_typeEPNSK_ISF_E10value_typeEPSG_NS1_7vsmem_tEENKUlT_SE_SF_SG_E_clIS8_S8_S9_S9_EESD_ST_SE_SF_SG_EUlST_E_NS1_11comp_targetILNS1_3genE9ELNS1_11target_archE1100ELNS1_3gpuE3ELNS1_3repE0EEENS1_48merge_mergepath_partition_config_static_selectorELNS0_4arch9wavefront6targetE1EEEvSF_,"axG",@progbits,_ZN7rocprim17ROCPRIM_400000_NS6detail17trampoline_kernelINS0_14default_configENS1_38merge_sort_block_merge_config_selectorIxNS0_10empty_typeEEEZZNS1_27merge_sort_block_merge_implIS3_PxPS5_jNS1_19radix_merge_compareILb0ELb0ExNS0_19identity_decomposerEEEEE10hipError_tT0_T1_T2_jT3_P12ihipStream_tbPNSt15iterator_traitsISE_E10value_typeEPNSK_ISF_E10value_typeEPSG_NS1_7vsmem_tEENKUlT_SE_SF_SG_E_clIS8_S8_S9_S9_EESD_ST_SE_SF_SG_EUlST_E_NS1_11comp_targetILNS1_3genE9ELNS1_11target_archE1100ELNS1_3gpuE3ELNS1_3repE0EEENS1_48merge_mergepath_partition_config_static_selectorELNS0_4arch9wavefront6targetE1EEEvSF_,comdat
.Lfunc_end1022:
	.size	_ZN7rocprim17ROCPRIM_400000_NS6detail17trampoline_kernelINS0_14default_configENS1_38merge_sort_block_merge_config_selectorIxNS0_10empty_typeEEEZZNS1_27merge_sort_block_merge_implIS3_PxPS5_jNS1_19radix_merge_compareILb0ELb0ExNS0_19identity_decomposerEEEEE10hipError_tT0_T1_T2_jT3_P12ihipStream_tbPNSt15iterator_traitsISE_E10value_typeEPNSK_ISF_E10value_typeEPSG_NS1_7vsmem_tEENKUlT_SE_SF_SG_E_clIS8_S8_S9_S9_EESD_ST_SE_SF_SG_EUlST_E_NS1_11comp_targetILNS1_3genE9ELNS1_11target_archE1100ELNS1_3gpuE3ELNS1_3repE0EEENS1_48merge_mergepath_partition_config_static_selectorELNS0_4arch9wavefront6targetE1EEEvSF_, .Lfunc_end1022-_ZN7rocprim17ROCPRIM_400000_NS6detail17trampoline_kernelINS0_14default_configENS1_38merge_sort_block_merge_config_selectorIxNS0_10empty_typeEEEZZNS1_27merge_sort_block_merge_implIS3_PxPS5_jNS1_19radix_merge_compareILb0ELb0ExNS0_19identity_decomposerEEEEE10hipError_tT0_T1_T2_jT3_P12ihipStream_tbPNSt15iterator_traitsISE_E10value_typeEPNSK_ISF_E10value_typeEPSG_NS1_7vsmem_tEENKUlT_SE_SF_SG_E_clIS8_S8_S9_S9_EESD_ST_SE_SF_SG_EUlST_E_NS1_11comp_targetILNS1_3genE9ELNS1_11target_archE1100ELNS1_3gpuE3ELNS1_3repE0EEENS1_48merge_mergepath_partition_config_static_selectorELNS0_4arch9wavefront6targetE1EEEvSF_
                                        ; -- End function
	.section	.AMDGPU.csdata,"",@progbits
; Kernel info:
; codeLenInByte = 0
; NumSgprs: 4
; NumVgprs: 0
; NumAgprs: 0
; TotalNumVgprs: 0
; ScratchSize: 0
; MemoryBound: 0
; FloatMode: 240
; IeeeMode: 1
; LDSByteSize: 0 bytes/workgroup (compile time only)
; SGPRBlocks: 0
; VGPRBlocks: 0
; NumSGPRsForWavesPerEU: 4
; NumVGPRsForWavesPerEU: 1
; AccumOffset: 4
; Occupancy: 8
; WaveLimiterHint : 0
; COMPUTE_PGM_RSRC2:SCRATCH_EN: 0
; COMPUTE_PGM_RSRC2:USER_SGPR: 6
; COMPUTE_PGM_RSRC2:TRAP_HANDLER: 0
; COMPUTE_PGM_RSRC2:TGID_X_EN: 1
; COMPUTE_PGM_RSRC2:TGID_Y_EN: 0
; COMPUTE_PGM_RSRC2:TGID_Z_EN: 0
; COMPUTE_PGM_RSRC2:TIDIG_COMP_CNT: 0
; COMPUTE_PGM_RSRC3_GFX90A:ACCUM_OFFSET: 0
; COMPUTE_PGM_RSRC3_GFX90A:TG_SPLIT: 0
	.section	.text._ZN7rocprim17ROCPRIM_400000_NS6detail17trampoline_kernelINS0_14default_configENS1_38merge_sort_block_merge_config_selectorIxNS0_10empty_typeEEEZZNS1_27merge_sort_block_merge_implIS3_PxPS5_jNS1_19radix_merge_compareILb0ELb0ExNS0_19identity_decomposerEEEEE10hipError_tT0_T1_T2_jT3_P12ihipStream_tbPNSt15iterator_traitsISE_E10value_typeEPNSK_ISF_E10value_typeEPSG_NS1_7vsmem_tEENKUlT_SE_SF_SG_E_clIS8_S8_S9_S9_EESD_ST_SE_SF_SG_EUlST_E_NS1_11comp_targetILNS1_3genE8ELNS1_11target_archE1030ELNS1_3gpuE2ELNS1_3repE0EEENS1_48merge_mergepath_partition_config_static_selectorELNS0_4arch9wavefront6targetE1EEEvSF_,"axG",@progbits,_ZN7rocprim17ROCPRIM_400000_NS6detail17trampoline_kernelINS0_14default_configENS1_38merge_sort_block_merge_config_selectorIxNS0_10empty_typeEEEZZNS1_27merge_sort_block_merge_implIS3_PxPS5_jNS1_19radix_merge_compareILb0ELb0ExNS0_19identity_decomposerEEEEE10hipError_tT0_T1_T2_jT3_P12ihipStream_tbPNSt15iterator_traitsISE_E10value_typeEPNSK_ISF_E10value_typeEPSG_NS1_7vsmem_tEENKUlT_SE_SF_SG_E_clIS8_S8_S9_S9_EESD_ST_SE_SF_SG_EUlST_E_NS1_11comp_targetILNS1_3genE8ELNS1_11target_archE1030ELNS1_3gpuE2ELNS1_3repE0EEENS1_48merge_mergepath_partition_config_static_selectorELNS0_4arch9wavefront6targetE1EEEvSF_,comdat
	.protected	_ZN7rocprim17ROCPRIM_400000_NS6detail17trampoline_kernelINS0_14default_configENS1_38merge_sort_block_merge_config_selectorIxNS0_10empty_typeEEEZZNS1_27merge_sort_block_merge_implIS3_PxPS5_jNS1_19radix_merge_compareILb0ELb0ExNS0_19identity_decomposerEEEEE10hipError_tT0_T1_T2_jT3_P12ihipStream_tbPNSt15iterator_traitsISE_E10value_typeEPNSK_ISF_E10value_typeEPSG_NS1_7vsmem_tEENKUlT_SE_SF_SG_E_clIS8_S8_S9_S9_EESD_ST_SE_SF_SG_EUlST_E_NS1_11comp_targetILNS1_3genE8ELNS1_11target_archE1030ELNS1_3gpuE2ELNS1_3repE0EEENS1_48merge_mergepath_partition_config_static_selectorELNS0_4arch9wavefront6targetE1EEEvSF_ ; -- Begin function _ZN7rocprim17ROCPRIM_400000_NS6detail17trampoline_kernelINS0_14default_configENS1_38merge_sort_block_merge_config_selectorIxNS0_10empty_typeEEEZZNS1_27merge_sort_block_merge_implIS3_PxPS5_jNS1_19radix_merge_compareILb0ELb0ExNS0_19identity_decomposerEEEEE10hipError_tT0_T1_T2_jT3_P12ihipStream_tbPNSt15iterator_traitsISE_E10value_typeEPNSK_ISF_E10value_typeEPSG_NS1_7vsmem_tEENKUlT_SE_SF_SG_E_clIS8_S8_S9_S9_EESD_ST_SE_SF_SG_EUlST_E_NS1_11comp_targetILNS1_3genE8ELNS1_11target_archE1030ELNS1_3gpuE2ELNS1_3repE0EEENS1_48merge_mergepath_partition_config_static_selectorELNS0_4arch9wavefront6targetE1EEEvSF_
	.globl	_ZN7rocprim17ROCPRIM_400000_NS6detail17trampoline_kernelINS0_14default_configENS1_38merge_sort_block_merge_config_selectorIxNS0_10empty_typeEEEZZNS1_27merge_sort_block_merge_implIS3_PxPS5_jNS1_19radix_merge_compareILb0ELb0ExNS0_19identity_decomposerEEEEE10hipError_tT0_T1_T2_jT3_P12ihipStream_tbPNSt15iterator_traitsISE_E10value_typeEPNSK_ISF_E10value_typeEPSG_NS1_7vsmem_tEENKUlT_SE_SF_SG_E_clIS8_S8_S9_S9_EESD_ST_SE_SF_SG_EUlST_E_NS1_11comp_targetILNS1_3genE8ELNS1_11target_archE1030ELNS1_3gpuE2ELNS1_3repE0EEENS1_48merge_mergepath_partition_config_static_selectorELNS0_4arch9wavefront6targetE1EEEvSF_
	.p2align	8
	.type	_ZN7rocprim17ROCPRIM_400000_NS6detail17trampoline_kernelINS0_14default_configENS1_38merge_sort_block_merge_config_selectorIxNS0_10empty_typeEEEZZNS1_27merge_sort_block_merge_implIS3_PxPS5_jNS1_19radix_merge_compareILb0ELb0ExNS0_19identity_decomposerEEEEE10hipError_tT0_T1_T2_jT3_P12ihipStream_tbPNSt15iterator_traitsISE_E10value_typeEPNSK_ISF_E10value_typeEPSG_NS1_7vsmem_tEENKUlT_SE_SF_SG_E_clIS8_S8_S9_S9_EESD_ST_SE_SF_SG_EUlST_E_NS1_11comp_targetILNS1_3genE8ELNS1_11target_archE1030ELNS1_3gpuE2ELNS1_3repE0EEENS1_48merge_mergepath_partition_config_static_selectorELNS0_4arch9wavefront6targetE1EEEvSF_,@function
_ZN7rocprim17ROCPRIM_400000_NS6detail17trampoline_kernelINS0_14default_configENS1_38merge_sort_block_merge_config_selectorIxNS0_10empty_typeEEEZZNS1_27merge_sort_block_merge_implIS3_PxPS5_jNS1_19radix_merge_compareILb0ELb0ExNS0_19identity_decomposerEEEEE10hipError_tT0_T1_T2_jT3_P12ihipStream_tbPNSt15iterator_traitsISE_E10value_typeEPNSK_ISF_E10value_typeEPSG_NS1_7vsmem_tEENKUlT_SE_SF_SG_E_clIS8_S8_S9_S9_EESD_ST_SE_SF_SG_EUlST_E_NS1_11comp_targetILNS1_3genE8ELNS1_11target_archE1030ELNS1_3gpuE2ELNS1_3repE0EEENS1_48merge_mergepath_partition_config_static_selectorELNS0_4arch9wavefront6targetE1EEEvSF_: ; @_ZN7rocprim17ROCPRIM_400000_NS6detail17trampoline_kernelINS0_14default_configENS1_38merge_sort_block_merge_config_selectorIxNS0_10empty_typeEEEZZNS1_27merge_sort_block_merge_implIS3_PxPS5_jNS1_19radix_merge_compareILb0ELb0ExNS0_19identity_decomposerEEEEE10hipError_tT0_T1_T2_jT3_P12ihipStream_tbPNSt15iterator_traitsISE_E10value_typeEPNSK_ISF_E10value_typeEPSG_NS1_7vsmem_tEENKUlT_SE_SF_SG_E_clIS8_S8_S9_S9_EESD_ST_SE_SF_SG_EUlST_E_NS1_11comp_targetILNS1_3genE8ELNS1_11target_archE1030ELNS1_3gpuE2ELNS1_3repE0EEENS1_48merge_mergepath_partition_config_static_selectorELNS0_4arch9wavefront6targetE1EEEvSF_
; %bb.0:
	.section	.rodata,"a",@progbits
	.p2align	6, 0x0
	.amdhsa_kernel _ZN7rocprim17ROCPRIM_400000_NS6detail17trampoline_kernelINS0_14default_configENS1_38merge_sort_block_merge_config_selectorIxNS0_10empty_typeEEEZZNS1_27merge_sort_block_merge_implIS3_PxPS5_jNS1_19radix_merge_compareILb0ELb0ExNS0_19identity_decomposerEEEEE10hipError_tT0_T1_T2_jT3_P12ihipStream_tbPNSt15iterator_traitsISE_E10value_typeEPNSK_ISF_E10value_typeEPSG_NS1_7vsmem_tEENKUlT_SE_SF_SG_E_clIS8_S8_S9_S9_EESD_ST_SE_SF_SG_EUlST_E_NS1_11comp_targetILNS1_3genE8ELNS1_11target_archE1030ELNS1_3gpuE2ELNS1_3repE0EEENS1_48merge_mergepath_partition_config_static_selectorELNS0_4arch9wavefront6targetE1EEEvSF_
		.amdhsa_group_segment_fixed_size 0
		.amdhsa_private_segment_fixed_size 0
		.amdhsa_kernarg_size 40
		.amdhsa_user_sgpr_count 6
		.amdhsa_user_sgpr_private_segment_buffer 1
		.amdhsa_user_sgpr_dispatch_ptr 0
		.amdhsa_user_sgpr_queue_ptr 0
		.amdhsa_user_sgpr_kernarg_segment_ptr 1
		.amdhsa_user_sgpr_dispatch_id 0
		.amdhsa_user_sgpr_flat_scratch_init 0
		.amdhsa_user_sgpr_kernarg_preload_length 0
		.amdhsa_user_sgpr_kernarg_preload_offset 0
		.amdhsa_user_sgpr_private_segment_size 0
		.amdhsa_uses_dynamic_stack 0
		.amdhsa_system_sgpr_private_segment_wavefront_offset 0
		.amdhsa_system_sgpr_workgroup_id_x 1
		.amdhsa_system_sgpr_workgroup_id_y 0
		.amdhsa_system_sgpr_workgroup_id_z 0
		.amdhsa_system_sgpr_workgroup_info 0
		.amdhsa_system_vgpr_workitem_id 0
		.amdhsa_next_free_vgpr 1
		.amdhsa_next_free_sgpr 0
		.amdhsa_accum_offset 4
		.amdhsa_reserve_vcc 0
		.amdhsa_reserve_flat_scratch 0
		.amdhsa_float_round_mode_32 0
		.amdhsa_float_round_mode_16_64 0
		.amdhsa_float_denorm_mode_32 3
		.amdhsa_float_denorm_mode_16_64 3
		.amdhsa_dx10_clamp 1
		.amdhsa_ieee_mode 1
		.amdhsa_fp16_overflow 0
		.amdhsa_tg_split 0
		.amdhsa_exception_fp_ieee_invalid_op 0
		.amdhsa_exception_fp_denorm_src 0
		.amdhsa_exception_fp_ieee_div_zero 0
		.amdhsa_exception_fp_ieee_overflow 0
		.amdhsa_exception_fp_ieee_underflow 0
		.amdhsa_exception_fp_ieee_inexact 0
		.amdhsa_exception_int_div_zero 0
	.end_amdhsa_kernel
	.section	.text._ZN7rocprim17ROCPRIM_400000_NS6detail17trampoline_kernelINS0_14default_configENS1_38merge_sort_block_merge_config_selectorIxNS0_10empty_typeEEEZZNS1_27merge_sort_block_merge_implIS3_PxPS5_jNS1_19radix_merge_compareILb0ELb0ExNS0_19identity_decomposerEEEEE10hipError_tT0_T1_T2_jT3_P12ihipStream_tbPNSt15iterator_traitsISE_E10value_typeEPNSK_ISF_E10value_typeEPSG_NS1_7vsmem_tEENKUlT_SE_SF_SG_E_clIS8_S8_S9_S9_EESD_ST_SE_SF_SG_EUlST_E_NS1_11comp_targetILNS1_3genE8ELNS1_11target_archE1030ELNS1_3gpuE2ELNS1_3repE0EEENS1_48merge_mergepath_partition_config_static_selectorELNS0_4arch9wavefront6targetE1EEEvSF_,"axG",@progbits,_ZN7rocprim17ROCPRIM_400000_NS6detail17trampoline_kernelINS0_14default_configENS1_38merge_sort_block_merge_config_selectorIxNS0_10empty_typeEEEZZNS1_27merge_sort_block_merge_implIS3_PxPS5_jNS1_19radix_merge_compareILb0ELb0ExNS0_19identity_decomposerEEEEE10hipError_tT0_T1_T2_jT3_P12ihipStream_tbPNSt15iterator_traitsISE_E10value_typeEPNSK_ISF_E10value_typeEPSG_NS1_7vsmem_tEENKUlT_SE_SF_SG_E_clIS8_S8_S9_S9_EESD_ST_SE_SF_SG_EUlST_E_NS1_11comp_targetILNS1_3genE8ELNS1_11target_archE1030ELNS1_3gpuE2ELNS1_3repE0EEENS1_48merge_mergepath_partition_config_static_selectorELNS0_4arch9wavefront6targetE1EEEvSF_,comdat
.Lfunc_end1023:
	.size	_ZN7rocprim17ROCPRIM_400000_NS6detail17trampoline_kernelINS0_14default_configENS1_38merge_sort_block_merge_config_selectorIxNS0_10empty_typeEEEZZNS1_27merge_sort_block_merge_implIS3_PxPS5_jNS1_19radix_merge_compareILb0ELb0ExNS0_19identity_decomposerEEEEE10hipError_tT0_T1_T2_jT3_P12ihipStream_tbPNSt15iterator_traitsISE_E10value_typeEPNSK_ISF_E10value_typeEPSG_NS1_7vsmem_tEENKUlT_SE_SF_SG_E_clIS8_S8_S9_S9_EESD_ST_SE_SF_SG_EUlST_E_NS1_11comp_targetILNS1_3genE8ELNS1_11target_archE1030ELNS1_3gpuE2ELNS1_3repE0EEENS1_48merge_mergepath_partition_config_static_selectorELNS0_4arch9wavefront6targetE1EEEvSF_, .Lfunc_end1023-_ZN7rocprim17ROCPRIM_400000_NS6detail17trampoline_kernelINS0_14default_configENS1_38merge_sort_block_merge_config_selectorIxNS0_10empty_typeEEEZZNS1_27merge_sort_block_merge_implIS3_PxPS5_jNS1_19radix_merge_compareILb0ELb0ExNS0_19identity_decomposerEEEEE10hipError_tT0_T1_T2_jT3_P12ihipStream_tbPNSt15iterator_traitsISE_E10value_typeEPNSK_ISF_E10value_typeEPSG_NS1_7vsmem_tEENKUlT_SE_SF_SG_E_clIS8_S8_S9_S9_EESD_ST_SE_SF_SG_EUlST_E_NS1_11comp_targetILNS1_3genE8ELNS1_11target_archE1030ELNS1_3gpuE2ELNS1_3repE0EEENS1_48merge_mergepath_partition_config_static_selectorELNS0_4arch9wavefront6targetE1EEEvSF_
                                        ; -- End function
	.section	.AMDGPU.csdata,"",@progbits
; Kernel info:
; codeLenInByte = 0
; NumSgprs: 4
; NumVgprs: 0
; NumAgprs: 0
; TotalNumVgprs: 0
; ScratchSize: 0
; MemoryBound: 0
; FloatMode: 240
; IeeeMode: 1
; LDSByteSize: 0 bytes/workgroup (compile time only)
; SGPRBlocks: 0
; VGPRBlocks: 0
; NumSGPRsForWavesPerEU: 4
; NumVGPRsForWavesPerEU: 1
; AccumOffset: 4
; Occupancy: 8
; WaveLimiterHint : 0
; COMPUTE_PGM_RSRC2:SCRATCH_EN: 0
; COMPUTE_PGM_RSRC2:USER_SGPR: 6
; COMPUTE_PGM_RSRC2:TRAP_HANDLER: 0
; COMPUTE_PGM_RSRC2:TGID_X_EN: 1
; COMPUTE_PGM_RSRC2:TGID_Y_EN: 0
; COMPUTE_PGM_RSRC2:TGID_Z_EN: 0
; COMPUTE_PGM_RSRC2:TIDIG_COMP_CNT: 0
; COMPUTE_PGM_RSRC3_GFX90A:ACCUM_OFFSET: 0
; COMPUTE_PGM_RSRC3_GFX90A:TG_SPLIT: 0
	.section	.text._ZN7rocprim17ROCPRIM_400000_NS6detail17trampoline_kernelINS0_14default_configENS1_38merge_sort_block_merge_config_selectorIxNS0_10empty_typeEEEZZNS1_27merge_sort_block_merge_implIS3_PxPS5_jNS1_19radix_merge_compareILb0ELb0ExNS0_19identity_decomposerEEEEE10hipError_tT0_T1_T2_jT3_P12ihipStream_tbPNSt15iterator_traitsISE_E10value_typeEPNSK_ISF_E10value_typeEPSG_NS1_7vsmem_tEENKUlT_SE_SF_SG_E_clIS8_S8_S9_S9_EESD_ST_SE_SF_SG_EUlST_E0_NS1_11comp_targetILNS1_3genE0ELNS1_11target_archE4294967295ELNS1_3gpuE0ELNS1_3repE0EEENS1_38merge_mergepath_config_static_selectorELNS0_4arch9wavefront6targetE1EEEvSF_,"axG",@progbits,_ZN7rocprim17ROCPRIM_400000_NS6detail17trampoline_kernelINS0_14default_configENS1_38merge_sort_block_merge_config_selectorIxNS0_10empty_typeEEEZZNS1_27merge_sort_block_merge_implIS3_PxPS5_jNS1_19radix_merge_compareILb0ELb0ExNS0_19identity_decomposerEEEEE10hipError_tT0_T1_T2_jT3_P12ihipStream_tbPNSt15iterator_traitsISE_E10value_typeEPNSK_ISF_E10value_typeEPSG_NS1_7vsmem_tEENKUlT_SE_SF_SG_E_clIS8_S8_S9_S9_EESD_ST_SE_SF_SG_EUlST_E0_NS1_11comp_targetILNS1_3genE0ELNS1_11target_archE4294967295ELNS1_3gpuE0ELNS1_3repE0EEENS1_38merge_mergepath_config_static_selectorELNS0_4arch9wavefront6targetE1EEEvSF_,comdat
	.protected	_ZN7rocprim17ROCPRIM_400000_NS6detail17trampoline_kernelINS0_14default_configENS1_38merge_sort_block_merge_config_selectorIxNS0_10empty_typeEEEZZNS1_27merge_sort_block_merge_implIS3_PxPS5_jNS1_19radix_merge_compareILb0ELb0ExNS0_19identity_decomposerEEEEE10hipError_tT0_T1_T2_jT3_P12ihipStream_tbPNSt15iterator_traitsISE_E10value_typeEPNSK_ISF_E10value_typeEPSG_NS1_7vsmem_tEENKUlT_SE_SF_SG_E_clIS8_S8_S9_S9_EESD_ST_SE_SF_SG_EUlST_E0_NS1_11comp_targetILNS1_3genE0ELNS1_11target_archE4294967295ELNS1_3gpuE0ELNS1_3repE0EEENS1_38merge_mergepath_config_static_selectorELNS0_4arch9wavefront6targetE1EEEvSF_ ; -- Begin function _ZN7rocprim17ROCPRIM_400000_NS6detail17trampoline_kernelINS0_14default_configENS1_38merge_sort_block_merge_config_selectorIxNS0_10empty_typeEEEZZNS1_27merge_sort_block_merge_implIS3_PxPS5_jNS1_19radix_merge_compareILb0ELb0ExNS0_19identity_decomposerEEEEE10hipError_tT0_T1_T2_jT3_P12ihipStream_tbPNSt15iterator_traitsISE_E10value_typeEPNSK_ISF_E10value_typeEPSG_NS1_7vsmem_tEENKUlT_SE_SF_SG_E_clIS8_S8_S9_S9_EESD_ST_SE_SF_SG_EUlST_E0_NS1_11comp_targetILNS1_3genE0ELNS1_11target_archE4294967295ELNS1_3gpuE0ELNS1_3repE0EEENS1_38merge_mergepath_config_static_selectorELNS0_4arch9wavefront6targetE1EEEvSF_
	.globl	_ZN7rocprim17ROCPRIM_400000_NS6detail17trampoline_kernelINS0_14default_configENS1_38merge_sort_block_merge_config_selectorIxNS0_10empty_typeEEEZZNS1_27merge_sort_block_merge_implIS3_PxPS5_jNS1_19radix_merge_compareILb0ELb0ExNS0_19identity_decomposerEEEEE10hipError_tT0_T1_T2_jT3_P12ihipStream_tbPNSt15iterator_traitsISE_E10value_typeEPNSK_ISF_E10value_typeEPSG_NS1_7vsmem_tEENKUlT_SE_SF_SG_E_clIS8_S8_S9_S9_EESD_ST_SE_SF_SG_EUlST_E0_NS1_11comp_targetILNS1_3genE0ELNS1_11target_archE4294967295ELNS1_3gpuE0ELNS1_3repE0EEENS1_38merge_mergepath_config_static_selectorELNS0_4arch9wavefront6targetE1EEEvSF_
	.p2align	8
	.type	_ZN7rocprim17ROCPRIM_400000_NS6detail17trampoline_kernelINS0_14default_configENS1_38merge_sort_block_merge_config_selectorIxNS0_10empty_typeEEEZZNS1_27merge_sort_block_merge_implIS3_PxPS5_jNS1_19radix_merge_compareILb0ELb0ExNS0_19identity_decomposerEEEEE10hipError_tT0_T1_T2_jT3_P12ihipStream_tbPNSt15iterator_traitsISE_E10value_typeEPNSK_ISF_E10value_typeEPSG_NS1_7vsmem_tEENKUlT_SE_SF_SG_E_clIS8_S8_S9_S9_EESD_ST_SE_SF_SG_EUlST_E0_NS1_11comp_targetILNS1_3genE0ELNS1_11target_archE4294967295ELNS1_3gpuE0ELNS1_3repE0EEENS1_38merge_mergepath_config_static_selectorELNS0_4arch9wavefront6targetE1EEEvSF_,@function
_ZN7rocprim17ROCPRIM_400000_NS6detail17trampoline_kernelINS0_14default_configENS1_38merge_sort_block_merge_config_selectorIxNS0_10empty_typeEEEZZNS1_27merge_sort_block_merge_implIS3_PxPS5_jNS1_19radix_merge_compareILb0ELb0ExNS0_19identity_decomposerEEEEE10hipError_tT0_T1_T2_jT3_P12ihipStream_tbPNSt15iterator_traitsISE_E10value_typeEPNSK_ISF_E10value_typeEPSG_NS1_7vsmem_tEENKUlT_SE_SF_SG_E_clIS8_S8_S9_S9_EESD_ST_SE_SF_SG_EUlST_E0_NS1_11comp_targetILNS1_3genE0ELNS1_11target_archE4294967295ELNS1_3gpuE0ELNS1_3repE0EEENS1_38merge_mergepath_config_static_selectorELNS0_4arch9wavefront6targetE1EEEvSF_: ; @_ZN7rocprim17ROCPRIM_400000_NS6detail17trampoline_kernelINS0_14default_configENS1_38merge_sort_block_merge_config_selectorIxNS0_10empty_typeEEEZZNS1_27merge_sort_block_merge_implIS3_PxPS5_jNS1_19radix_merge_compareILb0ELb0ExNS0_19identity_decomposerEEEEE10hipError_tT0_T1_T2_jT3_P12ihipStream_tbPNSt15iterator_traitsISE_E10value_typeEPNSK_ISF_E10value_typeEPSG_NS1_7vsmem_tEENKUlT_SE_SF_SG_E_clIS8_S8_S9_S9_EESD_ST_SE_SF_SG_EUlST_E0_NS1_11comp_targetILNS1_3genE0ELNS1_11target_archE4294967295ELNS1_3gpuE0ELNS1_3repE0EEENS1_38merge_mergepath_config_static_selectorELNS0_4arch9wavefront6targetE1EEEvSF_
; %bb.0:
	.section	.rodata,"a",@progbits
	.p2align	6, 0x0
	.amdhsa_kernel _ZN7rocprim17ROCPRIM_400000_NS6detail17trampoline_kernelINS0_14default_configENS1_38merge_sort_block_merge_config_selectorIxNS0_10empty_typeEEEZZNS1_27merge_sort_block_merge_implIS3_PxPS5_jNS1_19radix_merge_compareILb0ELb0ExNS0_19identity_decomposerEEEEE10hipError_tT0_T1_T2_jT3_P12ihipStream_tbPNSt15iterator_traitsISE_E10value_typeEPNSK_ISF_E10value_typeEPSG_NS1_7vsmem_tEENKUlT_SE_SF_SG_E_clIS8_S8_S9_S9_EESD_ST_SE_SF_SG_EUlST_E0_NS1_11comp_targetILNS1_3genE0ELNS1_11target_archE4294967295ELNS1_3gpuE0ELNS1_3repE0EEENS1_38merge_mergepath_config_static_selectorELNS0_4arch9wavefront6targetE1EEEvSF_
		.amdhsa_group_segment_fixed_size 0
		.amdhsa_private_segment_fixed_size 0
		.amdhsa_kernarg_size 64
		.amdhsa_user_sgpr_count 6
		.amdhsa_user_sgpr_private_segment_buffer 1
		.amdhsa_user_sgpr_dispatch_ptr 0
		.amdhsa_user_sgpr_queue_ptr 0
		.amdhsa_user_sgpr_kernarg_segment_ptr 1
		.amdhsa_user_sgpr_dispatch_id 0
		.amdhsa_user_sgpr_flat_scratch_init 0
		.amdhsa_user_sgpr_kernarg_preload_length 0
		.amdhsa_user_sgpr_kernarg_preload_offset 0
		.amdhsa_user_sgpr_private_segment_size 0
		.amdhsa_uses_dynamic_stack 0
		.amdhsa_system_sgpr_private_segment_wavefront_offset 0
		.amdhsa_system_sgpr_workgroup_id_x 1
		.amdhsa_system_sgpr_workgroup_id_y 0
		.amdhsa_system_sgpr_workgroup_id_z 0
		.amdhsa_system_sgpr_workgroup_info 0
		.amdhsa_system_vgpr_workitem_id 0
		.amdhsa_next_free_vgpr 1
		.amdhsa_next_free_sgpr 0
		.amdhsa_accum_offset 4
		.amdhsa_reserve_vcc 0
		.amdhsa_reserve_flat_scratch 0
		.amdhsa_float_round_mode_32 0
		.amdhsa_float_round_mode_16_64 0
		.amdhsa_float_denorm_mode_32 3
		.amdhsa_float_denorm_mode_16_64 3
		.amdhsa_dx10_clamp 1
		.amdhsa_ieee_mode 1
		.amdhsa_fp16_overflow 0
		.amdhsa_tg_split 0
		.amdhsa_exception_fp_ieee_invalid_op 0
		.amdhsa_exception_fp_denorm_src 0
		.amdhsa_exception_fp_ieee_div_zero 0
		.amdhsa_exception_fp_ieee_overflow 0
		.amdhsa_exception_fp_ieee_underflow 0
		.amdhsa_exception_fp_ieee_inexact 0
		.amdhsa_exception_int_div_zero 0
	.end_amdhsa_kernel
	.section	.text._ZN7rocprim17ROCPRIM_400000_NS6detail17trampoline_kernelINS0_14default_configENS1_38merge_sort_block_merge_config_selectorIxNS0_10empty_typeEEEZZNS1_27merge_sort_block_merge_implIS3_PxPS5_jNS1_19radix_merge_compareILb0ELb0ExNS0_19identity_decomposerEEEEE10hipError_tT0_T1_T2_jT3_P12ihipStream_tbPNSt15iterator_traitsISE_E10value_typeEPNSK_ISF_E10value_typeEPSG_NS1_7vsmem_tEENKUlT_SE_SF_SG_E_clIS8_S8_S9_S9_EESD_ST_SE_SF_SG_EUlST_E0_NS1_11comp_targetILNS1_3genE0ELNS1_11target_archE4294967295ELNS1_3gpuE0ELNS1_3repE0EEENS1_38merge_mergepath_config_static_selectorELNS0_4arch9wavefront6targetE1EEEvSF_,"axG",@progbits,_ZN7rocprim17ROCPRIM_400000_NS6detail17trampoline_kernelINS0_14default_configENS1_38merge_sort_block_merge_config_selectorIxNS0_10empty_typeEEEZZNS1_27merge_sort_block_merge_implIS3_PxPS5_jNS1_19radix_merge_compareILb0ELb0ExNS0_19identity_decomposerEEEEE10hipError_tT0_T1_T2_jT3_P12ihipStream_tbPNSt15iterator_traitsISE_E10value_typeEPNSK_ISF_E10value_typeEPSG_NS1_7vsmem_tEENKUlT_SE_SF_SG_E_clIS8_S8_S9_S9_EESD_ST_SE_SF_SG_EUlST_E0_NS1_11comp_targetILNS1_3genE0ELNS1_11target_archE4294967295ELNS1_3gpuE0ELNS1_3repE0EEENS1_38merge_mergepath_config_static_selectorELNS0_4arch9wavefront6targetE1EEEvSF_,comdat
.Lfunc_end1024:
	.size	_ZN7rocprim17ROCPRIM_400000_NS6detail17trampoline_kernelINS0_14default_configENS1_38merge_sort_block_merge_config_selectorIxNS0_10empty_typeEEEZZNS1_27merge_sort_block_merge_implIS3_PxPS5_jNS1_19radix_merge_compareILb0ELb0ExNS0_19identity_decomposerEEEEE10hipError_tT0_T1_T2_jT3_P12ihipStream_tbPNSt15iterator_traitsISE_E10value_typeEPNSK_ISF_E10value_typeEPSG_NS1_7vsmem_tEENKUlT_SE_SF_SG_E_clIS8_S8_S9_S9_EESD_ST_SE_SF_SG_EUlST_E0_NS1_11comp_targetILNS1_3genE0ELNS1_11target_archE4294967295ELNS1_3gpuE0ELNS1_3repE0EEENS1_38merge_mergepath_config_static_selectorELNS0_4arch9wavefront6targetE1EEEvSF_, .Lfunc_end1024-_ZN7rocprim17ROCPRIM_400000_NS6detail17trampoline_kernelINS0_14default_configENS1_38merge_sort_block_merge_config_selectorIxNS0_10empty_typeEEEZZNS1_27merge_sort_block_merge_implIS3_PxPS5_jNS1_19radix_merge_compareILb0ELb0ExNS0_19identity_decomposerEEEEE10hipError_tT0_T1_T2_jT3_P12ihipStream_tbPNSt15iterator_traitsISE_E10value_typeEPNSK_ISF_E10value_typeEPSG_NS1_7vsmem_tEENKUlT_SE_SF_SG_E_clIS8_S8_S9_S9_EESD_ST_SE_SF_SG_EUlST_E0_NS1_11comp_targetILNS1_3genE0ELNS1_11target_archE4294967295ELNS1_3gpuE0ELNS1_3repE0EEENS1_38merge_mergepath_config_static_selectorELNS0_4arch9wavefront6targetE1EEEvSF_
                                        ; -- End function
	.section	.AMDGPU.csdata,"",@progbits
; Kernel info:
; codeLenInByte = 0
; NumSgprs: 4
; NumVgprs: 0
; NumAgprs: 0
; TotalNumVgprs: 0
; ScratchSize: 0
; MemoryBound: 0
; FloatMode: 240
; IeeeMode: 1
; LDSByteSize: 0 bytes/workgroup (compile time only)
; SGPRBlocks: 0
; VGPRBlocks: 0
; NumSGPRsForWavesPerEU: 4
; NumVGPRsForWavesPerEU: 1
; AccumOffset: 4
; Occupancy: 8
; WaveLimiterHint : 0
; COMPUTE_PGM_RSRC2:SCRATCH_EN: 0
; COMPUTE_PGM_RSRC2:USER_SGPR: 6
; COMPUTE_PGM_RSRC2:TRAP_HANDLER: 0
; COMPUTE_PGM_RSRC2:TGID_X_EN: 1
; COMPUTE_PGM_RSRC2:TGID_Y_EN: 0
; COMPUTE_PGM_RSRC2:TGID_Z_EN: 0
; COMPUTE_PGM_RSRC2:TIDIG_COMP_CNT: 0
; COMPUTE_PGM_RSRC3_GFX90A:ACCUM_OFFSET: 0
; COMPUTE_PGM_RSRC3_GFX90A:TG_SPLIT: 0
	.section	.text._ZN7rocprim17ROCPRIM_400000_NS6detail17trampoline_kernelINS0_14default_configENS1_38merge_sort_block_merge_config_selectorIxNS0_10empty_typeEEEZZNS1_27merge_sort_block_merge_implIS3_PxPS5_jNS1_19radix_merge_compareILb0ELb0ExNS0_19identity_decomposerEEEEE10hipError_tT0_T1_T2_jT3_P12ihipStream_tbPNSt15iterator_traitsISE_E10value_typeEPNSK_ISF_E10value_typeEPSG_NS1_7vsmem_tEENKUlT_SE_SF_SG_E_clIS8_S8_S9_S9_EESD_ST_SE_SF_SG_EUlST_E0_NS1_11comp_targetILNS1_3genE10ELNS1_11target_archE1201ELNS1_3gpuE5ELNS1_3repE0EEENS1_38merge_mergepath_config_static_selectorELNS0_4arch9wavefront6targetE1EEEvSF_,"axG",@progbits,_ZN7rocprim17ROCPRIM_400000_NS6detail17trampoline_kernelINS0_14default_configENS1_38merge_sort_block_merge_config_selectorIxNS0_10empty_typeEEEZZNS1_27merge_sort_block_merge_implIS3_PxPS5_jNS1_19radix_merge_compareILb0ELb0ExNS0_19identity_decomposerEEEEE10hipError_tT0_T1_T2_jT3_P12ihipStream_tbPNSt15iterator_traitsISE_E10value_typeEPNSK_ISF_E10value_typeEPSG_NS1_7vsmem_tEENKUlT_SE_SF_SG_E_clIS8_S8_S9_S9_EESD_ST_SE_SF_SG_EUlST_E0_NS1_11comp_targetILNS1_3genE10ELNS1_11target_archE1201ELNS1_3gpuE5ELNS1_3repE0EEENS1_38merge_mergepath_config_static_selectorELNS0_4arch9wavefront6targetE1EEEvSF_,comdat
	.protected	_ZN7rocprim17ROCPRIM_400000_NS6detail17trampoline_kernelINS0_14default_configENS1_38merge_sort_block_merge_config_selectorIxNS0_10empty_typeEEEZZNS1_27merge_sort_block_merge_implIS3_PxPS5_jNS1_19radix_merge_compareILb0ELb0ExNS0_19identity_decomposerEEEEE10hipError_tT0_T1_T2_jT3_P12ihipStream_tbPNSt15iterator_traitsISE_E10value_typeEPNSK_ISF_E10value_typeEPSG_NS1_7vsmem_tEENKUlT_SE_SF_SG_E_clIS8_S8_S9_S9_EESD_ST_SE_SF_SG_EUlST_E0_NS1_11comp_targetILNS1_3genE10ELNS1_11target_archE1201ELNS1_3gpuE5ELNS1_3repE0EEENS1_38merge_mergepath_config_static_selectorELNS0_4arch9wavefront6targetE1EEEvSF_ ; -- Begin function _ZN7rocprim17ROCPRIM_400000_NS6detail17trampoline_kernelINS0_14default_configENS1_38merge_sort_block_merge_config_selectorIxNS0_10empty_typeEEEZZNS1_27merge_sort_block_merge_implIS3_PxPS5_jNS1_19radix_merge_compareILb0ELb0ExNS0_19identity_decomposerEEEEE10hipError_tT0_T1_T2_jT3_P12ihipStream_tbPNSt15iterator_traitsISE_E10value_typeEPNSK_ISF_E10value_typeEPSG_NS1_7vsmem_tEENKUlT_SE_SF_SG_E_clIS8_S8_S9_S9_EESD_ST_SE_SF_SG_EUlST_E0_NS1_11comp_targetILNS1_3genE10ELNS1_11target_archE1201ELNS1_3gpuE5ELNS1_3repE0EEENS1_38merge_mergepath_config_static_selectorELNS0_4arch9wavefront6targetE1EEEvSF_
	.globl	_ZN7rocprim17ROCPRIM_400000_NS6detail17trampoline_kernelINS0_14default_configENS1_38merge_sort_block_merge_config_selectorIxNS0_10empty_typeEEEZZNS1_27merge_sort_block_merge_implIS3_PxPS5_jNS1_19radix_merge_compareILb0ELb0ExNS0_19identity_decomposerEEEEE10hipError_tT0_T1_T2_jT3_P12ihipStream_tbPNSt15iterator_traitsISE_E10value_typeEPNSK_ISF_E10value_typeEPSG_NS1_7vsmem_tEENKUlT_SE_SF_SG_E_clIS8_S8_S9_S9_EESD_ST_SE_SF_SG_EUlST_E0_NS1_11comp_targetILNS1_3genE10ELNS1_11target_archE1201ELNS1_3gpuE5ELNS1_3repE0EEENS1_38merge_mergepath_config_static_selectorELNS0_4arch9wavefront6targetE1EEEvSF_
	.p2align	8
	.type	_ZN7rocprim17ROCPRIM_400000_NS6detail17trampoline_kernelINS0_14default_configENS1_38merge_sort_block_merge_config_selectorIxNS0_10empty_typeEEEZZNS1_27merge_sort_block_merge_implIS3_PxPS5_jNS1_19radix_merge_compareILb0ELb0ExNS0_19identity_decomposerEEEEE10hipError_tT0_T1_T2_jT3_P12ihipStream_tbPNSt15iterator_traitsISE_E10value_typeEPNSK_ISF_E10value_typeEPSG_NS1_7vsmem_tEENKUlT_SE_SF_SG_E_clIS8_S8_S9_S9_EESD_ST_SE_SF_SG_EUlST_E0_NS1_11comp_targetILNS1_3genE10ELNS1_11target_archE1201ELNS1_3gpuE5ELNS1_3repE0EEENS1_38merge_mergepath_config_static_selectorELNS0_4arch9wavefront6targetE1EEEvSF_,@function
_ZN7rocprim17ROCPRIM_400000_NS6detail17trampoline_kernelINS0_14default_configENS1_38merge_sort_block_merge_config_selectorIxNS0_10empty_typeEEEZZNS1_27merge_sort_block_merge_implIS3_PxPS5_jNS1_19radix_merge_compareILb0ELb0ExNS0_19identity_decomposerEEEEE10hipError_tT0_T1_T2_jT3_P12ihipStream_tbPNSt15iterator_traitsISE_E10value_typeEPNSK_ISF_E10value_typeEPSG_NS1_7vsmem_tEENKUlT_SE_SF_SG_E_clIS8_S8_S9_S9_EESD_ST_SE_SF_SG_EUlST_E0_NS1_11comp_targetILNS1_3genE10ELNS1_11target_archE1201ELNS1_3gpuE5ELNS1_3repE0EEENS1_38merge_mergepath_config_static_selectorELNS0_4arch9wavefront6targetE1EEEvSF_: ; @_ZN7rocprim17ROCPRIM_400000_NS6detail17trampoline_kernelINS0_14default_configENS1_38merge_sort_block_merge_config_selectorIxNS0_10empty_typeEEEZZNS1_27merge_sort_block_merge_implIS3_PxPS5_jNS1_19radix_merge_compareILb0ELb0ExNS0_19identity_decomposerEEEEE10hipError_tT0_T1_T2_jT3_P12ihipStream_tbPNSt15iterator_traitsISE_E10value_typeEPNSK_ISF_E10value_typeEPSG_NS1_7vsmem_tEENKUlT_SE_SF_SG_E_clIS8_S8_S9_S9_EESD_ST_SE_SF_SG_EUlST_E0_NS1_11comp_targetILNS1_3genE10ELNS1_11target_archE1201ELNS1_3gpuE5ELNS1_3repE0EEENS1_38merge_mergepath_config_static_selectorELNS0_4arch9wavefront6targetE1EEEvSF_
; %bb.0:
	.section	.rodata,"a",@progbits
	.p2align	6, 0x0
	.amdhsa_kernel _ZN7rocprim17ROCPRIM_400000_NS6detail17trampoline_kernelINS0_14default_configENS1_38merge_sort_block_merge_config_selectorIxNS0_10empty_typeEEEZZNS1_27merge_sort_block_merge_implIS3_PxPS5_jNS1_19radix_merge_compareILb0ELb0ExNS0_19identity_decomposerEEEEE10hipError_tT0_T1_T2_jT3_P12ihipStream_tbPNSt15iterator_traitsISE_E10value_typeEPNSK_ISF_E10value_typeEPSG_NS1_7vsmem_tEENKUlT_SE_SF_SG_E_clIS8_S8_S9_S9_EESD_ST_SE_SF_SG_EUlST_E0_NS1_11comp_targetILNS1_3genE10ELNS1_11target_archE1201ELNS1_3gpuE5ELNS1_3repE0EEENS1_38merge_mergepath_config_static_selectorELNS0_4arch9wavefront6targetE1EEEvSF_
		.amdhsa_group_segment_fixed_size 0
		.amdhsa_private_segment_fixed_size 0
		.amdhsa_kernarg_size 64
		.amdhsa_user_sgpr_count 6
		.amdhsa_user_sgpr_private_segment_buffer 1
		.amdhsa_user_sgpr_dispatch_ptr 0
		.amdhsa_user_sgpr_queue_ptr 0
		.amdhsa_user_sgpr_kernarg_segment_ptr 1
		.amdhsa_user_sgpr_dispatch_id 0
		.amdhsa_user_sgpr_flat_scratch_init 0
		.amdhsa_user_sgpr_kernarg_preload_length 0
		.amdhsa_user_sgpr_kernarg_preload_offset 0
		.amdhsa_user_sgpr_private_segment_size 0
		.amdhsa_uses_dynamic_stack 0
		.amdhsa_system_sgpr_private_segment_wavefront_offset 0
		.amdhsa_system_sgpr_workgroup_id_x 1
		.amdhsa_system_sgpr_workgroup_id_y 0
		.amdhsa_system_sgpr_workgroup_id_z 0
		.amdhsa_system_sgpr_workgroup_info 0
		.amdhsa_system_vgpr_workitem_id 0
		.amdhsa_next_free_vgpr 1
		.amdhsa_next_free_sgpr 0
		.amdhsa_accum_offset 4
		.amdhsa_reserve_vcc 0
		.amdhsa_reserve_flat_scratch 0
		.amdhsa_float_round_mode_32 0
		.amdhsa_float_round_mode_16_64 0
		.amdhsa_float_denorm_mode_32 3
		.amdhsa_float_denorm_mode_16_64 3
		.amdhsa_dx10_clamp 1
		.amdhsa_ieee_mode 1
		.amdhsa_fp16_overflow 0
		.amdhsa_tg_split 0
		.amdhsa_exception_fp_ieee_invalid_op 0
		.amdhsa_exception_fp_denorm_src 0
		.amdhsa_exception_fp_ieee_div_zero 0
		.amdhsa_exception_fp_ieee_overflow 0
		.amdhsa_exception_fp_ieee_underflow 0
		.amdhsa_exception_fp_ieee_inexact 0
		.amdhsa_exception_int_div_zero 0
	.end_amdhsa_kernel
	.section	.text._ZN7rocprim17ROCPRIM_400000_NS6detail17trampoline_kernelINS0_14default_configENS1_38merge_sort_block_merge_config_selectorIxNS0_10empty_typeEEEZZNS1_27merge_sort_block_merge_implIS3_PxPS5_jNS1_19radix_merge_compareILb0ELb0ExNS0_19identity_decomposerEEEEE10hipError_tT0_T1_T2_jT3_P12ihipStream_tbPNSt15iterator_traitsISE_E10value_typeEPNSK_ISF_E10value_typeEPSG_NS1_7vsmem_tEENKUlT_SE_SF_SG_E_clIS8_S8_S9_S9_EESD_ST_SE_SF_SG_EUlST_E0_NS1_11comp_targetILNS1_3genE10ELNS1_11target_archE1201ELNS1_3gpuE5ELNS1_3repE0EEENS1_38merge_mergepath_config_static_selectorELNS0_4arch9wavefront6targetE1EEEvSF_,"axG",@progbits,_ZN7rocprim17ROCPRIM_400000_NS6detail17trampoline_kernelINS0_14default_configENS1_38merge_sort_block_merge_config_selectorIxNS0_10empty_typeEEEZZNS1_27merge_sort_block_merge_implIS3_PxPS5_jNS1_19radix_merge_compareILb0ELb0ExNS0_19identity_decomposerEEEEE10hipError_tT0_T1_T2_jT3_P12ihipStream_tbPNSt15iterator_traitsISE_E10value_typeEPNSK_ISF_E10value_typeEPSG_NS1_7vsmem_tEENKUlT_SE_SF_SG_E_clIS8_S8_S9_S9_EESD_ST_SE_SF_SG_EUlST_E0_NS1_11comp_targetILNS1_3genE10ELNS1_11target_archE1201ELNS1_3gpuE5ELNS1_3repE0EEENS1_38merge_mergepath_config_static_selectorELNS0_4arch9wavefront6targetE1EEEvSF_,comdat
.Lfunc_end1025:
	.size	_ZN7rocprim17ROCPRIM_400000_NS6detail17trampoline_kernelINS0_14default_configENS1_38merge_sort_block_merge_config_selectorIxNS0_10empty_typeEEEZZNS1_27merge_sort_block_merge_implIS3_PxPS5_jNS1_19radix_merge_compareILb0ELb0ExNS0_19identity_decomposerEEEEE10hipError_tT0_T1_T2_jT3_P12ihipStream_tbPNSt15iterator_traitsISE_E10value_typeEPNSK_ISF_E10value_typeEPSG_NS1_7vsmem_tEENKUlT_SE_SF_SG_E_clIS8_S8_S9_S9_EESD_ST_SE_SF_SG_EUlST_E0_NS1_11comp_targetILNS1_3genE10ELNS1_11target_archE1201ELNS1_3gpuE5ELNS1_3repE0EEENS1_38merge_mergepath_config_static_selectorELNS0_4arch9wavefront6targetE1EEEvSF_, .Lfunc_end1025-_ZN7rocprim17ROCPRIM_400000_NS6detail17trampoline_kernelINS0_14default_configENS1_38merge_sort_block_merge_config_selectorIxNS0_10empty_typeEEEZZNS1_27merge_sort_block_merge_implIS3_PxPS5_jNS1_19radix_merge_compareILb0ELb0ExNS0_19identity_decomposerEEEEE10hipError_tT0_T1_T2_jT3_P12ihipStream_tbPNSt15iterator_traitsISE_E10value_typeEPNSK_ISF_E10value_typeEPSG_NS1_7vsmem_tEENKUlT_SE_SF_SG_E_clIS8_S8_S9_S9_EESD_ST_SE_SF_SG_EUlST_E0_NS1_11comp_targetILNS1_3genE10ELNS1_11target_archE1201ELNS1_3gpuE5ELNS1_3repE0EEENS1_38merge_mergepath_config_static_selectorELNS0_4arch9wavefront6targetE1EEEvSF_
                                        ; -- End function
	.section	.AMDGPU.csdata,"",@progbits
; Kernel info:
; codeLenInByte = 0
; NumSgprs: 4
; NumVgprs: 0
; NumAgprs: 0
; TotalNumVgprs: 0
; ScratchSize: 0
; MemoryBound: 0
; FloatMode: 240
; IeeeMode: 1
; LDSByteSize: 0 bytes/workgroup (compile time only)
; SGPRBlocks: 0
; VGPRBlocks: 0
; NumSGPRsForWavesPerEU: 4
; NumVGPRsForWavesPerEU: 1
; AccumOffset: 4
; Occupancy: 8
; WaveLimiterHint : 0
; COMPUTE_PGM_RSRC2:SCRATCH_EN: 0
; COMPUTE_PGM_RSRC2:USER_SGPR: 6
; COMPUTE_PGM_RSRC2:TRAP_HANDLER: 0
; COMPUTE_PGM_RSRC2:TGID_X_EN: 1
; COMPUTE_PGM_RSRC2:TGID_Y_EN: 0
; COMPUTE_PGM_RSRC2:TGID_Z_EN: 0
; COMPUTE_PGM_RSRC2:TIDIG_COMP_CNT: 0
; COMPUTE_PGM_RSRC3_GFX90A:ACCUM_OFFSET: 0
; COMPUTE_PGM_RSRC3_GFX90A:TG_SPLIT: 0
	.section	.text._ZN7rocprim17ROCPRIM_400000_NS6detail17trampoline_kernelINS0_14default_configENS1_38merge_sort_block_merge_config_selectorIxNS0_10empty_typeEEEZZNS1_27merge_sort_block_merge_implIS3_PxPS5_jNS1_19radix_merge_compareILb0ELb0ExNS0_19identity_decomposerEEEEE10hipError_tT0_T1_T2_jT3_P12ihipStream_tbPNSt15iterator_traitsISE_E10value_typeEPNSK_ISF_E10value_typeEPSG_NS1_7vsmem_tEENKUlT_SE_SF_SG_E_clIS8_S8_S9_S9_EESD_ST_SE_SF_SG_EUlST_E0_NS1_11comp_targetILNS1_3genE5ELNS1_11target_archE942ELNS1_3gpuE9ELNS1_3repE0EEENS1_38merge_mergepath_config_static_selectorELNS0_4arch9wavefront6targetE1EEEvSF_,"axG",@progbits,_ZN7rocprim17ROCPRIM_400000_NS6detail17trampoline_kernelINS0_14default_configENS1_38merge_sort_block_merge_config_selectorIxNS0_10empty_typeEEEZZNS1_27merge_sort_block_merge_implIS3_PxPS5_jNS1_19radix_merge_compareILb0ELb0ExNS0_19identity_decomposerEEEEE10hipError_tT0_T1_T2_jT3_P12ihipStream_tbPNSt15iterator_traitsISE_E10value_typeEPNSK_ISF_E10value_typeEPSG_NS1_7vsmem_tEENKUlT_SE_SF_SG_E_clIS8_S8_S9_S9_EESD_ST_SE_SF_SG_EUlST_E0_NS1_11comp_targetILNS1_3genE5ELNS1_11target_archE942ELNS1_3gpuE9ELNS1_3repE0EEENS1_38merge_mergepath_config_static_selectorELNS0_4arch9wavefront6targetE1EEEvSF_,comdat
	.protected	_ZN7rocprim17ROCPRIM_400000_NS6detail17trampoline_kernelINS0_14default_configENS1_38merge_sort_block_merge_config_selectorIxNS0_10empty_typeEEEZZNS1_27merge_sort_block_merge_implIS3_PxPS5_jNS1_19radix_merge_compareILb0ELb0ExNS0_19identity_decomposerEEEEE10hipError_tT0_T1_T2_jT3_P12ihipStream_tbPNSt15iterator_traitsISE_E10value_typeEPNSK_ISF_E10value_typeEPSG_NS1_7vsmem_tEENKUlT_SE_SF_SG_E_clIS8_S8_S9_S9_EESD_ST_SE_SF_SG_EUlST_E0_NS1_11comp_targetILNS1_3genE5ELNS1_11target_archE942ELNS1_3gpuE9ELNS1_3repE0EEENS1_38merge_mergepath_config_static_selectorELNS0_4arch9wavefront6targetE1EEEvSF_ ; -- Begin function _ZN7rocprim17ROCPRIM_400000_NS6detail17trampoline_kernelINS0_14default_configENS1_38merge_sort_block_merge_config_selectorIxNS0_10empty_typeEEEZZNS1_27merge_sort_block_merge_implIS3_PxPS5_jNS1_19radix_merge_compareILb0ELb0ExNS0_19identity_decomposerEEEEE10hipError_tT0_T1_T2_jT3_P12ihipStream_tbPNSt15iterator_traitsISE_E10value_typeEPNSK_ISF_E10value_typeEPSG_NS1_7vsmem_tEENKUlT_SE_SF_SG_E_clIS8_S8_S9_S9_EESD_ST_SE_SF_SG_EUlST_E0_NS1_11comp_targetILNS1_3genE5ELNS1_11target_archE942ELNS1_3gpuE9ELNS1_3repE0EEENS1_38merge_mergepath_config_static_selectorELNS0_4arch9wavefront6targetE1EEEvSF_
	.globl	_ZN7rocprim17ROCPRIM_400000_NS6detail17trampoline_kernelINS0_14default_configENS1_38merge_sort_block_merge_config_selectorIxNS0_10empty_typeEEEZZNS1_27merge_sort_block_merge_implIS3_PxPS5_jNS1_19radix_merge_compareILb0ELb0ExNS0_19identity_decomposerEEEEE10hipError_tT0_T1_T2_jT3_P12ihipStream_tbPNSt15iterator_traitsISE_E10value_typeEPNSK_ISF_E10value_typeEPSG_NS1_7vsmem_tEENKUlT_SE_SF_SG_E_clIS8_S8_S9_S9_EESD_ST_SE_SF_SG_EUlST_E0_NS1_11comp_targetILNS1_3genE5ELNS1_11target_archE942ELNS1_3gpuE9ELNS1_3repE0EEENS1_38merge_mergepath_config_static_selectorELNS0_4arch9wavefront6targetE1EEEvSF_
	.p2align	8
	.type	_ZN7rocprim17ROCPRIM_400000_NS6detail17trampoline_kernelINS0_14default_configENS1_38merge_sort_block_merge_config_selectorIxNS0_10empty_typeEEEZZNS1_27merge_sort_block_merge_implIS3_PxPS5_jNS1_19radix_merge_compareILb0ELb0ExNS0_19identity_decomposerEEEEE10hipError_tT0_T1_T2_jT3_P12ihipStream_tbPNSt15iterator_traitsISE_E10value_typeEPNSK_ISF_E10value_typeEPSG_NS1_7vsmem_tEENKUlT_SE_SF_SG_E_clIS8_S8_S9_S9_EESD_ST_SE_SF_SG_EUlST_E0_NS1_11comp_targetILNS1_3genE5ELNS1_11target_archE942ELNS1_3gpuE9ELNS1_3repE0EEENS1_38merge_mergepath_config_static_selectorELNS0_4arch9wavefront6targetE1EEEvSF_,@function
_ZN7rocprim17ROCPRIM_400000_NS6detail17trampoline_kernelINS0_14default_configENS1_38merge_sort_block_merge_config_selectorIxNS0_10empty_typeEEEZZNS1_27merge_sort_block_merge_implIS3_PxPS5_jNS1_19radix_merge_compareILb0ELb0ExNS0_19identity_decomposerEEEEE10hipError_tT0_T1_T2_jT3_P12ihipStream_tbPNSt15iterator_traitsISE_E10value_typeEPNSK_ISF_E10value_typeEPSG_NS1_7vsmem_tEENKUlT_SE_SF_SG_E_clIS8_S8_S9_S9_EESD_ST_SE_SF_SG_EUlST_E0_NS1_11comp_targetILNS1_3genE5ELNS1_11target_archE942ELNS1_3gpuE9ELNS1_3repE0EEENS1_38merge_mergepath_config_static_selectorELNS0_4arch9wavefront6targetE1EEEvSF_: ; @_ZN7rocprim17ROCPRIM_400000_NS6detail17trampoline_kernelINS0_14default_configENS1_38merge_sort_block_merge_config_selectorIxNS0_10empty_typeEEEZZNS1_27merge_sort_block_merge_implIS3_PxPS5_jNS1_19radix_merge_compareILb0ELb0ExNS0_19identity_decomposerEEEEE10hipError_tT0_T1_T2_jT3_P12ihipStream_tbPNSt15iterator_traitsISE_E10value_typeEPNSK_ISF_E10value_typeEPSG_NS1_7vsmem_tEENKUlT_SE_SF_SG_E_clIS8_S8_S9_S9_EESD_ST_SE_SF_SG_EUlST_E0_NS1_11comp_targetILNS1_3genE5ELNS1_11target_archE942ELNS1_3gpuE9ELNS1_3repE0EEENS1_38merge_mergepath_config_static_selectorELNS0_4arch9wavefront6targetE1EEEvSF_
; %bb.0:
	.section	.rodata,"a",@progbits
	.p2align	6, 0x0
	.amdhsa_kernel _ZN7rocprim17ROCPRIM_400000_NS6detail17trampoline_kernelINS0_14default_configENS1_38merge_sort_block_merge_config_selectorIxNS0_10empty_typeEEEZZNS1_27merge_sort_block_merge_implIS3_PxPS5_jNS1_19radix_merge_compareILb0ELb0ExNS0_19identity_decomposerEEEEE10hipError_tT0_T1_T2_jT3_P12ihipStream_tbPNSt15iterator_traitsISE_E10value_typeEPNSK_ISF_E10value_typeEPSG_NS1_7vsmem_tEENKUlT_SE_SF_SG_E_clIS8_S8_S9_S9_EESD_ST_SE_SF_SG_EUlST_E0_NS1_11comp_targetILNS1_3genE5ELNS1_11target_archE942ELNS1_3gpuE9ELNS1_3repE0EEENS1_38merge_mergepath_config_static_selectorELNS0_4arch9wavefront6targetE1EEEvSF_
		.amdhsa_group_segment_fixed_size 0
		.amdhsa_private_segment_fixed_size 0
		.amdhsa_kernarg_size 64
		.amdhsa_user_sgpr_count 6
		.amdhsa_user_sgpr_private_segment_buffer 1
		.amdhsa_user_sgpr_dispatch_ptr 0
		.amdhsa_user_sgpr_queue_ptr 0
		.amdhsa_user_sgpr_kernarg_segment_ptr 1
		.amdhsa_user_sgpr_dispatch_id 0
		.amdhsa_user_sgpr_flat_scratch_init 0
		.amdhsa_user_sgpr_kernarg_preload_length 0
		.amdhsa_user_sgpr_kernarg_preload_offset 0
		.amdhsa_user_sgpr_private_segment_size 0
		.amdhsa_uses_dynamic_stack 0
		.amdhsa_system_sgpr_private_segment_wavefront_offset 0
		.amdhsa_system_sgpr_workgroup_id_x 1
		.amdhsa_system_sgpr_workgroup_id_y 0
		.amdhsa_system_sgpr_workgroup_id_z 0
		.amdhsa_system_sgpr_workgroup_info 0
		.amdhsa_system_vgpr_workitem_id 0
		.amdhsa_next_free_vgpr 1
		.amdhsa_next_free_sgpr 0
		.amdhsa_accum_offset 4
		.amdhsa_reserve_vcc 0
		.amdhsa_reserve_flat_scratch 0
		.amdhsa_float_round_mode_32 0
		.amdhsa_float_round_mode_16_64 0
		.amdhsa_float_denorm_mode_32 3
		.amdhsa_float_denorm_mode_16_64 3
		.amdhsa_dx10_clamp 1
		.amdhsa_ieee_mode 1
		.amdhsa_fp16_overflow 0
		.amdhsa_tg_split 0
		.amdhsa_exception_fp_ieee_invalid_op 0
		.amdhsa_exception_fp_denorm_src 0
		.amdhsa_exception_fp_ieee_div_zero 0
		.amdhsa_exception_fp_ieee_overflow 0
		.amdhsa_exception_fp_ieee_underflow 0
		.amdhsa_exception_fp_ieee_inexact 0
		.amdhsa_exception_int_div_zero 0
	.end_amdhsa_kernel
	.section	.text._ZN7rocprim17ROCPRIM_400000_NS6detail17trampoline_kernelINS0_14default_configENS1_38merge_sort_block_merge_config_selectorIxNS0_10empty_typeEEEZZNS1_27merge_sort_block_merge_implIS3_PxPS5_jNS1_19radix_merge_compareILb0ELb0ExNS0_19identity_decomposerEEEEE10hipError_tT0_T1_T2_jT3_P12ihipStream_tbPNSt15iterator_traitsISE_E10value_typeEPNSK_ISF_E10value_typeEPSG_NS1_7vsmem_tEENKUlT_SE_SF_SG_E_clIS8_S8_S9_S9_EESD_ST_SE_SF_SG_EUlST_E0_NS1_11comp_targetILNS1_3genE5ELNS1_11target_archE942ELNS1_3gpuE9ELNS1_3repE0EEENS1_38merge_mergepath_config_static_selectorELNS0_4arch9wavefront6targetE1EEEvSF_,"axG",@progbits,_ZN7rocprim17ROCPRIM_400000_NS6detail17trampoline_kernelINS0_14default_configENS1_38merge_sort_block_merge_config_selectorIxNS0_10empty_typeEEEZZNS1_27merge_sort_block_merge_implIS3_PxPS5_jNS1_19radix_merge_compareILb0ELb0ExNS0_19identity_decomposerEEEEE10hipError_tT0_T1_T2_jT3_P12ihipStream_tbPNSt15iterator_traitsISE_E10value_typeEPNSK_ISF_E10value_typeEPSG_NS1_7vsmem_tEENKUlT_SE_SF_SG_E_clIS8_S8_S9_S9_EESD_ST_SE_SF_SG_EUlST_E0_NS1_11comp_targetILNS1_3genE5ELNS1_11target_archE942ELNS1_3gpuE9ELNS1_3repE0EEENS1_38merge_mergepath_config_static_selectorELNS0_4arch9wavefront6targetE1EEEvSF_,comdat
.Lfunc_end1026:
	.size	_ZN7rocprim17ROCPRIM_400000_NS6detail17trampoline_kernelINS0_14default_configENS1_38merge_sort_block_merge_config_selectorIxNS0_10empty_typeEEEZZNS1_27merge_sort_block_merge_implIS3_PxPS5_jNS1_19radix_merge_compareILb0ELb0ExNS0_19identity_decomposerEEEEE10hipError_tT0_T1_T2_jT3_P12ihipStream_tbPNSt15iterator_traitsISE_E10value_typeEPNSK_ISF_E10value_typeEPSG_NS1_7vsmem_tEENKUlT_SE_SF_SG_E_clIS8_S8_S9_S9_EESD_ST_SE_SF_SG_EUlST_E0_NS1_11comp_targetILNS1_3genE5ELNS1_11target_archE942ELNS1_3gpuE9ELNS1_3repE0EEENS1_38merge_mergepath_config_static_selectorELNS0_4arch9wavefront6targetE1EEEvSF_, .Lfunc_end1026-_ZN7rocprim17ROCPRIM_400000_NS6detail17trampoline_kernelINS0_14default_configENS1_38merge_sort_block_merge_config_selectorIxNS0_10empty_typeEEEZZNS1_27merge_sort_block_merge_implIS3_PxPS5_jNS1_19radix_merge_compareILb0ELb0ExNS0_19identity_decomposerEEEEE10hipError_tT0_T1_T2_jT3_P12ihipStream_tbPNSt15iterator_traitsISE_E10value_typeEPNSK_ISF_E10value_typeEPSG_NS1_7vsmem_tEENKUlT_SE_SF_SG_E_clIS8_S8_S9_S9_EESD_ST_SE_SF_SG_EUlST_E0_NS1_11comp_targetILNS1_3genE5ELNS1_11target_archE942ELNS1_3gpuE9ELNS1_3repE0EEENS1_38merge_mergepath_config_static_selectorELNS0_4arch9wavefront6targetE1EEEvSF_
                                        ; -- End function
	.section	.AMDGPU.csdata,"",@progbits
; Kernel info:
; codeLenInByte = 0
; NumSgprs: 4
; NumVgprs: 0
; NumAgprs: 0
; TotalNumVgprs: 0
; ScratchSize: 0
; MemoryBound: 0
; FloatMode: 240
; IeeeMode: 1
; LDSByteSize: 0 bytes/workgroup (compile time only)
; SGPRBlocks: 0
; VGPRBlocks: 0
; NumSGPRsForWavesPerEU: 4
; NumVGPRsForWavesPerEU: 1
; AccumOffset: 4
; Occupancy: 8
; WaveLimiterHint : 0
; COMPUTE_PGM_RSRC2:SCRATCH_EN: 0
; COMPUTE_PGM_RSRC2:USER_SGPR: 6
; COMPUTE_PGM_RSRC2:TRAP_HANDLER: 0
; COMPUTE_PGM_RSRC2:TGID_X_EN: 1
; COMPUTE_PGM_RSRC2:TGID_Y_EN: 0
; COMPUTE_PGM_RSRC2:TGID_Z_EN: 0
; COMPUTE_PGM_RSRC2:TIDIG_COMP_CNT: 0
; COMPUTE_PGM_RSRC3_GFX90A:ACCUM_OFFSET: 0
; COMPUTE_PGM_RSRC3_GFX90A:TG_SPLIT: 0
	.section	.text._ZN7rocprim17ROCPRIM_400000_NS6detail17trampoline_kernelINS0_14default_configENS1_38merge_sort_block_merge_config_selectorIxNS0_10empty_typeEEEZZNS1_27merge_sort_block_merge_implIS3_PxPS5_jNS1_19radix_merge_compareILb0ELb0ExNS0_19identity_decomposerEEEEE10hipError_tT0_T1_T2_jT3_P12ihipStream_tbPNSt15iterator_traitsISE_E10value_typeEPNSK_ISF_E10value_typeEPSG_NS1_7vsmem_tEENKUlT_SE_SF_SG_E_clIS8_S8_S9_S9_EESD_ST_SE_SF_SG_EUlST_E0_NS1_11comp_targetILNS1_3genE4ELNS1_11target_archE910ELNS1_3gpuE8ELNS1_3repE0EEENS1_38merge_mergepath_config_static_selectorELNS0_4arch9wavefront6targetE1EEEvSF_,"axG",@progbits,_ZN7rocprim17ROCPRIM_400000_NS6detail17trampoline_kernelINS0_14default_configENS1_38merge_sort_block_merge_config_selectorIxNS0_10empty_typeEEEZZNS1_27merge_sort_block_merge_implIS3_PxPS5_jNS1_19radix_merge_compareILb0ELb0ExNS0_19identity_decomposerEEEEE10hipError_tT0_T1_T2_jT3_P12ihipStream_tbPNSt15iterator_traitsISE_E10value_typeEPNSK_ISF_E10value_typeEPSG_NS1_7vsmem_tEENKUlT_SE_SF_SG_E_clIS8_S8_S9_S9_EESD_ST_SE_SF_SG_EUlST_E0_NS1_11comp_targetILNS1_3genE4ELNS1_11target_archE910ELNS1_3gpuE8ELNS1_3repE0EEENS1_38merge_mergepath_config_static_selectorELNS0_4arch9wavefront6targetE1EEEvSF_,comdat
	.protected	_ZN7rocprim17ROCPRIM_400000_NS6detail17trampoline_kernelINS0_14default_configENS1_38merge_sort_block_merge_config_selectorIxNS0_10empty_typeEEEZZNS1_27merge_sort_block_merge_implIS3_PxPS5_jNS1_19radix_merge_compareILb0ELb0ExNS0_19identity_decomposerEEEEE10hipError_tT0_T1_T2_jT3_P12ihipStream_tbPNSt15iterator_traitsISE_E10value_typeEPNSK_ISF_E10value_typeEPSG_NS1_7vsmem_tEENKUlT_SE_SF_SG_E_clIS8_S8_S9_S9_EESD_ST_SE_SF_SG_EUlST_E0_NS1_11comp_targetILNS1_3genE4ELNS1_11target_archE910ELNS1_3gpuE8ELNS1_3repE0EEENS1_38merge_mergepath_config_static_selectorELNS0_4arch9wavefront6targetE1EEEvSF_ ; -- Begin function _ZN7rocprim17ROCPRIM_400000_NS6detail17trampoline_kernelINS0_14default_configENS1_38merge_sort_block_merge_config_selectorIxNS0_10empty_typeEEEZZNS1_27merge_sort_block_merge_implIS3_PxPS5_jNS1_19radix_merge_compareILb0ELb0ExNS0_19identity_decomposerEEEEE10hipError_tT0_T1_T2_jT3_P12ihipStream_tbPNSt15iterator_traitsISE_E10value_typeEPNSK_ISF_E10value_typeEPSG_NS1_7vsmem_tEENKUlT_SE_SF_SG_E_clIS8_S8_S9_S9_EESD_ST_SE_SF_SG_EUlST_E0_NS1_11comp_targetILNS1_3genE4ELNS1_11target_archE910ELNS1_3gpuE8ELNS1_3repE0EEENS1_38merge_mergepath_config_static_selectorELNS0_4arch9wavefront6targetE1EEEvSF_
	.globl	_ZN7rocprim17ROCPRIM_400000_NS6detail17trampoline_kernelINS0_14default_configENS1_38merge_sort_block_merge_config_selectorIxNS0_10empty_typeEEEZZNS1_27merge_sort_block_merge_implIS3_PxPS5_jNS1_19radix_merge_compareILb0ELb0ExNS0_19identity_decomposerEEEEE10hipError_tT0_T1_T2_jT3_P12ihipStream_tbPNSt15iterator_traitsISE_E10value_typeEPNSK_ISF_E10value_typeEPSG_NS1_7vsmem_tEENKUlT_SE_SF_SG_E_clIS8_S8_S9_S9_EESD_ST_SE_SF_SG_EUlST_E0_NS1_11comp_targetILNS1_3genE4ELNS1_11target_archE910ELNS1_3gpuE8ELNS1_3repE0EEENS1_38merge_mergepath_config_static_selectorELNS0_4arch9wavefront6targetE1EEEvSF_
	.p2align	8
	.type	_ZN7rocprim17ROCPRIM_400000_NS6detail17trampoline_kernelINS0_14default_configENS1_38merge_sort_block_merge_config_selectorIxNS0_10empty_typeEEEZZNS1_27merge_sort_block_merge_implIS3_PxPS5_jNS1_19radix_merge_compareILb0ELb0ExNS0_19identity_decomposerEEEEE10hipError_tT0_T1_T2_jT3_P12ihipStream_tbPNSt15iterator_traitsISE_E10value_typeEPNSK_ISF_E10value_typeEPSG_NS1_7vsmem_tEENKUlT_SE_SF_SG_E_clIS8_S8_S9_S9_EESD_ST_SE_SF_SG_EUlST_E0_NS1_11comp_targetILNS1_3genE4ELNS1_11target_archE910ELNS1_3gpuE8ELNS1_3repE0EEENS1_38merge_mergepath_config_static_selectorELNS0_4arch9wavefront6targetE1EEEvSF_,@function
_ZN7rocprim17ROCPRIM_400000_NS6detail17trampoline_kernelINS0_14default_configENS1_38merge_sort_block_merge_config_selectorIxNS0_10empty_typeEEEZZNS1_27merge_sort_block_merge_implIS3_PxPS5_jNS1_19radix_merge_compareILb0ELb0ExNS0_19identity_decomposerEEEEE10hipError_tT0_T1_T2_jT3_P12ihipStream_tbPNSt15iterator_traitsISE_E10value_typeEPNSK_ISF_E10value_typeEPSG_NS1_7vsmem_tEENKUlT_SE_SF_SG_E_clIS8_S8_S9_S9_EESD_ST_SE_SF_SG_EUlST_E0_NS1_11comp_targetILNS1_3genE4ELNS1_11target_archE910ELNS1_3gpuE8ELNS1_3repE0EEENS1_38merge_mergepath_config_static_selectorELNS0_4arch9wavefront6targetE1EEEvSF_: ; @_ZN7rocprim17ROCPRIM_400000_NS6detail17trampoline_kernelINS0_14default_configENS1_38merge_sort_block_merge_config_selectorIxNS0_10empty_typeEEEZZNS1_27merge_sort_block_merge_implIS3_PxPS5_jNS1_19radix_merge_compareILb0ELb0ExNS0_19identity_decomposerEEEEE10hipError_tT0_T1_T2_jT3_P12ihipStream_tbPNSt15iterator_traitsISE_E10value_typeEPNSK_ISF_E10value_typeEPSG_NS1_7vsmem_tEENKUlT_SE_SF_SG_E_clIS8_S8_S9_S9_EESD_ST_SE_SF_SG_EUlST_E0_NS1_11comp_targetILNS1_3genE4ELNS1_11target_archE910ELNS1_3gpuE8ELNS1_3repE0EEENS1_38merge_mergepath_config_static_selectorELNS0_4arch9wavefront6targetE1EEEvSF_
; %bb.0:
	s_load_dwordx2 s[14:15], s[4:5], 0x40
	s_load_dword s3, s[4:5], 0x30
	s_add_u32 s0, s4, 64
	s_addc_u32 s1, s5, 0
	s_waitcnt lgkmcnt(0)
	s_mul_i32 s2, s15, s8
	s_add_i32 s2, s2, s7
	s_mul_i32 s2, s2, s14
	s_add_i32 s2, s2, s6
	s_cmp_ge_u32 s2, s3
	s_cbranch_scc1 .LBB1027_31
; %bb.1:
	s_load_dwordx2 s[8:9], s[4:5], 0x28
	s_load_dwordx2 s[10:11], s[4:5], 0x38
	;; [unrolled: 1-line block ×3, first 2 shown]
	s_mov_b32 s3, 0
	v_mov_b32_e32 v9, 0
	s_waitcnt lgkmcnt(0)
	s_lshr_b32 s7, s8, 10
	s_cmp_lg_u32 s2, s7
	s_cselect_b64 s[12:13], -1, 0
	s_lshl_b64 s[18:19], s[2:3], 2
	s_add_u32 s10, s10, s18
	s_addc_u32 s11, s11, s19
	s_load_dwordx2 s[18:19], s[10:11], 0x0
	s_lshr_b32 s10, s9, 9
	s_and_b32 s10, s10, 0x7ffffe
	s_sub_i32 s11, 0, s10
	s_and_b32 s15, s2, s11
	s_lshl_b32 s21, s15, 10
	s_lshl_b32 s10, s2, 10
	;; [unrolled: 1-line block ×3, first 2 shown]
	s_sub_i32 s20, s10, s21
	s_add_i32 s15, s15, s9
	s_add_i32 s22, s15, s20
	s_waitcnt lgkmcnt(0)
	s_sub_i32 s20, s22, s18
	s_sub_i32 s22, s22, s19
	;; [unrolled: 1-line block ×3, first 2 shown]
	s_min_u32 s20, s8, s20
	s_addk_i32 s22, 0x400
	s_or_b32 s11, s2, s11
	s_min_u32 s21, s8, s15
	s_add_i32 s15, s15, s9
	s_cmp_eq_u32 s11, -1
	s_cselect_b32 s9, s15, s22
	s_cselect_b32 s11, s21, s19
	s_min_u32 s15, s9, s8
	s_mov_b32 s19, s3
	s_sub_i32 s9, s11, s18
	s_sub_i32 s15, s15, s20
	s_lshl_b64 s[18:19], s[18:19], 3
	s_add_u32 s18, s16, s18
	s_mov_b32 s21, s3
	s_addc_u32 s19, s17, s19
	s_lshl_b64 s[20:21], s[20:21], 3
	s_add_u32 s16, s16, s20
	s_addc_u32 s17, s17, s21
	s_cmp_lt_u32 s6, s14
	s_cselect_b32 s3, 12, 18
	global_load_dword v1, v9, s[0:1] offset:14
	s_add_u32 s0, s0, s3
	s_addc_u32 s1, s1, 0
	global_load_ushort v2, v9, s[0:1]
	s_cmp_eq_u32 s2, s7
	s_waitcnt vmcnt(1)
	v_lshrrev_b32_e32 v3, 16, v1
	v_and_b32_e32 v1, 0xffff, v1
	v_mul_lo_u32 v1, v1, v3
	s_waitcnt vmcnt(0)
	v_mul_lo_u32 v14, v1, v2
	v_add_u32_e32 v12, v14, v0
	v_lshlrev_b32_e32 v1, 3, v0
	v_add_u32_e32 v10, v12, v14
	s_cbranch_scc1 .LBB1027_3
; %bb.2:
	v_mov_b32_e32 v2, s19
	v_add_co_u32_e32 v4, vcc, s18, v1
	v_subrev_u32_e32 v8, s9, v0
	v_addc_co_u32_e32 v5, vcc, 0, v2, vcc
	v_lshlrev_b64 v[2:3], 3, v[8:9]
	v_mov_b32_e32 v6, s17
	v_add_co_u32_e32 v2, vcc, s16, v2
	v_addc_co_u32_e32 v3, vcc, v6, v3, vcc
	v_cmp_gt_u32_e32 vcc, s9, v0
	v_mov_b32_e32 v13, v9
	v_cndmask_b32_e32 v3, v3, v5, vcc
	v_cndmask_b32_e32 v2, v2, v4, vcc
	v_lshlrev_b64 v[4:5], 3, v[12:13]
	v_mov_b32_e32 v6, s19
	v_add_co_u32_e32 v7, vcc, s18, v4
	v_subrev_u32_e32 v8, s9, v12
	v_addc_co_u32_e32 v6, vcc, v6, v5, vcc
	v_lshlrev_b64 v[4:5], 3, v[8:9]
	v_mov_b32_e32 v8, s17
	v_add_co_u32_e32 v4, vcc, s16, v4
	v_addc_co_u32_e32 v5, vcc, v8, v5, vcc
	v_cmp_gt_u32_e32 vcc, s9, v12
	v_mov_b32_e32 v11, v9
	v_cndmask_b32_e32 v5, v5, v6, vcc
	v_cndmask_b32_e32 v4, v4, v7, vcc
	v_lshlrev_b64 v[6:7], 3, v[10:11]
	v_mov_b32_e32 v8, s19
	v_add_co_u32_e32 v11, vcc, s18, v6
	v_addc_co_u32_e32 v13, vcc, v8, v7, vcc
	v_subrev_u32_e32 v8, s9, v10
	v_lshlrev_b64 v[6:7], 3, v[8:9]
	v_mov_b32_e32 v8, s17
	v_add_co_u32_e32 v6, vcc, s16, v6
	v_addc_co_u32_e32 v7, vcc, v8, v7, vcc
	v_add_u32_e32 v8, v10, v14
	v_cmp_gt_u32_e32 vcc, s9, v10
	v_lshlrev_b64 v[16:17], 3, v[8:9]
	v_cndmask_b32_e32 v7, v7, v13, vcc
	v_cndmask_b32_e32 v6, v6, v11, vcc
	v_mov_b32_e32 v11, s19
	v_add_co_u32_e32 v13, vcc, s18, v16
	v_addc_co_u32_e32 v11, vcc, v11, v17, vcc
	v_cmp_gt_u32_e32 vcc, s9, v8
	v_subrev_u32_e32 v8, s9, v8
	v_lshlrev_b64 v[8:9], 3, v[8:9]
	v_mov_b32_e32 v15, s17
	v_add_co_u32_e64 v8, s[0:1], s16, v8
	v_addc_co_u32_e64 v9, s[0:1], v15, v9, s[0:1]
	v_cndmask_b32_e32 v9, v9, v11, vcc
	v_cndmask_b32_e32 v8, v8, v13, vcc
	global_load_dwordx2 v[2:3], v[2:3], off
	s_add_i32 s11, s15, s9
	global_load_dwordx2 v[4:5], v[4:5], off
	s_nop 0
	global_load_dwordx2 v[6:7], v[6:7], off
	s_nop 0
	global_load_dwordx2 v[8:9], v[8:9], off
	s_load_dwordx2 s[6:7], s[4:5], 0x10
	s_cbranch_execz .LBB1027_4
	s_branch .LBB1027_11
.LBB1027_3:
                                        ; implicit-def: $vgpr2_vgpr3_vgpr4_vgpr5_vgpr6_vgpr7_vgpr8_vgpr9
                                        ; implicit-def: $sgpr11
	s_load_dwordx2 s[6:7], s[4:5], 0x10
.LBB1027_4:
	s_add_i32 s11, s15, s9
	v_cmp_gt_u32_e32 vcc, s11, v0
                                        ; implicit-def: $vgpr2_vgpr3_vgpr4_vgpr5_vgpr6_vgpr7_vgpr8_vgpr9
	s_and_saveexec_b64 s[0:1], vcc
	s_cbranch_execnz .LBB1027_32
; %bb.5:
	s_or_b64 exec, exec, s[0:1]
	v_cmp_gt_u32_e32 vcc, s11, v12
	s_and_saveexec_b64 s[2:3], vcc
	s_cbranch_execnz .LBB1027_33
.LBB1027_6:
	s_or_b64 exec, exec, s[2:3]
	v_cmp_gt_u32_e32 vcc, s11, v10
	s_and_saveexec_b64 s[0:1], vcc
	s_cbranch_execz .LBB1027_8
.LBB1027_7:
	v_mov_b32_e32 v11, 0
	s_waitcnt vmcnt(1)
	v_lshlrev_b64 v[6:7], 3, v[10:11]
	v_mov_b32_e32 v12, s19
	v_add_co_u32_e32 v13, vcc, s18, v6
	v_addc_co_u32_e32 v12, vcc, v12, v7, vcc
	v_subrev_u32_e32 v6, s9, v10
	v_mov_b32_e32 v7, v11
	v_lshlrev_b64 v[6:7], 3, v[6:7]
	v_mov_b32_e32 v11, s17
	v_add_co_u32_e32 v6, vcc, s16, v6
	v_addc_co_u32_e32 v7, vcc, v11, v7, vcc
	v_cmp_gt_u32_e32 vcc, s9, v10
	v_cndmask_b32_e32 v7, v7, v12, vcc
	v_cndmask_b32_e32 v6, v6, v13, vcc
	global_load_dwordx2 v[6:7], v[6:7], off
.LBB1027_8:
	s_or_b64 exec, exec, s[0:1]
	v_add_u32_e32 v10, v10, v14
	v_cmp_gt_u32_e32 vcc, s11, v10
	s_and_saveexec_b64 s[2:3], vcc
	s_cbranch_execz .LBB1027_10
; %bb.9:
	v_mov_b32_e32 v11, 0
	s_waitcnt vmcnt(0)
	v_lshlrev_b64 v[8:9], 3, v[10:11]
	v_mov_b32_e32 v12, s19
	v_add_co_u32_e32 v13, vcc, s18, v8
	v_addc_co_u32_e32 v12, vcc, v12, v9, vcc
	v_cmp_gt_u32_e32 vcc, s9, v10
	v_subrev_u32_e32 v10, s9, v10
	v_lshlrev_b64 v[8:9], 3, v[10:11]
	v_mov_b32_e32 v10, s17
	v_add_co_u32_e64 v8, s[0:1], s16, v8
	v_addc_co_u32_e64 v9, s[0:1], v10, v9, s[0:1]
	v_cndmask_b32_e32 v9, v9, v12, vcc
	v_cndmask_b32_e32 v8, v8, v13, vcc
	global_load_dwordx2 v[8:9], v[8:9], off
.LBB1027_10:
	s_or_b64 exec, exec, s[2:3]
.LBB1027_11:
	v_lshlrev_b32_e32 v10, 2, v0
	v_min_u32_e32 v12, s11, v10
	v_sub_u32_e64 v11, v12, s15 clamp
	v_min_u32_e32 v13, s9, v12
	v_cmp_lt_u32_e32 vcc, v11, v13
	s_waitcnt vmcnt(0)
	ds_write2st64_b64 v1, v[2:3], v[4:5] offset1:4
	ds_write2st64_b64 v1, v[6:7], v[8:9] offset0:8 offset1:12
	s_waitcnt lgkmcnt(0)
	s_barrier
	s_and_saveexec_b64 s[0:1], vcc
	s_cbranch_execz .LBB1027_15
; %bb.12:
	v_lshlrev_b32_e32 v14, 3, v12
	v_lshl_add_u32 v14, s9, 3, v14
	s_mov_b64 s[2:3], 0
.LBB1027_13:                            ; =>This Inner Loop Header: Depth=1
	v_add_u32_e32 v15, v13, v11
	v_lshrrev_b32_e32 v15, 1, v15
	v_not_b32_e32 v16, v15
	v_lshlrev_b32_e32 v17, 3, v15
	v_lshl_add_u32 v18, v16, 3, v14
	ds_read_b64 v[16:17], v17
	ds_read_b64 v[18:19], v18
	v_add_u32_e32 v20, 1, v15
	s_waitcnt lgkmcnt(0)
	v_cmp_gt_i64_e32 vcc, v[16:17], v[18:19]
	v_cndmask_b32_e32 v13, v13, v15, vcc
	v_cndmask_b32_e32 v11, v20, v11, vcc
	v_cmp_ge_u32_e32 vcc, v11, v13
	s_or_b64 s[2:3], vcc, s[2:3]
	s_andn2_b64 exec, exec, s[2:3]
	s_cbranch_execnz .LBB1027_13
; %bb.14:
	s_or_b64 exec, exec, s[2:3]
.LBB1027_15:
	s_or_b64 exec, exec, s[0:1]
	v_sub_u32_e32 v12, v12, v11
	v_add_u32_e32 v12, s9, v12
	v_cmp_ge_u32_e32 vcc, s9, v11
	v_cmp_ge_u32_e64 s[0:1], s11, v12
	s_or_b64 s[0:1], vcc, s[0:1]
	s_and_saveexec_b64 s[14:15], s[0:1]
	s_cbranch_execz .LBB1027_21
; %bb.16:
	v_cmp_gt_u32_e32 vcc, s9, v11
                                        ; implicit-def: $vgpr2_vgpr3
	s_and_saveexec_b64 s[0:1], vcc
	s_cbranch_execz .LBB1027_18
; %bb.17:
	v_lshlrev_b32_e32 v2, 3, v11
	ds_read_b64 v[2:3], v2
.LBB1027_18:
	s_or_b64 exec, exec, s[0:1]
	v_cmp_le_u32_e64 s[0:1], s11, v12
	v_cmp_gt_u32_e64 s[2:3], s11, v12
                                        ; implicit-def: $vgpr4_vgpr5
	s_and_saveexec_b64 s[4:5], s[2:3]
	s_cbranch_execz .LBB1027_20
; %bb.19:
	v_lshlrev_b32_e32 v4, 3, v12
	ds_read_b64 v[4:5], v4
.LBB1027_20:
	s_or_b64 exec, exec, s[4:5]
	s_waitcnt lgkmcnt(0)
	v_cmp_le_i64_e64 s[2:3], v[2:3], v[4:5]
	s_and_b64 s[2:3], vcc, s[2:3]
	s_or_b64 vcc, s[0:1], s[2:3]
	v_mov_b32_e32 v16, s11
	v_mov_b32_e32 v17, s9
	v_cndmask_b32_e32 v6, v12, v11, vcc
	v_cndmask_b32_e32 v7, v16, v17, vcc
	v_add_u32_e32 v13, 1, v6
	v_add_u32_e32 v6, -1, v7
	v_min_u32_e32 v6, v13, v6
	v_lshlrev_b32_e32 v6, 3, v6
	ds_read_b64 v[6:7], v6
	v_cndmask_b32_e32 v11, v11, v13, vcc
	v_cndmask_b32_e32 v18, v13, v12, vcc
	v_cmp_gt_u32_e64 s[2:3], s9, v11
	v_cmp_le_u32_e64 s[0:1], s11, v18
	s_waitcnt lgkmcnt(0)
	v_cndmask_b32_e32 v9, v7, v5, vcc
	v_cndmask_b32_e32 v8, v6, v4, vcc
	;; [unrolled: 1-line block ×4, first 2 shown]
	v_cmp_le_i64_e64 s[4:5], v[6:7], v[8:9]
	s_and_b64 s[2:3], s[2:3], s[4:5]
	s_or_b64 s[0:1], s[0:1], s[2:3]
	v_cndmask_b32_e64 v12, v18, v11, s[0:1]
	v_cndmask_b32_e64 v13, v16, v17, s[0:1]
	v_add_u32_e32 v19, 1, v12
	v_add_u32_e32 v12, -1, v13
	v_min_u32_e32 v12, v19, v12
	v_lshlrev_b32_e32 v12, 3, v12
	ds_read_b64 v[12:13], v12
	v_cndmask_b32_e64 v11, v11, v19, s[0:1]
	v_cndmask_b32_e64 v18, v19, v18, s[0:1]
	v_cmp_gt_u32_e64 s[2:3], s9, v11
	v_cndmask_b32_e32 v3, v5, v3, vcc
	s_waitcnt lgkmcnt(0)
	v_cndmask_b32_e64 v15, v13, v9, s[0:1]
	v_cndmask_b32_e64 v14, v12, v8, s[0:1]
	;; [unrolled: 1-line block ×4, first 2 shown]
	v_cmp_le_i64_e64 s[4:5], v[12:13], v[14:15]
	v_cndmask_b32_e32 v2, v4, v2, vcc
	v_cmp_le_u32_e32 vcc, s11, v18
	s_and_b64 s[2:3], s[2:3], s[4:5]
	s_or_b64 vcc, vcc, s[2:3]
	v_cndmask_b32_e32 v4, v18, v11, vcc
	v_cndmask_b32_e32 v5, v16, v17, vcc
	v_add_u32_e32 v19, 1, v4
	v_add_u32_e32 v4, -1, v5
	v_min_u32_e32 v4, v19, v4
	v_lshlrev_b32_e32 v4, 3, v4
	ds_read_b64 v[16:17], v4
	v_cndmask_b32_e64 v5, v9, v7, s[0:1]
	v_cndmask_b32_e64 v4, v8, v6, s[0:1]
	v_cndmask_b32_e32 v7, v15, v13, vcc
	v_cndmask_b32_e32 v6, v14, v12, vcc
	s_waitcnt lgkmcnt(0)
	v_cndmask_b32_e32 v9, v17, v15, vcc
	v_cndmask_b32_e32 v8, v16, v14, vcc
	;; [unrolled: 1-line block ×6, first 2 shown]
	v_cmp_gt_u32_e64 s[0:1], s9, v11
	v_cmp_le_i64_e64 s[2:3], v[12:13], v[8:9]
	v_cmp_le_u32_e32 vcc, s11, v14
	s_and_b64 s[0:1], s[0:1], s[2:3]
	s_or_b64 vcc, vcc, s[0:1]
	v_cndmask_b32_e32 v9, v9, v13, vcc
	v_cndmask_b32_e32 v8, v8, v12, vcc
.LBB1027_21:
	s_or_b64 exec, exec, s[14:15]
	v_and_b32_e32 v11, 0xf8, v0
	v_lshl_add_u32 v10, v10, 3, v11
	s_barrier
	s_barrier
	ds_write2_b64 v10, v[2:3], v[4:5] offset1:1
	ds_write2_b64 v10, v[6:7], v[8:9] offset0:2 offset1:3
	v_lshrrev_b32_e32 v2, 2, v0
	v_and_b32_e32 v2, 56, v2
	v_or_b32_e32 v12, 0x100, v0
	v_add_u32_e32 v13, v1, v2
	v_lshrrev_b32_e32 v2, 2, v12
	v_and_b32_e32 v2, 0x78, v2
	v_or_b32_e32 v11, 0x200, v0
	s_mov_b32 s11, 0
	v_add_u32_e32 v6, v1, v2
	v_lshrrev_b32_e32 v2, 2, v11
	s_lshl_b64 s[0:1], s[10:11], 3
	v_and_b32_e32 v2, 0xb8, v2
	v_or_b32_e32 v10, 0x300, v0
	s_add_u32 s0, s6, s0
	v_add_u32_e32 v7, v1, v2
	v_lshrrev_b32_e32 v2, 2, v10
	s_addc_u32 s1, s7, s1
	v_and_b32_e32 v2, 0xf8, v2
	v_add_u32_e32 v14, v1, v2
	v_mov_b32_e32 v3, s1
	v_add_co_u32_e32 v2, vcc, s0, v1
	v_addc_co_u32_e32 v3, vcc, 0, v3, vcc
	s_and_b64 vcc, exec, s[12:13]
	s_waitcnt lgkmcnt(0)
	s_cbranch_vccz .LBB1027_23
; %bb.22:
	s_barrier
	ds_read_b64 v[8:9], v13
	ds_read_b64 v[16:17], v6 offset:2048
	ds_read_b64 v[18:19], v7 offset:4096
	;; [unrolled: 1-line block ×3, first 2 shown]
	s_waitcnt lgkmcnt(3)
	global_store_dwordx2 v[2:3], v[8:9], off
	s_waitcnt lgkmcnt(2)
	global_store_dwordx2 v[2:3], v[16:17], off offset:2048
	v_add_co_u32_e32 v8, vcc, 0x1000, v2
	v_addc_co_u32_e32 v9, vcc, 0, v3, vcc
	s_waitcnt lgkmcnt(1)
	global_store_dwordx2 v[8:9], v[18:19], off
	s_mov_b64 s[0:1], -1
	s_cbranch_execz .LBB1027_24
	s_branch .LBB1027_29
.LBB1027_23:
	s_mov_b64 s[0:1], 0
                                        ; implicit-def: $vgpr4_vgpr5
.LBB1027_24:
	s_barrier
	s_waitcnt lgkmcnt(0)
	ds_read_b64 v[8:9], v6 offset:2048
	ds_read_b64 v[6:7], v7 offset:4096
	;; [unrolled: 1-line block ×3, first 2 shown]
	s_sub_i32 s2, s8, s10
	v_cmp_gt_u32_e32 vcc, s2, v0
	s_and_saveexec_b64 s[0:1], vcc
	s_cbranch_execnz .LBB1027_34
; %bb.25:
	s_or_b64 exec, exec, s[0:1]
	v_cmp_gt_u32_e32 vcc, s2, v12
	s_and_saveexec_b64 s[0:1], vcc
	s_cbranch_execnz .LBB1027_35
.LBB1027_26:
	s_or_b64 exec, exec, s[0:1]
	v_cmp_gt_u32_e32 vcc, s2, v11
	s_and_saveexec_b64 s[0:1], vcc
	s_cbranch_execz .LBB1027_28
.LBB1027_27:
	v_add_co_u32_e32 v0, vcc, 0x1000, v2
	v_addc_co_u32_e32 v1, vcc, 0, v3, vcc
	s_waitcnt lgkmcnt(1)
	global_store_dwordx2 v[0:1], v[6:7], off
.LBB1027_28:
	s_or_b64 exec, exec, s[0:1]
	v_cmp_gt_u32_e64 s[0:1], s2, v10
.LBB1027_29:
	s_and_saveexec_b64 s[2:3], s[0:1]
	s_cbranch_execz .LBB1027_31
; %bb.30:
	v_add_co_u32_e32 v0, vcc, 0x1000, v2
	v_addc_co_u32_e32 v1, vcc, 0, v3, vcc
	s_waitcnt lgkmcnt(0)
	global_store_dwordx2 v[0:1], v[4:5], off offset:2048
.LBB1027_31:
	s_endpgm
.LBB1027_32:
	s_waitcnt vmcnt(3)
	v_mov_b32_e32 v2, s19
	s_waitcnt vmcnt(2)
	v_add_co_u32_e32 v4, vcc, s18, v1
	v_mov_b32_e32 v3, 0
	v_addc_co_u32_e32 v5, vcc, 0, v2, vcc
	v_subrev_u32_e32 v2, s9, v0
	v_lshlrev_b64 v[2:3], 3, v[2:3]
	s_waitcnt vmcnt(1)
	v_mov_b32_e32 v6, s17
	v_add_co_u32_e32 v2, vcc, s16, v2
	v_addc_co_u32_e32 v3, vcc, v6, v3, vcc
	v_cmp_gt_u32_e32 vcc, s9, v0
	v_cndmask_b32_e32 v3, v3, v5, vcc
	v_cndmask_b32_e32 v2, v2, v4, vcc
	global_load_dwordx2 v[2:3], v[2:3], off
	s_or_b64 exec, exec, s[0:1]
	v_cmp_gt_u32_e32 vcc, s11, v12
	s_and_saveexec_b64 s[2:3], vcc
	s_cbranch_execz .LBB1027_6
.LBB1027_33:
	v_mov_b32_e32 v13, 0
	s_waitcnt vmcnt(2)
	v_lshlrev_b64 v[4:5], 3, v[12:13]
	v_mov_b32_e32 v11, s19
	v_add_co_u32_e32 v15, vcc, s18, v4
	v_addc_co_u32_e32 v11, vcc, v11, v5, vcc
	v_cmp_gt_u32_e32 vcc, s9, v12
	v_subrev_u32_e32 v12, s9, v12
	v_lshlrev_b64 v[4:5], 3, v[12:13]
	v_mov_b32_e32 v12, s17
	v_add_co_u32_e64 v4, s[0:1], s16, v4
	v_addc_co_u32_e64 v5, s[0:1], v12, v5, s[0:1]
	v_cndmask_b32_e32 v5, v5, v11, vcc
	v_cndmask_b32_e32 v4, v4, v15, vcc
	global_load_dwordx2 v[4:5], v[4:5], off
	s_or_b64 exec, exec, s[2:3]
	v_cmp_gt_u32_e32 vcc, s11, v10
	s_and_saveexec_b64 s[0:1], vcc
	s_cbranch_execnz .LBB1027_7
	s_branch .LBB1027_8
.LBB1027_34:
	ds_read_b64 v[0:1], v13
	s_waitcnt lgkmcnt(0)
	global_store_dwordx2 v[2:3], v[0:1], off
	s_or_b64 exec, exec, s[0:1]
	v_cmp_gt_u32_e32 vcc, s2, v12
	s_and_saveexec_b64 s[0:1], vcc
	s_cbranch_execz .LBB1027_26
.LBB1027_35:
	s_waitcnt lgkmcnt(2)
	global_store_dwordx2 v[2:3], v[8:9], off offset:2048
	s_or_b64 exec, exec, s[0:1]
	v_cmp_gt_u32_e32 vcc, s2, v11
	s_and_saveexec_b64 s[0:1], vcc
	s_cbranch_execnz .LBB1027_27
	s_branch .LBB1027_28
	.section	.rodata,"a",@progbits
	.p2align	6, 0x0
	.amdhsa_kernel _ZN7rocprim17ROCPRIM_400000_NS6detail17trampoline_kernelINS0_14default_configENS1_38merge_sort_block_merge_config_selectorIxNS0_10empty_typeEEEZZNS1_27merge_sort_block_merge_implIS3_PxPS5_jNS1_19radix_merge_compareILb0ELb0ExNS0_19identity_decomposerEEEEE10hipError_tT0_T1_T2_jT3_P12ihipStream_tbPNSt15iterator_traitsISE_E10value_typeEPNSK_ISF_E10value_typeEPSG_NS1_7vsmem_tEENKUlT_SE_SF_SG_E_clIS8_S8_S9_S9_EESD_ST_SE_SF_SG_EUlST_E0_NS1_11comp_targetILNS1_3genE4ELNS1_11target_archE910ELNS1_3gpuE8ELNS1_3repE0EEENS1_38merge_mergepath_config_static_selectorELNS0_4arch9wavefront6targetE1EEEvSF_
		.amdhsa_group_segment_fixed_size 8448
		.amdhsa_private_segment_fixed_size 0
		.amdhsa_kernarg_size 320
		.amdhsa_user_sgpr_count 6
		.amdhsa_user_sgpr_private_segment_buffer 1
		.amdhsa_user_sgpr_dispatch_ptr 0
		.amdhsa_user_sgpr_queue_ptr 0
		.amdhsa_user_sgpr_kernarg_segment_ptr 1
		.amdhsa_user_sgpr_dispatch_id 0
		.amdhsa_user_sgpr_flat_scratch_init 0
		.amdhsa_user_sgpr_kernarg_preload_length 0
		.amdhsa_user_sgpr_kernarg_preload_offset 0
		.amdhsa_user_sgpr_private_segment_size 0
		.amdhsa_uses_dynamic_stack 0
		.amdhsa_system_sgpr_private_segment_wavefront_offset 0
		.amdhsa_system_sgpr_workgroup_id_x 1
		.amdhsa_system_sgpr_workgroup_id_y 1
		.amdhsa_system_sgpr_workgroup_id_z 1
		.amdhsa_system_sgpr_workgroup_info 0
		.amdhsa_system_vgpr_workitem_id 0
		.amdhsa_next_free_vgpr 21
		.amdhsa_next_free_sgpr 23
		.amdhsa_accum_offset 24
		.amdhsa_reserve_vcc 1
		.amdhsa_reserve_flat_scratch 0
		.amdhsa_float_round_mode_32 0
		.amdhsa_float_round_mode_16_64 0
		.amdhsa_float_denorm_mode_32 3
		.amdhsa_float_denorm_mode_16_64 3
		.amdhsa_dx10_clamp 1
		.amdhsa_ieee_mode 1
		.amdhsa_fp16_overflow 0
		.amdhsa_tg_split 0
		.amdhsa_exception_fp_ieee_invalid_op 0
		.amdhsa_exception_fp_denorm_src 0
		.amdhsa_exception_fp_ieee_div_zero 0
		.amdhsa_exception_fp_ieee_overflow 0
		.amdhsa_exception_fp_ieee_underflow 0
		.amdhsa_exception_fp_ieee_inexact 0
		.amdhsa_exception_int_div_zero 0
	.end_amdhsa_kernel
	.section	.text._ZN7rocprim17ROCPRIM_400000_NS6detail17trampoline_kernelINS0_14default_configENS1_38merge_sort_block_merge_config_selectorIxNS0_10empty_typeEEEZZNS1_27merge_sort_block_merge_implIS3_PxPS5_jNS1_19radix_merge_compareILb0ELb0ExNS0_19identity_decomposerEEEEE10hipError_tT0_T1_T2_jT3_P12ihipStream_tbPNSt15iterator_traitsISE_E10value_typeEPNSK_ISF_E10value_typeEPSG_NS1_7vsmem_tEENKUlT_SE_SF_SG_E_clIS8_S8_S9_S9_EESD_ST_SE_SF_SG_EUlST_E0_NS1_11comp_targetILNS1_3genE4ELNS1_11target_archE910ELNS1_3gpuE8ELNS1_3repE0EEENS1_38merge_mergepath_config_static_selectorELNS0_4arch9wavefront6targetE1EEEvSF_,"axG",@progbits,_ZN7rocprim17ROCPRIM_400000_NS6detail17trampoline_kernelINS0_14default_configENS1_38merge_sort_block_merge_config_selectorIxNS0_10empty_typeEEEZZNS1_27merge_sort_block_merge_implIS3_PxPS5_jNS1_19radix_merge_compareILb0ELb0ExNS0_19identity_decomposerEEEEE10hipError_tT0_T1_T2_jT3_P12ihipStream_tbPNSt15iterator_traitsISE_E10value_typeEPNSK_ISF_E10value_typeEPSG_NS1_7vsmem_tEENKUlT_SE_SF_SG_E_clIS8_S8_S9_S9_EESD_ST_SE_SF_SG_EUlST_E0_NS1_11comp_targetILNS1_3genE4ELNS1_11target_archE910ELNS1_3gpuE8ELNS1_3repE0EEENS1_38merge_mergepath_config_static_selectorELNS0_4arch9wavefront6targetE1EEEvSF_,comdat
.Lfunc_end1027:
	.size	_ZN7rocprim17ROCPRIM_400000_NS6detail17trampoline_kernelINS0_14default_configENS1_38merge_sort_block_merge_config_selectorIxNS0_10empty_typeEEEZZNS1_27merge_sort_block_merge_implIS3_PxPS5_jNS1_19radix_merge_compareILb0ELb0ExNS0_19identity_decomposerEEEEE10hipError_tT0_T1_T2_jT3_P12ihipStream_tbPNSt15iterator_traitsISE_E10value_typeEPNSK_ISF_E10value_typeEPSG_NS1_7vsmem_tEENKUlT_SE_SF_SG_E_clIS8_S8_S9_S9_EESD_ST_SE_SF_SG_EUlST_E0_NS1_11comp_targetILNS1_3genE4ELNS1_11target_archE910ELNS1_3gpuE8ELNS1_3repE0EEENS1_38merge_mergepath_config_static_selectorELNS0_4arch9wavefront6targetE1EEEvSF_, .Lfunc_end1027-_ZN7rocprim17ROCPRIM_400000_NS6detail17trampoline_kernelINS0_14default_configENS1_38merge_sort_block_merge_config_selectorIxNS0_10empty_typeEEEZZNS1_27merge_sort_block_merge_implIS3_PxPS5_jNS1_19radix_merge_compareILb0ELb0ExNS0_19identity_decomposerEEEEE10hipError_tT0_T1_T2_jT3_P12ihipStream_tbPNSt15iterator_traitsISE_E10value_typeEPNSK_ISF_E10value_typeEPSG_NS1_7vsmem_tEENKUlT_SE_SF_SG_E_clIS8_S8_S9_S9_EESD_ST_SE_SF_SG_EUlST_E0_NS1_11comp_targetILNS1_3genE4ELNS1_11target_archE910ELNS1_3gpuE8ELNS1_3repE0EEENS1_38merge_mergepath_config_static_selectorELNS0_4arch9wavefront6targetE1EEEvSF_
                                        ; -- End function
	.section	.AMDGPU.csdata,"",@progbits
; Kernel info:
; codeLenInByte = 2180
; NumSgprs: 27
; NumVgprs: 21
; NumAgprs: 0
; TotalNumVgprs: 21
; ScratchSize: 0
; MemoryBound: 0
; FloatMode: 240
; IeeeMode: 1
; LDSByteSize: 8448 bytes/workgroup (compile time only)
; SGPRBlocks: 3
; VGPRBlocks: 2
; NumSGPRsForWavesPerEU: 27
; NumVGPRsForWavesPerEU: 21
; AccumOffset: 24
; Occupancy: 7
; WaveLimiterHint : 1
; COMPUTE_PGM_RSRC2:SCRATCH_EN: 0
; COMPUTE_PGM_RSRC2:USER_SGPR: 6
; COMPUTE_PGM_RSRC2:TRAP_HANDLER: 0
; COMPUTE_PGM_RSRC2:TGID_X_EN: 1
; COMPUTE_PGM_RSRC2:TGID_Y_EN: 1
; COMPUTE_PGM_RSRC2:TGID_Z_EN: 1
; COMPUTE_PGM_RSRC2:TIDIG_COMP_CNT: 0
; COMPUTE_PGM_RSRC3_GFX90A:ACCUM_OFFSET: 5
; COMPUTE_PGM_RSRC3_GFX90A:TG_SPLIT: 0
	.section	.text._ZN7rocprim17ROCPRIM_400000_NS6detail17trampoline_kernelINS0_14default_configENS1_38merge_sort_block_merge_config_selectorIxNS0_10empty_typeEEEZZNS1_27merge_sort_block_merge_implIS3_PxPS5_jNS1_19radix_merge_compareILb0ELb0ExNS0_19identity_decomposerEEEEE10hipError_tT0_T1_T2_jT3_P12ihipStream_tbPNSt15iterator_traitsISE_E10value_typeEPNSK_ISF_E10value_typeEPSG_NS1_7vsmem_tEENKUlT_SE_SF_SG_E_clIS8_S8_S9_S9_EESD_ST_SE_SF_SG_EUlST_E0_NS1_11comp_targetILNS1_3genE3ELNS1_11target_archE908ELNS1_3gpuE7ELNS1_3repE0EEENS1_38merge_mergepath_config_static_selectorELNS0_4arch9wavefront6targetE1EEEvSF_,"axG",@progbits,_ZN7rocprim17ROCPRIM_400000_NS6detail17trampoline_kernelINS0_14default_configENS1_38merge_sort_block_merge_config_selectorIxNS0_10empty_typeEEEZZNS1_27merge_sort_block_merge_implIS3_PxPS5_jNS1_19radix_merge_compareILb0ELb0ExNS0_19identity_decomposerEEEEE10hipError_tT0_T1_T2_jT3_P12ihipStream_tbPNSt15iterator_traitsISE_E10value_typeEPNSK_ISF_E10value_typeEPSG_NS1_7vsmem_tEENKUlT_SE_SF_SG_E_clIS8_S8_S9_S9_EESD_ST_SE_SF_SG_EUlST_E0_NS1_11comp_targetILNS1_3genE3ELNS1_11target_archE908ELNS1_3gpuE7ELNS1_3repE0EEENS1_38merge_mergepath_config_static_selectorELNS0_4arch9wavefront6targetE1EEEvSF_,comdat
	.protected	_ZN7rocprim17ROCPRIM_400000_NS6detail17trampoline_kernelINS0_14default_configENS1_38merge_sort_block_merge_config_selectorIxNS0_10empty_typeEEEZZNS1_27merge_sort_block_merge_implIS3_PxPS5_jNS1_19radix_merge_compareILb0ELb0ExNS0_19identity_decomposerEEEEE10hipError_tT0_T1_T2_jT3_P12ihipStream_tbPNSt15iterator_traitsISE_E10value_typeEPNSK_ISF_E10value_typeEPSG_NS1_7vsmem_tEENKUlT_SE_SF_SG_E_clIS8_S8_S9_S9_EESD_ST_SE_SF_SG_EUlST_E0_NS1_11comp_targetILNS1_3genE3ELNS1_11target_archE908ELNS1_3gpuE7ELNS1_3repE0EEENS1_38merge_mergepath_config_static_selectorELNS0_4arch9wavefront6targetE1EEEvSF_ ; -- Begin function _ZN7rocprim17ROCPRIM_400000_NS6detail17trampoline_kernelINS0_14default_configENS1_38merge_sort_block_merge_config_selectorIxNS0_10empty_typeEEEZZNS1_27merge_sort_block_merge_implIS3_PxPS5_jNS1_19radix_merge_compareILb0ELb0ExNS0_19identity_decomposerEEEEE10hipError_tT0_T1_T2_jT3_P12ihipStream_tbPNSt15iterator_traitsISE_E10value_typeEPNSK_ISF_E10value_typeEPSG_NS1_7vsmem_tEENKUlT_SE_SF_SG_E_clIS8_S8_S9_S9_EESD_ST_SE_SF_SG_EUlST_E0_NS1_11comp_targetILNS1_3genE3ELNS1_11target_archE908ELNS1_3gpuE7ELNS1_3repE0EEENS1_38merge_mergepath_config_static_selectorELNS0_4arch9wavefront6targetE1EEEvSF_
	.globl	_ZN7rocprim17ROCPRIM_400000_NS6detail17trampoline_kernelINS0_14default_configENS1_38merge_sort_block_merge_config_selectorIxNS0_10empty_typeEEEZZNS1_27merge_sort_block_merge_implIS3_PxPS5_jNS1_19radix_merge_compareILb0ELb0ExNS0_19identity_decomposerEEEEE10hipError_tT0_T1_T2_jT3_P12ihipStream_tbPNSt15iterator_traitsISE_E10value_typeEPNSK_ISF_E10value_typeEPSG_NS1_7vsmem_tEENKUlT_SE_SF_SG_E_clIS8_S8_S9_S9_EESD_ST_SE_SF_SG_EUlST_E0_NS1_11comp_targetILNS1_3genE3ELNS1_11target_archE908ELNS1_3gpuE7ELNS1_3repE0EEENS1_38merge_mergepath_config_static_selectorELNS0_4arch9wavefront6targetE1EEEvSF_
	.p2align	8
	.type	_ZN7rocprim17ROCPRIM_400000_NS6detail17trampoline_kernelINS0_14default_configENS1_38merge_sort_block_merge_config_selectorIxNS0_10empty_typeEEEZZNS1_27merge_sort_block_merge_implIS3_PxPS5_jNS1_19radix_merge_compareILb0ELb0ExNS0_19identity_decomposerEEEEE10hipError_tT0_T1_T2_jT3_P12ihipStream_tbPNSt15iterator_traitsISE_E10value_typeEPNSK_ISF_E10value_typeEPSG_NS1_7vsmem_tEENKUlT_SE_SF_SG_E_clIS8_S8_S9_S9_EESD_ST_SE_SF_SG_EUlST_E0_NS1_11comp_targetILNS1_3genE3ELNS1_11target_archE908ELNS1_3gpuE7ELNS1_3repE0EEENS1_38merge_mergepath_config_static_selectorELNS0_4arch9wavefront6targetE1EEEvSF_,@function
_ZN7rocprim17ROCPRIM_400000_NS6detail17trampoline_kernelINS0_14default_configENS1_38merge_sort_block_merge_config_selectorIxNS0_10empty_typeEEEZZNS1_27merge_sort_block_merge_implIS3_PxPS5_jNS1_19radix_merge_compareILb0ELb0ExNS0_19identity_decomposerEEEEE10hipError_tT0_T1_T2_jT3_P12ihipStream_tbPNSt15iterator_traitsISE_E10value_typeEPNSK_ISF_E10value_typeEPSG_NS1_7vsmem_tEENKUlT_SE_SF_SG_E_clIS8_S8_S9_S9_EESD_ST_SE_SF_SG_EUlST_E0_NS1_11comp_targetILNS1_3genE3ELNS1_11target_archE908ELNS1_3gpuE7ELNS1_3repE0EEENS1_38merge_mergepath_config_static_selectorELNS0_4arch9wavefront6targetE1EEEvSF_: ; @_ZN7rocprim17ROCPRIM_400000_NS6detail17trampoline_kernelINS0_14default_configENS1_38merge_sort_block_merge_config_selectorIxNS0_10empty_typeEEEZZNS1_27merge_sort_block_merge_implIS3_PxPS5_jNS1_19radix_merge_compareILb0ELb0ExNS0_19identity_decomposerEEEEE10hipError_tT0_T1_T2_jT3_P12ihipStream_tbPNSt15iterator_traitsISE_E10value_typeEPNSK_ISF_E10value_typeEPSG_NS1_7vsmem_tEENKUlT_SE_SF_SG_E_clIS8_S8_S9_S9_EESD_ST_SE_SF_SG_EUlST_E0_NS1_11comp_targetILNS1_3genE3ELNS1_11target_archE908ELNS1_3gpuE7ELNS1_3repE0EEENS1_38merge_mergepath_config_static_selectorELNS0_4arch9wavefront6targetE1EEEvSF_
; %bb.0:
	.section	.rodata,"a",@progbits
	.p2align	6, 0x0
	.amdhsa_kernel _ZN7rocprim17ROCPRIM_400000_NS6detail17trampoline_kernelINS0_14default_configENS1_38merge_sort_block_merge_config_selectorIxNS0_10empty_typeEEEZZNS1_27merge_sort_block_merge_implIS3_PxPS5_jNS1_19radix_merge_compareILb0ELb0ExNS0_19identity_decomposerEEEEE10hipError_tT0_T1_T2_jT3_P12ihipStream_tbPNSt15iterator_traitsISE_E10value_typeEPNSK_ISF_E10value_typeEPSG_NS1_7vsmem_tEENKUlT_SE_SF_SG_E_clIS8_S8_S9_S9_EESD_ST_SE_SF_SG_EUlST_E0_NS1_11comp_targetILNS1_3genE3ELNS1_11target_archE908ELNS1_3gpuE7ELNS1_3repE0EEENS1_38merge_mergepath_config_static_selectorELNS0_4arch9wavefront6targetE1EEEvSF_
		.amdhsa_group_segment_fixed_size 0
		.amdhsa_private_segment_fixed_size 0
		.amdhsa_kernarg_size 64
		.amdhsa_user_sgpr_count 6
		.amdhsa_user_sgpr_private_segment_buffer 1
		.amdhsa_user_sgpr_dispatch_ptr 0
		.amdhsa_user_sgpr_queue_ptr 0
		.amdhsa_user_sgpr_kernarg_segment_ptr 1
		.amdhsa_user_sgpr_dispatch_id 0
		.amdhsa_user_sgpr_flat_scratch_init 0
		.amdhsa_user_sgpr_kernarg_preload_length 0
		.amdhsa_user_sgpr_kernarg_preload_offset 0
		.amdhsa_user_sgpr_private_segment_size 0
		.amdhsa_uses_dynamic_stack 0
		.amdhsa_system_sgpr_private_segment_wavefront_offset 0
		.amdhsa_system_sgpr_workgroup_id_x 1
		.amdhsa_system_sgpr_workgroup_id_y 0
		.amdhsa_system_sgpr_workgroup_id_z 0
		.amdhsa_system_sgpr_workgroup_info 0
		.amdhsa_system_vgpr_workitem_id 0
		.amdhsa_next_free_vgpr 1
		.amdhsa_next_free_sgpr 0
		.amdhsa_accum_offset 4
		.amdhsa_reserve_vcc 0
		.amdhsa_reserve_flat_scratch 0
		.amdhsa_float_round_mode_32 0
		.amdhsa_float_round_mode_16_64 0
		.amdhsa_float_denorm_mode_32 3
		.amdhsa_float_denorm_mode_16_64 3
		.amdhsa_dx10_clamp 1
		.amdhsa_ieee_mode 1
		.amdhsa_fp16_overflow 0
		.amdhsa_tg_split 0
		.amdhsa_exception_fp_ieee_invalid_op 0
		.amdhsa_exception_fp_denorm_src 0
		.amdhsa_exception_fp_ieee_div_zero 0
		.amdhsa_exception_fp_ieee_overflow 0
		.amdhsa_exception_fp_ieee_underflow 0
		.amdhsa_exception_fp_ieee_inexact 0
		.amdhsa_exception_int_div_zero 0
	.end_amdhsa_kernel
	.section	.text._ZN7rocprim17ROCPRIM_400000_NS6detail17trampoline_kernelINS0_14default_configENS1_38merge_sort_block_merge_config_selectorIxNS0_10empty_typeEEEZZNS1_27merge_sort_block_merge_implIS3_PxPS5_jNS1_19radix_merge_compareILb0ELb0ExNS0_19identity_decomposerEEEEE10hipError_tT0_T1_T2_jT3_P12ihipStream_tbPNSt15iterator_traitsISE_E10value_typeEPNSK_ISF_E10value_typeEPSG_NS1_7vsmem_tEENKUlT_SE_SF_SG_E_clIS8_S8_S9_S9_EESD_ST_SE_SF_SG_EUlST_E0_NS1_11comp_targetILNS1_3genE3ELNS1_11target_archE908ELNS1_3gpuE7ELNS1_3repE0EEENS1_38merge_mergepath_config_static_selectorELNS0_4arch9wavefront6targetE1EEEvSF_,"axG",@progbits,_ZN7rocprim17ROCPRIM_400000_NS6detail17trampoline_kernelINS0_14default_configENS1_38merge_sort_block_merge_config_selectorIxNS0_10empty_typeEEEZZNS1_27merge_sort_block_merge_implIS3_PxPS5_jNS1_19radix_merge_compareILb0ELb0ExNS0_19identity_decomposerEEEEE10hipError_tT0_T1_T2_jT3_P12ihipStream_tbPNSt15iterator_traitsISE_E10value_typeEPNSK_ISF_E10value_typeEPSG_NS1_7vsmem_tEENKUlT_SE_SF_SG_E_clIS8_S8_S9_S9_EESD_ST_SE_SF_SG_EUlST_E0_NS1_11comp_targetILNS1_3genE3ELNS1_11target_archE908ELNS1_3gpuE7ELNS1_3repE0EEENS1_38merge_mergepath_config_static_selectorELNS0_4arch9wavefront6targetE1EEEvSF_,comdat
.Lfunc_end1028:
	.size	_ZN7rocprim17ROCPRIM_400000_NS6detail17trampoline_kernelINS0_14default_configENS1_38merge_sort_block_merge_config_selectorIxNS0_10empty_typeEEEZZNS1_27merge_sort_block_merge_implIS3_PxPS5_jNS1_19radix_merge_compareILb0ELb0ExNS0_19identity_decomposerEEEEE10hipError_tT0_T1_T2_jT3_P12ihipStream_tbPNSt15iterator_traitsISE_E10value_typeEPNSK_ISF_E10value_typeEPSG_NS1_7vsmem_tEENKUlT_SE_SF_SG_E_clIS8_S8_S9_S9_EESD_ST_SE_SF_SG_EUlST_E0_NS1_11comp_targetILNS1_3genE3ELNS1_11target_archE908ELNS1_3gpuE7ELNS1_3repE0EEENS1_38merge_mergepath_config_static_selectorELNS0_4arch9wavefront6targetE1EEEvSF_, .Lfunc_end1028-_ZN7rocprim17ROCPRIM_400000_NS6detail17trampoline_kernelINS0_14default_configENS1_38merge_sort_block_merge_config_selectorIxNS0_10empty_typeEEEZZNS1_27merge_sort_block_merge_implIS3_PxPS5_jNS1_19radix_merge_compareILb0ELb0ExNS0_19identity_decomposerEEEEE10hipError_tT0_T1_T2_jT3_P12ihipStream_tbPNSt15iterator_traitsISE_E10value_typeEPNSK_ISF_E10value_typeEPSG_NS1_7vsmem_tEENKUlT_SE_SF_SG_E_clIS8_S8_S9_S9_EESD_ST_SE_SF_SG_EUlST_E0_NS1_11comp_targetILNS1_3genE3ELNS1_11target_archE908ELNS1_3gpuE7ELNS1_3repE0EEENS1_38merge_mergepath_config_static_selectorELNS0_4arch9wavefront6targetE1EEEvSF_
                                        ; -- End function
	.section	.AMDGPU.csdata,"",@progbits
; Kernel info:
; codeLenInByte = 0
; NumSgprs: 4
; NumVgprs: 0
; NumAgprs: 0
; TotalNumVgprs: 0
; ScratchSize: 0
; MemoryBound: 0
; FloatMode: 240
; IeeeMode: 1
; LDSByteSize: 0 bytes/workgroup (compile time only)
; SGPRBlocks: 0
; VGPRBlocks: 0
; NumSGPRsForWavesPerEU: 4
; NumVGPRsForWavesPerEU: 1
; AccumOffset: 4
; Occupancy: 8
; WaveLimiterHint : 0
; COMPUTE_PGM_RSRC2:SCRATCH_EN: 0
; COMPUTE_PGM_RSRC2:USER_SGPR: 6
; COMPUTE_PGM_RSRC2:TRAP_HANDLER: 0
; COMPUTE_PGM_RSRC2:TGID_X_EN: 1
; COMPUTE_PGM_RSRC2:TGID_Y_EN: 0
; COMPUTE_PGM_RSRC2:TGID_Z_EN: 0
; COMPUTE_PGM_RSRC2:TIDIG_COMP_CNT: 0
; COMPUTE_PGM_RSRC3_GFX90A:ACCUM_OFFSET: 0
; COMPUTE_PGM_RSRC3_GFX90A:TG_SPLIT: 0
	.section	.text._ZN7rocprim17ROCPRIM_400000_NS6detail17trampoline_kernelINS0_14default_configENS1_38merge_sort_block_merge_config_selectorIxNS0_10empty_typeEEEZZNS1_27merge_sort_block_merge_implIS3_PxPS5_jNS1_19radix_merge_compareILb0ELb0ExNS0_19identity_decomposerEEEEE10hipError_tT0_T1_T2_jT3_P12ihipStream_tbPNSt15iterator_traitsISE_E10value_typeEPNSK_ISF_E10value_typeEPSG_NS1_7vsmem_tEENKUlT_SE_SF_SG_E_clIS8_S8_S9_S9_EESD_ST_SE_SF_SG_EUlST_E0_NS1_11comp_targetILNS1_3genE2ELNS1_11target_archE906ELNS1_3gpuE6ELNS1_3repE0EEENS1_38merge_mergepath_config_static_selectorELNS0_4arch9wavefront6targetE1EEEvSF_,"axG",@progbits,_ZN7rocprim17ROCPRIM_400000_NS6detail17trampoline_kernelINS0_14default_configENS1_38merge_sort_block_merge_config_selectorIxNS0_10empty_typeEEEZZNS1_27merge_sort_block_merge_implIS3_PxPS5_jNS1_19radix_merge_compareILb0ELb0ExNS0_19identity_decomposerEEEEE10hipError_tT0_T1_T2_jT3_P12ihipStream_tbPNSt15iterator_traitsISE_E10value_typeEPNSK_ISF_E10value_typeEPSG_NS1_7vsmem_tEENKUlT_SE_SF_SG_E_clIS8_S8_S9_S9_EESD_ST_SE_SF_SG_EUlST_E0_NS1_11comp_targetILNS1_3genE2ELNS1_11target_archE906ELNS1_3gpuE6ELNS1_3repE0EEENS1_38merge_mergepath_config_static_selectorELNS0_4arch9wavefront6targetE1EEEvSF_,comdat
	.protected	_ZN7rocprim17ROCPRIM_400000_NS6detail17trampoline_kernelINS0_14default_configENS1_38merge_sort_block_merge_config_selectorIxNS0_10empty_typeEEEZZNS1_27merge_sort_block_merge_implIS3_PxPS5_jNS1_19radix_merge_compareILb0ELb0ExNS0_19identity_decomposerEEEEE10hipError_tT0_T1_T2_jT3_P12ihipStream_tbPNSt15iterator_traitsISE_E10value_typeEPNSK_ISF_E10value_typeEPSG_NS1_7vsmem_tEENKUlT_SE_SF_SG_E_clIS8_S8_S9_S9_EESD_ST_SE_SF_SG_EUlST_E0_NS1_11comp_targetILNS1_3genE2ELNS1_11target_archE906ELNS1_3gpuE6ELNS1_3repE0EEENS1_38merge_mergepath_config_static_selectorELNS0_4arch9wavefront6targetE1EEEvSF_ ; -- Begin function _ZN7rocprim17ROCPRIM_400000_NS6detail17trampoline_kernelINS0_14default_configENS1_38merge_sort_block_merge_config_selectorIxNS0_10empty_typeEEEZZNS1_27merge_sort_block_merge_implIS3_PxPS5_jNS1_19radix_merge_compareILb0ELb0ExNS0_19identity_decomposerEEEEE10hipError_tT0_T1_T2_jT3_P12ihipStream_tbPNSt15iterator_traitsISE_E10value_typeEPNSK_ISF_E10value_typeEPSG_NS1_7vsmem_tEENKUlT_SE_SF_SG_E_clIS8_S8_S9_S9_EESD_ST_SE_SF_SG_EUlST_E0_NS1_11comp_targetILNS1_3genE2ELNS1_11target_archE906ELNS1_3gpuE6ELNS1_3repE0EEENS1_38merge_mergepath_config_static_selectorELNS0_4arch9wavefront6targetE1EEEvSF_
	.globl	_ZN7rocprim17ROCPRIM_400000_NS6detail17trampoline_kernelINS0_14default_configENS1_38merge_sort_block_merge_config_selectorIxNS0_10empty_typeEEEZZNS1_27merge_sort_block_merge_implIS3_PxPS5_jNS1_19radix_merge_compareILb0ELb0ExNS0_19identity_decomposerEEEEE10hipError_tT0_T1_T2_jT3_P12ihipStream_tbPNSt15iterator_traitsISE_E10value_typeEPNSK_ISF_E10value_typeEPSG_NS1_7vsmem_tEENKUlT_SE_SF_SG_E_clIS8_S8_S9_S9_EESD_ST_SE_SF_SG_EUlST_E0_NS1_11comp_targetILNS1_3genE2ELNS1_11target_archE906ELNS1_3gpuE6ELNS1_3repE0EEENS1_38merge_mergepath_config_static_selectorELNS0_4arch9wavefront6targetE1EEEvSF_
	.p2align	8
	.type	_ZN7rocprim17ROCPRIM_400000_NS6detail17trampoline_kernelINS0_14default_configENS1_38merge_sort_block_merge_config_selectorIxNS0_10empty_typeEEEZZNS1_27merge_sort_block_merge_implIS3_PxPS5_jNS1_19radix_merge_compareILb0ELb0ExNS0_19identity_decomposerEEEEE10hipError_tT0_T1_T2_jT3_P12ihipStream_tbPNSt15iterator_traitsISE_E10value_typeEPNSK_ISF_E10value_typeEPSG_NS1_7vsmem_tEENKUlT_SE_SF_SG_E_clIS8_S8_S9_S9_EESD_ST_SE_SF_SG_EUlST_E0_NS1_11comp_targetILNS1_3genE2ELNS1_11target_archE906ELNS1_3gpuE6ELNS1_3repE0EEENS1_38merge_mergepath_config_static_selectorELNS0_4arch9wavefront6targetE1EEEvSF_,@function
_ZN7rocprim17ROCPRIM_400000_NS6detail17trampoline_kernelINS0_14default_configENS1_38merge_sort_block_merge_config_selectorIxNS0_10empty_typeEEEZZNS1_27merge_sort_block_merge_implIS3_PxPS5_jNS1_19radix_merge_compareILb0ELb0ExNS0_19identity_decomposerEEEEE10hipError_tT0_T1_T2_jT3_P12ihipStream_tbPNSt15iterator_traitsISE_E10value_typeEPNSK_ISF_E10value_typeEPSG_NS1_7vsmem_tEENKUlT_SE_SF_SG_E_clIS8_S8_S9_S9_EESD_ST_SE_SF_SG_EUlST_E0_NS1_11comp_targetILNS1_3genE2ELNS1_11target_archE906ELNS1_3gpuE6ELNS1_3repE0EEENS1_38merge_mergepath_config_static_selectorELNS0_4arch9wavefront6targetE1EEEvSF_: ; @_ZN7rocprim17ROCPRIM_400000_NS6detail17trampoline_kernelINS0_14default_configENS1_38merge_sort_block_merge_config_selectorIxNS0_10empty_typeEEEZZNS1_27merge_sort_block_merge_implIS3_PxPS5_jNS1_19radix_merge_compareILb0ELb0ExNS0_19identity_decomposerEEEEE10hipError_tT0_T1_T2_jT3_P12ihipStream_tbPNSt15iterator_traitsISE_E10value_typeEPNSK_ISF_E10value_typeEPSG_NS1_7vsmem_tEENKUlT_SE_SF_SG_E_clIS8_S8_S9_S9_EESD_ST_SE_SF_SG_EUlST_E0_NS1_11comp_targetILNS1_3genE2ELNS1_11target_archE906ELNS1_3gpuE6ELNS1_3repE0EEENS1_38merge_mergepath_config_static_selectorELNS0_4arch9wavefront6targetE1EEEvSF_
; %bb.0:
	.section	.rodata,"a",@progbits
	.p2align	6, 0x0
	.amdhsa_kernel _ZN7rocprim17ROCPRIM_400000_NS6detail17trampoline_kernelINS0_14default_configENS1_38merge_sort_block_merge_config_selectorIxNS0_10empty_typeEEEZZNS1_27merge_sort_block_merge_implIS3_PxPS5_jNS1_19radix_merge_compareILb0ELb0ExNS0_19identity_decomposerEEEEE10hipError_tT0_T1_T2_jT3_P12ihipStream_tbPNSt15iterator_traitsISE_E10value_typeEPNSK_ISF_E10value_typeEPSG_NS1_7vsmem_tEENKUlT_SE_SF_SG_E_clIS8_S8_S9_S9_EESD_ST_SE_SF_SG_EUlST_E0_NS1_11comp_targetILNS1_3genE2ELNS1_11target_archE906ELNS1_3gpuE6ELNS1_3repE0EEENS1_38merge_mergepath_config_static_selectorELNS0_4arch9wavefront6targetE1EEEvSF_
		.amdhsa_group_segment_fixed_size 0
		.amdhsa_private_segment_fixed_size 0
		.amdhsa_kernarg_size 64
		.amdhsa_user_sgpr_count 6
		.amdhsa_user_sgpr_private_segment_buffer 1
		.amdhsa_user_sgpr_dispatch_ptr 0
		.amdhsa_user_sgpr_queue_ptr 0
		.amdhsa_user_sgpr_kernarg_segment_ptr 1
		.amdhsa_user_sgpr_dispatch_id 0
		.amdhsa_user_sgpr_flat_scratch_init 0
		.amdhsa_user_sgpr_kernarg_preload_length 0
		.amdhsa_user_sgpr_kernarg_preload_offset 0
		.amdhsa_user_sgpr_private_segment_size 0
		.amdhsa_uses_dynamic_stack 0
		.amdhsa_system_sgpr_private_segment_wavefront_offset 0
		.amdhsa_system_sgpr_workgroup_id_x 1
		.amdhsa_system_sgpr_workgroup_id_y 0
		.amdhsa_system_sgpr_workgroup_id_z 0
		.amdhsa_system_sgpr_workgroup_info 0
		.amdhsa_system_vgpr_workitem_id 0
		.amdhsa_next_free_vgpr 1
		.amdhsa_next_free_sgpr 0
		.amdhsa_accum_offset 4
		.amdhsa_reserve_vcc 0
		.amdhsa_reserve_flat_scratch 0
		.amdhsa_float_round_mode_32 0
		.amdhsa_float_round_mode_16_64 0
		.amdhsa_float_denorm_mode_32 3
		.amdhsa_float_denorm_mode_16_64 3
		.amdhsa_dx10_clamp 1
		.amdhsa_ieee_mode 1
		.amdhsa_fp16_overflow 0
		.amdhsa_tg_split 0
		.amdhsa_exception_fp_ieee_invalid_op 0
		.amdhsa_exception_fp_denorm_src 0
		.amdhsa_exception_fp_ieee_div_zero 0
		.amdhsa_exception_fp_ieee_overflow 0
		.amdhsa_exception_fp_ieee_underflow 0
		.amdhsa_exception_fp_ieee_inexact 0
		.amdhsa_exception_int_div_zero 0
	.end_amdhsa_kernel
	.section	.text._ZN7rocprim17ROCPRIM_400000_NS6detail17trampoline_kernelINS0_14default_configENS1_38merge_sort_block_merge_config_selectorIxNS0_10empty_typeEEEZZNS1_27merge_sort_block_merge_implIS3_PxPS5_jNS1_19radix_merge_compareILb0ELb0ExNS0_19identity_decomposerEEEEE10hipError_tT0_T1_T2_jT3_P12ihipStream_tbPNSt15iterator_traitsISE_E10value_typeEPNSK_ISF_E10value_typeEPSG_NS1_7vsmem_tEENKUlT_SE_SF_SG_E_clIS8_S8_S9_S9_EESD_ST_SE_SF_SG_EUlST_E0_NS1_11comp_targetILNS1_3genE2ELNS1_11target_archE906ELNS1_3gpuE6ELNS1_3repE0EEENS1_38merge_mergepath_config_static_selectorELNS0_4arch9wavefront6targetE1EEEvSF_,"axG",@progbits,_ZN7rocprim17ROCPRIM_400000_NS6detail17trampoline_kernelINS0_14default_configENS1_38merge_sort_block_merge_config_selectorIxNS0_10empty_typeEEEZZNS1_27merge_sort_block_merge_implIS3_PxPS5_jNS1_19radix_merge_compareILb0ELb0ExNS0_19identity_decomposerEEEEE10hipError_tT0_T1_T2_jT3_P12ihipStream_tbPNSt15iterator_traitsISE_E10value_typeEPNSK_ISF_E10value_typeEPSG_NS1_7vsmem_tEENKUlT_SE_SF_SG_E_clIS8_S8_S9_S9_EESD_ST_SE_SF_SG_EUlST_E0_NS1_11comp_targetILNS1_3genE2ELNS1_11target_archE906ELNS1_3gpuE6ELNS1_3repE0EEENS1_38merge_mergepath_config_static_selectorELNS0_4arch9wavefront6targetE1EEEvSF_,comdat
.Lfunc_end1029:
	.size	_ZN7rocprim17ROCPRIM_400000_NS6detail17trampoline_kernelINS0_14default_configENS1_38merge_sort_block_merge_config_selectorIxNS0_10empty_typeEEEZZNS1_27merge_sort_block_merge_implIS3_PxPS5_jNS1_19radix_merge_compareILb0ELb0ExNS0_19identity_decomposerEEEEE10hipError_tT0_T1_T2_jT3_P12ihipStream_tbPNSt15iterator_traitsISE_E10value_typeEPNSK_ISF_E10value_typeEPSG_NS1_7vsmem_tEENKUlT_SE_SF_SG_E_clIS8_S8_S9_S9_EESD_ST_SE_SF_SG_EUlST_E0_NS1_11comp_targetILNS1_3genE2ELNS1_11target_archE906ELNS1_3gpuE6ELNS1_3repE0EEENS1_38merge_mergepath_config_static_selectorELNS0_4arch9wavefront6targetE1EEEvSF_, .Lfunc_end1029-_ZN7rocprim17ROCPRIM_400000_NS6detail17trampoline_kernelINS0_14default_configENS1_38merge_sort_block_merge_config_selectorIxNS0_10empty_typeEEEZZNS1_27merge_sort_block_merge_implIS3_PxPS5_jNS1_19radix_merge_compareILb0ELb0ExNS0_19identity_decomposerEEEEE10hipError_tT0_T1_T2_jT3_P12ihipStream_tbPNSt15iterator_traitsISE_E10value_typeEPNSK_ISF_E10value_typeEPSG_NS1_7vsmem_tEENKUlT_SE_SF_SG_E_clIS8_S8_S9_S9_EESD_ST_SE_SF_SG_EUlST_E0_NS1_11comp_targetILNS1_3genE2ELNS1_11target_archE906ELNS1_3gpuE6ELNS1_3repE0EEENS1_38merge_mergepath_config_static_selectorELNS0_4arch9wavefront6targetE1EEEvSF_
                                        ; -- End function
	.section	.AMDGPU.csdata,"",@progbits
; Kernel info:
; codeLenInByte = 0
; NumSgprs: 4
; NumVgprs: 0
; NumAgprs: 0
; TotalNumVgprs: 0
; ScratchSize: 0
; MemoryBound: 0
; FloatMode: 240
; IeeeMode: 1
; LDSByteSize: 0 bytes/workgroup (compile time only)
; SGPRBlocks: 0
; VGPRBlocks: 0
; NumSGPRsForWavesPerEU: 4
; NumVGPRsForWavesPerEU: 1
; AccumOffset: 4
; Occupancy: 8
; WaveLimiterHint : 0
; COMPUTE_PGM_RSRC2:SCRATCH_EN: 0
; COMPUTE_PGM_RSRC2:USER_SGPR: 6
; COMPUTE_PGM_RSRC2:TRAP_HANDLER: 0
; COMPUTE_PGM_RSRC2:TGID_X_EN: 1
; COMPUTE_PGM_RSRC2:TGID_Y_EN: 0
; COMPUTE_PGM_RSRC2:TGID_Z_EN: 0
; COMPUTE_PGM_RSRC2:TIDIG_COMP_CNT: 0
; COMPUTE_PGM_RSRC3_GFX90A:ACCUM_OFFSET: 0
; COMPUTE_PGM_RSRC3_GFX90A:TG_SPLIT: 0
	.section	.text._ZN7rocprim17ROCPRIM_400000_NS6detail17trampoline_kernelINS0_14default_configENS1_38merge_sort_block_merge_config_selectorIxNS0_10empty_typeEEEZZNS1_27merge_sort_block_merge_implIS3_PxPS5_jNS1_19radix_merge_compareILb0ELb0ExNS0_19identity_decomposerEEEEE10hipError_tT0_T1_T2_jT3_P12ihipStream_tbPNSt15iterator_traitsISE_E10value_typeEPNSK_ISF_E10value_typeEPSG_NS1_7vsmem_tEENKUlT_SE_SF_SG_E_clIS8_S8_S9_S9_EESD_ST_SE_SF_SG_EUlST_E0_NS1_11comp_targetILNS1_3genE9ELNS1_11target_archE1100ELNS1_3gpuE3ELNS1_3repE0EEENS1_38merge_mergepath_config_static_selectorELNS0_4arch9wavefront6targetE1EEEvSF_,"axG",@progbits,_ZN7rocprim17ROCPRIM_400000_NS6detail17trampoline_kernelINS0_14default_configENS1_38merge_sort_block_merge_config_selectorIxNS0_10empty_typeEEEZZNS1_27merge_sort_block_merge_implIS3_PxPS5_jNS1_19radix_merge_compareILb0ELb0ExNS0_19identity_decomposerEEEEE10hipError_tT0_T1_T2_jT3_P12ihipStream_tbPNSt15iterator_traitsISE_E10value_typeEPNSK_ISF_E10value_typeEPSG_NS1_7vsmem_tEENKUlT_SE_SF_SG_E_clIS8_S8_S9_S9_EESD_ST_SE_SF_SG_EUlST_E0_NS1_11comp_targetILNS1_3genE9ELNS1_11target_archE1100ELNS1_3gpuE3ELNS1_3repE0EEENS1_38merge_mergepath_config_static_selectorELNS0_4arch9wavefront6targetE1EEEvSF_,comdat
	.protected	_ZN7rocprim17ROCPRIM_400000_NS6detail17trampoline_kernelINS0_14default_configENS1_38merge_sort_block_merge_config_selectorIxNS0_10empty_typeEEEZZNS1_27merge_sort_block_merge_implIS3_PxPS5_jNS1_19radix_merge_compareILb0ELb0ExNS0_19identity_decomposerEEEEE10hipError_tT0_T1_T2_jT3_P12ihipStream_tbPNSt15iterator_traitsISE_E10value_typeEPNSK_ISF_E10value_typeEPSG_NS1_7vsmem_tEENKUlT_SE_SF_SG_E_clIS8_S8_S9_S9_EESD_ST_SE_SF_SG_EUlST_E0_NS1_11comp_targetILNS1_3genE9ELNS1_11target_archE1100ELNS1_3gpuE3ELNS1_3repE0EEENS1_38merge_mergepath_config_static_selectorELNS0_4arch9wavefront6targetE1EEEvSF_ ; -- Begin function _ZN7rocprim17ROCPRIM_400000_NS6detail17trampoline_kernelINS0_14default_configENS1_38merge_sort_block_merge_config_selectorIxNS0_10empty_typeEEEZZNS1_27merge_sort_block_merge_implIS3_PxPS5_jNS1_19radix_merge_compareILb0ELb0ExNS0_19identity_decomposerEEEEE10hipError_tT0_T1_T2_jT3_P12ihipStream_tbPNSt15iterator_traitsISE_E10value_typeEPNSK_ISF_E10value_typeEPSG_NS1_7vsmem_tEENKUlT_SE_SF_SG_E_clIS8_S8_S9_S9_EESD_ST_SE_SF_SG_EUlST_E0_NS1_11comp_targetILNS1_3genE9ELNS1_11target_archE1100ELNS1_3gpuE3ELNS1_3repE0EEENS1_38merge_mergepath_config_static_selectorELNS0_4arch9wavefront6targetE1EEEvSF_
	.globl	_ZN7rocprim17ROCPRIM_400000_NS6detail17trampoline_kernelINS0_14default_configENS1_38merge_sort_block_merge_config_selectorIxNS0_10empty_typeEEEZZNS1_27merge_sort_block_merge_implIS3_PxPS5_jNS1_19radix_merge_compareILb0ELb0ExNS0_19identity_decomposerEEEEE10hipError_tT0_T1_T2_jT3_P12ihipStream_tbPNSt15iterator_traitsISE_E10value_typeEPNSK_ISF_E10value_typeEPSG_NS1_7vsmem_tEENKUlT_SE_SF_SG_E_clIS8_S8_S9_S9_EESD_ST_SE_SF_SG_EUlST_E0_NS1_11comp_targetILNS1_3genE9ELNS1_11target_archE1100ELNS1_3gpuE3ELNS1_3repE0EEENS1_38merge_mergepath_config_static_selectorELNS0_4arch9wavefront6targetE1EEEvSF_
	.p2align	8
	.type	_ZN7rocprim17ROCPRIM_400000_NS6detail17trampoline_kernelINS0_14default_configENS1_38merge_sort_block_merge_config_selectorIxNS0_10empty_typeEEEZZNS1_27merge_sort_block_merge_implIS3_PxPS5_jNS1_19radix_merge_compareILb0ELb0ExNS0_19identity_decomposerEEEEE10hipError_tT0_T1_T2_jT3_P12ihipStream_tbPNSt15iterator_traitsISE_E10value_typeEPNSK_ISF_E10value_typeEPSG_NS1_7vsmem_tEENKUlT_SE_SF_SG_E_clIS8_S8_S9_S9_EESD_ST_SE_SF_SG_EUlST_E0_NS1_11comp_targetILNS1_3genE9ELNS1_11target_archE1100ELNS1_3gpuE3ELNS1_3repE0EEENS1_38merge_mergepath_config_static_selectorELNS0_4arch9wavefront6targetE1EEEvSF_,@function
_ZN7rocprim17ROCPRIM_400000_NS6detail17trampoline_kernelINS0_14default_configENS1_38merge_sort_block_merge_config_selectorIxNS0_10empty_typeEEEZZNS1_27merge_sort_block_merge_implIS3_PxPS5_jNS1_19radix_merge_compareILb0ELb0ExNS0_19identity_decomposerEEEEE10hipError_tT0_T1_T2_jT3_P12ihipStream_tbPNSt15iterator_traitsISE_E10value_typeEPNSK_ISF_E10value_typeEPSG_NS1_7vsmem_tEENKUlT_SE_SF_SG_E_clIS8_S8_S9_S9_EESD_ST_SE_SF_SG_EUlST_E0_NS1_11comp_targetILNS1_3genE9ELNS1_11target_archE1100ELNS1_3gpuE3ELNS1_3repE0EEENS1_38merge_mergepath_config_static_selectorELNS0_4arch9wavefront6targetE1EEEvSF_: ; @_ZN7rocprim17ROCPRIM_400000_NS6detail17trampoline_kernelINS0_14default_configENS1_38merge_sort_block_merge_config_selectorIxNS0_10empty_typeEEEZZNS1_27merge_sort_block_merge_implIS3_PxPS5_jNS1_19radix_merge_compareILb0ELb0ExNS0_19identity_decomposerEEEEE10hipError_tT0_T1_T2_jT3_P12ihipStream_tbPNSt15iterator_traitsISE_E10value_typeEPNSK_ISF_E10value_typeEPSG_NS1_7vsmem_tEENKUlT_SE_SF_SG_E_clIS8_S8_S9_S9_EESD_ST_SE_SF_SG_EUlST_E0_NS1_11comp_targetILNS1_3genE9ELNS1_11target_archE1100ELNS1_3gpuE3ELNS1_3repE0EEENS1_38merge_mergepath_config_static_selectorELNS0_4arch9wavefront6targetE1EEEvSF_
; %bb.0:
	.section	.rodata,"a",@progbits
	.p2align	6, 0x0
	.amdhsa_kernel _ZN7rocprim17ROCPRIM_400000_NS6detail17trampoline_kernelINS0_14default_configENS1_38merge_sort_block_merge_config_selectorIxNS0_10empty_typeEEEZZNS1_27merge_sort_block_merge_implIS3_PxPS5_jNS1_19radix_merge_compareILb0ELb0ExNS0_19identity_decomposerEEEEE10hipError_tT0_T1_T2_jT3_P12ihipStream_tbPNSt15iterator_traitsISE_E10value_typeEPNSK_ISF_E10value_typeEPSG_NS1_7vsmem_tEENKUlT_SE_SF_SG_E_clIS8_S8_S9_S9_EESD_ST_SE_SF_SG_EUlST_E0_NS1_11comp_targetILNS1_3genE9ELNS1_11target_archE1100ELNS1_3gpuE3ELNS1_3repE0EEENS1_38merge_mergepath_config_static_selectorELNS0_4arch9wavefront6targetE1EEEvSF_
		.amdhsa_group_segment_fixed_size 0
		.amdhsa_private_segment_fixed_size 0
		.amdhsa_kernarg_size 64
		.amdhsa_user_sgpr_count 6
		.amdhsa_user_sgpr_private_segment_buffer 1
		.amdhsa_user_sgpr_dispatch_ptr 0
		.amdhsa_user_sgpr_queue_ptr 0
		.amdhsa_user_sgpr_kernarg_segment_ptr 1
		.amdhsa_user_sgpr_dispatch_id 0
		.amdhsa_user_sgpr_flat_scratch_init 0
		.amdhsa_user_sgpr_kernarg_preload_length 0
		.amdhsa_user_sgpr_kernarg_preload_offset 0
		.amdhsa_user_sgpr_private_segment_size 0
		.amdhsa_uses_dynamic_stack 0
		.amdhsa_system_sgpr_private_segment_wavefront_offset 0
		.amdhsa_system_sgpr_workgroup_id_x 1
		.amdhsa_system_sgpr_workgroup_id_y 0
		.amdhsa_system_sgpr_workgroup_id_z 0
		.amdhsa_system_sgpr_workgroup_info 0
		.amdhsa_system_vgpr_workitem_id 0
		.amdhsa_next_free_vgpr 1
		.amdhsa_next_free_sgpr 0
		.amdhsa_accum_offset 4
		.amdhsa_reserve_vcc 0
		.amdhsa_reserve_flat_scratch 0
		.amdhsa_float_round_mode_32 0
		.amdhsa_float_round_mode_16_64 0
		.amdhsa_float_denorm_mode_32 3
		.amdhsa_float_denorm_mode_16_64 3
		.amdhsa_dx10_clamp 1
		.amdhsa_ieee_mode 1
		.amdhsa_fp16_overflow 0
		.amdhsa_tg_split 0
		.amdhsa_exception_fp_ieee_invalid_op 0
		.amdhsa_exception_fp_denorm_src 0
		.amdhsa_exception_fp_ieee_div_zero 0
		.amdhsa_exception_fp_ieee_overflow 0
		.amdhsa_exception_fp_ieee_underflow 0
		.amdhsa_exception_fp_ieee_inexact 0
		.amdhsa_exception_int_div_zero 0
	.end_amdhsa_kernel
	.section	.text._ZN7rocprim17ROCPRIM_400000_NS6detail17trampoline_kernelINS0_14default_configENS1_38merge_sort_block_merge_config_selectorIxNS0_10empty_typeEEEZZNS1_27merge_sort_block_merge_implIS3_PxPS5_jNS1_19radix_merge_compareILb0ELb0ExNS0_19identity_decomposerEEEEE10hipError_tT0_T1_T2_jT3_P12ihipStream_tbPNSt15iterator_traitsISE_E10value_typeEPNSK_ISF_E10value_typeEPSG_NS1_7vsmem_tEENKUlT_SE_SF_SG_E_clIS8_S8_S9_S9_EESD_ST_SE_SF_SG_EUlST_E0_NS1_11comp_targetILNS1_3genE9ELNS1_11target_archE1100ELNS1_3gpuE3ELNS1_3repE0EEENS1_38merge_mergepath_config_static_selectorELNS0_4arch9wavefront6targetE1EEEvSF_,"axG",@progbits,_ZN7rocprim17ROCPRIM_400000_NS6detail17trampoline_kernelINS0_14default_configENS1_38merge_sort_block_merge_config_selectorIxNS0_10empty_typeEEEZZNS1_27merge_sort_block_merge_implIS3_PxPS5_jNS1_19radix_merge_compareILb0ELb0ExNS0_19identity_decomposerEEEEE10hipError_tT0_T1_T2_jT3_P12ihipStream_tbPNSt15iterator_traitsISE_E10value_typeEPNSK_ISF_E10value_typeEPSG_NS1_7vsmem_tEENKUlT_SE_SF_SG_E_clIS8_S8_S9_S9_EESD_ST_SE_SF_SG_EUlST_E0_NS1_11comp_targetILNS1_3genE9ELNS1_11target_archE1100ELNS1_3gpuE3ELNS1_3repE0EEENS1_38merge_mergepath_config_static_selectorELNS0_4arch9wavefront6targetE1EEEvSF_,comdat
.Lfunc_end1030:
	.size	_ZN7rocprim17ROCPRIM_400000_NS6detail17trampoline_kernelINS0_14default_configENS1_38merge_sort_block_merge_config_selectorIxNS0_10empty_typeEEEZZNS1_27merge_sort_block_merge_implIS3_PxPS5_jNS1_19radix_merge_compareILb0ELb0ExNS0_19identity_decomposerEEEEE10hipError_tT0_T1_T2_jT3_P12ihipStream_tbPNSt15iterator_traitsISE_E10value_typeEPNSK_ISF_E10value_typeEPSG_NS1_7vsmem_tEENKUlT_SE_SF_SG_E_clIS8_S8_S9_S9_EESD_ST_SE_SF_SG_EUlST_E0_NS1_11comp_targetILNS1_3genE9ELNS1_11target_archE1100ELNS1_3gpuE3ELNS1_3repE0EEENS1_38merge_mergepath_config_static_selectorELNS0_4arch9wavefront6targetE1EEEvSF_, .Lfunc_end1030-_ZN7rocprim17ROCPRIM_400000_NS6detail17trampoline_kernelINS0_14default_configENS1_38merge_sort_block_merge_config_selectorIxNS0_10empty_typeEEEZZNS1_27merge_sort_block_merge_implIS3_PxPS5_jNS1_19radix_merge_compareILb0ELb0ExNS0_19identity_decomposerEEEEE10hipError_tT0_T1_T2_jT3_P12ihipStream_tbPNSt15iterator_traitsISE_E10value_typeEPNSK_ISF_E10value_typeEPSG_NS1_7vsmem_tEENKUlT_SE_SF_SG_E_clIS8_S8_S9_S9_EESD_ST_SE_SF_SG_EUlST_E0_NS1_11comp_targetILNS1_3genE9ELNS1_11target_archE1100ELNS1_3gpuE3ELNS1_3repE0EEENS1_38merge_mergepath_config_static_selectorELNS0_4arch9wavefront6targetE1EEEvSF_
                                        ; -- End function
	.section	.AMDGPU.csdata,"",@progbits
; Kernel info:
; codeLenInByte = 0
; NumSgprs: 4
; NumVgprs: 0
; NumAgprs: 0
; TotalNumVgprs: 0
; ScratchSize: 0
; MemoryBound: 0
; FloatMode: 240
; IeeeMode: 1
; LDSByteSize: 0 bytes/workgroup (compile time only)
; SGPRBlocks: 0
; VGPRBlocks: 0
; NumSGPRsForWavesPerEU: 4
; NumVGPRsForWavesPerEU: 1
; AccumOffset: 4
; Occupancy: 8
; WaveLimiterHint : 0
; COMPUTE_PGM_RSRC2:SCRATCH_EN: 0
; COMPUTE_PGM_RSRC2:USER_SGPR: 6
; COMPUTE_PGM_RSRC2:TRAP_HANDLER: 0
; COMPUTE_PGM_RSRC2:TGID_X_EN: 1
; COMPUTE_PGM_RSRC2:TGID_Y_EN: 0
; COMPUTE_PGM_RSRC2:TGID_Z_EN: 0
; COMPUTE_PGM_RSRC2:TIDIG_COMP_CNT: 0
; COMPUTE_PGM_RSRC3_GFX90A:ACCUM_OFFSET: 0
; COMPUTE_PGM_RSRC3_GFX90A:TG_SPLIT: 0
	.section	.text._ZN7rocprim17ROCPRIM_400000_NS6detail17trampoline_kernelINS0_14default_configENS1_38merge_sort_block_merge_config_selectorIxNS0_10empty_typeEEEZZNS1_27merge_sort_block_merge_implIS3_PxPS5_jNS1_19radix_merge_compareILb0ELb0ExNS0_19identity_decomposerEEEEE10hipError_tT0_T1_T2_jT3_P12ihipStream_tbPNSt15iterator_traitsISE_E10value_typeEPNSK_ISF_E10value_typeEPSG_NS1_7vsmem_tEENKUlT_SE_SF_SG_E_clIS8_S8_S9_S9_EESD_ST_SE_SF_SG_EUlST_E0_NS1_11comp_targetILNS1_3genE8ELNS1_11target_archE1030ELNS1_3gpuE2ELNS1_3repE0EEENS1_38merge_mergepath_config_static_selectorELNS0_4arch9wavefront6targetE1EEEvSF_,"axG",@progbits,_ZN7rocprim17ROCPRIM_400000_NS6detail17trampoline_kernelINS0_14default_configENS1_38merge_sort_block_merge_config_selectorIxNS0_10empty_typeEEEZZNS1_27merge_sort_block_merge_implIS3_PxPS5_jNS1_19radix_merge_compareILb0ELb0ExNS0_19identity_decomposerEEEEE10hipError_tT0_T1_T2_jT3_P12ihipStream_tbPNSt15iterator_traitsISE_E10value_typeEPNSK_ISF_E10value_typeEPSG_NS1_7vsmem_tEENKUlT_SE_SF_SG_E_clIS8_S8_S9_S9_EESD_ST_SE_SF_SG_EUlST_E0_NS1_11comp_targetILNS1_3genE8ELNS1_11target_archE1030ELNS1_3gpuE2ELNS1_3repE0EEENS1_38merge_mergepath_config_static_selectorELNS0_4arch9wavefront6targetE1EEEvSF_,comdat
	.protected	_ZN7rocprim17ROCPRIM_400000_NS6detail17trampoline_kernelINS0_14default_configENS1_38merge_sort_block_merge_config_selectorIxNS0_10empty_typeEEEZZNS1_27merge_sort_block_merge_implIS3_PxPS5_jNS1_19radix_merge_compareILb0ELb0ExNS0_19identity_decomposerEEEEE10hipError_tT0_T1_T2_jT3_P12ihipStream_tbPNSt15iterator_traitsISE_E10value_typeEPNSK_ISF_E10value_typeEPSG_NS1_7vsmem_tEENKUlT_SE_SF_SG_E_clIS8_S8_S9_S9_EESD_ST_SE_SF_SG_EUlST_E0_NS1_11comp_targetILNS1_3genE8ELNS1_11target_archE1030ELNS1_3gpuE2ELNS1_3repE0EEENS1_38merge_mergepath_config_static_selectorELNS0_4arch9wavefront6targetE1EEEvSF_ ; -- Begin function _ZN7rocprim17ROCPRIM_400000_NS6detail17trampoline_kernelINS0_14default_configENS1_38merge_sort_block_merge_config_selectorIxNS0_10empty_typeEEEZZNS1_27merge_sort_block_merge_implIS3_PxPS5_jNS1_19radix_merge_compareILb0ELb0ExNS0_19identity_decomposerEEEEE10hipError_tT0_T1_T2_jT3_P12ihipStream_tbPNSt15iterator_traitsISE_E10value_typeEPNSK_ISF_E10value_typeEPSG_NS1_7vsmem_tEENKUlT_SE_SF_SG_E_clIS8_S8_S9_S9_EESD_ST_SE_SF_SG_EUlST_E0_NS1_11comp_targetILNS1_3genE8ELNS1_11target_archE1030ELNS1_3gpuE2ELNS1_3repE0EEENS1_38merge_mergepath_config_static_selectorELNS0_4arch9wavefront6targetE1EEEvSF_
	.globl	_ZN7rocprim17ROCPRIM_400000_NS6detail17trampoline_kernelINS0_14default_configENS1_38merge_sort_block_merge_config_selectorIxNS0_10empty_typeEEEZZNS1_27merge_sort_block_merge_implIS3_PxPS5_jNS1_19radix_merge_compareILb0ELb0ExNS0_19identity_decomposerEEEEE10hipError_tT0_T1_T2_jT3_P12ihipStream_tbPNSt15iterator_traitsISE_E10value_typeEPNSK_ISF_E10value_typeEPSG_NS1_7vsmem_tEENKUlT_SE_SF_SG_E_clIS8_S8_S9_S9_EESD_ST_SE_SF_SG_EUlST_E0_NS1_11comp_targetILNS1_3genE8ELNS1_11target_archE1030ELNS1_3gpuE2ELNS1_3repE0EEENS1_38merge_mergepath_config_static_selectorELNS0_4arch9wavefront6targetE1EEEvSF_
	.p2align	8
	.type	_ZN7rocprim17ROCPRIM_400000_NS6detail17trampoline_kernelINS0_14default_configENS1_38merge_sort_block_merge_config_selectorIxNS0_10empty_typeEEEZZNS1_27merge_sort_block_merge_implIS3_PxPS5_jNS1_19radix_merge_compareILb0ELb0ExNS0_19identity_decomposerEEEEE10hipError_tT0_T1_T2_jT3_P12ihipStream_tbPNSt15iterator_traitsISE_E10value_typeEPNSK_ISF_E10value_typeEPSG_NS1_7vsmem_tEENKUlT_SE_SF_SG_E_clIS8_S8_S9_S9_EESD_ST_SE_SF_SG_EUlST_E0_NS1_11comp_targetILNS1_3genE8ELNS1_11target_archE1030ELNS1_3gpuE2ELNS1_3repE0EEENS1_38merge_mergepath_config_static_selectorELNS0_4arch9wavefront6targetE1EEEvSF_,@function
_ZN7rocprim17ROCPRIM_400000_NS6detail17trampoline_kernelINS0_14default_configENS1_38merge_sort_block_merge_config_selectorIxNS0_10empty_typeEEEZZNS1_27merge_sort_block_merge_implIS3_PxPS5_jNS1_19radix_merge_compareILb0ELb0ExNS0_19identity_decomposerEEEEE10hipError_tT0_T1_T2_jT3_P12ihipStream_tbPNSt15iterator_traitsISE_E10value_typeEPNSK_ISF_E10value_typeEPSG_NS1_7vsmem_tEENKUlT_SE_SF_SG_E_clIS8_S8_S9_S9_EESD_ST_SE_SF_SG_EUlST_E0_NS1_11comp_targetILNS1_3genE8ELNS1_11target_archE1030ELNS1_3gpuE2ELNS1_3repE0EEENS1_38merge_mergepath_config_static_selectorELNS0_4arch9wavefront6targetE1EEEvSF_: ; @_ZN7rocprim17ROCPRIM_400000_NS6detail17trampoline_kernelINS0_14default_configENS1_38merge_sort_block_merge_config_selectorIxNS0_10empty_typeEEEZZNS1_27merge_sort_block_merge_implIS3_PxPS5_jNS1_19radix_merge_compareILb0ELb0ExNS0_19identity_decomposerEEEEE10hipError_tT0_T1_T2_jT3_P12ihipStream_tbPNSt15iterator_traitsISE_E10value_typeEPNSK_ISF_E10value_typeEPSG_NS1_7vsmem_tEENKUlT_SE_SF_SG_E_clIS8_S8_S9_S9_EESD_ST_SE_SF_SG_EUlST_E0_NS1_11comp_targetILNS1_3genE8ELNS1_11target_archE1030ELNS1_3gpuE2ELNS1_3repE0EEENS1_38merge_mergepath_config_static_selectorELNS0_4arch9wavefront6targetE1EEEvSF_
; %bb.0:
	.section	.rodata,"a",@progbits
	.p2align	6, 0x0
	.amdhsa_kernel _ZN7rocprim17ROCPRIM_400000_NS6detail17trampoline_kernelINS0_14default_configENS1_38merge_sort_block_merge_config_selectorIxNS0_10empty_typeEEEZZNS1_27merge_sort_block_merge_implIS3_PxPS5_jNS1_19radix_merge_compareILb0ELb0ExNS0_19identity_decomposerEEEEE10hipError_tT0_T1_T2_jT3_P12ihipStream_tbPNSt15iterator_traitsISE_E10value_typeEPNSK_ISF_E10value_typeEPSG_NS1_7vsmem_tEENKUlT_SE_SF_SG_E_clIS8_S8_S9_S9_EESD_ST_SE_SF_SG_EUlST_E0_NS1_11comp_targetILNS1_3genE8ELNS1_11target_archE1030ELNS1_3gpuE2ELNS1_3repE0EEENS1_38merge_mergepath_config_static_selectorELNS0_4arch9wavefront6targetE1EEEvSF_
		.amdhsa_group_segment_fixed_size 0
		.amdhsa_private_segment_fixed_size 0
		.amdhsa_kernarg_size 64
		.amdhsa_user_sgpr_count 6
		.amdhsa_user_sgpr_private_segment_buffer 1
		.amdhsa_user_sgpr_dispatch_ptr 0
		.amdhsa_user_sgpr_queue_ptr 0
		.amdhsa_user_sgpr_kernarg_segment_ptr 1
		.amdhsa_user_sgpr_dispatch_id 0
		.amdhsa_user_sgpr_flat_scratch_init 0
		.amdhsa_user_sgpr_kernarg_preload_length 0
		.amdhsa_user_sgpr_kernarg_preload_offset 0
		.amdhsa_user_sgpr_private_segment_size 0
		.amdhsa_uses_dynamic_stack 0
		.amdhsa_system_sgpr_private_segment_wavefront_offset 0
		.amdhsa_system_sgpr_workgroup_id_x 1
		.amdhsa_system_sgpr_workgroup_id_y 0
		.amdhsa_system_sgpr_workgroup_id_z 0
		.amdhsa_system_sgpr_workgroup_info 0
		.amdhsa_system_vgpr_workitem_id 0
		.amdhsa_next_free_vgpr 1
		.amdhsa_next_free_sgpr 0
		.amdhsa_accum_offset 4
		.amdhsa_reserve_vcc 0
		.amdhsa_reserve_flat_scratch 0
		.amdhsa_float_round_mode_32 0
		.amdhsa_float_round_mode_16_64 0
		.amdhsa_float_denorm_mode_32 3
		.amdhsa_float_denorm_mode_16_64 3
		.amdhsa_dx10_clamp 1
		.amdhsa_ieee_mode 1
		.amdhsa_fp16_overflow 0
		.amdhsa_tg_split 0
		.amdhsa_exception_fp_ieee_invalid_op 0
		.amdhsa_exception_fp_denorm_src 0
		.amdhsa_exception_fp_ieee_div_zero 0
		.amdhsa_exception_fp_ieee_overflow 0
		.amdhsa_exception_fp_ieee_underflow 0
		.amdhsa_exception_fp_ieee_inexact 0
		.amdhsa_exception_int_div_zero 0
	.end_amdhsa_kernel
	.section	.text._ZN7rocprim17ROCPRIM_400000_NS6detail17trampoline_kernelINS0_14default_configENS1_38merge_sort_block_merge_config_selectorIxNS0_10empty_typeEEEZZNS1_27merge_sort_block_merge_implIS3_PxPS5_jNS1_19radix_merge_compareILb0ELb0ExNS0_19identity_decomposerEEEEE10hipError_tT0_T1_T2_jT3_P12ihipStream_tbPNSt15iterator_traitsISE_E10value_typeEPNSK_ISF_E10value_typeEPSG_NS1_7vsmem_tEENKUlT_SE_SF_SG_E_clIS8_S8_S9_S9_EESD_ST_SE_SF_SG_EUlST_E0_NS1_11comp_targetILNS1_3genE8ELNS1_11target_archE1030ELNS1_3gpuE2ELNS1_3repE0EEENS1_38merge_mergepath_config_static_selectorELNS0_4arch9wavefront6targetE1EEEvSF_,"axG",@progbits,_ZN7rocprim17ROCPRIM_400000_NS6detail17trampoline_kernelINS0_14default_configENS1_38merge_sort_block_merge_config_selectorIxNS0_10empty_typeEEEZZNS1_27merge_sort_block_merge_implIS3_PxPS5_jNS1_19radix_merge_compareILb0ELb0ExNS0_19identity_decomposerEEEEE10hipError_tT0_T1_T2_jT3_P12ihipStream_tbPNSt15iterator_traitsISE_E10value_typeEPNSK_ISF_E10value_typeEPSG_NS1_7vsmem_tEENKUlT_SE_SF_SG_E_clIS8_S8_S9_S9_EESD_ST_SE_SF_SG_EUlST_E0_NS1_11comp_targetILNS1_3genE8ELNS1_11target_archE1030ELNS1_3gpuE2ELNS1_3repE0EEENS1_38merge_mergepath_config_static_selectorELNS0_4arch9wavefront6targetE1EEEvSF_,comdat
.Lfunc_end1031:
	.size	_ZN7rocprim17ROCPRIM_400000_NS6detail17trampoline_kernelINS0_14default_configENS1_38merge_sort_block_merge_config_selectorIxNS0_10empty_typeEEEZZNS1_27merge_sort_block_merge_implIS3_PxPS5_jNS1_19radix_merge_compareILb0ELb0ExNS0_19identity_decomposerEEEEE10hipError_tT0_T1_T2_jT3_P12ihipStream_tbPNSt15iterator_traitsISE_E10value_typeEPNSK_ISF_E10value_typeEPSG_NS1_7vsmem_tEENKUlT_SE_SF_SG_E_clIS8_S8_S9_S9_EESD_ST_SE_SF_SG_EUlST_E0_NS1_11comp_targetILNS1_3genE8ELNS1_11target_archE1030ELNS1_3gpuE2ELNS1_3repE0EEENS1_38merge_mergepath_config_static_selectorELNS0_4arch9wavefront6targetE1EEEvSF_, .Lfunc_end1031-_ZN7rocprim17ROCPRIM_400000_NS6detail17trampoline_kernelINS0_14default_configENS1_38merge_sort_block_merge_config_selectorIxNS0_10empty_typeEEEZZNS1_27merge_sort_block_merge_implIS3_PxPS5_jNS1_19radix_merge_compareILb0ELb0ExNS0_19identity_decomposerEEEEE10hipError_tT0_T1_T2_jT3_P12ihipStream_tbPNSt15iterator_traitsISE_E10value_typeEPNSK_ISF_E10value_typeEPSG_NS1_7vsmem_tEENKUlT_SE_SF_SG_E_clIS8_S8_S9_S9_EESD_ST_SE_SF_SG_EUlST_E0_NS1_11comp_targetILNS1_3genE8ELNS1_11target_archE1030ELNS1_3gpuE2ELNS1_3repE0EEENS1_38merge_mergepath_config_static_selectorELNS0_4arch9wavefront6targetE1EEEvSF_
                                        ; -- End function
	.section	.AMDGPU.csdata,"",@progbits
; Kernel info:
; codeLenInByte = 0
; NumSgprs: 4
; NumVgprs: 0
; NumAgprs: 0
; TotalNumVgprs: 0
; ScratchSize: 0
; MemoryBound: 0
; FloatMode: 240
; IeeeMode: 1
; LDSByteSize: 0 bytes/workgroup (compile time only)
; SGPRBlocks: 0
; VGPRBlocks: 0
; NumSGPRsForWavesPerEU: 4
; NumVGPRsForWavesPerEU: 1
; AccumOffset: 4
; Occupancy: 8
; WaveLimiterHint : 0
; COMPUTE_PGM_RSRC2:SCRATCH_EN: 0
; COMPUTE_PGM_RSRC2:USER_SGPR: 6
; COMPUTE_PGM_RSRC2:TRAP_HANDLER: 0
; COMPUTE_PGM_RSRC2:TGID_X_EN: 1
; COMPUTE_PGM_RSRC2:TGID_Y_EN: 0
; COMPUTE_PGM_RSRC2:TGID_Z_EN: 0
; COMPUTE_PGM_RSRC2:TIDIG_COMP_CNT: 0
; COMPUTE_PGM_RSRC3_GFX90A:ACCUM_OFFSET: 0
; COMPUTE_PGM_RSRC3_GFX90A:TG_SPLIT: 0
	.section	.text._ZN7rocprim17ROCPRIM_400000_NS6detail17trampoline_kernelINS0_14default_configENS1_38merge_sort_block_merge_config_selectorIxNS0_10empty_typeEEEZZNS1_27merge_sort_block_merge_implIS3_PxPS5_jNS1_19radix_merge_compareILb0ELb0ExNS0_19identity_decomposerEEEEE10hipError_tT0_T1_T2_jT3_P12ihipStream_tbPNSt15iterator_traitsISE_E10value_typeEPNSK_ISF_E10value_typeEPSG_NS1_7vsmem_tEENKUlT_SE_SF_SG_E_clIS8_S8_S9_S9_EESD_ST_SE_SF_SG_EUlST_E1_NS1_11comp_targetILNS1_3genE0ELNS1_11target_archE4294967295ELNS1_3gpuE0ELNS1_3repE0EEENS1_36merge_oddeven_config_static_selectorELNS0_4arch9wavefront6targetE1EEEvSF_,"axG",@progbits,_ZN7rocprim17ROCPRIM_400000_NS6detail17trampoline_kernelINS0_14default_configENS1_38merge_sort_block_merge_config_selectorIxNS0_10empty_typeEEEZZNS1_27merge_sort_block_merge_implIS3_PxPS5_jNS1_19radix_merge_compareILb0ELb0ExNS0_19identity_decomposerEEEEE10hipError_tT0_T1_T2_jT3_P12ihipStream_tbPNSt15iterator_traitsISE_E10value_typeEPNSK_ISF_E10value_typeEPSG_NS1_7vsmem_tEENKUlT_SE_SF_SG_E_clIS8_S8_S9_S9_EESD_ST_SE_SF_SG_EUlST_E1_NS1_11comp_targetILNS1_3genE0ELNS1_11target_archE4294967295ELNS1_3gpuE0ELNS1_3repE0EEENS1_36merge_oddeven_config_static_selectorELNS0_4arch9wavefront6targetE1EEEvSF_,comdat
	.protected	_ZN7rocprim17ROCPRIM_400000_NS6detail17trampoline_kernelINS0_14default_configENS1_38merge_sort_block_merge_config_selectorIxNS0_10empty_typeEEEZZNS1_27merge_sort_block_merge_implIS3_PxPS5_jNS1_19radix_merge_compareILb0ELb0ExNS0_19identity_decomposerEEEEE10hipError_tT0_T1_T2_jT3_P12ihipStream_tbPNSt15iterator_traitsISE_E10value_typeEPNSK_ISF_E10value_typeEPSG_NS1_7vsmem_tEENKUlT_SE_SF_SG_E_clIS8_S8_S9_S9_EESD_ST_SE_SF_SG_EUlST_E1_NS1_11comp_targetILNS1_3genE0ELNS1_11target_archE4294967295ELNS1_3gpuE0ELNS1_3repE0EEENS1_36merge_oddeven_config_static_selectorELNS0_4arch9wavefront6targetE1EEEvSF_ ; -- Begin function _ZN7rocprim17ROCPRIM_400000_NS6detail17trampoline_kernelINS0_14default_configENS1_38merge_sort_block_merge_config_selectorIxNS0_10empty_typeEEEZZNS1_27merge_sort_block_merge_implIS3_PxPS5_jNS1_19radix_merge_compareILb0ELb0ExNS0_19identity_decomposerEEEEE10hipError_tT0_T1_T2_jT3_P12ihipStream_tbPNSt15iterator_traitsISE_E10value_typeEPNSK_ISF_E10value_typeEPSG_NS1_7vsmem_tEENKUlT_SE_SF_SG_E_clIS8_S8_S9_S9_EESD_ST_SE_SF_SG_EUlST_E1_NS1_11comp_targetILNS1_3genE0ELNS1_11target_archE4294967295ELNS1_3gpuE0ELNS1_3repE0EEENS1_36merge_oddeven_config_static_selectorELNS0_4arch9wavefront6targetE1EEEvSF_
	.globl	_ZN7rocprim17ROCPRIM_400000_NS6detail17trampoline_kernelINS0_14default_configENS1_38merge_sort_block_merge_config_selectorIxNS0_10empty_typeEEEZZNS1_27merge_sort_block_merge_implIS3_PxPS5_jNS1_19radix_merge_compareILb0ELb0ExNS0_19identity_decomposerEEEEE10hipError_tT0_T1_T2_jT3_P12ihipStream_tbPNSt15iterator_traitsISE_E10value_typeEPNSK_ISF_E10value_typeEPSG_NS1_7vsmem_tEENKUlT_SE_SF_SG_E_clIS8_S8_S9_S9_EESD_ST_SE_SF_SG_EUlST_E1_NS1_11comp_targetILNS1_3genE0ELNS1_11target_archE4294967295ELNS1_3gpuE0ELNS1_3repE0EEENS1_36merge_oddeven_config_static_selectorELNS0_4arch9wavefront6targetE1EEEvSF_
	.p2align	8
	.type	_ZN7rocprim17ROCPRIM_400000_NS6detail17trampoline_kernelINS0_14default_configENS1_38merge_sort_block_merge_config_selectorIxNS0_10empty_typeEEEZZNS1_27merge_sort_block_merge_implIS3_PxPS5_jNS1_19radix_merge_compareILb0ELb0ExNS0_19identity_decomposerEEEEE10hipError_tT0_T1_T2_jT3_P12ihipStream_tbPNSt15iterator_traitsISE_E10value_typeEPNSK_ISF_E10value_typeEPSG_NS1_7vsmem_tEENKUlT_SE_SF_SG_E_clIS8_S8_S9_S9_EESD_ST_SE_SF_SG_EUlST_E1_NS1_11comp_targetILNS1_3genE0ELNS1_11target_archE4294967295ELNS1_3gpuE0ELNS1_3repE0EEENS1_36merge_oddeven_config_static_selectorELNS0_4arch9wavefront6targetE1EEEvSF_,@function
_ZN7rocprim17ROCPRIM_400000_NS6detail17trampoline_kernelINS0_14default_configENS1_38merge_sort_block_merge_config_selectorIxNS0_10empty_typeEEEZZNS1_27merge_sort_block_merge_implIS3_PxPS5_jNS1_19radix_merge_compareILb0ELb0ExNS0_19identity_decomposerEEEEE10hipError_tT0_T1_T2_jT3_P12ihipStream_tbPNSt15iterator_traitsISE_E10value_typeEPNSK_ISF_E10value_typeEPSG_NS1_7vsmem_tEENKUlT_SE_SF_SG_E_clIS8_S8_S9_S9_EESD_ST_SE_SF_SG_EUlST_E1_NS1_11comp_targetILNS1_3genE0ELNS1_11target_archE4294967295ELNS1_3gpuE0ELNS1_3repE0EEENS1_36merge_oddeven_config_static_selectorELNS0_4arch9wavefront6targetE1EEEvSF_: ; @_ZN7rocprim17ROCPRIM_400000_NS6detail17trampoline_kernelINS0_14default_configENS1_38merge_sort_block_merge_config_selectorIxNS0_10empty_typeEEEZZNS1_27merge_sort_block_merge_implIS3_PxPS5_jNS1_19radix_merge_compareILb0ELb0ExNS0_19identity_decomposerEEEEE10hipError_tT0_T1_T2_jT3_P12ihipStream_tbPNSt15iterator_traitsISE_E10value_typeEPNSK_ISF_E10value_typeEPSG_NS1_7vsmem_tEENKUlT_SE_SF_SG_E_clIS8_S8_S9_S9_EESD_ST_SE_SF_SG_EUlST_E1_NS1_11comp_targetILNS1_3genE0ELNS1_11target_archE4294967295ELNS1_3gpuE0ELNS1_3repE0EEENS1_36merge_oddeven_config_static_selectorELNS0_4arch9wavefront6targetE1EEEvSF_
; %bb.0:
	.section	.rodata,"a",@progbits
	.p2align	6, 0x0
	.amdhsa_kernel _ZN7rocprim17ROCPRIM_400000_NS6detail17trampoline_kernelINS0_14default_configENS1_38merge_sort_block_merge_config_selectorIxNS0_10empty_typeEEEZZNS1_27merge_sort_block_merge_implIS3_PxPS5_jNS1_19radix_merge_compareILb0ELb0ExNS0_19identity_decomposerEEEEE10hipError_tT0_T1_T2_jT3_P12ihipStream_tbPNSt15iterator_traitsISE_E10value_typeEPNSK_ISF_E10value_typeEPSG_NS1_7vsmem_tEENKUlT_SE_SF_SG_E_clIS8_S8_S9_S9_EESD_ST_SE_SF_SG_EUlST_E1_NS1_11comp_targetILNS1_3genE0ELNS1_11target_archE4294967295ELNS1_3gpuE0ELNS1_3repE0EEENS1_36merge_oddeven_config_static_selectorELNS0_4arch9wavefront6targetE1EEEvSF_
		.amdhsa_group_segment_fixed_size 0
		.amdhsa_private_segment_fixed_size 0
		.amdhsa_kernarg_size 48
		.amdhsa_user_sgpr_count 6
		.amdhsa_user_sgpr_private_segment_buffer 1
		.amdhsa_user_sgpr_dispatch_ptr 0
		.amdhsa_user_sgpr_queue_ptr 0
		.amdhsa_user_sgpr_kernarg_segment_ptr 1
		.amdhsa_user_sgpr_dispatch_id 0
		.amdhsa_user_sgpr_flat_scratch_init 0
		.amdhsa_user_sgpr_kernarg_preload_length 0
		.amdhsa_user_sgpr_kernarg_preload_offset 0
		.amdhsa_user_sgpr_private_segment_size 0
		.amdhsa_uses_dynamic_stack 0
		.amdhsa_system_sgpr_private_segment_wavefront_offset 0
		.amdhsa_system_sgpr_workgroup_id_x 1
		.amdhsa_system_sgpr_workgroup_id_y 0
		.amdhsa_system_sgpr_workgroup_id_z 0
		.amdhsa_system_sgpr_workgroup_info 0
		.amdhsa_system_vgpr_workitem_id 0
		.amdhsa_next_free_vgpr 1
		.amdhsa_next_free_sgpr 0
		.amdhsa_accum_offset 4
		.amdhsa_reserve_vcc 0
		.amdhsa_reserve_flat_scratch 0
		.amdhsa_float_round_mode_32 0
		.amdhsa_float_round_mode_16_64 0
		.amdhsa_float_denorm_mode_32 3
		.amdhsa_float_denorm_mode_16_64 3
		.amdhsa_dx10_clamp 1
		.amdhsa_ieee_mode 1
		.amdhsa_fp16_overflow 0
		.amdhsa_tg_split 0
		.amdhsa_exception_fp_ieee_invalid_op 0
		.amdhsa_exception_fp_denorm_src 0
		.amdhsa_exception_fp_ieee_div_zero 0
		.amdhsa_exception_fp_ieee_overflow 0
		.amdhsa_exception_fp_ieee_underflow 0
		.amdhsa_exception_fp_ieee_inexact 0
		.amdhsa_exception_int_div_zero 0
	.end_amdhsa_kernel
	.section	.text._ZN7rocprim17ROCPRIM_400000_NS6detail17trampoline_kernelINS0_14default_configENS1_38merge_sort_block_merge_config_selectorIxNS0_10empty_typeEEEZZNS1_27merge_sort_block_merge_implIS3_PxPS5_jNS1_19radix_merge_compareILb0ELb0ExNS0_19identity_decomposerEEEEE10hipError_tT0_T1_T2_jT3_P12ihipStream_tbPNSt15iterator_traitsISE_E10value_typeEPNSK_ISF_E10value_typeEPSG_NS1_7vsmem_tEENKUlT_SE_SF_SG_E_clIS8_S8_S9_S9_EESD_ST_SE_SF_SG_EUlST_E1_NS1_11comp_targetILNS1_3genE0ELNS1_11target_archE4294967295ELNS1_3gpuE0ELNS1_3repE0EEENS1_36merge_oddeven_config_static_selectorELNS0_4arch9wavefront6targetE1EEEvSF_,"axG",@progbits,_ZN7rocprim17ROCPRIM_400000_NS6detail17trampoline_kernelINS0_14default_configENS1_38merge_sort_block_merge_config_selectorIxNS0_10empty_typeEEEZZNS1_27merge_sort_block_merge_implIS3_PxPS5_jNS1_19radix_merge_compareILb0ELb0ExNS0_19identity_decomposerEEEEE10hipError_tT0_T1_T2_jT3_P12ihipStream_tbPNSt15iterator_traitsISE_E10value_typeEPNSK_ISF_E10value_typeEPSG_NS1_7vsmem_tEENKUlT_SE_SF_SG_E_clIS8_S8_S9_S9_EESD_ST_SE_SF_SG_EUlST_E1_NS1_11comp_targetILNS1_3genE0ELNS1_11target_archE4294967295ELNS1_3gpuE0ELNS1_3repE0EEENS1_36merge_oddeven_config_static_selectorELNS0_4arch9wavefront6targetE1EEEvSF_,comdat
.Lfunc_end1032:
	.size	_ZN7rocprim17ROCPRIM_400000_NS6detail17trampoline_kernelINS0_14default_configENS1_38merge_sort_block_merge_config_selectorIxNS0_10empty_typeEEEZZNS1_27merge_sort_block_merge_implIS3_PxPS5_jNS1_19radix_merge_compareILb0ELb0ExNS0_19identity_decomposerEEEEE10hipError_tT0_T1_T2_jT3_P12ihipStream_tbPNSt15iterator_traitsISE_E10value_typeEPNSK_ISF_E10value_typeEPSG_NS1_7vsmem_tEENKUlT_SE_SF_SG_E_clIS8_S8_S9_S9_EESD_ST_SE_SF_SG_EUlST_E1_NS1_11comp_targetILNS1_3genE0ELNS1_11target_archE4294967295ELNS1_3gpuE0ELNS1_3repE0EEENS1_36merge_oddeven_config_static_selectorELNS0_4arch9wavefront6targetE1EEEvSF_, .Lfunc_end1032-_ZN7rocprim17ROCPRIM_400000_NS6detail17trampoline_kernelINS0_14default_configENS1_38merge_sort_block_merge_config_selectorIxNS0_10empty_typeEEEZZNS1_27merge_sort_block_merge_implIS3_PxPS5_jNS1_19radix_merge_compareILb0ELb0ExNS0_19identity_decomposerEEEEE10hipError_tT0_T1_T2_jT3_P12ihipStream_tbPNSt15iterator_traitsISE_E10value_typeEPNSK_ISF_E10value_typeEPSG_NS1_7vsmem_tEENKUlT_SE_SF_SG_E_clIS8_S8_S9_S9_EESD_ST_SE_SF_SG_EUlST_E1_NS1_11comp_targetILNS1_3genE0ELNS1_11target_archE4294967295ELNS1_3gpuE0ELNS1_3repE0EEENS1_36merge_oddeven_config_static_selectorELNS0_4arch9wavefront6targetE1EEEvSF_
                                        ; -- End function
	.section	.AMDGPU.csdata,"",@progbits
; Kernel info:
; codeLenInByte = 0
; NumSgprs: 4
; NumVgprs: 0
; NumAgprs: 0
; TotalNumVgprs: 0
; ScratchSize: 0
; MemoryBound: 0
; FloatMode: 240
; IeeeMode: 1
; LDSByteSize: 0 bytes/workgroup (compile time only)
; SGPRBlocks: 0
; VGPRBlocks: 0
; NumSGPRsForWavesPerEU: 4
; NumVGPRsForWavesPerEU: 1
; AccumOffset: 4
; Occupancy: 8
; WaveLimiterHint : 0
; COMPUTE_PGM_RSRC2:SCRATCH_EN: 0
; COMPUTE_PGM_RSRC2:USER_SGPR: 6
; COMPUTE_PGM_RSRC2:TRAP_HANDLER: 0
; COMPUTE_PGM_RSRC2:TGID_X_EN: 1
; COMPUTE_PGM_RSRC2:TGID_Y_EN: 0
; COMPUTE_PGM_RSRC2:TGID_Z_EN: 0
; COMPUTE_PGM_RSRC2:TIDIG_COMP_CNT: 0
; COMPUTE_PGM_RSRC3_GFX90A:ACCUM_OFFSET: 0
; COMPUTE_PGM_RSRC3_GFX90A:TG_SPLIT: 0
	.section	.text._ZN7rocprim17ROCPRIM_400000_NS6detail17trampoline_kernelINS0_14default_configENS1_38merge_sort_block_merge_config_selectorIxNS0_10empty_typeEEEZZNS1_27merge_sort_block_merge_implIS3_PxPS5_jNS1_19radix_merge_compareILb0ELb0ExNS0_19identity_decomposerEEEEE10hipError_tT0_T1_T2_jT3_P12ihipStream_tbPNSt15iterator_traitsISE_E10value_typeEPNSK_ISF_E10value_typeEPSG_NS1_7vsmem_tEENKUlT_SE_SF_SG_E_clIS8_S8_S9_S9_EESD_ST_SE_SF_SG_EUlST_E1_NS1_11comp_targetILNS1_3genE10ELNS1_11target_archE1201ELNS1_3gpuE5ELNS1_3repE0EEENS1_36merge_oddeven_config_static_selectorELNS0_4arch9wavefront6targetE1EEEvSF_,"axG",@progbits,_ZN7rocprim17ROCPRIM_400000_NS6detail17trampoline_kernelINS0_14default_configENS1_38merge_sort_block_merge_config_selectorIxNS0_10empty_typeEEEZZNS1_27merge_sort_block_merge_implIS3_PxPS5_jNS1_19radix_merge_compareILb0ELb0ExNS0_19identity_decomposerEEEEE10hipError_tT0_T1_T2_jT3_P12ihipStream_tbPNSt15iterator_traitsISE_E10value_typeEPNSK_ISF_E10value_typeEPSG_NS1_7vsmem_tEENKUlT_SE_SF_SG_E_clIS8_S8_S9_S9_EESD_ST_SE_SF_SG_EUlST_E1_NS1_11comp_targetILNS1_3genE10ELNS1_11target_archE1201ELNS1_3gpuE5ELNS1_3repE0EEENS1_36merge_oddeven_config_static_selectorELNS0_4arch9wavefront6targetE1EEEvSF_,comdat
	.protected	_ZN7rocprim17ROCPRIM_400000_NS6detail17trampoline_kernelINS0_14default_configENS1_38merge_sort_block_merge_config_selectorIxNS0_10empty_typeEEEZZNS1_27merge_sort_block_merge_implIS3_PxPS5_jNS1_19radix_merge_compareILb0ELb0ExNS0_19identity_decomposerEEEEE10hipError_tT0_T1_T2_jT3_P12ihipStream_tbPNSt15iterator_traitsISE_E10value_typeEPNSK_ISF_E10value_typeEPSG_NS1_7vsmem_tEENKUlT_SE_SF_SG_E_clIS8_S8_S9_S9_EESD_ST_SE_SF_SG_EUlST_E1_NS1_11comp_targetILNS1_3genE10ELNS1_11target_archE1201ELNS1_3gpuE5ELNS1_3repE0EEENS1_36merge_oddeven_config_static_selectorELNS0_4arch9wavefront6targetE1EEEvSF_ ; -- Begin function _ZN7rocprim17ROCPRIM_400000_NS6detail17trampoline_kernelINS0_14default_configENS1_38merge_sort_block_merge_config_selectorIxNS0_10empty_typeEEEZZNS1_27merge_sort_block_merge_implIS3_PxPS5_jNS1_19radix_merge_compareILb0ELb0ExNS0_19identity_decomposerEEEEE10hipError_tT0_T1_T2_jT3_P12ihipStream_tbPNSt15iterator_traitsISE_E10value_typeEPNSK_ISF_E10value_typeEPSG_NS1_7vsmem_tEENKUlT_SE_SF_SG_E_clIS8_S8_S9_S9_EESD_ST_SE_SF_SG_EUlST_E1_NS1_11comp_targetILNS1_3genE10ELNS1_11target_archE1201ELNS1_3gpuE5ELNS1_3repE0EEENS1_36merge_oddeven_config_static_selectorELNS0_4arch9wavefront6targetE1EEEvSF_
	.globl	_ZN7rocprim17ROCPRIM_400000_NS6detail17trampoline_kernelINS0_14default_configENS1_38merge_sort_block_merge_config_selectorIxNS0_10empty_typeEEEZZNS1_27merge_sort_block_merge_implIS3_PxPS5_jNS1_19radix_merge_compareILb0ELb0ExNS0_19identity_decomposerEEEEE10hipError_tT0_T1_T2_jT3_P12ihipStream_tbPNSt15iterator_traitsISE_E10value_typeEPNSK_ISF_E10value_typeEPSG_NS1_7vsmem_tEENKUlT_SE_SF_SG_E_clIS8_S8_S9_S9_EESD_ST_SE_SF_SG_EUlST_E1_NS1_11comp_targetILNS1_3genE10ELNS1_11target_archE1201ELNS1_3gpuE5ELNS1_3repE0EEENS1_36merge_oddeven_config_static_selectorELNS0_4arch9wavefront6targetE1EEEvSF_
	.p2align	8
	.type	_ZN7rocprim17ROCPRIM_400000_NS6detail17trampoline_kernelINS0_14default_configENS1_38merge_sort_block_merge_config_selectorIxNS0_10empty_typeEEEZZNS1_27merge_sort_block_merge_implIS3_PxPS5_jNS1_19radix_merge_compareILb0ELb0ExNS0_19identity_decomposerEEEEE10hipError_tT0_T1_T2_jT3_P12ihipStream_tbPNSt15iterator_traitsISE_E10value_typeEPNSK_ISF_E10value_typeEPSG_NS1_7vsmem_tEENKUlT_SE_SF_SG_E_clIS8_S8_S9_S9_EESD_ST_SE_SF_SG_EUlST_E1_NS1_11comp_targetILNS1_3genE10ELNS1_11target_archE1201ELNS1_3gpuE5ELNS1_3repE0EEENS1_36merge_oddeven_config_static_selectorELNS0_4arch9wavefront6targetE1EEEvSF_,@function
_ZN7rocprim17ROCPRIM_400000_NS6detail17trampoline_kernelINS0_14default_configENS1_38merge_sort_block_merge_config_selectorIxNS0_10empty_typeEEEZZNS1_27merge_sort_block_merge_implIS3_PxPS5_jNS1_19radix_merge_compareILb0ELb0ExNS0_19identity_decomposerEEEEE10hipError_tT0_T1_T2_jT3_P12ihipStream_tbPNSt15iterator_traitsISE_E10value_typeEPNSK_ISF_E10value_typeEPSG_NS1_7vsmem_tEENKUlT_SE_SF_SG_E_clIS8_S8_S9_S9_EESD_ST_SE_SF_SG_EUlST_E1_NS1_11comp_targetILNS1_3genE10ELNS1_11target_archE1201ELNS1_3gpuE5ELNS1_3repE0EEENS1_36merge_oddeven_config_static_selectorELNS0_4arch9wavefront6targetE1EEEvSF_: ; @_ZN7rocprim17ROCPRIM_400000_NS6detail17trampoline_kernelINS0_14default_configENS1_38merge_sort_block_merge_config_selectorIxNS0_10empty_typeEEEZZNS1_27merge_sort_block_merge_implIS3_PxPS5_jNS1_19radix_merge_compareILb0ELb0ExNS0_19identity_decomposerEEEEE10hipError_tT0_T1_T2_jT3_P12ihipStream_tbPNSt15iterator_traitsISE_E10value_typeEPNSK_ISF_E10value_typeEPSG_NS1_7vsmem_tEENKUlT_SE_SF_SG_E_clIS8_S8_S9_S9_EESD_ST_SE_SF_SG_EUlST_E1_NS1_11comp_targetILNS1_3genE10ELNS1_11target_archE1201ELNS1_3gpuE5ELNS1_3repE0EEENS1_36merge_oddeven_config_static_selectorELNS0_4arch9wavefront6targetE1EEEvSF_
; %bb.0:
	.section	.rodata,"a",@progbits
	.p2align	6, 0x0
	.amdhsa_kernel _ZN7rocprim17ROCPRIM_400000_NS6detail17trampoline_kernelINS0_14default_configENS1_38merge_sort_block_merge_config_selectorIxNS0_10empty_typeEEEZZNS1_27merge_sort_block_merge_implIS3_PxPS5_jNS1_19radix_merge_compareILb0ELb0ExNS0_19identity_decomposerEEEEE10hipError_tT0_T1_T2_jT3_P12ihipStream_tbPNSt15iterator_traitsISE_E10value_typeEPNSK_ISF_E10value_typeEPSG_NS1_7vsmem_tEENKUlT_SE_SF_SG_E_clIS8_S8_S9_S9_EESD_ST_SE_SF_SG_EUlST_E1_NS1_11comp_targetILNS1_3genE10ELNS1_11target_archE1201ELNS1_3gpuE5ELNS1_3repE0EEENS1_36merge_oddeven_config_static_selectorELNS0_4arch9wavefront6targetE1EEEvSF_
		.amdhsa_group_segment_fixed_size 0
		.amdhsa_private_segment_fixed_size 0
		.amdhsa_kernarg_size 48
		.amdhsa_user_sgpr_count 6
		.amdhsa_user_sgpr_private_segment_buffer 1
		.amdhsa_user_sgpr_dispatch_ptr 0
		.amdhsa_user_sgpr_queue_ptr 0
		.amdhsa_user_sgpr_kernarg_segment_ptr 1
		.amdhsa_user_sgpr_dispatch_id 0
		.amdhsa_user_sgpr_flat_scratch_init 0
		.amdhsa_user_sgpr_kernarg_preload_length 0
		.amdhsa_user_sgpr_kernarg_preload_offset 0
		.amdhsa_user_sgpr_private_segment_size 0
		.amdhsa_uses_dynamic_stack 0
		.amdhsa_system_sgpr_private_segment_wavefront_offset 0
		.amdhsa_system_sgpr_workgroup_id_x 1
		.amdhsa_system_sgpr_workgroup_id_y 0
		.amdhsa_system_sgpr_workgroup_id_z 0
		.amdhsa_system_sgpr_workgroup_info 0
		.amdhsa_system_vgpr_workitem_id 0
		.amdhsa_next_free_vgpr 1
		.amdhsa_next_free_sgpr 0
		.amdhsa_accum_offset 4
		.amdhsa_reserve_vcc 0
		.amdhsa_reserve_flat_scratch 0
		.amdhsa_float_round_mode_32 0
		.amdhsa_float_round_mode_16_64 0
		.amdhsa_float_denorm_mode_32 3
		.amdhsa_float_denorm_mode_16_64 3
		.amdhsa_dx10_clamp 1
		.amdhsa_ieee_mode 1
		.amdhsa_fp16_overflow 0
		.amdhsa_tg_split 0
		.amdhsa_exception_fp_ieee_invalid_op 0
		.amdhsa_exception_fp_denorm_src 0
		.amdhsa_exception_fp_ieee_div_zero 0
		.amdhsa_exception_fp_ieee_overflow 0
		.amdhsa_exception_fp_ieee_underflow 0
		.amdhsa_exception_fp_ieee_inexact 0
		.amdhsa_exception_int_div_zero 0
	.end_amdhsa_kernel
	.section	.text._ZN7rocprim17ROCPRIM_400000_NS6detail17trampoline_kernelINS0_14default_configENS1_38merge_sort_block_merge_config_selectorIxNS0_10empty_typeEEEZZNS1_27merge_sort_block_merge_implIS3_PxPS5_jNS1_19radix_merge_compareILb0ELb0ExNS0_19identity_decomposerEEEEE10hipError_tT0_T1_T2_jT3_P12ihipStream_tbPNSt15iterator_traitsISE_E10value_typeEPNSK_ISF_E10value_typeEPSG_NS1_7vsmem_tEENKUlT_SE_SF_SG_E_clIS8_S8_S9_S9_EESD_ST_SE_SF_SG_EUlST_E1_NS1_11comp_targetILNS1_3genE10ELNS1_11target_archE1201ELNS1_3gpuE5ELNS1_3repE0EEENS1_36merge_oddeven_config_static_selectorELNS0_4arch9wavefront6targetE1EEEvSF_,"axG",@progbits,_ZN7rocprim17ROCPRIM_400000_NS6detail17trampoline_kernelINS0_14default_configENS1_38merge_sort_block_merge_config_selectorIxNS0_10empty_typeEEEZZNS1_27merge_sort_block_merge_implIS3_PxPS5_jNS1_19radix_merge_compareILb0ELb0ExNS0_19identity_decomposerEEEEE10hipError_tT0_T1_T2_jT3_P12ihipStream_tbPNSt15iterator_traitsISE_E10value_typeEPNSK_ISF_E10value_typeEPSG_NS1_7vsmem_tEENKUlT_SE_SF_SG_E_clIS8_S8_S9_S9_EESD_ST_SE_SF_SG_EUlST_E1_NS1_11comp_targetILNS1_3genE10ELNS1_11target_archE1201ELNS1_3gpuE5ELNS1_3repE0EEENS1_36merge_oddeven_config_static_selectorELNS0_4arch9wavefront6targetE1EEEvSF_,comdat
.Lfunc_end1033:
	.size	_ZN7rocprim17ROCPRIM_400000_NS6detail17trampoline_kernelINS0_14default_configENS1_38merge_sort_block_merge_config_selectorIxNS0_10empty_typeEEEZZNS1_27merge_sort_block_merge_implIS3_PxPS5_jNS1_19radix_merge_compareILb0ELb0ExNS0_19identity_decomposerEEEEE10hipError_tT0_T1_T2_jT3_P12ihipStream_tbPNSt15iterator_traitsISE_E10value_typeEPNSK_ISF_E10value_typeEPSG_NS1_7vsmem_tEENKUlT_SE_SF_SG_E_clIS8_S8_S9_S9_EESD_ST_SE_SF_SG_EUlST_E1_NS1_11comp_targetILNS1_3genE10ELNS1_11target_archE1201ELNS1_3gpuE5ELNS1_3repE0EEENS1_36merge_oddeven_config_static_selectorELNS0_4arch9wavefront6targetE1EEEvSF_, .Lfunc_end1033-_ZN7rocprim17ROCPRIM_400000_NS6detail17trampoline_kernelINS0_14default_configENS1_38merge_sort_block_merge_config_selectorIxNS0_10empty_typeEEEZZNS1_27merge_sort_block_merge_implIS3_PxPS5_jNS1_19radix_merge_compareILb0ELb0ExNS0_19identity_decomposerEEEEE10hipError_tT0_T1_T2_jT3_P12ihipStream_tbPNSt15iterator_traitsISE_E10value_typeEPNSK_ISF_E10value_typeEPSG_NS1_7vsmem_tEENKUlT_SE_SF_SG_E_clIS8_S8_S9_S9_EESD_ST_SE_SF_SG_EUlST_E1_NS1_11comp_targetILNS1_3genE10ELNS1_11target_archE1201ELNS1_3gpuE5ELNS1_3repE0EEENS1_36merge_oddeven_config_static_selectorELNS0_4arch9wavefront6targetE1EEEvSF_
                                        ; -- End function
	.section	.AMDGPU.csdata,"",@progbits
; Kernel info:
; codeLenInByte = 0
; NumSgprs: 4
; NumVgprs: 0
; NumAgprs: 0
; TotalNumVgprs: 0
; ScratchSize: 0
; MemoryBound: 0
; FloatMode: 240
; IeeeMode: 1
; LDSByteSize: 0 bytes/workgroup (compile time only)
; SGPRBlocks: 0
; VGPRBlocks: 0
; NumSGPRsForWavesPerEU: 4
; NumVGPRsForWavesPerEU: 1
; AccumOffset: 4
; Occupancy: 8
; WaveLimiterHint : 0
; COMPUTE_PGM_RSRC2:SCRATCH_EN: 0
; COMPUTE_PGM_RSRC2:USER_SGPR: 6
; COMPUTE_PGM_RSRC2:TRAP_HANDLER: 0
; COMPUTE_PGM_RSRC2:TGID_X_EN: 1
; COMPUTE_PGM_RSRC2:TGID_Y_EN: 0
; COMPUTE_PGM_RSRC2:TGID_Z_EN: 0
; COMPUTE_PGM_RSRC2:TIDIG_COMP_CNT: 0
; COMPUTE_PGM_RSRC3_GFX90A:ACCUM_OFFSET: 0
; COMPUTE_PGM_RSRC3_GFX90A:TG_SPLIT: 0
	.section	.text._ZN7rocprim17ROCPRIM_400000_NS6detail17trampoline_kernelINS0_14default_configENS1_38merge_sort_block_merge_config_selectorIxNS0_10empty_typeEEEZZNS1_27merge_sort_block_merge_implIS3_PxPS5_jNS1_19radix_merge_compareILb0ELb0ExNS0_19identity_decomposerEEEEE10hipError_tT0_T1_T2_jT3_P12ihipStream_tbPNSt15iterator_traitsISE_E10value_typeEPNSK_ISF_E10value_typeEPSG_NS1_7vsmem_tEENKUlT_SE_SF_SG_E_clIS8_S8_S9_S9_EESD_ST_SE_SF_SG_EUlST_E1_NS1_11comp_targetILNS1_3genE5ELNS1_11target_archE942ELNS1_3gpuE9ELNS1_3repE0EEENS1_36merge_oddeven_config_static_selectorELNS0_4arch9wavefront6targetE1EEEvSF_,"axG",@progbits,_ZN7rocprim17ROCPRIM_400000_NS6detail17trampoline_kernelINS0_14default_configENS1_38merge_sort_block_merge_config_selectorIxNS0_10empty_typeEEEZZNS1_27merge_sort_block_merge_implIS3_PxPS5_jNS1_19radix_merge_compareILb0ELb0ExNS0_19identity_decomposerEEEEE10hipError_tT0_T1_T2_jT3_P12ihipStream_tbPNSt15iterator_traitsISE_E10value_typeEPNSK_ISF_E10value_typeEPSG_NS1_7vsmem_tEENKUlT_SE_SF_SG_E_clIS8_S8_S9_S9_EESD_ST_SE_SF_SG_EUlST_E1_NS1_11comp_targetILNS1_3genE5ELNS1_11target_archE942ELNS1_3gpuE9ELNS1_3repE0EEENS1_36merge_oddeven_config_static_selectorELNS0_4arch9wavefront6targetE1EEEvSF_,comdat
	.protected	_ZN7rocprim17ROCPRIM_400000_NS6detail17trampoline_kernelINS0_14default_configENS1_38merge_sort_block_merge_config_selectorIxNS0_10empty_typeEEEZZNS1_27merge_sort_block_merge_implIS3_PxPS5_jNS1_19radix_merge_compareILb0ELb0ExNS0_19identity_decomposerEEEEE10hipError_tT0_T1_T2_jT3_P12ihipStream_tbPNSt15iterator_traitsISE_E10value_typeEPNSK_ISF_E10value_typeEPSG_NS1_7vsmem_tEENKUlT_SE_SF_SG_E_clIS8_S8_S9_S9_EESD_ST_SE_SF_SG_EUlST_E1_NS1_11comp_targetILNS1_3genE5ELNS1_11target_archE942ELNS1_3gpuE9ELNS1_3repE0EEENS1_36merge_oddeven_config_static_selectorELNS0_4arch9wavefront6targetE1EEEvSF_ ; -- Begin function _ZN7rocprim17ROCPRIM_400000_NS6detail17trampoline_kernelINS0_14default_configENS1_38merge_sort_block_merge_config_selectorIxNS0_10empty_typeEEEZZNS1_27merge_sort_block_merge_implIS3_PxPS5_jNS1_19radix_merge_compareILb0ELb0ExNS0_19identity_decomposerEEEEE10hipError_tT0_T1_T2_jT3_P12ihipStream_tbPNSt15iterator_traitsISE_E10value_typeEPNSK_ISF_E10value_typeEPSG_NS1_7vsmem_tEENKUlT_SE_SF_SG_E_clIS8_S8_S9_S9_EESD_ST_SE_SF_SG_EUlST_E1_NS1_11comp_targetILNS1_3genE5ELNS1_11target_archE942ELNS1_3gpuE9ELNS1_3repE0EEENS1_36merge_oddeven_config_static_selectorELNS0_4arch9wavefront6targetE1EEEvSF_
	.globl	_ZN7rocprim17ROCPRIM_400000_NS6detail17trampoline_kernelINS0_14default_configENS1_38merge_sort_block_merge_config_selectorIxNS0_10empty_typeEEEZZNS1_27merge_sort_block_merge_implIS3_PxPS5_jNS1_19radix_merge_compareILb0ELb0ExNS0_19identity_decomposerEEEEE10hipError_tT0_T1_T2_jT3_P12ihipStream_tbPNSt15iterator_traitsISE_E10value_typeEPNSK_ISF_E10value_typeEPSG_NS1_7vsmem_tEENKUlT_SE_SF_SG_E_clIS8_S8_S9_S9_EESD_ST_SE_SF_SG_EUlST_E1_NS1_11comp_targetILNS1_3genE5ELNS1_11target_archE942ELNS1_3gpuE9ELNS1_3repE0EEENS1_36merge_oddeven_config_static_selectorELNS0_4arch9wavefront6targetE1EEEvSF_
	.p2align	8
	.type	_ZN7rocprim17ROCPRIM_400000_NS6detail17trampoline_kernelINS0_14default_configENS1_38merge_sort_block_merge_config_selectorIxNS0_10empty_typeEEEZZNS1_27merge_sort_block_merge_implIS3_PxPS5_jNS1_19radix_merge_compareILb0ELb0ExNS0_19identity_decomposerEEEEE10hipError_tT0_T1_T2_jT3_P12ihipStream_tbPNSt15iterator_traitsISE_E10value_typeEPNSK_ISF_E10value_typeEPSG_NS1_7vsmem_tEENKUlT_SE_SF_SG_E_clIS8_S8_S9_S9_EESD_ST_SE_SF_SG_EUlST_E1_NS1_11comp_targetILNS1_3genE5ELNS1_11target_archE942ELNS1_3gpuE9ELNS1_3repE0EEENS1_36merge_oddeven_config_static_selectorELNS0_4arch9wavefront6targetE1EEEvSF_,@function
_ZN7rocprim17ROCPRIM_400000_NS6detail17trampoline_kernelINS0_14default_configENS1_38merge_sort_block_merge_config_selectorIxNS0_10empty_typeEEEZZNS1_27merge_sort_block_merge_implIS3_PxPS5_jNS1_19radix_merge_compareILb0ELb0ExNS0_19identity_decomposerEEEEE10hipError_tT0_T1_T2_jT3_P12ihipStream_tbPNSt15iterator_traitsISE_E10value_typeEPNSK_ISF_E10value_typeEPSG_NS1_7vsmem_tEENKUlT_SE_SF_SG_E_clIS8_S8_S9_S9_EESD_ST_SE_SF_SG_EUlST_E1_NS1_11comp_targetILNS1_3genE5ELNS1_11target_archE942ELNS1_3gpuE9ELNS1_3repE0EEENS1_36merge_oddeven_config_static_selectorELNS0_4arch9wavefront6targetE1EEEvSF_: ; @_ZN7rocprim17ROCPRIM_400000_NS6detail17trampoline_kernelINS0_14default_configENS1_38merge_sort_block_merge_config_selectorIxNS0_10empty_typeEEEZZNS1_27merge_sort_block_merge_implIS3_PxPS5_jNS1_19radix_merge_compareILb0ELb0ExNS0_19identity_decomposerEEEEE10hipError_tT0_T1_T2_jT3_P12ihipStream_tbPNSt15iterator_traitsISE_E10value_typeEPNSK_ISF_E10value_typeEPSG_NS1_7vsmem_tEENKUlT_SE_SF_SG_E_clIS8_S8_S9_S9_EESD_ST_SE_SF_SG_EUlST_E1_NS1_11comp_targetILNS1_3genE5ELNS1_11target_archE942ELNS1_3gpuE9ELNS1_3repE0EEENS1_36merge_oddeven_config_static_selectorELNS0_4arch9wavefront6targetE1EEEvSF_
; %bb.0:
	.section	.rodata,"a",@progbits
	.p2align	6, 0x0
	.amdhsa_kernel _ZN7rocprim17ROCPRIM_400000_NS6detail17trampoline_kernelINS0_14default_configENS1_38merge_sort_block_merge_config_selectorIxNS0_10empty_typeEEEZZNS1_27merge_sort_block_merge_implIS3_PxPS5_jNS1_19radix_merge_compareILb0ELb0ExNS0_19identity_decomposerEEEEE10hipError_tT0_T1_T2_jT3_P12ihipStream_tbPNSt15iterator_traitsISE_E10value_typeEPNSK_ISF_E10value_typeEPSG_NS1_7vsmem_tEENKUlT_SE_SF_SG_E_clIS8_S8_S9_S9_EESD_ST_SE_SF_SG_EUlST_E1_NS1_11comp_targetILNS1_3genE5ELNS1_11target_archE942ELNS1_3gpuE9ELNS1_3repE0EEENS1_36merge_oddeven_config_static_selectorELNS0_4arch9wavefront6targetE1EEEvSF_
		.amdhsa_group_segment_fixed_size 0
		.amdhsa_private_segment_fixed_size 0
		.amdhsa_kernarg_size 48
		.amdhsa_user_sgpr_count 6
		.amdhsa_user_sgpr_private_segment_buffer 1
		.amdhsa_user_sgpr_dispatch_ptr 0
		.amdhsa_user_sgpr_queue_ptr 0
		.amdhsa_user_sgpr_kernarg_segment_ptr 1
		.amdhsa_user_sgpr_dispatch_id 0
		.amdhsa_user_sgpr_flat_scratch_init 0
		.amdhsa_user_sgpr_kernarg_preload_length 0
		.amdhsa_user_sgpr_kernarg_preload_offset 0
		.amdhsa_user_sgpr_private_segment_size 0
		.amdhsa_uses_dynamic_stack 0
		.amdhsa_system_sgpr_private_segment_wavefront_offset 0
		.amdhsa_system_sgpr_workgroup_id_x 1
		.amdhsa_system_sgpr_workgroup_id_y 0
		.amdhsa_system_sgpr_workgroup_id_z 0
		.amdhsa_system_sgpr_workgroup_info 0
		.amdhsa_system_vgpr_workitem_id 0
		.amdhsa_next_free_vgpr 1
		.amdhsa_next_free_sgpr 0
		.amdhsa_accum_offset 4
		.amdhsa_reserve_vcc 0
		.amdhsa_reserve_flat_scratch 0
		.amdhsa_float_round_mode_32 0
		.amdhsa_float_round_mode_16_64 0
		.amdhsa_float_denorm_mode_32 3
		.amdhsa_float_denorm_mode_16_64 3
		.amdhsa_dx10_clamp 1
		.amdhsa_ieee_mode 1
		.amdhsa_fp16_overflow 0
		.amdhsa_tg_split 0
		.amdhsa_exception_fp_ieee_invalid_op 0
		.amdhsa_exception_fp_denorm_src 0
		.amdhsa_exception_fp_ieee_div_zero 0
		.amdhsa_exception_fp_ieee_overflow 0
		.amdhsa_exception_fp_ieee_underflow 0
		.amdhsa_exception_fp_ieee_inexact 0
		.amdhsa_exception_int_div_zero 0
	.end_amdhsa_kernel
	.section	.text._ZN7rocprim17ROCPRIM_400000_NS6detail17trampoline_kernelINS0_14default_configENS1_38merge_sort_block_merge_config_selectorIxNS0_10empty_typeEEEZZNS1_27merge_sort_block_merge_implIS3_PxPS5_jNS1_19radix_merge_compareILb0ELb0ExNS0_19identity_decomposerEEEEE10hipError_tT0_T1_T2_jT3_P12ihipStream_tbPNSt15iterator_traitsISE_E10value_typeEPNSK_ISF_E10value_typeEPSG_NS1_7vsmem_tEENKUlT_SE_SF_SG_E_clIS8_S8_S9_S9_EESD_ST_SE_SF_SG_EUlST_E1_NS1_11comp_targetILNS1_3genE5ELNS1_11target_archE942ELNS1_3gpuE9ELNS1_3repE0EEENS1_36merge_oddeven_config_static_selectorELNS0_4arch9wavefront6targetE1EEEvSF_,"axG",@progbits,_ZN7rocprim17ROCPRIM_400000_NS6detail17trampoline_kernelINS0_14default_configENS1_38merge_sort_block_merge_config_selectorIxNS0_10empty_typeEEEZZNS1_27merge_sort_block_merge_implIS3_PxPS5_jNS1_19radix_merge_compareILb0ELb0ExNS0_19identity_decomposerEEEEE10hipError_tT0_T1_T2_jT3_P12ihipStream_tbPNSt15iterator_traitsISE_E10value_typeEPNSK_ISF_E10value_typeEPSG_NS1_7vsmem_tEENKUlT_SE_SF_SG_E_clIS8_S8_S9_S9_EESD_ST_SE_SF_SG_EUlST_E1_NS1_11comp_targetILNS1_3genE5ELNS1_11target_archE942ELNS1_3gpuE9ELNS1_3repE0EEENS1_36merge_oddeven_config_static_selectorELNS0_4arch9wavefront6targetE1EEEvSF_,comdat
.Lfunc_end1034:
	.size	_ZN7rocprim17ROCPRIM_400000_NS6detail17trampoline_kernelINS0_14default_configENS1_38merge_sort_block_merge_config_selectorIxNS0_10empty_typeEEEZZNS1_27merge_sort_block_merge_implIS3_PxPS5_jNS1_19radix_merge_compareILb0ELb0ExNS0_19identity_decomposerEEEEE10hipError_tT0_T1_T2_jT3_P12ihipStream_tbPNSt15iterator_traitsISE_E10value_typeEPNSK_ISF_E10value_typeEPSG_NS1_7vsmem_tEENKUlT_SE_SF_SG_E_clIS8_S8_S9_S9_EESD_ST_SE_SF_SG_EUlST_E1_NS1_11comp_targetILNS1_3genE5ELNS1_11target_archE942ELNS1_3gpuE9ELNS1_3repE0EEENS1_36merge_oddeven_config_static_selectorELNS0_4arch9wavefront6targetE1EEEvSF_, .Lfunc_end1034-_ZN7rocprim17ROCPRIM_400000_NS6detail17trampoline_kernelINS0_14default_configENS1_38merge_sort_block_merge_config_selectorIxNS0_10empty_typeEEEZZNS1_27merge_sort_block_merge_implIS3_PxPS5_jNS1_19radix_merge_compareILb0ELb0ExNS0_19identity_decomposerEEEEE10hipError_tT0_T1_T2_jT3_P12ihipStream_tbPNSt15iterator_traitsISE_E10value_typeEPNSK_ISF_E10value_typeEPSG_NS1_7vsmem_tEENKUlT_SE_SF_SG_E_clIS8_S8_S9_S9_EESD_ST_SE_SF_SG_EUlST_E1_NS1_11comp_targetILNS1_3genE5ELNS1_11target_archE942ELNS1_3gpuE9ELNS1_3repE0EEENS1_36merge_oddeven_config_static_selectorELNS0_4arch9wavefront6targetE1EEEvSF_
                                        ; -- End function
	.section	.AMDGPU.csdata,"",@progbits
; Kernel info:
; codeLenInByte = 0
; NumSgprs: 4
; NumVgprs: 0
; NumAgprs: 0
; TotalNumVgprs: 0
; ScratchSize: 0
; MemoryBound: 0
; FloatMode: 240
; IeeeMode: 1
; LDSByteSize: 0 bytes/workgroup (compile time only)
; SGPRBlocks: 0
; VGPRBlocks: 0
; NumSGPRsForWavesPerEU: 4
; NumVGPRsForWavesPerEU: 1
; AccumOffset: 4
; Occupancy: 8
; WaveLimiterHint : 0
; COMPUTE_PGM_RSRC2:SCRATCH_EN: 0
; COMPUTE_PGM_RSRC2:USER_SGPR: 6
; COMPUTE_PGM_RSRC2:TRAP_HANDLER: 0
; COMPUTE_PGM_RSRC2:TGID_X_EN: 1
; COMPUTE_PGM_RSRC2:TGID_Y_EN: 0
; COMPUTE_PGM_RSRC2:TGID_Z_EN: 0
; COMPUTE_PGM_RSRC2:TIDIG_COMP_CNT: 0
; COMPUTE_PGM_RSRC3_GFX90A:ACCUM_OFFSET: 0
; COMPUTE_PGM_RSRC3_GFX90A:TG_SPLIT: 0
	.section	.text._ZN7rocprim17ROCPRIM_400000_NS6detail17trampoline_kernelINS0_14default_configENS1_38merge_sort_block_merge_config_selectorIxNS0_10empty_typeEEEZZNS1_27merge_sort_block_merge_implIS3_PxPS5_jNS1_19radix_merge_compareILb0ELb0ExNS0_19identity_decomposerEEEEE10hipError_tT0_T1_T2_jT3_P12ihipStream_tbPNSt15iterator_traitsISE_E10value_typeEPNSK_ISF_E10value_typeEPSG_NS1_7vsmem_tEENKUlT_SE_SF_SG_E_clIS8_S8_S9_S9_EESD_ST_SE_SF_SG_EUlST_E1_NS1_11comp_targetILNS1_3genE4ELNS1_11target_archE910ELNS1_3gpuE8ELNS1_3repE0EEENS1_36merge_oddeven_config_static_selectorELNS0_4arch9wavefront6targetE1EEEvSF_,"axG",@progbits,_ZN7rocprim17ROCPRIM_400000_NS6detail17trampoline_kernelINS0_14default_configENS1_38merge_sort_block_merge_config_selectorIxNS0_10empty_typeEEEZZNS1_27merge_sort_block_merge_implIS3_PxPS5_jNS1_19radix_merge_compareILb0ELb0ExNS0_19identity_decomposerEEEEE10hipError_tT0_T1_T2_jT3_P12ihipStream_tbPNSt15iterator_traitsISE_E10value_typeEPNSK_ISF_E10value_typeEPSG_NS1_7vsmem_tEENKUlT_SE_SF_SG_E_clIS8_S8_S9_S9_EESD_ST_SE_SF_SG_EUlST_E1_NS1_11comp_targetILNS1_3genE4ELNS1_11target_archE910ELNS1_3gpuE8ELNS1_3repE0EEENS1_36merge_oddeven_config_static_selectorELNS0_4arch9wavefront6targetE1EEEvSF_,comdat
	.protected	_ZN7rocprim17ROCPRIM_400000_NS6detail17trampoline_kernelINS0_14default_configENS1_38merge_sort_block_merge_config_selectorIxNS0_10empty_typeEEEZZNS1_27merge_sort_block_merge_implIS3_PxPS5_jNS1_19radix_merge_compareILb0ELb0ExNS0_19identity_decomposerEEEEE10hipError_tT0_T1_T2_jT3_P12ihipStream_tbPNSt15iterator_traitsISE_E10value_typeEPNSK_ISF_E10value_typeEPSG_NS1_7vsmem_tEENKUlT_SE_SF_SG_E_clIS8_S8_S9_S9_EESD_ST_SE_SF_SG_EUlST_E1_NS1_11comp_targetILNS1_3genE4ELNS1_11target_archE910ELNS1_3gpuE8ELNS1_3repE0EEENS1_36merge_oddeven_config_static_selectorELNS0_4arch9wavefront6targetE1EEEvSF_ ; -- Begin function _ZN7rocprim17ROCPRIM_400000_NS6detail17trampoline_kernelINS0_14default_configENS1_38merge_sort_block_merge_config_selectorIxNS0_10empty_typeEEEZZNS1_27merge_sort_block_merge_implIS3_PxPS5_jNS1_19radix_merge_compareILb0ELb0ExNS0_19identity_decomposerEEEEE10hipError_tT0_T1_T2_jT3_P12ihipStream_tbPNSt15iterator_traitsISE_E10value_typeEPNSK_ISF_E10value_typeEPSG_NS1_7vsmem_tEENKUlT_SE_SF_SG_E_clIS8_S8_S9_S9_EESD_ST_SE_SF_SG_EUlST_E1_NS1_11comp_targetILNS1_3genE4ELNS1_11target_archE910ELNS1_3gpuE8ELNS1_3repE0EEENS1_36merge_oddeven_config_static_selectorELNS0_4arch9wavefront6targetE1EEEvSF_
	.globl	_ZN7rocprim17ROCPRIM_400000_NS6detail17trampoline_kernelINS0_14default_configENS1_38merge_sort_block_merge_config_selectorIxNS0_10empty_typeEEEZZNS1_27merge_sort_block_merge_implIS3_PxPS5_jNS1_19radix_merge_compareILb0ELb0ExNS0_19identity_decomposerEEEEE10hipError_tT0_T1_T2_jT3_P12ihipStream_tbPNSt15iterator_traitsISE_E10value_typeEPNSK_ISF_E10value_typeEPSG_NS1_7vsmem_tEENKUlT_SE_SF_SG_E_clIS8_S8_S9_S9_EESD_ST_SE_SF_SG_EUlST_E1_NS1_11comp_targetILNS1_3genE4ELNS1_11target_archE910ELNS1_3gpuE8ELNS1_3repE0EEENS1_36merge_oddeven_config_static_selectorELNS0_4arch9wavefront6targetE1EEEvSF_
	.p2align	8
	.type	_ZN7rocprim17ROCPRIM_400000_NS6detail17trampoline_kernelINS0_14default_configENS1_38merge_sort_block_merge_config_selectorIxNS0_10empty_typeEEEZZNS1_27merge_sort_block_merge_implIS3_PxPS5_jNS1_19radix_merge_compareILb0ELb0ExNS0_19identity_decomposerEEEEE10hipError_tT0_T1_T2_jT3_P12ihipStream_tbPNSt15iterator_traitsISE_E10value_typeEPNSK_ISF_E10value_typeEPSG_NS1_7vsmem_tEENKUlT_SE_SF_SG_E_clIS8_S8_S9_S9_EESD_ST_SE_SF_SG_EUlST_E1_NS1_11comp_targetILNS1_3genE4ELNS1_11target_archE910ELNS1_3gpuE8ELNS1_3repE0EEENS1_36merge_oddeven_config_static_selectorELNS0_4arch9wavefront6targetE1EEEvSF_,@function
_ZN7rocprim17ROCPRIM_400000_NS6detail17trampoline_kernelINS0_14default_configENS1_38merge_sort_block_merge_config_selectorIxNS0_10empty_typeEEEZZNS1_27merge_sort_block_merge_implIS3_PxPS5_jNS1_19radix_merge_compareILb0ELb0ExNS0_19identity_decomposerEEEEE10hipError_tT0_T1_T2_jT3_P12ihipStream_tbPNSt15iterator_traitsISE_E10value_typeEPNSK_ISF_E10value_typeEPSG_NS1_7vsmem_tEENKUlT_SE_SF_SG_E_clIS8_S8_S9_S9_EESD_ST_SE_SF_SG_EUlST_E1_NS1_11comp_targetILNS1_3genE4ELNS1_11target_archE910ELNS1_3gpuE8ELNS1_3repE0EEENS1_36merge_oddeven_config_static_selectorELNS0_4arch9wavefront6targetE1EEEvSF_: ; @_ZN7rocprim17ROCPRIM_400000_NS6detail17trampoline_kernelINS0_14default_configENS1_38merge_sort_block_merge_config_selectorIxNS0_10empty_typeEEEZZNS1_27merge_sort_block_merge_implIS3_PxPS5_jNS1_19radix_merge_compareILb0ELb0ExNS0_19identity_decomposerEEEEE10hipError_tT0_T1_T2_jT3_P12ihipStream_tbPNSt15iterator_traitsISE_E10value_typeEPNSK_ISF_E10value_typeEPSG_NS1_7vsmem_tEENKUlT_SE_SF_SG_E_clIS8_S8_S9_S9_EESD_ST_SE_SF_SG_EUlST_E1_NS1_11comp_targetILNS1_3genE4ELNS1_11target_archE910ELNS1_3gpuE8ELNS1_3repE0EEENS1_36merge_oddeven_config_static_selectorELNS0_4arch9wavefront6targetE1EEEvSF_
; %bb.0:
	s_load_dword s18, s[4:5], 0x20
	s_waitcnt lgkmcnt(0)
	s_lshr_b32 s0, s18, 8
	s_cmp_lg_u32 s6, s0
	s_cselect_b64 s[14:15], -1, 0
	s_cmp_eq_u32 s6, s0
	s_cselect_b64 s[12:13], -1, 0
	s_lshl_b32 s16, s6, 8
	s_sub_i32 s0, s18, s16
	v_cmp_gt_u32_e64 s[2:3], s0, v0
	s_or_b64 s[0:1], s[14:15], s[2:3]
	s_and_saveexec_b64 s[8:9], s[0:1]
	s_cbranch_execz .LBB1035_20
; %bb.1:
	s_load_dwordx4 s[8:11], s[4:5], 0x0
	s_load_dword s19, s[4:5], 0x24
	s_mov_b32 s17, 0
	s_lshl_b64 s[0:1], s[16:17], 3
	v_lshlrev_b32_e32 v1, 3, v0
	s_waitcnt lgkmcnt(0)
	s_add_u32 s0, s8, s0
	s_addc_u32 s1, s9, s1
	global_load_dwordx2 v[2:3], v1, s[0:1]
	s_lshr_b32 s0, s19, 8
	s_sub_i32 s1, 0, s0
	s_and_b32 s1, s6, s1
	s_and_b32 s0, s1, s0
	s_lshl_b32 s20, s1, 8
	s_sub_i32 s6, 0, s19
	s_cmp_eq_u32 s0, 0
	s_cselect_b64 s[0:1], -1, 0
	s_and_b64 s[4:5], s[0:1], exec
	s_cselect_b32 s17, s19, s6
	s_add_i32 s17, s17, s20
	s_cmp_lt_u32 s17, s18
	v_add_u32_e32 v0, s16, v0
	s_cbranch_scc1 .LBB1035_3
; %bb.2:
	v_cmp_gt_u32_e32 vcc, s18, v0
	s_or_b64 s[4:5], vcc, s[14:15]
	s_and_b64 s[4:5], s[4:5], exec
	s_cbranch_execz .LBB1035_4
	s_branch .LBB1035_18
.LBB1035_3:
	s_mov_b64 s[4:5], 0
.LBB1035_4:
	s_min_u32 s14, s17, s18
	s_add_i32 s6, s14, s19
	s_min_u32 s15, s6, s18
	s_min_u32 s6, s20, s14
	s_add_i32 s20, s20, s14
	v_subrev_u32_e32 v0, s20, v0
	v_add_u32_e32 v4, s6, v0
	s_and_b64 vcc, exec, s[12:13]
	s_cbranch_vccz .LBB1035_12
; %bb.5:
                                        ; implicit-def: $vgpr0
	s_and_saveexec_b64 s[6:7], s[2:3]
	s_cbranch_execz .LBB1035_11
; %bb.6:
	s_cmp_ge_u32 s17, s15
	v_mov_b32_e32 v5, s14
	s_cbranch_scc1 .LBB1035_10
; %bb.7:
	s_mov_b64 s[2:3], 0
	v_mov_b32_e32 v6, s15
	v_mov_b32_e32 v5, s14
	;; [unrolled: 1-line block ×4, first 2 shown]
.LBB1035_8:                             ; =>This Inner Loop Header: Depth=1
	v_add_u32_e32 v0, v5, v6
	v_lshrrev_b32_e32 v0, 1, v0
	v_lshlrev_b64 v[8:9], 3, v[0:1]
	v_add_co_u32_e32 v8, vcc, s8, v8
	v_addc_co_u32_e32 v9, vcc, v7, v9, vcc
	global_load_dwordx2 v[8:9], v[8:9], off
	v_add_u32_e32 v10, 1, v0
	s_waitcnt vmcnt(0)
	v_cmp_gt_i64_e32 vcc, v[2:3], v[8:9]
	v_cndmask_b32_e64 v11, 0, 1, vcc
	v_cmp_le_i64_e32 vcc, v[8:9], v[2:3]
	v_cndmask_b32_e64 v8, 0, 1, vcc
	v_cndmask_b32_e64 v8, v8, v11, s[0:1]
	v_and_b32_e32 v8, 1, v8
	v_cmp_eq_u32_e32 vcc, 1, v8
	v_cndmask_b32_e32 v6, v0, v6, vcc
	v_cndmask_b32_e32 v5, v5, v10, vcc
	v_cmp_ge_u32_e32 vcc, v5, v6
	s_or_b64 s[2:3], vcc, s[2:3]
	s_andn2_b64 exec, exec, s[2:3]
	s_cbranch_execnz .LBB1035_8
; %bb.9:
	s_or_b64 exec, exec, s[2:3]
.LBB1035_10:
	v_add_u32_e32 v0, v5, v4
	s_or_b64 s[4:5], s[4:5], exec
.LBB1035_11:
	s_or_b64 exec, exec, s[6:7]
	s_branch .LBB1035_18
.LBB1035_12:
                                        ; implicit-def: $vgpr0
	s_cbranch_execz .LBB1035_18
; %bb.13:
	s_cmp_ge_u32 s17, s15
	v_mov_b32_e32 v5, s14
	s_cbranch_scc1 .LBB1035_17
; %bb.14:
	s_mov_b64 s[2:3], 0
	v_mov_b32_e32 v6, s15
	v_mov_b32_e32 v5, s14
	;; [unrolled: 1-line block ×4, first 2 shown]
.LBB1035_15:                            ; =>This Inner Loop Header: Depth=1
	v_add_u32_e32 v0, v5, v6
	v_lshrrev_b32_e32 v0, 1, v0
	v_lshlrev_b64 v[8:9], 3, v[0:1]
	v_add_co_u32_e32 v8, vcc, s8, v8
	v_addc_co_u32_e32 v9, vcc, v7, v9, vcc
	global_load_dwordx2 v[8:9], v[8:9], off
	v_add_u32_e32 v10, 1, v0
	s_waitcnt vmcnt(0)
	v_cmp_gt_i64_e32 vcc, v[2:3], v[8:9]
	v_cndmask_b32_e64 v11, 0, 1, vcc
	v_cmp_le_i64_e32 vcc, v[8:9], v[2:3]
	v_cndmask_b32_e64 v8, 0, 1, vcc
	v_cndmask_b32_e64 v8, v8, v11, s[0:1]
	v_and_b32_e32 v8, 1, v8
	v_cmp_eq_u32_e32 vcc, 1, v8
	v_cndmask_b32_e32 v6, v0, v6, vcc
	v_cndmask_b32_e32 v5, v5, v10, vcc
	v_cmp_ge_u32_e32 vcc, v5, v6
	s_or_b64 s[2:3], vcc, s[2:3]
	s_andn2_b64 exec, exec, s[2:3]
	s_cbranch_execnz .LBB1035_15
; %bb.16:
	s_or_b64 exec, exec, s[2:3]
.LBB1035_17:
	v_add_u32_e32 v0, v5, v4
	s_mov_b64 s[4:5], -1
.LBB1035_18:
	s_and_b64 exec, exec, s[4:5]
	s_cbranch_execz .LBB1035_20
; %bb.19:
	v_mov_b32_e32 v1, 0
	v_lshlrev_b64 v[0:1], 3, v[0:1]
	v_mov_b32_e32 v4, s11
	v_add_co_u32_e32 v0, vcc, s10, v0
	v_addc_co_u32_e32 v1, vcc, v4, v1, vcc
	s_waitcnt vmcnt(0)
	global_store_dwordx2 v[0:1], v[2:3], off
.LBB1035_20:
	s_endpgm
	.section	.rodata,"a",@progbits
	.p2align	6, 0x0
	.amdhsa_kernel _ZN7rocprim17ROCPRIM_400000_NS6detail17trampoline_kernelINS0_14default_configENS1_38merge_sort_block_merge_config_selectorIxNS0_10empty_typeEEEZZNS1_27merge_sort_block_merge_implIS3_PxPS5_jNS1_19radix_merge_compareILb0ELb0ExNS0_19identity_decomposerEEEEE10hipError_tT0_T1_T2_jT3_P12ihipStream_tbPNSt15iterator_traitsISE_E10value_typeEPNSK_ISF_E10value_typeEPSG_NS1_7vsmem_tEENKUlT_SE_SF_SG_E_clIS8_S8_S9_S9_EESD_ST_SE_SF_SG_EUlST_E1_NS1_11comp_targetILNS1_3genE4ELNS1_11target_archE910ELNS1_3gpuE8ELNS1_3repE0EEENS1_36merge_oddeven_config_static_selectorELNS0_4arch9wavefront6targetE1EEEvSF_
		.amdhsa_group_segment_fixed_size 0
		.amdhsa_private_segment_fixed_size 0
		.amdhsa_kernarg_size 48
		.amdhsa_user_sgpr_count 6
		.amdhsa_user_sgpr_private_segment_buffer 1
		.amdhsa_user_sgpr_dispatch_ptr 0
		.amdhsa_user_sgpr_queue_ptr 0
		.amdhsa_user_sgpr_kernarg_segment_ptr 1
		.amdhsa_user_sgpr_dispatch_id 0
		.amdhsa_user_sgpr_flat_scratch_init 0
		.amdhsa_user_sgpr_kernarg_preload_length 0
		.amdhsa_user_sgpr_kernarg_preload_offset 0
		.amdhsa_user_sgpr_private_segment_size 0
		.amdhsa_uses_dynamic_stack 0
		.amdhsa_system_sgpr_private_segment_wavefront_offset 0
		.amdhsa_system_sgpr_workgroup_id_x 1
		.amdhsa_system_sgpr_workgroup_id_y 0
		.amdhsa_system_sgpr_workgroup_id_z 0
		.amdhsa_system_sgpr_workgroup_info 0
		.amdhsa_system_vgpr_workitem_id 0
		.amdhsa_next_free_vgpr 12
		.amdhsa_next_free_sgpr 21
		.amdhsa_accum_offset 12
		.amdhsa_reserve_vcc 1
		.amdhsa_reserve_flat_scratch 0
		.amdhsa_float_round_mode_32 0
		.amdhsa_float_round_mode_16_64 0
		.amdhsa_float_denorm_mode_32 3
		.amdhsa_float_denorm_mode_16_64 3
		.amdhsa_dx10_clamp 1
		.amdhsa_ieee_mode 1
		.amdhsa_fp16_overflow 0
		.amdhsa_tg_split 0
		.amdhsa_exception_fp_ieee_invalid_op 0
		.amdhsa_exception_fp_denorm_src 0
		.amdhsa_exception_fp_ieee_div_zero 0
		.amdhsa_exception_fp_ieee_overflow 0
		.amdhsa_exception_fp_ieee_underflow 0
		.amdhsa_exception_fp_ieee_inexact 0
		.amdhsa_exception_int_div_zero 0
	.end_amdhsa_kernel
	.section	.text._ZN7rocprim17ROCPRIM_400000_NS6detail17trampoline_kernelINS0_14default_configENS1_38merge_sort_block_merge_config_selectorIxNS0_10empty_typeEEEZZNS1_27merge_sort_block_merge_implIS3_PxPS5_jNS1_19radix_merge_compareILb0ELb0ExNS0_19identity_decomposerEEEEE10hipError_tT0_T1_T2_jT3_P12ihipStream_tbPNSt15iterator_traitsISE_E10value_typeEPNSK_ISF_E10value_typeEPSG_NS1_7vsmem_tEENKUlT_SE_SF_SG_E_clIS8_S8_S9_S9_EESD_ST_SE_SF_SG_EUlST_E1_NS1_11comp_targetILNS1_3genE4ELNS1_11target_archE910ELNS1_3gpuE8ELNS1_3repE0EEENS1_36merge_oddeven_config_static_selectorELNS0_4arch9wavefront6targetE1EEEvSF_,"axG",@progbits,_ZN7rocprim17ROCPRIM_400000_NS6detail17trampoline_kernelINS0_14default_configENS1_38merge_sort_block_merge_config_selectorIxNS0_10empty_typeEEEZZNS1_27merge_sort_block_merge_implIS3_PxPS5_jNS1_19radix_merge_compareILb0ELb0ExNS0_19identity_decomposerEEEEE10hipError_tT0_T1_T2_jT3_P12ihipStream_tbPNSt15iterator_traitsISE_E10value_typeEPNSK_ISF_E10value_typeEPSG_NS1_7vsmem_tEENKUlT_SE_SF_SG_E_clIS8_S8_S9_S9_EESD_ST_SE_SF_SG_EUlST_E1_NS1_11comp_targetILNS1_3genE4ELNS1_11target_archE910ELNS1_3gpuE8ELNS1_3repE0EEENS1_36merge_oddeven_config_static_selectorELNS0_4arch9wavefront6targetE1EEEvSF_,comdat
.Lfunc_end1035:
	.size	_ZN7rocprim17ROCPRIM_400000_NS6detail17trampoline_kernelINS0_14default_configENS1_38merge_sort_block_merge_config_selectorIxNS0_10empty_typeEEEZZNS1_27merge_sort_block_merge_implIS3_PxPS5_jNS1_19radix_merge_compareILb0ELb0ExNS0_19identity_decomposerEEEEE10hipError_tT0_T1_T2_jT3_P12ihipStream_tbPNSt15iterator_traitsISE_E10value_typeEPNSK_ISF_E10value_typeEPSG_NS1_7vsmem_tEENKUlT_SE_SF_SG_E_clIS8_S8_S9_S9_EESD_ST_SE_SF_SG_EUlST_E1_NS1_11comp_targetILNS1_3genE4ELNS1_11target_archE910ELNS1_3gpuE8ELNS1_3repE0EEENS1_36merge_oddeven_config_static_selectorELNS0_4arch9wavefront6targetE1EEEvSF_, .Lfunc_end1035-_ZN7rocprim17ROCPRIM_400000_NS6detail17trampoline_kernelINS0_14default_configENS1_38merge_sort_block_merge_config_selectorIxNS0_10empty_typeEEEZZNS1_27merge_sort_block_merge_implIS3_PxPS5_jNS1_19radix_merge_compareILb0ELb0ExNS0_19identity_decomposerEEEEE10hipError_tT0_T1_T2_jT3_P12ihipStream_tbPNSt15iterator_traitsISE_E10value_typeEPNSK_ISF_E10value_typeEPSG_NS1_7vsmem_tEENKUlT_SE_SF_SG_E_clIS8_S8_S9_S9_EESD_ST_SE_SF_SG_EUlST_E1_NS1_11comp_targetILNS1_3genE4ELNS1_11target_archE910ELNS1_3gpuE8ELNS1_3repE0EEENS1_36merge_oddeven_config_static_selectorELNS0_4arch9wavefront6targetE1EEEvSF_
                                        ; -- End function
	.section	.AMDGPU.csdata,"",@progbits
; Kernel info:
; codeLenInByte = 588
; NumSgprs: 25
; NumVgprs: 12
; NumAgprs: 0
; TotalNumVgprs: 12
; ScratchSize: 0
; MemoryBound: 0
; FloatMode: 240
; IeeeMode: 1
; LDSByteSize: 0 bytes/workgroup (compile time only)
; SGPRBlocks: 3
; VGPRBlocks: 1
; NumSGPRsForWavesPerEU: 25
; NumVGPRsForWavesPerEU: 12
; AccumOffset: 12
; Occupancy: 8
; WaveLimiterHint : 0
; COMPUTE_PGM_RSRC2:SCRATCH_EN: 0
; COMPUTE_PGM_RSRC2:USER_SGPR: 6
; COMPUTE_PGM_RSRC2:TRAP_HANDLER: 0
; COMPUTE_PGM_RSRC2:TGID_X_EN: 1
; COMPUTE_PGM_RSRC2:TGID_Y_EN: 0
; COMPUTE_PGM_RSRC2:TGID_Z_EN: 0
; COMPUTE_PGM_RSRC2:TIDIG_COMP_CNT: 0
; COMPUTE_PGM_RSRC3_GFX90A:ACCUM_OFFSET: 2
; COMPUTE_PGM_RSRC3_GFX90A:TG_SPLIT: 0
	.section	.text._ZN7rocprim17ROCPRIM_400000_NS6detail17trampoline_kernelINS0_14default_configENS1_38merge_sort_block_merge_config_selectorIxNS0_10empty_typeEEEZZNS1_27merge_sort_block_merge_implIS3_PxPS5_jNS1_19radix_merge_compareILb0ELb0ExNS0_19identity_decomposerEEEEE10hipError_tT0_T1_T2_jT3_P12ihipStream_tbPNSt15iterator_traitsISE_E10value_typeEPNSK_ISF_E10value_typeEPSG_NS1_7vsmem_tEENKUlT_SE_SF_SG_E_clIS8_S8_S9_S9_EESD_ST_SE_SF_SG_EUlST_E1_NS1_11comp_targetILNS1_3genE3ELNS1_11target_archE908ELNS1_3gpuE7ELNS1_3repE0EEENS1_36merge_oddeven_config_static_selectorELNS0_4arch9wavefront6targetE1EEEvSF_,"axG",@progbits,_ZN7rocprim17ROCPRIM_400000_NS6detail17trampoline_kernelINS0_14default_configENS1_38merge_sort_block_merge_config_selectorIxNS0_10empty_typeEEEZZNS1_27merge_sort_block_merge_implIS3_PxPS5_jNS1_19radix_merge_compareILb0ELb0ExNS0_19identity_decomposerEEEEE10hipError_tT0_T1_T2_jT3_P12ihipStream_tbPNSt15iterator_traitsISE_E10value_typeEPNSK_ISF_E10value_typeEPSG_NS1_7vsmem_tEENKUlT_SE_SF_SG_E_clIS8_S8_S9_S9_EESD_ST_SE_SF_SG_EUlST_E1_NS1_11comp_targetILNS1_3genE3ELNS1_11target_archE908ELNS1_3gpuE7ELNS1_3repE0EEENS1_36merge_oddeven_config_static_selectorELNS0_4arch9wavefront6targetE1EEEvSF_,comdat
	.protected	_ZN7rocprim17ROCPRIM_400000_NS6detail17trampoline_kernelINS0_14default_configENS1_38merge_sort_block_merge_config_selectorIxNS0_10empty_typeEEEZZNS1_27merge_sort_block_merge_implIS3_PxPS5_jNS1_19radix_merge_compareILb0ELb0ExNS0_19identity_decomposerEEEEE10hipError_tT0_T1_T2_jT3_P12ihipStream_tbPNSt15iterator_traitsISE_E10value_typeEPNSK_ISF_E10value_typeEPSG_NS1_7vsmem_tEENKUlT_SE_SF_SG_E_clIS8_S8_S9_S9_EESD_ST_SE_SF_SG_EUlST_E1_NS1_11comp_targetILNS1_3genE3ELNS1_11target_archE908ELNS1_3gpuE7ELNS1_3repE0EEENS1_36merge_oddeven_config_static_selectorELNS0_4arch9wavefront6targetE1EEEvSF_ ; -- Begin function _ZN7rocprim17ROCPRIM_400000_NS6detail17trampoline_kernelINS0_14default_configENS1_38merge_sort_block_merge_config_selectorIxNS0_10empty_typeEEEZZNS1_27merge_sort_block_merge_implIS3_PxPS5_jNS1_19radix_merge_compareILb0ELb0ExNS0_19identity_decomposerEEEEE10hipError_tT0_T1_T2_jT3_P12ihipStream_tbPNSt15iterator_traitsISE_E10value_typeEPNSK_ISF_E10value_typeEPSG_NS1_7vsmem_tEENKUlT_SE_SF_SG_E_clIS8_S8_S9_S9_EESD_ST_SE_SF_SG_EUlST_E1_NS1_11comp_targetILNS1_3genE3ELNS1_11target_archE908ELNS1_3gpuE7ELNS1_3repE0EEENS1_36merge_oddeven_config_static_selectorELNS0_4arch9wavefront6targetE1EEEvSF_
	.globl	_ZN7rocprim17ROCPRIM_400000_NS6detail17trampoline_kernelINS0_14default_configENS1_38merge_sort_block_merge_config_selectorIxNS0_10empty_typeEEEZZNS1_27merge_sort_block_merge_implIS3_PxPS5_jNS1_19radix_merge_compareILb0ELb0ExNS0_19identity_decomposerEEEEE10hipError_tT0_T1_T2_jT3_P12ihipStream_tbPNSt15iterator_traitsISE_E10value_typeEPNSK_ISF_E10value_typeEPSG_NS1_7vsmem_tEENKUlT_SE_SF_SG_E_clIS8_S8_S9_S9_EESD_ST_SE_SF_SG_EUlST_E1_NS1_11comp_targetILNS1_3genE3ELNS1_11target_archE908ELNS1_3gpuE7ELNS1_3repE0EEENS1_36merge_oddeven_config_static_selectorELNS0_4arch9wavefront6targetE1EEEvSF_
	.p2align	8
	.type	_ZN7rocprim17ROCPRIM_400000_NS6detail17trampoline_kernelINS0_14default_configENS1_38merge_sort_block_merge_config_selectorIxNS0_10empty_typeEEEZZNS1_27merge_sort_block_merge_implIS3_PxPS5_jNS1_19radix_merge_compareILb0ELb0ExNS0_19identity_decomposerEEEEE10hipError_tT0_T1_T2_jT3_P12ihipStream_tbPNSt15iterator_traitsISE_E10value_typeEPNSK_ISF_E10value_typeEPSG_NS1_7vsmem_tEENKUlT_SE_SF_SG_E_clIS8_S8_S9_S9_EESD_ST_SE_SF_SG_EUlST_E1_NS1_11comp_targetILNS1_3genE3ELNS1_11target_archE908ELNS1_3gpuE7ELNS1_3repE0EEENS1_36merge_oddeven_config_static_selectorELNS0_4arch9wavefront6targetE1EEEvSF_,@function
_ZN7rocprim17ROCPRIM_400000_NS6detail17trampoline_kernelINS0_14default_configENS1_38merge_sort_block_merge_config_selectorIxNS0_10empty_typeEEEZZNS1_27merge_sort_block_merge_implIS3_PxPS5_jNS1_19radix_merge_compareILb0ELb0ExNS0_19identity_decomposerEEEEE10hipError_tT0_T1_T2_jT3_P12ihipStream_tbPNSt15iterator_traitsISE_E10value_typeEPNSK_ISF_E10value_typeEPSG_NS1_7vsmem_tEENKUlT_SE_SF_SG_E_clIS8_S8_S9_S9_EESD_ST_SE_SF_SG_EUlST_E1_NS1_11comp_targetILNS1_3genE3ELNS1_11target_archE908ELNS1_3gpuE7ELNS1_3repE0EEENS1_36merge_oddeven_config_static_selectorELNS0_4arch9wavefront6targetE1EEEvSF_: ; @_ZN7rocprim17ROCPRIM_400000_NS6detail17trampoline_kernelINS0_14default_configENS1_38merge_sort_block_merge_config_selectorIxNS0_10empty_typeEEEZZNS1_27merge_sort_block_merge_implIS3_PxPS5_jNS1_19radix_merge_compareILb0ELb0ExNS0_19identity_decomposerEEEEE10hipError_tT0_T1_T2_jT3_P12ihipStream_tbPNSt15iterator_traitsISE_E10value_typeEPNSK_ISF_E10value_typeEPSG_NS1_7vsmem_tEENKUlT_SE_SF_SG_E_clIS8_S8_S9_S9_EESD_ST_SE_SF_SG_EUlST_E1_NS1_11comp_targetILNS1_3genE3ELNS1_11target_archE908ELNS1_3gpuE7ELNS1_3repE0EEENS1_36merge_oddeven_config_static_selectorELNS0_4arch9wavefront6targetE1EEEvSF_
; %bb.0:
	.section	.rodata,"a",@progbits
	.p2align	6, 0x0
	.amdhsa_kernel _ZN7rocprim17ROCPRIM_400000_NS6detail17trampoline_kernelINS0_14default_configENS1_38merge_sort_block_merge_config_selectorIxNS0_10empty_typeEEEZZNS1_27merge_sort_block_merge_implIS3_PxPS5_jNS1_19radix_merge_compareILb0ELb0ExNS0_19identity_decomposerEEEEE10hipError_tT0_T1_T2_jT3_P12ihipStream_tbPNSt15iterator_traitsISE_E10value_typeEPNSK_ISF_E10value_typeEPSG_NS1_7vsmem_tEENKUlT_SE_SF_SG_E_clIS8_S8_S9_S9_EESD_ST_SE_SF_SG_EUlST_E1_NS1_11comp_targetILNS1_3genE3ELNS1_11target_archE908ELNS1_3gpuE7ELNS1_3repE0EEENS1_36merge_oddeven_config_static_selectorELNS0_4arch9wavefront6targetE1EEEvSF_
		.amdhsa_group_segment_fixed_size 0
		.amdhsa_private_segment_fixed_size 0
		.amdhsa_kernarg_size 48
		.amdhsa_user_sgpr_count 6
		.amdhsa_user_sgpr_private_segment_buffer 1
		.amdhsa_user_sgpr_dispatch_ptr 0
		.amdhsa_user_sgpr_queue_ptr 0
		.amdhsa_user_sgpr_kernarg_segment_ptr 1
		.amdhsa_user_sgpr_dispatch_id 0
		.amdhsa_user_sgpr_flat_scratch_init 0
		.amdhsa_user_sgpr_kernarg_preload_length 0
		.amdhsa_user_sgpr_kernarg_preload_offset 0
		.amdhsa_user_sgpr_private_segment_size 0
		.amdhsa_uses_dynamic_stack 0
		.amdhsa_system_sgpr_private_segment_wavefront_offset 0
		.amdhsa_system_sgpr_workgroup_id_x 1
		.amdhsa_system_sgpr_workgroup_id_y 0
		.amdhsa_system_sgpr_workgroup_id_z 0
		.amdhsa_system_sgpr_workgroup_info 0
		.amdhsa_system_vgpr_workitem_id 0
		.amdhsa_next_free_vgpr 1
		.amdhsa_next_free_sgpr 0
		.amdhsa_accum_offset 4
		.amdhsa_reserve_vcc 0
		.amdhsa_reserve_flat_scratch 0
		.amdhsa_float_round_mode_32 0
		.amdhsa_float_round_mode_16_64 0
		.amdhsa_float_denorm_mode_32 3
		.amdhsa_float_denorm_mode_16_64 3
		.amdhsa_dx10_clamp 1
		.amdhsa_ieee_mode 1
		.amdhsa_fp16_overflow 0
		.amdhsa_tg_split 0
		.amdhsa_exception_fp_ieee_invalid_op 0
		.amdhsa_exception_fp_denorm_src 0
		.amdhsa_exception_fp_ieee_div_zero 0
		.amdhsa_exception_fp_ieee_overflow 0
		.amdhsa_exception_fp_ieee_underflow 0
		.amdhsa_exception_fp_ieee_inexact 0
		.amdhsa_exception_int_div_zero 0
	.end_amdhsa_kernel
	.section	.text._ZN7rocprim17ROCPRIM_400000_NS6detail17trampoline_kernelINS0_14default_configENS1_38merge_sort_block_merge_config_selectorIxNS0_10empty_typeEEEZZNS1_27merge_sort_block_merge_implIS3_PxPS5_jNS1_19radix_merge_compareILb0ELb0ExNS0_19identity_decomposerEEEEE10hipError_tT0_T1_T2_jT3_P12ihipStream_tbPNSt15iterator_traitsISE_E10value_typeEPNSK_ISF_E10value_typeEPSG_NS1_7vsmem_tEENKUlT_SE_SF_SG_E_clIS8_S8_S9_S9_EESD_ST_SE_SF_SG_EUlST_E1_NS1_11comp_targetILNS1_3genE3ELNS1_11target_archE908ELNS1_3gpuE7ELNS1_3repE0EEENS1_36merge_oddeven_config_static_selectorELNS0_4arch9wavefront6targetE1EEEvSF_,"axG",@progbits,_ZN7rocprim17ROCPRIM_400000_NS6detail17trampoline_kernelINS0_14default_configENS1_38merge_sort_block_merge_config_selectorIxNS0_10empty_typeEEEZZNS1_27merge_sort_block_merge_implIS3_PxPS5_jNS1_19radix_merge_compareILb0ELb0ExNS0_19identity_decomposerEEEEE10hipError_tT0_T1_T2_jT3_P12ihipStream_tbPNSt15iterator_traitsISE_E10value_typeEPNSK_ISF_E10value_typeEPSG_NS1_7vsmem_tEENKUlT_SE_SF_SG_E_clIS8_S8_S9_S9_EESD_ST_SE_SF_SG_EUlST_E1_NS1_11comp_targetILNS1_3genE3ELNS1_11target_archE908ELNS1_3gpuE7ELNS1_3repE0EEENS1_36merge_oddeven_config_static_selectorELNS0_4arch9wavefront6targetE1EEEvSF_,comdat
.Lfunc_end1036:
	.size	_ZN7rocprim17ROCPRIM_400000_NS6detail17trampoline_kernelINS0_14default_configENS1_38merge_sort_block_merge_config_selectorIxNS0_10empty_typeEEEZZNS1_27merge_sort_block_merge_implIS3_PxPS5_jNS1_19radix_merge_compareILb0ELb0ExNS0_19identity_decomposerEEEEE10hipError_tT0_T1_T2_jT3_P12ihipStream_tbPNSt15iterator_traitsISE_E10value_typeEPNSK_ISF_E10value_typeEPSG_NS1_7vsmem_tEENKUlT_SE_SF_SG_E_clIS8_S8_S9_S9_EESD_ST_SE_SF_SG_EUlST_E1_NS1_11comp_targetILNS1_3genE3ELNS1_11target_archE908ELNS1_3gpuE7ELNS1_3repE0EEENS1_36merge_oddeven_config_static_selectorELNS0_4arch9wavefront6targetE1EEEvSF_, .Lfunc_end1036-_ZN7rocprim17ROCPRIM_400000_NS6detail17trampoline_kernelINS0_14default_configENS1_38merge_sort_block_merge_config_selectorIxNS0_10empty_typeEEEZZNS1_27merge_sort_block_merge_implIS3_PxPS5_jNS1_19radix_merge_compareILb0ELb0ExNS0_19identity_decomposerEEEEE10hipError_tT0_T1_T2_jT3_P12ihipStream_tbPNSt15iterator_traitsISE_E10value_typeEPNSK_ISF_E10value_typeEPSG_NS1_7vsmem_tEENKUlT_SE_SF_SG_E_clIS8_S8_S9_S9_EESD_ST_SE_SF_SG_EUlST_E1_NS1_11comp_targetILNS1_3genE3ELNS1_11target_archE908ELNS1_3gpuE7ELNS1_3repE0EEENS1_36merge_oddeven_config_static_selectorELNS0_4arch9wavefront6targetE1EEEvSF_
                                        ; -- End function
	.section	.AMDGPU.csdata,"",@progbits
; Kernel info:
; codeLenInByte = 0
; NumSgprs: 4
; NumVgprs: 0
; NumAgprs: 0
; TotalNumVgprs: 0
; ScratchSize: 0
; MemoryBound: 0
; FloatMode: 240
; IeeeMode: 1
; LDSByteSize: 0 bytes/workgroup (compile time only)
; SGPRBlocks: 0
; VGPRBlocks: 0
; NumSGPRsForWavesPerEU: 4
; NumVGPRsForWavesPerEU: 1
; AccumOffset: 4
; Occupancy: 8
; WaveLimiterHint : 0
; COMPUTE_PGM_RSRC2:SCRATCH_EN: 0
; COMPUTE_PGM_RSRC2:USER_SGPR: 6
; COMPUTE_PGM_RSRC2:TRAP_HANDLER: 0
; COMPUTE_PGM_RSRC2:TGID_X_EN: 1
; COMPUTE_PGM_RSRC2:TGID_Y_EN: 0
; COMPUTE_PGM_RSRC2:TGID_Z_EN: 0
; COMPUTE_PGM_RSRC2:TIDIG_COMP_CNT: 0
; COMPUTE_PGM_RSRC3_GFX90A:ACCUM_OFFSET: 0
; COMPUTE_PGM_RSRC3_GFX90A:TG_SPLIT: 0
	.section	.text._ZN7rocprim17ROCPRIM_400000_NS6detail17trampoline_kernelINS0_14default_configENS1_38merge_sort_block_merge_config_selectorIxNS0_10empty_typeEEEZZNS1_27merge_sort_block_merge_implIS3_PxPS5_jNS1_19radix_merge_compareILb0ELb0ExNS0_19identity_decomposerEEEEE10hipError_tT0_T1_T2_jT3_P12ihipStream_tbPNSt15iterator_traitsISE_E10value_typeEPNSK_ISF_E10value_typeEPSG_NS1_7vsmem_tEENKUlT_SE_SF_SG_E_clIS8_S8_S9_S9_EESD_ST_SE_SF_SG_EUlST_E1_NS1_11comp_targetILNS1_3genE2ELNS1_11target_archE906ELNS1_3gpuE6ELNS1_3repE0EEENS1_36merge_oddeven_config_static_selectorELNS0_4arch9wavefront6targetE1EEEvSF_,"axG",@progbits,_ZN7rocprim17ROCPRIM_400000_NS6detail17trampoline_kernelINS0_14default_configENS1_38merge_sort_block_merge_config_selectorIxNS0_10empty_typeEEEZZNS1_27merge_sort_block_merge_implIS3_PxPS5_jNS1_19radix_merge_compareILb0ELb0ExNS0_19identity_decomposerEEEEE10hipError_tT0_T1_T2_jT3_P12ihipStream_tbPNSt15iterator_traitsISE_E10value_typeEPNSK_ISF_E10value_typeEPSG_NS1_7vsmem_tEENKUlT_SE_SF_SG_E_clIS8_S8_S9_S9_EESD_ST_SE_SF_SG_EUlST_E1_NS1_11comp_targetILNS1_3genE2ELNS1_11target_archE906ELNS1_3gpuE6ELNS1_3repE0EEENS1_36merge_oddeven_config_static_selectorELNS0_4arch9wavefront6targetE1EEEvSF_,comdat
	.protected	_ZN7rocprim17ROCPRIM_400000_NS6detail17trampoline_kernelINS0_14default_configENS1_38merge_sort_block_merge_config_selectorIxNS0_10empty_typeEEEZZNS1_27merge_sort_block_merge_implIS3_PxPS5_jNS1_19radix_merge_compareILb0ELb0ExNS0_19identity_decomposerEEEEE10hipError_tT0_T1_T2_jT3_P12ihipStream_tbPNSt15iterator_traitsISE_E10value_typeEPNSK_ISF_E10value_typeEPSG_NS1_7vsmem_tEENKUlT_SE_SF_SG_E_clIS8_S8_S9_S9_EESD_ST_SE_SF_SG_EUlST_E1_NS1_11comp_targetILNS1_3genE2ELNS1_11target_archE906ELNS1_3gpuE6ELNS1_3repE0EEENS1_36merge_oddeven_config_static_selectorELNS0_4arch9wavefront6targetE1EEEvSF_ ; -- Begin function _ZN7rocprim17ROCPRIM_400000_NS6detail17trampoline_kernelINS0_14default_configENS1_38merge_sort_block_merge_config_selectorIxNS0_10empty_typeEEEZZNS1_27merge_sort_block_merge_implIS3_PxPS5_jNS1_19radix_merge_compareILb0ELb0ExNS0_19identity_decomposerEEEEE10hipError_tT0_T1_T2_jT3_P12ihipStream_tbPNSt15iterator_traitsISE_E10value_typeEPNSK_ISF_E10value_typeEPSG_NS1_7vsmem_tEENKUlT_SE_SF_SG_E_clIS8_S8_S9_S9_EESD_ST_SE_SF_SG_EUlST_E1_NS1_11comp_targetILNS1_3genE2ELNS1_11target_archE906ELNS1_3gpuE6ELNS1_3repE0EEENS1_36merge_oddeven_config_static_selectorELNS0_4arch9wavefront6targetE1EEEvSF_
	.globl	_ZN7rocprim17ROCPRIM_400000_NS6detail17trampoline_kernelINS0_14default_configENS1_38merge_sort_block_merge_config_selectorIxNS0_10empty_typeEEEZZNS1_27merge_sort_block_merge_implIS3_PxPS5_jNS1_19radix_merge_compareILb0ELb0ExNS0_19identity_decomposerEEEEE10hipError_tT0_T1_T2_jT3_P12ihipStream_tbPNSt15iterator_traitsISE_E10value_typeEPNSK_ISF_E10value_typeEPSG_NS1_7vsmem_tEENKUlT_SE_SF_SG_E_clIS8_S8_S9_S9_EESD_ST_SE_SF_SG_EUlST_E1_NS1_11comp_targetILNS1_3genE2ELNS1_11target_archE906ELNS1_3gpuE6ELNS1_3repE0EEENS1_36merge_oddeven_config_static_selectorELNS0_4arch9wavefront6targetE1EEEvSF_
	.p2align	8
	.type	_ZN7rocprim17ROCPRIM_400000_NS6detail17trampoline_kernelINS0_14default_configENS1_38merge_sort_block_merge_config_selectorIxNS0_10empty_typeEEEZZNS1_27merge_sort_block_merge_implIS3_PxPS5_jNS1_19radix_merge_compareILb0ELb0ExNS0_19identity_decomposerEEEEE10hipError_tT0_T1_T2_jT3_P12ihipStream_tbPNSt15iterator_traitsISE_E10value_typeEPNSK_ISF_E10value_typeEPSG_NS1_7vsmem_tEENKUlT_SE_SF_SG_E_clIS8_S8_S9_S9_EESD_ST_SE_SF_SG_EUlST_E1_NS1_11comp_targetILNS1_3genE2ELNS1_11target_archE906ELNS1_3gpuE6ELNS1_3repE0EEENS1_36merge_oddeven_config_static_selectorELNS0_4arch9wavefront6targetE1EEEvSF_,@function
_ZN7rocprim17ROCPRIM_400000_NS6detail17trampoline_kernelINS0_14default_configENS1_38merge_sort_block_merge_config_selectorIxNS0_10empty_typeEEEZZNS1_27merge_sort_block_merge_implIS3_PxPS5_jNS1_19radix_merge_compareILb0ELb0ExNS0_19identity_decomposerEEEEE10hipError_tT0_T1_T2_jT3_P12ihipStream_tbPNSt15iterator_traitsISE_E10value_typeEPNSK_ISF_E10value_typeEPSG_NS1_7vsmem_tEENKUlT_SE_SF_SG_E_clIS8_S8_S9_S9_EESD_ST_SE_SF_SG_EUlST_E1_NS1_11comp_targetILNS1_3genE2ELNS1_11target_archE906ELNS1_3gpuE6ELNS1_3repE0EEENS1_36merge_oddeven_config_static_selectorELNS0_4arch9wavefront6targetE1EEEvSF_: ; @_ZN7rocprim17ROCPRIM_400000_NS6detail17trampoline_kernelINS0_14default_configENS1_38merge_sort_block_merge_config_selectorIxNS0_10empty_typeEEEZZNS1_27merge_sort_block_merge_implIS3_PxPS5_jNS1_19radix_merge_compareILb0ELb0ExNS0_19identity_decomposerEEEEE10hipError_tT0_T1_T2_jT3_P12ihipStream_tbPNSt15iterator_traitsISE_E10value_typeEPNSK_ISF_E10value_typeEPSG_NS1_7vsmem_tEENKUlT_SE_SF_SG_E_clIS8_S8_S9_S9_EESD_ST_SE_SF_SG_EUlST_E1_NS1_11comp_targetILNS1_3genE2ELNS1_11target_archE906ELNS1_3gpuE6ELNS1_3repE0EEENS1_36merge_oddeven_config_static_selectorELNS0_4arch9wavefront6targetE1EEEvSF_
; %bb.0:
	.section	.rodata,"a",@progbits
	.p2align	6, 0x0
	.amdhsa_kernel _ZN7rocprim17ROCPRIM_400000_NS6detail17trampoline_kernelINS0_14default_configENS1_38merge_sort_block_merge_config_selectorIxNS0_10empty_typeEEEZZNS1_27merge_sort_block_merge_implIS3_PxPS5_jNS1_19radix_merge_compareILb0ELb0ExNS0_19identity_decomposerEEEEE10hipError_tT0_T1_T2_jT3_P12ihipStream_tbPNSt15iterator_traitsISE_E10value_typeEPNSK_ISF_E10value_typeEPSG_NS1_7vsmem_tEENKUlT_SE_SF_SG_E_clIS8_S8_S9_S9_EESD_ST_SE_SF_SG_EUlST_E1_NS1_11comp_targetILNS1_3genE2ELNS1_11target_archE906ELNS1_3gpuE6ELNS1_3repE0EEENS1_36merge_oddeven_config_static_selectorELNS0_4arch9wavefront6targetE1EEEvSF_
		.amdhsa_group_segment_fixed_size 0
		.amdhsa_private_segment_fixed_size 0
		.amdhsa_kernarg_size 48
		.amdhsa_user_sgpr_count 6
		.amdhsa_user_sgpr_private_segment_buffer 1
		.amdhsa_user_sgpr_dispatch_ptr 0
		.amdhsa_user_sgpr_queue_ptr 0
		.amdhsa_user_sgpr_kernarg_segment_ptr 1
		.amdhsa_user_sgpr_dispatch_id 0
		.amdhsa_user_sgpr_flat_scratch_init 0
		.amdhsa_user_sgpr_kernarg_preload_length 0
		.amdhsa_user_sgpr_kernarg_preload_offset 0
		.amdhsa_user_sgpr_private_segment_size 0
		.amdhsa_uses_dynamic_stack 0
		.amdhsa_system_sgpr_private_segment_wavefront_offset 0
		.amdhsa_system_sgpr_workgroup_id_x 1
		.amdhsa_system_sgpr_workgroup_id_y 0
		.amdhsa_system_sgpr_workgroup_id_z 0
		.amdhsa_system_sgpr_workgroup_info 0
		.amdhsa_system_vgpr_workitem_id 0
		.amdhsa_next_free_vgpr 1
		.amdhsa_next_free_sgpr 0
		.amdhsa_accum_offset 4
		.amdhsa_reserve_vcc 0
		.amdhsa_reserve_flat_scratch 0
		.amdhsa_float_round_mode_32 0
		.amdhsa_float_round_mode_16_64 0
		.amdhsa_float_denorm_mode_32 3
		.amdhsa_float_denorm_mode_16_64 3
		.amdhsa_dx10_clamp 1
		.amdhsa_ieee_mode 1
		.amdhsa_fp16_overflow 0
		.amdhsa_tg_split 0
		.amdhsa_exception_fp_ieee_invalid_op 0
		.amdhsa_exception_fp_denorm_src 0
		.amdhsa_exception_fp_ieee_div_zero 0
		.amdhsa_exception_fp_ieee_overflow 0
		.amdhsa_exception_fp_ieee_underflow 0
		.amdhsa_exception_fp_ieee_inexact 0
		.amdhsa_exception_int_div_zero 0
	.end_amdhsa_kernel
	.section	.text._ZN7rocprim17ROCPRIM_400000_NS6detail17trampoline_kernelINS0_14default_configENS1_38merge_sort_block_merge_config_selectorIxNS0_10empty_typeEEEZZNS1_27merge_sort_block_merge_implIS3_PxPS5_jNS1_19radix_merge_compareILb0ELb0ExNS0_19identity_decomposerEEEEE10hipError_tT0_T1_T2_jT3_P12ihipStream_tbPNSt15iterator_traitsISE_E10value_typeEPNSK_ISF_E10value_typeEPSG_NS1_7vsmem_tEENKUlT_SE_SF_SG_E_clIS8_S8_S9_S9_EESD_ST_SE_SF_SG_EUlST_E1_NS1_11comp_targetILNS1_3genE2ELNS1_11target_archE906ELNS1_3gpuE6ELNS1_3repE0EEENS1_36merge_oddeven_config_static_selectorELNS0_4arch9wavefront6targetE1EEEvSF_,"axG",@progbits,_ZN7rocprim17ROCPRIM_400000_NS6detail17trampoline_kernelINS0_14default_configENS1_38merge_sort_block_merge_config_selectorIxNS0_10empty_typeEEEZZNS1_27merge_sort_block_merge_implIS3_PxPS5_jNS1_19radix_merge_compareILb0ELb0ExNS0_19identity_decomposerEEEEE10hipError_tT0_T1_T2_jT3_P12ihipStream_tbPNSt15iterator_traitsISE_E10value_typeEPNSK_ISF_E10value_typeEPSG_NS1_7vsmem_tEENKUlT_SE_SF_SG_E_clIS8_S8_S9_S9_EESD_ST_SE_SF_SG_EUlST_E1_NS1_11comp_targetILNS1_3genE2ELNS1_11target_archE906ELNS1_3gpuE6ELNS1_3repE0EEENS1_36merge_oddeven_config_static_selectorELNS0_4arch9wavefront6targetE1EEEvSF_,comdat
.Lfunc_end1037:
	.size	_ZN7rocprim17ROCPRIM_400000_NS6detail17trampoline_kernelINS0_14default_configENS1_38merge_sort_block_merge_config_selectorIxNS0_10empty_typeEEEZZNS1_27merge_sort_block_merge_implIS3_PxPS5_jNS1_19radix_merge_compareILb0ELb0ExNS0_19identity_decomposerEEEEE10hipError_tT0_T1_T2_jT3_P12ihipStream_tbPNSt15iterator_traitsISE_E10value_typeEPNSK_ISF_E10value_typeEPSG_NS1_7vsmem_tEENKUlT_SE_SF_SG_E_clIS8_S8_S9_S9_EESD_ST_SE_SF_SG_EUlST_E1_NS1_11comp_targetILNS1_3genE2ELNS1_11target_archE906ELNS1_3gpuE6ELNS1_3repE0EEENS1_36merge_oddeven_config_static_selectorELNS0_4arch9wavefront6targetE1EEEvSF_, .Lfunc_end1037-_ZN7rocprim17ROCPRIM_400000_NS6detail17trampoline_kernelINS0_14default_configENS1_38merge_sort_block_merge_config_selectorIxNS0_10empty_typeEEEZZNS1_27merge_sort_block_merge_implIS3_PxPS5_jNS1_19radix_merge_compareILb0ELb0ExNS0_19identity_decomposerEEEEE10hipError_tT0_T1_T2_jT3_P12ihipStream_tbPNSt15iterator_traitsISE_E10value_typeEPNSK_ISF_E10value_typeEPSG_NS1_7vsmem_tEENKUlT_SE_SF_SG_E_clIS8_S8_S9_S9_EESD_ST_SE_SF_SG_EUlST_E1_NS1_11comp_targetILNS1_3genE2ELNS1_11target_archE906ELNS1_3gpuE6ELNS1_3repE0EEENS1_36merge_oddeven_config_static_selectorELNS0_4arch9wavefront6targetE1EEEvSF_
                                        ; -- End function
	.section	.AMDGPU.csdata,"",@progbits
; Kernel info:
; codeLenInByte = 0
; NumSgprs: 4
; NumVgprs: 0
; NumAgprs: 0
; TotalNumVgprs: 0
; ScratchSize: 0
; MemoryBound: 0
; FloatMode: 240
; IeeeMode: 1
; LDSByteSize: 0 bytes/workgroup (compile time only)
; SGPRBlocks: 0
; VGPRBlocks: 0
; NumSGPRsForWavesPerEU: 4
; NumVGPRsForWavesPerEU: 1
; AccumOffset: 4
; Occupancy: 8
; WaveLimiterHint : 0
; COMPUTE_PGM_RSRC2:SCRATCH_EN: 0
; COMPUTE_PGM_RSRC2:USER_SGPR: 6
; COMPUTE_PGM_RSRC2:TRAP_HANDLER: 0
; COMPUTE_PGM_RSRC2:TGID_X_EN: 1
; COMPUTE_PGM_RSRC2:TGID_Y_EN: 0
; COMPUTE_PGM_RSRC2:TGID_Z_EN: 0
; COMPUTE_PGM_RSRC2:TIDIG_COMP_CNT: 0
; COMPUTE_PGM_RSRC3_GFX90A:ACCUM_OFFSET: 0
; COMPUTE_PGM_RSRC3_GFX90A:TG_SPLIT: 0
	.section	.text._ZN7rocprim17ROCPRIM_400000_NS6detail17trampoline_kernelINS0_14default_configENS1_38merge_sort_block_merge_config_selectorIxNS0_10empty_typeEEEZZNS1_27merge_sort_block_merge_implIS3_PxPS5_jNS1_19radix_merge_compareILb0ELb0ExNS0_19identity_decomposerEEEEE10hipError_tT0_T1_T2_jT3_P12ihipStream_tbPNSt15iterator_traitsISE_E10value_typeEPNSK_ISF_E10value_typeEPSG_NS1_7vsmem_tEENKUlT_SE_SF_SG_E_clIS8_S8_S9_S9_EESD_ST_SE_SF_SG_EUlST_E1_NS1_11comp_targetILNS1_3genE9ELNS1_11target_archE1100ELNS1_3gpuE3ELNS1_3repE0EEENS1_36merge_oddeven_config_static_selectorELNS0_4arch9wavefront6targetE1EEEvSF_,"axG",@progbits,_ZN7rocprim17ROCPRIM_400000_NS6detail17trampoline_kernelINS0_14default_configENS1_38merge_sort_block_merge_config_selectorIxNS0_10empty_typeEEEZZNS1_27merge_sort_block_merge_implIS3_PxPS5_jNS1_19radix_merge_compareILb0ELb0ExNS0_19identity_decomposerEEEEE10hipError_tT0_T1_T2_jT3_P12ihipStream_tbPNSt15iterator_traitsISE_E10value_typeEPNSK_ISF_E10value_typeEPSG_NS1_7vsmem_tEENKUlT_SE_SF_SG_E_clIS8_S8_S9_S9_EESD_ST_SE_SF_SG_EUlST_E1_NS1_11comp_targetILNS1_3genE9ELNS1_11target_archE1100ELNS1_3gpuE3ELNS1_3repE0EEENS1_36merge_oddeven_config_static_selectorELNS0_4arch9wavefront6targetE1EEEvSF_,comdat
	.protected	_ZN7rocprim17ROCPRIM_400000_NS6detail17trampoline_kernelINS0_14default_configENS1_38merge_sort_block_merge_config_selectorIxNS0_10empty_typeEEEZZNS1_27merge_sort_block_merge_implIS3_PxPS5_jNS1_19radix_merge_compareILb0ELb0ExNS0_19identity_decomposerEEEEE10hipError_tT0_T1_T2_jT3_P12ihipStream_tbPNSt15iterator_traitsISE_E10value_typeEPNSK_ISF_E10value_typeEPSG_NS1_7vsmem_tEENKUlT_SE_SF_SG_E_clIS8_S8_S9_S9_EESD_ST_SE_SF_SG_EUlST_E1_NS1_11comp_targetILNS1_3genE9ELNS1_11target_archE1100ELNS1_3gpuE3ELNS1_3repE0EEENS1_36merge_oddeven_config_static_selectorELNS0_4arch9wavefront6targetE1EEEvSF_ ; -- Begin function _ZN7rocprim17ROCPRIM_400000_NS6detail17trampoline_kernelINS0_14default_configENS1_38merge_sort_block_merge_config_selectorIxNS0_10empty_typeEEEZZNS1_27merge_sort_block_merge_implIS3_PxPS5_jNS1_19radix_merge_compareILb0ELb0ExNS0_19identity_decomposerEEEEE10hipError_tT0_T1_T2_jT3_P12ihipStream_tbPNSt15iterator_traitsISE_E10value_typeEPNSK_ISF_E10value_typeEPSG_NS1_7vsmem_tEENKUlT_SE_SF_SG_E_clIS8_S8_S9_S9_EESD_ST_SE_SF_SG_EUlST_E1_NS1_11comp_targetILNS1_3genE9ELNS1_11target_archE1100ELNS1_3gpuE3ELNS1_3repE0EEENS1_36merge_oddeven_config_static_selectorELNS0_4arch9wavefront6targetE1EEEvSF_
	.globl	_ZN7rocprim17ROCPRIM_400000_NS6detail17trampoline_kernelINS0_14default_configENS1_38merge_sort_block_merge_config_selectorIxNS0_10empty_typeEEEZZNS1_27merge_sort_block_merge_implIS3_PxPS5_jNS1_19radix_merge_compareILb0ELb0ExNS0_19identity_decomposerEEEEE10hipError_tT0_T1_T2_jT3_P12ihipStream_tbPNSt15iterator_traitsISE_E10value_typeEPNSK_ISF_E10value_typeEPSG_NS1_7vsmem_tEENKUlT_SE_SF_SG_E_clIS8_S8_S9_S9_EESD_ST_SE_SF_SG_EUlST_E1_NS1_11comp_targetILNS1_3genE9ELNS1_11target_archE1100ELNS1_3gpuE3ELNS1_3repE0EEENS1_36merge_oddeven_config_static_selectorELNS0_4arch9wavefront6targetE1EEEvSF_
	.p2align	8
	.type	_ZN7rocprim17ROCPRIM_400000_NS6detail17trampoline_kernelINS0_14default_configENS1_38merge_sort_block_merge_config_selectorIxNS0_10empty_typeEEEZZNS1_27merge_sort_block_merge_implIS3_PxPS5_jNS1_19radix_merge_compareILb0ELb0ExNS0_19identity_decomposerEEEEE10hipError_tT0_T1_T2_jT3_P12ihipStream_tbPNSt15iterator_traitsISE_E10value_typeEPNSK_ISF_E10value_typeEPSG_NS1_7vsmem_tEENKUlT_SE_SF_SG_E_clIS8_S8_S9_S9_EESD_ST_SE_SF_SG_EUlST_E1_NS1_11comp_targetILNS1_3genE9ELNS1_11target_archE1100ELNS1_3gpuE3ELNS1_3repE0EEENS1_36merge_oddeven_config_static_selectorELNS0_4arch9wavefront6targetE1EEEvSF_,@function
_ZN7rocprim17ROCPRIM_400000_NS6detail17trampoline_kernelINS0_14default_configENS1_38merge_sort_block_merge_config_selectorIxNS0_10empty_typeEEEZZNS1_27merge_sort_block_merge_implIS3_PxPS5_jNS1_19radix_merge_compareILb0ELb0ExNS0_19identity_decomposerEEEEE10hipError_tT0_T1_T2_jT3_P12ihipStream_tbPNSt15iterator_traitsISE_E10value_typeEPNSK_ISF_E10value_typeEPSG_NS1_7vsmem_tEENKUlT_SE_SF_SG_E_clIS8_S8_S9_S9_EESD_ST_SE_SF_SG_EUlST_E1_NS1_11comp_targetILNS1_3genE9ELNS1_11target_archE1100ELNS1_3gpuE3ELNS1_3repE0EEENS1_36merge_oddeven_config_static_selectorELNS0_4arch9wavefront6targetE1EEEvSF_: ; @_ZN7rocprim17ROCPRIM_400000_NS6detail17trampoline_kernelINS0_14default_configENS1_38merge_sort_block_merge_config_selectorIxNS0_10empty_typeEEEZZNS1_27merge_sort_block_merge_implIS3_PxPS5_jNS1_19radix_merge_compareILb0ELb0ExNS0_19identity_decomposerEEEEE10hipError_tT0_T1_T2_jT3_P12ihipStream_tbPNSt15iterator_traitsISE_E10value_typeEPNSK_ISF_E10value_typeEPSG_NS1_7vsmem_tEENKUlT_SE_SF_SG_E_clIS8_S8_S9_S9_EESD_ST_SE_SF_SG_EUlST_E1_NS1_11comp_targetILNS1_3genE9ELNS1_11target_archE1100ELNS1_3gpuE3ELNS1_3repE0EEENS1_36merge_oddeven_config_static_selectorELNS0_4arch9wavefront6targetE1EEEvSF_
; %bb.0:
	.section	.rodata,"a",@progbits
	.p2align	6, 0x0
	.amdhsa_kernel _ZN7rocprim17ROCPRIM_400000_NS6detail17trampoline_kernelINS0_14default_configENS1_38merge_sort_block_merge_config_selectorIxNS0_10empty_typeEEEZZNS1_27merge_sort_block_merge_implIS3_PxPS5_jNS1_19radix_merge_compareILb0ELb0ExNS0_19identity_decomposerEEEEE10hipError_tT0_T1_T2_jT3_P12ihipStream_tbPNSt15iterator_traitsISE_E10value_typeEPNSK_ISF_E10value_typeEPSG_NS1_7vsmem_tEENKUlT_SE_SF_SG_E_clIS8_S8_S9_S9_EESD_ST_SE_SF_SG_EUlST_E1_NS1_11comp_targetILNS1_3genE9ELNS1_11target_archE1100ELNS1_3gpuE3ELNS1_3repE0EEENS1_36merge_oddeven_config_static_selectorELNS0_4arch9wavefront6targetE1EEEvSF_
		.amdhsa_group_segment_fixed_size 0
		.amdhsa_private_segment_fixed_size 0
		.amdhsa_kernarg_size 48
		.amdhsa_user_sgpr_count 6
		.amdhsa_user_sgpr_private_segment_buffer 1
		.amdhsa_user_sgpr_dispatch_ptr 0
		.amdhsa_user_sgpr_queue_ptr 0
		.amdhsa_user_sgpr_kernarg_segment_ptr 1
		.amdhsa_user_sgpr_dispatch_id 0
		.amdhsa_user_sgpr_flat_scratch_init 0
		.amdhsa_user_sgpr_kernarg_preload_length 0
		.amdhsa_user_sgpr_kernarg_preload_offset 0
		.amdhsa_user_sgpr_private_segment_size 0
		.amdhsa_uses_dynamic_stack 0
		.amdhsa_system_sgpr_private_segment_wavefront_offset 0
		.amdhsa_system_sgpr_workgroup_id_x 1
		.amdhsa_system_sgpr_workgroup_id_y 0
		.amdhsa_system_sgpr_workgroup_id_z 0
		.amdhsa_system_sgpr_workgroup_info 0
		.amdhsa_system_vgpr_workitem_id 0
		.amdhsa_next_free_vgpr 1
		.amdhsa_next_free_sgpr 0
		.amdhsa_accum_offset 4
		.amdhsa_reserve_vcc 0
		.amdhsa_reserve_flat_scratch 0
		.amdhsa_float_round_mode_32 0
		.amdhsa_float_round_mode_16_64 0
		.amdhsa_float_denorm_mode_32 3
		.amdhsa_float_denorm_mode_16_64 3
		.amdhsa_dx10_clamp 1
		.amdhsa_ieee_mode 1
		.amdhsa_fp16_overflow 0
		.amdhsa_tg_split 0
		.amdhsa_exception_fp_ieee_invalid_op 0
		.amdhsa_exception_fp_denorm_src 0
		.amdhsa_exception_fp_ieee_div_zero 0
		.amdhsa_exception_fp_ieee_overflow 0
		.amdhsa_exception_fp_ieee_underflow 0
		.amdhsa_exception_fp_ieee_inexact 0
		.amdhsa_exception_int_div_zero 0
	.end_amdhsa_kernel
	.section	.text._ZN7rocprim17ROCPRIM_400000_NS6detail17trampoline_kernelINS0_14default_configENS1_38merge_sort_block_merge_config_selectorIxNS0_10empty_typeEEEZZNS1_27merge_sort_block_merge_implIS3_PxPS5_jNS1_19radix_merge_compareILb0ELb0ExNS0_19identity_decomposerEEEEE10hipError_tT0_T1_T2_jT3_P12ihipStream_tbPNSt15iterator_traitsISE_E10value_typeEPNSK_ISF_E10value_typeEPSG_NS1_7vsmem_tEENKUlT_SE_SF_SG_E_clIS8_S8_S9_S9_EESD_ST_SE_SF_SG_EUlST_E1_NS1_11comp_targetILNS1_3genE9ELNS1_11target_archE1100ELNS1_3gpuE3ELNS1_3repE0EEENS1_36merge_oddeven_config_static_selectorELNS0_4arch9wavefront6targetE1EEEvSF_,"axG",@progbits,_ZN7rocprim17ROCPRIM_400000_NS6detail17trampoline_kernelINS0_14default_configENS1_38merge_sort_block_merge_config_selectorIxNS0_10empty_typeEEEZZNS1_27merge_sort_block_merge_implIS3_PxPS5_jNS1_19radix_merge_compareILb0ELb0ExNS0_19identity_decomposerEEEEE10hipError_tT0_T1_T2_jT3_P12ihipStream_tbPNSt15iterator_traitsISE_E10value_typeEPNSK_ISF_E10value_typeEPSG_NS1_7vsmem_tEENKUlT_SE_SF_SG_E_clIS8_S8_S9_S9_EESD_ST_SE_SF_SG_EUlST_E1_NS1_11comp_targetILNS1_3genE9ELNS1_11target_archE1100ELNS1_3gpuE3ELNS1_3repE0EEENS1_36merge_oddeven_config_static_selectorELNS0_4arch9wavefront6targetE1EEEvSF_,comdat
.Lfunc_end1038:
	.size	_ZN7rocprim17ROCPRIM_400000_NS6detail17trampoline_kernelINS0_14default_configENS1_38merge_sort_block_merge_config_selectorIxNS0_10empty_typeEEEZZNS1_27merge_sort_block_merge_implIS3_PxPS5_jNS1_19radix_merge_compareILb0ELb0ExNS0_19identity_decomposerEEEEE10hipError_tT0_T1_T2_jT3_P12ihipStream_tbPNSt15iterator_traitsISE_E10value_typeEPNSK_ISF_E10value_typeEPSG_NS1_7vsmem_tEENKUlT_SE_SF_SG_E_clIS8_S8_S9_S9_EESD_ST_SE_SF_SG_EUlST_E1_NS1_11comp_targetILNS1_3genE9ELNS1_11target_archE1100ELNS1_3gpuE3ELNS1_3repE0EEENS1_36merge_oddeven_config_static_selectorELNS0_4arch9wavefront6targetE1EEEvSF_, .Lfunc_end1038-_ZN7rocprim17ROCPRIM_400000_NS6detail17trampoline_kernelINS0_14default_configENS1_38merge_sort_block_merge_config_selectorIxNS0_10empty_typeEEEZZNS1_27merge_sort_block_merge_implIS3_PxPS5_jNS1_19radix_merge_compareILb0ELb0ExNS0_19identity_decomposerEEEEE10hipError_tT0_T1_T2_jT3_P12ihipStream_tbPNSt15iterator_traitsISE_E10value_typeEPNSK_ISF_E10value_typeEPSG_NS1_7vsmem_tEENKUlT_SE_SF_SG_E_clIS8_S8_S9_S9_EESD_ST_SE_SF_SG_EUlST_E1_NS1_11comp_targetILNS1_3genE9ELNS1_11target_archE1100ELNS1_3gpuE3ELNS1_3repE0EEENS1_36merge_oddeven_config_static_selectorELNS0_4arch9wavefront6targetE1EEEvSF_
                                        ; -- End function
	.section	.AMDGPU.csdata,"",@progbits
; Kernel info:
; codeLenInByte = 0
; NumSgprs: 4
; NumVgprs: 0
; NumAgprs: 0
; TotalNumVgprs: 0
; ScratchSize: 0
; MemoryBound: 0
; FloatMode: 240
; IeeeMode: 1
; LDSByteSize: 0 bytes/workgroup (compile time only)
; SGPRBlocks: 0
; VGPRBlocks: 0
; NumSGPRsForWavesPerEU: 4
; NumVGPRsForWavesPerEU: 1
; AccumOffset: 4
; Occupancy: 8
; WaveLimiterHint : 0
; COMPUTE_PGM_RSRC2:SCRATCH_EN: 0
; COMPUTE_PGM_RSRC2:USER_SGPR: 6
; COMPUTE_PGM_RSRC2:TRAP_HANDLER: 0
; COMPUTE_PGM_RSRC2:TGID_X_EN: 1
; COMPUTE_PGM_RSRC2:TGID_Y_EN: 0
; COMPUTE_PGM_RSRC2:TGID_Z_EN: 0
; COMPUTE_PGM_RSRC2:TIDIG_COMP_CNT: 0
; COMPUTE_PGM_RSRC3_GFX90A:ACCUM_OFFSET: 0
; COMPUTE_PGM_RSRC3_GFX90A:TG_SPLIT: 0
	.section	.text._ZN7rocprim17ROCPRIM_400000_NS6detail17trampoline_kernelINS0_14default_configENS1_38merge_sort_block_merge_config_selectorIxNS0_10empty_typeEEEZZNS1_27merge_sort_block_merge_implIS3_PxPS5_jNS1_19radix_merge_compareILb0ELb0ExNS0_19identity_decomposerEEEEE10hipError_tT0_T1_T2_jT3_P12ihipStream_tbPNSt15iterator_traitsISE_E10value_typeEPNSK_ISF_E10value_typeEPSG_NS1_7vsmem_tEENKUlT_SE_SF_SG_E_clIS8_S8_S9_S9_EESD_ST_SE_SF_SG_EUlST_E1_NS1_11comp_targetILNS1_3genE8ELNS1_11target_archE1030ELNS1_3gpuE2ELNS1_3repE0EEENS1_36merge_oddeven_config_static_selectorELNS0_4arch9wavefront6targetE1EEEvSF_,"axG",@progbits,_ZN7rocprim17ROCPRIM_400000_NS6detail17trampoline_kernelINS0_14default_configENS1_38merge_sort_block_merge_config_selectorIxNS0_10empty_typeEEEZZNS1_27merge_sort_block_merge_implIS3_PxPS5_jNS1_19radix_merge_compareILb0ELb0ExNS0_19identity_decomposerEEEEE10hipError_tT0_T1_T2_jT3_P12ihipStream_tbPNSt15iterator_traitsISE_E10value_typeEPNSK_ISF_E10value_typeEPSG_NS1_7vsmem_tEENKUlT_SE_SF_SG_E_clIS8_S8_S9_S9_EESD_ST_SE_SF_SG_EUlST_E1_NS1_11comp_targetILNS1_3genE8ELNS1_11target_archE1030ELNS1_3gpuE2ELNS1_3repE0EEENS1_36merge_oddeven_config_static_selectorELNS0_4arch9wavefront6targetE1EEEvSF_,comdat
	.protected	_ZN7rocprim17ROCPRIM_400000_NS6detail17trampoline_kernelINS0_14default_configENS1_38merge_sort_block_merge_config_selectorIxNS0_10empty_typeEEEZZNS1_27merge_sort_block_merge_implIS3_PxPS5_jNS1_19radix_merge_compareILb0ELb0ExNS0_19identity_decomposerEEEEE10hipError_tT0_T1_T2_jT3_P12ihipStream_tbPNSt15iterator_traitsISE_E10value_typeEPNSK_ISF_E10value_typeEPSG_NS1_7vsmem_tEENKUlT_SE_SF_SG_E_clIS8_S8_S9_S9_EESD_ST_SE_SF_SG_EUlST_E1_NS1_11comp_targetILNS1_3genE8ELNS1_11target_archE1030ELNS1_3gpuE2ELNS1_3repE0EEENS1_36merge_oddeven_config_static_selectorELNS0_4arch9wavefront6targetE1EEEvSF_ ; -- Begin function _ZN7rocprim17ROCPRIM_400000_NS6detail17trampoline_kernelINS0_14default_configENS1_38merge_sort_block_merge_config_selectorIxNS0_10empty_typeEEEZZNS1_27merge_sort_block_merge_implIS3_PxPS5_jNS1_19radix_merge_compareILb0ELb0ExNS0_19identity_decomposerEEEEE10hipError_tT0_T1_T2_jT3_P12ihipStream_tbPNSt15iterator_traitsISE_E10value_typeEPNSK_ISF_E10value_typeEPSG_NS1_7vsmem_tEENKUlT_SE_SF_SG_E_clIS8_S8_S9_S9_EESD_ST_SE_SF_SG_EUlST_E1_NS1_11comp_targetILNS1_3genE8ELNS1_11target_archE1030ELNS1_3gpuE2ELNS1_3repE0EEENS1_36merge_oddeven_config_static_selectorELNS0_4arch9wavefront6targetE1EEEvSF_
	.globl	_ZN7rocprim17ROCPRIM_400000_NS6detail17trampoline_kernelINS0_14default_configENS1_38merge_sort_block_merge_config_selectorIxNS0_10empty_typeEEEZZNS1_27merge_sort_block_merge_implIS3_PxPS5_jNS1_19radix_merge_compareILb0ELb0ExNS0_19identity_decomposerEEEEE10hipError_tT0_T1_T2_jT3_P12ihipStream_tbPNSt15iterator_traitsISE_E10value_typeEPNSK_ISF_E10value_typeEPSG_NS1_7vsmem_tEENKUlT_SE_SF_SG_E_clIS8_S8_S9_S9_EESD_ST_SE_SF_SG_EUlST_E1_NS1_11comp_targetILNS1_3genE8ELNS1_11target_archE1030ELNS1_3gpuE2ELNS1_3repE0EEENS1_36merge_oddeven_config_static_selectorELNS0_4arch9wavefront6targetE1EEEvSF_
	.p2align	8
	.type	_ZN7rocprim17ROCPRIM_400000_NS6detail17trampoline_kernelINS0_14default_configENS1_38merge_sort_block_merge_config_selectorIxNS0_10empty_typeEEEZZNS1_27merge_sort_block_merge_implIS3_PxPS5_jNS1_19radix_merge_compareILb0ELb0ExNS0_19identity_decomposerEEEEE10hipError_tT0_T1_T2_jT3_P12ihipStream_tbPNSt15iterator_traitsISE_E10value_typeEPNSK_ISF_E10value_typeEPSG_NS1_7vsmem_tEENKUlT_SE_SF_SG_E_clIS8_S8_S9_S9_EESD_ST_SE_SF_SG_EUlST_E1_NS1_11comp_targetILNS1_3genE8ELNS1_11target_archE1030ELNS1_3gpuE2ELNS1_3repE0EEENS1_36merge_oddeven_config_static_selectorELNS0_4arch9wavefront6targetE1EEEvSF_,@function
_ZN7rocprim17ROCPRIM_400000_NS6detail17trampoline_kernelINS0_14default_configENS1_38merge_sort_block_merge_config_selectorIxNS0_10empty_typeEEEZZNS1_27merge_sort_block_merge_implIS3_PxPS5_jNS1_19radix_merge_compareILb0ELb0ExNS0_19identity_decomposerEEEEE10hipError_tT0_T1_T2_jT3_P12ihipStream_tbPNSt15iterator_traitsISE_E10value_typeEPNSK_ISF_E10value_typeEPSG_NS1_7vsmem_tEENKUlT_SE_SF_SG_E_clIS8_S8_S9_S9_EESD_ST_SE_SF_SG_EUlST_E1_NS1_11comp_targetILNS1_3genE8ELNS1_11target_archE1030ELNS1_3gpuE2ELNS1_3repE0EEENS1_36merge_oddeven_config_static_selectorELNS0_4arch9wavefront6targetE1EEEvSF_: ; @_ZN7rocprim17ROCPRIM_400000_NS6detail17trampoline_kernelINS0_14default_configENS1_38merge_sort_block_merge_config_selectorIxNS0_10empty_typeEEEZZNS1_27merge_sort_block_merge_implIS3_PxPS5_jNS1_19radix_merge_compareILb0ELb0ExNS0_19identity_decomposerEEEEE10hipError_tT0_T1_T2_jT3_P12ihipStream_tbPNSt15iterator_traitsISE_E10value_typeEPNSK_ISF_E10value_typeEPSG_NS1_7vsmem_tEENKUlT_SE_SF_SG_E_clIS8_S8_S9_S9_EESD_ST_SE_SF_SG_EUlST_E1_NS1_11comp_targetILNS1_3genE8ELNS1_11target_archE1030ELNS1_3gpuE2ELNS1_3repE0EEENS1_36merge_oddeven_config_static_selectorELNS0_4arch9wavefront6targetE1EEEvSF_
; %bb.0:
	.section	.rodata,"a",@progbits
	.p2align	6, 0x0
	.amdhsa_kernel _ZN7rocprim17ROCPRIM_400000_NS6detail17trampoline_kernelINS0_14default_configENS1_38merge_sort_block_merge_config_selectorIxNS0_10empty_typeEEEZZNS1_27merge_sort_block_merge_implIS3_PxPS5_jNS1_19radix_merge_compareILb0ELb0ExNS0_19identity_decomposerEEEEE10hipError_tT0_T1_T2_jT3_P12ihipStream_tbPNSt15iterator_traitsISE_E10value_typeEPNSK_ISF_E10value_typeEPSG_NS1_7vsmem_tEENKUlT_SE_SF_SG_E_clIS8_S8_S9_S9_EESD_ST_SE_SF_SG_EUlST_E1_NS1_11comp_targetILNS1_3genE8ELNS1_11target_archE1030ELNS1_3gpuE2ELNS1_3repE0EEENS1_36merge_oddeven_config_static_selectorELNS0_4arch9wavefront6targetE1EEEvSF_
		.amdhsa_group_segment_fixed_size 0
		.amdhsa_private_segment_fixed_size 0
		.amdhsa_kernarg_size 48
		.amdhsa_user_sgpr_count 6
		.amdhsa_user_sgpr_private_segment_buffer 1
		.amdhsa_user_sgpr_dispatch_ptr 0
		.amdhsa_user_sgpr_queue_ptr 0
		.amdhsa_user_sgpr_kernarg_segment_ptr 1
		.amdhsa_user_sgpr_dispatch_id 0
		.amdhsa_user_sgpr_flat_scratch_init 0
		.amdhsa_user_sgpr_kernarg_preload_length 0
		.amdhsa_user_sgpr_kernarg_preload_offset 0
		.amdhsa_user_sgpr_private_segment_size 0
		.amdhsa_uses_dynamic_stack 0
		.amdhsa_system_sgpr_private_segment_wavefront_offset 0
		.amdhsa_system_sgpr_workgroup_id_x 1
		.amdhsa_system_sgpr_workgroup_id_y 0
		.amdhsa_system_sgpr_workgroup_id_z 0
		.amdhsa_system_sgpr_workgroup_info 0
		.amdhsa_system_vgpr_workitem_id 0
		.amdhsa_next_free_vgpr 1
		.amdhsa_next_free_sgpr 0
		.amdhsa_accum_offset 4
		.amdhsa_reserve_vcc 0
		.amdhsa_reserve_flat_scratch 0
		.amdhsa_float_round_mode_32 0
		.amdhsa_float_round_mode_16_64 0
		.amdhsa_float_denorm_mode_32 3
		.amdhsa_float_denorm_mode_16_64 3
		.amdhsa_dx10_clamp 1
		.amdhsa_ieee_mode 1
		.amdhsa_fp16_overflow 0
		.amdhsa_tg_split 0
		.amdhsa_exception_fp_ieee_invalid_op 0
		.amdhsa_exception_fp_denorm_src 0
		.amdhsa_exception_fp_ieee_div_zero 0
		.amdhsa_exception_fp_ieee_overflow 0
		.amdhsa_exception_fp_ieee_underflow 0
		.amdhsa_exception_fp_ieee_inexact 0
		.amdhsa_exception_int_div_zero 0
	.end_amdhsa_kernel
	.section	.text._ZN7rocprim17ROCPRIM_400000_NS6detail17trampoline_kernelINS0_14default_configENS1_38merge_sort_block_merge_config_selectorIxNS0_10empty_typeEEEZZNS1_27merge_sort_block_merge_implIS3_PxPS5_jNS1_19radix_merge_compareILb0ELb0ExNS0_19identity_decomposerEEEEE10hipError_tT0_T1_T2_jT3_P12ihipStream_tbPNSt15iterator_traitsISE_E10value_typeEPNSK_ISF_E10value_typeEPSG_NS1_7vsmem_tEENKUlT_SE_SF_SG_E_clIS8_S8_S9_S9_EESD_ST_SE_SF_SG_EUlST_E1_NS1_11comp_targetILNS1_3genE8ELNS1_11target_archE1030ELNS1_3gpuE2ELNS1_3repE0EEENS1_36merge_oddeven_config_static_selectorELNS0_4arch9wavefront6targetE1EEEvSF_,"axG",@progbits,_ZN7rocprim17ROCPRIM_400000_NS6detail17trampoline_kernelINS0_14default_configENS1_38merge_sort_block_merge_config_selectorIxNS0_10empty_typeEEEZZNS1_27merge_sort_block_merge_implIS3_PxPS5_jNS1_19radix_merge_compareILb0ELb0ExNS0_19identity_decomposerEEEEE10hipError_tT0_T1_T2_jT3_P12ihipStream_tbPNSt15iterator_traitsISE_E10value_typeEPNSK_ISF_E10value_typeEPSG_NS1_7vsmem_tEENKUlT_SE_SF_SG_E_clIS8_S8_S9_S9_EESD_ST_SE_SF_SG_EUlST_E1_NS1_11comp_targetILNS1_3genE8ELNS1_11target_archE1030ELNS1_3gpuE2ELNS1_3repE0EEENS1_36merge_oddeven_config_static_selectorELNS0_4arch9wavefront6targetE1EEEvSF_,comdat
.Lfunc_end1039:
	.size	_ZN7rocprim17ROCPRIM_400000_NS6detail17trampoline_kernelINS0_14default_configENS1_38merge_sort_block_merge_config_selectorIxNS0_10empty_typeEEEZZNS1_27merge_sort_block_merge_implIS3_PxPS5_jNS1_19radix_merge_compareILb0ELb0ExNS0_19identity_decomposerEEEEE10hipError_tT0_T1_T2_jT3_P12ihipStream_tbPNSt15iterator_traitsISE_E10value_typeEPNSK_ISF_E10value_typeEPSG_NS1_7vsmem_tEENKUlT_SE_SF_SG_E_clIS8_S8_S9_S9_EESD_ST_SE_SF_SG_EUlST_E1_NS1_11comp_targetILNS1_3genE8ELNS1_11target_archE1030ELNS1_3gpuE2ELNS1_3repE0EEENS1_36merge_oddeven_config_static_selectorELNS0_4arch9wavefront6targetE1EEEvSF_, .Lfunc_end1039-_ZN7rocprim17ROCPRIM_400000_NS6detail17trampoline_kernelINS0_14default_configENS1_38merge_sort_block_merge_config_selectorIxNS0_10empty_typeEEEZZNS1_27merge_sort_block_merge_implIS3_PxPS5_jNS1_19radix_merge_compareILb0ELb0ExNS0_19identity_decomposerEEEEE10hipError_tT0_T1_T2_jT3_P12ihipStream_tbPNSt15iterator_traitsISE_E10value_typeEPNSK_ISF_E10value_typeEPSG_NS1_7vsmem_tEENKUlT_SE_SF_SG_E_clIS8_S8_S9_S9_EESD_ST_SE_SF_SG_EUlST_E1_NS1_11comp_targetILNS1_3genE8ELNS1_11target_archE1030ELNS1_3gpuE2ELNS1_3repE0EEENS1_36merge_oddeven_config_static_selectorELNS0_4arch9wavefront6targetE1EEEvSF_
                                        ; -- End function
	.section	.AMDGPU.csdata,"",@progbits
; Kernel info:
; codeLenInByte = 0
; NumSgprs: 4
; NumVgprs: 0
; NumAgprs: 0
; TotalNumVgprs: 0
; ScratchSize: 0
; MemoryBound: 0
; FloatMode: 240
; IeeeMode: 1
; LDSByteSize: 0 bytes/workgroup (compile time only)
; SGPRBlocks: 0
; VGPRBlocks: 0
; NumSGPRsForWavesPerEU: 4
; NumVGPRsForWavesPerEU: 1
; AccumOffset: 4
; Occupancy: 8
; WaveLimiterHint : 0
; COMPUTE_PGM_RSRC2:SCRATCH_EN: 0
; COMPUTE_PGM_RSRC2:USER_SGPR: 6
; COMPUTE_PGM_RSRC2:TRAP_HANDLER: 0
; COMPUTE_PGM_RSRC2:TGID_X_EN: 1
; COMPUTE_PGM_RSRC2:TGID_Y_EN: 0
; COMPUTE_PGM_RSRC2:TGID_Z_EN: 0
; COMPUTE_PGM_RSRC2:TIDIG_COMP_CNT: 0
; COMPUTE_PGM_RSRC3_GFX90A:ACCUM_OFFSET: 0
; COMPUTE_PGM_RSRC3_GFX90A:TG_SPLIT: 0
	.section	.text._ZN7rocprim17ROCPRIM_400000_NS6detail17trampoline_kernelINS0_14default_configENS1_25transform_config_selectorIxLb1EEEZNS1_14transform_implILb1ES3_S5_PxS7_NS0_8identityIxEEEE10hipError_tT2_T3_mT4_P12ihipStream_tbEUlT_E_NS1_11comp_targetILNS1_3genE0ELNS1_11target_archE4294967295ELNS1_3gpuE0ELNS1_3repE0EEENS1_30default_config_static_selectorELNS0_4arch9wavefront6targetE1EEEvT1_,"axG",@progbits,_ZN7rocprim17ROCPRIM_400000_NS6detail17trampoline_kernelINS0_14default_configENS1_25transform_config_selectorIxLb1EEEZNS1_14transform_implILb1ES3_S5_PxS7_NS0_8identityIxEEEE10hipError_tT2_T3_mT4_P12ihipStream_tbEUlT_E_NS1_11comp_targetILNS1_3genE0ELNS1_11target_archE4294967295ELNS1_3gpuE0ELNS1_3repE0EEENS1_30default_config_static_selectorELNS0_4arch9wavefront6targetE1EEEvT1_,comdat
	.protected	_ZN7rocprim17ROCPRIM_400000_NS6detail17trampoline_kernelINS0_14default_configENS1_25transform_config_selectorIxLb1EEEZNS1_14transform_implILb1ES3_S5_PxS7_NS0_8identityIxEEEE10hipError_tT2_T3_mT4_P12ihipStream_tbEUlT_E_NS1_11comp_targetILNS1_3genE0ELNS1_11target_archE4294967295ELNS1_3gpuE0ELNS1_3repE0EEENS1_30default_config_static_selectorELNS0_4arch9wavefront6targetE1EEEvT1_ ; -- Begin function _ZN7rocprim17ROCPRIM_400000_NS6detail17trampoline_kernelINS0_14default_configENS1_25transform_config_selectorIxLb1EEEZNS1_14transform_implILb1ES3_S5_PxS7_NS0_8identityIxEEEE10hipError_tT2_T3_mT4_P12ihipStream_tbEUlT_E_NS1_11comp_targetILNS1_3genE0ELNS1_11target_archE4294967295ELNS1_3gpuE0ELNS1_3repE0EEENS1_30default_config_static_selectorELNS0_4arch9wavefront6targetE1EEEvT1_
	.globl	_ZN7rocprim17ROCPRIM_400000_NS6detail17trampoline_kernelINS0_14default_configENS1_25transform_config_selectorIxLb1EEEZNS1_14transform_implILb1ES3_S5_PxS7_NS0_8identityIxEEEE10hipError_tT2_T3_mT4_P12ihipStream_tbEUlT_E_NS1_11comp_targetILNS1_3genE0ELNS1_11target_archE4294967295ELNS1_3gpuE0ELNS1_3repE0EEENS1_30default_config_static_selectorELNS0_4arch9wavefront6targetE1EEEvT1_
	.p2align	8
	.type	_ZN7rocprim17ROCPRIM_400000_NS6detail17trampoline_kernelINS0_14default_configENS1_25transform_config_selectorIxLb1EEEZNS1_14transform_implILb1ES3_S5_PxS7_NS0_8identityIxEEEE10hipError_tT2_T3_mT4_P12ihipStream_tbEUlT_E_NS1_11comp_targetILNS1_3genE0ELNS1_11target_archE4294967295ELNS1_3gpuE0ELNS1_3repE0EEENS1_30default_config_static_selectorELNS0_4arch9wavefront6targetE1EEEvT1_,@function
_ZN7rocprim17ROCPRIM_400000_NS6detail17trampoline_kernelINS0_14default_configENS1_25transform_config_selectorIxLb1EEEZNS1_14transform_implILb1ES3_S5_PxS7_NS0_8identityIxEEEE10hipError_tT2_T3_mT4_P12ihipStream_tbEUlT_E_NS1_11comp_targetILNS1_3genE0ELNS1_11target_archE4294967295ELNS1_3gpuE0ELNS1_3repE0EEENS1_30default_config_static_selectorELNS0_4arch9wavefront6targetE1EEEvT1_: ; @_ZN7rocprim17ROCPRIM_400000_NS6detail17trampoline_kernelINS0_14default_configENS1_25transform_config_selectorIxLb1EEEZNS1_14transform_implILb1ES3_S5_PxS7_NS0_8identityIxEEEE10hipError_tT2_T3_mT4_P12ihipStream_tbEUlT_E_NS1_11comp_targetILNS1_3genE0ELNS1_11target_archE4294967295ELNS1_3gpuE0ELNS1_3repE0EEENS1_30default_config_static_selectorELNS0_4arch9wavefront6targetE1EEEvT1_
; %bb.0:
	.section	.rodata,"a",@progbits
	.p2align	6, 0x0
	.amdhsa_kernel _ZN7rocprim17ROCPRIM_400000_NS6detail17trampoline_kernelINS0_14default_configENS1_25transform_config_selectorIxLb1EEEZNS1_14transform_implILb1ES3_S5_PxS7_NS0_8identityIxEEEE10hipError_tT2_T3_mT4_P12ihipStream_tbEUlT_E_NS1_11comp_targetILNS1_3genE0ELNS1_11target_archE4294967295ELNS1_3gpuE0ELNS1_3repE0EEENS1_30default_config_static_selectorELNS0_4arch9wavefront6targetE1EEEvT1_
		.amdhsa_group_segment_fixed_size 0
		.amdhsa_private_segment_fixed_size 0
		.amdhsa_kernarg_size 40
		.amdhsa_user_sgpr_count 6
		.amdhsa_user_sgpr_private_segment_buffer 1
		.amdhsa_user_sgpr_dispatch_ptr 0
		.amdhsa_user_sgpr_queue_ptr 0
		.amdhsa_user_sgpr_kernarg_segment_ptr 1
		.amdhsa_user_sgpr_dispatch_id 0
		.amdhsa_user_sgpr_flat_scratch_init 0
		.amdhsa_user_sgpr_kernarg_preload_length 0
		.amdhsa_user_sgpr_kernarg_preload_offset 0
		.amdhsa_user_sgpr_private_segment_size 0
		.amdhsa_uses_dynamic_stack 0
		.amdhsa_system_sgpr_private_segment_wavefront_offset 0
		.amdhsa_system_sgpr_workgroup_id_x 1
		.amdhsa_system_sgpr_workgroup_id_y 0
		.amdhsa_system_sgpr_workgroup_id_z 0
		.amdhsa_system_sgpr_workgroup_info 0
		.amdhsa_system_vgpr_workitem_id 0
		.amdhsa_next_free_vgpr 1
		.amdhsa_next_free_sgpr 0
		.amdhsa_accum_offset 4
		.amdhsa_reserve_vcc 0
		.amdhsa_reserve_flat_scratch 0
		.amdhsa_float_round_mode_32 0
		.amdhsa_float_round_mode_16_64 0
		.amdhsa_float_denorm_mode_32 3
		.amdhsa_float_denorm_mode_16_64 3
		.amdhsa_dx10_clamp 1
		.amdhsa_ieee_mode 1
		.amdhsa_fp16_overflow 0
		.amdhsa_tg_split 0
		.amdhsa_exception_fp_ieee_invalid_op 0
		.amdhsa_exception_fp_denorm_src 0
		.amdhsa_exception_fp_ieee_div_zero 0
		.amdhsa_exception_fp_ieee_overflow 0
		.amdhsa_exception_fp_ieee_underflow 0
		.amdhsa_exception_fp_ieee_inexact 0
		.amdhsa_exception_int_div_zero 0
	.end_amdhsa_kernel
	.section	.text._ZN7rocprim17ROCPRIM_400000_NS6detail17trampoline_kernelINS0_14default_configENS1_25transform_config_selectorIxLb1EEEZNS1_14transform_implILb1ES3_S5_PxS7_NS0_8identityIxEEEE10hipError_tT2_T3_mT4_P12ihipStream_tbEUlT_E_NS1_11comp_targetILNS1_3genE0ELNS1_11target_archE4294967295ELNS1_3gpuE0ELNS1_3repE0EEENS1_30default_config_static_selectorELNS0_4arch9wavefront6targetE1EEEvT1_,"axG",@progbits,_ZN7rocprim17ROCPRIM_400000_NS6detail17trampoline_kernelINS0_14default_configENS1_25transform_config_selectorIxLb1EEEZNS1_14transform_implILb1ES3_S5_PxS7_NS0_8identityIxEEEE10hipError_tT2_T3_mT4_P12ihipStream_tbEUlT_E_NS1_11comp_targetILNS1_3genE0ELNS1_11target_archE4294967295ELNS1_3gpuE0ELNS1_3repE0EEENS1_30default_config_static_selectorELNS0_4arch9wavefront6targetE1EEEvT1_,comdat
.Lfunc_end1040:
	.size	_ZN7rocprim17ROCPRIM_400000_NS6detail17trampoline_kernelINS0_14default_configENS1_25transform_config_selectorIxLb1EEEZNS1_14transform_implILb1ES3_S5_PxS7_NS0_8identityIxEEEE10hipError_tT2_T3_mT4_P12ihipStream_tbEUlT_E_NS1_11comp_targetILNS1_3genE0ELNS1_11target_archE4294967295ELNS1_3gpuE0ELNS1_3repE0EEENS1_30default_config_static_selectorELNS0_4arch9wavefront6targetE1EEEvT1_, .Lfunc_end1040-_ZN7rocprim17ROCPRIM_400000_NS6detail17trampoline_kernelINS0_14default_configENS1_25transform_config_selectorIxLb1EEEZNS1_14transform_implILb1ES3_S5_PxS7_NS0_8identityIxEEEE10hipError_tT2_T3_mT4_P12ihipStream_tbEUlT_E_NS1_11comp_targetILNS1_3genE0ELNS1_11target_archE4294967295ELNS1_3gpuE0ELNS1_3repE0EEENS1_30default_config_static_selectorELNS0_4arch9wavefront6targetE1EEEvT1_
                                        ; -- End function
	.section	.AMDGPU.csdata,"",@progbits
; Kernel info:
; codeLenInByte = 0
; NumSgprs: 4
; NumVgprs: 0
; NumAgprs: 0
; TotalNumVgprs: 0
; ScratchSize: 0
; MemoryBound: 0
; FloatMode: 240
; IeeeMode: 1
; LDSByteSize: 0 bytes/workgroup (compile time only)
; SGPRBlocks: 0
; VGPRBlocks: 0
; NumSGPRsForWavesPerEU: 4
; NumVGPRsForWavesPerEU: 1
; AccumOffset: 4
; Occupancy: 8
; WaveLimiterHint : 0
; COMPUTE_PGM_RSRC2:SCRATCH_EN: 0
; COMPUTE_PGM_RSRC2:USER_SGPR: 6
; COMPUTE_PGM_RSRC2:TRAP_HANDLER: 0
; COMPUTE_PGM_RSRC2:TGID_X_EN: 1
; COMPUTE_PGM_RSRC2:TGID_Y_EN: 0
; COMPUTE_PGM_RSRC2:TGID_Z_EN: 0
; COMPUTE_PGM_RSRC2:TIDIG_COMP_CNT: 0
; COMPUTE_PGM_RSRC3_GFX90A:ACCUM_OFFSET: 0
; COMPUTE_PGM_RSRC3_GFX90A:TG_SPLIT: 0
	.section	.text._ZN7rocprim17ROCPRIM_400000_NS6detail17trampoline_kernelINS0_14default_configENS1_25transform_config_selectorIxLb1EEEZNS1_14transform_implILb1ES3_S5_PxS7_NS0_8identityIxEEEE10hipError_tT2_T3_mT4_P12ihipStream_tbEUlT_E_NS1_11comp_targetILNS1_3genE10ELNS1_11target_archE1201ELNS1_3gpuE5ELNS1_3repE0EEENS1_30default_config_static_selectorELNS0_4arch9wavefront6targetE1EEEvT1_,"axG",@progbits,_ZN7rocprim17ROCPRIM_400000_NS6detail17trampoline_kernelINS0_14default_configENS1_25transform_config_selectorIxLb1EEEZNS1_14transform_implILb1ES3_S5_PxS7_NS0_8identityIxEEEE10hipError_tT2_T3_mT4_P12ihipStream_tbEUlT_E_NS1_11comp_targetILNS1_3genE10ELNS1_11target_archE1201ELNS1_3gpuE5ELNS1_3repE0EEENS1_30default_config_static_selectorELNS0_4arch9wavefront6targetE1EEEvT1_,comdat
	.protected	_ZN7rocprim17ROCPRIM_400000_NS6detail17trampoline_kernelINS0_14default_configENS1_25transform_config_selectorIxLb1EEEZNS1_14transform_implILb1ES3_S5_PxS7_NS0_8identityIxEEEE10hipError_tT2_T3_mT4_P12ihipStream_tbEUlT_E_NS1_11comp_targetILNS1_3genE10ELNS1_11target_archE1201ELNS1_3gpuE5ELNS1_3repE0EEENS1_30default_config_static_selectorELNS0_4arch9wavefront6targetE1EEEvT1_ ; -- Begin function _ZN7rocprim17ROCPRIM_400000_NS6detail17trampoline_kernelINS0_14default_configENS1_25transform_config_selectorIxLb1EEEZNS1_14transform_implILb1ES3_S5_PxS7_NS0_8identityIxEEEE10hipError_tT2_T3_mT4_P12ihipStream_tbEUlT_E_NS1_11comp_targetILNS1_3genE10ELNS1_11target_archE1201ELNS1_3gpuE5ELNS1_3repE0EEENS1_30default_config_static_selectorELNS0_4arch9wavefront6targetE1EEEvT1_
	.globl	_ZN7rocprim17ROCPRIM_400000_NS6detail17trampoline_kernelINS0_14default_configENS1_25transform_config_selectorIxLb1EEEZNS1_14transform_implILb1ES3_S5_PxS7_NS0_8identityIxEEEE10hipError_tT2_T3_mT4_P12ihipStream_tbEUlT_E_NS1_11comp_targetILNS1_3genE10ELNS1_11target_archE1201ELNS1_3gpuE5ELNS1_3repE0EEENS1_30default_config_static_selectorELNS0_4arch9wavefront6targetE1EEEvT1_
	.p2align	8
	.type	_ZN7rocprim17ROCPRIM_400000_NS6detail17trampoline_kernelINS0_14default_configENS1_25transform_config_selectorIxLb1EEEZNS1_14transform_implILb1ES3_S5_PxS7_NS0_8identityIxEEEE10hipError_tT2_T3_mT4_P12ihipStream_tbEUlT_E_NS1_11comp_targetILNS1_3genE10ELNS1_11target_archE1201ELNS1_3gpuE5ELNS1_3repE0EEENS1_30default_config_static_selectorELNS0_4arch9wavefront6targetE1EEEvT1_,@function
_ZN7rocprim17ROCPRIM_400000_NS6detail17trampoline_kernelINS0_14default_configENS1_25transform_config_selectorIxLb1EEEZNS1_14transform_implILb1ES3_S5_PxS7_NS0_8identityIxEEEE10hipError_tT2_T3_mT4_P12ihipStream_tbEUlT_E_NS1_11comp_targetILNS1_3genE10ELNS1_11target_archE1201ELNS1_3gpuE5ELNS1_3repE0EEENS1_30default_config_static_selectorELNS0_4arch9wavefront6targetE1EEEvT1_: ; @_ZN7rocprim17ROCPRIM_400000_NS6detail17trampoline_kernelINS0_14default_configENS1_25transform_config_selectorIxLb1EEEZNS1_14transform_implILb1ES3_S5_PxS7_NS0_8identityIxEEEE10hipError_tT2_T3_mT4_P12ihipStream_tbEUlT_E_NS1_11comp_targetILNS1_3genE10ELNS1_11target_archE1201ELNS1_3gpuE5ELNS1_3repE0EEENS1_30default_config_static_selectorELNS0_4arch9wavefront6targetE1EEEvT1_
; %bb.0:
	.section	.rodata,"a",@progbits
	.p2align	6, 0x0
	.amdhsa_kernel _ZN7rocprim17ROCPRIM_400000_NS6detail17trampoline_kernelINS0_14default_configENS1_25transform_config_selectorIxLb1EEEZNS1_14transform_implILb1ES3_S5_PxS7_NS0_8identityIxEEEE10hipError_tT2_T3_mT4_P12ihipStream_tbEUlT_E_NS1_11comp_targetILNS1_3genE10ELNS1_11target_archE1201ELNS1_3gpuE5ELNS1_3repE0EEENS1_30default_config_static_selectorELNS0_4arch9wavefront6targetE1EEEvT1_
		.amdhsa_group_segment_fixed_size 0
		.amdhsa_private_segment_fixed_size 0
		.amdhsa_kernarg_size 40
		.amdhsa_user_sgpr_count 6
		.amdhsa_user_sgpr_private_segment_buffer 1
		.amdhsa_user_sgpr_dispatch_ptr 0
		.amdhsa_user_sgpr_queue_ptr 0
		.amdhsa_user_sgpr_kernarg_segment_ptr 1
		.amdhsa_user_sgpr_dispatch_id 0
		.amdhsa_user_sgpr_flat_scratch_init 0
		.amdhsa_user_sgpr_kernarg_preload_length 0
		.amdhsa_user_sgpr_kernarg_preload_offset 0
		.amdhsa_user_sgpr_private_segment_size 0
		.amdhsa_uses_dynamic_stack 0
		.amdhsa_system_sgpr_private_segment_wavefront_offset 0
		.amdhsa_system_sgpr_workgroup_id_x 1
		.amdhsa_system_sgpr_workgroup_id_y 0
		.amdhsa_system_sgpr_workgroup_id_z 0
		.amdhsa_system_sgpr_workgroup_info 0
		.amdhsa_system_vgpr_workitem_id 0
		.amdhsa_next_free_vgpr 1
		.amdhsa_next_free_sgpr 0
		.amdhsa_accum_offset 4
		.amdhsa_reserve_vcc 0
		.amdhsa_reserve_flat_scratch 0
		.amdhsa_float_round_mode_32 0
		.amdhsa_float_round_mode_16_64 0
		.amdhsa_float_denorm_mode_32 3
		.amdhsa_float_denorm_mode_16_64 3
		.amdhsa_dx10_clamp 1
		.amdhsa_ieee_mode 1
		.amdhsa_fp16_overflow 0
		.amdhsa_tg_split 0
		.amdhsa_exception_fp_ieee_invalid_op 0
		.amdhsa_exception_fp_denorm_src 0
		.amdhsa_exception_fp_ieee_div_zero 0
		.amdhsa_exception_fp_ieee_overflow 0
		.amdhsa_exception_fp_ieee_underflow 0
		.amdhsa_exception_fp_ieee_inexact 0
		.amdhsa_exception_int_div_zero 0
	.end_amdhsa_kernel
	.section	.text._ZN7rocprim17ROCPRIM_400000_NS6detail17trampoline_kernelINS0_14default_configENS1_25transform_config_selectorIxLb1EEEZNS1_14transform_implILb1ES3_S5_PxS7_NS0_8identityIxEEEE10hipError_tT2_T3_mT4_P12ihipStream_tbEUlT_E_NS1_11comp_targetILNS1_3genE10ELNS1_11target_archE1201ELNS1_3gpuE5ELNS1_3repE0EEENS1_30default_config_static_selectorELNS0_4arch9wavefront6targetE1EEEvT1_,"axG",@progbits,_ZN7rocprim17ROCPRIM_400000_NS6detail17trampoline_kernelINS0_14default_configENS1_25transform_config_selectorIxLb1EEEZNS1_14transform_implILb1ES3_S5_PxS7_NS0_8identityIxEEEE10hipError_tT2_T3_mT4_P12ihipStream_tbEUlT_E_NS1_11comp_targetILNS1_3genE10ELNS1_11target_archE1201ELNS1_3gpuE5ELNS1_3repE0EEENS1_30default_config_static_selectorELNS0_4arch9wavefront6targetE1EEEvT1_,comdat
.Lfunc_end1041:
	.size	_ZN7rocprim17ROCPRIM_400000_NS6detail17trampoline_kernelINS0_14default_configENS1_25transform_config_selectorIxLb1EEEZNS1_14transform_implILb1ES3_S5_PxS7_NS0_8identityIxEEEE10hipError_tT2_T3_mT4_P12ihipStream_tbEUlT_E_NS1_11comp_targetILNS1_3genE10ELNS1_11target_archE1201ELNS1_3gpuE5ELNS1_3repE0EEENS1_30default_config_static_selectorELNS0_4arch9wavefront6targetE1EEEvT1_, .Lfunc_end1041-_ZN7rocprim17ROCPRIM_400000_NS6detail17trampoline_kernelINS0_14default_configENS1_25transform_config_selectorIxLb1EEEZNS1_14transform_implILb1ES3_S5_PxS7_NS0_8identityIxEEEE10hipError_tT2_T3_mT4_P12ihipStream_tbEUlT_E_NS1_11comp_targetILNS1_3genE10ELNS1_11target_archE1201ELNS1_3gpuE5ELNS1_3repE0EEENS1_30default_config_static_selectorELNS0_4arch9wavefront6targetE1EEEvT1_
                                        ; -- End function
	.section	.AMDGPU.csdata,"",@progbits
; Kernel info:
; codeLenInByte = 0
; NumSgprs: 4
; NumVgprs: 0
; NumAgprs: 0
; TotalNumVgprs: 0
; ScratchSize: 0
; MemoryBound: 0
; FloatMode: 240
; IeeeMode: 1
; LDSByteSize: 0 bytes/workgroup (compile time only)
; SGPRBlocks: 0
; VGPRBlocks: 0
; NumSGPRsForWavesPerEU: 4
; NumVGPRsForWavesPerEU: 1
; AccumOffset: 4
; Occupancy: 8
; WaveLimiterHint : 0
; COMPUTE_PGM_RSRC2:SCRATCH_EN: 0
; COMPUTE_PGM_RSRC2:USER_SGPR: 6
; COMPUTE_PGM_RSRC2:TRAP_HANDLER: 0
; COMPUTE_PGM_RSRC2:TGID_X_EN: 1
; COMPUTE_PGM_RSRC2:TGID_Y_EN: 0
; COMPUTE_PGM_RSRC2:TGID_Z_EN: 0
; COMPUTE_PGM_RSRC2:TIDIG_COMP_CNT: 0
; COMPUTE_PGM_RSRC3_GFX90A:ACCUM_OFFSET: 0
; COMPUTE_PGM_RSRC3_GFX90A:TG_SPLIT: 0
	.section	.text._ZN7rocprim17ROCPRIM_400000_NS6detail17trampoline_kernelINS0_14default_configENS1_25transform_config_selectorIxLb1EEEZNS1_14transform_implILb1ES3_S5_PxS7_NS0_8identityIxEEEE10hipError_tT2_T3_mT4_P12ihipStream_tbEUlT_E_NS1_11comp_targetILNS1_3genE5ELNS1_11target_archE942ELNS1_3gpuE9ELNS1_3repE0EEENS1_30default_config_static_selectorELNS0_4arch9wavefront6targetE1EEEvT1_,"axG",@progbits,_ZN7rocprim17ROCPRIM_400000_NS6detail17trampoline_kernelINS0_14default_configENS1_25transform_config_selectorIxLb1EEEZNS1_14transform_implILb1ES3_S5_PxS7_NS0_8identityIxEEEE10hipError_tT2_T3_mT4_P12ihipStream_tbEUlT_E_NS1_11comp_targetILNS1_3genE5ELNS1_11target_archE942ELNS1_3gpuE9ELNS1_3repE0EEENS1_30default_config_static_selectorELNS0_4arch9wavefront6targetE1EEEvT1_,comdat
	.protected	_ZN7rocprim17ROCPRIM_400000_NS6detail17trampoline_kernelINS0_14default_configENS1_25transform_config_selectorIxLb1EEEZNS1_14transform_implILb1ES3_S5_PxS7_NS0_8identityIxEEEE10hipError_tT2_T3_mT4_P12ihipStream_tbEUlT_E_NS1_11comp_targetILNS1_3genE5ELNS1_11target_archE942ELNS1_3gpuE9ELNS1_3repE0EEENS1_30default_config_static_selectorELNS0_4arch9wavefront6targetE1EEEvT1_ ; -- Begin function _ZN7rocprim17ROCPRIM_400000_NS6detail17trampoline_kernelINS0_14default_configENS1_25transform_config_selectorIxLb1EEEZNS1_14transform_implILb1ES3_S5_PxS7_NS0_8identityIxEEEE10hipError_tT2_T3_mT4_P12ihipStream_tbEUlT_E_NS1_11comp_targetILNS1_3genE5ELNS1_11target_archE942ELNS1_3gpuE9ELNS1_3repE0EEENS1_30default_config_static_selectorELNS0_4arch9wavefront6targetE1EEEvT1_
	.globl	_ZN7rocprim17ROCPRIM_400000_NS6detail17trampoline_kernelINS0_14default_configENS1_25transform_config_selectorIxLb1EEEZNS1_14transform_implILb1ES3_S5_PxS7_NS0_8identityIxEEEE10hipError_tT2_T3_mT4_P12ihipStream_tbEUlT_E_NS1_11comp_targetILNS1_3genE5ELNS1_11target_archE942ELNS1_3gpuE9ELNS1_3repE0EEENS1_30default_config_static_selectorELNS0_4arch9wavefront6targetE1EEEvT1_
	.p2align	8
	.type	_ZN7rocprim17ROCPRIM_400000_NS6detail17trampoline_kernelINS0_14default_configENS1_25transform_config_selectorIxLb1EEEZNS1_14transform_implILb1ES3_S5_PxS7_NS0_8identityIxEEEE10hipError_tT2_T3_mT4_P12ihipStream_tbEUlT_E_NS1_11comp_targetILNS1_3genE5ELNS1_11target_archE942ELNS1_3gpuE9ELNS1_3repE0EEENS1_30default_config_static_selectorELNS0_4arch9wavefront6targetE1EEEvT1_,@function
_ZN7rocprim17ROCPRIM_400000_NS6detail17trampoline_kernelINS0_14default_configENS1_25transform_config_selectorIxLb1EEEZNS1_14transform_implILb1ES3_S5_PxS7_NS0_8identityIxEEEE10hipError_tT2_T3_mT4_P12ihipStream_tbEUlT_E_NS1_11comp_targetILNS1_3genE5ELNS1_11target_archE942ELNS1_3gpuE9ELNS1_3repE0EEENS1_30default_config_static_selectorELNS0_4arch9wavefront6targetE1EEEvT1_: ; @_ZN7rocprim17ROCPRIM_400000_NS6detail17trampoline_kernelINS0_14default_configENS1_25transform_config_selectorIxLb1EEEZNS1_14transform_implILb1ES3_S5_PxS7_NS0_8identityIxEEEE10hipError_tT2_T3_mT4_P12ihipStream_tbEUlT_E_NS1_11comp_targetILNS1_3genE5ELNS1_11target_archE942ELNS1_3gpuE9ELNS1_3repE0EEENS1_30default_config_static_selectorELNS0_4arch9wavefront6targetE1EEEvT1_
; %bb.0:
	.section	.rodata,"a",@progbits
	.p2align	6, 0x0
	.amdhsa_kernel _ZN7rocprim17ROCPRIM_400000_NS6detail17trampoline_kernelINS0_14default_configENS1_25transform_config_selectorIxLb1EEEZNS1_14transform_implILb1ES3_S5_PxS7_NS0_8identityIxEEEE10hipError_tT2_T3_mT4_P12ihipStream_tbEUlT_E_NS1_11comp_targetILNS1_3genE5ELNS1_11target_archE942ELNS1_3gpuE9ELNS1_3repE0EEENS1_30default_config_static_selectorELNS0_4arch9wavefront6targetE1EEEvT1_
		.amdhsa_group_segment_fixed_size 0
		.amdhsa_private_segment_fixed_size 0
		.amdhsa_kernarg_size 40
		.amdhsa_user_sgpr_count 6
		.amdhsa_user_sgpr_private_segment_buffer 1
		.amdhsa_user_sgpr_dispatch_ptr 0
		.amdhsa_user_sgpr_queue_ptr 0
		.amdhsa_user_sgpr_kernarg_segment_ptr 1
		.amdhsa_user_sgpr_dispatch_id 0
		.amdhsa_user_sgpr_flat_scratch_init 0
		.amdhsa_user_sgpr_kernarg_preload_length 0
		.amdhsa_user_sgpr_kernarg_preload_offset 0
		.amdhsa_user_sgpr_private_segment_size 0
		.amdhsa_uses_dynamic_stack 0
		.amdhsa_system_sgpr_private_segment_wavefront_offset 0
		.amdhsa_system_sgpr_workgroup_id_x 1
		.amdhsa_system_sgpr_workgroup_id_y 0
		.amdhsa_system_sgpr_workgroup_id_z 0
		.amdhsa_system_sgpr_workgroup_info 0
		.amdhsa_system_vgpr_workitem_id 0
		.amdhsa_next_free_vgpr 1
		.amdhsa_next_free_sgpr 0
		.amdhsa_accum_offset 4
		.amdhsa_reserve_vcc 0
		.amdhsa_reserve_flat_scratch 0
		.amdhsa_float_round_mode_32 0
		.amdhsa_float_round_mode_16_64 0
		.amdhsa_float_denorm_mode_32 3
		.amdhsa_float_denorm_mode_16_64 3
		.amdhsa_dx10_clamp 1
		.amdhsa_ieee_mode 1
		.amdhsa_fp16_overflow 0
		.amdhsa_tg_split 0
		.amdhsa_exception_fp_ieee_invalid_op 0
		.amdhsa_exception_fp_denorm_src 0
		.amdhsa_exception_fp_ieee_div_zero 0
		.amdhsa_exception_fp_ieee_overflow 0
		.amdhsa_exception_fp_ieee_underflow 0
		.amdhsa_exception_fp_ieee_inexact 0
		.amdhsa_exception_int_div_zero 0
	.end_amdhsa_kernel
	.section	.text._ZN7rocprim17ROCPRIM_400000_NS6detail17trampoline_kernelINS0_14default_configENS1_25transform_config_selectorIxLb1EEEZNS1_14transform_implILb1ES3_S5_PxS7_NS0_8identityIxEEEE10hipError_tT2_T3_mT4_P12ihipStream_tbEUlT_E_NS1_11comp_targetILNS1_3genE5ELNS1_11target_archE942ELNS1_3gpuE9ELNS1_3repE0EEENS1_30default_config_static_selectorELNS0_4arch9wavefront6targetE1EEEvT1_,"axG",@progbits,_ZN7rocprim17ROCPRIM_400000_NS6detail17trampoline_kernelINS0_14default_configENS1_25transform_config_selectorIxLb1EEEZNS1_14transform_implILb1ES3_S5_PxS7_NS0_8identityIxEEEE10hipError_tT2_T3_mT4_P12ihipStream_tbEUlT_E_NS1_11comp_targetILNS1_3genE5ELNS1_11target_archE942ELNS1_3gpuE9ELNS1_3repE0EEENS1_30default_config_static_selectorELNS0_4arch9wavefront6targetE1EEEvT1_,comdat
.Lfunc_end1042:
	.size	_ZN7rocprim17ROCPRIM_400000_NS6detail17trampoline_kernelINS0_14default_configENS1_25transform_config_selectorIxLb1EEEZNS1_14transform_implILb1ES3_S5_PxS7_NS0_8identityIxEEEE10hipError_tT2_T3_mT4_P12ihipStream_tbEUlT_E_NS1_11comp_targetILNS1_3genE5ELNS1_11target_archE942ELNS1_3gpuE9ELNS1_3repE0EEENS1_30default_config_static_selectorELNS0_4arch9wavefront6targetE1EEEvT1_, .Lfunc_end1042-_ZN7rocprim17ROCPRIM_400000_NS6detail17trampoline_kernelINS0_14default_configENS1_25transform_config_selectorIxLb1EEEZNS1_14transform_implILb1ES3_S5_PxS7_NS0_8identityIxEEEE10hipError_tT2_T3_mT4_P12ihipStream_tbEUlT_E_NS1_11comp_targetILNS1_3genE5ELNS1_11target_archE942ELNS1_3gpuE9ELNS1_3repE0EEENS1_30default_config_static_selectorELNS0_4arch9wavefront6targetE1EEEvT1_
                                        ; -- End function
	.section	.AMDGPU.csdata,"",@progbits
; Kernel info:
; codeLenInByte = 0
; NumSgprs: 4
; NumVgprs: 0
; NumAgprs: 0
; TotalNumVgprs: 0
; ScratchSize: 0
; MemoryBound: 0
; FloatMode: 240
; IeeeMode: 1
; LDSByteSize: 0 bytes/workgroup (compile time only)
; SGPRBlocks: 0
; VGPRBlocks: 0
; NumSGPRsForWavesPerEU: 4
; NumVGPRsForWavesPerEU: 1
; AccumOffset: 4
; Occupancy: 8
; WaveLimiterHint : 0
; COMPUTE_PGM_RSRC2:SCRATCH_EN: 0
; COMPUTE_PGM_RSRC2:USER_SGPR: 6
; COMPUTE_PGM_RSRC2:TRAP_HANDLER: 0
; COMPUTE_PGM_RSRC2:TGID_X_EN: 1
; COMPUTE_PGM_RSRC2:TGID_Y_EN: 0
; COMPUTE_PGM_RSRC2:TGID_Z_EN: 0
; COMPUTE_PGM_RSRC2:TIDIG_COMP_CNT: 0
; COMPUTE_PGM_RSRC3_GFX90A:ACCUM_OFFSET: 0
; COMPUTE_PGM_RSRC3_GFX90A:TG_SPLIT: 0
	.section	.text._ZN7rocprim17ROCPRIM_400000_NS6detail17trampoline_kernelINS0_14default_configENS1_25transform_config_selectorIxLb1EEEZNS1_14transform_implILb1ES3_S5_PxS7_NS0_8identityIxEEEE10hipError_tT2_T3_mT4_P12ihipStream_tbEUlT_E_NS1_11comp_targetILNS1_3genE4ELNS1_11target_archE910ELNS1_3gpuE8ELNS1_3repE0EEENS1_30default_config_static_selectorELNS0_4arch9wavefront6targetE1EEEvT1_,"axG",@progbits,_ZN7rocprim17ROCPRIM_400000_NS6detail17trampoline_kernelINS0_14default_configENS1_25transform_config_selectorIxLb1EEEZNS1_14transform_implILb1ES3_S5_PxS7_NS0_8identityIxEEEE10hipError_tT2_T3_mT4_P12ihipStream_tbEUlT_E_NS1_11comp_targetILNS1_3genE4ELNS1_11target_archE910ELNS1_3gpuE8ELNS1_3repE0EEENS1_30default_config_static_selectorELNS0_4arch9wavefront6targetE1EEEvT1_,comdat
	.protected	_ZN7rocprim17ROCPRIM_400000_NS6detail17trampoline_kernelINS0_14default_configENS1_25transform_config_selectorIxLb1EEEZNS1_14transform_implILb1ES3_S5_PxS7_NS0_8identityIxEEEE10hipError_tT2_T3_mT4_P12ihipStream_tbEUlT_E_NS1_11comp_targetILNS1_3genE4ELNS1_11target_archE910ELNS1_3gpuE8ELNS1_3repE0EEENS1_30default_config_static_selectorELNS0_4arch9wavefront6targetE1EEEvT1_ ; -- Begin function _ZN7rocprim17ROCPRIM_400000_NS6detail17trampoline_kernelINS0_14default_configENS1_25transform_config_selectorIxLb1EEEZNS1_14transform_implILb1ES3_S5_PxS7_NS0_8identityIxEEEE10hipError_tT2_T3_mT4_P12ihipStream_tbEUlT_E_NS1_11comp_targetILNS1_3genE4ELNS1_11target_archE910ELNS1_3gpuE8ELNS1_3repE0EEENS1_30default_config_static_selectorELNS0_4arch9wavefront6targetE1EEEvT1_
	.globl	_ZN7rocprim17ROCPRIM_400000_NS6detail17trampoline_kernelINS0_14default_configENS1_25transform_config_selectorIxLb1EEEZNS1_14transform_implILb1ES3_S5_PxS7_NS0_8identityIxEEEE10hipError_tT2_T3_mT4_P12ihipStream_tbEUlT_E_NS1_11comp_targetILNS1_3genE4ELNS1_11target_archE910ELNS1_3gpuE8ELNS1_3repE0EEENS1_30default_config_static_selectorELNS0_4arch9wavefront6targetE1EEEvT1_
	.p2align	8
	.type	_ZN7rocprim17ROCPRIM_400000_NS6detail17trampoline_kernelINS0_14default_configENS1_25transform_config_selectorIxLb1EEEZNS1_14transform_implILb1ES3_S5_PxS7_NS0_8identityIxEEEE10hipError_tT2_T3_mT4_P12ihipStream_tbEUlT_E_NS1_11comp_targetILNS1_3genE4ELNS1_11target_archE910ELNS1_3gpuE8ELNS1_3repE0EEENS1_30default_config_static_selectorELNS0_4arch9wavefront6targetE1EEEvT1_,@function
_ZN7rocprim17ROCPRIM_400000_NS6detail17trampoline_kernelINS0_14default_configENS1_25transform_config_selectorIxLb1EEEZNS1_14transform_implILb1ES3_S5_PxS7_NS0_8identityIxEEEE10hipError_tT2_T3_mT4_P12ihipStream_tbEUlT_E_NS1_11comp_targetILNS1_3genE4ELNS1_11target_archE910ELNS1_3gpuE8ELNS1_3repE0EEENS1_30default_config_static_selectorELNS0_4arch9wavefront6targetE1EEEvT1_: ; @_ZN7rocprim17ROCPRIM_400000_NS6detail17trampoline_kernelINS0_14default_configENS1_25transform_config_selectorIxLb1EEEZNS1_14transform_implILb1ES3_S5_PxS7_NS0_8identityIxEEEE10hipError_tT2_T3_mT4_P12ihipStream_tbEUlT_E_NS1_11comp_targetILNS1_3genE4ELNS1_11target_archE910ELNS1_3gpuE8ELNS1_3repE0EEENS1_30default_config_static_selectorELNS0_4arch9wavefront6targetE1EEEvT1_
; %bb.0:
	s_load_dwordx8 s[8:15], s[4:5], 0x0
	s_load_dword s2, s[4:5], 0x28
	s_waitcnt lgkmcnt(0)
	s_lshl_b64 s[0:1], s[10:11], 3
	s_add_u32 s4, s8, s0
	s_addc_u32 s5, s9, s1
	s_add_u32 s8, s14, s0
	s_addc_u32 s9, s15, s1
	s_lshl_b32 s0, s6, 11
	s_mov_b32 s1, 0
	s_add_i32 s7, s2, -1
	s_lshl_b64 s[2:3], s[0:1], 3
	s_add_u32 s4, s4, s2
	s_addc_u32 s5, s5, s3
	s_cmp_lg_u32 s6, s7
	s_mov_b64 s[6:7], -1
	s_cbranch_scc0 .LBB1043_2
; %bb.1:
	v_lshlrev_b32_e32 v1, 4, v0
	global_load_dwordx4 v[2:5], v1, s[4:5]
	s_add_u32 s6, s8, s2
	s_addc_u32 s7, s9, s3
	s_waitcnt vmcnt(0)
	global_store_dwordx4 v1, v[2:5], s[6:7]
	s_mov_b64 s[6:7], 0
.LBB1043_2:
	s_andn2_b64 vcc, exec, s[6:7]
	s_cbranch_vccnz .LBB1043_11
; %bb.3:
	s_sub_i32 s6, s12, s0
	v_cmp_gt_u32_e32 vcc, s6, v0
	v_lshlrev_b32_e32 v1, 3, v0
                                        ; implicit-def: $vgpr2_vgpr3_vgpr4_vgpr5
	s_and_saveexec_b64 s[0:1], vcc
	s_cbranch_execz .LBB1043_5
; %bb.4:
	global_load_dwordx2 v[2:3], v1, s[4:5]
.LBB1043_5:
	s_or_b64 exec, exec, s[0:1]
	v_or_b32_e32 v0, 0x400, v0
	v_cmp_gt_u32_e64 s[0:1], s6, v0
	s_and_saveexec_b64 s[6:7], s[0:1]
	s_cbranch_execz .LBB1043_7
; %bb.6:
	v_lshlrev_b32_e32 v0, 3, v0
	global_load_dwordx2 v[4:5], v0, s[4:5]
.LBB1043_7:
	s_or_b64 exec, exec, s[6:7]
	s_add_u32 s2, s8, s2
	s_addc_u32 s3, s9, s3
	v_mov_b32_e32 v6, s3
	v_add_co_u32_e64 v0, s[2:3], s2, v1
	v_addc_co_u32_e64 v1, s[2:3], 0, v6, s[2:3]
	s_and_saveexec_b64 s[2:3], vcc
	s_cbranch_execz .LBB1043_9
; %bb.8:
	s_waitcnt vmcnt(0)
	global_store_dwordx2 v[0:1], v[2:3], off
.LBB1043_9:
	s_or_b64 exec, exec, s[2:3]
	s_and_saveexec_b64 s[2:3], s[0:1]
	s_cbranch_execz .LBB1043_11
; %bb.10:
	v_add_co_u32_e32 v0, vcc, 0x2000, v0
	v_addc_co_u32_e32 v1, vcc, 0, v1, vcc
	s_waitcnt vmcnt(0)
	global_store_dwordx2 v[0:1], v[4:5], off
.LBB1043_11:
	s_endpgm
	.section	.rodata,"a",@progbits
	.p2align	6, 0x0
	.amdhsa_kernel _ZN7rocprim17ROCPRIM_400000_NS6detail17trampoline_kernelINS0_14default_configENS1_25transform_config_selectorIxLb1EEEZNS1_14transform_implILb1ES3_S5_PxS7_NS0_8identityIxEEEE10hipError_tT2_T3_mT4_P12ihipStream_tbEUlT_E_NS1_11comp_targetILNS1_3genE4ELNS1_11target_archE910ELNS1_3gpuE8ELNS1_3repE0EEENS1_30default_config_static_selectorELNS0_4arch9wavefront6targetE1EEEvT1_
		.amdhsa_group_segment_fixed_size 0
		.amdhsa_private_segment_fixed_size 0
		.amdhsa_kernarg_size 296
		.amdhsa_user_sgpr_count 6
		.amdhsa_user_sgpr_private_segment_buffer 1
		.amdhsa_user_sgpr_dispatch_ptr 0
		.amdhsa_user_sgpr_queue_ptr 0
		.amdhsa_user_sgpr_kernarg_segment_ptr 1
		.amdhsa_user_sgpr_dispatch_id 0
		.amdhsa_user_sgpr_flat_scratch_init 0
		.amdhsa_user_sgpr_kernarg_preload_length 0
		.amdhsa_user_sgpr_kernarg_preload_offset 0
		.amdhsa_user_sgpr_private_segment_size 0
		.amdhsa_uses_dynamic_stack 0
		.amdhsa_system_sgpr_private_segment_wavefront_offset 0
		.amdhsa_system_sgpr_workgroup_id_x 1
		.amdhsa_system_sgpr_workgroup_id_y 0
		.amdhsa_system_sgpr_workgroup_id_z 0
		.amdhsa_system_sgpr_workgroup_info 0
		.amdhsa_system_vgpr_workitem_id 0
		.amdhsa_next_free_vgpr 7
		.amdhsa_next_free_sgpr 16
		.amdhsa_accum_offset 8
		.amdhsa_reserve_vcc 1
		.amdhsa_reserve_flat_scratch 0
		.amdhsa_float_round_mode_32 0
		.amdhsa_float_round_mode_16_64 0
		.amdhsa_float_denorm_mode_32 3
		.amdhsa_float_denorm_mode_16_64 3
		.amdhsa_dx10_clamp 1
		.amdhsa_ieee_mode 1
		.amdhsa_fp16_overflow 0
		.amdhsa_tg_split 0
		.amdhsa_exception_fp_ieee_invalid_op 0
		.amdhsa_exception_fp_denorm_src 0
		.amdhsa_exception_fp_ieee_div_zero 0
		.amdhsa_exception_fp_ieee_overflow 0
		.amdhsa_exception_fp_ieee_underflow 0
		.amdhsa_exception_fp_ieee_inexact 0
		.amdhsa_exception_int_div_zero 0
	.end_amdhsa_kernel
	.section	.text._ZN7rocprim17ROCPRIM_400000_NS6detail17trampoline_kernelINS0_14default_configENS1_25transform_config_selectorIxLb1EEEZNS1_14transform_implILb1ES3_S5_PxS7_NS0_8identityIxEEEE10hipError_tT2_T3_mT4_P12ihipStream_tbEUlT_E_NS1_11comp_targetILNS1_3genE4ELNS1_11target_archE910ELNS1_3gpuE8ELNS1_3repE0EEENS1_30default_config_static_selectorELNS0_4arch9wavefront6targetE1EEEvT1_,"axG",@progbits,_ZN7rocprim17ROCPRIM_400000_NS6detail17trampoline_kernelINS0_14default_configENS1_25transform_config_selectorIxLb1EEEZNS1_14transform_implILb1ES3_S5_PxS7_NS0_8identityIxEEEE10hipError_tT2_T3_mT4_P12ihipStream_tbEUlT_E_NS1_11comp_targetILNS1_3genE4ELNS1_11target_archE910ELNS1_3gpuE8ELNS1_3repE0EEENS1_30default_config_static_selectorELNS0_4arch9wavefront6targetE1EEEvT1_,comdat
.Lfunc_end1043:
	.size	_ZN7rocprim17ROCPRIM_400000_NS6detail17trampoline_kernelINS0_14default_configENS1_25transform_config_selectorIxLb1EEEZNS1_14transform_implILb1ES3_S5_PxS7_NS0_8identityIxEEEE10hipError_tT2_T3_mT4_P12ihipStream_tbEUlT_E_NS1_11comp_targetILNS1_3genE4ELNS1_11target_archE910ELNS1_3gpuE8ELNS1_3repE0EEENS1_30default_config_static_selectorELNS0_4arch9wavefront6targetE1EEEvT1_, .Lfunc_end1043-_ZN7rocprim17ROCPRIM_400000_NS6detail17trampoline_kernelINS0_14default_configENS1_25transform_config_selectorIxLb1EEEZNS1_14transform_implILb1ES3_S5_PxS7_NS0_8identityIxEEEE10hipError_tT2_T3_mT4_P12ihipStream_tbEUlT_E_NS1_11comp_targetILNS1_3genE4ELNS1_11target_archE910ELNS1_3gpuE8ELNS1_3repE0EEENS1_30default_config_static_selectorELNS0_4arch9wavefront6targetE1EEEvT1_
                                        ; -- End function
	.section	.AMDGPU.csdata,"",@progbits
; Kernel info:
; codeLenInByte = 280
; NumSgprs: 20
; NumVgprs: 7
; NumAgprs: 0
; TotalNumVgprs: 7
; ScratchSize: 0
; MemoryBound: 1
; FloatMode: 240
; IeeeMode: 1
; LDSByteSize: 0 bytes/workgroup (compile time only)
; SGPRBlocks: 2
; VGPRBlocks: 0
; NumSGPRsForWavesPerEU: 20
; NumVGPRsForWavesPerEU: 7
; AccumOffset: 8
; Occupancy: 8
; WaveLimiterHint : 0
; COMPUTE_PGM_RSRC2:SCRATCH_EN: 0
; COMPUTE_PGM_RSRC2:USER_SGPR: 6
; COMPUTE_PGM_RSRC2:TRAP_HANDLER: 0
; COMPUTE_PGM_RSRC2:TGID_X_EN: 1
; COMPUTE_PGM_RSRC2:TGID_Y_EN: 0
; COMPUTE_PGM_RSRC2:TGID_Z_EN: 0
; COMPUTE_PGM_RSRC2:TIDIG_COMP_CNT: 0
; COMPUTE_PGM_RSRC3_GFX90A:ACCUM_OFFSET: 1
; COMPUTE_PGM_RSRC3_GFX90A:TG_SPLIT: 0
	.section	.text._ZN7rocprim17ROCPRIM_400000_NS6detail17trampoline_kernelINS0_14default_configENS1_25transform_config_selectorIxLb1EEEZNS1_14transform_implILb1ES3_S5_PxS7_NS0_8identityIxEEEE10hipError_tT2_T3_mT4_P12ihipStream_tbEUlT_E_NS1_11comp_targetILNS1_3genE3ELNS1_11target_archE908ELNS1_3gpuE7ELNS1_3repE0EEENS1_30default_config_static_selectorELNS0_4arch9wavefront6targetE1EEEvT1_,"axG",@progbits,_ZN7rocprim17ROCPRIM_400000_NS6detail17trampoline_kernelINS0_14default_configENS1_25transform_config_selectorIxLb1EEEZNS1_14transform_implILb1ES3_S5_PxS7_NS0_8identityIxEEEE10hipError_tT2_T3_mT4_P12ihipStream_tbEUlT_E_NS1_11comp_targetILNS1_3genE3ELNS1_11target_archE908ELNS1_3gpuE7ELNS1_3repE0EEENS1_30default_config_static_selectorELNS0_4arch9wavefront6targetE1EEEvT1_,comdat
	.protected	_ZN7rocprim17ROCPRIM_400000_NS6detail17trampoline_kernelINS0_14default_configENS1_25transform_config_selectorIxLb1EEEZNS1_14transform_implILb1ES3_S5_PxS7_NS0_8identityIxEEEE10hipError_tT2_T3_mT4_P12ihipStream_tbEUlT_E_NS1_11comp_targetILNS1_3genE3ELNS1_11target_archE908ELNS1_3gpuE7ELNS1_3repE0EEENS1_30default_config_static_selectorELNS0_4arch9wavefront6targetE1EEEvT1_ ; -- Begin function _ZN7rocprim17ROCPRIM_400000_NS6detail17trampoline_kernelINS0_14default_configENS1_25transform_config_selectorIxLb1EEEZNS1_14transform_implILb1ES3_S5_PxS7_NS0_8identityIxEEEE10hipError_tT2_T3_mT4_P12ihipStream_tbEUlT_E_NS1_11comp_targetILNS1_3genE3ELNS1_11target_archE908ELNS1_3gpuE7ELNS1_3repE0EEENS1_30default_config_static_selectorELNS0_4arch9wavefront6targetE1EEEvT1_
	.globl	_ZN7rocprim17ROCPRIM_400000_NS6detail17trampoline_kernelINS0_14default_configENS1_25transform_config_selectorIxLb1EEEZNS1_14transform_implILb1ES3_S5_PxS7_NS0_8identityIxEEEE10hipError_tT2_T3_mT4_P12ihipStream_tbEUlT_E_NS1_11comp_targetILNS1_3genE3ELNS1_11target_archE908ELNS1_3gpuE7ELNS1_3repE0EEENS1_30default_config_static_selectorELNS0_4arch9wavefront6targetE1EEEvT1_
	.p2align	8
	.type	_ZN7rocprim17ROCPRIM_400000_NS6detail17trampoline_kernelINS0_14default_configENS1_25transform_config_selectorIxLb1EEEZNS1_14transform_implILb1ES3_S5_PxS7_NS0_8identityIxEEEE10hipError_tT2_T3_mT4_P12ihipStream_tbEUlT_E_NS1_11comp_targetILNS1_3genE3ELNS1_11target_archE908ELNS1_3gpuE7ELNS1_3repE0EEENS1_30default_config_static_selectorELNS0_4arch9wavefront6targetE1EEEvT1_,@function
_ZN7rocprim17ROCPRIM_400000_NS6detail17trampoline_kernelINS0_14default_configENS1_25transform_config_selectorIxLb1EEEZNS1_14transform_implILb1ES3_S5_PxS7_NS0_8identityIxEEEE10hipError_tT2_T3_mT4_P12ihipStream_tbEUlT_E_NS1_11comp_targetILNS1_3genE3ELNS1_11target_archE908ELNS1_3gpuE7ELNS1_3repE0EEENS1_30default_config_static_selectorELNS0_4arch9wavefront6targetE1EEEvT1_: ; @_ZN7rocprim17ROCPRIM_400000_NS6detail17trampoline_kernelINS0_14default_configENS1_25transform_config_selectorIxLb1EEEZNS1_14transform_implILb1ES3_S5_PxS7_NS0_8identityIxEEEE10hipError_tT2_T3_mT4_P12ihipStream_tbEUlT_E_NS1_11comp_targetILNS1_3genE3ELNS1_11target_archE908ELNS1_3gpuE7ELNS1_3repE0EEENS1_30default_config_static_selectorELNS0_4arch9wavefront6targetE1EEEvT1_
; %bb.0:
	.section	.rodata,"a",@progbits
	.p2align	6, 0x0
	.amdhsa_kernel _ZN7rocprim17ROCPRIM_400000_NS6detail17trampoline_kernelINS0_14default_configENS1_25transform_config_selectorIxLb1EEEZNS1_14transform_implILb1ES3_S5_PxS7_NS0_8identityIxEEEE10hipError_tT2_T3_mT4_P12ihipStream_tbEUlT_E_NS1_11comp_targetILNS1_3genE3ELNS1_11target_archE908ELNS1_3gpuE7ELNS1_3repE0EEENS1_30default_config_static_selectorELNS0_4arch9wavefront6targetE1EEEvT1_
		.amdhsa_group_segment_fixed_size 0
		.amdhsa_private_segment_fixed_size 0
		.amdhsa_kernarg_size 40
		.amdhsa_user_sgpr_count 6
		.amdhsa_user_sgpr_private_segment_buffer 1
		.amdhsa_user_sgpr_dispatch_ptr 0
		.amdhsa_user_sgpr_queue_ptr 0
		.amdhsa_user_sgpr_kernarg_segment_ptr 1
		.amdhsa_user_sgpr_dispatch_id 0
		.amdhsa_user_sgpr_flat_scratch_init 0
		.amdhsa_user_sgpr_kernarg_preload_length 0
		.amdhsa_user_sgpr_kernarg_preload_offset 0
		.amdhsa_user_sgpr_private_segment_size 0
		.amdhsa_uses_dynamic_stack 0
		.amdhsa_system_sgpr_private_segment_wavefront_offset 0
		.amdhsa_system_sgpr_workgroup_id_x 1
		.amdhsa_system_sgpr_workgroup_id_y 0
		.amdhsa_system_sgpr_workgroup_id_z 0
		.amdhsa_system_sgpr_workgroup_info 0
		.amdhsa_system_vgpr_workitem_id 0
		.amdhsa_next_free_vgpr 1
		.amdhsa_next_free_sgpr 0
		.amdhsa_accum_offset 4
		.amdhsa_reserve_vcc 0
		.amdhsa_reserve_flat_scratch 0
		.amdhsa_float_round_mode_32 0
		.amdhsa_float_round_mode_16_64 0
		.amdhsa_float_denorm_mode_32 3
		.amdhsa_float_denorm_mode_16_64 3
		.amdhsa_dx10_clamp 1
		.amdhsa_ieee_mode 1
		.amdhsa_fp16_overflow 0
		.amdhsa_tg_split 0
		.amdhsa_exception_fp_ieee_invalid_op 0
		.amdhsa_exception_fp_denorm_src 0
		.amdhsa_exception_fp_ieee_div_zero 0
		.amdhsa_exception_fp_ieee_overflow 0
		.amdhsa_exception_fp_ieee_underflow 0
		.amdhsa_exception_fp_ieee_inexact 0
		.amdhsa_exception_int_div_zero 0
	.end_amdhsa_kernel
	.section	.text._ZN7rocprim17ROCPRIM_400000_NS6detail17trampoline_kernelINS0_14default_configENS1_25transform_config_selectorIxLb1EEEZNS1_14transform_implILb1ES3_S5_PxS7_NS0_8identityIxEEEE10hipError_tT2_T3_mT4_P12ihipStream_tbEUlT_E_NS1_11comp_targetILNS1_3genE3ELNS1_11target_archE908ELNS1_3gpuE7ELNS1_3repE0EEENS1_30default_config_static_selectorELNS0_4arch9wavefront6targetE1EEEvT1_,"axG",@progbits,_ZN7rocprim17ROCPRIM_400000_NS6detail17trampoline_kernelINS0_14default_configENS1_25transform_config_selectorIxLb1EEEZNS1_14transform_implILb1ES3_S5_PxS7_NS0_8identityIxEEEE10hipError_tT2_T3_mT4_P12ihipStream_tbEUlT_E_NS1_11comp_targetILNS1_3genE3ELNS1_11target_archE908ELNS1_3gpuE7ELNS1_3repE0EEENS1_30default_config_static_selectorELNS0_4arch9wavefront6targetE1EEEvT1_,comdat
.Lfunc_end1044:
	.size	_ZN7rocprim17ROCPRIM_400000_NS6detail17trampoline_kernelINS0_14default_configENS1_25transform_config_selectorIxLb1EEEZNS1_14transform_implILb1ES3_S5_PxS7_NS0_8identityIxEEEE10hipError_tT2_T3_mT4_P12ihipStream_tbEUlT_E_NS1_11comp_targetILNS1_3genE3ELNS1_11target_archE908ELNS1_3gpuE7ELNS1_3repE0EEENS1_30default_config_static_selectorELNS0_4arch9wavefront6targetE1EEEvT1_, .Lfunc_end1044-_ZN7rocprim17ROCPRIM_400000_NS6detail17trampoline_kernelINS0_14default_configENS1_25transform_config_selectorIxLb1EEEZNS1_14transform_implILb1ES3_S5_PxS7_NS0_8identityIxEEEE10hipError_tT2_T3_mT4_P12ihipStream_tbEUlT_E_NS1_11comp_targetILNS1_3genE3ELNS1_11target_archE908ELNS1_3gpuE7ELNS1_3repE0EEENS1_30default_config_static_selectorELNS0_4arch9wavefront6targetE1EEEvT1_
                                        ; -- End function
	.section	.AMDGPU.csdata,"",@progbits
; Kernel info:
; codeLenInByte = 0
; NumSgprs: 4
; NumVgprs: 0
; NumAgprs: 0
; TotalNumVgprs: 0
; ScratchSize: 0
; MemoryBound: 0
; FloatMode: 240
; IeeeMode: 1
; LDSByteSize: 0 bytes/workgroup (compile time only)
; SGPRBlocks: 0
; VGPRBlocks: 0
; NumSGPRsForWavesPerEU: 4
; NumVGPRsForWavesPerEU: 1
; AccumOffset: 4
; Occupancy: 8
; WaveLimiterHint : 0
; COMPUTE_PGM_RSRC2:SCRATCH_EN: 0
; COMPUTE_PGM_RSRC2:USER_SGPR: 6
; COMPUTE_PGM_RSRC2:TRAP_HANDLER: 0
; COMPUTE_PGM_RSRC2:TGID_X_EN: 1
; COMPUTE_PGM_RSRC2:TGID_Y_EN: 0
; COMPUTE_PGM_RSRC2:TGID_Z_EN: 0
; COMPUTE_PGM_RSRC2:TIDIG_COMP_CNT: 0
; COMPUTE_PGM_RSRC3_GFX90A:ACCUM_OFFSET: 0
; COMPUTE_PGM_RSRC3_GFX90A:TG_SPLIT: 0
	.section	.text._ZN7rocprim17ROCPRIM_400000_NS6detail17trampoline_kernelINS0_14default_configENS1_25transform_config_selectorIxLb1EEEZNS1_14transform_implILb1ES3_S5_PxS7_NS0_8identityIxEEEE10hipError_tT2_T3_mT4_P12ihipStream_tbEUlT_E_NS1_11comp_targetILNS1_3genE2ELNS1_11target_archE906ELNS1_3gpuE6ELNS1_3repE0EEENS1_30default_config_static_selectorELNS0_4arch9wavefront6targetE1EEEvT1_,"axG",@progbits,_ZN7rocprim17ROCPRIM_400000_NS6detail17trampoline_kernelINS0_14default_configENS1_25transform_config_selectorIxLb1EEEZNS1_14transform_implILb1ES3_S5_PxS7_NS0_8identityIxEEEE10hipError_tT2_T3_mT4_P12ihipStream_tbEUlT_E_NS1_11comp_targetILNS1_3genE2ELNS1_11target_archE906ELNS1_3gpuE6ELNS1_3repE0EEENS1_30default_config_static_selectorELNS0_4arch9wavefront6targetE1EEEvT1_,comdat
	.protected	_ZN7rocprim17ROCPRIM_400000_NS6detail17trampoline_kernelINS0_14default_configENS1_25transform_config_selectorIxLb1EEEZNS1_14transform_implILb1ES3_S5_PxS7_NS0_8identityIxEEEE10hipError_tT2_T3_mT4_P12ihipStream_tbEUlT_E_NS1_11comp_targetILNS1_3genE2ELNS1_11target_archE906ELNS1_3gpuE6ELNS1_3repE0EEENS1_30default_config_static_selectorELNS0_4arch9wavefront6targetE1EEEvT1_ ; -- Begin function _ZN7rocprim17ROCPRIM_400000_NS6detail17trampoline_kernelINS0_14default_configENS1_25transform_config_selectorIxLb1EEEZNS1_14transform_implILb1ES3_S5_PxS7_NS0_8identityIxEEEE10hipError_tT2_T3_mT4_P12ihipStream_tbEUlT_E_NS1_11comp_targetILNS1_3genE2ELNS1_11target_archE906ELNS1_3gpuE6ELNS1_3repE0EEENS1_30default_config_static_selectorELNS0_4arch9wavefront6targetE1EEEvT1_
	.globl	_ZN7rocprim17ROCPRIM_400000_NS6detail17trampoline_kernelINS0_14default_configENS1_25transform_config_selectorIxLb1EEEZNS1_14transform_implILb1ES3_S5_PxS7_NS0_8identityIxEEEE10hipError_tT2_T3_mT4_P12ihipStream_tbEUlT_E_NS1_11comp_targetILNS1_3genE2ELNS1_11target_archE906ELNS1_3gpuE6ELNS1_3repE0EEENS1_30default_config_static_selectorELNS0_4arch9wavefront6targetE1EEEvT1_
	.p2align	8
	.type	_ZN7rocprim17ROCPRIM_400000_NS6detail17trampoline_kernelINS0_14default_configENS1_25transform_config_selectorIxLb1EEEZNS1_14transform_implILb1ES3_S5_PxS7_NS0_8identityIxEEEE10hipError_tT2_T3_mT4_P12ihipStream_tbEUlT_E_NS1_11comp_targetILNS1_3genE2ELNS1_11target_archE906ELNS1_3gpuE6ELNS1_3repE0EEENS1_30default_config_static_selectorELNS0_4arch9wavefront6targetE1EEEvT1_,@function
_ZN7rocprim17ROCPRIM_400000_NS6detail17trampoline_kernelINS0_14default_configENS1_25transform_config_selectorIxLb1EEEZNS1_14transform_implILb1ES3_S5_PxS7_NS0_8identityIxEEEE10hipError_tT2_T3_mT4_P12ihipStream_tbEUlT_E_NS1_11comp_targetILNS1_3genE2ELNS1_11target_archE906ELNS1_3gpuE6ELNS1_3repE0EEENS1_30default_config_static_selectorELNS0_4arch9wavefront6targetE1EEEvT1_: ; @_ZN7rocprim17ROCPRIM_400000_NS6detail17trampoline_kernelINS0_14default_configENS1_25transform_config_selectorIxLb1EEEZNS1_14transform_implILb1ES3_S5_PxS7_NS0_8identityIxEEEE10hipError_tT2_T3_mT4_P12ihipStream_tbEUlT_E_NS1_11comp_targetILNS1_3genE2ELNS1_11target_archE906ELNS1_3gpuE6ELNS1_3repE0EEENS1_30default_config_static_selectorELNS0_4arch9wavefront6targetE1EEEvT1_
; %bb.0:
	.section	.rodata,"a",@progbits
	.p2align	6, 0x0
	.amdhsa_kernel _ZN7rocprim17ROCPRIM_400000_NS6detail17trampoline_kernelINS0_14default_configENS1_25transform_config_selectorIxLb1EEEZNS1_14transform_implILb1ES3_S5_PxS7_NS0_8identityIxEEEE10hipError_tT2_T3_mT4_P12ihipStream_tbEUlT_E_NS1_11comp_targetILNS1_3genE2ELNS1_11target_archE906ELNS1_3gpuE6ELNS1_3repE0EEENS1_30default_config_static_selectorELNS0_4arch9wavefront6targetE1EEEvT1_
		.amdhsa_group_segment_fixed_size 0
		.amdhsa_private_segment_fixed_size 0
		.amdhsa_kernarg_size 40
		.amdhsa_user_sgpr_count 6
		.amdhsa_user_sgpr_private_segment_buffer 1
		.amdhsa_user_sgpr_dispatch_ptr 0
		.amdhsa_user_sgpr_queue_ptr 0
		.amdhsa_user_sgpr_kernarg_segment_ptr 1
		.amdhsa_user_sgpr_dispatch_id 0
		.amdhsa_user_sgpr_flat_scratch_init 0
		.amdhsa_user_sgpr_kernarg_preload_length 0
		.amdhsa_user_sgpr_kernarg_preload_offset 0
		.amdhsa_user_sgpr_private_segment_size 0
		.amdhsa_uses_dynamic_stack 0
		.amdhsa_system_sgpr_private_segment_wavefront_offset 0
		.amdhsa_system_sgpr_workgroup_id_x 1
		.amdhsa_system_sgpr_workgroup_id_y 0
		.amdhsa_system_sgpr_workgroup_id_z 0
		.amdhsa_system_sgpr_workgroup_info 0
		.amdhsa_system_vgpr_workitem_id 0
		.amdhsa_next_free_vgpr 1
		.amdhsa_next_free_sgpr 0
		.amdhsa_accum_offset 4
		.amdhsa_reserve_vcc 0
		.amdhsa_reserve_flat_scratch 0
		.amdhsa_float_round_mode_32 0
		.amdhsa_float_round_mode_16_64 0
		.amdhsa_float_denorm_mode_32 3
		.amdhsa_float_denorm_mode_16_64 3
		.amdhsa_dx10_clamp 1
		.amdhsa_ieee_mode 1
		.amdhsa_fp16_overflow 0
		.amdhsa_tg_split 0
		.amdhsa_exception_fp_ieee_invalid_op 0
		.amdhsa_exception_fp_denorm_src 0
		.amdhsa_exception_fp_ieee_div_zero 0
		.amdhsa_exception_fp_ieee_overflow 0
		.amdhsa_exception_fp_ieee_underflow 0
		.amdhsa_exception_fp_ieee_inexact 0
		.amdhsa_exception_int_div_zero 0
	.end_amdhsa_kernel
	.section	.text._ZN7rocprim17ROCPRIM_400000_NS6detail17trampoline_kernelINS0_14default_configENS1_25transform_config_selectorIxLb1EEEZNS1_14transform_implILb1ES3_S5_PxS7_NS0_8identityIxEEEE10hipError_tT2_T3_mT4_P12ihipStream_tbEUlT_E_NS1_11comp_targetILNS1_3genE2ELNS1_11target_archE906ELNS1_3gpuE6ELNS1_3repE0EEENS1_30default_config_static_selectorELNS0_4arch9wavefront6targetE1EEEvT1_,"axG",@progbits,_ZN7rocprim17ROCPRIM_400000_NS6detail17trampoline_kernelINS0_14default_configENS1_25transform_config_selectorIxLb1EEEZNS1_14transform_implILb1ES3_S5_PxS7_NS0_8identityIxEEEE10hipError_tT2_T3_mT4_P12ihipStream_tbEUlT_E_NS1_11comp_targetILNS1_3genE2ELNS1_11target_archE906ELNS1_3gpuE6ELNS1_3repE0EEENS1_30default_config_static_selectorELNS0_4arch9wavefront6targetE1EEEvT1_,comdat
.Lfunc_end1045:
	.size	_ZN7rocprim17ROCPRIM_400000_NS6detail17trampoline_kernelINS0_14default_configENS1_25transform_config_selectorIxLb1EEEZNS1_14transform_implILb1ES3_S5_PxS7_NS0_8identityIxEEEE10hipError_tT2_T3_mT4_P12ihipStream_tbEUlT_E_NS1_11comp_targetILNS1_3genE2ELNS1_11target_archE906ELNS1_3gpuE6ELNS1_3repE0EEENS1_30default_config_static_selectorELNS0_4arch9wavefront6targetE1EEEvT1_, .Lfunc_end1045-_ZN7rocprim17ROCPRIM_400000_NS6detail17trampoline_kernelINS0_14default_configENS1_25transform_config_selectorIxLb1EEEZNS1_14transform_implILb1ES3_S5_PxS7_NS0_8identityIxEEEE10hipError_tT2_T3_mT4_P12ihipStream_tbEUlT_E_NS1_11comp_targetILNS1_3genE2ELNS1_11target_archE906ELNS1_3gpuE6ELNS1_3repE0EEENS1_30default_config_static_selectorELNS0_4arch9wavefront6targetE1EEEvT1_
                                        ; -- End function
	.section	.AMDGPU.csdata,"",@progbits
; Kernel info:
; codeLenInByte = 0
; NumSgprs: 4
; NumVgprs: 0
; NumAgprs: 0
; TotalNumVgprs: 0
; ScratchSize: 0
; MemoryBound: 0
; FloatMode: 240
; IeeeMode: 1
; LDSByteSize: 0 bytes/workgroup (compile time only)
; SGPRBlocks: 0
; VGPRBlocks: 0
; NumSGPRsForWavesPerEU: 4
; NumVGPRsForWavesPerEU: 1
; AccumOffset: 4
; Occupancy: 8
; WaveLimiterHint : 0
; COMPUTE_PGM_RSRC2:SCRATCH_EN: 0
; COMPUTE_PGM_RSRC2:USER_SGPR: 6
; COMPUTE_PGM_RSRC2:TRAP_HANDLER: 0
; COMPUTE_PGM_RSRC2:TGID_X_EN: 1
; COMPUTE_PGM_RSRC2:TGID_Y_EN: 0
; COMPUTE_PGM_RSRC2:TGID_Z_EN: 0
; COMPUTE_PGM_RSRC2:TIDIG_COMP_CNT: 0
; COMPUTE_PGM_RSRC3_GFX90A:ACCUM_OFFSET: 0
; COMPUTE_PGM_RSRC3_GFX90A:TG_SPLIT: 0
	.section	.text._ZN7rocprim17ROCPRIM_400000_NS6detail17trampoline_kernelINS0_14default_configENS1_25transform_config_selectorIxLb1EEEZNS1_14transform_implILb1ES3_S5_PxS7_NS0_8identityIxEEEE10hipError_tT2_T3_mT4_P12ihipStream_tbEUlT_E_NS1_11comp_targetILNS1_3genE9ELNS1_11target_archE1100ELNS1_3gpuE3ELNS1_3repE0EEENS1_30default_config_static_selectorELNS0_4arch9wavefront6targetE1EEEvT1_,"axG",@progbits,_ZN7rocprim17ROCPRIM_400000_NS6detail17trampoline_kernelINS0_14default_configENS1_25transform_config_selectorIxLb1EEEZNS1_14transform_implILb1ES3_S5_PxS7_NS0_8identityIxEEEE10hipError_tT2_T3_mT4_P12ihipStream_tbEUlT_E_NS1_11comp_targetILNS1_3genE9ELNS1_11target_archE1100ELNS1_3gpuE3ELNS1_3repE0EEENS1_30default_config_static_selectorELNS0_4arch9wavefront6targetE1EEEvT1_,comdat
	.protected	_ZN7rocprim17ROCPRIM_400000_NS6detail17trampoline_kernelINS0_14default_configENS1_25transform_config_selectorIxLb1EEEZNS1_14transform_implILb1ES3_S5_PxS7_NS0_8identityIxEEEE10hipError_tT2_T3_mT4_P12ihipStream_tbEUlT_E_NS1_11comp_targetILNS1_3genE9ELNS1_11target_archE1100ELNS1_3gpuE3ELNS1_3repE0EEENS1_30default_config_static_selectorELNS0_4arch9wavefront6targetE1EEEvT1_ ; -- Begin function _ZN7rocprim17ROCPRIM_400000_NS6detail17trampoline_kernelINS0_14default_configENS1_25transform_config_selectorIxLb1EEEZNS1_14transform_implILb1ES3_S5_PxS7_NS0_8identityIxEEEE10hipError_tT2_T3_mT4_P12ihipStream_tbEUlT_E_NS1_11comp_targetILNS1_3genE9ELNS1_11target_archE1100ELNS1_3gpuE3ELNS1_3repE0EEENS1_30default_config_static_selectorELNS0_4arch9wavefront6targetE1EEEvT1_
	.globl	_ZN7rocprim17ROCPRIM_400000_NS6detail17trampoline_kernelINS0_14default_configENS1_25transform_config_selectorIxLb1EEEZNS1_14transform_implILb1ES3_S5_PxS7_NS0_8identityIxEEEE10hipError_tT2_T3_mT4_P12ihipStream_tbEUlT_E_NS1_11comp_targetILNS1_3genE9ELNS1_11target_archE1100ELNS1_3gpuE3ELNS1_3repE0EEENS1_30default_config_static_selectorELNS0_4arch9wavefront6targetE1EEEvT1_
	.p2align	8
	.type	_ZN7rocprim17ROCPRIM_400000_NS6detail17trampoline_kernelINS0_14default_configENS1_25transform_config_selectorIxLb1EEEZNS1_14transform_implILb1ES3_S5_PxS7_NS0_8identityIxEEEE10hipError_tT2_T3_mT4_P12ihipStream_tbEUlT_E_NS1_11comp_targetILNS1_3genE9ELNS1_11target_archE1100ELNS1_3gpuE3ELNS1_3repE0EEENS1_30default_config_static_selectorELNS0_4arch9wavefront6targetE1EEEvT1_,@function
_ZN7rocprim17ROCPRIM_400000_NS6detail17trampoline_kernelINS0_14default_configENS1_25transform_config_selectorIxLb1EEEZNS1_14transform_implILb1ES3_S5_PxS7_NS0_8identityIxEEEE10hipError_tT2_T3_mT4_P12ihipStream_tbEUlT_E_NS1_11comp_targetILNS1_3genE9ELNS1_11target_archE1100ELNS1_3gpuE3ELNS1_3repE0EEENS1_30default_config_static_selectorELNS0_4arch9wavefront6targetE1EEEvT1_: ; @_ZN7rocprim17ROCPRIM_400000_NS6detail17trampoline_kernelINS0_14default_configENS1_25transform_config_selectorIxLb1EEEZNS1_14transform_implILb1ES3_S5_PxS7_NS0_8identityIxEEEE10hipError_tT2_T3_mT4_P12ihipStream_tbEUlT_E_NS1_11comp_targetILNS1_3genE9ELNS1_11target_archE1100ELNS1_3gpuE3ELNS1_3repE0EEENS1_30default_config_static_selectorELNS0_4arch9wavefront6targetE1EEEvT1_
; %bb.0:
	.section	.rodata,"a",@progbits
	.p2align	6, 0x0
	.amdhsa_kernel _ZN7rocprim17ROCPRIM_400000_NS6detail17trampoline_kernelINS0_14default_configENS1_25transform_config_selectorIxLb1EEEZNS1_14transform_implILb1ES3_S5_PxS7_NS0_8identityIxEEEE10hipError_tT2_T3_mT4_P12ihipStream_tbEUlT_E_NS1_11comp_targetILNS1_3genE9ELNS1_11target_archE1100ELNS1_3gpuE3ELNS1_3repE0EEENS1_30default_config_static_selectorELNS0_4arch9wavefront6targetE1EEEvT1_
		.amdhsa_group_segment_fixed_size 0
		.amdhsa_private_segment_fixed_size 0
		.amdhsa_kernarg_size 40
		.amdhsa_user_sgpr_count 6
		.amdhsa_user_sgpr_private_segment_buffer 1
		.amdhsa_user_sgpr_dispatch_ptr 0
		.amdhsa_user_sgpr_queue_ptr 0
		.amdhsa_user_sgpr_kernarg_segment_ptr 1
		.amdhsa_user_sgpr_dispatch_id 0
		.amdhsa_user_sgpr_flat_scratch_init 0
		.amdhsa_user_sgpr_kernarg_preload_length 0
		.amdhsa_user_sgpr_kernarg_preload_offset 0
		.amdhsa_user_sgpr_private_segment_size 0
		.amdhsa_uses_dynamic_stack 0
		.amdhsa_system_sgpr_private_segment_wavefront_offset 0
		.amdhsa_system_sgpr_workgroup_id_x 1
		.amdhsa_system_sgpr_workgroup_id_y 0
		.amdhsa_system_sgpr_workgroup_id_z 0
		.amdhsa_system_sgpr_workgroup_info 0
		.amdhsa_system_vgpr_workitem_id 0
		.amdhsa_next_free_vgpr 1
		.amdhsa_next_free_sgpr 0
		.amdhsa_accum_offset 4
		.amdhsa_reserve_vcc 0
		.amdhsa_reserve_flat_scratch 0
		.amdhsa_float_round_mode_32 0
		.amdhsa_float_round_mode_16_64 0
		.amdhsa_float_denorm_mode_32 3
		.amdhsa_float_denorm_mode_16_64 3
		.amdhsa_dx10_clamp 1
		.amdhsa_ieee_mode 1
		.amdhsa_fp16_overflow 0
		.amdhsa_tg_split 0
		.amdhsa_exception_fp_ieee_invalid_op 0
		.amdhsa_exception_fp_denorm_src 0
		.amdhsa_exception_fp_ieee_div_zero 0
		.amdhsa_exception_fp_ieee_overflow 0
		.amdhsa_exception_fp_ieee_underflow 0
		.amdhsa_exception_fp_ieee_inexact 0
		.amdhsa_exception_int_div_zero 0
	.end_amdhsa_kernel
	.section	.text._ZN7rocprim17ROCPRIM_400000_NS6detail17trampoline_kernelINS0_14default_configENS1_25transform_config_selectorIxLb1EEEZNS1_14transform_implILb1ES3_S5_PxS7_NS0_8identityIxEEEE10hipError_tT2_T3_mT4_P12ihipStream_tbEUlT_E_NS1_11comp_targetILNS1_3genE9ELNS1_11target_archE1100ELNS1_3gpuE3ELNS1_3repE0EEENS1_30default_config_static_selectorELNS0_4arch9wavefront6targetE1EEEvT1_,"axG",@progbits,_ZN7rocprim17ROCPRIM_400000_NS6detail17trampoline_kernelINS0_14default_configENS1_25transform_config_selectorIxLb1EEEZNS1_14transform_implILb1ES3_S5_PxS7_NS0_8identityIxEEEE10hipError_tT2_T3_mT4_P12ihipStream_tbEUlT_E_NS1_11comp_targetILNS1_3genE9ELNS1_11target_archE1100ELNS1_3gpuE3ELNS1_3repE0EEENS1_30default_config_static_selectorELNS0_4arch9wavefront6targetE1EEEvT1_,comdat
.Lfunc_end1046:
	.size	_ZN7rocprim17ROCPRIM_400000_NS6detail17trampoline_kernelINS0_14default_configENS1_25transform_config_selectorIxLb1EEEZNS1_14transform_implILb1ES3_S5_PxS7_NS0_8identityIxEEEE10hipError_tT2_T3_mT4_P12ihipStream_tbEUlT_E_NS1_11comp_targetILNS1_3genE9ELNS1_11target_archE1100ELNS1_3gpuE3ELNS1_3repE0EEENS1_30default_config_static_selectorELNS0_4arch9wavefront6targetE1EEEvT1_, .Lfunc_end1046-_ZN7rocprim17ROCPRIM_400000_NS6detail17trampoline_kernelINS0_14default_configENS1_25transform_config_selectorIxLb1EEEZNS1_14transform_implILb1ES3_S5_PxS7_NS0_8identityIxEEEE10hipError_tT2_T3_mT4_P12ihipStream_tbEUlT_E_NS1_11comp_targetILNS1_3genE9ELNS1_11target_archE1100ELNS1_3gpuE3ELNS1_3repE0EEENS1_30default_config_static_selectorELNS0_4arch9wavefront6targetE1EEEvT1_
                                        ; -- End function
	.section	.AMDGPU.csdata,"",@progbits
; Kernel info:
; codeLenInByte = 0
; NumSgprs: 4
; NumVgprs: 0
; NumAgprs: 0
; TotalNumVgprs: 0
; ScratchSize: 0
; MemoryBound: 0
; FloatMode: 240
; IeeeMode: 1
; LDSByteSize: 0 bytes/workgroup (compile time only)
; SGPRBlocks: 0
; VGPRBlocks: 0
; NumSGPRsForWavesPerEU: 4
; NumVGPRsForWavesPerEU: 1
; AccumOffset: 4
; Occupancy: 8
; WaveLimiterHint : 0
; COMPUTE_PGM_RSRC2:SCRATCH_EN: 0
; COMPUTE_PGM_RSRC2:USER_SGPR: 6
; COMPUTE_PGM_RSRC2:TRAP_HANDLER: 0
; COMPUTE_PGM_RSRC2:TGID_X_EN: 1
; COMPUTE_PGM_RSRC2:TGID_Y_EN: 0
; COMPUTE_PGM_RSRC2:TGID_Z_EN: 0
; COMPUTE_PGM_RSRC2:TIDIG_COMP_CNT: 0
; COMPUTE_PGM_RSRC3_GFX90A:ACCUM_OFFSET: 0
; COMPUTE_PGM_RSRC3_GFX90A:TG_SPLIT: 0
	.section	.text._ZN7rocprim17ROCPRIM_400000_NS6detail17trampoline_kernelINS0_14default_configENS1_25transform_config_selectorIxLb1EEEZNS1_14transform_implILb1ES3_S5_PxS7_NS0_8identityIxEEEE10hipError_tT2_T3_mT4_P12ihipStream_tbEUlT_E_NS1_11comp_targetILNS1_3genE8ELNS1_11target_archE1030ELNS1_3gpuE2ELNS1_3repE0EEENS1_30default_config_static_selectorELNS0_4arch9wavefront6targetE1EEEvT1_,"axG",@progbits,_ZN7rocprim17ROCPRIM_400000_NS6detail17trampoline_kernelINS0_14default_configENS1_25transform_config_selectorIxLb1EEEZNS1_14transform_implILb1ES3_S5_PxS7_NS0_8identityIxEEEE10hipError_tT2_T3_mT4_P12ihipStream_tbEUlT_E_NS1_11comp_targetILNS1_3genE8ELNS1_11target_archE1030ELNS1_3gpuE2ELNS1_3repE0EEENS1_30default_config_static_selectorELNS0_4arch9wavefront6targetE1EEEvT1_,comdat
	.protected	_ZN7rocprim17ROCPRIM_400000_NS6detail17trampoline_kernelINS0_14default_configENS1_25transform_config_selectorIxLb1EEEZNS1_14transform_implILb1ES3_S5_PxS7_NS0_8identityIxEEEE10hipError_tT2_T3_mT4_P12ihipStream_tbEUlT_E_NS1_11comp_targetILNS1_3genE8ELNS1_11target_archE1030ELNS1_3gpuE2ELNS1_3repE0EEENS1_30default_config_static_selectorELNS0_4arch9wavefront6targetE1EEEvT1_ ; -- Begin function _ZN7rocprim17ROCPRIM_400000_NS6detail17trampoline_kernelINS0_14default_configENS1_25transform_config_selectorIxLb1EEEZNS1_14transform_implILb1ES3_S5_PxS7_NS0_8identityIxEEEE10hipError_tT2_T3_mT4_P12ihipStream_tbEUlT_E_NS1_11comp_targetILNS1_3genE8ELNS1_11target_archE1030ELNS1_3gpuE2ELNS1_3repE0EEENS1_30default_config_static_selectorELNS0_4arch9wavefront6targetE1EEEvT1_
	.globl	_ZN7rocprim17ROCPRIM_400000_NS6detail17trampoline_kernelINS0_14default_configENS1_25transform_config_selectorIxLb1EEEZNS1_14transform_implILb1ES3_S5_PxS7_NS0_8identityIxEEEE10hipError_tT2_T3_mT4_P12ihipStream_tbEUlT_E_NS1_11comp_targetILNS1_3genE8ELNS1_11target_archE1030ELNS1_3gpuE2ELNS1_3repE0EEENS1_30default_config_static_selectorELNS0_4arch9wavefront6targetE1EEEvT1_
	.p2align	8
	.type	_ZN7rocprim17ROCPRIM_400000_NS6detail17trampoline_kernelINS0_14default_configENS1_25transform_config_selectorIxLb1EEEZNS1_14transform_implILb1ES3_S5_PxS7_NS0_8identityIxEEEE10hipError_tT2_T3_mT4_P12ihipStream_tbEUlT_E_NS1_11comp_targetILNS1_3genE8ELNS1_11target_archE1030ELNS1_3gpuE2ELNS1_3repE0EEENS1_30default_config_static_selectorELNS0_4arch9wavefront6targetE1EEEvT1_,@function
_ZN7rocprim17ROCPRIM_400000_NS6detail17trampoline_kernelINS0_14default_configENS1_25transform_config_selectorIxLb1EEEZNS1_14transform_implILb1ES3_S5_PxS7_NS0_8identityIxEEEE10hipError_tT2_T3_mT4_P12ihipStream_tbEUlT_E_NS1_11comp_targetILNS1_3genE8ELNS1_11target_archE1030ELNS1_3gpuE2ELNS1_3repE0EEENS1_30default_config_static_selectorELNS0_4arch9wavefront6targetE1EEEvT1_: ; @_ZN7rocprim17ROCPRIM_400000_NS6detail17trampoline_kernelINS0_14default_configENS1_25transform_config_selectorIxLb1EEEZNS1_14transform_implILb1ES3_S5_PxS7_NS0_8identityIxEEEE10hipError_tT2_T3_mT4_P12ihipStream_tbEUlT_E_NS1_11comp_targetILNS1_3genE8ELNS1_11target_archE1030ELNS1_3gpuE2ELNS1_3repE0EEENS1_30default_config_static_selectorELNS0_4arch9wavefront6targetE1EEEvT1_
; %bb.0:
	.section	.rodata,"a",@progbits
	.p2align	6, 0x0
	.amdhsa_kernel _ZN7rocprim17ROCPRIM_400000_NS6detail17trampoline_kernelINS0_14default_configENS1_25transform_config_selectorIxLb1EEEZNS1_14transform_implILb1ES3_S5_PxS7_NS0_8identityIxEEEE10hipError_tT2_T3_mT4_P12ihipStream_tbEUlT_E_NS1_11comp_targetILNS1_3genE8ELNS1_11target_archE1030ELNS1_3gpuE2ELNS1_3repE0EEENS1_30default_config_static_selectorELNS0_4arch9wavefront6targetE1EEEvT1_
		.amdhsa_group_segment_fixed_size 0
		.amdhsa_private_segment_fixed_size 0
		.amdhsa_kernarg_size 40
		.amdhsa_user_sgpr_count 6
		.amdhsa_user_sgpr_private_segment_buffer 1
		.amdhsa_user_sgpr_dispatch_ptr 0
		.amdhsa_user_sgpr_queue_ptr 0
		.amdhsa_user_sgpr_kernarg_segment_ptr 1
		.amdhsa_user_sgpr_dispatch_id 0
		.amdhsa_user_sgpr_flat_scratch_init 0
		.amdhsa_user_sgpr_kernarg_preload_length 0
		.amdhsa_user_sgpr_kernarg_preload_offset 0
		.amdhsa_user_sgpr_private_segment_size 0
		.amdhsa_uses_dynamic_stack 0
		.amdhsa_system_sgpr_private_segment_wavefront_offset 0
		.amdhsa_system_sgpr_workgroup_id_x 1
		.amdhsa_system_sgpr_workgroup_id_y 0
		.amdhsa_system_sgpr_workgroup_id_z 0
		.amdhsa_system_sgpr_workgroup_info 0
		.amdhsa_system_vgpr_workitem_id 0
		.amdhsa_next_free_vgpr 1
		.amdhsa_next_free_sgpr 0
		.amdhsa_accum_offset 4
		.amdhsa_reserve_vcc 0
		.amdhsa_reserve_flat_scratch 0
		.amdhsa_float_round_mode_32 0
		.amdhsa_float_round_mode_16_64 0
		.amdhsa_float_denorm_mode_32 3
		.amdhsa_float_denorm_mode_16_64 3
		.amdhsa_dx10_clamp 1
		.amdhsa_ieee_mode 1
		.amdhsa_fp16_overflow 0
		.amdhsa_tg_split 0
		.amdhsa_exception_fp_ieee_invalid_op 0
		.amdhsa_exception_fp_denorm_src 0
		.amdhsa_exception_fp_ieee_div_zero 0
		.amdhsa_exception_fp_ieee_overflow 0
		.amdhsa_exception_fp_ieee_underflow 0
		.amdhsa_exception_fp_ieee_inexact 0
		.amdhsa_exception_int_div_zero 0
	.end_amdhsa_kernel
	.section	.text._ZN7rocprim17ROCPRIM_400000_NS6detail17trampoline_kernelINS0_14default_configENS1_25transform_config_selectorIxLb1EEEZNS1_14transform_implILb1ES3_S5_PxS7_NS0_8identityIxEEEE10hipError_tT2_T3_mT4_P12ihipStream_tbEUlT_E_NS1_11comp_targetILNS1_3genE8ELNS1_11target_archE1030ELNS1_3gpuE2ELNS1_3repE0EEENS1_30default_config_static_selectorELNS0_4arch9wavefront6targetE1EEEvT1_,"axG",@progbits,_ZN7rocprim17ROCPRIM_400000_NS6detail17trampoline_kernelINS0_14default_configENS1_25transform_config_selectorIxLb1EEEZNS1_14transform_implILb1ES3_S5_PxS7_NS0_8identityIxEEEE10hipError_tT2_T3_mT4_P12ihipStream_tbEUlT_E_NS1_11comp_targetILNS1_3genE8ELNS1_11target_archE1030ELNS1_3gpuE2ELNS1_3repE0EEENS1_30default_config_static_selectorELNS0_4arch9wavefront6targetE1EEEvT1_,comdat
.Lfunc_end1047:
	.size	_ZN7rocprim17ROCPRIM_400000_NS6detail17trampoline_kernelINS0_14default_configENS1_25transform_config_selectorIxLb1EEEZNS1_14transform_implILb1ES3_S5_PxS7_NS0_8identityIxEEEE10hipError_tT2_T3_mT4_P12ihipStream_tbEUlT_E_NS1_11comp_targetILNS1_3genE8ELNS1_11target_archE1030ELNS1_3gpuE2ELNS1_3repE0EEENS1_30default_config_static_selectorELNS0_4arch9wavefront6targetE1EEEvT1_, .Lfunc_end1047-_ZN7rocprim17ROCPRIM_400000_NS6detail17trampoline_kernelINS0_14default_configENS1_25transform_config_selectorIxLb1EEEZNS1_14transform_implILb1ES3_S5_PxS7_NS0_8identityIxEEEE10hipError_tT2_T3_mT4_P12ihipStream_tbEUlT_E_NS1_11comp_targetILNS1_3genE8ELNS1_11target_archE1030ELNS1_3gpuE2ELNS1_3repE0EEENS1_30default_config_static_selectorELNS0_4arch9wavefront6targetE1EEEvT1_
                                        ; -- End function
	.section	.AMDGPU.csdata,"",@progbits
; Kernel info:
; codeLenInByte = 0
; NumSgprs: 4
; NumVgprs: 0
; NumAgprs: 0
; TotalNumVgprs: 0
; ScratchSize: 0
; MemoryBound: 0
; FloatMode: 240
; IeeeMode: 1
; LDSByteSize: 0 bytes/workgroup (compile time only)
; SGPRBlocks: 0
; VGPRBlocks: 0
; NumSGPRsForWavesPerEU: 4
; NumVGPRsForWavesPerEU: 1
; AccumOffset: 4
; Occupancy: 8
; WaveLimiterHint : 0
; COMPUTE_PGM_RSRC2:SCRATCH_EN: 0
; COMPUTE_PGM_RSRC2:USER_SGPR: 6
; COMPUTE_PGM_RSRC2:TRAP_HANDLER: 0
; COMPUTE_PGM_RSRC2:TGID_X_EN: 1
; COMPUTE_PGM_RSRC2:TGID_Y_EN: 0
; COMPUTE_PGM_RSRC2:TGID_Z_EN: 0
; COMPUTE_PGM_RSRC2:TIDIG_COMP_CNT: 0
; COMPUTE_PGM_RSRC3_GFX90A:ACCUM_OFFSET: 0
; COMPUTE_PGM_RSRC3_GFX90A:TG_SPLIT: 0
	.section	.text._ZN7rocprim17ROCPRIM_400000_NS6detail17trampoline_kernelINS0_14default_configENS1_38merge_sort_block_merge_config_selectorIxNS0_10empty_typeEEEZZNS1_27merge_sort_block_merge_implIS3_PxPS5_jNS1_19radix_merge_compareILb0ELb1ExNS0_19identity_decomposerEEEEE10hipError_tT0_T1_T2_jT3_P12ihipStream_tbPNSt15iterator_traitsISE_E10value_typeEPNSK_ISF_E10value_typeEPSG_NS1_7vsmem_tEENKUlT_SE_SF_SG_E_clIS8_S8_S9_S9_EESD_ST_SE_SF_SG_EUlST_E_NS1_11comp_targetILNS1_3genE0ELNS1_11target_archE4294967295ELNS1_3gpuE0ELNS1_3repE0EEENS1_48merge_mergepath_partition_config_static_selectorELNS0_4arch9wavefront6targetE1EEEvSF_,"axG",@progbits,_ZN7rocprim17ROCPRIM_400000_NS6detail17trampoline_kernelINS0_14default_configENS1_38merge_sort_block_merge_config_selectorIxNS0_10empty_typeEEEZZNS1_27merge_sort_block_merge_implIS3_PxPS5_jNS1_19radix_merge_compareILb0ELb1ExNS0_19identity_decomposerEEEEE10hipError_tT0_T1_T2_jT3_P12ihipStream_tbPNSt15iterator_traitsISE_E10value_typeEPNSK_ISF_E10value_typeEPSG_NS1_7vsmem_tEENKUlT_SE_SF_SG_E_clIS8_S8_S9_S9_EESD_ST_SE_SF_SG_EUlST_E_NS1_11comp_targetILNS1_3genE0ELNS1_11target_archE4294967295ELNS1_3gpuE0ELNS1_3repE0EEENS1_48merge_mergepath_partition_config_static_selectorELNS0_4arch9wavefront6targetE1EEEvSF_,comdat
	.protected	_ZN7rocprim17ROCPRIM_400000_NS6detail17trampoline_kernelINS0_14default_configENS1_38merge_sort_block_merge_config_selectorIxNS0_10empty_typeEEEZZNS1_27merge_sort_block_merge_implIS3_PxPS5_jNS1_19radix_merge_compareILb0ELb1ExNS0_19identity_decomposerEEEEE10hipError_tT0_T1_T2_jT3_P12ihipStream_tbPNSt15iterator_traitsISE_E10value_typeEPNSK_ISF_E10value_typeEPSG_NS1_7vsmem_tEENKUlT_SE_SF_SG_E_clIS8_S8_S9_S9_EESD_ST_SE_SF_SG_EUlST_E_NS1_11comp_targetILNS1_3genE0ELNS1_11target_archE4294967295ELNS1_3gpuE0ELNS1_3repE0EEENS1_48merge_mergepath_partition_config_static_selectorELNS0_4arch9wavefront6targetE1EEEvSF_ ; -- Begin function _ZN7rocprim17ROCPRIM_400000_NS6detail17trampoline_kernelINS0_14default_configENS1_38merge_sort_block_merge_config_selectorIxNS0_10empty_typeEEEZZNS1_27merge_sort_block_merge_implIS3_PxPS5_jNS1_19radix_merge_compareILb0ELb1ExNS0_19identity_decomposerEEEEE10hipError_tT0_T1_T2_jT3_P12ihipStream_tbPNSt15iterator_traitsISE_E10value_typeEPNSK_ISF_E10value_typeEPSG_NS1_7vsmem_tEENKUlT_SE_SF_SG_E_clIS8_S8_S9_S9_EESD_ST_SE_SF_SG_EUlST_E_NS1_11comp_targetILNS1_3genE0ELNS1_11target_archE4294967295ELNS1_3gpuE0ELNS1_3repE0EEENS1_48merge_mergepath_partition_config_static_selectorELNS0_4arch9wavefront6targetE1EEEvSF_
	.globl	_ZN7rocprim17ROCPRIM_400000_NS6detail17trampoline_kernelINS0_14default_configENS1_38merge_sort_block_merge_config_selectorIxNS0_10empty_typeEEEZZNS1_27merge_sort_block_merge_implIS3_PxPS5_jNS1_19radix_merge_compareILb0ELb1ExNS0_19identity_decomposerEEEEE10hipError_tT0_T1_T2_jT3_P12ihipStream_tbPNSt15iterator_traitsISE_E10value_typeEPNSK_ISF_E10value_typeEPSG_NS1_7vsmem_tEENKUlT_SE_SF_SG_E_clIS8_S8_S9_S9_EESD_ST_SE_SF_SG_EUlST_E_NS1_11comp_targetILNS1_3genE0ELNS1_11target_archE4294967295ELNS1_3gpuE0ELNS1_3repE0EEENS1_48merge_mergepath_partition_config_static_selectorELNS0_4arch9wavefront6targetE1EEEvSF_
	.p2align	8
	.type	_ZN7rocprim17ROCPRIM_400000_NS6detail17trampoline_kernelINS0_14default_configENS1_38merge_sort_block_merge_config_selectorIxNS0_10empty_typeEEEZZNS1_27merge_sort_block_merge_implIS3_PxPS5_jNS1_19radix_merge_compareILb0ELb1ExNS0_19identity_decomposerEEEEE10hipError_tT0_T1_T2_jT3_P12ihipStream_tbPNSt15iterator_traitsISE_E10value_typeEPNSK_ISF_E10value_typeEPSG_NS1_7vsmem_tEENKUlT_SE_SF_SG_E_clIS8_S8_S9_S9_EESD_ST_SE_SF_SG_EUlST_E_NS1_11comp_targetILNS1_3genE0ELNS1_11target_archE4294967295ELNS1_3gpuE0ELNS1_3repE0EEENS1_48merge_mergepath_partition_config_static_selectorELNS0_4arch9wavefront6targetE1EEEvSF_,@function
_ZN7rocprim17ROCPRIM_400000_NS6detail17trampoline_kernelINS0_14default_configENS1_38merge_sort_block_merge_config_selectorIxNS0_10empty_typeEEEZZNS1_27merge_sort_block_merge_implIS3_PxPS5_jNS1_19radix_merge_compareILb0ELb1ExNS0_19identity_decomposerEEEEE10hipError_tT0_T1_T2_jT3_P12ihipStream_tbPNSt15iterator_traitsISE_E10value_typeEPNSK_ISF_E10value_typeEPSG_NS1_7vsmem_tEENKUlT_SE_SF_SG_E_clIS8_S8_S9_S9_EESD_ST_SE_SF_SG_EUlST_E_NS1_11comp_targetILNS1_3genE0ELNS1_11target_archE4294967295ELNS1_3gpuE0ELNS1_3repE0EEENS1_48merge_mergepath_partition_config_static_selectorELNS0_4arch9wavefront6targetE1EEEvSF_: ; @_ZN7rocprim17ROCPRIM_400000_NS6detail17trampoline_kernelINS0_14default_configENS1_38merge_sort_block_merge_config_selectorIxNS0_10empty_typeEEEZZNS1_27merge_sort_block_merge_implIS3_PxPS5_jNS1_19radix_merge_compareILb0ELb1ExNS0_19identity_decomposerEEEEE10hipError_tT0_T1_T2_jT3_P12ihipStream_tbPNSt15iterator_traitsISE_E10value_typeEPNSK_ISF_E10value_typeEPSG_NS1_7vsmem_tEENKUlT_SE_SF_SG_E_clIS8_S8_S9_S9_EESD_ST_SE_SF_SG_EUlST_E_NS1_11comp_targetILNS1_3genE0ELNS1_11target_archE4294967295ELNS1_3gpuE0ELNS1_3repE0EEENS1_48merge_mergepath_partition_config_static_selectorELNS0_4arch9wavefront6targetE1EEEvSF_
; %bb.0:
	.section	.rodata,"a",@progbits
	.p2align	6, 0x0
	.amdhsa_kernel _ZN7rocprim17ROCPRIM_400000_NS6detail17trampoline_kernelINS0_14default_configENS1_38merge_sort_block_merge_config_selectorIxNS0_10empty_typeEEEZZNS1_27merge_sort_block_merge_implIS3_PxPS5_jNS1_19radix_merge_compareILb0ELb1ExNS0_19identity_decomposerEEEEE10hipError_tT0_T1_T2_jT3_P12ihipStream_tbPNSt15iterator_traitsISE_E10value_typeEPNSK_ISF_E10value_typeEPSG_NS1_7vsmem_tEENKUlT_SE_SF_SG_E_clIS8_S8_S9_S9_EESD_ST_SE_SF_SG_EUlST_E_NS1_11comp_targetILNS1_3genE0ELNS1_11target_archE4294967295ELNS1_3gpuE0ELNS1_3repE0EEENS1_48merge_mergepath_partition_config_static_selectorELNS0_4arch9wavefront6targetE1EEEvSF_
		.amdhsa_group_segment_fixed_size 0
		.amdhsa_private_segment_fixed_size 0
		.amdhsa_kernarg_size 40
		.amdhsa_user_sgpr_count 6
		.amdhsa_user_sgpr_private_segment_buffer 1
		.amdhsa_user_sgpr_dispatch_ptr 0
		.amdhsa_user_sgpr_queue_ptr 0
		.amdhsa_user_sgpr_kernarg_segment_ptr 1
		.amdhsa_user_sgpr_dispatch_id 0
		.amdhsa_user_sgpr_flat_scratch_init 0
		.amdhsa_user_sgpr_kernarg_preload_length 0
		.amdhsa_user_sgpr_kernarg_preload_offset 0
		.amdhsa_user_sgpr_private_segment_size 0
		.amdhsa_uses_dynamic_stack 0
		.amdhsa_system_sgpr_private_segment_wavefront_offset 0
		.amdhsa_system_sgpr_workgroup_id_x 1
		.amdhsa_system_sgpr_workgroup_id_y 0
		.amdhsa_system_sgpr_workgroup_id_z 0
		.amdhsa_system_sgpr_workgroup_info 0
		.amdhsa_system_vgpr_workitem_id 0
		.amdhsa_next_free_vgpr 1
		.amdhsa_next_free_sgpr 0
		.amdhsa_accum_offset 4
		.amdhsa_reserve_vcc 0
		.amdhsa_reserve_flat_scratch 0
		.amdhsa_float_round_mode_32 0
		.amdhsa_float_round_mode_16_64 0
		.amdhsa_float_denorm_mode_32 3
		.amdhsa_float_denorm_mode_16_64 3
		.amdhsa_dx10_clamp 1
		.amdhsa_ieee_mode 1
		.amdhsa_fp16_overflow 0
		.amdhsa_tg_split 0
		.amdhsa_exception_fp_ieee_invalid_op 0
		.amdhsa_exception_fp_denorm_src 0
		.amdhsa_exception_fp_ieee_div_zero 0
		.amdhsa_exception_fp_ieee_overflow 0
		.amdhsa_exception_fp_ieee_underflow 0
		.amdhsa_exception_fp_ieee_inexact 0
		.amdhsa_exception_int_div_zero 0
	.end_amdhsa_kernel
	.section	.text._ZN7rocprim17ROCPRIM_400000_NS6detail17trampoline_kernelINS0_14default_configENS1_38merge_sort_block_merge_config_selectorIxNS0_10empty_typeEEEZZNS1_27merge_sort_block_merge_implIS3_PxPS5_jNS1_19radix_merge_compareILb0ELb1ExNS0_19identity_decomposerEEEEE10hipError_tT0_T1_T2_jT3_P12ihipStream_tbPNSt15iterator_traitsISE_E10value_typeEPNSK_ISF_E10value_typeEPSG_NS1_7vsmem_tEENKUlT_SE_SF_SG_E_clIS8_S8_S9_S9_EESD_ST_SE_SF_SG_EUlST_E_NS1_11comp_targetILNS1_3genE0ELNS1_11target_archE4294967295ELNS1_3gpuE0ELNS1_3repE0EEENS1_48merge_mergepath_partition_config_static_selectorELNS0_4arch9wavefront6targetE1EEEvSF_,"axG",@progbits,_ZN7rocprim17ROCPRIM_400000_NS6detail17trampoline_kernelINS0_14default_configENS1_38merge_sort_block_merge_config_selectorIxNS0_10empty_typeEEEZZNS1_27merge_sort_block_merge_implIS3_PxPS5_jNS1_19radix_merge_compareILb0ELb1ExNS0_19identity_decomposerEEEEE10hipError_tT0_T1_T2_jT3_P12ihipStream_tbPNSt15iterator_traitsISE_E10value_typeEPNSK_ISF_E10value_typeEPSG_NS1_7vsmem_tEENKUlT_SE_SF_SG_E_clIS8_S8_S9_S9_EESD_ST_SE_SF_SG_EUlST_E_NS1_11comp_targetILNS1_3genE0ELNS1_11target_archE4294967295ELNS1_3gpuE0ELNS1_3repE0EEENS1_48merge_mergepath_partition_config_static_selectorELNS0_4arch9wavefront6targetE1EEEvSF_,comdat
.Lfunc_end1048:
	.size	_ZN7rocprim17ROCPRIM_400000_NS6detail17trampoline_kernelINS0_14default_configENS1_38merge_sort_block_merge_config_selectorIxNS0_10empty_typeEEEZZNS1_27merge_sort_block_merge_implIS3_PxPS5_jNS1_19radix_merge_compareILb0ELb1ExNS0_19identity_decomposerEEEEE10hipError_tT0_T1_T2_jT3_P12ihipStream_tbPNSt15iterator_traitsISE_E10value_typeEPNSK_ISF_E10value_typeEPSG_NS1_7vsmem_tEENKUlT_SE_SF_SG_E_clIS8_S8_S9_S9_EESD_ST_SE_SF_SG_EUlST_E_NS1_11comp_targetILNS1_3genE0ELNS1_11target_archE4294967295ELNS1_3gpuE0ELNS1_3repE0EEENS1_48merge_mergepath_partition_config_static_selectorELNS0_4arch9wavefront6targetE1EEEvSF_, .Lfunc_end1048-_ZN7rocprim17ROCPRIM_400000_NS6detail17trampoline_kernelINS0_14default_configENS1_38merge_sort_block_merge_config_selectorIxNS0_10empty_typeEEEZZNS1_27merge_sort_block_merge_implIS3_PxPS5_jNS1_19radix_merge_compareILb0ELb1ExNS0_19identity_decomposerEEEEE10hipError_tT0_T1_T2_jT3_P12ihipStream_tbPNSt15iterator_traitsISE_E10value_typeEPNSK_ISF_E10value_typeEPSG_NS1_7vsmem_tEENKUlT_SE_SF_SG_E_clIS8_S8_S9_S9_EESD_ST_SE_SF_SG_EUlST_E_NS1_11comp_targetILNS1_3genE0ELNS1_11target_archE4294967295ELNS1_3gpuE0ELNS1_3repE0EEENS1_48merge_mergepath_partition_config_static_selectorELNS0_4arch9wavefront6targetE1EEEvSF_
                                        ; -- End function
	.section	.AMDGPU.csdata,"",@progbits
; Kernel info:
; codeLenInByte = 0
; NumSgprs: 4
; NumVgprs: 0
; NumAgprs: 0
; TotalNumVgprs: 0
; ScratchSize: 0
; MemoryBound: 0
; FloatMode: 240
; IeeeMode: 1
; LDSByteSize: 0 bytes/workgroup (compile time only)
; SGPRBlocks: 0
; VGPRBlocks: 0
; NumSGPRsForWavesPerEU: 4
; NumVGPRsForWavesPerEU: 1
; AccumOffset: 4
; Occupancy: 8
; WaveLimiterHint : 0
; COMPUTE_PGM_RSRC2:SCRATCH_EN: 0
; COMPUTE_PGM_RSRC2:USER_SGPR: 6
; COMPUTE_PGM_RSRC2:TRAP_HANDLER: 0
; COMPUTE_PGM_RSRC2:TGID_X_EN: 1
; COMPUTE_PGM_RSRC2:TGID_Y_EN: 0
; COMPUTE_PGM_RSRC2:TGID_Z_EN: 0
; COMPUTE_PGM_RSRC2:TIDIG_COMP_CNT: 0
; COMPUTE_PGM_RSRC3_GFX90A:ACCUM_OFFSET: 0
; COMPUTE_PGM_RSRC3_GFX90A:TG_SPLIT: 0
	.section	.text._ZN7rocprim17ROCPRIM_400000_NS6detail17trampoline_kernelINS0_14default_configENS1_38merge_sort_block_merge_config_selectorIxNS0_10empty_typeEEEZZNS1_27merge_sort_block_merge_implIS3_PxPS5_jNS1_19radix_merge_compareILb0ELb1ExNS0_19identity_decomposerEEEEE10hipError_tT0_T1_T2_jT3_P12ihipStream_tbPNSt15iterator_traitsISE_E10value_typeEPNSK_ISF_E10value_typeEPSG_NS1_7vsmem_tEENKUlT_SE_SF_SG_E_clIS8_S8_S9_S9_EESD_ST_SE_SF_SG_EUlST_E_NS1_11comp_targetILNS1_3genE10ELNS1_11target_archE1201ELNS1_3gpuE5ELNS1_3repE0EEENS1_48merge_mergepath_partition_config_static_selectorELNS0_4arch9wavefront6targetE1EEEvSF_,"axG",@progbits,_ZN7rocprim17ROCPRIM_400000_NS6detail17trampoline_kernelINS0_14default_configENS1_38merge_sort_block_merge_config_selectorIxNS0_10empty_typeEEEZZNS1_27merge_sort_block_merge_implIS3_PxPS5_jNS1_19radix_merge_compareILb0ELb1ExNS0_19identity_decomposerEEEEE10hipError_tT0_T1_T2_jT3_P12ihipStream_tbPNSt15iterator_traitsISE_E10value_typeEPNSK_ISF_E10value_typeEPSG_NS1_7vsmem_tEENKUlT_SE_SF_SG_E_clIS8_S8_S9_S9_EESD_ST_SE_SF_SG_EUlST_E_NS1_11comp_targetILNS1_3genE10ELNS1_11target_archE1201ELNS1_3gpuE5ELNS1_3repE0EEENS1_48merge_mergepath_partition_config_static_selectorELNS0_4arch9wavefront6targetE1EEEvSF_,comdat
	.protected	_ZN7rocprim17ROCPRIM_400000_NS6detail17trampoline_kernelINS0_14default_configENS1_38merge_sort_block_merge_config_selectorIxNS0_10empty_typeEEEZZNS1_27merge_sort_block_merge_implIS3_PxPS5_jNS1_19radix_merge_compareILb0ELb1ExNS0_19identity_decomposerEEEEE10hipError_tT0_T1_T2_jT3_P12ihipStream_tbPNSt15iterator_traitsISE_E10value_typeEPNSK_ISF_E10value_typeEPSG_NS1_7vsmem_tEENKUlT_SE_SF_SG_E_clIS8_S8_S9_S9_EESD_ST_SE_SF_SG_EUlST_E_NS1_11comp_targetILNS1_3genE10ELNS1_11target_archE1201ELNS1_3gpuE5ELNS1_3repE0EEENS1_48merge_mergepath_partition_config_static_selectorELNS0_4arch9wavefront6targetE1EEEvSF_ ; -- Begin function _ZN7rocprim17ROCPRIM_400000_NS6detail17trampoline_kernelINS0_14default_configENS1_38merge_sort_block_merge_config_selectorIxNS0_10empty_typeEEEZZNS1_27merge_sort_block_merge_implIS3_PxPS5_jNS1_19radix_merge_compareILb0ELb1ExNS0_19identity_decomposerEEEEE10hipError_tT0_T1_T2_jT3_P12ihipStream_tbPNSt15iterator_traitsISE_E10value_typeEPNSK_ISF_E10value_typeEPSG_NS1_7vsmem_tEENKUlT_SE_SF_SG_E_clIS8_S8_S9_S9_EESD_ST_SE_SF_SG_EUlST_E_NS1_11comp_targetILNS1_3genE10ELNS1_11target_archE1201ELNS1_3gpuE5ELNS1_3repE0EEENS1_48merge_mergepath_partition_config_static_selectorELNS0_4arch9wavefront6targetE1EEEvSF_
	.globl	_ZN7rocprim17ROCPRIM_400000_NS6detail17trampoline_kernelINS0_14default_configENS1_38merge_sort_block_merge_config_selectorIxNS0_10empty_typeEEEZZNS1_27merge_sort_block_merge_implIS3_PxPS5_jNS1_19radix_merge_compareILb0ELb1ExNS0_19identity_decomposerEEEEE10hipError_tT0_T1_T2_jT3_P12ihipStream_tbPNSt15iterator_traitsISE_E10value_typeEPNSK_ISF_E10value_typeEPSG_NS1_7vsmem_tEENKUlT_SE_SF_SG_E_clIS8_S8_S9_S9_EESD_ST_SE_SF_SG_EUlST_E_NS1_11comp_targetILNS1_3genE10ELNS1_11target_archE1201ELNS1_3gpuE5ELNS1_3repE0EEENS1_48merge_mergepath_partition_config_static_selectorELNS0_4arch9wavefront6targetE1EEEvSF_
	.p2align	8
	.type	_ZN7rocprim17ROCPRIM_400000_NS6detail17trampoline_kernelINS0_14default_configENS1_38merge_sort_block_merge_config_selectorIxNS0_10empty_typeEEEZZNS1_27merge_sort_block_merge_implIS3_PxPS5_jNS1_19radix_merge_compareILb0ELb1ExNS0_19identity_decomposerEEEEE10hipError_tT0_T1_T2_jT3_P12ihipStream_tbPNSt15iterator_traitsISE_E10value_typeEPNSK_ISF_E10value_typeEPSG_NS1_7vsmem_tEENKUlT_SE_SF_SG_E_clIS8_S8_S9_S9_EESD_ST_SE_SF_SG_EUlST_E_NS1_11comp_targetILNS1_3genE10ELNS1_11target_archE1201ELNS1_3gpuE5ELNS1_3repE0EEENS1_48merge_mergepath_partition_config_static_selectorELNS0_4arch9wavefront6targetE1EEEvSF_,@function
_ZN7rocprim17ROCPRIM_400000_NS6detail17trampoline_kernelINS0_14default_configENS1_38merge_sort_block_merge_config_selectorIxNS0_10empty_typeEEEZZNS1_27merge_sort_block_merge_implIS3_PxPS5_jNS1_19radix_merge_compareILb0ELb1ExNS0_19identity_decomposerEEEEE10hipError_tT0_T1_T2_jT3_P12ihipStream_tbPNSt15iterator_traitsISE_E10value_typeEPNSK_ISF_E10value_typeEPSG_NS1_7vsmem_tEENKUlT_SE_SF_SG_E_clIS8_S8_S9_S9_EESD_ST_SE_SF_SG_EUlST_E_NS1_11comp_targetILNS1_3genE10ELNS1_11target_archE1201ELNS1_3gpuE5ELNS1_3repE0EEENS1_48merge_mergepath_partition_config_static_selectorELNS0_4arch9wavefront6targetE1EEEvSF_: ; @_ZN7rocprim17ROCPRIM_400000_NS6detail17trampoline_kernelINS0_14default_configENS1_38merge_sort_block_merge_config_selectorIxNS0_10empty_typeEEEZZNS1_27merge_sort_block_merge_implIS3_PxPS5_jNS1_19radix_merge_compareILb0ELb1ExNS0_19identity_decomposerEEEEE10hipError_tT0_T1_T2_jT3_P12ihipStream_tbPNSt15iterator_traitsISE_E10value_typeEPNSK_ISF_E10value_typeEPSG_NS1_7vsmem_tEENKUlT_SE_SF_SG_E_clIS8_S8_S9_S9_EESD_ST_SE_SF_SG_EUlST_E_NS1_11comp_targetILNS1_3genE10ELNS1_11target_archE1201ELNS1_3gpuE5ELNS1_3repE0EEENS1_48merge_mergepath_partition_config_static_selectorELNS0_4arch9wavefront6targetE1EEEvSF_
; %bb.0:
	.section	.rodata,"a",@progbits
	.p2align	6, 0x0
	.amdhsa_kernel _ZN7rocprim17ROCPRIM_400000_NS6detail17trampoline_kernelINS0_14default_configENS1_38merge_sort_block_merge_config_selectorIxNS0_10empty_typeEEEZZNS1_27merge_sort_block_merge_implIS3_PxPS5_jNS1_19radix_merge_compareILb0ELb1ExNS0_19identity_decomposerEEEEE10hipError_tT0_T1_T2_jT3_P12ihipStream_tbPNSt15iterator_traitsISE_E10value_typeEPNSK_ISF_E10value_typeEPSG_NS1_7vsmem_tEENKUlT_SE_SF_SG_E_clIS8_S8_S9_S9_EESD_ST_SE_SF_SG_EUlST_E_NS1_11comp_targetILNS1_3genE10ELNS1_11target_archE1201ELNS1_3gpuE5ELNS1_3repE0EEENS1_48merge_mergepath_partition_config_static_selectorELNS0_4arch9wavefront6targetE1EEEvSF_
		.amdhsa_group_segment_fixed_size 0
		.amdhsa_private_segment_fixed_size 0
		.amdhsa_kernarg_size 40
		.amdhsa_user_sgpr_count 6
		.amdhsa_user_sgpr_private_segment_buffer 1
		.amdhsa_user_sgpr_dispatch_ptr 0
		.amdhsa_user_sgpr_queue_ptr 0
		.amdhsa_user_sgpr_kernarg_segment_ptr 1
		.amdhsa_user_sgpr_dispatch_id 0
		.amdhsa_user_sgpr_flat_scratch_init 0
		.amdhsa_user_sgpr_kernarg_preload_length 0
		.amdhsa_user_sgpr_kernarg_preload_offset 0
		.amdhsa_user_sgpr_private_segment_size 0
		.amdhsa_uses_dynamic_stack 0
		.amdhsa_system_sgpr_private_segment_wavefront_offset 0
		.amdhsa_system_sgpr_workgroup_id_x 1
		.amdhsa_system_sgpr_workgroup_id_y 0
		.amdhsa_system_sgpr_workgroup_id_z 0
		.amdhsa_system_sgpr_workgroup_info 0
		.amdhsa_system_vgpr_workitem_id 0
		.amdhsa_next_free_vgpr 1
		.amdhsa_next_free_sgpr 0
		.amdhsa_accum_offset 4
		.amdhsa_reserve_vcc 0
		.amdhsa_reserve_flat_scratch 0
		.amdhsa_float_round_mode_32 0
		.amdhsa_float_round_mode_16_64 0
		.amdhsa_float_denorm_mode_32 3
		.amdhsa_float_denorm_mode_16_64 3
		.amdhsa_dx10_clamp 1
		.amdhsa_ieee_mode 1
		.amdhsa_fp16_overflow 0
		.amdhsa_tg_split 0
		.amdhsa_exception_fp_ieee_invalid_op 0
		.amdhsa_exception_fp_denorm_src 0
		.amdhsa_exception_fp_ieee_div_zero 0
		.amdhsa_exception_fp_ieee_overflow 0
		.amdhsa_exception_fp_ieee_underflow 0
		.amdhsa_exception_fp_ieee_inexact 0
		.amdhsa_exception_int_div_zero 0
	.end_amdhsa_kernel
	.section	.text._ZN7rocprim17ROCPRIM_400000_NS6detail17trampoline_kernelINS0_14default_configENS1_38merge_sort_block_merge_config_selectorIxNS0_10empty_typeEEEZZNS1_27merge_sort_block_merge_implIS3_PxPS5_jNS1_19radix_merge_compareILb0ELb1ExNS0_19identity_decomposerEEEEE10hipError_tT0_T1_T2_jT3_P12ihipStream_tbPNSt15iterator_traitsISE_E10value_typeEPNSK_ISF_E10value_typeEPSG_NS1_7vsmem_tEENKUlT_SE_SF_SG_E_clIS8_S8_S9_S9_EESD_ST_SE_SF_SG_EUlST_E_NS1_11comp_targetILNS1_3genE10ELNS1_11target_archE1201ELNS1_3gpuE5ELNS1_3repE0EEENS1_48merge_mergepath_partition_config_static_selectorELNS0_4arch9wavefront6targetE1EEEvSF_,"axG",@progbits,_ZN7rocprim17ROCPRIM_400000_NS6detail17trampoline_kernelINS0_14default_configENS1_38merge_sort_block_merge_config_selectorIxNS0_10empty_typeEEEZZNS1_27merge_sort_block_merge_implIS3_PxPS5_jNS1_19radix_merge_compareILb0ELb1ExNS0_19identity_decomposerEEEEE10hipError_tT0_T1_T2_jT3_P12ihipStream_tbPNSt15iterator_traitsISE_E10value_typeEPNSK_ISF_E10value_typeEPSG_NS1_7vsmem_tEENKUlT_SE_SF_SG_E_clIS8_S8_S9_S9_EESD_ST_SE_SF_SG_EUlST_E_NS1_11comp_targetILNS1_3genE10ELNS1_11target_archE1201ELNS1_3gpuE5ELNS1_3repE0EEENS1_48merge_mergepath_partition_config_static_selectorELNS0_4arch9wavefront6targetE1EEEvSF_,comdat
.Lfunc_end1049:
	.size	_ZN7rocprim17ROCPRIM_400000_NS6detail17trampoline_kernelINS0_14default_configENS1_38merge_sort_block_merge_config_selectorIxNS0_10empty_typeEEEZZNS1_27merge_sort_block_merge_implIS3_PxPS5_jNS1_19radix_merge_compareILb0ELb1ExNS0_19identity_decomposerEEEEE10hipError_tT0_T1_T2_jT3_P12ihipStream_tbPNSt15iterator_traitsISE_E10value_typeEPNSK_ISF_E10value_typeEPSG_NS1_7vsmem_tEENKUlT_SE_SF_SG_E_clIS8_S8_S9_S9_EESD_ST_SE_SF_SG_EUlST_E_NS1_11comp_targetILNS1_3genE10ELNS1_11target_archE1201ELNS1_3gpuE5ELNS1_3repE0EEENS1_48merge_mergepath_partition_config_static_selectorELNS0_4arch9wavefront6targetE1EEEvSF_, .Lfunc_end1049-_ZN7rocprim17ROCPRIM_400000_NS6detail17trampoline_kernelINS0_14default_configENS1_38merge_sort_block_merge_config_selectorIxNS0_10empty_typeEEEZZNS1_27merge_sort_block_merge_implIS3_PxPS5_jNS1_19radix_merge_compareILb0ELb1ExNS0_19identity_decomposerEEEEE10hipError_tT0_T1_T2_jT3_P12ihipStream_tbPNSt15iterator_traitsISE_E10value_typeEPNSK_ISF_E10value_typeEPSG_NS1_7vsmem_tEENKUlT_SE_SF_SG_E_clIS8_S8_S9_S9_EESD_ST_SE_SF_SG_EUlST_E_NS1_11comp_targetILNS1_3genE10ELNS1_11target_archE1201ELNS1_3gpuE5ELNS1_3repE0EEENS1_48merge_mergepath_partition_config_static_selectorELNS0_4arch9wavefront6targetE1EEEvSF_
                                        ; -- End function
	.section	.AMDGPU.csdata,"",@progbits
; Kernel info:
; codeLenInByte = 0
; NumSgprs: 4
; NumVgprs: 0
; NumAgprs: 0
; TotalNumVgprs: 0
; ScratchSize: 0
; MemoryBound: 0
; FloatMode: 240
; IeeeMode: 1
; LDSByteSize: 0 bytes/workgroup (compile time only)
; SGPRBlocks: 0
; VGPRBlocks: 0
; NumSGPRsForWavesPerEU: 4
; NumVGPRsForWavesPerEU: 1
; AccumOffset: 4
; Occupancy: 8
; WaveLimiterHint : 0
; COMPUTE_PGM_RSRC2:SCRATCH_EN: 0
; COMPUTE_PGM_RSRC2:USER_SGPR: 6
; COMPUTE_PGM_RSRC2:TRAP_HANDLER: 0
; COMPUTE_PGM_RSRC2:TGID_X_EN: 1
; COMPUTE_PGM_RSRC2:TGID_Y_EN: 0
; COMPUTE_PGM_RSRC2:TGID_Z_EN: 0
; COMPUTE_PGM_RSRC2:TIDIG_COMP_CNT: 0
; COMPUTE_PGM_RSRC3_GFX90A:ACCUM_OFFSET: 0
; COMPUTE_PGM_RSRC3_GFX90A:TG_SPLIT: 0
	.section	.text._ZN7rocprim17ROCPRIM_400000_NS6detail17trampoline_kernelINS0_14default_configENS1_38merge_sort_block_merge_config_selectorIxNS0_10empty_typeEEEZZNS1_27merge_sort_block_merge_implIS3_PxPS5_jNS1_19radix_merge_compareILb0ELb1ExNS0_19identity_decomposerEEEEE10hipError_tT0_T1_T2_jT3_P12ihipStream_tbPNSt15iterator_traitsISE_E10value_typeEPNSK_ISF_E10value_typeEPSG_NS1_7vsmem_tEENKUlT_SE_SF_SG_E_clIS8_S8_S9_S9_EESD_ST_SE_SF_SG_EUlST_E_NS1_11comp_targetILNS1_3genE5ELNS1_11target_archE942ELNS1_3gpuE9ELNS1_3repE0EEENS1_48merge_mergepath_partition_config_static_selectorELNS0_4arch9wavefront6targetE1EEEvSF_,"axG",@progbits,_ZN7rocprim17ROCPRIM_400000_NS6detail17trampoline_kernelINS0_14default_configENS1_38merge_sort_block_merge_config_selectorIxNS0_10empty_typeEEEZZNS1_27merge_sort_block_merge_implIS3_PxPS5_jNS1_19radix_merge_compareILb0ELb1ExNS0_19identity_decomposerEEEEE10hipError_tT0_T1_T2_jT3_P12ihipStream_tbPNSt15iterator_traitsISE_E10value_typeEPNSK_ISF_E10value_typeEPSG_NS1_7vsmem_tEENKUlT_SE_SF_SG_E_clIS8_S8_S9_S9_EESD_ST_SE_SF_SG_EUlST_E_NS1_11comp_targetILNS1_3genE5ELNS1_11target_archE942ELNS1_3gpuE9ELNS1_3repE0EEENS1_48merge_mergepath_partition_config_static_selectorELNS0_4arch9wavefront6targetE1EEEvSF_,comdat
	.protected	_ZN7rocprim17ROCPRIM_400000_NS6detail17trampoline_kernelINS0_14default_configENS1_38merge_sort_block_merge_config_selectorIxNS0_10empty_typeEEEZZNS1_27merge_sort_block_merge_implIS3_PxPS5_jNS1_19radix_merge_compareILb0ELb1ExNS0_19identity_decomposerEEEEE10hipError_tT0_T1_T2_jT3_P12ihipStream_tbPNSt15iterator_traitsISE_E10value_typeEPNSK_ISF_E10value_typeEPSG_NS1_7vsmem_tEENKUlT_SE_SF_SG_E_clIS8_S8_S9_S9_EESD_ST_SE_SF_SG_EUlST_E_NS1_11comp_targetILNS1_3genE5ELNS1_11target_archE942ELNS1_3gpuE9ELNS1_3repE0EEENS1_48merge_mergepath_partition_config_static_selectorELNS0_4arch9wavefront6targetE1EEEvSF_ ; -- Begin function _ZN7rocprim17ROCPRIM_400000_NS6detail17trampoline_kernelINS0_14default_configENS1_38merge_sort_block_merge_config_selectorIxNS0_10empty_typeEEEZZNS1_27merge_sort_block_merge_implIS3_PxPS5_jNS1_19radix_merge_compareILb0ELb1ExNS0_19identity_decomposerEEEEE10hipError_tT0_T1_T2_jT3_P12ihipStream_tbPNSt15iterator_traitsISE_E10value_typeEPNSK_ISF_E10value_typeEPSG_NS1_7vsmem_tEENKUlT_SE_SF_SG_E_clIS8_S8_S9_S9_EESD_ST_SE_SF_SG_EUlST_E_NS1_11comp_targetILNS1_3genE5ELNS1_11target_archE942ELNS1_3gpuE9ELNS1_3repE0EEENS1_48merge_mergepath_partition_config_static_selectorELNS0_4arch9wavefront6targetE1EEEvSF_
	.globl	_ZN7rocprim17ROCPRIM_400000_NS6detail17trampoline_kernelINS0_14default_configENS1_38merge_sort_block_merge_config_selectorIxNS0_10empty_typeEEEZZNS1_27merge_sort_block_merge_implIS3_PxPS5_jNS1_19radix_merge_compareILb0ELb1ExNS0_19identity_decomposerEEEEE10hipError_tT0_T1_T2_jT3_P12ihipStream_tbPNSt15iterator_traitsISE_E10value_typeEPNSK_ISF_E10value_typeEPSG_NS1_7vsmem_tEENKUlT_SE_SF_SG_E_clIS8_S8_S9_S9_EESD_ST_SE_SF_SG_EUlST_E_NS1_11comp_targetILNS1_3genE5ELNS1_11target_archE942ELNS1_3gpuE9ELNS1_3repE0EEENS1_48merge_mergepath_partition_config_static_selectorELNS0_4arch9wavefront6targetE1EEEvSF_
	.p2align	8
	.type	_ZN7rocprim17ROCPRIM_400000_NS6detail17trampoline_kernelINS0_14default_configENS1_38merge_sort_block_merge_config_selectorIxNS0_10empty_typeEEEZZNS1_27merge_sort_block_merge_implIS3_PxPS5_jNS1_19radix_merge_compareILb0ELb1ExNS0_19identity_decomposerEEEEE10hipError_tT0_T1_T2_jT3_P12ihipStream_tbPNSt15iterator_traitsISE_E10value_typeEPNSK_ISF_E10value_typeEPSG_NS1_7vsmem_tEENKUlT_SE_SF_SG_E_clIS8_S8_S9_S9_EESD_ST_SE_SF_SG_EUlST_E_NS1_11comp_targetILNS1_3genE5ELNS1_11target_archE942ELNS1_3gpuE9ELNS1_3repE0EEENS1_48merge_mergepath_partition_config_static_selectorELNS0_4arch9wavefront6targetE1EEEvSF_,@function
_ZN7rocprim17ROCPRIM_400000_NS6detail17trampoline_kernelINS0_14default_configENS1_38merge_sort_block_merge_config_selectorIxNS0_10empty_typeEEEZZNS1_27merge_sort_block_merge_implIS3_PxPS5_jNS1_19radix_merge_compareILb0ELb1ExNS0_19identity_decomposerEEEEE10hipError_tT0_T1_T2_jT3_P12ihipStream_tbPNSt15iterator_traitsISE_E10value_typeEPNSK_ISF_E10value_typeEPSG_NS1_7vsmem_tEENKUlT_SE_SF_SG_E_clIS8_S8_S9_S9_EESD_ST_SE_SF_SG_EUlST_E_NS1_11comp_targetILNS1_3genE5ELNS1_11target_archE942ELNS1_3gpuE9ELNS1_3repE0EEENS1_48merge_mergepath_partition_config_static_selectorELNS0_4arch9wavefront6targetE1EEEvSF_: ; @_ZN7rocprim17ROCPRIM_400000_NS6detail17trampoline_kernelINS0_14default_configENS1_38merge_sort_block_merge_config_selectorIxNS0_10empty_typeEEEZZNS1_27merge_sort_block_merge_implIS3_PxPS5_jNS1_19radix_merge_compareILb0ELb1ExNS0_19identity_decomposerEEEEE10hipError_tT0_T1_T2_jT3_P12ihipStream_tbPNSt15iterator_traitsISE_E10value_typeEPNSK_ISF_E10value_typeEPSG_NS1_7vsmem_tEENKUlT_SE_SF_SG_E_clIS8_S8_S9_S9_EESD_ST_SE_SF_SG_EUlST_E_NS1_11comp_targetILNS1_3genE5ELNS1_11target_archE942ELNS1_3gpuE9ELNS1_3repE0EEENS1_48merge_mergepath_partition_config_static_selectorELNS0_4arch9wavefront6targetE1EEEvSF_
; %bb.0:
	.section	.rodata,"a",@progbits
	.p2align	6, 0x0
	.amdhsa_kernel _ZN7rocprim17ROCPRIM_400000_NS6detail17trampoline_kernelINS0_14default_configENS1_38merge_sort_block_merge_config_selectorIxNS0_10empty_typeEEEZZNS1_27merge_sort_block_merge_implIS3_PxPS5_jNS1_19radix_merge_compareILb0ELb1ExNS0_19identity_decomposerEEEEE10hipError_tT0_T1_T2_jT3_P12ihipStream_tbPNSt15iterator_traitsISE_E10value_typeEPNSK_ISF_E10value_typeEPSG_NS1_7vsmem_tEENKUlT_SE_SF_SG_E_clIS8_S8_S9_S9_EESD_ST_SE_SF_SG_EUlST_E_NS1_11comp_targetILNS1_3genE5ELNS1_11target_archE942ELNS1_3gpuE9ELNS1_3repE0EEENS1_48merge_mergepath_partition_config_static_selectorELNS0_4arch9wavefront6targetE1EEEvSF_
		.amdhsa_group_segment_fixed_size 0
		.amdhsa_private_segment_fixed_size 0
		.amdhsa_kernarg_size 40
		.amdhsa_user_sgpr_count 6
		.amdhsa_user_sgpr_private_segment_buffer 1
		.amdhsa_user_sgpr_dispatch_ptr 0
		.amdhsa_user_sgpr_queue_ptr 0
		.amdhsa_user_sgpr_kernarg_segment_ptr 1
		.amdhsa_user_sgpr_dispatch_id 0
		.amdhsa_user_sgpr_flat_scratch_init 0
		.amdhsa_user_sgpr_kernarg_preload_length 0
		.amdhsa_user_sgpr_kernarg_preload_offset 0
		.amdhsa_user_sgpr_private_segment_size 0
		.amdhsa_uses_dynamic_stack 0
		.amdhsa_system_sgpr_private_segment_wavefront_offset 0
		.amdhsa_system_sgpr_workgroup_id_x 1
		.amdhsa_system_sgpr_workgroup_id_y 0
		.amdhsa_system_sgpr_workgroup_id_z 0
		.amdhsa_system_sgpr_workgroup_info 0
		.amdhsa_system_vgpr_workitem_id 0
		.amdhsa_next_free_vgpr 1
		.amdhsa_next_free_sgpr 0
		.amdhsa_accum_offset 4
		.amdhsa_reserve_vcc 0
		.amdhsa_reserve_flat_scratch 0
		.amdhsa_float_round_mode_32 0
		.amdhsa_float_round_mode_16_64 0
		.amdhsa_float_denorm_mode_32 3
		.amdhsa_float_denorm_mode_16_64 3
		.amdhsa_dx10_clamp 1
		.amdhsa_ieee_mode 1
		.amdhsa_fp16_overflow 0
		.amdhsa_tg_split 0
		.amdhsa_exception_fp_ieee_invalid_op 0
		.amdhsa_exception_fp_denorm_src 0
		.amdhsa_exception_fp_ieee_div_zero 0
		.amdhsa_exception_fp_ieee_overflow 0
		.amdhsa_exception_fp_ieee_underflow 0
		.amdhsa_exception_fp_ieee_inexact 0
		.amdhsa_exception_int_div_zero 0
	.end_amdhsa_kernel
	.section	.text._ZN7rocprim17ROCPRIM_400000_NS6detail17trampoline_kernelINS0_14default_configENS1_38merge_sort_block_merge_config_selectorIxNS0_10empty_typeEEEZZNS1_27merge_sort_block_merge_implIS3_PxPS5_jNS1_19radix_merge_compareILb0ELb1ExNS0_19identity_decomposerEEEEE10hipError_tT0_T1_T2_jT3_P12ihipStream_tbPNSt15iterator_traitsISE_E10value_typeEPNSK_ISF_E10value_typeEPSG_NS1_7vsmem_tEENKUlT_SE_SF_SG_E_clIS8_S8_S9_S9_EESD_ST_SE_SF_SG_EUlST_E_NS1_11comp_targetILNS1_3genE5ELNS1_11target_archE942ELNS1_3gpuE9ELNS1_3repE0EEENS1_48merge_mergepath_partition_config_static_selectorELNS0_4arch9wavefront6targetE1EEEvSF_,"axG",@progbits,_ZN7rocprim17ROCPRIM_400000_NS6detail17trampoline_kernelINS0_14default_configENS1_38merge_sort_block_merge_config_selectorIxNS0_10empty_typeEEEZZNS1_27merge_sort_block_merge_implIS3_PxPS5_jNS1_19radix_merge_compareILb0ELb1ExNS0_19identity_decomposerEEEEE10hipError_tT0_T1_T2_jT3_P12ihipStream_tbPNSt15iterator_traitsISE_E10value_typeEPNSK_ISF_E10value_typeEPSG_NS1_7vsmem_tEENKUlT_SE_SF_SG_E_clIS8_S8_S9_S9_EESD_ST_SE_SF_SG_EUlST_E_NS1_11comp_targetILNS1_3genE5ELNS1_11target_archE942ELNS1_3gpuE9ELNS1_3repE0EEENS1_48merge_mergepath_partition_config_static_selectorELNS0_4arch9wavefront6targetE1EEEvSF_,comdat
.Lfunc_end1050:
	.size	_ZN7rocprim17ROCPRIM_400000_NS6detail17trampoline_kernelINS0_14default_configENS1_38merge_sort_block_merge_config_selectorIxNS0_10empty_typeEEEZZNS1_27merge_sort_block_merge_implIS3_PxPS5_jNS1_19radix_merge_compareILb0ELb1ExNS0_19identity_decomposerEEEEE10hipError_tT0_T1_T2_jT3_P12ihipStream_tbPNSt15iterator_traitsISE_E10value_typeEPNSK_ISF_E10value_typeEPSG_NS1_7vsmem_tEENKUlT_SE_SF_SG_E_clIS8_S8_S9_S9_EESD_ST_SE_SF_SG_EUlST_E_NS1_11comp_targetILNS1_3genE5ELNS1_11target_archE942ELNS1_3gpuE9ELNS1_3repE0EEENS1_48merge_mergepath_partition_config_static_selectorELNS0_4arch9wavefront6targetE1EEEvSF_, .Lfunc_end1050-_ZN7rocprim17ROCPRIM_400000_NS6detail17trampoline_kernelINS0_14default_configENS1_38merge_sort_block_merge_config_selectorIxNS0_10empty_typeEEEZZNS1_27merge_sort_block_merge_implIS3_PxPS5_jNS1_19radix_merge_compareILb0ELb1ExNS0_19identity_decomposerEEEEE10hipError_tT0_T1_T2_jT3_P12ihipStream_tbPNSt15iterator_traitsISE_E10value_typeEPNSK_ISF_E10value_typeEPSG_NS1_7vsmem_tEENKUlT_SE_SF_SG_E_clIS8_S8_S9_S9_EESD_ST_SE_SF_SG_EUlST_E_NS1_11comp_targetILNS1_3genE5ELNS1_11target_archE942ELNS1_3gpuE9ELNS1_3repE0EEENS1_48merge_mergepath_partition_config_static_selectorELNS0_4arch9wavefront6targetE1EEEvSF_
                                        ; -- End function
	.section	.AMDGPU.csdata,"",@progbits
; Kernel info:
; codeLenInByte = 0
; NumSgprs: 4
; NumVgprs: 0
; NumAgprs: 0
; TotalNumVgprs: 0
; ScratchSize: 0
; MemoryBound: 0
; FloatMode: 240
; IeeeMode: 1
; LDSByteSize: 0 bytes/workgroup (compile time only)
; SGPRBlocks: 0
; VGPRBlocks: 0
; NumSGPRsForWavesPerEU: 4
; NumVGPRsForWavesPerEU: 1
; AccumOffset: 4
; Occupancy: 8
; WaveLimiterHint : 0
; COMPUTE_PGM_RSRC2:SCRATCH_EN: 0
; COMPUTE_PGM_RSRC2:USER_SGPR: 6
; COMPUTE_PGM_RSRC2:TRAP_HANDLER: 0
; COMPUTE_PGM_RSRC2:TGID_X_EN: 1
; COMPUTE_PGM_RSRC2:TGID_Y_EN: 0
; COMPUTE_PGM_RSRC2:TGID_Z_EN: 0
; COMPUTE_PGM_RSRC2:TIDIG_COMP_CNT: 0
; COMPUTE_PGM_RSRC3_GFX90A:ACCUM_OFFSET: 0
; COMPUTE_PGM_RSRC3_GFX90A:TG_SPLIT: 0
	.section	.text._ZN7rocprim17ROCPRIM_400000_NS6detail17trampoline_kernelINS0_14default_configENS1_38merge_sort_block_merge_config_selectorIxNS0_10empty_typeEEEZZNS1_27merge_sort_block_merge_implIS3_PxPS5_jNS1_19radix_merge_compareILb0ELb1ExNS0_19identity_decomposerEEEEE10hipError_tT0_T1_T2_jT3_P12ihipStream_tbPNSt15iterator_traitsISE_E10value_typeEPNSK_ISF_E10value_typeEPSG_NS1_7vsmem_tEENKUlT_SE_SF_SG_E_clIS8_S8_S9_S9_EESD_ST_SE_SF_SG_EUlST_E_NS1_11comp_targetILNS1_3genE4ELNS1_11target_archE910ELNS1_3gpuE8ELNS1_3repE0EEENS1_48merge_mergepath_partition_config_static_selectorELNS0_4arch9wavefront6targetE1EEEvSF_,"axG",@progbits,_ZN7rocprim17ROCPRIM_400000_NS6detail17trampoline_kernelINS0_14default_configENS1_38merge_sort_block_merge_config_selectorIxNS0_10empty_typeEEEZZNS1_27merge_sort_block_merge_implIS3_PxPS5_jNS1_19radix_merge_compareILb0ELb1ExNS0_19identity_decomposerEEEEE10hipError_tT0_T1_T2_jT3_P12ihipStream_tbPNSt15iterator_traitsISE_E10value_typeEPNSK_ISF_E10value_typeEPSG_NS1_7vsmem_tEENKUlT_SE_SF_SG_E_clIS8_S8_S9_S9_EESD_ST_SE_SF_SG_EUlST_E_NS1_11comp_targetILNS1_3genE4ELNS1_11target_archE910ELNS1_3gpuE8ELNS1_3repE0EEENS1_48merge_mergepath_partition_config_static_selectorELNS0_4arch9wavefront6targetE1EEEvSF_,comdat
	.protected	_ZN7rocprim17ROCPRIM_400000_NS6detail17trampoline_kernelINS0_14default_configENS1_38merge_sort_block_merge_config_selectorIxNS0_10empty_typeEEEZZNS1_27merge_sort_block_merge_implIS3_PxPS5_jNS1_19radix_merge_compareILb0ELb1ExNS0_19identity_decomposerEEEEE10hipError_tT0_T1_T2_jT3_P12ihipStream_tbPNSt15iterator_traitsISE_E10value_typeEPNSK_ISF_E10value_typeEPSG_NS1_7vsmem_tEENKUlT_SE_SF_SG_E_clIS8_S8_S9_S9_EESD_ST_SE_SF_SG_EUlST_E_NS1_11comp_targetILNS1_3genE4ELNS1_11target_archE910ELNS1_3gpuE8ELNS1_3repE0EEENS1_48merge_mergepath_partition_config_static_selectorELNS0_4arch9wavefront6targetE1EEEvSF_ ; -- Begin function _ZN7rocprim17ROCPRIM_400000_NS6detail17trampoline_kernelINS0_14default_configENS1_38merge_sort_block_merge_config_selectorIxNS0_10empty_typeEEEZZNS1_27merge_sort_block_merge_implIS3_PxPS5_jNS1_19radix_merge_compareILb0ELb1ExNS0_19identity_decomposerEEEEE10hipError_tT0_T1_T2_jT3_P12ihipStream_tbPNSt15iterator_traitsISE_E10value_typeEPNSK_ISF_E10value_typeEPSG_NS1_7vsmem_tEENKUlT_SE_SF_SG_E_clIS8_S8_S9_S9_EESD_ST_SE_SF_SG_EUlST_E_NS1_11comp_targetILNS1_3genE4ELNS1_11target_archE910ELNS1_3gpuE8ELNS1_3repE0EEENS1_48merge_mergepath_partition_config_static_selectorELNS0_4arch9wavefront6targetE1EEEvSF_
	.globl	_ZN7rocprim17ROCPRIM_400000_NS6detail17trampoline_kernelINS0_14default_configENS1_38merge_sort_block_merge_config_selectorIxNS0_10empty_typeEEEZZNS1_27merge_sort_block_merge_implIS3_PxPS5_jNS1_19radix_merge_compareILb0ELb1ExNS0_19identity_decomposerEEEEE10hipError_tT0_T1_T2_jT3_P12ihipStream_tbPNSt15iterator_traitsISE_E10value_typeEPNSK_ISF_E10value_typeEPSG_NS1_7vsmem_tEENKUlT_SE_SF_SG_E_clIS8_S8_S9_S9_EESD_ST_SE_SF_SG_EUlST_E_NS1_11comp_targetILNS1_3genE4ELNS1_11target_archE910ELNS1_3gpuE8ELNS1_3repE0EEENS1_48merge_mergepath_partition_config_static_selectorELNS0_4arch9wavefront6targetE1EEEvSF_
	.p2align	8
	.type	_ZN7rocprim17ROCPRIM_400000_NS6detail17trampoline_kernelINS0_14default_configENS1_38merge_sort_block_merge_config_selectorIxNS0_10empty_typeEEEZZNS1_27merge_sort_block_merge_implIS3_PxPS5_jNS1_19radix_merge_compareILb0ELb1ExNS0_19identity_decomposerEEEEE10hipError_tT0_T1_T2_jT3_P12ihipStream_tbPNSt15iterator_traitsISE_E10value_typeEPNSK_ISF_E10value_typeEPSG_NS1_7vsmem_tEENKUlT_SE_SF_SG_E_clIS8_S8_S9_S9_EESD_ST_SE_SF_SG_EUlST_E_NS1_11comp_targetILNS1_3genE4ELNS1_11target_archE910ELNS1_3gpuE8ELNS1_3repE0EEENS1_48merge_mergepath_partition_config_static_selectorELNS0_4arch9wavefront6targetE1EEEvSF_,@function
_ZN7rocprim17ROCPRIM_400000_NS6detail17trampoline_kernelINS0_14default_configENS1_38merge_sort_block_merge_config_selectorIxNS0_10empty_typeEEEZZNS1_27merge_sort_block_merge_implIS3_PxPS5_jNS1_19radix_merge_compareILb0ELb1ExNS0_19identity_decomposerEEEEE10hipError_tT0_T1_T2_jT3_P12ihipStream_tbPNSt15iterator_traitsISE_E10value_typeEPNSK_ISF_E10value_typeEPSG_NS1_7vsmem_tEENKUlT_SE_SF_SG_E_clIS8_S8_S9_S9_EESD_ST_SE_SF_SG_EUlST_E_NS1_11comp_targetILNS1_3genE4ELNS1_11target_archE910ELNS1_3gpuE8ELNS1_3repE0EEENS1_48merge_mergepath_partition_config_static_selectorELNS0_4arch9wavefront6targetE1EEEvSF_: ; @_ZN7rocprim17ROCPRIM_400000_NS6detail17trampoline_kernelINS0_14default_configENS1_38merge_sort_block_merge_config_selectorIxNS0_10empty_typeEEEZZNS1_27merge_sort_block_merge_implIS3_PxPS5_jNS1_19radix_merge_compareILb0ELb1ExNS0_19identity_decomposerEEEEE10hipError_tT0_T1_T2_jT3_P12ihipStream_tbPNSt15iterator_traitsISE_E10value_typeEPNSK_ISF_E10value_typeEPSG_NS1_7vsmem_tEENKUlT_SE_SF_SG_E_clIS8_S8_S9_S9_EESD_ST_SE_SF_SG_EUlST_E_NS1_11comp_targetILNS1_3genE4ELNS1_11target_archE910ELNS1_3gpuE8ELNS1_3repE0EEENS1_48merge_mergepath_partition_config_static_selectorELNS0_4arch9wavefront6targetE1EEEvSF_
; %bb.0:
	s_load_dword s0, s[4:5], 0x0
	v_lshl_or_b32 v0, s6, 7, v0
	s_waitcnt lgkmcnt(0)
	v_cmp_gt_u32_e32 vcc, s0, v0
	s_and_saveexec_b64 s[0:1], vcc
	s_cbranch_execz .LBB1051_6
; %bb.1:
	s_load_dwordx2 s[6:7], s[4:5], 0x4
	s_load_dwordx4 s[0:3], s[4:5], 0x18
	s_waitcnt lgkmcnt(0)
	s_lshr_b32 s8, s6, 9
	s_and_b32 s8, s8, 0x7ffffe
	s_add_i32 s9, s8, -1
	s_sub_i32 s8, 0, s8
	v_and_b32_e32 v1, s8, v0
	v_lshlrev_b32_e32 v1, 10, v1
	v_min_u32_e32 v2, s7, v1
	v_add_u32_e32 v1, s6, v1
	v_min_u32_e32 v4, s7, v1
	v_add_u32_e32 v1, s6, v4
	v_and_b32_e32 v3, s9, v0
	v_min_u32_e32 v1, s7, v1
	v_sub_u32_e32 v5, v1, v2
	v_lshlrev_b32_e32 v3, 10, v3
	v_min_u32_e32 v6, v5, v3
	v_sub_u32_e32 v3, v4, v2
	v_sub_u32_e32 v1, v1, v4
	v_sub_u32_e64 v1, v6, v1 clamp
	v_min_u32_e32 v7, v6, v3
	v_cmp_lt_u32_e32 vcc, v1, v7
	s_and_saveexec_b64 s[6:7], vcc
	s_cbranch_execz .LBB1051_5
; %bb.2:
	s_load_dwordx2 s[4:5], s[4:5], 0x10
	v_mov_b32_e32 v5, 0
	v_mov_b32_e32 v3, v5
	v_lshlrev_b64 v[8:9], 3, v[2:3]
	v_lshlrev_b64 v[10:11], 3, v[4:5]
	s_waitcnt lgkmcnt(0)
	v_mov_b32_e32 v12, s5
	v_add_co_u32_e32 v3, vcc, s4, v8
	v_addc_co_u32_e32 v8, vcc, v12, v9, vcc
	v_add_co_u32_e32 v9, vcc, s4, v10
	v_addc_co_u32_e32 v10, vcc, v12, v11, vcc
	s_mov_b64 s[4:5], 0
.LBB1051_3:                             ; =>This Inner Loop Header: Depth=1
	v_add_u32_e32 v4, v7, v1
	v_lshrrev_b32_e32 v4, 1, v4
	v_lshlrev_b64 v[14:15], 3, v[4:5]
	v_mov_b32_e32 v13, v5
	v_xad_u32 v12, v4, -1, v6
	v_add_co_u32_e32 v14, vcc, v3, v14
	v_addc_co_u32_e32 v15, vcc, v8, v15, vcc
	v_lshlrev_b64 v[12:13], 3, v[12:13]
	v_add_co_u32_e32 v12, vcc, v9, v12
	v_addc_co_u32_e32 v13, vcc, v10, v13, vcc
	global_load_dwordx2 v[14:15], v[14:15], off
	v_add_u32_e32 v11, 1, v4
	global_load_dwordx2 v[12:13], v[12:13], off
	s_waitcnt vmcnt(1)
	v_and_b32_e32 v15, s1, v15
	v_and_b32_e32 v14, s0, v14
	s_waitcnt vmcnt(0)
	v_and_b32_e32 v13, s1, v13
	v_and_b32_e32 v12, s0, v12
	v_cmp_gt_i64_e32 vcc, v[14:15], v[12:13]
	v_cndmask_b32_e32 v7, v7, v4, vcc
	v_cndmask_b32_e32 v1, v11, v1, vcc
	v_cmp_ge_u32_e32 vcc, v1, v7
	s_or_b64 s[4:5], vcc, s[4:5]
	s_andn2_b64 exec, exec, s[4:5]
	s_cbranch_execnz .LBB1051_3
; %bb.4:
	s_or_b64 exec, exec, s[4:5]
.LBB1051_5:
	s_or_b64 exec, exec, s[6:7]
	v_add_u32_e32 v2, v1, v2
	v_mov_b32_e32 v1, 0
	v_lshlrev_b64 v[0:1], 2, v[0:1]
	v_mov_b32_e32 v3, s3
	v_add_co_u32_e32 v0, vcc, s2, v0
	v_addc_co_u32_e32 v1, vcc, v3, v1, vcc
	global_store_dword v[0:1], v2, off
.LBB1051_6:
	s_endpgm
	.section	.rodata,"a",@progbits
	.p2align	6, 0x0
	.amdhsa_kernel _ZN7rocprim17ROCPRIM_400000_NS6detail17trampoline_kernelINS0_14default_configENS1_38merge_sort_block_merge_config_selectorIxNS0_10empty_typeEEEZZNS1_27merge_sort_block_merge_implIS3_PxPS5_jNS1_19radix_merge_compareILb0ELb1ExNS0_19identity_decomposerEEEEE10hipError_tT0_T1_T2_jT3_P12ihipStream_tbPNSt15iterator_traitsISE_E10value_typeEPNSK_ISF_E10value_typeEPSG_NS1_7vsmem_tEENKUlT_SE_SF_SG_E_clIS8_S8_S9_S9_EESD_ST_SE_SF_SG_EUlST_E_NS1_11comp_targetILNS1_3genE4ELNS1_11target_archE910ELNS1_3gpuE8ELNS1_3repE0EEENS1_48merge_mergepath_partition_config_static_selectorELNS0_4arch9wavefront6targetE1EEEvSF_
		.amdhsa_group_segment_fixed_size 0
		.amdhsa_private_segment_fixed_size 0
		.amdhsa_kernarg_size 40
		.amdhsa_user_sgpr_count 6
		.amdhsa_user_sgpr_private_segment_buffer 1
		.amdhsa_user_sgpr_dispatch_ptr 0
		.amdhsa_user_sgpr_queue_ptr 0
		.amdhsa_user_sgpr_kernarg_segment_ptr 1
		.amdhsa_user_sgpr_dispatch_id 0
		.amdhsa_user_sgpr_flat_scratch_init 0
		.amdhsa_user_sgpr_kernarg_preload_length 0
		.amdhsa_user_sgpr_kernarg_preload_offset 0
		.amdhsa_user_sgpr_private_segment_size 0
		.amdhsa_uses_dynamic_stack 0
		.amdhsa_system_sgpr_private_segment_wavefront_offset 0
		.amdhsa_system_sgpr_workgroup_id_x 1
		.amdhsa_system_sgpr_workgroup_id_y 0
		.amdhsa_system_sgpr_workgroup_id_z 0
		.amdhsa_system_sgpr_workgroup_info 0
		.amdhsa_system_vgpr_workitem_id 0
		.amdhsa_next_free_vgpr 16
		.amdhsa_next_free_sgpr 10
		.amdhsa_accum_offset 16
		.amdhsa_reserve_vcc 1
		.amdhsa_reserve_flat_scratch 0
		.amdhsa_float_round_mode_32 0
		.amdhsa_float_round_mode_16_64 0
		.amdhsa_float_denorm_mode_32 3
		.amdhsa_float_denorm_mode_16_64 3
		.amdhsa_dx10_clamp 1
		.amdhsa_ieee_mode 1
		.amdhsa_fp16_overflow 0
		.amdhsa_tg_split 0
		.amdhsa_exception_fp_ieee_invalid_op 0
		.amdhsa_exception_fp_denorm_src 0
		.amdhsa_exception_fp_ieee_div_zero 0
		.amdhsa_exception_fp_ieee_overflow 0
		.amdhsa_exception_fp_ieee_underflow 0
		.amdhsa_exception_fp_ieee_inexact 0
		.amdhsa_exception_int_div_zero 0
	.end_amdhsa_kernel
	.section	.text._ZN7rocprim17ROCPRIM_400000_NS6detail17trampoline_kernelINS0_14default_configENS1_38merge_sort_block_merge_config_selectorIxNS0_10empty_typeEEEZZNS1_27merge_sort_block_merge_implIS3_PxPS5_jNS1_19radix_merge_compareILb0ELb1ExNS0_19identity_decomposerEEEEE10hipError_tT0_T1_T2_jT3_P12ihipStream_tbPNSt15iterator_traitsISE_E10value_typeEPNSK_ISF_E10value_typeEPSG_NS1_7vsmem_tEENKUlT_SE_SF_SG_E_clIS8_S8_S9_S9_EESD_ST_SE_SF_SG_EUlST_E_NS1_11comp_targetILNS1_3genE4ELNS1_11target_archE910ELNS1_3gpuE8ELNS1_3repE0EEENS1_48merge_mergepath_partition_config_static_selectorELNS0_4arch9wavefront6targetE1EEEvSF_,"axG",@progbits,_ZN7rocprim17ROCPRIM_400000_NS6detail17trampoline_kernelINS0_14default_configENS1_38merge_sort_block_merge_config_selectorIxNS0_10empty_typeEEEZZNS1_27merge_sort_block_merge_implIS3_PxPS5_jNS1_19radix_merge_compareILb0ELb1ExNS0_19identity_decomposerEEEEE10hipError_tT0_T1_T2_jT3_P12ihipStream_tbPNSt15iterator_traitsISE_E10value_typeEPNSK_ISF_E10value_typeEPSG_NS1_7vsmem_tEENKUlT_SE_SF_SG_E_clIS8_S8_S9_S9_EESD_ST_SE_SF_SG_EUlST_E_NS1_11comp_targetILNS1_3genE4ELNS1_11target_archE910ELNS1_3gpuE8ELNS1_3repE0EEENS1_48merge_mergepath_partition_config_static_selectorELNS0_4arch9wavefront6targetE1EEEvSF_,comdat
.Lfunc_end1051:
	.size	_ZN7rocprim17ROCPRIM_400000_NS6detail17trampoline_kernelINS0_14default_configENS1_38merge_sort_block_merge_config_selectorIxNS0_10empty_typeEEEZZNS1_27merge_sort_block_merge_implIS3_PxPS5_jNS1_19radix_merge_compareILb0ELb1ExNS0_19identity_decomposerEEEEE10hipError_tT0_T1_T2_jT3_P12ihipStream_tbPNSt15iterator_traitsISE_E10value_typeEPNSK_ISF_E10value_typeEPSG_NS1_7vsmem_tEENKUlT_SE_SF_SG_E_clIS8_S8_S9_S9_EESD_ST_SE_SF_SG_EUlST_E_NS1_11comp_targetILNS1_3genE4ELNS1_11target_archE910ELNS1_3gpuE8ELNS1_3repE0EEENS1_48merge_mergepath_partition_config_static_selectorELNS0_4arch9wavefront6targetE1EEEvSF_, .Lfunc_end1051-_ZN7rocprim17ROCPRIM_400000_NS6detail17trampoline_kernelINS0_14default_configENS1_38merge_sort_block_merge_config_selectorIxNS0_10empty_typeEEEZZNS1_27merge_sort_block_merge_implIS3_PxPS5_jNS1_19radix_merge_compareILb0ELb1ExNS0_19identity_decomposerEEEEE10hipError_tT0_T1_T2_jT3_P12ihipStream_tbPNSt15iterator_traitsISE_E10value_typeEPNSK_ISF_E10value_typeEPSG_NS1_7vsmem_tEENKUlT_SE_SF_SG_E_clIS8_S8_S9_S9_EESD_ST_SE_SF_SG_EUlST_E_NS1_11comp_targetILNS1_3genE4ELNS1_11target_archE910ELNS1_3gpuE8ELNS1_3repE0EEENS1_48merge_mergepath_partition_config_static_selectorELNS0_4arch9wavefront6targetE1EEEvSF_
                                        ; -- End function
	.section	.AMDGPU.csdata,"",@progbits
; Kernel info:
; codeLenInByte = 380
; NumSgprs: 14
; NumVgprs: 16
; NumAgprs: 0
; TotalNumVgprs: 16
; ScratchSize: 0
; MemoryBound: 0
; FloatMode: 240
; IeeeMode: 1
; LDSByteSize: 0 bytes/workgroup (compile time only)
; SGPRBlocks: 1
; VGPRBlocks: 1
; NumSGPRsForWavesPerEU: 14
; NumVGPRsForWavesPerEU: 16
; AccumOffset: 16
; Occupancy: 8
; WaveLimiterHint : 0
; COMPUTE_PGM_RSRC2:SCRATCH_EN: 0
; COMPUTE_PGM_RSRC2:USER_SGPR: 6
; COMPUTE_PGM_RSRC2:TRAP_HANDLER: 0
; COMPUTE_PGM_RSRC2:TGID_X_EN: 1
; COMPUTE_PGM_RSRC2:TGID_Y_EN: 0
; COMPUTE_PGM_RSRC2:TGID_Z_EN: 0
; COMPUTE_PGM_RSRC2:TIDIG_COMP_CNT: 0
; COMPUTE_PGM_RSRC3_GFX90A:ACCUM_OFFSET: 3
; COMPUTE_PGM_RSRC3_GFX90A:TG_SPLIT: 0
	.section	.text._ZN7rocprim17ROCPRIM_400000_NS6detail17trampoline_kernelINS0_14default_configENS1_38merge_sort_block_merge_config_selectorIxNS0_10empty_typeEEEZZNS1_27merge_sort_block_merge_implIS3_PxPS5_jNS1_19radix_merge_compareILb0ELb1ExNS0_19identity_decomposerEEEEE10hipError_tT0_T1_T2_jT3_P12ihipStream_tbPNSt15iterator_traitsISE_E10value_typeEPNSK_ISF_E10value_typeEPSG_NS1_7vsmem_tEENKUlT_SE_SF_SG_E_clIS8_S8_S9_S9_EESD_ST_SE_SF_SG_EUlST_E_NS1_11comp_targetILNS1_3genE3ELNS1_11target_archE908ELNS1_3gpuE7ELNS1_3repE0EEENS1_48merge_mergepath_partition_config_static_selectorELNS0_4arch9wavefront6targetE1EEEvSF_,"axG",@progbits,_ZN7rocprim17ROCPRIM_400000_NS6detail17trampoline_kernelINS0_14default_configENS1_38merge_sort_block_merge_config_selectorIxNS0_10empty_typeEEEZZNS1_27merge_sort_block_merge_implIS3_PxPS5_jNS1_19radix_merge_compareILb0ELb1ExNS0_19identity_decomposerEEEEE10hipError_tT0_T1_T2_jT3_P12ihipStream_tbPNSt15iterator_traitsISE_E10value_typeEPNSK_ISF_E10value_typeEPSG_NS1_7vsmem_tEENKUlT_SE_SF_SG_E_clIS8_S8_S9_S9_EESD_ST_SE_SF_SG_EUlST_E_NS1_11comp_targetILNS1_3genE3ELNS1_11target_archE908ELNS1_3gpuE7ELNS1_3repE0EEENS1_48merge_mergepath_partition_config_static_selectorELNS0_4arch9wavefront6targetE1EEEvSF_,comdat
	.protected	_ZN7rocprim17ROCPRIM_400000_NS6detail17trampoline_kernelINS0_14default_configENS1_38merge_sort_block_merge_config_selectorIxNS0_10empty_typeEEEZZNS1_27merge_sort_block_merge_implIS3_PxPS5_jNS1_19radix_merge_compareILb0ELb1ExNS0_19identity_decomposerEEEEE10hipError_tT0_T1_T2_jT3_P12ihipStream_tbPNSt15iterator_traitsISE_E10value_typeEPNSK_ISF_E10value_typeEPSG_NS1_7vsmem_tEENKUlT_SE_SF_SG_E_clIS8_S8_S9_S9_EESD_ST_SE_SF_SG_EUlST_E_NS1_11comp_targetILNS1_3genE3ELNS1_11target_archE908ELNS1_3gpuE7ELNS1_3repE0EEENS1_48merge_mergepath_partition_config_static_selectorELNS0_4arch9wavefront6targetE1EEEvSF_ ; -- Begin function _ZN7rocprim17ROCPRIM_400000_NS6detail17trampoline_kernelINS0_14default_configENS1_38merge_sort_block_merge_config_selectorIxNS0_10empty_typeEEEZZNS1_27merge_sort_block_merge_implIS3_PxPS5_jNS1_19radix_merge_compareILb0ELb1ExNS0_19identity_decomposerEEEEE10hipError_tT0_T1_T2_jT3_P12ihipStream_tbPNSt15iterator_traitsISE_E10value_typeEPNSK_ISF_E10value_typeEPSG_NS1_7vsmem_tEENKUlT_SE_SF_SG_E_clIS8_S8_S9_S9_EESD_ST_SE_SF_SG_EUlST_E_NS1_11comp_targetILNS1_3genE3ELNS1_11target_archE908ELNS1_3gpuE7ELNS1_3repE0EEENS1_48merge_mergepath_partition_config_static_selectorELNS0_4arch9wavefront6targetE1EEEvSF_
	.globl	_ZN7rocprim17ROCPRIM_400000_NS6detail17trampoline_kernelINS0_14default_configENS1_38merge_sort_block_merge_config_selectorIxNS0_10empty_typeEEEZZNS1_27merge_sort_block_merge_implIS3_PxPS5_jNS1_19radix_merge_compareILb0ELb1ExNS0_19identity_decomposerEEEEE10hipError_tT0_T1_T2_jT3_P12ihipStream_tbPNSt15iterator_traitsISE_E10value_typeEPNSK_ISF_E10value_typeEPSG_NS1_7vsmem_tEENKUlT_SE_SF_SG_E_clIS8_S8_S9_S9_EESD_ST_SE_SF_SG_EUlST_E_NS1_11comp_targetILNS1_3genE3ELNS1_11target_archE908ELNS1_3gpuE7ELNS1_3repE0EEENS1_48merge_mergepath_partition_config_static_selectorELNS0_4arch9wavefront6targetE1EEEvSF_
	.p2align	8
	.type	_ZN7rocprim17ROCPRIM_400000_NS6detail17trampoline_kernelINS0_14default_configENS1_38merge_sort_block_merge_config_selectorIxNS0_10empty_typeEEEZZNS1_27merge_sort_block_merge_implIS3_PxPS5_jNS1_19radix_merge_compareILb0ELb1ExNS0_19identity_decomposerEEEEE10hipError_tT0_T1_T2_jT3_P12ihipStream_tbPNSt15iterator_traitsISE_E10value_typeEPNSK_ISF_E10value_typeEPSG_NS1_7vsmem_tEENKUlT_SE_SF_SG_E_clIS8_S8_S9_S9_EESD_ST_SE_SF_SG_EUlST_E_NS1_11comp_targetILNS1_3genE3ELNS1_11target_archE908ELNS1_3gpuE7ELNS1_3repE0EEENS1_48merge_mergepath_partition_config_static_selectorELNS0_4arch9wavefront6targetE1EEEvSF_,@function
_ZN7rocprim17ROCPRIM_400000_NS6detail17trampoline_kernelINS0_14default_configENS1_38merge_sort_block_merge_config_selectorIxNS0_10empty_typeEEEZZNS1_27merge_sort_block_merge_implIS3_PxPS5_jNS1_19radix_merge_compareILb0ELb1ExNS0_19identity_decomposerEEEEE10hipError_tT0_T1_T2_jT3_P12ihipStream_tbPNSt15iterator_traitsISE_E10value_typeEPNSK_ISF_E10value_typeEPSG_NS1_7vsmem_tEENKUlT_SE_SF_SG_E_clIS8_S8_S9_S9_EESD_ST_SE_SF_SG_EUlST_E_NS1_11comp_targetILNS1_3genE3ELNS1_11target_archE908ELNS1_3gpuE7ELNS1_3repE0EEENS1_48merge_mergepath_partition_config_static_selectorELNS0_4arch9wavefront6targetE1EEEvSF_: ; @_ZN7rocprim17ROCPRIM_400000_NS6detail17trampoline_kernelINS0_14default_configENS1_38merge_sort_block_merge_config_selectorIxNS0_10empty_typeEEEZZNS1_27merge_sort_block_merge_implIS3_PxPS5_jNS1_19radix_merge_compareILb0ELb1ExNS0_19identity_decomposerEEEEE10hipError_tT0_T1_T2_jT3_P12ihipStream_tbPNSt15iterator_traitsISE_E10value_typeEPNSK_ISF_E10value_typeEPSG_NS1_7vsmem_tEENKUlT_SE_SF_SG_E_clIS8_S8_S9_S9_EESD_ST_SE_SF_SG_EUlST_E_NS1_11comp_targetILNS1_3genE3ELNS1_11target_archE908ELNS1_3gpuE7ELNS1_3repE0EEENS1_48merge_mergepath_partition_config_static_selectorELNS0_4arch9wavefront6targetE1EEEvSF_
; %bb.0:
	.section	.rodata,"a",@progbits
	.p2align	6, 0x0
	.amdhsa_kernel _ZN7rocprim17ROCPRIM_400000_NS6detail17trampoline_kernelINS0_14default_configENS1_38merge_sort_block_merge_config_selectorIxNS0_10empty_typeEEEZZNS1_27merge_sort_block_merge_implIS3_PxPS5_jNS1_19radix_merge_compareILb0ELb1ExNS0_19identity_decomposerEEEEE10hipError_tT0_T1_T2_jT3_P12ihipStream_tbPNSt15iterator_traitsISE_E10value_typeEPNSK_ISF_E10value_typeEPSG_NS1_7vsmem_tEENKUlT_SE_SF_SG_E_clIS8_S8_S9_S9_EESD_ST_SE_SF_SG_EUlST_E_NS1_11comp_targetILNS1_3genE3ELNS1_11target_archE908ELNS1_3gpuE7ELNS1_3repE0EEENS1_48merge_mergepath_partition_config_static_selectorELNS0_4arch9wavefront6targetE1EEEvSF_
		.amdhsa_group_segment_fixed_size 0
		.amdhsa_private_segment_fixed_size 0
		.amdhsa_kernarg_size 40
		.amdhsa_user_sgpr_count 6
		.amdhsa_user_sgpr_private_segment_buffer 1
		.amdhsa_user_sgpr_dispatch_ptr 0
		.amdhsa_user_sgpr_queue_ptr 0
		.amdhsa_user_sgpr_kernarg_segment_ptr 1
		.amdhsa_user_sgpr_dispatch_id 0
		.amdhsa_user_sgpr_flat_scratch_init 0
		.amdhsa_user_sgpr_kernarg_preload_length 0
		.amdhsa_user_sgpr_kernarg_preload_offset 0
		.amdhsa_user_sgpr_private_segment_size 0
		.amdhsa_uses_dynamic_stack 0
		.amdhsa_system_sgpr_private_segment_wavefront_offset 0
		.amdhsa_system_sgpr_workgroup_id_x 1
		.amdhsa_system_sgpr_workgroup_id_y 0
		.amdhsa_system_sgpr_workgroup_id_z 0
		.amdhsa_system_sgpr_workgroup_info 0
		.amdhsa_system_vgpr_workitem_id 0
		.amdhsa_next_free_vgpr 1
		.amdhsa_next_free_sgpr 0
		.amdhsa_accum_offset 4
		.amdhsa_reserve_vcc 0
		.amdhsa_reserve_flat_scratch 0
		.amdhsa_float_round_mode_32 0
		.amdhsa_float_round_mode_16_64 0
		.amdhsa_float_denorm_mode_32 3
		.amdhsa_float_denorm_mode_16_64 3
		.amdhsa_dx10_clamp 1
		.amdhsa_ieee_mode 1
		.amdhsa_fp16_overflow 0
		.amdhsa_tg_split 0
		.amdhsa_exception_fp_ieee_invalid_op 0
		.amdhsa_exception_fp_denorm_src 0
		.amdhsa_exception_fp_ieee_div_zero 0
		.amdhsa_exception_fp_ieee_overflow 0
		.amdhsa_exception_fp_ieee_underflow 0
		.amdhsa_exception_fp_ieee_inexact 0
		.amdhsa_exception_int_div_zero 0
	.end_amdhsa_kernel
	.section	.text._ZN7rocprim17ROCPRIM_400000_NS6detail17trampoline_kernelINS0_14default_configENS1_38merge_sort_block_merge_config_selectorIxNS0_10empty_typeEEEZZNS1_27merge_sort_block_merge_implIS3_PxPS5_jNS1_19radix_merge_compareILb0ELb1ExNS0_19identity_decomposerEEEEE10hipError_tT0_T1_T2_jT3_P12ihipStream_tbPNSt15iterator_traitsISE_E10value_typeEPNSK_ISF_E10value_typeEPSG_NS1_7vsmem_tEENKUlT_SE_SF_SG_E_clIS8_S8_S9_S9_EESD_ST_SE_SF_SG_EUlST_E_NS1_11comp_targetILNS1_3genE3ELNS1_11target_archE908ELNS1_3gpuE7ELNS1_3repE0EEENS1_48merge_mergepath_partition_config_static_selectorELNS0_4arch9wavefront6targetE1EEEvSF_,"axG",@progbits,_ZN7rocprim17ROCPRIM_400000_NS6detail17trampoline_kernelINS0_14default_configENS1_38merge_sort_block_merge_config_selectorIxNS0_10empty_typeEEEZZNS1_27merge_sort_block_merge_implIS3_PxPS5_jNS1_19radix_merge_compareILb0ELb1ExNS0_19identity_decomposerEEEEE10hipError_tT0_T1_T2_jT3_P12ihipStream_tbPNSt15iterator_traitsISE_E10value_typeEPNSK_ISF_E10value_typeEPSG_NS1_7vsmem_tEENKUlT_SE_SF_SG_E_clIS8_S8_S9_S9_EESD_ST_SE_SF_SG_EUlST_E_NS1_11comp_targetILNS1_3genE3ELNS1_11target_archE908ELNS1_3gpuE7ELNS1_3repE0EEENS1_48merge_mergepath_partition_config_static_selectorELNS0_4arch9wavefront6targetE1EEEvSF_,comdat
.Lfunc_end1052:
	.size	_ZN7rocprim17ROCPRIM_400000_NS6detail17trampoline_kernelINS0_14default_configENS1_38merge_sort_block_merge_config_selectorIxNS0_10empty_typeEEEZZNS1_27merge_sort_block_merge_implIS3_PxPS5_jNS1_19radix_merge_compareILb0ELb1ExNS0_19identity_decomposerEEEEE10hipError_tT0_T1_T2_jT3_P12ihipStream_tbPNSt15iterator_traitsISE_E10value_typeEPNSK_ISF_E10value_typeEPSG_NS1_7vsmem_tEENKUlT_SE_SF_SG_E_clIS8_S8_S9_S9_EESD_ST_SE_SF_SG_EUlST_E_NS1_11comp_targetILNS1_3genE3ELNS1_11target_archE908ELNS1_3gpuE7ELNS1_3repE0EEENS1_48merge_mergepath_partition_config_static_selectorELNS0_4arch9wavefront6targetE1EEEvSF_, .Lfunc_end1052-_ZN7rocprim17ROCPRIM_400000_NS6detail17trampoline_kernelINS0_14default_configENS1_38merge_sort_block_merge_config_selectorIxNS0_10empty_typeEEEZZNS1_27merge_sort_block_merge_implIS3_PxPS5_jNS1_19radix_merge_compareILb0ELb1ExNS0_19identity_decomposerEEEEE10hipError_tT0_T1_T2_jT3_P12ihipStream_tbPNSt15iterator_traitsISE_E10value_typeEPNSK_ISF_E10value_typeEPSG_NS1_7vsmem_tEENKUlT_SE_SF_SG_E_clIS8_S8_S9_S9_EESD_ST_SE_SF_SG_EUlST_E_NS1_11comp_targetILNS1_3genE3ELNS1_11target_archE908ELNS1_3gpuE7ELNS1_3repE0EEENS1_48merge_mergepath_partition_config_static_selectorELNS0_4arch9wavefront6targetE1EEEvSF_
                                        ; -- End function
	.section	.AMDGPU.csdata,"",@progbits
; Kernel info:
; codeLenInByte = 0
; NumSgprs: 4
; NumVgprs: 0
; NumAgprs: 0
; TotalNumVgprs: 0
; ScratchSize: 0
; MemoryBound: 0
; FloatMode: 240
; IeeeMode: 1
; LDSByteSize: 0 bytes/workgroup (compile time only)
; SGPRBlocks: 0
; VGPRBlocks: 0
; NumSGPRsForWavesPerEU: 4
; NumVGPRsForWavesPerEU: 1
; AccumOffset: 4
; Occupancy: 8
; WaveLimiterHint : 0
; COMPUTE_PGM_RSRC2:SCRATCH_EN: 0
; COMPUTE_PGM_RSRC2:USER_SGPR: 6
; COMPUTE_PGM_RSRC2:TRAP_HANDLER: 0
; COMPUTE_PGM_RSRC2:TGID_X_EN: 1
; COMPUTE_PGM_RSRC2:TGID_Y_EN: 0
; COMPUTE_PGM_RSRC2:TGID_Z_EN: 0
; COMPUTE_PGM_RSRC2:TIDIG_COMP_CNT: 0
; COMPUTE_PGM_RSRC3_GFX90A:ACCUM_OFFSET: 0
; COMPUTE_PGM_RSRC3_GFX90A:TG_SPLIT: 0
	.section	.text._ZN7rocprim17ROCPRIM_400000_NS6detail17trampoline_kernelINS0_14default_configENS1_38merge_sort_block_merge_config_selectorIxNS0_10empty_typeEEEZZNS1_27merge_sort_block_merge_implIS3_PxPS5_jNS1_19radix_merge_compareILb0ELb1ExNS0_19identity_decomposerEEEEE10hipError_tT0_T1_T2_jT3_P12ihipStream_tbPNSt15iterator_traitsISE_E10value_typeEPNSK_ISF_E10value_typeEPSG_NS1_7vsmem_tEENKUlT_SE_SF_SG_E_clIS8_S8_S9_S9_EESD_ST_SE_SF_SG_EUlST_E_NS1_11comp_targetILNS1_3genE2ELNS1_11target_archE906ELNS1_3gpuE6ELNS1_3repE0EEENS1_48merge_mergepath_partition_config_static_selectorELNS0_4arch9wavefront6targetE1EEEvSF_,"axG",@progbits,_ZN7rocprim17ROCPRIM_400000_NS6detail17trampoline_kernelINS0_14default_configENS1_38merge_sort_block_merge_config_selectorIxNS0_10empty_typeEEEZZNS1_27merge_sort_block_merge_implIS3_PxPS5_jNS1_19radix_merge_compareILb0ELb1ExNS0_19identity_decomposerEEEEE10hipError_tT0_T1_T2_jT3_P12ihipStream_tbPNSt15iterator_traitsISE_E10value_typeEPNSK_ISF_E10value_typeEPSG_NS1_7vsmem_tEENKUlT_SE_SF_SG_E_clIS8_S8_S9_S9_EESD_ST_SE_SF_SG_EUlST_E_NS1_11comp_targetILNS1_3genE2ELNS1_11target_archE906ELNS1_3gpuE6ELNS1_3repE0EEENS1_48merge_mergepath_partition_config_static_selectorELNS0_4arch9wavefront6targetE1EEEvSF_,comdat
	.protected	_ZN7rocprim17ROCPRIM_400000_NS6detail17trampoline_kernelINS0_14default_configENS1_38merge_sort_block_merge_config_selectorIxNS0_10empty_typeEEEZZNS1_27merge_sort_block_merge_implIS3_PxPS5_jNS1_19radix_merge_compareILb0ELb1ExNS0_19identity_decomposerEEEEE10hipError_tT0_T1_T2_jT3_P12ihipStream_tbPNSt15iterator_traitsISE_E10value_typeEPNSK_ISF_E10value_typeEPSG_NS1_7vsmem_tEENKUlT_SE_SF_SG_E_clIS8_S8_S9_S9_EESD_ST_SE_SF_SG_EUlST_E_NS1_11comp_targetILNS1_3genE2ELNS1_11target_archE906ELNS1_3gpuE6ELNS1_3repE0EEENS1_48merge_mergepath_partition_config_static_selectorELNS0_4arch9wavefront6targetE1EEEvSF_ ; -- Begin function _ZN7rocprim17ROCPRIM_400000_NS6detail17trampoline_kernelINS0_14default_configENS1_38merge_sort_block_merge_config_selectorIxNS0_10empty_typeEEEZZNS1_27merge_sort_block_merge_implIS3_PxPS5_jNS1_19radix_merge_compareILb0ELb1ExNS0_19identity_decomposerEEEEE10hipError_tT0_T1_T2_jT3_P12ihipStream_tbPNSt15iterator_traitsISE_E10value_typeEPNSK_ISF_E10value_typeEPSG_NS1_7vsmem_tEENKUlT_SE_SF_SG_E_clIS8_S8_S9_S9_EESD_ST_SE_SF_SG_EUlST_E_NS1_11comp_targetILNS1_3genE2ELNS1_11target_archE906ELNS1_3gpuE6ELNS1_3repE0EEENS1_48merge_mergepath_partition_config_static_selectorELNS0_4arch9wavefront6targetE1EEEvSF_
	.globl	_ZN7rocprim17ROCPRIM_400000_NS6detail17trampoline_kernelINS0_14default_configENS1_38merge_sort_block_merge_config_selectorIxNS0_10empty_typeEEEZZNS1_27merge_sort_block_merge_implIS3_PxPS5_jNS1_19radix_merge_compareILb0ELb1ExNS0_19identity_decomposerEEEEE10hipError_tT0_T1_T2_jT3_P12ihipStream_tbPNSt15iterator_traitsISE_E10value_typeEPNSK_ISF_E10value_typeEPSG_NS1_7vsmem_tEENKUlT_SE_SF_SG_E_clIS8_S8_S9_S9_EESD_ST_SE_SF_SG_EUlST_E_NS1_11comp_targetILNS1_3genE2ELNS1_11target_archE906ELNS1_3gpuE6ELNS1_3repE0EEENS1_48merge_mergepath_partition_config_static_selectorELNS0_4arch9wavefront6targetE1EEEvSF_
	.p2align	8
	.type	_ZN7rocprim17ROCPRIM_400000_NS6detail17trampoline_kernelINS0_14default_configENS1_38merge_sort_block_merge_config_selectorIxNS0_10empty_typeEEEZZNS1_27merge_sort_block_merge_implIS3_PxPS5_jNS1_19radix_merge_compareILb0ELb1ExNS0_19identity_decomposerEEEEE10hipError_tT0_T1_T2_jT3_P12ihipStream_tbPNSt15iterator_traitsISE_E10value_typeEPNSK_ISF_E10value_typeEPSG_NS1_7vsmem_tEENKUlT_SE_SF_SG_E_clIS8_S8_S9_S9_EESD_ST_SE_SF_SG_EUlST_E_NS1_11comp_targetILNS1_3genE2ELNS1_11target_archE906ELNS1_3gpuE6ELNS1_3repE0EEENS1_48merge_mergepath_partition_config_static_selectorELNS0_4arch9wavefront6targetE1EEEvSF_,@function
_ZN7rocprim17ROCPRIM_400000_NS6detail17trampoline_kernelINS0_14default_configENS1_38merge_sort_block_merge_config_selectorIxNS0_10empty_typeEEEZZNS1_27merge_sort_block_merge_implIS3_PxPS5_jNS1_19radix_merge_compareILb0ELb1ExNS0_19identity_decomposerEEEEE10hipError_tT0_T1_T2_jT3_P12ihipStream_tbPNSt15iterator_traitsISE_E10value_typeEPNSK_ISF_E10value_typeEPSG_NS1_7vsmem_tEENKUlT_SE_SF_SG_E_clIS8_S8_S9_S9_EESD_ST_SE_SF_SG_EUlST_E_NS1_11comp_targetILNS1_3genE2ELNS1_11target_archE906ELNS1_3gpuE6ELNS1_3repE0EEENS1_48merge_mergepath_partition_config_static_selectorELNS0_4arch9wavefront6targetE1EEEvSF_: ; @_ZN7rocprim17ROCPRIM_400000_NS6detail17trampoline_kernelINS0_14default_configENS1_38merge_sort_block_merge_config_selectorIxNS0_10empty_typeEEEZZNS1_27merge_sort_block_merge_implIS3_PxPS5_jNS1_19radix_merge_compareILb0ELb1ExNS0_19identity_decomposerEEEEE10hipError_tT0_T1_T2_jT3_P12ihipStream_tbPNSt15iterator_traitsISE_E10value_typeEPNSK_ISF_E10value_typeEPSG_NS1_7vsmem_tEENKUlT_SE_SF_SG_E_clIS8_S8_S9_S9_EESD_ST_SE_SF_SG_EUlST_E_NS1_11comp_targetILNS1_3genE2ELNS1_11target_archE906ELNS1_3gpuE6ELNS1_3repE0EEENS1_48merge_mergepath_partition_config_static_selectorELNS0_4arch9wavefront6targetE1EEEvSF_
; %bb.0:
	.section	.rodata,"a",@progbits
	.p2align	6, 0x0
	.amdhsa_kernel _ZN7rocprim17ROCPRIM_400000_NS6detail17trampoline_kernelINS0_14default_configENS1_38merge_sort_block_merge_config_selectorIxNS0_10empty_typeEEEZZNS1_27merge_sort_block_merge_implIS3_PxPS5_jNS1_19radix_merge_compareILb0ELb1ExNS0_19identity_decomposerEEEEE10hipError_tT0_T1_T2_jT3_P12ihipStream_tbPNSt15iterator_traitsISE_E10value_typeEPNSK_ISF_E10value_typeEPSG_NS1_7vsmem_tEENKUlT_SE_SF_SG_E_clIS8_S8_S9_S9_EESD_ST_SE_SF_SG_EUlST_E_NS1_11comp_targetILNS1_3genE2ELNS1_11target_archE906ELNS1_3gpuE6ELNS1_3repE0EEENS1_48merge_mergepath_partition_config_static_selectorELNS0_4arch9wavefront6targetE1EEEvSF_
		.amdhsa_group_segment_fixed_size 0
		.amdhsa_private_segment_fixed_size 0
		.amdhsa_kernarg_size 40
		.amdhsa_user_sgpr_count 6
		.amdhsa_user_sgpr_private_segment_buffer 1
		.amdhsa_user_sgpr_dispatch_ptr 0
		.amdhsa_user_sgpr_queue_ptr 0
		.amdhsa_user_sgpr_kernarg_segment_ptr 1
		.amdhsa_user_sgpr_dispatch_id 0
		.amdhsa_user_sgpr_flat_scratch_init 0
		.amdhsa_user_sgpr_kernarg_preload_length 0
		.amdhsa_user_sgpr_kernarg_preload_offset 0
		.amdhsa_user_sgpr_private_segment_size 0
		.amdhsa_uses_dynamic_stack 0
		.amdhsa_system_sgpr_private_segment_wavefront_offset 0
		.amdhsa_system_sgpr_workgroup_id_x 1
		.amdhsa_system_sgpr_workgroup_id_y 0
		.amdhsa_system_sgpr_workgroup_id_z 0
		.amdhsa_system_sgpr_workgroup_info 0
		.amdhsa_system_vgpr_workitem_id 0
		.amdhsa_next_free_vgpr 1
		.amdhsa_next_free_sgpr 0
		.amdhsa_accum_offset 4
		.amdhsa_reserve_vcc 0
		.amdhsa_reserve_flat_scratch 0
		.amdhsa_float_round_mode_32 0
		.amdhsa_float_round_mode_16_64 0
		.amdhsa_float_denorm_mode_32 3
		.amdhsa_float_denorm_mode_16_64 3
		.amdhsa_dx10_clamp 1
		.amdhsa_ieee_mode 1
		.amdhsa_fp16_overflow 0
		.amdhsa_tg_split 0
		.amdhsa_exception_fp_ieee_invalid_op 0
		.amdhsa_exception_fp_denorm_src 0
		.amdhsa_exception_fp_ieee_div_zero 0
		.amdhsa_exception_fp_ieee_overflow 0
		.amdhsa_exception_fp_ieee_underflow 0
		.amdhsa_exception_fp_ieee_inexact 0
		.amdhsa_exception_int_div_zero 0
	.end_amdhsa_kernel
	.section	.text._ZN7rocprim17ROCPRIM_400000_NS6detail17trampoline_kernelINS0_14default_configENS1_38merge_sort_block_merge_config_selectorIxNS0_10empty_typeEEEZZNS1_27merge_sort_block_merge_implIS3_PxPS5_jNS1_19radix_merge_compareILb0ELb1ExNS0_19identity_decomposerEEEEE10hipError_tT0_T1_T2_jT3_P12ihipStream_tbPNSt15iterator_traitsISE_E10value_typeEPNSK_ISF_E10value_typeEPSG_NS1_7vsmem_tEENKUlT_SE_SF_SG_E_clIS8_S8_S9_S9_EESD_ST_SE_SF_SG_EUlST_E_NS1_11comp_targetILNS1_3genE2ELNS1_11target_archE906ELNS1_3gpuE6ELNS1_3repE0EEENS1_48merge_mergepath_partition_config_static_selectorELNS0_4arch9wavefront6targetE1EEEvSF_,"axG",@progbits,_ZN7rocprim17ROCPRIM_400000_NS6detail17trampoline_kernelINS0_14default_configENS1_38merge_sort_block_merge_config_selectorIxNS0_10empty_typeEEEZZNS1_27merge_sort_block_merge_implIS3_PxPS5_jNS1_19radix_merge_compareILb0ELb1ExNS0_19identity_decomposerEEEEE10hipError_tT0_T1_T2_jT3_P12ihipStream_tbPNSt15iterator_traitsISE_E10value_typeEPNSK_ISF_E10value_typeEPSG_NS1_7vsmem_tEENKUlT_SE_SF_SG_E_clIS8_S8_S9_S9_EESD_ST_SE_SF_SG_EUlST_E_NS1_11comp_targetILNS1_3genE2ELNS1_11target_archE906ELNS1_3gpuE6ELNS1_3repE0EEENS1_48merge_mergepath_partition_config_static_selectorELNS0_4arch9wavefront6targetE1EEEvSF_,comdat
.Lfunc_end1053:
	.size	_ZN7rocprim17ROCPRIM_400000_NS6detail17trampoline_kernelINS0_14default_configENS1_38merge_sort_block_merge_config_selectorIxNS0_10empty_typeEEEZZNS1_27merge_sort_block_merge_implIS3_PxPS5_jNS1_19radix_merge_compareILb0ELb1ExNS0_19identity_decomposerEEEEE10hipError_tT0_T1_T2_jT3_P12ihipStream_tbPNSt15iterator_traitsISE_E10value_typeEPNSK_ISF_E10value_typeEPSG_NS1_7vsmem_tEENKUlT_SE_SF_SG_E_clIS8_S8_S9_S9_EESD_ST_SE_SF_SG_EUlST_E_NS1_11comp_targetILNS1_3genE2ELNS1_11target_archE906ELNS1_3gpuE6ELNS1_3repE0EEENS1_48merge_mergepath_partition_config_static_selectorELNS0_4arch9wavefront6targetE1EEEvSF_, .Lfunc_end1053-_ZN7rocprim17ROCPRIM_400000_NS6detail17trampoline_kernelINS0_14default_configENS1_38merge_sort_block_merge_config_selectorIxNS0_10empty_typeEEEZZNS1_27merge_sort_block_merge_implIS3_PxPS5_jNS1_19radix_merge_compareILb0ELb1ExNS0_19identity_decomposerEEEEE10hipError_tT0_T1_T2_jT3_P12ihipStream_tbPNSt15iterator_traitsISE_E10value_typeEPNSK_ISF_E10value_typeEPSG_NS1_7vsmem_tEENKUlT_SE_SF_SG_E_clIS8_S8_S9_S9_EESD_ST_SE_SF_SG_EUlST_E_NS1_11comp_targetILNS1_3genE2ELNS1_11target_archE906ELNS1_3gpuE6ELNS1_3repE0EEENS1_48merge_mergepath_partition_config_static_selectorELNS0_4arch9wavefront6targetE1EEEvSF_
                                        ; -- End function
	.section	.AMDGPU.csdata,"",@progbits
; Kernel info:
; codeLenInByte = 0
; NumSgprs: 4
; NumVgprs: 0
; NumAgprs: 0
; TotalNumVgprs: 0
; ScratchSize: 0
; MemoryBound: 0
; FloatMode: 240
; IeeeMode: 1
; LDSByteSize: 0 bytes/workgroup (compile time only)
; SGPRBlocks: 0
; VGPRBlocks: 0
; NumSGPRsForWavesPerEU: 4
; NumVGPRsForWavesPerEU: 1
; AccumOffset: 4
; Occupancy: 8
; WaveLimiterHint : 0
; COMPUTE_PGM_RSRC2:SCRATCH_EN: 0
; COMPUTE_PGM_RSRC2:USER_SGPR: 6
; COMPUTE_PGM_RSRC2:TRAP_HANDLER: 0
; COMPUTE_PGM_RSRC2:TGID_X_EN: 1
; COMPUTE_PGM_RSRC2:TGID_Y_EN: 0
; COMPUTE_PGM_RSRC2:TGID_Z_EN: 0
; COMPUTE_PGM_RSRC2:TIDIG_COMP_CNT: 0
; COMPUTE_PGM_RSRC3_GFX90A:ACCUM_OFFSET: 0
; COMPUTE_PGM_RSRC3_GFX90A:TG_SPLIT: 0
	.section	.text._ZN7rocprim17ROCPRIM_400000_NS6detail17trampoline_kernelINS0_14default_configENS1_38merge_sort_block_merge_config_selectorIxNS0_10empty_typeEEEZZNS1_27merge_sort_block_merge_implIS3_PxPS5_jNS1_19radix_merge_compareILb0ELb1ExNS0_19identity_decomposerEEEEE10hipError_tT0_T1_T2_jT3_P12ihipStream_tbPNSt15iterator_traitsISE_E10value_typeEPNSK_ISF_E10value_typeEPSG_NS1_7vsmem_tEENKUlT_SE_SF_SG_E_clIS8_S8_S9_S9_EESD_ST_SE_SF_SG_EUlST_E_NS1_11comp_targetILNS1_3genE9ELNS1_11target_archE1100ELNS1_3gpuE3ELNS1_3repE0EEENS1_48merge_mergepath_partition_config_static_selectorELNS0_4arch9wavefront6targetE1EEEvSF_,"axG",@progbits,_ZN7rocprim17ROCPRIM_400000_NS6detail17trampoline_kernelINS0_14default_configENS1_38merge_sort_block_merge_config_selectorIxNS0_10empty_typeEEEZZNS1_27merge_sort_block_merge_implIS3_PxPS5_jNS1_19radix_merge_compareILb0ELb1ExNS0_19identity_decomposerEEEEE10hipError_tT0_T1_T2_jT3_P12ihipStream_tbPNSt15iterator_traitsISE_E10value_typeEPNSK_ISF_E10value_typeEPSG_NS1_7vsmem_tEENKUlT_SE_SF_SG_E_clIS8_S8_S9_S9_EESD_ST_SE_SF_SG_EUlST_E_NS1_11comp_targetILNS1_3genE9ELNS1_11target_archE1100ELNS1_3gpuE3ELNS1_3repE0EEENS1_48merge_mergepath_partition_config_static_selectorELNS0_4arch9wavefront6targetE1EEEvSF_,comdat
	.protected	_ZN7rocprim17ROCPRIM_400000_NS6detail17trampoline_kernelINS0_14default_configENS1_38merge_sort_block_merge_config_selectorIxNS0_10empty_typeEEEZZNS1_27merge_sort_block_merge_implIS3_PxPS5_jNS1_19radix_merge_compareILb0ELb1ExNS0_19identity_decomposerEEEEE10hipError_tT0_T1_T2_jT3_P12ihipStream_tbPNSt15iterator_traitsISE_E10value_typeEPNSK_ISF_E10value_typeEPSG_NS1_7vsmem_tEENKUlT_SE_SF_SG_E_clIS8_S8_S9_S9_EESD_ST_SE_SF_SG_EUlST_E_NS1_11comp_targetILNS1_3genE9ELNS1_11target_archE1100ELNS1_3gpuE3ELNS1_3repE0EEENS1_48merge_mergepath_partition_config_static_selectorELNS0_4arch9wavefront6targetE1EEEvSF_ ; -- Begin function _ZN7rocprim17ROCPRIM_400000_NS6detail17trampoline_kernelINS0_14default_configENS1_38merge_sort_block_merge_config_selectorIxNS0_10empty_typeEEEZZNS1_27merge_sort_block_merge_implIS3_PxPS5_jNS1_19radix_merge_compareILb0ELb1ExNS0_19identity_decomposerEEEEE10hipError_tT0_T1_T2_jT3_P12ihipStream_tbPNSt15iterator_traitsISE_E10value_typeEPNSK_ISF_E10value_typeEPSG_NS1_7vsmem_tEENKUlT_SE_SF_SG_E_clIS8_S8_S9_S9_EESD_ST_SE_SF_SG_EUlST_E_NS1_11comp_targetILNS1_3genE9ELNS1_11target_archE1100ELNS1_3gpuE3ELNS1_3repE0EEENS1_48merge_mergepath_partition_config_static_selectorELNS0_4arch9wavefront6targetE1EEEvSF_
	.globl	_ZN7rocprim17ROCPRIM_400000_NS6detail17trampoline_kernelINS0_14default_configENS1_38merge_sort_block_merge_config_selectorIxNS0_10empty_typeEEEZZNS1_27merge_sort_block_merge_implIS3_PxPS5_jNS1_19radix_merge_compareILb0ELb1ExNS0_19identity_decomposerEEEEE10hipError_tT0_T1_T2_jT3_P12ihipStream_tbPNSt15iterator_traitsISE_E10value_typeEPNSK_ISF_E10value_typeEPSG_NS1_7vsmem_tEENKUlT_SE_SF_SG_E_clIS8_S8_S9_S9_EESD_ST_SE_SF_SG_EUlST_E_NS1_11comp_targetILNS1_3genE9ELNS1_11target_archE1100ELNS1_3gpuE3ELNS1_3repE0EEENS1_48merge_mergepath_partition_config_static_selectorELNS0_4arch9wavefront6targetE1EEEvSF_
	.p2align	8
	.type	_ZN7rocprim17ROCPRIM_400000_NS6detail17trampoline_kernelINS0_14default_configENS1_38merge_sort_block_merge_config_selectorIxNS0_10empty_typeEEEZZNS1_27merge_sort_block_merge_implIS3_PxPS5_jNS1_19radix_merge_compareILb0ELb1ExNS0_19identity_decomposerEEEEE10hipError_tT0_T1_T2_jT3_P12ihipStream_tbPNSt15iterator_traitsISE_E10value_typeEPNSK_ISF_E10value_typeEPSG_NS1_7vsmem_tEENKUlT_SE_SF_SG_E_clIS8_S8_S9_S9_EESD_ST_SE_SF_SG_EUlST_E_NS1_11comp_targetILNS1_3genE9ELNS1_11target_archE1100ELNS1_3gpuE3ELNS1_3repE0EEENS1_48merge_mergepath_partition_config_static_selectorELNS0_4arch9wavefront6targetE1EEEvSF_,@function
_ZN7rocprim17ROCPRIM_400000_NS6detail17trampoline_kernelINS0_14default_configENS1_38merge_sort_block_merge_config_selectorIxNS0_10empty_typeEEEZZNS1_27merge_sort_block_merge_implIS3_PxPS5_jNS1_19radix_merge_compareILb0ELb1ExNS0_19identity_decomposerEEEEE10hipError_tT0_T1_T2_jT3_P12ihipStream_tbPNSt15iterator_traitsISE_E10value_typeEPNSK_ISF_E10value_typeEPSG_NS1_7vsmem_tEENKUlT_SE_SF_SG_E_clIS8_S8_S9_S9_EESD_ST_SE_SF_SG_EUlST_E_NS1_11comp_targetILNS1_3genE9ELNS1_11target_archE1100ELNS1_3gpuE3ELNS1_3repE0EEENS1_48merge_mergepath_partition_config_static_selectorELNS0_4arch9wavefront6targetE1EEEvSF_: ; @_ZN7rocprim17ROCPRIM_400000_NS6detail17trampoline_kernelINS0_14default_configENS1_38merge_sort_block_merge_config_selectorIxNS0_10empty_typeEEEZZNS1_27merge_sort_block_merge_implIS3_PxPS5_jNS1_19radix_merge_compareILb0ELb1ExNS0_19identity_decomposerEEEEE10hipError_tT0_T1_T2_jT3_P12ihipStream_tbPNSt15iterator_traitsISE_E10value_typeEPNSK_ISF_E10value_typeEPSG_NS1_7vsmem_tEENKUlT_SE_SF_SG_E_clIS8_S8_S9_S9_EESD_ST_SE_SF_SG_EUlST_E_NS1_11comp_targetILNS1_3genE9ELNS1_11target_archE1100ELNS1_3gpuE3ELNS1_3repE0EEENS1_48merge_mergepath_partition_config_static_selectorELNS0_4arch9wavefront6targetE1EEEvSF_
; %bb.0:
	.section	.rodata,"a",@progbits
	.p2align	6, 0x0
	.amdhsa_kernel _ZN7rocprim17ROCPRIM_400000_NS6detail17trampoline_kernelINS0_14default_configENS1_38merge_sort_block_merge_config_selectorIxNS0_10empty_typeEEEZZNS1_27merge_sort_block_merge_implIS3_PxPS5_jNS1_19radix_merge_compareILb0ELb1ExNS0_19identity_decomposerEEEEE10hipError_tT0_T1_T2_jT3_P12ihipStream_tbPNSt15iterator_traitsISE_E10value_typeEPNSK_ISF_E10value_typeEPSG_NS1_7vsmem_tEENKUlT_SE_SF_SG_E_clIS8_S8_S9_S9_EESD_ST_SE_SF_SG_EUlST_E_NS1_11comp_targetILNS1_3genE9ELNS1_11target_archE1100ELNS1_3gpuE3ELNS1_3repE0EEENS1_48merge_mergepath_partition_config_static_selectorELNS0_4arch9wavefront6targetE1EEEvSF_
		.amdhsa_group_segment_fixed_size 0
		.amdhsa_private_segment_fixed_size 0
		.amdhsa_kernarg_size 40
		.amdhsa_user_sgpr_count 6
		.amdhsa_user_sgpr_private_segment_buffer 1
		.amdhsa_user_sgpr_dispatch_ptr 0
		.amdhsa_user_sgpr_queue_ptr 0
		.amdhsa_user_sgpr_kernarg_segment_ptr 1
		.amdhsa_user_sgpr_dispatch_id 0
		.amdhsa_user_sgpr_flat_scratch_init 0
		.amdhsa_user_sgpr_kernarg_preload_length 0
		.amdhsa_user_sgpr_kernarg_preload_offset 0
		.amdhsa_user_sgpr_private_segment_size 0
		.amdhsa_uses_dynamic_stack 0
		.amdhsa_system_sgpr_private_segment_wavefront_offset 0
		.amdhsa_system_sgpr_workgroup_id_x 1
		.amdhsa_system_sgpr_workgroup_id_y 0
		.amdhsa_system_sgpr_workgroup_id_z 0
		.amdhsa_system_sgpr_workgroup_info 0
		.amdhsa_system_vgpr_workitem_id 0
		.amdhsa_next_free_vgpr 1
		.amdhsa_next_free_sgpr 0
		.amdhsa_accum_offset 4
		.amdhsa_reserve_vcc 0
		.amdhsa_reserve_flat_scratch 0
		.amdhsa_float_round_mode_32 0
		.amdhsa_float_round_mode_16_64 0
		.amdhsa_float_denorm_mode_32 3
		.amdhsa_float_denorm_mode_16_64 3
		.amdhsa_dx10_clamp 1
		.amdhsa_ieee_mode 1
		.amdhsa_fp16_overflow 0
		.amdhsa_tg_split 0
		.amdhsa_exception_fp_ieee_invalid_op 0
		.amdhsa_exception_fp_denorm_src 0
		.amdhsa_exception_fp_ieee_div_zero 0
		.amdhsa_exception_fp_ieee_overflow 0
		.amdhsa_exception_fp_ieee_underflow 0
		.amdhsa_exception_fp_ieee_inexact 0
		.amdhsa_exception_int_div_zero 0
	.end_amdhsa_kernel
	.section	.text._ZN7rocprim17ROCPRIM_400000_NS6detail17trampoline_kernelINS0_14default_configENS1_38merge_sort_block_merge_config_selectorIxNS0_10empty_typeEEEZZNS1_27merge_sort_block_merge_implIS3_PxPS5_jNS1_19radix_merge_compareILb0ELb1ExNS0_19identity_decomposerEEEEE10hipError_tT0_T1_T2_jT3_P12ihipStream_tbPNSt15iterator_traitsISE_E10value_typeEPNSK_ISF_E10value_typeEPSG_NS1_7vsmem_tEENKUlT_SE_SF_SG_E_clIS8_S8_S9_S9_EESD_ST_SE_SF_SG_EUlST_E_NS1_11comp_targetILNS1_3genE9ELNS1_11target_archE1100ELNS1_3gpuE3ELNS1_3repE0EEENS1_48merge_mergepath_partition_config_static_selectorELNS0_4arch9wavefront6targetE1EEEvSF_,"axG",@progbits,_ZN7rocprim17ROCPRIM_400000_NS6detail17trampoline_kernelINS0_14default_configENS1_38merge_sort_block_merge_config_selectorIxNS0_10empty_typeEEEZZNS1_27merge_sort_block_merge_implIS3_PxPS5_jNS1_19radix_merge_compareILb0ELb1ExNS0_19identity_decomposerEEEEE10hipError_tT0_T1_T2_jT3_P12ihipStream_tbPNSt15iterator_traitsISE_E10value_typeEPNSK_ISF_E10value_typeEPSG_NS1_7vsmem_tEENKUlT_SE_SF_SG_E_clIS8_S8_S9_S9_EESD_ST_SE_SF_SG_EUlST_E_NS1_11comp_targetILNS1_3genE9ELNS1_11target_archE1100ELNS1_3gpuE3ELNS1_3repE0EEENS1_48merge_mergepath_partition_config_static_selectorELNS0_4arch9wavefront6targetE1EEEvSF_,comdat
.Lfunc_end1054:
	.size	_ZN7rocprim17ROCPRIM_400000_NS6detail17trampoline_kernelINS0_14default_configENS1_38merge_sort_block_merge_config_selectorIxNS0_10empty_typeEEEZZNS1_27merge_sort_block_merge_implIS3_PxPS5_jNS1_19radix_merge_compareILb0ELb1ExNS0_19identity_decomposerEEEEE10hipError_tT0_T1_T2_jT3_P12ihipStream_tbPNSt15iterator_traitsISE_E10value_typeEPNSK_ISF_E10value_typeEPSG_NS1_7vsmem_tEENKUlT_SE_SF_SG_E_clIS8_S8_S9_S9_EESD_ST_SE_SF_SG_EUlST_E_NS1_11comp_targetILNS1_3genE9ELNS1_11target_archE1100ELNS1_3gpuE3ELNS1_3repE0EEENS1_48merge_mergepath_partition_config_static_selectorELNS0_4arch9wavefront6targetE1EEEvSF_, .Lfunc_end1054-_ZN7rocprim17ROCPRIM_400000_NS6detail17trampoline_kernelINS0_14default_configENS1_38merge_sort_block_merge_config_selectorIxNS0_10empty_typeEEEZZNS1_27merge_sort_block_merge_implIS3_PxPS5_jNS1_19radix_merge_compareILb0ELb1ExNS0_19identity_decomposerEEEEE10hipError_tT0_T1_T2_jT3_P12ihipStream_tbPNSt15iterator_traitsISE_E10value_typeEPNSK_ISF_E10value_typeEPSG_NS1_7vsmem_tEENKUlT_SE_SF_SG_E_clIS8_S8_S9_S9_EESD_ST_SE_SF_SG_EUlST_E_NS1_11comp_targetILNS1_3genE9ELNS1_11target_archE1100ELNS1_3gpuE3ELNS1_3repE0EEENS1_48merge_mergepath_partition_config_static_selectorELNS0_4arch9wavefront6targetE1EEEvSF_
                                        ; -- End function
	.section	.AMDGPU.csdata,"",@progbits
; Kernel info:
; codeLenInByte = 0
; NumSgprs: 4
; NumVgprs: 0
; NumAgprs: 0
; TotalNumVgprs: 0
; ScratchSize: 0
; MemoryBound: 0
; FloatMode: 240
; IeeeMode: 1
; LDSByteSize: 0 bytes/workgroup (compile time only)
; SGPRBlocks: 0
; VGPRBlocks: 0
; NumSGPRsForWavesPerEU: 4
; NumVGPRsForWavesPerEU: 1
; AccumOffset: 4
; Occupancy: 8
; WaveLimiterHint : 0
; COMPUTE_PGM_RSRC2:SCRATCH_EN: 0
; COMPUTE_PGM_RSRC2:USER_SGPR: 6
; COMPUTE_PGM_RSRC2:TRAP_HANDLER: 0
; COMPUTE_PGM_RSRC2:TGID_X_EN: 1
; COMPUTE_PGM_RSRC2:TGID_Y_EN: 0
; COMPUTE_PGM_RSRC2:TGID_Z_EN: 0
; COMPUTE_PGM_RSRC2:TIDIG_COMP_CNT: 0
; COMPUTE_PGM_RSRC3_GFX90A:ACCUM_OFFSET: 0
; COMPUTE_PGM_RSRC3_GFX90A:TG_SPLIT: 0
	.section	.text._ZN7rocprim17ROCPRIM_400000_NS6detail17trampoline_kernelINS0_14default_configENS1_38merge_sort_block_merge_config_selectorIxNS0_10empty_typeEEEZZNS1_27merge_sort_block_merge_implIS3_PxPS5_jNS1_19radix_merge_compareILb0ELb1ExNS0_19identity_decomposerEEEEE10hipError_tT0_T1_T2_jT3_P12ihipStream_tbPNSt15iterator_traitsISE_E10value_typeEPNSK_ISF_E10value_typeEPSG_NS1_7vsmem_tEENKUlT_SE_SF_SG_E_clIS8_S8_S9_S9_EESD_ST_SE_SF_SG_EUlST_E_NS1_11comp_targetILNS1_3genE8ELNS1_11target_archE1030ELNS1_3gpuE2ELNS1_3repE0EEENS1_48merge_mergepath_partition_config_static_selectorELNS0_4arch9wavefront6targetE1EEEvSF_,"axG",@progbits,_ZN7rocprim17ROCPRIM_400000_NS6detail17trampoline_kernelINS0_14default_configENS1_38merge_sort_block_merge_config_selectorIxNS0_10empty_typeEEEZZNS1_27merge_sort_block_merge_implIS3_PxPS5_jNS1_19radix_merge_compareILb0ELb1ExNS0_19identity_decomposerEEEEE10hipError_tT0_T1_T2_jT3_P12ihipStream_tbPNSt15iterator_traitsISE_E10value_typeEPNSK_ISF_E10value_typeEPSG_NS1_7vsmem_tEENKUlT_SE_SF_SG_E_clIS8_S8_S9_S9_EESD_ST_SE_SF_SG_EUlST_E_NS1_11comp_targetILNS1_3genE8ELNS1_11target_archE1030ELNS1_3gpuE2ELNS1_3repE0EEENS1_48merge_mergepath_partition_config_static_selectorELNS0_4arch9wavefront6targetE1EEEvSF_,comdat
	.protected	_ZN7rocprim17ROCPRIM_400000_NS6detail17trampoline_kernelINS0_14default_configENS1_38merge_sort_block_merge_config_selectorIxNS0_10empty_typeEEEZZNS1_27merge_sort_block_merge_implIS3_PxPS5_jNS1_19radix_merge_compareILb0ELb1ExNS0_19identity_decomposerEEEEE10hipError_tT0_T1_T2_jT3_P12ihipStream_tbPNSt15iterator_traitsISE_E10value_typeEPNSK_ISF_E10value_typeEPSG_NS1_7vsmem_tEENKUlT_SE_SF_SG_E_clIS8_S8_S9_S9_EESD_ST_SE_SF_SG_EUlST_E_NS1_11comp_targetILNS1_3genE8ELNS1_11target_archE1030ELNS1_3gpuE2ELNS1_3repE0EEENS1_48merge_mergepath_partition_config_static_selectorELNS0_4arch9wavefront6targetE1EEEvSF_ ; -- Begin function _ZN7rocprim17ROCPRIM_400000_NS6detail17trampoline_kernelINS0_14default_configENS1_38merge_sort_block_merge_config_selectorIxNS0_10empty_typeEEEZZNS1_27merge_sort_block_merge_implIS3_PxPS5_jNS1_19radix_merge_compareILb0ELb1ExNS0_19identity_decomposerEEEEE10hipError_tT0_T1_T2_jT3_P12ihipStream_tbPNSt15iterator_traitsISE_E10value_typeEPNSK_ISF_E10value_typeEPSG_NS1_7vsmem_tEENKUlT_SE_SF_SG_E_clIS8_S8_S9_S9_EESD_ST_SE_SF_SG_EUlST_E_NS1_11comp_targetILNS1_3genE8ELNS1_11target_archE1030ELNS1_3gpuE2ELNS1_3repE0EEENS1_48merge_mergepath_partition_config_static_selectorELNS0_4arch9wavefront6targetE1EEEvSF_
	.globl	_ZN7rocprim17ROCPRIM_400000_NS6detail17trampoline_kernelINS0_14default_configENS1_38merge_sort_block_merge_config_selectorIxNS0_10empty_typeEEEZZNS1_27merge_sort_block_merge_implIS3_PxPS5_jNS1_19radix_merge_compareILb0ELb1ExNS0_19identity_decomposerEEEEE10hipError_tT0_T1_T2_jT3_P12ihipStream_tbPNSt15iterator_traitsISE_E10value_typeEPNSK_ISF_E10value_typeEPSG_NS1_7vsmem_tEENKUlT_SE_SF_SG_E_clIS8_S8_S9_S9_EESD_ST_SE_SF_SG_EUlST_E_NS1_11comp_targetILNS1_3genE8ELNS1_11target_archE1030ELNS1_3gpuE2ELNS1_3repE0EEENS1_48merge_mergepath_partition_config_static_selectorELNS0_4arch9wavefront6targetE1EEEvSF_
	.p2align	8
	.type	_ZN7rocprim17ROCPRIM_400000_NS6detail17trampoline_kernelINS0_14default_configENS1_38merge_sort_block_merge_config_selectorIxNS0_10empty_typeEEEZZNS1_27merge_sort_block_merge_implIS3_PxPS5_jNS1_19radix_merge_compareILb0ELb1ExNS0_19identity_decomposerEEEEE10hipError_tT0_T1_T2_jT3_P12ihipStream_tbPNSt15iterator_traitsISE_E10value_typeEPNSK_ISF_E10value_typeEPSG_NS1_7vsmem_tEENKUlT_SE_SF_SG_E_clIS8_S8_S9_S9_EESD_ST_SE_SF_SG_EUlST_E_NS1_11comp_targetILNS1_3genE8ELNS1_11target_archE1030ELNS1_3gpuE2ELNS1_3repE0EEENS1_48merge_mergepath_partition_config_static_selectorELNS0_4arch9wavefront6targetE1EEEvSF_,@function
_ZN7rocprim17ROCPRIM_400000_NS6detail17trampoline_kernelINS0_14default_configENS1_38merge_sort_block_merge_config_selectorIxNS0_10empty_typeEEEZZNS1_27merge_sort_block_merge_implIS3_PxPS5_jNS1_19radix_merge_compareILb0ELb1ExNS0_19identity_decomposerEEEEE10hipError_tT0_T1_T2_jT3_P12ihipStream_tbPNSt15iterator_traitsISE_E10value_typeEPNSK_ISF_E10value_typeEPSG_NS1_7vsmem_tEENKUlT_SE_SF_SG_E_clIS8_S8_S9_S9_EESD_ST_SE_SF_SG_EUlST_E_NS1_11comp_targetILNS1_3genE8ELNS1_11target_archE1030ELNS1_3gpuE2ELNS1_3repE0EEENS1_48merge_mergepath_partition_config_static_selectorELNS0_4arch9wavefront6targetE1EEEvSF_: ; @_ZN7rocprim17ROCPRIM_400000_NS6detail17trampoline_kernelINS0_14default_configENS1_38merge_sort_block_merge_config_selectorIxNS0_10empty_typeEEEZZNS1_27merge_sort_block_merge_implIS3_PxPS5_jNS1_19radix_merge_compareILb0ELb1ExNS0_19identity_decomposerEEEEE10hipError_tT0_T1_T2_jT3_P12ihipStream_tbPNSt15iterator_traitsISE_E10value_typeEPNSK_ISF_E10value_typeEPSG_NS1_7vsmem_tEENKUlT_SE_SF_SG_E_clIS8_S8_S9_S9_EESD_ST_SE_SF_SG_EUlST_E_NS1_11comp_targetILNS1_3genE8ELNS1_11target_archE1030ELNS1_3gpuE2ELNS1_3repE0EEENS1_48merge_mergepath_partition_config_static_selectorELNS0_4arch9wavefront6targetE1EEEvSF_
; %bb.0:
	.section	.rodata,"a",@progbits
	.p2align	6, 0x0
	.amdhsa_kernel _ZN7rocprim17ROCPRIM_400000_NS6detail17trampoline_kernelINS0_14default_configENS1_38merge_sort_block_merge_config_selectorIxNS0_10empty_typeEEEZZNS1_27merge_sort_block_merge_implIS3_PxPS5_jNS1_19radix_merge_compareILb0ELb1ExNS0_19identity_decomposerEEEEE10hipError_tT0_T1_T2_jT3_P12ihipStream_tbPNSt15iterator_traitsISE_E10value_typeEPNSK_ISF_E10value_typeEPSG_NS1_7vsmem_tEENKUlT_SE_SF_SG_E_clIS8_S8_S9_S9_EESD_ST_SE_SF_SG_EUlST_E_NS1_11comp_targetILNS1_3genE8ELNS1_11target_archE1030ELNS1_3gpuE2ELNS1_3repE0EEENS1_48merge_mergepath_partition_config_static_selectorELNS0_4arch9wavefront6targetE1EEEvSF_
		.amdhsa_group_segment_fixed_size 0
		.amdhsa_private_segment_fixed_size 0
		.amdhsa_kernarg_size 40
		.amdhsa_user_sgpr_count 6
		.amdhsa_user_sgpr_private_segment_buffer 1
		.amdhsa_user_sgpr_dispatch_ptr 0
		.amdhsa_user_sgpr_queue_ptr 0
		.amdhsa_user_sgpr_kernarg_segment_ptr 1
		.amdhsa_user_sgpr_dispatch_id 0
		.amdhsa_user_sgpr_flat_scratch_init 0
		.amdhsa_user_sgpr_kernarg_preload_length 0
		.amdhsa_user_sgpr_kernarg_preload_offset 0
		.amdhsa_user_sgpr_private_segment_size 0
		.amdhsa_uses_dynamic_stack 0
		.amdhsa_system_sgpr_private_segment_wavefront_offset 0
		.amdhsa_system_sgpr_workgroup_id_x 1
		.amdhsa_system_sgpr_workgroup_id_y 0
		.amdhsa_system_sgpr_workgroup_id_z 0
		.amdhsa_system_sgpr_workgroup_info 0
		.amdhsa_system_vgpr_workitem_id 0
		.amdhsa_next_free_vgpr 1
		.amdhsa_next_free_sgpr 0
		.amdhsa_accum_offset 4
		.amdhsa_reserve_vcc 0
		.amdhsa_reserve_flat_scratch 0
		.amdhsa_float_round_mode_32 0
		.amdhsa_float_round_mode_16_64 0
		.amdhsa_float_denorm_mode_32 3
		.amdhsa_float_denorm_mode_16_64 3
		.amdhsa_dx10_clamp 1
		.amdhsa_ieee_mode 1
		.amdhsa_fp16_overflow 0
		.amdhsa_tg_split 0
		.amdhsa_exception_fp_ieee_invalid_op 0
		.amdhsa_exception_fp_denorm_src 0
		.amdhsa_exception_fp_ieee_div_zero 0
		.amdhsa_exception_fp_ieee_overflow 0
		.amdhsa_exception_fp_ieee_underflow 0
		.amdhsa_exception_fp_ieee_inexact 0
		.amdhsa_exception_int_div_zero 0
	.end_amdhsa_kernel
	.section	.text._ZN7rocprim17ROCPRIM_400000_NS6detail17trampoline_kernelINS0_14default_configENS1_38merge_sort_block_merge_config_selectorIxNS0_10empty_typeEEEZZNS1_27merge_sort_block_merge_implIS3_PxPS5_jNS1_19radix_merge_compareILb0ELb1ExNS0_19identity_decomposerEEEEE10hipError_tT0_T1_T2_jT3_P12ihipStream_tbPNSt15iterator_traitsISE_E10value_typeEPNSK_ISF_E10value_typeEPSG_NS1_7vsmem_tEENKUlT_SE_SF_SG_E_clIS8_S8_S9_S9_EESD_ST_SE_SF_SG_EUlST_E_NS1_11comp_targetILNS1_3genE8ELNS1_11target_archE1030ELNS1_3gpuE2ELNS1_3repE0EEENS1_48merge_mergepath_partition_config_static_selectorELNS0_4arch9wavefront6targetE1EEEvSF_,"axG",@progbits,_ZN7rocprim17ROCPRIM_400000_NS6detail17trampoline_kernelINS0_14default_configENS1_38merge_sort_block_merge_config_selectorIxNS0_10empty_typeEEEZZNS1_27merge_sort_block_merge_implIS3_PxPS5_jNS1_19radix_merge_compareILb0ELb1ExNS0_19identity_decomposerEEEEE10hipError_tT0_T1_T2_jT3_P12ihipStream_tbPNSt15iterator_traitsISE_E10value_typeEPNSK_ISF_E10value_typeEPSG_NS1_7vsmem_tEENKUlT_SE_SF_SG_E_clIS8_S8_S9_S9_EESD_ST_SE_SF_SG_EUlST_E_NS1_11comp_targetILNS1_3genE8ELNS1_11target_archE1030ELNS1_3gpuE2ELNS1_3repE0EEENS1_48merge_mergepath_partition_config_static_selectorELNS0_4arch9wavefront6targetE1EEEvSF_,comdat
.Lfunc_end1055:
	.size	_ZN7rocprim17ROCPRIM_400000_NS6detail17trampoline_kernelINS0_14default_configENS1_38merge_sort_block_merge_config_selectorIxNS0_10empty_typeEEEZZNS1_27merge_sort_block_merge_implIS3_PxPS5_jNS1_19radix_merge_compareILb0ELb1ExNS0_19identity_decomposerEEEEE10hipError_tT0_T1_T2_jT3_P12ihipStream_tbPNSt15iterator_traitsISE_E10value_typeEPNSK_ISF_E10value_typeEPSG_NS1_7vsmem_tEENKUlT_SE_SF_SG_E_clIS8_S8_S9_S9_EESD_ST_SE_SF_SG_EUlST_E_NS1_11comp_targetILNS1_3genE8ELNS1_11target_archE1030ELNS1_3gpuE2ELNS1_3repE0EEENS1_48merge_mergepath_partition_config_static_selectorELNS0_4arch9wavefront6targetE1EEEvSF_, .Lfunc_end1055-_ZN7rocprim17ROCPRIM_400000_NS6detail17trampoline_kernelINS0_14default_configENS1_38merge_sort_block_merge_config_selectorIxNS0_10empty_typeEEEZZNS1_27merge_sort_block_merge_implIS3_PxPS5_jNS1_19radix_merge_compareILb0ELb1ExNS0_19identity_decomposerEEEEE10hipError_tT0_T1_T2_jT3_P12ihipStream_tbPNSt15iterator_traitsISE_E10value_typeEPNSK_ISF_E10value_typeEPSG_NS1_7vsmem_tEENKUlT_SE_SF_SG_E_clIS8_S8_S9_S9_EESD_ST_SE_SF_SG_EUlST_E_NS1_11comp_targetILNS1_3genE8ELNS1_11target_archE1030ELNS1_3gpuE2ELNS1_3repE0EEENS1_48merge_mergepath_partition_config_static_selectorELNS0_4arch9wavefront6targetE1EEEvSF_
                                        ; -- End function
	.section	.AMDGPU.csdata,"",@progbits
; Kernel info:
; codeLenInByte = 0
; NumSgprs: 4
; NumVgprs: 0
; NumAgprs: 0
; TotalNumVgprs: 0
; ScratchSize: 0
; MemoryBound: 0
; FloatMode: 240
; IeeeMode: 1
; LDSByteSize: 0 bytes/workgroup (compile time only)
; SGPRBlocks: 0
; VGPRBlocks: 0
; NumSGPRsForWavesPerEU: 4
; NumVGPRsForWavesPerEU: 1
; AccumOffset: 4
; Occupancy: 8
; WaveLimiterHint : 0
; COMPUTE_PGM_RSRC2:SCRATCH_EN: 0
; COMPUTE_PGM_RSRC2:USER_SGPR: 6
; COMPUTE_PGM_RSRC2:TRAP_HANDLER: 0
; COMPUTE_PGM_RSRC2:TGID_X_EN: 1
; COMPUTE_PGM_RSRC2:TGID_Y_EN: 0
; COMPUTE_PGM_RSRC2:TGID_Z_EN: 0
; COMPUTE_PGM_RSRC2:TIDIG_COMP_CNT: 0
; COMPUTE_PGM_RSRC3_GFX90A:ACCUM_OFFSET: 0
; COMPUTE_PGM_RSRC3_GFX90A:TG_SPLIT: 0
	.section	.text._ZN7rocprim17ROCPRIM_400000_NS6detail17trampoline_kernelINS0_14default_configENS1_38merge_sort_block_merge_config_selectorIxNS0_10empty_typeEEEZZNS1_27merge_sort_block_merge_implIS3_PxPS5_jNS1_19radix_merge_compareILb0ELb1ExNS0_19identity_decomposerEEEEE10hipError_tT0_T1_T2_jT3_P12ihipStream_tbPNSt15iterator_traitsISE_E10value_typeEPNSK_ISF_E10value_typeEPSG_NS1_7vsmem_tEENKUlT_SE_SF_SG_E_clIS8_S8_S9_S9_EESD_ST_SE_SF_SG_EUlST_E0_NS1_11comp_targetILNS1_3genE0ELNS1_11target_archE4294967295ELNS1_3gpuE0ELNS1_3repE0EEENS1_38merge_mergepath_config_static_selectorELNS0_4arch9wavefront6targetE1EEEvSF_,"axG",@progbits,_ZN7rocprim17ROCPRIM_400000_NS6detail17trampoline_kernelINS0_14default_configENS1_38merge_sort_block_merge_config_selectorIxNS0_10empty_typeEEEZZNS1_27merge_sort_block_merge_implIS3_PxPS5_jNS1_19radix_merge_compareILb0ELb1ExNS0_19identity_decomposerEEEEE10hipError_tT0_T1_T2_jT3_P12ihipStream_tbPNSt15iterator_traitsISE_E10value_typeEPNSK_ISF_E10value_typeEPSG_NS1_7vsmem_tEENKUlT_SE_SF_SG_E_clIS8_S8_S9_S9_EESD_ST_SE_SF_SG_EUlST_E0_NS1_11comp_targetILNS1_3genE0ELNS1_11target_archE4294967295ELNS1_3gpuE0ELNS1_3repE0EEENS1_38merge_mergepath_config_static_selectorELNS0_4arch9wavefront6targetE1EEEvSF_,comdat
	.protected	_ZN7rocprim17ROCPRIM_400000_NS6detail17trampoline_kernelINS0_14default_configENS1_38merge_sort_block_merge_config_selectorIxNS0_10empty_typeEEEZZNS1_27merge_sort_block_merge_implIS3_PxPS5_jNS1_19radix_merge_compareILb0ELb1ExNS0_19identity_decomposerEEEEE10hipError_tT0_T1_T2_jT3_P12ihipStream_tbPNSt15iterator_traitsISE_E10value_typeEPNSK_ISF_E10value_typeEPSG_NS1_7vsmem_tEENKUlT_SE_SF_SG_E_clIS8_S8_S9_S9_EESD_ST_SE_SF_SG_EUlST_E0_NS1_11comp_targetILNS1_3genE0ELNS1_11target_archE4294967295ELNS1_3gpuE0ELNS1_3repE0EEENS1_38merge_mergepath_config_static_selectorELNS0_4arch9wavefront6targetE1EEEvSF_ ; -- Begin function _ZN7rocprim17ROCPRIM_400000_NS6detail17trampoline_kernelINS0_14default_configENS1_38merge_sort_block_merge_config_selectorIxNS0_10empty_typeEEEZZNS1_27merge_sort_block_merge_implIS3_PxPS5_jNS1_19radix_merge_compareILb0ELb1ExNS0_19identity_decomposerEEEEE10hipError_tT0_T1_T2_jT3_P12ihipStream_tbPNSt15iterator_traitsISE_E10value_typeEPNSK_ISF_E10value_typeEPSG_NS1_7vsmem_tEENKUlT_SE_SF_SG_E_clIS8_S8_S9_S9_EESD_ST_SE_SF_SG_EUlST_E0_NS1_11comp_targetILNS1_3genE0ELNS1_11target_archE4294967295ELNS1_3gpuE0ELNS1_3repE0EEENS1_38merge_mergepath_config_static_selectorELNS0_4arch9wavefront6targetE1EEEvSF_
	.globl	_ZN7rocprim17ROCPRIM_400000_NS6detail17trampoline_kernelINS0_14default_configENS1_38merge_sort_block_merge_config_selectorIxNS0_10empty_typeEEEZZNS1_27merge_sort_block_merge_implIS3_PxPS5_jNS1_19radix_merge_compareILb0ELb1ExNS0_19identity_decomposerEEEEE10hipError_tT0_T1_T2_jT3_P12ihipStream_tbPNSt15iterator_traitsISE_E10value_typeEPNSK_ISF_E10value_typeEPSG_NS1_7vsmem_tEENKUlT_SE_SF_SG_E_clIS8_S8_S9_S9_EESD_ST_SE_SF_SG_EUlST_E0_NS1_11comp_targetILNS1_3genE0ELNS1_11target_archE4294967295ELNS1_3gpuE0ELNS1_3repE0EEENS1_38merge_mergepath_config_static_selectorELNS0_4arch9wavefront6targetE1EEEvSF_
	.p2align	8
	.type	_ZN7rocprim17ROCPRIM_400000_NS6detail17trampoline_kernelINS0_14default_configENS1_38merge_sort_block_merge_config_selectorIxNS0_10empty_typeEEEZZNS1_27merge_sort_block_merge_implIS3_PxPS5_jNS1_19radix_merge_compareILb0ELb1ExNS0_19identity_decomposerEEEEE10hipError_tT0_T1_T2_jT3_P12ihipStream_tbPNSt15iterator_traitsISE_E10value_typeEPNSK_ISF_E10value_typeEPSG_NS1_7vsmem_tEENKUlT_SE_SF_SG_E_clIS8_S8_S9_S9_EESD_ST_SE_SF_SG_EUlST_E0_NS1_11comp_targetILNS1_3genE0ELNS1_11target_archE4294967295ELNS1_3gpuE0ELNS1_3repE0EEENS1_38merge_mergepath_config_static_selectorELNS0_4arch9wavefront6targetE1EEEvSF_,@function
_ZN7rocprim17ROCPRIM_400000_NS6detail17trampoline_kernelINS0_14default_configENS1_38merge_sort_block_merge_config_selectorIxNS0_10empty_typeEEEZZNS1_27merge_sort_block_merge_implIS3_PxPS5_jNS1_19radix_merge_compareILb0ELb1ExNS0_19identity_decomposerEEEEE10hipError_tT0_T1_T2_jT3_P12ihipStream_tbPNSt15iterator_traitsISE_E10value_typeEPNSK_ISF_E10value_typeEPSG_NS1_7vsmem_tEENKUlT_SE_SF_SG_E_clIS8_S8_S9_S9_EESD_ST_SE_SF_SG_EUlST_E0_NS1_11comp_targetILNS1_3genE0ELNS1_11target_archE4294967295ELNS1_3gpuE0ELNS1_3repE0EEENS1_38merge_mergepath_config_static_selectorELNS0_4arch9wavefront6targetE1EEEvSF_: ; @_ZN7rocprim17ROCPRIM_400000_NS6detail17trampoline_kernelINS0_14default_configENS1_38merge_sort_block_merge_config_selectorIxNS0_10empty_typeEEEZZNS1_27merge_sort_block_merge_implIS3_PxPS5_jNS1_19radix_merge_compareILb0ELb1ExNS0_19identity_decomposerEEEEE10hipError_tT0_T1_T2_jT3_P12ihipStream_tbPNSt15iterator_traitsISE_E10value_typeEPNSK_ISF_E10value_typeEPSG_NS1_7vsmem_tEENKUlT_SE_SF_SG_E_clIS8_S8_S9_S9_EESD_ST_SE_SF_SG_EUlST_E0_NS1_11comp_targetILNS1_3genE0ELNS1_11target_archE4294967295ELNS1_3gpuE0ELNS1_3repE0EEENS1_38merge_mergepath_config_static_selectorELNS0_4arch9wavefront6targetE1EEEvSF_
; %bb.0:
	.section	.rodata,"a",@progbits
	.p2align	6, 0x0
	.amdhsa_kernel _ZN7rocprim17ROCPRIM_400000_NS6detail17trampoline_kernelINS0_14default_configENS1_38merge_sort_block_merge_config_selectorIxNS0_10empty_typeEEEZZNS1_27merge_sort_block_merge_implIS3_PxPS5_jNS1_19radix_merge_compareILb0ELb1ExNS0_19identity_decomposerEEEEE10hipError_tT0_T1_T2_jT3_P12ihipStream_tbPNSt15iterator_traitsISE_E10value_typeEPNSK_ISF_E10value_typeEPSG_NS1_7vsmem_tEENKUlT_SE_SF_SG_E_clIS8_S8_S9_S9_EESD_ST_SE_SF_SG_EUlST_E0_NS1_11comp_targetILNS1_3genE0ELNS1_11target_archE4294967295ELNS1_3gpuE0ELNS1_3repE0EEENS1_38merge_mergepath_config_static_selectorELNS0_4arch9wavefront6targetE1EEEvSF_
		.amdhsa_group_segment_fixed_size 0
		.amdhsa_private_segment_fixed_size 0
		.amdhsa_kernarg_size 72
		.amdhsa_user_sgpr_count 6
		.amdhsa_user_sgpr_private_segment_buffer 1
		.amdhsa_user_sgpr_dispatch_ptr 0
		.amdhsa_user_sgpr_queue_ptr 0
		.amdhsa_user_sgpr_kernarg_segment_ptr 1
		.amdhsa_user_sgpr_dispatch_id 0
		.amdhsa_user_sgpr_flat_scratch_init 0
		.amdhsa_user_sgpr_kernarg_preload_length 0
		.amdhsa_user_sgpr_kernarg_preload_offset 0
		.amdhsa_user_sgpr_private_segment_size 0
		.amdhsa_uses_dynamic_stack 0
		.amdhsa_system_sgpr_private_segment_wavefront_offset 0
		.amdhsa_system_sgpr_workgroup_id_x 1
		.amdhsa_system_sgpr_workgroup_id_y 0
		.amdhsa_system_sgpr_workgroup_id_z 0
		.amdhsa_system_sgpr_workgroup_info 0
		.amdhsa_system_vgpr_workitem_id 0
		.amdhsa_next_free_vgpr 1
		.amdhsa_next_free_sgpr 0
		.amdhsa_accum_offset 4
		.amdhsa_reserve_vcc 0
		.amdhsa_reserve_flat_scratch 0
		.amdhsa_float_round_mode_32 0
		.amdhsa_float_round_mode_16_64 0
		.amdhsa_float_denorm_mode_32 3
		.amdhsa_float_denorm_mode_16_64 3
		.amdhsa_dx10_clamp 1
		.amdhsa_ieee_mode 1
		.amdhsa_fp16_overflow 0
		.amdhsa_tg_split 0
		.amdhsa_exception_fp_ieee_invalid_op 0
		.amdhsa_exception_fp_denorm_src 0
		.amdhsa_exception_fp_ieee_div_zero 0
		.amdhsa_exception_fp_ieee_overflow 0
		.amdhsa_exception_fp_ieee_underflow 0
		.amdhsa_exception_fp_ieee_inexact 0
		.amdhsa_exception_int_div_zero 0
	.end_amdhsa_kernel
	.section	.text._ZN7rocprim17ROCPRIM_400000_NS6detail17trampoline_kernelINS0_14default_configENS1_38merge_sort_block_merge_config_selectorIxNS0_10empty_typeEEEZZNS1_27merge_sort_block_merge_implIS3_PxPS5_jNS1_19radix_merge_compareILb0ELb1ExNS0_19identity_decomposerEEEEE10hipError_tT0_T1_T2_jT3_P12ihipStream_tbPNSt15iterator_traitsISE_E10value_typeEPNSK_ISF_E10value_typeEPSG_NS1_7vsmem_tEENKUlT_SE_SF_SG_E_clIS8_S8_S9_S9_EESD_ST_SE_SF_SG_EUlST_E0_NS1_11comp_targetILNS1_3genE0ELNS1_11target_archE4294967295ELNS1_3gpuE0ELNS1_3repE0EEENS1_38merge_mergepath_config_static_selectorELNS0_4arch9wavefront6targetE1EEEvSF_,"axG",@progbits,_ZN7rocprim17ROCPRIM_400000_NS6detail17trampoline_kernelINS0_14default_configENS1_38merge_sort_block_merge_config_selectorIxNS0_10empty_typeEEEZZNS1_27merge_sort_block_merge_implIS3_PxPS5_jNS1_19radix_merge_compareILb0ELb1ExNS0_19identity_decomposerEEEEE10hipError_tT0_T1_T2_jT3_P12ihipStream_tbPNSt15iterator_traitsISE_E10value_typeEPNSK_ISF_E10value_typeEPSG_NS1_7vsmem_tEENKUlT_SE_SF_SG_E_clIS8_S8_S9_S9_EESD_ST_SE_SF_SG_EUlST_E0_NS1_11comp_targetILNS1_3genE0ELNS1_11target_archE4294967295ELNS1_3gpuE0ELNS1_3repE0EEENS1_38merge_mergepath_config_static_selectorELNS0_4arch9wavefront6targetE1EEEvSF_,comdat
.Lfunc_end1056:
	.size	_ZN7rocprim17ROCPRIM_400000_NS6detail17trampoline_kernelINS0_14default_configENS1_38merge_sort_block_merge_config_selectorIxNS0_10empty_typeEEEZZNS1_27merge_sort_block_merge_implIS3_PxPS5_jNS1_19radix_merge_compareILb0ELb1ExNS0_19identity_decomposerEEEEE10hipError_tT0_T1_T2_jT3_P12ihipStream_tbPNSt15iterator_traitsISE_E10value_typeEPNSK_ISF_E10value_typeEPSG_NS1_7vsmem_tEENKUlT_SE_SF_SG_E_clIS8_S8_S9_S9_EESD_ST_SE_SF_SG_EUlST_E0_NS1_11comp_targetILNS1_3genE0ELNS1_11target_archE4294967295ELNS1_3gpuE0ELNS1_3repE0EEENS1_38merge_mergepath_config_static_selectorELNS0_4arch9wavefront6targetE1EEEvSF_, .Lfunc_end1056-_ZN7rocprim17ROCPRIM_400000_NS6detail17trampoline_kernelINS0_14default_configENS1_38merge_sort_block_merge_config_selectorIxNS0_10empty_typeEEEZZNS1_27merge_sort_block_merge_implIS3_PxPS5_jNS1_19radix_merge_compareILb0ELb1ExNS0_19identity_decomposerEEEEE10hipError_tT0_T1_T2_jT3_P12ihipStream_tbPNSt15iterator_traitsISE_E10value_typeEPNSK_ISF_E10value_typeEPSG_NS1_7vsmem_tEENKUlT_SE_SF_SG_E_clIS8_S8_S9_S9_EESD_ST_SE_SF_SG_EUlST_E0_NS1_11comp_targetILNS1_3genE0ELNS1_11target_archE4294967295ELNS1_3gpuE0ELNS1_3repE0EEENS1_38merge_mergepath_config_static_selectorELNS0_4arch9wavefront6targetE1EEEvSF_
                                        ; -- End function
	.section	.AMDGPU.csdata,"",@progbits
; Kernel info:
; codeLenInByte = 0
; NumSgprs: 4
; NumVgprs: 0
; NumAgprs: 0
; TotalNumVgprs: 0
; ScratchSize: 0
; MemoryBound: 0
; FloatMode: 240
; IeeeMode: 1
; LDSByteSize: 0 bytes/workgroup (compile time only)
; SGPRBlocks: 0
; VGPRBlocks: 0
; NumSGPRsForWavesPerEU: 4
; NumVGPRsForWavesPerEU: 1
; AccumOffset: 4
; Occupancy: 8
; WaveLimiterHint : 0
; COMPUTE_PGM_RSRC2:SCRATCH_EN: 0
; COMPUTE_PGM_RSRC2:USER_SGPR: 6
; COMPUTE_PGM_RSRC2:TRAP_HANDLER: 0
; COMPUTE_PGM_RSRC2:TGID_X_EN: 1
; COMPUTE_PGM_RSRC2:TGID_Y_EN: 0
; COMPUTE_PGM_RSRC2:TGID_Z_EN: 0
; COMPUTE_PGM_RSRC2:TIDIG_COMP_CNT: 0
; COMPUTE_PGM_RSRC3_GFX90A:ACCUM_OFFSET: 0
; COMPUTE_PGM_RSRC3_GFX90A:TG_SPLIT: 0
	.section	.text._ZN7rocprim17ROCPRIM_400000_NS6detail17trampoline_kernelINS0_14default_configENS1_38merge_sort_block_merge_config_selectorIxNS0_10empty_typeEEEZZNS1_27merge_sort_block_merge_implIS3_PxPS5_jNS1_19radix_merge_compareILb0ELb1ExNS0_19identity_decomposerEEEEE10hipError_tT0_T1_T2_jT3_P12ihipStream_tbPNSt15iterator_traitsISE_E10value_typeEPNSK_ISF_E10value_typeEPSG_NS1_7vsmem_tEENKUlT_SE_SF_SG_E_clIS8_S8_S9_S9_EESD_ST_SE_SF_SG_EUlST_E0_NS1_11comp_targetILNS1_3genE10ELNS1_11target_archE1201ELNS1_3gpuE5ELNS1_3repE0EEENS1_38merge_mergepath_config_static_selectorELNS0_4arch9wavefront6targetE1EEEvSF_,"axG",@progbits,_ZN7rocprim17ROCPRIM_400000_NS6detail17trampoline_kernelINS0_14default_configENS1_38merge_sort_block_merge_config_selectorIxNS0_10empty_typeEEEZZNS1_27merge_sort_block_merge_implIS3_PxPS5_jNS1_19radix_merge_compareILb0ELb1ExNS0_19identity_decomposerEEEEE10hipError_tT0_T1_T2_jT3_P12ihipStream_tbPNSt15iterator_traitsISE_E10value_typeEPNSK_ISF_E10value_typeEPSG_NS1_7vsmem_tEENKUlT_SE_SF_SG_E_clIS8_S8_S9_S9_EESD_ST_SE_SF_SG_EUlST_E0_NS1_11comp_targetILNS1_3genE10ELNS1_11target_archE1201ELNS1_3gpuE5ELNS1_3repE0EEENS1_38merge_mergepath_config_static_selectorELNS0_4arch9wavefront6targetE1EEEvSF_,comdat
	.protected	_ZN7rocprim17ROCPRIM_400000_NS6detail17trampoline_kernelINS0_14default_configENS1_38merge_sort_block_merge_config_selectorIxNS0_10empty_typeEEEZZNS1_27merge_sort_block_merge_implIS3_PxPS5_jNS1_19radix_merge_compareILb0ELb1ExNS0_19identity_decomposerEEEEE10hipError_tT0_T1_T2_jT3_P12ihipStream_tbPNSt15iterator_traitsISE_E10value_typeEPNSK_ISF_E10value_typeEPSG_NS1_7vsmem_tEENKUlT_SE_SF_SG_E_clIS8_S8_S9_S9_EESD_ST_SE_SF_SG_EUlST_E0_NS1_11comp_targetILNS1_3genE10ELNS1_11target_archE1201ELNS1_3gpuE5ELNS1_3repE0EEENS1_38merge_mergepath_config_static_selectorELNS0_4arch9wavefront6targetE1EEEvSF_ ; -- Begin function _ZN7rocprim17ROCPRIM_400000_NS6detail17trampoline_kernelINS0_14default_configENS1_38merge_sort_block_merge_config_selectorIxNS0_10empty_typeEEEZZNS1_27merge_sort_block_merge_implIS3_PxPS5_jNS1_19radix_merge_compareILb0ELb1ExNS0_19identity_decomposerEEEEE10hipError_tT0_T1_T2_jT3_P12ihipStream_tbPNSt15iterator_traitsISE_E10value_typeEPNSK_ISF_E10value_typeEPSG_NS1_7vsmem_tEENKUlT_SE_SF_SG_E_clIS8_S8_S9_S9_EESD_ST_SE_SF_SG_EUlST_E0_NS1_11comp_targetILNS1_3genE10ELNS1_11target_archE1201ELNS1_3gpuE5ELNS1_3repE0EEENS1_38merge_mergepath_config_static_selectorELNS0_4arch9wavefront6targetE1EEEvSF_
	.globl	_ZN7rocprim17ROCPRIM_400000_NS6detail17trampoline_kernelINS0_14default_configENS1_38merge_sort_block_merge_config_selectorIxNS0_10empty_typeEEEZZNS1_27merge_sort_block_merge_implIS3_PxPS5_jNS1_19radix_merge_compareILb0ELb1ExNS0_19identity_decomposerEEEEE10hipError_tT0_T1_T2_jT3_P12ihipStream_tbPNSt15iterator_traitsISE_E10value_typeEPNSK_ISF_E10value_typeEPSG_NS1_7vsmem_tEENKUlT_SE_SF_SG_E_clIS8_S8_S9_S9_EESD_ST_SE_SF_SG_EUlST_E0_NS1_11comp_targetILNS1_3genE10ELNS1_11target_archE1201ELNS1_3gpuE5ELNS1_3repE0EEENS1_38merge_mergepath_config_static_selectorELNS0_4arch9wavefront6targetE1EEEvSF_
	.p2align	8
	.type	_ZN7rocprim17ROCPRIM_400000_NS6detail17trampoline_kernelINS0_14default_configENS1_38merge_sort_block_merge_config_selectorIxNS0_10empty_typeEEEZZNS1_27merge_sort_block_merge_implIS3_PxPS5_jNS1_19radix_merge_compareILb0ELb1ExNS0_19identity_decomposerEEEEE10hipError_tT0_T1_T2_jT3_P12ihipStream_tbPNSt15iterator_traitsISE_E10value_typeEPNSK_ISF_E10value_typeEPSG_NS1_7vsmem_tEENKUlT_SE_SF_SG_E_clIS8_S8_S9_S9_EESD_ST_SE_SF_SG_EUlST_E0_NS1_11comp_targetILNS1_3genE10ELNS1_11target_archE1201ELNS1_3gpuE5ELNS1_3repE0EEENS1_38merge_mergepath_config_static_selectorELNS0_4arch9wavefront6targetE1EEEvSF_,@function
_ZN7rocprim17ROCPRIM_400000_NS6detail17trampoline_kernelINS0_14default_configENS1_38merge_sort_block_merge_config_selectorIxNS0_10empty_typeEEEZZNS1_27merge_sort_block_merge_implIS3_PxPS5_jNS1_19radix_merge_compareILb0ELb1ExNS0_19identity_decomposerEEEEE10hipError_tT0_T1_T2_jT3_P12ihipStream_tbPNSt15iterator_traitsISE_E10value_typeEPNSK_ISF_E10value_typeEPSG_NS1_7vsmem_tEENKUlT_SE_SF_SG_E_clIS8_S8_S9_S9_EESD_ST_SE_SF_SG_EUlST_E0_NS1_11comp_targetILNS1_3genE10ELNS1_11target_archE1201ELNS1_3gpuE5ELNS1_3repE0EEENS1_38merge_mergepath_config_static_selectorELNS0_4arch9wavefront6targetE1EEEvSF_: ; @_ZN7rocprim17ROCPRIM_400000_NS6detail17trampoline_kernelINS0_14default_configENS1_38merge_sort_block_merge_config_selectorIxNS0_10empty_typeEEEZZNS1_27merge_sort_block_merge_implIS3_PxPS5_jNS1_19radix_merge_compareILb0ELb1ExNS0_19identity_decomposerEEEEE10hipError_tT0_T1_T2_jT3_P12ihipStream_tbPNSt15iterator_traitsISE_E10value_typeEPNSK_ISF_E10value_typeEPSG_NS1_7vsmem_tEENKUlT_SE_SF_SG_E_clIS8_S8_S9_S9_EESD_ST_SE_SF_SG_EUlST_E0_NS1_11comp_targetILNS1_3genE10ELNS1_11target_archE1201ELNS1_3gpuE5ELNS1_3repE0EEENS1_38merge_mergepath_config_static_selectorELNS0_4arch9wavefront6targetE1EEEvSF_
; %bb.0:
	.section	.rodata,"a",@progbits
	.p2align	6, 0x0
	.amdhsa_kernel _ZN7rocprim17ROCPRIM_400000_NS6detail17trampoline_kernelINS0_14default_configENS1_38merge_sort_block_merge_config_selectorIxNS0_10empty_typeEEEZZNS1_27merge_sort_block_merge_implIS3_PxPS5_jNS1_19radix_merge_compareILb0ELb1ExNS0_19identity_decomposerEEEEE10hipError_tT0_T1_T2_jT3_P12ihipStream_tbPNSt15iterator_traitsISE_E10value_typeEPNSK_ISF_E10value_typeEPSG_NS1_7vsmem_tEENKUlT_SE_SF_SG_E_clIS8_S8_S9_S9_EESD_ST_SE_SF_SG_EUlST_E0_NS1_11comp_targetILNS1_3genE10ELNS1_11target_archE1201ELNS1_3gpuE5ELNS1_3repE0EEENS1_38merge_mergepath_config_static_selectorELNS0_4arch9wavefront6targetE1EEEvSF_
		.amdhsa_group_segment_fixed_size 0
		.amdhsa_private_segment_fixed_size 0
		.amdhsa_kernarg_size 72
		.amdhsa_user_sgpr_count 6
		.amdhsa_user_sgpr_private_segment_buffer 1
		.amdhsa_user_sgpr_dispatch_ptr 0
		.amdhsa_user_sgpr_queue_ptr 0
		.amdhsa_user_sgpr_kernarg_segment_ptr 1
		.amdhsa_user_sgpr_dispatch_id 0
		.amdhsa_user_sgpr_flat_scratch_init 0
		.amdhsa_user_sgpr_kernarg_preload_length 0
		.amdhsa_user_sgpr_kernarg_preload_offset 0
		.amdhsa_user_sgpr_private_segment_size 0
		.amdhsa_uses_dynamic_stack 0
		.amdhsa_system_sgpr_private_segment_wavefront_offset 0
		.amdhsa_system_sgpr_workgroup_id_x 1
		.amdhsa_system_sgpr_workgroup_id_y 0
		.amdhsa_system_sgpr_workgroup_id_z 0
		.amdhsa_system_sgpr_workgroup_info 0
		.amdhsa_system_vgpr_workitem_id 0
		.amdhsa_next_free_vgpr 1
		.amdhsa_next_free_sgpr 0
		.amdhsa_accum_offset 4
		.amdhsa_reserve_vcc 0
		.amdhsa_reserve_flat_scratch 0
		.amdhsa_float_round_mode_32 0
		.amdhsa_float_round_mode_16_64 0
		.amdhsa_float_denorm_mode_32 3
		.amdhsa_float_denorm_mode_16_64 3
		.amdhsa_dx10_clamp 1
		.amdhsa_ieee_mode 1
		.amdhsa_fp16_overflow 0
		.amdhsa_tg_split 0
		.amdhsa_exception_fp_ieee_invalid_op 0
		.amdhsa_exception_fp_denorm_src 0
		.amdhsa_exception_fp_ieee_div_zero 0
		.amdhsa_exception_fp_ieee_overflow 0
		.amdhsa_exception_fp_ieee_underflow 0
		.amdhsa_exception_fp_ieee_inexact 0
		.amdhsa_exception_int_div_zero 0
	.end_amdhsa_kernel
	.section	.text._ZN7rocprim17ROCPRIM_400000_NS6detail17trampoline_kernelINS0_14default_configENS1_38merge_sort_block_merge_config_selectorIxNS0_10empty_typeEEEZZNS1_27merge_sort_block_merge_implIS3_PxPS5_jNS1_19radix_merge_compareILb0ELb1ExNS0_19identity_decomposerEEEEE10hipError_tT0_T1_T2_jT3_P12ihipStream_tbPNSt15iterator_traitsISE_E10value_typeEPNSK_ISF_E10value_typeEPSG_NS1_7vsmem_tEENKUlT_SE_SF_SG_E_clIS8_S8_S9_S9_EESD_ST_SE_SF_SG_EUlST_E0_NS1_11comp_targetILNS1_3genE10ELNS1_11target_archE1201ELNS1_3gpuE5ELNS1_3repE0EEENS1_38merge_mergepath_config_static_selectorELNS0_4arch9wavefront6targetE1EEEvSF_,"axG",@progbits,_ZN7rocprim17ROCPRIM_400000_NS6detail17trampoline_kernelINS0_14default_configENS1_38merge_sort_block_merge_config_selectorIxNS0_10empty_typeEEEZZNS1_27merge_sort_block_merge_implIS3_PxPS5_jNS1_19radix_merge_compareILb0ELb1ExNS0_19identity_decomposerEEEEE10hipError_tT0_T1_T2_jT3_P12ihipStream_tbPNSt15iterator_traitsISE_E10value_typeEPNSK_ISF_E10value_typeEPSG_NS1_7vsmem_tEENKUlT_SE_SF_SG_E_clIS8_S8_S9_S9_EESD_ST_SE_SF_SG_EUlST_E0_NS1_11comp_targetILNS1_3genE10ELNS1_11target_archE1201ELNS1_3gpuE5ELNS1_3repE0EEENS1_38merge_mergepath_config_static_selectorELNS0_4arch9wavefront6targetE1EEEvSF_,comdat
.Lfunc_end1057:
	.size	_ZN7rocprim17ROCPRIM_400000_NS6detail17trampoline_kernelINS0_14default_configENS1_38merge_sort_block_merge_config_selectorIxNS0_10empty_typeEEEZZNS1_27merge_sort_block_merge_implIS3_PxPS5_jNS1_19radix_merge_compareILb0ELb1ExNS0_19identity_decomposerEEEEE10hipError_tT0_T1_T2_jT3_P12ihipStream_tbPNSt15iterator_traitsISE_E10value_typeEPNSK_ISF_E10value_typeEPSG_NS1_7vsmem_tEENKUlT_SE_SF_SG_E_clIS8_S8_S9_S9_EESD_ST_SE_SF_SG_EUlST_E0_NS1_11comp_targetILNS1_3genE10ELNS1_11target_archE1201ELNS1_3gpuE5ELNS1_3repE0EEENS1_38merge_mergepath_config_static_selectorELNS0_4arch9wavefront6targetE1EEEvSF_, .Lfunc_end1057-_ZN7rocprim17ROCPRIM_400000_NS6detail17trampoline_kernelINS0_14default_configENS1_38merge_sort_block_merge_config_selectorIxNS0_10empty_typeEEEZZNS1_27merge_sort_block_merge_implIS3_PxPS5_jNS1_19radix_merge_compareILb0ELb1ExNS0_19identity_decomposerEEEEE10hipError_tT0_T1_T2_jT3_P12ihipStream_tbPNSt15iterator_traitsISE_E10value_typeEPNSK_ISF_E10value_typeEPSG_NS1_7vsmem_tEENKUlT_SE_SF_SG_E_clIS8_S8_S9_S9_EESD_ST_SE_SF_SG_EUlST_E0_NS1_11comp_targetILNS1_3genE10ELNS1_11target_archE1201ELNS1_3gpuE5ELNS1_3repE0EEENS1_38merge_mergepath_config_static_selectorELNS0_4arch9wavefront6targetE1EEEvSF_
                                        ; -- End function
	.section	.AMDGPU.csdata,"",@progbits
; Kernel info:
; codeLenInByte = 0
; NumSgprs: 4
; NumVgprs: 0
; NumAgprs: 0
; TotalNumVgprs: 0
; ScratchSize: 0
; MemoryBound: 0
; FloatMode: 240
; IeeeMode: 1
; LDSByteSize: 0 bytes/workgroup (compile time only)
; SGPRBlocks: 0
; VGPRBlocks: 0
; NumSGPRsForWavesPerEU: 4
; NumVGPRsForWavesPerEU: 1
; AccumOffset: 4
; Occupancy: 8
; WaveLimiterHint : 0
; COMPUTE_PGM_RSRC2:SCRATCH_EN: 0
; COMPUTE_PGM_RSRC2:USER_SGPR: 6
; COMPUTE_PGM_RSRC2:TRAP_HANDLER: 0
; COMPUTE_PGM_RSRC2:TGID_X_EN: 1
; COMPUTE_PGM_RSRC2:TGID_Y_EN: 0
; COMPUTE_PGM_RSRC2:TGID_Z_EN: 0
; COMPUTE_PGM_RSRC2:TIDIG_COMP_CNT: 0
; COMPUTE_PGM_RSRC3_GFX90A:ACCUM_OFFSET: 0
; COMPUTE_PGM_RSRC3_GFX90A:TG_SPLIT: 0
	.section	.text._ZN7rocprim17ROCPRIM_400000_NS6detail17trampoline_kernelINS0_14default_configENS1_38merge_sort_block_merge_config_selectorIxNS0_10empty_typeEEEZZNS1_27merge_sort_block_merge_implIS3_PxPS5_jNS1_19radix_merge_compareILb0ELb1ExNS0_19identity_decomposerEEEEE10hipError_tT0_T1_T2_jT3_P12ihipStream_tbPNSt15iterator_traitsISE_E10value_typeEPNSK_ISF_E10value_typeEPSG_NS1_7vsmem_tEENKUlT_SE_SF_SG_E_clIS8_S8_S9_S9_EESD_ST_SE_SF_SG_EUlST_E0_NS1_11comp_targetILNS1_3genE5ELNS1_11target_archE942ELNS1_3gpuE9ELNS1_3repE0EEENS1_38merge_mergepath_config_static_selectorELNS0_4arch9wavefront6targetE1EEEvSF_,"axG",@progbits,_ZN7rocprim17ROCPRIM_400000_NS6detail17trampoline_kernelINS0_14default_configENS1_38merge_sort_block_merge_config_selectorIxNS0_10empty_typeEEEZZNS1_27merge_sort_block_merge_implIS3_PxPS5_jNS1_19radix_merge_compareILb0ELb1ExNS0_19identity_decomposerEEEEE10hipError_tT0_T1_T2_jT3_P12ihipStream_tbPNSt15iterator_traitsISE_E10value_typeEPNSK_ISF_E10value_typeEPSG_NS1_7vsmem_tEENKUlT_SE_SF_SG_E_clIS8_S8_S9_S9_EESD_ST_SE_SF_SG_EUlST_E0_NS1_11comp_targetILNS1_3genE5ELNS1_11target_archE942ELNS1_3gpuE9ELNS1_3repE0EEENS1_38merge_mergepath_config_static_selectorELNS0_4arch9wavefront6targetE1EEEvSF_,comdat
	.protected	_ZN7rocprim17ROCPRIM_400000_NS6detail17trampoline_kernelINS0_14default_configENS1_38merge_sort_block_merge_config_selectorIxNS0_10empty_typeEEEZZNS1_27merge_sort_block_merge_implIS3_PxPS5_jNS1_19radix_merge_compareILb0ELb1ExNS0_19identity_decomposerEEEEE10hipError_tT0_T1_T2_jT3_P12ihipStream_tbPNSt15iterator_traitsISE_E10value_typeEPNSK_ISF_E10value_typeEPSG_NS1_7vsmem_tEENKUlT_SE_SF_SG_E_clIS8_S8_S9_S9_EESD_ST_SE_SF_SG_EUlST_E0_NS1_11comp_targetILNS1_3genE5ELNS1_11target_archE942ELNS1_3gpuE9ELNS1_3repE0EEENS1_38merge_mergepath_config_static_selectorELNS0_4arch9wavefront6targetE1EEEvSF_ ; -- Begin function _ZN7rocprim17ROCPRIM_400000_NS6detail17trampoline_kernelINS0_14default_configENS1_38merge_sort_block_merge_config_selectorIxNS0_10empty_typeEEEZZNS1_27merge_sort_block_merge_implIS3_PxPS5_jNS1_19radix_merge_compareILb0ELb1ExNS0_19identity_decomposerEEEEE10hipError_tT0_T1_T2_jT3_P12ihipStream_tbPNSt15iterator_traitsISE_E10value_typeEPNSK_ISF_E10value_typeEPSG_NS1_7vsmem_tEENKUlT_SE_SF_SG_E_clIS8_S8_S9_S9_EESD_ST_SE_SF_SG_EUlST_E0_NS1_11comp_targetILNS1_3genE5ELNS1_11target_archE942ELNS1_3gpuE9ELNS1_3repE0EEENS1_38merge_mergepath_config_static_selectorELNS0_4arch9wavefront6targetE1EEEvSF_
	.globl	_ZN7rocprim17ROCPRIM_400000_NS6detail17trampoline_kernelINS0_14default_configENS1_38merge_sort_block_merge_config_selectorIxNS0_10empty_typeEEEZZNS1_27merge_sort_block_merge_implIS3_PxPS5_jNS1_19radix_merge_compareILb0ELb1ExNS0_19identity_decomposerEEEEE10hipError_tT0_T1_T2_jT3_P12ihipStream_tbPNSt15iterator_traitsISE_E10value_typeEPNSK_ISF_E10value_typeEPSG_NS1_7vsmem_tEENKUlT_SE_SF_SG_E_clIS8_S8_S9_S9_EESD_ST_SE_SF_SG_EUlST_E0_NS1_11comp_targetILNS1_3genE5ELNS1_11target_archE942ELNS1_3gpuE9ELNS1_3repE0EEENS1_38merge_mergepath_config_static_selectorELNS0_4arch9wavefront6targetE1EEEvSF_
	.p2align	8
	.type	_ZN7rocprim17ROCPRIM_400000_NS6detail17trampoline_kernelINS0_14default_configENS1_38merge_sort_block_merge_config_selectorIxNS0_10empty_typeEEEZZNS1_27merge_sort_block_merge_implIS3_PxPS5_jNS1_19radix_merge_compareILb0ELb1ExNS0_19identity_decomposerEEEEE10hipError_tT0_T1_T2_jT3_P12ihipStream_tbPNSt15iterator_traitsISE_E10value_typeEPNSK_ISF_E10value_typeEPSG_NS1_7vsmem_tEENKUlT_SE_SF_SG_E_clIS8_S8_S9_S9_EESD_ST_SE_SF_SG_EUlST_E0_NS1_11comp_targetILNS1_3genE5ELNS1_11target_archE942ELNS1_3gpuE9ELNS1_3repE0EEENS1_38merge_mergepath_config_static_selectorELNS0_4arch9wavefront6targetE1EEEvSF_,@function
_ZN7rocprim17ROCPRIM_400000_NS6detail17trampoline_kernelINS0_14default_configENS1_38merge_sort_block_merge_config_selectorIxNS0_10empty_typeEEEZZNS1_27merge_sort_block_merge_implIS3_PxPS5_jNS1_19radix_merge_compareILb0ELb1ExNS0_19identity_decomposerEEEEE10hipError_tT0_T1_T2_jT3_P12ihipStream_tbPNSt15iterator_traitsISE_E10value_typeEPNSK_ISF_E10value_typeEPSG_NS1_7vsmem_tEENKUlT_SE_SF_SG_E_clIS8_S8_S9_S9_EESD_ST_SE_SF_SG_EUlST_E0_NS1_11comp_targetILNS1_3genE5ELNS1_11target_archE942ELNS1_3gpuE9ELNS1_3repE0EEENS1_38merge_mergepath_config_static_selectorELNS0_4arch9wavefront6targetE1EEEvSF_: ; @_ZN7rocprim17ROCPRIM_400000_NS6detail17trampoline_kernelINS0_14default_configENS1_38merge_sort_block_merge_config_selectorIxNS0_10empty_typeEEEZZNS1_27merge_sort_block_merge_implIS3_PxPS5_jNS1_19radix_merge_compareILb0ELb1ExNS0_19identity_decomposerEEEEE10hipError_tT0_T1_T2_jT3_P12ihipStream_tbPNSt15iterator_traitsISE_E10value_typeEPNSK_ISF_E10value_typeEPSG_NS1_7vsmem_tEENKUlT_SE_SF_SG_E_clIS8_S8_S9_S9_EESD_ST_SE_SF_SG_EUlST_E0_NS1_11comp_targetILNS1_3genE5ELNS1_11target_archE942ELNS1_3gpuE9ELNS1_3repE0EEENS1_38merge_mergepath_config_static_selectorELNS0_4arch9wavefront6targetE1EEEvSF_
; %bb.0:
	.section	.rodata,"a",@progbits
	.p2align	6, 0x0
	.amdhsa_kernel _ZN7rocprim17ROCPRIM_400000_NS6detail17trampoline_kernelINS0_14default_configENS1_38merge_sort_block_merge_config_selectorIxNS0_10empty_typeEEEZZNS1_27merge_sort_block_merge_implIS3_PxPS5_jNS1_19radix_merge_compareILb0ELb1ExNS0_19identity_decomposerEEEEE10hipError_tT0_T1_T2_jT3_P12ihipStream_tbPNSt15iterator_traitsISE_E10value_typeEPNSK_ISF_E10value_typeEPSG_NS1_7vsmem_tEENKUlT_SE_SF_SG_E_clIS8_S8_S9_S9_EESD_ST_SE_SF_SG_EUlST_E0_NS1_11comp_targetILNS1_3genE5ELNS1_11target_archE942ELNS1_3gpuE9ELNS1_3repE0EEENS1_38merge_mergepath_config_static_selectorELNS0_4arch9wavefront6targetE1EEEvSF_
		.amdhsa_group_segment_fixed_size 0
		.amdhsa_private_segment_fixed_size 0
		.amdhsa_kernarg_size 72
		.amdhsa_user_sgpr_count 6
		.amdhsa_user_sgpr_private_segment_buffer 1
		.amdhsa_user_sgpr_dispatch_ptr 0
		.amdhsa_user_sgpr_queue_ptr 0
		.amdhsa_user_sgpr_kernarg_segment_ptr 1
		.amdhsa_user_sgpr_dispatch_id 0
		.amdhsa_user_sgpr_flat_scratch_init 0
		.amdhsa_user_sgpr_kernarg_preload_length 0
		.amdhsa_user_sgpr_kernarg_preload_offset 0
		.amdhsa_user_sgpr_private_segment_size 0
		.amdhsa_uses_dynamic_stack 0
		.amdhsa_system_sgpr_private_segment_wavefront_offset 0
		.amdhsa_system_sgpr_workgroup_id_x 1
		.amdhsa_system_sgpr_workgroup_id_y 0
		.amdhsa_system_sgpr_workgroup_id_z 0
		.amdhsa_system_sgpr_workgroup_info 0
		.amdhsa_system_vgpr_workitem_id 0
		.amdhsa_next_free_vgpr 1
		.amdhsa_next_free_sgpr 0
		.amdhsa_accum_offset 4
		.amdhsa_reserve_vcc 0
		.amdhsa_reserve_flat_scratch 0
		.amdhsa_float_round_mode_32 0
		.amdhsa_float_round_mode_16_64 0
		.amdhsa_float_denorm_mode_32 3
		.amdhsa_float_denorm_mode_16_64 3
		.amdhsa_dx10_clamp 1
		.amdhsa_ieee_mode 1
		.amdhsa_fp16_overflow 0
		.amdhsa_tg_split 0
		.amdhsa_exception_fp_ieee_invalid_op 0
		.amdhsa_exception_fp_denorm_src 0
		.amdhsa_exception_fp_ieee_div_zero 0
		.amdhsa_exception_fp_ieee_overflow 0
		.amdhsa_exception_fp_ieee_underflow 0
		.amdhsa_exception_fp_ieee_inexact 0
		.amdhsa_exception_int_div_zero 0
	.end_amdhsa_kernel
	.section	.text._ZN7rocprim17ROCPRIM_400000_NS6detail17trampoline_kernelINS0_14default_configENS1_38merge_sort_block_merge_config_selectorIxNS0_10empty_typeEEEZZNS1_27merge_sort_block_merge_implIS3_PxPS5_jNS1_19radix_merge_compareILb0ELb1ExNS0_19identity_decomposerEEEEE10hipError_tT0_T1_T2_jT3_P12ihipStream_tbPNSt15iterator_traitsISE_E10value_typeEPNSK_ISF_E10value_typeEPSG_NS1_7vsmem_tEENKUlT_SE_SF_SG_E_clIS8_S8_S9_S9_EESD_ST_SE_SF_SG_EUlST_E0_NS1_11comp_targetILNS1_3genE5ELNS1_11target_archE942ELNS1_3gpuE9ELNS1_3repE0EEENS1_38merge_mergepath_config_static_selectorELNS0_4arch9wavefront6targetE1EEEvSF_,"axG",@progbits,_ZN7rocprim17ROCPRIM_400000_NS6detail17trampoline_kernelINS0_14default_configENS1_38merge_sort_block_merge_config_selectorIxNS0_10empty_typeEEEZZNS1_27merge_sort_block_merge_implIS3_PxPS5_jNS1_19radix_merge_compareILb0ELb1ExNS0_19identity_decomposerEEEEE10hipError_tT0_T1_T2_jT3_P12ihipStream_tbPNSt15iterator_traitsISE_E10value_typeEPNSK_ISF_E10value_typeEPSG_NS1_7vsmem_tEENKUlT_SE_SF_SG_E_clIS8_S8_S9_S9_EESD_ST_SE_SF_SG_EUlST_E0_NS1_11comp_targetILNS1_3genE5ELNS1_11target_archE942ELNS1_3gpuE9ELNS1_3repE0EEENS1_38merge_mergepath_config_static_selectorELNS0_4arch9wavefront6targetE1EEEvSF_,comdat
.Lfunc_end1058:
	.size	_ZN7rocprim17ROCPRIM_400000_NS6detail17trampoline_kernelINS0_14default_configENS1_38merge_sort_block_merge_config_selectorIxNS0_10empty_typeEEEZZNS1_27merge_sort_block_merge_implIS3_PxPS5_jNS1_19radix_merge_compareILb0ELb1ExNS0_19identity_decomposerEEEEE10hipError_tT0_T1_T2_jT3_P12ihipStream_tbPNSt15iterator_traitsISE_E10value_typeEPNSK_ISF_E10value_typeEPSG_NS1_7vsmem_tEENKUlT_SE_SF_SG_E_clIS8_S8_S9_S9_EESD_ST_SE_SF_SG_EUlST_E0_NS1_11comp_targetILNS1_3genE5ELNS1_11target_archE942ELNS1_3gpuE9ELNS1_3repE0EEENS1_38merge_mergepath_config_static_selectorELNS0_4arch9wavefront6targetE1EEEvSF_, .Lfunc_end1058-_ZN7rocprim17ROCPRIM_400000_NS6detail17trampoline_kernelINS0_14default_configENS1_38merge_sort_block_merge_config_selectorIxNS0_10empty_typeEEEZZNS1_27merge_sort_block_merge_implIS3_PxPS5_jNS1_19radix_merge_compareILb0ELb1ExNS0_19identity_decomposerEEEEE10hipError_tT0_T1_T2_jT3_P12ihipStream_tbPNSt15iterator_traitsISE_E10value_typeEPNSK_ISF_E10value_typeEPSG_NS1_7vsmem_tEENKUlT_SE_SF_SG_E_clIS8_S8_S9_S9_EESD_ST_SE_SF_SG_EUlST_E0_NS1_11comp_targetILNS1_3genE5ELNS1_11target_archE942ELNS1_3gpuE9ELNS1_3repE0EEENS1_38merge_mergepath_config_static_selectorELNS0_4arch9wavefront6targetE1EEEvSF_
                                        ; -- End function
	.section	.AMDGPU.csdata,"",@progbits
; Kernel info:
; codeLenInByte = 0
; NumSgprs: 4
; NumVgprs: 0
; NumAgprs: 0
; TotalNumVgprs: 0
; ScratchSize: 0
; MemoryBound: 0
; FloatMode: 240
; IeeeMode: 1
; LDSByteSize: 0 bytes/workgroup (compile time only)
; SGPRBlocks: 0
; VGPRBlocks: 0
; NumSGPRsForWavesPerEU: 4
; NumVGPRsForWavesPerEU: 1
; AccumOffset: 4
; Occupancy: 8
; WaveLimiterHint : 0
; COMPUTE_PGM_RSRC2:SCRATCH_EN: 0
; COMPUTE_PGM_RSRC2:USER_SGPR: 6
; COMPUTE_PGM_RSRC2:TRAP_HANDLER: 0
; COMPUTE_PGM_RSRC2:TGID_X_EN: 1
; COMPUTE_PGM_RSRC2:TGID_Y_EN: 0
; COMPUTE_PGM_RSRC2:TGID_Z_EN: 0
; COMPUTE_PGM_RSRC2:TIDIG_COMP_CNT: 0
; COMPUTE_PGM_RSRC3_GFX90A:ACCUM_OFFSET: 0
; COMPUTE_PGM_RSRC3_GFX90A:TG_SPLIT: 0
	.section	.text._ZN7rocprim17ROCPRIM_400000_NS6detail17trampoline_kernelINS0_14default_configENS1_38merge_sort_block_merge_config_selectorIxNS0_10empty_typeEEEZZNS1_27merge_sort_block_merge_implIS3_PxPS5_jNS1_19radix_merge_compareILb0ELb1ExNS0_19identity_decomposerEEEEE10hipError_tT0_T1_T2_jT3_P12ihipStream_tbPNSt15iterator_traitsISE_E10value_typeEPNSK_ISF_E10value_typeEPSG_NS1_7vsmem_tEENKUlT_SE_SF_SG_E_clIS8_S8_S9_S9_EESD_ST_SE_SF_SG_EUlST_E0_NS1_11comp_targetILNS1_3genE4ELNS1_11target_archE910ELNS1_3gpuE8ELNS1_3repE0EEENS1_38merge_mergepath_config_static_selectorELNS0_4arch9wavefront6targetE1EEEvSF_,"axG",@progbits,_ZN7rocprim17ROCPRIM_400000_NS6detail17trampoline_kernelINS0_14default_configENS1_38merge_sort_block_merge_config_selectorIxNS0_10empty_typeEEEZZNS1_27merge_sort_block_merge_implIS3_PxPS5_jNS1_19radix_merge_compareILb0ELb1ExNS0_19identity_decomposerEEEEE10hipError_tT0_T1_T2_jT3_P12ihipStream_tbPNSt15iterator_traitsISE_E10value_typeEPNSK_ISF_E10value_typeEPSG_NS1_7vsmem_tEENKUlT_SE_SF_SG_E_clIS8_S8_S9_S9_EESD_ST_SE_SF_SG_EUlST_E0_NS1_11comp_targetILNS1_3genE4ELNS1_11target_archE910ELNS1_3gpuE8ELNS1_3repE0EEENS1_38merge_mergepath_config_static_selectorELNS0_4arch9wavefront6targetE1EEEvSF_,comdat
	.protected	_ZN7rocprim17ROCPRIM_400000_NS6detail17trampoline_kernelINS0_14default_configENS1_38merge_sort_block_merge_config_selectorIxNS0_10empty_typeEEEZZNS1_27merge_sort_block_merge_implIS3_PxPS5_jNS1_19radix_merge_compareILb0ELb1ExNS0_19identity_decomposerEEEEE10hipError_tT0_T1_T2_jT3_P12ihipStream_tbPNSt15iterator_traitsISE_E10value_typeEPNSK_ISF_E10value_typeEPSG_NS1_7vsmem_tEENKUlT_SE_SF_SG_E_clIS8_S8_S9_S9_EESD_ST_SE_SF_SG_EUlST_E0_NS1_11comp_targetILNS1_3genE4ELNS1_11target_archE910ELNS1_3gpuE8ELNS1_3repE0EEENS1_38merge_mergepath_config_static_selectorELNS0_4arch9wavefront6targetE1EEEvSF_ ; -- Begin function _ZN7rocprim17ROCPRIM_400000_NS6detail17trampoline_kernelINS0_14default_configENS1_38merge_sort_block_merge_config_selectorIxNS0_10empty_typeEEEZZNS1_27merge_sort_block_merge_implIS3_PxPS5_jNS1_19radix_merge_compareILb0ELb1ExNS0_19identity_decomposerEEEEE10hipError_tT0_T1_T2_jT3_P12ihipStream_tbPNSt15iterator_traitsISE_E10value_typeEPNSK_ISF_E10value_typeEPSG_NS1_7vsmem_tEENKUlT_SE_SF_SG_E_clIS8_S8_S9_S9_EESD_ST_SE_SF_SG_EUlST_E0_NS1_11comp_targetILNS1_3genE4ELNS1_11target_archE910ELNS1_3gpuE8ELNS1_3repE0EEENS1_38merge_mergepath_config_static_selectorELNS0_4arch9wavefront6targetE1EEEvSF_
	.globl	_ZN7rocprim17ROCPRIM_400000_NS6detail17trampoline_kernelINS0_14default_configENS1_38merge_sort_block_merge_config_selectorIxNS0_10empty_typeEEEZZNS1_27merge_sort_block_merge_implIS3_PxPS5_jNS1_19radix_merge_compareILb0ELb1ExNS0_19identity_decomposerEEEEE10hipError_tT0_T1_T2_jT3_P12ihipStream_tbPNSt15iterator_traitsISE_E10value_typeEPNSK_ISF_E10value_typeEPSG_NS1_7vsmem_tEENKUlT_SE_SF_SG_E_clIS8_S8_S9_S9_EESD_ST_SE_SF_SG_EUlST_E0_NS1_11comp_targetILNS1_3genE4ELNS1_11target_archE910ELNS1_3gpuE8ELNS1_3repE0EEENS1_38merge_mergepath_config_static_selectorELNS0_4arch9wavefront6targetE1EEEvSF_
	.p2align	8
	.type	_ZN7rocprim17ROCPRIM_400000_NS6detail17trampoline_kernelINS0_14default_configENS1_38merge_sort_block_merge_config_selectorIxNS0_10empty_typeEEEZZNS1_27merge_sort_block_merge_implIS3_PxPS5_jNS1_19radix_merge_compareILb0ELb1ExNS0_19identity_decomposerEEEEE10hipError_tT0_T1_T2_jT3_P12ihipStream_tbPNSt15iterator_traitsISE_E10value_typeEPNSK_ISF_E10value_typeEPSG_NS1_7vsmem_tEENKUlT_SE_SF_SG_E_clIS8_S8_S9_S9_EESD_ST_SE_SF_SG_EUlST_E0_NS1_11comp_targetILNS1_3genE4ELNS1_11target_archE910ELNS1_3gpuE8ELNS1_3repE0EEENS1_38merge_mergepath_config_static_selectorELNS0_4arch9wavefront6targetE1EEEvSF_,@function
_ZN7rocprim17ROCPRIM_400000_NS6detail17trampoline_kernelINS0_14default_configENS1_38merge_sort_block_merge_config_selectorIxNS0_10empty_typeEEEZZNS1_27merge_sort_block_merge_implIS3_PxPS5_jNS1_19radix_merge_compareILb0ELb1ExNS0_19identity_decomposerEEEEE10hipError_tT0_T1_T2_jT3_P12ihipStream_tbPNSt15iterator_traitsISE_E10value_typeEPNSK_ISF_E10value_typeEPSG_NS1_7vsmem_tEENKUlT_SE_SF_SG_E_clIS8_S8_S9_S9_EESD_ST_SE_SF_SG_EUlST_E0_NS1_11comp_targetILNS1_3genE4ELNS1_11target_archE910ELNS1_3gpuE8ELNS1_3repE0EEENS1_38merge_mergepath_config_static_selectorELNS0_4arch9wavefront6targetE1EEEvSF_: ; @_ZN7rocprim17ROCPRIM_400000_NS6detail17trampoline_kernelINS0_14default_configENS1_38merge_sort_block_merge_config_selectorIxNS0_10empty_typeEEEZZNS1_27merge_sort_block_merge_implIS3_PxPS5_jNS1_19radix_merge_compareILb0ELb1ExNS0_19identity_decomposerEEEEE10hipError_tT0_T1_T2_jT3_P12ihipStream_tbPNSt15iterator_traitsISE_E10value_typeEPNSK_ISF_E10value_typeEPSG_NS1_7vsmem_tEENKUlT_SE_SF_SG_E_clIS8_S8_S9_S9_EESD_ST_SE_SF_SG_EUlST_E0_NS1_11comp_targetILNS1_3genE4ELNS1_11target_archE910ELNS1_3gpuE8ELNS1_3repE0EEENS1_38merge_mergepath_config_static_selectorELNS0_4arch9wavefront6targetE1EEEvSF_
; %bb.0:
	s_load_dwordx2 s[14:15], s[4:5], 0x48
	s_load_dword s3, s[4:5], 0x30
	s_add_u32 s0, s4, 0x48
	s_addc_u32 s1, s5, 0
	s_waitcnt lgkmcnt(0)
	s_mul_i32 s2, s15, s8
	s_add_i32 s2, s2, s7
	s_mul_i32 s2, s2, s14
	s_add_i32 s2, s2, s6
	s_cmp_ge_u32 s2, s3
	s_cbranch_scc1 .LBB1059_31
; %bb.1:
	s_load_dwordx2 s[8:9], s[4:5], 0x28
	s_load_dwordx2 s[10:11], s[4:5], 0x40
	;; [unrolled: 1-line block ×3, first 2 shown]
	s_mov_b32 s3, 0
	s_mov_b32 s25, s3
	s_waitcnt lgkmcnt(0)
	s_lshr_b32 s7, s8, 10
	s_cmp_lg_u32 s2, s7
	s_cselect_b64 s[12:13], -1, 0
	s_lshl_b64 s[16:17], s[2:3], 2
	s_add_u32 s10, s10, s16
	s_addc_u32 s11, s11, s17
	s_load_dwordx2 s[18:19], s[10:11], 0x0
	s_lshr_b32 s10, s9, 9
	s_and_b32 s10, s10, 0x7ffffe
	s_sub_i32 s11, 0, s10
	s_and_b32 s15, s2, s11
	s_lshl_b32 s16, s15, 10
	s_lshl_b32 s10, s2, 10
	;; [unrolled: 1-line block ×3, first 2 shown]
	s_sub_i32 s17, s10, s16
	s_add_i32 s15, s15, s9
	s_add_i32 s17, s15, s17
	s_waitcnt lgkmcnt(0)
	s_sub_i32 s20, s17, s18
	s_sub_i32 s17, s17, s19
	;; [unrolled: 1-line block ×3, first 2 shown]
	s_min_u32 s24, s8, s20
	s_addk_i32 s17, 0x400
	s_or_b32 s11, s2, s11
	s_min_u32 s16, s8, s15
	s_add_i32 s15, s15, s9
	s_cmp_eq_u32 s11, -1
	s_cselect_b32 s9, s15, s17
	s_cselect_b32 s11, s16, s19
	s_min_u32 s15, s9, s8
	s_mov_b32 s19, s3
	s_sub_i32 s9, s11, s18
	s_sub_i32 s16, s15, s24
	s_lshl_b64 s[20:21], s[18:19], 3
	s_add_u32 s19, s22, s20
	s_addc_u32 s20, s23, s21
	s_lshl_b64 s[24:25], s[24:25], 3
	s_add_u32 s17, s22, s24
	s_addc_u32 s18, s23, s25
	s_cmp_lt_u32 s6, s14
	v_mov_b32_e32 v9, 0
	s_cselect_b32 s3, 12, 18
	global_load_dword v1, v9, s[0:1] offset:14
	s_add_u32 s0, s0, s3
	s_addc_u32 s1, s1, 0
	global_load_ushort v2, v9, s[0:1]
	s_cmp_eq_u32 s2, s7
	s_waitcnt vmcnt(1)
	v_lshrrev_b32_e32 v3, 16, v1
	v_and_b32_e32 v1, 0xffff, v1
	v_mul_lo_u32 v1, v1, v3
	s_waitcnt vmcnt(0)
	v_mul_lo_u32 v14, v1, v2
	v_add_u32_e32 v12, v14, v0
	v_lshlrev_b32_e32 v1, 3, v0
	v_add_u32_e32 v10, v12, v14
	s_cbranch_scc1 .LBB1059_3
; %bb.2:
	v_mov_b32_e32 v2, s20
	v_add_co_u32_e32 v4, vcc, s19, v1
	v_subrev_u32_e32 v8, s9, v0
	v_addc_co_u32_e32 v5, vcc, 0, v2, vcc
	v_lshlrev_b64 v[2:3], 3, v[8:9]
	v_mov_b32_e32 v6, s18
	v_add_co_u32_e32 v2, vcc, s17, v2
	v_addc_co_u32_e32 v3, vcc, v6, v3, vcc
	v_cmp_gt_u32_e32 vcc, s9, v0
	v_mov_b32_e32 v13, v9
	v_cndmask_b32_e32 v3, v3, v5, vcc
	v_cndmask_b32_e32 v2, v2, v4, vcc
	v_lshlrev_b64 v[4:5], 3, v[12:13]
	v_mov_b32_e32 v6, s20
	v_add_co_u32_e32 v7, vcc, s19, v4
	v_subrev_u32_e32 v8, s9, v12
	v_addc_co_u32_e32 v6, vcc, v6, v5, vcc
	v_lshlrev_b64 v[4:5], 3, v[8:9]
	v_mov_b32_e32 v8, s18
	v_add_co_u32_e32 v4, vcc, s17, v4
	v_addc_co_u32_e32 v5, vcc, v8, v5, vcc
	v_cmp_gt_u32_e32 vcc, s9, v12
	v_mov_b32_e32 v11, v9
	v_cndmask_b32_e32 v5, v5, v6, vcc
	v_cndmask_b32_e32 v4, v4, v7, vcc
	v_lshlrev_b64 v[6:7], 3, v[10:11]
	v_mov_b32_e32 v8, s20
	v_add_co_u32_e32 v11, vcc, s19, v6
	v_addc_co_u32_e32 v13, vcc, v8, v7, vcc
	v_subrev_u32_e32 v8, s9, v10
	v_lshlrev_b64 v[6:7], 3, v[8:9]
	v_mov_b32_e32 v8, s18
	v_add_co_u32_e32 v6, vcc, s17, v6
	v_addc_co_u32_e32 v7, vcc, v8, v7, vcc
	v_add_u32_e32 v8, v10, v14
	v_cmp_gt_u32_e32 vcc, s9, v10
	v_lshlrev_b64 v[16:17], 3, v[8:9]
	v_cndmask_b32_e32 v7, v7, v13, vcc
	v_cndmask_b32_e32 v6, v6, v11, vcc
	v_mov_b32_e32 v11, s20
	v_add_co_u32_e32 v13, vcc, s19, v16
	v_addc_co_u32_e32 v11, vcc, v11, v17, vcc
	v_cmp_gt_u32_e32 vcc, s9, v8
	v_subrev_u32_e32 v8, s9, v8
	v_lshlrev_b64 v[8:9], 3, v[8:9]
	v_mov_b32_e32 v15, s18
	v_add_co_u32_e64 v8, s[0:1], s17, v8
	v_addc_co_u32_e64 v9, s[0:1], v15, v9, s[0:1]
	v_cndmask_b32_e32 v9, v9, v11, vcc
	v_cndmask_b32_e32 v8, v8, v13, vcc
	global_load_dwordx2 v[2:3], v[2:3], off
	s_add_i32 s11, s16, s9
	global_load_dwordx2 v[4:5], v[4:5], off
	s_nop 0
	global_load_dwordx2 v[6:7], v[6:7], off
	s_nop 0
	global_load_dwordx2 v[8:9], v[8:9], off
	s_load_dwordx2 s[6:7], s[4:5], 0x10
	s_load_dwordx2 s[14:15], s[4:5], 0x38
	s_cbranch_execz .LBB1059_4
	s_branch .LBB1059_11
.LBB1059_3:
                                        ; implicit-def: $vgpr2_vgpr3_vgpr4_vgpr5_vgpr6_vgpr7_vgpr8_vgpr9
                                        ; implicit-def: $sgpr11
	s_load_dwordx2 s[6:7], s[4:5], 0x10
	s_load_dwordx2 s[14:15], s[4:5], 0x38
.LBB1059_4:
	s_add_i32 s11, s16, s9
	v_cmp_gt_u32_e32 vcc, s11, v0
                                        ; implicit-def: $vgpr2_vgpr3_vgpr4_vgpr5_vgpr6_vgpr7_vgpr8_vgpr9
	s_and_saveexec_b64 s[0:1], vcc
	s_cbranch_execnz .LBB1059_32
; %bb.5:
	s_or_b64 exec, exec, s[0:1]
	v_cmp_gt_u32_e32 vcc, s11, v12
	s_and_saveexec_b64 s[2:3], vcc
	s_cbranch_execnz .LBB1059_33
.LBB1059_6:
	s_or_b64 exec, exec, s[2:3]
	v_cmp_gt_u32_e32 vcc, s11, v10
	s_and_saveexec_b64 s[0:1], vcc
	s_cbranch_execz .LBB1059_8
.LBB1059_7:
	v_mov_b32_e32 v11, 0
	s_waitcnt vmcnt(1)
	v_lshlrev_b64 v[6:7], 3, v[10:11]
	v_mov_b32_e32 v12, s20
	v_add_co_u32_e32 v13, vcc, s19, v6
	v_addc_co_u32_e32 v12, vcc, v12, v7, vcc
	v_subrev_u32_e32 v6, s9, v10
	v_mov_b32_e32 v7, v11
	v_lshlrev_b64 v[6:7], 3, v[6:7]
	v_mov_b32_e32 v11, s18
	v_add_co_u32_e32 v6, vcc, s17, v6
	v_addc_co_u32_e32 v7, vcc, v11, v7, vcc
	v_cmp_gt_u32_e32 vcc, s9, v10
	v_cndmask_b32_e32 v7, v7, v12, vcc
	v_cndmask_b32_e32 v6, v6, v13, vcc
	global_load_dwordx2 v[6:7], v[6:7], off
.LBB1059_8:
	s_or_b64 exec, exec, s[0:1]
	v_add_u32_e32 v10, v10, v14
	v_cmp_gt_u32_e32 vcc, s11, v10
	s_and_saveexec_b64 s[2:3], vcc
	s_cbranch_execz .LBB1059_10
; %bb.9:
	v_mov_b32_e32 v11, 0
	s_waitcnt vmcnt(0)
	v_lshlrev_b64 v[8:9], 3, v[10:11]
	v_mov_b32_e32 v12, s20
	v_add_co_u32_e32 v13, vcc, s19, v8
	v_addc_co_u32_e32 v12, vcc, v12, v9, vcc
	v_cmp_gt_u32_e32 vcc, s9, v10
	v_subrev_u32_e32 v10, s9, v10
	v_lshlrev_b64 v[8:9], 3, v[10:11]
	v_mov_b32_e32 v10, s18
	v_add_co_u32_e64 v8, s[0:1], s17, v8
	v_addc_co_u32_e64 v9, s[0:1], v10, v9, s[0:1]
	v_cndmask_b32_e32 v9, v9, v12, vcc
	v_cndmask_b32_e32 v8, v8, v13, vcc
	global_load_dwordx2 v[8:9], v[8:9], off
.LBB1059_10:
	s_or_b64 exec, exec, s[2:3]
.LBB1059_11:
	v_lshlrev_b32_e32 v10, 2, v0
	v_min_u32_e32 v12, s11, v10
	v_sub_u32_e64 v11, v12, s16 clamp
	v_min_u32_e32 v13, s9, v12
	v_cmp_lt_u32_e32 vcc, v11, v13
	s_waitcnt vmcnt(0)
	ds_write2st64_b64 v1, v[2:3], v[4:5] offset1:4
	ds_write2st64_b64 v1, v[6:7], v[8:9] offset0:8 offset1:12
	s_waitcnt lgkmcnt(0)
	s_barrier
	s_and_saveexec_b64 s[0:1], vcc
	s_cbranch_execz .LBB1059_15
; %bb.12:
	v_lshlrev_b32_e32 v14, 3, v12
	v_lshl_add_u32 v14, s9, 3, v14
	s_mov_b64 s[2:3], 0
.LBB1059_13:                            ; =>This Inner Loop Header: Depth=1
	v_add_u32_e32 v15, v13, v11
	v_lshrrev_b32_e32 v15, 1, v15
	v_not_b32_e32 v18, v15
	v_lshlrev_b32_e32 v16, 3, v15
	v_lshl_add_u32 v18, v18, 3, v14
	ds_read_b64 v[16:17], v16
	ds_read_b64 v[18:19], v18
	v_add_u32_e32 v20, 1, v15
	s_waitcnt lgkmcnt(1)
	v_and_b32_e32 v17, s15, v17
	v_and_b32_e32 v16, s14, v16
	s_waitcnt lgkmcnt(0)
	v_and_b32_e32 v19, s15, v19
	v_and_b32_e32 v18, s14, v18
	v_cmp_gt_i64_e32 vcc, v[16:17], v[18:19]
	v_cndmask_b32_e32 v13, v13, v15, vcc
	v_cndmask_b32_e32 v11, v20, v11, vcc
	v_cmp_ge_u32_e32 vcc, v11, v13
	s_or_b64 s[2:3], vcc, s[2:3]
	s_andn2_b64 exec, exec, s[2:3]
	s_cbranch_execnz .LBB1059_13
; %bb.14:
	s_or_b64 exec, exec, s[2:3]
.LBB1059_15:
	s_or_b64 exec, exec, s[0:1]
	v_sub_u32_e32 v12, v12, v11
	v_add_u32_e32 v12, s9, v12
	v_cmp_ge_u32_e32 vcc, s9, v11
	v_cmp_ge_u32_e64 s[0:1], s11, v12
	s_or_b64 s[0:1], vcc, s[0:1]
	s_and_saveexec_b64 s[16:17], s[0:1]
	s_cbranch_execz .LBB1059_21
; %bb.16:
	v_cmp_gt_u32_e32 vcc, s9, v11
                                        ; implicit-def: $vgpr2_vgpr3
	s_and_saveexec_b64 s[0:1], vcc
	s_cbranch_execz .LBB1059_18
; %bb.17:
	v_lshlrev_b32_e32 v2, 3, v11
	ds_read_b64 v[2:3], v2
.LBB1059_18:
	s_or_b64 exec, exec, s[0:1]
	v_cmp_le_u32_e64 s[0:1], s11, v12
	v_cmp_gt_u32_e64 s[2:3], s11, v12
                                        ; implicit-def: $vgpr4_vgpr5
	s_and_saveexec_b64 s[4:5], s[2:3]
	s_cbranch_execz .LBB1059_20
; %bb.19:
	v_lshlrev_b32_e32 v4, 3, v12
	ds_read_b64 v[4:5], v4
.LBB1059_20:
	s_or_b64 exec, exec, s[4:5]
	s_waitcnt lgkmcnt(0)
	v_and_b32_e32 v7, s15, v5
	v_and_b32_e32 v6, s14, v4
	;; [unrolled: 1-line block ×4, first 2 shown]
	v_cmp_le_i64_e64 s[2:3], v[8:9], v[6:7]
	s_and_b64 s[2:3], vcc, s[2:3]
	s_or_b64 vcc, s[0:1], s[2:3]
	v_mov_b32_e32 v13, s11
	v_mov_b32_e32 v14, s9
	v_cndmask_b32_e32 v6, v12, v11, vcc
	v_cndmask_b32_e32 v7, v13, v14, vcc
	v_add_u32_e32 v8, 1, v6
	v_add_u32_e32 v6, -1, v7
	v_min_u32_e32 v6, v8, v6
	v_lshlrev_b32_e32 v6, 3, v6
	ds_read_b64 v[6:7], v6
	v_cndmask_b32_e32 v12, v8, v12, vcc
	v_cndmask_b32_e32 v11, v11, v8, vcc
	v_cmp_gt_u32_e64 s[2:3], s9, v11
	v_cmp_le_u32_e64 s[0:1], s11, v12
	s_waitcnt lgkmcnt(0)
	v_cndmask_b32_e32 v15, v7, v5, vcc
	v_cndmask_b32_e32 v16, v6, v4, vcc
	;; [unrolled: 1-line block ×4, first 2 shown]
	v_and_b32_e32 v7, s15, v15
	v_and_b32_e32 v6, s14, v16
	;; [unrolled: 1-line block ×4, first 2 shown]
	v_cmp_le_i64_e64 s[4:5], v[8:9], v[6:7]
	s_and_b64 s[2:3], s[2:3], s[4:5]
	s_or_b64 s[0:1], s[0:1], s[2:3]
	v_cndmask_b32_e64 v6, v12, v11, s[0:1]
	v_cndmask_b32_e64 v7, v13, v14, s[0:1]
	v_add_u32_e32 v8, 1, v6
	v_add_u32_e32 v6, -1, v7
	v_min_u32_e32 v6, v8, v6
	v_lshlrev_b32_e32 v6, 3, v6
	ds_read_b64 v[6:7], v6
	v_cndmask_b32_e32 v3, v5, v3, vcc
	v_cndmask_b32_e32 v2, v4, v2, vcc
	v_cndmask_b32_e64 v11, v11, v8, s[0:1]
	v_cndmask_b32_e64 v12, v8, v12, s[0:1]
	s_waitcnt lgkmcnt(0)
	v_cndmask_b32_e64 v19, v7, v15, s[0:1]
	v_cndmask_b32_e64 v20, v6, v16, s[0:1]
	;; [unrolled: 1-line block ×4, first 2 shown]
	v_and_b32_e32 v5, s15, v19
	v_and_b32_e32 v4, s14, v20
	;; [unrolled: 1-line block ×4, first 2 shown]
	v_cmp_gt_u32_e64 s[2:3], s9, v11
	v_cmp_le_i64_e64 s[4:5], v[6:7], v[4:5]
	v_cmp_le_u32_e32 vcc, s11, v12
	s_and_b64 s[2:3], s[2:3], s[4:5]
	s_or_b64 vcc, vcc, s[2:3]
	v_cndmask_b32_e32 v4, v12, v11, vcc
	v_cndmask_b32_e32 v5, v13, v14, vcc
	v_add_u32_e32 v13, 1, v4
	v_add_u32_e32 v4, -1, v5
	v_min_u32_e32 v4, v13, v4
	v_lshlrev_b32_e32 v4, 3, v4
	ds_read_b64 v[8:9], v4
	v_cndmask_b32_e64 v5, v15, v17, s[0:1]
	v_cndmask_b32_e64 v4, v16, v18, s[0:1]
	v_cndmask_b32_e32 v7, v19, v21, vcc
	v_cndmask_b32_e32 v6, v20, v22, vcc
	s_waitcnt lgkmcnt(0)
	v_cndmask_b32_e32 v14, v9, v19, vcc
	v_cndmask_b32_e32 v15, v8, v20, vcc
	v_cndmask_b32_e32 v16, v21, v9, vcc
	v_cndmask_b32_e32 v17, v22, v8, vcc
	v_cndmask_b32_e32 v8, v13, v12, vcc
	v_cndmask_b32_e32 v9, v11, v13, vcc
	v_cmp_le_u32_e32 vcc, s11, v8
	v_cmp_gt_u32_e64 s[0:1], s9, v9
	v_and_b32_e32 v9, s15, v14
	v_and_b32_e32 v8, s14, v15
	;; [unrolled: 1-line block ×4, first 2 shown]
	v_cmp_le_i64_e64 s[2:3], v[12:13], v[8:9]
	s_and_b64 s[0:1], s[0:1], s[2:3]
	s_or_b64 vcc, vcc, s[0:1]
	v_cndmask_b32_e32 v9, v14, v16, vcc
	v_cndmask_b32_e32 v8, v15, v17, vcc
.LBB1059_21:
	s_or_b64 exec, exec, s[16:17]
	v_and_b32_e32 v11, 0xf8, v0
	v_lshl_add_u32 v10, v10, 3, v11
	s_barrier
	s_barrier
	ds_write2_b64 v10, v[2:3], v[4:5] offset1:1
	ds_write2_b64 v10, v[6:7], v[8:9] offset0:2 offset1:3
	v_lshrrev_b32_e32 v2, 2, v0
	v_and_b32_e32 v2, 56, v2
	v_or_b32_e32 v12, 0x100, v0
	v_add_u32_e32 v13, v1, v2
	v_lshrrev_b32_e32 v2, 2, v12
	v_and_b32_e32 v2, 0x78, v2
	v_or_b32_e32 v11, 0x200, v0
	s_mov_b32 s11, 0
	v_add_u32_e32 v6, v1, v2
	v_lshrrev_b32_e32 v2, 2, v11
	s_lshl_b64 s[0:1], s[10:11], 3
	v_and_b32_e32 v2, 0xb8, v2
	v_or_b32_e32 v10, 0x300, v0
	s_add_u32 s0, s6, s0
	v_add_u32_e32 v7, v1, v2
	v_lshrrev_b32_e32 v2, 2, v10
	s_addc_u32 s1, s7, s1
	v_and_b32_e32 v2, 0xf8, v2
	v_add_u32_e32 v14, v1, v2
	v_mov_b32_e32 v3, s1
	v_add_co_u32_e32 v2, vcc, s0, v1
	v_addc_co_u32_e32 v3, vcc, 0, v3, vcc
	s_and_b64 vcc, exec, s[12:13]
	s_waitcnt lgkmcnt(0)
	s_cbranch_vccz .LBB1059_23
; %bb.22:
	s_barrier
	ds_read_b64 v[8:9], v13
	ds_read_b64 v[16:17], v6 offset:2048
	ds_read_b64 v[18:19], v7 offset:4096
	;; [unrolled: 1-line block ×3, first 2 shown]
	s_waitcnt lgkmcnt(3)
	global_store_dwordx2 v[2:3], v[8:9], off
	s_waitcnt lgkmcnt(2)
	global_store_dwordx2 v[2:3], v[16:17], off offset:2048
	v_add_co_u32_e32 v8, vcc, 0x1000, v2
	v_addc_co_u32_e32 v9, vcc, 0, v3, vcc
	s_waitcnt lgkmcnt(1)
	global_store_dwordx2 v[8:9], v[18:19], off
	s_mov_b64 s[0:1], -1
	s_cbranch_execz .LBB1059_24
	s_branch .LBB1059_29
.LBB1059_23:
	s_mov_b64 s[0:1], 0
                                        ; implicit-def: $vgpr4_vgpr5
.LBB1059_24:
	s_barrier
	s_waitcnt lgkmcnt(0)
	ds_read_b64 v[8:9], v6 offset:2048
	ds_read_b64 v[6:7], v7 offset:4096
	;; [unrolled: 1-line block ×3, first 2 shown]
	s_sub_i32 s2, s8, s10
	v_cmp_gt_u32_e32 vcc, s2, v0
	s_and_saveexec_b64 s[0:1], vcc
	s_cbranch_execnz .LBB1059_34
; %bb.25:
	s_or_b64 exec, exec, s[0:1]
	v_cmp_gt_u32_e32 vcc, s2, v12
	s_and_saveexec_b64 s[0:1], vcc
	s_cbranch_execnz .LBB1059_35
.LBB1059_26:
	s_or_b64 exec, exec, s[0:1]
	v_cmp_gt_u32_e32 vcc, s2, v11
	s_and_saveexec_b64 s[0:1], vcc
	s_cbranch_execz .LBB1059_28
.LBB1059_27:
	v_add_co_u32_e32 v0, vcc, 0x1000, v2
	v_addc_co_u32_e32 v1, vcc, 0, v3, vcc
	s_waitcnt lgkmcnt(1)
	global_store_dwordx2 v[0:1], v[6:7], off
.LBB1059_28:
	s_or_b64 exec, exec, s[0:1]
	v_cmp_gt_u32_e64 s[0:1], s2, v10
.LBB1059_29:
	s_and_saveexec_b64 s[2:3], s[0:1]
	s_cbranch_execz .LBB1059_31
; %bb.30:
	v_add_co_u32_e32 v0, vcc, 0x1000, v2
	v_addc_co_u32_e32 v1, vcc, 0, v3, vcc
	s_waitcnt lgkmcnt(0)
	global_store_dwordx2 v[0:1], v[4:5], off offset:2048
.LBB1059_31:
	s_endpgm
.LBB1059_32:
	s_waitcnt vmcnt(3)
	v_mov_b32_e32 v2, s20
	s_waitcnt vmcnt(2)
	v_add_co_u32_e32 v4, vcc, s19, v1
	v_mov_b32_e32 v3, 0
	v_addc_co_u32_e32 v5, vcc, 0, v2, vcc
	v_subrev_u32_e32 v2, s9, v0
	v_lshlrev_b64 v[2:3], 3, v[2:3]
	s_waitcnt vmcnt(1)
	v_mov_b32_e32 v6, s18
	v_add_co_u32_e32 v2, vcc, s17, v2
	v_addc_co_u32_e32 v3, vcc, v6, v3, vcc
	v_cmp_gt_u32_e32 vcc, s9, v0
	v_cndmask_b32_e32 v3, v3, v5, vcc
	v_cndmask_b32_e32 v2, v2, v4, vcc
	global_load_dwordx2 v[2:3], v[2:3], off
	s_or_b64 exec, exec, s[0:1]
	v_cmp_gt_u32_e32 vcc, s11, v12
	s_and_saveexec_b64 s[2:3], vcc
	s_cbranch_execz .LBB1059_6
.LBB1059_33:
	v_mov_b32_e32 v13, 0
	s_waitcnt vmcnt(2)
	v_lshlrev_b64 v[4:5], 3, v[12:13]
	v_mov_b32_e32 v11, s20
	v_add_co_u32_e32 v15, vcc, s19, v4
	v_addc_co_u32_e32 v11, vcc, v11, v5, vcc
	v_cmp_gt_u32_e32 vcc, s9, v12
	v_subrev_u32_e32 v12, s9, v12
	v_lshlrev_b64 v[4:5], 3, v[12:13]
	v_mov_b32_e32 v12, s18
	v_add_co_u32_e64 v4, s[0:1], s17, v4
	v_addc_co_u32_e64 v5, s[0:1], v12, v5, s[0:1]
	v_cndmask_b32_e32 v5, v5, v11, vcc
	v_cndmask_b32_e32 v4, v4, v15, vcc
	global_load_dwordx2 v[4:5], v[4:5], off
	s_or_b64 exec, exec, s[2:3]
	v_cmp_gt_u32_e32 vcc, s11, v10
	s_and_saveexec_b64 s[0:1], vcc
	s_cbranch_execnz .LBB1059_7
	s_branch .LBB1059_8
.LBB1059_34:
	ds_read_b64 v[0:1], v13
	s_waitcnt lgkmcnt(0)
	global_store_dwordx2 v[2:3], v[0:1], off
	s_or_b64 exec, exec, s[0:1]
	v_cmp_gt_u32_e32 vcc, s2, v12
	s_and_saveexec_b64 s[0:1], vcc
	s_cbranch_execz .LBB1059_26
.LBB1059_35:
	s_waitcnt lgkmcnt(2)
	global_store_dwordx2 v[2:3], v[8:9], off offset:2048
	s_or_b64 exec, exec, s[0:1]
	v_cmp_gt_u32_e32 vcc, s2, v11
	s_and_saveexec_b64 s[0:1], vcc
	s_cbranch_execnz .LBB1059_27
	s_branch .LBB1059_28
	.section	.rodata,"a",@progbits
	.p2align	6, 0x0
	.amdhsa_kernel _ZN7rocprim17ROCPRIM_400000_NS6detail17trampoline_kernelINS0_14default_configENS1_38merge_sort_block_merge_config_selectorIxNS0_10empty_typeEEEZZNS1_27merge_sort_block_merge_implIS3_PxPS5_jNS1_19radix_merge_compareILb0ELb1ExNS0_19identity_decomposerEEEEE10hipError_tT0_T1_T2_jT3_P12ihipStream_tbPNSt15iterator_traitsISE_E10value_typeEPNSK_ISF_E10value_typeEPSG_NS1_7vsmem_tEENKUlT_SE_SF_SG_E_clIS8_S8_S9_S9_EESD_ST_SE_SF_SG_EUlST_E0_NS1_11comp_targetILNS1_3genE4ELNS1_11target_archE910ELNS1_3gpuE8ELNS1_3repE0EEENS1_38merge_mergepath_config_static_selectorELNS0_4arch9wavefront6targetE1EEEvSF_
		.amdhsa_group_segment_fixed_size 8448
		.amdhsa_private_segment_fixed_size 0
		.amdhsa_kernarg_size 328
		.amdhsa_user_sgpr_count 6
		.amdhsa_user_sgpr_private_segment_buffer 1
		.amdhsa_user_sgpr_dispatch_ptr 0
		.amdhsa_user_sgpr_queue_ptr 0
		.amdhsa_user_sgpr_kernarg_segment_ptr 1
		.amdhsa_user_sgpr_dispatch_id 0
		.amdhsa_user_sgpr_flat_scratch_init 0
		.amdhsa_user_sgpr_kernarg_preload_length 0
		.amdhsa_user_sgpr_kernarg_preload_offset 0
		.amdhsa_user_sgpr_private_segment_size 0
		.amdhsa_uses_dynamic_stack 0
		.amdhsa_system_sgpr_private_segment_wavefront_offset 0
		.amdhsa_system_sgpr_workgroup_id_x 1
		.amdhsa_system_sgpr_workgroup_id_y 1
		.amdhsa_system_sgpr_workgroup_id_z 1
		.amdhsa_system_sgpr_workgroup_info 0
		.amdhsa_system_vgpr_workitem_id 0
		.amdhsa_next_free_vgpr 23
		.amdhsa_next_free_sgpr 26
		.amdhsa_accum_offset 24
		.amdhsa_reserve_vcc 1
		.amdhsa_reserve_flat_scratch 0
		.amdhsa_float_round_mode_32 0
		.amdhsa_float_round_mode_16_64 0
		.amdhsa_float_denorm_mode_32 3
		.amdhsa_float_denorm_mode_16_64 3
		.amdhsa_dx10_clamp 1
		.amdhsa_ieee_mode 1
		.amdhsa_fp16_overflow 0
		.amdhsa_tg_split 0
		.amdhsa_exception_fp_ieee_invalid_op 0
		.amdhsa_exception_fp_denorm_src 0
		.amdhsa_exception_fp_ieee_div_zero 0
		.amdhsa_exception_fp_ieee_overflow 0
		.amdhsa_exception_fp_ieee_underflow 0
		.amdhsa_exception_fp_ieee_inexact 0
		.amdhsa_exception_int_div_zero 0
	.end_amdhsa_kernel
	.section	.text._ZN7rocprim17ROCPRIM_400000_NS6detail17trampoline_kernelINS0_14default_configENS1_38merge_sort_block_merge_config_selectorIxNS0_10empty_typeEEEZZNS1_27merge_sort_block_merge_implIS3_PxPS5_jNS1_19radix_merge_compareILb0ELb1ExNS0_19identity_decomposerEEEEE10hipError_tT0_T1_T2_jT3_P12ihipStream_tbPNSt15iterator_traitsISE_E10value_typeEPNSK_ISF_E10value_typeEPSG_NS1_7vsmem_tEENKUlT_SE_SF_SG_E_clIS8_S8_S9_S9_EESD_ST_SE_SF_SG_EUlST_E0_NS1_11comp_targetILNS1_3genE4ELNS1_11target_archE910ELNS1_3gpuE8ELNS1_3repE0EEENS1_38merge_mergepath_config_static_selectorELNS0_4arch9wavefront6targetE1EEEvSF_,"axG",@progbits,_ZN7rocprim17ROCPRIM_400000_NS6detail17trampoline_kernelINS0_14default_configENS1_38merge_sort_block_merge_config_selectorIxNS0_10empty_typeEEEZZNS1_27merge_sort_block_merge_implIS3_PxPS5_jNS1_19radix_merge_compareILb0ELb1ExNS0_19identity_decomposerEEEEE10hipError_tT0_T1_T2_jT3_P12ihipStream_tbPNSt15iterator_traitsISE_E10value_typeEPNSK_ISF_E10value_typeEPSG_NS1_7vsmem_tEENKUlT_SE_SF_SG_E_clIS8_S8_S9_S9_EESD_ST_SE_SF_SG_EUlST_E0_NS1_11comp_targetILNS1_3genE4ELNS1_11target_archE910ELNS1_3gpuE8ELNS1_3repE0EEENS1_38merge_mergepath_config_static_selectorELNS0_4arch9wavefront6targetE1EEEvSF_,comdat
.Lfunc_end1059:
	.size	_ZN7rocprim17ROCPRIM_400000_NS6detail17trampoline_kernelINS0_14default_configENS1_38merge_sort_block_merge_config_selectorIxNS0_10empty_typeEEEZZNS1_27merge_sort_block_merge_implIS3_PxPS5_jNS1_19radix_merge_compareILb0ELb1ExNS0_19identity_decomposerEEEEE10hipError_tT0_T1_T2_jT3_P12ihipStream_tbPNSt15iterator_traitsISE_E10value_typeEPNSK_ISF_E10value_typeEPSG_NS1_7vsmem_tEENKUlT_SE_SF_SG_E_clIS8_S8_S9_S9_EESD_ST_SE_SF_SG_EUlST_E0_NS1_11comp_targetILNS1_3genE4ELNS1_11target_archE910ELNS1_3gpuE8ELNS1_3repE0EEENS1_38merge_mergepath_config_static_selectorELNS0_4arch9wavefront6targetE1EEEvSF_, .Lfunc_end1059-_ZN7rocprim17ROCPRIM_400000_NS6detail17trampoline_kernelINS0_14default_configENS1_38merge_sort_block_merge_config_selectorIxNS0_10empty_typeEEEZZNS1_27merge_sort_block_merge_implIS3_PxPS5_jNS1_19radix_merge_compareILb0ELb1ExNS0_19identity_decomposerEEEEE10hipError_tT0_T1_T2_jT3_P12ihipStream_tbPNSt15iterator_traitsISE_E10value_typeEPNSK_ISF_E10value_typeEPSG_NS1_7vsmem_tEENKUlT_SE_SF_SG_E_clIS8_S8_S9_S9_EESD_ST_SE_SF_SG_EUlST_E0_NS1_11comp_targetILNS1_3genE4ELNS1_11target_archE910ELNS1_3gpuE8ELNS1_3repE0EEENS1_38merge_mergepath_config_static_selectorELNS0_4arch9wavefront6targetE1EEEvSF_
                                        ; -- End function
	.section	.AMDGPU.csdata,"",@progbits
; Kernel info:
; codeLenInByte = 2284
; NumSgprs: 30
; NumVgprs: 23
; NumAgprs: 0
; TotalNumVgprs: 23
; ScratchSize: 0
; MemoryBound: 0
; FloatMode: 240
; IeeeMode: 1
; LDSByteSize: 8448 bytes/workgroup (compile time only)
; SGPRBlocks: 3
; VGPRBlocks: 2
; NumSGPRsForWavesPerEU: 30
; NumVGPRsForWavesPerEU: 23
; AccumOffset: 24
; Occupancy: 7
; WaveLimiterHint : 1
; COMPUTE_PGM_RSRC2:SCRATCH_EN: 0
; COMPUTE_PGM_RSRC2:USER_SGPR: 6
; COMPUTE_PGM_RSRC2:TRAP_HANDLER: 0
; COMPUTE_PGM_RSRC2:TGID_X_EN: 1
; COMPUTE_PGM_RSRC2:TGID_Y_EN: 1
; COMPUTE_PGM_RSRC2:TGID_Z_EN: 1
; COMPUTE_PGM_RSRC2:TIDIG_COMP_CNT: 0
; COMPUTE_PGM_RSRC3_GFX90A:ACCUM_OFFSET: 5
; COMPUTE_PGM_RSRC3_GFX90A:TG_SPLIT: 0
	.section	.text._ZN7rocprim17ROCPRIM_400000_NS6detail17trampoline_kernelINS0_14default_configENS1_38merge_sort_block_merge_config_selectorIxNS0_10empty_typeEEEZZNS1_27merge_sort_block_merge_implIS3_PxPS5_jNS1_19radix_merge_compareILb0ELb1ExNS0_19identity_decomposerEEEEE10hipError_tT0_T1_T2_jT3_P12ihipStream_tbPNSt15iterator_traitsISE_E10value_typeEPNSK_ISF_E10value_typeEPSG_NS1_7vsmem_tEENKUlT_SE_SF_SG_E_clIS8_S8_S9_S9_EESD_ST_SE_SF_SG_EUlST_E0_NS1_11comp_targetILNS1_3genE3ELNS1_11target_archE908ELNS1_3gpuE7ELNS1_3repE0EEENS1_38merge_mergepath_config_static_selectorELNS0_4arch9wavefront6targetE1EEEvSF_,"axG",@progbits,_ZN7rocprim17ROCPRIM_400000_NS6detail17trampoline_kernelINS0_14default_configENS1_38merge_sort_block_merge_config_selectorIxNS0_10empty_typeEEEZZNS1_27merge_sort_block_merge_implIS3_PxPS5_jNS1_19radix_merge_compareILb0ELb1ExNS0_19identity_decomposerEEEEE10hipError_tT0_T1_T2_jT3_P12ihipStream_tbPNSt15iterator_traitsISE_E10value_typeEPNSK_ISF_E10value_typeEPSG_NS1_7vsmem_tEENKUlT_SE_SF_SG_E_clIS8_S8_S9_S9_EESD_ST_SE_SF_SG_EUlST_E0_NS1_11comp_targetILNS1_3genE3ELNS1_11target_archE908ELNS1_3gpuE7ELNS1_3repE0EEENS1_38merge_mergepath_config_static_selectorELNS0_4arch9wavefront6targetE1EEEvSF_,comdat
	.protected	_ZN7rocprim17ROCPRIM_400000_NS6detail17trampoline_kernelINS0_14default_configENS1_38merge_sort_block_merge_config_selectorIxNS0_10empty_typeEEEZZNS1_27merge_sort_block_merge_implIS3_PxPS5_jNS1_19radix_merge_compareILb0ELb1ExNS0_19identity_decomposerEEEEE10hipError_tT0_T1_T2_jT3_P12ihipStream_tbPNSt15iterator_traitsISE_E10value_typeEPNSK_ISF_E10value_typeEPSG_NS1_7vsmem_tEENKUlT_SE_SF_SG_E_clIS8_S8_S9_S9_EESD_ST_SE_SF_SG_EUlST_E0_NS1_11comp_targetILNS1_3genE3ELNS1_11target_archE908ELNS1_3gpuE7ELNS1_3repE0EEENS1_38merge_mergepath_config_static_selectorELNS0_4arch9wavefront6targetE1EEEvSF_ ; -- Begin function _ZN7rocprim17ROCPRIM_400000_NS6detail17trampoline_kernelINS0_14default_configENS1_38merge_sort_block_merge_config_selectorIxNS0_10empty_typeEEEZZNS1_27merge_sort_block_merge_implIS3_PxPS5_jNS1_19radix_merge_compareILb0ELb1ExNS0_19identity_decomposerEEEEE10hipError_tT0_T1_T2_jT3_P12ihipStream_tbPNSt15iterator_traitsISE_E10value_typeEPNSK_ISF_E10value_typeEPSG_NS1_7vsmem_tEENKUlT_SE_SF_SG_E_clIS8_S8_S9_S9_EESD_ST_SE_SF_SG_EUlST_E0_NS1_11comp_targetILNS1_3genE3ELNS1_11target_archE908ELNS1_3gpuE7ELNS1_3repE0EEENS1_38merge_mergepath_config_static_selectorELNS0_4arch9wavefront6targetE1EEEvSF_
	.globl	_ZN7rocprim17ROCPRIM_400000_NS6detail17trampoline_kernelINS0_14default_configENS1_38merge_sort_block_merge_config_selectorIxNS0_10empty_typeEEEZZNS1_27merge_sort_block_merge_implIS3_PxPS5_jNS1_19radix_merge_compareILb0ELb1ExNS0_19identity_decomposerEEEEE10hipError_tT0_T1_T2_jT3_P12ihipStream_tbPNSt15iterator_traitsISE_E10value_typeEPNSK_ISF_E10value_typeEPSG_NS1_7vsmem_tEENKUlT_SE_SF_SG_E_clIS8_S8_S9_S9_EESD_ST_SE_SF_SG_EUlST_E0_NS1_11comp_targetILNS1_3genE3ELNS1_11target_archE908ELNS1_3gpuE7ELNS1_3repE0EEENS1_38merge_mergepath_config_static_selectorELNS0_4arch9wavefront6targetE1EEEvSF_
	.p2align	8
	.type	_ZN7rocprim17ROCPRIM_400000_NS6detail17trampoline_kernelINS0_14default_configENS1_38merge_sort_block_merge_config_selectorIxNS0_10empty_typeEEEZZNS1_27merge_sort_block_merge_implIS3_PxPS5_jNS1_19radix_merge_compareILb0ELb1ExNS0_19identity_decomposerEEEEE10hipError_tT0_T1_T2_jT3_P12ihipStream_tbPNSt15iterator_traitsISE_E10value_typeEPNSK_ISF_E10value_typeEPSG_NS1_7vsmem_tEENKUlT_SE_SF_SG_E_clIS8_S8_S9_S9_EESD_ST_SE_SF_SG_EUlST_E0_NS1_11comp_targetILNS1_3genE3ELNS1_11target_archE908ELNS1_3gpuE7ELNS1_3repE0EEENS1_38merge_mergepath_config_static_selectorELNS0_4arch9wavefront6targetE1EEEvSF_,@function
_ZN7rocprim17ROCPRIM_400000_NS6detail17trampoline_kernelINS0_14default_configENS1_38merge_sort_block_merge_config_selectorIxNS0_10empty_typeEEEZZNS1_27merge_sort_block_merge_implIS3_PxPS5_jNS1_19radix_merge_compareILb0ELb1ExNS0_19identity_decomposerEEEEE10hipError_tT0_T1_T2_jT3_P12ihipStream_tbPNSt15iterator_traitsISE_E10value_typeEPNSK_ISF_E10value_typeEPSG_NS1_7vsmem_tEENKUlT_SE_SF_SG_E_clIS8_S8_S9_S9_EESD_ST_SE_SF_SG_EUlST_E0_NS1_11comp_targetILNS1_3genE3ELNS1_11target_archE908ELNS1_3gpuE7ELNS1_3repE0EEENS1_38merge_mergepath_config_static_selectorELNS0_4arch9wavefront6targetE1EEEvSF_: ; @_ZN7rocprim17ROCPRIM_400000_NS6detail17trampoline_kernelINS0_14default_configENS1_38merge_sort_block_merge_config_selectorIxNS0_10empty_typeEEEZZNS1_27merge_sort_block_merge_implIS3_PxPS5_jNS1_19radix_merge_compareILb0ELb1ExNS0_19identity_decomposerEEEEE10hipError_tT0_T1_T2_jT3_P12ihipStream_tbPNSt15iterator_traitsISE_E10value_typeEPNSK_ISF_E10value_typeEPSG_NS1_7vsmem_tEENKUlT_SE_SF_SG_E_clIS8_S8_S9_S9_EESD_ST_SE_SF_SG_EUlST_E0_NS1_11comp_targetILNS1_3genE3ELNS1_11target_archE908ELNS1_3gpuE7ELNS1_3repE0EEENS1_38merge_mergepath_config_static_selectorELNS0_4arch9wavefront6targetE1EEEvSF_
; %bb.0:
	.section	.rodata,"a",@progbits
	.p2align	6, 0x0
	.amdhsa_kernel _ZN7rocprim17ROCPRIM_400000_NS6detail17trampoline_kernelINS0_14default_configENS1_38merge_sort_block_merge_config_selectorIxNS0_10empty_typeEEEZZNS1_27merge_sort_block_merge_implIS3_PxPS5_jNS1_19radix_merge_compareILb0ELb1ExNS0_19identity_decomposerEEEEE10hipError_tT0_T1_T2_jT3_P12ihipStream_tbPNSt15iterator_traitsISE_E10value_typeEPNSK_ISF_E10value_typeEPSG_NS1_7vsmem_tEENKUlT_SE_SF_SG_E_clIS8_S8_S9_S9_EESD_ST_SE_SF_SG_EUlST_E0_NS1_11comp_targetILNS1_3genE3ELNS1_11target_archE908ELNS1_3gpuE7ELNS1_3repE0EEENS1_38merge_mergepath_config_static_selectorELNS0_4arch9wavefront6targetE1EEEvSF_
		.amdhsa_group_segment_fixed_size 0
		.amdhsa_private_segment_fixed_size 0
		.amdhsa_kernarg_size 72
		.amdhsa_user_sgpr_count 6
		.amdhsa_user_sgpr_private_segment_buffer 1
		.amdhsa_user_sgpr_dispatch_ptr 0
		.amdhsa_user_sgpr_queue_ptr 0
		.amdhsa_user_sgpr_kernarg_segment_ptr 1
		.amdhsa_user_sgpr_dispatch_id 0
		.amdhsa_user_sgpr_flat_scratch_init 0
		.amdhsa_user_sgpr_kernarg_preload_length 0
		.amdhsa_user_sgpr_kernarg_preload_offset 0
		.amdhsa_user_sgpr_private_segment_size 0
		.amdhsa_uses_dynamic_stack 0
		.amdhsa_system_sgpr_private_segment_wavefront_offset 0
		.amdhsa_system_sgpr_workgroup_id_x 1
		.amdhsa_system_sgpr_workgroup_id_y 0
		.amdhsa_system_sgpr_workgroup_id_z 0
		.amdhsa_system_sgpr_workgroup_info 0
		.amdhsa_system_vgpr_workitem_id 0
		.amdhsa_next_free_vgpr 1
		.amdhsa_next_free_sgpr 0
		.amdhsa_accum_offset 4
		.amdhsa_reserve_vcc 0
		.amdhsa_reserve_flat_scratch 0
		.amdhsa_float_round_mode_32 0
		.amdhsa_float_round_mode_16_64 0
		.amdhsa_float_denorm_mode_32 3
		.amdhsa_float_denorm_mode_16_64 3
		.amdhsa_dx10_clamp 1
		.amdhsa_ieee_mode 1
		.amdhsa_fp16_overflow 0
		.amdhsa_tg_split 0
		.amdhsa_exception_fp_ieee_invalid_op 0
		.amdhsa_exception_fp_denorm_src 0
		.amdhsa_exception_fp_ieee_div_zero 0
		.amdhsa_exception_fp_ieee_overflow 0
		.amdhsa_exception_fp_ieee_underflow 0
		.amdhsa_exception_fp_ieee_inexact 0
		.amdhsa_exception_int_div_zero 0
	.end_amdhsa_kernel
	.section	.text._ZN7rocprim17ROCPRIM_400000_NS6detail17trampoline_kernelINS0_14default_configENS1_38merge_sort_block_merge_config_selectorIxNS0_10empty_typeEEEZZNS1_27merge_sort_block_merge_implIS3_PxPS5_jNS1_19radix_merge_compareILb0ELb1ExNS0_19identity_decomposerEEEEE10hipError_tT0_T1_T2_jT3_P12ihipStream_tbPNSt15iterator_traitsISE_E10value_typeEPNSK_ISF_E10value_typeEPSG_NS1_7vsmem_tEENKUlT_SE_SF_SG_E_clIS8_S8_S9_S9_EESD_ST_SE_SF_SG_EUlST_E0_NS1_11comp_targetILNS1_3genE3ELNS1_11target_archE908ELNS1_3gpuE7ELNS1_3repE0EEENS1_38merge_mergepath_config_static_selectorELNS0_4arch9wavefront6targetE1EEEvSF_,"axG",@progbits,_ZN7rocprim17ROCPRIM_400000_NS6detail17trampoline_kernelINS0_14default_configENS1_38merge_sort_block_merge_config_selectorIxNS0_10empty_typeEEEZZNS1_27merge_sort_block_merge_implIS3_PxPS5_jNS1_19radix_merge_compareILb0ELb1ExNS0_19identity_decomposerEEEEE10hipError_tT0_T1_T2_jT3_P12ihipStream_tbPNSt15iterator_traitsISE_E10value_typeEPNSK_ISF_E10value_typeEPSG_NS1_7vsmem_tEENKUlT_SE_SF_SG_E_clIS8_S8_S9_S9_EESD_ST_SE_SF_SG_EUlST_E0_NS1_11comp_targetILNS1_3genE3ELNS1_11target_archE908ELNS1_3gpuE7ELNS1_3repE0EEENS1_38merge_mergepath_config_static_selectorELNS0_4arch9wavefront6targetE1EEEvSF_,comdat
.Lfunc_end1060:
	.size	_ZN7rocprim17ROCPRIM_400000_NS6detail17trampoline_kernelINS0_14default_configENS1_38merge_sort_block_merge_config_selectorIxNS0_10empty_typeEEEZZNS1_27merge_sort_block_merge_implIS3_PxPS5_jNS1_19radix_merge_compareILb0ELb1ExNS0_19identity_decomposerEEEEE10hipError_tT0_T1_T2_jT3_P12ihipStream_tbPNSt15iterator_traitsISE_E10value_typeEPNSK_ISF_E10value_typeEPSG_NS1_7vsmem_tEENKUlT_SE_SF_SG_E_clIS8_S8_S9_S9_EESD_ST_SE_SF_SG_EUlST_E0_NS1_11comp_targetILNS1_3genE3ELNS1_11target_archE908ELNS1_3gpuE7ELNS1_3repE0EEENS1_38merge_mergepath_config_static_selectorELNS0_4arch9wavefront6targetE1EEEvSF_, .Lfunc_end1060-_ZN7rocprim17ROCPRIM_400000_NS6detail17trampoline_kernelINS0_14default_configENS1_38merge_sort_block_merge_config_selectorIxNS0_10empty_typeEEEZZNS1_27merge_sort_block_merge_implIS3_PxPS5_jNS1_19radix_merge_compareILb0ELb1ExNS0_19identity_decomposerEEEEE10hipError_tT0_T1_T2_jT3_P12ihipStream_tbPNSt15iterator_traitsISE_E10value_typeEPNSK_ISF_E10value_typeEPSG_NS1_7vsmem_tEENKUlT_SE_SF_SG_E_clIS8_S8_S9_S9_EESD_ST_SE_SF_SG_EUlST_E0_NS1_11comp_targetILNS1_3genE3ELNS1_11target_archE908ELNS1_3gpuE7ELNS1_3repE0EEENS1_38merge_mergepath_config_static_selectorELNS0_4arch9wavefront6targetE1EEEvSF_
                                        ; -- End function
	.section	.AMDGPU.csdata,"",@progbits
; Kernel info:
; codeLenInByte = 0
; NumSgprs: 4
; NumVgprs: 0
; NumAgprs: 0
; TotalNumVgprs: 0
; ScratchSize: 0
; MemoryBound: 0
; FloatMode: 240
; IeeeMode: 1
; LDSByteSize: 0 bytes/workgroup (compile time only)
; SGPRBlocks: 0
; VGPRBlocks: 0
; NumSGPRsForWavesPerEU: 4
; NumVGPRsForWavesPerEU: 1
; AccumOffset: 4
; Occupancy: 8
; WaveLimiterHint : 0
; COMPUTE_PGM_RSRC2:SCRATCH_EN: 0
; COMPUTE_PGM_RSRC2:USER_SGPR: 6
; COMPUTE_PGM_RSRC2:TRAP_HANDLER: 0
; COMPUTE_PGM_RSRC2:TGID_X_EN: 1
; COMPUTE_PGM_RSRC2:TGID_Y_EN: 0
; COMPUTE_PGM_RSRC2:TGID_Z_EN: 0
; COMPUTE_PGM_RSRC2:TIDIG_COMP_CNT: 0
; COMPUTE_PGM_RSRC3_GFX90A:ACCUM_OFFSET: 0
; COMPUTE_PGM_RSRC3_GFX90A:TG_SPLIT: 0
	.section	.text._ZN7rocprim17ROCPRIM_400000_NS6detail17trampoline_kernelINS0_14default_configENS1_38merge_sort_block_merge_config_selectorIxNS0_10empty_typeEEEZZNS1_27merge_sort_block_merge_implIS3_PxPS5_jNS1_19radix_merge_compareILb0ELb1ExNS0_19identity_decomposerEEEEE10hipError_tT0_T1_T2_jT3_P12ihipStream_tbPNSt15iterator_traitsISE_E10value_typeEPNSK_ISF_E10value_typeEPSG_NS1_7vsmem_tEENKUlT_SE_SF_SG_E_clIS8_S8_S9_S9_EESD_ST_SE_SF_SG_EUlST_E0_NS1_11comp_targetILNS1_3genE2ELNS1_11target_archE906ELNS1_3gpuE6ELNS1_3repE0EEENS1_38merge_mergepath_config_static_selectorELNS0_4arch9wavefront6targetE1EEEvSF_,"axG",@progbits,_ZN7rocprim17ROCPRIM_400000_NS6detail17trampoline_kernelINS0_14default_configENS1_38merge_sort_block_merge_config_selectorIxNS0_10empty_typeEEEZZNS1_27merge_sort_block_merge_implIS3_PxPS5_jNS1_19radix_merge_compareILb0ELb1ExNS0_19identity_decomposerEEEEE10hipError_tT0_T1_T2_jT3_P12ihipStream_tbPNSt15iterator_traitsISE_E10value_typeEPNSK_ISF_E10value_typeEPSG_NS1_7vsmem_tEENKUlT_SE_SF_SG_E_clIS8_S8_S9_S9_EESD_ST_SE_SF_SG_EUlST_E0_NS1_11comp_targetILNS1_3genE2ELNS1_11target_archE906ELNS1_3gpuE6ELNS1_3repE0EEENS1_38merge_mergepath_config_static_selectorELNS0_4arch9wavefront6targetE1EEEvSF_,comdat
	.protected	_ZN7rocprim17ROCPRIM_400000_NS6detail17trampoline_kernelINS0_14default_configENS1_38merge_sort_block_merge_config_selectorIxNS0_10empty_typeEEEZZNS1_27merge_sort_block_merge_implIS3_PxPS5_jNS1_19radix_merge_compareILb0ELb1ExNS0_19identity_decomposerEEEEE10hipError_tT0_T1_T2_jT3_P12ihipStream_tbPNSt15iterator_traitsISE_E10value_typeEPNSK_ISF_E10value_typeEPSG_NS1_7vsmem_tEENKUlT_SE_SF_SG_E_clIS8_S8_S9_S9_EESD_ST_SE_SF_SG_EUlST_E0_NS1_11comp_targetILNS1_3genE2ELNS1_11target_archE906ELNS1_3gpuE6ELNS1_3repE0EEENS1_38merge_mergepath_config_static_selectorELNS0_4arch9wavefront6targetE1EEEvSF_ ; -- Begin function _ZN7rocprim17ROCPRIM_400000_NS6detail17trampoline_kernelINS0_14default_configENS1_38merge_sort_block_merge_config_selectorIxNS0_10empty_typeEEEZZNS1_27merge_sort_block_merge_implIS3_PxPS5_jNS1_19radix_merge_compareILb0ELb1ExNS0_19identity_decomposerEEEEE10hipError_tT0_T1_T2_jT3_P12ihipStream_tbPNSt15iterator_traitsISE_E10value_typeEPNSK_ISF_E10value_typeEPSG_NS1_7vsmem_tEENKUlT_SE_SF_SG_E_clIS8_S8_S9_S9_EESD_ST_SE_SF_SG_EUlST_E0_NS1_11comp_targetILNS1_3genE2ELNS1_11target_archE906ELNS1_3gpuE6ELNS1_3repE0EEENS1_38merge_mergepath_config_static_selectorELNS0_4arch9wavefront6targetE1EEEvSF_
	.globl	_ZN7rocprim17ROCPRIM_400000_NS6detail17trampoline_kernelINS0_14default_configENS1_38merge_sort_block_merge_config_selectorIxNS0_10empty_typeEEEZZNS1_27merge_sort_block_merge_implIS3_PxPS5_jNS1_19radix_merge_compareILb0ELb1ExNS0_19identity_decomposerEEEEE10hipError_tT0_T1_T2_jT3_P12ihipStream_tbPNSt15iterator_traitsISE_E10value_typeEPNSK_ISF_E10value_typeEPSG_NS1_7vsmem_tEENKUlT_SE_SF_SG_E_clIS8_S8_S9_S9_EESD_ST_SE_SF_SG_EUlST_E0_NS1_11comp_targetILNS1_3genE2ELNS1_11target_archE906ELNS1_3gpuE6ELNS1_3repE0EEENS1_38merge_mergepath_config_static_selectorELNS0_4arch9wavefront6targetE1EEEvSF_
	.p2align	8
	.type	_ZN7rocprim17ROCPRIM_400000_NS6detail17trampoline_kernelINS0_14default_configENS1_38merge_sort_block_merge_config_selectorIxNS0_10empty_typeEEEZZNS1_27merge_sort_block_merge_implIS3_PxPS5_jNS1_19radix_merge_compareILb0ELb1ExNS0_19identity_decomposerEEEEE10hipError_tT0_T1_T2_jT3_P12ihipStream_tbPNSt15iterator_traitsISE_E10value_typeEPNSK_ISF_E10value_typeEPSG_NS1_7vsmem_tEENKUlT_SE_SF_SG_E_clIS8_S8_S9_S9_EESD_ST_SE_SF_SG_EUlST_E0_NS1_11comp_targetILNS1_3genE2ELNS1_11target_archE906ELNS1_3gpuE6ELNS1_3repE0EEENS1_38merge_mergepath_config_static_selectorELNS0_4arch9wavefront6targetE1EEEvSF_,@function
_ZN7rocprim17ROCPRIM_400000_NS6detail17trampoline_kernelINS0_14default_configENS1_38merge_sort_block_merge_config_selectorIxNS0_10empty_typeEEEZZNS1_27merge_sort_block_merge_implIS3_PxPS5_jNS1_19radix_merge_compareILb0ELb1ExNS0_19identity_decomposerEEEEE10hipError_tT0_T1_T2_jT3_P12ihipStream_tbPNSt15iterator_traitsISE_E10value_typeEPNSK_ISF_E10value_typeEPSG_NS1_7vsmem_tEENKUlT_SE_SF_SG_E_clIS8_S8_S9_S9_EESD_ST_SE_SF_SG_EUlST_E0_NS1_11comp_targetILNS1_3genE2ELNS1_11target_archE906ELNS1_3gpuE6ELNS1_3repE0EEENS1_38merge_mergepath_config_static_selectorELNS0_4arch9wavefront6targetE1EEEvSF_: ; @_ZN7rocprim17ROCPRIM_400000_NS6detail17trampoline_kernelINS0_14default_configENS1_38merge_sort_block_merge_config_selectorIxNS0_10empty_typeEEEZZNS1_27merge_sort_block_merge_implIS3_PxPS5_jNS1_19radix_merge_compareILb0ELb1ExNS0_19identity_decomposerEEEEE10hipError_tT0_T1_T2_jT3_P12ihipStream_tbPNSt15iterator_traitsISE_E10value_typeEPNSK_ISF_E10value_typeEPSG_NS1_7vsmem_tEENKUlT_SE_SF_SG_E_clIS8_S8_S9_S9_EESD_ST_SE_SF_SG_EUlST_E0_NS1_11comp_targetILNS1_3genE2ELNS1_11target_archE906ELNS1_3gpuE6ELNS1_3repE0EEENS1_38merge_mergepath_config_static_selectorELNS0_4arch9wavefront6targetE1EEEvSF_
; %bb.0:
	.section	.rodata,"a",@progbits
	.p2align	6, 0x0
	.amdhsa_kernel _ZN7rocprim17ROCPRIM_400000_NS6detail17trampoline_kernelINS0_14default_configENS1_38merge_sort_block_merge_config_selectorIxNS0_10empty_typeEEEZZNS1_27merge_sort_block_merge_implIS3_PxPS5_jNS1_19radix_merge_compareILb0ELb1ExNS0_19identity_decomposerEEEEE10hipError_tT0_T1_T2_jT3_P12ihipStream_tbPNSt15iterator_traitsISE_E10value_typeEPNSK_ISF_E10value_typeEPSG_NS1_7vsmem_tEENKUlT_SE_SF_SG_E_clIS8_S8_S9_S9_EESD_ST_SE_SF_SG_EUlST_E0_NS1_11comp_targetILNS1_3genE2ELNS1_11target_archE906ELNS1_3gpuE6ELNS1_3repE0EEENS1_38merge_mergepath_config_static_selectorELNS0_4arch9wavefront6targetE1EEEvSF_
		.amdhsa_group_segment_fixed_size 0
		.amdhsa_private_segment_fixed_size 0
		.amdhsa_kernarg_size 72
		.amdhsa_user_sgpr_count 6
		.amdhsa_user_sgpr_private_segment_buffer 1
		.amdhsa_user_sgpr_dispatch_ptr 0
		.amdhsa_user_sgpr_queue_ptr 0
		.amdhsa_user_sgpr_kernarg_segment_ptr 1
		.amdhsa_user_sgpr_dispatch_id 0
		.amdhsa_user_sgpr_flat_scratch_init 0
		.amdhsa_user_sgpr_kernarg_preload_length 0
		.amdhsa_user_sgpr_kernarg_preload_offset 0
		.amdhsa_user_sgpr_private_segment_size 0
		.amdhsa_uses_dynamic_stack 0
		.amdhsa_system_sgpr_private_segment_wavefront_offset 0
		.amdhsa_system_sgpr_workgroup_id_x 1
		.amdhsa_system_sgpr_workgroup_id_y 0
		.amdhsa_system_sgpr_workgroup_id_z 0
		.amdhsa_system_sgpr_workgroup_info 0
		.amdhsa_system_vgpr_workitem_id 0
		.amdhsa_next_free_vgpr 1
		.amdhsa_next_free_sgpr 0
		.amdhsa_accum_offset 4
		.amdhsa_reserve_vcc 0
		.amdhsa_reserve_flat_scratch 0
		.amdhsa_float_round_mode_32 0
		.amdhsa_float_round_mode_16_64 0
		.amdhsa_float_denorm_mode_32 3
		.amdhsa_float_denorm_mode_16_64 3
		.amdhsa_dx10_clamp 1
		.amdhsa_ieee_mode 1
		.amdhsa_fp16_overflow 0
		.amdhsa_tg_split 0
		.amdhsa_exception_fp_ieee_invalid_op 0
		.amdhsa_exception_fp_denorm_src 0
		.amdhsa_exception_fp_ieee_div_zero 0
		.amdhsa_exception_fp_ieee_overflow 0
		.amdhsa_exception_fp_ieee_underflow 0
		.amdhsa_exception_fp_ieee_inexact 0
		.amdhsa_exception_int_div_zero 0
	.end_amdhsa_kernel
	.section	.text._ZN7rocprim17ROCPRIM_400000_NS6detail17trampoline_kernelINS0_14default_configENS1_38merge_sort_block_merge_config_selectorIxNS0_10empty_typeEEEZZNS1_27merge_sort_block_merge_implIS3_PxPS5_jNS1_19radix_merge_compareILb0ELb1ExNS0_19identity_decomposerEEEEE10hipError_tT0_T1_T2_jT3_P12ihipStream_tbPNSt15iterator_traitsISE_E10value_typeEPNSK_ISF_E10value_typeEPSG_NS1_7vsmem_tEENKUlT_SE_SF_SG_E_clIS8_S8_S9_S9_EESD_ST_SE_SF_SG_EUlST_E0_NS1_11comp_targetILNS1_3genE2ELNS1_11target_archE906ELNS1_3gpuE6ELNS1_3repE0EEENS1_38merge_mergepath_config_static_selectorELNS0_4arch9wavefront6targetE1EEEvSF_,"axG",@progbits,_ZN7rocprim17ROCPRIM_400000_NS6detail17trampoline_kernelINS0_14default_configENS1_38merge_sort_block_merge_config_selectorIxNS0_10empty_typeEEEZZNS1_27merge_sort_block_merge_implIS3_PxPS5_jNS1_19radix_merge_compareILb0ELb1ExNS0_19identity_decomposerEEEEE10hipError_tT0_T1_T2_jT3_P12ihipStream_tbPNSt15iterator_traitsISE_E10value_typeEPNSK_ISF_E10value_typeEPSG_NS1_7vsmem_tEENKUlT_SE_SF_SG_E_clIS8_S8_S9_S9_EESD_ST_SE_SF_SG_EUlST_E0_NS1_11comp_targetILNS1_3genE2ELNS1_11target_archE906ELNS1_3gpuE6ELNS1_3repE0EEENS1_38merge_mergepath_config_static_selectorELNS0_4arch9wavefront6targetE1EEEvSF_,comdat
.Lfunc_end1061:
	.size	_ZN7rocprim17ROCPRIM_400000_NS6detail17trampoline_kernelINS0_14default_configENS1_38merge_sort_block_merge_config_selectorIxNS0_10empty_typeEEEZZNS1_27merge_sort_block_merge_implIS3_PxPS5_jNS1_19radix_merge_compareILb0ELb1ExNS0_19identity_decomposerEEEEE10hipError_tT0_T1_T2_jT3_P12ihipStream_tbPNSt15iterator_traitsISE_E10value_typeEPNSK_ISF_E10value_typeEPSG_NS1_7vsmem_tEENKUlT_SE_SF_SG_E_clIS8_S8_S9_S9_EESD_ST_SE_SF_SG_EUlST_E0_NS1_11comp_targetILNS1_3genE2ELNS1_11target_archE906ELNS1_3gpuE6ELNS1_3repE0EEENS1_38merge_mergepath_config_static_selectorELNS0_4arch9wavefront6targetE1EEEvSF_, .Lfunc_end1061-_ZN7rocprim17ROCPRIM_400000_NS6detail17trampoline_kernelINS0_14default_configENS1_38merge_sort_block_merge_config_selectorIxNS0_10empty_typeEEEZZNS1_27merge_sort_block_merge_implIS3_PxPS5_jNS1_19radix_merge_compareILb0ELb1ExNS0_19identity_decomposerEEEEE10hipError_tT0_T1_T2_jT3_P12ihipStream_tbPNSt15iterator_traitsISE_E10value_typeEPNSK_ISF_E10value_typeEPSG_NS1_7vsmem_tEENKUlT_SE_SF_SG_E_clIS8_S8_S9_S9_EESD_ST_SE_SF_SG_EUlST_E0_NS1_11comp_targetILNS1_3genE2ELNS1_11target_archE906ELNS1_3gpuE6ELNS1_3repE0EEENS1_38merge_mergepath_config_static_selectorELNS0_4arch9wavefront6targetE1EEEvSF_
                                        ; -- End function
	.section	.AMDGPU.csdata,"",@progbits
; Kernel info:
; codeLenInByte = 0
; NumSgprs: 4
; NumVgprs: 0
; NumAgprs: 0
; TotalNumVgprs: 0
; ScratchSize: 0
; MemoryBound: 0
; FloatMode: 240
; IeeeMode: 1
; LDSByteSize: 0 bytes/workgroup (compile time only)
; SGPRBlocks: 0
; VGPRBlocks: 0
; NumSGPRsForWavesPerEU: 4
; NumVGPRsForWavesPerEU: 1
; AccumOffset: 4
; Occupancy: 8
; WaveLimiterHint : 0
; COMPUTE_PGM_RSRC2:SCRATCH_EN: 0
; COMPUTE_PGM_RSRC2:USER_SGPR: 6
; COMPUTE_PGM_RSRC2:TRAP_HANDLER: 0
; COMPUTE_PGM_RSRC2:TGID_X_EN: 1
; COMPUTE_PGM_RSRC2:TGID_Y_EN: 0
; COMPUTE_PGM_RSRC2:TGID_Z_EN: 0
; COMPUTE_PGM_RSRC2:TIDIG_COMP_CNT: 0
; COMPUTE_PGM_RSRC3_GFX90A:ACCUM_OFFSET: 0
; COMPUTE_PGM_RSRC3_GFX90A:TG_SPLIT: 0
	.section	.text._ZN7rocprim17ROCPRIM_400000_NS6detail17trampoline_kernelINS0_14default_configENS1_38merge_sort_block_merge_config_selectorIxNS0_10empty_typeEEEZZNS1_27merge_sort_block_merge_implIS3_PxPS5_jNS1_19radix_merge_compareILb0ELb1ExNS0_19identity_decomposerEEEEE10hipError_tT0_T1_T2_jT3_P12ihipStream_tbPNSt15iterator_traitsISE_E10value_typeEPNSK_ISF_E10value_typeEPSG_NS1_7vsmem_tEENKUlT_SE_SF_SG_E_clIS8_S8_S9_S9_EESD_ST_SE_SF_SG_EUlST_E0_NS1_11comp_targetILNS1_3genE9ELNS1_11target_archE1100ELNS1_3gpuE3ELNS1_3repE0EEENS1_38merge_mergepath_config_static_selectorELNS0_4arch9wavefront6targetE1EEEvSF_,"axG",@progbits,_ZN7rocprim17ROCPRIM_400000_NS6detail17trampoline_kernelINS0_14default_configENS1_38merge_sort_block_merge_config_selectorIxNS0_10empty_typeEEEZZNS1_27merge_sort_block_merge_implIS3_PxPS5_jNS1_19radix_merge_compareILb0ELb1ExNS0_19identity_decomposerEEEEE10hipError_tT0_T1_T2_jT3_P12ihipStream_tbPNSt15iterator_traitsISE_E10value_typeEPNSK_ISF_E10value_typeEPSG_NS1_7vsmem_tEENKUlT_SE_SF_SG_E_clIS8_S8_S9_S9_EESD_ST_SE_SF_SG_EUlST_E0_NS1_11comp_targetILNS1_3genE9ELNS1_11target_archE1100ELNS1_3gpuE3ELNS1_3repE0EEENS1_38merge_mergepath_config_static_selectorELNS0_4arch9wavefront6targetE1EEEvSF_,comdat
	.protected	_ZN7rocprim17ROCPRIM_400000_NS6detail17trampoline_kernelINS0_14default_configENS1_38merge_sort_block_merge_config_selectorIxNS0_10empty_typeEEEZZNS1_27merge_sort_block_merge_implIS3_PxPS5_jNS1_19radix_merge_compareILb0ELb1ExNS0_19identity_decomposerEEEEE10hipError_tT0_T1_T2_jT3_P12ihipStream_tbPNSt15iterator_traitsISE_E10value_typeEPNSK_ISF_E10value_typeEPSG_NS1_7vsmem_tEENKUlT_SE_SF_SG_E_clIS8_S8_S9_S9_EESD_ST_SE_SF_SG_EUlST_E0_NS1_11comp_targetILNS1_3genE9ELNS1_11target_archE1100ELNS1_3gpuE3ELNS1_3repE0EEENS1_38merge_mergepath_config_static_selectorELNS0_4arch9wavefront6targetE1EEEvSF_ ; -- Begin function _ZN7rocprim17ROCPRIM_400000_NS6detail17trampoline_kernelINS0_14default_configENS1_38merge_sort_block_merge_config_selectorIxNS0_10empty_typeEEEZZNS1_27merge_sort_block_merge_implIS3_PxPS5_jNS1_19radix_merge_compareILb0ELb1ExNS0_19identity_decomposerEEEEE10hipError_tT0_T1_T2_jT3_P12ihipStream_tbPNSt15iterator_traitsISE_E10value_typeEPNSK_ISF_E10value_typeEPSG_NS1_7vsmem_tEENKUlT_SE_SF_SG_E_clIS8_S8_S9_S9_EESD_ST_SE_SF_SG_EUlST_E0_NS1_11comp_targetILNS1_3genE9ELNS1_11target_archE1100ELNS1_3gpuE3ELNS1_3repE0EEENS1_38merge_mergepath_config_static_selectorELNS0_4arch9wavefront6targetE1EEEvSF_
	.globl	_ZN7rocprim17ROCPRIM_400000_NS6detail17trampoline_kernelINS0_14default_configENS1_38merge_sort_block_merge_config_selectorIxNS0_10empty_typeEEEZZNS1_27merge_sort_block_merge_implIS3_PxPS5_jNS1_19radix_merge_compareILb0ELb1ExNS0_19identity_decomposerEEEEE10hipError_tT0_T1_T2_jT3_P12ihipStream_tbPNSt15iterator_traitsISE_E10value_typeEPNSK_ISF_E10value_typeEPSG_NS1_7vsmem_tEENKUlT_SE_SF_SG_E_clIS8_S8_S9_S9_EESD_ST_SE_SF_SG_EUlST_E0_NS1_11comp_targetILNS1_3genE9ELNS1_11target_archE1100ELNS1_3gpuE3ELNS1_3repE0EEENS1_38merge_mergepath_config_static_selectorELNS0_4arch9wavefront6targetE1EEEvSF_
	.p2align	8
	.type	_ZN7rocprim17ROCPRIM_400000_NS6detail17trampoline_kernelINS0_14default_configENS1_38merge_sort_block_merge_config_selectorIxNS0_10empty_typeEEEZZNS1_27merge_sort_block_merge_implIS3_PxPS5_jNS1_19radix_merge_compareILb0ELb1ExNS0_19identity_decomposerEEEEE10hipError_tT0_T1_T2_jT3_P12ihipStream_tbPNSt15iterator_traitsISE_E10value_typeEPNSK_ISF_E10value_typeEPSG_NS1_7vsmem_tEENKUlT_SE_SF_SG_E_clIS8_S8_S9_S9_EESD_ST_SE_SF_SG_EUlST_E0_NS1_11comp_targetILNS1_3genE9ELNS1_11target_archE1100ELNS1_3gpuE3ELNS1_3repE0EEENS1_38merge_mergepath_config_static_selectorELNS0_4arch9wavefront6targetE1EEEvSF_,@function
_ZN7rocprim17ROCPRIM_400000_NS6detail17trampoline_kernelINS0_14default_configENS1_38merge_sort_block_merge_config_selectorIxNS0_10empty_typeEEEZZNS1_27merge_sort_block_merge_implIS3_PxPS5_jNS1_19radix_merge_compareILb0ELb1ExNS0_19identity_decomposerEEEEE10hipError_tT0_T1_T2_jT3_P12ihipStream_tbPNSt15iterator_traitsISE_E10value_typeEPNSK_ISF_E10value_typeEPSG_NS1_7vsmem_tEENKUlT_SE_SF_SG_E_clIS8_S8_S9_S9_EESD_ST_SE_SF_SG_EUlST_E0_NS1_11comp_targetILNS1_3genE9ELNS1_11target_archE1100ELNS1_3gpuE3ELNS1_3repE0EEENS1_38merge_mergepath_config_static_selectorELNS0_4arch9wavefront6targetE1EEEvSF_: ; @_ZN7rocprim17ROCPRIM_400000_NS6detail17trampoline_kernelINS0_14default_configENS1_38merge_sort_block_merge_config_selectorIxNS0_10empty_typeEEEZZNS1_27merge_sort_block_merge_implIS3_PxPS5_jNS1_19radix_merge_compareILb0ELb1ExNS0_19identity_decomposerEEEEE10hipError_tT0_T1_T2_jT3_P12ihipStream_tbPNSt15iterator_traitsISE_E10value_typeEPNSK_ISF_E10value_typeEPSG_NS1_7vsmem_tEENKUlT_SE_SF_SG_E_clIS8_S8_S9_S9_EESD_ST_SE_SF_SG_EUlST_E0_NS1_11comp_targetILNS1_3genE9ELNS1_11target_archE1100ELNS1_3gpuE3ELNS1_3repE0EEENS1_38merge_mergepath_config_static_selectorELNS0_4arch9wavefront6targetE1EEEvSF_
; %bb.0:
	.section	.rodata,"a",@progbits
	.p2align	6, 0x0
	.amdhsa_kernel _ZN7rocprim17ROCPRIM_400000_NS6detail17trampoline_kernelINS0_14default_configENS1_38merge_sort_block_merge_config_selectorIxNS0_10empty_typeEEEZZNS1_27merge_sort_block_merge_implIS3_PxPS5_jNS1_19radix_merge_compareILb0ELb1ExNS0_19identity_decomposerEEEEE10hipError_tT0_T1_T2_jT3_P12ihipStream_tbPNSt15iterator_traitsISE_E10value_typeEPNSK_ISF_E10value_typeEPSG_NS1_7vsmem_tEENKUlT_SE_SF_SG_E_clIS8_S8_S9_S9_EESD_ST_SE_SF_SG_EUlST_E0_NS1_11comp_targetILNS1_3genE9ELNS1_11target_archE1100ELNS1_3gpuE3ELNS1_3repE0EEENS1_38merge_mergepath_config_static_selectorELNS0_4arch9wavefront6targetE1EEEvSF_
		.amdhsa_group_segment_fixed_size 0
		.amdhsa_private_segment_fixed_size 0
		.amdhsa_kernarg_size 72
		.amdhsa_user_sgpr_count 6
		.amdhsa_user_sgpr_private_segment_buffer 1
		.amdhsa_user_sgpr_dispatch_ptr 0
		.amdhsa_user_sgpr_queue_ptr 0
		.amdhsa_user_sgpr_kernarg_segment_ptr 1
		.amdhsa_user_sgpr_dispatch_id 0
		.amdhsa_user_sgpr_flat_scratch_init 0
		.amdhsa_user_sgpr_kernarg_preload_length 0
		.amdhsa_user_sgpr_kernarg_preload_offset 0
		.amdhsa_user_sgpr_private_segment_size 0
		.amdhsa_uses_dynamic_stack 0
		.amdhsa_system_sgpr_private_segment_wavefront_offset 0
		.amdhsa_system_sgpr_workgroup_id_x 1
		.amdhsa_system_sgpr_workgroup_id_y 0
		.amdhsa_system_sgpr_workgroup_id_z 0
		.amdhsa_system_sgpr_workgroup_info 0
		.amdhsa_system_vgpr_workitem_id 0
		.amdhsa_next_free_vgpr 1
		.amdhsa_next_free_sgpr 0
		.amdhsa_accum_offset 4
		.amdhsa_reserve_vcc 0
		.amdhsa_reserve_flat_scratch 0
		.amdhsa_float_round_mode_32 0
		.amdhsa_float_round_mode_16_64 0
		.amdhsa_float_denorm_mode_32 3
		.amdhsa_float_denorm_mode_16_64 3
		.amdhsa_dx10_clamp 1
		.amdhsa_ieee_mode 1
		.amdhsa_fp16_overflow 0
		.amdhsa_tg_split 0
		.amdhsa_exception_fp_ieee_invalid_op 0
		.amdhsa_exception_fp_denorm_src 0
		.amdhsa_exception_fp_ieee_div_zero 0
		.amdhsa_exception_fp_ieee_overflow 0
		.amdhsa_exception_fp_ieee_underflow 0
		.amdhsa_exception_fp_ieee_inexact 0
		.amdhsa_exception_int_div_zero 0
	.end_amdhsa_kernel
	.section	.text._ZN7rocprim17ROCPRIM_400000_NS6detail17trampoline_kernelINS0_14default_configENS1_38merge_sort_block_merge_config_selectorIxNS0_10empty_typeEEEZZNS1_27merge_sort_block_merge_implIS3_PxPS5_jNS1_19radix_merge_compareILb0ELb1ExNS0_19identity_decomposerEEEEE10hipError_tT0_T1_T2_jT3_P12ihipStream_tbPNSt15iterator_traitsISE_E10value_typeEPNSK_ISF_E10value_typeEPSG_NS1_7vsmem_tEENKUlT_SE_SF_SG_E_clIS8_S8_S9_S9_EESD_ST_SE_SF_SG_EUlST_E0_NS1_11comp_targetILNS1_3genE9ELNS1_11target_archE1100ELNS1_3gpuE3ELNS1_3repE0EEENS1_38merge_mergepath_config_static_selectorELNS0_4arch9wavefront6targetE1EEEvSF_,"axG",@progbits,_ZN7rocprim17ROCPRIM_400000_NS6detail17trampoline_kernelINS0_14default_configENS1_38merge_sort_block_merge_config_selectorIxNS0_10empty_typeEEEZZNS1_27merge_sort_block_merge_implIS3_PxPS5_jNS1_19radix_merge_compareILb0ELb1ExNS0_19identity_decomposerEEEEE10hipError_tT0_T1_T2_jT3_P12ihipStream_tbPNSt15iterator_traitsISE_E10value_typeEPNSK_ISF_E10value_typeEPSG_NS1_7vsmem_tEENKUlT_SE_SF_SG_E_clIS8_S8_S9_S9_EESD_ST_SE_SF_SG_EUlST_E0_NS1_11comp_targetILNS1_3genE9ELNS1_11target_archE1100ELNS1_3gpuE3ELNS1_3repE0EEENS1_38merge_mergepath_config_static_selectorELNS0_4arch9wavefront6targetE1EEEvSF_,comdat
.Lfunc_end1062:
	.size	_ZN7rocprim17ROCPRIM_400000_NS6detail17trampoline_kernelINS0_14default_configENS1_38merge_sort_block_merge_config_selectorIxNS0_10empty_typeEEEZZNS1_27merge_sort_block_merge_implIS3_PxPS5_jNS1_19radix_merge_compareILb0ELb1ExNS0_19identity_decomposerEEEEE10hipError_tT0_T1_T2_jT3_P12ihipStream_tbPNSt15iterator_traitsISE_E10value_typeEPNSK_ISF_E10value_typeEPSG_NS1_7vsmem_tEENKUlT_SE_SF_SG_E_clIS8_S8_S9_S9_EESD_ST_SE_SF_SG_EUlST_E0_NS1_11comp_targetILNS1_3genE9ELNS1_11target_archE1100ELNS1_3gpuE3ELNS1_3repE0EEENS1_38merge_mergepath_config_static_selectorELNS0_4arch9wavefront6targetE1EEEvSF_, .Lfunc_end1062-_ZN7rocprim17ROCPRIM_400000_NS6detail17trampoline_kernelINS0_14default_configENS1_38merge_sort_block_merge_config_selectorIxNS0_10empty_typeEEEZZNS1_27merge_sort_block_merge_implIS3_PxPS5_jNS1_19radix_merge_compareILb0ELb1ExNS0_19identity_decomposerEEEEE10hipError_tT0_T1_T2_jT3_P12ihipStream_tbPNSt15iterator_traitsISE_E10value_typeEPNSK_ISF_E10value_typeEPSG_NS1_7vsmem_tEENKUlT_SE_SF_SG_E_clIS8_S8_S9_S9_EESD_ST_SE_SF_SG_EUlST_E0_NS1_11comp_targetILNS1_3genE9ELNS1_11target_archE1100ELNS1_3gpuE3ELNS1_3repE0EEENS1_38merge_mergepath_config_static_selectorELNS0_4arch9wavefront6targetE1EEEvSF_
                                        ; -- End function
	.section	.AMDGPU.csdata,"",@progbits
; Kernel info:
; codeLenInByte = 0
; NumSgprs: 4
; NumVgprs: 0
; NumAgprs: 0
; TotalNumVgprs: 0
; ScratchSize: 0
; MemoryBound: 0
; FloatMode: 240
; IeeeMode: 1
; LDSByteSize: 0 bytes/workgroup (compile time only)
; SGPRBlocks: 0
; VGPRBlocks: 0
; NumSGPRsForWavesPerEU: 4
; NumVGPRsForWavesPerEU: 1
; AccumOffset: 4
; Occupancy: 8
; WaveLimiterHint : 0
; COMPUTE_PGM_RSRC2:SCRATCH_EN: 0
; COMPUTE_PGM_RSRC2:USER_SGPR: 6
; COMPUTE_PGM_RSRC2:TRAP_HANDLER: 0
; COMPUTE_PGM_RSRC2:TGID_X_EN: 1
; COMPUTE_PGM_RSRC2:TGID_Y_EN: 0
; COMPUTE_PGM_RSRC2:TGID_Z_EN: 0
; COMPUTE_PGM_RSRC2:TIDIG_COMP_CNT: 0
; COMPUTE_PGM_RSRC3_GFX90A:ACCUM_OFFSET: 0
; COMPUTE_PGM_RSRC3_GFX90A:TG_SPLIT: 0
	.section	.text._ZN7rocprim17ROCPRIM_400000_NS6detail17trampoline_kernelINS0_14default_configENS1_38merge_sort_block_merge_config_selectorIxNS0_10empty_typeEEEZZNS1_27merge_sort_block_merge_implIS3_PxPS5_jNS1_19radix_merge_compareILb0ELb1ExNS0_19identity_decomposerEEEEE10hipError_tT0_T1_T2_jT3_P12ihipStream_tbPNSt15iterator_traitsISE_E10value_typeEPNSK_ISF_E10value_typeEPSG_NS1_7vsmem_tEENKUlT_SE_SF_SG_E_clIS8_S8_S9_S9_EESD_ST_SE_SF_SG_EUlST_E0_NS1_11comp_targetILNS1_3genE8ELNS1_11target_archE1030ELNS1_3gpuE2ELNS1_3repE0EEENS1_38merge_mergepath_config_static_selectorELNS0_4arch9wavefront6targetE1EEEvSF_,"axG",@progbits,_ZN7rocprim17ROCPRIM_400000_NS6detail17trampoline_kernelINS0_14default_configENS1_38merge_sort_block_merge_config_selectorIxNS0_10empty_typeEEEZZNS1_27merge_sort_block_merge_implIS3_PxPS5_jNS1_19radix_merge_compareILb0ELb1ExNS0_19identity_decomposerEEEEE10hipError_tT0_T1_T2_jT3_P12ihipStream_tbPNSt15iterator_traitsISE_E10value_typeEPNSK_ISF_E10value_typeEPSG_NS1_7vsmem_tEENKUlT_SE_SF_SG_E_clIS8_S8_S9_S9_EESD_ST_SE_SF_SG_EUlST_E0_NS1_11comp_targetILNS1_3genE8ELNS1_11target_archE1030ELNS1_3gpuE2ELNS1_3repE0EEENS1_38merge_mergepath_config_static_selectorELNS0_4arch9wavefront6targetE1EEEvSF_,comdat
	.protected	_ZN7rocprim17ROCPRIM_400000_NS6detail17trampoline_kernelINS0_14default_configENS1_38merge_sort_block_merge_config_selectorIxNS0_10empty_typeEEEZZNS1_27merge_sort_block_merge_implIS3_PxPS5_jNS1_19radix_merge_compareILb0ELb1ExNS0_19identity_decomposerEEEEE10hipError_tT0_T1_T2_jT3_P12ihipStream_tbPNSt15iterator_traitsISE_E10value_typeEPNSK_ISF_E10value_typeEPSG_NS1_7vsmem_tEENKUlT_SE_SF_SG_E_clIS8_S8_S9_S9_EESD_ST_SE_SF_SG_EUlST_E0_NS1_11comp_targetILNS1_3genE8ELNS1_11target_archE1030ELNS1_3gpuE2ELNS1_3repE0EEENS1_38merge_mergepath_config_static_selectorELNS0_4arch9wavefront6targetE1EEEvSF_ ; -- Begin function _ZN7rocprim17ROCPRIM_400000_NS6detail17trampoline_kernelINS0_14default_configENS1_38merge_sort_block_merge_config_selectorIxNS0_10empty_typeEEEZZNS1_27merge_sort_block_merge_implIS3_PxPS5_jNS1_19radix_merge_compareILb0ELb1ExNS0_19identity_decomposerEEEEE10hipError_tT0_T1_T2_jT3_P12ihipStream_tbPNSt15iterator_traitsISE_E10value_typeEPNSK_ISF_E10value_typeEPSG_NS1_7vsmem_tEENKUlT_SE_SF_SG_E_clIS8_S8_S9_S9_EESD_ST_SE_SF_SG_EUlST_E0_NS1_11comp_targetILNS1_3genE8ELNS1_11target_archE1030ELNS1_3gpuE2ELNS1_3repE0EEENS1_38merge_mergepath_config_static_selectorELNS0_4arch9wavefront6targetE1EEEvSF_
	.globl	_ZN7rocprim17ROCPRIM_400000_NS6detail17trampoline_kernelINS0_14default_configENS1_38merge_sort_block_merge_config_selectorIxNS0_10empty_typeEEEZZNS1_27merge_sort_block_merge_implIS3_PxPS5_jNS1_19radix_merge_compareILb0ELb1ExNS0_19identity_decomposerEEEEE10hipError_tT0_T1_T2_jT3_P12ihipStream_tbPNSt15iterator_traitsISE_E10value_typeEPNSK_ISF_E10value_typeEPSG_NS1_7vsmem_tEENKUlT_SE_SF_SG_E_clIS8_S8_S9_S9_EESD_ST_SE_SF_SG_EUlST_E0_NS1_11comp_targetILNS1_3genE8ELNS1_11target_archE1030ELNS1_3gpuE2ELNS1_3repE0EEENS1_38merge_mergepath_config_static_selectorELNS0_4arch9wavefront6targetE1EEEvSF_
	.p2align	8
	.type	_ZN7rocprim17ROCPRIM_400000_NS6detail17trampoline_kernelINS0_14default_configENS1_38merge_sort_block_merge_config_selectorIxNS0_10empty_typeEEEZZNS1_27merge_sort_block_merge_implIS3_PxPS5_jNS1_19radix_merge_compareILb0ELb1ExNS0_19identity_decomposerEEEEE10hipError_tT0_T1_T2_jT3_P12ihipStream_tbPNSt15iterator_traitsISE_E10value_typeEPNSK_ISF_E10value_typeEPSG_NS1_7vsmem_tEENKUlT_SE_SF_SG_E_clIS8_S8_S9_S9_EESD_ST_SE_SF_SG_EUlST_E0_NS1_11comp_targetILNS1_3genE8ELNS1_11target_archE1030ELNS1_3gpuE2ELNS1_3repE0EEENS1_38merge_mergepath_config_static_selectorELNS0_4arch9wavefront6targetE1EEEvSF_,@function
_ZN7rocprim17ROCPRIM_400000_NS6detail17trampoline_kernelINS0_14default_configENS1_38merge_sort_block_merge_config_selectorIxNS0_10empty_typeEEEZZNS1_27merge_sort_block_merge_implIS3_PxPS5_jNS1_19radix_merge_compareILb0ELb1ExNS0_19identity_decomposerEEEEE10hipError_tT0_T1_T2_jT3_P12ihipStream_tbPNSt15iterator_traitsISE_E10value_typeEPNSK_ISF_E10value_typeEPSG_NS1_7vsmem_tEENKUlT_SE_SF_SG_E_clIS8_S8_S9_S9_EESD_ST_SE_SF_SG_EUlST_E0_NS1_11comp_targetILNS1_3genE8ELNS1_11target_archE1030ELNS1_3gpuE2ELNS1_3repE0EEENS1_38merge_mergepath_config_static_selectorELNS0_4arch9wavefront6targetE1EEEvSF_: ; @_ZN7rocprim17ROCPRIM_400000_NS6detail17trampoline_kernelINS0_14default_configENS1_38merge_sort_block_merge_config_selectorIxNS0_10empty_typeEEEZZNS1_27merge_sort_block_merge_implIS3_PxPS5_jNS1_19radix_merge_compareILb0ELb1ExNS0_19identity_decomposerEEEEE10hipError_tT0_T1_T2_jT3_P12ihipStream_tbPNSt15iterator_traitsISE_E10value_typeEPNSK_ISF_E10value_typeEPSG_NS1_7vsmem_tEENKUlT_SE_SF_SG_E_clIS8_S8_S9_S9_EESD_ST_SE_SF_SG_EUlST_E0_NS1_11comp_targetILNS1_3genE8ELNS1_11target_archE1030ELNS1_3gpuE2ELNS1_3repE0EEENS1_38merge_mergepath_config_static_selectorELNS0_4arch9wavefront6targetE1EEEvSF_
; %bb.0:
	.section	.rodata,"a",@progbits
	.p2align	6, 0x0
	.amdhsa_kernel _ZN7rocprim17ROCPRIM_400000_NS6detail17trampoline_kernelINS0_14default_configENS1_38merge_sort_block_merge_config_selectorIxNS0_10empty_typeEEEZZNS1_27merge_sort_block_merge_implIS3_PxPS5_jNS1_19radix_merge_compareILb0ELb1ExNS0_19identity_decomposerEEEEE10hipError_tT0_T1_T2_jT3_P12ihipStream_tbPNSt15iterator_traitsISE_E10value_typeEPNSK_ISF_E10value_typeEPSG_NS1_7vsmem_tEENKUlT_SE_SF_SG_E_clIS8_S8_S9_S9_EESD_ST_SE_SF_SG_EUlST_E0_NS1_11comp_targetILNS1_3genE8ELNS1_11target_archE1030ELNS1_3gpuE2ELNS1_3repE0EEENS1_38merge_mergepath_config_static_selectorELNS0_4arch9wavefront6targetE1EEEvSF_
		.amdhsa_group_segment_fixed_size 0
		.amdhsa_private_segment_fixed_size 0
		.amdhsa_kernarg_size 72
		.amdhsa_user_sgpr_count 6
		.amdhsa_user_sgpr_private_segment_buffer 1
		.amdhsa_user_sgpr_dispatch_ptr 0
		.amdhsa_user_sgpr_queue_ptr 0
		.amdhsa_user_sgpr_kernarg_segment_ptr 1
		.amdhsa_user_sgpr_dispatch_id 0
		.amdhsa_user_sgpr_flat_scratch_init 0
		.amdhsa_user_sgpr_kernarg_preload_length 0
		.amdhsa_user_sgpr_kernarg_preload_offset 0
		.amdhsa_user_sgpr_private_segment_size 0
		.amdhsa_uses_dynamic_stack 0
		.amdhsa_system_sgpr_private_segment_wavefront_offset 0
		.amdhsa_system_sgpr_workgroup_id_x 1
		.amdhsa_system_sgpr_workgroup_id_y 0
		.amdhsa_system_sgpr_workgroup_id_z 0
		.amdhsa_system_sgpr_workgroup_info 0
		.amdhsa_system_vgpr_workitem_id 0
		.amdhsa_next_free_vgpr 1
		.amdhsa_next_free_sgpr 0
		.amdhsa_accum_offset 4
		.amdhsa_reserve_vcc 0
		.amdhsa_reserve_flat_scratch 0
		.amdhsa_float_round_mode_32 0
		.amdhsa_float_round_mode_16_64 0
		.amdhsa_float_denorm_mode_32 3
		.amdhsa_float_denorm_mode_16_64 3
		.amdhsa_dx10_clamp 1
		.amdhsa_ieee_mode 1
		.amdhsa_fp16_overflow 0
		.amdhsa_tg_split 0
		.amdhsa_exception_fp_ieee_invalid_op 0
		.amdhsa_exception_fp_denorm_src 0
		.amdhsa_exception_fp_ieee_div_zero 0
		.amdhsa_exception_fp_ieee_overflow 0
		.amdhsa_exception_fp_ieee_underflow 0
		.amdhsa_exception_fp_ieee_inexact 0
		.amdhsa_exception_int_div_zero 0
	.end_amdhsa_kernel
	.section	.text._ZN7rocprim17ROCPRIM_400000_NS6detail17trampoline_kernelINS0_14default_configENS1_38merge_sort_block_merge_config_selectorIxNS0_10empty_typeEEEZZNS1_27merge_sort_block_merge_implIS3_PxPS5_jNS1_19radix_merge_compareILb0ELb1ExNS0_19identity_decomposerEEEEE10hipError_tT0_T1_T2_jT3_P12ihipStream_tbPNSt15iterator_traitsISE_E10value_typeEPNSK_ISF_E10value_typeEPSG_NS1_7vsmem_tEENKUlT_SE_SF_SG_E_clIS8_S8_S9_S9_EESD_ST_SE_SF_SG_EUlST_E0_NS1_11comp_targetILNS1_3genE8ELNS1_11target_archE1030ELNS1_3gpuE2ELNS1_3repE0EEENS1_38merge_mergepath_config_static_selectorELNS0_4arch9wavefront6targetE1EEEvSF_,"axG",@progbits,_ZN7rocprim17ROCPRIM_400000_NS6detail17trampoline_kernelINS0_14default_configENS1_38merge_sort_block_merge_config_selectorIxNS0_10empty_typeEEEZZNS1_27merge_sort_block_merge_implIS3_PxPS5_jNS1_19radix_merge_compareILb0ELb1ExNS0_19identity_decomposerEEEEE10hipError_tT0_T1_T2_jT3_P12ihipStream_tbPNSt15iterator_traitsISE_E10value_typeEPNSK_ISF_E10value_typeEPSG_NS1_7vsmem_tEENKUlT_SE_SF_SG_E_clIS8_S8_S9_S9_EESD_ST_SE_SF_SG_EUlST_E0_NS1_11comp_targetILNS1_3genE8ELNS1_11target_archE1030ELNS1_3gpuE2ELNS1_3repE0EEENS1_38merge_mergepath_config_static_selectorELNS0_4arch9wavefront6targetE1EEEvSF_,comdat
.Lfunc_end1063:
	.size	_ZN7rocprim17ROCPRIM_400000_NS6detail17trampoline_kernelINS0_14default_configENS1_38merge_sort_block_merge_config_selectorIxNS0_10empty_typeEEEZZNS1_27merge_sort_block_merge_implIS3_PxPS5_jNS1_19radix_merge_compareILb0ELb1ExNS0_19identity_decomposerEEEEE10hipError_tT0_T1_T2_jT3_P12ihipStream_tbPNSt15iterator_traitsISE_E10value_typeEPNSK_ISF_E10value_typeEPSG_NS1_7vsmem_tEENKUlT_SE_SF_SG_E_clIS8_S8_S9_S9_EESD_ST_SE_SF_SG_EUlST_E0_NS1_11comp_targetILNS1_3genE8ELNS1_11target_archE1030ELNS1_3gpuE2ELNS1_3repE0EEENS1_38merge_mergepath_config_static_selectorELNS0_4arch9wavefront6targetE1EEEvSF_, .Lfunc_end1063-_ZN7rocprim17ROCPRIM_400000_NS6detail17trampoline_kernelINS0_14default_configENS1_38merge_sort_block_merge_config_selectorIxNS0_10empty_typeEEEZZNS1_27merge_sort_block_merge_implIS3_PxPS5_jNS1_19radix_merge_compareILb0ELb1ExNS0_19identity_decomposerEEEEE10hipError_tT0_T1_T2_jT3_P12ihipStream_tbPNSt15iterator_traitsISE_E10value_typeEPNSK_ISF_E10value_typeEPSG_NS1_7vsmem_tEENKUlT_SE_SF_SG_E_clIS8_S8_S9_S9_EESD_ST_SE_SF_SG_EUlST_E0_NS1_11comp_targetILNS1_3genE8ELNS1_11target_archE1030ELNS1_3gpuE2ELNS1_3repE0EEENS1_38merge_mergepath_config_static_selectorELNS0_4arch9wavefront6targetE1EEEvSF_
                                        ; -- End function
	.section	.AMDGPU.csdata,"",@progbits
; Kernel info:
; codeLenInByte = 0
; NumSgprs: 4
; NumVgprs: 0
; NumAgprs: 0
; TotalNumVgprs: 0
; ScratchSize: 0
; MemoryBound: 0
; FloatMode: 240
; IeeeMode: 1
; LDSByteSize: 0 bytes/workgroup (compile time only)
; SGPRBlocks: 0
; VGPRBlocks: 0
; NumSGPRsForWavesPerEU: 4
; NumVGPRsForWavesPerEU: 1
; AccumOffset: 4
; Occupancy: 8
; WaveLimiterHint : 0
; COMPUTE_PGM_RSRC2:SCRATCH_EN: 0
; COMPUTE_PGM_RSRC2:USER_SGPR: 6
; COMPUTE_PGM_RSRC2:TRAP_HANDLER: 0
; COMPUTE_PGM_RSRC2:TGID_X_EN: 1
; COMPUTE_PGM_RSRC2:TGID_Y_EN: 0
; COMPUTE_PGM_RSRC2:TGID_Z_EN: 0
; COMPUTE_PGM_RSRC2:TIDIG_COMP_CNT: 0
; COMPUTE_PGM_RSRC3_GFX90A:ACCUM_OFFSET: 0
; COMPUTE_PGM_RSRC3_GFX90A:TG_SPLIT: 0
	.section	.text._ZN7rocprim17ROCPRIM_400000_NS6detail17trampoline_kernelINS0_14default_configENS1_38merge_sort_block_merge_config_selectorIxNS0_10empty_typeEEEZZNS1_27merge_sort_block_merge_implIS3_PxPS5_jNS1_19radix_merge_compareILb0ELb1ExNS0_19identity_decomposerEEEEE10hipError_tT0_T1_T2_jT3_P12ihipStream_tbPNSt15iterator_traitsISE_E10value_typeEPNSK_ISF_E10value_typeEPSG_NS1_7vsmem_tEENKUlT_SE_SF_SG_E_clIS8_S8_S9_S9_EESD_ST_SE_SF_SG_EUlST_E1_NS1_11comp_targetILNS1_3genE0ELNS1_11target_archE4294967295ELNS1_3gpuE0ELNS1_3repE0EEENS1_36merge_oddeven_config_static_selectorELNS0_4arch9wavefront6targetE1EEEvSF_,"axG",@progbits,_ZN7rocprim17ROCPRIM_400000_NS6detail17trampoline_kernelINS0_14default_configENS1_38merge_sort_block_merge_config_selectorIxNS0_10empty_typeEEEZZNS1_27merge_sort_block_merge_implIS3_PxPS5_jNS1_19radix_merge_compareILb0ELb1ExNS0_19identity_decomposerEEEEE10hipError_tT0_T1_T2_jT3_P12ihipStream_tbPNSt15iterator_traitsISE_E10value_typeEPNSK_ISF_E10value_typeEPSG_NS1_7vsmem_tEENKUlT_SE_SF_SG_E_clIS8_S8_S9_S9_EESD_ST_SE_SF_SG_EUlST_E1_NS1_11comp_targetILNS1_3genE0ELNS1_11target_archE4294967295ELNS1_3gpuE0ELNS1_3repE0EEENS1_36merge_oddeven_config_static_selectorELNS0_4arch9wavefront6targetE1EEEvSF_,comdat
	.protected	_ZN7rocprim17ROCPRIM_400000_NS6detail17trampoline_kernelINS0_14default_configENS1_38merge_sort_block_merge_config_selectorIxNS0_10empty_typeEEEZZNS1_27merge_sort_block_merge_implIS3_PxPS5_jNS1_19radix_merge_compareILb0ELb1ExNS0_19identity_decomposerEEEEE10hipError_tT0_T1_T2_jT3_P12ihipStream_tbPNSt15iterator_traitsISE_E10value_typeEPNSK_ISF_E10value_typeEPSG_NS1_7vsmem_tEENKUlT_SE_SF_SG_E_clIS8_S8_S9_S9_EESD_ST_SE_SF_SG_EUlST_E1_NS1_11comp_targetILNS1_3genE0ELNS1_11target_archE4294967295ELNS1_3gpuE0ELNS1_3repE0EEENS1_36merge_oddeven_config_static_selectorELNS0_4arch9wavefront6targetE1EEEvSF_ ; -- Begin function _ZN7rocprim17ROCPRIM_400000_NS6detail17trampoline_kernelINS0_14default_configENS1_38merge_sort_block_merge_config_selectorIxNS0_10empty_typeEEEZZNS1_27merge_sort_block_merge_implIS3_PxPS5_jNS1_19radix_merge_compareILb0ELb1ExNS0_19identity_decomposerEEEEE10hipError_tT0_T1_T2_jT3_P12ihipStream_tbPNSt15iterator_traitsISE_E10value_typeEPNSK_ISF_E10value_typeEPSG_NS1_7vsmem_tEENKUlT_SE_SF_SG_E_clIS8_S8_S9_S9_EESD_ST_SE_SF_SG_EUlST_E1_NS1_11comp_targetILNS1_3genE0ELNS1_11target_archE4294967295ELNS1_3gpuE0ELNS1_3repE0EEENS1_36merge_oddeven_config_static_selectorELNS0_4arch9wavefront6targetE1EEEvSF_
	.globl	_ZN7rocprim17ROCPRIM_400000_NS6detail17trampoline_kernelINS0_14default_configENS1_38merge_sort_block_merge_config_selectorIxNS0_10empty_typeEEEZZNS1_27merge_sort_block_merge_implIS3_PxPS5_jNS1_19radix_merge_compareILb0ELb1ExNS0_19identity_decomposerEEEEE10hipError_tT0_T1_T2_jT3_P12ihipStream_tbPNSt15iterator_traitsISE_E10value_typeEPNSK_ISF_E10value_typeEPSG_NS1_7vsmem_tEENKUlT_SE_SF_SG_E_clIS8_S8_S9_S9_EESD_ST_SE_SF_SG_EUlST_E1_NS1_11comp_targetILNS1_3genE0ELNS1_11target_archE4294967295ELNS1_3gpuE0ELNS1_3repE0EEENS1_36merge_oddeven_config_static_selectorELNS0_4arch9wavefront6targetE1EEEvSF_
	.p2align	8
	.type	_ZN7rocprim17ROCPRIM_400000_NS6detail17trampoline_kernelINS0_14default_configENS1_38merge_sort_block_merge_config_selectorIxNS0_10empty_typeEEEZZNS1_27merge_sort_block_merge_implIS3_PxPS5_jNS1_19radix_merge_compareILb0ELb1ExNS0_19identity_decomposerEEEEE10hipError_tT0_T1_T2_jT3_P12ihipStream_tbPNSt15iterator_traitsISE_E10value_typeEPNSK_ISF_E10value_typeEPSG_NS1_7vsmem_tEENKUlT_SE_SF_SG_E_clIS8_S8_S9_S9_EESD_ST_SE_SF_SG_EUlST_E1_NS1_11comp_targetILNS1_3genE0ELNS1_11target_archE4294967295ELNS1_3gpuE0ELNS1_3repE0EEENS1_36merge_oddeven_config_static_selectorELNS0_4arch9wavefront6targetE1EEEvSF_,@function
_ZN7rocprim17ROCPRIM_400000_NS6detail17trampoline_kernelINS0_14default_configENS1_38merge_sort_block_merge_config_selectorIxNS0_10empty_typeEEEZZNS1_27merge_sort_block_merge_implIS3_PxPS5_jNS1_19radix_merge_compareILb0ELb1ExNS0_19identity_decomposerEEEEE10hipError_tT0_T1_T2_jT3_P12ihipStream_tbPNSt15iterator_traitsISE_E10value_typeEPNSK_ISF_E10value_typeEPSG_NS1_7vsmem_tEENKUlT_SE_SF_SG_E_clIS8_S8_S9_S9_EESD_ST_SE_SF_SG_EUlST_E1_NS1_11comp_targetILNS1_3genE0ELNS1_11target_archE4294967295ELNS1_3gpuE0ELNS1_3repE0EEENS1_36merge_oddeven_config_static_selectorELNS0_4arch9wavefront6targetE1EEEvSF_: ; @_ZN7rocprim17ROCPRIM_400000_NS6detail17trampoline_kernelINS0_14default_configENS1_38merge_sort_block_merge_config_selectorIxNS0_10empty_typeEEEZZNS1_27merge_sort_block_merge_implIS3_PxPS5_jNS1_19radix_merge_compareILb0ELb1ExNS0_19identity_decomposerEEEEE10hipError_tT0_T1_T2_jT3_P12ihipStream_tbPNSt15iterator_traitsISE_E10value_typeEPNSK_ISF_E10value_typeEPSG_NS1_7vsmem_tEENKUlT_SE_SF_SG_E_clIS8_S8_S9_S9_EESD_ST_SE_SF_SG_EUlST_E1_NS1_11comp_targetILNS1_3genE0ELNS1_11target_archE4294967295ELNS1_3gpuE0ELNS1_3repE0EEENS1_36merge_oddeven_config_static_selectorELNS0_4arch9wavefront6targetE1EEEvSF_
; %bb.0:
	.section	.rodata,"a",@progbits
	.p2align	6, 0x0
	.amdhsa_kernel _ZN7rocprim17ROCPRIM_400000_NS6detail17trampoline_kernelINS0_14default_configENS1_38merge_sort_block_merge_config_selectorIxNS0_10empty_typeEEEZZNS1_27merge_sort_block_merge_implIS3_PxPS5_jNS1_19radix_merge_compareILb0ELb1ExNS0_19identity_decomposerEEEEE10hipError_tT0_T1_T2_jT3_P12ihipStream_tbPNSt15iterator_traitsISE_E10value_typeEPNSK_ISF_E10value_typeEPSG_NS1_7vsmem_tEENKUlT_SE_SF_SG_E_clIS8_S8_S9_S9_EESD_ST_SE_SF_SG_EUlST_E1_NS1_11comp_targetILNS1_3genE0ELNS1_11target_archE4294967295ELNS1_3gpuE0ELNS1_3repE0EEENS1_36merge_oddeven_config_static_selectorELNS0_4arch9wavefront6targetE1EEEvSF_
		.amdhsa_group_segment_fixed_size 0
		.amdhsa_private_segment_fixed_size 0
		.amdhsa_kernarg_size 48
		.amdhsa_user_sgpr_count 6
		.amdhsa_user_sgpr_private_segment_buffer 1
		.amdhsa_user_sgpr_dispatch_ptr 0
		.amdhsa_user_sgpr_queue_ptr 0
		.amdhsa_user_sgpr_kernarg_segment_ptr 1
		.amdhsa_user_sgpr_dispatch_id 0
		.amdhsa_user_sgpr_flat_scratch_init 0
		.amdhsa_user_sgpr_kernarg_preload_length 0
		.amdhsa_user_sgpr_kernarg_preload_offset 0
		.amdhsa_user_sgpr_private_segment_size 0
		.amdhsa_uses_dynamic_stack 0
		.amdhsa_system_sgpr_private_segment_wavefront_offset 0
		.amdhsa_system_sgpr_workgroup_id_x 1
		.amdhsa_system_sgpr_workgroup_id_y 0
		.amdhsa_system_sgpr_workgroup_id_z 0
		.amdhsa_system_sgpr_workgroup_info 0
		.amdhsa_system_vgpr_workitem_id 0
		.amdhsa_next_free_vgpr 1
		.amdhsa_next_free_sgpr 0
		.amdhsa_accum_offset 4
		.amdhsa_reserve_vcc 0
		.amdhsa_reserve_flat_scratch 0
		.amdhsa_float_round_mode_32 0
		.amdhsa_float_round_mode_16_64 0
		.amdhsa_float_denorm_mode_32 3
		.amdhsa_float_denorm_mode_16_64 3
		.amdhsa_dx10_clamp 1
		.amdhsa_ieee_mode 1
		.amdhsa_fp16_overflow 0
		.amdhsa_tg_split 0
		.amdhsa_exception_fp_ieee_invalid_op 0
		.amdhsa_exception_fp_denorm_src 0
		.amdhsa_exception_fp_ieee_div_zero 0
		.amdhsa_exception_fp_ieee_overflow 0
		.amdhsa_exception_fp_ieee_underflow 0
		.amdhsa_exception_fp_ieee_inexact 0
		.amdhsa_exception_int_div_zero 0
	.end_amdhsa_kernel
	.section	.text._ZN7rocprim17ROCPRIM_400000_NS6detail17trampoline_kernelINS0_14default_configENS1_38merge_sort_block_merge_config_selectorIxNS0_10empty_typeEEEZZNS1_27merge_sort_block_merge_implIS3_PxPS5_jNS1_19radix_merge_compareILb0ELb1ExNS0_19identity_decomposerEEEEE10hipError_tT0_T1_T2_jT3_P12ihipStream_tbPNSt15iterator_traitsISE_E10value_typeEPNSK_ISF_E10value_typeEPSG_NS1_7vsmem_tEENKUlT_SE_SF_SG_E_clIS8_S8_S9_S9_EESD_ST_SE_SF_SG_EUlST_E1_NS1_11comp_targetILNS1_3genE0ELNS1_11target_archE4294967295ELNS1_3gpuE0ELNS1_3repE0EEENS1_36merge_oddeven_config_static_selectorELNS0_4arch9wavefront6targetE1EEEvSF_,"axG",@progbits,_ZN7rocprim17ROCPRIM_400000_NS6detail17trampoline_kernelINS0_14default_configENS1_38merge_sort_block_merge_config_selectorIxNS0_10empty_typeEEEZZNS1_27merge_sort_block_merge_implIS3_PxPS5_jNS1_19radix_merge_compareILb0ELb1ExNS0_19identity_decomposerEEEEE10hipError_tT0_T1_T2_jT3_P12ihipStream_tbPNSt15iterator_traitsISE_E10value_typeEPNSK_ISF_E10value_typeEPSG_NS1_7vsmem_tEENKUlT_SE_SF_SG_E_clIS8_S8_S9_S9_EESD_ST_SE_SF_SG_EUlST_E1_NS1_11comp_targetILNS1_3genE0ELNS1_11target_archE4294967295ELNS1_3gpuE0ELNS1_3repE0EEENS1_36merge_oddeven_config_static_selectorELNS0_4arch9wavefront6targetE1EEEvSF_,comdat
.Lfunc_end1064:
	.size	_ZN7rocprim17ROCPRIM_400000_NS6detail17trampoline_kernelINS0_14default_configENS1_38merge_sort_block_merge_config_selectorIxNS0_10empty_typeEEEZZNS1_27merge_sort_block_merge_implIS3_PxPS5_jNS1_19radix_merge_compareILb0ELb1ExNS0_19identity_decomposerEEEEE10hipError_tT0_T1_T2_jT3_P12ihipStream_tbPNSt15iterator_traitsISE_E10value_typeEPNSK_ISF_E10value_typeEPSG_NS1_7vsmem_tEENKUlT_SE_SF_SG_E_clIS8_S8_S9_S9_EESD_ST_SE_SF_SG_EUlST_E1_NS1_11comp_targetILNS1_3genE0ELNS1_11target_archE4294967295ELNS1_3gpuE0ELNS1_3repE0EEENS1_36merge_oddeven_config_static_selectorELNS0_4arch9wavefront6targetE1EEEvSF_, .Lfunc_end1064-_ZN7rocprim17ROCPRIM_400000_NS6detail17trampoline_kernelINS0_14default_configENS1_38merge_sort_block_merge_config_selectorIxNS0_10empty_typeEEEZZNS1_27merge_sort_block_merge_implIS3_PxPS5_jNS1_19radix_merge_compareILb0ELb1ExNS0_19identity_decomposerEEEEE10hipError_tT0_T1_T2_jT3_P12ihipStream_tbPNSt15iterator_traitsISE_E10value_typeEPNSK_ISF_E10value_typeEPSG_NS1_7vsmem_tEENKUlT_SE_SF_SG_E_clIS8_S8_S9_S9_EESD_ST_SE_SF_SG_EUlST_E1_NS1_11comp_targetILNS1_3genE0ELNS1_11target_archE4294967295ELNS1_3gpuE0ELNS1_3repE0EEENS1_36merge_oddeven_config_static_selectorELNS0_4arch9wavefront6targetE1EEEvSF_
                                        ; -- End function
	.section	.AMDGPU.csdata,"",@progbits
; Kernel info:
; codeLenInByte = 0
; NumSgprs: 4
; NumVgprs: 0
; NumAgprs: 0
; TotalNumVgprs: 0
; ScratchSize: 0
; MemoryBound: 0
; FloatMode: 240
; IeeeMode: 1
; LDSByteSize: 0 bytes/workgroup (compile time only)
; SGPRBlocks: 0
; VGPRBlocks: 0
; NumSGPRsForWavesPerEU: 4
; NumVGPRsForWavesPerEU: 1
; AccumOffset: 4
; Occupancy: 8
; WaveLimiterHint : 0
; COMPUTE_PGM_RSRC2:SCRATCH_EN: 0
; COMPUTE_PGM_RSRC2:USER_SGPR: 6
; COMPUTE_PGM_RSRC2:TRAP_HANDLER: 0
; COMPUTE_PGM_RSRC2:TGID_X_EN: 1
; COMPUTE_PGM_RSRC2:TGID_Y_EN: 0
; COMPUTE_PGM_RSRC2:TGID_Z_EN: 0
; COMPUTE_PGM_RSRC2:TIDIG_COMP_CNT: 0
; COMPUTE_PGM_RSRC3_GFX90A:ACCUM_OFFSET: 0
; COMPUTE_PGM_RSRC3_GFX90A:TG_SPLIT: 0
	.section	.text._ZN7rocprim17ROCPRIM_400000_NS6detail17trampoline_kernelINS0_14default_configENS1_38merge_sort_block_merge_config_selectorIxNS0_10empty_typeEEEZZNS1_27merge_sort_block_merge_implIS3_PxPS5_jNS1_19radix_merge_compareILb0ELb1ExNS0_19identity_decomposerEEEEE10hipError_tT0_T1_T2_jT3_P12ihipStream_tbPNSt15iterator_traitsISE_E10value_typeEPNSK_ISF_E10value_typeEPSG_NS1_7vsmem_tEENKUlT_SE_SF_SG_E_clIS8_S8_S9_S9_EESD_ST_SE_SF_SG_EUlST_E1_NS1_11comp_targetILNS1_3genE10ELNS1_11target_archE1201ELNS1_3gpuE5ELNS1_3repE0EEENS1_36merge_oddeven_config_static_selectorELNS0_4arch9wavefront6targetE1EEEvSF_,"axG",@progbits,_ZN7rocprim17ROCPRIM_400000_NS6detail17trampoline_kernelINS0_14default_configENS1_38merge_sort_block_merge_config_selectorIxNS0_10empty_typeEEEZZNS1_27merge_sort_block_merge_implIS3_PxPS5_jNS1_19radix_merge_compareILb0ELb1ExNS0_19identity_decomposerEEEEE10hipError_tT0_T1_T2_jT3_P12ihipStream_tbPNSt15iterator_traitsISE_E10value_typeEPNSK_ISF_E10value_typeEPSG_NS1_7vsmem_tEENKUlT_SE_SF_SG_E_clIS8_S8_S9_S9_EESD_ST_SE_SF_SG_EUlST_E1_NS1_11comp_targetILNS1_3genE10ELNS1_11target_archE1201ELNS1_3gpuE5ELNS1_3repE0EEENS1_36merge_oddeven_config_static_selectorELNS0_4arch9wavefront6targetE1EEEvSF_,comdat
	.protected	_ZN7rocprim17ROCPRIM_400000_NS6detail17trampoline_kernelINS0_14default_configENS1_38merge_sort_block_merge_config_selectorIxNS0_10empty_typeEEEZZNS1_27merge_sort_block_merge_implIS3_PxPS5_jNS1_19radix_merge_compareILb0ELb1ExNS0_19identity_decomposerEEEEE10hipError_tT0_T1_T2_jT3_P12ihipStream_tbPNSt15iterator_traitsISE_E10value_typeEPNSK_ISF_E10value_typeEPSG_NS1_7vsmem_tEENKUlT_SE_SF_SG_E_clIS8_S8_S9_S9_EESD_ST_SE_SF_SG_EUlST_E1_NS1_11comp_targetILNS1_3genE10ELNS1_11target_archE1201ELNS1_3gpuE5ELNS1_3repE0EEENS1_36merge_oddeven_config_static_selectorELNS0_4arch9wavefront6targetE1EEEvSF_ ; -- Begin function _ZN7rocprim17ROCPRIM_400000_NS6detail17trampoline_kernelINS0_14default_configENS1_38merge_sort_block_merge_config_selectorIxNS0_10empty_typeEEEZZNS1_27merge_sort_block_merge_implIS3_PxPS5_jNS1_19radix_merge_compareILb0ELb1ExNS0_19identity_decomposerEEEEE10hipError_tT0_T1_T2_jT3_P12ihipStream_tbPNSt15iterator_traitsISE_E10value_typeEPNSK_ISF_E10value_typeEPSG_NS1_7vsmem_tEENKUlT_SE_SF_SG_E_clIS8_S8_S9_S9_EESD_ST_SE_SF_SG_EUlST_E1_NS1_11comp_targetILNS1_3genE10ELNS1_11target_archE1201ELNS1_3gpuE5ELNS1_3repE0EEENS1_36merge_oddeven_config_static_selectorELNS0_4arch9wavefront6targetE1EEEvSF_
	.globl	_ZN7rocprim17ROCPRIM_400000_NS6detail17trampoline_kernelINS0_14default_configENS1_38merge_sort_block_merge_config_selectorIxNS0_10empty_typeEEEZZNS1_27merge_sort_block_merge_implIS3_PxPS5_jNS1_19radix_merge_compareILb0ELb1ExNS0_19identity_decomposerEEEEE10hipError_tT0_T1_T2_jT3_P12ihipStream_tbPNSt15iterator_traitsISE_E10value_typeEPNSK_ISF_E10value_typeEPSG_NS1_7vsmem_tEENKUlT_SE_SF_SG_E_clIS8_S8_S9_S9_EESD_ST_SE_SF_SG_EUlST_E1_NS1_11comp_targetILNS1_3genE10ELNS1_11target_archE1201ELNS1_3gpuE5ELNS1_3repE0EEENS1_36merge_oddeven_config_static_selectorELNS0_4arch9wavefront6targetE1EEEvSF_
	.p2align	8
	.type	_ZN7rocprim17ROCPRIM_400000_NS6detail17trampoline_kernelINS0_14default_configENS1_38merge_sort_block_merge_config_selectorIxNS0_10empty_typeEEEZZNS1_27merge_sort_block_merge_implIS3_PxPS5_jNS1_19radix_merge_compareILb0ELb1ExNS0_19identity_decomposerEEEEE10hipError_tT0_T1_T2_jT3_P12ihipStream_tbPNSt15iterator_traitsISE_E10value_typeEPNSK_ISF_E10value_typeEPSG_NS1_7vsmem_tEENKUlT_SE_SF_SG_E_clIS8_S8_S9_S9_EESD_ST_SE_SF_SG_EUlST_E1_NS1_11comp_targetILNS1_3genE10ELNS1_11target_archE1201ELNS1_3gpuE5ELNS1_3repE0EEENS1_36merge_oddeven_config_static_selectorELNS0_4arch9wavefront6targetE1EEEvSF_,@function
_ZN7rocprim17ROCPRIM_400000_NS6detail17trampoline_kernelINS0_14default_configENS1_38merge_sort_block_merge_config_selectorIxNS0_10empty_typeEEEZZNS1_27merge_sort_block_merge_implIS3_PxPS5_jNS1_19radix_merge_compareILb0ELb1ExNS0_19identity_decomposerEEEEE10hipError_tT0_T1_T2_jT3_P12ihipStream_tbPNSt15iterator_traitsISE_E10value_typeEPNSK_ISF_E10value_typeEPSG_NS1_7vsmem_tEENKUlT_SE_SF_SG_E_clIS8_S8_S9_S9_EESD_ST_SE_SF_SG_EUlST_E1_NS1_11comp_targetILNS1_3genE10ELNS1_11target_archE1201ELNS1_3gpuE5ELNS1_3repE0EEENS1_36merge_oddeven_config_static_selectorELNS0_4arch9wavefront6targetE1EEEvSF_: ; @_ZN7rocprim17ROCPRIM_400000_NS6detail17trampoline_kernelINS0_14default_configENS1_38merge_sort_block_merge_config_selectorIxNS0_10empty_typeEEEZZNS1_27merge_sort_block_merge_implIS3_PxPS5_jNS1_19radix_merge_compareILb0ELb1ExNS0_19identity_decomposerEEEEE10hipError_tT0_T1_T2_jT3_P12ihipStream_tbPNSt15iterator_traitsISE_E10value_typeEPNSK_ISF_E10value_typeEPSG_NS1_7vsmem_tEENKUlT_SE_SF_SG_E_clIS8_S8_S9_S9_EESD_ST_SE_SF_SG_EUlST_E1_NS1_11comp_targetILNS1_3genE10ELNS1_11target_archE1201ELNS1_3gpuE5ELNS1_3repE0EEENS1_36merge_oddeven_config_static_selectorELNS0_4arch9wavefront6targetE1EEEvSF_
; %bb.0:
	.section	.rodata,"a",@progbits
	.p2align	6, 0x0
	.amdhsa_kernel _ZN7rocprim17ROCPRIM_400000_NS6detail17trampoline_kernelINS0_14default_configENS1_38merge_sort_block_merge_config_selectorIxNS0_10empty_typeEEEZZNS1_27merge_sort_block_merge_implIS3_PxPS5_jNS1_19radix_merge_compareILb0ELb1ExNS0_19identity_decomposerEEEEE10hipError_tT0_T1_T2_jT3_P12ihipStream_tbPNSt15iterator_traitsISE_E10value_typeEPNSK_ISF_E10value_typeEPSG_NS1_7vsmem_tEENKUlT_SE_SF_SG_E_clIS8_S8_S9_S9_EESD_ST_SE_SF_SG_EUlST_E1_NS1_11comp_targetILNS1_3genE10ELNS1_11target_archE1201ELNS1_3gpuE5ELNS1_3repE0EEENS1_36merge_oddeven_config_static_selectorELNS0_4arch9wavefront6targetE1EEEvSF_
		.amdhsa_group_segment_fixed_size 0
		.amdhsa_private_segment_fixed_size 0
		.amdhsa_kernarg_size 48
		.amdhsa_user_sgpr_count 6
		.amdhsa_user_sgpr_private_segment_buffer 1
		.amdhsa_user_sgpr_dispatch_ptr 0
		.amdhsa_user_sgpr_queue_ptr 0
		.amdhsa_user_sgpr_kernarg_segment_ptr 1
		.amdhsa_user_sgpr_dispatch_id 0
		.amdhsa_user_sgpr_flat_scratch_init 0
		.amdhsa_user_sgpr_kernarg_preload_length 0
		.amdhsa_user_sgpr_kernarg_preload_offset 0
		.amdhsa_user_sgpr_private_segment_size 0
		.amdhsa_uses_dynamic_stack 0
		.amdhsa_system_sgpr_private_segment_wavefront_offset 0
		.amdhsa_system_sgpr_workgroup_id_x 1
		.amdhsa_system_sgpr_workgroup_id_y 0
		.amdhsa_system_sgpr_workgroup_id_z 0
		.amdhsa_system_sgpr_workgroup_info 0
		.amdhsa_system_vgpr_workitem_id 0
		.amdhsa_next_free_vgpr 1
		.amdhsa_next_free_sgpr 0
		.amdhsa_accum_offset 4
		.amdhsa_reserve_vcc 0
		.amdhsa_reserve_flat_scratch 0
		.amdhsa_float_round_mode_32 0
		.amdhsa_float_round_mode_16_64 0
		.amdhsa_float_denorm_mode_32 3
		.amdhsa_float_denorm_mode_16_64 3
		.amdhsa_dx10_clamp 1
		.amdhsa_ieee_mode 1
		.amdhsa_fp16_overflow 0
		.amdhsa_tg_split 0
		.amdhsa_exception_fp_ieee_invalid_op 0
		.amdhsa_exception_fp_denorm_src 0
		.amdhsa_exception_fp_ieee_div_zero 0
		.amdhsa_exception_fp_ieee_overflow 0
		.amdhsa_exception_fp_ieee_underflow 0
		.amdhsa_exception_fp_ieee_inexact 0
		.amdhsa_exception_int_div_zero 0
	.end_amdhsa_kernel
	.section	.text._ZN7rocprim17ROCPRIM_400000_NS6detail17trampoline_kernelINS0_14default_configENS1_38merge_sort_block_merge_config_selectorIxNS0_10empty_typeEEEZZNS1_27merge_sort_block_merge_implIS3_PxPS5_jNS1_19radix_merge_compareILb0ELb1ExNS0_19identity_decomposerEEEEE10hipError_tT0_T1_T2_jT3_P12ihipStream_tbPNSt15iterator_traitsISE_E10value_typeEPNSK_ISF_E10value_typeEPSG_NS1_7vsmem_tEENKUlT_SE_SF_SG_E_clIS8_S8_S9_S9_EESD_ST_SE_SF_SG_EUlST_E1_NS1_11comp_targetILNS1_3genE10ELNS1_11target_archE1201ELNS1_3gpuE5ELNS1_3repE0EEENS1_36merge_oddeven_config_static_selectorELNS0_4arch9wavefront6targetE1EEEvSF_,"axG",@progbits,_ZN7rocprim17ROCPRIM_400000_NS6detail17trampoline_kernelINS0_14default_configENS1_38merge_sort_block_merge_config_selectorIxNS0_10empty_typeEEEZZNS1_27merge_sort_block_merge_implIS3_PxPS5_jNS1_19radix_merge_compareILb0ELb1ExNS0_19identity_decomposerEEEEE10hipError_tT0_T1_T2_jT3_P12ihipStream_tbPNSt15iterator_traitsISE_E10value_typeEPNSK_ISF_E10value_typeEPSG_NS1_7vsmem_tEENKUlT_SE_SF_SG_E_clIS8_S8_S9_S9_EESD_ST_SE_SF_SG_EUlST_E1_NS1_11comp_targetILNS1_3genE10ELNS1_11target_archE1201ELNS1_3gpuE5ELNS1_3repE0EEENS1_36merge_oddeven_config_static_selectorELNS0_4arch9wavefront6targetE1EEEvSF_,comdat
.Lfunc_end1065:
	.size	_ZN7rocprim17ROCPRIM_400000_NS6detail17trampoline_kernelINS0_14default_configENS1_38merge_sort_block_merge_config_selectorIxNS0_10empty_typeEEEZZNS1_27merge_sort_block_merge_implIS3_PxPS5_jNS1_19radix_merge_compareILb0ELb1ExNS0_19identity_decomposerEEEEE10hipError_tT0_T1_T2_jT3_P12ihipStream_tbPNSt15iterator_traitsISE_E10value_typeEPNSK_ISF_E10value_typeEPSG_NS1_7vsmem_tEENKUlT_SE_SF_SG_E_clIS8_S8_S9_S9_EESD_ST_SE_SF_SG_EUlST_E1_NS1_11comp_targetILNS1_3genE10ELNS1_11target_archE1201ELNS1_3gpuE5ELNS1_3repE0EEENS1_36merge_oddeven_config_static_selectorELNS0_4arch9wavefront6targetE1EEEvSF_, .Lfunc_end1065-_ZN7rocprim17ROCPRIM_400000_NS6detail17trampoline_kernelINS0_14default_configENS1_38merge_sort_block_merge_config_selectorIxNS0_10empty_typeEEEZZNS1_27merge_sort_block_merge_implIS3_PxPS5_jNS1_19radix_merge_compareILb0ELb1ExNS0_19identity_decomposerEEEEE10hipError_tT0_T1_T2_jT3_P12ihipStream_tbPNSt15iterator_traitsISE_E10value_typeEPNSK_ISF_E10value_typeEPSG_NS1_7vsmem_tEENKUlT_SE_SF_SG_E_clIS8_S8_S9_S9_EESD_ST_SE_SF_SG_EUlST_E1_NS1_11comp_targetILNS1_3genE10ELNS1_11target_archE1201ELNS1_3gpuE5ELNS1_3repE0EEENS1_36merge_oddeven_config_static_selectorELNS0_4arch9wavefront6targetE1EEEvSF_
                                        ; -- End function
	.section	.AMDGPU.csdata,"",@progbits
; Kernel info:
; codeLenInByte = 0
; NumSgprs: 4
; NumVgprs: 0
; NumAgprs: 0
; TotalNumVgprs: 0
; ScratchSize: 0
; MemoryBound: 0
; FloatMode: 240
; IeeeMode: 1
; LDSByteSize: 0 bytes/workgroup (compile time only)
; SGPRBlocks: 0
; VGPRBlocks: 0
; NumSGPRsForWavesPerEU: 4
; NumVGPRsForWavesPerEU: 1
; AccumOffset: 4
; Occupancy: 8
; WaveLimiterHint : 0
; COMPUTE_PGM_RSRC2:SCRATCH_EN: 0
; COMPUTE_PGM_RSRC2:USER_SGPR: 6
; COMPUTE_PGM_RSRC2:TRAP_HANDLER: 0
; COMPUTE_PGM_RSRC2:TGID_X_EN: 1
; COMPUTE_PGM_RSRC2:TGID_Y_EN: 0
; COMPUTE_PGM_RSRC2:TGID_Z_EN: 0
; COMPUTE_PGM_RSRC2:TIDIG_COMP_CNT: 0
; COMPUTE_PGM_RSRC3_GFX90A:ACCUM_OFFSET: 0
; COMPUTE_PGM_RSRC3_GFX90A:TG_SPLIT: 0
	.section	.text._ZN7rocprim17ROCPRIM_400000_NS6detail17trampoline_kernelINS0_14default_configENS1_38merge_sort_block_merge_config_selectorIxNS0_10empty_typeEEEZZNS1_27merge_sort_block_merge_implIS3_PxPS5_jNS1_19radix_merge_compareILb0ELb1ExNS0_19identity_decomposerEEEEE10hipError_tT0_T1_T2_jT3_P12ihipStream_tbPNSt15iterator_traitsISE_E10value_typeEPNSK_ISF_E10value_typeEPSG_NS1_7vsmem_tEENKUlT_SE_SF_SG_E_clIS8_S8_S9_S9_EESD_ST_SE_SF_SG_EUlST_E1_NS1_11comp_targetILNS1_3genE5ELNS1_11target_archE942ELNS1_3gpuE9ELNS1_3repE0EEENS1_36merge_oddeven_config_static_selectorELNS0_4arch9wavefront6targetE1EEEvSF_,"axG",@progbits,_ZN7rocprim17ROCPRIM_400000_NS6detail17trampoline_kernelINS0_14default_configENS1_38merge_sort_block_merge_config_selectorIxNS0_10empty_typeEEEZZNS1_27merge_sort_block_merge_implIS3_PxPS5_jNS1_19radix_merge_compareILb0ELb1ExNS0_19identity_decomposerEEEEE10hipError_tT0_T1_T2_jT3_P12ihipStream_tbPNSt15iterator_traitsISE_E10value_typeEPNSK_ISF_E10value_typeEPSG_NS1_7vsmem_tEENKUlT_SE_SF_SG_E_clIS8_S8_S9_S9_EESD_ST_SE_SF_SG_EUlST_E1_NS1_11comp_targetILNS1_3genE5ELNS1_11target_archE942ELNS1_3gpuE9ELNS1_3repE0EEENS1_36merge_oddeven_config_static_selectorELNS0_4arch9wavefront6targetE1EEEvSF_,comdat
	.protected	_ZN7rocprim17ROCPRIM_400000_NS6detail17trampoline_kernelINS0_14default_configENS1_38merge_sort_block_merge_config_selectorIxNS0_10empty_typeEEEZZNS1_27merge_sort_block_merge_implIS3_PxPS5_jNS1_19radix_merge_compareILb0ELb1ExNS0_19identity_decomposerEEEEE10hipError_tT0_T1_T2_jT3_P12ihipStream_tbPNSt15iterator_traitsISE_E10value_typeEPNSK_ISF_E10value_typeEPSG_NS1_7vsmem_tEENKUlT_SE_SF_SG_E_clIS8_S8_S9_S9_EESD_ST_SE_SF_SG_EUlST_E1_NS1_11comp_targetILNS1_3genE5ELNS1_11target_archE942ELNS1_3gpuE9ELNS1_3repE0EEENS1_36merge_oddeven_config_static_selectorELNS0_4arch9wavefront6targetE1EEEvSF_ ; -- Begin function _ZN7rocprim17ROCPRIM_400000_NS6detail17trampoline_kernelINS0_14default_configENS1_38merge_sort_block_merge_config_selectorIxNS0_10empty_typeEEEZZNS1_27merge_sort_block_merge_implIS3_PxPS5_jNS1_19radix_merge_compareILb0ELb1ExNS0_19identity_decomposerEEEEE10hipError_tT0_T1_T2_jT3_P12ihipStream_tbPNSt15iterator_traitsISE_E10value_typeEPNSK_ISF_E10value_typeEPSG_NS1_7vsmem_tEENKUlT_SE_SF_SG_E_clIS8_S8_S9_S9_EESD_ST_SE_SF_SG_EUlST_E1_NS1_11comp_targetILNS1_3genE5ELNS1_11target_archE942ELNS1_3gpuE9ELNS1_3repE0EEENS1_36merge_oddeven_config_static_selectorELNS0_4arch9wavefront6targetE1EEEvSF_
	.globl	_ZN7rocprim17ROCPRIM_400000_NS6detail17trampoline_kernelINS0_14default_configENS1_38merge_sort_block_merge_config_selectorIxNS0_10empty_typeEEEZZNS1_27merge_sort_block_merge_implIS3_PxPS5_jNS1_19radix_merge_compareILb0ELb1ExNS0_19identity_decomposerEEEEE10hipError_tT0_T1_T2_jT3_P12ihipStream_tbPNSt15iterator_traitsISE_E10value_typeEPNSK_ISF_E10value_typeEPSG_NS1_7vsmem_tEENKUlT_SE_SF_SG_E_clIS8_S8_S9_S9_EESD_ST_SE_SF_SG_EUlST_E1_NS1_11comp_targetILNS1_3genE5ELNS1_11target_archE942ELNS1_3gpuE9ELNS1_3repE0EEENS1_36merge_oddeven_config_static_selectorELNS0_4arch9wavefront6targetE1EEEvSF_
	.p2align	8
	.type	_ZN7rocprim17ROCPRIM_400000_NS6detail17trampoline_kernelINS0_14default_configENS1_38merge_sort_block_merge_config_selectorIxNS0_10empty_typeEEEZZNS1_27merge_sort_block_merge_implIS3_PxPS5_jNS1_19radix_merge_compareILb0ELb1ExNS0_19identity_decomposerEEEEE10hipError_tT0_T1_T2_jT3_P12ihipStream_tbPNSt15iterator_traitsISE_E10value_typeEPNSK_ISF_E10value_typeEPSG_NS1_7vsmem_tEENKUlT_SE_SF_SG_E_clIS8_S8_S9_S9_EESD_ST_SE_SF_SG_EUlST_E1_NS1_11comp_targetILNS1_3genE5ELNS1_11target_archE942ELNS1_3gpuE9ELNS1_3repE0EEENS1_36merge_oddeven_config_static_selectorELNS0_4arch9wavefront6targetE1EEEvSF_,@function
_ZN7rocprim17ROCPRIM_400000_NS6detail17trampoline_kernelINS0_14default_configENS1_38merge_sort_block_merge_config_selectorIxNS0_10empty_typeEEEZZNS1_27merge_sort_block_merge_implIS3_PxPS5_jNS1_19radix_merge_compareILb0ELb1ExNS0_19identity_decomposerEEEEE10hipError_tT0_T1_T2_jT3_P12ihipStream_tbPNSt15iterator_traitsISE_E10value_typeEPNSK_ISF_E10value_typeEPSG_NS1_7vsmem_tEENKUlT_SE_SF_SG_E_clIS8_S8_S9_S9_EESD_ST_SE_SF_SG_EUlST_E1_NS1_11comp_targetILNS1_3genE5ELNS1_11target_archE942ELNS1_3gpuE9ELNS1_3repE0EEENS1_36merge_oddeven_config_static_selectorELNS0_4arch9wavefront6targetE1EEEvSF_: ; @_ZN7rocprim17ROCPRIM_400000_NS6detail17trampoline_kernelINS0_14default_configENS1_38merge_sort_block_merge_config_selectorIxNS0_10empty_typeEEEZZNS1_27merge_sort_block_merge_implIS3_PxPS5_jNS1_19radix_merge_compareILb0ELb1ExNS0_19identity_decomposerEEEEE10hipError_tT0_T1_T2_jT3_P12ihipStream_tbPNSt15iterator_traitsISE_E10value_typeEPNSK_ISF_E10value_typeEPSG_NS1_7vsmem_tEENKUlT_SE_SF_SG_E_clIS8_S8_S9_S9_EESD_ST_SE_SF_SG_EUlST_E1_NS1_11comp_targetILNS1_3genE5ELNS1_11target_archE942ELNS1_3gpuE9ELNS1_3repE0EEENS1_36merge_oddeven_config_static_selectorELNS0_4arch9wavefront6targetE1EEEvSF_
; %bb.0:
	.section	.rodata,"a",@progbits
	.p2align	6, 0x0
	.amdhsa_kernel _ZN7rocprim17ROCPRIM_400000_NS6detail17trampoline_kernelINS0_14default_configENS1_38merge_sort_block_merge_config_selectorIxNS0_10empty_typeEEEZZNS1_27merge_sort_block_merge_implIS3_PxPS5_jNS1_19radix_merge_compareILb0ELb1ExNS0_19identity_decomposerEEEEE10hipError_tT0_T1_T2_jT3_P12ihipStream_tbPNSt15iterator_traitsISE_E10value_typeEPNSK_ISF_E10value_typeEPSG_NS1_7vsmem_tEENKUlT_SE_SF_SG_E_clIS8_S8_S9_S9_EESD_ST_SE_SF_SG_EUlST_E1_NS1_11comp_targetILNS1_3genE5ELNS1_11target_archE942ELNS1_3gpuE9ELNS1_3repE0EEENS1_36merge_oddeven_config_static_selectorELNS0_4arch9wavefront6targetE1EEEvSF_
		.amdhsa_group_segment_fixed_size 0
		.amdhsa_private_segment_fixed_size 0
		.amdhsa_kernarg_size 48
		.amdhsa_user_sgpr_count 6
		.amdhsa_user_sgpr_private_segment_buffer 1
		.amdhsa_user_sgpr_dispatch_ptr 0
		.amdhsa_user_sgpr_queue_ptr 0
		.amdhsa_user_sgpr_kernarg_segment_ptr 1
		.amdhsa_user_sgpr_dispatch_id 0
		.amdhsa_user_sgpr_flat_scratch_init 0
		.amdhsa_user_sgpr_kernarg_preload_length 0
		.amdhsa_user_sgpr_kernarg_preload_offset 0
		.amdhsa_user_sgpr_private_segment_size 0
		.amdhsa_uses_dynamic_stack 0
		.amdhsa_system_sgpr_private_segment_wavefront_offset 0
		.amdhsa_system_sgpr_workgroup_id_x 1
		.amdhsa_system_sgpr_workgroup_id_y 0
		.amdhsa_system_sgpr_workgroup_id_z 0
		.amdhsa_system_sgpr_workgroup_info 0
		.amdhsa_system_vgpr_workitem_id 0
		.amdhsa_next_free_vgpr 1
		.amdhsa_next_free_sgpr 0
		.amdhsa_accum_offset 4
		.amdhsa_reserve_vcc 0
		.amdhsa_reserve_flat_scratch 0
		.amdhsa_float_round_mode_32 0
		.amdhsa_float_round_mode_16_64 0
		.amdhsa_float_denorm_mode_32 3
		.amdhsa_float_denorm_mode_16_64 3
		.amdhsa_dx10_clamp 1
		.amdhsa_ieee_mode 1
		.amdhsa_fp16_overflow 0
		.amdhsa_tg_split 0
		.amdhsa_exception_fp_ieee_invalid_op 0
		.amdhsa_exception_fp_denorm_src 0
		.amdhsa_exception_fp_ieee_div_zero 0
		.amdhsa_exception_fp_ieee_overflow 0
		.amdhsa_exception_fp_ieee_underflow 0
		.amdhsa_exception_fp_ieee_inexact 0
		.amdhsa_exception_int_div_zero 0
	.end_amdhsa_kernel
	.section	.text._ZN7rocprim17ROCPRIM_400000_NS6detail17trampoline_kernelINS0_14default_configENS1_38merge_sort_block_merge_config_selectorIxNS0_10empty_typeEEEZZNS1_27merge_sort_block_merge_implIS3_PxPS5_jNS1_19radix_merge_compareILb0ELb1ExNS0_19identity_decomposerEEEEE10hipError_tT0_T1_T2_jT3_P12ihipStream_tbPNSt15iterator_traitsISE_E10value_typeEPNSK_ISF_E10value_typeEPSG_NS1_7vsmem_tEENKUlT_SE_SF_SG_E_clIS8_S8_S9_S9_EESD_ST_SE_SF_SG_EUlST_E1_NS1_11comp_targetILNS1_3genE5ELNS1_11target_archE942ELNS1_3gpuE9ELNS1_3repE0EEENS1_36merge_oddeven_config_static_selectorELNS0_4arch9wavefront6targetE1EEEvSF_,"axG",@progbits,_ZN7rocprim17ROCPRIM_400000_NS6detail17trampoline_kernelINS0_14default_configENS1_38merge_sort_block_merge_config_selectorIxNS0_10empty_typeEEEZZNS1_27merge_sort_block_merge_implIS3_PxPS5_jNS1_19radix_merge_compareILb0ELb1ExNS0_19identity_decomposerEEEEE10hipError_tT0_T1_T2_jT3_P12ihipStream_tbPNSt15iterator_traitsISE_E10value_typeEPNSK_ISF_E10value_typeEPSG_NS1_7vsmem_tEENKUlT_SE_SF_SG_E_clIS8_S8_S9_S9_EESD_ST_SE_SF_SG_EUlST_E1_NS1_11comp_targetILNS1_3genE5ELNS1_11target_archE942ELNS1_3gpuE9ELNS1_3repE0EEENS1_36merge_oddeven_config_static_selectorELNS0_4arch9wavefront6targetE1EEEvSF_,comdat
.Lfunc_end1066:
	.size	_ZN7rocprim17ROCPRIM_400000_NS6detail17trampoline_kernelINS0_14default_configENS1_38merge_sort_block_merge_config_selectorIxNS0_10empty_typeEEEZZNS1_27merge_sort_block_merge_implIS3_PxPS5_jNS1_19radix_merge_compareILb0ELb1ExNS0_19identity_decomposerEEEEE10hipError_tT0_T1_T2_jT3_P12ihipStream_tbPNSt15iterator_traitsISE_E10value_typeEPNSK_ISF_E10value_typeEPSG_NS1_7vsmem_tEENKUlT_SE_SF_SG_E_clIS8_S8_S9_S9_EESD_ST_SE_SF_SG_EUlST_E1_NS1_11comp_targetILNS1_3genE5ELNS1_11target_archE942ELNS1_3gpuE9ELNS1_3repE0EEENS1_36merge_oddeven_config_static_selectorELNS0_4arch9wavefront6targetE1EEEvSF_, .Lfunc_end1066-_ZN7rocprim17ROCPRIM_400000_NS6detail17trampoline_kernelINS0_14default_configENS1_38merge_sort_block_merge_config_selectorIxNS0_10empty_typeEEEZZNS1_27merge_sort_block_merge_implIS3_PxPS5_jNS1_19radix_merge_compareILb0ELb1ExNS0_19identity_decomposerEEEEE10hipError_tT0_T1_T2_jT3_P12ihipStream_tbPNSt15iterator_traitsISE_E10value_typeEPNSK_ISF_E10value_typeEPSG_NS1_7vsmem_tEENKUlT_SE_SF_SG_E_clIS8_S8_S9_S9_EESD_ST_SE_SF_SG_EUlST_E1_NS1_11comp_targetILNS1_3genE5ELNS1_11target_archE942ELNS1_3gpuE9ELNS1_3repE0EEENS1_36merge_oddeven_config_static_selectorELNS0_4arch9wavefront6targetE1EEEvSF_
                                        ; -- End function
	.section	.AMDGPU.csdata,"",@progbits
; Kernel info:
; codeLenInByte = 0
; NumSgprs: 4
; NumVgprs: 0
; NumAgprs: 0
; TotalNumVgprs: 0
; ScratchSize: 0
; MemoryBound: 0
; FloatMode: 240
; IeeeMode: 1
; LDSByteSize: 0 bytes/workgroup (compile time only)
; SGPRBlocks: 0
; VGPRBlocks: 0
; NumSGPRsForWavesPerEU: 4
; NumVGPRsForWavesPerEU: 1
; AccumOffset: 4
; Occupancy: 8
; WaveLimiterHint : 0
; COMPUTE_PGM_RSRC2:SCRATCH_EN: 0
; COMPUTE_PGM_RSRC2:USER_SGPR: 6
; COMPUTE_PGM_RSRC2:TRAP_HANDLER: 0
; COMPUTE_PGM_RSRC2:TGID_X_EN: 1
; COMPUTE_PGM_RSRC2:TGID_Y_EN: 0
; COMPUTE_PGM_RSRC2:TGID_Z_EN: 0
; COMPUTE_PGM_RSRC2:TIDIG_COMP_CNT: 0
; COMPUTE_PGM_RSRC3_GFX90A:ACCUM_OFFSET: 0
; COMPUTE_PGM_RSRC3_GFX90A:TG_SPLIT: 0
	.section	.text._ZN7rocprim17ROCPRIM_400000_NS6detail17trampoline_kernelINS0_14default_configENS1_38merge_sort_block_merge_config_selectorIxNS0_10empty_typeEEEZZNS1_27merge_sort_block_merge_implIS3_PxPS5_jNS1_19radix_merge_compareILb0ELb1ExNS0_19identity_decomposerEEEEE10hipError_tT0_T1_T2_jT3_P12ihipStream_tbPNSt15iterator_traitsISE_E10value_typeEPNSK_ISF_E10value_typeEPSG_NS1_7vsmem_tEENKUlT_SE_SF_SG_E_clIS8_S8_S9_S9_EESD_ST_SE_SF_SG_EUlST_E1_NS1_11comp_targetILNS1_3genE4ELNS1_11target_archE910ELNS1_3gpuE8ELNS1_3repE0EEENS1_36merge_oddeven_config_static_selectorELNS0_4arch9wavefront6targetE1EEEvSF_,"axG",@progbits,_ZN7rocprim17ROCPRIM_400000_NS6detail17trampoline_kernelINS0_14default_configENS1_38merge_sort_block_merge_config_selectorIxNS0_10empty_typeEEEZZNS1_27merge_sort_block_merge_implIS3_PxPS5_jNS1_19radix_merge_compareILb0ELb1ExNS0_19identity_decomposerEEEEE10hipError_tT0_T1_T2_jT3_P12ihipStream_tbPNSt15iterator_traitsISE_E10value_typeEPNSK_ISF_E10value_typeEPSG_NS1_7vsmem_tEENKUlT_SE_SF_SG_E_clIS8_S8_S9_S9_EESD_ST_SE_SF_SG_EUlST_E1_NS1_11comp_targetILNS1_3genE4ELNS1_11target_archE910ELNS1_3gpuE8ELNS1_3repE0EEENS1_36merge_oddeven_config_static_selectorELNS0_4arch9wavefront6targetE1EEEvSF_,comdat
	.protected	_ZN7rocprim17ROCPRIM_400000_NS6detail17trampoline_kernelINS0_14default_configENS1_38merge_sort_block_merge_config_selectorIxNS0_10empty_typeEEEZZNS1_27merge_sort_block_merge_implIS3_PxPS5_jNS1_19radix_merge_compareILb0ELb1ExNS0_19identity_decomposerEEEEE10hipError_tT0_T1_T2_jT3_P12ihipStream_tbPNSt15iterator_traitsISE_E10value_typeEPNSK_ISF_E10value_typeEPSG_NS1_7vsmem_tEENKUlT_SE_SF_SG_E_clIS8_S8_S9_S9_EESD_ST_SE_SF_SG_EUlST_E1_NS1_11comp_targetILNS1_3genE4ELNS1_11target_archE910ELNS1_3gpuE8ELNS1_3repE0EEENS1_36merge_oddeven_config_static_selectorELNS0_4arch9wavefront6targetE1EEEvSF_ ; -- Begin function _ZN7rocprim17ROCPRIM_400000_NS6detail17trampoline_kernelINS0_14default_configENS1_38merge_sort_block_merge_config_selectorIxNS0_10empty_typeEEEZZNS1_27merge_sort_block_merge_implIS3_PxPS5_jNS1_19radix_merge_compareILb0ELb1ExNS0_19identity_decomposerEEEEE10hipError_tT0_T1_T2_jT3_P12ihipStream_tbPNSt15iterator_traitsISE_E10value_typeEPNSK_ISF_E10value_typeEPSG_NS1_7vsmem_tEENKUlT_SE_SF_SG_E_clIS8_S8_S9_S9_EESD_ST_SE_SF_SG_EUlST_E1_NS1_11comp_targetILNS1_3genE4ELNS1_11target_archE910ELNS1_3gpuE8ELNS1_3repE0EEENS1_36merge_oddeven_config_static_selectorELNS0_4arch9wavefront6targetE1EEEvSF_
	.globl	_ZN7rocprim17ROCPRIM_400000_NS6detail17trampoline_kernelINS0_14default_configENS1_38merge_sort_block_merge_config_selectorIxNS0_10empty_typeEEEZZNS1_27merge_sort_block_merge_implIS3_PxPS5_jNS1_19radix_merge_compareILb0ELb1ExNS0_19identity_decomposerEEEEE10hipError_tT0_T1_T2_jT3_P12ihipStream_tbPNSt15iterator_traitsISE_E10value_typeEPNSK_ISF_E10value_typeEPSG_NS1_7vsmem_tEENKUlT_SE_SF_SG_E_clIS8_S8_S9_S9_EESD_ST_SE_SF_SG_EUlST_E1_NS1_11comp_targetILNS1_3genE4ELNS1_11target_archE910ELNS1_3gpuE8ELNS1_3repE0EEENS1_36merge_oddeven_config_static_selectorELNS0_4arch9wavefront6targetE1EEEvSF_
	.p2align	8
	.type	_ZN7rocprim17ROCPRIM_400000_NS6detail17trampoline_kernelINS0_14default_configENS1_38merge_sort_block_merge_config_selectorIxNS0_10empty_typeEEEZZNS1_27merge_sort_block_merge_implIS3_PxPS5_jNS1_19radix_merge_compareILb0ELb1ExNS0_19identity_decomposerEEEEE10hipError_tT0_T1_T2_jT3_P12ihipStream_tbPNSt15iterator_traitsISE_E10value_typeEPNSK_ISF_E10value_typeEPSG_NS1_7vsmem_tEENKUlT_SE_SF_SG_E_clIS8_S8_S9_S9_EESD_ST_SE_SF_SG_EUlST_E1_NS1_11comp_targetILNS1_3genE4ELNS1_11target_archE910ELNS1_3gpuE8ELNS1_3repE0EEENS1_36merge_oddeven_config_static_selectorELNS0_4arch9wavefront6targetE1EEEvSF_,@function
_ZN7rocprim17ROCPRIM_400000_NS6detail17trampoline_kernelINS0_14default_configENS1_38merge_sort_block_merge_config_selectorIxNS0_10empty_typeEEEZZNS1_27merge_sort_block_merge_implIS3_PxPS5_jNS1_19radix_merge_compareILb0ELb1ExNS0_19identity_decomposerEEEEE10hipError_tT0_T1_T2_jT3_P12ihipStream_tbPNSt15iterator_traitsISE_E10value_typeEPNSK_ISF_E10value_typeEPSG_NS1_7vsmem_tEENKUlT_SE_SF_SG_E_clIS8_S8_S9_S9_EESD_ST_SE_SF_SG_EUlST_E1_NS1_11comp_targetILNS1_3genE4ELNS1_11target_archE910ELNS1_3gpuE8ELNS1_3repE0EEENS1_36merge_oddeven_config_static_selectorELNS0_4arch9wavefront6targetE1EEEvSF_: ; @_ZN7rocprim17ROCPRIM_400000_NS6detail17trampoline_kernelINS0_14default_configENS1_38merge_sort_block_merge_config_selectorIxNS0_10empty_typeEEEZZNS1_27merge_sort_block_merge_implIS3_PxPS5_jNS1_19radix_merge_compareILb0ELb1ExNS0_19identity_decomposerEEEEE10hipError_tT0_T1_T2_jT3_P12ihipStream_tbPNSt15iterator_traitsISE_E10value_typeEPNSK_ISF_E10value_typeEPSG_NS1_7vsmem_tEENKUlT_SE_SF_SG_E_clIS8_S8_S9_S9_EESD_ST_SE_SF_SG_EUlST_E1_NS1_11comp_targetILNS1_3genE4ELNS1_11target_archE910ELNS1_3gpuE8ELNS1_3repE0EEENS1_36merge_oddeven_config_static_selectorELNS0_4arch9wavefront6targetE1EEEvSF_
; %bb.0:
	s_load_dword s18, s[4:5], 0x20
	s_waitcnt lgkmcnt(0)
	s_lshr_b32 s0, s18, 8
	s_cmp_lg_u32 s6, s0
	s_cselect_b64 s[14:15], -1, 0
	s_cmp_eq_u32 s6, s0
	s_cselect_b64 s[12:13], -1, 0
	s_lshl_b32 s16, s6, 8
	s_sub_i32 s0, s18, s16
	v_cmp_gt_u32_e64 s[2:3], s0, v0
	s_or_b64 s[0:1], s[14:15], s[2:3]
	s_and_saveexec_b64 s[8:9], s[0:1]
	s_cbranch_execz .LBB1067_20
; %bb.1:
	s_load_dwordx4 s[8:11], s[4:5], 0x0
	s_load_dword s19, s[4:5], 0x24
	s_mov_b32 s17, 0
	s_lshl_b64 s[0:1], s[16:17], 3
	v_lshlrev_b32_e32 v1, 3, v0
	s_waitcnt lgkmcnt(0)
	s_add_u32 s0, s8, s0
	s_addc_u32 s1, s9, s1
	global_load_dwordx2 v[2:3], v1, s[0:1]
	s_lshr_b32 s0, s19, 8
	s_sub_i32 s1, 0, s0
	s_and_b32 s1, s6, s1
	s_and_b32 s0, s1, s0
	s_lshl_b32 s20, s1, 8
	s_sub_i32 s17, 0, s19
	s_cmp_eq_u32 s0, 0
	s_cselect_b64 s[0:1], -1, 0
	s_and_b64 s[6:7], s[0:1], exec
	s_cselect_b32 s17, s19, s17
	s_add_i32 s17, s17, s20
	s_cmp_lt_u32 s17, s18
	v_add_u32_e32 v0, s16, v0
	s_cbranch_scc1 .LBB1067_3
; %bb.2:
	v_cmp_gt_u32_e32 vcc, s18, v0
	s_or_b64 s[6:7], vcc, s[14:15]
	s_and_b64 s[6:7], s[6:7], exec
	s_cbranch_execz .LBB1067_4
	s_branch .LBB1067_18
.LBB1067_3:
	s_mov_b64 s[6:7], 0
.LBB1067_4:
	s_load_dwordx2 s[4:5], s[4:5], 0x28
	s_min_u32 s14, s17, s18
	s_min_u32 s16, s20, s14
	s_add_i32 s20, s20, s14
	s_add_i32 s15, s14, s19
	v_subrev_u32_e32 v0, s20, v0
	s_min_u32 s15, s15, s18
	v_add_u32_e32 v6, s16, v0
	s_and_b64 vcc, exec, s[12:13]
	s_cbranch_vccz .LBB1067_12
; %bb.5:
                                        ; implicit-def: $vgpr0
	s_and_saveexec_b64 s[12:13], s[2:3]
	s_cbranch_execz .LBB1067_11
; %bb.6:
	s_cmp_ge_u32 s17, s15
	v_mov_b32_e32 v7, s14
	s_cbranch_scc1 .LBB1067_10
; %bb.7:
	s_waitcnt vmcnt(0) lgkmcnt(0)
	v_and_b32_e32 v1, s5, v3
	v_and_b32_e32 v0, s4, v2
	s_mov_b64 s[2:3], 0
	v_mov_b32_e32 v8, s15
	v_mov_b32_e32 v7, s14
	v_mov_b32_e32 v5, 0
	v_mov_b32_e32 v9, s9
.LBB1067_8:                             ; =>This Inner Loop Header: Depth=1
	v_add_u32_e32 v4, v7, v8
	v_lshrrev_b32_e32 v4, 1, v4
	v_lshlrev_b64 v[10:11], 3, v[4:5]
	v_add_co_u32_e32 v10, vcc, s8, v10
	v_addc_co_u32_e32 v11, vcc, v9, v11, vcc
	global_load_dwordx2 v[10:11], v[10:11], off
	v_add_u32_e32 v12, 1, v4
	s_waitcnt vmcnt(0)
	v_and_b32_e32 v11, s5, v11
	v_and_b32_e32 v10, s4, v10
	v_cmp_gt_i64_e32 vcc, v[0:1], v[10:11]
	v_cndmask_b32_e64 v13, 0, 1, vcc
	v_cmp_le_i64_e32 vcc, v[10:11], v[0:1]
	v_cndmask_b32_e64 v10, 0, 1, vcc
	v_cndmask_b32_e64 v10, v10, v13, s[0:1]
	v_and_b32_e32 v10, 1, v10
	v_cmp_eq_u32_e32 vcc, 1, v10
	v_cndmask_b32_e32 v8, v4, v8, vcc
	v_cndmask_b32_e32 v7, v7, v12, vcc
	v_cmp_ge_u32_e32 vcc, v7, v8
	s_or_b64 s[2:3], vcc, s[2:3]
	s_andn2_b64 exec, exec, s[2:3]
	s_cbranch_execnz .LBB1067_8
; %bb.9:
	s_or_b64 exec, exec, s[2:3]
.LBB1067_10:
	v_add_u32_e32 v0, v7, v6
	s_or_b64 s[6:7], s[6:7], exec
.LBB1067_11:
	s_or_b64 exec, exec, s[12:13]
	s_branch .LBB1067_18
.LBB1067_12:
                                        ; implicit-def: $vgpr0
	s_cbranch_execz .LBB1067_18
; %bb.13:
	s_cmp_ge_u32 s17, s15
	v_mov_b32_e32 v7, s14
	s_cbranch_scc1 .LBB1067_17
; %bb.14:
	s_waitcnt vmcnt(0) lgkmcnt(0)
	v_and_b32_e32 v1, s5, v3
	v_and_b32_e32 v0, s4, v2
	s_mov_b64 s[2:3], 0
	v_mov_b32_e32 v8, s15
	v_mov_b32_e32 v7, s14
	;; [unrolled: 1-line block ×4, first 2 shown]
.LBB1067_15:                            ; =>This Inner Loop Header: Depth=1
	v_add_u32_e32 v4, v7, v8
	v_lshrrev_b32_e32 v4, 1, v4
	v_lshlrev_b64 v[10:11], 3, v[4:5]
	v_add_co_u32_e32 v10, vcc, s8, v10
	v_addc_co_u32_e32 v11, vcc, v9, v11, vcc
	global_load_dwordx2 v[10:11], v[10:11], off
	v_add_u32_e32 v12, 1, v4
	s_waitcnt vmcnt(0)
	v_and_b32_e32 v11, s5, v11
	v_and_b32_e32 v10, s4, v10
	v_cmp_gt_i64_e32 vcc, v[0:1], v[10:11]
	v_cndmask_b32_e64 v13, 0, 1, vcc
	v_cmp_le_i64_e32 vcc, v[10:11], v[0:1]
	v_cndmask_b32_e64 v10, 0, 1, vcc
	v_cndmask_b32_e64 v10, v10, v13, s[0:1]
	v_and_b32_e32 v10, 1, v10
	v_cmp_eq_u32_e32 vcc, 1, v10
	v_cndmask_b32_e32 v8, v4, v8, vcc
	v_cndmask_b32_e32 v7, v7, v12, vcc
	v_cmp_ge_u32_e32 vcc, v7, v8
	s_or_b64 s[2:3], vcc, s[2:3]
	s_andn2_b64 exec, exec, s[2:3]
	s_cbranch_execnz .LBB1067_15
; %bb.16:
	s_or_b64 exec, exec, s[2:3]
.LBB1067_17:
	v_add_u32_e32 v0, v7, v6
	s_mov_b64 s[6:7], -1
.LBB1067_18:
	s_and_b64 exec, exec, s[6:7]
	s_cbranch_execz .LBB1067_20
; %bb.19:
	v_mov_b32_e32 v1, 0
	v_lshlrev_b64 v[0:1], 3, v[0:1]
	v_mov_b32_e32 v4, s11
	v_add_co_u32_e32 v0, vcc, s10, v0
	v_addc_co_u32_e32 v1, vcc, v4, v1, vcc
	s_waitcnt vmcnt(0)
	global_store_dwordx2 v[0:1], v[2:3], off
.LBB1067_20:
	s_endpgm
	.section	.rodata,"a",@progbits
	.p2align	6, 0x0
	.amdhsa_kernel _ZN7rocprim17ROCPRIM_400000_NS6detail17trampoline_kernelINS0_14default_configENS1_38merge_sort_block_merge_config_selectorIxNS0_10empty_typeEEEZZNS1_27merge_sort_block_merge_implIS3_PxPS5_jNS1_19radix_merge_compareILb0ELb1ExNS0_19identity_decomposerEEEEE10hipError_tT0_T1_T2_jT3_P12ihipStream_tbPNSt15iterator_traitsISE_E10value_typeEPNSK_ISF_E10value_typeEPSG_NS1_7vsmem_tEENKUlT_SE_SF_SG_E_clIS8_S8_S9_S9_EESD_ST_SE_SF_SG_EUlST_E1_NS1_11comp_targetILNS1_3genE4ELNS1_11target_archE910ELNS1_3gpuE8ELNS1_3repE0EEENS1_36merge_oddeven_config_static_selectorELNS0_4arch9wavefront6targetE1EEEvSF_
		.amdhsa_group_segment_fixed_size 0
		.amdhsa_private_segment_fixed_size 0
		.amdhsa_kernarg_size 48
		.amdhsa_user_sgpr_count 6
		.amdhsa_user_sgpr_private_segment_buffer 1
		.amdhsa_user_sgpr_dispatch_ptr 0
		.amdhsa_user_sgpr_queue_ptr 0
		.amdhsa_user_sgpr_kernarg_segment_ptr 1
		.amdhsa_user_sgpr_dispatch_id 0
		.amdhsa_user_sgpr_flat_scratch_init 0
		.amdhsa_user_sgpr_kernarg_preload_length 0
		.amdhsa_user_sgpr_kernarg_preload_offset 0
		.amdhsa_user_sgpr_private_segment_size 0
		.amdhsa_uses_dynamic_stack 0
		.amdhsa_system_sgpr_private_segment_wavefront_offset 0
		.amdhsa_system_sgpr_workgroup_id_x 1
		.amdhsa_system_sgpr_workgroup_id_y 0
		.amdhsa_system_sgpr_workgroup_id_z 0
		.amdhsa_system_sgpr_workgroup_info 0
		.amdhsa_system_vgpr_workitem_id 0
		.amdhsa_next_free_vgpr 14
		.amdhsa_next_free_sgpr 21
		.amdhsa_accum_offset 16
		.amdhsa_reserve_vcc 1
		.amdhsa_reserve_flat_scratch 0
		.amdhsa_float_round_mode_32 0
		.amdhsa_float_round_mode_16_64 0
		.amdhsa_float_denorm_mode_32 3
		.amdhsa_float_denorm_mode_16_64 3
		.amdhsa_dx10_clamp 1
		.amdhsa_ieee_mode 1
		.amdhsa_fp16_overflow 0
		.amdhsa_tg_split 0
		.amdhsa_exception_fp_ieee_invalid_op 0
		.amdhsa_exception_fp_denorm_src 0
		.amdhsa_exception_fp_ieee_div_zero 0
		.amdhsa_exception_fp_ieee_overflow 0
		.amdhsa_exception_fp_ieee_underflow 0
		.amdhsa_exception_fp_ieee_inexact 0
		.amdhsa_exception_int_div_zero 0
	.end_amdhsa_kernel
	.section	.text._ZN7rocprim17ROCPRIM_400000_NS6detail17trampoline_kernelINS0_14default_configENS1_38merge_sort_block_merge_config_selectorIxNS0_10empty_typeEEEZZNS1_27merge_sort_block_merge_implIS3_PxPS5_jNS1_19radix_merge_compareILb0ELb1ExNS0_19identity_decomposerEEEEE10hipError_tT0_T1_T2_jT3_P12ihipStream_tbPNSt15iterator_traitsISE_E10value_typeEPNSK_ISF_E10value_typeEPSG_NS1_7vsmem_tEENKUlT_SE_SF_SG_E_clIS8_S8_S9_S9_EESD_ST_SE_SF_SG_EUlST_E1_NS1_11comp_targetILNS1_3genE4ELNS1_11target_archE910ELNS1_3gpuE8ELNS1_3repE0EEENS1_36merge_oddeven_config_static_selectorELNS0_4arch9wavefront6targetE1EEEvSF_,"axG",@progbits,_ZN7rocprim17ROCPRIM_400000_NS6detail17trampoline_kernelINS0_14default_configENS1_38merge_sort_block_merge_config_selectorIxNS0_10empty_typeEEEZZNS1_27merge_sort_block_merge_implIS3_PxPS5_jNS1_19radix_merge_compareILb0ELb1ExNS0_19identity_decomposerEEEEE10hipError_tT0_T1_T2_jT3_P12ihipStream_tbPNSt15iterator_traitsISE_E10value_typeEPNSK_ISF_E10value_typeEPSG_NS1_7vsmem_tEENKUlT_SE_SF_SG_E_clIS8_S8_S9_S9_EESD_ST_SE_SF_SG_EUlST_E1_NS1_11comp_targetILNS1_3genE4ELNS1_11target_archE910ELNS1_3gpuE8ELNS1_3repE0EEENS1_36merge_oddeven_config_static_selectorELNS0_4arch9wavefront6targetE1EEEvSF_,comdat
.Lfunc_end1067:
	.size	_ZN7rocprim17ROCPRIM_400000_NS6detail17trampoline_kernelINS0_14default_configENS1_38merge_sort_block_merge_config_selectorIxNS0_10empty_typeEEEZZNS1_27merge_sort_block_merge_implIS3_PxPS5_jNS1_19radix_merge_compareILb0ELb1ExNS0_19identity_decomposerEEEEE10hipError_tT0_T1_T2_jT3_P12ihipStream_tbPNSt15iterator_traitsISE_E10value_typeEPNSK_ISF_E10value_typeEPSG_NS1_7vsmem_tEENKUlT_SE_SF_SG_E_clIS8_S8_S9_S9_EESD_ST_SE_SF_SG_EUlST_E1_NS1_11comp_targetILNS1_3genE4ELNS1_11target_archE910ELNS1_3gpuE8ELNS1_3repE0EEENS1_36merge_oddeven_config_static_selectorELNS0_4arch9wavefront6targetE1EEEvSF_, .Lfunc_end1067-_ZN7rocprim17ROCPRIM_400000_NS6detail17trampoline_kernelINS0_14default_configENS1_38merge_sort_block_merge_config_selectorIxNS0_10empty_typeEEEZZNS1_27merge_sort_block_merge_implIS3_PxPS5_jNS1_19radix_merge_compareILb0ELb1ExNS0_19identity_decomposerEEEEE10hipError_tT0_T1_T2_jT3_P12ihipStream_tbPNSt15iterator_traitsISE_E10value_typeEPNSK_ISF_E10value_typeEPSG_NS1_7vsmem_tEENKUlT_SE_SF_SG_E_clIS8_S8_S9_S9_EESD_ST_SE_SF_SG_EUlST_E1_NS1_11comp_targetILNS1_3genE4ELNS1_11target_archE910ELNS1_3gpuE8ELNS1_3repE0EEENS1_36merge_oddeven_config_static_selectorELNS0_4arch9wavefront6targetE1EEEvSF_
                                        ; -- End function
	.section	.AMDGPU.csdata,"",@progbits
; Kernel info:
; codeLenInByte = 636
; NumSgprs: 25
; NumVgprs: 14
; NumAgprs: 0
; TotalNumVgprs: 14
; ScratchSize: 0
; MemoryBound: 0
; FloatMode: 240
; IeeeMode: 1
; LDSByteSize: 0 bytes/workgroup (compile time only)
; SGPRBlocks: 3
; VGPRBlocks: 1
; NumSGPRsForWavesPerEU: 25
; NumVGPRsForWavesPerEU: 14
; AccumOffset: 16
; Occupancy: 8
; WaveLimiterHint : 0
; COMPUTE_PGM_RSRC2:SCRATCH_EN: 0
; COMPUTE_PGM_RSRC2:USER_SGPR: 6
; COMPUTE_PGM_RSRC2:TRAP_HANDLER: 0
; COMPUTE_PGM_RSRC2:TGID_X_EN: 1
; COMPUTE_PGM_RSRC2:TGID_Y_EN: 0
; COMPUTE_PGM_RSRC2:TGID_Z_EN: 0
; COMPUTE_PGM_RSRC2:TIDIG_COMP_CNT: 0
; COMPUTE_PGM_RSRC3_GFX90A:ACCUM_OFFSET: 3
; COMPUTE_PGM_RSRC3_GFX90A:TG_SPLIT: 0
	.section	.text._ZN7rocprim17ROCPRIM_400000_NS6detail17trampoline_kernelINS0_14default_configENS1_38merge_sort_block_merge_config_selectorIxNS0_10empty_typeEEEZZNS1_27merge_sort_block_merge_implIS3_PxPS5_jNS1_19radix_merge_compareILb0ELb1ExNS0_19identity_decomposerEEEEE10hipError_tT0_T1_T2_jT3_P12ihipStream_tbPNSt15iterator_traitsISE_E10value_typeEPNSK_ISF_E10value_typeEPSG_NS1_7vsmem_tEENKUlT_SE_SF_SG_E_clIS8_S8_S9_S9_EESD_ST_SE_SF_SG_EUlST_E1_NS1_11comp_targetILNS1_3genE3ELNS1_11target_archE908ELNS1_3gpuE7ELNS1_3repE0EEENS1_36merge_oddeven_config_static_selectorELNS0_4arch9wavefront6targetE1EEEvSF_,"axG",@progbits,_ZN7rocprim17ROCPRIM_400000_NS6detail17trampoline_kernelINS0_14default_configENS1_38merge_sort_block_merge_config_selectorIxNS0_10empty_typeEEEZZNS1_27merge_sort_block_merge_implIS3_PxPS5_jNS1_19radix_merge_compareILb0ELb1ExNS0_19identity_decomposerEEEEE10hipError_tT0_T1_T2_jT3_P12ihipStream_tbPNSt15iterator_traitsISE_E10value_typeEPNSK_ISF_E10value_typeEPSG_NS1_7vsmem_tEENKUlT_SE_SF_SG_E_clIS8_S8_S9_S9_EESD_ST_SE_SF_SG_EUlST_E1_NS1_11comp_targetILNS1_3genE3ELNS1_11target_archE908ELNS1_3gpuE7ELNS1_3repE0EEENS1_36merge_oddeven_config_static_selectorELNS0_4arch9wavefront6targetE1EEEvSF_,comdat
	.protected	_ZN7rocprim17ROCPRIM_400000_NS6detail17trampoline_kernelINS0_14default_configENS1_38merge_sort_block_merge_config_selectorIxNS0_10empty_typeEEEZZNS1_27merge_sort_block_merge_implIS3_PxPS5_jNS1_19radix_merge_compareILb0ELb1ExNS0_19identity_decomposerEEEEE10hipError_tT0_T1_T2_jT3_P12ihipStream_tbPNSt15iterator_traitsISE_E10value_typeEPNSK_ISF_E10value_typeEPSG_NS1_7vsmem_tEENKUlT_SE_SF_SG_E_clIS8_S8_S9_S9_EESD_ST_SE_SF_SG_EUlST_E1_NS1_11comp_targetILNS1_3genE3ELNS1_11target_archE908ELNS1_3gpuE7ELNS1_3repE0EEENS1_36merge_oddeven_config_static_selectorELNS0_4arch9wavefront6targetE1EEEvSF_ ; -- Begin function _ZN7rocprim17ROCPRIM_400000_NS6detail17trampoline_kernelINS0_14default_configENS1_38merge_sort_block_merge_config_selectorIxNS0_10empty_typeEEEZZNS1_27merge_sort_block_merge_implIS3_PxPS5_jNS1_19radix_merge_compareILb0ELb1ExNS0_19identity_decomposerEEEEE10hipError_tT0_T1_T2_jT3_P12ihipStream_tbPNSt15iterator_traitsISE_E10value_typeEPNSK_ISF_E10value_typeEPSG_NS1_7vsmem_tEENKUlT_SE_SF_SG_E_clIS8_S8_S9_S9_EESD_ST_SE_SF_SG_EUlST_E1_NS1_11comp_targetILNS1_3genE3ELNS1_11target_archE908ELNS1_3gpuE7ELNS1_3repE0EEENS1_36merge_oddeven_config_static_selectorELNS0_4arch9wavefront6targetE1EEEvSF_
	.globl	_ZN7rocprim17ROCPRIM_400000_NS6detail17trampoline_kernelINS0_14default_configENS1_38merge_sort_block_merge_config_selectorIxNS0_10empty_typeEEEZZNS1_27merge_sort_block_merge_implIS3_PxPS5_jNS1_19radix_merge_compareILb0ELb1ExNS0_19identity_decomposerEEEEE10hipError_tT0_T1_T2_jT3_P12ihipStream_tbPNSt15iterator_traitsISE_E10value_typeEPNSK_ISF_E10value_typeEPSG_NS1_7vsmem_tEENKUlT_SE_SF_SG_E_clIS8_S8_S9_S9_EESD_ST_SE_SF_SG_EUlST_E1_NS1_11comp_targetILNS1_3genE3ELNS1_11target_archE908ELNS1_3gpuE7ELNS1_3repE0EEENS1_36merge_oddeven_config_static_selectorELNS0_4arch9wavefront6targetE1EEEvSF_
	.p2align	8
	.type	_ZN7rocprim17ROCPRIM_400000_NS6detail17trampoline_kernelINS0_14default_configENS1_38merge_sort_block_merge_config_selectorIxNS0_10empty_typeEEEZZNS1_27merge_sort_block_merge_implIS3_PxPS5_jNS1_19radix_merge_compareILb0ELb1ExNS0_19identity_decomposerEEEEE10hipError_tT0_T1_T2_jT3_P12ihipStream_tbPNSt15iterator_traitsISE_E10value_typeEPNSK_ISF_E10value_typeEPSG_NS1_7vsmem_tEENKUlT_SE_SF_SG_E_clIS8_S8_S9_S9_EESD_ST_SE_SF_SG_EUlST_E1_NS1_11comp_targetILNS1_3genE3ELNS1_11target_archE908ELNS1_3gpuE7ELNS1_3repE0EEENS1_36merge_oddeven_config_static_selectorELNS0_4arch9wavefront6targetE1EEEvSF_,@function
_ZN7rocprim17ROCPRIM_400000_NS6detail17trampoline_kernelINS0_14default_configENS1_38merge_sort_block_merge_config_selectorIxNS0_10empty_typeEEEZZNS1_27merge_sort_block_merge_implIS3_PxPS5_jNS1_19radix_merge_compareILb0ELb1ExNS0_19identity_decomposerEEEEE10hipError_tT0_T1_T2_jT3_P12ihipStream_tbPNSt15iterator_traitsISE_E10value_typeEPNSK_ISF_E10value_typeEPSG_NS1_7vsmem_tEENKUlT_SE_SF_SG_E_clIS8_S8_S9_S9_EESD_ST_SE_SF_SG_EUlST_E1_NS1_11comp_targetILNS1_3genE3ELNS1_11target_archE908ELNS1_3gpuE7ELNS1_3repE0EEENS1_36merge_oddeven_config_static_selectorELNS0_4arch9wavefront6targetE1EEEvSF_: ; @_ZN7rocprim17ROCPRIM_400000_NS6detail17trampoline_kernelINS0_14default_configENS1_38merge_sort_block_merge_config_selectorIxNS0_10empty_typeEEEZZNS1_27merge_sort_block_merge_implIS3_PxPS5_jNS1_19radix_merge_compareILb0ELb1ExNS0_19identity_decomposerEEEEE10hipError_tT0_T1_T2_jT3_P12ihipStream_tbPNSt15iterator_traitsISE_E10value_typeEPNSK_ISF_E10value_typeEPSG_NS1_7vsmem_tEENKUlT_SE_SF_SG_E_clIS8_S8_S9_S9_EESD_ST_SE_SF_SG_EUlST_E1_NS1_11comp_targetILNS1_3genE3ELNS1_11target_archE908ELNS1_3gpuE7ELNS1_3repE0EEENS1_36merge_oddeven_config_static_selectorELNS0_4arch9wavefront6targetE1EEEvSF_
; %bb.0:
	.section	.rodata,"a",@progbits
	.p2align	6, 0x0
	.amdhsa_kernel _ZN7rocprim17ROCPRIM_400000_NS6detail17trampoline_kernelINS0_14default_configENS1_38merge_sort_block_merge_config_selectorIxNS0_10empty_typeEEEZZNS1_27merge_sort_block_merge_implIS3_PxPS5_jNS1_19radix_merge_compareILb0ELb1ExNS0_19identity_decomposerEEEEE10hipError_tT0_T1_T2_jT3_P12ihipStream_tbPNSt15iterator_traitsISE_E10value_typeEPNSK_ISF_E10value_typeEPSG_NS1_7vsmem_tEENKUlT_SE_SF_SG_E_clIS8_S8_S9_S9_EESD_ST_SE_SF_SG_EUlST_E1_NS1_11comp_targetILNS1_3genE3ELNS1_11target_archE908ELNS1_3gpuE7ELNS1_3repE0EEENS1_36merge_oddeven_config_static_selectorELNS0_4arch9wavefront6targetE1EEEvSF_
		.amdhsa_group_segment_fixed_size 0
		.amdhsa_private_segment_fixed_size 0
		.amdhsa_kernarg_size 48
		.amdhsa_user_sgpr_count 6
		.amdhsa_user_sgpr_private_segment_buffer 1
		.amdhsa_user_sgpr_dispatch_ptr 0
		.amdhsa_user_sgpr_queue_ptr 0
		.amdhsa_user_sgpr_kernarg_segment_ptr 1
		.amdhsa_user_sgpr_dispatch_id 0
		.amdhsa_user_sgpr_flat_scratch_init 0
		.amdhsa_user_sgpr_kernarg_preload_length 0
		.amdhsa_user_sgpr_kernarg_preload_offset 0
		.amdhsa_user_sgpr_private_segment_size 0
		.amdhsa_uses_dynamic_stack 0
		.amdhsa_system_sgpr_private_segment_wavefront_offset 0
		.amdhsa_system_sgpr_workgroup_id_x 1
		.amdhsa_system_sgpr_workgroup_id_y 0
		.amdhsa_system_sgpr_workgroup_id_z 0
		.amdhsa_system_sgpr_workgroup_info 0
		.amdhsa_system_vgpr_workitem_id 0
		.amdhsa_next_free_vgpr 1
		.amdhsa_next_free_sgpr 0
		.amdhsa_accum_offset 4
		.amdhsa_reserve_vcc 0
		.amdhsa_reserve_flat_scratch 0
		.amdhsa_float_round_mode_32 0
		.amdhsa_float_round_mode_16_64 0
		.amdhsa_float_denorm_mode_32 3
		.amdhsa_float_denorm_mode_16_64 3
		.amdhsa_dx10_clamp 1
		.amdhsa_ieee_mode 1
		.amdhsa_fp16_overflow 0
		.amdhsa_tg_split 0
		.amdhsa_exception_fp_ieee_invalid_op 0
		.amdhsa_exception_fp_denorm_src 0
		.amdhsa_exception_fp_ieee_div_zero 0
		.amdhsa_exception_fp_ieee_overflow 0
		.amdhsa_exception_fp_ieee_underflow 0
		.amdhsa_exception_fp_ieee_inexact 0
		.amdhsa_exception_int_div_zero 0
	.end_amdhsa_kernel
	.section	.text._ZN7rocprim17ROCPRIM_400000_NS6detail17trampoline_kernelINS0_14default_configENS1_38merge_sort_block_merge_config_selectorIxNS0_10empty_typeEEEZZNS1_27merge_sort_block_merge_implIS3_PxPS5_jNS1_19radix_merge_compareILb0ELb1ExNS0_19identity_decomposerEEEEE10hipError_tT0_T1_T2_jT3_P12ihipStream_tbPNSt15iterator_traitsISE_E10value_typeEPNSK_ISF_E10value_typeEPSG_NS1_7vsmem_tEENKUlT_SE_SF_SG_E_clIS8_S8_S9_S9_EESD_ST_SE_SF_SG_EUlST_E1_NS1_11comp_targetILNS1_3genE3ELNS1_11target_archE908ELNS1_3gpuE7ELNS1_3repE0EEENS1_36merge_oddeven_config_static_selectorELNS0_4arch9wavefront6targetE1EEEvSF_,"axG",@progbits,_ZN7rocprim17ROCPRIM_400000_NS6detail17trampoline_kernelINS0_14default_configENS1_38merge_sort_block_merge_config_selectorIxNS0_10empty_typeEEEZZNS1_27merge_sort_block_merge_implIS3_PxPS5_jNS1_19radix_merge_compareILb0ELb1ExNS0_19identity_decomposerEEEEE10hipError_tT0_T1_T2_jT3_P12ihipStream_tbPNSt15iterator_traitsISE_E10value_typeEPNSK_ISF_E10value_typeEPSG_NS1_7vsmem_tEENKUlT_SE_SF_SG_E_clIS8_S8_S9_S9_EESD_ST_SE_SF_SG_EUlST_E1_NS1_11comp_targetILNS1_3genE3ELNS1_11target_archE908ELNS1_3gpuE7ELNS1_3repE0EEENS1_36merge_oddeven_config_static_selectorELNS0_4arch9wavefront6targetE1EEEvSF_,comdat
.Lfunc_end1068:
	.size	_ZN7rocprim17ROCPRIM_400000_NS6detail17trampoline_kernelINS0_14default_configENS1_38merge_sort_block_merge_config_selectorIxNS0_10empty_typeEEEZZNS1_27merge_sort_block_merge_implIS3_PxPS5_jNS1_19radix_merge_compareILb0ELb1ExNS0_19identity_decomposerEEEEE10hipError_tT0_T1_T2_jT3_P12ihipStream_tbPNSt15iterator_traitsISE_E10value_typeEPNSK_ISF_E10value_typeEPSG_NS1_7vsmem_tEENKUlT_SE_SF_SG_E_clIS8_S8_S9_S9_EESD_ST_SE_SF_SG_EUlST_E1_NS1_11comp_targetILNS1_3genE3ELNS1_11target_archE908ELNS1_3gpuE7ELNS1_3repE0EEENS1_36merge_oddeven_config_static_selectorELNS0_4arch9wavefront6targetE1EEEvSF_, .Lfunc_end1068-_ZN7rocprim17ROCPRIM_400000_NS6detail17trampoline_kernelINS0_14default_configENS1_38merge_sort_block_merge_config_selectorIxNS0_10empty_typeEEEZZNS1_27merge_sort_block_merge_implIS3_PxPS5_jNS1_19radix_merge_compareILb0ELb1ExNS0_19identity_decomposerEEEEE10hipError_tT0_T1_T2_jT3_P12ihipStream_tbPNSt15iterator_traitsISE_E10value_typeEPNSK_ISF_E10value_typeEPSG_NS1_7vsmem_tEENKUlT_SE_SF_SG_E_clIS8_S8_S9_S9_EESD_ST_SE_SF_SG_EUlST_E1_NS1_11comp_targetILNS1_3genE3ELNS1_11target_archE908ELNS1_3gpuE7ELNS1_3repE0EEENS1_36merge_oddeven_config_static_selectorELNS0_4arch9wavefront6targetE1EEEvSF_
                                        ; -- End function
	.section	.AMDGPU.csdata,"",@progbits
; Kernel info:
; codeLenInByte = 0
; NumSgprs: 4
; NumVgprs: 0
; NumAgprs: 0
; TotalNumVgprs: 0
; ScratchSize: 0
; MemoryBound: 0
; FloatMode: 240
; IeeeMode: 1
; LDSByteSize: 0 bytes/workgroup (compile time only)
; SGPRBlocks: 0
; VGPRBlocks: 0
; NumSGPRsForWavesPerEU: 4
; NumVGPRsForWavesPerEU: 1
; AccumOffset: 4
; Occupancy: 8
; WaveLimiterHint : 0
; COMPUTE_PGM_RSRC2:SCRATCH_EN: 0
; COMPUTE_PGM_RSRC2:USER_SGPR: 6
; COMPUTE_PGM_RSRC2:TRAP_HANDLER: 0
; COMPUTE_PGM_RSRC2:TGID_X_EN: 1
; COMPUTE_PGM_RSRC2:TGID_Y_EN: 0
; COMPUTE_PGM_RSRC2:TGID_Z_EN: 0
; COMPUTE_PGM_RSRC2:TIDIG_COMP_CNT: 0
; COMPUTE_PGM_RSRC3_GFX90A:ACCUM_OFFSET: 0
; COMPUTE_PGM_RSRC3_GFX90A:TG_SPLIT: 0
	.section	.text._ZN7rocprim17ROCPRIM_400000_NS6detail17trampoline_kernelINS0_14default_configENS1_38merge_sort_block_merge_config_selectorIxNS0_10empty_typeEEEZZNS1_27merge_sort_block_merge_implIS3_PxPS5_jNS1_19radix_merge_compareILb0ELb1ExNS0_19identity_decomposerEEEEE10hipError_tT0_T1_T2_jT3_P12ihipStream_tbPNSt15iterator_traitsISE_E10value_typeEPNSK_ISF_E10value_typeEPSG_NS1_7vsmem_tEENKUlT_SE_SF_SG_E_clIS8_S8_S9_S9_EESD_ST_SE_SF_SG_EUlST_E1_NS1_11comp_targetILNS1_3genE2ELNS1_11target_archE906ELNS1_3gpuE6ELNS1_3repE0EEENS1_36merge_oddeven_config_static_selectorELNS0_4arch9wavefront6targetE1EEEvSF_,"axG",@progbits,_ZN7rocprim17ROCPRIM_400000_NS6detail17trampoline_kernelINS0_14default_configENS1_38merge_sort_block_merge_config_selectorIxNS0_10empty_typeEEEZZNS1_27merge_sort_block_merge_implIS3_PxPS5_jNS1_19radix_merge_compareILb0ELb1ExNS0_19identity_decomposerEEEEE10hipError_tT0_T1_T2_jT3_P12ihipStream_tbPNSt15iterator_traitsISE_E10value_typeEPNSK_ISF_E10value_typeEPSG_NS1_7vsmem_tEENKUlT_SE_SF_SG_E_clIS8_S8_S9_S9_EESD_ST_SE_SF_SG_EUlST_E1_NS1_11comp_targetILNS1_3genE2ELNS1_11target_archE906ELNS1_3gpuE6ELNS1_3repE0EEENS1_36merge_oddeven_config_static_selectorELNS0_4arch9wavefront6targetE1EEEvSF_,comdat
	.protected	_ZN7rocprim17ROCPRIM_400000_NS6detail17trampoline_kernelINS0_14default_configENS1_38merge_sort_block_merge_config_selectorIxNS0_10empty_typeEEEZZNS1_27merge_sort_block_merge_implIS3_PxPS5_jNS1_19radix_merge_compareILb0ELb1ExNS0_19identity_decomposerEEEEE10hipError_tT0_T1_T2_jT3_P12ihipStream_tbPNSt15iterator_traitsISE_E10value_typeEPNSK_ISF_E10value_typeEPSG_NS1_7vsmem_tEENKUlT_SE_SF_SG_E_clIS8_S8_S9_S9_EESD_ST_SE_SF_SG_EUlST_E1_NS1_11comp_targetILNS1_3genE2ELNS1_11target_archE906ELNS1_3gpuE6ELNS1_3repE0EEENS1_36merge_oddeven_config_static_selectorELNS0_4arch9wavefront6targetE1EEEvSF_ ; -- Begin function _ZN7rocprim17ROCPRIM_400000_NS6detail17trampoline_kernelINS0_14default_configENS1_38merge_sort_block_merge_config_selectorIxNS0_10empty_typeEEEZZNS1_27merge_sort_block_merge_implIS3_PxPS5_jNS1_19radix_merge_compareILb0ELb1ExNS0_19identity_decomposerEEEEE10hipError_tT0_T1_T2_jT3_P12ihipStream_tbPNSt15iterator_traitsISE_E10value_typeEPNSK_ISF_E10value_typeEPSG_NS1_7vsmem_tEENKUlT_SE_SF_SG_E_clIS8_S8_S9_S9_EESD_ST_SE_SF_SG_EUlST_E1_NS1_11comp_targetILNS1_3genE2ELNS1_11target_archE906ELNS1_3gpuE6ELNS1_3repE0EEENS1_36merge_oddeven_config_static_selectorELNS0_4arch9wavefront6targetE1EEEvSF_
	.globl	_ZN7rocprim17ROCPRIM_400000_NS6detail17trampoline_kernelINS0_14default_configENS1_38merge_sort_block_merge_config_selectorIxNS0_10empty_typeEEEZZNS1_27merge_sort_block_merge_implIS3_PxPS5_jNS1_19radix_merge_compareILb0ELb1ExNS0_19identity_decomposerEEEEE10hipError_tT0_T1_T2_jT3_P12ihipStream_tbPNSt15iterator_traitsISE_E10value_typeEPNSK_ISF_E10value_typeEPSG_NS1_7vsmem_tEENKUlT_SE_SF_SG_E_clIS8_S8_S9_S9_EESD_ST_SE_SF_SG_EUlST_E1_NS1_11comp_targetILNS1_3genE2ELNS1_11target_archE906ELNS1_3gpuE6ELNS1_3repE0EEENS1_36merge_oddeven_config_static_selectorELNS0_4arch9wavefront6targetE1EEEvSF_
	.p2align	8
	.type	_ZN7rocprim17ROCPRIM_400000_NS6detail17trampoline_kernelINS0_14default_configENS1_38merge_sort_block_merge_config_selectorIxNS0_10empty_typeEEEZZNS1_27merge_sort_block_merge_implIS3_PxPS5_jNS1_19radix_merge_compareILb0ELb1ExNS0_19identity_decomposerEEEEE10hipError_tT0_T1_T2_jT3_P12ihipStream_tbPNSt15iterator_traitsISE_E10value_typeEPNSK_ISF_E10value_typeEPSG_NS1_7vsmem_tEENKUlT_SE_SF_SG_E_clIS8_S8_S9_S9_EESD_ST_SE_SF_SG_EUlST_E1_NS1_11comp_targetILNS1_3genE2ELNS1_11target_archE906ELNS1_3gpuE6ELNS1_3repE0EEENS1_36merge_oddeven_config_static_selectorELNS0_4arch9wavefront6targetE1EEEvSF_,@function
_ZN7rocprim17ROCPRIM_400000_NS6detail17trampoline_kernelINS0_14default_configENS1_38merge_sort_block_merge_config_selectorIxNS0_10empty_typeEEEZZNS1_27merge_sort_block_merge_implIS3_PxPS5_jNS1_19radix_merge_compareILb0ELb1ExNS0_19identity_decomposerEEEEE10hipError_tT0_T1_T2_jT3_P12ihipStream_tbPNSt15iterator_traitsISE_E10value_typeEPNSK_ISF_E10value_typeEPSG_NS1_7vsmem_tEENKUlT_SE_SF_SG_E_clIS8_S8_S9_S9_EESD_ST_SE_SF_SG_EUlST_E1_NS1_11comp_targetILNS1_3genE2ELNS1_11target_archE906ELNS1_3gpuE6ELNS1_3repE0EEENS1_36merge_oddeven_config_static_selectorELNS0_4arch9wavefront6targetE1EEEvSF_: ; @_ZN7rocprim17ROCPRIM_400000_NS6detail17trampoline_kernelINS0_14default_configENS1_38merge_sort_block_merge_config_selectorIxNS0_10empty_typeEEEZZNS1_27merge_sort_block_merge_implIS3_PxPS5_jNS1_19radix_merge_compareILb0ELb1ExNS0_19identity_decomposerEEEEE10hipError_tT0_T1_T2_jT3_P12ihipStream_tbPNSt15iterator_traitsISE_E10value_typeEPNSK_ISF_E10value_typeEPSG_NS1_7vsmem_tEENKUlT_SE_SF_SG_E_clIS8_S8_S9_S9_EESD_ST_SE_SF_SG_EUlST_E1_NS1_11comp_targetILNS1_3genE2ELNS1_11target_archE906ELNS1_3gpuE6ELNS1_3repE0EEENS1_36merge_oddeven_config_static_selectorELNS0_4arch9wavefront6targetE1EEEvSF_
; %bb.0:
	.section	.rodata,"a",@progbits
	.p2align	6, 0x0
	.amdhsa_kernel _ZN7rocprim17ROCPRIM_400000_NS6detail17trampoline_kernelINS0_14default_configENS1_38merge_sort_block_merge_config_selectorIxNS0_10empty_typeEEEZZNS1_27merge_sort_block_merge_implIS3_PxPS5_jNS1_19radix_merge_compareILb0ELb1ExNS0_19identity_decomposerEEEEE10hipError_tT0_T1_T2_jT3_P12ihipStream_tbPNSt15iterator_traitsISE_E10value_typeEPNSK_ISF_E10value_typeEPSG_NS1_7vsmem_tEENKUlT_SE_SF_SG_E_clIS8_S8_S9_S9_EESD_ST_SE_SF_SG_EUlST_E1_NS1_11comp_targetILNS1_3genE2ELNS1_11target_archE906ELNS1_3gpuE6ELNS1_3repE0EEENS1_36merge_oddeven_config_static_selectorELNS0_4arch9wavefront6targetE1EEEvSF_
		.amdhsa_group_segment_fixed_size 0
		.amdhsa_private_segment_fixed_size 0
		.amdhsa_kernarg_size 48
		.amdhsa_user_sgpr_count 6
		.amdhsa_user_sgpr_private_segment_buffer 1
		.amdhsa_user_sgpr_dispatch_ptr 0
		.amdhsa_user_sgpr_queue_ptr 0
		.amdhsa_user_sgpr_kernarg_segment_ptr 1
		.amdhsa_user_sgpr_dispatch_id 0
		.amdhsa_user_sgpr_flat_scratch_init 0
		.amdhsa_user_sgpr_kernarg_preload_length 0
		.amdhsa_user_sgpr_kernarg_preload_offset 0
		.amdhsa_user_sgpr_private_segment_size 0
		.amdhsa_uses_dynamic_stack 0
		.amdhsa_system_sgpr_private_segment_wavefront_offset 0
		.amdhsa_system_sgpr_workgroup_id_x 1
		.amdhsa_system_sgpr_workgroup_id_y 0
		.amdhsa_system_sgpr_workgroup_id_z 0
		.amdhsa_system_sgpr_workgroup_info 0
		.amdhsa_system_vgpr_workitem_id 0
		.amdhsa_next_free_vgpr 1
		.amdhsa_next_free_sgpr 0
		.amdhsa_accum_offset 4
		.amdhsa_reserve_vcc 0
		.amdhsa_reserve_flat_scratch 0
		.amdhsa_float_round_mode_32 0
		.amdhsa_float_round_mode_16_64 0
		.amdhsa_float_denorm_mode_32 3
		.amdhsa_float_denorm_mode_16_64 3
		.amdhsa_dx10_clamp 1
		.amdhsa_ieee_mode 1
		.amdhsa_fp16_overflow 0
		.amdhsa_tg_split 0
		.amdhsa_exception_fp_ieee_invalid_op 0
		.amdhsa_exception_fp_denorm_src 0
		.amdhsa_exception_fp_ieee_div_zero 0
		.amdhsa_exception_fp_ieee_overflow 0
		.amdhsa_exception_fp_ieee_underflow 0
		.amdhsa_exception_fp_ieee_inexact 0
		.amdhsa_exception_int_div_zero 0
	.end_amdhsa_kernel
	.section	.text._ZN7rocprim17ROCPRIM_400000_NS6detail17trampoline_kernelINS0_14default_configENS1_38merge_sort_block_merge_config_selectorIxNS0_10empty_typeEEEZZNS1_27merge_sort_block_merge_implIS3_PxPS5_jNS1_19radix_merge_compareILb0ELb1ExNS0_19identity_decomposerEEEEE10hipError_tT0_T1_T2_jT3_P12ihipStream_tbPNSt15iterator_traitsISE_E10value_typeEPNSK_ISF_E10value_typeEPSG_NS1_7vsmem_tEENKUlT_SE_SF_SG_E_clIS8_S8_S9_S9_EESD_ST_SE_SF_SG_EUlST_E1_NS1_11comp_targetILNS1_3genE2ELNS1_11target_archE906ELNS1_3gpuE6ELNS1_3repE0EEENS1_36merge_oddeven_config_static_selectorELNS0_4arch9wavefront6targetE1EEEvSF_,"axG",@progbits,_ZN7rocprim17ROCPRIM_400000_NS6detail17trampoline_kernelINS0_14default_configENS1_38merge_sort_block_merge_config_selectorIxNS0_10empty_typeEEEZZNS1_27merge_sort_block_merge_implIS3_PxPS5_jNS1_19radix_merge_compareILb0ELb1ExNS0_19identity_decomposerEEEEE10hipError_tT0_T1_T2_jT3_P12ihipStream_tbPNSt15iterator_traitsISE_E10value_typeEPNSK_ISF_E10value_typeEPSG_NS1_7vsmem_tEENKUlT_SE_SF_SG_E_clIS8_S8_S9_S9_EESD_ST_SE_SF_SG_EUlST_E1_NS1_11comp_targetILNS1_3genE2ELNS1_11target_archE906ELNS1_3gpuE6ELNS1_3repE0EEENS1_36merge_oddeven_config_static_selectorELNS0_4arch9wavefront6targetE1EEEvSF_,comdat
.Lfunc_end1069:
	.size	_ZN7rocprim17ROCPRIM_400000_NS6detail17trampoline_kernelINS0_14default_configENS1_38merge_sort_block_merge_config_selectorIxNS0_10empty_typeEEEZZNS1_27merge_sort_block_merge_implIS3_PxPS5_jNS1_19radix_merge_compareILb0ELb1ExNS0_19identity_decomposerEEEEE10hipError_tT0_T1_T2_jT3_P12ihipStream_tbPNSt15iterator_traitsISE_E10value_typeEPNSK_ISF_E10value_typeEPSG_NS1_7vsmem_tEENKUlT_SE_SF_SG_E_clIS8_S8_S9_S9_EESD_ST_SE_SF_SG_EUlST_E1_NS1_11comp_targetILNS1_3genE2ELNS1_11target_archE906ELNS1_3gpuE6ELNS1_3repE0EEENS1_36merge_oddeven_config_static_selectorELNS0_4arch9wavefront6targetE1EEEvSF_, .Lfunc_end1069-_ZN7rocprim17ROCPRIM_400000_NS6detail17trampoline_kernelINS0_14default_configENS1_38merge_sort_block_merge_config_selectorIxNS0_10empty_typeEEEZZNS1_27merge_sort_block_merge_implIS3_PxPS5_jNS1_19radix_merge_compareILb0ELb1ExNS0_19identity_decomposerEEEEE10hipError_tT0_T1_T2_jT3_P12ihipStream_tbPNSt15iterator_traitsISE_E10value_typeEPNSK_ISF_E10value_typeEPSG_NS1_7vsmem_tEENKUlT_SE_SF_SG_E_clIS8_S8_S9_S9_EESD_ST_SE_SF_SG_EUlST_E1_NS1_11comp_targetILNS1_3genE2ELNS1_11target_archE906ELNS1_3gpuE6ELNS1_3repE0EEENS1_36merge_oddeven_config_static_selectorELNS0_4arch9wavefront6targetE1EEEvSF_
                                        ; -- End function
	.section	.AMDGPU.csdata,"",@progbits
; Kernel info:
; codeLenInByte = 0
; NumSgprs: 4
; NumVgprs: 0
; NumAgprs: 0
; TotalNumVgprs: 0
; ScratchSize: 0
; MemoryBound: 0
; FloatMode: 240
; IeeeMode: 1
; LDSByteSize: 0 bytes/workgroup (compile time only)
; SGPRBlocks: 0
; VGPRBlocks: 0
; NumSGPRsForWavesPerEU: 4
; NumVGPRsForWavesPerEU: 1
; AccumOffset: 4
; Occupancy: 8
; WaveLimiterHint : 0
; COMPUTE_PGM_RSRC2:SCRATCH_EN: 0
; COMPUTE_PGM_RSRC2:USER_SGPR: 6
; COMPUTE_PGM_RSRC2:TRAP_HANDLER: 0
; COMPUTE_PGM_RSRC2:TGID_X_EN: 1
; COMPUTE_PGM_RSRC2:TGID_Y_EN: 0
; COMPUTE_PGM_RSRC2:TGID_Z_EN: 0
; COMPUTE_PGM_RSRC2:TIDIG_COMP_CNT: 0
; COMPUTE_PGM_RSRC3_GFX90A:ACCUM_OFFSET: 0
; COMPUTE_PGM_RSRC3_GFX90A:TG_SPLIT: 0
	.section	.text._ZN7rocprim17ROCPRIM_400000_NS6detail17trampoline_kernelINS0_14default_configENS1_38merge_sort_block_merge_config_selectorIxNS0_10empty_typeEEEZZNS1_27merge_sort_block_merge_implIS3_PxPS5_jNS1_19radix_merge_compareILb0ELb1ExNS0_19identity_decomposerEEEEE10hipError_tT0_T1_T2_jT3_P12ihipStream_tbPNSt15iterator_traitsISE_E10value_typeEPNSK_ISF_E10value_typeEPSG_NS1_7vsmem_tEENKUlT_SE_SF_SG_E_clIS8_S8_S9_S9_EESD_ST_SE_SF_SG_EUlST_E1_NS1_11comp_targetILNS1_3genE9ELNS1_11target_archE1100ELNS1_3gpuE3ELNS1_3repE0EEENS1_36merge_oddeven_config_static_selectorELNS0_4arch9wavefront6targetE1EEEvSF_,"axG",@progbits,_ZN7rocprim17ROCPRIM_400000_NS6detail17trampoline_kernelINS0_14default_configENS1_38merge_sort_block_merge_config_selectorIxNS0_10empty_typeEEEZZNS1_27merge_sort_block_merge_implIS3_PxPS5_jNS1_19radix_merge_compareILb0ELb1ExNS0_19identity_decomposerEEEEE10hipError_tT0_T1_T2_jT3_P12ihipStream_tbPNSt15iterator_traitsISE_E10value_typeEPNSK_ISF_E10value_typeEPSG_NS1_7vsmem_tEENKUlT_SE_SF_SG_E_clIS8_S8_S9_S9_EESD_ST_SE_SF_SG_EUlST_E1_NS1_11comp_targetILNS1_3genE9ELNS1_11target_archE1100ELNS1_3gpuE3ELNS1_3repE0EEENS1_36merge_oddeven_config_static_selectorELNS0_4arch9wavefront6targetE1EEEvSF_,comdat
	.protected	_ZN7rocprim17ROCPRIM_400000_NS6detail17trampoline_kernelINS0_14default_configENS1_38merge_sort_block_merge_config_selectorIxNS0_10empty_typeEEEZZNS1_27merge_sort_block_merge_implIS3_PxPS5_jNS1_19radix_merge_compareILb0ELb1ExNS0_19identity_decomposerEEEEE10hipError_tT0_T1_T2_jT3_P12ihipStream_tbPNSt15iterator_traitsISE_E10value_typeEPNSK_ISF_E10value_typeEPSG_NS1_7vsmem_tEENKUlT_SE_SF_SG_E_clIS8_S8_S9_S9_EESD_ST_SE_SF_SG_EUlST_E1_NS1_11comp_targetILNS1_3genE9ELNS1_11target_archE1100ELNS1_3gpuE3ELNS1_3repE0EEENS1_36merge_oddeven_config_static_selectorELNS0_4arch9wavefront6targetE1EEEvSF_ ; -- Begin function _ZN7rocprim17ROCPRIM_400000_NS6detail17trampoline_kernelINS0_14default_configENS1_38merge_sort_block_merge_config_selectorIxNS0_10empty_typeEEEZZNS1_27merge_sort_block_merge_implIS3_PxPS5_jNS1_19radix_merge_compareILb0ELb1ExNS0_19identity_decomposerEEEEE10hipError_tT0_T1_T2_jT3_P12ihipStream_tbPNSt15iterator_traitsISE_E10value_typeEPNSK_ISF_E10value_typeEPSG_NS1_7vsmem_tEENKUlT_SE_SF_SG_E_clIS8_S8_S9_S9_EESD_ST_SE_SF_SG_EUlST_E1_NS1_11comp_targetILNS1_3genE9ELNS1_11target_archE1100ELNS1_3gpuE3ELNS1_3repE0EEENS1_36merge_oddeven_config_static_selectorELNS0_4arch9wavefront6targetE1EEEvSF_
	.globl	_ZN7rocprim17ROCPRIM_400000_NS6detail17trampoline_kernelINS0_14default_configENS1_38merge_sort_block_merge_config_selectorIxNS0_10empty_typeEEEZZNS1_27merge_sort_block_merge_implIS3_PxPS5_jNS1_19radix_merge_compareILb0ELb1ExNS0_19identity_decomposerEEEEE10hipError_tT0_T1_T2_jT3_P12ihipStream_tbPNSt15iterator_traitsISE_E10value_typeEPNSK_ISF_E10value_typeEPSG_NS1_7vsmem_tEENKUlT_SE_SF_SG_E_clIS8_S8_S9_S9_EESD_ST_SE_SF_SG_EUlST_E1_NS1_11comp_targetILNS1_3genE9ELNS1_11target_archE1100ELNS1_3gpuE3ELNS1_3repE0EEENS1_36merge_oddeven_config_static_selectorELNS0_4arch9wavefront6targetE1EEEvSF_
	.p2align	8
	.type	_ZN7rocprim17ROCPRIM_400000_NS6detail17trampoline_kernelINS0_14default_configENS1_38merge_sort_block_merge_config_selectorIxNS0_10empty_typeEEEZZNS1_27merge_sort_block_merge_implIS3_PxPS5_jNS1_19radix_merge_compareILb0ELb1ExNS0_19identity_decomposerEEEEE10hipError_tT0_T1_T2_jT3_P12ihipStream_tbPNSt15iterator_traitsISE_E10value_typeEPNSK_ISF_E10value_typeEPSG_NS1_7vsmem_tEENKUlT_SE_SF_SG_E_clIS8_S8_S9_S9_EESD_ST_SE_SF_SG_EUlST_E1_NS1_11comp_targetILNS1_3genE9ELNS1_11target_archE1100ELNS1_3gpuE3ELNS1_3repE0EEENS1_36merge_oddeven_config_static_selectorELNS0_4arch9wavefront6targetE1EEEvSF_,@function
_ZN7rocprim17ROCPRIM_400000_NS6detail17trampoline_kernelINS0_14default_configENS1_38merge_sort_block_merge_config_selectorIxNS0_10empty_typeEEEZZNS1_27merge_sort_block_merge_implIS3_PxPS5_jNS1_19radix_merge_compareILb0ELb1ExNS0_19identity_decomposerEEEEE10hipError_tT0_T1_T2_jT3_P12ihipStream_tbPNSt15iterator_traitsISE_E10value_typeEPNSK_ISF_E10value_typeEPSG_NS1_7vsmem_tEENKUlT_SE_SF_SG_E_clIS8_S8_S9_S9_EESD_ST_SE_SF_SG_EUlST_E1_NS1_11comp_targetILNS1_3genE9ELNS1_11target_archE1100ELNS1_3gpuE3ELNS1_3repE0EEENS1_36merge_oddeven_config_static_selectorELNS0_4arch9wavefront6targetE1EEEvSF_: ; @_ZN7rocprim17ROCPRIM_400000_NS6detail17trampoline_kernelINS0_14default_configENS1_38merge_sort_block_merge_config_selectorIxNS0_10empty_typeEEEZZNS1_27merge_sort_block_merge_implIS3_PxPS5_jNS1_19radix_merge_compareILb0ELb1ExNS0_19identity_decomposerEEEEE10hipError_tT0_T1_T2_jT3_P12ihipStream_tbPNSt15iterator_traitsISE_E10value_typeEPNSK_ISF_E10value_typeEPSG_NS1_7vsmem_tEENKUlT_SE_SF_SG_E_clIS8_S8_S9_S9_EESD_ST_SE_SF_SG_EUlST_E1_NS1_11comp_targetILNS1_3genE9ELNS1_11target_archE1100ELNS1_3gpuE3ELNS1_3repE0EEENS1_36merge_oddeven_config_static_selectorELNS0_4arch9wavefront6targetE1EEEvSF_
; %bb.0:
	.section	.rodata,"a",@progbits
	.p2align	6, 0x0
	.amdhsa_kernel _ZN7rocprim17ROCPRIM_400000_NS6detail17trampoline_kernelINS0_14default_configENS1_38merge_sort_block_merge_config_selectorIxNS0_10empty_typeEEEZZNS1_27merge_sort_block_merge_implIS3_PxPS5_jNS1_19radix_merge_compareILb0ELb1ExNS0_19identity_decomposerEEEEE10hipError_tT0_T1_T2_jT3_P12ihipStream_tbPNSt15iterator_traitsISE_E10value_typeEPNSK_ISF_E10value_typeEPSG_NS1_7vsmem_tEENKUlT_SE_SF_SG_E_clIS8_S8_S9_S9_EESD_ST_SE_SF_SG_EUlST_E1_NS1_11comp_targetILNS1_3genE9ELNS1_11target_archE1100ELNS1_3gpuE3ELNS1_3repE0EEENS1_36merge_oddeven_config_static_selectorELNS0_4arch9wavefront6targetE1EEEvSF_
		.amdhsa_group_segment_fixed_size 0
		.amdhsa_private_segment_fixed_size 0
		.amdhsa_kernarg_size 48
		.amdhsa_user_sgpr_count 6
		.amdhsa_user_sgpr_private_segment_buffer 1
		.amdhsa_user_sgpr_dispatch_ptr 0
		.amdhsa_user_sgpr_queue_ptr 0
		.amdhsa_user_sgpr_kernarg_segment_ptr 1
		.amdhsa_user_sgpr_dispatch_id 0
		.amdhsa_user_sgpr_flat_scratch_init 0
		.amdhsa_user_sgpr_kernarg_preload_length 0
		.amdhsa_user_sgpr_kernarg_preload_offset 0
		.amdhsa_user_sgpr_private_segment_size 0
		.amdhsa_uses_dynamic_stack 0
		.amdhsa_system_sgpr_private_segment_wavefront_offset 0
		.amdhsa_system_sgpr_workgroup_id_x 1
		.amdhsa_system_sgpr_workgroup_id_y 0
		.amdhsa_system_sgpr_workgroup_id_z 0
		.amdhsa_system_sgpr_workgroup_info 0
		.amdhsa_system_vgpr_workitem_id 0
		.amdhsa_next_free_vgpr 1
		.amdhsa_next_free_sgpr 0
		.amdhsa_accum_offset 4
		.amdhsa_reserve_vcc 0
		.amdhsa_reserve_flat_scratch 0
		.amdhsa_float_round_mode_32 0
		.amdhsa_float_round_mode_16_64 0
		.amdhsa_float_denorm_mode_32 3
		.amdhsa_float_denorm_mode_16_64 3
		.amdhsa_dx10_clamp 1
		.amdhsa_ieee_mode 1
		.amdhsa_fp16_overflow 0
		.amdhsa_tg_split 0
		.amdhsa_exception_fp_ieee_invalid_op 0
		.amdhsa_exception_fp_denorm_src 0
		.amdhsa_exception_fp_ieee_div_zero 0
		.amdhsa_exception_fp_ieee_overflow 0
		.amdhsa_exception_fp_ieee_underflow 0
		.amdhsa_exception_fp_ieee_inexact 0
		.amdhsa_exception_int_div_zero 0
	.end_amdhsa_kernel
	.section	.text._ZN7rocprim17ROCPRIM_400000_NS6detail17trampoline_kernelINS0_14default_configENS1_38merge_sort_block_merge_config_selectorIxNS0_10empty_typeEEEZZNS1_27merge_sort_block_merge_implIS3_PxPS5_jNS1_19radix_merge_compareILb0ELb1ExNS0_19identity_decomposerEEEEE10hipError_tT0_T1_T2_jT3_P12ihipStream_tbPNSt15iterator_traitsISE_E10value_typeEPNSK_ISF_E10value_typeEPSG_NS1_7vsmem_tEENKUlT_SE_SF_SG_E_clIS8_S8_S9_S9_EESD_ST_SE_SF_SG_EUlST_E1_NS1_11comp_targetILNS1_3genE9ELNS1_11target_archE1100ELNS1_3gpuE3ELNS1_3repE0EEENS1_36merge_oddeven_config_static_selectorELNS0_4arch9wavefront6targetE1EEEvSF_,"axG",@progbits,_ZN7rocprim17ROCPRIM_400000_NS6detail17trampoline_kernelINS0_14default_configENS1_38merge_sort_block_merge_config_selectorIxNS0_10empty_typeEEEZZNS1_27merge_sort_block_merge_implIS3_PxPS5_jNS1_19radix_merge_compareILb0ELb1ExNS0_19identity_decomposerEEEEE10hipError_tT0_T1_T2_jT3_P12ihipStream_tbPNSt15iterator_traitsISE_E10value_typeEPNSK_ISF_E10value_typeEPSG_NS1_7vsmem_tEENKUlT_SE_SF_SG_E_clIS8_S8_S9_S9_EESD_ST_SE_SF_SG_EUlST_E1_NS1_11comp_targetILNS1_3genE9ELNS1_11target_archE1100ELNS1_3gpuE3ELNS1_3repE0EEENS1_36merge_oddeven_config_static_selectorELNS0_4arch9wavefront6targetE1EEEvSF_,comdat
.Lfunc_end1070:
	.size	_ZN7rocprim17ROCPRIM_400000_NS6detail17trampoline_kernelINS0_14default_configENS1_38merge_sort_block_merge_config_selectorIxNS0_10empty_typeEEEZZNS1_27merge_sort_block_merge_implIS3_PxPS5_jNS1_19radix_merge_compareILb0ELb1ExNS0_19identity_decomposerEEEEE10hipError_tT0_T1_T2_jT3_P12ihipStream_tbPNSt15iterator_traitsISE_E10value_typeEPNSK_ISF_E10value_typeEPSG_NS1_7vsmem_tEENKUlT_SE_SF_SG_E_clIS8_S8_S9_S9_EESD_ST_SE_SF_SG_EUlST_E1_NS1_11comp_targetILNS1_3genE9ELNS1_11target_archE1100ELNS1_3gpuE3ELNS1_3repE0EEENS1_36merge_oddeven_config_static_selectorELNS0_4arch9wavefront6targetE1EEEvSF_, .Lfunc_end1070-_ZN7rocprim17ROCPRIM_400000_NS6detail17trampoline_kernelINS0_14default_configENS1_38merge_sort_block_merge_config_selectorIxNS0_10empty_typeEEEZZNS1_27merge_sort_block_merge_implIS3_PxPS5_jNS1_19radix_merge_compareILb0ELb1ExNS0_19identity_decomposerEEEEE10hipError_tT0_T1_T2_jT3_P12ihipStream_tbPNSt15iterator_traitsISE_E10value_typeEPNSK_ISF_E10value_typeEPSG_NS1_7vsmem_tEENKUlT_SE_SF_SG_E_clIS8_S8_S9_S9_EESD_ST_SE_SF_SG_EUlST_E1_NS1_11comp_targetILNS1_3genE9ELNS1_11target_archE1100ELNS1_3gpuE3ELNS1_3repE0EEENS1_36merge_oddeven_config_static_selectorELNS0_4arch9wavefront6targetE1EEEvSF_
                                        ; -- End function
	.section	.AMDGPU.csdata,"",@progbits
; Kernel info:
; codeLenInByte = 0
; NumSgprs: 4
; NumVgprs: 0
; NumAgprs: 0
; TotalNumVgprs: 0
; ScratchSize: 0
; MemoryBound: 0
; FloatMode: 240
; IeeeMode: 1
; LDSByteSize: 0 bytes/workgroup (compile time only)
; SGPRBlocks: 0
; VGPRBlocks: 0
; NumSGPRsForWavesPerEU: 4
; NumVGPRsForWavesPerEU: 1
; AccumOffset: 4
; Occupancy: 8
; WaveLimiterHint : 0
; COMPUTE_PGM_RSRC2:SCRATCH_EN: 0
; COMPUTE_PGM_RSRC2:USER_SGPR: 6
; COMPUTE_PGM_RSRC2:TRAP_HANDLER: 0
; COMPUTE_PGM_RSRC2:TGID_X_EN: 1
; COMPUTE_PGM_RSRC2:TGID_Y_EN: 0
; COMPUTE_PGM_RSRC2:TGID_Z_EN: 0
; COMPUTE_PGM_RSRC2:TIDIG_COMP_CNT: 0
; COMPUTE_PGM_RSRC3_GFX90A:ACCUM_OFFSET: 0
; COMPUTE_PGM_RSRC3_GFX90A:TG_SPLIT: 0
	.section	.text._ZN7rocprim17ROCPRIM_400000_NS6detail17trampoline_kernelINS0_14default_configENS1_38merge_sort_block_merge_config_selectorIxNS0_10empty_typeEEEZZNS1_27merge_sort_block_merge_implIS3_PxPS5_jNS1_19radix_merge_compareILb0ELb1ExNS0_19identity_decomposerEEEEE10hipError_tT0_T1_T2_jT3_P12ihipStream_tbPNSt15iterator_traitsISE_E10value_typeEPNSK_ISF_E10value_typeEPSG_NS1_7vsmem_tEENKUlT_SE_SF_SG_E_clIS8_S8_S9_S9_EESD_ST_SE_SF_SG_EUlST_E1_NS1_11comp_targetILNS1_3genE8ELNS1_11target_archE1030ELNS1_3gpuE2ELNS1_3repE0EEENS1_36merge_oddeven_config_static_selectorELNS0_4arch9wavefront6targetE1EEEvSF_,"axG",@progbits,_ZN7rocprim17ROCPRIM_400000_NS6detail17trampoline_kernelINS0_14default_configENS1_38merge_sort_block_merge_config_selectorIxNS0_10empty_typeEEEZZNS1_27merge_sort_block_merge_implIS3_PxPS5_jNS1_19radix_merge_compareILb0ELb1ExNS0_19identity_decomposerEEEEE10hipError_tT0_T1_T2_jT3_P12ihipStream_tbPNSt15iterator_traitsISE_E10value_typeEPNSK_ISF_E10value_typeEPSG_NS1_7vsmem_tEENKUlT_SE_SF_SG_E_clIS8_S8_S9_S9_EESD_ST_SE_SF_SG_EUlST_E1_NS1_11comp_targetILNS1_3genE8ELNS1_11target_archE1030ELNS1_3gpuE2ELNS1_3repE0EEENS1_36merge_oddeven_config_static_selectorELNS0_4arch9wavefront6targetE1EEEvSF_,comdat
	.protected	_ZN7rocprim17ROCPRIM_400000_NS6detail17trampoline_kernelINS0_14default_configENS1_38merge_sort_block_merge_config_selectorIxNS0_10empty_typeEEEZZNS1_27merge_sort_block_merge_implIS3_PxPS5_jNS1_19radix_merge_compareILb0ELb1ExNS0_19identity_decomposerEEEEE10hipError_tT0_T1_T2_jT3_P12ihipStream_tbPNSt15iterator_traitsISE_E10value_typeEPNSK_ISF_E10value_typeEPSG_NS1_7vsmem_tEENKUlT_SE_SF_SG_E_clIS8_S8_S9_S9_EESD_ST_SE_SF_SG_EUlST_E1_NS1_11comp_targetILNS1_3genE8ELNS1_11target_archE1030ELNS1_3gpuE2ELNS1_3repE0EEENS1_36merge_oddeven_config_static_selectorELNS0_4arch9wavefront6targetE1EEEvSF_ ; -- Begin function _ZN7rocprim17ROCPRIM_400000_NS6detail17trampoline_kernelINS0_14default_configENS1_38merge_sort_block_merge_config_selectorIxNS0_10empty_typeEEEZZNS1_27merge_sort_block_merge_implIS3_PxPS5_jNS1_19radix_merge_compareILb0ELb1ExNS0_19identity_decomposerEEEEE10hipError_tT0_T1_T2_jT3_P12ihipStream_tbPNSt15iterator_traitsISE_E10value_typeEPNSK_ISF_E10value_typeEPSG_NS1_7vsmem_tEENKUlT_SE_SF_SG_E_clIS8_S8_S9_S9_EESD_ST_SE_SF_SG_EUlST_E1_NS1_11comp_targetILNS1_3genE8ELNS1_11target_archE1030ELNS1_3gpuE2ELNS1_3repE0EEENS1_36merge_oddeven_config_static_selectorELNS0_4arch9wavefront6targetE1EEEvSF_
	.globl	_ZN7rocprim17ROCPRIM_400000_NS6detail17trampoline_kernelINS0_14default_configENS1_38merge_sort_block_merge_config_selectorIxNS0_10empty_typeEEEZZNS1_27merge_sort_block_merge_implIS3_PxPS5_jNS1_19radix_merge_compareILb0ELb1ExNS0_19identity_decomposerEEEEE10hipError_tT0_T1_T2_jT3_P12ihipStream_tbPNSt15iterator_traitsISE_E10value_typeEPNSK_ISF_E10value_typeEPSG_NS1_7vsmem_tEENKUlT_SE_SF_SG_E_clIS8_S8_S9_S9_EESD_ST_SE_SF_SG_EUlST_E1_NS1_11comp_targetILNS1_3genE8ELNS1_11target_archE1030ELNS1_3gpuE2ELNS1_3repE0EEENS1_36merge_oddeven_config_static_selectorELNS0_4arch9wavefront6targetE1EEEvSF_
	.p2align	8
	.type	_ZN7rocprim17ROCPRIM_400000_NS6detail17trampoline_kernelINS0_14default_configENS1_38merge_sort_block_merge_config_selectorIxNS0_10empty_typeEEEZZNS1_27merge_sort_block_merge_implIS3_PxPS5_jNS1_19radix_merge_compareILb0ELb1ExNS0_19identity_decomposerEEEEE10hipError_tT0_T1_T2_jT3_P12ihipStream_tbPNSt15iterator_traitsISE_E10value_typeEPNSK_ISF_E10value_typeEPSG_NS1_7vsmem_tEENKUlT_SE_SF_SG_E_clIS8_S8_S9_S9_EESD_ST_SE_SF_SG_EUlST_E1_NS1_11comp_targetILNS1_3genE8ELNS1_11target_archE1030ELNS1_3gpuE2ELNS1_3repE0EEENS1_36merge_oddeven_config_static_selectorELNS0_4arch9wavefront6targetE1EEEvSF_,@function
_ZN7rocprim17ROCPRIM_400000_NS6detail17trampoline_kernelINS0_14default_configENS1_38merge_sort_block_merge_config_selectorIxNS0_10empty_typeEEEZZNS1_27merge_sort_block_merge_implIS3_PxPS5_jNS1_19radix_merge_compareILb0ELb1ExNS0_19identity_decomposerEEEEE10hipError_tT0_T1_T2_jT3_P12ihipStream_tbPNSt15iterator_traitsISE_E10value_typeEPNSK_ISF_E10value_typeEPSG_NS1_7vsmem_tEENKUlT_SE_SF_SG_E_clIS8_S8_S9_S9_EESD_ST_SE_SF_SG_EUlST_E1_NS1_11comp_targetILNS1_3genE8ELNS1_11target_archE1030ELNS1_3gpuE2ELNS1_3repE0EEENS1_36merge_oddeven_config_static_selectorELNS0_4arch9wavefront6targetE1EEEvSF_: ; @_ZN7rocprim17ROCPRIM_400000_NS6detail17trampoline_kernelINS0_14default_configENS1_38merge_sort_block_merge_config_selectorIxNS0_10empty_typeEEEZZNS1_27merge_sort_block_merge_implIS3_PxPS5_jNS1_19radix_merge_compareILb0ELb1ExNS0_19identity_decomposerEEEEE10hipError_tT0_T1_T2_jT3_P12ihipStream_tbPNSt15iterator_traitsISE_E10value_typeEPNSK_ISF_E10value_typeEPSG_NS1_7vsmem_tEENKUlT_SE_SF_SG_E_clIS8_S8_S9_S9_EESD_ST_SE_SF_SG_EUlST_E1_NS1_11comp_targetILNS1_3genE8ELNS1_11target_archE1030ELNS1_3gpuE2ELNS1_3repE0EEENS1_36merge_oddeven_config_static_selectorELNS0_4arch9wavefront6targetE1EEEvSF_
; %bb.0:
	.section	.rodata,"a",@progbits
	.p2align	6, 0x0
	.amdhsa_kernel _ZN7rocprim17ROCPRIM_400000_NS6detail17trampoline_kernelINS0_14default_configENS1_38merge_sort_block_merge_config_selectorIxNS0_10empty_typeEEEZZNS1_27merge_sort_block_merge_implIS3_PxPS5_jNS1_19radix_merge_compareILb0ELb1ExNS0_19identity_decomposerEEEEE10hipError_tT0_T1_T2_jT3_P12ihipStream_tbPNSt15iterator_traitsISE_E10value_typeEPNSK_ISF_E10value_typeEPSG_NS1_7vsmem_tEENKUlT_SE_SF_SG_E_clIS8_S8_S9_S9_EESD_ST_SE_SF_SG_EUlST_E1_NS1_11comp_targetILNS1_3genE8ELNS1_11target_archE1030ELNS1_3gpuE2ELNS1_3repE0EEENS1_36merge_oddeven_config_static_selectorELNS0_4arch9wavefront6targetE1EEEvSF_
		.amdhsa_group_segment_fixed_size 0
		.amdhsa_private_segment_fixed_size 0
		.amdhsa_kernarg_size 48
		.amdhsa_user_sgpr_count 6
		.amdhsa_user_sgpr_private_segment_buffer 1
		.amdhsa_user_sgpr_dispatch_ptr 0
		.amdhsa_user_sgpr_queue_ptr 0
		.amdhsa_user_sgpr_kernarg_segment_ptr 1
		.amdhsa_user_sgpr_dispatch_id 0
		.amdhsa_user_sgpr_flat_scratch_init 0
		.amdhsa_user_sgpr_kernarg_preload_length 0
		.amdhsa_user_sgpr_kernarg_preload_offset 0
		.amdhsa_user_sgpr_private_segment_size 0
		.amdhsa_uses_dynamic_stack 0
		.amdhsa_system_sgpr_private_segment_wavefront_offset 0
		.amdhsa_system_sgpr_workgroup_id_x 1
		.amdhsa_system_sgpr_workgroup_id_y 0
		.amdhsa_system_sgpr_workgroup_id_z 0
		.amdhsa_system_sgpr_workgroup_info 0
		.amdhsa_system_vgpr_workitem_id 0
		.amdhsa_next_free_vgpr 1
		.amdhsa_next_free_sgpr 0
		.amdhsa_accum_offset 4
		.amdhsa_reserve_vcc 0
		.amdhsa_reserve_flat_scratch 0
		.amdhsa_float_round_mode_32 0
		.amdhsa_float_round_mode_16_64 0
		.amdhsa_float_denorm_mode_32 3
		.amdhsa_float_denorm_mode_16_64 3
		.amdhsa_dx10_clamp 1
		.amdhsa_ieee_mode 1
		.amdhsa_fp16_overflow 0
		.amdhsa_tg_split 0
		.amdhsa_exception_fp_ieee_invalid_op 0
		.amdhsa_exception_fp_denorm_src 0
		.amdhsa_exception_fp_ieee_div_zero 0
		.amdhsa_exception_fp_ieee_overflow 0
		.amdhsa_exception_fp_ieee_underflow 0
		.amdhsa_exception_fp_ieee_inexact 0
		.amdhsa_exception_int_div_zero 0
	.end_amdhsa_kernel
	.section	.text._ZN7rocprim17ROCPRIM_400000_NS6detail17trampoline_kernelINS0_14default_configENS1_38merge_sort_block_merge_config_selectorIxNS0_10empty_typeEEEZZNS1_27merge_sort_block_merge_implIS3_PxPS5_jNS1_19radix_merge_compareILb0ELb1ExNS0_19identity_decomposerEEEEE10hipError_tT0_T1_T2_jT3_P12ihipStream_tbPNSt15iterator_traitsISE_E10value_typeEPNSK_ISF_E10value_typeEPSG_NS1_7vsmem_tEENKUlT_SE_SF_SG_E_clIS8_S8_S9_S9_EESD_ST_SE_SF_SG_EUlST_E1_NS1_11comp_targetILNS1_3genE8ELNS1_11target_archE1030ELNS1_3gpuE2ELNS1_3repE0EEENS1_36merge_oddeven_config_static_selectorELNS0_4arch9wavefront6targetE1EEEvSF_,"axG",@progbits,_ZN7rocprim17ROCPRIM_400000_NS6detail17trampoline_kernelINS0_14default_configENS1_38merge_sort_block_merge_config_selectorIxNS0_10empty_typeEEEZZNS1_27merge_sort_block_merge_implIS3_PxPS5_jNS1_19radix_merge_compareILb0ELb1ExNS0_19identity_decomposerEEEEE10hipError_tT0_T1_T2_jT3_P12ihipStream_tbPNSt15iterator_traitsISE_E10value_typeEPNSK_ISF_E10value_typeEPSG_NS1_7vsmem_tEENKUlT_SE_SF_SG_E_clIS8_S8_S9_S9_EESD_ST_SE_SF_SG_EUlST_E1_NS1_11comp_targetILNS1_3genE8ELNS1_11target_archE1030ELNS1_3gpuE2ELNS1_3repE0EEENS1_36merge_oddeven_config_static_selectorELNS0_4arch9wavefront6targetE1EEEvSF_,comdat
.Lfunc_end1071:
	.size	_ZN7rocprim17ROCPRIM_400000_NS6detail17trampoline_kernelINS0_14default_configENS1_38merge_sort_block_merge_config_selectorIxNS0_10empty_typeEEEZZNS1_27merge_sort_block_merge_implIS3_PxPS5_jNS1_19radix_merge_compareILb0ELb1ExNS0_19identity_decomposerEEEEE10hipError_tT0_T1_T2_jT3_P12ihipStream_tbPNSt15iterator_traitsISE_E10value_typeEPNSK_ISF_E10value_typeEPSG_NS1_7vsmem_tEENKUlT_SE_SF_SG_E_clIS8_S8_S9_S9_EESD_ST_SE_SF_SG_EUlST_E1_NS1_11comp_targetILNS1_3genE8ELNS1_11target_archE1030ELNS1_3gpuE2ELNS1_3repE0EEENS1_36merge_oddeven_config_static_selectorELNS0_4arch9wavefront6targetE1EEEvSF_, .Lfunc_end1071-_ZN7rocprim17ROCPRIM_400000_NS6detail17trampoline_kernelINS0_14default_configENS1_38merge_sort_block_merge_config_selectorIxNS0_10empty_typeEEEZZNS1_27merge_sort_block_merge_implIS3_PxPS5_jNS1_19radix_merge_compareILb0ELb1ExNS0_19identity_decomposerEEEEE10hipError_tT0_T1_T2_jT3_P12ihipStream_tbPNSt15iterator_traitsISE_E10value_typeEPNSK_ISF_E10value_typeEPSG_NS1_7vsmem_tEENKUlT_SE_SF_SG_E_clIS8_S8_S9_S9_EESD_ST_SE_SF_SG_EUlST_E1_NS1_11comp_targetILNS1_3genE8ELNS1_11target_archE1030ELNS1_3gpuE2ELNS1_3repE0EEENS1_36merge_oddeven_config_static_selectorELNS0_4arch9wavefront6targetE1EEEvSF_
                                        ; -- End function
	.section	.AMDGPU.csdata,"",@progbits
; Kernel info:
; codeLenInByte = 0
; NumSgprs: 4
; NumVgprs: 0
; NumAgprs: 0
; TotalNumVgprs: 0
; ScratchSize: 0
; MemoryBound: 0
; FloatMode: 240
; IeeeMode: 1
; LDSByteSize: 0 bytes/workgroup (compile time only)
; SGPRBlocks: 0
; VGPRBlocks: 0
; NumSGPRsForWavesPerEU: 4
; NumVGPRsForWavesPerEU: 1
; AccumOffset: 4
; Occupancy: 8
; WaveLimiterHint : 0
; COMPUTE_PGM_RSRC2:SCRATCH_EN: 0
; COMPUTE_PGM_RSRC2:USER_SGPR: 6
; COMPUTE_PGM_RSRC2:TRAP_HANDLER: 0
; COMPUTE_PGM_RSRC2:TGID_X_EN: 1
; COMPUTE_PGM_RSRC2:TGID_Y_EN: 0
; COMPUTE_PGM_RSRC2:TGID_Z_EN: 0
; COMPUTE_PGM_RSRC2:TIDIG_COMP_CNT: 0
; COMPUTE_PGM_RSRC3_GFX90A:ACCUM_OFFSET: 0
; COMPUTE_PGM_RSRC3_GFX90A:TG_SPLIT: 0
	.section	.text._ZN7rocprim17ROCPRIM_400000_NS6detail17trampoline_kernelINS0_14default_configENS1_35radix_sort_onesweep_config_selectorIxNS0_10empty_typeEEEZNS1_34radix_sort_onesweep_global_offsetsIS3_Lb0EPxPS5_mNS0_19identity_decomposerEEE10hipError_tT1_T2_PT3_SE_jT4_jjP12ihipStream_tbEUlT_E_NS1_11comp_targetILNS1_3genE0ELNS1_11target_archE4294967295ELNS1_3gpuE0ELNS1_3repE0EEENS1_52radix_sort_onesweep_histogram_config_static_selectorELNS0_4arch9wavefront6targetE1EEEvSC_,"axG",@progbits,_ZN7rocprim17ROCPRIM_400000_NS6detail17trampoline_kernelINS0_14default_configENS1_35radix_sort_onesweep_config_selectorIxNS0_10empty_typeEEEZNS1_34radix_sort_onesweep_global_offsetsIS3_Lb0EPxPS5_mNS0_19identity_decomposerEEE10hipError_tT1_T2_PT3_SE_jT4_jjP12ihipStream_tbEUlT_E_NS1_11comp_targetILNS1_3genE0ELNS1_11target_archE4294967295ELNS1_3gpuE0ELNS1_3repE0EEENS1_52radix_sort_onesweep_histogram_config_static_selectorELNS0_4arch9wavefront6targetE1EEEvSC_,comdat
	.protected	_ZN7rocprim17ROCPRIM_400000_NS6detail17trampoline_kernelINS0_14default_configENS1_35radix_sort_onesweep_config_selectorIxNS0_10empty_typeEEEZNS1_34radix_sort_onesweep_global_offsetsIS3_Lb0EPxPS5_mNS0_19identity_decomposerEEE10hipError_tT1_T2_PT3_SE_jT4_jjP12ihipStream_tbEUlT_E_NS1_11comp_targetILNS1_3genE0ELNS1_11target_archE4294967295ELNS1_3gpuE0ELNS1_3repE0EEENS1_52radix_sort_onesweep_histogram_config_static_selectorELNS0_4arch9wavefront6targetE1EEEvSC_ ; -- Begin function _ZN7rocprim17ROCPRIM_400000_NS6detail17trampoline_kernelINS0_14default_configENS1_35radix_sort_onesweep_config_selectorIxNS0_10empty_typeEEEZNS1_34radix_sort_onesweep_global_offsetsIS3_Lb0EPxPS5_mNS0_19identity_decomposerEEE10hipError_tT1_T2_PT3_SE_jT4_jjP12ihipStream_tbEUlT_E_NS1_11comp_targetILNS1_3genE0ELNS1_11target_archE4294967295ELNS1_3gpuE0ELNS1_3repE0EEENS1_52radix_sort_onesweep_histogram_config_static_selectorELNS0_4arch9wavefront6targetE1EEEvSC_
	.globl	_ZN7rocprim17ROCPRIM_400000_NS6detail17trampoline_kernelINS0_14default_configENS1_35radix_sort_onesweep_config_selectorIxNS0_10empty_typeEEEZNS1_34radix_sort_onesweep_global_offsetsIS3_Lb0EPxPS5_mNS0_19identity_decomposerEEE10hipError_tT1_T2_PT3_SE_jT4_jjP12ihipStream_tbEUlT_E_NS1_11comp_targetILNS1_3genE0ELNS1_11target_archE4294967295ELNS1_3gpuE0ELNS1_3repE0EEENS1_52radix_sort_onesweep_histogram_config_static_selectorELNS0_4arch9wavefront6targetE1EEEvSC_
	.p2align	8
	.type	_ZN7rocprim17ROCPRIM_400000_NS6detail17trampoline_kernelINS0_14default_configENS1_35radix_sort_onesweep_config_selectorIxNS0_10empty_typeEEEZNS1_34radix_sort_onesweep_global_offsetsIS3_Lb0EPxPS5_mNS0_19identity_decomposerEEE10hipError_tT1_T2_PT3_SE_jT4_jjP12ihipStream_tbEUlT_E_NS1_11comp_targetILNS1_3genE0ELNS1_11target_archE4294967295ELNS1_3gpuE0ELNS1_3repE0EEENS1_52radix_sort_onesweep_histogram_config_static_selectorELNS0_4arch9wavefront6targetE1EEEvSC_,@function
_ZN7rocprim17ROCPRIM_400000_NS6detail17trampoline_kernelINS0_14default_configENS1_35radix_sort_onesweep_config_selectorIxNS0_10empty_typeEEEZNS1_34radix_sort_onesweep_global_offsetsIS3_Lb0EPxPS5_mNS0_19identity_decomposerEEE10hipError_tT1_T2_PT3_SE_jT4_jjP12ihipStream_tbEUlT_E_NS1_11comp_targetILNS1_3genE0ELNS1_11target_archE4294967295ELNS1_3gpuE0ELNS1_3repE0EEENS1_52radix_sort_onesweep_histogram_config_static_selectorELNS0_4arch9wavefront6targetE1EEEvSC_: ; @_ZN7rocprim17ROCPRIM_400000_NS6detail17trampoline_kernelINS0_14default_configENS1_35radix_sort_onesweep_config_selectorIxNS0_10empty_typeEEEZNS1_34radix_sort_onesweep_global_offsetsIS3_Lb0EPxPS5_mNS0_19identity_decomposerEEE10hipError_tT1_T2_PT3_SE_jT4_jjP12ihipStream_tbEUlT_E_NS1_11comp_targetILNS1_3genE0ELNS1_11target_archE4294967295ELNS1_3gpuE0ELNS1_3repE0EEENS1_52radix_sort_onesweep_histogram_config_static_selectorELNS0_4arch9wavefront6targetE1EEEvSC_
; %bb.0:
	.section	.rodata,"a",@progbits
	.p2align	6, 0x0
	.amdhsa_kernel _ZN7rocprim17ROCPRIM_400000_NS6detail17trampoline_kernelINS0_14default_configENS1_35radix_sort_onesweep_config_selectorIxNS0_10empty_typeEEEZNS1_34radix_sort_onesweep_global_offsetsIS3_Lb0EPxPS5_mNS0_19identity_decomposerEEE10hipError_tT1_T2_PT3_SE_jT4_jjP12ihipStream_tbEUlT_E_NS1_11comp_targetILNS1_3genE0ELNS1_11target_archE4294967295ELNS1_3gpuE0ELNS1_3repE0EEENS1_52radix_sort_onesweep_histogram_config_static_selectorELNS0_4arch9wavefront6targetE1EEEvSC_
		.amdhsa_group_segment_fixed_size 0
		.amdhsa_private_segment_fixed_size 0
		.amdhsa_kernarg_size 48
		.amdhsa_user_sgpr_count 6
		.amdhsa_user_sgpr_private_segment_buffer 1
		.amdhsa_user_sgpr_dispatch_ptr 0
		.amdhsa_user_sgpr_queue_ptr 0
		.amdhsa_user_sgpr_kernarg_segment_ptr 1
		.amdhsa_user_sgpr_dispatch_id 0
		.amdhsa_user_sgpr_flat_scratch_init 0
		.amdhsa_user_sgpr_kernarg_preload_length 0
		.amdhsa_user_sgpr_kernarg_preload_offset 0
		.amdhsa_user_sgpr_private_segment_size 0
		.amdhsa_uses_dynamic_stack 0
		.amdhsa_system_sgpr_private_segment_wavefront_offset 0
		.amdhsa_system_sgpr_workgroup_id_x 1
		.amdhsa_system_sgpr_workgroup_id_y 0
		.amdhsa_system_sgpr_workgroup_id_z 0
		.amdhsa_system_sgpr_workgroup_info 0
		.amdhsa_system_vgpr_workitem_id 0
		.amdhsa_next_free_vgpr 1
		.amdhsa_next_free_sgpr 0
		.amdhsa_accum_offset 4
		.amdhsa_reserve_vcc 0
		.amdhsa_reserve_flat_scratch 0
		.amdhsa_float_round_mode_32 0
		.amdhsa_float_round_mode_16_64 0
		.amdhsa_float_denorm_mode_32 3
		.amdhsa_float_denorm_mode_16_64 3
		.amdhsa_dx10_clamp 1
		.amdhsa_ieee_mode 1
		.amdhsa_fp16_overflow 0
		.amdhsa_tg_split 0
		.amdhsa_exception_fp_ieee_invalid_op 0
		.amdhsa_exception_fp_denorm_src 0
		.amdhsa_exception_fp_ieee_div_zero 0
		.amdhsa_exception_fp_ieee_overflow 0
		.amdhsa_exception_fp_ieee_underflow 0
		.amdhsa_exception_fp_ieee_inexact 0
		.amdhsa_exception_int_div_zero 0
	.end_amdhsa_kernel
	.section	.text._ZN7rocprim17ROCPRIM_400000_NS6detail17trampoline_kernelINS0_14default_configENS1_35radix_sort_onesweep_config_selectorIxNS0_10empty_typeEEEZNS1_34radix_sort_onesweep_global_offsetsIS3_Lb0EPxPS5_mNS0_19identity_decomposerEEE10hipError_tT1_T2_PT3_SE_jT4_jjP12ihipStream_tbEUlT_E_NS1_11comp_targetILNS1_3genE0ELNS1_11target_archE4294967295ELNS1_3gpuE0ELNS1_3repE0EEENS1_52radix_sort_onesweep_histogram_config_static_selectorELNS0_4arch9wavefront6targetE1EEEvSC_,"axG",@progbits,_ZN7rocprim17ROCPRIM_400000_NS6detail17trampoline_kernelINS0_14default_configENS1_35radix_sort_onesweep_config_selectorIxNS0_10empty_typeEEEZNS1_34radix_sort_onesweep_global_offsetsIS3_Lb0EPxPS5_mNS0_19identity_decomposerEEE10hipError_tT1_T2_PT3_SE_jT4_jjP12ihipStream_tbEUlT_E_NS1_11comp_targetILNS1_3genE0ELNS1_11target_archE4294967295ELNS1_3gpuE0ELNS1_3repE0EEENS1_52radix_sort_onesweep_histogram_config_static_selectorELNS0_4arch9wavefront6targetE1EEEvSC_,comdat
.Lfunc_end1072:
	.size	_ZN7rocprim17ROCPRIM_400000_NS6detail17trampoline_kernelINS0_14default_configENS1_35radix_sort_onesweep_config_selectorIxNS0_10empty_typeEEEZNS1_34radix_sort_onesweep_global_offsetsIS3_Lb0EPxPS5_mNS0_19identity_decomposerEEE10hipError_tT1_T2_PT3_SE_jT4_jjP12ihipStream_tbEUlT_E_NS1_11comp_targetILNS1_3genE0ELNS1_11target_archE4294967295ELNS1_3gpuE0ELNS1_3repE0EEENS1_52radix_sort_onesweep_histogram_config_static_selectorELNS0_4arch9wavefront6targetE1EEEvSC_, .Lfunc_end1072-_ZN7rocprim17ROCPRIM_400000_NS6detail17trampoline_kernelINS0_14default_configENS1_35radix_sort_onesweep_config_selectorIxNS0_10empty_typeEEEZNS1_34radix_sort_onesweep_global_offsetsIS3_Lb0EPxPS5_mNS0_19identity_decomposerEEE10hipError_tT1_T2_PT3_SE_jT4_jjP12ihipStream_tbEUlT_E_NS1_11comp_targetILNS1_3genE0ELNS1_11target_archE4294967295ELNS1_3gpuE0ELNS1_3repE0EEENS1_52radix_sort_onesweep_histogram_config_static_selectorELNS0_4arch9wavefront6targetE1EEEvSC_
                                        ; -- End function
	.section	.AMDGPU.csdata,"",@progbits
; Kernel info:
; codeLenInByte = 0
; NumSgprs: 4
; NumVgprs: 0
; NumAgprs: 0
; TotalNumVgprs: 0
; ScratchSize: 0
; MemoryBound: 0
; FloatMode: 240
; IeeeMode: 1
; LDSByteSize: 0 bytes/workgroup (compile time only)
; SGPRBlocks: 0
; VGPRBlocks: 0
; NumSGPRsForWavesPerEU: 4
; NumVGPRsForWavesPerEU: 1
; AccumOffset: 4
; Occupancy: 8
; WaveLimiterHint : 0
; COMPUTE_PGM_RSRC2:SCRATCH_EN: 0
; COMPUTE_PGM_RSRC2:USER_SGPR: 6
; COMPUTE_PGM_RSRC2:TRAP_HANDLER: 0
; COMPUTE_PGM_RSRC2:TGID_X_EN: 1
; COMPUTE_PGM_RSRC2:TGID_Y_EN: 0
; COMPUTE_PGM_RSRC2:TGID_Z_EN: 0
; COMPUTE_PGM_RSRC2:TIDIG_COMP_CNT: 0
; COMPUTE_PGM_RSRC3_GFX90A:ACCUM_OFFSET: 0
; COMPUTE_PGM_RSRC3_GFX90A:TG_SPLIT: 0
	.section	.text._ZN7rocprim17ROCPRIM_400000_NS6detail17trampoline_kernelINS0_14default_configENS1_35radix_sort_onesweep_config_selectorIxNS0_10empty_typeEEEZNS1_34radix_sort_onesweep_global_offsetsIS3_Lb0EPxPS5_mNS0_19identity_decomposerEEE10hipError_tT1_T2_PT3_SE_jT4_jjP12ihipStream_tbEUlT_E_NS1_11comp_targetILNS1_3genE6ELNS1_11target_archE950ELNS1_3gpuE13ELNS1_3repE0EEENS1_52radix_sort_onesweep_histogram_config_static_selectorELNS0_4arch9wavefront6targetE1EEEvSC_,"axG",@progbits,_ZN7rocprim17ROCPRIM_400000_NS6detail17trampoline_kernelINS0_14default_configENS1_35radix_sort_onesweep_config_selectorIxNS0_10empty_typeEEEZNS1_34radix_sort_onesweep_global_offsetsIS3_Lb0EPxPS5_mNS0_19identity_decomposerEEE10hipError_tT1_T2_PT3_SE_jT4_jjP12ihipStream_tbEUlT_E_NS1_11comp_targetILNS1_3genE6ELNS1_11target_archE950ELNS1_3gpuE13ELNS1_3repE0EEENS1_52radix_sort_onesweep_histogram_config_static_selectorELNS0_4arch9wavefront6targetE1EEEvSC_,comdat
	.protected	_ZN7rocprim17ROCPRIM_400000_NS6detail17trampoline_kernelINS0_14default_configENS1_35radix_sort_onesweep_config_selectorIxNS0_10empty_typeEEEZNS1_34radix_sort_onesweep_global_offsetsIS3_Lb0EPxPS5_mNS0_19identity_decomposerEEE10hipError_tT1_T2_PT3_SE_jT4_jjP12ihipStream_tbEUlT_E_NS1_11comp_targetILNS1_3genE6ELNS1_11target_archE950ELNS1_3gpuE13ELNS1_3repE0EEENS1_52radix_sort_onesweep_histogram_config_static_selectorELNS0_4arch9wavefront6targetE1EEEvSC_ ; -- Begin function _ZN7rocprim17ROCPRIM_400000_NS6detail17trampoline_kernelINS0_14default_configENS1_35radix_sort_onesweep_config_selectorIxNS0_10empty_typeEEEZNS1_34radix_sort_onesweep_global_offsetsIS3_Lb0EPxPS5_mNS0_19identity_decomposerEEE10hipError_tT1_T2_PT3_SE_jT4_jjP12ihipStream_tbEUlT_E_NS1_11comp_targetILNS1_3genE6ELNS1_11target_archE950ELNS1_3gpuE13ELNS1_3repE0EEENS1_52radix_sort_onesweep_histogram_config_static_selectorELNS0_4arch9wavefront6targetE1EEEvSC_
	.globl	_ZN7rocprim17ROCPRIM_400000_NS6detail17trampoline_kernelINS0_14default_configENS1_35radix_sort_onesweep_config_selectorIxNS0_10empty_typeEEEZNS1_34radix_sort_onesweep_global_offsetsIS3_Lb0EPxPS5_mNS0_19identity_decomposerEEE10hipError_tT1_T2_PT3_SE_jT4_jjP12ihipStream_tbEUlT_E_NS1_11comp_targetILNS1_3genE6ELNS1_11target_archE950ELNS1_3gpuE13ELNS1_3repE0EEENS1_52radix_sort_onesweep_histogram_config_static_selectorELNS0_4arch9wavefront6targetE1EEEvSC_
	.p2align	8
	.type	_ZN7rocprim17ROCPRIM_400000_NS6detail17trampoline_kernelINS0_14default_configENS1_35radix_sort_onesweep_config_selectorIxNS0_10empty_typeEEEZNS1_34radix_sort_onesweep_global_offsetsIS3_Lb0EPxPS5_mNS0_19identity_decomposerEEE10hipError_tT1_T2_PT3_SE_jT4_jjP12ihipStream_tbEUlT_E_NS1_11comp_targetILNS1_3genE6ELNS1_11target_archE950ELNS1_3gpuE13ELNS1_3repE0EEENS1_52radix_sort_onesweep_histogram_config_static_selectorELNS0_4arch9wavefront6targetE1EEEvSC_,@function
_ZN7rocprim17ROCPRIM_400000_NS6detail17trampoline_kernelINS0_14default_configENS1_35radix_sort_onesweep_config_selectorIxNS0_10empty_typeEEEZNS1_34radix_sort_onesweep_global_offsetsIS3_Lb0EPxPS5_mNS0_19identity_decomposerEEE10hipError_tT1_T2_PT3_SE_jT4_jjP12ihipStream_tbEUlT_E_NS1_11comp_targetILNS1_3genE6ELNS1_11target_archE950ELNS1_3gpuE13ELNS1_3repE0EEENS1_52radix_sort_onesweep_histogram_config_static_selectorELNS0_4arch9wavefront6targetE1EEEvSC_: ; @_ZN7rocprim17ROCPRIM_400000_NS6detail17trampoline_kernelINS0_14default_configENS1_35radix_sort_onesweep_config_selectorIxNS0_10empty_typeEEEZNS1_34radix_sort_onesweep_global_offsetsIS3_Lb0EPxPS5_mNS0_19identity_decomposerEEE10hipError_tT1_T2_PT3_SE_jT4_jjP12ihipStream_tbEUlT_E_NS1_11comp_targetILNS1_3genE6ELNS1_11target_archE950ELNS1_3gpuE13ELNS1_3repE0EEENS1_52radix_sort_onesweep_histogram_config_static_selectorELNS0_4arch9wavefront6targetE1EEEvSC_
; %bb.0:
	.section	.rodata,"a",@progbits
	.p2align	6, 0x0
	.amdhsa_kernel _ZN7rocprim17ROCPRIM_400000_NS6detail17trampoline_kernelINS0_14default_configENS1_35radix_sort_onesweep_config_selectorIxNS0_10empty_typeEEEZNS1_34radix_sort_onesweep_global_offsetsIS3_Lb0EPxPS5_mNS0_19identity_decomposerEEE10hipError_tT1_T2_PT3_SE_jT4_jjP12ihipStream_tbEUlT_E_NS1_11comp_targetILNS1_3genE6ELNS1_11target_archE950ELNS1_3gpuE13ELNS1_3repE0EEENS1_52radix_sort_onesweep_histogram_config_static_selectorELNS0_4arch9wavefront6targetE1EEEvSC_
		.amdhsa_group_segment_fixed_size 0
		.amdhsa_private_segment_fixed_size 0
		.amdhsa_kernarg_size 48
		.amdhsa_user_sgpr_count 6
		.amdhsa_user_sgpr_private_segment_buffer 1
		.amdhsa_user_sgpr_dispatch_ptr 0
		.amdhsa_user_sgpr_queue_ptr 0
		.amdhsa_user_sgpr_kernarg_segment_ptr 1
		.amdhsa_user_sgpr_dispatch_id 0
		.amdhsa_user_sgpr_flat_scratch_init 0
		.amdhsa_user_sgpr_kernarg_preload_length 0
		.amdhsa_user_sgpr_kernarg_preload_offset 0
		.amdhsa_user_sgpr_private_segment_size 0
		.amdhsa_uses_dynamic_stack 0
		.amdhsa_system_sgpr_private_segment_wavefront_offset 0
		.amdhsa_system_sgpr_workgroup_id_x 1
		.amdhsa_system_sgpr_workgroup_id_y 0
		.amdhsa_system_sgpr_workgroup_id_z 0
		.amdhsa_system_sgpr_workgroup_info 0
		.amdhsa_system_vgpr_workitem_id 0
		.amdhsa_next_free_vgpr 1
		.amdhsa_next_free_sgpr 0
		.amdhsa_accum_offset 4
		.amdhsa_reserve_vcc 0
		.amdhsa_reserve_flat_scratch 0
		.amdhsa_float_round_mode_32 0
		.amdhsa_float_round_mode_16_64 0
		.amdhsa_float_denorm_mode_32 3
		.amdhsa_float_denorm_mode_16_64 3
		.amdhsa_dx10_clamp 1
		.amdhsa_ieee_mode 1
		.amdhsa_fp16_overflow 0
		.amdhsa_tg_split 0
		.amdhsa_exception_fp_ieee_invalid_op 0
		.amdhsa_exception_fp_denorm_src 0
		.amdhsa_exception_fp_ieee_div_zero 0
		.amdhsa_exception_fp_ieee_overflow 0
		.amdhsa_exception_fp_ieee_underflow 0
		.amdhsa_exception_fp_ieee_inexact 0
		.amdhsa_exception_int_div_zero 0
	.end_amdhsa_kernel
	.section	.text._ZN7rocprim17ROCPRIM_400000_NS6detail17trampoline_kernelINS0_14default_configENS1_35radix_sort_onesweep_config_selectorIxNS0_10empty_typeEEEZNS1_34radix_sort_onesweep_global_offsetsIS3_Lb0EPxPS5_mNS0_19identity_decomposerEEE10hipError_tT1_T2_PT3_SE_jT4_jjP12ihipStream_tbEUlT_E_NS1_11comp_targetILNS1_3genE6ELNS1_11target_archE950ELNS1_3gpuE13ELNS1_3repE0EEENS1_52radix_sort_onesweep_histogram_config_static_selectorELNS0_4arch9wavefront6targetE1EEEvSC_,"axG",@progbits,_ZN7rocprim17ROCPRIM_400000_NS6detail17trampoline_kernelINS0_14default_configENS1_35radix_sort_onesweep_config_selectorIxNS0_10empty_typeEEEZNS1_34radix_sort_onesweep_global_offsetsIS3_Lb0EPxPS5_mNS0_19identity_decomposerEEE10hipError_tT1_T2_PT3_SE_jT4_jjP12ihipStream_tbEUlT_E_NS1_11comp_targetILNS1_3genE6ELNS1_11target_archE950ELNS1_3gpuE13ELNS1_3repE0EEENS1_52radix_sort_onesweep_histogram_config_static_selectorELNS0_4arch9wavefront6targetE1EEEvSC_,comdat
.Lfunc_end1073:
	.size	_ZN7rocprim17ROCPRIM_400000_NS6detail17trampoline_kernelINS0_14default_configENS1_35radix_sort_onesweep_config_selectorIxNS0_10empty_typeEEEZNS1_34radix_sort_onesweep_global_offsetsIS3_Lb0EPxPS5_mNS0_19identity_decomposerEEE10hipError_tT1_T2_PT3_SE_jT4_jjP12ihipStream_tbEUlT_E_NS1_11comp_targetILNS1_3genE6ELNS1_11target_archE950ELNS1_3gpuE13ELNS1_3repE0EEENS1_52radix_sort_onesweep_histogram_config_static_selectorELNS0_4arch9wavefront6targetE1EEEvSC_, .Lfunc_end1073-_ZN7rocprim17ROCPRIM_400000_NS6detail17trampoline_kernelINS0_14default_configENS1_35radix_sort_onesweep_config_selectorIxNS0_10empty_typeEEEZNS1_34radix_sort_onesweep_global_offsetsIS3_Lb0EPxPS5_mNS0_19identity_decomposerEEE10hipError_tT1_T2_PT3_SE_jT4_jjP12ihipStream_tbEUlT_E_NS1_11comp_targetILNS1_3genE6ELNS1_11target_archE950ELNS1_3gpuE13ELNS1_3repE0EEENS1_52radix_sort_onesweep_histogram_config_static_selectorELNS0_4arch9wavefront6targetE1EEEvSC_
                                        ; -- End function
	.section	.AMDGPU.csdata,"",@progbits
; Kernel info:
; codeLenInByte = 0
; NumSgprs: 4
; NumVgprs: 0
; NumAgprs: 0
; TotalNumVgprs: 0
; ScratchSize: 0
; MemoryBound: 0
; FloatMode: 240
; IeeeMode: 1
; LDSByteSize: 0 bytes/workgroup (compile time only)
; SGPRBlocks: 0
; VGPRBlocks: 0
; NumSGPRsForWavesPerEU: 4
; NumVGPRsForWavesPerEU: 1
; AccumOffset: 4
; Occupancy: 8
; WaveLimiterHint : 0
; COMPUTE_PGM_RSRC2:SCRATCH_EN: 0
; COMPUTE_PGM_RSRC2:USER_SGPR: 6
; COMPUTE_PGM_RSRC2:TRAP_HANDLER: 0
; COMPUTE_PGM_RSRC2:TGID_X_EN: 1
; COMPUTE_PGM_RSRC2:TGID_Y_EN: 0
; COMPUTE_PGM_RSRC2:TGID_Z_EN: 0
; COMPUTE_PGM_RSRC2:TIDIG_COMP_CNT: 0
; COMPUTE_PGM_RSRC3_GFX90A:ACCUM_OFFSET: 0
; COMPUTE_PGM_RSRC3_GFX90A:TG_SPLIT: 0
	.section	.text._ZN7rocprim17ROCPRIM_400000_NS6detail17trampoline_kernelINS0_14default_configENS1_35radix_sort_onesweep_config_selectorIxNS0_10empty_typeEEEZNS1_34radix_sort_onesweep_global_offsetsIS3_Lb0EPxPS5_mNS0_19identity_decomposerEEE10hipError_tT1_T2_PT3_SE_jT4_jjP12ihipStream_tbEUlT_E_NS1_11comp_targetILNS1_3genE5ELNS1_11target_archE942ELNS1_3gpuE9ELNS1_3repE0EEENS1_52radix_sort_onesweep_histogram_config_static_selectorELNS0_4arch9wavefront6targetE1EEEvSC_,"axG",@progbits,_ZN7rocprim17ROCPRIM_400000_NS6detail17trampoline_kernelINS0_14default_configENS1_35radix_sort_onesweep_config_selectorIxNS0_10empty_typeEEEZNS1_34radix_sort_onesweep_global_offsetsIS3_Lb0EPxPS5_mNS0_19identity_decomposerEEE10hipError_tT1_T2_PT3_SE_jT4_jjP12ihipStream_tbEUlT_E_NS1_11comp_targetILNS1_3genE5ELNS1_11target_archE942ELNS1_3gpuE9ELNS1_3repE0EEENS1_52radix_sort_onesweep_histogram_config_static_selectorELNS0_4arch9wavefront6targetE1EEEvSC_,comdat
	.protected	_ZN7rocprim17ROCPRIM_400000_NS6detail17trampoline_kernelINS0_14default_configENS1_35radix_sort_onesweep_config_selectorIxNS0_10empty_typeEEEZNS1_34radix_sort_onesweep_global_offsetsIS3_Lb0EPxPS5_mNS0_19identity_decomposerEEE10hipError_tT1_T2_PT3_SE_jT4_jjP12ihipStream_tbEUlT_E_NS1_11comp_targetILNS1_3genE5ELNS1_11target_archE942ELNS1_3gpuE9ELNS1_3repE0EEENS1_52radix_sort_onesweep_histogram_config_static_selectorELNS0_4arch9wavefront6targetE1EEEvSC_ ; -- Begin function _ZN7rocprim17ROCPRIM_400000_NS6detail17trampoline_kernelINS0_14default_configENS1_35radix_sort_onesweep_config_selectorIxNS0_10empty_typeEEEZNS1_34radix_sort_onesweep_global_offsetsIS3_Lb0EPxPS5_mNS0_19identity_decomposerEEE10hipError_tT1_T2_PT3_SE_jT4_jjP12ihipStream_tbEUlT_E_NS1_11comp_targetILNS1_3genE5ELNS1_11target_archE942ELNS1_3gpuE9ELNS1_3repE0EEENS1_52radix_sort_onesweep_histogram_config_static_selectorELNS0_4arch9wavefront6targetE1EEEvSC_
	.globl	_ZN7rocprim17ROCPRIM_400000_NS6detail17trampoline_kernelINS0_14default_configENS1_35radix_sort_onesweep_config_selectorIxNS0_10empty_typeEEEZNS1_34radix_sort_onesweep_global_offsetsIS3_Lb0EPxPS5_mNS0_19identity_decomposerEEE10hipError_tT1_T2_PT3_SE_jT4_jjP12ihipStream_tbEUlT_E_NS1_11comp_targetILNS1_3genE5ELNS1_11target_archE942ELNS1_3gpuE9ELNS1_3repE0EEENS1_52radix_sort_onesweep_histogram_config_static_selectorELNS0_4arch9wavefront6targetE1EEEvSC_
	.p2align	8
	.type	_ZN7rocprim17ROCPRIM_400000_NS6detail17trampoline_kernelINS0_14default_configENS1_35radix_sort_onesweep_config_selectorIxNS0_10empty_typeEEEZNS1_34radix_sort_onesweep_global_offsetsIS3_Lb0EPxPS5_mNS0_19identity_decomposerEEE10hipError_tT1_T2_PT3_SE_jT4_jjP12ihipStream_tbEUlT_E_NS1_11comp_targetILNS1_3genE5ELNS1_11target_archE942ELNS1_3gpuE9ELNS1_3repE0EEENS1_52radix_sort_onesweep_histogram_config_static_selectorELNS0_4arch9wavefront6targetE1EEEvSC_,@function
_ZN7rocprim17ROCPRIM_400000_NS6detail17trampoline_kernelINS0_14default_configENS1_35radix_sort_onesweep_config_selectorIxNS0_10empty_typeEEEZNS1_34radix_sort_onesweep_global_offsetsIS3_Lb0EPxPS5_mNS0_19identity_decomposerEEE10hipError_tT1_T2_PT3_SE_jT4_jjP12ihipStream_tbEUlT_E_NS1_11comp_targetILNS1_3genE5ELNS1_11target_archE942ELNS1_3gpuE9ELNS1_3repE0EEENS1_52radix_sort_onesweep_histogram_config_static_selectorELNS0_4arch9wavefront6targetE1EEEvSC_: ; @_ZN7rocprim17ROCPRIM_400000_NS6detail17trampoline_kernelINS0_14default_configENS1_35radix_sort_onesweep_config_selectorIxNS0_10empty_typeEEEZNS1_34radix_sort_onesweep_global_offsetsIS3_Lb0EPxPS5_mNS0_19identity_decomposerEEE10hipError_tT1_T2_PT3_SE_jT4_jjP12ihipStream_tbEUlT_E_NS1_11comp_targetILNS1_3genE5ELNS1_11target_archE942ELNS1_3gpuE9ELNS1_3repE0EEENS1_52radix_sort_onesweep_histogram_config_static_selectorELNS0_4arch9wavefront6targetE1EEEvSC_
; %bb.0:
	.section	.rodata,"a",@progbits
	.p2align	6, 0x0
	.amdhsa_kernel _ZN7rocprim17ROCPRIM_400000_NS6detail17trampoline_kernelINS0_14default_configENS1_35radix_sort_onesweep_config_selectorIxNS0_10empty_typeEEEZNS1_34radix_sort_onesweep_global_offsetsIS3_Lb0EPxPS5_mNS0_19identity_decomposerEEE10hipError_tT1_T2_PT3_SE_jT4_jjP12ihipStream_tbEUlT_E_NS1_11comp_targetILNS1_3genE5ELNS1_11target_archE942ELNS1_3gpuE9ELNS1_3repE0EEENS1_52radix_sort_onesweep_histogram_config_static_selectorELNS0_4arch9wavefront6targetE1EEEvSC_
		.amdhsa_group_segment_fixed_size 0
		.amdhsa_private_segment_fixed_size 0
		.amdhsa_kernarg_size 48
		.amdhsa_user_sgpr_count 6
		.amdhsa_user_sgpr_private_segment_buffer 1
		.amdhsa_user_sgpr_dispatch_ptr 0
		.amdhsa_user_sgpr_queue_ptr 0
		.amdhsa_user_sgpr_kernarg_segment_ptr 1
		.amdhsa_user_sgpr_dispatch_id 0
		.amdhsa_user_sgpr_flat_scratch_init 0
		.amdhsa_user_sgpr_kernarg_preload_length 0
		.amdhsa_user_sgpr_kernarg_preload_offset 0
		.amdhsa_user_sgpr_private_segment_size 0
		.amdhsa_uses_dynamic_stack 0
		.amdhsa_system_sgpr_private_segment_wavefront_offset 0
		.amdhsa_system_sgpr_workgroup_id_x 1
		.amdhsa_system_sgpr_workgroup_id_y 0
		.amdhsa_system_sgpr_workgroup_id_z 0
		.amdhsa_system_sgpr_workgroup_info 0
		.amdhsa_system_vgpr_workitem_id 0
		.amdhsa_next_free_vgpr 1
		.amdhsa_next_free_sgpr 0
		.amdhsa_accum_offset 4
		.amdhsa_reserve_vcc 0
		.amdhsa_reserve_flat_scratch 0
		.amdhsa_float_round_mode_32 0
		.amdhsa_float_round_mode_16_64 0
		.amdhsa_float_denorm_mode_32 3
		.amdhsa_float_denorm_mode_16_64 3
		.amdhsa_dx10_clamp 1
		.amdhsa_ieee_mode 1
		.amdhsa_fp16_overflow 0
		.amdhsa_tg_split 0
		.amdhsa_exception_fp_ieee_invalid_op 0
		.amdhsa_exception_fp_denorm_src 0
		.amdhsa_exception_fp_ieee_div_zero 0
		.amdhsa_exception_fp_ieee_overflow 0
		.amdhsa_exception_fp_ieee_underflow 0
		.amdhsa_exception_fp_ieee_inexact 0
		.amdhsa_exception_int_div_zero 0
	.end_amdhsa_kernel
	.section	.text._ZN7rocprim17ROCPRIM_400000_NS6detail17trampoline_kernelINS0_14default_configENS1_35radix_sort_onesweep_config_selectorIxNS0_10empty_typeEEEZNS1_34radix_sort_onesweep_global_offsetsIS3_Lb0EPxPS5_mNS0_19identity_decomposerEEE10hipError_tT1_T2_PT3_SE_jT4_jjP12ihipStream_tbEUlT_E_NS1_11comp_targetILNS1_3genE5ELNS1_11target_archE942ELNS1_3gpuE9ELNS1_3repE0EEENS1_52radix_sort_onesweep_histogram_config_static_selectorELNS0_4arch9wavefront6targetE1EEEvSC_,"axG",@progbits,_ZN7rocprim17ROCPRIM_400000_NS6detail17trampoline_kernelINS0_14default_configENS1_35radix_sort_onesweep_config_selectorIxNS0_10empty_typeEEEZNS1_34radix_sort_onesweep_global_offsetsIS3_Lb0EPxPS5_mNS0_19identity_decomposerEEE10hipError_tT1_T2_PT3_SE_jT4_jjP12ihipStream_tbEUlT_E_NS1_11comp_targetILNS1_3genE5ELNS1_11target_archE942ELNS1_3gpuE9ELNS1_3repE0EEENS1_52radix_sort_onesweep_histogram_config_static_selectorELNS0_4arch9wavefront6targetE1EEEvSC_,comdat
.Lfunc_end1074:
	.size	_ZN7rocprim17ROCPRIM_400000_NS6detail17trampoline_kernelINS0_14default_configENS1_35radix_sort_onesweep_config_selectorIxNS0_10empty_typeEEEZNS1_34radix_sort_onesweep_global_offsetsIS3_Lb0EPxPS5_mNS0_19identity_decomposerEEE10hipError_tT1_T2_PT3_SE_jT4_jjP12ihipStream_tbEUlT_E_NS1_11comp_targetILNS1_3genE5ELNS1_11target_archE942ELNS1_3gpuE9ELNS1_3repE0EEENS1_52radix_sort_onesweep_histogram_config_static_selectorELNS0_4arch9wavefront6targetE1EEEvSC_, .Lfunc_end1074-_ZN7rocprim17ROCPRIM_400000_NS6detail17trampoline_kernelINS0_14default_configENS1_35radix_sort_onesweep_config_selectorIxNS0_10empty_typeEEEZNS1_34radix_sort_onesweep_global_offsetsIS3_Lb0EPxPS5_mNS0_19identity_decomposerEEE10hipError_tT1_T2_PT3_SE_jT4_jjP12ihipStream_tbEUlT_E_NS1_11comp_targetILNS1_3genE5ELNS1_11target_archE942ELNS1_3gpuE9ELNS1_3repE0EEENS1_52radix_sort_onesweep_histogram_config_static_selectorELNS0_4arch9wavefront6targetE1EEEvSC_
                                        ; -- End function
	.section	.AMDGPU.csdata,"",@progbits
; Kernel info:
; codeLenInByte = 0
; NumSgprs: 4
; NumVgprs: 0
; NumAgprs: 0
; TotalNumVgprs: 0
; ScratchSize: 0
; MemoryBound: 0
; FloatMode: 240
; IeeeMode: 1
; LDSByteSize: 0 bytes/workgroup (compile time only)
; SGPRBlocks: 0
; VGPRBlocks: 0
; NumSGPRsForWavesPerEU: 4
; NumVGPRsForWavesPerEU: 1
; AccumOffset: 4
; Occupancy: 8
; WaveLimiterHint : 0
; COMPUTE_PGM_RSRC2:SCRATCH_EN: 0
; COMPUTE_PGM_RSRC2:USER_SGPR: 6
; COMPUTE_PGM_RSRC2:TRAP_HANDLER: 0
; COMPUTE_PGM_RSRC2:TGID_X_EN: 1
; COMPUTE_PGM_RSRC2:TGID_Y_EN: 0
; COMPUTE_PGM_RSRC2:TGID_Z_EN: 0
; COMPUTE_PGM_RSRC2:TIDIG_COMP_CNT: 0
; COMPUTE_PGM_RSRC3_GFX90A:ACCUM_OFFSET: 0
; COMPUTE_PGM_RSRC3_GFX90A:TG_SPLIT: 0
	.section	.text._ZN7rocprim17ROCPRIM_400000_NS6detail17trampoline_kernelINS0_14default_configENS1_35radix_sort_onesweep_config_selectorIxNS0_10empty_typeEEEZNS1_34radix_sort_onesweep_global_offsetsIS3_Lb0EPxPS5_mNS0_19identity_decomposerEEE10hipError_tT1_T2_PT3_SE_jT4_jjP12ihipStream_tbEUlT_E_NS1_11comp_targetILNS1_3genE2ELNS1_11target_archE906ELNS1_3gpuE6ELNS1_3repE0EEENS1_52radix_sort_onesweep_histogram_config_static_selectorELNS0_4arch9wavefront6targetE1EEEvSC_,"axG",@progbits,_ZN7rocprim17ROCPRIM_400000_NS6detail17trampoline_kernelINS0_14default_configENS1_35radix_sort_onesweep_config_selectorIxNS0_10empty_typeEEEZNS1_34radix_sort_onesweep_global_offsetsIS3_Lb0EPxPS5_mNS0_19identity_decomposerEEE10hipError_tT1_T2_PT3_SE_jT4_jjP12ihipStream_tbEUlT_E_NS1_11comp_targetILNS1_3genE2ELNS1_11target_archE906ELNS1_3gpuE6ELNS1_3repE0EEENS1_52radix_sort_onesweep_histogram_config_static_selectorELNS0_4arch9wavefront6targetE1EEEvSC_,comdat
	.protected	_ZN7rocprim17ROCPRIM_400000_NS6detail17trampoline_kernelINS0_14default_configENS1_35radix_sort_onesweep_config_selectorIxNS0_10empty_typeEEEZNS1_34radix_sort_onesweep_global_offsetsIS3_Lb0EPxPS5_mNS0_19identity_decomposerEEE10hipError_tT1_T2_PT3_SE_jT4_jjP12ihipStream_tbEUlT_E_NS1_11comp_targetILNS1_3genE2ELNS1_11target_archE906ELNS1_3gpuE6ELNS1_3repE0EEENS1_52radix_sort_onesweep_histogram_config_static_selectorELNS0_4arch9wavefront6targetE1EEEvSC_ ; -- Begin function _ZN7rocprim17ROCPRIM_400000_NS6detail17trampoline_kernelINS0_14default_configENS1_35radix_sort_onesweep_config_selectorIxNS0_10empty_typeEEEZNS1_34radix_sort_onesweep_global_offsetsIS3_Lb0EPxPS5_mNS0_19identity_decomposerEEE10hipError_tT1_T2_PT3_SE_jT4_jjP12ihipStream_tbEUlT_E_NS1_11comp_targetILNS1_3genE2ELNS1_11target_archE906ELNS1_3gpuE6ELNS1_3repE0EEENS1_52radix_sort_onesweep_histogram_config_static_selectorELNS0_4arch9wavefront6targetE1EEEvSC_
	.globl	_ZN7rocprim17ROCPRIM_400000_NS6detail17trampoline_kernelINS0_14default_configENS1_35radix_sort_onesweep_config_selectorIxNS0_10empty_typeEEEZNS1_34radix_sort_onesweep_global_offsetsIS3_Lb0EPxPS5_mNS0_19identity_decomposerEEE10hipError_tT1_T2_PT3_SE_jT4_jjP12ihipStream_tbEUlT_E_NS1_11comp_targetILNS1_3genE2ELNS1_11target_archE906ELNS1_3gpuE6ELNS1_3repE0EEENS1_52radix_sort_onesweep_histogram_config_static_selectorELNS0_4arch9wavefront6targetE1EEEvSC_
	.p2align	8
	.type	_ZN7rocprim17ROCPRIM_400000_NS6detail17trampoline_kernelINS0_14default_configENS1_35radix_sort_onesweep_config_selectorIxNS0_10empty_typeEEEZNS1_34radix_sort_onesweep_global_offsetsIS3_Lb0EPxPS5_mNS0_19identity_decomposerEEE10hipError_tT1_T2_PT3_SE_jT4_jjP12ihipStream_tbEUlT_E_NS1_11comp_targetILNS1_3genE2ELNS1_11target_archE906ELNS1_3gpuE6ELNS1_3repE0EEENS1_52radix_sort_onesweep_histogram_config_static_selectorELNS0_4arch9wavefront6targetE1EEEvSC_,@function
_ZN7rocprim17ROCPRIM_400000_NS6detail17trampoline_kernelINS0_14default_configENS1_35radix_sort_onesweep_config_selectorIxNS0_10empty_typeEEEZNS1_34radix_sort_onesweep_global_offsetsIS3_Lb0EPxPS5_mNS0_19identity_decomposerEEE10hipError_tT1_T2_PT3_SE_jT4_jjP12ihipStream_tbEUlT_E_NS1_11comp_targetILNS1_3genE2ELNS1_11target_archE906ELNS1_3gpuE6ELNS1_3repE0EEENS1_52radix_sort_onesweep_histogram_config_static_selectorELNS0_4arch9wavefront6targetE1EEEvSC_: ; @_ZN7rocprim17ROCPRIM_400000_NS6detail17trampoline_kernelINS0_14default_configENS1_35radix_sort_onesweep_config_selectorIxNS0_10empty_typeEEEZNS1_34radix_sort_onesweep_global_offsetsIS3_Lb0EPxPS5_mNS0_19identity_decomposerEEE10hipError_tT1_T2_PT3_SE_jT4_jjP12ihipStream_tbEUlT_E_NS1_11comp_targetILNS1_3genE2ELNS1_11target_archE906ELNS1_3gpuE6ELNS1_3repE0EEENS1_52radix_sort_onesweep_histogram_config_static_selectorELNS0_4arch9wavefront6targetE1EEEvSC_
; %bb.0:
	.section	.rodata,"a",@progbits
	.p2align	6, 0x0
	.amdhsa_kernel _ZN7rocprim17ROCPRIM_400000_NS6detail17trampoline_kernelINS0_14default_configENS1_35radix_sort_onesweep_config_selectorIxNS0_10empty_typeEEEZNS1_34radix_sort_onesweep_global_offsetsIS3_Lb0EPxPS5_mNS0_19identity_decomposerEEE10hipError_tT1_T2_PT3_SE_jT4_jjP12ihipStream_tbEUlT_E_NS1_11comp_targetILNS1_3genE2ELNS1_11target_archE906ELNS1_3gpuE6ELNS1_3repE0EEENS1_52radix_sort_onesweep_histogram_config_static_selectorELNS0_4arch9wavefront6targetE1EEEvSC_
		.amdhsa_group_segment_fixed_size 0
		.amdhsa_private_segment_fixed_size 0
		.amdhsa_kernarg_size 48
		.amdhsa_user_sgpr_count 6
		.amdhsa_user_sgpr_private_segment_buffer 1
		.amdhsa_user_sgpr_dispatch_ptr 0
		.amdhsa_user_sgpr_queue_ptr 0
		.amdhsa_user_sgpr_kernarg_segment_ptr 1
		.amdhsa_user_sgpr_dispatch_id 0
		.amdhsa_user_sgpr_flat_scratch_init 0
		.amdhsa_user_sgpr_kernarg_preload_length 0
		.amdhsa_user_sgpr_kernarg_preload_offset 0
		.amdhsa_user_sgpr_private_segment_size 0
		.amdhsa_uses_dynamic_stack 0
		.amdhsa_system_sgpr_private_segment_wavefront_offset 0
		.amdhsa_system_sgpr_workgroup_id_x 1
		.amdhsa_system_sgpr_workgroup_id_y 0
		.amdhsa_system_sgpr_workgroup_id_z 0
		.amdhsa_system_sgpr_workgroup_info 0
		.amdhsa_system_vgpr_workitem_id 0
		.amdhsa_next_free_vgpr 1
		.amdhsa_next_free_sgpr 0
		.amdhsa_accum_offset 4
		.amdhsa_reserve_vcc 0
		.amdhsa_reserve_flat_scratch 0
		.amdhsa_float_round_mode_32 0
		.amdhsa_float_round_mode_16_64 0
		.amdhsa_float_denorm_mode_32 3
		.amdhsa_float_denorm_mode_16_64 3
		.amdhsa_dx10_clamp 1
		.amdhsa_ieee_mode 1
		.amdhsa_fp16_overflow 0
		.amdhsa_tg_split 0
		.amdhsa_exception_fp_ieee_invalid_op 0
		.amdhsa_exception_fp_denorm_src 0
		.amdhsa_exception_fp_ieee_div_zero 0
		.amdhsa_exception_fp_ieee_overflow 0
		.amdhsa_exception_fp_ieee_underflow 0
		.amdhsa_exception_fp_ieee_inexact 0
		.amdhsa_exception_int_div_zero 0
	.end_amdhsa_kernel
	.section	.text._ZN7rocprim17ROCPRIM_400000_NS6detail17trampoline_kernelINS0_14default_configENS1_35radix_sort_onesweep_config_selectorIxNS0_10empty_typeEEEZNS1_34radix_sort_onesweep_global_offsetsIS3_Lb0EPxPS5_mNS0_19identity_decomposerEEE10hipError_tT1_T2_PT3_SE_jT4_jjP12ihipStream_tbEUlT_E_NS1_11comp_targetILNS1_3genE2ELNS1_11target_archE906ELNS1_3gpuE6ELNS1_3repE0EEENS1_52radix_sort_onesweep_histogram_config_static_selectorELNS0_4arch9wavefront6targetE1EEEvSC_,"axG",@progbits,_ZN7rocprim17ROCPRIM_400000_NS6detail17trampoline_kernelINS0_14default_configENS1_35radix_sort_onesweep_config_selectorIxNS0_10empty_typeEEEZNS1_34radix_sort_onesweep_global_offsetsIS3_Lb0EPxPS5_mNS0_19identity_decomposerEEE10hipError_tT1_T2_PT3_SE_jT4_jjP12ihipStream_tbEUlT_E_NS1_11comp_targetILNS1_3genE2ELNS1_11target_archE906ELNS1_3gpuE6ELNS1_3repE0EEENS1_52radix_sort_onesweep_histogram_config_static_selectorELNS0_4arch9wavefront6targetE1EEEvSC_,comdat
.Lfunc_end1075:
	.size	_ZN7rocprim17ROCPRIM_400000_NS6detail17trampoline_kernelINS0_14default_configENS1_35radix_sort_onesweep_config_selectorIxNS0_10empty_typeEEEZNS1_34radix_sort_onesweep_global_offsetsIS3_Lb0EPxPS5_mNS0_19identity_decomposerEEE10hipError_tT1_T2_PT3_SE_jT4_jjP12ihipStream_tbEUlT_E_NS1_11comp_targetILNS1_3genE2ELNS1_11target_archE906ELNS1_3gpuE6ELNS1_3repE0EEENS1_52radix_sort_onesweep_histogram_config_static_selectorELNS0_4arch9wavefront6targetE1EEEvSC_, .Lfunc_end1075-_ZN7rocprim17ROCPRIM_400000_NS6detail17trampoline_kernelINS0_14default_configENS1_35radix_sort_onesweep_config_selectorIxNS0_10empty_typeEEEZNS1_34radix_sort_onesweep_global_offsetsIS3_Lb0EPxPS5_mNS0_19identity_decomposerEEE10hipError_tT1_T2_PT3_SE_jT4_jjP12ihipStream_tbEUlT_E_NS1_11comp_targetILNS1_3genE2ELNS1_11target_archE906ELNS1_3gpuE6ELNS1_3repE0EEENS1_52radix_sort_onesweep_histogram_config_static_selectorELNS0_4arch9wavefront6targetE1EEEvSC_
                                        ; -- End function
	.section	.AMDGPU.csdata,"",@progbits
; Kernel info:
; codeLenInByte = 0
; NumSgprs: 4
; NumVgprs: 0
; NumAgprs: 0
; TotalNumVgprs: 0
; ScratchSize: 0
; MemoryBound: 0
; FloatMode: 240
; IeeeMode: 1
; LDSByteSize: 0 bytes/workgroup (compile time only)
; SGPRBlocks: 0
; VGPRBlocks: 0
; NumSGPRsForWavesPerEU: 4
; NumVGPRsForWavesPerEU: 1
; AccumOffset: 4
; Occupancy: 8
; WaveLimiterHint : 0
; COMPUTE_PGM_RSRC2:SCRATCH_EN: 0
; COMPUTE_PGM_RSRC2:USER_SGPR: 6
; COMPUTE_PGM_RSRC2:TRAP_HANDLER: 0
; COMPUTE_PGM_RSRC2:TGID_X_EN: 1
; COMPUTE_PGM_RSRC2:TGID_Y_EN: 0
; COMPUTE_PGM_RSRC2:TGID_Z_EN: 0
; COMPUTE_PGM_RSRC2:TIDIG_COMP_CNT: 0
; COMPUTE_PGM_RSRC3_GFX90A:ACCUM_OFFSET: 0
; COMPUTE_PGM_RSRC3_GFX90A:TG_SPLIT: 0
	.section	.text._ZN7rocprim17ROCPRIM_400000_NS6detail17trampoline_kernelINS0_14default_configENS1_35radix_sort_onesweep_config_selectorIxNS0_10empty_typeEEEZNS1_34radix_sort_onesweep_global_offsetsIS3_Lb0EPxPS5_mNS0_19identity_decomposerEEE10hipError_tT1_T2_PT3_SE_jT4_jjP12ihipStream_tbEUlT_E_NS1_11comp_targetILNS1_3genE4ELNS1_11target_archE910ELNS1_3gpuE8ELNS1_3repE0EEENS1_52radix_sort_onesweep_histogram_config_static_selectorELNS0_4arch9wavefront6targetE1EEEvSC_,"axG",@progbits,_ZN7rocprim17ROCPRIM_400000_NS6detail17trampoline_kernelINS0_14default_configENS1_35radix_sort_onesweep_config_selectorIxNS0_10empty_typeEEEZNS1_34radix_sort_onesweep_global_offsetsIS3_Lb0EPxPS5_mNS0_19identity_decomposerEEE10hipError_tT1_T2_PT3_SE_jT4_jjP12ihipStream_tbEUlT_E_NS1_11comp_targetILNS1_3genE4ELNS1_11target_archE910ELNS1_3gpuE8ELNS1_3repE0EEENS1_52radix_sort_onesweep_histogram_config_static_selectorELNS0_4arch9wavefront6targetE1EEEvSC_,comdat
	.protected	_ZN7rocprim17ROCPRIM_400000_NS6detail17trampoline_kernelINS0_14default_configENS1_35radix_sort_onesweep_config_selectorIxNS0_10empty_typeEEEZNS1_34radix_sort_onesweep_global_offsetsIS3_Lb0EPxPS5_mNS0_19identity_decomposerEEE10hipError_tT1_T2_PT3_SE_jT4_jjP12ihipStream_tbEUlT_E_NS1_11comp_targetILNS1_3genE4ELNS1_11target_archE910ELNS1_3gpuE8ELNS1_3repE0EEENS1_52radix_sort_onesweep_histogram_config_static_selectorELNS0_4arch9wavefront6targetE1EEEvSC_ ; -- Begin function _ZN7rocprim17ROCPRIM_400000_NS6detail17trampoline_kernelINS0_14default_configENS1_35radix_sort_onesweep_config_selectorIxNS0_10empty_typeEEEZNS1_34radix_sort_onesweep_global_offsetsIS3_Lb0EPxPS5_mNS0_19identity_decomposerEEE10hipError_tT1_T2_PT3_SE_jT4_jjP12ihipStream_tbEUlT_E_NS1_11comp_targetILNS1_3genE4ELNS1_11target_archE910ELNS1_3gpuE8ELNS1_3repE0EEENS1_52radix_sort_onesweep_histogram_config_static_selectorELNS0_4arch9wavefront6targetE1EEEvSC_
	.globl	_ZN7rocprim17ROCPRIM_400000_NS6detail17trampoline_kernelINS0_14default_configENS1_35radix_sort_onesweep_config_selectorIxNS0_10empty_typeEEEZNS1_34radix_sort_onesweep_global_offsetsIS3_Lb0EPxPS5_mNS0_19identity_decomposerEEE10hipError_tT1_T2_PT3_SE_jT4_jjP12ihipStream_tbEUlT_E_NS1_11comp_targetILNS1_3genE4ELNS1_11target_archE910ELNS1_3gpuE8ELNS1_3repE0EEENS1_52radix_sort_onesweep_histogram_config_static_selectorELNS0_4arch9wavefront6targetE1EEEvSC_
	.p2align	8
	.type	_ZN7rocprim17ROCPRIM_400000_NS6detail17trampoline_kernelINS0_14default_configENS1_35radix_sort_onesweep_config_selectorIxNS0_10empty_typeEEEZNS1_34radix_sort_onesweep_global_offsetsIS3_Lb0EPxPS5_mNS0_19identity_decomposerEEE10hipError_tT1_T2_PT3_SE_jT4_jjP12ihipStream_tbEUlT_E_NS1_11comp_targetILNS1_3genE4ELNS1_11target_archE910ELNS1_3gpuE8ELNS1_3repE0EEENS1_52radix_sort_onesweep_histogram_config_static_selectorELNS0_4arch9wavefront6targetE1EEEvSC_,@function
_ZN7rocprim17ROCPRIM_400000_NS6detail17trampoline_kernelINS0_14default_configENS1_35radix_sort_onesweep_config_selectorIxNS0_10empty_typeEEEZNS1_34radix_sort_onesweep_global_offsetsIS3_Lb0EPxPS5_mNS0_19identity_decomposerEEE10hipError_tT1_T2_PT3_SE_jT4_jjP12ihipStream_tbEUlT_E_NS1_11comp_targetILNS1_3genE4ELNS1_11target_archE910ELNS1_3gpuE8ELNS1_3repE0EEENS1_52radix_sort_onesweep_histogram_config_static_selectorELNS0_4arch9wavefront6targetE1EEEvSC_: ; @_ZN7rocprim17ROCPRIM_400000_NS6detail17trampoline_kernelINS0_14default_configENS1_35radix_sort_onesweep_config_selectorIxNS0_10empty_typeEEEZNS1_34radix_sort_onesweep_global_offsetsIS3_Lb0EPxPS5_mNS0_19identity_decomposerEEE10hipError_tT1_T2_PT3_SE_jT4_jjP12ihipStream_tbEUlT_E_NS1_11comp_targetILNS1_3genE4ELNS1_11target_archE910ELNS1_3gpuE8ELNS1_3repE0EEENS1_52radix_sort_onesweep_histogram_config_static_selectorELNS0_4arch9wavefront6targetE1EEEvSC_
; %bb.0:
	s_load_dwordx2 s[10:11], s[4:5], 0x18
	s_load_dwordx4 s[0:3], s[4:5], 0x0
	s_load_dwordx2 s[8:9], s[4:5], 0x24
	s_mov_b32 s7, 0
	v_pk_mov_b32 v[2:3], s[6:7], s[6:7] op_sel:[0,1]
	s_lshl_b64 s[6:7], s[6:7], 16
	s_waitcnt lgkmcnt(0)
	v_cmp_le_u64_e32 vcc, s[10:11], v[2:3]
	s_add_u32 s6, s0, s6
	s_addc_u32 s7, s1, s7
	s_mov_b64 s[0:1], -1
	s_cbranch_vccz .LBB1076_319
; %bb.1:
	s_load_dword s0, s[4:5], 0x10
	s_lshl_b32 s1, s10, 13
                                        ; implicit-def: $vgpr16_vgpr17
	s_waitcnt lgkmcnt(0)
	s_sub_i32 s16, s0, s1
	v_cmp_gt_u32_e32 vcc, s16, v0
	s_and_saveexec_b64 s[0:1], vcc
	s_cbranch_execz .LBB1076_3
; %bb.2:
	v_lshlrev_b32_e32 v1, 3, v0
	global_load_dwordx2 v[16:17], v1, s[6:7]
.LBB1076_3:
	s_or_b64 exec, exec, s[0:1]
	v_or_b32_e32 v24, 0x400, v0
	v_cmp_gt_u32_e32 vcc, s16, v24
                                        ; implicit-def: $vgpr14_vgpr15
	s_and_saveexec_b64 s[0:1], vcc
	s_cbranch_execz .LBB1076_5
; %bb.4:
	v_lshlrev_b32_e32 v1, 3, v24
	global_load_dwordx2 v[14:15], v1, s[6:7]
.LBB1076_5:
	s_or_b64 exec, exec, s[0:1]
	v_or_b32_e32 v23, 0x800, v0
	v_cmp_gt_u32_e32 vcc, s16, v23
                                        ; implicit-def: $vgpr12_vgpr13
	s_and_saveexec_b64 s[0:1], vcc
	s_cbranch_execz .LBB1076_7
; %bb.6:
	v_lshlrev_b32_e32 v1, 3, v23
	global_load_dwordx2 v[12:13], v1, s[6:7]
.LBB1076_7:
	s_or_b64 exec, exec, s[0:1]
	v_or_b32_e32 v22, 0xc00, v0
	v_cmp_gt_u32_e32 vcc, s16, v22
                                        ; implicit-def: $vgpr10_vgpr11
	s_and_saveexec_b64 s[0:1], vcc
	s_cbranch_execz .LBB1076_9
; %bb.8:
	v_lshlrev_b32_e32 v1, 3, v22
	global_load_dwordx2 v[10:11], v1, s[6:7]
.LBB1076_9:
	s_or_b64 exec, exec, s[0:1]
	v_or_b32_e32 v21, 0x1000, v0
	v_cmp_gt_u32_e32 vcc, s16, v21
                                        ; implicit-def: $vgpr8_vgpr9
	s_and_saveexec_b64 s[0:1], vcc
	s_cbranch_execz .LBB1076_11
; %bb.10:
	v_lshlrev_b32_e32 v1, 3, v21
	global_load_dwordx2 v[8:9], v1, s[6:7]
.LBB1076_11:
	s_or_b64 exec, exec, s[0:1]
	v_or_b32_e32 v20, 0x1400, v0
	v_cmp_gt_u32_e32 vcc, s16, v20
                                        ; implicit-def: $vgpr6_vgpr7
	s_and_saveexec_b64 s[0:1], vcc
	s_cbranch_execz .LBB1076_13
; %bb.12:
	v_lshlrev_b32_e32 v1, 3, v20
	global_load_dwordx2 v[6:7], v1, s[6:7]
.LBB1076_13:
	s_or_b64 exec, exec, s[0:1]
	v_or_b32_e32 v19, 0x1800, v0
	v_cmp_gt_u32_e32 vcc, s16, v19
                                        ; implicit-def: $vgpr4_vgpr5
	s_and_saveexec_b64 s[0:1], vcc
	s_cbranch_execz .LBB1076_15
; %bb.14:
	v_lshlrev_b32_e32 v1, 3, v19
	global_load_dwordx2 v[4:5], v1, s[6:7]
.LBB1076_15:
	s_or_b64 exec, exec, s[0:1]
	v_or_b32_e32 v18, 0x1c00, v0
	v_cmp_gt_u32_e32 vcc, s16, v18
                                        ; implicit-def: $vgpr2_vgpr3
	s_and_saveexec_b64 s[0:1], vcc
	s_cbranch_execz .LBB1076_17
; %bb.16:
	v_lshlrev_b32_e32 v1, 3, v18
	global_load_dwordx2 v[2:3], v1, s[6:7]
.LBB1076_17:
	s_or_b64 exec, exec, s[0:1]
	s_cmp_le_u32 s9, s8
	s_cselect_b64 s[4:5], -1, 0
	v_cmp_le_u32_e32 vcc, s16, v0
	s_and_b64 s[0:1], s[4:5], exec
	v_lshlrev_b32_e32 v25, 2, v0
	v_mov_b32_e32 v26, 0
	s_cselect_b32 s17, 8, 10
	s_or_b64 s[0:1], s[4:5], vcc
	v_and_b32_e32 v1, 3, v0
	ds_write2st64_b32 v25, v26, v26 offset1:16
	ds_write2st64_b32 v25, v26, v26 offset0:32 offset1:48
	ds_write2st64_b32 v25, v26, v26 offset0:64 offset1:80
	;; [unrolled: 1-line block ×3, first 2 shown]
	s_waitcnt vmcnt(0)
	v_xor_b32_e32 v17, 0x80000000, v17
	s_xor_b64 s[10:11], s[0:1], -1
	v_mov_b32_e32 v25, s17
	s_waitcnt lgkmcnt(0)
	s_barrier
	s_and_saveexec_b64 s[0:1], s[10:11]
	s_cbranch_execz .LBB1076_19
; %bb.18:
	s_sub_i32 s10, s9, s8
	s_min_u32 s10, s10, 8
	v_lshrrev_b64 v[26:27], s8, v[16:17]
	v_bfe_u32 v25, v26, 0, s10
	v_lshlrev_b32_e32 v26, 2, v1
	v_lshl_or_b32 v25, v25, 4, v26
	v_mov_b32_e32 v26, 1
	ds_add_u32 v25, v26
	v_mov_b32_e32 v25, 0
.LBB1076_19:
	s_or_b64 exec, exec, s[0:1]
	v_cmp_gt_i32_e64 s[0:1], 10, v25
	s_mov_b64 s[12:13], -1
	s_and_saveexec_b64 s[10:11], s[0:1]
; %bb.20:
	v_cmp_eq_u32_e64 s[0:1], 0, v25
	s_orn2_b64 s[12:13], s[0:1], exec
; %bb.21:
	s_or_b64 exec, exec, s[10:11]
	s_and_saveexec_b64 s[10:11], s[12:13]
	s_cbranch_execz .LBB1076_54
; %bb.22:
	s_add_i32 s12, s8, 8
	s_cmp_le_u32 s9, s12
	s_cselect_b64 s[0:1], -1, 0
	s_and_b64 s[14:15], s[0:1], exec
	s_cselect_b32 s13, 8, 10
	s_or_b64 s[0:1], s[0:1], vcc
	s_xor_b64 s[14:15], s[0:1], -1
	v_mov_b32_e32 v25, s13
	s_and_saveexec_b64 s[0:1], s[14:15]
	s_cbranch_execz .LBB1076_24
; %bb.23:
	s_sub_i32 s13, s9, s12
	s_min_u32 s13, s13, 8
	v_lshrrev_b64 v[26:27], s12, v[16:17]
	v_bfe_u32 v25, v26, 0, s13
	v_lshlrev_b32_e32 v26, 2, v1
	v_lshl_or_b32 v25, v25, 4, v26
	v_mov_b32_e32 v26, 1
	ds_add_u32 v25, v26 offset:4096
	v_mov_b32_e32 v25, 0
.LBB1076_24:
	s_or_b64 exec, exec, s[0:1]
	v_cmp_gt_i32_e64 s[0:1], 10, v25
	s_mov_b64 s[12:13], -1
	s_and_saveexec_b64 s[14:15], s[0:1]
; %bb.25:
	v_cmp_eq_u32_e64 s[0:1], 0, v25
	s_orn2_b64 s[12:13], s[0:1], exec
; %bb.26:
	s_or_b64 exec, exec, s[14:15]
	s_and_b64 exec, exec, s[12:13]
	s_cbranch_execz .LBB1076_54
; %bb.27:
	s_add_i32 s12, s8, 16
	s_cmp_le_u32 s9, s12
	s_cselect_b64 s[0:1], -1, 0
	s_and_b64 s[14:15], s[0:1], exec
	s_cselect_b32 s13, 8, 10
	s_or_b64 s[0:1], s[0:1], vcc
	s_xor_b64 s[14:15], s[0:1], -1
	v_mov_b32_e32 v25, s13
	s_and_saveexec_b64 s[0:1], s[14:15]
	s_cbranch_execz .LBB1076_29
; %bb.28:
	s_sub_i32 s13, s9, s12
	s_min_u32 s13, s13, 8
	v_lshrrev_b64 v[26:27], s12, v[16:17]
	v_bfe_u32 v25, v26, 0, s13
	v_lshlrev_b32_e32 v26, 2, v1
	v_lshl_or_b32 v25, v25, 4, v26
	v_mov_b32_e32 v26, 1
	ds_add_u32 v25, v26 offset:8192
	v_mov_b32_e32 v25, 0
.LBB1076_29:
	s_or_b64 exec, exec, s[0:1]
	v_cmp_gt_i32_e64 s[0:1], 10, v25
	s_mov_b64 s[12:13], -1
	s_and_saveexec_b64 s[14:15], s[0:1]
; %bb.30:
	v_cmp_eq_u32_e64 s[0:1], 0, v25
	s_orn2_b64 s[12:13], s[0:1], exec
; %bb.31:
	s_or_b64 exec, exec, s[14:15]
	s_and_b64 exec, exec, s[12:13]
	;; [unrolled: 33-line block ×6, first 2 shown]
	s_cbranch_execz .LBB1076_54
; %bb.52:
	s_add_i32 s0, s8, 56
	s_cmp_gt_u32 s9, s0
	s_cselect_b64 s[12:13], -1, 0
	s_xor_b64 s[14:15], vcc, -1
	s_and_b64 s[12:13], s[12:13], s[14:15]
	s_and_b64 exec, exec, s[12:13]
	s_cbranch_execz .LBB1076_54
; %bb.53:
	s_sub_i32 s1, s9, s0
	s_min_u32 s1, s1, 8
	v_lshrrev_b64 v[16:17], s0, v[16:17]
	v_bfe_u32 v16, v16, 0, s1
	v_lshlrev_b32_e32 v17, 2, v1
	v_lshl_or_b32 v16, v16, 4, v17
	v_mov_b32_e32 v17, 1
	ds_add_u32 v16, v17 offset:28672
.LBB1076_54:
	s_or_b64 exec, exec, s[10:11]
	v_cmp_le_u32_e32 vcc, s16, v24
	s_or_b64 s[0:1], s[4:5], vcc
	v_xor_b32_e32 v15, 0x80000000, v15
	s_xor_b64 s[10:11], s[0:1], -1
	v_mov_b32_e32 v16, s17
	s_and_saveexec_b64 s[0:1], s[10:11]
	s_cbranch_execz .LBB1076_56
; %bb.55:
	s_sub_i32 s10, s9, s8
	s_min_u32 s10, s10, 8
	v_lshrrev_b64 v[16:17], s8, v[14:15]
	v_bfe_u32 v16, v16, 0, s10
	v_lshlrev_b32_e32 v17, 2, v1
	v_lshl_or_b32 v16, v16, 4, v17
	v_mov_b32_e32 v17, 1
	ds_add_u32 v16, v17
	v_mov_b32_e32 v16, 0
.LBB1076_56:
	s_or_b64 exec, exec, s[0:1]
	v_cmp_gt_i32_e64 s[0:1], 10, v16
	s_mov_b64 s[12:13], -1
	s_and_saveexec_b64 s[10:11], s[0:1]
; %bb.57:
	v_cmp_eq_u32_e64 s[0:1], 0, v16
	s_orn2_b64 s[12:13], s[0:1], exec
; %bb.58:
	s_or_b64 exec, exec, s[10:11]
	s_and_saveexec_b64 s[10:11], s[12:13]
	s_cbranch_execz .LBB1076_91
; %bb.59:
	s_add_i32 s12, s8, 8
	s_cmp_le_u32 s9, s12
	s_cselect_b64 s[0:1], -1, 0
	s_and_b64 s[14:15], s[0:1], exec
	s_cselect_b32 s13, 8, 10
	s_or_b64 s[0:1], s[0:1], vcc
	s_xor_b64 s[14:15], s[0:1], -1
	v_mov_b32_e32 v16, s13
	s_and_saveexec_b64 s[0:1], s[14:15]
	s_cbranch_execz .LBB1076_61
; %bb.60:
	s_sub_i32 s13, s9, s12
	s_min_u32 s13, s13, 8
	v_lshrrev_b64 v[16:17], s12, v[14:15]
	v_bfe_u32 v16, v16, 0, s13
	v_lshlrev_b32_e32 v17, 2, v1
	v_lshl_or_b32 v16, v16, 4, v17
	v_mov_b32_e32 v17, 1
	ds_add_u32 v16, v17 offset:4096
	v_mov_b32_e32 v16, 0
.LBB1076_61:
	s_or_b64 exec, exec, s[0:1]
	v_cmp_gt_i32_e64 s[0:1], 10, v16
	s_mov_b64 s[12:13], -1
	s_and_saveexec_b64 s[14:15], s[0:1]
; %bb.62:
	v_cmp_eq_u32_e64 s[0:1], 0, v16
	s_orn2_b64 s[12:13], s[0:1], exec
; %bb.63:
	s_or_b64 exec, exec, s[14:15]
	s_and_b64 exec, exec, s[12:13]
	s_cbranch_execz .LBB1076_91
; %bb.64:
	s_add_i32 s12, s8, 16
	s_cmp_le_u32 s9, s12
	s_cselect_b64 s[0:1], -1, 0
	s_and_b64 s[14:15], s[0:1], exec
	s_cselect_b32 s13, 8, 10
	s_or_b64 s[0:1], s[0:1], vcc
	s_xor_b64 s[14:15], s[0:1], -1
	v_mov_b32_e32 v16, s13
	s_and_saveexec_b64 s[0:1], s[14:15]
	s_cbranch_execz .LBB1076_66
; %bb.65:
	s_sub_i32 s13, s9, s12
	s_min_u32 s13, s13, 8
	v_lshrrev_b64 v[16:17], s12, v[14:15]
	v_bfe_u32 v16, v16, 0, s13
	v_lshlrev_b32_e32 v17, 2, v1
	v_lshl_or_b32 v16, v16, 4, v17
	v_mov_b32_e32 v17, 1
	ds_add_u32 v16, v17 offset:8192
	v_mov_b32_e32 v16, 0
.LBB1076_66:
	s_or_b64 exec, exec, s[0:1]
	v_cmp_gt_i32_e64 s[0:1], 10, v16
	s_mov_b64 s[12:13], -1
	s_and_saveexec_b64 s[14:15], s[0:1]
; %bb.67:
	v_cmp_eq_u32_e64 s[0:1], 0, v16
	s_orn2_b64 s[12:13], s[0:1], exec
; %bb.68:
	s_or_b64 exec, exec, s[14:15]
	s_and_b64 exec, exec, s[12:13]
	;; [unrolled: 33-line block ×6, first 2 shown]
	s_cbranch_execz .LBB1076_91
; %bb.89:
	s_add_i32 s0, s8, 56
	s_cmp_gt_u32 s9, s0
	s_cselect_b64 s[12:13], -1, 0
	s_xor_b64 s[14:15], vcc, -1
	s_and_b64 s[12:13], s[12:13], s[14:15]
	s_and_b64 exec, exec, s[12:13]
	s_cbranch_execz .LBB1076_91
; %bb.90:
	s_sub_i32 s1, s9, s0
	s_min_u32 s1, s1, 8
	v_lshrrev_b64 v[14:15], s0, v[14:15]
	v_bfe_u32 v14, v14, 0, s1
	v_lshlrev_b32_e32 v15, 2, v1
	v_lshl_or_b32 v14, v14, 4, v15
	v_mov_b32_e32 v15, 1
	ds_add_u32 v14, v15 offset:28672
.LBB1076_91:
	s_or_b64 exec, exec, s[10:11]
	v_cmp_le_u32_e32 vcc, s16, v23
	s_or_b64 s[0:1], s[4:5], vcc
	v_xor_b32_e32 v13, 0x80000000, v13
	s_xor_b64 s[10:11], s[0:1], -1
	v_mov_b32_e32 v14, s17
	s_and_saveexec_b64 s[0:1], s[10:11]
	s_cbranch_execz .LBB1076_93
; %bb.92:
	s_sub_i32 s10, s9, s8
	s_min_u32 s10, s10, 8
	v_lshrrev_b64 v[14:15], s8, v[12:13]
	v_bfe_u32 v14, v14, 0, s10
	v_lshlrev_b32_e32 v15, 2, v1
	v_lshl_or_b32 v14, v14, 4, v15
	v_mov_b32_e32 v15, 1
	ds_add_u32 v14, v15
	v_mov_b32_e32 v14, 0
.LBB1076_93:
	s_or_b64 exec, exec, s[0:1]
	v_cmp_gt_i32_e64 s[0:1], 10, v14
	s_mov_b64 s[12:13], -1
	s_and_saveexec_b64 s[10:11], s[0:1]
; %bb.94:
	v_cmp_eq_u32_e64 s[0:1], 0, v14
	s_orn2_b64 s[12:13], s[0:1], exec
; %bb.95:
	s_or_b64 exec, exec, s[10:11]
	s_and_saveexec_b64 s[10:11], s[12:13]
	s_cbranch_execz .LBB1076_128
; %bb.96:
	s_add_i32 s12, s8, 8
	s_cmp_le_u32 s9, s12
	s_cselect_b64 s[0:1], -1, 0
	s_and_b64 s[14:15], s[0:1], exec
	s_cselect_b32 s13, 8, 10
	s_or_b64 s[0:1], s[0:1], vcc
	s_xor_b64 s[14:15], s[0:1], -1
	v_mov_b32_e32 v14, s13
	s_and_saveexec_b64 s[0:1], s[14:15]
	s_cbranch_execz .LBB1076_98
; %bb.97:
	s_sub_i32 s13, s9, s12
	s_min_u32 s13, s13, 8
	v_lshrrev_b64 v[14:15], s12, v[12:13]
	v_bfe_u32 v14, v14, 0, s13
	v_lshlrev_b32_e32 v15, 2, v1
	v_lshl_or_b32 v14, v14, 4, v15
	v_mov_b32_e32 v15, 1
	ds_add_u32 v14, v15 offset:4096
	v_mov_b32_e32 v14, 0
.LBB1076_98:
	s_or_b64 exec, exec, s[0:1]
	v_cmp_gt_i32_e64 s[0:1], 10, v14
	s_mov_b64 s[12:13], -1
	s_and_saveexec_b64 s[14:15], s[0:1]
; %bb.99:
	v_cmp_eq_u32_e64 s[0:1], 0, v14
	s_orn2_b64 s[12:13], s[0:1], exec
; %bb.100:
	s_or_b64 exec, exec, s[14:15]
	s_and_b64 exec, exec, s[12:13]
	s_cbranch_execz .LBB1076_128
; %bb.101:
	s_add_i32 s12, s8, 16
	s_cmp_le_u32 s9, s12
	s_cselect_b64 s[0:1], -1, 0
	s_and_b64 s[14:15], s[0:1], exec
	s_cselect_b32 s13, 8, 10
	s_or_b64 s[0:1], s[0:1], vcc
	s_xor_b64 s[14:15], s[0:1], -1
	v_mov_b32_e32 v14, s13
	s_and_saveexec_b64 s[0:1], s[14:15]
	s_cbranch_execz .LBB1076_103
; %bb.102:
	s_sub_i32 s13, s9, s12
	s_min_u32 s13, s13, 8
	v_lshrrev_b64 v[14:15], s12, v[12:13]
	v_bfe_u32 v14, v14, 0, s13
	v_lshlrev_b32_e32 v15, 2, v1
	v_lshl_or_b32 v14, v14, 4, v15
	v_mov_b32_e32 v15, 1
	ds_add_u32 v14, v15 offset:8192
	v_mov_b32_e32 v14, 0
.LBB1076_103:
	s_or_b64 exec, exec, s[0:1]
	v_cmp_gt_i32_e64 s[0:1], 10, v14
	s_mov_b64 s[12:13], -1
	s_and_saveexec_b64 s[14:15], s[0:1]
; %bb.104:
	v_cmp_eq_u32_e64 s[0:1], 0, v14
	s_orn2_b64 s[12:13], s[0:1], exec
; %bb.105:
	s_or_b64 exec, exec, s[14:15]
	s_and_b64 exec, exec, s[12:13]
	;; [unrolled: 33-line block ×6, first 2 shown]
	s_cbranch_execz .LBB1076_128
; %bb.126:
	s_add_i32 s0, s8, 56
	s_cmp_gt_u32 s9, s0
	s_cselect_b64 s[12:13], -1, 0
	s_xor_b64 s[14:15], vcc, -1
	s_and_b64 s[12:13], s[12:13], s[14:15]
	s_and_b64 exec, exec, s[12:13]
	s_cbranch_execz .LBB1076_128
; %bb.127:
	s_sub_i32 s1, s9, s0
	s_min_u32 s1, s1, 8
	v_lshrrev_b64 v[12:13], s0, v[12:13]
	v_bfe_u32 v12, v12, 0, s1
	v_lshlrev_b32_e32 v13, 2, v1
	v_lshl_or_b32 v12, v12, 4, v13
	v_mov_b32_e32 v13, 1
	ds_add_u32 v12, v13 offset:28672
.LBB1076_128:
	s_or_b64 exec, exec, s[10:11]
	v_cmp_le_u32_e32 vcc, s16, v22
	s_or_b64 s[0:1], s[4:5], vcc
	v_xor_b32_e32 v11, 0x80000000, v11
	s_xor_b64 s[10:11], s[0:1], -1
	v_mov_b32_e32 v12, s17
	s_and_saveexec_b64 s[0:1], s[10:11]
	s_cbranch_execz .LBB1076_130
; %bb.129:
	s_sub_i32 s10, s9, s8
	s_min_u32 s10, s10, 8
	v_lshrrev_b64 v[12:13], s8, v[10:11]
	v_bfe_u32 v12, v12, 0, s10
	v_lshlrev_b32_e32 v13, 2, v1
	v_lshl_or_b32 v12, v12, 4, v13
	v_mov_b32_e32 v13, 1
	ds_add_u32 v12, v13
	v_mov_b32_e32 v12, 0
.LBB1076_130:
	s_or_b64 exec, exec, s[0:1]
	v_cmp_gt_i32_e64 s[0:1], 10, v12
	s_mov_b64 s[12:13], -1
	s_and_saveexec_b64 s[10:11], s[0:1]
; %bb.131:
	v_cmp_eq_u32_e64 s[0:1], 0, v12
	s_orn2_b64 s[12:13], s[0:1], exec
; %bb.132:
	s_or_b64 exec, exec, s[10:11]
	s_and_saveexec_b64 s[10:11], s[12:13]
	s_cbranch_execz .LBB1076_165
; %bb.133:
	s_add_i32 s12, s8, 8
	s_cmp_le_u32 s9, s12
	s_cselect_b64 s[0:1], -1, 0
	s_and_b64 s[14:15], s[0:1], exec
	s_cselect_b32 s13, 8, 10
	s_or_b64 s[0:1], s[0:1], vcc
	s_xor_b64 s[14:15], s[0:1], -1
	v_mov_b32_e32 v12, s13
	s_and_saveexec_b64 s[0:1], s[14:15]
	s_cbranch_execz .LBB1076_135
; %bb.134:
	s_sub_i32 s13, s9, s12
	s_min_u32 s13, s13, 8
	v_lshrrev_b64 v[12:13], s12, v[10:11]
	v_bfe_u32 v12, v12, 0, s13
	v_lshlrev_b32_e32 v13, 2, v1
	v_lshl_or_b32 v12, v12, 4, v13
	v_mov_b32_e32 v13, 1
	ds_add_u32 v12, v13 offset:4096
	v_mov_b32_e32 v12, 0
.LBB1076_135:
	s_or_b64 exec, exec, s[0:1]
	v_cmp_gt_i32_e64 s[0:1], 10, v12
	s_mov_b64 s[12:13], -1
	s_and_saveexec_b64 s[14:15], s[0:1]
; %bb.136:
	v_cmp_eq_u32_e64 s[0:1], 0, v12
	s_orn2_b64 s[12:13], s[0:1], exec
; %bb.137:
	s_or_b64 exec, exec, s[14:15]
	s_and_b64 exec, exec, s[12:13]
	s_cbranch_execz .LBB1076_165
; %bb.138:
	s_add_i32 s12, s8, 16
	s_cmp_le_u32 s9, s12
	s_cselect_b64 s[0:1], -1, 0
	s_and_b64 s[14:15], s[0:1], exec
	s_cselect_b32 s13, 8, 10
	s_or_b64 s[0:1], s[0:1], vcc
	s_xor_b64 s[14:15], s[0:1], -1
	v_mov_b32_e32 v12, s13
	s_and_saveexec_b64 s[0:1], s[14:15]
	s_cbranch_execz .LBB1076_140
; %bb.139:
	s_sub_i32 s13, s9, s12
	s_min_u32 s13, s13, 8
	v_lshrrev_b64 v[12:13], s12, v[10:11]
	v_bfe_u32 v12, v12, 0, s13
	v_lshlrev_b32_e32 v13, 2, v1
	v_lshl_or_b32 v12, v12, 4, v13
	v_mov_b32_e32 v13, 1
	ds_add_u32 v12, v13 offset:8192
	v_mov_b32_e32 v12, 0
.LBB1076_140:
	s_or_b64 exec, exec, s[0:1]
	v_cmp_gt_i32_e64 s[0:1], 10, v12
	s_mov_b64 s[12:13], -1
	s_and_saveexec_b64 s[14:15], s[0:1]
; %bb.141:
	v_cmp_eq_u32_e64 s[0:1], 0, v12
	s_orn2_b64 s[12:13], s[0:1], exec
; %bb.142:
	s_or_b64 exec, exec, s[14:15]
	s_and_b64 exec, exec, s[12:13]
	;; [unrolled: 33-line block ×6, first 2 shown]
	s_cbranch_execz .LBB1076_165
; %bb.163:
	s_add_i32 s0, s8, 56
	s_cmp_gt_u32 s9, s0
	s_cselect_b64 s[12:13], -1, 0
	s_xor_b64 s[14:15], vcc, -1
	s_and_b64 s[12:13], s[12:13], s[14:15]
	s_and_b64 exec, exec, s[12:13]
	s_cbranch_execz .LBB1076_165
; %bb.164:
	s_sub_i32 s1, s9, s0
	s_min_u32 s1, s1, 8
	v_lshrrev_b64 v[10:11], s0, v[10:11]
	v_bfe_u32 v10, v10, 0, s1
	v_lshlrev_b32_e32 v11, 2, v1
	v_lshl_or_b32 v10, v10, 4, v11
	v_mov_b32_e32 v11, 1
	ds_add_u32 v10, v11 offset:28672
.LBB1076_165:
	s_or_b64 exec, exec, s[10:11]
	v_cmp_le_u32_e32 vcc, s16, v21
	s_or_b64 s[0:1], s[4:5], vcc
	v_xor_b32_e32 v9, 0x80000000, v9
	s_xor_b64 s[10:11], s[0:1], -1
	v_mov_b32_e32 v10, s17
	s_and_saveexec_b64 s[0:1], s[10:11]
	s_cbranch_execz .LBB1076_167
; %bb.166:
	s_sub_i32 s10, s9, s8
	s_min_u32 s10, s10, 8
	v_lshrrev_b64 v[10:11], s8, v[8:9]
	v_bfe_u32 v10, v10, 0, s10
	v_lshlrev_b32_e32 v11, 2, v1
	v_lshl_or_b32 v10, v10, 4, v11
	v_mov_b32_e32 v11, 1
	ds_add_u32 v10, v11
	v_mov_b32_e32 v10, 0
.LBB1076_167:
	s_or_b64 exec, exec, s[0:1]
	v_cmp_gt_i32_e64 s[0:1], 10, v10
	s_mov_b64 s[12:13], -1
	s_and_saveexec_b64 s[10:11], s[0:1]
; %bb.168:
	v_cmp_eq_u32_e64 s[0:1], 0, v10
	s_orn2_b64 s[12:13], s[0:1], exec
; %bb.169:
	s_or_b64 exec, exec, s[10:11]
	s_and_saveexec_b64 s[10:11], s[12:13]
	s_cbranch_execz .LBB1076_202
; %bb.170:
	s_add_i32 s12, s8, 8
	s_cmp_le_u32 s9, s12
	s_cselect_b64 s[0:1], -1, 0
	s_and_b64 s[14:15], s[0:1], exec
	s_cselect_b32 s13, 8, 10
	s_or_b64 s[0:1], s[0:1], vcc
	s_xor_b64 s[14:15], s[0:1], -1
	v_mov_b32_e32 v10, s13
	s_and_saveexec_b64 s[0:1], s[14:15]
	s_cbranch_execz .LBB1076_172
; %bb.171:
	s_sub_i32 s13, s9, s12
	s_min_u32 s13, s13, 8
	v_lshrrev_b64 v[10:11], s12, v[8:9]
	v_bfe_u32 v10, v10, 0, s13
	v_lshlrev_b32_e32 v11, 2, v1
	v_lshl_or_b32 v10, v10, 4, v11
	v_mov_b32_e32 v11, 1
	ds_add_u32 v10, v11 offset:4096
	v_mov_b32_e32 v10, 0
.LBB1076_172:
	s_or_b64 exec, exec, s[0:1]
	v_cmp_gt_i32_e64 s[0:1], 10, v10
	s_mov_b64 s[12:13], -1
	s_and_saveexec_b64 s[14:15], s[0:1]
; %bb.173:
	v_cmp_eq_u32_e64 s[0:1], 0, v10
	s_orn2_b64 s[12:13], s[0:1], exec
; %bb.174:
	s_or_b64 exec, exec, s[14:15]
	s_and_b64 exec, exec, s[12:13]
	s_cbranch_execz .LBB1076_202
; %bb.175:
	s_add_i32 s12, s8, 16
	s_cmp_le_u32 s9, s12
	s_cselect_b64 s[0:1], -1, 0
	s_and_b64 s[14:15], s[0:1], exec
	s_cselect_b32 s13, 8, 10
	s_or_b64 s[0:1], s[0:1], vcc
	s_xor_b64 s[14:15], s[0:1], -1
	v_mov_b32_e32 v10, s13
	s_and_saveexec_b64 s[0:1], s[14:15]
	s_cbranch_execz .LBB1076_177
; %bb.176:
	s_sub_i32 s13, s9, s12
	s_min_u32 s13, s13, 8
	v_lshrrev_b64 v[10:11], s12, v[8:9]
	v_bfe_u32 v10, v10, 0, s13
	v_lshlrev_b32_e32 v11, 2, v1
	v_lshl_or_b32 v10, v10, 4, v11
	v_mov_b32_e32 v11, 1
	ds_add_u32 v10, v11 offset:8192
	v_mov_b32_e32 v10, 0
.LBB1076_177:
	s_or_b64 exec, exec, s[0:1]
	v_cmp_gt_i32_e64 s[0:1], 10, v10
	s_mov_b64 s[12:13], -1
	s_and_saveexec_b64 s[14:15], s[0:1]
; %bb.178:
	v_cmp_eq_u32_e64 s[0:1], 0, v10
	s_orn2_b64 s[12:13], s[0:1], exec
; %bb.179:
	s_or_b64 exec, exec, s[14:15]
	s_and_b64 exec, exec, s[12:13]
	;; [unrolled: 33-line block ×6, first 2 shown]
	s_cbranch_execz .LBB1076_202
; %bb.200:
	s_add_i32 s0, s8, 56
	s_cmp_gt_u32 s9, s0
	s_cselect_b64 s[12:13], -1, 0
	s_xor_b64 s[14:15], vcc, -1
	s_and_b64 s[12:13], s[12:13], s[14:15]
	s_and_b64 exec, exec, s[12:13]
	s_cbranch_execz .LBB1076_202
; %bb.201:
	s_sub_i32 s1, s9, s0
	s_min_u32 s1, s1, 8
	v_lshrrev_b64 v[8:9], s0, v[8:9]
	v_bfe_u32 v8, v8, 0, s1
	v_lshlrev_b32_e32 v9, 2, v1
	v_lshl_or_b32 v8, v8, 4, v9
	v_mov_b32_e32 v9, 1
	ds_add_u32 v8, v9 offset:28672
.LBB1076_202:
	s_or_b64 exec, exec, s[10:11]
	v_cmp_le_u32_e32 vcc, s16, v20
	s_or_b64 s[0:1], s[4:5], vcc
	v_xor_b32_e32 v7, 0x80000000, v7
	s_xor_b64 s[10:11], s[0:1], -1
	v_mov_b32_e32 v8, s17
	s_and_saveexec_b64 s[0:1], s[10:11]
	s_cbranch_execz .LBB1076_204
; %bb.203:
	s_sub_i32 s10, s9, s8
	s_min_u32 s10, s10, 8
	v_lshrrev_b64 v[8:9], s8, v[6:7]
	v_bfe_u32 v8, v8, 0, s10
	v_lshlrev_b32_e32 v9, 2, v1
	v_lshl_or_b32 v8, v8, 4, v9
	v_mov_b32_e32 v9, 1
	ds_add_u32 v8, v9
	v_mov_b32_e32 v8, 0
.LBB1076_204:
	s_or_b64 exec, exec, s[0:1]
	v_cmp_gt_i32_e64 s[0:1], 10, v8
	s_mov_b64 s[12:13], -1
	s_and_saveexec_b64 s[10:11], s[0:1]
; %bb.205:
	v_cmp_eq_u32_e64 s[0:1], 0, v8
	s_orn2_b64 s[12:13], s[0:1], exec
; %bb.206:
	s_or_b64 exec, exec, s[10:11]
	s_and_saveexec_b64 s[10:11], s[12:13]
	s_cbranch_execz .LBB1076_239
; %bb.207:
	s_add_i32 s12, s8, 8
	s_cmp_le_u32 s9, s12
	s_cselect_b64 s[0:1], -1, 0
	s_and_b64 s[14:15], s[0:1], exec
	s_cselect_b32 s13, 8, 10
	s_or_b64 s[0:1], s[0:1], vcc
	s_xor_b64 s[14:15], s[0:1], -1
	v_mov_b32_e32 v8, s13
	s_and_saveexec_b64 s[0:1], s[14:15]
	s_cbranch_execz .LBB1076_209
; %bb.208:
	s_sub_i32 s13, s9, s12
	s_min_u32 s13, s13, 8
	v_lshrrev_b64 v[8:9], s12, v[6:7]
	v_bfe_u32 v8, v8, 0, s13
	v_lshlrev_b32_e32 v9, 2, v1
	v_lshl_or_b32 v8, v8, 4, v9
	v_mov_b32_e32 v9, 1
	ds_add_u32 v8, v9 offset:4096
	v_mov_b32_e32 v8, 0
.LBB1076_209:
	s_or_b64 exec, exec, s[0:1]
	v_cmp_gt_i32_e64 s[0:1], 10, v8
	s_mov_b64 s[12:13], -1
	s_and_saveexec_b64 s[14:15], s[0:1]
; %bb.210:
	v_cmp_eq_u32_e64 s[0:1], 0, v8
	s_orn2_b64 s[12:13], s[0:1], exec
; %bb.211:
	s_or_b64 exec, exec, s[14:15]
	s_and_b64 exec, exec, s[12:13]
	s_cbranch_execz .LBB1076_239
; %bb.212:
	s_add_i32 s12, s8, 16
	s_cmp_le_u32 s9, s12
	s_cselect_b64 s[0:1], -1, 0
	s_and_b64 s[14:15], s[0:1], exec
	s_cselect_b32 s13, 8, 10
	s_or_b64 s[0:1], s[0:1], vcc
	s_xor_b64 s[14:15], s[0:1], -1
	v_mov_b32_e32 v8, s13
	s_and_saveexec_b64 s[0:1], s[14:15]
	s_cbranch_execz .LBB1076_214
; %bb.213:
	s_sub_i32 s13, s9, s12
	s_min_u32 s13, s13, 8
	v_lshrrev_b64 v[8:9], s12, v[6:7]
	v_bfe_u32 v8, v8, 0, s13
	v_lshlrev_b32_e32 v9, 2, v1
	v_lshl_or_b32 v8, v8, 4, v9
	v_mov_b32_e32 v9, 1
	ds_add_u32 v8, v9 offset:8192
	v_mov_b32_e32 v8, 0
.LBB1076_214:
	s_or_b64 exec, exec, s[0:1]
	v_cmp_gt_i32_e64 s[0:1], 10, v8
	s_mov_b64 s[12:13], -1
	s_and_saveexec_b64 s[14:15], s[0:1]
; %bb.215:
	v_cmp_eq_u32_e64 s[0:1], 0, v8
	s_orn2_b64 s[12:13], s[0:1], exec
; %bb.216:
	s_or_b64 exec, exec, s[14:15]
	s_and_b64 exec, exec, s[12:13]
	;; [unrolled: 33-line block ×6, first 2 shown]
	s_cbranch_execz .LBB1076_239
; %bb.237:
	s_add_i32 s0, s8, 56
	s_cmp_gt_u32 s9, s0
	s_cselect_b64 s[12:13], -1, 0
	s_xor_b64 s[14:15], vcc, -1
	s_and_b64 s[12:13], s[12:13], s[14:15]
	s_and_b64 exec, exec, s[12:13]
	s_cbranch_execz .LBB1076_239
; %bb.238:
	s_sub_i32 s1, s9, s0
	s_min_u32 s1, s1, 8
	v_lshrrev_b64 v[6:7], s0, v[6:7]
	v_bfe_u32 v6, v6, 0, s1
	v_lshlrev_b32_e32 v7, 2, v1
	v_lshl_or_b32 v6, v6, 4, v7
	v_mov_b32_e32 v7, 1
	ds_add_u32 v6, v7 offset:28672
.LBB1076_239:
	s_or_b64 exec, exec, s[10:11]
	v_cmp_le_u32_e32 vcc, s16, v19
	s_or_b64 s[0:1], s[4:5], vcc
	v_xor_b32_e32 v5, 0x80000000, v5
	s_xor_b64 s[10:11], s[0:1], -1
	v_mov_b32_e32 v6, s17
	s_and_saveexec_b64 s[0:1], s[10:11]
	s_cbranch_execz .LBB1076_241
; %bb.240:
	s_sub_i32 s10, s9, s8
	s_min_u32 s10, s10, 8
	v_lshrrev_b64 v[6:7], s8, v[4:5]
	v_bfe_u32 v6, v6, 0, s10
	v_lshlrev_b32_e32 v7, 2, v1
	v_lshl_or_b32 v6, v6, 4, v7
	v_mov_b32_e32 v7, 1
	ds_add_u32 v6, v7
	v_mov_b32_e32 v6, 0
.LBB1076_241:
	s_or_b64 exec, exec, s[0:1]
	v_cmp_gt_i32_e64 s[0:1], 10, v6
	s_mov_b64 s[12:13], -1
	s_and_saveexec_b64 s[10:11], s[0:1]
; %bb.242:
	v_cmp_eq_u32_e64 s[0:1], 0, v6
	s_orn2_b64 s[12:13], s[0:1], exec
; %bb.243:
	s_or_b64 exec, exec, s[10:11]
	s_and_saveexec_b64 s[10:11], s[12:13]
	s_cbranch_execz .LBB1076_276
; %bb.244:
	s_add_i32 s12, s8, 8
	s_cmp_le_u32 s9, s12
	s_cselect_b64 s[0:1], -1, 0
	s_and_b64 s[14:15], s[0:1], exec
	s_cselect_b32 s13, 8, 10
	s_or_b64 s[0:1], s[0:1], vcc
	s_xor_b64 s[14:15], s[0:1], -1
	v_mov_b32_e32 v6, s13
	s_and_saveexec_b64 s[0:1], s[14:15]
	s_cbranch_execz .LBB1076_246
; %bb.245:
	s_sub_i32 s13, s9, s12
	s_min_u32 s13, s13, 8
	v_lshrrev_b64 v[6:7], s12, v[4:5]
	v_bfe_u32 v6, v6, 0, s13
	v_lshlrev_b32_e32 v7, 2, v1
	v_lshl_or_b32 v6, v6, 4, v7
	v_mov_b32_e32 v7, 1
	ds_add_u32 v6, v7 offset:4096
	v_mov_b32_e32 v6, 0
.LBB1076_246:
	s_or_b64 exec, exec, s[0:1]
	v_cmp_gt_i32_e64 s[0:1], 10, v6
	s_mov_b64 s[12:13], -1
	s_and_saveexec_b64 s[14:15], s[0:1]
; %bb.247:
	v_cmp_eq_u32_e64 s[0:1], 0, v6
	s_orn2_b64 s[12:13], s[0:1], exec
; %bb.248:
	s_or_b64 exec, exec, s[14:15]
	s_and_b64 exec, exec, s[12:13]
	s_cbranch_execz .LBB1076_276
; %bb.249:
	s_add_i32 s12, s8, 16
	s_cmp_le_u32 s9, s12
	s_cselect_b64 s[0:1], -1, 0
	s_and_b64 s[14:15], s[0:1], exec
	s_cselect_b32 s13, 8, 10
	s_or_b64 s[0:1], s[0:1], vcc
	s_xor_b64 s[14:15], s[0:1], -1
	v_mov_b32_e32 v6, s13
	s_and_saveexec_b64 s[0:1], s[14:15]
	s_cbranch_execz .LBB1076_251
; %bb.250:
	s_sub_i32 s13, s9, s12
	s_min_u32 s13, s13, 8
	v_lshrrev_b64 v[6:7], s12, v[4:5]
	v_bfe_u32 v6, v6, 0, s13
	v_lshlrev_b32_e32 v7, 2, v1
	v_lshl_or_b32 v6, v6, 4, v7
	v_mov_b32_e32 v7, 1
	ds_add_u32 v6, v7 offset:8192
	v_mov_b32_e32 v6, 0
.LBB1076_251:
	s_or_b64 exec, exec, s[0:1]
	v_cmp_gt_i32_e64 s[0:1], 10, v6
	s_mov_b64 s[12:13], -1
	s_and_saveexec_b64 s[14:15], s[0:1]
; %bb.252:
	v_cmp_eq_u32_e64 s[0:1], 0, v6
	s_orn2_b64 s[12:13], s[0:1], exec
; %bb.253:
	s_or_b64 exec, exec, s[14:15]
	s_and_b64 exec, exec, s[12:13]
	s_cbranch_execz .LBB1076_276
; %bb.254:
	s_add_i32 s12, s8, 24
	s_cmp_le_u32 s9, s12
	s_cselect_b64 s[0:1], -1, 0
	s_and_b64 s[14:15], s[0:1], exec
	s_cselect_b32 s13, 8, 10
	s_or_b64 s[0:1], s[0:1], vcc
	s_xor_b64 s[14:15], s[0:1], -1
	v_mov_b32_e32 v6, s13
	s_and_saveexec_b64 s[0:1], s[14:15]
	s_cbranch_execz .LBB1076_256
; %bb.255:
	s_sub_i32 s13, s9, s12
	s_min_u32 s13, s13, 8
	v_lshrrev_b64 v[6:7], s12, v[4:5]
	v_bfe_u32 v6, v6, 0, s13
	v_lshlrev_b32_e32 v7, 2, v1
	v_lshl_or_b32 v6, v6, 4, v7
	v_mov_b32_e32 v7, 1
	ds_add_u32 v6, v7 offset:12288
	v_mov_b32_e32 v6, 0
.LBB1076_256:
	s_or_b64 exec, exec, s[0:1]
	v_cmp_gt_i32_e64 s[0:1], 10, v6
	s_mov_b64 s[12:13], -1
	s_and_saveexec_b64 s[14:15], s[0:1]
; %bb.257:
	v_cmp_eq_u32_e64 s[0:1], 0, v6
	s_orn2_b64 s[12:13], s[0:1], exec
; %bb.258:
	s_or_b64 exec, exec, s[14:15]
	s_and_b64 exec, exec, s[12:13]
	s_cbranch_execz .LBB1076_276
; %bb.259:
	s_add_i32 s12, s8, 32
	s_cmp_le_u32 s9, s12
	s_cselect_b64 s[0:1], -1, 0
	s_and_b64 s[14:15], s[0:1], exec
	s_cselect_b32 s13, 8, 10
	s_or_b64 s[0:1], s[0:1], vcc
	s_xor_b64 s[14:15], s[0:1], -1
	v_mov_b32_e32 v6, s13
	s_and_saveexec_b64 s[0:1], s[14:15]
	s_cbranch_execz .LBB1076_261
; %bb.260:
	s_sub_i32 s13, s9, s12
	s_min_u32 s13, s13, 8
	v_lshrrev_b64 v[6:7], s12, v[4:5]
	v_bfe_u32 v6, v6, 0, s13
	v_lshlrev_b32_e32 v7, 2, v1
	v_lshl_or_b32 v6, v6, 4, v7
	v_mov_b32_e32 v7, 1
	ds_add_u32 v6, v7 offset:16384
	v_mov_b32_e32 v6, 0
.LBB1076_261:
	s_or_b64 exec, exec, s[0:1]
	v_cmp_gt_i32_e64 s[0:1], 10, v6
	s_mov_b64 s[12:13], -1
	s_and_saveexec_b64 s[14:15], s[0:1]
; %bb.262:
	v_cmp_eq_u32_e64 s[0:1], 0, v6
	s_orn2_b64 s[12:13], s[0:1], exec
; %bb.263:
	s_or_b64 exec, exec, s[14:15]
	s_and_b64 exec, exec, s[12:13]
	s_cbranch_execz .LBB1076_276
; %bb.264:
	s_add_i32 s12, s8, 40
	s_cmp_le_u32 s9, s12
	s_cselect_b64 s[0:1], -1, 0
	s_and_b64 s[14:15], s[0:1], exec
	s_cselect_b32 s13, 8, 10
	s_or_b64 s[0:1], s[0:1], vcc
	s_xor_b64 s[14:15], s[0:1], -1
	v_mov_b32_e32 v6, s13
	s_and_saveexec_b64 s[0:1], s[14:15]
	s_cbranch_execz .LBB1076_266
; %bb.265:
	s_sub_i32 s13, s9, s12
	s_min_u32 s13, s13, 8
	v_lshrrev_b64 v[6:7], s12, v[4:5]
	v_bfe_u32 v6, v6, 0, s13
	v_lshlrev_b32_e32 v7, 2, v1
	v_lshl_or_b32 v6, v6, 4, v7
	v_mov_b32_e32 v7, 1
	ds_add_u32 v6, v7 offset:20480
	v_mov_b32_e32 v6, 0
.LBB1076_266:
	s_or_b64 exec, exec, s[0:1]
	v_cmp_gt_i32_e64 s[0:1], 10, v6
	s_mov_b64 s[12:13], -1
	s_and_saveexec_b64 s[14:15], s[0:1]
; %bb.267:
	v_cmp_eq_u32_e64 s[0:1], 0, v6
	s_orn2_b64 s[12:13], s[0:1], exec
; %bb.268:
	s_or_b64 exec, exec, s[14:15]
	s_and_b64 exec, exec, s[12:13]
	s_cbranch_execz .LBB1076_276
; %bb.269:
	s_add_i32 s12, s8, 48
	s_cmp_le_u32 s9, s12
	s_cselect_b64 s[0:1], -1, 0
	s_and_b64 s[14:15], s[0:1], exec
	s_cselect_b32 s13, 8, 10
	s_or_b64 s[0:1], s[0:1], vcc
	s_xor_b64 s[14:15], s[0:1], -1
	v_mov_b32_e32 v6, s13
	s_and_saveexec_b64 s[0:1], s[14:15]
	s_cbranch_execz .LBB1076_271
; %bb.270:
	s_sub_i32 s13, s9, s12
	s_min_u32 s13, s13, 8
	v_lshrrev_b64 v[6:7], s12, v[4:5]
	v_bfe_u32 v6, v6, 0, s13
	v_lshlrev_b32_e32 v7, 2, v1
	v_lshl_or_b32 v6, v6, 4, v7
	v_mov_b32_e32 v7, 1
	ds_add_u32 v6, v7 offset:24576
	v_mov_b32_e32 v6, 0
.LBB1076_271:
	s_or_b64 exec, exec, s[0:1]
	v_cmp_gt_i32_e64 s[0:1], 10, v6
	s_mov_b64 s[12:13], -1
	s_and_saveexec_b64 s[14:15], s[0:1]
; %bb.272:
	v_cmp_eq_u32_e64 s[0:1], 0, v6
	s_orn2_b64 s[12:13], s[0:1], exec
; %bb.273:
	s_or_b64 exec, exec, s[14:15]
	s_and_b64 exec, exec, s[12:13]
	s_cbranch_execz .LBB1076_276
; %bb.274:
	s_add_i32 s0, s8, 56
	s_cmp_gt_u32 s9, s0
	s_cselect_b64 s[12:13], -1, 0
	s_xor_b64 s[14:15], vcc, -1
	s_and_b64 s[12:13], s[12:13], s[14:15]
	s_and_b64 exec, exec, s[12:13]
	s_cbranch_execz .LBB1076_276
; %bb.275:
	s_sub_i32 s1, s9, s0
	s_min_u32 s1, s1, 8
	v_lshrrev_b64 v[4:5], s0, v[4:5]
	v_bfe_u32 v4, v4, 0, s1
	v_lshlrev_b32_e32 v5, 2, v1
	v_lshl_or_b32 v4, v4, 4, v5
	v_mov_b32_e32 v5, 1
	ds_add_u32 v4, v5 offset:28672
.LBB1076_276:
	s_or_b64 exec, exec, s[10:11]
	v_cmp_le_u32_e32 vcc, s16, v18
	s_or_b64 s[0:1], s[4:5], vcc
	v_xor_b32_e32 v3, 0x80000000, v3
	s_xor_b64 s[4:5], s[0:1], -1
	v_mov_b32_e32 v4, s17
	s_and_saveexec_b64 s[0:1], s[4:5]
	s_cbranch_execz .LBB1076_278
; %bb.277:
	s_sub_i32 s4, s9, s8
	s_min_u32 s4, s4, 8
	v_lshrrev_b64 v[4:5], s8, v[2:3]
	v_bfe_u32 v4, v4, 0, s4
	v_lshlrev_b32_e32 v5, 2, v1
	v_lshl_or_b32 v4, v4, 4, v5
	v_mov_b32_e32 v5, 1
	ds_add_u32 v4, v5
	v_mov_b32_e32 v4, 0
.LBB1076_278:
	s_or_b64 exec, exec, s[0:1]
	v_cmp_gt_i32_e64 s[0:1], 10, v4
	s_mov_b64 s[10:11], -1
	s_and_saveexec_b64 s[4:5], s[0:1]
; %bb.279:
	v_cmp_eq_u32_e64 s[0:1], 0, v4
	s_orn2_b64 s[10:11], s[0:1], exec
; %bb.280:
	s_or_b64 exec, exec, s[4:5]
	s_and_saveexec_b64 s[4:5], s[10:11]
	s_cbranch_execz .LBB1076_313
; %bb.281:
	s_add_i32 s10, s8, 8
	s_cmp_le_u32 s9, s10
	s_cselect_b64 s[0:1], -1, 0
	s_and_b64 s[12:13], s[0:1], exec
	s_cselect_b32 s11, 8, 10
	s_or_b64 s[0:1], s[0:1], vcc
	s_xor_b64 s[12:13], s[0:1], -1
	v_mov_b32_e32 v4, s11
	s_and_saveexec_b64 s[0:1], s[12:13]
	s_cbranch_execz .LBB1076_283
; %bb.282:
	s_sub_i32 s11, s9, s10
	s_min_u32 s11, s11, 8
	v_lshrrev_b64 v[4:5], s10, v[2:3]
	v_bfe_u32 v4, v4, 0, s11
	v_lshlrev_b32_e32 v5, 2, v1
	v_lshl_or_b32 v4, v4, 4, v5
	v_mov_b32_e32 v5, 1
	ds_add_u32 v4, v5 offset:4096
	v_mov_b32_e32 v4, 0
.LBB1076_283:
	s_or_b64 exec, exec, s[0:1]
	v_cmp_gt_i32_e64 s[0:1], 10, v4
	s_mov_b64 s[10:11], -1
	s_and_saveexec_b64 s[12:13], s[0:1]
; %bb.284:
	v_cmp_eq_u32_e64 s[0:1], 0, v4
	s_orn2_b64 s[10:11], s[0:1], exec
; %bb.285:
	s_or_b64 exec, exec, s[12:13]
	s_and_b64 exec, exec, s[10:11]
	s_cbranch_execz .LBB1076_313
; %bb.286:
	s_add_i32 s10, s8, 16
	s_cmp_le_u32 s9, s10
	s_cselect_b64 s[0:1], -1, 0
	s_and_b64 s[12:13], s[0:1], exec
	s_cselect_b32 s11, 8, 10
	s_or_b64 s[0:1], s[0:1], vcc
	s_xor_b64 s[12:13], s[0:1], -1
	v_mov_b32_e32 v4, s11
	s_and_saveexec_b64 s[0:1], s[12:13]
	s_cbranch_execz .LBB1076_288
; %bb.287:
	s_sub_i32 s11, s9, s10
	s_min_u32 s11, s11, 8
	v_lshrrev_b64 v[4:5], s10, v[2:3]
	v_bfe_u32 v4, v4, 0, s11
	v_lshlrev_b32_e32 v5, 2, v1
	v_lshl_or_b32 v4, v4, 4, v5
	v_mov_b32_e32 v5, 1
	ds_add_u32 v4, v5 offset:8192
	v_mov_b32_e32 v4, 0
.LBB1076_288:
	s_or_b64 exec, exec, s[0:1]
	v_cmp_gt_i32_e64 s[0:1], 10, v4
	s_mov_b64 s[10:11], -1
	s_and_saveexec_b64 s[12:13], s[0:1]
; %bb.289:
	v_cmp_eq_u32_e64 s[0:1], 0, v4
	s_orn2_b64 s[10:11], s[0:1], exec
; %bb.290:
	s_or_b64 exec, exec, s[12:13]
	s_and_b64 exec, exec, s[10:11]
	;; [unrolled: 33-line block ×6, first 2 shown]
	s_cbranch_execz .LBB1076_313
; %bb.311:
	s_add_i32 s0, s8, 56
	s_cmp_gt_u32 s9, s0
	s_cselect_b64 s[10:11], -1, 0
	s_xor_b64 s[12:13], vcc, -1
	s_and_b64 s[10:11], s[10:11], s[12:13]
	s_and_b64 exec, exec, s[10:11]
	s_cbranch_execz .LBB1076_313
; %bb.312:
	s_sub_i32 s1, s9, s0
	s_min_u32 s1, s1, 8
	v_lshrrev_b64 v[2:3], s0, v[2:3]
	v_bfe_u32 v2, v2, 0, s1
	v_lshlrev_b32_e32 v1, 2, v1
	v_lshl_or_b32 v1, v2, 4, v1
	v_mov_b32_e32 v2, 1
	ds_add_u32 v1, v2 offset:28672
.LBB1076_313:
	s_or_b64 exec, exec, s[4:5]
	s_cmp_gt_u32 s9, s8
	s_waitcnt lgkmcnt(0)
	s_barrier
	s_cbranch_scc0 .LBB1076_318
; %bb.314:
	s_movk_i32 s0, 0x100
	v_cmp_gt_u32_e32 vcc, s0, v0
	v_lshlrev_b32_e32 v1, 4, v0
	v_mov_b32_e32 v3, 0
	v_mov_b32_e32 v2, v0
	s_mov_b32 s10, s8
	s_branch .LBB1076_316
.LBB1076_315:                           ;   in Loop: Header=BB1076_316 Depth=1
	s_or_b64 exec, exec, s[4:5]
	s_add_i32 s10, s10, 8
	v_add_u32_e32 v2, 0x100, v2
	s_cmp_lt_u32 s10, s9
	v_add_u32_e32 v1, 0x1000, v1
	s_cbranch_scc0 .LBB1076_318
.LBB1076_316:                           ; =>This Inner Loop Header: Depth=1
	s_and_saveexec_b64 s[4:5], vcc
	s_cbranch_execz .LBB1076_315
; %bb.317:                              ;   in Loop: Header=BB1076_316 Depth=1
	ds_read2_b32 v[4:5], v1 offset1:1
	ds_read2_b32 v[6:7], v1 offset0:2 offset1:3
	v_lshlrev_b64 v[8:9], 3, v[2:3]
	v_mov_b32_e32 v10, s3
	s_waitcnt lgkmcnt(1)
	v_add_u32_e32 v4, v5, v4
	s_waitcnt lgkmcnt(0)
	v_add3_u32 v4, v4, v6, v7
	v_add_co_u32_e64 v6, s[0:1], s2, v8
	v_addc_co_u32_e64 v7, s[0:1], v10, v9, s[0:1]
	v_mov_b32_e32 v5, v3
	global_atomic_add_x2 v[6:7], v[4:5], off
	s_branch .LBB1076_315
.LBB1076_318:
	s_mov_b64 s[0:1], 0
.LBB1076_319:
	s_and_b64 vcc, exec, s[0:1]
	s_cbranch_vccz .LBB1076_411
; %bb.320:
	v_lshlrev_b32_e32 v24, 3, v0
	v_mov_b32_e32 v1, s7
	v_add_co_u32_e32 v8, vcc, s6, v24
	v_addc_co_u32_e32 v1, vcc, 0, v1, vcc
	v_add_co_u32_e32 v2, vcc, 0x2000, v8
	v_addc_co_u32_e32 v3, vcc, 0, v1, vcc
	;; [unrolled: 2-line block ×7, first 2 shown]
	v_add_co_u32_e32 v26, vcc, 0xe000, v8
	global_load_dwordx2 v[16:17], v24, s[6:7]
	global_load_dwordx2 v[14:15], v[2:3], off
	global_load_dwordx2 v[12:13], v[4:5], off
	;; [unrolled: 1-line block ×3, first 2 shown]
	v_addc_co_u32_e32 v27, vcc, 0, v1, vcc
	global_load_dwordx2 v[8:9], v[18:19], off
	global_load_dwordx2 v[6:7], v[20:21], off
	;; [unrolled: 1-line block ×4, first 2 shown]
	s_cmp_eq_u32 s8, 0
	s_cselect_b64 s[0:1], -1, 0
	s_cmp_eq_u32 s9, 64
	s_cselect_b64 s[4:5], -1, 0
	s_and_b64 s[4:5], s[0:1], s[4:5]
	s_mov_b64 s[0:1], -1
	s_and_b64 vcc, exec, s[4:5]
	v_lshlrev_b32_e32 v25, 2, v0
	s_cbranch_vccnz .LBB1076_408
; %bb.321:
	s_cmp_gt_u32 s9, s8
	s_cselect_b64 s[0:1], -1, 0
	v_mov_b32_e32 v1, 0
	s_and_b64 vcc, exec, s[0:1]
	ds_write2st64_b32 v25, v1, v1 offset1:16
	ds_write2st64_b32 v25, v1, v1 offset0:32 offset1:48
	ds_write2st64_b32 v25, v1, v1 offset0:64 offset1:80
	;; [unrolled: 1-line block ×3, first 2 shown]
	s_waitcnt lgkmcnt(0)
	s_barrier
	s_cbranch_vccz .LBB1076_402
; %bb.322:
	s_sub_i32 s4, s9, s8
	s_min_u32 s4, s4, 8
	s_waitcnt vmcnt(7)
	v_xor_b32_e32 v21, 0x80000000, v17
	v_mov_b32_e32 v20, v16
	s_lshl_b32 s4, -1, s4
	v_and_b32_e32 v1, 3, v0
	s_not_b32 s12, s4
	v_lshrrev_b64 v[22:23], s8, v[20:21]
	v_and_b32_e32 v22, s12, v22
	v_lshlrev_b32_e32 v26, 2, v1
	v_lshl_or_b32 v22, v22, 4, v26
	v_mov_b32_e32 v23, 1
	ds_add_u32 v22, v23
	s_add_i32 s13, s8, 8
	s_cmp_le_u32 s9, s13
	s_waitcnt vmcnt(6)
	v_xor_b32_e32 v19, 0x80000000, v15
	v_mov_b32_e32 v18, v14
	s_cselect_b64 s[4:5], -1, 0
	s_and_b64 vcc, exec, s[4:5]
	v_lshrrev_b64 v[22:23], s8, v[18:19]
	s_cbranch_vccz .LBB1076_324
; %bb.323:
	v_and_b32_e32 v23, s12, v22
	v_lshl_or_b32 v23, v23, 2, v1
	s_mov_b64 s[6:7], -1
	s_cbranch_execz .LBB1076_325
	s_branch .LBB1076_340
.LBB1076_324:
	s_mov_b64 s[6:7], 0
                                        ; implicit-def: $vgpr23
.LBB1076_325:
	s_sub_i32 s10, s9, s13
	s_min_u32 s10, s10, 8
	s_lshl_b32 s10, -1, s10
	s_not_b32 s15, s10
	v_lshrrev_b64 v[28:29], s13, v[20:21]
	v_and_b32_e32 v23, s15, v28
	v_lshl_or_b32 v27, v23, 4, v26
	v_mov_b32_e32 v23, 1
	ds_add_u32 v27, v23 offset:4096
	s_add_i32 s14, s8, 16
	s_cmp_gt_u32 s9, s14
	s_cselect_b64 s[10:11], -1, 0
	s_cmp_le_u32 s9, s14
	s_cbranch_scc1 .LBB1076_332
; %bb.326:
	s_sub_i32 s16, s9, s14
	s_min_u32 s16, s16, 8
	v_lshrrev_b64 v[28:29], s14, v[20:21]
	v_bfe_u32 v27, v28, 0, s16
	v_lshl_or_b32 v27, v27, 4, v26
	ds_add_u32 v27, v23 offset:8192
	s_add_i32 s16, s8, 24
	s_cmp_le_u32 s9, s16
	s_cbranch_scc1 .LBB1076_332
; %bb.327:
	s_sub_i32 s17, s9, s16
	s_min_u32 s17, s17, 8
	v_lshrrev_b64 v[28:29], s16, v[20:21]
	v_bfe_u32 v27, v28, 0, s17
	v_lshl_or_b32 v28, v27, 4, v26
	v_mov_b32_e32 v27, 1
	ds_add_u32 v28, v27 offset:12288
	s_add_i32 s16, s8, 32
	s_cmp_le_u32 s9, s16
	s_cbranch_scc1 .LBB1076_332
; %bb.328:
	s_sub_i32 s17, s9, s16
	s_min_u32 s17, s17, 8
	v_lshrrev_b64 v[28:29], s16, v[20:21]
	v_bfe_u32 v28, v28, 0, s17
	v_lshl_or_b32 v28, v28, 4, v26
	ds_add_u32 v28, v27 offset:16384
	s_add_i32 s16, s8, 40
	s_cmp_le_u32 s9, s16
	s_cbranch_scc1 .LBB1076_332
; %bb.329:
	s_sub_i32 s17, s9, s16
	s_min_u32 s17, s17, 8
	v_lshrrev_b64 v[28:29], s16, v[20:21]
	v_bfe_u32 v27, v28, 0, s17
	v_lshl_or_b32 v28, v27, 4, v26
	v_mov_b32_e32 v27, 1
	ds_add_u32 v28, v27 offset:20480
	s_add_i32 s16, s8, 48
	s_cmp_le_u32 s9, s16
	s_cbranch_scc1 .LBB1076_332
; %bb.330:
	s_sub_i32 s17, s9, s16
	s_min_u32 s17, s17, 8
	v_lshrrev_b64 v[28:29], s16, v[20:21]
	v_bfe_u32 v28, v28, 0, s17
	v_lshl_or_b32 v28, v28, 4, v26
	ds_add_u32 v28, v27 offset:24576
	s_add_i32 s16, s8, 56
	s_cmp_le_u32 s9, s16
	s_cbranch_scc1 .LBB1076_332
; %bb.331:
	s_sub_i32 s17, s9, s16
	s_min_u32 s17, s17, 8
	v_lshrrev_b64 v[20:21], s16, v[20:21]
	v_bfe_u32 v20, v20, 0, s17
	v_lshl_or_b32 v20, v20, 4, v26
	v_mov_b32_e32 v21, 1
	ds_add_u32 v20, v21 offset:28672
.LBB1076_332:
	v_and_b32_e32 v20, s12, v22
	v_lshl_or_b32 v20, v20, 4, v26
	ds_add_u32 v20, v23
	v_lshrrev_b64 v[20:21], s13, v[18:19]
	v_and_b32_e32 v20, s15, v20
	v_lshl_or_b32 v20, v20, 4, v26
	ds_add_u32 v20, v23 offset:4096
	s_andn2_b64 vcc, exec, s[10:11]
	s_cbranch_vccnz .LBB1076_339
; %bb.333:
	s_sub_i32 s10, s9, s14
	s_min_u32 s10, s10, 8
	v_lshrrev_b64 v[20:21], s14, v[18:19]
	v_bfe_u32 v20, v20, 0, s10
	v_lshl_or_b32 v21, v20, 4, v26
	v_mov_b32_e32 v20, 1
	ds_add_u32 v21, v20 offset:8192
	s_add_i32 s10, s8, 24
	s_cmp_gt_u32 s9, s10
	s_cbranch_scc0 .LBB1076_339
; %bb.334:
	s_sub_i32 s11, s9, s10
	s_min_u32 s11, s11, 8
	v_lshrrev_b64 v[22:23], s10, v[18:19]
	v_bfe_u32 v21, v22, 0, s11
	v_lshl_or_b32 v21, v21, 4, v26
	ds_add_u32 v21, v20 offset:12288
	s_add_i32 s10, s8, 32
	s_cmp_gt_u32 s9, s10
	s_cbranch_scc0 .LBB1076_339
; %bb.335:
	s_sub_i32 s11, s9, s10
	s_min_u32 s11, s11, 8
	v_lshrrev_b64 v[20:21], s10, v[18:19]
	v_bfe_u32 v20, v20, 0, s11
	v_lshl_or_b32 v21, v20, 4, v26
	v_mov_b32_e32 v20, 1
	ds_add_u32 v21, v20 offset:16384
	s_add_i32 s10, s8, 40
	s_cmp_gt_u32 s9, s10
	s_cbranch_scc0 .LBB1076_339
; %bb.336:
	s_sub_i32 s11, s9, s10
	s_min_u32 s11, s11, 8
	v_lshrrev_b64 v[22:23], s10, v[18:19]
	v_bfe_u32 v21, v22, 0, s11
	v_lshl_or_b32 v21, v21, 4, v26
	ds_add_u32 v21, v20 offset:20480
	s_add_i32 s10, s8, 48
	s_cmp_gt_u32 s9, s10
	s_cbranch_scc0 .LBB1076_339
; %bb.337:
	s_sub_i32 s11, s9, s10
	s_min_u32 s11, s11, 8
	v_lshrrev_b64 v[20:21], s10, v[18:19]
	v_bfe_u32 v20, v20, 0, s11
	v_lshl_or_b32 v20, v20, 4, v26
	v_mov_b32_e32 v21, 1
	ds_add_u32 v20, v21 offset:24576
	s_add_i32 s10, s8, 56
	s_cmp_gt_u32 s9, s10
	s_cbranch_scc0 .LBB1076_339
; %bb.338:
	s_sub_i32 s6, s9, s10
	s_min_u32 s6, s6, 8
	v_lshrrev_b64 v[18:19], s10, v[18:19]
	v_bfe_u32 v18, v18, 0, s6
	v_lshl_or_b32 v18, v18, 2, v1
	v_add_u32_e32 v23, 0x1c00, v18
	s_mov_b64 s[6:7], -1
	s_branch .LBB1076_340
.LBB1076_339:
                                        ; implicit-def: $vgpr23
.LBB1076_340:
	s_and_b64 vcc, exec, s[6:7]
	s_cbranch_vccz .LBB1076_342
; %bb.341:
	v_lshlrev_b32_e32 v18, 2, v23
	v_mov_b32_e32 v19, 1
	ds_add_u32 v18, v19
.LBB1076_342:
	s_waitcnt vmcnt(5)
	v_xor_b32_e32 v21, 0x80000000, v13
	v_mov_b32_e32 v20, v12
	v_lshrrev_b64 v[22:23], s8, v[20:21]
	v_and_b32_e32 v22, s12, v22
	v_lshl_or_b32 v22, v22, 4, v26
	v_mov_b32_e32 v23, 1
	ds_add_u32 v22, v23
	s_waitcnt vmcnt(4)
	v_xor_b32_e32 v19, 0x80000000, v11
	v_mov_b32_e32 v18, v10
	s_and_b64 vcc, exec, s[4:5]
	v_lshrrev_b64 v[22:23], s8, v[18:19]
	s_cbranch_vccz .LBB1076_344
; %bb.343:
	v_and_b32_e32 v23, s12, v22
	v_lshl_or_b32 v23, v23, 2, v1
	s_mov_b64 s[6:7], -1
	s_cbranch_execz .LBB1076_345
	s_branch .LBB1076_360
.LBB1076_344:
	s_mov_b64 s[6:7], 0
                                        ; implicit-def: $vgpr23
.LBB1076_345:
	s_sub_i32 s10, s9, s13
	s_min_u32 s10, s10, 8
	s_lshl_b32 s10, -1, s10
	s_not_b32 s15, s10
	v_lshrrev_b64 v[28:29], s13, v[20:21]
	v_and_b32_e32 v23, s15, v28
	v_lshl_or_b32 v27, v23, 4, v26
	v_mov_b32_e32 v23, 1
	ds_add_u32 v27, v23 offset:4096
	s_add_i32 s14, s8, 16
	s_cmp_gt_u32 s9, s14
	s_cselect_b64 s[10:11], -1, 0
	s_cmp_le_u32 s9, s14
	s_cbranch_scc1 .LBB1076_352
; %bb.346:
	s_sub_i32 s16, s9, s14
	s_min_u32 s16, s16, 8
	v_lshrrev_b64 v[28:29], s14, v[20:21]
	v_bfe_u32 v27, v28, 0, s16
	v_lshl_or_b32 v27, v27, 4, v26
	ds_add_u32 v27, v23 offset:8192
	s_add_i32 s16, s8, 24
	s_cmp_le_u32 s9, s16
	s_cbranch_scc1 .LBB1076_352
; %bb.347:
	s_sub_i32 s17, s9, s16
	s_min_u32 s17, s17, 8
	v_lshrrev_b64 v[28:29], s16, v[20:21]
	v_bfe_u32 v27, v28, 0, s17
	v_lshl_or_b32 v28, v27, 4, v26
	v_mov_b32_e32 v27, 1
	ds_add_u32 v28, v27 offset:12288
	s_add_i32 s16, s8, 32
	s_cmp_le_u32 s9, s16
	s_cbranch_scc1 .LBB1076_352
; %bb.348:
	s_sub_i32 s17, s9, s16
	s_min_u32 s17, s17, 8
	v_lshrrev_b64 v[28:29], s16, v[20:21]
	v_bfe_u32 v28, v28, 0, s17
	v_lshl_or_b32 v28, v28, 4, v26
	ds_add_u32 v28, v27 offset:16384
	s_add_i32 s16, s8, 40
	s_cmp_le_u32 s9, s16
	s_cbranch_scc1 .LBB1076_352
; %bb.349:
	s_sub_i32 s17, s9, s16
	s_min_u32 s17, s17, 8
	v_lshrrev_b64 v[28:29], s16, v[20:21]
	v_bfe_u32 v27, v28, 0, s17
	v_lshl_or_b32 v28, v27, 4, v26
	v_mov_b32_e32 v27, 1
	ds_add_u32 v28, v27 offset:20480
	s_add_i32 s16, s8, 48
	s_cmp_le_u32 s9, s16
	s_cbranch_scc1 .LBB1076_352
; %bb.350:
	s_sub_i32 s17, s9, s16
	s_min_u32 s17, s17, 8
	v_lshrrev_b64 v[28:29], s16, v[20:21]
	v_bfe_u32 v28, v28, 0, s17
	v_lshl_or_b32 v28, v28, 4, v26
	ds_add_u32 v28, v27 offset:24576
	s_add_i32 s16, s8, 56
	s_cmp_le_u32 s9, s16
	s_cbranch_scc1 .LBB1076_352
; %bb.351:
	s_sub_i32 s17, s9, s16
	s_min_u32 s17, s17, 8
	v_lshrrev_b64 v[20:21], s16, v[20:21]
	v_bfe_u32 v20, v20, 0, s17
	v_lshl_or_b32 v20, v20, 4, v26
	v_mov_b32_e32 v21, 1
	ds_add_u32 v20, v21 offset:28672
.LBB1076_352:
	v_and_b32_e32 v20, s12, v22
	v_lshl_or_b32 v20, v20, 4, v26
	ds_add_u32 v20, v23
	v_lshrrev_b64 v[20:21], s13, v[18:19]
	v_and_b32_e32 v20, s15, v20
	v_lshl_or_b32 v20, v20, 4, v26
	ds_add_u32 v20, v23 offset:4096
	s_andn2_b64 vcc, exec, s[10:11]
	s_cbranch_vccnz .LBB1076_359
; %bb.353:
	s_sub_i32 s10, s9, s14
	s_min_u32 s10, s10, 8
	v_lshrrev_b64 v[20:21], s14, v[18:19]
	v_bfe_u32 v20, v20, 0, s10
	v_lshl_or_b32 v21, v20, 4, v26
	v_mov_b32_e32 v20, 1
	ds_add_u32 v21, v20 offset:8192
	s_add_i32 s10, s8, 24
	s_cmp_gt_u32 s9, s10
	s_cbranch_scc0 .LBB1076_359
; %bb.354:
	s_sub_i32 s11, s9, s10
	s_min_u32 s11, s11, 8
	v_lshrrev_b64 v[22:23], s10, v[18:19]
	v_bfe_u32 v21, v22, 0, s11
	v_lshl_or_b32 v21, v21, 4, v26
	ds_add_u32 v21, v20 offset:12288
	s_add_i32 s10, s8, 32
	s_cmp_gt_u32 s9, s10
	s_cbranch_scc0 .LBB1076_359
; %bb.355:
	s_sub_i32 s11, s9, s10
	s_min_u32 s11, s11, 8
	v_lshrrev_b64 v[20:21], s10, v[18:19]
	v_bfe_u32 v20, v20, 0, s11
	v_lshl_or_b32 v21, v20, 4, v26
	v_mov_b32_e32 v20, 1
	ds_add_u32 v21, v20 offset:16384
	s_add_i32 s10, s8, 40
	s_cmp_gt_u32 s9, s10
	s_cbranch_scc0 .LBB1076_359
; %bb.356:
	s_sub_i32 s11, s9, s10
	s_min_u32 s11, s11, 8
	v_lshrrev_b64 v[22:23], s10, v[18:19]
	v_bfe_u32 v21, v22, 0, s11
	v_lshl_or_b32 v21, v21, 4, v26
	ds_add_u32 v21, v20 offset:20480
	s_add_i32 s10, s8, 48
	s_cmp_gt_u32 s9, s10
	s_cbranch_scc0 .LBB1076_359
; %bb.357:
	s_sub_i32 s11, s9, s10
	s_min_u32 s11, s11, 8
	v_lshrrev_b64 v[20:21], s10, v[18:19]
	v_bfe_u32 v20, v20, 0, s11
	v_lshl_or_b32 v20, v20, 4, v26
	v_mov_b32_e32 v21, 1
	ds_add_u32 v20, v21 offset:24576
	s_add_i32 s10, s8, 56
	s_cmp_gt_u32 s9, s10
	s_cbranch_scc0 .LBB1076_359
; %bb.358:
	s_sub_i32 s6, s9, s10
	s_min_u32 s6, s6, 8
	v_lshrrev_b64 v[18:19], s10, v[18:19]
	v_bfe_u32 v18, v18, 0, s6
	v_lshl_or_b32 v18, v18, 2, v1
	v_add_u32_e32 v23, 0x1c00, v18
	s_mov_b64 s[6:7], -1
	s_branch .LBB1076_360
.LBB1076_359:
                                        ; implicit-def: $vgpr23
.LBB1076_360:
	s_and_b64 vcc, exec, s[6:7]
	s_cbranch_vccz .LBB1076_362
; %bb.361:
	v_lshlrev_b32_e32 v18, 2, v23
	v_mov_b32_e32 v19, 1
	ds_add_u32 v18, v19
.LBB1076_362:
	s_waitcnt vmcnt(3)
	v_xor_b32_e32 v21, 0x80000000, v9
	v_mov_b32_e32 v20, v8
	v_lshrrev_b64 v[22:23], s8, v[20:21]
	v_and_b32_e32 v22, s12, v22
	v_lshl_or_b32 v22, v22, 4, v26
	v_mov_b32_e32 v23, 1
	ds_add_u32 v22, v23
	s_waitcnt vmcnt(2)
	v_xor_b32_e32 v19, 0x80000000, v7
	v_mov_b32_e32 v18, v6
	s_and_b64 vcc, exec, s[4:5]
	v_lshrrev_b64 v[22:23], s8, v[18:19]
	s_cbranch_vccz .LBB1076_364
; %bb.363:
	v_and_b32_e32 v23, s12, v22
	v_lshl_or_b32 v23, v23, 2, v1
	s_mov_b64 s[6:7], -1
	s_cbranch_execz .LBB1076_365
	s_branch .LBB1076_380
.LBB1076_364:
	s_mov_b64 s[6:7], 0
                                        ; implicit-def: $vgpr23
.LBB1076_365:
	s_sub_i32 s10, s9, s13
	s_min_u32 s10, s10, 8
	s_lshl_b32 s10, -1, s10
	s_not_b32 s15, s10
	v_lshrrev_b64 v[28:29], s13, v[20:21]
	v_and_b32_e32 v23, s15, v28
	v_lshl_or_b32 v27, v23, 4, v26
	v_mov_b32_e32 v23, 1
	ds_add_u32 v27, v23 offset:4096
	s_add_i32 s14, s8, 16
	s_cmp_gt_u32 s9, s14
	s_cselect_b64 s[10:11], -1, 0
	s_cmp_le_u32 s9, s14
	s_cbranch_scc1 .LBB1076_372
; %bb.366:
	s_sub_i32 s16, s9, s14
	s_min_u32 s16, s16, 8
	v_lshrrev_b64 v[28:29], s14, v[20:21]
	v_bfe_u32 v27, v28, 0, s16
	v_lshl_or_b32 v27, v27, 4, v26
	ds_add_u32 v27, v23 offset:8192
	s_add_i32 s16, s8, 24
	s_cmp_le_u32 s9, s16
	s_cbranch_scc1 .LBB1076_372
; %bb.367:
	s_sub_i32 s17, s9, s16
	s_min_u32 s17, s17, 8
	v_lshrrev_b64 v[28:29], s16, v[20:21]
	v_bfe_u32 v27, v28, 0, s17
	v_lshl_or_b32 v28, v27, 4, v26
	v_mov_b32_e32 v27, 1
	ds_add_u32 v28, v27 offset:12288
	s_add_i32 s16, s8, 32
	s_cmp_le_u32 s9, s16
	s_cbranch_scc1 .LBB1076_372
; %bb.368:
	s_sub_i32 s17, s9, s16
	s_min_u32 s17, s17, 8
	v_lshrrev_b64 v[28:29], s16, v[20:21]
	v_bfe_u32 v28, v28, 0, s17
	v_lshl_or_b32 v28, v28, 4, v26
	ds_add_u32 v28, v27 offset:16384
	s_add_i32 s16, s8, 40
	s_cmp_le_u32 s9, s16
	s_cbranch_scc1 .LBB1076_372
; %bb.369:
	s_sub_i32 s17, s9, s16
	s_min_u32 s17, s17, 8
	v_lshrrev_b64 v[28:29], s16, v[20:21]
	v_bfe_u32 v27, v28, 0, s17
	v_lshl_or_b32 v28, v27, 4, v26
	v_mov_b32_e32 v27, 1
	ds_add_u32 v28, v27 offset:20480
	s_add_i32 s16, s8, 48
	s_cmp_le_u32 s9, s16
	s_cbranch_scc1 .LBB1076_372
; %bb.370:
	s_sub_i32 s17, s9, s16
	s_min_u32 s17, s17, 8
	v_lshrrev_b64 v[28:29], s16, v[20:21]
	v_bfe_u32 v28, v28, 0, s17
	v_lshl_or_b32 v28, v28, 4, v26
	ds_add_u32 v28, v27 offset:24576
	s_add_i32 s16, s8, 56
	s_cmp_le_u32 s9, s16
	s_cbranch_scc1 .LBB1076_372
; %bb.371:
	s_sub_i32 s17, s9, s16
	s_min_u32 s17, s17, 8
	v_lshrrev_b64 v[20:21], s16, v[20:21]
	v_bfe_u32 v20, v20, 0, s17
	v_lshl_or_b32 v20, v20, 4, v26
	v_mov_b32_e32 v21, 1
	ds_add_u32 v20, v21 offset:28672
.LBB1076_372:
	v_and_b32_e32 v20, s12, v22
	v_lshl_or_b32 v20, v20, 4, v26
	ds_add_u32 v20, v23
	v_lshrrev_b64 v[20:21], s13, v[18:19]
	v_and_b32_e32 v20, s15, v20
	v_lshl_or_b32 v20, v20, 4, v26
	ds_add_u32 v20, v23 offset:4096
	s_andn2_b64 vcc, exec, s[10:11]
	s_cbranch_vccnz .LBB1076_379
; %bb.373:
	s_sub_i32 s10, s9, s14
	s_min_u32 s10, s10, 8
	v_lshrrev_b64 v[20:21], s14, v[18:19]
	v_bfe_u32 v20, v20, 0, s10
	v_lshl_or_b32 v21, v20, 4, v26
	v_mov_b32_e32 v20, 1
	ds_add_u32 v21, v20 offset:8192
	s_add_i32 s10, s8, 24
	s_cmp_gt_u32 s9, s10
	s_cbranch_scc0 .LBB1076_379
; %bb.374:
	s_sub_i32 s11, s9, s10
	s_min_u32 s11, s11, 8
	v_lshrrev_b64 v[22:23], s10, v[18:19]
	v_bfe_u32 v21, v22, 0, s11
	v_lshl_or_b32 v21, v21, 4, v26
	ds_add_u32 v21, v20 offset:12288
	s_add_i32 s10, s8, 32
	s_cmp_gt_u32 s9, s10
	s_cbranch_scc0 .LBB1076_379
; %bb.375:
	s_sub_i32 s11, s9, s10
	s_min_u32 s11, s11, 8
	v_lshrrev_b64 v[20:21], s10, v[18:19]
	v_bfe_u32 v20, v20, 0, s11
	v_lshl_or_b32 v21, v20, 4, v26
	v_mov_b32_e32 v20, 1
	ds_add_u32 v21, v20 offset:16384
	s_add_i32 s10, s8, 40
	s_cmp_gt_u32 s9, s10
	s_cbranch_scc0 .LBB1076_379
; %bb.376:
	s_sub_i32 s11, s9, s10
	s_min_u32 s11, s11, 8
	v_lshrrev_b64 v[22:23], s10, v[18:19]
	v_bfe_u32 v21, v22, 0, s11
	v_lshl_or_b32 v21, v21, 4, v26
	ds_add_u32 v21, v20 offset:20480
	s_add_i32 s10, s8, 48
	s_cmp_gt_u32 s9, s10
	s_cbranch_scc0 .LBB1076_379
; %bb.377:
	s_sub_i32 s11, s9, s10
	s_min_u32 s11, s11, 8
	v_lshrrev_b64 v[20:21], s10, v[18:19]
	v_bfe_u32 v20, v20, 0, s11
	v_lshl_or_b32 v20, v20, 4, v26
	v_mov_b32_e32 v21, 1
	ds_add_u32 v20, v21 offset:24576
	s_add_i32 s10, s8, 56
	s_cmp_gt_u32 s9, s10
	s_cbranch_scc0 .LBB1076_379
; %bb.378:
	s_sub_i32 s6, s9, s10
	s_min_u32 s6, s6, 8
	v_lshrrev_b64 v[18:19], s10, v[18:19]
	v_bfe_u32 v18, v18, 0, s6
	v_lshl_or_b32 v18, v18, 2, v1
	v_add_u32_e32 v23, 0x1c00, v18
	s_mov_b64 s[6:7], -1
	s_branch .LBB1076_380
.LBB1076_379:
                                        ; implicit-def: $vgpr23
.LBB1076_380:
	s_and_b64 vcc, exec, s[6:7]
	s_cbranch_vccz .LBB1076_382
; %bb.381:
	v_lshlrev_b32_e32 v18, 2, v23
	v_mov_b32_e32 v19, 1
	ds_add_u32 v18, v19
.LBB1076_382:
	s_waitcnt vmcnt(1)
	v_xor_b32_e32 v21, 0x80000000, v5
	v_mov_b32_e32 v20, v4
	v_lshrrev_b64 v[22:23], s8, v[20:21]
	v_and_b32_e32 v22, s12, v22
	v_lshl_or_b32 v22, v22, 4, v26
	v_mov_b32_e32 v23, 1
	ds_add_u32 v22, v23
	s_waitcnt vmcnt(0)
	v_xor_b32_e32 v19, 0x80000000, v3
	v_mov_b32_e32 v18, v2
	s_and_b64 vcc, exec, s[4:5]
	v_lshrrev_b64 v[22:23], s8, v[18:19]
	s_cbranch_vccz .LBB1076_384
; %bb.383:
	v_and_b32_e32 v23, s12, v22
	v_lshl_or_b32 v23, v23, 2, v1
	s_mov_b64 s[4:5], -1
	s_cbranch_execz .LBB1076_385
	s_branch .LBB1076_400
.LBB1076_384:
	s_mov_b64 s[4:5], 0
                                        ; implicit-def: $vgpr23
.LBB1076_385:
	s_sub_i32 s6, s9, s13
	s_min_u32 s6, s6, 8
	s_lshl_b32 s6, -1, s6
	s_not_b32 s11, s6
	v_lshrrev_b64 v[28:29], s13, v[20:21]
	v_and_b32_e32 v23, s11, v28
	v_lshl_or_b32 v27, v23, 4, v26
	v_mov_b32_e32 v23, 1
	ds_add_u32 v27, v23 offset:4096
	s_add_i32 s10, s8, 16
	s_cmp_gt_u32 s9, s10
	s_cselect_b64 s[6:7], -1, 0
	s_cmp_le_u32 s9, s10
	s_cbranch_scc1 .LBB1076_392
; %bb.386:
	s_sub_i32 s14, s9, s10
	s_min_u32 s14, s14, 8
	v_lshrrev_b64 v[28:29], s10, v[20:21]
	v_bfe_u32 v27, v28, 0, s14
	v_lshl_or_b32 v27, v27, 4, v26
	ds_add_u32 v27, v23 offset:8192
	s_add_i32 s14, s8, 24
	s_cmp_le_u32 s9, s14
	s_cbranch_scc1 .LBB1076_392
; %bb.387:
	s_sub_i32 s15, s9, s14
	s_min_u32 s15, s15, 8
	v_lshrrev_b64 v[28:29], s14, v[20:21]
	v_bfe_u32 v27, v28, 0, s15
	v_lshl_or_b32 v28, v27, 4, v26
	v_mov_b32_e32 v27, 1
	ds_add_u32 v28, v27 offset:12288
	s_add_i32 s14, s8, 32
	s_cmp_le_u32 s9, s14
	s_cbranch_scc1 .LBB1076_392
; %bb.388:
	s_sub_i32 s15, s9, s14
	s_min_u32 s15, s15, 8
	v_lshrrev_b64 v[28:29], s14, v[20:21]
	v_bfe_u32 v28, v28, 0, s15
	v_lshl_or_b32 v28, v28, 4, v26
	ds_add_u32 v28, v27 offset:16384
	s_add_i32 s14, s8, 40
	s_cmp_le_u32 s9, s14
	s_cbranch_scc1 .LBB1076_392
; %bb.389:
	s_sub_i32 s15, s9, s14
	s_min_u32 s15, s15, 8
	v_lshrrev_b64 v[28:29], s14, v[20:21]
	v_bfe_u32 v27, v28, 0, s15
	v_lshl_or_b32 v28, v27, 4, v26
	v_mov_b32_e32 v27, 1
	ds_add_u32 v28, v27 offset:20480
	s_add_i32 s14, s8, 48
	s_cmp_le_u32 s9, s14
	s_cbranch_scc1 .LBB1076_392
; %bb.390:
	s_sub_i32 s15, s9, s14
	s_min_u32 s15, s15, 8
	v_lshrrev_b64 v[28:29], s14, v[20:21]
	v_bfe_u32 v28, v28, 0, s15
	v_lshl_or_b32 v28, v28, 4, v26
	ds_add_u32 v28, v27 offset:24576
	s_add_i32 s14, s8, 56
	s_cmp_le_u32 s9, s14
	s_cbranch_scc1 .LBB1076_392
; %bb.391:
	s_sub_i32 s15, s9, s14
	s_min_u32 s15, s15, 8
	v_lshrrev_b64 v[20:21], s14, v[20:21]
	v_bfe_u32 v20, v20, 0, s15
	v_lshl_or_b32 v20, v20, 4, v26
	v_mov_b32_e32 v21, 1
	ds_add_u32 v20, v21 offset:28672
.LBB1076_392:
	v_and_b32_e32 v20, s12, v22
	v_lshl_or_b32 v20, v20, 4, v26
	ds_add_u32 v20, v23
	v_lshrrev_b64 v[20:21], s13, v[18:19]
	v_and_b32_e32 v20, s11, v20
	v_lshl_or_b32 v20, v20, 4, v26
	ds_add_u32 v20, v23 offset:4096
	s_andn2_b64 vcc, exec, s[6:7]
	s_cbranch_vccnz .LBB1076_399
; %bb.393:
	s_sub_i32 s6, s9, s10
	s_min_u32 s6, s6, 8
	v_lshrrev_b64 v[20:21], s10, v[18:19]
	v_bfe_u32 v20, v20, 0, s6
	v_lshl_or_b32 v21, v20, 4, v26
	v_mov_b32_e32 v20, 1
	ds_add_u32 v21, v20 offset:8192
	s_add_i32 s6, s8, 24
	s_cmp_gt_u32 s9, s6
	s_cbranch_scc0 .LBB1076_399
; %bb.394:
	s_sub_i32 s7, s9, s6
	s_min_u32 s7, s7, 8
	v_lshrrev_b64 v[22:23], s6, v[18:19]
	v_bfe_u32 v21, v22, 0, s7
	v_lshl_or_b32 v21, v21, 4, v26
	ds_add_u32 v21, v20 offset:12288
	s_add_i32 s6, s8, 32
	s_cmp_gt_u32 s9, s6
	s_cbranch_scc0 .LBB1076_399
; %bb.395:
	s_sub_i32 s7, s9, s6
	s_min_u32 s7, s7, 8
	v_lshrrev_b64 v[20:21], s6, v[18:19]
	v_bfe_u32 v20, v20, 0, s7
	v_lshl_or_b32 v21, v20, 4, v26
	v_mov_b32_e32 v20, 1
	ds_add_u32 v21, v20 offset:16384
	s_add_i32 s6, s8, 40
	s_cmp_gt_u32 s9, s6
	s_cbranch_scc0 .LBB1076_399
; %bb.396:
	s_sub_i32 s7, s9, s6
	s_min_u32 s7, s7, 8
	v_lshrrev_b64 v[22:23], s6, v[18:19]
	v_bfe_u32 v21, v22, 0, s7
	v_lshl_or_b32 v21, v21, 4, v26
	ds_add_u32 v21, v20 offset:20480
	s_add_i32 s6, s8, 48
	s_cmp_gt_u32 s9, s6
	s_cbranch_scc0 .LBB1076_399
; %bb.397:
	s_sub_i32 s7, s9, s6
	s_min_u32 s7, s7, 8
	v_lshrrev_b64 v[20:21], s6, v[18:19]
	v_bfe_u32 v20, v20, 0, s7
	v_lshl_or_b32 v20, v20, 4, v26
	v_mov_b32_e32 v21, 1
	ds_add_u32 v20, v21 offset:24576
	s_add_i32 s6, s8, 56
	s_cmp_gt_u32 s9, s6
	s_cbranch_scc0 .LBB1076_399
; %bb.398:
	s_sub_i32 s4, s9, s6
	s_min_u32 s4, s4, 8
	v_lshrrev_b64 v[18:19], s6, v[18:19]
	v_bfe_u32 v18, v18, 0, s4
	v_lshl_or_b32 v1, v18, 2, v1
	v_add_u32_e32 v23, 0x1c00, v1
	s_mov_b64 s[4:5], -1
	s_branch .LBB1076_400
.LBB1076_399:
                                        ; implicit-def: $vgpr23
.LBB1076_400:
	s_and_b64 vcc, exec, s[4:5]
	s_cbranch_vccz .LBB1076_402
; %bb.401:
	v_lshlrev_b32_e32 v1, 2, v23
	v_mov_b32_e32 v18, 1
	ds_add_u32 v1, v18
.LBB1076_402:
	s_and_b64 vcc, exec, s[0:1]
	s_waitcnt lgkmcnt(0)
	s_barrier
	s_cbranch_vccz .LBB1076_407
; %bb.403:
	s_movk_i32 s0, 0x100
	v_cmp_gt_u32_e32 vcc, s0, v0
	v_lshlrev_b32_e32 v1, 4, v0
	v_mov_b32_e32 v19, 0
	v_mov_b32_e32 v18, v0
	s_branch .LBB1076_405
.LBB1076_404:                           ;   in Loop: Header=BB1076_405 Depth=1
	s_or_b64 exec, exec, s[4:5]
	s_add_i32 s8, s8, 8
	v_add_u32_e32 v18, 0x100, v18
	s_cmp_ge_u32 s8, s9
	v_add_u32_e32 v1, 0x1000, v1
	s_cbranch_scc1 .LBB1076_407
.LBB1076_405:                           ; =>This Inner Loop Header: Depth=1
	s_and_saveexec_b64 s[4:5], vcc
	s_cbranch_execz .LBB1076_404
; %bb.406:                              ;   in Loop: Header=BB1076_405 Depth=1
	ds_read2_b32 v[20:21], v1 offset1:1
	ds_read2_b32 v[22:23], v1 offset0:2 offset1:3
	v_lshlrev_b64 v[26:27], 3, v[18:19]
	v_mov_b32_e32 v28, s3
	s_waitcnt lgkmcnt(1)
	v_add_u32_e32 v20, v21, v20
	s_waitcnt lgkmcnt(0)
	v_add3_u32 v20, v20, v22, v23
	v_add_co_u32_e64 v22, s[0:1], s2, v26
	v_addc_co_u32_e64 v23, s[0:1], v28, v27, s[0:1]
	v_mov_b32_e32 v21, v19
	global_atomic_add_x2 v[22:23], v[20:21], off
	s_branch .LBB1076_404
.LBB1076_407:
	s_mov_b64 s[0:1], 0
.LBB1076_408:
	s_and_b64 vcc, exec, s[0:1]
	s_cbranch_vccz .LBB1076_411
; %bb.409:
	v_and_b32_e32 v19, 3, v0
	s_waitcnt vmcnt(7)
	v_lshlrev_b32_e32 v18, 2, v16
	s_movk_i32 s0, 0x3fc
	v_and_or_b32 v18, v18, s0, v19
	v_mov_b32_e32 v1, 0
	v_lshlrev_b32_e32 v20, 2, v18
	v_mov_b32_e32 v18, 1
	ds_write2st64_b32 v25, v1, v1 offset1:16
	ds_write2st64_b32 v25, v1, v1 offset0:32 offset1:48
	ds_write2st64_b32 v25, v1, v1 offset0:64 offset1:80
	;; [unrolled: 1-line block ×3, first 2 shown]
	s_waitcnt lgkmcnt(0)
	s_barrier
	ds_add_u32 v20, v18
	v_bfe_u32 v20, v16, 8, 8
	v_lshl_or_b32 v20, v20, 2, v19
	v_lshlrev_b32_e32 v20, 2, v20
	ds_add_u32 v20, v18 offset:4096
	v_bfe_u32 v20, v16, 16, 8
	v_lshl_or_b32 v20, v20, 2, v19
	v_lshlrev_b32_e32 v20, 2, v20
	ds_add_u32 v20, v18 offset:8192
	v_lshrrev_b32_e32 v20, 24, v16
	v_lshl_or_b32 v20, v20, 2, v19
	v_alignbit_b32 v16, v17, v16, 30
	v_lshlrev_b32_e32 v20, 2, v20
	v_and_or_b32 v16, v16, s0, v19
	ds_add_u32 v20, v18 offset:12288
	v_lshlrev_b32_e32 v16, 2, v16
	ds_add_u32 v16, v18 offset:16384
	v_bfe_u32 v16, v17, 8, 8
	v_lshl_or_b32 v16, v16, 2, v19
	v_lshlrev_b32_e32 v16, 2, v16
	ds_add_u32 v16, v18 offset:20480
	v_bfe_u32 v16, v17, 16, 8
	v_lshl_or_b32 v16, v16, 2, v19
	v_lshlrev_b32_e32 v16, 2, v16
	ds_add_u32 v16, v18 offset:24576
	v_lshrrev_b32_e32 v16, 24, v17
	v_or_b32_e32 v17, 0x1c00, v19
	v_lshl_or_b32 v16, v16, 2, v17
	v_xor_b32_e32 v16, 0x200, v16
	v_lshlrev_b32_e32 v16, 2, v16
	ds_add_u32 v16, v18
	s_waitcnt vmcnt(6)
	v_lshlrev_b32_e32 v16, 2, v14
	v_and_or_b32 v16, v16, s0, v19
	v_lshlrev_b32_e32 v16, 2, v16
	ds_add_u32 v16, v18
	v_bfe_u32 v16, v14, 8, 8
	v_lshl_or_b32 v16, v16, 2, v19
	v_lshlrev_b32_e32 v16, 2, v16
	ds_add_u32 v16, v18 offset:4096
	v_bfe_u32 v16, v14, 16, 8
	v_lshl_or_b32 v16, v16, 2, v19
	v_lshlrev_b32_e32 v16, 2, v16
	ds_add_u32 v16, v18 offset:8192
	v_lshrrev_b32_e32 v16, 24, v14
	v_lshl_or_b32 v16, v16, 2, v19
	v_alignbit_b32 v14, v15, v14, 30
	v_lshlrev_b32_e32 v16, 2, v16
	v_and_or_b32 v14, v14, s0, v19
	ds_add_u32 v16, v18 offset:12288
	v_lshlrev_b32_e32 v14, 2, v14
	ds_add_u32 v14, v18 offset:16384
	v_bfe_u32 v14, v15, 8, 8
	v_lshl_or_b32 v14, v14, 2, v19
	v_lshlrev_b32_e32 v14, 2, v14
	ds_add_u32 v14, v18 offset:20480
	v_bfe_u32 v14, v15, 16, 8
	v_lshl_or_b32 v14, v14, 2, v19
	v_lshlrev_b32_e32 v14, 2, v14
	ds_add_u32 v14, v18 offset:24576
	v_lshrrev_b32_e32 v14, 24, v15
	v_lshl_or_b32 v14, v14, 2, v17
	v_xor_b32_e32 v14, 0x200, v14
	v_lshlrev_b32_e32 v14, 2, v14
	ds_add_u32 v14, v18
	s_waitcnt vmcnt(5)
	v_lshlrev_b32_e32 v14, 2, v12
	v_and_or_b32 v14, v14, s0, v19
	v_lshlrev_b32_e32 v14, 2, v14
	ds_add_u32 v14, v18
	v_bfe_u32 v14, v12, 8, 8
	v_lshl_or_b32 v14, v14, 2, v19
	v_lshlrev_b32_e32 v14, 2, v14
	ds_add_u32 v14, v18 offset:4096
	v_bfe_u32 v14, v12, 16, 8
	v_lshl_or_b32 v14, v14, 2, v19
	v_lshlrev_b32_e32 v14, 2, v14
	ds_add_u32 v14, v18 offset:8192
	v_lshrrev_b32_e32 v14, 24, v12
	v_lshl_or_b32 v14, v14, 2, v19
	v_alignbit_b32 v12, v13, v12, 30
	v_lshlrev_b32_e32 v14, 2, v14
	v_and_or_b32 v12, v12, s0, v19
	ds_add_u32 v14, v18 offset:12288
	v_lshlrev_b32_e32 v12, 2, v12
	ds_add_u32 v12, v18 offset:16384
	v_bfe_u32 v12, v13, 8, 8
	v_lshl_or_b32 v12, v12, 2, v19
	v_lshlrev_b32_e32 v12, 2, v12
	ds_add_u32 v12, v18 offset:20480
	v_bfe_u32 v12, v13, 16, 8
	v_lshl_or_b32 v12, v12, 2, v19
	v_lshlrev_b32_e32 v12, 2, v12
	ds_add_u32 v12, v18 offset:24576
	v_lshrrev_b32_e32 v12, 24, v13
	;; [unrolled: 34-line block ×7, first 2 shown]
	v_lshl_or_b32 v2, v2, 2, v17
	v_xor_b32_e32 v2, 0x200, v2
	v_lshlrev_b32_e32 v2, 2, v2
	ds_add_u32 v2, v18
	s_movk_i32 s0, 0x100
	v_cmp_gt_u32_e32 vcc, s0, v0
	s_waitcnt lgkmcnt(0)
	s_barrier
	s_and_saveexec_b64 s[0:1], vcc
	s_cbranch_execz .LBB1076_411
; %bb.410:
	v_lshlrev_b32_e32 v6, 4, v0
	ds_read2_b32 v[2:3], v6 offset1:1
	ds_read2_b32 v[4:5], v6 offset0:2 offset1:3
	v_add_u32_e32 v7, 0x1000, v6
	v_add_u32_e32 v8, 0x1008, v6
	;; [unrolled: 1-line block ×3, first 2 shown]
	s_waitcnt lgkmcnt(1)
	v_add_u32_e32 v0, v3, v2
	s_waitcnt lgkmcnt(0)
	v_add3_u32 v0, v0, v4, v5
	global_atomic_add_x2 v24, v[0:1], s[2:3]
	ds_read2_b32 v[2:3], v7 offset1:1
	ds_read2_b32 v[4:5], v8 offset1:1
	v_add_u32_e32 v7, 0x2000, v6
	v_add_u32_e32 v8, 0x2008, v6
	s_waitcnt lgkmcnt(1)
	v_add_u32_e32 v0, v3, v2
	s_waitcnt lgkmcnt(0)
	v_add3_u32 v0, v0, v4, v5
	global_atomic_add_x2 v24, v[0:1], s[2:3] offset:2048
	ds_read2_b32 v[2:3], v7 offset1:1
	ds_read2_b32 v[4:5], v8 offset1:1
	v_or_b32_e32 v7, 0x1000, v24
	v_add_u32_e32 v8, 0x3000, v6
	s_waitcnt lgkmcnt(1)
	v_add_u32_e32 v0, v3, v2
	s_waitcnt lgkmcnt(0)
	v_add3_u32 v0, v0, v4, v5
	global_atomic_add_x2 v7, v[0:1], s[2:3]
	ds_read2_b32 v[2:3], v8 offset1:1
	ds_read2_b32 v[4:5], v9 offset1:1
	v_or_b32_e32 v7, 0x1800, v24
	v_or_b32_e32 v8, 0x4000, v6
	;; [unrolled: 1-line block ×3, first 2 shown]
	s_waitcnt lgkmcnt(1)
	v_add_u32_e32 v0, v3, v2
	s_waitcnt lgkmcnt(0)
	v_add3_u32 v0, v0, v4, v5
	global_atomic_add_x2 v7, v[0:1], s[2:3]
	ds_read2_b32 v[2:3], v8 offset1:1
	ds_read2_b32 v[4:5], v9 offset1:1
	v_or_b32_e32 v7, 0x2000, v24
	v_add_u32_e32 v8, 0x5000, v6
	v_add_u32_e32 v9, 0x5008, v6
	s_waitcnt lgkmcnt(1)
	v_add_u32_e32 v0, v3, v2
	s_waitcnt lgkmcnt(0)
	v_add3_u32 v0, v0, v4, v5
	global_atomic_add_x2 v7, v[0:1], s[2:3]
	ds_read2_b32 v[2:3], v8 offset1:1
	ds_read2_b32 v[4:5], v9 offset1:1
	v_or_b32_e32 v7, 0x2800, v24
	v_add_u32_e32 v8, 0x6000, v6
	v_add_u32_e32 v9, 0x6008, v6
	;; [unrolled: 10-line block ×3, first 2 shown]
	s_waitcnt lgkmcnt(1)
	v_add_u32_e32 v0, v3, v2
	s_waitcnt lgkmcnt(0)
	v_add3_u32 v0, v0, v4, v5
	global_atomic_add_x2 v7, v[0:1], s[2:3]
	ds_read2_b32 v[2:3], v8 offset1:1
	ds_read2_b32 v[4:5], v6 offset1:1
	s_waitcnt lgkmcnt(1)
	v_add_u32_e32 v0, v3, v2
	s_waitcnt lgkmcnt(0)
	v_add3_u32 v0, v0, v4, v5
	v_or_b32_e32 v2, 0x3800, v24
	global_atomic_add_x2 v2, v[0:1], s[2:3]
.LBB1076_411:
	s_endpgm
	.section	.rodata,"a",@progbits
	.p2align	6, 0x0
	.amdhsa_kernel _ZN7rocprim17ROCPRIM_400000_NS6detail17trampoline_kernelINS0_14default_configENS1_35radix_sort_onesweep_config_selectorIxNS0_10empty_typeEEEZNS1_34radix_sort_onesweep_global_offsetsIS3_Lb0EPxPS5_mNS0_19identity_decomposerEEE10hipError_tT1_T2_PT3_SE_jT4_jjP12ihipStream_tbEUlT_E_NS1_11comp_targetILNS1_3genE4ELNS1_11target_archE910ELNS1_3gpuE8ELNS1_3repE0EEENS1_52radix_sort_onesweep_histogram_config_static_selectorELNS0_4arch9wavefront6targetE1EEEvSC_
		.amdhsa_group_segment_fixed_size 32768
		.amdhsa_private_segment_fixed_size 0
		.amdhsa_kernarg_size 48
		.amdhsa_user_sgpr_count 6
		.amdhsa_user_sgpr_private_segment_buffer 1
		.amdhsa_user_sgpr_dispatch_ptr 0
		.amdhsa_user_sgpr_queue_ptr 0
		.amdhsa_user_sgpr_kernarg_segment_ptr 1
		.amdhsa_user_sgpr_dispatch_id 0
		.amdhsa_user_sgpr_flat_scratch_init 0
		.amdhsa_user_sgpr_kernarg_preload_length 0
		.amdhsa_user_sgpr_kernarg_preload_offset 0
		.amdhsa_user_sgpr_private_segment_size 0
		.amdhsa_uses_dynamic_stack 0
		.amdhsa_system_sgpr_private_segment_wavefront_offset 0
		.amdhsa_system_sgpr_workgroup_id_x 1
		.amdhsa_system_sgpr_workgroup_id_y 0
		.amdhsa_system_sgpr_workgroup_id_z 0
		.amdhsa_system_sgpr_workgroup_info 0
		.amdhsa_system_vgpr_workitem_id 0
		.amdhsa_next_free_vgpr 30
		.amdhsa_next_free_sgpr 18
		.amdhsa_accum_offset 32
		.amdhsa_reserve_vcc 1
		.amdhsa_reserve_flat_scratch 0
		.amdhsa_float_round_mode_32 0
		.amdhsa_float_round_mode_16_64 0
		.amdhsa_float_denorm_mode_32 3
		.amdhsa_float_denorm_mode_16_64 3
		.amdhsa_dx10_clamp 1
		.amdhsa_ieee_mode 1
		.amdhsa_fp16_overflow 0
		.amdhsa_tg_split 0
		.amdhsa_exception_fp_ieee_invalid_op 0
		.amdhsa_exception_fp_denorm_src 0
		.amdhsa_exception_fp_ieee_div_zero 0
		.amdhsa_exception_fp_ieee_overflow 0
		.amdhsa_exception_fp_ieee_underflow 0
		.amdhsa_exception_fp_ieee_inexact 0
		.amdhsa_exception_int_div_zero 0
	.end_amdhsa_kernel
	.section	.text._ZN7rocprim17ROCPRIM_400000_NS6detail17trampoline_kernelINS0_14default_configENS1_35radix_sort_onesweep_config_selectorIxNS0_10empty_typeEEEZNS1_34radix_sort_onesweep_global_offsetsIS3_Lb0EPxPS5_mNS0_19identity_decomposerEEE10hipError_tT1_T2_PT3_SE_jT4_jjP12ihipStream_tbEUlT_E_NS1_11comp_targetILNS1_3genE4ELNS1_11target_archE910ELNS1_3gpuE8ELNS1_3repE0EEENS1_52radix_sort_onesweep_histogram_config_static_selectorELNS0_4arch9wavefront6targetE1EEEvSC_,"axG",@progbits,_ZN7rocprim17ROCPRIM_400000_NS6detail17trampoline_kernelINS0_14default_configENS1_35radix_sort_onesweep_config_selectorIxNS0_10empty_typeEEEZNS1_34radix_sort_onesweep_global_offsetsIS3_Lb0EPxPS5_mNS0_19identity_decomposerEEE10hipError_tT1_T2_PT3_SE_jT4_jjP12ihipStream_tbEUlT_E_NS1_11comp_targetILNS1_3genE4ELNS1_11target_archE910ELNS1_3gpuE8ELNS1_3repE0EEENS1_52radix_sort_onesweep_histogram_config_static_selectorELNS0_4arch9wavefront6targetE1EEEvSC_,comdat
.Lfunc_end1076:
	.size	_ZN7rocprim17ROCPRIM_400000_NS6detail17trampoline_kernelINS0_14default_configENS1_35radix_sort_onesweep_config_selectorIxNS0_10empty_typeEEEZNS1_34radix_sort_onesweep_global_offsetsIS3_Lb0EPxPS5_mNS0_19identity_decomposerEEE10hipError_tT1_T2_PT3_SE_jT4_jjP12ihipStream_tbEUlT_E_NS1_11comp_targetILNS1_3genE4ELNS1_11target_archE910ELNS1_3gpuE8ELNS1_3repE0EEENS1_52radix_sort_onesweep_histogram_config_static_selectorELNS0_4arch9wavefront6targetE1EEEvSC_, .Lfunc_end1076-_ZN7rocprim17ROCPRIM_400000_NS6detail17trampoline_kernelINS0_14default_configENS1_35radix_sort_onesweep_config_selectorIxNS0_10empty_typeEEEZNS1_34radix_sort_onesweep_global_offsetsIS3_Lb0EPxPS5_mNS0_19identity_decomposerEEE10hipError_tT1_T2_PT3_SE_jT4_jjP12ihipStream_tbEUlT_E_NS1_11comp_targetILNS1_3genE4ELNS1_11target_archE910ELNS1_3gpuE8ELNS1_3repE0EEENS1_52radix_sort_onesweep_histogram_config_static_selectorELNS0_4arch9wavefront6targetE1EEEvSC_
                                        ; -- End function
	.section	.AMDGPU.csdata,"",@progbits
; Kernel info:
; codeLenInByte = 15224
; NumSgprs: 22
; NumVgprs: 30
; NumAgprs: 0
; TotalNumVgprs: 30
; ScratchSize: 0
; MemoryBound: 0
; FloatMode: 240
; IeeeMode: 1
; LDSByteSize: 32768 bytes/workgroup (compile time only)
; SGPRBlocks: 2
; VGPRBlocks: 3
; NumSGPRsForWavesPerEU: 22
; NumVGPRsForWavesPerEU: 30
; AccumOffset: 32
; Occupancy: 8
; WaveLimiterHint : 1
; COMPUTE_PGM_RSRC2:SCRATCH_EN: 0
; COMPUTE_PGM_RSRC2:USER_SGPR: 6
; COMPUTE_PGM_RSRC2:TRAP_HANDLER: 0
; COMPUTE_PGM_RSRC2:TGID_X_EN: 1
; COMPUTE_PGM_RSRC2:TGID_Y_EN: 0
; COMPUTE_PGM_RSRC2:TGID_Z_EN: 0
; COMPUTE_PGM_RSRC2:TIDIG_COMP_CNT: 0
; COMPUTE_PGM_RSRC3_GFX90A:ACCUM_OFFSET: 7
; COMPUTE_PGM_RSRC3_GFX90A:TG_SPLIT: 0
	.section	.text._ZN7rocprim17ROCPRIM_400000_NS6detail17trampoline_kernelINS0_14default_configENS1_35radix_sort_onesweep_config_selectorIxNS0_10empty_typeEEEZNS1_34radix_sort_onesweep_global_offsetsIS3_Lb0EPxPS5_mNS0_19identity_decomposerEEE10hipError_tT1_T2_PT3_SE_jT4_jjP12ihipStream_tbEUlT_E_NS1_11comp_targetILNS1_3genE3ELNS1_11target_archE908ELNS1_3gpuE7ELNS1_3repE0EEENS1_52radix_sort_onesweep_histogram_config_static_selectorELNS0_4arch9wavefront6targetE1EEEvSC_,"axG",@progbits,_ZN7rocprim17ROCPRIM_400000_NS6detail17trampoline_kernelINS0_14default_configENS1_35radix_sort_onesweep_config_selectorIxNS0_10empty_typeEEEZNS1_34radix_sort_onesweep_global_offsetsIS3_Lb0EPxPS5_mNS0_19identity_decomposerEEE10hipError_tT1_T2_PT3_SE_jT4_jjP12ihipStream_tbEUlT_E_NS1_11comp_targetILNS1_3genE3ELNS1_11target_archE908ELNS1_3gpuE7ELNS1_3repE0EEENS1_52radix_sort_onesweep_histogram_config_static_selectorELNS0_4arch9wavefront6targetE1EEEvSC_,comdat
	.protected	_ZN7rocprim17ROCPRIM_400000_NS6detail17trampoline_kernelINS0_14default_configENS1_35radix_sort_onesweep_config_selectorIxNS0_10empty_typeEEEZNS1_34radix_sort_onesweep_global_offsetsIS3_Lb0EPxPS5_mNS0_19identity_decomposerEEE10hipError_tT1_T2_PT3_SE_jT4_jjP12ihipStream_tbEUlT_E_NS1_11comp_targetILNS1_3genE3ELNS1_11target_archE908ELNS1_3gpuE7ELNS1_3repE0EEENS1_52radix_sort_onesweep_histogram_config_static_selectorELNS0_4arch9wavefront6targetE1EEEvSC_ ; -- Begin function _ZN7rocprim17ROCPRIM_400000_NS6detail17trampoline_kernelINS0_14default_configENS1_35radix_sort_onesweep_config_selectorIxNS0_10empty_typeEEEZNS1_34radix_sort_onesweep_global_offsetsIS3_Lb0EPxPS5_mNS0_19identity_decomposerEEE10hipError_tT1_T2_PT3_SE_jT4_jjP12ihipStream_tbEUlT_E_NS1_11comp_targetILNS1_3genE3ELNS1_11target_archE908ELNS1_3gpuE7ELNS1_3repE0EEENS1_52radix_sort_onesweep_histogram_config_static_selectorELNS0_4arch9wavefront6targetE1EEEvSC_
	.globl	_ZN7rocprim17ROCPRIM_400000_NS6detail17trampoline_kernelINS0_14default_configENS1_35radix_sort_onesweep_config_selectorIxNS0_10empty_typeEEEZNS1_34radix_sort_onesweep_global_offsetsIS3_Lb0EPxPS5_mNS0_19identity_decomposerEEE10hipError_tT1_T2_PT3_SE_jT4_jjP12ihipStream_tbEUlT_E_NS1_11comp_targetILNS1_3genE3ELNS1_11target_archE908ELNS1_3gpuE7ELNS1_3repE0EEENS1_52radix_sort_onesweep_histogram_config_static_selectorELNS0_4arch9wavefront6targetE1EEEvSC_
	.p2align	8
	.type	_ZN7rocprim17ROCPRIM_400000_NS6detail17trampoline_kernelINS0_14default_configENS1_35radix_sort_onesweep_config_selectorIxNS0_10empty_typeEEEZNS1_34radix_sort_onesweep_global_offsetsIS3_Lb0EPxPS5_mNS0_19identity_decomposerEEE10hipError_tT1_T2_PT3_SE_jT4_jjP12ihipStream_tbEUlT_E_NS1_11comp_targetILNS1_3genE3ELNS1_11target_archE908ELNS1_3gpuE7ELNS1_3repE0EEENS1_52radix_sort_onesweep_histogram_config_static_selectorELNS0_4arch9wavefront6targetE1EEEvSC_,@function
_ZN7rocprim17ROCPRIM_400000_NS6detail17trampoline_kernelINS0_14default_configENS1_35radix_sort_onesweep_config_selectorIxNS0_10empty_typeEEEZNS1_34radix_sort_onesweep_global_offsetsIS3_Lb0EPxPS5_mNS0_19identity_decomposerEEE10hipError_tT1_T2_PT3_SE_jT4_jjP12ihipStream_tbEUlT_E_NS1_11comp_targetILNS1_3genE3ELNS1_11target_archE908ELNS1_3gpuE7ELNS1_3repE0EEENS1_52radix_sort_onesweep_histogram_config_static_selectorELNS0_4arch9wavefront6targetE1EEEvSC_: ; @_ZN7rocprim17ROCPRIM_400000_NS6detail17trampoline_kernelINS0_14default_configENS1_35radix_sort_onesweep_config_selectorIxNS0_10empty_typeEEEZNS1_34radix_sort_onesweep_global_offsetsIS3_Lb0EPxPS5_mNS0_19identity_decomposerEEE10hipError_tT1_T2_PT3_SE_jT4_jjP12ihipStream_tbEUlT_E_NS1_11comp_targetILNS1_3genE3ELNS1_11target_archE908ELNS1_3gpuE7ELNS1_3repE0EEENS1_52radix_sort_onesweep_histogram_config_static_selectorELNS0_4arch9wavefront6targetE1EEEvSC_
; %bb.0:
	.section	.rodata,"a",@progbits
	.p2align	6, 0x0
	.amdhsa_kernel _ZN7rocprim17ROCPRIM_400000_NS6detail17trampoline_kernelINS0_14default_configENS1_35radix_sort_onesweep_config_selectorIxNS0_10empty_typeEEEZNS1_34radix_sort_onesweep_global_offsetsIS3_Lb0EPxPS5_mNS0_19identity_decomposerEEE10hipError_tT1_T2_PT3_SE_jT4_jjP12ihipStream_tbEUlT_E_NS1_11comp_targetILNS1_3genE3ELNS1_11target_archE908ELNS1_3gpuE7ELNS1_3repE0EEENS1_52radix_sort_onesweep_histogram_config_static_selectorELNS0_4arch9wavefront6targetE1EEEvSC_
		.amdhsa_group_segment_fixed_size 0
		.amdhsa_private_segment_fixed_size 0
		.amdhsa_kernarg_size 48
		.amdhsa_user_sgpr_count 6
		.amdhsa_user_sgpr_private_segment_buffer 1
		.amdhsa_user_sgpr_dispatch_ptr 0
		.amdhsa_user_sgpr_queue_ptr 0
		.amdhsa_user_sgpr_kernarg_segment_ptr 1
		.amdhsa_user_sgpr_dispatch_id 0
		.amdhsa_user_sgpr_flat_scratch_init 0
		.amdhsa_user_sgpr_kernarg_preload_length 0
		.amdhsa_user_sgpr_kernarg_preload_offset 0
		.amdhsa_user_sgpr_private_segment_size 0
		.amdhsa_uses_dynamic_stack 0
		.amdhsa_system_sgpr_private_segment_wavefront_offset 0
		.amdhsa_system_sgpr_workgroup_id_x 1
		.amdhsa_system_sgpr_workgroup_id_y 0
		.amdhsa_system_sgpr_workgroup_id_z 0
		.amdhsa_system_sgpr_workgroup_info 0
		.amdhsa_system_vgpr_workitem_id 0
		.amdhsa_next_free_vgpr 1
		.amdhsa_next_free_sgpr 0
		.amdhsa_accum_offset 4
		.amdhsa_reserve_vcc 0
		.amdhsa_reserve_flat_scratch 0
		.amdhsa_float_round_mode_32 0
		.amdhsa_float_round_mode_16_64 0
		.amdhsa_float_denorm_mode_32 3
		.amdhsa_float_denorm_mode_16_64 3
		.amdhsa_dx10_clamp 1
		.amdhsa_ieee_mode 1
		.amdhsa_fp16_overflow 0
		.amdhsa_tg_split 0
		.amdhsa_exception_fp_ieee_invalid_op 0
		.amdhsa_exception_fp_denorm_src 0
		.amdhsa_exception_fp_ieee_div_zero 0
		.amdhsa_exception_fp_ieee_overflow 0
		.amdhsa_exception_fp_ieee_underflow 0
		.amdhsa_exception_fp_ieee_inexact 0
		.amdhsa_exception_int_div_zero 0
	.end_amdhsa_kernel
	.section	.text._ZN7rocprim17ROCPRIM_400000_NS6detail17trampoline_kernelINS0_14default_configENS1_35radix_sort_onesweep_config_selectorIxNS0_10empty_typeEEEZNS1_34radix_sort_onesweep_global_offsetsIS3_Lb0EPxPS5_mNS0_19identity_decomposerEEE10hipError_tT1_T2_PT3_SE_jT4_jjP12ihipStream_tbEUlT_E_NS1_11comp_targetILNS1_3genE3ELNS1_11target_archE908ELNS1_3gpuE7ELNS1_3repE0EEENS1_52radix_sort_onesweep_histogram_config_static_selectorELNS0_4arch9wavefront6targetE1EEEvSC_,"axG",@progbits,_ZN7rocprim17ROCPRIM_400000_NS6detail17trampoline_kernelINS0_14default_configENS1_35radix_sort_onesweep_config_selectorIxNS0_10empty_typeEEEZNS1_34radix_sort_onesweep_global_offsetsIS3_Lb0EPxPS5_mNS0_19identity_decomposerEEE10hipError_tT1_T2_PT3_SE_jT4_jjP12ihipStream_tbEUlT_E_NS1_11comp_targetILNS1_3genE3ELNS1_11target_archE908ELNS1_3gpuE7ELNS1_3repE0EEENS1_52radix_sort_onesweep_histogram_config_static_selectorELNS0_4arch9wavefront6targetE1EEEvSC_,comdat
.Lfunc_end1077:
	.size	_ZN7rocprim17ROCPRIM_400000_NS6detail17trampoline_kernelINS0_14default_configENS1_35radix_sort_onesweep_config_selectorIxNS0_10empty_typeEEEZNS1_34radix_sort_onesweep_global_offsetsIS3_Lb0EPxPS5_mNS0_19identity_decomposerEEE10hipError_tT1_T2_PT3_SE_jT4_jjP12ihipStream_tbEUlT_E_NS1_11comp_targetILNS1_3genE3ELNS1_11target_archE908ELNS1_3gpuE7ELNS1_3repE0EEENS1_52radix_sort_onesweep_histogram_config_static_selectorELNS0_4arch9wavefront6targetE1EEEvSC_, .Lfunc_end1077-_ZN7rocprim17ROCPRIM_400000_NS6detail17trampoline_kernelINS0_14default_configENS1_35radix_sort_onesweep_config_selectorIxNS0_10empty_typeEEEZNS1_34radix_sort_onesweep_global_offsetsIS3_Lb0EPxPS5_mNS0_19identity_decomposerEEE10hipError_tT1_T2_PT3_SE_jT4_jjP12ihipStream_tbEUlT_E_NS1_11comp_targetILNS1_3genE3ELNS1_11target_archE908ELNS1_3gpuE7ELNS1_3repE0EEENS1_52radix_sort_onesweep_histogram_config_static_selectorELNS0_4arch9wavefront6targetE1EEEvSC_
                                        ; -- End function
	.section	.AMDGPU.csdata,"",@progbits
; Kernel info:
; codeLenInByte = 0
; NumSgprs: 4
; NumVgprs: 0
; NumAgprs: 0
; TotalNumVgprs: 0
; ScratchSize: 0
; MemoryBound: 0
; FloatMode: 240
; IeeeMode: 1
; LDSByteSize: 0 bytes/workgroup (compile time only)
; SGPRBlocks: 0
; VGPRBlocks: 0
; NumSGPRsForWavesPerEU: 4
; NumVGPRsForWavesPerEU: 1
; AccumOffset: 4
; Occupancy: 8
; WaveLimiterHint : 0
; COMPUTE_PGM_RSRC2:SCRATCH_EN: 0
; COMPUTE_PGM_RSRC2:USER_SGPR: 6
; COMPUTE_PGM_RSRC2:TRAP_HANDLER: 0
; COMPUTE_PGM_RSRC2:TGID_X_EN: 1
; COMPUTE_PGM_RSRC2:TGID_Y_EN: 0
; COMPUTE_PGM_RSRC2:TGID_Z_EN: 0
; COMPUTE_PGM_RSRC2:TIDIG_COMP_CNT: 0
; COMPUTE_PGM_RSRC3_GFX90A:ACCUM_OFFSET: 0
; COMPUTE_PGM_RSRC3_GFX90A:TG_SPLIT: 0
	.section	.text._ZN7rocprim17ROCPRIM_400000_NS6detail17trampoline_kernelINS0_14default_configENS1_35radix_sort_onesweep_config_selectorIxNS0_10empty_typeEEEZNS1_34radix_sort_onesweep_global_offsetsIS3_Lb0EPxPS5_mNS0_19identity_decomposerEEE10hipError_tT1_T2_PT3_SE_jT4_jjP12ihipStream_tbEUlT_E_NS1_11comp_targetILNS1_3genE10ELNS1_11target_archE1201ELNS1_3gpuE5ELNS1_3repE0EEENS1_52radix_sort_onesweep_histogram_config_static_selectorELNS0_4arch9wavefront6targetE1EEEvSC_,"axG",@progbits,_ZN7rocprim17ROCPRIM_400000_NS6detail17trampoline_kernelINS0_14default_configENS1_35radix_sort_onesweep_config_selectorIxNS0_10empty_typeEEEZNS1_34radix_sort_onesweep_global_offsetsIS3_Lb0EPxPS5_mNS0_19identity_decomposerEEE10hipError_tT1_T2_PT3_SE_jT4_jjP12ihipStream_tbEUlT_E_NS1_11comp_targetILNS1_3genE10ELNS1_11target_archE1201ELNS1_3gpuE5ELNS1_3repE0EEENS1_52radix_sort_onesweep_histogram_config_static_selectorELNS0_4arch9wavefront6targetE1EEEvSC_,comdat
	.protected	_ZN7rocprim17ROCPRIM_400000_NS6detail17trampoline_kernelINS0_14default_configENS1_35radix_sort_onesweep_config_selectorIxNS0_10empty_typeEEEZNS1_34radix_sort_onesweep_global_offsetsIS3_Lb0EPxPS5_mNS0_19identity_decomposerEEE10hipError_tT1_T2_PT3_SE_jT4_jjP12ihipStream_tbEUlT_E_NS1_11comp_targetILNS1_3genE10ELNS1_11target_archE1201ELNS1_3gpuE5ELNS1_3repE0EEENS1_52radix_sort_onesweep_histogram_config_static_selectorELNS0_4arch9wavefront6targetE1EEEvSC_ ; -- Begin function _ZN7rocprim17ROCPRIM_400000_NS6detail17trampoline_kernelINS0_14default_configENS1_35radix_sort_onesweep_config_selectorIxNS0_10empty_typeEEEZNS1_34radix_sort_onesweep_global_offsetsIS3_Lb0EPxPS5_mNS0_19identity_decomposerEEE10hipError_tT1_T2_PT3_SE_jT4_jjP12ihipStream_tbEUlT_E_NS1_11comp_targetILNS1_3genE10ELNS1_11target_archE1201ELNS1_3gpuE5ELNS1_3repE0EEENS1_52radix_sort_onesweep_histogram_config_static_selectorELNS0_4arch9wavefront6targetE1EEEvSC_
	.globl	_ZN7rocprim17ROCPRIM_400000_NS6detail17trampoline_kernelINS0_14default_configENS1_35radix_sort_onesweep_config_selectorIxNS0_10empty_typeEEEZNS1_34radix_sort_onesweep_global_offsetsIS3_Lb0EPxPS5_mNS0_19identity_decomposerEEE10hipError_tT1_T2_PT3_SE_jT4_jjP12ihipStream_tbEUlT_E_NS1_11comp_targetILNS1_3genE10ELNS1_11target_archE1201ELNS1_3gpuE5ELNS1_3repE0EEENS1_52radix_sort_onesweep_histogram_config_static_selectorELNS0_4arch9wavefront6targetE1EEEvSC_
	.p2align	8
	.type	_ZN7rocprim17ROCPRIM_400000_NS6detail17trampoline_kernelINS0_14default_configENS1_35radix_sort_onesweep_config_selectorIxNS0_10empty_typeEEEZNS1_34radix_sort_onesweep_global_offsetsIS3_Lb0EPxPS5_mNS0_19identity_decomposerEEE10hipError_tT1_T2_PT3_SE_jT4_jjP12ihipStream_tbEUlT_E_NS1_11comp_targetILNS1_3genE10ELNS1_11target_archE1201ELNS1_3gpuE5ELNS1_3repE0EEENS1_52radix_sort_onesweep_histogram_config_static_selectorELNS0_4arch9wavefront6targetE1EEEvSC_,@function
_ZN7rocprim17ROCPRIM_400000_NS6detail17trampoline_kernelINS0_14default_configENS1_35radix_sort_onesweep_config_selectorIxNS0_10empty_typeEEEZNS1_34radix_sort_onesweep_global_offsetsIS3_Lb0EPxPS5_mNS0_19identity_decomposerEEE10hipError_tT1_T2_PT3_SE_jT4_jjP12ihipStream_tbEUlT_E_NS1_11comp_targetILNS1_3genE10ELNS1_11target_archE1201ELNS1_3gpuE5ELNS1_3repE0EEENS1_52radix_sort_onesweep_histogram_config_static_selectorELNS0_4arch9wavefront6targetE1EEEvSC_: ; @_ZN7rocprim17ROCPRIM_400000_NS6detail17trampoline_kernelINS0_14default_configENS1_35radix_sort_onesweep_config_selectorIxNS0_10empty_typeEEEZNS1_34radix_sort_onesweep_global_offsetsIS3_Lb0EPxPS5_mNS0_19identity_decomposerEEE10hipError_tT1_T2_PT3_SE_jT4_jjP12ihipStream_tbEUlT_E_NS1_11comp_targetILNS1_3genE10ELNS1_11target_archE1201ELNS1_3gpuE5ELNS1_3repE0EEENS1_52radix_sort_onesweep_histogram_config_static_selectorELNS0_4arch9wavefront6targetE1EEEvSC_
; %bb.0:
	.section	.rodata,"a",@progbits
	.p2align	6, 0x0
	.amdhsa_kernel _ZN7rocprim17ROCPRIM_400000_NS6detail17trampoline_kernelINS0_14default_configENS1_35radix_sort_onesweep_config_selectorIxNS0_10empty_typeEEEZNS1_34radix_sort_onesweep_global_offsetsIS3_Lb0EPxPS5_mNS0_19identity_decomposerEEE10hipError_tT1_T2_PT3_SE_jT4_jjP12ihipStream_tbEUlT_E_NS1_11comp_targetILNS1_3genE10ELNS1_11target_archE1201ELNS1_3gpuE5ELNS1_3repE0EEENS1_52radix_sort_onesweep_histogram_config_static_selectorELNS0_4arch9wavefront6targetE1EEEvSC_
		.amdhsa_group_segment_fixed_size 0
		.amdhsa_private_segment_fixed_size 0
		.amdhsa_kernarg_size 48
		.amdhsa_user_sgpr_count 6
		.amdhsa_user_sgpr_private_segment_buffer 1
		.amdhsa_user_sgpr_dispatch_ptr 0
		.amdhsa_user_sgpr_queue_ptr 0
		.amdhsa_user_sgpr_kernarg_segment_ptr 1
		.amdhsa_user_sgpr_dispatch_id 0
		.amdhsa_user_sgpr_flat_scratch_init 0
		.amdhsa_user_sgpr_kernarg_preload_length 0
		.amdhsa_user_sgpr_kernarg_preload_offset 0
		.amdhsa_user_sgpr_private_segment_size 0
		.amdhsa_uses_dynamic_stack 0
		.amdhsa_system_sgpr_private_segment_wavefront_offset 0
		.amdhsa_system_sgpr_workgroup_id_x 1
		.amdhsa_system_sgpr_workgroup_id_y 0
		.amdhsa_system_sgpr_workgroup_id_z 0
		.amdhsa_system_sgpr_workgroup_info 0
		.amdhsa_system_vgpr_workitem_id 0
		.amdhsa_next_free_vgpr 1
		.amdhsa_next_free_sgpr 0
		.amdhsa_accum_offset 4
		.amdhsa_reserve_vcc 0
		.amdhsa_reserve_flat_scratch 0
		.amdhsa_float_round_mode_32 0
		.amdhsa_float_round_mode_16_64 0
		.amdhsa_float_denorm_mode_32 3
		.amdhsa_float_denorm_mode_16_64 3
		.amdhsa_dx10_clamp 1
		.amdhsa_ieee_mode 1
		.amdhsa_fp16_overflow 0
		.amdhsa_tg_split 0
		.amdhsa_exception_fp_ieee_invalid_op 0
		.amdhsa_exception_fp_denorm_src 0
		.amdhsa_exception_fp_ieee_div_zero 0
		.amdhsa_exception_fp_ieee_overflow 0
		.amdhsa_exception_fp_ieee_underflow 0
		.amdhsa_exception_fp_ieee_inexact 0
		.amdhsa_exception_int_div_zero 0
	.end_amdhsa_kernel
	.section	.text._ZN7rocprim17ROCPRIM_400000_NS6detail17trampoline_kernelINS0_14default_configENS1_35radix_sort_onesweep_config_selectorIxNS0_10empty_typeEEEZNS1_34radix_sort_onesweep_global_offsetsIS3_Lb0EPxPS5_mNS0_19identity_decomposerEEE10hipError_tT1_T2_PT3_SE_jT4_jjP12ihipStream_tbEUlT_E_NS1_11comp_targetILNS1_3genE10ELNS1_11target_archE1201ELNS1_3gpuE5ELNS1_3repE0EEENS1_52radix_sort_onesweep_histogram_config_static_selectorELNS0_4arch9wavefront6targetE1EEEvSC_,"axG",@progbits,_ZN7rocprim17ROCPRIM_400000_NS6detail17trampoline_kernelINS0_14default_configENS1_35radix_sort_onesweep_config_selectorIxNS0_10empty_typeEEEZNS1_34radix_sort_onesweep_global_offsetsIS3_Lb0EPxPS5_mNS0_19identity_decomposerEEE10hipError_tT1_T2_PT3_SE_jT4_jjP12ihipStream_tbEUlT_E_NS1_11comp_targetILNS1_3genE10ELNS1_11target_archE1201ELNS1_3gpuE5ELNS1_3repE0EEENS1_52radix_sort_onesweep_histogram_config_static_selectorELNS0_4arch9wavefront6targetE1EEEvSC_,comdat
.Lfunc_end1078:
	.size	_ZN7rocprim17ROCPRIM_400000_NS6detail17trampoline_kernelINS0_14default_configENS1_35radix_sort_onesweep_config_selectorIxNS0_10empty_typeEEEZNS1_34radix_sort_onesweep_global_offsetsIS3_Lb0EPxPS5_mNS0_19identity_decomposerEEE10hipError_tT1_T2_PT3_SE_jT4_jjP12ihipStream_tbEUlT_E_NS1_11comp_targetILNS1_3genE10ELNS1_11target_archE1201ELNS1_3gpuE5ELNS1_3repE0EEENS1_52radix_sort_onesweep_histogram_config_static_selectorELNS0_4arch9wavefront6targetE1EEEvSC_, .Lfunc_end1078-_ZN7rocprim17ROCPRIM_400000_NS6detail17trampoline_kernelINS0_14default_configENS1_35radix_sort_onesweep_config_selectorIxNS0_10empty_typeEEEZNS1_34radix_sort_onesweep_global_offsetsIS3_Lb0EPxPS5_mNS0_19identity_decomposerEEE10hipError_tT1_T2_PT3_SE_jT4_jjP12ihipStream_tbEUlT_E_NS1_11comp_targetILNS1_3genE10ELNS1_11target_archE1201ELNS1_3gpuE5ELNS1_3repE0EEENS1_52radix_sort_onesweep_histogram_config_static_selectorELNS0_4arch9wavefront6targetE1EEEvSC_
                                        ; -- End function
	.section	.AMDGPU.csdata,"",@progbits
; Kernel info:
; codeLenInByte = 0
; NumSgprs: 4
; NumVgprs: 0
; NumAgprs: 0
; TotalNumVgprs: 0
; ScratchSize: 0
; MemoryBound: 0
; FloatMode: 240
; IeeeMode: 1
; LDSByteSize: 0 bytes/workgroup (compile time only)
; SGPRBlocks: 0
; VGPRBlocks: 0
; NumSGPRsForWavesPerEU: 4
; NumVGPRsForWavesPerEU: 1
; AccumOffset: 4
; Occupancy: 8
; WaveLimiterHint : 0
; COMPUTE_PGM_RSRC2:SCRATCH_EN: 0
; COMPUTE_PGM_RSRC2:USER_SGPR: 6
; COMPUTE_PGM_RSRC2:TRAP_HANDLER: 0
; COMPUTE_PGM_RSRC2:TGID_X_EN: 1
; COMPUTE_PGM_RSRC2:TGID_Y_EN: 0
; COMPUTE_PGM_RSRC2:TGID_Z_EN: 0
; COMPUTE_PGM_RSRC2:TIDIG_COMP_CNT: 0
; COMPUTE_PGM_RSRC3_GFX90A:ACCUM_OFFSET: 0
; COMPUTE_PGM_RSRC3_GFX90A:TG_SPLIT: 0
	.section	.text._ZN7rocprim17ROCPRIM_400000_NS6detail17trampoline_kernelINS0_14default_configENS1_35radix_sort_onesweep_config_selectorIxNS0_10empty_typeEEEZNS1_34radix_sort_onesweep_global_offsetsIS3_Lb0EPxPS5_mNS0_19identity_decomposerEEE10hipError_tT1_T2_PT3_SE_jT4_jjP12ihipStream_tbEUlT_E_NS1_11comp_targetILNS1_3genE9ELNS1_11target_archE1100ELNS1_3gpuE3ELNS1_3repE0EEENS1_52radix_sort_onesweep_histogram_config_static_selectorELNS0_4arch9wavefront6targetE1EEEvSC_,"axG",@progbits,_ZN7rocprim17ROCPRIM_400000_NS6detail17trampoline_kernelINS0_14default_configENS1_35radix_sort_onesweep_config_selectorIxNS0_10empty_typeEEEZNS1_34radix_sort_onesweep_global_offsetsIS3_Lb0EPxPS5_mNS0_19identity_decomposerEEE10hipError_tT1_T2_PT3_SE_jT4_jjP12ihipStream_tbEUlT_E_NS1_11comp_targetILNS1_3genE9ELNS1_11target_archE1100ELNS1_3gpuE3ELNS1_3repE0EEENS1_52radix_sort_onesweep_histogram_config_static_selectorELNS0_4arch9wavefront6targetE1EEEvSC_,comdat
	.protected	_ZN7rocprim17ROCPRIM_400000_NS6detail17trampoline_kernelINS0_14default_configENS1_35radix_sort_onesweep_config_selectorIxNS0_10empty_typeEEEZNS1_34radix_sort_onesweep_global_offsetsIS3_Lb0EPxPS5_mNS0_19identity_decomposerEEE10hipError_tT1_T2_PT3_SE_jT4_jjP12ihipStream_tbEUlT_E_NS1_11comp_targetILNS1_3genE9ELNS1_11target_archE1100ELNS1_3gpuE3ELNS1_3repE0EEENS1_52radix_sort_onesweep_histogram_config_static_selectorELNS0_4arch9wavefront6targetE1EEEvSC_ ; -- Begin function _ZN7rocprim17ROCPRIM_400000_NS6detail17trampoline_kernelINS0_14default_configENS1_35radix_sort_onesweep_config_selectorIxNS0_10empty_typeEEEZNS1_34radix_sort_onesweep_global_offsetsIS3_Lb0EPxPS5_mNS0_19identity_decomposerEEE10hipError_tT1_T2_PT3_SE_jT4_jjP12ihipStream_tbEUlT_E_NS1_11comp_targetILNS1_3genE9ELNS1_11target_archE1100ELNS1_3gpuE3ELNS1_3repE0EEENS1_52radix_sort_onesweep_histogram_config_static_selectorELNS0_4arch9wavefront6targetE1EEEvSC_
	.globl	_ZN7rocprim17ROCPRIM_400000_NS6detail17trampoline_kernelINS0_14default_configENS1_35radix_sort_onesweep_config_selectorIxNS0_10empty_typeEEEZNS1_34radix_sort_onesweep_global_offsetsIS3_Lb0EPxPS5_mNS0_19identity_decomposerEEE10hipError_tT1_T2_PT3_SE_jT4_jjP12ihipStream_tbEUlT_E_NS1_11comp_targetILNS1_3genE9ELNS1_11target_archE1100ELNS1_3gpuE3ELNS1_3repE0EEENS1_52radix_sort_onesweep_histogram_config_static_selectorELNS0_4arch9wavefront6targetE1EEEvSC_
	.p2align	8
	.type	_ZN7rocprim17ROCPRIM_400000_NS6detail17trampoline_kernelINS0_14default_configENS1_35radix_sort_onesweep_config_selectorIxNS0_10empty_typeEEEZNS1_34radix_sort_onesweep_global_offsetsIS3_Lb0EPxPS5_mNS0_19identity_decomposerEEE10hipError_tT1_T2_PT3_SE_jT4_jjP12ihipStream_tbEUlT_E_NS1_11comp_targetILNS1_3genE9ELNS1_11target_archE1100ELNS1_3gpuE3ELNS1_3repE0EEENS1_52radix_sort_onesweep_histogram_config_static_selectorELNS0_4arch9wavefront6targetE1EEEvSC_,@function
_ZN7rocprim17ROCPRIM_400000_NS6detail17trampoline_kernelINS0_14default_configENS1_35radix_sort_onesweep_config_selectorIxNS0_10empty_typeEEEZNS1_34radix_sort_onesweep_global_offsetsIS3_Lb0EPxPS5_mNS0_19identity_decomposerEEE10hipError_tT1_T2_PT3_SE_jT4_jjP12ihipStream_tbEUlT_E_NS1_11comp_targetILNS1_3genE9ELNS1_11target_archE1100ELNS1_3gpuE3ELNS1_3repE0EEENS1_52radix_sort_onesweep_histogram_config_static_selectorELNS0_4arch9wavefront6targetE1EEEvSC_: ; @_ZN7rocprim17ROCPRIM_400000_NS6detail17trampoline_kernelINS0_14default_configENS1_35radix_sort_onesweep_config_selectorIxNS0_10empty_typeEEEZNS1_34radix_sort_onesweep_global_offsetsIS3_Lb0EPxPS5_mNS0_19identity_decomposerEEE10hipError_tT1_T2_PT3_SE_jT4_jjP12ihipStream_tbEUlT_E_NS1_11comp_targetILNS1_3genE9ELNS1_11target_archE1100ELNS1_3gpuE3ELNS1_3repE0EEENS1_52radix_sort_onesweep_histogram_config_static_selectorELNS0_4arch9wavefront6targetE1EEEvSC_
; %bb.0:
	.section	.rodata,"a",@progbits
	.p2align	6, 0x0
	.amdhsa_kernel _ZN7rocprim17ROCPRIM_400000_NS6detail17trampoline_kernelINS0_14default_configENS1_35radix_sort_onesweep_config_selectorIxNS0_10empty_typeEEEZNS1_34radix_sort_onesweep_global_offsetsIS3_Lb0EPxPS5_mNS0_19identity_decomposerEEE10hipError_tT1_T2_PT3_SE_jT4_jjP12ihipStream_tbEUlT_E_NS1_11comp_targetILNS1_3genE9ELNS1_11target_archE1100ELNS1_3gpuE3ELNS1_3repE0EEENS1_52radix_sort_onesweep_histogram_config_static_selectorELNS0_4arch9wavefront6targetE1EEEvSC_
		.amdhsa_group_segment_fixed_size 0
		.amdhsa_private_segment_fixed_size 0
		.amdhsa_kernarg_size 48
		.amdhsa_user_sgpr_count 6
		.amdhsa_user_sgpr_private_segment_buffer 1
		.amdhsa_user_sgpr_dispatch_ptr 0
		.amdhsa_user_sgpr_queue_ptr 0
		.amdhsa_user_sgpr_kernarg_segment_ptr 1
		.amdhsa_user_sgpr_dispatch_id 0
		.amdhsa_user_sgpr_flat_scratch_init 0
		.amdhsa_user_sgpr_kernarg_preload_length 0
		.amdhsa_user_sgpr_kernarg_preload_offset 0
		.amdhsa_user_sgpr_private_segment_size 0
		.amdhsa_uses_dynamic_stack 0
		.amdhsa_system_sgpr_private_segment_wavefront_offset 0
		.amdhsa_system_sgpr_workgroup_id_x 1
		.amdhsa_system_sgpr_workgroup_id_y 0
		.amdhsa_system_sgpr_workgroup_id_z 0
		.amdhsa_system_sgpr_workgroup_info 0
		.amdhsa_system_vgpr_workitem_id 0
		.amdhsa_next_free_vgpr 1
		.amdhsa_next_free_sgpr 0
		.amdhsa_accum_offset 4
		.amdhsa_reserve_vcc 0
		.amdhsa_reserve_flat_scratch 0
		.amdhsa_float_round_mode_32 0
		.amdhsa_float_round_mode_16_64 0
		.amdhsa_float_denorm_mode_32 3
		.amdhsa_float_denorm_mode_16_64 3
		.amdhsa_dx10_clamp 1
		.amdhsa_ieee_mode 1
		.amdhsa_fp16_overflow 0
		.amdhsa_tg_split 0
		.amdhsa_exception_fp_ieee_invalid_op 0
		.amdhsa_exception_fp_denorm_src 0
		.amdhsa_exception_fp_ieee_div_zero 0
		.amdhsa_exception_fp_ieee_overflow 0
		.amdhsa_exception_fp_ieee_underflow 0
		.amdhsa_exception_fp_ieee_inexact 0
		.amdhsa_exception_int_div_zero 0
	.end_amdhsa_kernel
	.section	.text._ZN7rocprim17ROCPRIM_400000_NS6detail17trampoline_kernelINS0_14default_configENS1_35radix_sort_onesweep_config_selectorIxNS0_10empty_typeEEEZNS1_34radix_sort_onesweep_global_offsetsIS3_Lb0EPxPS5_mNS0_19identity_decomposerEEE10hipError_tT1_T2_PT3_SE_jT4_jjP12ihipStream_tbEUlT_E_NS1_11comp_targetILNS1_3genE9ELNS1_11target_archE1100ELNS1_3gpuE3ELNS1_3repE0EEENS1_52radix_sort_onesweep_histogram_config_static_selectorELNS0_4arch9wavefront6targetE1EEEvSC_,"axG",@progbits,_ZN7rocprim17ROCPRIM_400000_NS6detail17trampoline_kernelINS0_14default_configENS1_35radix_sort_onesweep_config_selectorIxNS0_10empty_typeEEEZNS1_34radix_sort_onesweep_global_offsetsIS3_Lb0EPxPS5_mNS0_19identity_decomposerEEE10hipError_tT1_T2_PT3_SE_jT4_jjP12ihipStream_tbEUlT_E_NS1_11comp_targetILNS1_3genE9ELNS1_11target_archE1100ELNS1_3gpuE3ELNS1_3repE0EEENS1_52radix_sort_onesweep_histogram_config_static_selectorELNS0_4arch9wavefront6targetE1EEEvSC_,comdat
.Lfunc_end1079:
	.size	_ZN7rocprim17ROCPRIM_400000_NS6detail17trampoline_kernelINS0_14default_configENS1_35radix_sort_onesweep_config_selectorIxNS0_10empty_typeEEEZNS1_34radix_sort_onesweep_global_offsetsIS3_Lb0EPxPS5_mNS0_19identity_decomposerEEE10hipError_tT1_T2_PT3_SE_jT4_jjP12ihipStream_tbEUlT_E_NS1_11comp_targetILNS1_3genE9ELNS1_11target_archE1100ELNS1_3gpuE3ELNS1_3repE0EEENS1_52radix_sort_onesweep_histogram_config_static_selectorELNS0_4arch9wavefront6targetE1EEEvSC_, .Lfunc_end1079-_ZN7rocprim17ROCPRIM_400000_NS6detail17trampoline_kernelINS0_14default_configENS1_35radix_sort_onesweep_config_selectorIxNS0_10empty_typeEEEZNS1_34radix_sort_onesweep_global_offsetsIS3_Lb0EPxPS5_mNS0_19identity_decomposerEEE10hipError_tT1_T2_PT3_SE_jT4_jjP12ihipStream_tbEUlT_E_NS1_11comp_targetILNS1_3genE9ELNS1_11target_archE1100ELNS1_3gpuE3ELNS1_3repE0EEENS1_52radix_sort_onesweep_histogram_config_static_selectorELNS0_4arch9wavefront6targetE1EEEvSC_
                                        ; -- End function
	.section	.AMDGPU.csdata,"",@progbits
; Kernel info:
; codeLenInByte = 0
; NumSgprs: 4
; NumVgprs: 0
; NumAgprs: 0
; TotalNumVgprs: 0
; ScratchSize: 0
; MemoryBound: 0
; FloatMode: 240
; IeeeMode: 1
; LDSByteSize: 0 bytes/workgroup (compile time only)
; SGPRBlocks: 0
; VGPRBlocks: 0
; NumSGPRsForWavesPerEU: 4
; NumVGPRsForWavesPerEU: 1
; AccumOffset: 4
; Occupancy: 8
; WaveLimiterHint : 0
; COMPUTE_PGM_RSRC2:SCRATCH_EN: 0
; COMPUTE_PGM_RSRC2:USER_SGPR: 6
; COMPUTE_PGM_RSRC2:TRAP_HANDLER: 0
; COMPUTE_PGM_RSRC2:TGID_X_EN: 1
; COMPUTE_PGM_RSRC2:TGID_Y_EN: 0
; COMPUTE_PGM_RSRC2:TGID_Z_EN: 0
; COMPUTE_PGM_RSRC2:TIDIG_COMP_CNT: 0
; COMPUTE_PGM_RSRC3_GFX90A:ACCUM_OFFSET: 0
; COMPUTE_PGM_RSRC3_GFX90A:TG_SPLIT: 0
	.section	.text._ZN7rocprim17ROCPRIM_400000_NS6detail17trampoline_kernelINS0_14default_configENS1_35radix_sort_onesweep_config_selectorIxNS0_10empty_typeEEEZNS1_34radix_sort_onesweep_global_offsetsIS3_Lb0EPxPS5_mNS0_19identity_decomposerEEE10hipError_tT1_T2_PT3_SE_jT4_jjP12ihipStream_tbEUlT_E_NS1_11comp_targetILNS1_3genE8ELNS1_11target_archE1030ELNS1_3gpuE2ELNS1_3repE0EEENS1_52radix_sort_onesweep_histogram_config_static_selectorELNS0_4arch9wavefront6targetE1EEEvSC_,"axG",@progbits,_ZN7rocprim17ROCPRIM_400000_NS6detail17trampoline_kernelINS0_14default_configENS1_35radix_sort_onesweep_config_selectorIxNS0_10empty_typeEEEZNS1_34radix_sort_onesweep_global_offsetsIS3_Lb0EPxPS5_mNS0_19identity_decomposerEEE10hipError_tT1_T2_PT3_SE_jT4_jjP12ihipStream_tbEUlT_E_NS1_11comp_targetILNS1_3genE8ELNS1_11target_archE1030ELNS1_3gpuE2ELNS1_3repE0EEENS1_52radix_sort_onesweep_histogram_config_static_selectorELNS0_4arch9wavefront6targetE1EEEvSC_,comdat
	.protected	_ZN7rocprim17ROCPRIM_400000_NS6detail17trampoline_kernelINS0_14default_configENS1_35radix_sort_onesweep_config_selectorIxNS0_10empty_typeEEEZNS1_34radix_sort_onesweep_global_offsetsIS3_Lb0EPxPS5_mNS0_19identity_decomposerEEE10hipError_tT1_T2_PT3_SE_jT4_jjP12ihipStream_tbEUlT_E_NS1_11comp_targetILNS1_3genE8ELNS1_11target_archE1030ELNS1_3gpuE2ELNS1_3repE0EEENS1_52radix_sort_onesweep_histogram_config_static_selectorELNS0_4arch9wavefront6targetE1EEEvSC_ ; -- Begin function _ZN7rocprim17ROCPRIM_400000_NS6detail17trampoline_kernelINS0_14default_configENS1_35radix_sort_onesweep_config_selectorIxNS0_10empty_typeEEEZNS1_34radix_sort_onesweep_global_offsetsIS3_Lb0EPxPS5_mNS0_19identity_decomposerEEE10hipError_tT1_T2_PT3_SE_jT4_jjP12ihipStream_tbEUlT_E_NS1_11comp_targetILNS1_3genE8ELNS1_11target_archE1030ELNS1_3gpuE2ELNS1_3repE0EEENS1_52radix_sort_onesweep_histogram_config_static_selectorELNS0_4arch9wavefront6targetE1EEEvSC_
	.globl	_ZN7rocprim17ROCPRIM_400000_NS6detail17trampoline_kernelINS0_14default_configENS1_35radix_sort_onesweep_config_selectorIxNS0_10empty_typeEEEZNS1_34radix_sort_onesweep_global_offsetsIS3_Lb0EPxPS5_mNS0_19identity_decomposerEEE10hipError_tT1_T2_PT3_SE_jT4_jjP12ihipStream_tbEUlT_E_NS1_11comp_targetILNS1_3genE8ELNS1_11target_archE1030ELNS1_3gpuE2ELNS1_3repE0EEENS1_52radix_sort_onesweep_histogram_config_static_selectorELNS0_4arch9wavefront6targetE1EEEvSC_
	.p2align	8
	.type	_ZN7rocprim17ROCPRIM_400000_NS6detail17trampoline_kernelINS0_14default_configENS1_35radix_sort_onesweep_config_selectorIxNS0_10empty_typeEEEZNS1_34radix_sort_onesweep_global_offsetsIS3_Lb0EPxPS5_mNS0_19identity_decomposerEEE10hipError_tT1_T2_PT3_SE_jT4_jjP12ihipStream_tbEUlT_E_NS1_11comp_targetILNS1_3genE8ELNS1_11target_archE1030ELNS1_3gpuE2ELNS1_3repE0EEENS1_52radix_sort_onesweep_histogram_config_static_selectorELNS0_4arch9wavefront6targetE1EEEvSC_,@function
_ZN7rocprim17ROCPRIM_400000_NS6detail17trampoline_kernelINS0_14default_configENS1_35radix_sort_onesweep_config_selectorIxNS0_10empty_typeEEEZNS1_34radix_sort_onesweep_global_offsetsIS3_Lb0EPxPS5_mNS0_19identity_decomposerEEE10hipError_tT1_T2_PT3_SE_jT4_jjP12ihipStream_tbEUlT_E_NS1_11comp_targetILNS1_3genE8ELNS1_11target_archE1030ELNS1_3gpuE2ELNS1_3repE0EEENS1_52radix_sort_onesweep_histogram_config_static_selectorELNS0_4arch9wavefront6targetE1EEEvSC_: ; @_ZN7rocprim17ROCPRIM_400000_NS6detail17trampoline_kernelINS0_14default_configENS1_35radix_sort_onesweep_config_selectorIxNS0_10empty_typeEEEZNS1_34radix_sort_onesweep_global_offsetsIS3_Lb0EPxPS5_mNS0_19identity_decomposerEEE10hipError_tT1_T2_PT3_SE_jT4_jjP12ihipStream_tbEUlT_E_NS1_11comp_targetILNS1_3genE8ELNS1_11target_archE1030ELNS1_3gpuE2ELNS1_3repE0EEENS1_52radix_sort_onesweep_histogram_config_static_selectorELNS0_4arch9wavefront6targetE1EEEvSC_
; %bb.0:
	.section	.rodata,"a",@progbits
	.p2align	6, 0x0
	.amdhsa_kernel _ZN7rocprim17ROCPRIM_400000_NS6detail17trampoline_kernelINS0_14default_configENS1_35radix_sort_onesweep_config_selectorIxNS0_10empty_typeEEEZNS1_34radix_sort_onesweep_global_offsetsIS3_Lb0EPxPS5_mNS0_19identity_decomposerEEE10hipError_tT1_T2_PT3_SE_jT4_jjP12ihipStream_tbEUlT_E_NS1_11comp_targetILNS1_3genE8ELNS1_11target_archE1030ELNS1_3gpuE2ELNS1_3repE0EEENS1_52radix_sort_onesweep_histogram_config_static_selectorELNS0_4arch9wavefront6targetE1EEEvSC_
		.amdhsa_group_segment_fixed_size 0
		.amdhsa_private_segment_fixed_size 0
		.amdhsa_kernarg_size 48
		.amdhsa_user_sgpr_count 6
		.amdhsa_user_sgpr_private_segment_buffer 1
		.amdhsa_user_sgpr_dispatch_ptr 0
		.amdhsa_user_sgpr_queue_ptr 0
		.amdhsa_user_sgpr_kernarg_segment_ptr 1
		.amdhsa_user_sgpr_dispatch_id 0
		.amdhsa_user_sgpr_flat_scratch_init 0
		.amdhsa_user_sgpr_kernarg_preload_length 0
		.amdhsa_user_sgpr_kernarg_preload_offset 0
		.amdhsa_user_sgpr_private_segment_size 0
		.amdhsa_uses_dynamic_stack 0
		.amdhsa_system_sgpr_private_segment_wavefront_offset 0
		.amdhsa_system_sgpr_workgroup_id_x 1
		.amdhsa_system_sgpr_workgroup_id_y 0
		.amdhsa_system_sgpr_workgroup_id_z 0
		.amdhsa_system_sgpr_workgroup_info 0
		.amdhsa_system_vgpr_workitem_id 0
		.amdhsa_next_free_vgpr 1
		.amdhsa_next_free_sgpr 0
		.amdhsa_accum_offset 4
		.amdhsa_reserve_vcc 0
		.amdhsa_reserve_flat_scratch 0
		.amdhsa_float_round_mode_32 0
		.amdhsa_float_round_mode_16_64 0
		.amdhsa_float_denorm_mode_32 3
		.amdhsa_float_denorm_mode_16_64 3
		.amdhsa_dx10_clamp 1
		.amdhsa_ieee_mode 1
		.amdhsa_fp16_overflow 0
		.amdhsa_tg_split 0
		.amdhsa_exception_fp_ieee_invalid_op 0
		.amdhsa_exception_fp_denorm_src 0
		.amdhsa_exception_fp_ieee_div_zero 0
		.amdhsa_exception_fp_ieee_overflow 0
		.amdhsa_exception_fp_ieee_underflow 0
		.amdhsa_exception_fp_ieee_inexact 0
		.amdhsa_exception_int_div_zero 0
	.end_amdhsa_kernel
	.section	.text._ZN7rocprim17ROCPRIM_400000_NS6detail17trampoline_kernelINS0_14default_configENS1_35radix_sort_onesweep_config_selectorIxNS0_10empty_typeEEEZNS1_34radix_sort_onesweep_global_offsetsIS3_Lb0EPxPS5_mNS0_19identity_decomposerEEE10hipError_tT1_T2_PT3_SE_jT4_jjP12ihipStream_tbEUlT_E_NS1_11comp_targetILNS1_3genE8ELNS1_11target_archE1030ELNS1_3gpuE2ELNS1_3repE0EEENS1_52radix_sort_onesweep_histogram_config_static_selectorELNS0_4arch9wavefront6targetE1EEEvSC_,"axG",@progbits,_ZN7rocprim17ROCPRIM_400000_NS6detail17trampoline_kernelINS0_14default_configENS1_35radix_sort_onesweep_config_selectorIxNS0_10empty_typeEEEZNS1_34radix_sort_onesweep_global_offsetsIS3_Lb0EPxPS5_mNS0_19identity_decomposerEEE10hipError_tT1_T2_PT3_SE_jT4_jjP12ihipStream_tbEUlT_E_NS1_11comp_targetILNS1_3genE8ELNS1_11target_archE1030ELNS1_3gpuE2ELNS1_3repE0EEENS1_52radix_sort_onesweep_histogram_config_static_selectorELNS0_4arch9wavefront6targetE1EEEvSC_,comdat
.Lfunc_end1080:
	.size	_ZN7rocprim17ROCPRIM_400000_NS6detail17trampoline_kernelINS0_14default_configENS1_35radix_sort_onesweep_config_selectorIxNS0_10empty_typeEEEZNS1_34radix_sort_onesweep_global_offsetsIS3_Lb0EPxPS5_mNS0_19identity_decomposerEEE10hipError_tT1_T2_PT3_SE_jT4_jjP12ihipStream_tbEUlT_E_NS1_11comp_targetILNS1_3genE8ELNS1_11target_archE1030ELNS1_3gpuE2ELNS1_3repE0EEENS1_52radix_sort_onesweep_histogram_config_static_selectorELNS0_4arch9wavefront6targetE1EEEvSC_, .Lfunc_end1080-_ZN7rocprim17ROCPRIM_400000_NS6detail17trampoline_kernelINS0_14default_configENS1_35radix_sort_onesweep_config_selectorIxNS0_10empty_typeEEEZNS1_34radix_sort_onesweep_global_offsetsIS3_Lb0EPxPS5_mNS0_19identity_decomposerEEE10hipError_tT1_T2_PT3_SE_jT4_jjP12ihipStream_tbEUlT_E_NS1_11comp_targetILNS1_3genE8ELNS1_11target_archE1030ELNS1_3gpuE2ELNS1_3repE0EEENS1_52radix_sort_onesweep_histogram_config_static_selectorELNS0_4arch9wavefront6targetE1EEEvSC_
                                        ; -- End function
	.section	.AMDGPU.csdata,"",@progbits
; Kernel info:
; codeLenInByte = 0
; NumSgprs: 4
; NumVgprs: 0
; NumAgprs: 0
; TotalNumVgprs: 0
; ScratchSize: 0
; MemoryBound: 0
; FloatMode: 240
; IeeeMode: 1
; LDSByteSize: 0 bytes/workgroup (compile time only)
; SGPRBlocks: 0
; VGPRBlocks: 0
; NumSGPRsForWavesPerEU: 4
; NumVGPRsForWavesPerEU: 1
; AccumOffset: 4
; Occupancy: 8
; WaveLimiterHint : 0
; COMPUTE_PGM_RSRC2:SCRATCH_EN: 0
; COMPUTE_PGM_RSRC2:USER_SGPR: 6
; COMPUTE_PGM_RSRC2:TRAP_HANDLER: 0
; COMPUTE_PGM_RSRC2:TGID_X_EN: 1
; COMPUTE_PGM_RSRC2:TGID_Y_EN: 0
; COMPUTE_PGM_RSRC2:TGID_Z_EN: 0
; COMPUTE_PGM_RSRC2:TIDIG_COMP_CNT: 0
; COMPUTE_PGM_RSRC3_GFX90A:ACCUM_OFFSET: 0
; COMPUTE_PGM_RSRC3_GFX90A:TG_SPLIT: 0
	.section	.text._ZN7rocprim17ROCPRIM_400000_NS6detail17trampoline_kernelINS0_14default_configENS1_35radix_sort_onesweep_config_selectorIxNS0_10empty_typeEEEZNS1_34radix_sort_onesweep_global_offsetsIS3_Lb0EPxPS5_mNS0_19identity_decomposerEEE10hipError_tT1_T2_PT3_SE_jT4_jjP12ihipStream_tbEUlT_E0_NS1_11comp_targetILNS1_3genE0ELNS1_11target_archE4294967295ELNS1_3gpuE0ELNS1_3repE0EEENS1_52radix_sort_onesweep_histogram_config_static_selectorELNS0_4arch9wavefront6targetE1EEEvSC_,"axG",@progbits,_ZN7rocprim17ROCPRIM_400000_NS6detail17trampoline_kernelINS0_14default_configENS1_35radix_sort_onesweep_config_selectorIxNS0_10empty_typeEEEZNS1_34radix_sort_onesweep_global_offsetsIS3_Lb0EPxPS5_mNS0_19identity_decomposerEEE10hipError_tT1_T2_PT3_SE_jT4_jjP12ihipStream_tbEUlT_E0_NS1_11comp_targetILNS1_3genE0ELNS1_11target_archE4294967295ELNS1_3gpuE0ELNS1_3repE0EEENS1_52radix_sort_onesweep_histogram_config_static_selectorELNS0_4arch9wavefront6targetE1EEEvSC_,comdat
	.protected	_ZN7rocprim17ROCPRIM_400000_NS6detail17trampoline_kernelINS0_14default_configENS1_35radix_sort_onesweep_config_selectorIxNS0_10empty_typeEEEZNS1_34radix_sort_onesweep_global_offsetsIS3_Lb0EPxPS5_mNS0_19identity_decomposerEEE10hipError_tT1_T2_PT3_SE_jT4_jjP12ihipStream_tbEUlT_E0_NS1_11comp_targetILNS1_3genE0ELNS1_11target_archE4294967295ELNS1_3gpuE0ELNS1_3repE0EEENS1_52radix_sort_onesweep_histogram_config_static_selectorELNS0_4arch9wavefront6targetE1EEEvSC_ ; -- Begin function _ZN7rocprim17ROCPRIM_400000_NS6detail17trampoline_kernelINS0_14default_configENS1_35radix_sort_onesweep_config_selectorIxNS0_10empty_typeEEEZNS1_34radix_sort_onesweep_global_offsetsIS3_Lb0EPxPS5_mNS0_19identity_decomposerEEE10hipError_tT1_T2_PT3_SE_jT4_jjP12ihipStream_tbEUlT_E0_NS1_11comp_targetILNS1_3genE0ELNS1_11target_archE4294967295ELNS1_3gpuE0ELNS1_3repE0EEENS1_52radix_sort_onesweep_histogram_config_static_selectorELNS0_4arch9wavefront6targetE1EEEvSC_
	.globl	_ZN7rocprim17ROCPRIM_400000_NS6detail17trampoline_kernelINS0_14default_configENS1_35radix_sort_onesweep_config_selectorIxNS0_10empty_typeEEEZNS1_34radix_sort_onesweep_global_offsetsIS3_Lb0EPxPS5_mNS0_19identity_decomposerEEE10hipError_tT1_T2_PT3_SE_jT4_jjP12ihipStream_tbEUlT_E0_NS1_11comp_targetILNS1_3genE0ELNS1_11target_archE4294967295ELNS1_3gpuE0ELNS1_3repE0EEENS1_52radix_sort_onesweep_histogram_config_static_selectorELNS0_4arch9wavefront6targetE1EEEvSC_
	.p2align	8
	.type	_ZN7rocprim17ROCPRIM_400000_NS6detail17trampoline_kernelINS0_14default_configENS1_35radix_sort_onesweep_config_selectorIxNS0_10empty_typeEEEZNS1_34radix_sort_onesweep_global_offsetsIS3_Lb0EPxPS5_mNS0_19identity_decomposerEEE10hipError_tT1_T2_PT3_SE_jT4_jjP12ihipStream_tbEUlT_E0_NS1_11comp_targetILNS1_3genE0ELNS1_11target_archE4294967295ELNS1_3gpuE0ELNS1_3repE0EEENS1_52radix_sort_onesweep_histogram_config_static_selectorELNS0_4arch9wavefront6targetE1EEEvSC_,@function
_ZN7rocprim17ROCPRIM_400000_NS6detail17trampoline_kernelINS0_14default_configENS1_35radix_sort_onesweep_config_selectorIxNS0_10empty_typeEEEZNS1_34radix_sort_onesweep_global_offsetsIS3_Lb0EPxPS5_mNS0_19identity_decomposerEEE10hipError_tT1_T2_PT3_SE_jT4_jjP12ihipStream_tbEUlT_E0_NS1_11comp_targetILNS1_3genE0ELNS1_11target_archE4294967295ELNS1_3gpuE0ELNS1_3repE0EEENS1_52radix_sort_onesweep_histogram_config_static_selectorELNS0_4arch9wavefront6targetE1EEEvSC_: ; @_ZN7rocprim17ROCPRIM_400000_NS6detail17trampoline_kernelINS0_14default_configENS1_35radix_sort_onesweep_config_selectorIxNS0_10empty_typeEEEZNS1_34radix_sort_onesweep_global_offsetsIS3_Lb0EPxPS5_mNS0_19identity_decomposerEEE10hipError_tT1_T2_PT3_SE_jT4_jjP12ihipStream_tbEUlT_E0_NS1_11comp_targetILNS1_3genE0ELNS1_11target_archE4294967295ELNS1_3gpuE0ELNS1_3repE0EEENS1_52radix_sort_onesweep_histogram_config_static_selectorELNS0_4arch9wavefront6targetE1EEEvSC_
; %bb.0:
	.section	.rodata,"a",@progbits
	.p2align	6, 0x0
	.amdhsa_kernel _ZN7rocprim17ROCPRIM_400000_NS6detail17trampoline_kernelINS0_14default_configENS1_35radix_sort_onesweep_config_selectorIxNS0_10empty_typeEEEZNS1_34radix_sort_onesweep_global_offsetsIS3_Lb0EPxPS5_mNS0_19identity_decomposerEEE10hipError_tT1_T2_PT3_SE_jT4_jjP12ihipStream_tbEUlT_E0_NS1_11comp_targetILNS1_3genE0ELNS1_11target_archE4294967295ELNS1_3gpuE0ELNS1_3repE0EEENS1_52radix_sort_onesweep_histogram_config_static_selectorELNS0_4arch9wavefront6targetE1EEEvSC_
		.amdhsa_group_segment_fixed_size 0
		.amdhsa_private_segment_fixed_size 0
		.amdhsa_kernarg_size 8
		.amdhsa_user_sgpr_count 6
		.amdhsa_user_sgpr_private_segment_buffer 1
		.amdhsa_user_sgpr_dispatch_ptr 0
		.amdhsa_user_sgpr_queue_ptr 0
		.amdhsa_user_sgpr_kernarg_segment_ptr 1
		.amdhsa_user_sgpr_dispatch_id 0
		.amdhsa_user_sgpr_flat_scratch_init 0
		.amdhsa_user_sgpr_kernarg_preload_length 0
		.amdhsa_user_sgpr_kernarg_preload_offset 0
		.amdhsa_user_sgpr_private_segment_size 0
		.amdhsa_uses_dynamic_stack 0
		.amdhsa_system_sgpr_private_segment_wavefront_offset 0
		.amdhsa_system_sgpr_workgroup_id_x 1
		.amdhsa_system_sgpr_workgroup_id_y 0
		.amdhsa_system_sgpr_workgroup_id_z 0
		.amdhsa_system_sgpr_workgroup_info 0
		.amdhsa_system_vgpr_workitem_id 0
		.amdhsa_next_free_vgpr 1
		.amdhsa_next_free_sgpr 0
		.amdhsa_accum_offset 4
		.amdhsa_reserve_vcc 0
		.amdhsa_reserve_flat_scratch 0
		.amdhsa_float_round_mode_32 0
		.amdhsa_float_round_mode_16_64 0
		.amdhsa_float_denorm_mode_32 3
		.amdhsa_float_denorm_mode_16_64 3
		.amdhsa_dx10_clamp 1
		.amdhsa_ieee_mode 1
		.amdhsa_fp16_overflow 0
		.amdhsa_tg_split 0
		.amdhsa_exception_fp_ieee_invalid_op 0
		.amdhsa_exception_fp_denorm_src 0
		.amdhsa_exception_fp_ieee_div_zero 0
		.amdhsa_exception_fp_ieee_overflow 0
		.amdhsa_exception_fp_ieee_underflow 0
		.amdhsa_exception_fp_ieee_inexact 0
		.amdhsa_exception_int_div_zero 0
	.end_amdhsa_kernel
	.section	.text._ZN7rocprim17ROCPRIM_400000_NS6detail17trampoline_kernelINS0_14default_configENS1_35radix_sort_onesweep_config_selectorIxNS0_10empty_typeEEEZNS1_34radix_sort_onesweep_global_offsetsIS3_Lb0EPxPS5_mNS0_19identity_decomposerEEE10hipError_tT1_T2_PT3_SE_jT4_jjP12ihipStream_tbEUlT_E0_NS1_11comp_targetILNS1_3genE0ELNS1_11target_archE4294967295ELNS1_3gpuE0ELNS1_3repE0EEENS1_52radix_sort_onesweep_histogram_config_static_selectorELNS0_4arch9wavefront6targetE1EEEvSC_,"axG",@progbits,_ZN7rocprim17ROCPRIM_400000_NS6detail17trampoline_kernelINS0_14default_configENS1_35radix_sort_onesweep_config_selectorIxNS0_10empty_typeEEEZNS1_34radix_sort_onesweep_global_offsetsIS3_Lb0EPxPS5_mNS0_19identity_decomposerEEE10hipError_tT1_T2_PT3_SE_jT4_jjP12ihipStream_tbEUlT_E0_NS1_11comp_targetILNS1_3genE0ELNS1_11target_archE4294967295ELNS1_3gpuE0ELNS1_3repE0EEENS1_52radix_sort_onesweep_histogram_config_static_selectorELNS0_4arch9wavefront6targetE1EEEvSC_,comdat
.Lfunc_end1081:
	.size	_ZN7rocprim17ROCPRIM_400000_NS6detail17trampoline_kernelINS0_14default_configENS1_35radix_sort_onesweep_config_selectorIxNS0_10empty_typeEEEZNS1_34radix_sort_onesweep_global_offsetsIS3_Lb0EPxPS5_mNS0_19identity_decomposerEEE10hipError_tT1_T2_PT3_SE_jT4_jjP12ihipStream_tbEUlT_E0_NS1_11comp_targetILNS1_3genE0ELNS1_11target_archE4294967295ELNS1_3gpuE0ELNS1_3repE0EEENS1_52radix_sort_onesweep_histogram_config_static_selectorELNS0_4arch9wavefront6targetE1EEEvSC_, .Lfunc_end1081-_ZN7rocprim17ROCPRIM_400000_NS6detail17trampoline_kernelINS0_14default_configENS1_35radix_sort_onesweep_config_selectorIxNS0_10empty_typeEEEZNS1_34radix_sort_onesweep_global_offsetsIS3_Lb0EPxPS5_mNS0_19identity_decomposerEEE10hipError_tT1_T2_PT3_SE_jT4_jjP12ihipStream_tbEUlT_E0_NS1_11comp_targetILNS1_3genE0ELNS1_11target_archE4294967295ELNS1_3gpuE0ELNS1_3repE0EEENS1_52radix_sort_onesweep_histogram_config_static_selectorELNS0_4arch9wavefront6targetE1EEEvSC_
                                        ; -- End function
	.section	.AMDGPU.csdata,"",@progbits
; Kernel info:
; codeLenInByte = 0
; NumSgprs: 4
; NumVgprs: 0
; NumAgprs: 0
; TotalNumVgprs: 0
; ScratchSize: 0
; MemoryBound: 0
; FloatMode: 240
; IeeeMode: 1
; LDSByteSize: 0 bytes/workgroup (compile time only)
; SGPRBlocks: 0
; VGPRBlocks: 0
; NumSGPRsForWavesPerEU: 4
; NumVGPRsForWavesPerEU: 1
; AccumOffset: 4
; Occupancy: 8
; WaveLimiterHint : 0
; COMPUTE_PGM_RSRC2:SCRATCH_EN: 0
; COMPUTE_PGM_RSRC2:USER_SGPR: 6
; COMPUTE_PGM_RSRC2:TRAP_HANDLER: 0
; COMPUTE_PGM_RSRC2:TGID_X_EN: 1
; COMPUTE_PGM_RSRC2:TGID_Y_EN: 0
; COMPUTE_PGM_RSRC2:TGID_Z_EN: 0
; COMPUTE_PGM_RSRC2:TIDIG_COMP_CNT: 0
; COMPUTE_PGM_RSRC3_GFX90A:ACCUM_OFFSET: 0
; COMPUTE_PGM_RSRC3_GFX90A:TG_SPLIT: 0
	.section	.text._ZN7rocprim17ROCPRIM_400000_NS6detail17trampoline_kernelINS0_14default_configENS1_35radix_sort_onesweep_config_selectorIxNS0_10empty_typeEEEZNS1_34radix_sort_onesweep_global_offsetsIS3_Lb0EPxPS5_mNS0_19identity_decomposerEEE10hipError_tT1_T2_PT3_SE_jT4_jjP12ihipStream_tbEUlT_E0_NS1_11comp_targetILNS1_3genE6ELNS1_11target_archE950ELNS1_3gpuE13ELNS1_3repE0EEENS1_52radix_sort_onesweep_histogram_config_static_selectorELNS0_4arch9wavefront6targetE1EEEvSC_,"axG",@progbits,_ZN7rocprim17ROCPRIM_400000_NS6detail17trampoline_kernelINS0_14default_configENS1_35radix_sort_onesweep_config_selectorIxNS0_10empty_typeEEEZNS1_34radix_sort_onesweep_global_offsetsIS3_Lb0EPxPS5_mNS0_19identity_decomposerEEE10hipError_tT1_T2_PT3_SE_jT4_jjP12ihipStream_tbEUlT_E0_NS1_11comp_targetILNS1_3genE6ELNS1_11target_archE950ELNS1_3gpuE13ELNS1_3repE0EEENS1_52radix_sort_onesweep_histogram_config_static_selectorELNS0_4arch9wavefront6targetE1EEEvSC_,comdat
	.protected	_ZN7rocprim17ROCPRIM_400000_NS6detail17trampoline_kernelINS0_14default_configENS1_35radix_sort_onesweep_config_selectorIxNS0_10empty_typeEEEZNS1_34radix_sort_onesweep_global_offsetsIS3_Lb0EPxPS5_mNS0_19identity_decomposerEEE10hipError_tT1_T2_PT3_SE_jT4_jjP12ihipStream_tbEUlT_E0_NS1_11comp_targetILNS1_3genE6ELNS1_11target_archE950ELNS1_3gpuE13ELNS1_3repE0EEENS1_52radix_sort_onesweep_histogram_config_static_selectorELNS0_4arch9wavefront6targetE1EEEvSC_ ; -- Begin function _ZN7rocprim17ROCPRIM_400000_NS6detail17trampoline_kernelINS0_14default_configENS1_35radix_sort_onesweep_config_selectorIxNS0_10empty_typeEEEZNS1_34radix_sort_onesweep_global_offsetsIS3_Lb0EPxPS5_mNS0_19identity_decomposerEEE10hipError_tT1_T2_PT3_SE_jT4_jjP12ihipStream_tbEUlT_E0_NS1_11comp_targetILNS1_3genE6ELNS1_11target_archE950ELNS1_3gpuE13ELNS1_3repE0EEENS1_52radix_sort_onesweep_histogram_config_static_selectorELNS0_4arch9wavefront6targetE1EEEvSC_
	.globl	_ZN7rocprim17ROCPRIM_400000_NS6detail17trampoline_kernelINS0_14default_configENS1_35radix_sort_onesweep_config_selectorIxNS0_10empty_typeEEEZNS1_34radix_sort_onesweep_global_offsetsIS3_Lb0EPxPS5_mNS0_19identity_decomposerEEE10hipError_tT1_T2_PT3_SE_jT4_jjP12ihipStream_tbEUlT_E0_NS1_11comp_targetILNS1_3genE6ELNS1_11target_archE950ELNS1_3gpuE13ELNS1_3repE0EEENS1_52radix_sort_onesweep_histogram_config_static_selectorELNS0_4arch9wavefront6targetE1EEEvSC_
	.p2align	8
	.type	_ZN7rocprim17ROCPRIM_400000_NS6detail17trampoline_kernelINS0_14default_configENS1_35radix_sort_onesweep_config_selectorIxNS0_10empty_typeEEEZNS1_34radix_sort_onesweep_global_offsetsIS3_Lb0EPxPS5_mNS0_19identity_decomposerEEE10hipError_tT1_T2_PT3_SE_jT4_jjP12ihipStream_tbEUlT_E0_NS1_11comp_targetILNS1_3genE6ELNS1_11target_archE950ELNS1_3gpuE13ELNS1_3repE0EEENS1_52radix_sort_onesweep_histogram_config_static_selectorELNS0_4arch9wavefront6targetE1EEEvSC_,@function
_ZN7rocprim17ROCPRIM_400000_NS6detail17trampoline_kernelINS0_14default_configENS1_35radix_sort_onesweep_config_selectorIxNS0_10empty_typeEEEZNS1_34radix_sort_onesweep_global_offsetsIS3_Lb0EPxPS5_mNS0_19identity_decomposerEEE10hipError_tT1_T2_PT3_SE_jT4_jjP12ihipStream_tbEUlT_E0_NS1_11comp_targetILNS1_3genE6ELNS1_11target_archE950ELNS1_3gpuE13ELNS1_3repE0EEENS1_52radix_sort_onesweep_histogram_config_static_selectorELNS0_4arch9wavefront6targetE1EEEvSC_: ; @_ZN7rocprim17ROCPRIM_400000_NS6detail17trampoline_kernelINS0_14default_configENS1_35radix_sort_onesweep_config_selectorIxNS0_10empty_typeEEEZNS1_34radix_sort_onesweep_global_offsetsIS3_Lb0EPxPS5_mNS0_19identity_decomposerEEE10hipError_tT1_T2_PT3_SE_jT4_jjP12ihipStream_tbEUlT_E0_NS1_11comp_targetILNS1_3genE6ELNS1_11target_archE950ELNS1_3gpuE13ELNS1_3repE0EEENS1_52radix_sort_onesweep_histogram_config_static_selectorELNS0_4arch9wavefront6targetE1EEEvSC_
; %bb.0:
	.section	.rodata,"a",@progbits
	.p2align	6, 0x0
	.amdhsa_kernel _ZN7rocprim17ROCPRIM_400000_NS6detail17trampoline_kernelINS0_14default_configENS1_35radix_sort_onesweep_config_selectorIxNS0_10empty_typeEEEZNS1_34radix_sort_onesweep_global_offsetsIS3_Lb0EPxPS5_mNS0_19identity_decomposerEEE10hipError_tT1_T2_PT3_SE_jT4_jjP12ihipStream_tbEUlT_E0_NS1_11comp_targetILNS1_3genE6ELNS1_11target_archE950ELNS1_3gpuE13ELNS1_3repE0EEENS1_52radix_sort_onesweep_histogram_config_static_selectorELNS0_4arch9wavefront6targetE1EEEvSC_
		.amdhsa_group_segment_fixed_size 0
		.amdhsa_private_segment_fixed_size 0
		.amdhsa_kernarg_size 8
		.amdhsa_user_sgpr_count 6
		.amdhsa_user_sgpr_private_segment_buffer 1
		.amdhsa_user_sgpr_dispatch_ptr 0
		.amdhsa_user_sgpr_queue_ptr 0
		.amdhsa_user_sgpr_kernarg_segment_ptr 1
		.amdhsa_user_sgpr_dispatch_id 0
		.amdhsa_user_sgpr_flat_scratch_init 0
		.amdhsa_user_sgpr_kernarg_preload_length 0
		.amdhsa_user_sgpr_kernarg_preload_offset 0
		.amdhsa_user_sgpr_private_segment_size 0
		.amdhsa_uses_dynamic_stack 0
		.amdhsa_system_sgpr_private_segment_wavefront_offset 0
		.amdhsa_system_sgpr_workgroup_id_x 1
		.amdhsa_system_sgpr_workgroup_id_y 0
		.amdhsa_system_sgpr_workgroup_id_z 0
		.amdhsa_system_sgpr_workgroup_info 0
		.amdhsa_system_vgpr_workitem_id 0
		.amdhsa_next_free_vgpr 1
		.amdhsa_next_free_sgpr 0
		.amdhsa_accum_offset 4
		.amdhsa_reserve_vcc 0
		.amdhsa_reserve_flat_scratch 0
		.amdhsa_float_round_mode_32 0
		.amdhsa_float_round_mode_16_64 0
		.amdhsa_float_denorm_mode_32 3
		.amdhsa_float_denorm_mode_16_64 3
		.amdhsa_dx10_clamp 1
		.amdhsa_ieee_mode 1
		.amdhsa_fp16_overflow 0
		.amdhsa_tg_split 0
		.amdhsa_exception_fp_ieee_invalid_op 0
		.amdhsa_exception_fp_denorm_src 0
		.amdhsa_exception_fp_ieee_div_zero 0
		.amdhsa_exception_fp_ieee_overflow 0
		.amdhsa_exception_fp_ieee_underflow 0
		.amdhsa_exception_fp_ieee_inexact 0
		.amdhsa_exception_int_div_zero 0
	.end_amdhsa_kernel
	.section	.text._ZN7rocprim17ROCPRIM_400000_NS6detail17trampoline_kernelINS0_14default_configENS1_35radix_sort_onesweep_config_selectorIxNS0_10empty_typeEEEZNS1_34radix_sort_onesweep_global_offsetsIS3_Lb0EPxPS5_mNS0_19identity_decomposerEEE10hipError_tT1_T2_PT3_SE_jT4_jjP12ihipStream_tbEUlT_E0_NS1_11comp_targetILNS1_3genE6ELNS1_11target_archE950ELNS1_3gpuE13ELNS1_3repE0EEENS1_52radix_sort_onesweep_histogram_config_static_selectorELNS0_4arch9wavefront6targetE1EEEvSC_,"axG",@progbits,_ZN7rocprim17ROCPRIM_400000_NS6detail17trampoline_kernelINS0_14default_configENS1_35radix_sort_onesweep_config_selectorIxNS0_10empty_typeEEEZNS1_34radix_sort_onesweep_global_offsetsIS3_Lb0EPxPS5_mNS0_19identity_decomposerEEE10hipError_tT1_T2_PT3_SE_jT4_jjP12ihipStream_tbEUlT_E0_NS1_11comp_targetILNS1_3genE6ELNS1_11target_archE950ELNS1_3gpuE13ELNS1_3repE0EEENS1_52radix_sort_onesweep_histogram_config_static_selectorELNS0_4arch9wavefront6targetE1EEEvSC_,comdat
.Lfunc_end1082:
	.size	_ZN7rocprim17ROCPRIM_400000_NS6detail17trampoline_kernelINS0_14default_configENS1_35radix_sort_onesweep_config_selectorIxNS0_10empty_typeEEEZNS1_34radix_sort_onesweep_global_offsetsIS3_Lb0EPxPS5_mNS0_19identity_decomposerEEE10hipError_tT1_T2_PT3_SE_jT4_jjP12ihipStream_tbEUlT_E0_NS1_11comp_targetILNS1_3genE6ELNS1_11target_archE950ELNS1_3gpuE13ELNS1_3repE0EEENS1_52radix_sort_onesweep_histogram_config_static_selectorELNS0_4arch9wavefront6targetE1EEEvSC_, .Lfunc_end1082-_ZN7rocprim17ROCPRIM_400000_NS6detail17trampoline_kernelINS0_14default_configENS1_35radix_sort_onesweep_config_selectorIxNS0_10empty_typeEEEZNS1_34radix_sort_onesweep_global_offsetsIS3_Lb0EPxPS5_mNS0_19identity_decomposerEEE10hipError_tT1_T2_PT3_SE_jT4_jjP12ihipStream_tbEUlT_E0_NS1_11comp_targetILNS1_3genE6ELNS1_11target_archE950ELNS1_3gpuE13ELNS1_3repE0EEENS1_52radix_sort_onesweep_histogram_config_static_selectorELNS0_4arch9wavefront6targetE1EEEvSC_
                                        ; -- End function
	.section	.AMDGPU.csdata,"",@progbits
; Kernel info:
; codeLenInByte = 0
; NumSgprs: 4
; NumVgprs: 0
; NumAgprs: 0
; TotalNumVgprs: 0
; ScratchSize: 0
; MemoryBound: 0
; FloatMode: 240
; IeeeMode: 1
; LDSByteSize: 0 bytes/workgroup (compile time only)
; SGPRBlocks: 0
; VGPRBlocks: 0
; NumSGPRsForWavesPerEU: 4
; NumVGPRsForWavesPerEU: 1
; AccumOffset: 4
; Occupancy: 8
; WaveLimiterHint : 0
; COMPUTE_PGM_RSRC2:SCRATCH_EN: 0
; COMPUTE_PGM_RSRC2:USER_SGPR: 6
; COMPUTE_PGM_RSRC2:TRAP_HANDLER: 0
; COMPUTE_PGM_RSRC2:TGID_X_EN: 1
; COMPUTE_PGM_RSRC2:TGID_Y_EN: 0
; COMPUTE_PGM_RSRC2:TGID_Z_EN: 0
; COMPUTE_PGM_RSRC2:TIDIG_COMP_CNT: 0
; COMPUTE_PGM_RSRC3_GFX90A:ACCUM_OFFSET: 0
; COMPUTE_PGM_RSRC3_GFX90A:TG_SPLIT: 0
	.section	.text._ZN7rocprim17ROCPRIM_400000_NS6detail17trampoline_kernelINS0_14default_configENS1_35radix_sort_onesweep_config_selectorIxNS0_10empty_typeEEEZNS1_34radix_sort_onesweep_global_offsetsIS3_Lb0EPxPS5_mNS0_19identity_decomposerEEE10hipError_tT1_T2_PT3_SE_jT4_jjP12ihipStream_tbEUlT_E0_NS1_11comp_targetILNS1_3genE5ELNS1_11target_archE942ELNS1_3gpuE9ELNS1_3repE0EEENS1_52radix_sort_onesweep_histogram_config_static_selectorELNS0_4arch9wavefront6targetE1EEEvSC_,"axG",@progbits,_ZN7rocprim17ROCPRIM_400000_NS6detail17trampoline_kernelINS0_14default_configENS1_35radix_sort_onesweep_config_selectorIxNS0_10empty_typeEEEZNS1_34radix_sort_onesweep_global_offsetsIS3_Lb0EPxPS5_mNS0_19identity_decomposerEEE10hipError_tT1_T2_PT3_SE_jT4_jjP12ihipStream_tbEUlT_E0_NS1_11comp_targetILNS1_3genE5ELNS1_11target_archE942ELNS1_3gpuE9ELNS1_3repE0EEENS1_52radix_sort_onesweep_histogram_config_static_selectorELNS0_4arch9wavefront6targetE1EEEvSC_,comdat
	.protected	_ZN7rocprim17ROCPRIM_400000_NS6detail17trampoline_kernelINS0_14default_configENS1_35radix_sort_onesweep_config_selectorIxNS0_10empty_typeEEEZNS1_34radix_sort_onesweep_global_offsetsIS3_Lb0EPxPS5_mNS0_19identity_decomposerEEE10hipError_tT1_T2_PT3_SE_jT4_jjP12ihipStream_tbEUlT_E0_NS1_11comp_targetILNS1_3genE5ELNS1_11target_archE942ELNS1_3gpuE9ELNS1_3repE0EEENS1_52radix_sort_onesweep_histogram_config_static_selectorELNS0_4arch9wavefront6targetE1EEEvSC_ ; -- Begin function _ZN7rocprim17ROCPRIM_400000_NS6detail17trampoline_kernelINS0_14default_configENS1_35radix_sort_onesweep_config_selectorIxNS0_10empty_typeEEEZNS1_34radix_sort_onesweep_global_offsetsIS3_Lb0EPxPS5_mNS0_19identity_decomposerEEE10hipError_tT1_T2_PT3_SE_jT4_jjP12ihipStream_tbEUlT_E0_NS1_11comp_targetILNS1_3genE5ELNS1_11target_archE942ELNS1_3gpuE9ELNS1_3repE0EEENS1_52radix_sort_onesweep_histogram_config_static_selectorELNS0_4arch9wavefront6targetE1EEEvSC_
	.globl	_ZN7rocprim17ROCPRIM_400000_NS6detail17trampoline_kernelINS0_14default_configENS1_35radix_sort_onesweep_config_selectorIxNS0_10empty_typeEEEZNS1_34radix_sort_onesweep_global_offsetsIS3_Lb0EPxPS5_mNS0_19identity_decomposerEEE10hipError_tT1_T2_PT3_SE_jT4_jjP12ihipStream_tbEUlT_E0_NS1_11comp_targetILNS1_3genE5ELNS1_11target_archE942ELNS1_3gpuE9ELNS1_3repE0EEENS1_52radix_sort_onesweep_histogram_config_static_selectorELNS0_4arch9wavefront6targetE1EEEvSC_
	.p2align	8
	.type	_ZN7rocprim17ROCPRIM_400000_NS6detail17trampoline_kernelINS0_14default_configENS1_35radix_sort_onesweep_config_selectorIxNS0_10empty_typeEEEZNS1_34radix_sort_onesweep_global_offsetsIS3_Lb0EPxPS5_mNS0_19identity_decomposerEEE10hipError_tT1_T2_PT3_SE_jT4_jjP12ihipStream_tbEUlT_E0_NS1_11comp_targetILNS1_3genE5ELNS1_11target_archE942ELNS1_3gpuE9ELNS1_3repE0EEENS1_52radix_sort_onesweep_histogram_config_static_selectorELNS0_4arch9wavefront6targetE1EEEvSC_,@function
_ZN7rocprim17ROCPRIM_400000_NS6detail17trampoline_kernelINS0_14default_configENS1_35radix_sort_onesweep_config_selectorIxNS0_10empty_typeEEEZNS1_34radix_sort_onesweep_global_offsetsIS3_Lb0EPxPS5_mNS0_19identity_decomposerEEE10hipError_tT1_T2_PT3_SE_jT4_jjP12ihipStream_tbEUlT_E0_NS1_11comp_targetILNS1_3genE5ELNS1_11target_archE942ELNS1_3gpuE9ELNS1_3repE0EEENS1_52radix_sort_onesweep_histogram_config_static_selectorELNS0_4arch9wavefront6targetE1EEEvSC_: ; @_ZN7rocprim17ROCPRIM_400000_NS6detail17trampoline_kernelINS0_14default_configENS1_35radix_sort_onesweep_config_selectorIxNS0_10empty_typeEEEZNS1_34radix_sort_onesweep_global_offsetsIS3_Lb0EPxPS5_mNS0_19identity_decomposerEEE10hipError_tT1_T2_PT3_SE_jT4_jjP12ihipStream_tbEUlT_E0_NS1_11comp_targetILNS1_3genE5ELNS1_11target_archE942ELNS1_3gpuE9ELNS1_3repE0EEENS1_52radix_sort_onesweep_histogram_config_static_selectorELNS0_4arch9wavefront6targetE1EEEvSC_
; %bb.0:
	.section	.rodata,"a",@progbits
	.p2align	6, 0x0
	.amdhsa_kernel _ZN7rocprim17ROCPRIM_400000_NS6detail17trampoline_kernelINS0_14default_configENS1_35radix_sort_onesweep_config_selectorIxNS0_10empty_typeEEEZNS1_34radix_sort_onesweep_global_offsetsIS3_Lb0EPxPS5_mNS0_19identity_decomposerEEE10hipError_tT1_T2_PT3_SE_jT4_jjP12ihipStream_tbEUlT_E0_NS1_11comp_targetILNS1_3genE5ELNS1_11target_archE942ELNS1_3gpuE9ELNS1_3repE0EEENS1_52radix_sort_onesweep_histogram_config_static_selectorELNS0_4arch9wavefront6targetE1EEEvSC_
		.amdhsa_group_segment_fixed_size 0
		.amdhsa_private_segment_fixed_size 0
		.amdhsa_kernarg_size 8
		.amdhsa_user_sgpr_count 6
		.amdhsa_user_sgpr_private_segment_buffer 1
		.amdhsa_user_sgpr_dispatch_ptr 0
		.amdhsa_user_sgpr_queue_ptr 0
		.amdhsa_user_sgpr_kernarg_segment_ptr 1
		.amdhsa_user_sgpr_dispatch_id 0
		.amdhsa_user_sgpr_flat_scratch_init 0
		.amdhsa_user_sgpr_kernarg_preload_length 0
		.amdhsa_user_sgpr_kernarg_preload_offset 0
		.amdhsa_user_sgpr_private_segment_size 0
		.amdhsa_uses_dynamic_stack 0
		.amdhsa_system_sgpr_private_segment_wavefront_offset 0
		.amdhsa_system_sgpr_workgroup_id_x 1
		.amdhsa_system_sgpr_workgroup_id_y 0
		.amdhsa_system_sgpr_workgroup_id_z 0
		.amdhsa_system_sgpr_workgroup_info 0
		.amdhsa_system_vgpr_workitem_id 0
		.amdhsa_next_free_vgpr 1
		.amdhsa_next_free_sgpr 0
		.amdhsa_accum_offset 4
		.amdhsa_reserve_vcc 0
		.amdhsa_reserve_flat_scratch 0
		.amdhsa_float_round_mode_32 0
		.amdhsa_float_round_mode_16_64 0
		.amdhsa_float_denorm_mode_32 3
		.amdhsa_float_denorm_mode_16_64 3
		.amdhsa_dx10_clamp 1
		.amdhsa_ieee_mode 1
		.amdhsa_fp16_overflow 0
		.amdhsa_tg_split 0
		.amdhsa_exception_fp_ieee_invalid_op 0
		.amdhsa_exception_fp_denorm_src 0
		.amdhsa_exception_fp_ieee_div_zero 0
		.amdhsa_exception_fp_ieee_overflow 0
		.amdhsa_exception_fp_ieee_underflow 0
		.amdhsa_exception_fp_ieee_inexact 0
		.amdhsa_exception_int_div_zero 0
	.end_amdhsa_kernel
	.section	.text._ZN7rocprim17ROCPRIM_400000_NS6detail17trampoline_kernelINS0_14default_configENS1_35radix_sort_onesweep_config_selectorIxNS0_10empty_typeEEEZNS1_34radix_sort_onesweep_global_offsetsIS3_Lb0EPxPS5_mNS0_19identity_decomposerEEE10hipError_tT1_T2_PT3_SE_jT4_jjP12ihipStream_tbEUlT_E0_NS1_11comp_targetILNS1_3genE5ELNS1_11target_archE942ELNS1_3gpuE9ELNS1_3repE0EEENS1_52radix_sort_onesweep_histogram_config_static_selectorELNS0_4arch9wavefront6targetE1EEEvSC_,"axG",@progbits,_ZN7rocprim17ROCPRIM_400000_NS6detail17trampoline_kernelINS0_14default_configENS1_35radix_sort_onesweep_config_selectorIxNS0_10empty_typeEEEZNS1_34radix_sort_onesweep_global_offsetsIS3_Lb0EPxPS5_mNS0_19identity_decomposerEEE10hipError_tT1_T2_PT3_SE_jT4_jjP12ihipStream_tbEUlT_E0_NS1_11comp_targetILNS1_3genE5ELNS1_11target_archE942ELNS1_3gpuE9ELNS1_3repE0EEENS1_52radix_sort_onesweep_histogram_config_static_selectorELNS0_4arch9wavefront6targetE1EEEvSC_,comdat
.Lfunc_end1083:
	.size	_ZN7rocprim17ROCPRIM_400000_NS6detail17trampoline_kernelINS0_14default_configENS1_35radix_sort_onesweep_config_selectorIxNS0_10empty_typeEEEZNS1_34radix_sort_onesweep_global_offsetsIS3_Lb0EPxPS5_mNS0_19identity_decomposerEEE10hipError_tT1_T2_PT3_SE_jT4_jjP12ihipStream_tbEUlT_E0_NS1_11comp_targetILNS1_3genE5ELNS1_11target_archE942ELNS1_3gpuE9ELNS1_3repE0EEENS1_52radix_sort_onesweep_histogram_config_static_selectorELNS0_4arch9wavefront6targetE1EEEvSC_, .Lfunc_end1083-_ZN7rocprim17ROCPRIM_400000_NS6detail17trampoline_kernelINS0_14default_configENS1_35radix_sort_onesweep_config_selectorIxNS0_10empty_typeEEEZNS1_34radix_sort_onesweep_global_offsetsIS3_Lb0EPxPS5_mNS0_19identity_decomposerEEE10hipError_tT1_T2_PT3_SE_jT4_jjP12ihipStream_tbEUlT_E0_NS1_11comp_targetILNS1_3genE5ELNS1_11target_archE942ELNS1_3gpuE9ELNS1_3repE0EEENS1_52radix_sort_onesweep_histogram_config_static_selectorELNS0_4arch9wavefront6targetE1EEEvSC_
                                        ; -- End function
	.section	.AMDGPU.csdata,"",@progbits
; Kernel info:
; codeLenInByte = 0
; NumSgprs: 4
; NumVgprs: 0
; NumAgprs: 0
; TotalNumVgprs: 0
; ScratchSize: 0
; MemoryBound: 0
; FloatMode: 240
; IeeeMode: 1
; LDSByteSize: 0 bytes/workgroup (compile time only)
; SGPRBlocks: 0
; VGPRBlocks: 0
; NumSGPRsForWavesPerEU: 4
; NumVGPRsForWavesPerEU: 1
; AccumOffset: 4
; Occupancy: 8
; WaveLimiterHint : 0
; COMPUTE_PGM_RSRC2:SCRATCH_EN: 0
; COMPUTE_PGM_RSRC2:USER_SGPR: 6
; COMPUTE_PGM_RSRC2:TRAP_HANDLER: 0
; COMPUTE_PGM_RSRC2:TGID_X_EN: 1
; COMPUTE_PGM_RSRC2:TGID_Y_EN: 0
; COMPUTE_PGM_RSRC2:TGID_Z_EN: 0
; COMPUTE_PGM_RSRC2:TIDIG_COMP_CNT: 0
; COMPUTE_PGM_RSRC3_GFX90A:ACCUM_OFFSET: 0
; COMPUTE_PGM_RSRC3_GFX90A:TG_SPLIT: 0
	.section	.text._ZN7rocprim17ROCPRIM_400000_NS6detail17trampoline_kernelINS0_14default_configENS1_35radix_sort_onesweep_config_selectorIxNS0_10empty_typeEEEZNS1_34radix_sort_onesweep_global_offsetsIS3_Lb0EPxPS5_mNS0_19identity_decomposerEEE10hipError_tT1_T2_PT3_SE_jT4_jjP12ihipStream_tbEUlT_E0_NS1_11comp_targetILNS1_3genE2ELNS1_11target_archE906ELNS1_3gpuE6ELNS1_3repE0EEENS1_52radix_sort_onesweep_histogram_config_static_selectorELNS0_4arch9wavefront6targetE1EEEvSC_,"axG",@progbits,_ZN7rocprim17ROCPRIM_400000_NS6detail17trampoline_kernelINS0_14default_configENS1_35radix_sort_onesweep_config_selectorIxNS0_10empty_typeEEEZNS1_34radix_sort_onesweep_global_offsetsIS3_Lb0EPxPS5_mNS0_19identity_decomposerEEE10hipError_tT1_T2_PT3_SE_jT4_jjP12ihipStream_tbEUlT_E0_NS1_11comp_targetILNS1_3genE2ELNS1_11target_archE906ELNS1_3gpuE6ELNS1_3repE0EEENS1_52radix_sort_onesweep_histogram_config_static_selectorELNS0_4arch9wavefront6targetE1EEEvSC_,comdat
	.protected	_ZN7rocprim17ROCPRIM_400000_NS6detail17trampoline_kernelINS0_14default_configENS1_35radix_sort_onesweep_config_selectorIxNS0_10empty_typeEEEZNS1_34radix_sort_onesweep_global_offsetsIS3_Lb0EPxPS5_mNS0_19identity_decomposerEEE10hipError_tT1_T2_PT3_SE_jT4_jjP12ihipStream_tbEUlT_E0_NS1_11comp_targetILNS1_3genE2ELNS1_11target_archE906ELNS1_3gpuE6ELNS1_3repE0EEENS1_52radix_sort_onesweep_histogram_config_static_selectorELNS0_4arch9wavefront6targetE1EEEvSC_ ; -- Begin function _ZN7rocprim17ROCPRIM_400000_NS6detail17trampoline_kernelINS0_14default_configENS1_35radix_sort_onesweep_config_selectorIxNS0_10empty_typeEEEZNS1_34radix_sort_onesweep_global_offsetsIS3_Lb0EPxPS5_mNS0_19identity_decomposerEEE10hipError_tT1_T2_PT3_SE_jT4_jjP12ihipStream_tbEUlT_E0_NS1_11comp_targetILNS1_3genE2ELNS1_11target_archE906ELNS1_3gpuE6ELNS1_3repE0EEENS1_52radix_sort_onesweep_histogram_config_static_selectorELNS0_4arch9wavefront6targetE1EEEvSC_
	.globl	_ZN7rocprim17ROCPRIM_400000_NS6detail17trampoline_kernelINS0_14default_configENS1_35radix_sort_onesweep_config_selectorIxNS0_10empty_typeEEEZNS1_34radix_sort_onesweep_global_offsetsIS3_Lb0EPxPS5_mNS0_19identity_decomposerEEE10hipError_tT1_T2_PT3_SE_jT4_jjP12ihipStream_tbEUlT_E0_NS1_11comp_targetILNS1_3genE2ELNS1_11target_archE906ELNS1_3gpuE6ELNS1_3repE0EEENS1_52radix_sort_onesweep_histogram_config_static_selectorELNS0_4arch9wavefront6targetE1EEEvSC_
	.p2align	8
	.type	_ZN7rocprim17ROCPRIM_400000_NS6detail17trampoline_kernelINS0_14default_configENS1_35radix_sort_onesweep_config_selectorIxNS0_10empty_typeEEEZNS1_34radix_sort_onesweep_global_offsetsIS3_Lb0EPxPS5_mNS0_19identity_decomposerEEE10hipError_tT1_T2_PT3_SE_jT4_jjP12ihipStream_tbEUlT_E0_NS1_11comp_targetILNS1_3genE2ELNS1_11target_archE906ELNS1_3gpuE6ELNS1_3repE0EEENS1_52radix_sort_onesweep_histogram_config_static_selectorELNS0_4arch9wavefront6targetE1EEEvSC_,@function
_ZN7rocprim17ROCPRIM_400000_NS6detail17trampoline_kernelINS0_14default_configENS1_35radix_sort_onesweep_config_selectorIxNS0_10empty_typeEEEZNS1_34radix_sort_onesweep_global_offsetsIS3_Lb0EPxPS5_mNS0_19identity_decomposerEEE10hipError_tT1_T2_PT3_SE_jT4_jjP12ihipStream_tbEUlT_E0_NS1_11comp_targetILNS1_3genE2ELNS1_11target_archE906ELNS1_3gpuE6ELNS1_3repE0EEENS1_52radix_sort_onesweep_histogram_config_static_selectorELNS0_4arch9wavefront6targetE1EEEvSC_: ; @_ZN7rocprim17ROCPRIM_400000_NS6detail17trampoline_kernelINS0_14default_configENS1_35radix_sort_onesweep_config_selectorIxNS0_10empty_typeEEEZNS1_34radix_sort_onesweep_global_offsetsIS3_Lb0EPxPS5_mNS0_19identity_decomposerEEE10hipError_tT1_T2_PT3_SE_jT4_jjP12ihipStream_tbEUlT_E0_NS1_11comp_targetILNS1_3genE2ELNS1_11target_archE906ELNS1_3gpuE6ELNS1_3repE0EEENS1_52radix_sort_onesweep_histogram_config_static_selectorELNS0_4arch9wavefront6targetE1EEEvSC_
; %bb.0:
	.section	.rodata,"a",@progbits
	.p2align	6, 0x0
	.amdhsa_kernel _ZN7rocprim17ROCPRIM_400000_NS6detail17trampoline_kernelINS0_14default_configENS1_35radix_sort_onesweep_config_selectorIxNS0_10empty_typeEEEZNS1_34radix_sort_onesweep_global_offsetsIS3_Lb0EPxPS5_mNS0_19identity_decomposerEEE10hipError_tT1_T2_PT3_SE_jT4_jjP12ihipStream_tbEUlT_E0_NS1_11comp_targetILNS1_3genE2ELNS1_11target_archE906ELNS1_3gpuE6ELNS1_3repE0EEENS1_52radix_sort_onesweep_histogram_config_static_selectorELNS0_4arch9wavefront6targetE1EEEvSC_
		.amdhsa_group_segment_fixed_size 0
		.amdhsa_private_segment_fixed_size 0
		.amdhsa_kernarg_size 8
		.amdhsa_user_sgpr_count 6
		.amdhsa_user_sgpr_private_segment_buffer 1
		.amdhsa_user_sgpr_dispatch_ptr 0
		.amdhsa_user_sgpr_queue_ptr 0
		.amdhsa_user_sgpr_kernarg_segment_ptr 1
		.amdhsa_user_sgpr_dispatch_id 0
		.amdhsa_user_sgpr_flat_scratch_init 0
		.amdhsa_user_sgpr_kernarg_preload_length 0
		.amdhsa_user_sgpr_kernarg_preload_offset 0
		.amdhsa_user_sgpr_private_segment_size 0
		.amdhsa_uses_dynamic_stack 0
		.amdhsa_system_sgpr_private_segment_wavefront_offset 0
		.amdhsa_system_sgpr_workgroup_id_x 1
		.amdhsa_system_sgpr_workgroup_id_y 0
		.amdhsa_system_sgpr_workgroup_id_z 0
		.amdhsa_system_sgpr_workgroup_info 0
		.amdhsa_system_vgpr_workitem_id 0
		.amdhsa_next_free_vgpr 1
		.amdhsa_next_free_sgpr 0
		.amdhsa_accum_offset 4
		.amdhsa_reserve_vcc 0
		.amdhsa_reserve_flat_scratch 0
		.amdhsa_float_round_mode_32 0
		.amdhsa_float_round_mode_16_64 0
		.amdhsa_float_denorm_mode_32 3
		.amdhsa_float_denorm_mode_16_64 3
		.amdhsa_dx10_clamp 1
		.amdhsa_ieee_mode 1
		.amdhsa_fp16_overflow 0
		.amdhsa_tg_split 0
		.amdhsa_exception_fp_ieee_invalid_op 0
		.amdhsa_exception_fp_denorm_src 0
		.amdhsa_exception_fp_ieee_div_zero 0
		.amdhsa_exception_fp_ieee_overflow 0
		.amdhsa_exception_fp_ieee_underflow 0
		.amdhsa_exception_fp_ieee_inexact 0
		.amdhsa_exception_int_div_zero 0
	.end_amdhsa_kernel
	.section	.text._ZN7rocprim17ROCPRIM_400000_NS6detail17trampoline_kernelINS0_14default_configENS1_35radix_sort_onesweep_config_selectorIxNS0_10empty_typeEEEZNS1_34radix_sort_onesweep_global_offsetsIS3_Lb0EPxPS5_mNS0_19identity_decomposerEEE10hipError_tT1_T2_PT3_SE_jT4_jjP12ihipStream_tbEUlT_E0_NS1_11comp_targetILNS1_3genE2ELNS1_11target_archE906ELNS1_3gpuE6ELNS1_3repE0EEENS1_52radix_sort_onesweep_histogram_config_static_selectorELNS0_4arch9wavefront6targetE1EEEvSC_,"axG",@progbits,_ZN7rocprim17ROCPRIM_400000_NS6detail17trampoline_kernelINS0_14default_configENS1_35radix_sort_onesweep_config_selectorIxNS0_10empty_typeEEEZNS1_34radix_sort_onesweep_global_offsetsIS3_Lb0EPxPS5_mNS0_19identity_decomposerEEE10hipError_tT1_T2_PT3_SE_jT4_jjP12ihipStream_tbEUlT_E0_NS1_11comp_targetILNS1_3genE2ELNS1_11target_archE906ELNS1_3gpuE6ELNS1_3repE0EEENS1_52radix_sort_onesweep_histogram_config_static_selectorELNS0_4arch9wavefront6targetE1EEEvSC_,comdat
.Lfunc_end1084:
	.size	_ZN7rocprim17ROCPRIM_400000_NS6detail17trampoline_kernelINS0_14default_configENS1_35radix_sort_onesweep_config_selectorIxNS0_10empty_typeEEEZNS1_34radix_sort_onesweep_global_offsetsIS3_Lb0EPxPS5_mNS0_19identity_decomposerEEE10hipError_tT1_T2_PT3_SE_jT4_jjP12ihipStream_tbEUlT_E0_NS1_11comp_targetILNS1_3genE2ELNS1_11target_archE906ELNS1_3gpuE6ELNS1_3repE0EEENS1_52radix_sort_onesweep_histogram_config_static_selectorELNS0_4arch9wavefront6targetE1EEEvSC_, .Lfunc_end1084-_ZN7rocprim17ROCPRIM_400000_NS6detail17trampoline_kernelINS0_14default_configENS1_35radix_sort_onesweep_config_selectorIxNS0_10empty_typeEEEZNS1_34radix_sort_onesweep_global_offsetsIS3_Lb0EPxPS5_mNS0_19identity_decomposerEEE10hipError_tT1_T2_PT3_SE_jT4_jjP12ihipStream_tbEUlT_E0_NS1_11comp_targetILNS1_3genE2ELNS1_11target_archE906ELNS1_3gpuE6ELNS1_3repE0EEENS1_52radix_sort_onesweep_histogram_config_static_selectorELNS0_4arch9wavefront6targetE1EEEvSC_
                                        ; -- End function
	.section	.AMDGPU.csdata,"",@progbits
; Kernel info:
; codeLenInByte = 0
; NumSgprs: 4
; NumVgprs: 0
; NumAgprs: 0
; TotalNumVgprs: 0
; ScratchSize: 0
; MemoryBound: 0
; FloatMode: 240
; IeeeMode: 1
; LDSByteSize: 0 bytes/workgroup (compile time only)
; SGPRBlocks: 0
; VGPRBlocks: 0
; NumSGPRsForWavesPerEU: 4
; NumVGPRsForWavesPerEU: 1
; AccumOffset: 4
; Occupancy: 8
; WaveLimiterHint : 0
; COMPUTE_PGM_RSRC2:SCRATCH_EN: 0
; COMPUTE_PGM_RSRC2:USER_SGPR: 6
; COMPUTE_PGM_RSRC2:TRAP_HANDLER: 0
; COMPUTE_PGM_RSRC2:TGID_X_EN: 1
; COMPUTE_PGM_RSRC2:TGID_Y_EN: 0
; COMPUTE_PGM_RSRC2:TGID_Z_EN: 0
; COMPUTE_PGM_RSRC2:TIDIG_COMP_CNT: 0
; COMPUTE_PGM_RSRC3_GFX90A:ACCUM_OFFSET: 0
; COMPUTE_PGM_RSRC3_GFX90A:TG_SPLIT: 0
	.section	.text._ZN7rocprim17ROCPRIM_400000_NS6detail17trampoline_kernelINS0_14default_configENS1_35radix_sort_onesweep_config_selectorIxNS0_10empty_typeEEEZNS1_34radix_sort_onesweep_global_offsetsIS3_Lb0EPxPS5_mNS0_19identity_decomposerEEE10hipError_tT1_T2_PT3_SE_jT4_jjP12ihipStream_tbEUlT_E0_NS1_11comp_targetILNS1_3genE4ELNS1_11target_archE910ELNS1_3gpuE8ELNS1_3repE0EEENS1_52radix_sort_onesweep_histogram_config_static_selectorELNS0_4arch9wavefront6targetE1EEEvSC_,"axG",@progbits,_ZN7rocprim17ROCPRIM_400000_NS6detail17trampoline_kernelINS0_14default_configENS1_35radix_sort_onesweep_config_selectorIxNS0_10empty_typeEEEZNS1_34radix_sort_onesweep_global_offsetsIS3_Lb0EPxPS5_mNS0_19identity_decomposerEEE10hipError_tT1_T2_PT3_SE_jT4_jjP12ihipStream_tbEUlT_E0_NS1_11comp_targetILNS1_3genE4ELNS1_11target_archE910ELNS1_3gpuE8ELNS1_3repE0EEENS1_52radix_sort_onesweep_histogram_config_static_selectorELNS0_4arch9wavefront6targetE1EEEvSC_,comdat
	.protected	_ZN7rocprim17ROCPRIM_400000_NS6detail17trampoline_kernelINS0_14default_configENS1_35radix_sort_onesweep_config_selectorIxNS0_10empty_typeEEEZNS1_34radix_sort_onesweep_global_offsetsIS3_Lb0EPxPS5_mNS0_19identity_decomposerEEE10hipError_tT1_T2_PT3_SE_jT4_jjP12ihipStream_tbEUlT_E0_NS1_11comp_targetILNS1_3genE4ELNS1_11target_archE910ELNS1_3gpuE8ELNS1_3repE0EEENS1_52radix_sort_onesweep_histogram_config_static_selectorELNS0_4arch9wavefront6targetE1EEEvSC_ ; -- Begin function _ZN7rocprim17ROCPRIM_400000_NS6detail17trampoline_kernelINS0_14default_configENS1_35radix_sort_onesweep_config_selectorIxNS0_10empty_typeEEEZNS1_34radix_sort_onesweep_global_offsetsIS3_Lb0EPxPS5_mNS0_19identity_decomposerEEE10hipError_tT1_T2_PT3_SE_jT4_jjP12ihipStream_tbEUlT_E0_NS1_11comp_targetILNS1_3genE4ELNS1_11target_archE910ELNS1_3gpuE8ELNS1_3repE0EEENS1_52radix_sort_onesweep_histogram_config_static_selectorELNS0_4arch9wavefront6targetE1EEEvSC_
	.globl	_ZN7rocprim17ROCPRIM_400000_NS6detail17trampoline_kernelINS0_14default_configENS1_35radix_sort_onesweep_config_selectorIxNS0_10empty_typeEEEZNS1_34radix_sort_onesweep_global_offsetsIS3_Lb0EPxPS5_mNS0_19identity_decomposerEEE10hipError_tT1_T2_PT3_SE_jT4_jjP12ihipStream_tbEUlT_E0_NS1_11comp_targetILNS1_3genE4ELNS1_11target_archE910ELNS1_3gpuE8ELNS1_3repE0EEENS1_52radix_sort_onesweep_histogram_config_static_selectorELNS0_4arch9wavefront6targetE1EEEvSC_
	.p2align	8
	.type	_ZN7rocprim17ROCPRIM_400000_NS6detail17trampoline_kernelINS0_14default_configENS1_35radix_sort_onesweep_config_selectorIxNS0_10empty_typeEEEZNS1_34radix_sort_onesweep_global_offsetsIS3_Lb0EPxPS5_mNS0_19identity_decomposerEEE10hipError_tT1_T2_PT3_SE_jT4_jjP12ihipStream_tbEUlT_E0_NS1_11comp_targetILNS1_3genE4ELNS1_11target_archE910ELNS1_3gpuE8ELNS1_3repE0EEENS1_52radix_sort_onesweep_histogram_config_static_selectorELNS0_4arch9wavefront6targetE1EEEvSC_,@function
_ZN7rocprim17ROCPRIM_400000_NS6detail17trampoline_kernelINS0_14default_configENS1_35radix_sort_onesweep_config_selectorIxNS0_10empty_typeEEEZNS1_34radix_sort_onesweep_global_offsetsIS3_Lb0EPxPS5_mNS0_19identity_decomposerEEE10hipError_tT1_T2_PT3_SE_jT4_jjP12ihipStream_tbEUlT_E0_NS1_11comp_targetILNS1_3genE4ELNS1_11target_archE910ELNS1_3gpuE8ELNS1_3repE0EEENS1_52radix_sort_onesweep_histogram_config_static_selectorELNS0_4arch9wavefront6targetE1EEEvSC_: ; @_ZN7rocprim17ROCPRIM_400000_NS6detail17trampoline_kernelINS0_14default_configENS1_35radix_sort_onesweep_config_selectorIxNS0_10empty_typeEEEZNS1_34radix_sort_onesweep_global_offsetsIS3_Lb0EPxPS5_mNS0_19identity_decomposerEEE10hipError_tT1_T2_PT3_SE_jT4_jjP12ihipStream_tbEUlT_E0_NS1_11comp_targetILNS1_3genE4ELNS1_11target_archE910ELNS1_3gpuE8ELNS1_3repE0EEENS1_52radix_sort_onesweep_histogram_config_static_selectorELNS0_4arch9wavefront6targetE1EEEvSC_
; %bb.0:
	s_load_dwordx2 s[0:1], s[4:5], 0x0
	s_lshl_b32 s2, s6, 8
	s_mov_b32 s3, 0
	s_lshl_b64 s[2:3], s[2:3], 3
	v_lshlrev_b32_e32 v5, 3, v0
	s_waitcnt lgkmcnt(0)
	s_add_u32 s14, s0, s2
	s_movk_i32 s0, 0x100
	s_addc_u32 s15, s1, s3
	v_cmp_gt_u32_e32 vcc, s0, v0
                                        ; implicit-def: $vgpr2_vgpr3
	s_and_saveexec_b64 s[0:1], vcc
	s_cbranch_execz .LBB1085_2
; %bb.1:
	global_load_dwordx2 v[2:3], v5, s[14:15]
.LBB1085_2:
	s_or_b64 exec, exec, s[0:1]
	s_waitcnt vmcnt(0)
	v_mov_b32_dpp v4, v2 row_shr:1 row_mask:0xf bank_mask:0xf
	v_add_co_u32_e64 v4, s[0:1], v2, v4
	v_mbcnt_lo_u32_b32 v1, -1, 0
	v_addc_co_u32_e64 v8, s[0:1], 0, v3, s[0:1]
	v_mbcnt_hi_u32_b32 v6, -1, v1
	v_mov_b32_dpp v7, v3 row_shr:1 row_mask:0xf bank_mask:0xf
	v_add_co_u32_e64 v9, s[0:1], 0, v4
	v_and_b32_e32 v1, 15, v6
	v_addc_co_u32_e64 v7, s[0:1], v7, v8, s[0:1]
	v_cmp_eq_u32_e64 s[0:1], 0, v1
	v_cndmask_b32_e64 v4, v4, v2, s[0:1]
	v_cndmask_b32_e64 v7, v7, v3, s[0:1]
	v_cndmask_b32_e64 v8, v9, v2, s[0:1]
	v_mov_b32_dpp v9, v4 row_shr:2 row_mask:0xf bank_mask:0xf
	v_mov_b32_dpp v10, v7 row_shr:2 row_mask:0xf bank_mask:0xf
	v_add_co_u32_e64 v9, s[2:3], v9, v8
	v_cmp_lt_u32_e64 s[4:5], 1, v1
	v_addc_co_u32_e64 v10, s[2:3], v10, v7, s[2:3]
	v_cndmask_b32_e64 v4, v4, v9, s[4:5]
	v_cndmask_b32_e64 v7, v7, v10, s[4:5]
	v_cndmask_b32_e64 v8, v8, v9, s[4:5]
	v_mov_b32_dpp v9, v4 row_shr:4 row_mask:0xf bank_mask:0xf
	v_mov_b32_dpp v10, v7 row_shr:4 row_mask:0xf bank_mask:0xf
	v_add_co_u32_e64 v9, s[2:3], v9, v8
	v_cmp_lt_u32_e64 s[6:7], 3, v1
	v_addc_co_u32_e64 v10, s[2:3], v10, v7, s[2:3]
	;; [unrolled: 8-line block ×3, first 2 shown]
	v_cndmask_b32_e64 v11, v4, v9, s[8:9]
	v_cndmask_b32_e64 v1, v7, v10, s[8:9]
	;; [unrolled: 1-line block ×3, first 2 shown]
	v_mov_b32_dpp v7, v11 row_bcast:15 row_mask:0xf bank_mask:0xf
	v_mov_b32_dpp v8, v1 row_bcast:15 row_mask:0xf bank_mask:0xf
	v_and_b32_e32 v10, 16, v6
	v_add_co_u32_e64 v7, s[2:3], v7, v4
	v_addc_co_u32_e64 v9, s[2:3], v8, v1, s[2:3]
	v_cmp_eq_u32_e64 s[10:11], 0, v10
	v_cndmask_b32_e64 v10, v9, v1, s[10:11]
	v_cndmask_b32_e64 v8, v7, v11, s[10:11]
	v_cmp_eq_u32_e64 s[2:3], 0, v6
	v_mov_b32_dpp v10, v10 row_bcast:31 row_mask:0xf bank_mask:0xf
	v_mov_b32_dpp v8, v8 row_bcast:31 row_mask:0xf bank_mask:0xf
	v_cmp_ne_u32_e64 s[12:13], 0, v6
	s_and_saveexec_b64 s[16:17], s[12:13]
; %bb.3:
	v_cndmask_b32_e64 v1, v9, v1, s[10:11]
	v_cndmask_b32_e64 v2, v7, v4, s[10:11]
	v_cmp_lt_u32_e64 s[10:11], 31, v6
	v_cndmask_b32_e64 v4, 0, v8, s[10:11]
	v_cndmask_b32_e64 v3, 0, v10, s[10:11]
	v_add_co_u32_e64 v2, s[10:11], v4, v2
	v_addc_co_u32_e64 v3, s[10:11], v3, v1, s[10:11]
; %bb.4:
	s_or_b64 exec, exec, s[16:17]
	v_and_b32_e32 v1, 63, v0
	v_lshrrev_b32_e32 v4, 6, v0
	v_cmp_eq_u32_e64 s[10:11], 63, v1
	s_and_saveexec_b64 s[12:13], s[10:11]
	s_cbranch_execz .LBB1085_6
; %bb.5:
	v_lshlrev_b32_e32 v1, 3, v4
	ds_write_b64 v1, v[2:3]
.LBB1085_6:
	s_or_b64 exec, exec, s[12:13]
	v_cmp_gt_u32_e64 s[10:11], 16, v0
	s_waitcnt lgkmcnt(0)
	s_barrier
	s_and_saveexec_b64 s[12:13], s[10:11]
	s_cbranch_execz .LBB1085_8
; %bb.7:
	ds_read_b64 v[8:9], v5
	s_waitcnt lgkmcnt(0)
	s_nop 0
	v_mov_b32_dpp v1, v8 row_shr:1 row_mask:0xf bank_mask:0xf
	v_add_co_u32_e64 v1, s[10:11], v8, v1
	v_addc_co_u32_e64 v10, s[10:11], 0, v9, s[10:11]
	v_mov_b32_dpp v7, v9 row_shr:1 row_mask:0xf bank_mask:0xf
	v_add_co_u32_e64 v11, s[10:11], 0, v1
	v_addc_co_u32_e64 v7, s[10:11], v7, v10, s[10:11]
	v_cndmask_b32_e64 v1, v1, v8, s[0:1]
	v_cndmask_b32_e64 v7, v7, v9, s[0:1]
	v_cndmask_b32_e64 v10, v11, v8, s[0:1]
	v_mov_b32_dpp v11, v1 row_shr:2 row_mask:0xf bank_mask:0xf
	v_mov_b32_dpp v12, v7 row_shr:2 row_mask:0xf bank_mask:0xf
	v_add_co_u32_e64 v11, s[10:11], v11, v10
	v_addc_co_u32_e64 v12, s[10:11], v12, v7, s[10:11]
	v_cndmask_b32_e64 v1, v1, v11, s[4:5]
	v_cndmask_b32_e64 v7, v7, v12, s[4:5]
	v_cndmask_b32_e64 v10, v10, v11, s[4:5]
	v_mov_b32_dpp v11, v1 row_shr:4 row_mask:0xf bank_mask:0xf
	;; [unrolled: 7-line block ×3, first 2 shown]
	v_mov_b32_dpp v12, v7 row_shr:8 row_mask:0xf bank_mask:0xf
	v_cndmask_b32_e64 v1, 0, v1, s[8:9]
	v_cndmask_b32_e64 v11, 0, v12, s[8:9]
	v_add_co_u32_e64 v1, s[4:5], v1, v10
	v_addc_co_u32_e64 v7, s[4:5], v11, v7, s[4:5]
	v_cndmask_b32_e64 v9, v7, v9, s[0:1]
	v_cndmask_b32_e64 v8, v1, v8, s[0:1]
	ds_write_b64 v5, v[8:9]
.LBB1085_8:
	s_or_b64 exec, exec, s[12:13]
	v_cmp_lt_u32_e64 s[0:1], 63, v0
	v_pk_mov_b32 v[0:1], 0, 0
	s_waitcnt lgkmcnt(0)
	s_barrier
	s_and_saveexec_b64 s[4:5], s[0:1]
	s_cbranch_execz .LBB1085_10
; %bb.9:
	v_lshl_add_u32 v0, v4, 3, -8
	ds_read_b64 v[0:1], v0
.LBB1085_10:
	s_or_b64 exec, exec, s[4:5]
	s_waitcnt lgkmcnt(0)
	v_add_co_u32_e64 v2, s[0:1], v0, v2
	v_addc_co_u32_e64 v3, s[0:1], v1, v3, s[0:1]
	v_add_u32_e32 v4, -1, v6
	v_and_b32_e32 v7, 64, v6
	v_cmp_lt_i32_e64 s[0:1], v4, v7
	v_cndmask_b32_e64 v4, v4, v6, s[0:1]
	v_lshlrev_b32_e32 v4, 2, v4
	ds_bpermute_b32 v2, v4, v2
	ds_bpermute_b32 v3, v4, v3
	s_and_saveexec_b64 s[0:1], vcc
	s_cbranch_execz .LBB1085_12
; %bb.11:
	s_waitcnt lgkmcnt(0)
	v_cndmask_b32_e64 v1, v3, v1, s[2:3]
	v_cndmask_b32_e64 v0, v2, v0, s[2:3]
	global_store_dwordx2 v5, v[0:1], s[14:15]
.LBB1085_12:
	s_endpgm
	.section	.rodata,"a",@progbits
	.p2align	6, 0x0
	.amdhsa_kernel _ZN7rocprim17ROCPRIM_400000_NS6detail17trampoline_kernelINS0_14default_configENS1_35radix_sort_onesweep_config_selectorIxNS0_10empty_typeEEEZNS1_34radix_sort_onesweep_global_offsetsIS3_Lb0EPxPS5_mNS0_19identity_decomposerEEE10hipError_tT1_T2_PT3_SE_jT4_jjP12ihipStream_tbEUlT_E0_NS1_11comp_targetILNS1_3genE4ELNS1_11target_archE910ELNS1_3gpuE8ELNS1_3repE0EEENS1_52radix_sort_onesweep_histogram_config_static_selectorELNS0_4arch9wavefront6targetE1EEEvSC_
		.amdhsa_group_segment_fixed_size 128
		.amdhsa_private_segment_fixed_size 0
		.amdhsa_kernarg_size 8
		.amdhsa_user_sgpr_count 6
		.amdhsa_user_sgpr_private_segment_buffer 1
		.amdhsa_user_sgpr_dispatch_ptr 0
		.amdhsa_user_sgpr_queue_ptr 0
		.amdhsa_user_sgpr_kernarg_segment_ptr 1
		.amdhsa_user_sgpr_dispatch_id 0
		.amdhsa_user_sgpr_flat_scratch_init 0
		.amdhsa_user_sgpr_kernarg_preload_length 0
		.amdhsa_user_sgpr_kernarg_preload_offset 0
		.amdhsa_user_sgpr_private_segment_size 0
		.amdhsa_uses_dynamic_stack 0
		.amdhsa_system_sgpr_private_segment_wavefront_offset 0
		.amdhsa_system_sgpr_workgroup_id_x 1
		.amdhsa_system_sgpr_workgroup_id_y 0
		.amdhsa_system_sgpr_workgroup_id_z 0
		.amdhsa_system_sgpr_workgroup_info 0
		.amdhsa_system_vgpr_workitem_id 0
		.amdhsa_next_free_vgpr 13
		.amdhsa_next_free_sgpr 18
		.amdhsa_accum_offset 16
		.amdhsa_reserve_vcc 1
		.amdhsa_reserve_flat_scratch 0
		.amdhsa_float_round_mode_32 0
		.amdhsa_float_round_mode_16_64 0
		.amdhsa_float_denorm_mode_32 3
		.amdhsa_float_denorm_mode_16_64 3
		.amdhsa_dx10_clamp 1
		.amdhsa_ieee_mode 1
		.amdhsa_fp16_overflow 0
		.amdhsa_tg_split 0
		.amdhsa_exception_fp_ieee_invalid_op 0
		.amdhsa_exception_fp_denorm_src 0
		.amdhsa_exception_fp_ieee_div_zero 0
		.amdhsa_exception_fp_ieee_overflow 0
		.amdhsa_exception_fp_ieee_underflow 0
		.amdhsa_exception_fp_ieee_inexact 0
		.amdhsa_exception_int_div_zero 0
	.end_amdhsa_kernel
	.section	.text._ZN7rocprim17ROCPRIM_400000_NS6detail17trampoline_kernelINS0_14default_configENS1_35radix_sort_onesweep_config_selectorIxNS0_10empty_typeEEEZNS1_34radix_sort_onesweep_global_offsetsIS3_Lb0EPxPS5_mNS0_19identity_decomposerEEE10hipError_tT1_T2_PT3_SE_jT4_jjP12ihipStream_tbEUlT_E0_NS1_11comp_targetILNS1_3genE4ELNS1_11target_archE910ELNS1_3gpuE8ELNS1_3repE0EEENS1_52radix_sort_onesweep_histogram_config_static_selectorELNS0_4arch9wavefront6targetE1EEEvSC_,"axG",@progbits,_ZN7rocprim17ROCPRIM_400000_NS6detail17trampoline_kernelINS0_14default_configENS1_35radix_sort_onesweep_config_selectorIxNS0_10empty_typeEEEZNS1_34radix_sort_onesweep_global_offsetsIS3_Lb0EPxPS5_mNS0_19identity_decomposerEEE10hipError_tT1_T2_PT3_SE_jT4_jjP12ihipStream_tbEUlT_E0_NS1_11comp_targetILNS1_3genE4ELNS1_11target_archE910ELNS1_3gpuE8ELNS1_3repE0EEENS1_52radix_sort_onesweep_histogram_config_static_selectorELNS0_4arch9wavefront6targetE1EEEvSC_,comdat
.Lfunc_end1085:
	.size	_ZN7rocprim17ROCPRIM_400000_NS6detail17trampoline_kernelINS0_14default_configENS1_35radix_sort_onesweep_config_selectorIxNS0_10empty_typeEEEZNS1_34radix_sort_onesweep_global_offsetsIS3_Lb0EPxPS5_mNS0_19identity_decomposerEEE10hipError_tT1_T2_PT3_SE_jT4_jjP12ihipStream_tbEUlT_E0_NS1_11comp_targetILNS1_3genE4ELNS1_11target_archE910ELNS1_3gpuE8ELNS1_3repE0EEENS1_52radix_sort_onesweep_histogram_config_static_selectorELNS0_4arch9wavefront6targetE1EEEvSC_, .Lfunc_end1085-_ZN7rocprim17ROCPRIM_400000_NS6detail17trampoline_kernelINS0_14default_configENS1_35radix_sort_onesweep_config_selectorIxNS0_10empty_typeEEEZNS1_34radix_sort_onesweep_global_offsetsIS3_Lb0EPxPS5_mNS0_19identity_decomposerEEE10hipError_tT1_T2_PT3_SE_jT4_jjP12ihipStream_tbEUlT_E0_NS1_11comp_targetILNS1_3genE4ELNS1_11target_archE910ELNS1_3gpuE8ELNS1_3repE0EEENS1_52radix_sort_onesweep_histogram_config_static_selectorELNS0_4arch9wavefront6targetE1EEEvSC_
                                        ; -- End function
	.section	.AMDGPU.csdata,"",@progbits
; Kernel info:
; codeLenInByte = 1012
; NumSgprs: 22
; NumVgprs: 13
; NumAgprs: 0
; TotalNumVgprs: 13
; ScratchSize: 0
; MemoryBound: 0
; FloatMode: 240
; IeeeMode: 1
; LDSByteSize: 128 bytes/workgroup (compile time only)
; SGPRBlocks: 2
; VGPRBlocks: 1
; NumSGPRsForWavesPerEU: 22
; NumVGPRsForWavesPerEU: 13
; AccumOffset: 16
; Occupancy: 8
; WaveLimiterHint : 0
; COMPUTE_PGM_RSRC2:SCRATCH_EN: 0
; COMPUTE_PGM_RSRC2:USER_SGPR: 6
; COMPUTE_PGM_RSRC2:TRAP_HANDLER: 0
; COMPUTE_PGM_RSRC2:TGID_X_EN: 1
; COMPUTE_PGM_RSRC2:TGID_Y_EN: 0
; COMPUTE_PGM_RSRC2:TGID_Z_EN: 0
; COMPUTE_PGM_RSRC2:TIDIG_COMP_CNT: 0
; COMPUTE_PGM_RSRC3_GFX90A:ACCUM_OFFSET: 3
; COMPUTE_PGM_RSRC3_GFX90A:TG_SPLIT: 0
	.section	.text._ZN7rocprim17ROCPRIM_400000_NS6detail17trampoline_kernelINS0_14default_configENS1_35radix_sort_onesweep_config_selectorIxNS0_10empty_typeEEEZNS1_34radix_sort_onesweep_global_offsetsIS3_Lb0EPxPS5_mNS0_19identity_decomposerEEE10hipError_tT1_T2_PT3_SE_jT4_jjP12ihipStream_tbEUlT_E0_NS1_11comp_targetILNS1_3genE3ELNS1_11target_archE908ELNS1_3gpuE7ELNS1_3repE0EEENS1_52radix_sort_onesweep_histogram_config_static_selectorELNS0_4arch9wavefront6targetE1EEEvSC_,"axG",@progbits,_ZN7rocprim17ROCPRIM_400000_NS6detail17trampoline_kernelINS0_14default_configENS1_35radix_sort_onesweep_config_selectorIxNS0_10empty_typeEEEZNS1_34radix_sort_onesweep_global_offsetsIS3_Lb0EPxPS5_mNS0_19identity_decomposerEEE10hipError_tT1_T2_PT3_SE_jT4_jjP12ihipStream_tbEUlT_E0_NS1_11comp_targetILNS1_3genE3ELNS1_11target_archE908ELNS1_3gpuE7ELNS1_3repE0EEENS1_52radix_sort_onesweep_histogram_config_static_selectorELNS0_4arch9wavefront6targetE1EEEvSC_,comdat
	.protected	_ZN7rocprim17ROCPRIM_400000_NS6detail17trampoline_kernelINS0_14default_configENS1_35radix_sort_onesweep_config_selectorIxNS0_10empty_typeEEEZNS1_34radix_sort_onesweep_global_offsetsIS3_Lb0EPxPS5_mNS0_19identity_decomposerEEE10hipError_tT1_T2_PT3_SE_jT4_jjP12ihipStream_tbEUlT_E0_NS1_11comp_targetILNS1_3genE3ELNS1_11target_archE908ELNS1_3gpuE7ELNS1_3repE0EEENS1_52radix_sort_onesweep_histogram_config_static_selectorELNS0_4arch9wavefront6targetE1EEEvSC_ ; -- Begin function _ZN7rocprim17ROCPRIM_400000_NS6detail17trampoline_kernelINS0_14default_configENS1_35radix_sort_onesweep_config_selectorIxNS0_10empty_typeEEEZNS1_34radix_sort_onesweep_global_offsetsIS3_Lb0EPxPS5_mNS0_19identity_decomposerEEE10hipError_tT1_T2_PT3_SE_jT4_jjP12ihipStream_tbEUlT_E0_NS1_11comp_targetILNS1_3genE3ELNS1_11target_archE908ELNS1_3gpuE7ELNS1_3repE0EEENS1_52radix_sort_onesweep_histogram_config_static_selectorELNS0_4arch9wavefront6targetE1EEEvSC_
	.globl	_ZN7rocprim17ROCPRIM_400000_NS6detail17trampoline_kernelINS0_14default_configENS1_35radix_sort_onesweep_config_selectorIxNS0_10empty_typeEEEZNS1_34radix_sort_onesweep_global_offsetsIS3_Lb0EPxPS5_mNS0_19identity_decomposerEEE10hipError_tT1_T2_PT3_SE_jT4_jjP12ihipStream_tbEUlT_E0_NS1_11comp_targetILNS1_3genE3ELNS1_11target_archE908ELNS1_3gpuE7ELNS1_3repE0EEENS1_52radix_sort_onesweep_histogram_config_static_selectorELNS0_4arch9wavefront6targetE1EEEvSC_
	.p2align	8
	.type	_ZN7rocprim17ROCPRIM_400000_NS6detail17trampoline_kernelINS0_14default_configENS1_35radix_sort_onesweep_config_selectorIxNS0_10empty_typeEEEZNS1_34radix_sort_onesweep_global_offsetsIS3_Lb0EPxPS5_mNS0_19identity_decomposerEEE10hipError_tT1_T2_PT3_SE_jT4_jjP12ihipStream_tbEUlT_E0_NS1_11comp_targetILNS1_3genE3ELNS1_11target_archE908ELNS1_3gpuE7ELNS1_3repE0EEENS1_52radix_sort_onesweep_histogram_config_static_selectorELNS0_4arch9wavefront6targetE1EEEvSC_,@function
_ZN7rocprim17ROCPRIM_400000_NS6detail17trampoline_kernelINS0_14default_configENS1_35radix_sort_onesweep_config_selectorIxNS0_10empty_typeEEEZNS1_34radix_sort_onesweep_global_offsetsIS3_Lb0EPxPS5_mNS0_19identity_decomposerEEE10hipError_tT1_T2_PT3_SE_jT4_jjP12ihipStream_tbEUlT_E0_NS1_11comp_targetILNS1_3genE3ELNS1_11target_archE908ELNS1_3gpuE7ELNS1_3repE0EEENS1_52radix_sort_onesweep_histogram_config_static_selectorELNS0_4arch9wavefront6targetE1EEEvSC_: ; @_ZN7rocprim17ROCPRIM_400000_NS6detail17trampoline_kernelINS0_14default_configENS1_35radix_sort_onesweep_config_selectorIxNS0_10empty_typeEEEZNS1_34radix_sort_onesweep_global_offsetsIS3_Lb0EPxPS5_mNS0_19identity_decomposerEEE10hipError_tT1_T2_PT3_SE_jT4_jjP12ihipStream_tbEUlT_E0_NS1_11comp_targetILNS1_3genE3ELNS1_11target_archE908ELNS1_3gpuE7ELNS1_3repE0EEENS1_52radix_sort_onesweep_histogram_config_static_selectorELNS0_4arch9wavefront6targetE1EEEvSC_
; %bb.0:
	.section	.rodata,"a",@progbits
	.p2align	6, 0x0
	.amdhsa_kernel _ZN7rocprim17ROCPRIM_400000_NS6detail17trampoline_kernelINS0_14default_configENS1_35radix_sort_onesweep_config_selectorIxNS0_10empty_typeEEEZNS1_34radix_sort_onesweep_global_offsetsIS3_Lb0EPxPS5_mNS0_19identity_decomposerEEE10hipError_tT1_T2_PT3_SE_jT4_jjP12ihipStream_tbEUlT_E0_NS1_11comp_targetILNS1_3genE3ELNS1_11target_archE908ELNS1_3gpuE7ELNS1_3repE0EEENS1_52radix_sort_onesweep_histogram_config_static_selectorELNS0_4arch9wavefront6targetE1EEEvSC_
		.amdhsa_group_segment_fixed_size 0
		.amdhsa_private_segment_fixed_size 0
		.amdhsa_kernarg_size 8
		.amdhsa_user_sgpr_count 6
		.amdhsa_user_sgpr_private_segment_buffer 1
		.amdhsa_user_sgpr_dispatch_ptr 0
		.amdhsa_user_sgpr_queue_ptr 0
		.amdhsa_user_sgpr_kernarg_segment_ptr 1
		.amdhsa_user_sgpr_dispatch_id 0
		.amdhsa_user_sgpr_flat_scratch_init 0
		.amdhsa_user_sgpr_kernarg_preload_length 0
		.amdhsa_user_sgpr_kernarg_preload_offset 0
		.amdhsa_user_sgpr_private_segment_size 0
		.amdhsa_uses_dynamic_stack 0
		.amdhsa_system_sgpr_private_segment_wavefront_offset 0
		.amdhsa_system_sgpr_workgroup_id_x 1
		.amdhsa_system_sgpr_workgroup_id_y 0
		.amdhsa_system_sgpr_workgroup_id_z 0
		.amdhsa_system_sgpr_workgroup_info 0
		.amdhsa_system_vgpr_workitem_id 0
		.amdhsa_next_free_vgpr 1
		.amdhsa_next_free_sgpr 0
		.amdhsa_accum_offset 4
		.amdhsa_reserve_vcc 0
		.amdhsa_reserve_flat_scratch 0
		.amdhsa_float_round_mode_32 0
		.amdhsa_float_round_mode_16_64 0
		.amdhsa_float_denorm_mode_32 3
		.amdhsa_float_denorm_mode_16_64 3
		.amdhsa_dx10_clamp 1
		.amdhsa_ieee_mode 1
		.amdhsa_fp16_overflow 0
		.amdhsa_tg_split 0
		.amdhsa_exception_fp_ieee_invalid_op 0
		.amdhsa_exception_fp_denorm_src 0
		.amdhsa_exception_fp_ieee_div_zero 0
		.amdhsa_exception_fp_ieee_overflow 0
		.amdhsa_exception_fp_ieee_underflow 0
		.amdhsa_exception_fp_ieee_inexact 0
		.amdhsa_exception_int_div_zero 0
	.end_amdhsa_kernel
	.section	.text._ZN7rocprim17ROCPRIM_400000_NS6detail17trampoline_kernelINS0_14default_configENS1_35radix_sort_onesweep_config_selectorIxNS0_10empty_typeEEEZNS1_34radix_sort_onesweep_global_offsetsIS3_Lb0EPxPS5_mNS0_19identity_decomposerEEE10hipError_tT1_T2_PT3_SE_jT4_jjP12ihipStream_tbEUlT_E0_NS1_11comp_targetILNS1_3genE3ELNS1_11target_archE908ELNS1_3gpuE7ELNS1_3repE0EEENS1_52radix_sort_onesweep_histogram_config_static_selectorELNS0_4arch9wavefront6targetE1EEEvSC_,"axG",@progbits,_ZN7rocprim17ROCPRIM_400000_NS6detail17trampoline_kernelINS0_14default_configENS1_35radix_sort_onesweep_config_selectorIxNS0_10empty_typeEEEZNS1_34radix_sort_onesweep_global_offsetsIS3_Lb0EPxPS5_mNS0_19identity_decomposerEEE10hipError_tT1_T2_PT3_SE_jT4_jjP12ihipStream_tbEUlT_E0_NS1_11comp_targetILNS1_3genE3ELNS1_11target_archE908ELNS1_3gpuE7ELNS1_3repE0EEENS1_52radix_sort_onesweep_histogram_config_static_selectorELNS0_4arch9wavefront6targetE1EEEvSC_,comdat
.Lfunc_end1086:
	.size	_ZN7rocprim17ROCPRIM_400000_NS6detail17trampoline_kernelINS0_14default_configENS1_35radix_sort_onesweep_config_selectorIxNS0_10empty_typeEEEZNS1_34radix_sort_onesweep_global_offsetsIS3_Lb0EPxPS5_mNS0_19identity_decomposerEEE10hipError_tT1_T2_PT3_SE_jT4_jjP12ihipStream_tbEUlT_E0_NS1_11comp_targetILNS1_3genE3ELNS1_11target_archE908ELNS1_3gpuE7ELNS1_3repE0EEENS1_52radix_sort_onesweep_histogram_config_static_selectorELNS0_4arch9wavefront6targetE1EEEvSC_, .Lfunc_end1086-_ZN7rocprim17ROCPRIM_400000_NS6detail17trampoline_kernelINS0_14default_configENS1_35radix_sort_onesweep_config_selectorIxNS0_10empty_typeEEEZNS1_34radix_sort_onesweep_global_offsetsIS3_Lb0EPxPS5_mNS0_19identity_decomposerEEE10hipError_tT1_T2_PT3_SE_jT4_jjP12ihipStream_tbEUlT_E0_NS1_11comp_targetILNS1_3genE3ELNS1_11target_archE908ELNS1_3gpuE7ELNS1_3repE0EEENS1_52radix_sort_onesweep_histogram_config_static_selectorELNS0_4arch9wavefront6targetE1EEEvSC_
                                        ; -- End function
	.section	.AMDGPU.csdata,"",@progbits
; Kernel info:
; codeLenInByte = 0
; NumSgprs: 4
; NumVgprs: 0
; NumAgprs: 0
; TotalNumVgprs: 0
; ScratchSize: 0
; MemoryBound: 0
; FloatMode: 240
; IeeeMode: 1
; LDSByteSize: 0 bytes/workgroup (compile time only)
; SGPRBlocks: 0
; VGPRBlocks: 0
; NumSGPRsForWavesPerEU: 4
; NumVGPRsForWavesPerEU: 1
; AccumOffset: 4
; Occupancy: 8
; WaveLimiterHint : 0
; COMPUTE_PGM_RSRC2:SCRATCH_EN: 0
; COMPUTE_PGM_RSRC2:USER_SGPR: 6
; COMPUTE_PGM_RSRC2:TRAP_HANDLER: 0
; COMPUTE_PGM_RSRC2:TGID_X_EN: 1
; COMPUTE_PGM_RSRC2:TGID_Y_EN: 0
; COMPUTE_PGM_RSRC2:TGID_Z_EN: 0
; COMPUTE_PGM_RSRC2:TIDIG_COMP_CNT: 0
; COMPUTE_PGM_RSRC3_GFX90A:ACCUM_OFFSET: 0
; COMPUTE_PGM_RSRC3_GFX90A:TG_SPLIT: 0
	.section	.text._ZN7rocprim17ROCPRIM_400000_NS6detail17trampoline_kernelINS0_14default_configENS1_35radix_sort_onesweep_config_selectorIxNS0_10empty_typeEEEZNS1_34radix_sort_onesweep_global_offsetsIS3_Lb0EPxPS5_mNS0_19identity_decomposerEEE10hipError_tT1_T2_PT3_SE_jT4_jjP12ihipStream_tbEUlT_E0_NS1_11comp_targetILNS1_3genE10ELNS1_11target_archE1201ELNS1_3gpuE5ELNS1_3repE0EEENS1_52radix_sort_onesweep_histogram_config_static_selectorELNS0_4arch9wavefront6targetE1EEEvSC_,"axG",@progbits,_ZN7rocprim17ROCPRIM_400000_NS6detail17trampoline_kernelINS0_14default_configENS1_35radix_sort_onesweep_config_selectorIxNS0_10empty_typeEEEZNS1_34radix_sort_onesweep_global_offsetsIS3_Lb0EPxPS5_mNS0_19identity_decomposerEEE10hipError_tT1_T2_PT3_SE_jT4_jjP12ihipStream_tbEUlT_E0_NS1_11comp_targetILNS1_3genE10ELNS1_11target_archE1201ELNS1_3gpuE5ELNS1_3repE0EEENS1_52radix_sort_onesweep_histogram_config_static_selectorELNS0_4arch9wavefront6targetE1EEEvSC_,comdat
	.protected	_ZN7rocprim17ROCPRIM_400000_NS6detail17trampoline_kernelINS0_14default_configENS1_35radix_sort_onesweep_config_selectorIxNS0_10empty_typeEEEZNS1_34radix_sort_onesweep_global_offsetsIS3_Lb0EPxPS5_mNS0_19identity_decomposerEEE10hipError_tT1_T2_PT3_SE_jT4_jjP12ihipStream_tbEUlT_E0_NS1_11comp_targetILNS1_3genE10ELNS1_11target_archE1201ELNS1_3gpuE5ELNS1_3repE0EEENS1_52radix_sort_onesweep_histogram_config_static_selectorELNS0_4arch9wavefront6targetE1EEEvSC_ ; -- Begin function _ZN7rocprim17ROCPRIM_400000_NS6detail17trampoline_kernelINS0_14default_configENS1_35radix_sort_onesweep_config_selectorIxNS0_10empty_typeEEEZNS1_34radix_sort_onesweep_global_offsetsIS3_Lb0EPxPS5_mNS0_19identity_decomposerEEE10hipError_tT1_T2_PT3_SE_jT4_jjP12ihipStream_tbEUlT_E0_NS1_11comp_targetILNS1_3genE10ELNS1_11target_archE1201ELNS1_3gpuE5ELNS1_3repE0EEENS1_52radix_sort_onesweep_histogram_config_static_selectorELNS0_4arch9wavefront6targetE1EEEvSC_
	.globl	_ZN7rocprim17ROCPRIM_400000_NS6detail17trampoline_kernelINS0_14default_configENS1_35radix_sort_onesweep_config_selectorIxNS0_10empty_typeEEEZNS1_34radix_sort_onesweep_global_offsetsIS3_Lb0EPxPS5_mNS0_19identity_decomposerEEE10hipError_tT1_T2_PT3_SE_jT4_jjP12ihipStream_tbEUlT_E0_NS1_11comp_targetILNS1_3genE10ELNS1_11target_archE1201ELNS1_3gpuE5ELNS1_3repE0EEENS1_52radix_sort_onesweep_histogram_config_static_selectorELNS0_4arch9wavefront6targetE1EEEvSC_
	.p2align	8
	.type	_ZN7rocprim17ROCPRIM_400000_NS6detail17trampoline_kernelINS0_14default_configENS1_35radix_sort_onesweep_config_selectorIxNS0_10empty_typeEEEZNS1_34radix_sort_onesweep_global_offsetsIS3_Lb0EPxPS5_mNS0_19identity_decomposerEEE10hipError_tT1_T2_PT3_SE_jT4_jjP12ihipStream_tbEUlT_E0_NS1_11comp_targetILNS1_3genE10ELNS1_11target_archE1201ELNS1_3gpuE5ELNS1_3repE0EEENS1_52radix_sort_onesweep_histogram_config_static_selectorELNS0_4arch9wavefront6targetE1EEEvSC_,@function
_ZN7rocprim17ROCPRIM_400000_NS6detail17trampoline_kernelINS0_14default_configENS1_35radix_sort_onesweep_config_selectorIxNS0_10empty_typeEEEZNS1_34radix_sort_onesweep_global_offsetsIS3_Lb0EPxPS5_mNS0_19identity_decomposerEEE10hipError_tT1_T2_PT3_SE_jT4_jjP12ihipStream_tbEUlT_E0_NS1_11comp_targetILNS1_3genE10ELNS1_11target_archE1201ELNS1_3gpuE5ELNS1_3repE0EEENS1_52radix_sort_onesweep_histogram_config_static_selectorELNS0_4arch9wavefront6targetE1EEEvSC_: ; @_ZN7rocprim17ROCPRIM_400000_NS6detail17trampoline_kernelINS0_14default_configENS1_35radix_sort_onesweep_config_selectorIxNS0_10empty_typeEEEZNS1_34radix_sort_onesweep_global_offsetsIS3_Lb0EPxPS5_mNS0_19identity_decomposerEEE10hipError_tT1_T2_PT3_SE_jT4_jjP12ihipStream_tbEUlT_E0_NS1_11comp_targetILNS1_3genE10ELNS1_11target_archE1201ELNS1_3gpuE5ELNS1_3repE0EEENS1_52radix_sort_onesweep_histogram_config_static_selectorELNS0_4arch9wavefront6targetE1EEEvSC_
; %bb.0:
	.section	.rodata,"a",@progbits
	.p2align	6, 0x0
	.amdhsa_kernel _ZN7rocprim17ROCPRIM_400000_NS6detail17trampoline_kernelINS0_14default_configENS1_35radix_sort_onesweep_config_selectorIxNS0_10empty_typeEEEZNS1_34radix_sort_onesweep_global_offsetsIS3_Lb0EPxPS5_mNS0_19identity_decomposerEEE10hipError_tT1_T2_PT3_SE_jT4_jjP12ihipStream_tbEUlT_E0_NS1_11comp_targetILNS1_3genE10ELNS1_11target_archE1201ELNS1_3gpuE5ELNS1_3repE0EEENS1_52radix_sort_onesweep_histogram_config_static_selectorELNS0_4arch9wavefront6targetE1EEEvSC_
		.amdhsa_group_segment_fixed_size 0
		.amdhsa_private_segment_fixed_size 0
		.amdhsa_kernarg_size 8
		.amdhsa_user_sgpr_count 6
		.amdhsa_user_sgpr_private_segment_buffer 1
		.amdhsa_user_sgpr_dispatch_ptr 0
		.amdhsa_user_sgpr_queue_ptr 0
		.amdhsa_user_sgpr_kernarg_segment_ptr 1
		.amdhsa_user_sgpr_dispatch_id 0
		.amdhsa_user_sgpr_flat_scratch_init 0
		.amdhsa_user_sgpr_kernarg_preload_length 0
		.amdhsa_user_sgpr_kernarg_preload_offset 0
		.amdhsa_user_sgpr_private_segment_size 0
		.amdhsa_uses_dynamic_stack 0
		.amdhsa_system_sgpr_private_segment_wavefront_offset 0
		.amdhsa_system_sgpr_workgroup_id_x 1
		.amdhsa_system_sgpr_workgroup_id_y 0
		.amdhsa_system_sgpr_workgroup_id_z 0
		.amdhsa_system_sgpr_workgroup_info 0
		.amdhsa_system_vgpr_workitem_id 0
		.amdhsa_next_free_vgpr 1
		.amdhsa_next_free_sgpr 0
		.amdhsa_accum_offset 4
		.amdhsa_reserve_vcc 0
		.amdhsa_reserve_flat_scratch 0
		.amdhsa_float_round_mode_32 0
		.amdhsa_float_round_mode_16_64 0
		.amdhsa_float_denorm_mode_32 3
		.amdhsa_float_denorm_mode_16_64 3
		.amdhsa_dx10_clamp 1
		.amdhsa_ieee_mode 1
		.amdhsa_fp16_overflow 0
		.amdhsa_tg_split 0
		.amdhsa_exception_fp_ieee_invalid_op 0
		.amdhsa_exception_fp_denorm_src 0
		.amdhsa_exception_fp_ieee_div_zero 0
		.amdhsa_exception_fp_ieee_overflow 0
		.amdhsa_exception_fp_ieee_underflow 0
		.amdhsa_exception_fp_ieee_inexact 0
		.amdhsa_exception_int_div_zero 0
	.end_amdhsa_kernel
	.section	.text._ZN7rocprim17ROCPRIM_400000_NS6detail17trampoline_kernelINS0_14default_configENS1_35radix_sort_onesweep_config_selectorIxNS0_10empty_typeEEEZNS1_34radix_sort_onesweep_global_offsetsIS3_Lb0EPxPS5_mNS0_19identity_decomposerEEE10hipError_tT1_T2_PT3_SE_jT4_jjP12ihipStream_tbEUlT_E0_NS1_11comp_targetILNS1_3genE10ELNS1_11target_archE1201ELNS1_3gpuE5ELNS1_3repE0EEENS1_52radix_sort_onesweep_histogram_config_static_selectorELNS0_4arch9wavefront6targetE1EEEvSC_,"axG",@progbits,_ZN7rocprim17ROCPRIM_400000_NS6detail17trampoline_kernelINS0_14default_configENS1_35radix_sort_onesweep_config_selectorIxNS0_10empty_typeEEEZNS1_34radix_sort_onesweep_global_offsetsIS3_Lb0EPxPS5_mNS0_19identity_decomposerEEE10hipError_tT1_T2_PT3_SE_jT4_jjP12ihipStream_tbEUlT_E0_NS1_11comp_targetILNS1_3genE10ELNS1_11target_archE1201ELNS1_3gpuE5ELNS1_3repE0EEENS1_52radix_sort_onesweep_histogram_config_static_selectorELNS0_4arch9wavefront6targetE1EEEvSC_,comdat
.Lfunc_end1087:
	.size	_ZN7rocprim17ROCPRIM_400000_NS6detail17trampoline_kernelINS0_14default_configENS1_35radix_sort_onesweep_config_selectorIxNS0_10empty_typeEEEZNS1_34radix_sort_onesweep_global_offsetsIS3_Lb0EPxPS5_mNS0_19identity_decomposerEEE10hipError_tT1_T2_PT3_SE_jT4_jjP12ihipStream_tbEUlT_E0_NS1_11comp_targetILNS1_3genE10ELNS1_11target_archE1201ELNS1_3gpuE5ELNS1_3repE0EEENS1_52radix_sort_onesweep_histogram_config_static_selectorELNS0_4arch9wavefront6targetE1EEEvSC_, .Lfunc_end1087-_ZN7rocprim17ROCPRIM_400000_NS6detail17trampoline_kernelINS0_14default_configENS1_35radix_sort_onesweep_config_selectorIxNS0_10empty_typeEEEZNS1_34radix_sort_onesweep_global_offsetsIS3_Lb0EPxPS5_mNS0_19identity_decomposerEEE10hipError_tT1_T2_PT3_SE_jT4_jjP12ihipStream_tbEUlT_E0_NS1_11comp_targetILNS1_3genE10ELNS1_11target_archE1201ELNS1_3gpuE5ELNS1_3repE0EEENS1_52radix_sort_onesweep_histogram_config_static_selectorELNS0_4arch9wavefront6targetE1EEEvSC_
                                        ; -- End function
	.section	.AMDGPU.csdata,"",@progbits
; Kernel info:
; codeLenInByte = 0
; NumSgprs: 4
; NumVgprs: 0
; NumAgprs: 0
; TotalNumVgprs: 0
; ScratchSize: 0
; MemoryBound: 0
; FloatMode: 240
; IeeeMode: 1
; LDSByteSize: 0 bytes/workgroup (compile time only)
; SGPRBlocks: 0
; VGPRBlocks: 0
; NumSGPRsForWavesPerEU: 4
; NumVGPRsForWavesPerEU: 1
; AccumOffset: 4
; Occupancy: 8
; WaveLimiterHint : 0
; COMPUTE_PGM_RSRC2:SCRATCH_EN: 0
; COMPUTE_PGM_RSRC2:USER_SGPR: 6
; COMPUTE_PGM_RSRC2:TRAP_HANDLER: 0
; COMPUTE_PGM_RSRC2:TGID_X_EN: 1
; COMPUTE_PGM_RSRC2:TGID_Y_EN: 0
; COMPUTE_PGM_RSRC2:TGID_Z_EN: 0
; COMPUTE_PGM_RSRC2:TIDIG_COMP_CNT: 0
; COMPUTE_PGM_RSRC3_GFX90A:ACCUM_OFFSET: 0
; COMPUTE_PGM_RSRC3_GFX90A:TG_SPLIT: 0
	.section	.text._ZN7rocprim17ROCPRIM_400000_NS6detail17trampoline_kernelINS0_14default_configENS1_35radix_sort_onesweep_config_selectorIxNS0_10empty_typeEEEZNS1_34radix_sort_onesweep_global_offsetsIS3_Lb0EPxPS5_mNS0_19identity_decomposerEEE10hipError_tT1_T2_PT3_SE_jT4_jjP12ihipStream_tbEUlT_E0_NS1_11comp_targetILNS1_3genE9ELNS1_11target_archE1100ELNS1_3gpuE3ELNS1_3repE0EEENS1_52radix_sort_onesweep_histogram_config_static_selectorELNS0_4arch9wavefront6targetE1EEEvSC_,"axG",@progbits,_ZN7rocprim17ROCPRIM_400000_NS6detail17trampoline_kernelINS0_14default_configENS1_35radix_sort_onesweep_config_selectorIxNS0_10empty_typeEEEZNS1_34radix_sort_onesweep_global_offsetsIS3_Lb0EPxPS5_mNS0_19identity_decomposerEEE10hipError_tT1_T2_PT3_SE_jT4_jjP12ihipStream_tbEUlT_E0_NS1_11comp_targetILNS1_3genE9ELNS1_11target_archE1100ELNS1_3gpuE3ELNS1_3repE0EEENS1_52radix_sort_onesweep_histogram_config_static_selectorELNS0_4arch9wavefront6targetE1EEEvSC_,comdat
	.protected	_ZN7rocprim17ROCPRIM_400000_NS6detail17trampoline_kernelINS0_14default_configENS1_35radix_sort_onesweep_config_selectorIxNS0_10empty_typeEEEZNS1_34radix_sort_onesweep_global_offsetsIS3_Lb0EPxPS5_mNS0_19identity_decomposerEEE10hipError_tT1_T2_PT3_SE_jT4_jjP12ihipStream_tbEUlT_E0_NS1_11comp_targetILNS1_3genE9ELNS1_11target_archE1100ELNS1_3gpuE3ELNS1_3repE0EEENS1_52radix_sort_onesweep_histogram_config_static_selectorELNS0_4arch9wavefront6targetE1EEEvSC_ ; -- Begin function _ZN7rocprim17ROCPRIM_400000_NS6detail17trampoline_kernelINS0_14default_configENS1_35radix_sort_onesweep_config_selectorIxNS0_10empty_typeEEEZNS1_34radix_sort_onesweep_global_offsetsIS3_Lb0EPxPS5_mNS0_19identity_decomposerEEE10hipError_tT1_T2_PT3_SE_jT4_jjP12ihipStream_tbEUlT_E0_NS1_11comp_targetILNS1_3genE9ELNS1_11target_archE1100ELNS1_3gpuE3ELNS1_3repE0EEENS1_52radix_sort_onesweep_histogram_config_static_selectorELNS0_4arch9wavefront6targetE1EEEvSC_
	.globl	_ZN7rocprim17ROCPRIM_400000_NS6detail17trampoline_kernelINS0_14default_configENS1_35radix_sort_onesweep_config_selectorIxNS0_10empty_typeEEEZNS1_34radix_sort_onesweep_global_offsetsIS3_Lb0EPxPS5_mNS0_19identity_decomposerEEE10hipError_tT1_T2_PT3_SE_jT4_jjP12ihipStream_tbEUlT_E0_NS1_11comp_targetILNS1_3genE9ELNS1_11target_archE1100ELNS1_3gpuE3ELNS1_3repE0EEENS1_52radix_sort_onesweep_histogram_config_static_selectorELNS0_4arch9wavefront6targetE1EEEvSC_
	.p2align	8
	.type	_ZN7rocprim17ROCPRIM_400000_NS6detail17trampoline_kernelINS0_14default_configENS1_35radix_sort_onesweep_config_selectorIxNS0_10empty_typeEEEZNS1_34radix_sort_onesweep_global_offsetsIS3_Lb0EPxPS5_mNS0_19identity_decomposerEEE10hipError_tT1_T2_PT3_SE_jT4_jjP12ihipStream_tbEUlT_E0_NS1_11comp_targetILNS1_3genE9ELNS1_11target_archE1100ELNS1_3gpuE3ELNS1_3repE0EEENS1_52radix_sort_onesweep_histogram_config_static_selectorELNS0_4arch9wavefront6targetE1EEEvSC_,@function
_ZN7rocprim17ROCPRIM_400000_NS6detail17trampoline_kernelINS0_14default_configENS1_35radix_sort_onesweep_config_selectorIxNS0_10empty_typeEEEZNS1_34radix_sort_onesweep_global_offsetsIS3_Lb0EPxPS5_mNS0_19identity_decomposerEEE10hipError_tT1_T2_PT3_SE_jT4_jjP12ihipStream_tbEUlT_E0_NS1_11comp_targetILNS1_3genE9ELNS1_11target_archE1100ELNS1_3gpuE3ELNS1_3repE0EEENS1_52radix_sort_onesweep_histogram_config_static_selectorELNS0_4arch9wavefront6targetE1EEEvSC_: ; @_ZN7rocprim17ROCPRIM_400000_NS6detail17trampoline_kernelINS0_14default_configENS1_35radix_sort_onesweep_config_selectorIxNS0_10empty_typeEEEZNS1_34radix_sort_onesweep_global_offsetsIS3_Lb0EPxPS5_mNS0_19identity_decomposerEEE10hipError_tT1_T2_PT3_SE_jT4_jjP12ihipStream_tbEUlT_E0_NS1_11comp_targetILNS1_3genE9ELNS1_11target_archE1100ELNS1_3gpuE3ELNS1_3repE0EEENS1_52radix_sort_onesweep_histogram_config_static_selectorELNS0_4arch9wavefront6targetE1EEEvSC_
; %bb.0:
	.section	.rodata,"a",@progbits
	.p2align	6, 0x0
	.amdhsa_kernel _ZN7rocprim17ROCPRIM_400000_NS6detail17trampoline_kernelINS0_14default_configENS1_35radix_sort_onesweep_config_selectorIxNS0_10empty_typeEEEZNS1_34radix_sort_onesweep_global_offsetsIS3_Lb0EPxPS5_mNS0_19identity_decomposerEEE10hipError_tT1_T2_PT3_SE_jT4_jjP12ihipStream_tbEUlT_E0_NS1_11comp_targetILNS1_3genE9ELNS1_11target_archE1100ELNS1_3gpuE3ELNS1_3repE0EEENS1_52radix_sort_onesweep_histogram_config_static_selectorELNS0_4arch9wavefront6targetE1EEEvSC_
		.amdhsa_group_segment_fixed_size 0
		.amdhsa_private_segment_fixed_size 0
		.amdhsa_kernarg_size 8
		.amdhsa_user_sgpr_count 6
		.amdhsa_user_sgpr_private_segment_buffer 1
		.amdhsa_user_sgpr_dispatch_ptr 0
		.amdhsa_user_sgpr_queue_ptr 0
		.amdhsa_user_sgpr_kernarg_segment_ptr 1
		.amdhsa_user_sgpr_dispatch_id 0
		.amdhsa_user_sgpr_flat_scratch_init 0
		.amdhsa_user_sgpr_kernarg_preload_length 0
		.amdhsa_user_sgpr_kernarg_preload_offset 0
		.amdhsa_user_sgpr_private_segment_size 0
		.amdhsa_uses_dynamic_stack 0
		.amdhsa_system_sgpr_private_segment_wavefront_offset 0
		.amdhsa_system_sgpr_workgroup_id_x 1
		.amdhsa_system_sgpr_workgroup_id_y 0
		.amdhsa_system_sgpr_workgroup_id_z 0
		.amdhsa_system_sgpr_workgroup_info 0
		.amdhsa_system_vgpr_workitem_id 0
		.amdhsa_next_free_vgpr 1
		.amdhsa_next_free_sgpr 0
		.amdhsa_accum_offset 4
		.amdhsa_reserve_vcc 0
		.amdhsa_reserve_flat_scratch 0
		.amdhsa_float_round_mode_32 0
		.amdhsa_float_round_mode_16_64 0
		.amdhsa_float_denorm_mode_32 3
		.amdhsa_float_denorm_mode_16_64 3
		.amdhsa_dx10_clamp 1
		.amdhsa_ieee_mode 1
		.amdhsa_fp16_overflow 0
		.amdhsa_tg_split 0
		.amdhsa_exception_fp_ieee_invalid_op 0
		.amdhsa_exception_fp_denorm_src 0
		.amdhsa_exception_fp_ieee_div_zero 0
		.amdhsa_exception_fp_ieee_overflow 0
		.amdhsa_exception_fp_ieee_underflow 0
		.amdhsa_exception_fp_ieee_inexact 0
		.amdhsa_exception_int_div_zero 0
	.end_amdhsa_kernel
	.section	.text._ZN7rocprim17ROCPRIM_400000_NS6detail17trampoline_kernelINS0_14default_configENS1_35radix_sort_onesweep_config_selectorIxNS0_10empty_typeEEEZNS1_34radix_sort_onesweep_global_offsetsIS3_Lb0EPxPS5_mNS0_19identity_decomposerEEE10hipError_tT1_T2_PT3_SE_jT4_jjP12ihipStream_tbEUlT_E0_NS1_11comp_targetILNS1_3genE9ELNS1_11target_archE1100ELNS1_3gpuE3ELNS1_3repE0EEENS1_52radix_sort_onesweep_histogram_config_static_selectorELNS0_4arch9wavefront6targetE1EEEvSC_,"axG",@progbits,_ZN7rocprim17ROCPRIM_400000_NS6detail17trampoline_kernelINS0_14default_configENS1_35radix_sort_onesweep_config_selectorIxNS0_10empty_typeEEEZNS1_34radix_sort_onesweep_global_offsetsIS3_Lb0EPxPS5_mNS0_19identity_decomposerEEE10hipError_tT1_T2_PT3_SE_jT4_jjP12ihipStream_tbEUlT_E0_NS1_11comp_targetILNS1_3genE9ELNS1_11target_archE1100ELNS1_3gpuE3ELNS1_3repE0EEENS1_52radix_sort_onesweep_histogram_config_static_selectorELNS0_4arch9wavefront6targetE1EEEvSC_,comdat
.Lfunc_end1088:
	.size	_ZN7rocprim17ROCPRIM_400000_NS6detail17trampoline_kernelINS0_14default_configENS1_35radix_sort_onesweep_config_selectorIxNS0_10empty_typeEEEZNS1_34radix_sort_onesweep_global_offsetsIS3_Lb0EPxPS5_mNS0_19identity_decomposerEEE10hipError_tT1_T2_PT3_SE_jT4_jjP12ihipStream_tbEUlT_E0_NS1_11comp_targetILNS1_3genE9ELNS1_11target_archE1100ELNS1_3gpuE3ELNS1_3repE0EEENS1_52radix_sort_onesweep_histogram_config_static_selectorELNS0_4arch9wavefront6targetE1EEEvSC_, .Lfunc_end1088-_ZN7rocprim17ROCPRIM_400000_NS6detail17trampoline_kernelINS0_14default_configENS1_35radix_sort_onesweep_config_selectorIxNS0_10empty_typeEEEZNS1_34radix_sort_onesweep_global_offsetsIS3_Lb0EPxPS5_mNS0_19identity_decomposerEEE10hipError_tT1_T2_PT3_SE_jT4_jjP12ihipStream_tbEUlT_E0_NS1_11comp_targetILNS1_3genE9ELNS1_11target_archE1100ELNS1_3gpuE3ELNS1_3repE0EEENS1_52radix_sort_onesweep_histogram_config_static_selectorELNS0_4arch9wavefront6targetE1EEEvSC_
                                        ; -- End function
	.section	.AMDGPU.csdata,"",@progbits
; Kernel info:
; codeLenInByte = 0
; NumSgprs: 4
; NumVgprs: 0
; NumAgprs: 0
; TotalNumVgprs: 0
; ScratchSize: 0
; MemoryBound: 0
; FloatMode: 240
; IeeeMode: 1
; LDSByteSize: 0 bytes/workgroup (compile time only)
; SGPRBlocks: 0
; VGPRBlocks: 0
; NumSGPRsForWavesPerEU: 4
; NumVGPRsForWavesPerEU: 1
; AccumOffset: 4
; Occupancy: 8
; WaveLimiterHint : 0
; COMPUTE_PGM_RSRC2:SCRATCH_EN: 0
; COMPUTE_PGM_RSRC2:USER_SGPR: 6
; COMPUTE_PGM_RSRC2:TRAP_HANDLER: 0
; COMPUTE_PGM_RSRC2:TGID_X_EN: 1
; COMPUTE_PGM_RSRC2:TGID_Y_EN: 0
; COMPUTE_PGM_RSRC2:TGID_Z_EN: 0
; COMPUTE_PGM_RSRC2:TIDIG_COMP_CNT: 0
; COMPUTE_PGM_RSRC3_GFX90A:ACCUM_OFFSET: 0
; COMPUTE_PGM_RSRC3_GFX90A:TG_SPLIT: 0
	.section	.text._ZN7rocprim17ROCPRIM_400000_NS6detail17trampoline_kernelINS0_14default_configENS1_35radix_sort_onesweep_config_selectorIxNS0_10empty_typeEEEZNS1_34radix_sort_onesweep_global_offsetsIS3_Lb0EPxPS5_mNS0_19identity_decomposerEEE10hipError_tT1_T2_PT3_SE_jT4_jjP12ihipStream_tbEUlT_E0_NS1_11comp_targetILNS1_3genE8ELNS1_11target_archE1030ELNS1_3gpuE2ELNS1_3repE0EEENS1_52radix_sort_onesweep_histogram_config_static_selectorELNS0_4arch9wavefront6targetE1EEEvSC_,"axG",@progbits,_ZN7rocprim17ROCPRIM_400000_NS6detail17trampoline_kernelINS0_14default_configENS1_35radix_sort_onesweep_config_selectorIxNS0_10empty_typeEEEZNS1_34radix_sort_onesweep_global_offsetsIS3_Lb0EPxPS5_mNS0_19identity_decomposerEEE10hipError_tT1_T2_PT3_SE_jT4_jjP12ihipStream_tbEUlT_E0_NS1_11comp_targetILNS1_3genE8ELNS1_11target_archE1030ELNS1_3gpuE2ELNS1_3repE0EEENS1_52radix_sort_onesweep_histogram_config_static_selectorELNS0_4arch9wavefront6targetE1EEEvSC_,comdat
	.protected	_ZN7rocprim17ROCPRIM_400000_NS6detail17trampoline_kernelINS0_14default_configENS1_35radix_sort_onesweep_config_selectorIxNS0_10empty_typeEEEZNS1_34radix_sort_onesweep_global_offsetsIS3_Lb0EPxPS5_mNS0_19identity_decomposerEEE10hipError_tT1_T2_PT3_SE_jT4_jjP12ihipStream_tbEUlT_E0_NS1_11comp_targetILNS1_3genE8ELNS1_11target_archE1030ELNS1_3gpuE2ELNS1_3repE0EEENS1_52radix_sort_onesweep_histogram_config_static_selectorELNS0_4arch9wavefront6targetE1EEEvSC_ ; -- Begin function _ZN7rocprim17ROCPRIM_400000_NS6detail17trampoline_kernelINS0_14default_configENS1_35radix_sort_onesweep_config_selectorIxNS0_10empty_typeEEEZNS1_34radix_sort_onesweep_global_offsetsIS3_Lb0EPxPS5_mNS0_19identity_decomposerEEE10hipError_tT1_T2_PT3_SE_jT4_jjP12ihipStream_tbEUlT_E0_NS1_11comp_targetILNS1_3genE8ELNS1_11target_archE1030ELNS1_3gpuE2ELNS1_3repE0EEENS1_52radix_sort_onesweep_histogram_config_static_selectorELNS0_4arch9wavefront6targetE1EEEvSC_
	.globl	_ZN7rocprim17ROCPRIM_400000_NS6detail17trampoline_kernelINS0_14default_configENS1_35radix_sort_onesweep_config_selectorIxNS0_10empty_typeEEEZNS1_34radix_sort_onesweep_global_offsetsIS3_Lb0EPxPS5_mNS0_19identity_decomposerEEE10hipError_tT1_T2_PT3_SE_jT4_jjP12ihipStream_tbEUlT_E0_NS1_11comp_targetILNS1_3genE8ELNS1_11target_archE1030ELNS1_3gpuE2ELNS1_3repE0EEENS1_52radix_sort_onesweep_histogram_config_static_selectorELNS0_4arch9wavefront6targetE1EEEvSC_
	.p2align	8
	.type	_ZN7rocprim17ROCPRIM_400000_NS6detail17trampoline_kernelINS0_14default_configENS1_35radix_sort_onesweep_config_selectorIxNS0_10empty_typeEEEZNS1_34radix_sort_onesweep_global_offsetsIS3_Lb0EPxPS5_mNS0_19identity_decomposerEEE10hipError_tT1_T2_PT3_SE_jT4_jjP12ihipStream_tbEUlT_E0_NS1_11comp_targetILNS1_3genE8ELNS1_11target_archE1030ELNS1_3gpuE2ELNS1_3repE0EEENS1_52radix_sort_onesweep_histogram_config_static_selectorELNS0_4arch9wavefront6targetE1EEEvSC_,@function
_ZN7rocprim17ROCPRIM_400000_NS6detail17trampoline_kernelINS0_14default_configENS1_35radix_sort_onesweep_config_selectorIxNS0_10empty_typeEEEZNS1_34radix_sort_onesweep_global_offsetsIS3_Lb0EPxPS5_mNS0_19identity_decomposerEEE10hipError_tT1_T2_PT3_SE_jT4_jjP12ihipStream_tbEUlT_E0_NS1_11comp_targetILNS1_3genE8ELNS1_11target_archE1030ELNS1_3gpuE2ELNS1_3repE0EEENS1_52radix_sort_onesweep_histogram_config_static_selectorELNS0_4arch9wavefront6targetE1EEEvSC_: ; @_ZN7rocprim17ROCPRIM_400000_NS6detail17trampoline_kernelINS0_14default_configENS1_35radix_sort_onesweep_config_selectorIxNS0_10empty_typeEEEZNS1_34radix_sort_onesweep_global_offsetsIS3_Lb0EPxPS5_mNS0_19identity_decomposerEEE10hipError_tT1_T2_PT3_SE_jT4_jjP12ihipStream_tbEUlT_E0_NS1_11comp_targetILNS1_3genE8ELNS1_11target_archE1030ELNS1_3gpuE2ELNS1_3repE0EEENS1_52radix_sort_onesweep_histogram_config_static_selectorELNS0_4arch9wavefront6targetE1EEEvSC_
; %bb.0:
	.section	.rodata,"a",@progbits
	.p2align	6, 0x0
	.amdhsa_kernel _ZN7rocprim17ROCPRIM_400000_NS6detail17trampoline_kernelINS0_14default_configENS1_35radix_sort_onesweep_config_selectorIxNS0_10empty_typeEEEZNS1_34radix_sort_onesweep_global_offsetsIS3_Lb0EPxPS5_mNS0_19identity_decomposerEEE10hipError_tT1_T2_PT3_SE_jT4_jjP12ihipStream_tbEUlT_E0_NS1_11comp_targetILNS1_3genE8ELNS1_11target_archE1030ELNS1_3gpuE2ELNS1_3repE0EEENS1_52radix_sort_onesweep_histogram_config_static_selectorELNS0_4arch9wavefront6targetE1EEEvSC_
		.amdhsa_group_segment_fixed_size 0
		.amdhsa_private_segment_fixed_size 0
		.amdhsa_kernarg_size 8
		.amdhsa_user_sgpr_count 6
		.amdhsa_user_sgpr_private_segment_buffer 1
		.amdhsa_user_sgpr_dispatch_ptr 0
		.amdhsa_user_sgpr_queue_ptr 0
		.amdhsa_user_sgpr_kernarg_segment_ptr 1
		.amdhsa_user_sgpr_dispatch_id 0
		.amdhsa_user_sgpr_flat_scratch_init 0
		.amdhsa_user_sgpr_kernarg_preload_length 0
		.amdhsa_user_sgpr_kernarg_preload_offset 0
		.amdhsa_user_sgpr_private_segment_size 0
		.amdhsa_uses_dynamic_stack 0
		.amdhsa_system_sgpr_private_segment_wavefront_offset 0
		.amdhsa_system_sgpr_workgroup_id_x 1
		.amdhsa_system_sgpr_workgroup_id_y 0
		.amdhsa_system_sgpr_workgroup_id_z 0
		.amdhsa_system_sgpr_workgroup_info 0
		.amdhsa_system_vgpr_workitem_id 0
		.amdhsa_next_free_vgpr 1
		.amdhsa_next_free_sgpr 0
		.amdhsa_accum_offset 4
		.amdhsa_reserve_vcc 0
		.amdhsa_reserve_flat_scratch 0
		.amdhsa_float_round_mode_32 0
		.amdhsa_float_round_mode_16_64 0
		.amdhsa_float_denorm_mode_32 3
		.amdhsa_float_denorm_mode_16_64 3
		.amdhsa_dx10_clamp 1
		.amdhsa_ieee_mode 1
		.amdhsa_fp16_overflow 0
		.amdhsa_tg_split 0
		.amdhsa_exception_fp_ieee_invalid_op 0
		.amdhsa_exception_fp_denorm_src 0
		.amdhsa_exception_fp_ieee_div_zero 0
		.amdhsa_exception_fp_ieee_overflow 0
		.amdhsa_exception_fp_ieee_underflow 0
		.amdhsa_exception_fp_ieee_inexact 0
		.amdhsa_exception_int_div_zero 0
	.end_amdhsa_kernel
	.section	.text._ZN7rocprim17ROCPRIM_400000_NS6detail17trampoline_kernelINS0_14default_configENS1_35radix_sort_onesweep_config_selectorIxNS0_10empty_typeEEEZNS1_34radix_sort_onesweep_global_offsetsIS3_Lb0EPxPS5_mNS0_19identity_decomposerEEE10hipError_tT1_T2_PT3_SE_jT4_jjP12ihipStream_tbEUlT_E0_NS1_11comp_targetILNS1_3genE8ELNS1_11target_archE1030ELNS1_3gpuE2ELNS1_3repE0EEENS1_52radix_sort_onesweep_histogram_config_static_selectorELNS0_4arch9wavefront6targetE1EEEvSC_,"axG",@progbits,_ZN7rocprim17ROCPRIM_400000_NS6detail17trampoline_kernelINS0_14default_configENS1_35radix_sort_onesweep_config_selectorIxNS0_10empty_typeEEEZNS1_34radix_sort_onesweep_global_offsetsIS3_Lb0EPxPS5_mNS0_19identity_decomposerEEE10hipError_tT1_T2_PT3_SE_jT4_jjP12ihipStream_tbEUlT_E0_NS1_11comp_targetILNS1_3genE8ELNS1_11target_archE1030ELNS1_3gpuE2ELNS1_3repE0EEENS1_52radix_sort_onesweep_histogram_config_static_selectorELNS0_4arch9wavefront6targetE1EEEvSC_,comdat
.Lfunc_end1089:
	.size	_ZN7rocprim17ROCPRIM_400000_NS6detail17trampoline_kernelINS0_14default_configENS1_35radix_sort_onesweep_config_selectorIxNS0_10empty_typeEEEZNS1_34radix_sort_onesweep_global_offsetsIS3_Lb0EPxPS5_mNS0_19identity_decomposerEEE10hipError_tT1_T2_PT3_SE_jT4_jjP12ihipStream_tbEUlT_E0_NS1_11comp_targetILNS1_3genE8ELNS1_11target_archE1030ELNS1_3gpuE2ELNS1_3repE0EEENS1_52radix_sort_onesweep_histogram_config_static_selectorELNS0_4arch9wavefront6targetE1EEEvSC_, .Lfunc_end1089-_ZN7rocprim17ROCPRIM_400000_NS6detail17trampoline_kernelINS0_14default_configENS1_35radix_sort_onesweep_config_selectorIxNS0_10empty_typeEEEZNS1_34radix_sort_onesweep_global_offsetsIS3_Lb0EPxPS5_mNS0_19identity_decomposerEEE10hipError_tT1_T2_PT3_SE_jT4_jjP12ihipStream_tbEUlT_E0_NS1_11comp_targetILNS1_3genE8ELNS1_11target_archE1030ELNS1_3gpuE2ELNS1_3repE0EEENS1_52radix_sort_onesweep_histogram_config_static_selectorELNS0_4arch9wavefront6targetE1EEEvSC_
                                        ; -- End function
	.section	.AMDGPU.csdata,"",@progbits
; Kernel info:
; codeLenInByte = 0
; NumSgprs: 4
; NumVgprs: 0
; NumAgprs: 0
; TotalNumVgprs: 0
; ScratchSize: 0
; MemoryBound: 0
; FloatMode: 240
; IeeeMode: 1
; LDSByteSize: 0 bytes/workgroup (compile time only)
; SGPRBlocks: 0
; VGPRBlocks: 0
; NumSGPRsForWavesPerEU: 4
; NumVGPRsForWavesPerEU: 1
; AccumOffset: 4
; Occupancy: 8
; WaveLimiterHint : 0
; COMPUTE_PGM_RSRC2:SCRATCH_EN: 0
; COMPUTE_PGM_RSRC2:USER_SGPR: 6
; COMPUTE_PGM_RSRC2:TRAP_HANDLER: 0
; COMPUTE_PGM_RSRC2:TGID_X_EN: 1
; COMPUTE_PGM_RSRC2:TGID_Y_EN: 0
; COMPUTE_PGM_RSRC2:TGID_Z_EN: 0
; COMPUTE_PGM_RSRC2:TIDIG_COMP_CNT: 0
; COMPUTE_PGM_RSRC3_GFX90A:ACCUM_OFFSET: 0
; COMPUTE_PGM_RSRC3_GFX90A:TG_SPLIT: 0
	.section	.text._ZN7rocprim17ROCPRIM_400000_NS6detail17trampoline_kernelINS0_14default_configENS1_35radix_sort_onesweep_config_selectorIxNS0_10empty_typeEEEZZNS1_29radix_sort_onesweep_iterationIS3_Lb0EPxS8_PS5_S9_mNS0_19identity_decomposerENS1_16block_id_wrapperIjLb1EEEEE10hipError_tT1_PNSt15iterator_traitsISE_E10value_typeET2_T3_PNSF_ISK_E10value_typeET4_T5_PSP_SQ_PNS1_23onesweep_lookback_stateEbbT6_jjT7_P12ihipStream_tbENKUlT_T0_SE_SJ_E_clIS8_S8_S9_S9_EEDaSX_SY_SE_SJ_EUlSX_E_NS1_11comp_targetILNS1_3genE0ELNS1_11target_archE4294967295ELNS1_3gpuE0ELNS1_3repE0EEENS1_47radix_sort_onesweep_sort_config_static_selectorELNS0_4arch9wavefront6targetE1EEEvSE_,"axG",@progbits,_ZN7rocprim17ROCPRIM_400000_NS6detail17trampoline_kernelINS0_14default_configENS1_35radix_sort_onesweep_config_selectorIxNS0_10empty_typeEEEZZNS1_29radix_sort_onesweep_iterationIS3_Lb0EPxS8_PS5_S9_mNS0_19identity_decomposerENS1_16block_id_wrapperIjLb1EEEEE10hipError_tT1_PNSt15iterator_traitsISE_E10value_typeET2_T3_PNSF_ISK_E10value_typeET4_T5_PSP_SQ_PNS1_23onesweep_lookback_stateEbbT6_jjT7_P12ihipStream_tbENKUlT_T0_SE_SJ_E_clIS8_S8_S9_S9_EEDaSX_SY_SE_SJ_EUlSX_E_NS1_11comp_targetILNS1_3genE0ELNS1_11target_archE4294967295ELNS1_3gpuE0ELNS1_3repE0EEENS1_47radix_sort_onesweep_sort_config_static_selectorELNS0_4arch9wavefront6targetE1EEEvSE_,comdat
	.protected	_ZN7rocprim17ROCPRIM_400000_NS6detail17trampoline_kernelINS0_14default_configENS1_35radix_sort_onesweep_config_selectorIxNS0_10empty_typeEEEZZNS1_29radix_sort_onesweep_iterationIS3_Lb0EPxS8_PS5_S9_mNS0_19identity_decomposerENS1_16block_id_wrapperIjLb1EEEEE10hipError_tT1_PNSt15iterator_traitsISE_E10value_typeET2_T3_PNSF_ISK_E10value_typeET4_T5_PSP_SQ_PNS1_23onesweep_lookback_stateEbbT6_jjT7_P12ihipStream_tbENKUlT_T0_SE_SJ_E_clIS8_S8_S9_S9_EEDaSX_SY_SE_SJ_EUlSX_E_NS1_11comp_targetILNS1_3genE0ELNS1_11target_archE4294967295ELNS1_3gpuE0ELNS1_3repE0EEENS1_47radix_sort_onesweep_sort_config_static_selectorELNS0_4arch9wavefront6targetE1EEEvSE_ ; -- Begin function _ZN7rocprim17ROCPRIM_400000_NS6detail17trampoline_kernelINS0_14default_configENS1_35radix_sort_onesweep_config_selectorIxNS0_10empty_typeEEEZZNS1_29radix_sort_onesweep_iterationIS3_Lb0EPxS8_PS5_S9_mNS0_19identity_decomposerENS1_16block_id_wrapperIjLb1EEEEE10hipError_tT1_PNSt15iterator_traitsISE_E10value_typeET2_T3_PNSF_ISK_E10value_typeET4_T5_PSP_SQ_PNS1_23onesweep_lookback_stateEbbT6_jjT7_P12ihipStream_tbENKUlT_T0_SE_SJ_E_clIS8_S8_S9_S9_EEDaSX_SY_SE_SJ_EUlSX_E_NS1_11comp_targetILNS1_3genE0ELNS1_11target_archE4294967295ELNS1_3gpuE0ELNS1_3repE0EEENS1_47radix_sort_onesweep_sort_config_static_selectorELNS0_4arch9wavefront6targetE1EEEvSE_
	.globl	_ZN7rocprim17ROCPRIM_400000_NS6detail17trampoline_kernelINS0_14default_configENS1_35radix_sort_onesweep_config_selectorIxNS0_10empty_typeEEEZZNS1_29radix_sort_onesweep_iterationIS3_Lb0EPxS8_PS5_S9_mNS0_19identity_decomposerENS1_16block_id_wrapperIjLb1EEEEE10hipError_tT1_PNSt15iterator_traitsISE_E10value_typeET2_T3_PNSF_ISK_E10value_typeET4_T5_PSP_SQ_PNS1_23onesweep_lookback_stateEbbT6_jjT7_P12ihipStream_tbENKUlT_T0_SE_SJ_E_clIS8_S8_S9_S9_EEDaSX_SY_SE_SJ_EUlSX_E_NS1_11comp_targetILNS1_3genE0ELNS1_11target_archE4294967295ELNS1_3gpuE0ELNS1_3repE0EEENS1_47radix_sort_onesweep_sort_config_static_selectorELNS0_4arch9wavefront6targetE1EEEvSE_
	.p2align	8
	.type	_ZN7rocprim17ROCPRIM_400000_NS6detail17trampoline_kernelINS0_14default_configENS1_35radix_sort_onesweep_config_selectorIxNS0_10empty_typeEEEZZNS1_29radix_sort_onesweep_iterationIS3_Lb0EPxS8_PS5_S9_mNS0_19identity_decomposerENS1_16block_id_wrapperIjLb1EEEEE10hipError_tT1_PNSt15iterator_traitsISE_E10value_typeET2_T3_PNSF_ISK_E10value_typeET4_T5_PSP_SQ_PNS1_23onesweep_lookback_stateEbbT6_jjT7_P12ihipStream_tbENKUlT_T0_SE_SJ_E_clIS8_S8_S9_S9_EEDaSX_SY_SE_SJ_EUlSX_E_NS1_11comp_targetILNS1_3genE0ELNS1_11target_archE4294967295ELNS1_3gpuE0ELNS1_3repE0EEENS1_47radix_sort_onesweep_sort_config_static_selectorELNS0_4arch9wavefront6targetE1EEEvSE_,@function
_ZN7rocprim17ROCPRIM_400000_NS6detail17trampoline_kernelINS0_14default_configENS1_35radix_sort_onesweep_config_selectorIxNS0_10empty_typeEEEZZNS1_29radix_sort_onesweep_iterationIS3_Lb0EPxS8_PS5_S9_mNS0_19identity_decomposerENS1_16block_id_wrapperIjLb1EEEEE10hipError_tT1_PNSt15iterator_traitsISE_E10value_typeET2_T3_PNSF_ISK_E10value_typeET4_T5_PSP_SQ_PNS1_23onesweep_lookback_stateEbbT6_jjT7_P12ihipStream_tbENKUlT_T0_SE_SJ_E_clIS8_S8_S9_S9_EEDaSX_SY_SE_SJ_EUlSX_E_NS1_11comp_targetILNS1_3genE0ELNS1_11target_archE4294967295ELNS1_3gpuE0ELNS1_3repE0EEENS1_47radix_sort_onesweep_sort_config_static_selectorELNS0_4arch9wavefront6targetE1EEEvSE_: ; @_ZN7rocprim17ROCPRIM_400000_NS6detail17trampoline_kernelINS0_14default_configENS1_35radix_sort_onesweep_config_selectorIxNS0_10empty_typeEEEZZNS1_29radix_sort_onesweep_iterationIS3_Lb0EPxS8_PS5_S9_mNS0_19identity_decomposerENS1_16block_id_wrapperIjLb1EEEEE10hipError_tT1_PNSt15iterator_traitsISE_E10value_typeET2_T3_PNSF_ISK_E10value_typeET4_T5_PSP_SQ_PNS1_23onesweep_lookback_stateEbbT6_jjT7_P12ihipStream_tbENKUlT_T0_SE_SJ_E_clIS8_S8_S9_S9_EEDaSX_SY_SE_SJ_EUlSX_E_NS1_11comp_targetILNS1_3genE0ELNS1_11target_archE4294967295ELNS1_3gpuE0ELNS1_3repE0EEENS1_47radix_sort_onesweep_sort_config_static_selectorELNS0_4arch9wavefront6targetE1EEEvSE_
; %bb.0:
	.section	.rodata,"a",@progbits
	.p2align	6, 0x0
	.amdhsa_kernel _ZN7rocprim17ROCPRIM_400000_NS6detail17trampoline_kernelINS0_14default_configENS1_35radix_sort_onesweep_config_selectorIxNS0_10empty_typeEEEZZNS1_29radix_sort_onesweep_iterationIS3_Lb0EPxS8_PS5_S9_mNS0_19identity_decomposerENS1_16block_id_wrapperIjLb1EEEEE10hipError_tT1_PNSt15iterator_traitsISE_E10value_typeET2_T3_PNSF_ISK_E10value_typeET4_T5_PSP_SQ_PNS1_23onesweep_lookback_stateEbbT6_jjT7_P12ihipStream_tbENKUlT_T0_SE_SJ_E_clIS8_S8_S9_S9_EEDaSX_SY_SE_SJ_EUlSX_E_NS1_11comp_targetILNS1_3genE0ELNS1_11target_archE4294967295ELNS1_3gpuE0ELNS1_3repE0EEENS1_47radix_sort_onesweep_sort_config_static_selectorELNS0_4arch9wavefront6targetE1EEEvSE_
		.amdhsa_group_segment_fixed_size 0
		.amdhsa_private_segment_fixed_size 0
		.amdhsa_kernarg_size 88
		.amdhsa_user_sgpr_count 6
		.amdhsa_user_sgpr_private_segment_buffer 1
		.amdhsa_user_sgpr_dispatch_ptr 0
		.amdhsa_user_sgpr_queue_ptr 0
		.amdhsa_user_sgpr_kernarg_segment_ptr 1
		.amdhsa_user_sgpr_dispatch_id 0
		.amdhsa_user_sgpr_flat_scratch_init 0
		.amdhsa_user_sgpr_kernarg_preload_length 0
		.amdhsa_user_sgpr_kernarg_preload_offset 0
		.amdhsa_user_sgpr_private_segment_size 0
		.amdhsa_uses_dynamic_stack 0
		.amdhsa_system_sgpr_private_segment_wavefront_offset 0
		.amdhsa_system_sgpr_workgroup_id_x 1
		.amdhsa_system_sgpr_workgroup_id_y 0
		.amdhsa_system_sgpr_workgroup_id_z 0
		.amdhsa_system_sgpr_workgroup_info 0
		.amdhsa_system_vgpr_workitem_id 0
		.amdhsa_next_free_vgpr 1
		.amdhsa_next_free_sgpr 0
		.amdhsa_accum_offset 4
		.amdhsa_reserve_vcc 0
		.amdhsa_reserve_flat_scratch 0
		.amdhsa_float_round_mode_32 0
		.amdhsa_float_round_mode_16_64 0
		.amdhsa_float_denorm_mode_32 3
		.amdhsa_float_denorm_mode_16_64 3
		.amdhsa_dx10_clamp 1
		.amdhsa_ieee_mode 1
		.amdhsa_fp16_overflow 0
		.amdhsa_tg_split 0
		.amdhsa_exception_fp_ieee_invalid_op 0
		.amdhsa_exception_fp_denorm_src 0
		.amdhsa_exception_fp_ieee_div_zero 0
		.amdhsa_exception_fp_ieee_overflow 0
		.amdhsa_exception_fp_ieee_underflow 0
		.amdhsa_exception_fp_ieee_inexact 0
		.amdhsa_exception_int_div_zero 0
	.end_amdhsa_kernel
	.section	.text._ZN7rocprim17ROCPRIM_400000_NS6detail17trampoline_kernelINS0_14default_configENS1_35radix_sort_onesweep_config_selectorIxNS0_10empty_typeEEEZZNS1_29radix_sort_onesweep_iterationIS3_Lb0EPxS8_PS5_S9_mNS0_19identity_decomposerENS1_16block_id_wrapperIjLb1EEEEE10hipError_tT1_PNSt15iterator_traitsISE_E10value_typeET2_T3_PNSF_ISK_E10value_typeET4_T5_PSP_SQ_PNS1_23onesweep_lookback_stateEbbT6_jjT7_P12ihipStream_tbENKUlT_T0_SE_SJ_E_clIS8_S8_S9_S9_EEDaSX_SY_SE_SJ_EUlSX_E_NS1_11comp_targetILNS1_3genE0ELNS1_11target_archE4294967295ELNS1_3gpuE0ELNS1_3repE0EEENS1_47radix_sort_onesweep_sort_config_static_selectorELNS0_4arch9wavefront6targetE1EEEvSE_,"axG",@progbits,_ZN7rocprim17ROCPRIM_400000_NS6detail17trampoline_kernelINS0_14default_configENS1_35radix_sort_onesweep_config_selectorIxNS0_10empty_typeEEEZZNS1_29radix_sort_onesweep_iterationIS3_Lb0EPxS8_PS5_S9_mNS0_19identity_decomposerENS1_16block_id_wrapperIjLb1EEEEE10hipError_tT1_PNSt15iterator_traitsISE_E10value_typeET2_T3_PNSF_ISK_E10value_typeET4_T5_PSP_SQ_PNS1_23onesweep_lookback_stateEbbT6_jjT7_P12ihipStream_tbENKUlT_T0_SE_SJ_E_clIS8_S8_S9_S9_EEDaSX_SY_SE_SJ_EUlSX_E_NS1_11comp_targetILNS1_3genE0ELNS1_11target_archE4294967295ELNS1_3gpuE0ELNS1_3repE0EEENS1_47radix_sort_onesweep_sort_config_static_selectorELNS0_4arch9wavefront6targetE1EEEvSE_,comdat
.Lfunc_end1090:
	.size	_ZN7rocprim17ROCPRIM_400000_NS6detail17trampoline_kernelINS0_14default_configENS1_35radix_sort_onesweep_config_selectorIxNS0_10empty_typeEEEZZNS1_29radix_sort_onesweep_iterationIS3_Lb0EPxS8_PS5_S9_mNS0_19identity_decomposerENS1_16block_id_wrapperIjLb1EEEEE10hipError_tT1_PNSt15iterator_traitsISE_E10value_typeET2_T3_PNSF_ISK_E10value_typeET4_T5_PSP_SQ_PNS1_23onesweep_lookback_stateEbbT6_jjT7_P12ihipStream_tbENKUlT_T0_SE_SJ_E_clIS8_S8_S9_S9_EEDaSX_SY_SE_SJ_EUlSX_E_NS1_11comp_targetILNS1_3genE0ELNS1_11target_archE4294967295ELNS1_3gpuE0ELNS1_3repE0EEENS1_47radix_sort_onesweep_sort_config_static_selectorELNS0_4arch9wavefront6targetE1EEEvSE_, .Lfunc_end1090-_ZN7rocprim17ROCPRIM_400000_NS6detail17trampoline_kernelINS0_14default_configENS1_35radix_sort_onesweep_config_selectorIxNS0_10empty_typeEEEZZNS1_29radix_sort_onesweep_iterationIS3_Lb0EPxS8_PS5_S9_mNS0_19identity_decomposerENS1_16block_id_wrapperIjLb1EEEEE10hipError_tT1_PNSt15iterator_traitsISE_E10value_typeET2_T3_PNSF_ISK_E10value_typeET4_T5_PSP_SQ_PNS1_23onesweep_lookback_stateEbbT6_jjT7_P12ihipStream_tbENKUlT_T0_SE_SJ_E_clIS8_S8_S9_S9_EEDaSX_SY_SE_SJ_EUlSX_E_NS1_11comp_targetILNS1_3genE0ELNS1_11target_archE4294967295ELNS1_3gpuE0ELNS1_3repE0EEENS1_47radix_sort_onesweep_sort_config_static_selectorELNS0_4arch9wavefront6targetE1EEEvSE_
                                        ; -- End function
	.section	.AMDGPU.csdata,"",@progbits
; Kernel info:
; codeLenInByte = 0
; NumSgprs: 4
; NumVgprs: 0
; NumAgprs: 0
; TotalNumVgprs: 0
; ScratchSize: 0
; MemoryBound: 0
; FloatMode: 240
; IeeeMode: 1
; LDSByteSize: 0 bytes/workgroup (compile time only)
; SGPRBlocks: 0
; VGPRBlocks: 0
; NumSGPRsForWavesPerEU: 4
; NumVGPRsForWavesPerEU: 1
; AccumOffset: 4
; Occupancy: 8
; WaveLimiterHint : 0
; COMPUTE_PGM_RSRC2:SCRATCH_EN: 0
; COMPUTE_PGM_RSRC2:USER_SGPR: 6
; COMPUTE_PGM_RSRC2:TRAP_HANDLER: 0
; COMPUTE_PGM_RSRC2:TGID_X_EN: 1
; COMPUTE_PGM_RSRC2:TGID_Y_EN: 0
; COMPUTE_PGM_RSRC2:TGID_Z_EN: 0
; COMPUTE_PGM_RSRC2:TIDIG_COMP_CNT: 0
; COMPUTE_PGM_RSRC3_GFX90A:ACCUM_OFFSET: 0
; COMPUTE_PGM_RSRC3_GFX90A:TG_SPLIT: 0
	.section	.text._ZN7rocprim17ROCPRIM_400000_NS6detail17trampoline_kernelINS0_14default_configENS1_35radix_sort_onesweep_config_selectorIxNS0_10empty_typeEEEZZNS1_29radix_sort_onesweep_iterationIS3_Lb0EPxS8_PS5_S9_mNS0_19identity_decomposerENS1_16block_id_wrapperIjLb1EEEEE10hipError_tT1_PNSt15iterator_traitsISE_E10value_typeET2_T3_PNSF_ISK_E10value_typeET4_T5_PSP_SQ_PNS1_23onesweep_lookback_stateEbbT6_jjT7_P12ihipStream_tbENKUlT_T0_SE_SJ_E_clIS8_S8_S9_S9_EEDaSX_SY_SE_SJ_EUlSX_E_NS1_11comp_targetILNS1_3genE6ELNS1_11target_archE950ELNS1_3gpuE13ELNS1_3repE0EEENS1_47radix_sort_onesweep_sort_config_static_selectorELNS0_4arch9wavefront6targetE1EEEvSE_,"axG",@progbits,_ZN7rocprim17ROCPRIM_400000_NS6detail17trampoline_kernelINS0_14default_configENS1_35radix_sort_onesweep_config_selectorIxNS0_10empty_typeEEEZZNS1_29radix_sort_onesweep_iterationIS3_Lb0EPxS8_PS5_S9_mNS0_19identity_decomposerENS1_16block_id_wrapperIjLb1EEEEE10hipError_tT1_PNSt15iterator_traitsISE_E10value_typeET2_T3_PNSF_ISK_E10value_typeET4_T5_PSP_SQ_PNS1_23onesweep_lookback_stateEbbT6_jjT7_P12ihipStream_tbENKUlT_T0_SE_SJ_E_clIS8_S8_S9_S9_EEDaSX_SY_SE_SJ_EUlSX_E_NS1_11comp_targetILNS1_3genE6ELNS1_11target_archE950ELNS1_3gpuE13ELNS1_3repE0EEENS1_47radix_sort_onesweep_sort_config_static_selectorELNS0_4arch9wavefront6targetE1EEEvSE_,comdat
	.protected	_ZN7rocprim17ROCPRIM_400000_NS6detail17trampoline_kernelINS0_14default_configENS1_35radix_sort_onesweep_config_selectorIxNS0_10empty_typeEEEZZNS1_29radix_sort_onesweep_iterationIS3_Lb0EPxS8_PS5_S9_mNS0_19identity_decomposerENS1_16block_id_wrapperIjLb1EEEEE10hipError_tT1_PNSt15iterator_traitsISE_E10value_typeET2_T3_PNSF_ISK_E10value_typeET4_T5_PSP_SQ_PNS1_23onesweep_lookback_stateEbbT6_jjT7_P12ihipStream_tbENKUlT_T0_SE_SJ_E_clIS8_S8_S9_S9_EEDaSX_SY_SE_SJ_EUlSX_E_NS1_11comp_targetILNS1_3genE6ELNS1_11target_archE950ELNS1_3gpuE13ELNS1_3repE0EEENS1_47radix_sort_onesweep_sort_config_static_selectorELNS0_4arch9wavefront6targetE1EEEvSE_ ; -- Begin function _ZN7rocprim17ROCPRIM_400000_NS6detail17trampoline_kernelINS0_14default_configENS1_35radix_sort_onesweep_config_selectorIxNS0_10empty_typeEEEZZNS1_29radix_sort_onesweep_iterationIS3_Lb0EPxS8_PS5_S9_mNS0_19identity_decomposerENS1_16block_id_wrapperIjLb1EEEEE10hipError_tT1_PNSt15iterator_traitsISE_E10value_typeET2_T3_PNSF_ISK_E10value_typeET4_T5_PSP_SQ_PNS1_23onesweep_lookback_stateEbbT6_jjT7_P12ihipStream_tbENKUlT_T0_SE_SJ_E_clIS8_S8_S9_S9_EEDaSX_SY_SE_SJ_EUlSX_E_NS1_11comp_targetILNS1_3genE6ELNS1_11target_archE950ELNS1_3gpuE13ELNS1_3repE0EEENS1_47radix_sort_onesweep_sort_config_static_selectorELNS0_4arch9wavefront6targetE1EEEvSE_
	.globl	_ZN7rocprim17ROCPRIM_400000_NS6detail17trampoline_kernelINS0_14default_configENS1_35radix_sort_onesweep_config_selectorIxNS0_10empty_typeEEEZZNS1_29radix_sort_onesweep_iterationIS3_Lb0EPxS8_PS5_S9_mNS0_19identity_decomposerENS1_16block_id_wrapperIjLb1EEEEE10hipError_tT1_PNSt15iterator_traitsISE_E10value_typeET2_T3_PNSF_ISK_E10value_typeET4_T5_PSP_SQ_PNS1_23onesweep_lookback_stateEbbT6_jjT7_P12ihipStream_tbENKUlT_T0_SE_SJ_E_clIS8_S8_S9_S9_EEDaSX_SY_SE_SJ_EUlSX_E_NS1_11comp_targetILNS1_3genE6ELNS1_11target_archE950ELNS1_3gpuE13ELNS1_3repE0EEENS1_47radix_sort_onesweep_sort_config_static_selectorELNS0_4arch9wavefront6targetE1EEEvSE_
	.p2align	8
	.type	_ZN7rocprim17ROCPRIM_400000_NS6detail17trampoline_kernelINS0_14default_configENS1_35radix_sort_onesweep_config_selectorIxNS0_10empty_typeEEEZZNS1_29radix_sort_onesweep_iterationIS3_Lb0EPxS8_PS5_S9_mNS0_19identity_decomposerENS1_16block_id_wrapperIjLb1EEEEE10hipError_tT1_PNSt15iterator_traitsISE_E10value_typeET2_T3_PNSF_ISK_E10value_typeET4_T5_PSP_SQ_PNS1_23onesweep_lookback_stateEbbT6_jjT7_P12ihipStream_tbENKUlT_T0_SE_SJ_E_clIS8_S8_S9_S9_EEDaSX_SY_SE_SJ_EUlSX_E_NS1_11comp_targetILNS1_3genE6ELNS1_11target_archE950ELNS1_3gpuE13ELNS1_3repE0EEENS1_47radix_sort_onesweep_sort_config_static_selectorELNS0_4arch9wavefront6targetE1EEEvSE_,@function
_ZN7rocprim17ROCPRIM_400000_NS6detail17trampoline_kernelINS0_14default_configENS1_35radix_sort_onesweep_config_selectorIxNS0_10empty_typeEEEZZNS1_29radix_sort_onesweep_iterationIS3_Lb0EPxS8_PS5_S9_mNS0_19identity_decomposerENS1_16block_id_wrapperIjLb1EEEEE10hipError_tT1_PNSt15iterator_traitsISE_E10value_typeET2_T3_PNSF_ISK_E10value_typeET4_T5_PSP_SQ_PNS1_23onesweep_lookback_stateEbbT6_jjT7_P12ihipStream_tbENKUlT_T0_SE_SJ_E_clIS8_S8_S9_S9_EEDaSX_SY_SE_SJ_EUlSX_E_NS1_11comp_targetILNS1_3genE6ELNS1_11target_archE950ELNS1_3gpuE13ELNS1_3repE0EEENS1_47radix_sort_onesweep_sort_config_static_selectorELNS0_4arch9wavefront6targetE1EEEvSE_: ; @_ZN7rocprim17ROCPRIM_400000_NS6detail17trampoline_kernelINS0_14default_configENS1_35radix_sort_onesweep_config_selectorIxNS0_10empty_typeEEEZZNS1_29radix_sort_onesweep_iterationIS3_Lb0EPxS8_PS5_S9_mNS0_19identity_decomposerENS1_16block_id_wrapperIjLb1EEEEE10hipError_tT1_PNSt15iterator_traitsISE_E10value_typeET2_T3_PNSF_ISK_E10value_typeET4_T5_PSP_SQ_PNS1_23onesweep_lookback_stateEbbT6_jjT7_P12ihipStream_tbENKUlT_T0_SE_SJ_E_clIS8_S8_S9_S9_EEDaSX_SY_SE_SJ_EUlSX_E_NS1_11comp_targetILNS1_3genE6ELNS1_11target_archE950ELNS1_3gpuE13ELNS1_3repE0EEENS1_47radix_sort_onesweep_sort_config_static_selectorELNS0_4arch9wavefront6targetE1EEEvSE_
; %bb.0:
	.section	.rodata,"a",@progbits
	.p2align	6, 0x0
	.amdhsa_kernel _ZN7rocprim17ROCPRIM_400000_NS6detail17trampoline_kernelINS0_14default_configENS1_35radix_sort_onesweep_config_selectorIxNS0_10empty_typeEEEZZNS1_29radix_sort_onesweep_iterationIS3_Lb0EPxS8_PS5_S9_mNS0_19identity_decomposerENS1_16block_id_wrapperIjLb1EEEEE10hipError_tT1_PNSt15iterator_traitsISE_E10value_typeET2_T3_PNSF_ISK_E10value_typeET4_T5_PSP_SQ_PNS1_23onesweep_lookback_stateEbbT6_jjT7_P12ihipStream_tbENKUlT_T0_SE_SJ_E_clIS8_S8_S9_S9_EEDaSX_SY_SE_SJ_EUlSX_E_NS1_11comp_targetILNS1_3genE6ELNS1_11target_archE950ELNS1_3gpuE13ELNS1_3repE0EEENS1_47radix_sort_onesweep_sort_config_static_selectorELNS0_4arch9wavefront6targetE1EEEvSE_
		.amdhsa_group_segment_fixed_size 0
		.amdhsa_private_segment_fixed_size 0
		.amdhsa_kernarg_size 88
		.amdhsa_user_sgpr_count 6
		.amdhsa_user_sgpr_private_segment_buffer 1
		.amdhsa_user_sgpr_dispatch_ptr 0
		.amdhsa_user_sgpr_queue_ptr 0
		.amdhsa_user_sgpr_kernarg_segment_ptr 1
		.amdhsa_user_sgpr_dispatch_id 0
		.amdhsa_user_sgpr_flat_scratch_init 0
		.amdhsa_user_sgpr_kernarg_preload_length 0
		.amdhsa_user_sgpr_kernarg_preload_offset 0
		.amdhsa_user_sgpr_private_segment_size 0
		.amdhsa_uses_dynamic_stack 0
		.amdhsa_system_sgpr_private_segment_wavefront_offset 0
		.amdhsa_system_sgpr_workgroup_id_x 1
		.amdhsa_system_sgpr_workgroup_id_y 0
		.amdhsa_system_sgpr_workgroup_id_z 0
		.amdhsa_system_sgpr_workgroup_info 0
		.amdhsa_system_vgpr_workitem_id 0
		.amdhsa_next_free_vgpr 1
		.amdhsa_next_free_sgpr 0
		.amdhsa_accum_offset 4
		.amdhsa_reserve_vcc 0
		.amdhsa_reserve_flat_scratch 0
		.amdhsa_float_round_mode_32 0
		.amdhsa_float_round_mode_16_64 0
		.amdhsa_float_denorm_mode_32 3
		.amdhsa_float_denorm_mode_16_64 3
		.amdhsa_dx10_clamp 1
		.amdhsa_ieee_mode 1
		.amdhsa_fp16_overflow 0
		.amdhsa_tg_split 0
		.amdhsa_exception_fp_ieee_invalid_op 0
		.amdhsa_exception_fp_denorm_src 0
		.amdhsa_exception_fp_ieee_div_zero 0
		.amdhsa_exception_fp_ieee_overflow 0
		.amdhsa_exception_fp_ieee_underflow 0
		.amdhsa_exception_fp_ieee_inexact 0
		.amdhsa_exception_int_div_zero 0
	.end_amdhsa_kernel
	.section	.text._ZN7rocprim17ROCPRIM_400000_NS6detail17trampoline_kernelINS0_14default_configENS1_35radix_sort_onesweep_config_selectorIxNS0_10empty_typeEEEZZNS1_29radix_sort_onesweep_iterationIS3_Lb0EPxS8_PS5_S9_mNS0_19identity_decomposerENS1_16block_id_wrapperIjLb1EEEEE10hipError_tT1_PNSt15iterator_traitsISE_E10value_typeET2_T3_PNSF_ISK_E10value_typeET4_T5_PSP_SQ_PNS1_23onesweep_lookback_stateEbbT6_jjT7_P12ihipStream_tbENKUlT_T0_SE_SJ_E_clIS8_S8_S9_S9_EEDaSX_SY_SE_SJ_EUlSX_E_NS1_11comp_targetILNS1_3genE6ELNS1_11target_archE950ELNS1_3gpuE13ELNS1_3repE0EEENS1_47radix_sort_onesweep_sort_config_static_selectorELNS0_4arch9wavefront6targetE1EEEvSE_,"axG",@progbits,_ZN7rocprim17ROCPRIM_400000_NS6detail17trampoline_kernelINS0_14default_configENS1_35radix_sort_onesweep_config_selectorIxNS0_10empty_typeEEEZZNS1_29radix_sort_onesweep_iterationIS3_Lb0EPxS8_PS5_S9_mNS0_19identity_decomposerENS1_16block_id_wrapperIjLb1EEEEE10hipError_tT1_PNSt15iterator_traitsISE_E10value_typeET2_T3_PNSF_ISK_E10value_typeET4_T5_PSP_SQ_PNS1_23onesweep_lookback_stateEbbT6_jjT7_P12ihipStream_tbENKUlT_T0_SE_SJ_E_clIS8_S8_S9_S9_EEDaSX_SY_SE_SJ_EUlSX_E_NS1_11comp_targetILNS1_3genE6ELNS1_11target_archE950ELNS1_3gpuE13ELNS1_3repE0EEENS1_47radix_sort_onesweep_sort_config_static_selectorELNS0_4arch9wavefront6targetE1EEEvSE_,comdat
.Lfunc_end1091:
	.size	_ZN7rocprim17ROCPRIM_400000_NS6detail17trampoline_kernelINS0_14default_configENS1_35radix_sort_onesweep_config_selectorIxNS0_10empty_typeEEEZZNS1_29radix_sort_onesweep_iterationIS3_Lb0EPxS8_PS5_S9_mNS0_19identity_decomposerENS1_16block_id_wrapperIjLb1EEEEE10hipError_tT1_PNSt15iterator_traitsISE_E10value_typeET2_T3_PNSF_ISK_E10value_typeET4_T5_PSP_SQ_PNS1_23onesweep_lookback_stateEbbT6_jjT7_P12ihipStream_tbENKUlT_T0_SE_SJ_E_clIS8_S8_S9_S9_EEDaSX_SY_SE_SJ_EUlSX_E_NS1_11comp_targetILNS1_3genE6ELNS1_11target_archE950ELNS1_3gpuE13ELNS1_3repE0EEENS1_47radix_sort_onesweep_sort_config_static_selectorELNS0_4arch9wavefront6targetE1EEEvSE_, .Lfunc_end1091-_ZN7rocprim17ROCPRIM_400000_NS6detail17trampoline_kernelINS0_14default_configENS1_35radix_sort_onesweep_config_selectorIxNS0_10empty_typeEEEZZNS1_29radix_sort_onesweep_iterationIS3_Lb0EPxS8_PS5_S9_mNS0_19identity_decomposerENS1_16block_id_wrapperIjLb1EEEEE10hipError_tT1_PNSt15iterator_traitsISE_E10value_typeET2_T3_PNSF_ISK_E10value_typeET4_T5_PSP_SQ_PNS1_23onesweep_lookback_stateEbbT6_jjT7_P12ihipStream_tbENKUlT_T0_SE_SJ_E_clIS8_S8_S9_S9_EEDaSX_SY_SE_SJ_EUlSX_E_NS1_11comp_targetILNS1_3genE6ELNS1_11target_archE950ELNS1_3gpuE13ELNS1_3repE0EEENS1_47radix_sort_onesweep_sort_config_static_selectorELNS0_4arch9wavefront6targetE1EEEvSE_
                                        ; -- End function
	.section	.AMDGPU.csdata,"",@progbits
; Kernel info:
; codeLenInByte = 0
; NumSgprs: 4
; NumVgprs: 0
; NumAgprs: 0
; TotalNumVgprs: 0
; ScratchSize: 0
; MemoryBound: 0
; FloatMode: 240
; IeeeMode: 1
; LDSByteSize: 0 bytes/workgroup (compile time only)
; SGPRBlocks: 0
; VGPRBlocks: 0
; NumSGPRsForWavesPerEU: 4
; NumVGPRsForWavesPerEU: 1
; AccumOffset: 4
; Occupancy: 8
; WaveLimiterHint : 0
; COMPUTE_PGM_RSRC2:SCRATCH_EN: 0
; COMPUTE_PGM_RSRC2:USER_SGPR: 6
; COMPUTE_PGM_RSRC2:TRAP_HANDLER: 0
; COMPUTE_PGM_RSRC2:TGID_X_EN: 1
; COMPUTE_PGM_RSRC2:TGID_Y_EN: 0
; COMPUTE_PGM_RSRC2:TGID_Z_EN: 0
; COMPUTE_PGM_RSRC2:TIDIG_COMP_CNT: 0
; COMPUTE_PGM_RSRC3_GFX90A:ACCUM_OFFSET: 0
; COMPUTE_PGM_RSRC3_GFX90A:TG_SPLIT: 0
	.section	.text._ZN7rocprim17ROCPRIM_400000_NS6detail17trampoline_kernelINS0_14default_configENS1_35radix_sort_onesweep_config_selectorIxNS0_10empty_typeEEEZZNS1_29radix_sort_onesweep_iterationIS3_Lb0EPxS8_PS5_S9_mNS0_19identity_decomposerENS1_16block_id_wrapperIjLb1EEEEE10hipError_tT1_PNSt15iterator_traitsISE_E10value_typeET2_T3_PNSF_ISK_E10value_typeET4_T5_PSP_SQ_PNS1_23onesweep_lookback_stateEbbT6_jjT7_P12ihipStream_tbENKUlT_T0_SE_SJ_E_clIS8_S8_S9_S9_EEDaSX_SY_SE_SJ_EUlSX_E_NS1_11comp_targetILNS1_3genE5ELNS1_11target_archE942ELNS1_3gpuE9ELNS1_3repE0EEENS1_47radix_sort_onesweep_sort_config_static_selectorELNS0_4arch9wavefront6targetE1EEEvSE_,"axG",@progbits,_ZN7rocprim17ROCPRIM_400000_NS6detail17trampoline_kernelINS0_14default_configENS1_35radix_sort_onesweep_config_selectorIxNS0_10empty_typeEEEZZNS1_29radix_sort_onesweep_iterationIS3_Lb0EPxS8_PS5_S9_mNS0_19identity_decomposerENS1_16block_id_wrapperIjLb1EEEEE10hipError_tT1_PNSt15iterator_traitsISE_E10value_typeET2_T3_PNSF_ISK_E10value_typeET4_T5_PSP_SQ_PNS1_23onesweep_lookback_stateEbbT6_jjT7_P12ihipStream_tbENKUlT_T0_SE_SJ_E_clIS8_S8_S9_S9_EEDaSX_SY_SE_SJ_EUlSX_E_NS1_11comp_targetILNS1_3genE5ELNS1_11target_archE942ELNS1_3gpuE9ELNS1_3repE0EEENS1_47radix_sort_onesweep_sort_config_static_selectorELNS0_4arch9wavefront6targetE1EEEvSE_,comdat
	.protected	_ZN7rocprim17ROCPRIM_400000_NS6detail17trampoline_kernelINS0_14default_configENS1_35radix_sort_onesweep_config_selectorIxNS0_10empty_typeEEEZZNS1_29radix_sort_onesweep_iterationIS3_Lb0EPxS8_PS5_S9_mNS0_19identity_decomposerENS1_16block_id_wrapperIjLb1EEEEE10hipError_tT1_PNSt15iterator_traitsISE_E10value_typeET2_T3_PNSF_ISK_E10value_typeET4_T5_PSP_SQ_PNS1_23onesweep_lookback_stateEbbT6_jjT7_P12ihipStream_tbENKUlT_T0_SE_SJ_E_clIS8_S8_S9_S9_EEDaSX_SY_SE_SJ_EUlSX_E_NS1_11comp_targetILNS1_3genE5ELNS1_11target_archE942ELNS1_3gpuE9ELNS1_3repE0EEENS1_47radix_sort_onesweep_sort_config_static_selectorELNS0_4arch9wavefront6targetE1EEEvSE_ ; -- Begin function _ZN7rocprim17ROCPRIM_400000_NS6detail17trampoline_kernelINS0_14default_configENS1_35radix_sort_onesweep_config_selectorIxNS0_10empty_typeEEEZZNS1_29radix_sort_onesweep_iterationIS3_Lb0EPxS8_PS5_S9_mNS0_19identity_decomposerENS1_16block_id_wrapperIjLb1EEEEE10hipError_tT1_PNSt15iterator_traitsISE_E10value_typeET2_T3_PNSF_ISK_E10value_typeET4_T5_PSP_SQ_PNS1_23onesweep_lookback_stateEbbT6_jjT7_P12ihipStream_tbENKUlT_T0_SE_SJ_E_clIS8_S8_S9_S9_EEDaSX_SY_SE_SJ_EUlSX_E_NS1_11comp_targetILNS1_3genE5ELNS1_11target_archE942ELNS1_3gpuE9ELNS1_3repE0EEENS1_47radix_sort_onesweep_sort_config_static_selectorELNS0_4arch9wavefront6targetE1EEEvSE_
	.globl	_ZN7rocprim17ROCPRIM_400000_NS6detail17trampoline_kernelINS0_14default_configENS1_35radix_sort_onesweep_config_selectorIxNS0_10empty_typeEEEZZNS1_29radix_sort_onesweep_iterationIS3_Lb0EPxS8_PS5_S9_mNS0_19identity_decomposerENS1_16block_id_wrapperIjLb1EEEEE10hipError_tT1_PNSt15iterator_traitsISE_E10value_typeET2_T3_PNSF_ISK_E10value_typeET4_T5_PSP_SQ_PNS1_23onesweep_lookback_stateEbbT6_jjT7_P12ihipStream_tbENKUlT_T0_SE_SJ_E_clIS8_S8_S9_S9_EEDaSX_SY_SE_SJ_EUlSX_E_NS1_11comp_targetILNS1_3genE5ELNS1_11target_archE942ELNS1_3gpuE9ELNS1_3repE0EEENS1_47radix_sort_onesweep_sort_config_static_selectorELNS0_4arch9wavefront6targetE1EEEvSE_
	.p2align	8
	.type	_ZN7rocprim17ROCPRIM_400000_NS6detail17trampoline_kernelINS0_14default_configENS1_35radix_sort_onesweep_config_selectorIxNS0_10empty_typeEEEZZNS1_29radix_sort_onesweep_iterationIS3_Lb0EPxS8_PS5_S9_mNS0_19identity_decomposerENS1_16block_id_wrapperIjLb1EEEEE10hipError_tT1_PNSt15iterator_traitsISE_E10value_typeET2_T3_PNSF_ISK_E10value_typeET4_T5_PSP_SQ_PNS1_23onesweep_lookback_stateEbbT6_jjT7_P12ihipStream_tbENKUlT_T0_SE_SJ_E_clIS8_S8_S9_S9_EEDaSX_SY_SE_SJ_EUlSX_E_NS1_11comp_targetILNS1_3genE5ELNS1_11target_archE942ELNS1_3gpuE9ELNS1_3repE0EEENS1_47radix_sort_onesweep_sort_config_static_selectorELNS0_4arch9wavefront6targetE1EEEvSE_,@function
_ZN7rocprim17ROCPRIM_400000_NS6detail17trampoline_kernelINS0_14default_configENS1_35radix_sort_onesweep_config_selectorIxNS0_10empty_typeEEEZZNS1_29radix_sort_onesweep_iterationIS3_Lb0EPxS8_PS5_S9_mNS0_19identity_decomposerENS1_16block_id_wrapperIjLb1EEEEE10hipError_tT1_PNSt15iterator_traitsISE_E10value_typeET2_T3_PNSF_ISK_E10value_typeET4_T5_PSP_SQ_PNS1_23onesweep_lookback_stateEbbT6_jjT7_P12ihipStream_tbENKUlT_T0_SE_SJ_E_clIS8_S8_S9_S9_EEDaSX_SY_SE_SJ_EUlSX_E_NS1_11comp_targetILNS1_3genE5ELNS1_11target_archE942ELNS1_3gpuE9ELNS1_3repE0EEENS1_47radix_sort_onesweep_sort_config_static_selectorELNS0_4arch9wavefront6targetE1EEEvSE_: ; @_ZN7rocprim17ROCPRIM_400000_NS6detail17trampoline_kernelINS0_14default_configENS1_35radix_sort_onesweep_config_selectorIxNS0_10empty_typeEEEZZNS1_29radix_sort_onesweep_iterationIS3_Lb0EPxS8_PS5_S9_mNS0_19identity_decomposerENS1_16block_id_wrapperIjLb1EEEEE10hipError_tT1_PNSt15iterator_traitsISE_E10value_typeET2_T3_PNSF_ISK_E10value_typeET4_T5_PSP_SQ_PNS1_23onesweep_lookback_stateEbbT6_jjT7_P12ihipStream_tbENKUlT_T0_SE_SJ_E_clIS8_S8_S9_S9_EEDaSX_SY_SE_SJ_EUlSX_E_NS1_11comp_targetILNS1_3genE5ELNS1_11target_archE942ELNS1_3gpuE9ELNS1_3repE0EEENS1_47radix_sort_onesweep_sort_config_static_selectorELNS0_4arch9wavefront6targetE1EEEvSE_
; %bb.0:
	.section	.rodata,"a",@progbits
	.p2align	6, 0x0
	.amdhsa_kernel _ZN7rocprim17ROCPRIM_400000_NS6detail17trampoline_kernelINS0_14default_configENS1_35radix_sort_onesweep_config_selectorIxNS0_10empty_typeEEEZZNS1_29radix_sort_onesweep_iterationIS3_Lb0EPxS8_PS5_S9_mNS0_19identity_decomposerENS1_16block_id_wrapperIjLb1EEEEE10hipError_tT1_PNSt15iterator_traitsISE_E10value_typeET2_T3_PNSF_ISK_E10value_typeET4_T5_PSP_SQ_PNS1_23onesweep_lookback_stateEbbT6_jjT7_P12ihipStream_tbENKUlT_T0_SE_SJ_E_clIS8_S8_S9_S9_EEDaSX_SY_SE_SJ_EUlSX_E_NS1_11comp_targetILNS1_3genE5ELNS1_11target_archE942ELNS1_3gpuE9ELNS1_3repE0EEENS1_47radix_sort_onesweep_sort_config_static_selectorELNS0_4arch9wavefront6targetE1EEEvSE_
		.amdhsa_group_segment_fixed_size 0
		.amdhsa_private_segment_fixed_size 0
		.amdhsa_kernarg_size 88
		.amdhsa_user_sgpr_count 6
		.amdhsa_user_sgpr_private_segment_buffer 1
		.amdhsa_user_sgpr_dispatch_ptr 0
		.amdhsa_user_sgpr_queue_ptr 0
		.amdhsa_user_sgpr_kernarg_segment_ptr 1
		.amdhsa_user_sgpr_dispatch_id 0
		.amdhsa_user_sgpr_flat_scratch_init 0
		.amdhsa_user_sgpr_kernarg_preload_length 0
		.amdhsa_user_sgpr_kernarg_preload_offset 0
		.amdhsa_user_sgpr_private_segment_size 0
		.amdhsa_uses_dynamic_stack 0
		.amdhsa_system_sgpr_private_segment_wavefront_offset 0
		.amdhsa_system_sgpr_workgroup_id_x 1
		.amdhsa_system_sgpr_workgroup_id_y 0
		.amdhsa_system_sgpr_workgroup_id_z 0
		.amdhsa_system_sgpr_workgroup_info 0
		.amdhsa_system_vgpr_workitem_id 0
		.amdhsa_next_free_vgpr 1
		.amdhsa_next_free_sgpr 0
		.amdhsa_accum_offset 4
		.amdhsa_reserve_vcc 0
		.amdhsa_reserve_flat_scratch 0
		.amdhsa_float_round_mode_32 0
		.amdhsa_float_round_mode_16_64 0
		.amdhsa_float_denorm_mode_32 3
		.amdhsa_float_denorm_mode_16_64 3
		.amdhsa_dx10_clamp 1
		.amdhsa_ieee_mode 1
		.amdhsa_fp16_overflow 0
		.amdhsa_tg_split 0
		.amdhsa_exception_fp_ieee_invalid_op 0
		.amdhsa_exception_fp_denorm_src 0
		.amdhsa_exception_fp_ieee_div_zero 0
		.amdhsa_exception_fp_ieee_overflow 0
		.amdhsa_exception_fp_ieee_underflow 0
		.amdhsa_exception_fp_ieee_inexact 0
		.amdhsa_exception_int_div_zero 0
	.end_amdhsa_kernel
	.section	.text._ZN7rocprim17ROCPRIM_400000_NS6detail17trampoline_kernelINS0_14default_configENS1_35radix_sort_onesweep_config_selectorIxNS0_10empty_typeEEEZZNS1_29radix_sort_onesweep_iterationIS3_Lb0EPxS8_PS5_S9_mNS0_19identity_decomposerENS1_16block_id_wrapperIjLb1EEEEE10hipError_tT1_PNSt15iterator_traitsISE_E10value_typeET2_T3_PNSF_ISK_E10value_typeET4_T5_PSP_SQ_PNS1_23onesweep_lookback_stateEbbT6_jjT7_P12ihipStream_tbENKUlT_T0_SE_SJ_E_clIS8_S8_S9_S9_EEDaSX_SY_SE_SJ_EUlSX_E_NS1_11comp_targetILNS1_3genE5ELNS1_11target_archE942ELNS1_3gpuE9ELNS1_3repE0EEENS1_47radix_sort_onesweep_sort_config_static_selectorELNS0_4arch9wavefront6targetE1EEEvSE_,"axG",@progbits,_ZN7rocprim17ROCPRIM_400000_NS6detail17trampoline_kernelINS0_14default_configENS1_35radix_sort_onesweep_config_selectorIxNS0_10empty_typeEEEZZNS1_29radix_sort_onesweep_iterationIS3_Lb0EPxS8_PS5_S9_mNS0_19identity_decomposerENS1_16block_id_wrapperIjLb1EEEEE10hipError_tT1_PNSt15iterator_traitsISE_E10value_typeET2_T3_PNSF_ISK_E10value_typeET4_T5_PSP_SQ_PNS1_23onesweep_lookback_stateEbbT6_jjT7_P12ihipStream_tbENKUlT_T0_SE_SJ_E_clIS8_S8_S9_S9_EEDaSX_SY_SE_SJ_EUlSX_E_NS1_11comp_targetILNS1_3genE5ELNS1_11target_archE942ELNS1_3gpuE9ELNS1_3repE0EEENS1_47radix_sort_onesweep_sort_config_static_selectorELNS0_4arch9wavefront6targetE1EEEvSE_,comdat
.Lfunc_end1092:
	.size	_ZN7rocprim17ROCPRIM_400000_NS6detail17trampoline_kernelINS0_14default_configENS1_35radix_sort_onesweep_config_selectorIxNS0_10empty_typeEEEZZNS1_29radix_sort_onesweep_iterationIS3_Lb0EPxS8_PS5_S9_mNS0_19identity_decomposerENS1_16block_id_wrapperIjLb1EEEEE10hipError_tT1_PNSt15iterator_traitsISE_E10value_typeET2_T3_PNSF_ISK_E10value_typeET4_T5_PSP_SQ_PNS1_23onesweep_lookback_stateEbbT6_jjT7_P12ihipStream_tbENKUlT_T0_SE_SJ_E_clIS8_S8_S9_S9_EEDaSX_SY_SE_SJ_EUlSX_E_NS1_11comp_targetILNS1_3genE5ELNS1_11target_archE942ELNS1_3gpuE9ELNS1_3repE0EEENS1_47radix_sort_onesweep_sort_config_static_selectorELNS0_4arch9wavefront6targetE1EEEvSE_, .Lfunc_end1092-_ZN7rocprim17ROCPRIM_400000_NS6detail17trampoline_kernelINS0_14default_configENS1_35radix_sort_onesweep_config_selectorIxNS0_10empty_typeEEEZZNS1_29radix_sort_onesweep_iterationIS3_Lb0EPxS8_PS5_S9_mNS0_19identity_decomposerENS1_16block_id_wrapperIjLb1EEEEE10hipError_tT1_PNSt15iterator_traitsISE_E10value_typeET2_T3_PNSF_ISK_E10value_typeET4_T5_PSP_SQ_PNS1_23onesweep_lookback_stateEbbT6_jjT7_P12ihipStream_tbENKUlT_T0_SE_SJ_E_clIS8_S8_S9_S9_EEDaSX_SY_SE_SJ_EUlSX_E_NS1_11comp_targetILNS1_3genE5ELNS1_11target_archE942ELNS1_3gpuE9ELNS1_3repE0EEENS1_47radix_sort_onesweep_sort_config_static_selectorELNS0_4arch9wavefront6targetE1EEEvSE_
                                        ; -- End function
	.section	.AMDGPU.csdata,"",@progbits
; Kernel info:
; codeLenInByte = 0
; NumSgprs: 4
; NumVgprs: 0
; NumAgprs: 0
; TotalNumVgprs: 0
; ScratchSize: 0
; MemoryBound: 0
; FloatMode: 240
; IeeeMode: 1
; LDSByteSize: 0 bytes/workgroup (compile time only)
; SGPRBlocks: 0
; VGPRBlocks: 0
; NumSGPRsForWavesPerEU: 4
; NumVGPRsForWavesPerEU: 1
; AccumOffset: 4
; Occupancy: 8
; WaveLimiterHint : 0
; COMPUTE_PGM_RSRC2:SCRATCH_EN: 0
; COMPUTE_PGM_RSRC2:USER_SGPR: 6
; COMPUTE_PGM_RSRC2:TRAP_HANDLER: 0
; COMPUTE_PGM_RSRC2:TGID_X_EN: 1
; COMPUTE_PGM_RSRC2:TGID_Y_EN: 0
; COMPUTE_PGM_RSRC2:TGID_Z_EN: 0
; COMPUTE_PGM_RSRC2:TIDIG_COMP_CNT: 0
; COMPUTE_PGM_RSRC3_GFX90A:ACCUM_OFFSET: 0
; COMPUTE_PGM_RSRC3_GFX90A:TG_SPLIT: 0
	.section	.text._ZN7rocprim17ROCPRIM_400000_NS6detail17trampoline_kernelINS0_14default_configENS1_35radix_sort_onesweep_config_selectorIxNS0_10empty_typeEEEZZNS1_29radix_sort_onesweep_iterationIS3_Lb0EPxS8_PS5_S9_mNS0_19identity_decomposerENS1_16block_id_wrapperIjLb1EEEEE10hipError_tT1_PNSt15iterator_traitsISE_E10value_typeET2_T3_PNSF_ISK_E10value_typeET4_T5_PSP_SQ_PNS1_23onesweep_lookback_stateEbbT6_jjT7_P12ihipStream_tbENKUlT_T0_SE_SJ_E_clIS8_S8_S9_S9_EEDaSX_SY_SE_SJ_EUlSX_E_NS1_11comp_targetILNS1_3genE2ELNS1_11target_archE906ELNS1_3gpuE6ELNS1_3repE0EEENS1_47radix_sort_onesweep_sort_config_static_selectorELNS0_4arch9wavefront6targetE1EEEvSE_,"axG",@progbits,_ZN7rocprim17ROCPRIM_400000_NS6detail17trampoline_kernelINS0_14default_configENS1_35radix_sort_onesweep_config_selectorIxNS0_10empty_typeEEEZZNS1_29radix_sort_onesweep_iterationIS3_Lb0EPxS8_PS5_S9_mNS0_19identity_decomposerENS1_16block_id_wrapperIjLb1EEEEE10hipError_tT1_PNSt15iterator_traitsISE_E10value_typeET2_T3_PNSF_ISK_E10value_typeET4_T5_PSP_SQ_PNS1_23onesweep_lookback_stateEbbT6_jjT7_P12ihipStream_tbENKUlT_T0_SE_SJ_E_clIS8_S8_S9_S9_EEDaSX_SY_SE_SJ_EUlSX_E_NS1_11comp_targetILNS1_3genE2ELNS1_11target_archE906ELNS1_3gpuE6ELNS1_3repE0EEENS1_47radix_sort_onesweep_sort_config_static_selectorELNS0_4arch9wavefront6targetE1EEEvSE_,comdat
	.protected	_ZN7rocprim17ROCPRIM_400000_NS6detail17trampoline_kernelINS0_14default_configENS1_35radix_sort_onesweep_config_selectorIxNS0_10empty_typeEEEZZNS1_29radix_sort_onesweep_iterationIS3_Lb0EPxS8_PS5_S9_mNS0_19identity_decomposerENS1_16block_id_wrapperIjLb1EEEEE10hipError_tT1_PNSt15iterator_traitsISE_E10value_typeET2_T3_PNSF_ISK_E10value_typeET4_T5_PSP_SQ_PNS1_23onesweep_lookback_stateEbbT6_jjT7_P12ihipStream_tbENKUlT_T0_SE_SJ_E_clIS8_S8_S9_S9_EEDaSX_SY_SE_SJ_EUlSX_E_NS1_11comp_targetILNS1_3genE2ELNS1_11target_archE906ELNS1_3gpuE6ELNS1_3repE0EEENS1_47radix_sort_onesweep_sort_config_static_selectorELNS0_4arch9wavefront6targetE1EEEvSE_ ; -- Begin function _ZN7rocprim17ROCPRIM_400000_NS6detail17trampoline_kernelINS0_14default_configENS1_35radix_sort_onesweep_config_selectorIxNS0_10empty_typeEEEZZNS1_29radix_sort_onesweep_iterationIS3_Lb0EPxS8_PS5_S9_mNS0_19identity_decomposerENS1_16block_id_wrapperIjLb1EEEEE10hipError_tT1_PNSt15iterator_traitsISE_E10value_typeET2_T3_PNSF_ISK_E10value_typeET4_T5_PSP_SQ_PNS1_23onesweep_lookback_stateEbbT6_jjT7_P12ihipStream_tbENKUlT_T0_SE_SJ_E_clIS8_S8_S9_S9_EEDaSX_SY_SE_SJ_EUlSX_E_NS1_11comp_targetILNS1_3genE2ELNS1_11target_archE906ELNS1_3gpuE6ELNS1_3repE0EEENS1_47radix_sort_onesweep_sort_config_static_selectorELNS0_4arch9wavefront6targetE1EEEvSE_
	.globl	_ZN7rocprim17ROCPRIM_400000_NS6detail17trampoline_kernelINS0_14default_configENS1_35radix_sort_onesweep_config_selectorIxNS0_10empty_typeEEEZZNS1_29radix_sort_onesweep_iterationIS3_Lb0EPxS8_PS5_S9_mNS0_19identity_decomposerENS1_16block_id_wrapperIjLb1EEEEE10hipError_tT1_PNSt15iterator_traitsISE_E10value_typeET2_T3_PNSF_ISK_E10value_typeET4_T5_PSP_SQ_PNS1_23onesweep_lookback_stateEbbT6_jjT7_P12ihipStream_tbENKUlT_T0_SE_SJ_E_clIS8_S8_S9_S9_EEDaSX_SY_SE_SJ_EUlSX_E_NS1_11comp_targetILNS1_3genE2ELNS1_11target_archE906ELNS1_3gpuE6ELNS1_3repE0EEENS1_47radix_sort_onesweep_sort_config_static_selectorELNS0_4arch9wavefront6targetE1EEEvSE_
	.p2align	8
	.type	_ZN7rocprim17ROCPRIM_400000_NS6detail17trampoline_kernelINS0_14default_configENS1_35radix_sort_onesweep_config_selectorIxNS0_10empty_typeEEEZZNS1_29radix_sort_onesweep_iterationIS3_Lb0EPxS8_PS5_S9_mNS0_19identity_decomposerENS1_16block_id_wrapperIjLb1EEEEE10hipError_tT1_PNSt15iterator_traitsISE_E10value_typeET2_T3_PNSF_ISK_E10value_typeET4_T5_PSP_SQ_PNS1_23onesweep_lookback_stateEbbT6_jjT7_P12ihipStream_tbENKUlT_T0_SE_SJ_E_clIS8_S8_S9_S9_EEDaSX_SY_SE_SJ_EUlSX_E_NS1_11comp_targetILNS1_3genE2ELNS1_11target_archE906ELNS1_3gpuE6ELNS1_3repE0EEENS1_47radix_sort_onesweep_sort_config_static_selectorELNS0_4arch9wavefront6targetE1EEEvSE_,@function
_ZN7rocprim17ROCPRIM_400000_NS6detail17trampoline_kernelINS0_14default_configENS1_35radix_sort_onesweep_config_selectorIxNS0_10empty_typeEEEZZNS1_29radix_sort_onesweep_iterationIS3_Lb0EPxS8_PS5_S9_mNS0_19identity_decomposerENS1_16block_id_wrapperIjLb1EEEEE10hipError_tT1_PNSt15iterator_traitsISE_E10value_typeET2_T3_PNSF_ISK_E10value_typeET4_T5_PSP_SQ_PNS1_23onesweep_lookback_stateEbbT6_jjT7_P12ihipStream_tbENKUlT_T0_SE_SJ_E_clIS8_S8_S9_S9_EEDaSX_SY_SE_SJ_EUlSX_E_NS1_11comp_targetILNS1_3genE2ELNS1_11target_archE906ELNS1_3gpuE6ELNS1_3repE0EEENS1_47radix_sort_onesweep_sort_config_static_selectorELNS0_4arch9wavefront6targetE1EEEvSE_: ; @_ZN7rocprim17ROCPRIM_400000_NS6detail17trampoline_kernelINS0_14default_configENS1_35radix_sort_onesweep_config_selectorIxNS0_10empty_typeEEEZZNS1_29radix_sort_onesweep_iterationIS3_Lb0EPxS8_PS5_S9_mNS0_19identity_decomposerENS1_16block_id_wrapperIjLb1EEEEE10hipError_tT1_PNSt15iterator_traitsISE_E10value_typeET2_T3_PNSF_ISK_E10value_typeET4_T5_PSP_SQ_PNS1_23onesweep_lookback_stateEbbT6_jjT7_P12ihipStream_tbENKUlT_T0_SE_SJ_E_clIS8_S8_S9_S9_EEDaSX_SY_SE_SJ_EUlSX_E_NS1_11comp_targetILNS1_3genE2ELNS1_11target_archE906ELNS1_3gpuE6ELNS1_3repE0EEENS1_47radix_sort_onesweep_sort_config_static_selectorELNS0_4arch9wavefront6targetE1EEEvSE_
; %bb.0:
	.section	.rodata,"a",@progbits
	.p2align	6, 0x0
	.amdhsa_kernel _ZN7rocprim17ROCPRIM_400000_NS6detail17trampoline_kernelINS0_14default_configENS1_35radix_sort_onesweep_config_selectorIxNS0_10empty_typeEEEZZNS1_29radix_sort_onesweep_iterationIS3_Lb0EPxS8_PS5_S9_mNS0_19identity_decomposerENS1_16block_id_wrapperIjLb1EEEEE10hipError_tT1_PNSt15iterator_traitsISE_E10value_typeET2_T3_PNSF_ISK_E10value_typeET4_T5_PSP_SQ_PNS1_23onesweep_lookback_stateEbbT6_jjT7_P12ihipStream_tbENKUlT_T0_SE_SJ_E_clIS8_S8_S9_S9_EEDaSX_SY_SE_SJ_EUlSX_E_NS1_11comp_targetILNS1_3genE2ELNS1_11target_archE906ELNS1_3gpuE6ELNS1_3repE0EEENS1_47radix_sort_onesweep_sort_config_static_selectorELNS0_4arch9wavefront6targetE1EEEvSE_
		.amdhsa_group_segment_fixed_size 0
		.amdhsa_private_segment_fixed_size 0
		.amdhsa_kernarg_size 88
		.amdhsa_user_sgpr_count 6
		.amdhsa_user_sgpr_private_segment_buffer 1
		.amdhsa_user_sgpr_dispatch_ptr 0
		.amdhsa_user_sgpr_queue_ptr 0
		.amdhsa_user_sgpr_kernarg_segment_ptr 1
		.amdhsa_user_sgpr_dispatch_id 0
		.amdhsa_user_sgpr_flat_scratch_init 0
		.amdhsa_user_sgpr_kernarg_preload_length 0
		.amdhsa_user_sgpr_kernarg_preload_offset 0
		.amdhsa_user_sgpr_private_segment_size 0
		.amdhsa_uses_dynamic_stack 0
		.amdhsa_system_sgpr_private_segment_wavefront_offset 0
		.amdhsa_system_sgpr_workgroup_id_x 1
		.amdhsa_system_sgpr_workgroup_id_y 0
		.amdhsa_system_sgpr_workgroup_id_z 0
		.amdhsa_system_sgpr_workgroup_info 0
		.amdhsa_system_vgpr_workitem_id 0
		.amdhsa_next_free_vgpr 1
		.amdhsa_next_free_sgpr 0
		.amdhsa_accum_offset 4
		.amdhsa_reserve_vcc 0
		.amdhsa_reserve_flat_scratch 0
		.amdhsa_float_round_mode_32 0
		.amdhsa_float_round_mode_16_64 0
		.amdhsa_float_denorm_mode_32 3
		.amdhsa_float_denorm_mode_16_64 3
		.amdhsa_dx10_clamp 1
		.amdhsa_ieee_mode 1
		.amdhsa_fp16_overflow 0
		.amdhsa_tg_split 0
		.amdhsa_exception_fp_ieee_invalid_op 0
		.amdhsa_exception_fp_denorm_src 0
		.amdhsa_exception_fp_ieee_div_zero 0
		.amdhsa_exception_fp_ieee_overflow 0
		.amdhsa_exception_fp_ieee_underflow 0
		.amdhsa_exception_fp_ieee_inexact 0
		.amdhsa_exception_int_div_zero 0
	.end_amdhsa_kernel
	.section	.text._ZN7rocprim17ROCPRIM_400000_NS6detail17trampoline_kernelINS0_14default_configENS1_35radix_sort_onesweep_config_selectorIxNS0_10empty_typeEEEZZNS1_29radix_sort_onesweep_iterationIS3_Lb0EPxS8_PS5_S9_mNS0_19identity_decomposerENS1_16block_id_wrapperIjLb1EEEEE10hipError_tT1_PNSt15iterator_traitsISE_E10value_typeET2_T3_PNSF_ISK_E10value_typeET4_T5_PSP_SQ_PNS1_23onesweep_lookback_stateEbbT6_jjT7_P12ihipStream_tbENKUlT_T0_SE_SJ_E_clIS8_S8_S9_S9_EEDaSX_SY_SE_SJ_EUlSX_E_NS1_11comp_targetILNS1_3genE2ELNS1_11target_archE906ELNS1_3gpuE6ELNS1_3repE0EEENS1_47radix_sort_onesweep_sort_config_static_selectorELNS0_4arch9wavefront6targetE1EEEvSE_,"axG",@progbits,_ZN7rocprim17ROCPRIM_400000_NS6detail17trampoline_kernelINS0_14default_configENS1_35radix_sort_onesweep_config_selectorIxNS0_10empty_typeEEEZZNS1_29radix_sort_onesweep_iterationIS3_Lb0EPxS8_PS5_S9_mNS0_19identity_decomposerENS1_16block_id_wrapperIjLb1EEEEE10hipError_tT1_PNSt15iterator_traitsISE_E10value_typeET2_T3_PNSF_ISK_E10value_typeET4_T5_PSP_SQ_PNS1_23onesweep_lookback_stateEbbT6_jjT7_P12ihipStream_tbENKUlT_T0_SE_SJ_E_clIS8_S8_S9_S9_EEDaSX_SY_SE_SJ_EUlSX_E_NS1_11comp_targetILNS1_3genE2ELNS1_11target_archE906ELNS1_3gpuE6ELNS1_3repE0EEENS1_47radix_sort_onesweep_sort_config_static_selectorELNS0_4arch9wavefront6targetE1EEEvSE_,comdat
.Lfunc_end1093:
	.size	_ZN7rocprim17ROCPRIM_400000_NS6detail17trampoline_kernelINS0_14default_configENS1_35radix_sort_onesweep_config_selectorIxNS0_10empty_typeEEEZZNS1_29radix_sort_onesweep_iterationIS3_Lb0EPxS8_PS5_S9_mNS0_19identity_decomposerENS1_16block_id_wrapperIjLb1EEEEE10hipError_tT1_PNSt15iterator_traitsISE_E10value_typeET2_T3_PNSF_ISK_E10value_typeET4_T5_PSP_SQ_PNS1_23onesweep_lookback_stateEbbT6_jjT7_P12ihipStream_tbENKUlT_T0_SE_SJ_E_clIS8_S8_S9_S9_EEDaSX_SY_SE_SJ_EUlSX_E_NS1_11comp_targetILNS1_3genE2ELNS1_11target_archE906ELNS1_3gpuE6ELNS1_3repE0EEENS1_47radix_sort_onesweep_sort_config_static_selectorELNS0_4arch9wavefront6targetE1EEEvSE_, .Lfunc_end1093-_ZN7rocprim17ROCPRIM_400000_NS6detail17trampoline_kernelINS0_14default_configENS1_35radix_sort_onesweep_config_selectorIxNS0_10empty_typeEEEZZNS1_29radix_sort_onesweep_iterationIS3_Lb0EPxS8_PS5_S9_mNS0_19identity_decomposerENS1_16block_id_wrapperIjLb1EEEEE10hipError_tT1_PNSt15iterator_traitsISE_E10value_typeET2_T3_PNSF_ISK_E10value_typeET4_T5_PSP_SQ_PNS1_23onesweep_lookback_stateEbbT6_jjT7_P12ihipStream_tbENKUlT_T0_SE_SJ_E_clIS8_S8_S9_S9_EEDaSX_SY_SE_SJ_EUlSX_E_NS1_11comp_targetILNS1_3genE2ELNS1_11target_archE906ELNS1_3gpuE6ELNS1_3repE0EEENS1_47radix_sort_onesweep_sort_config_static_selectorELNS0_4arch9wavefront6targetE1EEEvSE_
                                        ; -- End function
	.section	.AMDGPU.csdata,"",@progbits
; Kernel info:
; codeLenInByte = 0
; NumSgprs: 4
; NumVgprs: 0
; NumAgprs: 0
; TotalNumVgprs: 0
; ScratchSize: 0
; MemoryBound: 0
; FloatMode: 240
; IeeeMode: 1
; LDSByteSize: 0 bytes/workgroup (compile time only)
; SGPRBlocks: 0
; VGPRBlocks: 0
; NumSGPRsForWavesPerEU: 4
; NumVGPRsForWavesPerEU: 1
; AccumOffset: 4
; Occupancy: 8
; WaveLimiterHint : 0
; COMPUTE_PGM_RSRC2:SCRATCH_EN: 0
; COMPUTE_PGM_RSRC2:USER_SGPR: 6
; COMPUTE_PGM_RSRC2:TRAP_HANDLER: 0
; COMPUTE_PGM_RSRC2:TGID_X_EN: 1
; COMPUTE_PGM_RSRC2:TGID_Y_EN: 0
; COMPUTE_PGM_RSRC2:TGID_Z_EN: 0
; COMPUTE_PGM_RSRC2:TIDIG_COMP_CNT: 0
; COMPUTE_PGM_RSRC3_GFX90A:ACCUM_OFFSET: 0
; COMPUTE_PGM_RSRC3_GFX90A:TG_SPLIT: 0
	.section	.text._ZN7rocprim17ROCPRIM_400000_NS6detail17trampoline_kernelINS0_14default_configENS1_35radix_sort_onesweep_config_selectorIxNS0_10empty_typeEEEZZNS1_29radix_sort_onesweep_iterationIS3_Lb0EPxS8_PS5_S9_mNS0_19identity_decomposerENS1_16block_id_wrapperIjLb1EEEEE10hipError_tT1_PNSt15iterator_traitsISE_E10value_typeET2_T3_PNSF_ISK_E10value_typeET4_T5_PSP_SQ_PNS1_23onesweep_lookback_stateEbbT6_jjT7_P12ihipStream_tbENKUlT_T0_SE_SJ_E_clIS8_S8_S9_S9_EEDaSX_SY_SE_SJ_EUlSX_E_NS1_11comp_targetILNS1_3genE4ELNS1_11target_archE910ELNS1_3gpuE8ELNS1_3repE0EEENS1_47radix_sort_onesweep_sort_config_static_selectorELNS0_4arch9wavefront6targetE1EEEvSE_,"axG",@progbits,_ZN7rocprim17ROCPRIM_400000_NS6detail17trampoline_kernelINS0_14default_configENS1_35radix_sort_onesweep_config_selectorIxNS0_10empty_typeEEEZZNS1_29radix_sort_onesweep_iterationIS3_Lb0EPxS8_PS5_S9_mNS0_19identity_decomposerENS1_16block_id_wrapperIjLb1EEEEE10hipError_tT1_PNSt15iterator_traitsISE_E10value_typeET2_T3_PNSF_ISK_E10value_typeET4_T5_PSP_SQ_PNS1_23onesweep_lookback_stateEbbT6_jjT7_P12ihipStream_tbENKUlT_T0_SE_SJ_E_clIS8_S8_S9_S9_EEDaSX_SY_SE_SJ_EUlSX_E_NS1_11comp_targetILNS1_3genE4ELNS1_11target_archE910ELNS1_3gpuE8ELNS1_3repE0EEENS1_47radix_sort_onesweep_sort_config_static_selectorELNS0_4arch9wavefront6targetE1EEEvSE_,comdat
	.protected	_ZN7rocprim17ROCPRIM_400000_NS6detail17trampoline_kernelINS0_14default_configENS1_35radix_sort_onesweep_config_selectorIxNS0_10empty_typeEEEZZNS1_29radix_sort_onesweep_iterationIS3_Lb0EPxS8_PS5_S9_mNS0_19identity_decomposerENS1_16block_id_wrapperIjLb1EEEEE10hipError_tT1_PNSt15iterator_traitsISE_E10value_typeET2_T3_PNSF_ISK_E10value_typeET4_T5_PSP_SQ_PNS1_23onesweep_lookback_stateEbbT6_jjT7_P12ihipStream_tbENKUlT_T0_SE_SJ_E_clIS8_S8_S9_S9_EEDaSX_SY_SE_SJ_EUlSX_E_NS1_11comp_targetILNS1_3genE4ELNS1_11target_archE910ELNS1_3gpuE8ELNS1_3repE0EEENS1_47radix_sort_onesweep_sort_config_static_selectorELNS0_4arch9wavefront6targetE1EEEvSE_ ; -- Begin function _ZN7rocprim17ROCPRIM_400000_NS6detail17trampoline_kernelINS0_14default_configENS1_35radix_sort_onesweep_config_selectorIxNS0_10empty_typeEEEZZNS1_29radix_sort_onesweep_iterationIS3_Lb0EPxS8_PS5_S9_mNS0_19identity_decomposerENS1_16block_id_wrapperIjLb1EEEEE10hipError_tT1_PNSt15iterator_traitsISE_E10value_typeET2_T3_PNSF_ISK_E10value_typeET4_T5_PSP_SQ_PNS1_23onesweep_lookback_stateEbbT6_jjT7_P12ihipStream_tbENKUlT_T0_SE_SJ_E_clIS8_S8_S9_S9_EEDaSX_SY_SE_SJ_EUlSX_E_NS1_11comp_targetILNS1_3genE4ELNS1_11target_archE910ELNS1_3gpuE8ELNS1_3repE0EEENS1_47radix_sort_onesweep_sort_config_static_selectorELNS0_4arch9wavefront6targetE1EEEvSE_
	.globl	_ZN7rocprim17ROCPRIM_400000_NS6detail17trampoline_kernelINS0_14default_configENS1_35radix_sort_onesweep_config_selectorIxNS0_10empty_typeEEEZZNS1_29radix_sort_onesweep_iterationIS3_Lb0EPxS8_PS5_S9_mNS0_19identity_decomposerENS1_16block_id_wrapperIjLb1EEEEE10hipError_tT1_PNSt15iterator_traitsISE_E10value_typeET2_T3_PNSF_ISK_E10value_typeET4_T5_PSP_SQ_PNS1_23onesweep_lookback_stateEbbT6_jjT7_P12ihipStream_tbENKUlT_T0_SE_SJ_E_clIS8_S8_S9_S9_EEDaSX_SY_SE_SJ_EUlSX_E_NS1_11comp_targetILNS1_3genE4ELNS1_11target_archE910ELNS1_3gpuE8ELNS1_3repE0EEENS1_47radix_sort_onesweep_sort_config_static_selectorELNS0_4arch9wavefront6targetE1EEEvSE_
	.p2align	8
	.type	_ZN7rocprim17ROCPRIM_400000_NS6detail17trampoline_kernelINS0_14default_configENS1_35radix_sort_onesweep_config_selectorIxNS0_10empty_typeEEEZZNS1_29radix_sort_onesweep_iterationIS3_Lb0EPxS8_PS5_S9_mNS0_19identity_decomposerENS1_16block_id_wrapperIjLb1EEEEE10hipError_tT1_PNSt15iterator_traitsISE_E10value_typeET2_T3_PNSF_ISK_E10value_typeET4_T5_PSP_SQ_PNS1_23onesweep_lookback_stateEbbT6_jjT7_P12ihipStream_tbENKUlT_T0_SE_SJ_E_clIS8_S8_S9_S9_EEDaSX_SY_SE_SJ_EUlSX_E_NS1_11comp_targetILNS1_3genE4ELNS1_11target_archE910ELNS1_3gpuE8ELNS1_3repE0EEENS1_47radix_sort_onesweep_sort_config_static_selectorELNS0_4arch9wavefront6targetE1EEEvSE_,@function
_ZN7rocprim17ROCPRIM_400000_NS6detail17trampoline_kernelINS0_14default_configENS1_35radix_sort_onesweep_config_selectorIxNS0_10empty_typeEEEZZNS1_29radix_sort_onesweep_iterationIS3_Lb0EPxS8_PS5_S9_mNS0_19identity_decomposerENS1_16block_id_wrapperIjLb1EEEEE10hipError_tT1_PNSt15iterator_traitsISE_E10value_typeET2_T3_PNSF_ISK_E10value_typeET4_T5_PSP_SQ_PNS1_23onesweep_lookback_stateEbbT6_jjT7_P12ihipStream_tbENKUlT_T0_SE_SJ_E_clIS8_S8_S9_S9_EEDaSX_SY_SE_SJ_EUlSX_E_NS1_11comp_targetILNS1_3genE4ELNS1_11target_archE910ELNS1_3gpuE8ELNS1_3repE0EEENS1_47radix_sort_onesweep_sort_config_static_selectorELNS0_4arch9wavefront6targetE1EEEvSE_: ; @_ZN7rocprim17ROCPRIM_400000_NS6detail17trampoline_kernelINS0_14default_configENS1_35radix_sort_onesweep_config_selectorIxNS0_10empty_typeEEEZZNS1_29radix_sort_onesweep_iterationIS3_Lb0EPxS8_PS5_S9_mNS0_19identity_decomposerENS1_16block_id_wrapperIjLb1EEEEE10hipError_tT1_PNSt15iterator_traitsISE_E10value_typeET2_T3_PNSF_ISK_E10value_typeET4_T5_PSP_SQ_PNS1_23onesweep_lookback_stateEbbT6_jjT7_P12ihipStream_tbENKUlT_T0_SE_SJ_E_clIS8_S8_S9_S9_EEDaSX_SY_SE_SJ_EUlSX_E_NS1_11comp_targetILNS1_3genE4ELNS1_11target_archE910ELNS1_3gpuE8ELNS1_3repE0EEENS1_47radix_sort_onesweep_sort_config_static_selectorELNS0_4arch9wavefront6targetE1EEEvSE_
; %bb.0:
	s_load_dwordx4 s[16:19], s[4:5], 0x28
	s_load_dwordx2 s[14:15], s[4:5], 0x38
	s_load_dwordx4 s[20:23], s[4:5], 0x44
	v_and_b32_e32 v2, 0x3ff, v0
	v_cmp_eq_u32_e64 s[0:1], 0, v2
	s_and_saveexec_b64 s[2:3], s[0:1]
	s_cbranch_execz .LBB1094_4
; %bb.1:
	s_mov_b64 s[10:11], exec
	v_mbcnt_lo_u32_b32 v1, s10, 0
	v_mbcnt_hi_u32_b32 v1, s11, v1
	v_cmp_eq_u32_e32 vcc, 0, v1
                                        ; implicit-def: $vgpr3
	s_and_saveexec_b64 s[8:9], vcc
	s_cbranch_execz .LBB1094_3
; %bb.2:
	s_load_dwordx2 s[12:13], s[4:5], 0x50
	s_bcnt1_i32_b64 s7, s[10:11]
	v_mov_b32_e32 v3, 0
	v_mov_b32_e32 v4, s7
	s_waitcnt lgkmcnt(0)
	global_atomic_add v3, v3, v4, s[12:13] glc
.LBB1094_3:
	s_or_b64 exec, exec, s[8:9]
	s_waitcnt vmcnt(0)
	v_readfirstlane_b32 s7, v3
	v_add_u32_e32 v1, s7, v1
	v_mov_b32_e32 v3, 0
	ds_write_b32 v3, v1 offset:20544
.LBB1094_4:
	s_or_b64 exec, exec, s[2:3]
	v_mov_b32_e32 v1, 0
	s_load_dwordx4 s[24:27], s[4:5], 0x0
	s_load_dword s2, s[4:5], 0x20
	s_waitcnt lgkmcnt(0)
	s_barrier
	ds_read_b32 v1, v1 offset:20544
	v_mbcnt_lo_u32_b32 v29, -1, 0
	v_lshlrev_b32_e32 v28, 3, v2
	s_waitcnt lgkmcnt(0)
	s_barrier
	v_cmp_le_u32_e32 vcc, s22, v1
	v_readfirstlane_b32 s28, v1
	s_cbranch_vccz .LBB1094_65
; %bb.5:
	s_lshl_b32 s3, s22, 13
	s_sub_i32 s7, s2, s3
	s_lshl_b32 s2, s28, 13
	s_mov_b32 s3, 0
	s_lshl_b64 s[2:3], s[2:3], 3
	v_mbcnt_hi_u32_b32 v1, -1, v29
	s_add_u32 s8, s24, s2
	v_and_b32_e32 v3, 63, v1
	s_addc_u32 s9, s25, s3
	v_lshlrev_b32_e32 v5, 3, v3
	v_and_b32_e32 v4, 0x1e00, v28
	v_mov_b32_e32 v6, s9
	v_add_co_u32_e32 v5, vcc, s8, v5
	v_addc_co_u32_e32 v6, vcc, 0, v6, vcc
	v_lshlrev_b32_e32 v7, 3, v4
	s_mov_b32 s2, -1
	v_add_co_u32_e32 v20, vcc, v5, v7
	s_brev_b32 s3, -2
	v_addc_co_u32_e32 v21, vcc, 0, v6, vcc
	v_or_b32_e32 v3, v3, v4
	v_cmp_gt_u32_e32 vcc, s7, v3
	v_pk_mov_b32 v[4:5], s[2:3], s[2:3] op_sel:[0,1]
	s_and_saveexec_b64 s[8:9], vcc
	s_cbranch_execz .LBB1094_7
; %bb.6:
	global_load_dwordx2 v[4:5], v[20:21], off
.LBB1094_7:
	s_or_b64 exec, exec, s[8:9]
	v_or_b32_e32 v6, 64, v3
	v_cmp_gt_u32_e32 vcc, s7, v6
	v_pk_mov_b32 v[6:7], s[2:3], s[2:3] op_sel:[0,1]
	s_and_saveexec_b64 s[2:3], vcc
	s_cbranch_execz .LBB1094_9
; %bb.8:
	global_load_dwordx2 v[6:7], v[20:21], off offset:512
.LBB1094_9:
	s_or_b64 exec, exec, s[2:3]
	s_mov_b32 s2, -1
	v_or_b32_e32 v8, 0x80, v3
	s_brev_b32 s3, -2
	v_cmp_gt_u32_e32 vcc, s7, v8
	v_pk_mov_b32 v[8:9], s[2:3], s[2:3] op_sel:[0,1]
	s_and_saveexec_b64 s[8:9], vcc
	s_cbranch_execz .LBB1094_11
; %bb.10:
	global_load_dwordx2 v[8:9], v[20:21], off offset:1024
.LBB1094_11:
	s_or_b64 exec, exec, s[8:9]
	v_or_b32_e32 v10, 0xc0, v3
	v_cmp_gt_u32_e32 vcc, s7, v10
	v_pk_mov_b32 v[10:11], s[2:3], s[2:3] op_sel:[0,1]
	s_and_saveexec_b64 s[2:3], vcc
	s_cbranch_execz .LBB1094_13
; %bb.12:
	global_load_dwordx2 v[10:11], v[20:21], off offset:1536
.LBB1094_13:
	s_or_b64 exec, exec, s[2:3]
	s_mov_b32 s2, -1
	v_or_b32_e32 v12, 0x100, v3
	s_brev_b32 s3, -2
	v_cmp_gt_u32_e32 vcc, s7, v12
	v_pk_mov_b32 v[12:13], s[2:3], s[2:3] op_sel:[0,1]
	s_and_saveexec_b64 s[8:9], vcc
	s_cbranch_execz .LBB1094_15
; %bb.14:
	global_load_dwordx2 v[12:13], v[20:21], off offset:2048
.LBB1094_15:
	;; [unrolled: 20-line block ×3, first 2 shown]
	s_or_b64 exec, exec, s[8:9]
	v_or_b32_e32 v3, 0x1c0, v3
	v_cmp_gt_u32_e32 vcc, s7, v3
	v_pk_mov_b32 v[18:19], s[2:3], s[2:3] op_sel:[0,1]
	s_and_saveexec_b64 s[2:3], vcc
	s_cbranch_execz .LBB1094_21
; %bb.20:
	global_load_dwordx2 v[18:19], v[20:21], off offset:3584
.LBB1094_21:
	s_or_b64 exec, exec, s[2:3]
	s_load_dword s2, s[4:5], 0x64
	s_load_dword s29, s[4:5], 0x58
	s_add_u32 s3, s4, 0x58
	s_addc_u32 s8, s5, 0
	v_mov_b32_e32 v20, 0
	s_waitcnt lgkmcnt(0)
	s_lshr_b32 s9, s2, 16
	s_cmp_lt_u32 s6, s29
	s_cselect_b32 s2, 12, 18
	s_add_u32 s2, s3, s2
	s_addc_u32 s3, s8, 0
	global_load_ushort v24, v20, s[2:3]
	s_waitcnt vmcnt(1)
	v_xor_b32_e32 v5, 0x80000000, v5
	s_lshl_b32 s2, -1, s21
	v_lshrrev_b64 v[22:23], s20, v[4:5]
	s_not_b32 s30, s2
	v_and_b32_e32 v22, s30, v22
	v_and_b32_e32 v26, 1, v22
	v_bfe_u32 v21, v0, 10, 10
	v_bfe_u32 v25, v0, 20, 10
	v_add_co_u32_e32 v27, vcc, -1, v26
	v_mad_u32_u24 v23, v25, s9, v21
	v_lshlrev_b32_e32 v21, 30, v22
	v_addc_co_u32_e64 v30, s[2:3], 0, -1, vcc
	v_cmp_ne_u32_e32 vcc, 0, v26
	v_cmp_gt_i64_e64 s[2:3], 0, v[20:21]
	v_not_b32_e32 v26, v21
	v_lshlrev_b32_e32 v21, 29, v22
	v_xor_b32_e32 v30, vcc_hi, v30
	v_xor_b32_e32 v27, vcc_lo, v27
	v_ashrrev_i32_e32 v26, 31, v26
	v_cmp_gt_i64_e32 vcc, 0, v[20:21]
	v_not_b32_e32 v31, v21
	v_lshlrev_b32_e32 v21, 28, v22
	v_and_b32_e32 v30, exec_hi, v30
	v_and_b32_e32 v27, exec_lo, v27
	v_xor_b32_e32 v32, s3, v26
	v_xor_b32_e32 v26, s2, v26
	v_ashrrev_i32_e32 v31, 31, v31
	v_cmp_gt_i64_e64 s[2:3], 0, v[20:21]
	v_not_b32_e32 v33, v21
	v_lshlrev_b32_e32 v21, 27, v22
	v_and_b32_e32 v30, v30, v32
	v_and_b32_e32 v26, v27, v26
	v_xor_b32_e32 v27, vcc_hi, v31
	v_xor_b32_e32 v31, vcc_lo, v31
	v_ashrrev_i32_e32 v32, 31, v33
	v_cmp_gt_i64_e32 vcc, 0, v[20:21]
	v_not_b32_e32 v33, v21
	v_lshlrev_b32_e32 v21, 26, v22
	v_and_b32_e32 v27, v30, v27
	v_and_b32_e32 v26, v26, v31
	v_xor_b32_e32 v30, s3, v32
	v_xor_b32_e32 v31, s2, v32
	v_ashrrev_i32_e32 v32, 31, v33
	v_cmp_gt_i64_e64 s[2:3], 0, v[20:21]
	v_not_b32_e32 v33, v21
	v_lshlrev_b32_e32 v21, 25, v22
	v_and_b32_e32 v27, v27, v30
	v_and_b32_e32 v26, v26, v31
	v_xor_b32_e32 v30, vcc_hi, v32
	v_xor_b32_e32 v31, vcc_lo, v32
	v_ashrrev_i32_e32 v32, 31, v33
	v_not_b32_e32 v33, v21
	v_mul_u32_u24_e32 v3, 5, v2
	v_lshl_add_u32 v25, v22, 4, v22
	v_cmp_gt_i64_e32 vcc, 0, v[20:21]
	v_lshlrev_b32_e32 v21, 24, v22
	v_and_b32_e32 v22, v27, v30
	v_and_b32_e32 v26, v26, v31
	v_xor_b32_e32 v27, s3, v32
	v_ashrrev_i32_e32 v31, 31, v33
	v_lshlrev_b32_e32 v3, 2, v3
	v_xor_b32_e32 v30, s2, v32
	v_cmp_gt_i64_e64 s[2:3], 0, v[20:21]
	v_not_b32_e32 v21, v21
	v_and_b32_e32 v22, v22, v27
	v_xor_b32_e32 v27, vcc_hi, v31
	v_and_b32_e32 v26, v26, v30
	v_xor_b32_e32 v30, vcc_lo, v31
	v_and_b32_e32 v31, v22, v27
	v_ashrrev_i32_e32 v21, 31, v21
	v_and_b32_e32 v26, v26, v30
	ds_write2_b32 v3, v20, v20 offset0:16 offset1:17
	ds_write2_b32 v3, v20, v20 offset0:18 offset1:19
	ds_write_b32 v3, v20 offset:80
	s_waitcnt lgkmcnt(0)
	s_barrier
	s_waitcnt lgkmcnt(0)
	; wave barrier
	s_waitcnt vmcnt(0)
	v_mad_u64_u32 v[22:23], s[8:9], v23, v24, v[2:3]
	v_lshrrev_b32_e32 v27, 6, v22
	v_xor_b32_e32 v22, s3, v21
	v_xor_b32_e32 v21, s2, v21
	v_and_b32_e32 v23, v31, v22
	v_and_b32_e32 v22, v26, v21
	v_mbcnt_lo_u32_b32 v21, v22, 0
	v_mbcnt_hi_u32_b32 v30, v23, v21
	v_cmp_eq_u32_e32 vcc, 0, v30
	v_cmp_ne_u64_e64 s[2:3], 0, v[22:23]
	v_add_lshl_u32 v24, v27, v25, 2
	s_and_b64 s[8:9], s[2:3], vcc
	s_and_saveexec_b64 s[2:3], s[8:9]
	s_cbranch_execz .LBB1094_23
; %bb.22:
	v_bcnt_u32_b32 v21, v22, 0
	v_bcnt_u32_b32 v21, v23, v21
	ds_write_b32 v24, v21 offset:64
.LBB1094_23:
	s_or_b64 exec, exec, s[2:3]
	v_xor_b32_e32 v7, 0x80000000, v7
	v_lshrrev_b64 v[22:23], s20, v[6:7]
	v_and_b32_e32 v22, s30, v22
	v_lshl_add_u32 v21, v22, 4, v22
	v_add_lshl_u32 v25, v27, v21, 2
	v_and_b32_e32 v21, 1, v22
	v_add_co_u32_e32 v23, vcc, -1, v21
	v_addc_co_u32_e64 v26, s[2:3], 0, -1, vcc
	v_cmp_ne_u32_e32 vcc, 0, v21
	v_xor_b32_e32 v21, vcc_hi, v26
	v_and_b32_e32 v26, exec_hi, v21
	v_lshlrev_b32_e32 v21, 30, v22
	v_xor_b32_e32 v23, vcc_lo, v23
	v_cmp_gt_i64_e32 vcc, 0, v[20:21]
	v_not_b32_e32 v21, v21
	v_ashrrev_i32_e32 v21, 31, v21
	v_and_b32_e32 v23, exec_lo, v23
	v_xor_b32_e32 v32, vcc_hi, v21
	v_xor_b32_e32 v21, vcc_lo, v21
	v_and_b32_e32 v23, v23, v21
	v_lshlrev_b32_e32 v21, 29, v22
	v_cmp_gt_i64_e32 vcc, 0, v[20:21]
	v_not_b32_e32 v21, v21
	v_ashrrev_i32_e32 v21, 31, v21
	v_and_b32_e32 v26, v26, v32
	v_xor_b32_e32 v32, vcc_hi, v21
	v_xor_b32_e32 v21, vcc_lo, v21
	v_and_b32_e32 v23, v23, v21
	v_lshlrev_b32_e32 v21, 28, v22
	v_cmp_gt_i64_e32 vcc, 0, v[20:21]
	v_not_b32_e32 v21, v21
	v_ashrrev_i32_e32 v21, 31, v21
	v_and_b32_e32 v26, v26, v32
	;; [unrolled: 8-line block ×5, first 2 shown]
	v_xor_b32_e32 v32, vcc_hi, v21
	v_xor_b32_e32 v21, vcc_lo, v21
	v_and_b32_e32 v23, v23, v21
	v_lshlrev_b32_e32 v21, 24, v22
	v_cmp_gt_i64_e32 vcc, 0, v[20:21]
	v_not_b32_e32 v20, v21
	v_ashrrev_i32_e32 v20, 31, v20
	v_xor_b32_e32 v21, vcc_hi, v20
	v_xor_b32_e32 v20, vcc_lo, v20
	; wave barrier
	ds_read_b32 v31, v25 offset:64
	v_and_b32_e32 v26, v26, v32
	v_and_b32_e32 v20, v23, v20
	;; [unrolled: 1-line block ×3, first 2 shown]
	v_mbcnt_lo_u32_b32 v22, v20, 0
	v_mbcnt_hi_u32_b32 v32, v21, v22
	v_cmp_eq_u32_e32 vcc, 0, v32
	v_cmp_ne_u64_e64 s[2:3], 0, v[20:21]
	s_and_b64 s[8:9], s[2:3], vcc
	; wave barrier
	s_and_saveexec_b64 s[2:3], s[8:9]
	s_cbranch_execz .LBB1094_25
; %bb.24:
	v_bcnt_u32_b32 v20, v20, 0
	v_bcnt_u32_b32 v20, v21, v20
	s_waitcnt lgkmcnt(0)
	v_add_u32_e32 v20, v31, v20
	ds_write_b32 v25, v20 offset:64
.LBB1094_25:
	s_or_b64 exec, exec, s[2:3]
	v_xor_b32_e32 v9, 0x80000000, v9
	v_lshrrev_b64 v[20:21], s20, v[8:9]
	v_and_b32_e32 v22, s30, v20
	v_and_b32_e32 v21, 1, v22
	v_add_co_u32_e32 v23, vcc, -1, v21
	v_addc_co_u32_e64 v34, s[2:3], 0, -1, vcc
	v_cmp_ne_u32_e32 vcc, 0, v21
	v_lshl_add_u32 v20, v22, 4, v22
	v_xor_b32_e32 v21, vcc_hi, v34
	v_add_lshl_u32 v26, v27, v20, 2
	v_mov_b32_e32 v20, 0
	v_and_b32_e32 v34, exec_hi, v21
	v_lshlrev_b32_e32 v21, 30, v22
	v_xor_b32_e32 v23, vcc_lo, v23
	v_cmp_gt_i64_e32 vcc, 0, v[20:21]
	v_not_b32_e32 v21, v21
	v_ashrrev_i32_e32 v21, 31, v21
	v_and_b32_e32 v23, exec_lo, v23
	v_xor_b32_e32 v35, vcc_hi, v21
	v_xor_b32_e32 v21, vcc_lo, v21
	v_and_b32_e32 v23, v23, v21
	v_lshlrev_b32_e32 v21, 29, v22
	v_cmp_gt_i64_e32 vcc, 0, v[20:21]
	v_not_b32_e32 v21, v21
	v_ashrrev_i32_e32 v21, 31, v21
	v_and_b32_e32 v34, v34, v35
	v_xor_b32_e32 v35, vcc_hi, v21
	v_xor_b32_e32 v21, vcc_lo, v21
	v_and_b32_e32 v23, v23, v21
	v_lshlrev_b32_e32 v21, 28, v22
	v_cmp_gt_i64_e32 vcc, 0, v[20:21]
	v_not_b32_e32 v21, v21
	v_ashrrev_i32_e32 v21, 31, v21
	v_and_b32_e32 v34, v34, v35
	;; [unrolled: 8-line block ×5, first 2 shown]
	v_xor_b32_e32 v35, vcc_hi, v21
	v_xor_b32_e32 v21, vcc_lo, v21
	v_and_b32_e32 v34, v34, v35
	v_and_b32_e32 v35, v23, v21
	v_lshlrev_b32_e32 v21, 24, v22
	v_cmp_gt_i64_e32 vcc, 0, v[20:21]
	v_not_b32_e32 v21, v21
	v_ashrrev_i32_e32 v21, 31, v21
	v_xor_b32_e32 v22, vcc_hi, v21
	v_xor_b32_e32 v21, vcc_lo, v21
	; wave barrier
	ds_read_b32 v33, v26 offset:64
	v_and_b32_e32 v23, v34, v22
	v_and_b32_e32 v22, v35, v21
	v_mbcnt_lo_u32_b32 v21, v22, 0
	v_mbcnt_hi_u32_b32 v34, v23, v21
	v_cmp_eq_u32_e32 vcc, 0, v34
	v_cmp_ne_u64_e64 s[2:3], 0, v[22:23]
	s_and_b64 s[8:9], s[2:3], vcc
	; wave barrier
	s_and_saveexec_b64 s[2:3], s[8:9]
	s_cbranch_execz .LBB1094_27
; %bb.26:
	v_bcnt_u32_b32 v21, v22, 0
	v_bcnt_u32_b32 v21, v23, v21
	s_waitcnt lgkmcnt(0)
	v_add_u32_e32 v21, v33, v21
	ds_write_b32 v26, v21 offset:64
.LBB1094_27:
	s_or_b64 exec, exec, s[2:3]
	v_xor_b32_e32 v11, 0x80000000, v11
	v_lshrrev_b64 v[22:23], s20, v[10:11]
	v_and_b32_e32 v22, s30, v22
	v_lshl_add_u32 v21, v22, 4, v22
	v_add_lshl_u32 v38, v27, v21, 2
	v_and_b32_e32 v21, 1, v22
	v_add_co_u32_e32 v23, vcc, -1, v21
	v_addc_co_u32_e64 v36, s[2:3], 0, -1, vcc
	v_cmp_ne_u32_e32 vcc, 0, v21
	v_xor_b32_e32 v21, vcc_hi, v36
	v_and_b32_e32 v36, exec_hi, v21
	v_lshlrev_b32_e32 v21, 30, v22
	v_xor_b32_e32 v23, vcc_lo, v23
	v_cmp_gt_i64_e32 vcc, 0, v[20:21]
	v_not_b32_e32 v21, v21
	v_ashrrev_i32_e32 v21, 31, v21
	v_and_b32_e32 v23, exec_lo, v23
	v_xor_b32_e32 v37, vcc_hi, v21
	v_xor_b32_e32 v21, vcc_lo, v21
	v_and_b32_e32 v23, v23, v21
	v_lshlrev_b32_e32 v21, 29, v22
	v_cmp_gt_i64_e32 vcc, 0, v[20:21]
	v_not_b32_e32 v21, v21
	v_ashrrev_i32_e32 v21, 31, v21
	v_and_b32_e32 v36, v36, v37
	v_xor_b32_e32 v37, vcc_hi, v21
	v_xor_b32_e32 v21, vcc_lo, v21
	v_and_b32_e32 v23, v23, v21
	v_lshlrev_b32_e32 v21, 28, v22
	v_cmp_gt_i64_e32 vcc, 0, v[20:21]
	v_not_b32_e32 v21, v21
	v_ashrrev_i32_e32 v21, 31, v21
	v_and_b32_e32 v36, v36, v37
	v_xor_b32_e32 v37, vcc_hi, v21
	v_xor_b32_e32 v21, vcc_lo, v21
	v_and_b32_e32 v23, v23, v21
	v_lshlrev_b32_e32 v21, 27, v22
	v_cmp_gt_i64_e32 vcc, 0, v[20:21]
	v_not_b32_e32 v21, v21
	v_ashrrev_i32_e32 v21, 31, v21
	v_and_b32_e32 v36, v36, v37
	v_xor_b32_e32 v37, vcc_hi, v21
	v_xor_b32_e32 v21, vcc_lo, v21
	v_and_b32_e32 v23, v23, v21
	v_lshlrev_b32_e32 v21, 26, v22
	v_cmp_gt_i64_e32 vcc, 0, v[20:21]
	v_not_b32_e32 v21, v21
	v_ashrrev_i32_e32 v21, 31, v21
	v_and_b32_e32 v36, v36, v37
	v_xor_b32_e32 v37, vcc_hi, v21
	v_xor_b32_e32 v21, vcc_lo, v21
	v_and_b32_e32 v23, v23, v21
	v_lshlrev_b32_e32 v21, 25, v22
	v_cmp_gt_i64_e32 vcc, 0, v[20:21]
	v_not_b32_e32 v21, v21
	v_ashrrev_i32_e32 v21, 31, v21
	v_and_b32_e32 v36, v36, v37
	v_xor_b32_e32 v37, vcc_hi, v21
	v_xor_b32_e32 v21, vcc_lo, v21
	v_and_b32_e32 v23, v23, v21
	v_lshlrev_b32_e32 v21, 24, v22
	v_cmp_gt_i64_e32 vcc, 0, v[20:21]
	v_not_b32_e32 v20, v21
	v_ashrrev_i32_e32 v20, 31, v20
	v_xor_b32_e32 v21, vcc_hi, v20
	v_xor_b32_e32 v20, vcc_lo, v20
	; wave barrier
	ds_read_b32 v35, v38 offset:64
	v_and_b32_e32 v36, v36, v37
	v_and_b32_e32 v20, v23, v20
	;; [unrolled: 1-line block ×3, first 2 shown]
	v_mbcnt_lo_u32_b32 v22, v20, 0
	v_mbcnt_hi_u32_b32 v36, v21, v22
	v_cmp_eq_u32_e32 vcc, 0, v36
	v_cmp_ne_u64_e64 s[2:3], 0, v[20:21]
	s_and_b64 s[8:9], s[2:3], vcc
	; wave barrier
	s_and_saveexec_b64 s[2:3], s[8:9]
	s_cbranch_execz .LBB1094_29
; %bb.28:
	v_bcnt_u32_b32 v20, v20, 0
	v_bcnt_u32_b32 v20, v21, v20
	s_waitcnt lgkmcnt(0)
	v_add_u32_e32 v20, v35, v20
	ds_write_b32 v38, v20 offset:64
.LBB1094_29:
	s_or_b64 exec, exec, s[2:3]
	v_xor_b32_e32 v13, 0x80000000, v13
	v_lshrrev_b64 v[20:21], s20, v[12:13]
	v_and_b32_e32 v22, s30, v20
	v_and_b32_e32 v21, 1, v22
	v_add_co_u32_e32 v23, vcc, -1, v21
	v_addc_co_u32_e64 v39, s[2:3], 0, -1, vcc
	v_cmp_ne_u32_e32 vcc, 0, v21
	v_lshl_add_u32 v20, v22, 4, v22
	v_xor_b32_e32 v21, vcc_hi, v39
	v_add_lshl_u32 v42, v27, v20, 2
	v_mov_b32_e32 v20, 0
	v_and_b32_e32 v39, exec_hi, v21
	v_lshlrev_b32_e32 v21, 30, v22
	v_xor_b32_e32 v23, vcc_lo, v23
	v_cmp_gt_i64_e32 vcc, 0, v[20:21]
	v_not_b32_e32 v21, v21
	v_ashrrev_i32_e32 v21, 31, v21
	v_and_b32_e32 v23, exec_lo, v23
	v_xor_b32_e32 v40, vcc_hi, v21
	v_xor_b32_e32 v21, vcc_lo, v21
	v_and_b32_e32 v23, v23, v21
	v_lshlrev_b32_e32 v21, 29, v22
	v_cmp_gt_i64_e32 vcc, 0, v[20:21]
	v_not_b32_e32 v21, v21
	v_ashrrev_i32_e32 v21, 31, v21
	v_and_b32_e32 v39, v39, v40
	v_xor_b32_e32 v40, vcc_hi, v21
	v_xor_b32_e32 v21, vcc_lo, v21
	v_and_b32_e32 v23, v23, v21
	v_lshlrev_b32_e32 v21, 28, v22
	v_cmp_gt_i64_e32 vcc, 0, v[20:21]
	v_not_b32_e32 v21, v21
	v_ashrrev_i32_e32 v21, 31, v21
	v_and_b32_e32 v39, v39, v40
	;; [unrolled: 8-line block ×5, first 2 shown]
	v_xor_b32_e32 v40, vcc_hi, v21
	v_xor_b32_e32 v21, vcc_lo, v21
	v_and_b32_e32 v39, v39, v40
	v_and_b32_e32 v40, v23, v21
	v_lshlrev_b32_e32 v21, 24, v22
	v_cmp_gt_i64_e32 vcc, 0, v[20:21]
	v_not_b32_e32 v21, v21
	v_ashrrev_i32_e32 v21, 31, v21
	v_xor_b32_e32 v22, vcc_hi, v21
	v_xor_b32_e32 v21, vcc_lo, v21
	; wave barrier
	ds_read_b32 v37, v42 offset:64
	v_and_b32_e32 v23, v39, v22
	v_and_b32_e32 v22, v40, v21
	v_mbcnt_lo_u32_b32 v21, v22, 0
	v_mbcnt_hi_u32_b32 v39, v23, v21
	v_cmp_eq_u32_e32 vcc, 0, v39
	v_cmp_ne_u64_e64 s[2:3], 0, v[22:23]
	s_and_b64 s[8:9], s[2:3], vcc
	; wave barrier
	s_and_saveexec_b64 s[2:3], s[8:9]
	s_cbranch_execz .LBB1094_31
; %bb.30:
	v_bcnt_u32_b32 v21, v22, 0
	v_bcnt_u32_b32 v21, v23, v21
	s_waitcnt lgkmcnt(0)
	v_add_u32_e32 v21, v37, v21
	ds_write_b32 v42, v21 offset:64
.LBB1094_31:
	s_or_b64 exec, exec, s[2:3]
	v_xor_b32_e32 v15, 0x80000000, v15
	v_lshrrev_b64 v[22:23], s20, v[14:15]
	v_and_b32_e32 v22, s30, v22
	v_lshl_add_u32 v21, v22, 4, v22
	v_add_lshl_u32 v45, v27, v21, 2
	v_and_b32_e32 v21, 1, v22
	v_add_co_u32_e32 v23, vcc, -1, v21
	v_addc_co_u32_e64 v41, s[2:3], 0, -1, vcc
	v_cmp_ne_u32_e32 vcc, 0, v21
	v_xor_b32_e32 v21, vcc_hi, v41
	v_and_b32_e32 v41, exec_hi, v21
	v_lshlrev_b32_e32 v21, 30, v22
	v_xor_b32_e32 v23, vcc_lo, v23
	v_cmp_gt_i64_e32 vcc, 0, v[20:21]
	v_not_b32_e32 v21, v21
	v_ashrrev_i32_e32 v21, 31, v21
	v_and_b32_e32 v23, exec_lo, v23
	v_xor_b32_e32 v43, vcc_hi, v21
	v_xor_b32_e32 v21, vcc_lo, v21
	v_and_b32_e32 v23, v23, v21
	v_lshlrev_b32_e32 v21, 29, v22
	v_cmp_gt_i64_e32 vcc, 0, v[20:21]
	v_not_b32_e32 v21, v21
	v_ashrrev_i32_e32 v21, 31, v21
	v_and_b32_e32 v41, v41, v43
	v_xor_b32_e32 v43, vcc_hi, v21
	v_xor_b32_e32 v21, vcc_lo, v21
	v_and_b32_e32 v23, v23, v21
	v_lshlrev_b32_e32 v21, 28, v22
	v_cmp_gt_i64_e32 vcc, 0, v[20:21]
	v_not_b32_e32 v21, v21
	v_ashrrev_i32_e32 v21, 31, v21
	v_and_b32_e32 v41, v41, v43
	v_xor_b32_e32 v43, vcc_hi, v21
	v_xor_b32_e32 v21, vcc_lo, v21
	v_and_b32_e32 v23, v23, v21
	v_lshlrev_b32_e32 v21, 27, v22
	v_cmp_gt_i64_e32 vcc, 0, v[20:21]
	v_not_b32_e32 v21, v21
	v_ashrrev_i32_e32 v21, 31, v21
	v_and_b32_e32 v41, v41, v43
	v_xor_b32_e32 v43, vcc_hi, v21
	v_xor_b32_e32 v21, vcc_lo, v21
	v_and_b32_e32 v23, v23, v21
	v_lshlrev_b32_e32 v21, 26, v22
	v_cmp_gt_i64_e32 vcc, 0, v[20:21]
	v_not_b32_e32 v21, v21
	v_ashrrev_i32_e32 v21, 31, v21
	v_and_b32_e32 v41, v41, v43
	v_xor_b32_e32 v43, vcc_hi, v21
	v_xor_b32_e32 v21, vcc_lo, v21
	v_and_b32_e32 v23, v23, v21
	v_lshlrev_b32_e32 v21, 25, v22
	v_cmp_gt_i64_e32 vcc, 0, v[20:21]
	v_not_b32_e32 v21, v21
	v_ashrrev_i32_e32 v21, 31, v21
	v_and_b32_e32 v41, v41, v43
	v_xor_b32_e32 v43, vcc_hi, v21
	v_xor_b32_e32 v21, vcc_lo, v21
	v_and_b32_e32 v23, v23, v21
	v_lshlrev_b32_e32 v21, 24, v22
	v_cmp_gt_i64_e32 vcc, 0, v[20:21]
	v_not_b32_e32 v20, v21
	v_ashrrev_i32_e32 v20, 31, v20
	v_xor_b32_e32 v21, vcc_hi, v20
	v_xor_b32_e32 v20, vcc_lo, v20
	; wave barrier
	ds_read_b32 v40, v45 offset:64
	v_and_b32_e32 v41, v41, v43
	v_and_b32_e32 v20, v23, v20
	;; [unrolled: 1-line block ×3, first 2 shown]
	v_mbcnt_lo_u32_b32 v22, v20, 0
	v_mbcnt_hi_u32_b32 v41, v21, v22
	v_cmp_eq_u32_e32 vcc, 0, v41
	v_cmp_ne_u64_e64 s[2:3], 0, v[20:21]
	s_and_b64 s[8:9], s[2:3], vcc
	; wave barrier
	s_and_saveexec_b64 s[2:3], s[8:9]
	s_cbranch_execz .LBB1094_33
; %bb.32:
	v_bcnt_u32_b32 v20, v20, 0
	v_bcnt_u32_b32 v20, v21, v20
	s_waitcnt lgkmcnt(0)
	v_add_u32_e32 v20, v40, v20
	ds_write_b32 v45, v20 offset:64
.LBB1094_33:
	s_or_b64 exec, exec, s[2:3]
	v_xor_b32_e32 v17, 0x80000000, v17
	v_lshrrev_b64 v[20:21], s20, v[16:17]
	v_and_b32_e32 v22, s30, v20
	v_and_b32_e32 v21, 1, v22
	v_add_co_u32_e32 v23, vcc, -1, v21
	v_addc_co_u32_e64 v44, s[2:3], 0, -1, vcc
	v_cmp_ne_u32_e32 vcc, 0, v21
	v_lshl_add_u32 v20, v22, 4, v22
	v_xor_b32_e32 v21, vcc_hi, v44
	v_add_lshl_u32 v47, v27, v20, 2
	v_mov_b32_e32 v20, 0
	v_and_b32_e32 v44, exec_hi, v21
	v_lshlrev_b32_e32 v21, 30, v22
	v_xor_b32_e32 v23, vcc_lo, v23
	v_cmp_gt_i64_e32 vcc, 0, v[20:21]
	v_not_b32_e32 v21, v21
	v_ashrrev_i32_e32 v21, 31, v21
	v_and_b32_e32 v23, exec_lo, v23
	v_xor_b32_e32 v46, vcc_hi, v21
	v_xor_b32_e32 v21, vcc_lo, v21
	v_and_b32_e32 v23, v23, v21
	v_lshlrev_b32_e32 v21, 29, v22
	v_cmp_gt_i64_e32 vcc, 0, v[20:21]
	v_not_b32_e32 v21, v21
	v_ashrrev_i32_e32 v21, 31, v21
	v_and_b32_e32 v44, v44, v46
	v_xor_b32_e32 v46, vcc_hi, v21
	v_xor_b32_e32 v21, vcc_lo, v21
	v_and_b32_e32 v23, v23, v21
	v_lshlrev_b32_e32 v21, 28, v22
	v_cmp_gt_i64_e32 vcc, 0, v[20:21]
	v_not_b32_e32 v21, v21
	v_ashrrev_i32_e32 v21, 31, v21
	v_and_b32_e32 v44, v44, v46
	;; [unrolled: 8-line block ×5, first 2 shown]
	v_xor_b32_e32 v46, vcc_hi, v21
	v_xor_b32_e32 v21, vcc_lo, v21
	v_and_b32_e32 v44, v44, v46
	v_and_b32_e32 v46, v23, v21
	v_lshlrev_b32_e32 v21, 24, v22
	v_cmp_gt_i64_e32 vcc, 0, v[20:21]
	v_not_b32_e32 v21, v21
	v_ashrrev_i32_e32 v21, 31, v21
	v_xor_b32_e32 v22, vcc_hi, v21
	v_xor_b32_e32 v21, vcc_lo, v21
	; wave barrier
	ds_read_b32 v43, v47 offset:64
	v_and_b32_e32 v23, v44, v22
	v_and_b32_e32 v22, v46, v21
	v_mbcnt_lo_u32_b32 v21, v22, 0
	v_mbcnt_hi_u32_b32 v44, v23, v21
	v_cmp_eq_u32_e32 vcc, 0, v44
	v_cmp_ne_u64_e64 s[2:3], 0, v[22:23]
	s_and_b64 s[8:9], s[2:3], vcc
	; wave barrier
	s_and_saveexec_b64 s[2:3], s[8:9]
	s_cbranch_execz .LBB1094_35
; %bb.34:
	v_bcnt_u32_b32 v21, v22, 0
	v_bcnt_u32_b32 v21, v23, v21
	s_waitcnt lgkmcnt(0)
	v_add_u32_e32 v21, v43, v21
	ds_write_b32 v47, v21 offset:64
.LBB1094_35:
	s_or_b64 exec, exec, s[2:3]
	v_xor_b32_e32 v19, 0x80000000, v19
	v_lshrrev_b64 v[22:23], s20, v[18:19]
	v_and_b32_e32 v22, s30, v22
	v_lshl_add_u32 v21, v22, 4, v22
	v_add_lshl_u32 v27, v27, v21, 2
	v_and_b32_e32 v21, 1, v22
	v_add_co_u32_e32 v23, vcc, -1, v21
	v_addc_co_u32_e64 v48, s[2:3], 0, -1, vcc
	v_cmp_ne_u32_e32 vcc, 0, v21
	v_xor_b32_e32 v21, vcc_hi, v48
	v_and_b32_e32 v48, exec_hi, v21
	v_lshlrev_b32_e32 v21, 30, v22
	v_xor_b32_e32 v23, vcc_lo, v23
	v_cmp_gt_i64_e32 vcc, 0, v[20:21]
	v_not_b32_e32 v21, v21
	v_ashrrev_i32_e32 v21, 31, v21
	v_and_b32_e32 v23, exec_lo, v23
	v_xor_b32_e32 v50, vcc_hi, v21
	v_xor_b32_e32 v21, vcc_lo, v21
	v_and_b32_e32 v23, v23, v21
	v_lshlrev_b32_e32 v21, 29, v22
	v_cmp_gt_i64_e32 vcc, 0, v[20:21]
	v_not_b32_e32 v21, v21
	v_ashrrev_i32_e32 v21, 31, v21
	v_and_b32_e32 v48, v48, v50
	v_xor_b32_e32 v50, vcc_hi, v21
	v_xor_b32_e32 v21, vcc_lo, v21
	v_and_b32_e32 v23, v23, v21
	v_lshlrev_b32_e32 v21, 28, v22
	v_cmp_gt_i64_e32 vcc, 0, v[20:21]
	v_not_b32_e32 v21, v21
	v_ashrrev_i32_e32 v21, 31, v21
	v_and_b32_e32 v48, v48, v50
	;; [unrolled: 8-line block ×5, first 2 shown]
	v_xor_b32_e32 v50, vcc_hi, v21
	v_xor_b32_e32 v21, vcc_lo, v21
	v_and_b32_e32 v23, v23, v21
	v_lshlrev_b32_e32 v21, 24, v22
	v_cmp_gt_i64_e32 vcc, 0, v[20:21]
	v_not_b32_e32 v20, v21
	v_ashrrev_i32_e32 v20, 31, v20
	v_xor_b32_e32 v21, vcc_hi, v20
	v_xor_b32_e32 v20, vcc_lo, v20
	; wave barrier
	ds_read_b32 v46, v27 offset:64
	v_and_b32_e32 v48, v48, v50
	v_and_b32_e32 v20, v23, v20
	;; [unrolled: 1-line block ×3, first 2 shown]
	v_mbcnt_lo_u32_b32 v22, v20, 0
	v_mbcnt_hi_u32_b32 v48, v21, v22
	v_cmp_eq_u32_e32 vcc, 0, v48
	v_cmp_ne_u64_e64 s[2:3], 0, v[20:21]
	v_add_u32_e32 v49, 64, v3
	s_and_b64 s[8:9], s[2:3], vcc
	; wave barrier
	s_and_saveexec_b64 s[2:3], s[8:9]
	s_cbranch_execz .LBB1094_37
; %bb.36:
	v_bcnt_u32_b32 v20, v20, 0
	v_bcnt_u32_b32 v20, v21, v20
	s_waitcnt lgkmcnt(0)
	v_add_u32_e32 v20, v46, v20
	ds_write_b32 v27, v20 offset:64
.LBB1094_37:
	s_or_b64 exec, exec, s[2:3]
	; wave barrier
	s_waitcnt lgkmcnt(0)
	s_barrier
	ds_read2_b32 v[22:23], v3 offset0:16 offset1:17
	ds_read2_b32 v[20:21], v49 offset0:2 offset1:3
	ds_read_b32 v50, v49 offset:16
	v_cmp_lt_u32_e64 s[12:13], 31, v1
	s_waitcnt lgkmcnt(1)
	v_add3_u32 v51, v23, v22, v20
	s_waitcnt lgkmcnt(0)
	v_add3_u32 v50, v51, v21, v50
	v_and_b32_e32 v51, 15, v1
	v_cmp_eq_u32_e32 vcc, 0, v51
	v_mov_b32_dpp v52, v50 row_shr:1 row_mask:0xf bank_mask:0xf
	v_cndmask_b32_e64 v52, v52, 0, vcc
	v_add_u32_e32 v50, v52, v50
	v_cmp_lt_u32_e64 s[2:3], 1, v51
	v_cmp_lt_u32_e64 s[10:11], 3, v51
	v_mov_b32_dpp v52, v50 row_shr:2 row_mask:0xf bank_mask:0xf
	v_cndmask_b32_e64 v52, 0, v52, s[2:3]
	v_add_u32_e32 v50, v50, v52
	v_cmp_lt_u32_e64 s[8:9], 7, v51
	s_nop 0
	v_mov_b32_dpp v52, v50 row_shr:4 row_mask:0xf bank_mask:0xf
	v_cndmask_b32_e64 v52, 0, v52, s[10:11]
	v_add_u32_e32 v50, v50, v52
	s_nop 1
	v_mov_b32_dpp v52, v50 row_shr:8 row_mask:0xf bank_mask:0xf
	v_cndmask_b32_e64 v51, 0, v52, s[8:9]
	v_add_u32_e32 v50, v50, v51
	v_bfe_i32 v52, v1, 4, 1
	s_nop 0
	v_mov_b32_dpp v51, v50 row_bcast:15 row_mask:0xf bank_mask:0xf
	v_and_b32_e32 v51, v52, v51
	v_add_u32_e32 v50, v50, v51
	v_and_b32_e32 v52, 63, v2
	s_nop 0
	v_mov_b32_dpp v51, v50 row_bcast:31 row_mask:0xf bank_mask:0xf
	v_cndmask_b32_e64 v51, 0, v51, s[12:13]
	v_add_u32_e32 v50, v50, v51
	v_lshrrev_b32_e32 v51, 6, v2
	v_cmp_eq_u32_e64 s[12:13], 63, v52
	s_and_saveexec_b64 s[22:23], s[12:13]
	s_cbranch_execz .LBB1094_39
; %bb.38:
	v_lshlrev_b32_e32 v52, 2, v51
	ds_write_b32 v52, v50
.LBB1094_39:
	s_or_b64 exec, exec, s[22:23]
	v_cmp_gt_u32_e64 s[12:13], 16, v2
	s_waitcnt lgkmcnt(0)
	s_barrier
	s_and_saveexec_b64 s[22:23], s[12:13]
	s_cbranch_execz .LBB1094_41
; %bb.40:
	v_lshlrev_b32_e32 v52, 2, v2
	ds_read_b32 v53, v52
	s_waitcnt lgkmcnt(0)
	s_nop 0
	v_mov_b32_dpp v54, v53 row_shr:1 row_mask:0xf bank_mask:0xf
	v_cndmask_b32_e64 v54, v54, 0, vcc
	v_add_u32_e32 v53, v54, v53
	s_nop 1
	v_mov_b32_dpp v54, v53 row_shr:2 row_mask:0xf bank_mask:0xf
	v_cndmask_b32_e64 v54, 0, v54, s[2:3]
	v_add_u32_e32 v53, v53, v54
	s_nop 1
	v_mov_b32_dpp v54, v53 row_shr:4 row_mask:0xf bank_mask:0xf
	v_cndmask_b32_e64 v54, 0, v54, s[10:11]
	;; [unrolled: 4-line block ×3, first 2 shown]
	v_add_u32_e32 v53, v53, v54
	ds_write_b32 v52, v53
.LBB1094_41:
	s_or_b64 exec, exec, s[22:23]
	v_cmp_lt_u32_e32 vcc, 63, v2
	v_mov_b32_e32 v52, 0
	s_waitcnt lgkmcnt(0)
	s_barrier
	s_and_saveexec_b64 s[2:3], vcc
	s_cbranch_execz .LBB1094_43
; %bb.42:
	v_lshl_add_u32 v51, v51, 2, -4
	ds_read_b32 v52, v51
.LBB1094_43:
	s_or_b64 exec, exec, s[2:3]
	v_add_u32_e32 v51, -1, v1
	v_and_b32_e32 v53, 64, v1
	v_cmp_lt_i32_e32 vcc, v51, v53
	v_cndmask_b32_e32 v51, v51, v1, vcc
	s_waitcnt lgkmcnt(0)
	v_add_u32_e32 v50, v52, v50
	v_lshlrev_b32_e32 v51, 2, v51
	ds_bpermute_b32 v50, v51, v50
	v_cmp_eq_u32_e32 vcc, 0, v1
	s_movk_i32 s8, 0xff
	s_movk_i32 s2, 0x100
	v_cmp_gt_u32_e64 s[2:3], s2, v2
	s_waitcnt lgkmcnt(0)
	v_cndmask_b32_e32 v1, v50, v52, vcc
	v_cndmask_b32_e64 v1, v1, 0, s[0:1]
	v_add_u32_e32 v22, v1, v22
	v_add_u32_e32 v23, v22, v23
	v_add_u32_e32 v20, v23, v20
	v_add_u32_e32 v21, v20, v21
	ds_write2_b32 v3, v1, v22 offset0:16 offset1:17
	ds_write2_b32 v49, v23, v20 offset0:2 offset1:3
	ds_write_b32 v49, v21 offset:16
	s_waitcnt lgkmcnt(0)
	s_barrier
	ds_read_b32 v51, v24 offset:64
	ds_read_b32 v1, v25 offset:64
	;; [unrolled: 1-line block ×8, first 2 shown]
	v_cmp_lt_u32_e32 vcc, s8, v2
	v_pk_mov_b32 v[20:21], 0, 0
                                        ; implicit-def: $vgpr38
	s_and_saveexec_b64 s[10:11], s[2:3]
	s_cbranch_execz .LBB1094_47
; %bb.44:
	v_mul_u32_u24_e32 v3, 17, v2
	v_lshlrev_b32_e32 v21, 2, v3
	ds_read_b32 v20, v21 offset:64
	v_cmp_ne_u32_e64 s[8:9], s8, v2
	v_mov_b32_e32 v3, 0x2000
	s_and_saveexec_b64 s[12:13], s[8:9]
	s_cbranch_execz .LBB1094_46
; %bb.45:
	ds_read_b32 v3, v21 offset:132
.LBB1094_46:
	s_or_b64 exec, exec, s[12:13]
	s_waitcnt lgkmcnt(0)
	v_sub_u32_e32 v38, v3, v20
	v_mov_b32_e32 v21, 0
.LBB1094_47:
	s_or_b64 exec, exec, s[10:11]
	s_waitcnt lgkmcnt(0)
	s_barrier
	s_and_saveexec_b64 s[8:9], vcc
	s_xor_b64 s[8:9], exec, s[8:9]
; %bb.48:
	v_mov_b32_e32 v3, 0
; %bb.49:
	s_andn2_saveexec_b64 s[8:9], s[8:9]
	s_cbranch_execz .LBB1094_59
; %bb.50:
	v_lshl_or_b32 v22, s28, 8, v2
	v_mov_b32_e32 v23, 0
	v_lshlrev_b64 v[24:25], 2, v[22:23]
	v_mov_b32_e32 v3, s15
	v_add_co_u32_e32 v24, vcc, s14, v24
	v_addc_co_u32_e32 v25, vcc, v3, v25, vcc
	v_or_b32_e32 v22, 2.0, v38
	s_mov_b64 s[10:11], 0
	s_brev_b32 s31, 1
	s_mov_b32 s33, s28
	v_mov_b32_e32 v53, 0
	global_store_dword v[24:25], v22, off
                                        ; implicit-def: $sgpr12_sgpr13
	s_branch .LBB1094_52
.LBB1094_51:                            ;   in Loop: Header=BB1094_52 Depth=1
	s_or_b64 exec, exec, s[12:13]
	v_and_b32_e32 v26, 0x3fffffff, v54
	v_add_u32_e32 v53, v26, v53
	v_cmp_eq_u32_e64 s[12:13], s31, v22
	s_and_b64 s[22:23], exec, s[12:13]
	s_or_b64 s[10:11], s[22:23], s[10:11]
	s_andn2_b64 exec, exec, s[10:11]
	s_cbranch_execz .LBB1094_58
.LBB1094_52:                            ; =>This Loop Header: Depth=1
                                        ;     Child Loop BB1094_55 Depth 2
	s_or_b64 s[12:13], s[12:13], exec
	s_cmp_eq_u32 s33, 0
	s_cbranch_scc1 .LBB1094_57
; %bb.53:                               ;   in Loop: Header=BB1094_52 Depth=1
	s_add_i32 s33, s33, -1
	v_lshl_or_b32 v22, s33, 8, v2
	v_lshlrev_b64 v[26:27], 2, v[22:23]
	v_add_co_u32_e32 v26, vcc, s14, v26
	v_addc_co_u32_e32 v27, vcc, v3, v27, vcc
	global_load_dword v54, v[26:27], off glc
	s_waitcnt vmcnt(0)
	v_and_b32_e32 v22, -2.0, v54
	v_cmp_eq_u32_e32 vcc, 0, v22
	s_and_saveexec_b64 s[12:13], vcc
	s_cbranch_execz .LBB1094_51
; %bb.54:                               ;   in Loop: Header=BB1094_52 Depth=1
	s_mov_b64 s[22:23], 0
.LBB1094_55:                            ;   Parent Loop BB1094_52 Depth=1
                                        ; =>  This Inner Loop Header: Depth=2
	global_load_dword v54, v[26:27], off glc
	s_waitcnt vmcnt(0)
	v_and_b32_e32 v22, -2.0, v54
	v_cmp_ne_u32_e32 vcc, 0, v22
	s_or_b64 s[22:23], vcc, s[22:23]
	s_andn2_b64 exec, exec, s[22:23]
	s_cbranch_execnz .LBB1094_55
; %bb.56:                               ;   in Loop: Header=BB1094_52 Depth=1
	s_or_b64 exec, exec, s[22:23]
	s_branch .LBB1094_51
.LBB1094_57:                            ;   in Loop: Header=BB1094_52 Depth=1
                                        ; implicit-def: $sgpr33
	s_and_b64 s[22:23], exec, s[12:13]
	s_or_b64 s[10:11], s[22:23], s[10:11]
	s_andn2_b64 exec, exec, s[10:11]
	s_cbranch_execnz .LBB1094_52
.LBB1094_58:
	s_or_b64 exec, exec, s[10:11]
	v_add_u32_e32 v3, v53, v38
	v_or_b32_e32 v3, 0x80000000, v3
	global_store_dword v[24:25], v3, off
	global_load_dwordx2 v[22:23], v28, s[16:17]
	v_sub_co_u32_e32 v24, vcc, v53, v20
	v_subb_co_u32_e32 v25, vcc, 0, v21, vcc
	v_mov_b32_e32 v3, 0
	s_waitcnt vmcnt(0)
	v_add_co_u32_e32 v22, vcc, v24, v22
	v_addc_co_u32_e32 v23, vcc, v25, v23, vcc
	ds_write_b64 v28, v[22:23]
.LBB1094_59:
	s_or_b64 exec, exec, s[8:9]
	v_add_u32_e32 v23, v51, v30
	v_add3_u32 v30, v39, v42, v37
	v_add3_u32 v35, v36, v50, v35
	v_lshlrev_b64 v[36:37], 3, v[2:3]
	v_add3_u32 v31, v32, v1, v31
	v_mov_b32_e32 v1, s27
	v_add_co_u32_e32 v22, vcc, s26, v36
	v_add_u32_e32 v24, 0x800, v28
	v_add3_u32 v25, v48, v52, v46
	v_add3_u32 v26, v44, v47, v43
	;; [unrolled: 1-line block ×4, first 2 shown]
	v_addc_co_u32_e32 v1, vcc, v1, v37, vcc
	s_mov_b32 s10, 0
	v_mov_b32_e32 v32, v2
	s_branch .LBB1094_61
.LBB1094_60:                            ;   in Loop: Header=BB1094_61 Depth=1
	s_or_b64 exec, exec, s[8:9]
	s_addk_i32 s10, 0xf800
	v_add_co_u32_e32 v22, vcc, 0x4000, v22
	v_addc_co_u32_e32 v1, vcc, 0, v1, vcc
	s_cmpk_eq_i32 s10, 0xe000
	v_add_u32_e32 v32, 0x800, v32
	s_barrier
	s_cbranch_scc1 .LBB1094_66
.LBB1094_61:                            ; =>This Inner Loop Header: Depth=1
	v_add_u32_e32 v34, s10, v23
	v_min_u32_e32 v34, 0x800, v34
	v_lshlrev_b32_e32 v34, 3, v34
	ds_write_b64 v34, v[4:5] offset:2048
	v_add_u32_e32 v34, s10, v31
	v_min_u32_e32 v34, 0x800, v34
	v_lshlrev_b32_e32 v34, 3, v34
	ds_write_b64 v34, v[6:7] offset:2048
	;; [unrolled: 4-line block ×7, first 2 shown]
	v_add_u32_e32 v34, s10, v25
	v_min_u32_e32 v34, 0x800, v34
	v_lshlrev_b32_e32 v34, 3, v34
	v_cmp_gt_u32_e32 vcc, s7, v32
	ds_write_b64 v34, v[18:19] offset:2048
	s_waitcnt lgkmcnt(0)
	s_barrier
	s_and_saveexec_b64 s[8:9], vcc
	s_cbranch_execz .LBB1094_63
; %bb.62:                               ;   in Loop: Header=BB1094_61 Depth=1
	ds_read_b64 v[36:37], v28 offset:2048
	s_waitcnt lgkmcnt(0)
	v_lshrrev_b64 v[40:41], s20, v[36:37]
	v_and_b32_e32 v34, s30, v40
	v_lshlrev_b32_e32 v34, 3, v34
	ds_read_b64 v[40:41], v34
	v_xor_b32_e32 v37, 0x80000000, v37
	s_waitcnt lgkmcnt(0)
	v_lshlrev_b64 v[40:41], 3, v[40:41]
	v_add_co_u32_e32 v40, vcc, v22, v40
	v_addc_co_u32_e32 v41, vcc, v1, v41, vcc
	global_store_dwordx2 v[40:41], v[36:37], off
.LBB1094_63:                            ;   in Loop: Header=BB1094_61 Depth=1
	s_or_b64 exec, exec, s[8:9]
	v_add_u32_e32 v34, 0x400, v32
	v_cmp_gt_u32_e32 vcc, s7, v34
	s_and_saveexec_b64 s[8:9], vcc
	s_cbranch_execz .LBB1094_60
; %bb.64:                               ;   in Loop: Header=BB1094_61 Depth=1
	ds_read_b64 v[36:37], v24 offset:8192
	s_waitcnt lgkmcnt(0)
	v_lshrrev_b64 v[40:41], s20, v[36:37]
	v_and_b32_e32 v34, s30, v40
	v_lshlrev_b32_e32 v34, 3, v34
	ds_read_b64 v[40:41], v34
	v_xor_b32_e32 v37, 0x80000000, v37
	s_waitcnt lgkmcnt(0)
	v_lshlrev_b64 v[40:41], 3, v[40:41]
	v_add_co_u32_e32 v34, vcc, v22, v40
	v_addc_co_u32_e32 v39, vcc, v1, v41, vcc
	v_add_co_u32_e32 v40, vcc, 0x2000, v34
	v_addc_co_u32_e32 v41, vcc, 0, v39, vcc
	global_store_dwordx2 v[40:41], v[36:37], off
	s_branch .LBB1094_60
.LBB1094_65:
	s_mov_b64 s[2:3], 0
                                        ; implicit-def: $vgpr20_vgpr21
                                        ; implicit-def: $vgpr38
	s_cbranch_execnz .LBB1094_67
	s_branch .LBB1094_108
.LBB1094_66:
	s_add_i32 s29, s29, -1
	s_cmp_eq_u32 s29, s28
	s_cselect_b64 s[8:9], -1, 0
	s_and_b64 s[2:3], s[2:3], s[8:9]
	s_branch .LBB1094_108
.LBB1094_67:
	s_lshl_b32 s2, s28, 13
	s_mov_b32 s3, 0
	v_mbcnt_hi_u32_b32 v3, -1, v29
	s_lshl_b64 s[2:3], s[2:3], 3
	v_and_b32_e32 v1, 63, v3
	s_add_u32 s2, s24, s2
	v_lshlrev_b32_e32 v1, 3, v1
	v_add_co_u32_e32 v1, vcc, s2, v1
	s_load_dword s12, s[4:5], 0x58
	s_load_dword s2, s[4:5], 0x64
	s_addc_u32 s3, s25, s3
	v_mov_b32_e32 v4, s3
	v_lshlrev_b32_e32 v5, 6, v2
	v_addc_co_u32_e32 v4, vcc, 0, v4, vcc
	v_and_b32_e32 v5, 0xf000, v5
	s_add_u32 s3, s4, 0x58
	v_add_co_u32_e32 v20, vcc, v1, v5
	s_addc_u32 s4, s5, 0
	s_waitcnt lgkmcnt(0)
	s_lshr_b32 s5, s2, 16
	v_addc_co_u32_e32 v21, vcc, 0, v4, vcc
	s_cmp_lt_u32 s6, s12
	global_load_dwordx2 v[4:5], v[20:21], off
	s_cselect_b32 s2, 12, 18
	s_add_u32 s2, s3, s2
	v_mov_b32_e32 v18, 0
	s_addc_u32 s3, s4, 0
	global_load_ushort v19, v18, s[2:3]
	v_mul_u32_u24_e32 v6, 5, v2
	v_lshlrev_b32_e32 v22, 2, v6
	v_bfe_u32 v1, v0, 10, 10
	v_bfe_u32 v0, v0, 20, 10
	ds_write2_b32 v22, v18, v18 offset0:16 offset1:17
	ds_write2_b32 v22, v18, v18 offset0:18 offset1:19
	ds_write_b32 v22, v18 offset:80
	v_mad_u32_u24 v23, v0, s5, v1
	global_load_dwordx2 v[0:1], v[20:21], off offset:512
	global_load_dwordx2 v[6:7], v[20:21], off offset:1024
	global_load_dwordx2 v[8:9], v[20:21], off offset:1536
	global_load_dwordx2 v[10:11], v[20:21], off offset:2048
	global_load_dwordx2 v[12:13], v[20:21], off offset:2560
	global_load_dwordx2 v[14:15], v[20:21], off offset:3072
	global_load_dwordx2 v[16:17], v[20:21], off offset:3584
	s_lshl_b32 s2, -1, s21
	s_not_b32 s13, s2
	s_waitcnt lgkmcnt(0)
	s_barrier
	s_waitcnt lgkmcnt(0)
	; wave barrier
	s_waitcnt vmcnt(8)
	v_xor_b32_e32 v5, 0x80000000, v5
	v_lshrrev_b64 v[20:21], s20, v[4:5]
	v_and_b32_e32 v24, s13, v20
	s_waitcnt vmcnt(7)
	v_mad_u64_u32 v[20:21], s[2:3], v23, v19, v[2:3]
	v_and_b32_e32 v23, 1, v24
	v_lshrrev_b32_e32 v25, 6, v20
	v_add_co_u32_e32 v20, vcc, -1, v23
	v_lshlrev_b32_e32 v19, 30, v24
	v_addc_co_u32_e64 v26, s[2:3], 0, -1, vcc
	v_lshl_add_u32 v21, v24, 4, v24
	v_cmp_ne_u32_e32 vcc, 0, v23
	v_cmp_gt_i64_e64 s[2:3], 0, v[18:19]
	v_not_b32_e32 v27, v19
	v_lshlrev_b32_e32 v19, 29, v24
	v_add_lshl_u32 v23, v25, v21, 2
	v_xor_b32_e32 v21, vcc_hi, v26
	v_xor_b32_e32 v20, vcc_lo, v20
	v_ashrrev_i32_e32 v26, 31, v27
	v_cmp_gt_i64_e32 vcc, 0, v[18:19]
	v_not_b32_e32 v27, v19
	v_lshlrev_b32_e32 v19, 28, v24
	v_and_b32_e32 v21, exec_hi, v21
	v_and_b32_e32 v20, exec_lo, v20
	v_xor_b32_e32 v29, s3, v26
	v_xor_b32_e32 v26, s2, v26
	v_ashrrev_i32_e32 v27, 31, v27
	v_cmp_gt_i64_e64 s[2:3], 0, v[18:19]
	v_not_b32_e32 v30, v19
	v_lshlrev_b32_e32 v19, 27, v24
	v_and_b32_e32 v21, v21, v29
	v_and_b32_e32 v20, v20, v26
	v_xor_b32_e32 v26, vcc_hi, v27
	v_xor_b32_e32 v27, vcc_lo, v27
	v_ashrrev_i32_e32 v29, 31, v30
	v_cmp_gt_i64_e32 vcc, 0, v[18:19]
	v_not_b32_e32 v19, v19
	v_and_b32_e32 v21, v21, v26
	v_and_b32_e32 v20, v20, v27
	v_xor_b32_e32 v26, s3, v29
	v_xor_b32_e32 v27, s2, v29
	v_ashrrev_i32_e32 v19, 31, v19
	v_and_b32_e32 v21, v21, v26
	v_and_b32_e32 v20, v20, v27
	v_xor_b32_e32 v26, vcc_hi, v19
	v_xor_b32_e32 v19, vcc_lo, v19
	v_and_b32_e32 v20, v20, v19
	v_lshlrev_b32_e32 v19, 26, v24
	v_cmp_gt_i64_e32 vcc, 0, v[18:19]
	v_not_b32_e32 v19, v19
	v_ashrrev_i32_e32 v19, 31, v19
	v_and_b32_e32 v21, v21, v26
	v_xor_b32_e32 v26, vcc_hi, v19
	v_xor_b32_e32 v19, vcc_lo, v19
	v_and_b32_e32 v20, v20, v19
	v_lshlrev_b32_e32 v19, 25, v24
	v_cmp_gt_i64_e32 vcc, 0, v[18:19]
	v_not_b32_e32 v19, v19
	v_ashrrev_i32_e32 v19, 31, v19
	;; [unrolled: 8-line block ×3, first 2 shown]
	v_xor_b32_e32 v24, vcc_hi, v19
	v_xor_b32_e32 v19, vcc_lo, v19
	v_and_b32_e32 v21, v21, v26
	v_and_b32_e32 v20, v20, v19
	;; [unrolled: 1-line block ×3, first 2 shown]
	v_mbcnt_lo_u32_b32 v19, v20, 0
	v_mbcnt_hi_u32_b32 v26, v21, v19
	v_cmp_eq_u32_e32 vcc, 0, v26
	v_cmp_ne_u64_e64 s[2:3], 0, v[20:21]
	s_and_b64 s[4:5], s[2:3], vcc
	s_and_saveexec_b64 s[2:3], s[4:5]
	s_cbranch_execz .LBB1094_69
; %bb.68:
	v_bcnt_u32_b32 v19, v20, 0
	v_bcnt_u32_b32 v19, v21, v19
	ds_write_b32 v23, v19 offset:64
.LBB1094_69:
	s_or_b64 exec, exec, s[2:3]
	s_waitcnt vmcnt(6)
	v_xor_b32_e32 v1, 0x80000000, v1
	v_lshrrev_b64 v[20:21], s20, v[0:1]
	v_and_b32_e32 v20, s13, v20
	v_lshl_add_u32 v19, v20, 4, v20
	v_add_lshl_u32 v24, v25, v19, 2
	v_and_b32_e32 v19, 1, v20
	v_add_co_u32_e32 v21, vcc, -1, v19
	v_addc_co_u32_e64 v29, s[2:3], 0, -1, vcc
	v_cmp_ne_u32_e32 vcc, 0, v19
	v_xor_b32_e32 v19, vcc_hi, v29
	v_and_b32_e32 v29, exec_hi, v19
	v_lshlrev_b32_e32 v19, 30, v20
	v_xor_b32_e32 v21, vcc_lo, v21
	v_cmp_gt_i64_e32 vcc, 0, v[18:19]
	v_not_b32_e32 v19, v19
	v_ashrrev_i32_e32 v19, 31, v19
	v_and_b32_e32 v21, exec_lo, v21
	v_xor_b32_e32 v30, vcc_hi, v19
	v_xor_b32_e32 v19, vcc_lo, v19
	v_and_b32_e32 v21, v21, v19
	v_lshlrev_b32_e32 v19, 29, v20
	v_cmp_gt_i64_e32 vcc, 0, v[18:19]
	v_not_b32_e32 v19, v19
	v_ashrrev_i32_e32 v19, 31, v19
	v_and_b32_e32 v29, v29, v30
	v_xor_b32_e32 v30, vcc_hi, v19
	v_xor_b32_e32 v19, vcc_lo, v19
	v_and_b32_e32 v21, v21, v19
	v_lshlrev_b32_e32 v19, 28, v20
	v_cmp_gt_i64_e32 vcc, 0, v[18:19]
	v_not_b32_e32 v19, v19
	v_ashrrev_i32_e32 v19, 31, v19
	v_and_b32_e32 v29, v29, v30
	;; [unrolled: 8-line block ×5, first 2 shown]
	v_xor_b32_e32 v30, vcc_hi, v19
	v_xor_b32_e32 v19, vcc_lo, v19
	v_and_b32_e32 v21, v21, v19
	v_lshlrev_b32_e32 v19, 24, v20
	v_cmp_gt_i64_e32 vcc, 0, v[18:19]
	v_not_b32_e32 v18, v19
	v_ashrrev_i32_e32 v18, 31, v18
	v_xor_b32_e32 v19, vcc_hi, v18
	v_xor_b32_e32 v18, vcc_lo, v18
	; wave barrier
	ds_read_b32 v27, v24 offset:64
	v_and_b32_e32 v29, v29, v30
	v_and_b32_e32 v18, v21, v18
	;; [unrolled: 1-line block ×3, first 2 shown]
	v_mbcnt_lo_u32_b32 v20, v18, 0
	v_mbcnt_hi_u32_b32 v29, v19, v20
	v_cmp_eq_u32_e32 vcc, 0, v29
	v_cmp_ne_u64_e64 s[2:3], 0, v[18:19]
	s_and_b64 s[4:5], s[2:3], vcc
	; wave barrier
	s_and_saveexec_b64 s[2:3], s[4:5]
	s_cbranch_execz .LBB1094_71
; %bb.70:
	v_bcnt_u32_b32 v18, v18, 0
	v_bcnt_u32_b32 v18, v19, v18
	s_waitcnt lgkmcnt(0)
	v_add_u32_e32 v18, v27, v18
	ds_write_b32 v24, v18 offset:64
.LBB1094_71:
	s_or_b64 exec, exec, s[2:3]
	s_waitcnt vmcnt(5)
	v_xor_b32_e32 v7, 0x80000000, v7
	v_lshrrev_b64 v[18:19], s20, v[6:7]
	v_and_b32_e32 v20, s13, v18
	v_and_b32_e32 v19, 1, v20
	v_add_co_u32_e32 v21, vcc, -1, v19
	v_addc_co_u32_e64 v31, s[2:3], 0, -1, vcc
	v_cmp_ne_u32_e32 vcc, 0, v19
	v_lshl_add_u32 v18, v20, 4, v20
	v_xor_b32_e32 v19, vcc_hi, v31
	v_add_lshl_u32 v34, v25, v18, 2
	v_mov_b32_e32 v18, 0
	v_and_b32_e32 v31, exec_hi, v19
	v_lshlrev_b32_e32 v19, 30, v20
	v_xor_b32_e32 v21, vcc_lo, v21
	v_cmp_gt_i64_e32 vcc, 0, v[18:19]
	v_not_b32_e32 v19, v19
	v_ashrrev_i32_e32 v19, 31, v19
	v_and_b32_e32 v21, exec_lo, v21
	v_xor_b32_e32 v32, vcc_hi, v19
	v_xor_b32_e32 v19, vcc_lo, v19
	v_and_b32_e32 v21, v21, v19
	v_lshlrev_b32_e32 v19, 29, v20
	v_cmp_gt_i64_e32 vcc, 0, v[18:19]
	v_not_b32_e32 v19, v19
	v_ashrrev_i32_e32 v19, 31, v19
	v_and_b32_e32 v31, v31, v32
	v_xor_b32_e32 v32, vcc_hi, v19
	v_xor_b32_e32 v19, vcc_lo, v19
	v_and_b32_e32 v21, v21, v19
	v_lshlrev_b32_e32 v19, 28, v20
	v_cmp_gt_i64_e32 vcc, 0, v[18:19]
	v_not_b32_e32 v19, v19
	v_ashrrev_i32_e32 v19, 31, v19
	v_and_b32_e32 v31, v31, v32
	;; [unrolled: 8-line block ×5, first 2 shown]
	v_xor_b32_e32 v32, vcc_hi, v19
	v_xor_b32_e32 v19, vcc_lo, v19
	v_and_b32_e32 v31, v31, v32
	v_and_b32_e32 v32, v21, v19
	v_lshlrev_b32_e32 v19, 24, v20
	v_cmp_gt_i64_e32 vcc, 0, v[18:19]
	v_not_b32_e32 v19, v19
	v_ashrrev_i32_e32 v19, 31, v19
	v_xor_b32_e32 v20, vcc_hi, v19
	v_xor_b32_e32 v19, vcc_lo, v19
	; wave barrier
	ds_read_b32 v30, v34 offset:64
	v_and_b32_e32 v21, v31, v20
	v_and_b32_e32 v20, v32, v19
	v_mbcnt_lo_u32_b32 v19, v20, 0
	v_mbcnt_hi_u32_b32 v31, v21, v19
	v_cmp_eq_u32_e32 vcc, 0, v31
	v_cmp_ne_u64_e64 s[2:3], 0, v[20:21]
	s_and_b64 s[4:5], s[2:3], vcc
	; wave barrier
	s_and_saveexec_b64 s[2:3], s[4:5]
	s_cbranch_execz .LBB1094_73
; %bb.72:
	v_bcnt_u32_b32 v19, v20, 0
	v_bcnt_u32_b32 v19, v21, v19
	s_waitcnt lgkmcnt(0)
	v_add_u32_e32 v19, v30, v19
	ds_write_b32 v34, v19 offset:64
.LBB1094_73:
	s_or_b64 exec, exec, s[2:3]
	s_waitcnt vmcnt(4)
	v_xor_b32_e32 v9, 0x80000000, v9
	v_lshrrev_b64 v[20:21], s20, v[8:9]
	v_and_b32_e32 v20, s13, v20
	v_lshl_add_u32 v19, v20, 4, v20
	v_add_lshl_u32 v37, v25, v19, 2
	v_and_b32_e32 v19, 1, v20
	v_add_co_u32_e32 v21, vcc, -1, v19
	v_addc_co_u32_e64 v33, s[2:3], 0, -1, vcc
	v_cmp_ne_u32_e32 vcc, 0, v19
	v_xor_b32_e32 v19, vcc_hi, v33
	v_and_b32_e32 v33, exec_hi, v19
	v_lshlrev_b32_e32 v19, 30, v20
	v_xor_b32_e32 v21, vcc_lo, v21
	v_cmp_gt_i64_e32 vcc, 0, v[18:19]
	v_not_b32_e32 v19, v19
	v_ashrrev_i32_e32 v19, 31, v19
	v_and_b32_e32 v21, exec_lo, v21
	v_xor_b32_e32 v35, vcc_hi, v19
	v_xor_b32_e32 v19, vcc_lo, v19
	v_and_b32_e32 v21, v21, v19
	v_lshlrev_b32_e32 v19, 29, v20
	v_cmp_gt_i64_e32 vcc, 0, v[18:19]
	v_not_b32_e32 v19, v19
	v_ashrrev_i32_e32 v19, 31, v19
	v_and_b32_e32 v33, v33, v35
	v_xor_b32_e32 v35, vcc_hi, v19
	v_xor_b32_e32 v19, vcc_lo, v19
	v_and_b32_e32 v21, v21, v19
	v_lshlrev_b32_e32 v19, 28, v20
	v_cmp_gt_i64_e32 vcc, 0, v[18:19]
	v_not_b32_e32 v19, v19
	v_ashrrev_i32_e32 v19, 31, v19
	v_and_b32_e32 v33, v33, v35
	;; [unrolled: 8-line block ×5, first 2 shown]
	v_xor_b32_e32 v35, vcc_hi, v19
	v_xor_b32_e32 v19, vcc_lo, v19
	v_and_b32_e32 v21, v21, v19
	v_lshlrev_b32_e32 v19, 24, v20
	v_cmp_gt_i64_e32 vcc, 0, v[18:19]
	v_not_b32_e32 v18, v19
	v_ashrrev_i32_e32 v18, 31, v18
	v_xor_b32_e32 v19, vcc_hi, v18
	v_xor_b32_e32 v18, vcc_lo, v18
	; wave barrier
	ds_read_b32 v32, v37 offset:64
	v_and_b32_e32 v33, v33, v35
	v_and_b32_e32 v18, v21, v18
	;; [unrolled: 1-line block ×3, first 2 shown]
	v_mbcnt_lo_u32_b32 v20, v18, 0
	v_mbcnt_hi_u32_b32 v33, v19, v20
	v_cmp_eq_u32_e32 vcc, 0, v33
	v_cmp_ne_u64_e64 s[2:3], 0, v[18:19]
	s_and_b64 s[4:5], s[2:3], vcc
	; wave barrier
	s_and_saveexec_b64 s[2:3], s[4:5]
	s_cbranch_execz .LBB1094_75
; %bb.74:
	v_bcnt_u32_b32 v18, v18, 0
	v_bcnt_u32_b32 v18, v19, v18
	s_waitcnt lgkmcnt(0)
	v_add_u32_e32 v18, v32, v18
	ds_write_b32 v37, v18 offset:64
.LBB1094_75:
	s_or_b64 exec, exec, s[2:3]
	s_waitcnt vmcnt(3)
	v_xor_b32_e32 v11, 0x80000000, v11
	v_lshrrev_b64 v[18:19], s20, v[10:11]
	v_and_b32_e32 v20, s13, v18
	v_and_b32_e32 v19, 1, v20
	v_add_co_u32_e32 v21, vcc, -1, v19
	v_addc_co_u32_e64 v36, s[2:3], 0, -1, vcc
	v_cmp_ne_u32_e32 vcc, 0, v19
	v_lshl_add_u32 v18, v20, 4, v20
	v_xor_b32_e32 v19, vcc_hi, v36
	v_add_lshl_u32 v38, v25, v18, 2
	v_mov_b32_e32 v18, 0
	v_and_b32_e32 v36, exec_hi, v19
	v_lshlrev_b32_e32 v19, 30, v20
	v_xor_b32_e32 v21, vcc_lo, v21
	v_cmp_gt_i64_e32 vcc, 0, v[18:19]
	v_not_b32_e32 v19, v19
	v_ashrrev_i32_e32 v19, 31, v19
	v_and_b32_e32 v21, exec_lo, v21
	v_xor_b32_e32 v39, vcc_hi, v19
	v_xor_b32_e32 v19, vcc_lo, v19
	v_and_b32_e32 v21, v21, v19
	v_lshlrev_b32_e32 v19, 29, v20
	v_cmp_gt_i64_e32 vcc, 0, v[18:19]
	v_not_b32_e32 v19, v19
	v_ashrrev_i32_e32 v19, 31, v19
	v_and_b32_e32 v36, v36, v39
	v_xor_b32_e32 v39, vcc_hi, v19
	v_xor_b32_e32 v19, vcc_lo, v19
	v_and_b32_e32 v21, v21, v19
	v_lshlrev_b32_e32 v19, 28, v20
	v_cmp_gt_i64_e32 vcc, 0, v[18:19]
	v_not_b32_e32 v19, v19
	v_ashrrev_i32_e32 v19, 31, v19
	v_and_b32_e32 v36, v36, v39
	;; [unrolled: 8-line block ×5, first 2 shown]
	v_xor_b32_e32 v39, vcc_hi, v19
	v_xor_b32_e32 v19, vcc_lo, v19
	v_and_b32_e32 v36, v36, v39
	v_and_b32_e32 v39, v21, v19
	v_lshlrev_b32_e32 v19, 24, v20
	v_cmp_gt_i64_e32 vcc, 0, v[18:19]
	v_not_b32_e32 v19, v19
	v_ashrrev_i32_e32 v19, 31, v19
	v_xor_b32_e32 v20, vcc_hi, v19
	v_xor_b32_e32 v19, vcc_lo, v19
	; wave barrier
	ds_read_b32 v35, v38 offset:64
	v_and_b32_e32 v21, v36, v20
	v_and_b32_e32 v20, v39, v19
	v_mbcnt_lo_u32_b32 v19, v20, 0
	v_mbcnt_hi_u32_b32 v36, v21, v19
	v_cmp_eq_u32_e32 vcc, 0, v36
	v_cmp_ne_u64_e64 s[2:3], 0, v[20:21]
	s_and_b64 s[4:5], s[2:3], vcc
	; wave barrier
	s_and_saveexec_b64 s[2:3], s[4:5]
	s_cbranch_execz .LBB1094_77
; %bb.76:
	v_bcnt_u32_b32 v19, v20, 0
	v_bcnt_u32_b32 v19, v21, v19
	s_waitcnt lgkmcnt(0)
	v_add_u32_e32 v19, v35, v19
	ds_write_b32 v38, v19 offset:64
.LBB1094_77:
	s_or_b64 exec, exec, s[2:3]
	s_waitcnt vmcnt(2)
	v_xor_b32_e32 v13, 0x80000000, v13
	v_lshrrev_b64 v[20:21], s20, v[12:13]
	v_and_b32_e32 v20, s13, v20
	v_lshl_add_u32 v19, v20, 4, v20
	v_add_lshl_u32 v43, v25, v19, 2
	v_and_b32_e32 v19, 1, v20
	v_add_co_u32_e32 v21, vcc, -1, v19
	v_addc_co_u32_e64 v40, s[2:3], 0, -1, vcc
	v_cmp_ne_u32_e32 vcc, 0, v19
	v_xor_b32_e32 v19, vcc_hi, v40
	v_and_b32_e32 v40, exec_hi, v19
	v_lshlrev_b32_e32 v19, 30, v20
	v_xor_b32_e32 v21, vcc_lo, v21
	v_cmp_gt_i64_e32 vcc, 0, v[18:19]
	v_not_b32_e32 v19, v19
	v_ashrrev_i32_e32 v19, 31, v19
	v_and_b32_e32 v21, exec_lo, v21
	v_xor_b32_e32 v41, vcc_hi, v19
	v_xor_b32_e32 v19, vcc_lo, v19
	v_and_b32_e32 v21, v21, v19
	v_lshlrev_b32_e32 v19, 29, v20
	v_cmp_gt_i64_e32 vcc, 0, v[18:19]
	v_not_b32_e32 v19, v19
	v_ashrrev_i32_e32 v19, 31, v19
	v_and_b32_e32 v40, v40, v41
	v_xor_b32_e32 v41, vcc_hi, v19
	v_xor_b32_e32 v19, vcc_lo, v19
	v_and_b32_e32 v21, v21, v19
	v_lshlrev_b32_e32 v19, 28, v20
	v_cmp_gt_i64_e32 vcc, 0, v[18:19]
	v_not_b32_e32 v19, v19
	v_ashrrev_i32_e32 v19, 31, v19
	v_and_b32_e32 v40, v40, v41
	;; [unrolled: 8-line block ×5, first 2 shown]
	v_xor_b32_e32 v41, vcc_hi, v19
	v_xor_b32_e32 v19, vcc_lo, v19
	v_and_b32_e32 v21, v21, v19
	v_lshlrev_b32_e32 v19, 24, v20
	v_cmp_gt_i64_e32 vcc, 0, v[18:19]
	v_not_b32_e32 v18, v19
	v_ashrrev_i32_e32 v18, 31, v18
	v_xor_b32_e32 v19, vcc_hi, v18
	v_xor_b32_e32 v18, vcc_lo, v18
	; wave barrier
	ds_read_b32 v39, v43 offset:64
	v_and_b32_e32 v40, v40, v41
	v_and_b32_e32 v18, v21, v18
	;; [unrolled: 1-line block ×3, first 2 shown]
	v_mbcnt_lo_u32_b32 v20, v18, 0
	v_mbcnt_hi_u32_b32 v40, v19, v20
	v_cmp_eq_u32_e32 vcc, 0, v40
	v_cmp_ne_u64_e64 s[2:3], 0, v[18:19]
	s_and_b64 s[4:5], s[2:3], vcc
	; wave barrier
	s_and_saveexec_b64 s[2:3], s[4:5]
	s_cbranch_execz .LBB1094_79
; %bb.78:
	v_bcnt_u32_b32 v18, v18, 0
	v_bcnt_u32_b32 v18, v19, v18
	s_waitcnt lgkmcnt(0)
	v_add_u32_e32 v18, v39, v18
	ds_write_b32 v43, v18 offset:64
.LBB1094_79:
	s_or_b64 exec, exec, s[2:3]
	s_waitcnt vmcnt(1)
	v_xor_b32_e32 v15, 0x80000000, v15
	v_lshrrev_b64 v[18:19], s20, v[14:15]
	v_and_b32_e32 v20, s13, v18
	v_and_b32_e32 v19, 1, v20
	v_add_co_u32_e32 v21, vcc, -1, v19
	v_addc_co_u32_e64 v42, s[2:3], 0, -1, vcc
	v_cmp_ne_u32_e32 vcc, 0, v19
	v_lshl_add_u32 v18, v20, 4, v20
	v_xor_b32_e32 v19, vcc_hi, v42
	v_add_lshl_u32 v46, v25, v18, 2
	v_mov_b32_e32 v18, 0
	v_and_b32_e32 v42, exec_hi, v19
	v_lshlrev_b32_e32 v19, 30, v20
	v_xor_b32_e32 v21, vcc_lo, v21
	v_cmp_gt_i64_e32 vcc, 0, v[18:19]
	v_not_b32_e32 v19, v19
	v_ashrrev_i32_e32 v19, 31, v19
	v_and_b32_e32 v21, exec_lo, v21
	v_xor_b32_e32 v44, vcc_hi, v19
	v_xor_b32_e32 v19, vcc_lo, v19
	v_and_b32_e32 v21, v21, v19
	v_lshlrev_b32_e32 v19, 29, v20
	v_cmp_gt_i64_e32 vcc, 0, v[18:19]
	v_not_b32_e32 v19, v19
	v_ashrrev_i32_e32 v19, 31, v19
	v_and_b32_e32 v42, v42, v44
	v_xor_b32_e32 v44, vcc_hi, v19
	v_xor_b32_e32 v19, vcc_lo, v19
	v_and_b32_e32 v21, v21, v19
	v_lshlrev_b32_e32 v19, 28, v20
	v_cmp_gt_i64_e32 vcc, 0, v[18:19]
	v_not_b32_e32 v19, v19
	v_ashrrev_i32_e32 v19, 31, v19
	v_and_b32_e32 v42, v42, v44
	;; [unrolled: 8-line block ×5, first 2 shown]
	v_xor_b32_e32 v44, vcc_hi, v19
	v_xor_b32_e32 v19, vcc_lo, v19
	v_and_b32_e32 v42, v42, v44
	v_and_b32_e32 v44, v21, v19
	v_lshlrev_b32_e32 v19, 24, v20
	v_cmp_gt_i64_e32 vcc, 0, v[18:19]
	v_not_b32_e32 v19, v19
	v_ashrrev_i32_e32 v19, 31, v19
	v_xor_b32_e32 v20, vcc_hi, v19
	v_xor_b32_e32 v19, vcc_lo, v19
	; wave barrier
	ds_read_b32 v41, v46 offset:64
	v_and_b32_e32 v21, v42, v20
	v_and_b32_e32 v20, v44, v19
	v_mbcnt_lo_u32_b32 v19, v20, 0
	v_mbcnt_hi_u32_b32 v42, v21, v19
	v_cmp_eq_u32_e32 vcc, 0, v42
	v_cmp_ne_u64_e64 s[2:3], 0, v[20:21]
	s_and_b64 s[4:5], s[2:3], vcc
	; wave barrier
	s_and_saveexec_b64 s[2:3], s[4:5]
	s_cbranch_execz .LBB1094_81
; %bb.80:
	v_bcnt_u32_b32 v19, v20, 0
	v_bcnt_u32_b32 v19, v21, v19
	s_waitcnt lgkmcnt(0)
	v_add_u32_e32 v19, v41, v19
	ds_write_b32 v46, v19 offset:64
.LBB1094_81:
	s_or_b64 exec, exec, s[2:3]
	s_waitcnt vmcnt(0)
	v_xor_b32_e32 v17, 0x80000000, v17
	v_lshrrev_b64 v[20:21], s20, v[16:17]
	v_and_b32_e32 v20, s13, v20
	v_lshl_add_u32 v19, v20, 4, v20
	v_add_lshl_u32 v25, v25, v19, 2
	v_and_b32_e32 v19, 1, v20
	v_add_co_u32_e32 v21, vcc, -1, v19
	v_addc_co_u32_e64 v45, s[2:3], 0, -1, vcc
	v_cmp_ne_u32_e32 vcc, 0, v19
	v_xor_b32_e32 v19, vcc_hi, v45
	v_and_b32_e32 v45, exec_hi, v19
	v_lshlrev_b32_e32 v19, 30, v20
	v_xor_b32_e32 v21, vcc_lo, v21
	v_cmp_gt_i64_e32 vcc, 0, v[18:19]
	v_not_b32_e32 v19, v19
	v_ashrrev_i32_e32 v19, 31, v19
	v_and_b32_e32 v21, exec_lo, v21
	v_xor_b32_e32 v48, vcc_hi, v19
	v_xor_b32_e32 v19, vcc_lo, v19
	v_and_b32_e32 v21, v21, v19
	v_lshlrev_b32_e32 v19, 29, v20
	v_cmp_gt_i64_e32 vcc, 0, v[18:19]
	v_not_b32_e32 v19, v19
	v_ashrrev_i32_e32 v19, 31, v19
	v_and_b32_e32 v45, v45, v48
	v_xor_b32_e32 v48, vcc_hi, v19
	v_xor_b32_e32 v19, vcc_lo, v19
	v_and_b32_e32 v21, v21, v19
	v_lshlrev_b32_e32 v19, 28, v20
	v_cmp_gt_i64_e32 vcc, 0, v[18:19]
	v_not_b32_e32 v19, v19
	v_ashrrev_i32_e32 v19, 31, v19
	v_and_b32_e32 v45, v45, v48
	;; [unrolled: 8-line block ×5, first 2 shown]
	v_xor_b32_e32 v48, vcc_hi, v19
	v_xor_b32_e32 v19, vcc_lo, v19
	v_and_b32_e32 v21, v21, v19
	v_lshlrev_b32_e32 v19, 24, v20
	v_cmp_gt_i64_e32 vcc, 0, v[18:19]
	v_not_b32_e32 v18, v19
	v_ashrrev_i32_e32 v18, 31, v18
	v_xor_b32_e32 v19, vcc_hi, v18
	v_xor_b32_e32 v18, vcc_lo, v18
	; wave barrier
	ds_read_b32 v44, v25 offset:64
	v_and_b32_e32 v45, v45, v48
	v_and_b32_e32 v18, v21, v18
	;; [unrolled: 1-line block ×3, first 2 shown]
	v_mbcnt_lo_u32_b32 v20, v18, 0
	v_mbcnt_hi_u32_b32 v45, v19, v20
	v_cmp_eq_u32_e32 vcc, 0, v45
	v_cmp_ne_u64_e64 s[2:3], 0, v[18:19]
	v_add_u32_e32 v47, 64, v22
	s_and_b64 s[4:5], s[2:3], vcc
	; wave barrier
	s_and_saveexec_b64 s[2:3], s[4:5]
	s_cbranch_execz .LBB1094_83
; %bb.82:
	v_bcnt_u32_b32 v18, v18, 0
	v_bcnt_u32_b32 v18, v19, v18
	s_waitcnt lgkmcnt(0)
	v_add_u32_e32 v18, v44, v18
	ds_write_b32 v25, v18 offset:64
.LBB1094_83:
	s_or_b64 exec, exec, s[2:3]
	; wave barrier
	s_waitcnt lgkmcnt(0)
	s_barrier
	ds_read2_b32 v[20:21], v22 offset0:16 offset1:17
	ds_read2_b32 v[18:19], v47 offset0:2 offset1:3
	ds_read_b32 v48, v47 offset:16
	v_cmp_lt_u32_e64 s[8:9], 31, v3
	s_waitcnt lgkmcnt(1)
	v_add3_u32 v49, v21, v20, v18
	s_waitcnt lgkmcnt(0)
	v_add3_u32 v48, v49, v19, v48
	v_and_b32_e32 v49, 15, v3
	v_cmp_eq_u32_e32 vcc, 0, v49
	v_mov_b32_dpp v50, v48 row_shr:1 row_mask:0xf bank_mask:0xf
	v_cndmask_b32_e64 v50, v50, 0, vcc
	v_add_u32_e32 v48, v50, v48
	v_cmp_lt_u32_e64 s[2:3], 1, v49
	v_cmp_lt_u32_e64 s[4:5], 3, v49
	v_mov_b32_dpp v50, v48 row_shr:2 row_mask:0xf bank_mask:0xf
	v_cndmask_b32_e64 v50, 0, v50, s[2:3]
	v_add_u32_e32 v48, v48, v50
	v_cmp_lt_u32_e64 s[6:7], 7, v49
	s_nop 0
	v_mov_b32_dpp v50, v48 row_shr:4 row_mask:0xf bank_mask:0xf
	v_cndmask_b32_e64 v50, 0, v50, s[4:5]
	v_add_u32_e32 v48, v48, v50
	s_nop 1
	v_mov_b32_dpp v50, v48 row_shr:8 row_mask:0xf bank_mask:0xf
	v_cndmask_b32_e64 v49, 0, v50, s[6:7]
	v_add_u32_e32 v48, v48, v49
	v_bfe_i32 v50, v3, 4, 1
	s_nop 0
	v_mov_b32_dpp v49, v48 row_bcast:15 row_mask:0xf bank_mask:0xf
	v_and_b32_e32 v49, v50, v49
	v_add_u32_e32 v48, v48, v49
	v_and_b32_e32 v50, 63, v2
	s_nop 0
	v_mov_b32_dpp v49, v48 row_bcast:31 row_mask:0xf bank_mask:0xf
	v_cndmask_b32_e64 v49, 0, v49, s[8:9]
	v_add_u32_e32 v48, v48, v49
	v_lshrrev_b32_e32 v49, 6, v2
	v_cmp_eq_u32_e64 s[8:9], 63, v50
	s_and_saveexec_b64 s[10:11], s[8:9]
	s_cbranch_execz .LBB1094_85
; %bb.84:
	v_lshlrev_b32_e32 v50, 2, v49
	ds_write_b32 v50, v48
.LBB1094_85:
	s_or_b64 exec, exec, s[10:11]
	v_cmp_gt_u32_e64 s[8:9], 16, v2
	s_waitcnt lgkmcnt(0)
	s_barrier
	s_and_saveexec_b64 s[10:11], s[8:9]
	s_cbranch_execz .LBB1094_87
; %bb.86:
	v_lshlrev_b32_e32 v50, 2, v2
	ds_read_b32 v51, v50
	s_waitcnt lgkmcnt(0)
	s_nop 0
	v_mov_b32_dpp v52, v51 row_shr:1 row_mask:0xf bank_mask:0xf
	v_cndmask_b32_e64 v52, v52, 0, vcc
	v_add_u32_e32 v51, v52, v51
	s_nop 1
	v_mov_b32_dpp v52, v51 row_shr:2 row_mask:0xf bank_mask:0xf
	v_cndmask_b32_e64 v52, 0, v52, s[2:3]
	v_add_u32_e32 v51, v51, v52
	s_nop 1
	v_mov_b32_dpp v52, v51 row_shr:4 row_mask:0xf bank_mask:0xf
	v_cndmask_b32_e64 v52, 0, v52, s[4:5]
	;; [unrolled: 4-line block ×3, first 2 shown]
	v_add_u32_e32 v51, v51, v52
	ds_write_b32 v50, v51
.LBB1094_87:
	s_or_b64 exec, exec, s[10:11]
	v_cmp_lt_u32_e32 vcc, 63, v2
	v_mov_b32_e32 v50, 0
	s_waitcnt lgkmcnt(0)
	s_barrier
	s_and_saveexec_b64 s[2:3], vcc
	s_cbranch_execz .LBB1094_89
; %bb.88:
	v_lshl_add_u32 v49, v49, 2, -4
	ds_read_b32 v50, v49
.LBB1094_89:
	s_or_b64 exec, exec, s[2:3]
	v_add_u32_e32 v49, -1, v3
	v_and_b32_e32 v51, 64, v3
	v_cmp_lt_i32_e32 vcc, v49, v51
	v_cndmask_b32_e32 v49, v49, v3, vcc
	s_waitcnt lgkmcnt(0)
	v_add_u32_e32 v48, v50, v48
	v_lshlrev_b32_e32 v49, 2, v49
	ds_bpermute_b32 v48, v49, v48
	v_cmp_eq_u32_e32 vcc, 0, v3
	s_movk_i32 s2, 0xff
	s_waitcnt lgkmcnt(0)
	v_cndmask_b32_e32 v3, v48, v50, vcc
	v_cndmask_b32_e64 v3, v3, 0, s[0:1]
	v_add_u32_e32 v20, v3, v20
	v_add_u32_e32 v21, v20, v21
	;; [unrolled: 1-line block ×4, first 2 shown]
	ds_write2_b32 v22, v3, v20 offset0:16 offset1:17
	ds_write2_b32 v47, v21, v18 offset0:2 offset1:3
	ds_write_b32 v47, v19 offset:16
	s_waitcnt lgkmcnt(0)
	s_barrier
	ds_read_b32 v49, v23 offset:64
	ds_read_b32 v47, v24 offset:64
	;; [unrolled: 1-line block ×8, first 2 shown]
	s_movk_i32 s0, 0x100
	v_cmp_lt_u32_e32 vcc, s2, v2
	v_cmp_gt_u32_e64 s[0:1], s0, v2
	v_pk_mov_b32 v[20:21], 0, 0
                                        ; implicit-def: $vgpr38
	s_and_saveexec_b64 s[4:5], s[0:1]
	s_cbranch_execz .LBB1094_93
; %bb.90:
	v_mul_u32_u24_e32 v3, 17, v2
	v_lshlrev_b32_e32 v18, 2, v3
	ds_read_b32 v20, v18 offset:64
	v_cmp_ne_u32_e64 s[2:3], s2, v2
	v_mov_b32_e32 v3, 0x2000
	s_and_saveexec_b64 s[6:7], s[2:3]
	s_cbranch_execz .LBB1094_92
; %bb.91:
	ds_read_b32 v3, v18 offset:132
.LBB1094_92:
	s_or_b64 exec, exec, s[6:7]
	s_waitcnt lgkmcnt(0)
	v_sub_u32_e32 v38, v3, v20
	v_mov_b32_e32 v21, 0
.LBB1094_93:
	s_or_b64 exec, exec, s[4:5]
	s_waitcnt lgkmcnt(0)
	s_barrier
	s_and_saveexec_b64 s[2:3], vcc
	s_xor_b64 s[2:3], exec, s[2:3]
; %bb.94:
	v_mov_b32_e32 v3, 0
; %bb.95:
	s_andn2_saveexec_b64 s[2:3], s[2:3]
	s_cbranch_execz .LBB1094_105
; %bb.96:
	v_lshl_or_b32 v18, s28, 8, v2
	v_mov_b32_e32 v19, 0
	v_lshlrev_b64 v[22:23], 2, v[18:19]
	v_mov_b32_e32 v3, s15
	v_add_co_u32_e32 v22, vcc, s14, v22
	v_addc_co_u32_e32 v23, vcc, v3, v23, vcc
	v_or_b32_e32 v18, 2.0, v38
	s_mov_b64 s[4:5], 0
	s_brev_b32 s10, 1
	s_mov_b32 s11, s28
	v_mov_b32_e32 v51, 0
	global_store_dword v[22:23], v18, off
                                        ; implicit-def: $sgpr6_sgpr7
	s_branch .LBB1094_99
.LBB1094_97:                            ;   in Loop: Header=BB1094_99 Depth=1
	s_or_b64 exec, exec, s[8:9]
.LBB1094_98:                            ;   in Loop: Header=BB1094_99 Depth=1
	s_or_b64 exec, exec, s[6:7]
	v_and_b32_e32 v24, 0x3fffffff, v52
	v_add_u32_e32 v51, v24, v51
	v_cmp_eq_u32_e64 s[6:7], s10, v18
	s_and_b64 s[8:9], exec, s[6:7]
	s_or_b64 s[4:5], s[8:9], s[4:5]
	s_andn2_b64 exec, exec, s[4:5]
	s_cbranch_execz .LBB1094_104
.LBB1094_99:                            ; =>This Loop Header: Depth=1
                                        ;     Child Loop BB1094_102 Depth 2
	s_or_b64 s[6:7], s[6:7], exec
	s_cmp_eq_u32 s11, 0
	s_cbranch_scc1 .LBB1094_103
; %bb.100:                              ;   in Loop: Header=BB1094_99 Depth=1
	s_add_i32 s11, s11, -1
	v_lshl_or_b32 v18, s11, 8, v2
	v_lshlrev_b64 v[24:25], 2, v[18:19]
	v_add_co_u32_e32 v24, vcc, s14, v24
	v_addc_co_u32_e32 v25, vcc, v3, v25, vcc
	global_load_dword v52, v[24:25], off glc
	s_waitcnt vmcnt(0)
	v_and_b32_e32 v18, -2.0, v52
	v_cmp_eq_u32_e32 vcc, 0, v18
	s_and_saveexec_b64 s[6:7], vcc
	s_cbranch_execz .LBB1094_98
; %bb.101:                              ;   in Loop: Header=BB1094_99 Depth=1
	s_mov_b64 s[8:9], 0
.LBB1094_102:                           ;   Parent Loop BB1094_99 Depth=1
                                        ; =>  This Inner Loop Header: Depth=2
	global_load_dword v52, v[24:25], off glc
	s_waitcnt vmcnt(0)
	v_and_b32_e32 v18, -2.0, v52
	v_cmp_ne_u32_e32 vcc, 0, v18
	s_or_b64 s[8:9], vcc, s[8:9]
	s_andn2_b64 exec, exec, s[8:9]
	s_cbranch_execnz .LBB1094_102
	s_branch .LBB1094_97
.LBB1094_103:                           ;   in Loop: Header=BB1094_99 Depth=1
                                        ; implicit-def: $sgpr11
	s_and_b64 s[8:9], exec, s[6:7]
	s_or_b64 s[4:5], s[8:9], s[4:5]
	s_andn2_b64 exec, exec, s[4:5]
	s_cbranch_execnz .LBB1094_99
.LBB1094_104:
	s_or_b64 exec, exec, s[4:5]
	v_add_u32_e32 v3, v51, v38
	v_or_b32_e32 v3, 0x80000000, v3
	global_store_dword v[22:23], v3, off
	global_load_dwordx2 v[18:19], v28, s[16:17]
	v_sub_co_u32_e32 v22, vcc, v51, v20
	v_subb_co_u32_e32 v23, vcc, 0, v21, vcc
	v_mov_b32_e32 v3, 0
	s_waitcnt vmcnt(0)
	v_add_co_u32_e32 v18, vcc, v22, v18
	v_addc_co_u32_e32 v19, vcc, v23, v19, vcc
	ds_write_b64 v28, v[18:19]
.LBB1094_105:
	s_or_b64 exec, exec, s[2:3]
	v_lshlrev_b64 v[18:19], 3, v[2:3]
	v_add3_u32 v27, v29, v47, v27
	v_mov_b32_e32 v29, s27
	v_add_co_u32_e32 v18, vcc, s26, v18
	v_add_u32_e32 v22, v49, v26
	v_add_u32_e32 v23, 0x800, v28
	v_add3_u32 v24, v45, v50, v44
	v_add3_u32 v25, v42, v46, v41
	;; [unrolled: 1-line block ×6, first 2 shown]
	v_addc_co_u32_e32 v19, vcc, v29, v19, vcc
	s_mov_b32 s2, 0
.LBB1094_106:                           ; =>This Inner Loop Header: Depth=1
	v_add_u32_e32 v29, s2, v22
	v_add_u32_e32 v36, s2, v35
	;; [unrolled: 1-line block ×8, first 2 shown]
	v_min_u32_e32 v29, 0x800, v29
	v_min_u32_e32 v36, 0x800, v36
	;; [unrolled: 1-line block ×8, first 2 shown]
	v_lshlrev_b32_e32 v29, 3, v29
	v_lshlrev_b32_e32 v36, 3, v36
	;; [unrolled: 1-line block ×8, first 2 shown]
	ds_write_b64 v29, v[4:5] offset:2048
	ds_write_b64 v31, v[0:1] offset:2048
	;; [unrolled: 1-line block ×8, first 2 shown]
	s_waitcnt lgkmcnt(0)
	s_barrier
	ds_read_b64 v[36:37], v28 offset:2048
	s_addk_i32 s2, 0xf800
	s_cmpk_lg_i32 s2, 0xe000
	s_waitcnt lgkmcnt(0)
	v_lshrrev_b64 v[40:41], s20, v[36:37]
	v_and_b32_e32 v29, s13, v40
	v_lshlrev_b32_e32 v29, 3, v29
	ds_read_b64 v[40:41], v29
	ds_read_b64 v[42:43], v23 offset:8192
	v_xor_b32_e32 v37, 0x80000000, v37
	s_waitcnt lgkmcnt(1)
	v_lshlrev_b64 v[40:41], 3, v[40:41]
	s_waitcnt lgkmcnt(0)
	v_lshrrev_b64 v[44:45], s20, v[42:43]
	v_add_co_u32_e32 v40, vcc, v18, v40
	v_and_b32_e32 v29, s13, v44
	v_addc_co_u32_e32 v41, vcc, v19, v41, vcc
	v_lshlrev_b32_e32 v29, 3, v29
	global_store_dwordx2 v[40:41], v[36:37], off
	ds_read_b64 v[36:37], v29
	v_xor_b32_e32 v43, 0x80000000, v43
	s_waitcnt lgkmcnt(0)
	v_lshlrev_b64 v[36:37], 3, v[36:37]
	v_add_co_u32_e32 v29, vcc, v18, v36
	v_addc_co_u32_e32 v31, vcc, v19, v37, vcc
	v_add_co_u32_e32 v36, vcc, 0x2000, v29
	v_addc_co_u32_e32 v37, vcc, 0, v31, vcc
	;; [unrolled: 2-line block ×3, first 2 shown]
	global_store_dwordx2 v[36:37], v[42:43], off
	s_barrier
	s_cbranch_scc1 .LBB1094_106
; %bb.107:
	s_add_i32 s12, s12, -1
	s_cmp_eq_u32 s12, s28
	s_cselect_b64 s[2:3], -1, 0
	s_and_b64 s[2:3], s[0:1], s[2:3]
.LBB1094_108:
	s_and_saveexec_b64 s[0:1], s[2:3]
	s_cbranch_execnz .LBB1094_110
; %bb.109:
	s_endpgm
.LBB1094_110:
	v_lshlrev_b64 v[0:1], 3, v[2:3]
	ds_read_b64 v[2:3], v28
	v_add_co_u32_e32 v4, vcc, v20, v38
	v_addc_co_u32_e32 v5, vcc, 0, v21, vcc
	v_mov_b32_e32 v6, s19
	v_add_co_u32_e32 v0, vcc, s18, v0
	v_addc_co_u32_e32 v1, vcc, v6, v1, vcc
	s_waitcnt lgkmcnt(0)
	v_add_co_u32_e32 v2, vcc, v4, v2
	v_addc_co_u32_e32 v3, vcc, v5, v3, vcc
	global_store_dwordx2 v[0:1], v[2:3], off
	s_endpgm
	.section	.rodata,"a",@progbits
	.p2align	6, 0x0
	.amdhsa_kernel _ZN7rocprim17ROCPRIM_400000_NS6detail17trampoline_kernelINS0_14default_configENS1_35radix_sort_onesweep_config_selectorIxNS0_10empty_typeEEEZZNS1_29radix_sort_onesweep_iterationIS3_Lb0EPxS8_PS5_S9_mNS0_19identity_decomposerENS1_16block_id_wrapperIjLb1EEEEE10hipError_tT1_PNSt15iterator_traitsISE_E10value_typeET2_T3_PNSF_ISK_E10value_typeET4_T5_PSP_SQ_PNS1_23onesweep_lookback_stateEbbT6_jjT7_P12ihipStream_tbENKUlT_T0_SE_SJ_E_clIS8_S8_S9_S9_EEDaSX_SY_SE_SJ_EUlSX_E_NS1_11comp_targetILNS1_3genE4ELNS1_11target_archE910ELNS1_3gpuE8ELNS1_3repE0EEENS1_47radix_sort_onesweep_sort_config_static_selectorELNS0_4arch9wavefront6targetE1EEEvSE_
		.amdhsa_group_segment_fixed_size 20552
		.amdhsa_private_segment_fixed_size 0
		.amdhsa_kernarg_size 344
		.amdhsa_user_sgpr_count 6
		.amdhsa_user_sgpr_private_segment_buffer 1
		.amdhsa_user_sgpr_dispatch_ptr 0
		.amdhsa_user_sgpr_queue_ptr 0
		.amdhsa_user_sgpr_kernarg_segment_ptr 1
		.amdhsa_user_sgpr_dispatch_id 0
		.amdhsa_user_sgpr_flat_scratch_init 0
		.amdhsa_user_sgpr_kernarg_preload_length 0
		.amdhsa_user_sgpr_kernarg_preload_offset 0
		.amdhsa_user_sgpr_private_segment_size 0
		.amdhsa_uses_dynamic_stack 0
		.amdhsa_system_sgpr_private_segment_wavefront_offset 0
		.amdhsa_system_sgpr_workgroup_id_x 1
		.amdhsa_system_sgpr_workgroup_id_y 0
		.amdhsa_system_sgpr_workgroup_id_z 0
		.amdhsa_system_sgpr_workgroup_info 0
		.amdhsa_system_vgpr_workitem_id 2
		.amdhsa_next_free_vgpr 55
		.amdhsa_next_free_sgpr 34
		.amdhsa_accum_offset 56
		.amdhsa_reserve_vcc 1
		.amdhsa_reserve_flat_scratch 0
		.amdhsa_float_round_mode_32 0
		.amdhsa_float_round_mode_16_64 0
		.amdhsa_float_denorm_mode_32 3
		.amdhsa_float_denorm_mode_16_64 3
		.amdhsa_dx10_clamp 1
		.amdhsa_ieee_mode 1
		.amdhsa_fp16_overflow 0
		.amdhsa_tg_split 0
		.amdhsa_exception_fp_ieee_invalid_op 0
		.amdhsa_exception_fp_denorm_src 0
		.amdhsa_exception_fp_ieee_div_zero 0
		.amdhsa_exception_fp_ieee_overflow 0
		.amdhsa_exception_fp_ieee_underflow 0
		.amdhsa_exception_fp_ieee_inexact 0
		.amdhsa_exception_int_div_zero 0
	.end_amdhsa_kernel
	.section	.text._ZN7rocprim17ROCPRIM_400000_NS6detail17trampoline_kernelINS0_14default_configENS1_35radix_sort_onesweep_config_selectorIxNS0_10empty_typeEEEZZNS1_29radix_sort_onesweep_iterationIS3_Lb0EPxS8_PS5_S9_mNS0_19identity_decomposerENS1_16block_id_wrapperIjLb1EEEEE10hipError_tT1_PNSt15iterator_traitsISE_E10value_typeET2_T3_PNSF_ISK_E10value_typeET4_T5_PSP_SQ_PNS1_23onesweep_lookback_stateEbbT6_jjT7_P12ihipStream_tbENKUlT_T0_SE_SJ_E_clIS8_S8_S9_S9_EEDaSX_SY_SE_SJ_EUlSX_E_NS1_11comp_targetILNS1_3genE4ELNS1_11target_archE910ELNS1_3gpuE8ELNS1_3repE0EEENS1_47radix_sort_onesweep_sort_config_static_selectorELNS0_4arch9wavefront6targetE1EEEvSE_,"axG",@progbits,_ZN7rocprim17ROCPRIM_400000_NS6detail17trampoline_kernelINS0_14default_configENS1_35radix_sort_onesweep_config_selectorIxNS0_10empty_typeEEEZZNS1_29radix_sort_onesweep_iterationIS3_Lb0EPxS8_PS5_S9_mNS0_19identity_decomposerENS1_16block_id_wrapperIjLb1EEEEE10hipError_tT1_PNSt15iterator_traitsISE_E10value_typeET2_T3_PNSF_ISK_E10value_typeET4_T5_PSP_SQ_PNS1_23onesweep_lookback_stateEbbT6_jjT7_P12ihipStream_tbENKUlT_T0_SE_SJ_E_clIS8_S8_S9_S9_EEDaSX_SY_SE_SJ_EUlSX_E_NS1_11comp_targetILNS1_3genE4ELNS1_11target_archE910ELNS1_3gpuE8ELNS1_3repE0EEENS1_47radix_sort_onesweep_sort_config_static_selectorELNS0_4arch9wavefront6targetE1EEEvSE_,comdat
.Lfunc_end1094:
	.size	_ZN7rocprim17ROCPRIM_400000_NS6detail17trampoline_kernelINS0_14default_configENS1_35radix_sort_onesweep_config_selectorIxNS0_10empty_typeEEEZZNS1_29radix_sort_onesweep_iterationIS3_Lb0EPxS8_PS5_S9_mNS0_19identity_decomposerENS1_16block_id_wrapperIjLb1EEEEE10hipError_tT1_PNSt15iterator_traitsISE_E10value_typeET2_T3_PNSF_ISK_E10value_typeET4_T5_PSP_SQ_PNS1_23onesweep_lookback_stateEbbT6_jjT7_P12ihipStream_tbENKUlT_T0_SE_SJ_E_clIS8_S8_S9_S9_EEDaSX_SY_SE_SJ_EUlSX_E_NS1_11comp_targetILNS1_3genE4ELNS1_11target_archE910ELNS1_3gpuE8ELNS1_3repE0EEENS1_47radix_sort_onesweep_sort_config_static_selectorELNS0_4arch9wavefront6targetE1EEEvSE_, .Lfunc_end1094-_ZN7rocprim17ROCPRIM_400000_NS6detail17trampoline_kernelINS0_14default_configENS1_35radix_sort_onesweep_config_selectorIxNS0_10empty_typeEEEZZNS1_29radix_sort_onesweep_iterationIS3_Lb0EPxS8_PS5_S9_mNS0_19identity_decomposerENS1_16block_id_wrapperIjLb1EEEEE10hipError_tT1_PNSt15iterator_traitsISE_E10value_typeET2_T3_PNSF_ISK_E10value_typeET4_T5_PSP_SQ_PNS1_23onesweep_lookback_stateEbbT6_jjT7_P12ihipStream_tbENKUlT_T0_SE_SJ_E_clIS8_S8_S9_S9_EEDaSX_SY_SE_SJ_EUlSX_E_NS1_11comp_targetILNS1_3genE4ELNS1_11target_archE910ELNS1_3gpuE8ELNS1_3repE0EEENS1_47radix_sort_onesweep_sort_config_static_selectorELNS0_4arch9wavefront6targetE1EEEvSE_
                                        ; -- End function
	.section	.AMDGPU.csdata,"",@progbits
; Kernel info:
; codeLenInByte = 10484
; NumSgprs: 38
; NumVgprs: 55
; NumAgprs: 0
; TotalNumVgprs: 55
; ScratchSize: 0
; MemoryBound: 0
; FloatMode: 240
; IeeeMode: 1
; LDSByteSize: 20552 bytes/workgroup (compile time only)
; SGPRBlocks: 4
; VGPRBlocks: 6
; NumSGPRsForWavesPerEU: 38
; NumVGPRsForWavesPerEU: 55
; AccumOffset: 56
; Occupancy: 8
; WaveLimiterHint : 1
; COMPUTE_PGM_RSRC2:SCRATCH_EN: 0
; COMPUTE_PGM_RSRC2:USER_SGPR: 6
; COMPUTE_PGM_RSRC2:TRAP_HANDLER: 0
; COMPUTE_PGM_RSRC2:TGID_X_EN: 1
; COMPUTE_PGM_RSRC2:TGID_Y_EN: 0
; COMPUTE_PGM_RSRC2:TGID_Z_EN: 0
; COMPUTE_PGM_RSRC2:TIDIG_COMP_CNT: 2
; COMPUTE_PGM_RSRC3_GFX90A:ACCUM_OFFSET: 13
; COMPUTE_PGM_RSRC3_GFX90A:TG_SPLIT: 0
	.section	.text._ZN7rocprim17ROCPRIM_400000_NS6detail17trampoline_kernelINS0_14default_configENS1_35radix_sort_onesweep_config_selectorIxNS0_10empty_typeEEEZZNS1_29radix_sort_onesweep_iterationIS3_Lb0EPxS8_PS5_S9_mNS0_19identity_decomposerENS1_16block_id_wrapperIjLb1EEEEE10hipError_tT1_PNSt15iterator_traitsISE_E10value_typeET2_T3_PNSF_ISK_E10value_typeET4_T5_PSP_SQ_PNS1_23onesweep_lookback_stateEbbT6_jjT7_P12ihipStream_tbENKUlT_T0_SE_SJ_E_clIS8_S8_S9_S9_EEDaSX_SY_SE_SJ_EUlSX_E_NS1_11comp_targetILNS1_3genE3ELNS1_11target_archE908ELNS1_3gpuE7ELNS1_3repE0EEENS1_47radix_sort_onesweep_sort_config_static_selectorELNS0_4arch9wavefront6targetE1EEEvSE_,"axG",@progbits,_ZN7rocprim17ROCPRIM_400000_NS6detail17trampoline_kernelINS0_14default_configENS1_35radix_sort_onesweep_config_selectorIxNS0_10empty_typeEEEZZNS1_29radix_sort_onesweep_iterationIS3_Lb0EPxS8_PS5_S9_mNS0_19identity_decomposerENS1_16block_id_wrapperIjLb1EEEEE10hipError_tT1_PNSt15iterator_traitsISE_E10value_typeET2_T3_PNSF_ISK_E10value_typeET4_T5_PSP_SQ_PNS1_23onesweep_lookback_stateEbbT6_jjT7_P12ihipStream_tbENKUlT_T0_SE_SJ_E_clIS8_S8_S9_S9_EEDaSX_SY_SE_SJ_EUlSX_E_NS1_11comp_targetILNS1_3genE3ELNS1_11target_archE908ELNS1_3gpuE7ELNS1_3repE0EEENS1_47radix_sort_onesweep_sort_config_static_selectorELNS0_4arch9wavefront6targetE1EEEvSE_,comdat
	.protected	_ZN7rocprim17ROCPRIM_400000_NS6detail17trampoline_kernelINS0_14default_configENS1_35radix_sort_onesweep_config_selectorIxNS0_10empty_typeEEEZZNS1_29radix_sort_onesweep_iterationIS3_Lb0EPxS8_PS5_S9_mNS0_19identity_decomposerENS1_16block_id_wrapperIjLb1EEEEE10hipError_tT1_PNSt15iterator_traitsISE_E10value_typeET2_T3_PNSF_ISK_E10value_typeET4_T5_PSP_SQ_PNS1_23onesweep_lookback_stateEbbT6_jjT7_P12ihipStream_tbENKUlT_T0_SE_SJ_E_clIS8_S8_S9_S9_EEDaSX_SY_SE_SJ_EUlSX_E_NS1_11comp_targetILNS1_3genE3ELNS1_11target_archE908ELNS1_3gpuE7ELNS1_3repE0EEENS1_47radix_sort_onesweep_sort_config_static_selectorELNS0_4arch9wavefront6targetE1EEEvSE_ ; -- Begin function _ZN7rocprim17ROCPRIM_400000_NS6detail17trampoline_kernelINS0_14default_configENS1_35radix_sort_onesweep_config_selectorIxNS0_10empty_typeEEEZZNS1_29radix_sort_onesweep_iterationIS3_Lb0EPxS8_PS5_S9_mNS0_19identity_decomposerENS1_16block_id_wrapperIjLb1EEEEE10hipError_tT1_PNSt15iterator_traitsISE_E10value_typeET2_T3_PNSF_ISK_E10value_typeET4_T5_PSP_SQ_PNS1_23onesweep_lookback_stateEbbT6_jjT7_P12ihipStream_tbENKUlT_T0_SE_SJ_E_clIS8_S8_S9_S9_EEDaSX_SY_SE_SJ_EUlSX_E_NS1_11comp_targetILNS1_3genE3ELNS1_11target_archE908ELNS1_3gpuE7ELNS1_3repE0EEENS1_47radix_sort_onesweep_sort_config_static_selectorELNS0_4arch9wavefront6targetE1EEEvSE_
	.globl	_ZN7rocprim17ROCPRIM_400000_NS6detail17trampoline_kernelINS0_14default_configENS1_35radix_sort_onesweep_config_selectorIxNS0_10empty_typeEEEZZNS1_29radix_sort_onesweep_iterationIS3_Lb0EPxS8_PS5_S9_mNS0_19identity_decomposerENS1_16block_id_wrapperIjLb1EEEEE10hipError_tT1_PNSt15iterator_traitsISE_E10value_typeET2_T3_PNSF_ISK_E10value_typeET4_T5_PSP_SQ_PNS1_23onesweep_lookback_stateEbbT6_jjT7_P12ihipStream_tbENKUlT_T0_SE_SJ_E_clIS8_S8_S9_S9_EEDaSX_SY_SE_SJ_EUlSX_E_NS1_11comp_targetILNS1_3genE3ELNS1_11target_archE908ELNS1_3gpuE7ELNS1_3repE0EEENS1_47radix_sort_onesweep_sort_config_static_selectorELNS0_4arch9wavefront6targetE1EEEvSE_
	.p2align	8
	.type	_ZN7rocprim17ROCPRIM_400000_NS6detail17trampoline_kernelINS0_14default_configENS1_35radix_sort_onesweep_config_selectorIxNS0_10empty_typeEEEZZNS1_29radix_sort_onesweep_iterationIS3_Lb0EPxS8_PS5_S9_mNS0_19identity_decomposerENS1_16block_id_wrapperIjLb1EEEEE10hipError_tT1_PNSt15iterator_traitsISE_E10value_typeET2_T3_PNSF_ISK_E10value_typeET4_T5_PSP_SQ_PNS1_23onesweep_lookback_stateEbbT6_jjT7_P12ihipStream_tbENKUlT_T0_SE_SJ_E_clIS8_S8_S9_S9_EEDaSX_SY_SE_SJ_EUlSX_E_NS1_11comp_targetILNS1_3genE3ELNS1_11target_archE908ELNS1_3gpuE7ELNS1_3repE0EEENS1_47radix_sort_onesweep_sort_config_static_selectorELNS0_4arch9wavefront6targetE1EEEvSE_,@function
_ZN7rocprim17ROCPRIM_400000_NS6detail17trampoline_kernelINS0_14default_configENS1_35radix_sort_onesweep_config_selectorIxNS0_10empty_typeEEEZZNS1_29radix_sort_onesweep_iterationIS3_Lb0EPxS8_PS5_S9_mNS0_19identity_decomposerENS1_16block_id_wrapperIjLb1EEEEE10hipError_tT1_PNSt15iterator_traitsISE_E10value_typeET2_T3_PNSF_ISK_E10value_typeET4_T5_PSP_SQ_PNS1_23onesweep_lookback_stateEbbT6_jjT7_P12ihipStream_tbENKUlT_T0_SE_SJ_E_clIS8_S8_S9_S9_EEDaSX_SY_SE_SJ_EUlSX_E_NS1_11comp_targetILNS1_3genE3ELNS1_11target_archE908ELNS1_3gpuE7ELNS1_3repE0EEENS1_47radix_sort_onesweep_sort_config_static_selectorELNS0_4arch9wavefront6targetE1EEEvSE_: ; @_ZN7rocprim17ROCPRIM_400000_NS6detail17trampoline_kernelINS0_14default_configENS1_35radix_sort_onesweep_config_selectorIxNS0_10empty_typeEEEZZNS1_29radix_sort_onesweep_iterationIS3_Lb0EPxS8_PS5_S9_mNS0_19identity_decomposerENS1_16block_id_wrapperIjLb1EEEEE10hipError_tT1_PNSt15iterator_traitsISE_E10value_typeET2_T3_PNSF_ISK_E10value_typeET4_T5_PSP_SQ_PNS1_23onesweep_lookback_stateEbbT6_jjT7_P12ihipStream_tbENKUlT_T0_SE_SJ_E_clIS8_S8_S9_S9_EEDaSX_SY_SE_SJ_EUlSX_E_NS1_11comp_targetILNS1_3genE3ELNS1_11target_archE908ELNS1_3gpuE7ELNS1_3repE0EEENS1_47radix_sort_onesweep_sort_config_static_selectorELNS0_4arch9wavefront6targetE1EEEvSE_
; %bb.0:
	.section	.rodata,"a",@progbits
	.p2align	6, 0x0
	.amdhsa_kernel _ZN7rocprim17ROCPRIM_400000_NS6detail17trampoline_kernelINS0_14default_configENS1_35radix_sort_onesweep_config_selectorIxNS0_10empty_typeEEEZZNS1_29radix_sort_onesweep_iterationIS3_Lb0EPxS8_PS5_S9_mNS0_19identity_decomposerENS1_16block_id_wrapperIjLb1EEEEE10hipError_tT1_PNSt15iterator_traitsISE_E10value_typeET2_T3_PNSF_ISK_E10value_typeET4_T5_PSP_SQ_PNS1_23onesweep_lookback_stateEbbT6_jjT7_P12ihipStream_tbENKUlT_T0_SE_SJ_E_clIS8_S8_S9_S9_EEDaSX_SY_SE_SJ_EUlSX_E_NS1_11comp_targetILNS1_3genE3ELNS1_11target_archE908ELNS1_3gpuE7ELNS1_3repE0EEENS1_47radix_sort_onesweep_sort_config_static_selectorELNS0_4arch9wavefront6targetE1EEEvSE_
		.amdhsa_group_segment_fixed_size 0
		.amdhsa_private_segment_fixed_size 0
		.amdhsa_kernarg_size 88
		.amdhsa_user_sgpr_count 6
		.amdhsa_user_sgpr_private_segment_buffer 1
		.amdhsa_user_sgpr_dispatch_ptr 0
		.amdhsa_user_sgpr_queue_ptr 0
		.amdhsa_user_sgpr_kernarg_segment_ptr 1
		.amdhsa_user_sgpr_dispatch_id 0
		.amdhsa_user_sgpr_flat_scratch_init 0
		.amdhsa_user_sgpr_kernarg_preload_length 0
		.amdhsa_user_sgpr_kernarg_preload_offset 0
		.amdhsa_user_sgpr_private_segment_size 0
		.amdhsa_uses_dynamic_stack 0
		.amdhsa_system_sgpr_private_segment_wavefront_offset 0
		.amdhsa_system_sgpr_workgroup_id_x 1
		.amdhsa_system_sgpr_workgroup_id_y 0
		.amdhsa_system_sgpr_workgroup_id_z 0
		.amdhsa_system_sgpr_workgroup_info 0
		.amdhsa_system_vgpr_workitem_id 0
		.amdhsa_next_free_vgpr 1
		.amdhsa_next_free_sgpr 0
		.amdhsa_accum_offset 4
		.amdhsa_reserve_vcc 0
		.amdhsa_reserve_flat_scratch 0
		.amdhsa_float_round_mode_32 0
		.amdhsa_float_round_mode_16_64 0
		.amdhsa_float_denorm_mode_32 3
		.amdhsa_float_denorm_mode_16_64 3
		.amdhsa_dx10_clamp 1
		.amdhsa_ieee_mode 1
		.amdhsa_fp16_overflow 0
		.amdhsa_tg_split 0
		.amdhsa_exception_fp_ieee_invalid_op 0
		.amdhsa_exception_fp_denorm_src 0
		.amdhsa_exception_fp_ieee_div_zero 0
		.amdhsa_exception_fp_ieee_overflow 0
		.amdhsa_exception_fp_ieee_underflow 0
		.amdhsa_exception_fp_ieee_inexact 0
		.amdhsa_exception_int_div_zero 0
	.end_amdhsa_kernel
	.section	.text._ZN7rocprim17ROCPRIM_400000_NS6detail17trampoline_kernelINS0_14default_configENS1_35radix_sort_onesweep_config_selectorIxNS0_10empty_typeEEEZZNS1_29radix_sort_onesweep_iterationIS3_Lb0EPxS8_PS5_S9_mNS0_19identity_decomposerENS1_16block_id_wrapperIjLb1EEEEE10hipError_tT1_PNSt15iterator_traitsISE_E10value_typeET2_T3_PNSF_ISK_E10value_typeET4_T5_PSP_SQ_PNS1_23onesweep_lookback_stateEbbT6_jjT7_P12ihipStream_tbENKUlT_T0_SE_SJ_E_clIS8_S8_S9_S9_EEDaSX_SY_SE_SJ_EUlSX_E_NS1_11comp_targetILNS1_3genE3ELNS1_11target_archE908ELNS1_3gpuE7ELNS1_3repE0EEENS1_47radix_sort_onesweep_sort_config_static_selectorELNS0_4arch9wavefront6targetE1EEEvSE_,"axG",@progbits,_ZN7rocprim17ROCPRIM_400000_NS6detail17trampoline_kernelINS0_14default_configENS1_35radix_sort_onesweep_config_selectorIxNS0_10empty_typeEEEZZNS1_29radix_sort_onesweep_iterationIS3_Lb0EPxS8_PS5_S9_mNS0_19identity_decomposerENS1_16block_id_wrapperIjLb1EEEEE10hipError_tT1_PNSt15iterator_traitsISE_E10value_typeET2_T3_PNSF_ISK_E10value_typeET4_T5_PSP_SQ_PNS1_23onesweep_lookback_stateEbbT6_jjT7_P12ihipStream_tbENKUlT_T0_SE_SJ_E_clIS8_S8_S9_S9_EEDaSX_SY_SE_SJ_EUlSX_E_NS1_11comp_targetILNS1_3genE3ELNS1_11target_archE908ELNS1_3gpuE7ELNS1_3repE0EEENS1_47radix_sort_onesweep_sort_config_static_selectorELNS0_4arch9wavefront6targetE1EEEvSE_,comdat
.Lfunc_end1095:
	.size	_ZN7rocprim17ROCPRIM_400000_NS6detail17trampoline_kernelINS0_14default_configENS1_35radix_sort_onesweep_config_selectorIxNS0_10empty_typeEEEZZNS1_29radix_sort_onesweep_iterationIS3_Lb0EPxS8_PS5_S9_mNS0_19identity_decomposerENS1_16block_id_wrapperIjLb1EEEEE10hipError_tT1_PNSt15iterator_traitsISE_E10value_typeET2_T3_PNSF_ISK_E10value_typeET4_T5_PSP_SQ_PNS1_23onesweep_lookback_stateEbbT6_jjT7_P12ihipStream_tbENKUlT_T0_SE_SJ_E_clIS8_S8_S9_S9_EEDaSX_SY_SE_SJ_EUlSX_E_NS1_11comp_targetILNS1_3genE3ELNS1_11target_archE908ELNS1_3gpuE7ELNS1_3repE0EEENS1_47radix_sort_onesweep_sort_config_static_selectorELNS0_4arch9wavefront6targetE1EEEvSE_, .Lfunc_end1095-_ZN7rocprim17ROCPRIM_400000_NS6detail17trampoline_kernelINS0_14default_configENS1_35radix_sort_onesweep_config_selectorIxNS0_10empty_typeEEEZZNS1_29radix_sort_onesweep_iterationIS3_Lb0EPxS8_PS5_S9_mNS0_19identity_decomposerENS1_16block_id_wrapperIjLb1EEEEE10hipError_tT1_PNSt15iterator_traitsISE_E10value_typeET2_T3_PNSF_ISK_E10value_typeET4_T5_PSP_SQ_PNS1_23onesweep_lookback_stateEbbT6_jjT7_P12ihipStream_tbENKUlT_T0_SE_SJ_E_clIS8_S8_S9_S9_EEDaSX_SY_SE_SJ_EUlSX_E_NS1_11comp_targetILNS1_3genE3ELNS1_11target_archE908ELNS1_3gpuE7ELNS1_3repE0EEENS1_47radix_sort_onesweep_sort_config_static_selectorELNS0_4arch9wavefront6targetE1EEEvSE_
                                        ; -- End function
	.section	.AMDGPU.csdata,"",@progbits
; Kernel info:
; codeLenInByte = 0
; NumSgprs: 4
; NumVgprs: 0
; NumAgprs: 0
; TotalNumVgprs: 0
; ScratchSize: 0
; MemoryBound: 0
; FloatMode: 240
; IeeeMode: 1
; LDSByteSize: 0 bytes/workgroup (compile time only)
; SGPRBlocks: 0
; VGPRBlocks: 0
; NumSGPRsForWavesPerEU: 4
; NumVGPRsForWavesPerEU: 1
; AccumOffset: 4
; Occupancy: 8
; WaveLimiterHint : 0
; COMPUTE_PGM_RSRC2:SCRATCH_EN: 0
; COMPUTE_PGM_RSRC2:USER_SGPR: 6
; COMPUTE_PGM_RSRC2:TRAP_HANDLER: 0
; COMPUTE_PGM_RSRC2:TGID_X_EN: 1
; COMPUTE_PGM_RSRC2:TGID_Y_EN: 0
; COMPUTE_PGM_RSRC2:TGID_Z_EN: 0
; COMPUTE_PGM_RSRC2:TIDIG_COMP_CNT: 0
; COMPUTE_PGM_RSRC3_GFX90A:ACCUM_OFFSET: 0
; COMPUTE_PGM_RSRC3_GFX90A:TG_SPLIT: 0
	.section	.text._ZN7rocprim17ROCPRIM_400000_NS6detail17trampoline_kernelINS0_14default_configENS1_35radix_sort_onesweep_config_selectorIxNS0_10empty_typeEEEZZNS1_29radix_sort_onesweep_iterationIS3_Lb0EPxS8_PS5_S9_mNS0_19identity_decomposerENS1_16block_id_wrapperIjLb1EEEEE10hipError_tT1_PNSt15iterator_traitsISE_E10value_typeET2_T3_PNSF_ISK_E10value_typeET4_T5_PSP_SQ_PNS1_23onesweep_lookback_stateEbbT6_jjT7_P12ihipStream_tbENKUlT_T0_SE_SJ_E_clIS8_S8_S9_S9_EEDaSX_SY_SE_SJ_EUlSX_E_NS1_11comp_targetILNS1_3genE10ELNS1_11target_archE1201ELNS1_3gpuE5ELNS1_3repE0EEENS1_47radix_sort_onesweep_sort_config_static_selectorELNS0_4arch9wavefront6targetE1EEEvSE_,"axG",@progbits,_ZN7rocprim17ROCPRIM_400000_NS6detail17trampoline_kernelINS0_14default_configENS1_35radix_sort_onesweep_config_selectorIxNS0_10empty_typeEEEZZNS1_29radix_sort_onesweep_iterationIS3_Lb0EPxS8_PS5_S9_mNS0_19identity_decomposerENS1_16block_id_wrapperIjLb1EEEEE10hipError_tT1_PNSt15iterator_traitsISE_E10value_typeET2_T3_PNSF_ISK_E10value_typeET4_T5_PSP_SQ_PNS1_23onesweep_lookback_stateEbbT6_jjT7_P12ihipStream_tbENKUlT_T0_SE_SJ_E_clIS8_S8_S9_S9_EEDaSX_SY_SE_SJ_EUlSX_E_NS1_11comp_targetILNS1_3genE10ELNS1_11target_archE1201ELNS1_3gpuE5ELNS1_3repE0EEENS1_47radix_sort_onesweep_sort_config_static_selectorELNS0_4arch9wavefront6targetE1EEEvSE_,comdat
	.protected	_ZN7rocprim17ROCPRIM_400000_NS6detail17trampoline_kernelINS0_14default_configENS1_35radix_sort_onesweep_config_selectorIxNS0_10empty_typeEEEZZNS1_29radix_sort_onesweep_iterationIS3_Lb0EPxS8_PS5_S9_mNS0_19identity_decomposerENS1_16block_id_wrapperIjLb1EEEEE10hipError_tT1_PNSt15iterator_traitsISE_E10value_typeET2_T3_PNSF_ISK_E10value_typeET4_T5_PSP_SQ_PNS1_23onesweep_lookback_stateEbbT6_jjT7_P12ihipStream_tbENKUlT_T0_SE_SJ_E_clIS8_S8_S9_S9_EEDaSX_SY_SE_SJ_EUlSX_E_NS1_11comp_targetILNS1_3genE10ELNS1_11target_archE1201ELNS1_3gpuE5ELNS1_3repE0EEENS1_47radix_sort_onesweep_sort_config_static_selectorELNS0_4arch9wavefront6targetE1EEEvSE_ ; -- Begin function _ZN7rocprim17ROCPRIM_400000_NS6detail17trampoline_kernelINS0_14default_configENS1_35radix_sort_onesweep_config_selectorIxNS0_10empty_typeEEEZZNS1_29radix_sort_onesweep_iterationIS3_Lb0EPxS8_PS5_S9_mNS0_19identity_decomposerENS1_16block_id_wrapperIjLb1EEEEE10hipError_tT1_PNSt15iterator_traitsISE_E10value_typeET2_T3_PNSF_ISK_E10value_typeET4_T5_PSP_SQ_PNS1_23onesweep_lookback_stateEbbT6_jjT7_P12ihipStream_tbENKUlT_T0_SE_SJ_E_clIS8_S8_S9_S9_EEDaSX_SY_SE_SJ_EUlSX_E_NS1_11comp_targetILNS1_3genE10ELNS1_11target_archE1201ELNS1_3gpuE5ELNS1_3repE0EEENS1_47radix_sort_onesweep_sort_config_static_selectorELNS0_4arch9wavefront6targetE1EEEvSE_
	.globl	_ZN7rocprim17ROCPRIM_400000_NS6detail17trampoline_kernelINS0_14default_configENS1_35radix_sort_onesweep_config_selectorIxNS0_10empty_typeEEEZZNS1_29radix_sort_onesweep_iterationIS3_Lb0EPxS8_PS5_S9_mNS0_19identity_decomposerENS1_16block_id_wrapperIjLb1EEEEE10hipError_tT1_PNSt15iterator_traitsISE_E10value_typeET2_T3_PNSF_ISK_E10value_typeET4_T5_PSP_SQ_PNS1_23onesweep_lookback_stateEbbT6_jjT7_P12ihipStream_tbENKUlT_T0_SE_SJ_E_clIS8_S8_S9_S9_EEDaSX_SY_SE_SJ_EUlSX_E_NS1_11comp_targetILNS1_3genE10ELNS1_11target_archE1201ELNS1_3gpuE5ELNS1_3repE0EEENS1_47radix_sort_onesweep_sort_config_static_selectorELNS0_4arch9wavefront6targetE1EEEvSE_
	.p2align	8
	.type	_ZN7rocprim17ROCPRIM_400000_NS6detail17trampoline_kernelINS0_14default_configENS1_35radix_sort_onesweep_config_selectorIxNS0_10empty_typeEEEZZNS1_29radix_sort_onesweep_iterationIS3_Lb0EPxS8_PS5_S9_mNS0_19identity_decomposerENS1_16block_id_wrapperIjLb1EEEEE10hipError_tT1_PNSt15iterator_traitsISE_E10value_typeET2_T3_PNSF_ISK_E10value_typeET4_T5_PSP_SQ_PNS1_23onesweep_lookback_stateEbbT6_jjT7_P12ihipStream_tbENKUlT_T0_SE_SJ_E_clIS8_S8_S9_S9_EEDaSX_SY_SE_SJ_EUlSX_E_NS1_11comp_targetILNS1_3genE10ELNS1_11target_archE1201ELNS1_3gpuE5ELNS1_3repE0EEENS1_47radix_sort_onesweep_sort_config_static_selectorELNS0_4arch9wavefront6targetE1EEEvSE_,@function
_ZN7rocprim17ROCPRIM_400000_NS6detail17trampoline_kernelINS0_14default_configENS1_35radix_sort_onesweep_config_selectorIxNS0_10empty_typeEEEZZNS1_29radix_sort_onesweep_iterationIS3_Lb0EPxS8_PS5_S9_mNS0_19identity_decomposerENS1_16block_id_wrapperIjLb1EEEEE10hipError_tT1_PNSt15iterator_traitsISE_E10value_typeET2_T3_PNSF_ISK_E10value_typeET4_T5_PSP_SQ_PNS1_23onesweep_lookback_stateEbbT6_jjT7_P12ihipStream_tbENKUlT_T0_SE_SJ_E_clIS8_S8_S9_S9_EEDaSX_SY_SE_SJ_EUlSX_E_NS1_11comp_targetILNS1_3genE10ELNS1_11target_archE1201ELNS1_3gpuE5ELNS1_3repE0EEENS1_47radix_sort_onesweep_sort_config_static_selectorELNS0_4arch9wavefront6targetE1EEEvSE_: ; @_ZN7rocprim17ROCPRIM_400000_NS6detail17trampoline_kernelINS0_14default_configENS1_35radix_sort_onesweep_config_selectorIxNS0_10empty_typeEEEZZNS1_29radix_sort_onesweep_iterationIS3_Lb0EPxS8_PS5_S9_mNS0_19identity_decomposerENS1_16block_id_wrapperIjLb1EEEEE10hipError_tT1_PNSt15iterator_traitsISE_E10value_typeET2_T3_PNSF_ISK_E10value_typeET4_T5_PSP_SQ_PNS1_23onesweep_lookback_stateEbbT6_jjT7_P12ihipStream_tbENKUlT_T0_SE_SJ_E_clIS8_S8_S9_S9_EEDaSX_SY_SE_SJ_EUlSX_E_NS1_11comp_targetILNS1_3genE10ELNS1_11target_archE1201ELNS1_3gpuE5ELNS1_3repE0EEENS1_47radix_sort_onesweep_sort_config_static_selectorELNS0_4arch9wavefront6targetE1EEEvSE_
; %bb.0:
	.section	.rodata,"a",@progbits
	.p2align	6, 0x0
	.amdhsa_kernel _ZN7rocprim17ROCPRIM_400000_NS6detail17trampoline_kernelINS0_14default_configENS1_35radix_sort_onesweep_config_selectorIxNS0_10empty_typeEEEZZNS1_29radix_sort_onesweep_iterationIS3_Lb0EPxS8_PS5_S9_mNS0_19identity_decomposerENS1_16block_id_wrapperIjLb1EEEEE10hipError_tT1_PNSt15iterator_traitsISE_E10value_typeET2_T3_PNSF_ISK_E10value_typeET4_T5_PSP_SQ_PNS1_23onesweep_lookback_stateEbbT6_jjT7_P12ihipStream_tbENKUlT_T0_SE_SJ_E_clIS8_S8_S9_S9_EEDaSX_SY_SE_SJ_EUlSX_E_NS1_11comp_targetILNS1_3genE10ELNS1_11target_archE1201ELNS1_3gpuE5ELNS1_3repE0EEENS1_47radix_sort_onesweep_sort_config_static_selectorELNS0_4arch9wavefront6targetE1EEEvSE_
		.amdhsa_group_segment_fixed_size 0
		.amdhsa_private_segment_fixed_size 0
		.amdhsa_kernarg_size 88
		.amdhsa_user_sgpr_count 6
		.amdhsa_user_sgpr_private_segment_buffer 1
		.amdhsa_user_sgpr_dispatch_ptr 0
		.amdhsa_user_sgpr_queue_ptr 0
		.amdhsa_user_sgpr_kernarg_segment_ptr 1
		.amdhsa_user_sgpr_dispatch_id 0
		.amdhsa_user_sgpr_flat_scratch_init 0
		.amdhsa_user_sgpr_kernarg_preload_length 0
		.amdhsa_user_sgpr_kernarg_preload_offset 0
		.amdhsa_user_sgpr_private_segment_size 0
		.amdhsa_uses_dynamic_stack 0
		.amdhsa_system_sgpr_private_segment_wavefront_offset 0
		.amdhsa_system_sgpr_workgroup_id_x 1
		.amdhsa_system_sgpr_workgroup_id_y 0
		.amdhsa_system_sgpr_workgroup_id_z 0
		.amdhsa_system_sgpr_workgroup_info 0
		.amdhsa_system_vgpr_workitem_id 0
		.amdhsa_next_free_vgpr 1
		.amdhsa_next_free_sgpr 0
		.amdhsa_accum_offset 4
		.amdhsa_reserve_vcc 0
		.amdhsa_reserve_flat_scratch 0
		.amdhsa_float_round_mode_32 0
		.amdhsa_float_round_mode_16_64 0
		.amdhsa_float_denorm_mode_32 3
		.amdhsa_float_denorm_mode_16_64 3
		.amdhsa_dx10_clamp 1
		.amdhsa_ieee_mode 1
		.amdhsa_fp16_overflow 0
		.amdhsa_tg_split 0
		.amdhsa_exception_fp_ieee_invalid_op 0
		.amdhsa_exception_fp_denorm_src 0
		.amdhsa_exception_fp_ieee_div_zero 0
		.amdhsa_exception_fp_ieee_overflow 0
		.amdhsa_exception_fp_ieee_underflow 0
		.amdhsa_exception_fp_ieee_inexact 0
		.amdhsa_exception_int_div_zero 0
	.end_amdhsa_kernel
	.section	.text._ZN7rocprim17ROCPRIM_400000_NS6detail17trampoline_kernelINS0_14default_configENS1_35radix_sort_onesweep_config_selectorIxNS0_10empty_typeEEEZZNS1_29radix_sort_onesweep_iterationIS3_Lb0EPxS8_PS5_S9_mNS0_19identity_decomposerENS1_16block_id_wrapperIjLb1EEEEE10hipError_tT1_PNSt15iterator_traitsISE_E10value_typeET2_T3_PNSF_ISK_E10value_typeET4_T5_PSP_SQ_PNS1_23onesweep_lookback_stateEbbT6_jjT7_P12ihipStream_tbENKUlT_T0_SE_SJ_E_clIS8_S8_S9_S9_EEDaSX_SY_SE_SJ_EUlSX_E_NS1_11comp_targetILNS1_3genE10ELNS1_11target_archE1201ELNS1_3gpuE5ELNS1_3repE0EEENS1_47radix_sort_onesweep_sort_config_static_selectorELNS0_4arch9wavefront6targetE1EEEvSE_,"axG",@progbits,_ZN7rocprim17ROCPRIM_400000_NS6detail17trampoline_kernelINS0_14default_configENS1_35radix_sort_onesweep_config_selectorIxNS0_10empty_typeEEEZZNS1_29radix_sort_onesweep_iterationIS3_Lb0EPxS8_PS5_S9_mNS0_19identity_decomposerENS1_16block_id_wrapperIjLb1EEEEE10hipError_tT1_PNSt15iterator_traitsISE_E10value_typeET2_T3_PNSF_ISK_E10value_typeET4_T5_PSP_SQ_PNS1_23onesweep_lookback_stateEbbT6_jjT7_P12ihipStream_tbENKUlT_T0_SE_SJ_E_clIS8_S8_S9_S9_EEDaSX_SY_SE_SJ_EUlSX_E_NS1_11comp_targetILNS1_3genE10ELNS1_11target_archE1201ELNS1_3gpuE5ELNS1_3repE0EEENS1_47radix_sort_onesweep_sort_config_static_selectorELNS0_4arch9wavefront6targetE1EEEvSE_,comdat
.Lfunc_end1096:
	.size	_ZN7rocprim17ROCPRIM_400000_NS6detail17trampoline_kernelINS0_14default_configENS1_35radix_sort_onesweep_config_selectorIxNS0_10empty_typeEEEZZNS1_29radix_sort_onesweep_iterationIS3_Lb0EPxS8_PS5_S9_mNS0_19identity_decomposerENS1_16block_id_wrapperIjLb1EEEEE10hipError_tT1_PNSt15iterator_traitsISE_E10value_typeET2_T3_PNSF_ISK_E10value_typeET4_T5_PSP_SQ_PNS1_23onesweep_lookback_stateEbbT6_jjT7_P12ihipStream_tbENKUlT_T0_SE_SJ_E_clIS8_S8_S9_S9_EEDaSX_SY_SE_SJ_EUlSX_E_NS1_11comp_targetILNS1_3genE10ELNS1_11target_archE1201ELNS1_3gpuE5ELNS1_3repE0EEENS1_47radix_sort_onesweep_sort_config_static_selectorELNS0_4arch9wavefront6targetE1EEEvSE_, .Lfunc_end1096-_ZN7rocprim17ROCPRIM_400000_NS6detail17trampoline_kernelINS0_14default_configENS1_35radix_sort_onesweep_config_selectorIxNS0_10empty_typeEEEZZNS1_29radix_sort_onesweep_iterationIS3_Lb0EPxS8_PS5_S9_mNS0_19identity_decomposerENS1_16block_id_wrapperIjLb1EEEEE10hipError_tT1_PNSt15iterator_traitsISE_E10value_typeET2_T3_PNSF_ISK_E10value_typeET4_T5_PSP_SQ_PNS1_23onesweep_lookback_stateEbbT6_jjT7_P12ihipStream_tbENKUlT_T0_SE_SJ_E_clIS8_S8_S9_S9_EEDaSX_SY_SE_SJ_EUlSX_E_NS1_11comp_targetILNS1_3genE10ELNS1_11target_archE1201ELNS1_3gpuE5ELNS1_3repE0EEENS1_47radix_sort_onesweep_sort_config_static_selectorELNS0_4arch9wavefront6targetE1EEEvSE_
                                        ; -- End function
	.section	.AMDGPU.csdata,"",@progbits
; Kernel info:
; codeLenInByte = 0
; NumSgprs: 4
; NumVgprs: 0
; NumAgprs: 0
; TotalNumVgprs: 0
; ScratchSize: 0
; MemoryBound: 0
; FloatMode: 240
; IeeeMode: 1
; LDSByteSize: 0 bytes/workgroup (compile time only)
; SGPRBlocks: 0
; VGPRBlocks: 0
; NumSGPRsForWavesPerEU: 4
; NumVGPRsForWavesPerEU: 1
; AccumOffset: 4
; Occupancy: 8
; WaveLimiterHint : 0
; COMPUTE_PGM_RSRC2:SCRATCH_EN: 0
; COMPUTE_PGM_RSRC2:USER_SGPR: 6
; COMPUTE_PGM_RSRC2:TRAP_HANDLER: 0
; COMPUTE_PGM_RSRC2:TGID_X_EN: 1
; COMPUTE_PGM_RSRC2:TGID_Y_EN: 0
; COMPUTE_PGM_RSRC2:TGID_Z_EN: 0
; COMPUTE_PGM_RSRC2:TIDIG_COMP_CNT: 0
; COMPUTE_PGM_RSRC3_GFX90A:ACCUM_OFFSET: 0
; COMPUTE_PGM_RSRC3_GFX90A:TG_SPLIT: 0
	.section	.text._ZN7rocprim17ROCPRIM_400000_NS6detail17trampoline_kernelINS0_14default_configENS1_35radix_sort_onesweep_config_selectorIxNS0_10empty_typeEEEZZNS1_29radix_sort_onesweep_iterationIS3_Lb0EPxS8_PS5_S9_mNS0_19identity_decomposerENS1_16block_id_wrapperIjLb1EEEEE10hipError_tT1_PNSt15iterator_traitsISE_E10value_typeET2_T3_PNSF_ISK_E10value_typeET4_T5_PSP_SQ_PNS1_23onesweep_lookback_stateEbbT6_jjT7_P12ihipStream_tbENKUlT_T0_SE_SJ_E_clIS8_S8_S9_S9_EEDaSX_SY_SE_SJ_EUlSX_E_NS1_11comp_targetILNS1_3genE9ELNS1_11target_archE1100ELNS1_3gpuE3ELNS1_3repE0EEENS1_47radix_sort_onesweep_sort_config_static_selectorELNS0_4arch9wavefront6targetE1EEEvSE_,"axG",@progbits,_ZN7rocprim17ROCPRIM_400000_NS6detail17trampoline_kernelINS0_14default_configENS1_35radix_sort_onesweep_config_selectorIxNS0_10empty_typeEEEZZNS1_29radix_sort_onesweep_iterationIS3_Lb0EPxS8_PS5_S9_mNS0_19identity_decomposerENS1_16block_id_wrapperIjLb1EEEEE10hipError_tT1_PNSt15iterator_traitsISE_E10value_typeET2_T3_PNSF_ISK_E10value_typeET4_T5_PSP_SQ_PNS1_23onesweep_lookback_stateEbbT6_jjT7_P12ihipStream_tbENKUlT_T0_SE_SJ_E_clIS8_S8_S9_S9_EEDaSX_SY_SE_SJ_EUlSX_E_NS1_11comp_targetILNS1_3genE9ELNS1_11target_archE1100ELNS1_3gpuE3ELNS1_3repE0EEENS1_47radix_sort_onesweep_sort_config_static_selectorELNS0_4arch9wavefront6targetE1EEEvSE_,comdat
	.protected	_ZN7rocprim17ROCPRIM_400000_NS6detail17trampoline_kernelINS0_14default_configENS1_35radix_sort_onesweep_config_selectorIxNS0_10empty_typeEEEZZNS1_29radix_sort_onesweep_iterationIS3_Lb0EPxS8_PS5_S9_mNS0_19identity_decomposerENS1_16block_id_wrapperIjLb1EEEEE10hipError_tT1_PNSt15iterator_traitsISE_E10value_typeET2_T3_PNSF_ISK_E10value_typeET4_T5_PSP_SQ_PNS1_23onesweep_lookback_stateEbbT6_jjT7_P12ihipStream_tbENKUlT_T0_SE_SJ_E_clIS8_S8_S9_S9_EEDaSX_SY_SE_SJ_EUlSX_E_NS1_11comp_targetILNS1_3genE9ELNS1_11target_archE1100ELNS1_3gpuE3ELNS1_3repE0EEENS1_47radix_sort_onesweep_sort_config_static_selectorELNS0_4arch9wavefront6targetE1EEEvSE_ ; -- Begin function _ZN7rocprim17ROCPRIM_400000_NS6detail17trampoline_kernelINS0_14default_configENS1_35radix_sort_onesweep_config_selectorIxNS0_10empty_typeEEEZZNS1_29radix_sort_onesweep_iterationIS3_Lb0EPxS8_PS5_S9_mNS0_19identity_decomposerENS1_16block_id_wrapperIjLb1EEEEE10hipError_tT1_PNSt15iterator_traitsISE_E10value_typeET2_T3_PNSF_ISK_E10value_typeET4_T5_PSP_SQ_PNS1_23onesweep_lookback_stateEbbT6_jjT7_P12ihipStream_tbENKUlT_T0_SE_SJ_E_clIS8_S8_S9_S9_EEDaSX_SY_SE_SJ_EUlSX_E_NS1_11comp_targetILNS1_3genE9ELNS1_11target_archE1100ELNS1_3gpuE3ELNS1_3repE0EEENS1_47radix_sort_onesweep_sort_config_static_selectorELNS0_4arch9wavefront6targetE1EEEvSE_
	.globl	_ZN7rocprim17ROCPRIM_400000_NS6detail17trampoline_kernelINS0_14default_configENS1_35radix_sort_onesweep_config_selectorIxNS0_10empty_typeEEEZZNS1_29radix_sort_onesweep_iterationIS3_Lb0EPxS8_PS5_S9_mNS0_19identity_decomposerENS1_16block_id_wrapperIjLb1EEEEE10hipError_tT1_PNSt15iterator_traitsISE_E10value_typeET2_T3_PNSF_ISK_E10value_typeET4_T5_PSP_SQ_PNS1_23onesweep_lookback_stateEbbT6_jjT7_P12ihipStream_tbENKUlT_T0_SE_SJ_E_clIS8_S8_S9_S9_EEDaSX_SY_SE_SJ_EUlSX_E_NS1_11comp_targetILNS1_3genE9ELNS1_11target_archE1100ELNS1_3gpuE3ELNS1_3repE0EEENS1_47radix_sort_onesweep_sort_config_static_selectorELNS0_4arch9wavefront6targetE1EEEvSE_
	.p2align	8
	.type	_ZN7rocprim17ROCPRIM_400000_NS6detail17trampoline_kernelINS0_14default_configENS1_35radix_sort_onesweep_config_selectorIxNS0_10empty_typeEEEZZNS1_29radix_sort_onesweep_iterationIS3_Lb0EPxS8_PS5_S9_mNS0_19identity_decomposerENS1_16block_id_wrapperIjLb1EEEEE10hipError_tT1_PNSt15iterator_traitsISE_E10value_typeET2_T3_PNSF_ISK_E10value_typeET4_T5_PSP_SQ_PNS1_23onesweep_lookback_stateEbbT6_jjT7_P12ihipStream_tbENKUlT_T0_SE_SJ_E_clIS8_S8_S9_S9_EEDaSX_SY_SE_SJ_EUlSX_E_NS1_11comp_targetILNS1_3genE9ELNS1_11target_archE1100ELNS1_3gpuE3ELNS1_3repE0EEENS1_47radix_sort_onesweep_sort_config_static_selectorELNS0_4arch9wavefront6targetE1EEEvSE_,@function
_ZN7rocprim17ROCPRIM_400000_NS6detail17trampoline_kernelINS0_14default_configENS1_35radix_sort_onesweep_config_selectorIxNS0_10empty_typeEEEZZNS1_29radix_sort_onesweep_iterationIS3_Lb0EPxS8_PS5_S9_mNS0_19identity_decomposerENS1_16block_id_wrapperIjLb1EEEEE10hipError_tT1_PNSt15iterator_traitsISE_E10value_typeET2_T3_PNSF_ISK_E10value_typeET4_T5_PSP_SQ_PNS1_23onesweep_lookback_stateEbbT6_jjT7_P12ihipStream_tbENKUlT_T0_SE_SJ_E_clIS8_S8_S9_S9_EEDaSX_SY_SE_SJ_EUlSX_E_NS1_11comp_targetILNS1_3genE9ELNS1_11target_archE1100ELNS1_3gpuE3ELNS1_3repE0EEENS1_47radix_sort_onesweep_sort_config_static_selectorELNS0_4arch9wavefront6targetE1EEEvSE_: ; @_ZN7rocprim17ROCPRIM_400000_NS6detail17trampoline_kernelINS0_14default_configENS1_35radix_sort_onesweep_config_selectorIxNS0_10empty_typeEEEZZNS1_29radix_sort_onesweep_iterationIS3_Lb0EPxS8_PS5_S9_mNS0_19identity_decomposerENS1_16block_id_wrapperIjLb1EEEEE10hipError_tT1_PNSt15iterator_traitsISE_E10value_typeET2_T3_PNSF_ISK_E10value_typeET4_T5_PSP_SQ_PNS1_23onesweep_lookback_stateEbbT6_jjT7_P12ihipStream_tbENKUlT_T0_SE_SJ_E_clIS8_S8_S9_S9_EEDaSX_SY_SE_SJ_EUlSX_E_NS1_11comp_targetILNS1_3genE9ELNS1_11target_archE1100ELNS1_3gpuE3ELNS1_3repE0EEENS1_47radix_sort_onesweep_sort_config_static_selectorELNS0_4arch9wavefront6targetE1EEEvSE_
; %bb.0:
	.section	.rodata,"a",@progbits
	.p2align	6, 0x0
	.amdhsa_kernel _ZN7rocprim17ROCPRIM_400000_NS6detail17trampoline_kernelINS0_14default_configENS1_35radix_sort_onesweep_config_selectorIxNS0_10empty_typeEEEZZNS1_29radix_sort_onesweep_iterationIS3_Lb0EPxS8_PS5_S9_mNS0_19identity_decomposerENS1_16block_id_wrapperIjLb1EEEEE10hipError_tT1_PNSt15iterator_traitsISE_E10value_typeET2_T3_PNSF_ISK_E10value_typeET4_T5_PSP_SQ_PNS1_23onesweep_lookback_stateEbbT6_jjT7_P12ihipStream_tbENKUlT_T0_SE_SJ_E_clIS8_S8_S9_S9_EEDaSX_SY_SE_SJ_EUlSX_E_NS1_11comp_targetILNS1_3genE9ELNS1_11target_archE1100ELNS1_3gpuE3ELNS1_3repE0EEENS1_47radix_sort_onesweep_sort_config_static_selectorELNS0_4arch9wavefront6targetE1EEEvSE_
		.amdhsa_group_segment_fixed_size 0
		.amdhsa_private_segment_fixed_size 0
		.amdhsa_kernarg_size 88
		.amdhsa_user_sgpr_count 6
		.amdhsa_user_sgpr_private_segment_buffer 1
		.amdhsa_user_sgpr_dispatch_ptr 0
		.amdhsa_user_sgpr_queue_ptr 0
		.amdhsa_user_sgpr_kernarg_segment_ptr 1
		.amdhsa_user_sgpr_dispatch_id 0
		.amdhsa_user_sgpr_flat_scratch_init 0
		.amdhsa_user_sgpr_kernarg_preload_length 0
		.amdhsa_user_sgpr_kernarg_preload_offset 0
		.amdhsa_user_sgpr_private_segment_size 0
		.amdhsa_uses_dynamic_stack 0
		.amdhsa_system_sgpr_private_segment_wavefront_offset 0
		.amdhsa_system_sgpr_workgroup_id_x 1
		.amdhsa_system_sgpr_workgroup_id_y 0
		.amdhsa_system_sgpr_workgroup_id_z 0
		.amdhsa_system_sgpr_workgroup_info 0
		.amdhsa_system_vgpr_workitem_id 0
		.amdhsa_next_free_vgpr 1
		.amdhsa_next_free_sgpr 0
		.amdhsa_accum_offset 4
		.amdhsa_reserve_vcc 0
		.amdhsa_reserve_flat_scratch 0
		.amdhsa_float_round_mode_32 0
		.amdhsa_float_round_mode_16_64 0
		.amdhsa_float_denorm_mode_32 3
		.amdhsa_float_denorm_mode_16_64 3
		.amdhsa_dx10_clamp 1
		.amdhsa_ieee_mode 1
		.amdhsa_fp16_overflow 0
		.amdhsa_tg_split 0
		.amdhsa_exception_fp_ieee_invalid_op 0
		.amdhsa_exception_fp_denorm_src 0
		.amdhsa_exception_fp_ieee_div_zero 0
		.amdhsa_exception_fp_ieee_overflow 0
		.amdhsa_exception_fp_ieee_underflow 0
		.amdhsa_exception_fp_ieee_inexact 0
		.amdhsa_exception_int_div_zero 0
	.end_amdhsa_kernel
	.section	.text._ZN7rocprim17ROCPRIM_400000_NS6detail17trampoline_kernelINS0_14default_configENS1_35radix_sort_onesweep_config_selectorIxNS0_10empty_typeEEEZZNS1_29radix_sort_onesweep_iterationIS3_Lb0EPxS8_PS5_S9_mNS0_19identity_decomposerENS1_16block_id_wrapperIjLb1EEEEE10hipError_tT1_PNSt15iterator_traitsISE_E10value_typeET2_T3_PNSF_ISK_E10value_typeET4_T5_PSP_SQ_PNS1_23onesweep_lookback_stateEbbT6_jjT7_P12ihipStream_tbENKUlT_T0_SE_SJ_E_clIS8_S8_S9_S9_EEDaSX_SY_SE_SJ_EUlSX_E_NS1_11comp_targetILNS1_3genE9ELNS1_11target_archE1100ELNS1_3gpuE3ELNS1_3repE0EEENS1_47radix_sort_onesweep_sort_config_static_selectorELNS0_4arch9wavefront6targetE1EEEvSE_,"axG",@progbits,_ZN7rocprim17ROCPRIM_400000_NS6detail17trampoline_kernelINS0_14default_configENS1_35radix_sort_onesweep_config_selectorIxNS0_10empty_typeEEEZZNS1_29radix_sort_onesweep_iterationIS3_Lb0EPxS8_PS5_S9_mNS0_19identity_decomposerENS1_16block_id_wrapperIjLb1EEEEE10hipError_tT1_PNSt15iterator_traitsISE_E10value_typeET2_T3_PNSF_ISK_E10value_typeET4_T5_PSP_SQ_PNS1_23onesweep_lookback_stateEbbT6_jjT7_P12ihipStream_tbENKUlT_T0_SE_SJ_E_clIS8_S8_S9_S9_EEDaSX_SY_SE_SJ_EUlSX_E_NS1_11comp_targetILNS1_3genE9ELNS1_11target_archE1100ELNS1_3gpuE3ELNS1_3repE0EEENS1_47radix_sort_onesweep_sort_config_static_selectorELNS0_4arch9wavefront6targetE1EEEvSE_,comdat
.Lfunc_end1097:
	.size	_ZN7rocprim17ROCPRIM_400000_NS6detail17trampoline_kernelINS0_14default_configENS1_35radix_sort_onesweep_config_selectorIxNS0_10empty_typeEEEZZNS1_29radix_sort_onesweep_iterationIS3_Lb0EPxS8_PS5_S9_mNS0_19identity_decomposerENS1_16block_id_wrapperIjLb1EEEEE10hipError_tT1_PNSt15iterator_traitsISE_E10value_typeET2_T3_PNSF_ISK_E10value_typeET4_T5_PSP_SQ_PNS1_23onesweep_lookback_stateEbbT6_jjT7_P12ihipStream_tbENKUlT_T0_SE_SJ_E_clIS8_S8_S9_S9_EEDaSX_SY_SE_SJ_EUlSX_E_NS1_11comp_targetILNS1_3genE9ELNS1_11target_archE1100ELNS1_3gpuE3ELNS1_3repE0EEENS1_47radix_sort_onesweep_sort_config_static_selectorELNS0_4arch9wavefront6targetE1EEEvSE_, .Lfunc_end1097-_ZN7rocprim17ROCPRIM_400000_NS6detail17trampoline_kernelINS0_14default_configENS1_35radix_sort_onesweep_config_selectorIxNS0_10empty_typeEEEZZNS1_29radix_sort_onesweep_iterationIS3_Lb0EPxS8_PS5_S9_mNS0_19identity_decomposerENS1_16block_id_wrapperIjLb1EEEEE10hipError_tT1_PNSt15iterator_traitsISE_E10value_typeET2_T3_PNSF_ISK_E10value_typeET4_T5_PSP_SQ_PNS1_23onesweep_lookback_stateEbbT6_jjT7_P12ihipStream_tbENKUlT_T0_SE_SJ_E_clIS8_S8_S9_S9_EEDaSX_SY_SE_SJ_EUlSX_E_NS1_11comp_targetILNS1_3genE9ELNS1_11target_archE1100ELNS1_3gpuE3ELNS1_3repE0EEENS1_47radix_sort_onesweep_sort_config_static_selectorELNS0_4arch9wavefront6targetE1EEEvSE_
                                        ; -- End function
	.section	.AMDGPU.csdata,"",@progbits
; Kernel info:
; codeLenInByte = 0
; NumSgprs: 4
; NumVgprs: 0
; NumAgprs: 0
; TotalNumVgprs: 0
; ScratchSize: 0
; MemoryBound: 0
; FloatMode: 240
; IeeeMode: 1
; LDSByteSize: 0 bytes/workgroup (compile time only)
; SGPRBlocks: 0
; VGPRBlocks: 0
; NumSGPRsForWavesPerEU: 4
; NumVGPRsForWavesPerEU: 1
; AccumOffset: 4
; Occupancy: 8
; WaveLimiterHint : 0
; COMPUTE_PGM_RSRC2:SCRATCH_EN: 0
; COMPUTE_PGM_RSRC2:USER_SGPR: 6
; COMPUTE_PGM_RSRC2:TRAP_HANDLER: 0
; COMPUTE_PGM_RSRC2:TGID_X_EN: 1
; COMPUTE_PGM_RSRC2:TGID_Y_EN: 0
; COMPUTE_PGM_RSRC2:TGID_Z_EN: 0
; COMPUTE_PGM_RSRC2:TIDIG_COMP_CNT: 0
; COMPUTE_PGM_RSRC3_GFX90A:ACCUM_OFFSET: 0
; COMPUTE_PGM_RSRC3_GFX90A:TG_SPLIT: 0
	.section	.text._ZN7rocprim17ROCPRIM_400000_NS6detail17trampoline_kernelINS0_14default_configENS1_35radix_sort_onesweep_config_selectorIxNS0_10empty_typeEEEZZNS1_29radix_sort_onesweep_iterationIS3_Lb0EPxS8_PS5_S9_mNS0_19identity_decomposerENS1_16block_id_wrapperIjLb1EEEEE10hipError_tT1_PNSt15iterator_traitsISE_E10value_typeET2_T3_PNSF_ISK_E10value_typeET4_T5_PSP_SQ_PNS1_23onesweep_lookback_stateEbbT6_jjT7_P12ihipStream_tbENKUlT_T0_SE_SJ_E_clIS8_S8_S9_S9_EEDaSX_SY_SE_SJ_EUlSX_E_NS1_11comp_targetILNS1_3genE8ELNS1_11target_archE1030ELNS1_3gpuE2ELNS1_3repE0EEENS1_47radix_sort_onesweep_sort_config_static_selectorELNS0_4arch9wavefront6targetE1EEEvSE_,"axG",@progbits,_ZN7rocprim17ROCPRIM_400000_NS6detail17trampoline_kernelINS0_14default_configENS1_35radix_sort_onesweep_config_selectorIxNS0_10empty_typeEEEZZNS1_29radix_sort_onesweep_iterationIS3_Lb0EPxS8_PS5_S9_mNS0_19identity_decomposerENS1_16block_id_wrapperIjLb1EEEEE10hipError_tT1_PNSt15iterator_traitsISE_E10value_typeET2_T3_PNSF_ISK_E10value_typeET4_T5_PSP_SQ_PNS1_23onesweep_lookback_stateEbbT6_jjT7_P12ihipStream_tbENKUlT_T0_SE_SJ_E_clIS8_S8_S9_S9_EEDaSX_SY_SE_SJ_EUlSX_E_NS1_11comp_targetILNS1_3genE8ELNS1_11target_archE1030ELNS1_3gpuE2ELNS1_3repE0EEENS1_47radix_sort_onesweep_sort_config_static_selectorELNS0_4arch9wavefront6targetE1EEEvSE_,comdat
	.protected	_ZN7rocprim17ROCPRIM_400000_NS6detail17trampoline_kernelINS0_14default_configENS1_35radix_sort_onesweep_config_selectorIxNS0_10empty_typeEEEZZNS1_29radix_sort_onesweep_iterationIS3_Lb0EPxS8_PS5_S9_mNS0_19identity_decomposerENS1_16block_id_wrapperIjLb1EEEEE10hipError_tT1_PNSt15iterator_traitsISE_E10value_typeET2_T3_PNSF_ISK_E10value_typeET4_T5_PSP_SQ_PNS1_23onesweep_lookback_stateEbbT6_jjT7_P12ihipStream_tbENKUlT_T0_SE_SJ_E_clIS8_S8_S9_S9_EEDaSX_SY_SE_SJ_EUlSX_E_NS1_11comp_targetILNS1_3genE8ELNS1_11target_archE1030ELNS1_3gpuE2ELNS1_3repE0EEENS1_47radix_sort_onesweep_sort_config_static_selectorELNS0_4arch9wavefront6targetE1EEEvSE_ ; -- Begin function _ZN7rocprim17ROCPRIM_400000_NS6detail17trampoline_kernelINS0_14default_configENS1_35radix_sort_onesweep_config_selectorIxNS0_10empty_typeEEEZZNS1_29radix_sort_onesweep_iterationIS3_Lb0EPxS8_PS5_S9_mNS0_19identity_decomposerENS1_16block_id_wrapperIjLb1EEEEE10hipError_tT1_PNSt15iterator_traitsISE_E10value_typeET2_T3_PNSF_ISK_E10value_typeET4_T5_PSP_SQ_PNS1_23onesweep_lookback_stateEbbT6_jjT7_P12ihipStream_tbENKUlT_T0_SE_SJ_E_clIS8_S8_S9_S9_EEDaSX_SY_SE_SJ_EUlSX_E_NS1_11comp_targetILNS1_3genE8ELNS1_11target_archE1030ELNS1_3gpuE2ELNS1_3repE0EEENS1_47radix_sort_onesweep_sort_config_static_selectorELNS0_4arch9wavefront6targetE1EEEvSE_
	.globl	_ZN7rocprim17ROCPRIM_400000_NS6detail17trampoline_kernelINS0_14default_configENS1_35radix_sort_onesweep_config_selectorIxNS0_10empty_typeEEEZZNS1_29radix_sort_onesweep_iterationIS3_Lb0EPxS8_PS5_S9_mNS0_19identity_decomposerENS1_16block_id_wrapperIjLb1EEEEE10hipError_tT1_PNSt15iterator_traitsISE_E10value_typeET2_T3_PNSF_ISK_E10value_typeET4_T5_PSP_SQ_PNS1_23onesweep_lookback_stateEbbT6_jjT7_P12ihipStream_tbENKUlT_T0_SE_SJ_E_clIS8_S8_S9_S9_EEDaSX_SY_SE_SJ_EUlSX_E_NS1_11comp_targetILNS1_3genE8ELNS1_11target_archE1030ELNS1_3gpuE2ELNS1_3repE0EEENS1_47radix_sort_onesweep_sort_config_static_selectorELNS0_4arch9wavefront6targetE1EEEvSE_
	.p2align	8
	.type	_ZN7rocprim17ROCPRIM_400000_NS6detail17trampoline_kernelINS0_14default_configENS1_35radix_sort_onesweep_config_selectorIxNS0_10empty_typeEEEZZNS1_29radix_sort_onesweep_iterationIS3_Lb0EPxS8_PS5_S9_mNS0_19identity_decomposerENS1_16block_id_wrapperIjLb1EEEEE10hipError_tT1_PNSt15iterator_traitsISE_E10value_typeET2_T3_PNSF_ISK_E10value_typeET4_T5_PSP_SQ_PNS1_23onesweep_lookback_stateEbbT6_jjT7_P12ihipStream_tbENKUlT_T0_SE_SJ_E_clIS8_S8_S9_S9_EEDaSX_SY_SE_SJ_EUlSX_E_NS1_11comp_targetILNS1_3genE8ELNS1_11target_archE1030ELNS1_3gpuE2ELNS1_3repE0EEENS1_47radix_sort_onesweep_sort_config_static_selectorELNS0_4arch9wavefront6targetE1EEEvSE_,@function
_ZN7rocprim17ROCPRIM_400000_NS6detail17trampoline_kernelINS0_14default_configENS1_35radix_sort_onesweep_config_selectorIxNS0_10empty_typeEEEZZNS1_29radix_sort_onesweep_iterationIS3_Lb0EPxS8_PS5_S9_mNS0_19identity_decomposerENS1_16block_id_wrapperIjLb1EEEEE10hipError_tT1_PNSt15iterator_traitsISE_E10value_typeET2_T3_PNSF_ISK_E10value_typeET4_T5_PSP_SQ_PNS1_23onesweep_lookback_stateEbbT6_jjT7_P12ihipStream_tbENKUlT_T0_SE_SJ_E_clIS8_S8_S9_S9_EEDaSX_SY_SE_SJ_EUlSX_E_NS1_11comp_targetILNS1_3genE8ELNS1_11target_archE1030ELNS1_3gpuE2ELNS1_3repE0EEENS1_47radix_sort_onesweep_sort_config_static_selectorELNS0_4arch9wavefront6targetE1EEEvSE_: ; @_ZN7rocprim17ROCPRIM_400000_NS6detail17trampoline_kernelINS0_14default_configENS1_35radix_sort_onesweep_config_selectorIxNS0_10empty_typeEEEZZNS1_29radix_sort_onesweep_iterationIS3_Lb0EPxS8_PS5_S9_mNS0_19identity_decomposerENS1_16block_id_wrapperIjLb1EEEEE10hipError_tT1_PNSt15iterator_traitsISE_E10value_typeET2_T3_PNSF_ISK_E10value_typeET4_T5_PSP_SQ_PNS1_23onesweep_lookback_stateEbbT6_jjT7_P12ihipStream_tbENKUlT_T0_SE_SJ_E_clIS8_S8_S9_S9_EEDaSX_SY_SE_SJ_EUlSX_E_NS1_11comp_targetILNS1_3genE8ELNS1_11target_archE1030ELNS1_3gpuE2ELNS1_3repE0EEENS1_47radix_sort_onesweep_sort_config_static_selectorELNS0_4arch9wavefront6targetE1EEEvSE_
; %bb.0:
	.section	.rodata,"a",@progbits
	.p2align	6, 0x0
	.amdhsa_kernel _ZN7rocprim17ROCPRIM_400000_NS6detail17trampoline_kernelINS0_14default_configENS1_35radix_sort_onesweep_config_selectorIxNS0_10empty_typeEEEZZNS1_29radix_sort_onesweep_iterationIS3_Lb0EPxS8_PS5_S9_mNS0_19identity_decomposerENS1_16block_id_wrapperIjLb1EEEEE10hipError_tT1_PNSt15iterator_traitsISE_E10value_typeET2_T3_PNSF_ISK_E10value_typeET4_T5_PSP_SQ_PNS1_23onesweep_lookback_stateEbbT6_jjT7_P12ihipStream_tbENKUlT_T0_SE_SJ_E_clIS8_S8_S9_S9_EEDaSX_SY_SE_SJ_EUlSX_E_NS1_11comp_targetILNS1_3genE8ELNS1_11target_archE1030ELNS1_3gpuE2ELNS1_3repE0EEENS1_47radix_sort_onesweep_sort_config_static_selectorELNS0_4arch9wavefront6targetE1EEEvSE_
		.amdhsa_group_segment_fixed_size 0
		.amdhsa_private_segment_fixed_size 0
		.amdhsa_kernarg_size 88
		.amdhsa_user_sgpr_count 6
		.amdhsa_user_sgpr_private_segment_buffer 1
		.amdhsa_user_sgpr_dispatch_ptr 0
		.amdhsa_user_sgpr_queue_ptr 0
		.amdhsa_user_sgpr_kernarg_segment_ptr 1
		.amdhsa_user_sgpr_dispatch_id 0
		.amdhsa_user_sgpr_flat_scratch_init 0
		.amdhsa_user_sgpr_kernarg_preload_length 0
		.amdhsa_user_sgpr_kernarg_preload_offset 0
		.amdhsa_user_sgpr_private_segment_size 0
		.amdhsa_uses_dynamic_stack 0
		.amdhsa_system_sgpr_private_segment_wavefront_offset 0
		.amdhsa_system_sgpr_workgroup_id_x 1
		.amdhsa_system_sgpr_workgroup_id_y 0
		.amdhsa_system_sgpr_workgroup_id_z 0
		.amdhsa_system_sgpr_workgroup_info 0
		.amdhsa_system_vgpr_workitem_id 0
		.amdhsa_next_free_vgpr 1
		.amdhsa_next_free_sgpr 0
		.amdhsa_accum_offset 4
		.amdhsa_reserve_vcc 0
		.amdhsa_reserve_flat_scratch 0
		.amdhsa_float_round_mode_32 0
		.amdhsa_float_round_mode_16_64 0
		.amdhsa_float_denorm_mode_32 3
		.amdhsa_float_denorm_mode_16_64 3
		.amdhsa_dx10_clamp 1
		.amdhsa_ieee_mode 1
		.amdhsa_fp16_overflow 0
		.amdhsa_tg_split 0
		.amdhsa_exception_fp_ieee_invalid_op 0
		.amdhsa_exception_fp_denorm_src 0
		.amdhsa_exception_fp_ieee_div_zero 0
		.amdhsa_exception_fp_ieee_overflow 0
		.amdhsa_exception_fp_ieee_underflow 0
		.amdhsa_exception_fp_ieee_inexact 0
		.amdhsa_exception_int_div_zero 0
	.end_amdhsa_kernel
	.section	.text._ZN7rocprim17ROCPRIM_400000_NS6detail17trampoline_kernelINS0_14default_configENS1_35radix_sort_onesweep_config_selectorIxNS0_10empty_typeEEEZZNS1_29radix_sort_onesweep_iterationIS3_Lb0EPxS8_PS5_S9_mNS0_19identity_decomposerENS1_16block_id_wrapperIjLb1EEEEE10hipError_tT1_PNSt15iterator_traitsISE_E10value_typeET2_T3_PNSF_ISK_E10value_typeET4_T5_PSP_SQ_PNS1_23onesweep_lookback_stateEbbT6_jjT7_P12ihipStream_tbENKUlT_T0_SE_SJ_E_clIS8_S8_S9_S9_EEDaSX_SY_SE_SJ_EUlSX_E_NS1_11comp_targetILNS1_3genE8ELNS1_11target_archE1030ELNS1_3gpuE2ELNS1_3repE0EEENS1_47radix_sort_onesweep_sort_config_static_selectorELNS0_4arch9wavefront6targetE1EEEvSE_,"axG",@progbits,_ZN7rocprim17ROCPRIM_400000_NS6detail17trampoline_kernelINS0_14default_configENS1_35radix_sort_onesweep_config_selectorIxNS0_10empty_typeEEEZZNS1_29radix_sort_onesweep_iterationIS3_Lb0EPxS8_PS5_S9_mNS0_19identity_decomposerENS1_16block_id_wrapperIjLb1EEEEE10hipError_tT1_PNSt15iterator_traitsISE_E10value_typeET2_T3_PNSF_ISK_E10value_typeET4_T5_PSP_SQ_PNS1_23onesweep_lookback_stateEbbT6_jjT7_P12ihipStream_tbENKUlT_T0_SE_SJ_E_clIS8_S8_S9_S9_EEDaSX_SY_SE_SJ_EUlSX_E_NS1_11comp_targetILNS1_3genE8ELNS1_11target_archE1030ELNS1_3gpuE2ELNS1_3repE0EEENS1_47radix_sort_onesweep_sort_config_static_selectorELNS0_4arch9wavefront6targetE1EEEvSE_,comdat
.Lfunc_end1098:
	.size	_ZN7rocprim17ROCPRIM_400000_NS6detail17trampoline_kernelINS0_14default_configENS1_35radix_sort_onesweep_config_selectorIxNS0_10empty_typeEEEZZNS1_29radix_sort_onesweep_iterationIS3_Lb0EPxS8_PS5_S9_mNS0_19identity_decomposerENS1_16block_id_wrapperIjLb1EEEEE10hipError_tT1_PNSt15iterator_traitsISE_E10value_typeET2_T3_PNSF_ISK_E10value_typeET4_T5_PSP_SQ_PNS1_23onesweep_lookback_stateEbbT6_jjT7_P12ihipStream_tbENKUlT_T0_SE_SJ_E_clIS8_S8_S9_S9_EEDaSX_SY_SE_SJ_EUlSX_E_NS1_11comp_targetILNS1_3genE8ELNS1_11target_archE1030ELNS1_3gpuE2ELNS1_3repE0EEENS1_47radix_sort_onesweep_sort_config_static_selectorELNS0_4arch9wavefront6targetE1EEEvSE_, .Lfunc_end1098-_ZN7rocprim17ROCPRIM_400000_NS6detail17trampoline_kernelINS0_14default_configENS1_35radix_sort_onesweep_config_selectorIxNS0_10empty_typeEEEZZNS1_29radix_sort_onesweep_iterationIS3_Lb0EPxS8_PS5_S9_mNS0_19identity_decomposerENS1_16block_id_wrapperIjLb1EEEEE10hipError_tT1_PNSt15iterator_traitsISE_E10value_typeET2_T3_PNSF_ISK_E10value_typeET4_T5_PSP_SQ_PNS1_23onesweep_lookback_stateEbbT6_jjT7_P12ihipStream_tbENKUlT_T0_SE_SJ_E_clIS8_S8_S9_S9_EEDaSX_SY_SE_SJ_EUlSX_E_NS1_11comp_targetILNS1_3genE8ELNS1_11target_archE1030ELNS1_3gpuE2ELNS1_3repE0EEENS1_47radix_sort_onesweep_sort_config_static_selectorELNS0_4arch9wavefront6targetE1EEEvSE_
                                        ; -- End function
	.section	.AMDGPU.csdata,"",@progbits
; Kernel info:
; codeLenInByte = 0
; NumSgprs: 4
; NumVgprs: 0
; NumAgprs: 0
; TotalNumVgprs: 0
; ScratchSize: 0
; MemoryBound: 0
; FloatMode: 240
; IeeeMode: 1
; LDSByteSize: 0 bytes/workgroup (compile time only)
; SGPRBlocks: 0
; VGPRBlocks: 0
; NumSGPRsForWavesPerEU: 4
; NumVGPRsForWavesPerEU: 1
; AccumOffset: 4
; Occupancy: 8
; WaveLimiterHint : 0
; COMPUTE_PGM_RSRC2:SCRATCH_EN: 0
; COMPUTE_PGM_RSRC2:USER_SGPR: 6
; COMPUTE_PGM_RSRC2:TRAP_HANDLER: 0
; COMPUTE_PGM_RSRC2:TGID_X_EN: 1
; COMPUTE_PGM_RSRC2:TGID_Y_EN: 0
; COMPUTE_PGM_RSRC2:TGID_Z_EN: 0
; COMPUTE_PGM_RSRC2:TIDIG_COMP_CNT: 0
; COMPUTE_PGM_RSRC3_GFX90A:ACCUM_OFFSET: 0
; COMPUTE_PGM_RSRC3_GFX90A:TG_SPLIT: 0
	.section	.text._ZN7rocprim17ROCPRIM_400000_NS6detail17trampoline_kernelINS0_14default_configENS1_35radix_sort_onesweep_config_selectorIxNS0_10empty_typeEEEZZNS1_29radix_sort_onesweep_iterationIS3_Lb0EPxS8_PS5_S9_mNS0_19identity_decomposerENS1_16block_id_wrapperIjLb0EEEEE10hipError_tT1_PNSt15iterator_traitsISE_E10value_typeET2_T3_PNSF_ISK_E10value_typeET4_T5_PSP_SQ_PNS1_23onesweep_lookback_stateEbbT6_jjT7_P12ihipStream_tbENKUlT_T0_SE_SJ_E_clIS8_S8_S9_S9_EEDaSX_SY_SE_SJ_EUlSX_E_NS1_11comp_targetILNS1_3genE0ELNS1_11target_archE4294967295ELNS1_3gpuE0ELNS1_3repE0EEENS1_47radix_sort_onesweep_sort_config_static_selectorELNS0_4arch9wavefront6targetE1EEEvSE_,"axG",@progbits,_ZN7rocprim17ROCPRIM_400000_NS6detail17trampoline_kernelINS0_14default_configENS1_35radix_sort_onesweep_config_selectorIxNS0_10empty_typeEEEZZNS1_29radix_sort_onesweep_iterationIS3_Lb0EPxS8_PS5_S9_mNS0_19identity_decomposerENS1_16block_id_wrapperIjLb0EEEEE10hipError_tT1_PNSt15iterator_traitsISE_E10value_typeET2_T3_PNSF_ISK_E10value_typeET4_T5_PSP_SQ_PNS1_23onesweep_lookback_stateEbbT6_jjT7_P12ihipStream_tbENKUlT_T0_SE_SJ_E_clIS8_S8_S9_S9_EEDaSX_SY_SE_SJ_EUlSX_E_NS1_11comp_targetILNS1_3genE0ELNS1_11target_archE4294967295ELNS1_3gpuE0ELNS1_3repE0EEENS1_47radix_sort_onesweep_sort_config_static_selectorELNS0_4arch9wavefront6targetE1EEEvSE_,comdat
	.protected	_ZN7rocprim17ROCPRIM_400000_NS6detail17trampoline_kernelINS0_14default_configENS1_35radix_sort_onesweep_config_selectorIxNS0_10empty_typeEEEZZNS1_29radix_sort_onesweep_iterationIS3_Lb0EPxS8_PS5_S9_mNS0_19identity_decomposerENS1_16block_id_wrapperIjLb0EEEEE10hipError_tT1_PNSt15iterator_traitsISE_E10value_typeET2_T3_PNSF_ISK_E10value_typeET4_T5_PSP_SQ_PNS1_23onesweep_lookback_stateEbbT6_jjT7_P12ihipStream_tbENKUlT_T0_SE_SJ_E_clIS8_S8_S9_S9_EEDaSX_SY_SE_SJ_EUlSX_E_NS1_11comp_targetILNS1_3genE0ELNS1_11target_archE4294967295ELNS1_3gpuE0ELNS1_3repE0EEENS1_47radix_sort_onesweep_sort_config_static_selectorELNS0_4arch9wavefront6targetE1EEEvSE_ ; -- Begin function _ZN7rocprim17ROCPRIM_400000_NS6detail17trampoline_kernelINS0_14default_configENS1_35radix_sort_onesweep_config_selectorIxNS0_10empty_typeEEEZZNS1_29radix_sort_onesweep_iterationIS3_Lb0EPxS8_PS5_S9_mNS0_19identity_decomposerENS1_16block_id_wrapperIjLb0EEEEE10hipError_tT1_PNSt15iterator_traitsISE_E10value_typeET2_T3_PNSF_ISK_E10value_typeET4_T5_PSP_SQ_PNS1_23onesweep_lookback_stateEbbT6_jjT7_P12ihipStream_tbENKUlT_T0_SE_SJ_E_clIS8_S8_S9_S9_EEDaSX_SY_SE_SJ_EUlSX_E_NS1_11comp_targetILNS1_3genE0ELNS1_11target_archE4294967295ELNS1_3gpuE0ELNS1_3repE0EEENS1_47radix_sort_onesweep_sort_config_static_selectorELNS0_4arch9wavefront6targetE1EEEvSE_
	.globl	_ZN7rocprim17ROCPRIM_400000_NS6detail17trampoline_kernelINS0_14default_configENS1_35radix_sort_onesweep_config_selectorIxNS0_10empty_typeEEEZZNS1_29radix_sort_onesweep_iterationIS3_Lb0EPxS8_PS5_S9_mNS0_19identity_decomposerENS1_16block_id_wrapperIjLb0EEEEE10hipError_tT1_PNSt15iterator_traitsISE_E10value_typeET2_T3_PNSF_ISK_E10value_typeET4_T5_PSP_SQ_PNS1_23onesweep_lookback_stateEbbT6_jjT7_P12ihipStream_tbENKUlT_T0_SE_SJ_E_clIS8_S8_S9_S9_EEDaSX_SY_SE_SJ_EUlSX_E_NS1_11comp_targetILNS1_3genE0ELNS1_11target_archE4294967295ELNS1_3gpuE0ELNS1_3repE0EEENS1_47radix_sort_onesweep_sort_config_static_selectorELNS0_4arch9wavefront6targetE1EEEvSE_
	.p2align	8
	.type	_ZN7rocprim17ROCPRIM_400000_NS6detail17trampoline_kernelINS0_14default_configENS1_35radix_sort_onesweep_config_selectorIxNS0_10empty_typeEEEZZNS1_29radix_sort_onesweep_iterationIS3_Lb0EPxS8_PS5_S9_mNS0_19identity_decomposerENS1_16block_id_wrapperIjLb0EEEEE10hipError_tT1_PNSt15iterator_traitsISE_E10value_typeET2_T3_PNSF_ISK_E10value_typeET4_T5_PSP_SQ_PNS1_23onesweep_lookback_stateEbbT6_jjT7_P12ihipStream_tbENKUlT_T0_SE_SJ_E_clIS8_S8_S9_S9_EEDaSX_SY_SE_SJ_EUlSX_E_NS1_11comp_targetILNS1_3genE0ELNS1_11target_archE4294967295ELNS1_3gpuE0ELNS1_3repE0EEENS1_47radix_sort_onesweep_sort_config_static_selectorELNS0_4arch9wavefront6targetE1EEEvSE_,@function
_ZN7rocprim17ROCPRIM_400000_NS6detail17trampoline_kernelINS0_14default_configENS1_35radix_sort_onesweep_config_selectorIxNS0_10empty_typeEEEZZNS1_29radix_sort_onesweep_iterationIS3_Lb0EPxS8_PS5_S9_mNS0_19identity_decomposerENS1_16block_id_wrapperIjLb0EEEEE10hipError_tT1_PNSt15iterator_traitsISE_E10value_typeET2_T3_PNSF_ISK_E10value_typeET4_T5_PSP_SQ_PNS1_23onesweep_lookback_stateEbbT6_jjT7_P12ihipStream_tbENKUlT_T0_SE_SJ_E_clIS8_S8_S9_S9_EEDaSX_SY_SE_SJ_EUlSX_E_NS1_11comp_targetILNS1_3genE0ELNS1_11target_archE4294967295ELNS1_3gpuE0ELNS1_3repE0EEENS1_47radix_sort_onesweep_sort_config_static_selectorELNS0_4arch9wavefront6targetE1EEEvSE_: ; @_ZN7rocprim17ROCPRIM_400000_NS6detail17trampoline_kernelINS0_14default_configENS1_35radix_sort_onesweep_config_selectorIxNS0_10empty_typeEEEZZNS1_29radix_sort_onesweep_iterationIS3_Lb0EPxS8_PS5_S9_mNS0_19identity_decomposerENS1_16block_id_wrapperIjLb0EEEEE10hipError_tT1_PNSt15iterator_traitsISE_E10value_typeET2_T3_PNSF_ISK_E10value_typeET4_T5_PSP_SQ_PNS1_23onesweep_lookback_stateEbbT6_jjT7_P12ihipStream_tbENKUlT_T0_SE_SJ_E_clIS8_S8_S9_S9_EEDaSX_SY_SE_SJ_EUlSX_E_NS1_11comp_targetILNS1_3genE0ELNS1_11target_archE4294967295ELNS1_3gpuE0ELNS1_3repE0EEENS1_47radix_sort_onesweep_sort_config_static_selectorELNS0_4arch9wavefront6targetE1EEEvSE_
; %bb.0:
	.section	.rodata,"a",@progbits
	.p2align	6, 0x0
	.amdhsa_kernel _ZN7rocprim17ROCPRIM_400000_NS6detail17trampoline_kernelINS0_14default_configENS1_35radix_sort_onesweep_config_selectorIxNS0_10empty_typeEEEZZNS1_29radix_sort_onesweep_iterationIS3_Lb0EPxS8_PS5_S9_mNS0_19identity_decomposerENS1_16block_id_wrapperIjLb0EEEEE10hipError_tT1_PNSt15iterator_traitsISE_E10value_typeET2_T3_PNSF_ISK_E10value_typeET4_T5_PSP_SQ_PNS1_23onesweep_lookback_stateEbbT6_jjT7_P12ihipStream_tbENKUlT_T0_SE_SJ_E_clIS8_S8_S9_S9_EEDaSX_SY_SE_SJ_EUlSX_E_NS1_11comp_targetILNS1_3genE0ELNS1_11target_archE4294967295ELNS1_3gpuE0ELNS1_3repE0EEENS1_47radix_sort_onesweep_sort_config_static_selectorELNS0_4arch9wavefront6targetE1EEEvSE_
		.amdhsa_group_segment_fixed_size 0
		.amdhsa_private_segment_fixed_size 0
		.amdhsa_kernarg_size 88
		.amdhsa_user_sgpr_count 6
		.amdhsa_user_sgpr_private_segment_buffer 1
		.amdhsa_user_sgpr_dispatch_ptr 0
		.amdhsa_user_sgpr_queue_ptr 0
		.amdhsa_user_sgpr_kernarg_segment_ptr 1
		.amdhsa_user_sgpr_dispatch_id 0
		.amdhsa_user_sgpr_flat_scratch_init 0
		.amdhsa_user_sgpr_kernarg_preload_length 0
		.amdhsa_user_sgpr_kernarg_preload_offset 0
		.amdhsa_user_sgpr_private_segment_size 0
		.amdhsa_uses_dynamic_stack 0
		.amdhsa_system_sgpr_private_segment_wavefront_offset 0
		.amdhsa_system_sgpr_workgroup_id_x 1
		.amdhsa_system_sgpr_workgroup_id_y 0
		.amdhsa_system_sgpr_workgroup_id_z 0
		.amdhsa_system_sgpr_workgroup_info 0
		.amdhsa_system_vgpr_workitem_id 0
		.amdhsa_next_free_vgpr 1
		.amdhsa_next_free_sgpr 0
		.amdhsa_accum_offset 4
		.amdhsa_reserve_vcc 0
		.amdhsa_reserve_flat_scratch 0
		.amdhsa_float_round_mode_32 0
		.amdhsa_float_round_mode_16_64 0
		.amdhsa_float_denorm_mode_32 3
		.amdhsa_float_denorm_mode_16_64 3
		.amdhsa_dx10_clamp 1
		.amdhsa_ieee_mode 1
		.amdhsa_fp16_overflow 0
		.amdhsa_tg_split 0
		.amdhsa_exception_fp_ieee_invalid_op 0
		.amdhsa_exception_fp_denorm_src 0
		.amdhsa_exception_fp_ieee_div_zero 0
		.amdhsa_exception_fp_ieee_overflow 0
		.amdhsa_exception_fp_ieee_underflow 0
		.amdhsa_exception_fp_ieee_inexact 0
		.amdhsa_exception_int_div_zero 0
	.end_amdhsa_kernel
	.section	.text._ZN7rocprim17ROCPRIM_400000_NS6detail17trampoline_kernelINS0_14default_configENS1_35radix_sort_onesweep_config_selectorIxNS0_10empty_typeEEEZZNS1_29radix_sort_onesweep_iterationIS3_Lb0EPxS8_PS5_S9_mNS0_19identity_decomposerENS1_16block_id_wrapperIjLb0EEEEE10hipError_tT1_PNSt15iterator_traitsISE_E10value_typeET2_T3_PNSF_ISK_E10value_typeET4_T5_PSP_SQ_PNS1_23onesweep_lookback_stateEbbT6_jjT7_P12ihipStream_tbENKUlT_T0_SE_SJ_E_clIS8_S8_S9_S9_EEDaSX_SY_SE_SJ_EUlSX_E_NS1_11comp_targetILNS1_3genE0ELNS1_11target_archE4294967295ELNS1_3gpuE0ELNS1_3repE0EEENS1_47radix_sort_onesweep_sort_config_static_selectorELNS0_4arch9wavefront6targetE1EEEvSE_,"axG",@progbits,_ZN7rocprim17ROCPRIM_400000_NS6detail17trampoline_kernelINS0_14default_configENS1_35radix_sort_onesweep_config_selectorIxNS0_10empty_typeEEEZZNS1_29radix_sort_onesweep_iterationIS3_Lb0EPxS8_PS5_S9_mNS0_19identity_decomposerENS1_16block_id_wrapperIjLb0EEEEE10hipError_tT1_PNSt15iterator_traitsISE_E10value_typeET2_T3_PNSF_ISK_E10value_typeET4_T5_PSP_SQ_PNS1_23onesweep_lookback_stateEbbT6_jjT7_P12ihipStream_tbENKUlT_T0_SE_SJ_E_clIS8_S8_S9_S9_EEDaSX_SY_SE_SJ_EUlSX_E_NS1_11comp_targetILNS1_3genE0ELNS1_11target_archE4294967295ELNS1_3gpuE0ELNS1_3repE0EEENS1_47radix_sort_onesweep_sort_config_static_selectorELNS0_4arch9wavefront6targetE1EEEvSE_,comdat
.Lfunc_end1099:
	.size	_ZN7rocprim17ROCPRIM_400000_NS6detail17trampoline_kernelINS0_14default_configENS1_35radix_sort_onesweep_config_selectorIxNS0_10empty_typeEEEZZNS1_29radix_sort_onesweep_iterationIS3_Lb0EPxS8_PS5_S9_mNS0_19identity_decomposerENS1_16block_id_wrapperIjLb0EEEEE10hipError_tT1_PNSt15iterator_traitsISE_E10value_typeET2_T3_PNSF_ISK_E10value_typeET4_T5_PSP_SQ_PNS1_23onesweep_lookback_stateEbbT6_jjT7_P12ihipStream_tbENKUlT_T0_SE_SJ_E_clIS8_S8_S9_S9_EEDaSX_SY_SE_SJ_EUlSX_E_NS1_11comp_targetILNS1_3genE0ELNS1_11target_archE4294967295ELNS1_3gpuE0ELNS1_3repE0EEENS1_47radix_sort_onesweep_sort_config_static_selectorELNS0_4arch9wavefront6targetE1EEEvSE_, .Lfunc_end1099-_ZN7rocprim17ROCPRIM_400000_NS6detail17trampoline_kernelINS0_14default_configENS1_35radix_sort_onesweep_config_selectorIxNS0_10empty_typeEEEZZNS1_29radix_sort_onesweep_iterationIS3_Lb0EPxS8_PS5_S9_mNS0_19identity_decomposerENS1_16block_id_wrapperIjLb0EEEEE10hipError_tT1_PNSt15iterator_traitsISE_E10value_typeET2_T3_PNSF_ISK_E10value_typeET4_T5_PSP_SQ_PNS1_23onesweep_lookback_stateEbbT6_jjT7_P12ihipStream_tbENKUlT_T0_SE_SJ_E_clIS8_S8_S9_S9_EEDaSX_SY_SE_SJ_EUlSX_E_NS1_11comp_targetILNS1_3genE0ELNS1_11target_archE4294967295ELNS1_3gpuE0ELNS1_3repE0EEENS1_47radix_sort_onesweep_sort_config_static_selectorELNS0_4arch9wavefront6targetE1EEEvSE_
                                        ; -- End function
	.section	.AMDGPU.csdata,"",@progbits
; Kernel info:
; codeLenInByte = 0
; NumSgprs: 4
; NumVgprs: 0
; NumAgprs: 0
; TotalNumVgprs: 0
; ScratchSize: 0
; MemoryBound: 0
; FloatMode: 240
; IeeeMode: 1
; LDSByteSize: 0 bytes/workgroup (compile time only)
; SGPRBlocks: 0
; VGPRBlocks: 0
; NumSGPRsForWavesPerEU: 4
; NumVGPRsForWavesPerEU: 1
; AccumOffset: 4
; Occupancy: 8
; WaveLimiterHint : 0
; COMPUTE_PGM_RSRC2:SCRATCH_EN: 0
; COMPUTE_PGM_RSRC2:USER_SGPR: 6
; COMPUTE_PGM_RSRC2:TRAP_HANDLER: 0
; COMPUTE_PGM_RSRC2:TGID_X_EN: 1
; COMPUTE_PGM_RSRC2:TGID_Y_EN: 0
; COMPUTE_PGM_RSRC2:TGID_Z_EN: 0
; COMPUTE_PGM_RSRC2:TIDIG_COMP_CNT: 0
; COMPUTE_PGM_RSRC3_GFX90A:ACCUM_OFFSET: 0
; COMPUTE_PGM_RSRC3_GFX90A:TG_SPLIT: 0
	.section	.text._ZN7rocprim17ROCPRIM_400000_NS6detail17trampoline_kernelINS0_14default_configENS1_35radix_sort_onesweep_config_selectorIxNS0_10empty_typeEEEZZNS1_29radix_sort_onesweep_iterationIS3_Lb0EPxS8_PS5_S9_mNS0_19identity_decomposerENS1_16block_id_wrapperIjLb0EEEEE10hipError_tT1_PNSt15iterator_traitsISE_E10value_typeET2_T3_PNSF_ISK_E10value_typeET4_T5_PSP_SQ_PNS1_23onesweep_lookback_stateEbbT6_jjT7_P12ihipStream_tbENKUlT_T0_SE_SJ_E_clIS8_S8_S9_S9_EEDaSX_SY_SE_SJ_EUlSX_E_NS1_11comp_targetILNS1_3genE6ELNS1_11target_archE950ELNS1_3gpuE13ELNS1_3repE0EEENS1_47radix_sort_onesweep_sort_config_static_selectorELNS0_4arch9wavefront6targetE1EEEvSE_,"axG",@progbits,_ZN7rocprim17ROCPRIM_400000_NS6detail17trampoline_kernelINS0_14default_configENS1_35radix_sort_onesweep_config_selectorIxNS0_10empty_typeEEEZZNS1_29radix_sort_onesweep_iterationIS3_Lb0EPxS8_PS5_S9_mNS0_19identity_decomposerENS1_16block_id_wrapperIjLb0EEEEE10hipError_tT1_PNSt15iterator_traitsISE_E10value_typeET2_T3_PNSF_ISK_E10value_typeET4_T5_PSP_SQ_PNS1_23onesweep_lookback_stateEbbT6_jjT7_P12ihipStream_tbENKUlT_T0_SE_SJ_E_clIS8_S8_S9_S9_EEDaSX_SY_SE_SJ_EUlSX_E_NS1_11comp_targetILNS1_3genE6ELNS1_11target_archE950ELNS1_3gpuE13ELNS1_3repE0EEENS1_47radix_sort_onesweep_sort_config_static_selectorELNS0_4arch9wavefront6targetE1EEEvSE_,comdat
	.protected	_ZN7rocprim17ROCPRIM_400000_NS6detail17trampoline_kernelINS0_14default_configENS1_35radix_sort_onesweep_config_selectorIxNS0_10empty_typeEEEZZNS1_29radix_sort_onesweep_iterationIS3_Lb0EPxS8_PS5_S9_mNS0_19identity_decomposerENS1_16block_id_wrapperIjLb0EEEEE10hipError_tT1_PNSt15iterator_traitsISE_E10value_typeET2_T3_PNSF_ISK_E10value_typeET4_T5_PSP_SQ_PNS1_23onesweep_lookback_stateEbbT6_jjT7_P12ihipStream_tbENKUlT_T0_SE_SJ_E_clIS8_S8_S9_S9_EEDaSX_SY_SE_SJ_EUlSX_E_NS1_11comp_targetILNS1_3genE6ELNS1_11target_archE950ELNS1_3gpuE13ELNS1_3repE0EEENS1_47radix_sort_onesweep_sort_config_static_selectorELNS0_4arch9wavefront6targetE1EEEvSE_ ; -- Begin function _ZN7rocprim17ROCPRIM_400000_NS6detail17trampoline_kernelINS0_14default_configENS1_35radix_sort_onesweep_config_selectorIxNS0_10empty_typeEEEZZNS1_29radix_sort_onesweep_iterationIS3_Lb0EPxS8_PS5_S9_mNS0_19identity_decomposerENS1_16block_id_wrapperIjLb0EEEEE10hipError_tT1_PNSt15iterator_traitsISE_E10value_typeET2_T3_PNSF_ISK_E10value_typeET4_T5_PSP_SQ_PNS1_23onesweep_lookback_stateEbbT6_jjT7_P12ihipStream_tbENKUlT_T0_SE_SJ_E_clIS8_S8_S9_S9_EEDaSX_SY_SE_SJ_EUlSX_E_NS1_11comp_targetILNS1_3genE6ELNS1_11target_archE950ELNS1_3gpuE13ELNS1_3repE0EEENS1_47radix_sort_onesweep_sort_config_static_selectorELNS0_4arch9wavefront6targetE1EEEvSE_
	.globl	_ZN7rocprim17ROCPRIM_400000_NS6detail17trampoline_kernelINS0_14default_configENS1_35radix_sort_onesweep_config_selectorIxNS0_10empty_typeEEEZZNS1_29radix_sort_onesweep_iterationIS3_Lb0EPxS8_PS5_S9_mNS0_19identity_decomposerENS1_16block_id_wrapperIjLb0EEEEE10hipError_tT1_PNSt15iterator_traitsISE_E10value_typeET2_T3_PNSF_ISK_E10value_typeET4_T5_PSP_SQ_PNS1_23onesweep_lookback_stateEbbT6_jjT7_P12ihipStream_tbENKUlT_T0_SE_SJ_E_clIS8_S8_S9_S9_EEDaSX_SY_SE_SJ_EUlSX_E_NS1_11comp_targetILNS1_3genE6ELNS1_11target_archE950ELNS1_3gpuE13ELNS1_3repE0EEENS1_47radix_sort_onesweep_sort_config_static_selectorELNS0_4arch9wavefront6targetE1EEEvSE_
	.p2align	8
	.type	_ZN7rocprim17ROCPRIM_400000_NS6detail17trampoline_kernelINS0_14default_configENS1_35radix_sort_onesweep_config_selectorIxNS0_10empty_typeEEEZZNS1_29radix_sort_onesweep_iterationIS3_Lb0EPxS8_PS5_S9_mNS0_19identity_decomposerENS1_16block_id_wrapperIjLb0EEEEE10hipError_tT1_PNSt15iterator_traitsISE_E10value_typeET2_T3_PNSF_ISK_E10value_typeET4_T5_PSP_SQ_PNS1_23onesweep_lookback_stateEbbT6_jjT7_P12ihipStream_tbENKUlT_T0_SE_SJ_E_clIS8_S8_S9_S9_EEDaSX_SY_SE_SJ_EUlSX_E_NS1_11comp_targetILNS1_3genE6ELNS1_11target_archE950ELNS1_3gpuE13ELNS1_3repE0EEENS1_47radix_sort_onesweep_sort_config_static_selectorELNS0_4arch9wavefront6targetE1EEEvSE_,@function
_ZN7rocprim17ROCPRIM_400000_NS6detail17trampoline_kernelINS0_14default_configENS1_35radix_sort_onesweep_config_selectorIxNS0_10empty_typeEEEZZNS1_29radix_sort_onesweep_iterationIS3_Lb0EPxS8_PS5_S9_mNS0_19identity_decomposerENS1_16block_id_wrapperIjLb0EEEEE10hipError_tT1_PNSt15iterator_traitsISE_E10value_typeET2_T3_PNSF_ISK_E10value_typeET4_T5_PSP_SQ_PNS1_23onesweep_lookback_stateEbbT6_jjT7_P12ihipStream_tbENKUlT_T0_SE_SJ_E_clIS8_S8_S9_S9_EEDaSX_SY_SE_SJ_EUlSX_E_NS1_11comp_targetILNS1_3genE6ELNS1_11target_archE950ELNS1_3gpuE13ELNS1_3repE0EEENS1_47radix_sort_onesweep_sort_config_static_selectorELNS0_4arch9wavefront6targetE1EEEvSE_: ; @_ZN7rocprim17ROCPRIM_400000_NS6detail17trampoline_kernelINS0_14default_configENS1_35radix_sort_onesweep_config_selectorIxNS0_10empty_typeEEEZZNS1_29radix_sort_onesweep_iterationIS3_Lb0EPxS8_PS5_S9_mNS0_19identity_decomposerENS1_16block_id_wrapperIjLb0EEEEE10hipError_tT1_PNSt15iterator_traitsISE_E10value_typeET2_T3_PNSF_ISK_E10value_typeET4_T5_PSP_SQ_PNS1_23onesweep_lookback_stateEbbT6_jjT7_P12ihipStream_tbENKUlT_T0_SE_SJ_E_clIS8_S8_S9_S9_EEDaSX_SY_SE_SJ_EUlSX_E_NS1_11comp_targetILNS1_3genE6ELNS1_11target_archE950ELNS1_3gpuE13ELNS1_3repE0EEENS1_47radix_sort_onesweep_sort_config_static_selectorELNS0_4arch9wavefront6targetE1EEEvSE_
; %bb.0:
	.section	.rodata,"a",@progbits
	.p2align	6, 0x0
	.amdhsa_kernel _ZN7rocprim17ROCPRIM_400000_NS6detail17trampoline_kernelINS0_14default_configENS1_35radix_sort_onesweep_config_selectorIxNS0_10empty_typeEEEZZNS1_29radix_sort_onesweep_iterationIS3_Lb0EPxS8_PS5_S9_mNS0_19identity_decomposerENS1_16block_id_wrapperIjLb0EEEEE10hipError_tT1_PNSt15iterator_traitsISE_E10value_typeET2_T3_PNSF_ISK_E10value_typeET4_T5_PSP_SQ_PNS1_23onesweep_lookback_stateEbbT6_jjT7_P12ihipStream_tbENKUlT_T0_SE_SJ_E_clIS8_S8_S9_S9_EEDaSX_SY_SE_SJ_EUlSX_E_NS1_11comp_targetILNS1_3genE6ELNS1_11target_archE950ELNS1_3gpuE13ELNS1_3repE0EEENS1_47radix_sort_onesweep_sort_config_static_selectorELNS0_4arch9wavefront6targetE1EEEvSE_
		.amdhsa_group_segment_fixed_size 0
		.amdhsa_private_segment_fixed_size 0
		.amdhsa_kernarg_size 88
		.amdhsa_user_sgpr_count 6
		.amdhsa_user_sgpr_private_segment_buffer 1
		.amdhsa_user_sgpr_dispatch_ptr 0
		.amdhsa_user_sgpr_queue_ptr 0
		.amdhsa_user_sgpr_kernarg_segment_ptr 1
		.amdhsa_user_sgpr_dispatch_id 0
		.amdhsa_user_sgpr_flat_scratch_init 0
		.amdhsa_user_sgpr_kernarg_preload_length 0
		.amdhsa_user_sgpr_kernarg_preload_offset 0
		.amdhsa_user_sgpr_private_segment_size 0
		.amdhsa_uses_dynamic_stack 0
		.amdhsa_system_sgpr_private_segment_wavefront_offset 0
		.amdhsa_system_sgpr_workgroup_id_x 1
		.amdhsa_system_sgpr_workgroup_id_y 0
		.amdhsa_system_sgpr_workgroup_id_z 0
		.amdhsa_system_sgpr_workgroup_info 0
		.amdhsa_system_vgpr_workitem_id 0
		.amdhsa_next_free_vgpr 1
		.amdhsa_next_free_sgpr 0
		.amdhsa_accum_offset 4
		.amdhsa_reserve_vcc 0
		.amdhsa_reserve_flat_scratch 0
		.amdhsa_float_round_mode_32 0
		.amdhsa_float_round_mode_16_64 0
		.amdhsa_float_denorm_mode_32 3
		.amdhsa_float_denorm_mode_16_64 3
		.amdhsa_dx10_clamp 1
		.amdhsa_ieee_mode 1
		.amdhsa_fp16_overflow 0
		.amdhsa_tg_split 0
		.amdhsa_exception_fp_ieee_invalid_op 0
		.amdhsa_exception_fp_denorm_src 0
		.amdhsa_exception_fp_ieee_div_zero 0
		.amdhsa_exception_fp_ieee_overflow 0
		.amdhsa_exception_fp_ieee_underflow 0
		.amdhsa_exception_fp_ieee_inexact 0
		.amdhsa_exception_int_div_zero 0
	.end_amdhsa_kernel
	.section	.text._ZN7rocprim17ROCPRIM_400000_NS6detail17trampoline_kernelINS0_14default_configENS1_35radix_sort_onesweep_config_selectorIxNS0_10empty_typeEEEZZNS1_29radix_sort_onesweep_iterationIS3_Lb0EPxS8_PS5_S9_mNS0_19identity_decomposerENS1_16block_id_wrapperIjLb0EEEEE10hipError_tT1_PNSt15iterator_traitsISE_E10value_typeET2_T3_PNSF_ISK_E10value_typeET4_T5_PSP_SQ_PNS1_23onesweep_lookback_stateEbbT6_jjT7_P12ihipStream_tbENKUlT_T0_SE_SJ_E_clIS8_S8_S9_S9_EEDaSX_SY_SE_SJ_EUlSX_E_NS1_11comp_targetILNS1_3genE6ELNS1_11target_archE950ELNS1_3gpuE13ELNS1_3repE0EEENS1_47radix_sort_onesweep_sort_config_static_selectorELNS0_4arch9wavefront6targetE1EEEvSE_,"axG",@progbits,_ZN7rocprim17ROCPRIM_400000_NS6detail17trampoline_kernelINS0_14default_configENS1_35radix_sort_onesweep_config_selectorIxNS0_10empty_typeEEEZZNS1_29radix_sort_onesweep_iterationIS3_Lb0EPxS8_PS5_S9_mNS0_19identity_decomposerENS1_16block_id_wrapperIjLb0EEEEE10hipError_tT1_PNSt15iterator_traitsISE_E10value_typeET2_T3_PNSF_ISK_E10value_typeET4_T5_PSP_SQ_PNS1_23onesweep_lookback_stateEbbT6_jjT7_P12ihipStream_tbENKUlT_T0_SE_SJ_E_clIS8_S8_S9_S9_EEDaSX_SY_SE_SJ_EUlSX_E_NS1_11comp_targetILNS1_3genE6ELNS1_11target_archE950ELNS1_3gpuE13ELNS1_3repE0EEENS1_47radix_sort_onesweep_sort_config_static_selectorELNS0_4arch9wavefront6targetE1EEEvSE_,comdat
.Lfunc_end1100:
	.size	_ZN7rocprim17ROCPRIM_400000_NS6detail17trampoline_kernelINS0_14default_configENS1_35radix_sort_onesweep_config_selectorIxNS0_10empty_typeEEEZZNS1_29radix_sort_onesweep_iterationIS3_Lb0EPxS8_PS5_S9_mNS0_19identity_decomposerENS1_16block_id_wrapperIjLb0EEEEE10hipError_tT1_PNSt15iterator_traitsISE_E10value_typeET2_T3_PNSF_ISK_E10value_typeET4_T5_PSP_SQ_PNS1_23onesweep_lookback_stateEbbT6_jjT7_P12ihipStream_tbENKUlT_T0_SE_SJ_E_clIS8_S8_S9_S9_EEDaSX_SY_SE_SJ_EUlSX_E_NS1_11comp_targetILNS1_3genE6ELNS1_11target_archE950ELNS1_3gpuE13ELNS1_3repE0EEENS1_47radix_sort_onesweep_sort_config_static_selectorELNS0_4arch9wavefront6targetE1EEEvSE_, .Lfunc_end1100-_ZN7rocprim17ROCPRIM_400000_NS6detail17trampoline_kernelINS0_14default_configENS1_35radix_sort_onesweep_config_selectorIxNS0_10empty_typeEEEZZNS1_29radix_sort_onesweep_iterationIS3_Lb0EPxS8_PS5_S9_mNS0_19identity_decomposerENS1_16block_id_wrapperIjLb0EEEEE10hipError_tT1_PNSt15iterator_traitsISE_E10value_typeET2_T3_PNSF_ISK_E10value_typeET4_T5_PSP_SQ_PNS1_23onesweep_lookback_stateEbbT6_jjT7_P12ihipStream_tbENKUlT_T0_SE_SJ_E_clIS8_S8_S9_S9_EEDaSX_SY_SE_SJ_EUlSX_E_NS1_11comp_targetILNS1_3genE6ELNS1_11target_archE950ELNS1_3gpuE13ELNS1_3repE0EEENS1_47radix_sort_onesweep_sort_config_static_selectorELNS0_4arch9wavefront6targetE1EEEvSE_
                                        ; -- End function
	.section	.AMDGPU.csdata,"",@progbits
; Kernel info:
; codeLenInByte = 0
; NumSgprs: 4
; NumVgprs: 0
; NumAgprs: 0
; TotalNumVgprs: 0
; ScratchSize: 0
; MemoryBound: 0
; FloatMode: 240
; IeeeMode: 1
; LDSByteSize: 0 bytes/workgroup (compile time only)
; SGPRBlocks: 0
; VGPRBlocks: 0
; NumSGPRsForWavesPerEU: 4
; NumVGPRsForWavesPerEU: 1
; AccumOffset: 4
; Occupancy: 8
; WaveLimiterHint : 0
; COMPUTE_PGM_RSRC2:SCRATCH_EN: 0
; COMPUTE_PGM_RSRC2:USER_SGPR: 6
; COMPUTE_PGM_RSRC2:TRAP_HANDLER: 0
; COMPUTE_PGM_RSRC2:TGID_X_EN: 1
; COMPUTE_PGM_RSRC2:TGID_Y_EN: 0
; COMPUTE_PGM_RSRC2:TGID_Z_EN: 0
; COMPUTE_PGM_RSRC2:TIDIG_COMP_CNT: 0
; COMPUTE_PGM_RSRC3_GFX90A:ACCUM_OFFSET: 0
; COMPUTE_PGM_RSRC3_GFX90A:TG_SPLIT: 0
	.section	.text._ZN7rocprim17ROCPRIM_400000_NS6detail17trampoline_kernelINS0_14default_configENS1_35radix_sort_onesweep_config_selectorIxNS0_10empty_typeEEEZZNS1_29radix_sort_onesweep_iterationIS3_Lb0EPxS8_PS5_S9_mNS0_19identity_decomposerENS1_16block_id_wrapperIjLb0EEEEE10hipError_tT1_PNSt15iterator_traitsISE_E10value_typeET2_T3_PNSF_ISK_E10value_typeET4_T5_PSP_SQ_PNS1_23onesweep_lookback_stateEbbT6_jjT7_P12ihipStream_tbENKUlT_T0_SE_SJ_E_clIS8_S8_S9_S9_EEDaSX_SY_SE_SJ_EUlSX_E_NS1_11comp_targetILNS1_3genE5ELNS1_11target_archE942ELNS1_3gpuE9ELNS1_3repE0EEENS1_47radix_sort_onesweep_sort_config_static_selectorELNS0_4arch9wavefront6targetE1EEEvSE_,"axG",@progbits,_ZN7rocprim17ROCPRIM_400000_NS6detail17trampoline_kernelINS0_14default_configENS1_35radix_sort_onesweep_config_selectorIxNS0_10empty_typeEEEZZNS1_29radix_sort_onesweep_iterationIS3_Lb0EPxS8_PS5_S9_mNS0_19identity_decomposerENS1_16block_id_wrapperIjLb0EEEEE10hipError_tT1_PNSt15iterator_traitsISE_E10value_typeET2_T3_PNSF_ISK_E10value_typeET4_T5_PSP_SQ_PNS1_23onesweep_lookback_stateEbbT6_jjT7_P12ihipStream_tbENKUlT_T0_SE_SJ_E_clIS8_S8_S9_S9_EEDaSX_SY_SE_SJ_EUlSX_E_NS1_11comp_targetILNS1_3genE5ELNS1_11target_archE942ELNS1_3gpuE9ELNS1_3repE0EEENS1_47radix_sort_onesweep_sort_config_static_selectorELNS0_4arch9wavefront6targetE1EEEvSE_,comdat
	.protected	_ZN7rocprim17ROCPRIM_400000_NS6detail17trampoline_kernelINS0_14default_configENS1_35radix_sort_onesweep_config_selectorIxNS0_10empty_typeEEEZZNS1_29radix_sort_onesweep_iterationIS3_Lb0EPxS8_PS5_S9_mNS0_19identity_decomposerENS1_16block_id_wrapperIjLb0EEEEE10hipError_tT1_PNSt15iterator_traitsISE_E10value_typeET2_T3_PNSF_ISK_E10value_typeET4_T5_PSP_SQ_PNS1_23onesweep_lookback_stateEbbT6_jjT7_P12ihipStream_tbENKUlT_T0_SE_SJ_E_clIS8_S8_S9_S9_EEDaSX_SY_SE_SJ_EUlSX_E_NS1_11comp_targetILNS1_3genE5ELNS1_11target_archE942ELNS1_3gpuE9ELNS1_3repE0EEENS1_47radix_sort_onesweep_sort_config_static_selectorELNS0_4arch9wavefront6targetE1EEEvSE_ ; -- Begin function _ZN7rocprim17ROCPRIM_400000_NS6detail17trampoline_kernelINS0_14default_configENS1_35radix_sort_onesweep_config_selectorIxNS0_10empty_typeEEEZZNS1_29radix_sort_onesweep_iterationIS3_Lb0EPxS8_PS5_S9_mNS0_19identity_decomposerENS1_16block_id_wrapperIjLb0EEEEE10hipError_tT1_PNSt15iterator_traitsISE_E10value_typeET2_T3_PNSF_ISK_E10value_typeET4_T5_PSP_SQ_PNS1_23onesweep_lookback_stateEbbT6_jjT7_P12ihipStream_tbENKUlT_T0_SE_SJ_E_clIS8_S8_S9_S9_EEDaSX_SY_SE_SJ_EUlSX_E_NS1_11comp_targetILNS1_3genE5ELNS1_11target_archE942ELNS1_3gpuE9ELNS1_3repE0EEENS1_47radix_sort_onesweep_sort_config_static_selectorELNS0_4arch9wavefront6targetE1EEEvSE_
	.globl	_ZN7rocprim17ROCPRIM_400000_NS6detail17trampoline_kernelINS0_14default_configENS1_35radix_sort_onesweep_config_selectorIxNS0_10empty_typeEEEZZNS1_29radix_sort_onesweep_iterationIS3_Lb0EPxS8_PS5_S9_mNS0_19identity_decomposerENS1_16block_id_wrapperIjLb0EEEEE10hipError_tT1_PNSt15iterator_traitsISE_E10value_typeET2_T3_PNSF_ISK_E10value_typeET4_T5_PSP_SQ_PNS1_23onesweep_lookback_stateEbbT6_jjT7_P12ihipStream_tbENKUlT_T0_SE_SJ_E_clIS8_S8_S9_S9_EEDaSX_SY_SE_SJ_EUlSX_E_NS1_11comp_targetILNS1_3genE5ELNS1_11target_archE942ELNS1_3gpuE9ELNS1_3repE0EEENS1_47radix_sort_onesweep_sort_config_static_selectorELNS0_4arch9wavefront6targetE1EEEvSE_
	.p2align	8
	.type	_ZN7rocprim17ROCPRIM_400000_NS6detail17trampoline_kernelINS0_14default_configENS1_35radix_sort_onesweep_config_selectorIxNS0_10empty_typeEEEZZNS1_29radix_sort_onesweep_iterationIS3_Lb0EPxS8_PS5_S9_mNS0_19identity_decomposerENS1_16block_id_wrapperIjLb0EEEEE10hipError_tT1_PNSt15iterator_traitsISE_E10value_typeET2_T3_PNSF_ISK_E10value_typeET4_T5_PSP_SQ_PNS1_23onesweep_lookback_stateEbbT6_jjT7_P12ihipStream_tbENKUlT_T0_SE_SJ_E_clIS8_S8_S9_S9_EEDaSX_SY_SE_SJ_EUlSX_E_NS1_11comp_targetILNS1_3genE5ELNS1_11target_archE942ELNS1_3gpuE9ELNS1_3repE0EEENS1_47radix_sort_onesweep_sort_config_static_selectorELNS0_4arch9wavefront6targetE1EEEvSE_,@function
_ZN7rocprim17ROCPRIM_400000_NS6detail17trampoline_kernelINS0_14default_configENS1_35radix_sort_onesweep_config_selectorIxNS0_10empty_typeEEEZZNS1_29radix_sort_onesweep_iterationIS3_Lb0EPxS8_PS5_S9_mNS0_19identity_decomposerENS1_16block_id_wrapperIjLb0EEEEE10hipError_tT1_PNSt15iterator_traitsISE_E10value_typeET2_T3_PNSF_ISK_E10value_typeET4_T5_PSP_SQ_PNS1_23onesweep_lookback_stateEbbT6_jjT7_P12ihipStream_tbENKUlT_T0_SE_SJ_E_clIS8_S8_S9_S9_EEDaSX_SY_SE_SJ_EUlSX_E_NS1_11comp_targetILNS1_3genE5ELNS1_11target_archE942ELNS1_3gpuE9ELNS1_3repE0EEENS1_47radix_sort_onesweep_sort_config_static_selectorELNS0_4arch9wavefront6targetE1EEEvSE_: ; @_ZN7rocprim17ROCPRIM_400000_NS6detail17trampoline_kernelINS0_14default_configENS1_35radix_sort_onesweep_config_selectorIxNS0_10empty_typeEEEZZNS1_29radix_sort_onesweep_iterationIS3_Lb0EPxS8_PS5_S9_mNS0_19identity_decomposerENS1_16block_id_wrapperIjLb0EEEEE10hipError_tT1_PNSt15iterator_traitsISE_E10value_typeET2_T3_PNSF_ISK_E10value_typeET4_T5_PSP_SQ_PNS1_23onesweep_lookback_stateEbbT6_jjT7_P12ihipStream_tbENKUlT_T0_SE_SJ_E_clIS8_S8_S9_S9_EEDaSX_SY_SE_SJ_EUlSX_E_NS1_11comp_targetILNS1_3genE5ELNS1_11target_archE942ELNS1_3gpuE9ELNS1_3repE0EEENS1_47radix_sort_onesweep_sort_config_static_selectorELNS0_4arch9wavefront6targetE1EEEvSE_
; %bb.0:
	.section	.rodata,"a",@progbits
	.p2align	6, 0x0
	.amdhsa_kernel _ZN7rocprim17ROCPRIM_400000_NS6detail17trampoline_kernelINS0_14default_configENS1_35radix_sort_onesweep_config_selectorIxNS0_10empty_typeEEEZZNS1_29radix_sort_onesweep_iterationIS3_Lb0EPxS8_PS5_S9_mNS0_19identity_decomposerENS1_16block_id_wrapperIjLb0EEEEE10hipError_tT1_PNSt15iterator_traitsISE_E10value_typeET2_T3_PNSF_ISK_E10value_typeET4_T5_PSP_SQ_PNS1_23onesweep_lookback_stateEbbT6_jjT7_P12ihipStream_tbENKUlT_T0_SE_SJ_E_clIS8_S8_S9_S9_EEDaSX_SY_SE_SJ_EUlSX_E_NS1_11comp_targetILNS1_3genE5ELNS1_11target_archE942ELNS1_3gpuE9ELNS1_3repE0EEENS1_47radix_sort_onesweep_sort_config_static_selectorELNS0_4arch9wavefront6targetE1EEEvSE_
		.amdhsa_group_segment_fixed_size 0
		.amdhsa_private_segment_fixed_size 0
		.amdhsa_kernarg_size 88
		.amdhsa_user_sgpr_count 6
		.amdhsa_user_sgpr_private_segment_buffer 1
		.amdhsa_user_sgpr_dispatch_ptr 0
		.amdhsa_user_sgpr_queue_ptr 0
		.amdhsa_user_sgpr_kernarg_segment_ptr 1
		.amdhsa_user_sgpr_dispatch_id 0
		.amdhsa_user_sgpr_flat_scratch_init 0
		.amdhsa_user_sgpr_kernarg_preload_length 0
		.amdhsa_user_sgpr_kernarg_preload_offset 0
		.amdhsa_user_sgpr_private_segment_size 0
		.amdhsa_uses_dynamic_stack 0
		.amdhsa_system_sgpr_private_segment_wavefront_offset 0
		.amdhsa_system_sgpr_workgroup_id_x 1
		.amdhsa_system_sgpr_workgroup_id_y 0
		.amdhsa_system_sgpr_workgroup_id_z 0
		.amdhsa_system_sgpr_workgroup_info 0
		.amdhsa_system_vgpr_workitem_id 0
		.amdhsa_next_free_vgpr 1
		.amdhsa_next_free_sgpr 0
		.amdhsa_accum_offset 4
		.amdhsa_reserve_vcc 0
		.amdhsa_reserve_flat_scratch 0
		.amdhsa_float_round_mode_32 0
		.amdhsa_float_round_mode_16_64 0
		.amdhsa_float_denorm_mode_32 3
		.amdhsa_float_denorm_mode_16_64 3
		.amdhsa_dx10_clamp 1
		.amdhsa_ieee_mode 1
		.amdhsa_fp16_overflow 0
		.amdhsa_tg_split 0
		.amdhsa_exception_fp_ieee_invalid_op 0
		.amdhsa_exception_fp_denorm_src 0
		.amdhsa_exception_fp_ieee_div_zero 0
		.amdhsa_exception_fp_ieee_overflow 0
		.amdhsa_exception_fp_ieee_underflow 0
		.amdhsa_exception_fp_ieee_inexact 0
		.amdhsa_exception_int_div_zero 0
	.end_amdhsa_kernel
	.section	.text._ZN7rocprim17ROCPRIM_400000_NS6detail17trampoline_kernelINS0_14default_configENS1_35radix_sort_onesweep_config_selectorIxNS0_10empty_typeEEEZZNS1_29radix_sort_onesweep_iterationIS3_Lb0EPxS8_PS5_S9_mNS0_19identity_decomposerENS1_16block_id_wrapperIjLb0EEEEE10hipError_tT1_PNSt15iterator_traitsISE_E10value_typeET2_T3_PNSF_ISK_E10value_typeET4_T5_PSP_SQ_PNS1_23onesweep_lookback_stateEbbT6_jjT7_P12ihipStream_tbENKUlT_T0_SE_SJ_E_clIS8_S8_S9_S9_EEDaSX_SY_SE_SJ_EUlSX_E_NS1_11comp_targetILNS1_3genE5ELNS1_11target_archE942ELNS1_3gpuE9ELNS1_3repE0EEENS1_47radix_sort_onesweep_sort_config_static_selectorELNS0_4arch9wavefront6targetE1EEEvSE_,"axG",@progbits,_ZN7rocprim17ROCPRIM_400000_NS6detail17trampoline_kernelINS0_14default_configENS1_35radix_sort_onesweep_config_selectorIxNS0_10empty_typeEEEZZNS1_29radix_sort_onesweep_iterationIS3_Lb0EPxS8_PS5_S9_mNS0_19identity_decomposerENS1_16block_id_wrapperIjLb0EEEEE10hipError_tT1_PNSt15iterator_traitsISE_E10value_typeET2_T3_PNSF_ISK_E10value_typeET4_T5_PSP_SQ_PNS1_23onesweep_lookback_stateEbbT6_jjT7_P12ihipStream_tbENKUlT_T0_SE_SJ_E_clIS8_S8_S9_S9_EEDaSX_SY_SE_SJ_EUlSX_E_NS1_11comp_targetILNS1_3genE5ELNS1_11target_archE942ELNS1_3gpuE9ELNS1_3repE0EEENS1_47radix_sort_onesweep_sort_config_static_selectorELNS0_4arch9wavefront6targetE1EEEvSE_,comdat
.Lfunc_end1101:
	.size	_ZN7rocprim17ROCPRIM_400000_NS6detail17trampoline_kernelINS0_14default_configENS1_35radix_sort_onesweep_config_selectorIxNS0_10empty_typeEEEZZNS1_29radix_sort_onesweep_iterationIS3_Lb0EPxS8_PS5_S9_mNS0_19identity_decomposerENS1_16block_id_wrapperIjLb0EEEEE10hipError_tT1_PNSt15iterator_traitsISE_E10value_typeET2_T3_PNSF_ISK_E10value_typeET4_T5_PSP_SQ_PNS1_23onesweep_lookback_stateEbbT6_jjT7_P12ihipStream_tbENKUlT_T0_SE_SJ_E_clIS8_S8_S9_S9_EEDaSX_SY_SE_SJ_EUlSX_E_NS1_11comp_targetILNS1_3genE5ELNS1_11target_archE942ELNS1_3gpuE9ELNS1_3repE0EEENS1_47radix_sort_onesweep_sort_config_static_selectorELNS0_4arch9wavefront6targetE1EEEvSE_, .Lfunc_end1101-_ZN7rocprim17ROCPRIM_400000_NS6detail17trampoline_kernelINS0_14default_configENS1_35radix_sort_onesweep_config_selectorIxNS0_10empty_typeEEEZZNS1_29radix_sort_onesweep_iterationIS3_Lb0EPxS8_PS5_S9_mNS0_19identity_decomposerENS1_16block_id_wrapperIjLb0EEEEE10hipError_tT1_PNSt15iterator_traitsISE_E10value_typeET2_T3_PNSF_ISK_E10value_typeET4_T5_PSP_SQ_PNS1_23onesweep_lookback_stateEbbT6_jjT7_P12ihipStream_tbENKUlT_T0_SE_SJ_E_clIS8_S8_S9_S9_EEDaSX_SY_SE_SJ_EUlSX_E_NS1_11comp_targetILNS1_3genE5ELNS1_11target_archE942ELNS1_3gpuE9ELNS1_3repE0EEENS1_47radix_sort_onesweep_sort_config_static_selectorELNS0_4arch9wavefront6targetE1EEEvSE_
                                        ; -- End function
	.section	.AMDGPU.csdata,"",@progbits
; Kernel info:
; codeLenInByte = 0
; NumSgprs: 4
; NumVgprs: 0
; NumAgprs: 0
; TotalNumVgprs: 0
; ScratchSize: 0
; MemoryBound: 0
; FloatMode: 240
; IeeeMode: 1
; LDSByteSize: 0 bytes/workgroup (compile time only)
; SGPRBlocks: 0
; VGPRBlocks: 0
; NumSGPRsForWavesPerEU: 4
; NumVGPRsForWavesPerEU: 1
; AccumOffset: 4
; Occupancy: 8
; WaveLimiterHint : 0
; COMPUTE_PGM_RSRC2:SCRATCH_EN: 0
; COMPUTE_PGM_RSRC2:USER_SGPR: 6
; COMPUTE_PGM_RSRC2:TRAP_HANDLER: 0
; COMPUTE_PGM_RSRC2:TGID_X_EN: 1
; COMPUTE_PGM_RSRC2:TGID_Y_EN: 0
; COMPUTE_PGM_RSRC2:TGID_Z_EN: 0
; COMPUTE_PGM_RSRC2:TIDIG_COMP_CNT: 0
; COMPUTE_PGM_RSRC3_GFX90A:ACCUM_OFFSET: 0
; COMPUTE_PGM_RSRC3_GFX90A:TG_SPLIT: 0
	.section	.text._ZN7rocprim17ROCPRIM_400000_NS6detail17trampoline_kernelINS0_14default_configENS1_35radix_sort_onesweep_config_selectorIxNS0_10empty_typeEEEZZNS1_29radix_sort_onesweep_iterationIS3_Lb0EPxS8_PS5_S9_mNS0_19identity_decomposerENS1_16block_id_wrapperIjLb0EEEEE10hipError_tT1_PNSt15iterator_traitsISE_E10value_typeET2_T3_PNSF_ISK_E10value_typeET4_T5_PSP_SQ_PNS1_23onesweep_lookback_stateEbbT6_jjT7_P12ihipStream_tbENKUlT_T0_SE_SJ_E_clIS8_S8_S9_S9_EEDaSX_SY_SE_SJ_EUlSX_E_NS1_11comp_targetILNS1_3genE2ELNS1_11target_archE906ELNS1_3gpuE6ELNS1_3repE0EEENS1_47radix_sort_onesweep_sort_config_static_selectorELNS0_4arch9wavefront6targetE1EEEvSE_,"axG",@progbits,_ZN7rocprim17ROCPRIM_400000_NS6detail17trampoline_kernelINS0_14default_configENS1_35radix_sort_onesweep_config_selectorIxNS0_10empty_typeEEEZZNS1_29radix_sort_onesweep_iterationIS3_Lb0EPxS8_PS5_S9_mNS0_19identity_decomposerENS1_16block_id_wrapperIjLb0EEEEE10hipError_tT1_PNSt15iterator_traitsISE_E10value_typeET2_T3_PNSF_ISK_E10value_typeET4_T5_PSP_SQ_PNS1_23onesweep_lookback_stateEbbT6_jjT7_P12ihipStream_tbENKUlT_T0_SE_SJ_E_clIS8_S8_S9_S9_EEDaSX_SY_SE_SJ_EUlSX_E_NS1_11comp_targetILNS1_3genE2ELNS1_11target_archE906ELNS1_3gpuE6ELNS1_3repE0EEENS1_47radix_sort_onesweep_sort_config_static_selectorELNS0_4arch9wavefront6targetE1EEEvSE_,comdat
	.protected	_ZN7rocprim17ROCPRIM_400000_NS6detail17trampoline_kernelINS0_14default_configENS1_35radix_sort_onesweep_config_selectorIxNS0_10empty_typeEEEZZNS1_29radix_sort_onesweep_iterationIS3_Lb0EPxS8_PS5_S9_mNS0_19identity_decomposerENS1_16block_id_wrapperIjLb0EEEEE10hipError_tT1_PNSt15iterator_traitsISE_E10value_typeET2_T3_PNSF_ISK_E10value_typeET4_T5_PSP_SQ_PNS1_23onesweep_lookback_stateEbbT6_jjT7_P12ihipStream_tbENKUlT_T0_SE_SJ_E_clIS8_S8_S9_S9_EEDaSX_SY_SE_SJ_EUlSX_E_NS1_11comp_targetILNS1_3genE2ELNS1_11target_archE906ELNS1_3gpuE6ELNS1_3repE0EEENS1_47radix_sort_onesweep_sort_config_static_selectorELNS0_4arch9wavefront6targetE1EEEvSE_ ; -- Begin function _ZN7rocprim17ROCPRIM_400000_NS6detail17trampoline_kernelINS0_14default_configENS1_35radix_sort_onesweep_config_selectorIxNS0_10empty_typeEEEZZNS1_29radix_sort_onesweep_iterationIS3_Lb0EPxS8_PS5_S9_mNS0_19identity_decomposerENS1_16block_id_wrapperIjLb0EEEEE10hipError_tT1_PNSt15iterator_traitsISE_E10value_typeET2_T3_PNSF_ISK_E10value_typeET4_T5_PSP_SQ_PNS1_23onesweep_lookback_stateEbbT6_jjT7_P12ihipStream_tbENKUlT_T0_SE_SJ_E_clIS8_S8_S9_S9_EEDaSX_SY_SE_SJ_EUlSX_E_NS1_11comp_targetILNS1_3genE2ELNS1_11target_archE906ELNS1_3gpuE6ELNS1_3repE0EEENS1_47radix_sort_onesweep_sort_config_static_selectorELNS0_4arch9wavefront6targetE1EEEvSE_
	.globl	_ZN7rocprim17ROCPRIM_400000_NS6detail17trampoline_kernelINS0_14default_configENS1_35radix_sort_onesweep_config_selectorIxNS0_10empty_typeEEEZZNS1_29radix_sort_onesweep_iterationIS3_Lb0EPxS8_PS5_S9_mNS0_19identity_decomposerENS1_16block_id_wrapperIjLb0EEEEE10hipError_tT1_PNSt15iterator_traitsISE_E10value_typeET2_T3_PNSF_ISK_E10value_typeET4_T5_PSP_SQ_PNS1_23onesweep_lookback_stateEbbT6_jjT7_P12ihipStream_tbENKUlT_T0_SE_SJ_E_clIS8_S8_S9_S9_EEDaSX_SY_SE_SJ_EUlSX_E_NS1_11comp_targetILNS1_3genE2ELNS1_11target_archE906ELNS1_3gpuE6ELNS1_3repE0EEENS1_47radix_sort_onesweep_sort_config_static_selectorELNS0_4arch9wavefront6targetE1EEEvSE_
	.p2align	8
	.type	_ZN7rocprim17ROCPRIM_400000_NS6detail17trampoline_kernelINS0_14default_configENS1_35radix_sort_onesweep_config_selectorIxNS0_10empty_typeEEEZZNS1_29radix_sort_onesweep_iterationIS3_Lb0EPxS8_PS5_S9_mNS0_19identity_decomposerENS1_16block_id_wrapperIjLb0EEEEE10hipError_tT1_PNSt15iterator_traitsISE_E10value_typeET2_T3_PNSF_ISK_E10value_typeET4_T5_PSP_SQ_PNS1_23onesweep_lookback_stateEbbT6_jjT7_P12ihipStream_tbENKUlT_T0_SE_SJ_E_clIS8_S8_S9_S9_EEDaSX_SY_SE_SJ_EUlSX_E_NS1_11comp_targetILNS1_3genE2ELNS1_11target_archE906ELNS1_3gpuE6ELNS1_3repE0EEENS1_47radix_sort_onesweep_sort_config_static_selectorELNS0_4arch9wavefront6targetE1EEEvSE_,@function
_ZN7rocprim17ROCPRIM_400000_NS6detail17trampoline_kernelINS0_14default_configENS1_35radix_sort_onesweep_config_selectorIxNS0_10empty_typeEEEZZNS1_29radix_sort_onesweep_iterationIS3_Lb0EPxS8_PS5_S9_mNS0_19identity_decomposerENS1_16block_id_wrapperIjLb0EEEEE10hipError_tT1_PNSt15iterator_traitsISE_E10value_typeET2_T3_PNSF_ISK_E10value_typeET4_T5_PSP_SQ_PNS1_23onesweep_lookback_stateEbbT6_jjT7_P12ihipStream_tbENKUlT_T0_SE_SJ_E_clIS8_S8_S9_S9_EEDaSX_SY_SE_SJ_EUlSX_E_NS1_11comp_targetILNS1_3genE2ELNS1_11target_archE906ELNS1_3gpuE6ELNS1_3repE0EEENS1_47radix_sort_onesweep_sort_config_static_selectorELNS0_4arch9wavefront6targetE1EEEvSE_: ; @_ZN7rocprim17ROCPRIM_400000_NS6detail17trampoline_kernelINS0_14default_configENS1_35radix_sort_onesweep_config_selectorIxNS0_10empty_typeEEEZZNS1_29radix_sort_onesweep_iterationIS3_Lb0EPxS8_PS5_S9_mNS0_19identity_decomposerENS1_16block_id_wrapperIjLb0EEEEE10hipError_tT1_PNSt15iterator_traitsISE_E10value_typeET2_T3_PNSF_ISK_E10value_typeET4_T5_PSP_SQ_PNS1_23onesweep_lookback_stateEbbT6_jjT7_P12ihipStream_tbENKUlT_T0_SE_SJ_E_clIS8_S8_S9_S9_EEDaSX_SY_SE_SJ_EUlSX_E_NS1_11comp_targetILNS1_3genE2ELNS1_11target_archE906ELNS1_3gpuE6ELNS1_3repE0EEENS1_47radix_sort_onesweep_sort_config_static_selectorELNS0_4arch9wavefront6targetE1EEEvSE_
; %bb.0:
	.section	.rodata,"a",@progbits
	.p2align	6, 0x0
	.amdhsa_kernel _ZN7rocprim17ROCPRIM_400000_NS6detail17trampoline_kernelINS0_14default_configENS1_35radix_sort_onesweep_config_selectorIxNS0_10empty_typeEEEZZNS1_29radix_sort_onesweep_iterationIS3_Lb0EPxS8_PS5_S9_mNS0_19identity_decomposerENS1_16block_id_wrapperIjLb0EEEEE10hipError_tT1_PNSt15iterator_traitsISE_E10value_typeET2_T3_PNSF_ISK_E10value_typeET4_T5_PSP_SQ_PNS1_23onesweep_lookback_stateEbbT6_jjT7_P12ihipStream_tbENKUlT_T0_SE_SJ_E_clIS8_S8_S9_S9_EEDaSX_SY_SE_SJ_EUlSX_E_NS1_11comp_targetILNS1_3genE2ELNS1_11target_archE906ELNS1_3gpuE6ELNS1_3repE0EEENS1_47radix_sort_onesweep_sort_config_static_selectorELNS0_4arch9wavefront6targetE1EEEvSE_
		.amdhsa_group_segment_fixed_size 0
		.amdhsa_private_segment_fixed_size 0
		.amdhsa_kernarg_size 88
		.amdhsa_user_sgpr_count 6
		.amdhsa_user_sgpr_private_segment_buffer 1
		.amdhsa_user_sgpr_dispatch_ptr 0
		.amdhsa_user_sgpr_queue_ptr 0
		.amdhsa_user_sgpr_kernarg_segment_ptr 1
		.amdhsa_user_sgpr_dispatch_id 0
		.amdhsa_user_sgpr_flat_scratch_init 0
		.amdhsa_user_sgpr_kernarg_preload_length 0
		.amdhsa_user_sgpr_kernarg_preload_offset 0
		.amdhsa_user_sgpr_private_segment_size 0
		.amdhsa_uses_dynamic_stack 0
		.amdhsa_system_sgpr_private_segment_wavefront_offset 0
		.amdhsa_system_sgpr_workgroup_id_x 1
		.amdhsa_system_sgpr_workgroup_id_y 0
		.amdhsa_system_sgpr_workgroup_id_z 0
		.amdhsa_system_sgpr_workgroup_info 0
		.amdhsa_system_vgpr_workitem_id 0
		.amdhsa_next_free_vgpr 1
		.amdhsa_next_free_sgpr 0
		.amdhsa_accum_offset 4
		.amdhsa_reserve_vcc 0
		.amdhsa_reserve_flat_scratch 0
		.amdhsa_float_round_mode_32 0
		.amdhsa_float_round_mode_16_64 0
		.amdhsa_float_denorm_mode_32 3
		.amdhsa_float_denorm_mode_16_64 3
		.amdhsa_dx10_clamp 1
		.amdhsa_ieee_mode 1
		.amdhsa_fp16_overflow 0
		.amdhsa_tg_split 0
		.amdhsa_exception_fp_ieee_invalid_op 0
		.amdhsa_exception_fp_denorm_src 0
		.amdhsa_exception_fp_ieee_div_zero 0
		.amdhsa_exception_fp_ieee_overflow 0
		.amdhsa_exception_fp_ieee_underflow 0
		.amdhsa_exception_fp_ieee_inexact 0
		.amdhsa_exception_int_div_zero 0
	.end_amdhsa_kernel
	.section	.text._ZN7rocprim17ROCPRIM_400000_NS6detail17trampoline_kernelINS0_14default_configENS1_35radix_sort_onesweep_config_selectorIxNS0_10empty_typeEEEZZNS1_29radix_sort_onesweep_iterationIS3_Lb0EPxS8_PS5_S9_mNS0_19identity_decomposerENS1_16block_id_wrapperIjLb0EEEEE10hipError_tT1_PNSt15iterator_traitsISE_E10value_typeET2_T3_PNSF_ISK_E10value_typeET4_T5_PSP_SQ_PNS1_23onesweep_lookback_stateEbbT6_jjT7_P12ihipStream_tbENKUlT_T0_SE_SJ_E_clIS8_S8_S9_S9_EEDaSX_SY_SE_SJ_EUlSX_E_NS1_11comp_targetILNS1_3genE2ELNS1_11target_archE906ELNS1_3gpuE6ELNS1_3repE0EEENS1_47radix_sort_onesweep_sort_config_static_selectorELNS0_4arch9wavefront6targetE1EEEvSE_,"axG",@progbits,_ZN7rocprim17ROCPRIM_400000_NS6detail17trampoline_kernelINS0_14default_configENS1_35radix_sort_onesweep_config_selectorIxNS0_10empty_typeEEEZZNS1_29radix_sort_onesweep_iterationIS3_Lb0EPxS8_PS5_S9_mNS0_19identity_decomposerENS1_16block_id_wrapperIjLb0EEEEE10hipError_tT1_PNSt15iterator_traitsISE_E10value_typeET2_T3_PNSF_ISK_E10value_typeET4_T5_PSP_SQ_PNS1_23onesweep_lookback_stateEbbT6_jjT7_P12ihipStream_tbENKUlT_T0_SE_SJ_E_clIS8_S8_S9_S9_EEDaSX_SY_SE_SJ_EUlSX_E_NS1_11comp_targetILNS1_3genE2ELNS1_11target_archE906ELNS1_3gpuE6ELNS1_3repE0EEENS1_47radix_sort_onesweep_sort_config_static_selectorELNS0_4arch9wavefront6targetE1EEEvSE_,comdat
.Lfunc_end1102:
	.size	_ZN7rocprim17ROCPRIM_400000_NS6detail17trampoline_kernelINS0_14default_configENS1_35radix_sort_onesweep_config_selectorIxNS0_10empty_typeEEEZZNS1_29radix_sort_onesweep_iterationIS3_Lb0EPxS8_PS5_S9_mNS0_19identity_decomposerENS1_16block_id_wrapperIjLb0EEEEE10hipError_tT1_PNSt15iterator_traitsISE_E10value_typeET2_T3_PNSF_ISK_E10value_typeET4_T5_PSP_SQ_PNS1_23onesweep_lookback_stateEbbT6_jjT7_P12ihipStream_tbENKUlT_T0_SE_SJ_E_clIS8_S8_S9_S9_EEDaSX_SY_SE_SJ_EUlSX_E_NS1_11comp_targetILNS1_3genE2ELNS1_11target_archE906ELNS1_3gpuE6ELNS1_3repE0EEENS1_47radix_sort_onesweep_sort_config_static_selectorELNS0_4arch9wavefront6targetE1EEEvSE_, .Lfunc_end1102-_ZN7rocprim17ROCPRIM_400000_NS6detail17trampoline_kernelINS0_14default_configENS1_35radix_sort_onesweep_config_selectorIxNS0_10empty_typeEEEZZNS1_29radix_sort_onesweep_iterationIS3_Lb0EPxS8_PS5_S9_mNS0_19identity_decomposerENS1_16block_id_wrapperIjLb0EEEEE10hipError_tT1_PNSt15iterator_traitsISE_E10value_typeET2_T3_PNSF_ISK_E10value_typeET4_T5_PSP_SQ_PNS1_23onesweep_lookback_stateEbbT6_jjT7_P12ihipStream_tbENKUlT_T0_SE_SJ_E_clIS8_S8_S9_S9_EEDaSX_SY_SE_SJ_EUlSX_E_NS1_11comp_targetILNS1_3genE2ELNS1_11target_archE906ELNS1_3gpuE6ELNS1_3repE0EEENS1_47radix_sort_onesweep_sort_config_static_selectorELNS0_4arch9wavefront6targetE1EEEvSE_
                                        ; -- End function
	.section	.AMDGPU.csdata,"",@progbits
; Kernel info:
; codeLenInByte = 0
; NumSgprs: 4
; NumVgprs: 0
; NumAgprs: 0
; TotalNumVgprs: 0
; ScratchSize: 0
; MemoryBound: 0
; FloatMode: 240
; IeeeMode: 1
; LDSByteSize: 0 bytes/workgroup (compile time only)
; SGPRBlocks: 0
; VGPRBlocks: 0
; NumSGPRsForWavesPerEU: 4
; NumVGPRsForWavesPerEU: 1
; AccumOffset: 4
; Occupancy: 8
; WaveLimiterHint : 0
; COMPUTE_PGM_RSRC2:SCRATCH_EN: 0
; COMPUTE_PGM_RSRC2:USER_SGPR: 6
; COMPUTE_PGM_RSRC2:TRAP_HANDLER: 0
; COMPUTE_PGM_RSRC2:TGID_X_EN: 1
; COMPUTE_PGM_RSRC2:TGID_Y_EN: 0
; COMPUTE_PGM_RSRC2:TGID_Z_EN: 0
; COMPUTE_PGM_RSRC2:TIDIG_COMP_CNT: 0
; COMPUTE_PGM_RSRC3_GFX90A:ACCUM_OFFSET: 0
; COMPUTE_PGM_RSRC3_GFX90A:TG_SPLIT: 0
	.section	.text._ZN7rocprim17ROCPRIM_400000_NS6detail17trampoline_kernelINS0_14default_configENS1_35radix_sort_onesweep_config_selectorIxNS0_10empty_typeEEEZZNS1_29radix_sort_onesweep_iterationIS3_Lb0EPxS8_PS5_S9_mNS0_19identity_decomposerENS1_16block_id_wrapperIjLb0EEEEE10hipError_tT1_PNSt15iterator_traitsISE_E10value_typeET2_T3_PNSF_ISK_E10value_typeET4_T5_PSP_SQ_PNS1_23onesweep_lookback_stateEbbT6_jjT7_P12ihipStream_tbENKUlT_T0_SE_SJ_E_clIS8_S8_S9_S9_EEDaSX_SY_SE_SJ_EUlSX_E_NS1_11comp_targetILNS1_3genE4ELNS1_11target_archE910ELNS1_3gpuE8ELNS1_3repE0EEENS1_47radix_sort_onesweep_sort_config_static_selectorELNS0_4arch9wavefront6targetE1EEEvSE_,"axG",@progbits,_ZN7rocprim17ROCPRIM_400000_NS6detail17trampoline_kernelINS0_14default_configENS1_35radix_sort_onesweep_config_selectorIxNS0_10empty_typeEEEZZNS1_29radix_sort_onesweep_iterationIS3_Lb0EPxS8_PS5_S9_mNS0_19identity_decomposerENS1_16block_id_wrapperIjLb0EEEEE10hipError_tT1_PNSt15iterator_traitsISE_E10value_typeET2_T3_PNSF_ISK_E10value_typeET4_T5_PSP_SQ_PNS1_23onesweep_lookback_stateEbbT6_jjT7_P12ihipStream_tbENKUlT_T0_SE_SJ_E_clIS8_S8_S9_S9_EEDaSX_SY_SE_SJ_EUlSX_E_NS1_11comp_targetILNS1_3genE4ELNS1_11target_archE910ELNS1_3gpuE8ELNS1_3repE0EEENS1_47radix_sort_onesweep_sort_config_static_selectorELNS0_4arch9wavefront6targetE1EEEvSE_,comdat
	.protected	_ZN7rocprim17ROCPRIM_400000_NS6detail17trampoline_kernelINS0_14default_configENS1_35radix_sort_onesweep_config_selectorIxNS0_10empty_typeEEEZZNS1_29radix_sort_onesweep_iterationIS3_Lb0EPxS8_PS5_S9_mNS0_19identity_decomposerENS1_16block_id_wrapperIjLb0EEEEE10hipError_tT1_PNSt15iterator_traitsISE_E10value_typeET2_T3_PNSF_ISK_E10value_typeET4_T5_PSP_SQ_PNS1_23onesweep_lookback_stateEbbT6_jjT7_P12ihipStream_tbENKUlT_T0_SE_SJ_E_clIS8_S8_S9_S9_EEDaSX_SY_SE_SJ_EUlSX_E_NS1_11comp_targetILNS1_3genE4ELNS1_11target_archE910ELNS1_3gpuE8ELNS1_3repE0EEENS1_47radix_sort_onesweep_sort_config_static_selectorELNS0_4arch9wavefront6targetE1EEEvSE_ ; -- Begin function _ZN7rocprim17ROCPRIM_400000_NS6detail17trampoline_kernelINS0_14default_configENS1_35radix_sort_onesweep_config_selectorIxNS0_10empty_typeEEEZZNS1_29radix_sort_onesweep_iterationIS3_Lb0EPxS8_PS5_S9_mNS0_19identity_decomposerENS1_16block_id_wrapperIjLb0EEEEE10hipError_tT1_PNSt15iterator_traitsISE_E10value_typeET2_T3_PNSF_ISK_E10value_typeET4_T5_PSP_SQ_PNS1_23onesweep_lookback_stateEbbT6_jjT7_P12ihipStream_tbENKUlT_T0_SE_SJ_E_clIS8_S8_S9_S9_EEDaSX_SY_SE_SJ_EUlSX_E_NS1_11comp_targetILNS1_3genE4ELNS1_11target_archE910ELNS1_3gpuE8ELNS1_3repE0EEENS1_47radix_sort_onesweep_sort_config_static_selectorELNS0_4arch9wavefront6targetE1EEEvSE_
	.globl	_ZN7rocprim17ROCPRIM_400000_NS6detail17trampoline_kernelINS0_14default_configENS1_35radix_sort_onesweep_config_selectorIxNS0_10empty_typeEEEZZNS1_29radix_sort_onesweep_iterationIS3_Lb0EPxS8_PS5_S9_mNS0_19identity_decomposerENS1_16block_id_wrapperIjLb0EEEEE10hipError_tT1_PNSt15iterator_traitsISE_E10value_typeET2_T3_PNSF_ISK_E10value_typeET4_T5_PSP_SQ_PNS1_23onesweep_lookback_stateEbbT6_jjT7_P12ihipStream_tbENKUlT_T0_SE_SJ_E_clIS8_S8_S9_S9_EEDaSX_SY_SE_SJ_EUlSX_E_NS1_11comp_targetILNS1_3genE4ELNS1_11target_archE910ELNS1_3gpuE8ELNS1_3repE0EEENS1_47radix_sort_onesweep_sort_config_static_selectorELNS0_4arch9wavefront6targetE1EEEvSE_
	.p2align	8
	.type	_ZN7rocprim17ROCPRIM_400000_NS6detail17trampoline_kernelINS0_14default_configENS1_35radix_sort_onesweep_config_selectorIxNS0_10empty_typeEEEZZNS1_29radix_sort_onesweep_iterationIS3_Lb0EPxS8_PS5_S9_mNS0_19identity_decomposerENS1_16block_id_wrapperIjLb0EEEEE10hipError_tT1_PNSt15iterator_traitsISE_E10value_typeET2_T3_PNSF_ISK_E10value_typeET4_T5_PSP_SQ_PNS1_23onesweep_lookback_stateEbbT6_jjT7_P12ihipStream_tbENKUlT_T0_SE_SJ_E_clIS8_S8_S9_S9_EEDaSX_SY_SE_SJ_EUlSX_E_NS1_11comp_targetILNS1_3genE4ELNS1_11target_archE910ELNS1_3gpuE8ELNS1_3repE0EEENS1_47radix_sort_onesweep_sort_config_static_selectorELNS0_4arch9wavefront6targetE1EEEvSE_,@function
_ZN7rocprim17ROCPRIM_400000_NS6detail17trampoline_kernelINS0_14default_configENS1_35radix_sort_onesweep_config_selectorIxNS0_10empty_typeEEEZZNS1_29radix_sort_onesweep_iterationIS3_Lb0EPxS8_PS5_S9_mNS0_19identity_decomposerENS1_16block_id_wrapperIjLb0EEEEE10hipError_tT1_PNSt15iterator_traitsISE_E10value_typeET2_T3_PNSF_ISK_E10value_typeET4_T5_PSP_SQ_PNS1_23onesweep_lookback_stateEbbT6_jjT7_P12ihipStream_tbENKUlT_T0_SE_SJ_E_clIS8_S8_S9_S9_EEDaSX_SY_SE_SJ_EUlSX_E_NS1_11comp_targetILNS1_3genE4ELNS1_11target_archE910ELNS1_3gpuE8ELNS1_3repE0EEENS1_47radix_sort_onesweep_sort_config_static_selectorELNS0_4arch9wavefront6targetE1EEEvSE_: ; @_ZN7rocprim17ROCPRIM_400000_NS6detail17trampoline_kernelINS0_14default_configENS1_35radix_sort_onesweep_config_selectorIxNS0_10empty_typeEEEZZNS1_29radix_sort_onesweep_iterationIS3_Lb0EPxS8_PS5_S9_mNS0_19identity_decomposerENS1_16block_id_wrapperIjLb0EEEEE10hipError_tT1_PNSt15iterator_traitsISE_E10value_typeET2_T3_PNSF_ISK_E10value_typeET4_T5_PSP_SQ_PNS1_23onesweep_lookback_stateEbbT6_jjT7_P12ihipStream_tbENKUlT_T0_SE_SJ_E_clIS8_S8_S9_S9_EEDaSX_SY_SE_SJ_EUlSX_E_NS1_11comp_targetILNS1_3genE4ELNS1_11target_archE910ELNS1_3gpuE8ELNS1_3repE0EEENS1_47radix_sort_onesweep_sort_config_static_selectorELNS0_4arch9wavefront6targetE1EEEvSE_
; %bb.0:
	s_load_dwordx2 s[24:25], s[4:5], 0x38
	s_load_dwordx4 s[16:19], s[4:5], 0x44
	s_load_dwordx4 s[20:23], s[4:5], 0x0
	;; [unrolled: 1-line block ×3, first 2 shown]
	v_mbcnt_lo_u32_b32 v28, -1, 0
	s_waitcnt lgkmcnt(0)
	s_cmp_ge_u32 s6, s18
	s_cbranch_scc0 .LBB1103_61
; %bb.1:
	s_load_dword s2, s[4:5], 0x20
	s_lshl_b32 s3, s18, 13
	s_lshl_b32 s0, s6, 13
	s_mov_b32 s1, 0
	s_lshl_b64 s[0:1], s[0:1], 3
	s_waitcnt lgkmcnt(0)
	s_sub_i32 s7, s2, s3
	v_mbcnt_hi_u32_b32 v1, -1, v28
	v_and_b32_e32 v2, 0x3ff, v0
	s_add_u32 s2, s20, s0
	v_and_b32_e32 v3, 63, v1
	s_addc_u32 s3, s21, s1
	v_lshlrev_b32_e32 v29, 3, v2
	v_lshlrev_b32_e32 v5, 3, v3
	v_and_b32_e32 v4, 0x1e00, v29
	v_mov_b32_e32 v6, s3
	v_add_co_u32_e32 v5, vcc, s2, v5
	v_addc_co_u32_e32 v6, vcc, 0, v6, vcc
	v_lshlrev_b32_e32 v7, 3, v4
	s_mov_b32 s0, -1
	v_add_co_u32_e32 v20, vcc, v5, v7
	s_brev_b32 s1, -2
	v_addc_co_u32_e32 v21, vcc, 0, v6, vcc
	v_or_b32_e32 v3, v3, v4
	v_cmp_gt_u32_e32 vcc, s7, v3
	v_pk_mov_b32 v[4:5], s[0:1], s[0:1] op_sel:[0,1]
	s_and_saveexec_b64 s[2:3], vcc
	s_cbranch_execz .LBB1103_3
; %bb.2:
	global_load_dwordx2 v[4:5], v[20:21], off
.LBB1103_3:
	s_or_b64 exec, exec, s[2:3]
	v_or_b32_e32 v6, 64, v3
	v_cmp_gt_u32_e32 vcc, s7, v6
	v_pk_mov_b32 v[6:7], s[0:1], s[0:1] op_sel:[0,1]
	s_and_saveexec_b64 s[0:1], vcc
	s_cbranch_execz .LBB1103_5
; %bb.4:
	global_load_dwordx2 v[6:7], v[20:21], off offset:512
.LBB1103_5:
	s_or_b64 exec, exec, s[0:1]
	s_mov_b32 s0, -1
	v_or_b32_e32 v8, 0x80, v3
	s_brev_b32 s1, -2
	v_cmp_gt_u32_e32 vcc, s7, v8
	v_pk_mov_b32 v[8:9], s[0:1], s[0:1] op_sel:[0,1]
	s_and_saveexec_b64 s[2:3], vcc
	s_cbranch_execz .LBB1103_7
; %bb.6:
	global_load_dwordx2 v[8:9], v[20:21], off offset:1024
.LBB1103_7:
	s_or_b64 exec, exec, s[2:3]
	v_or_b32_e32 v10, 0xc0, v3
	v_cmp_gt_u32_e32 vcc, s7, v10
	v_pk_mov_b32 v[10:11], s[0:1], s[0:1] op_sel:[0,1]
	s_and_saveexec_b64 s[0:1], vcc
	s_cbranch_execz .LBB1103_9
; %bb.8:
	global_load_dwordx2 v[10:11], v[20:21], off offset:1536
.LBB1103_9:
	s_or_b64 exec, exec, s[0:1]
	s_mov_b32 s0, -1
	v_or_b32_e32 v12, 0x100, v3
	s_brev_b32 s1, -2
	v_cmp_gt_u32_e32 vcc, s7, v12
	v_pk_mov_b32 v[12:13], s[0:1], s[0:1] op_sel:[0,1]
	s_and_saveexec_b64 s[2:3], vcc
	s_cbranch_execz .LBB1103_11
; %bb.10:
	global_load_dwordx2 v[12:13], v[20:21], off offset:2048
.LBB1103_11:
	;; [unrolled: 20-line block ×3, first 2 shown]
	s_or_b64 exec, exec, s[2:3]
	v_or_b32_e32 v3, 0x1c0, v3
	v_cmp_gt_u32_e32 vcc, s7, v3
	v_pk_mov_b32 v[18:19], s[0:1], s[0:1] op_sel:[0,1]
	s_and_saveexec_b64 s[0:1], vcc
	s_cbranch_execz .LBB1103_17
; %bb.16:
	global_load_dwordx2 v[18:19], v[20:21], off offset:3584
.LBB1103_17:
	s_or_b64 exec, exec, s[0:1]
	s_load_dword s0, s[4:5], 0x64
	s_load_dword s26, s[4:5], 0x58
	s_add_u32 s1, s4, 0x58
	s_addc_u32 s2, s5, 0
	v_mov_b32_e32 v20, 0
	s_waitcnt lgkmcnt(0)
	s_lshr_b32 s3, s0, 16
	s_cmp_lt_u32 s6, s26
	s_cselect_b32 s0, 12, 18
	s_add_u32 s0, s1, s0
	s_addc_u32 s1, s2, 0
	global_load_ushort v24, v20, s[0:1]
	s_waitcnt vmcnt(1)
	v_xor_b32_e32 v5, 0x80000000, v5
	s_lshl_b32 s0, -1, s17
	v_lshrrev_b64 v[22:23], s16, v[4:5]
	s_not_b32 s27, s0
	v_and_b32_e32 v22, s27, v22
	v_and_b32_e32 v26, 1, v22
	v_bfe_u32 v21, v0, 10, 10
	v_bfe_u32 v25, v0, 20, 10
	v_add_co_u32_e32 v27, vcc, -1, v26
	v_mad_u32_u24 v23, v25, s3, v21
	v_lshlrev_b32_e32 v21, 30, v22
	v_addc_co_u32_e64 v30, s[0:1], 0, -1, vcc
	v_cmp_ne_u32_e32 vcc, 0, v26
	v_cmp_gt_i64_e64 s[0:1], 0, v[20:21]
	v_not_b32_e32 v26, v21
	v_lshlrev_b32_e32 v21, 29, v22
	v_xor_b32_e32 v30, vcc_hi, v30
	v_xor_b32_e32 v27, vcc_lo, v27
	v_ashrrev_i32_e32 v26, 31, v26
	v_cmp_gt_i64_e32 vcc, 0, v[20:21]
	v_not_b32_e32 v31, v21
	v_lshlrev_b32_e32 v21, 28, v22
	v_and_b32_e32 v30, exec_hi, v30
	v_and_b32_e32 v27, exec_lo, v27
	v_xor_b32_e32 v32, s1, v26
	v_xor_b32_e32 v26, s0, v26
	v_ashrrev_i32_e32 v31, 31, v31
	v_cmp_gt_i64_e64 s[0:1], 0, v[20:21]
	v_not_b32_e32 v33, v21
	v_lshlrev_b32_e32 v21, 27, v22
	v_and_b32_e32 v30, v30, v32
	v_and_b32_e32 v26, v27, v26
	v_xor_b32_e32 v27, vcc_hi, v31
	v_xor_b32_e32 v31, vcc_lo, v31
	v_ashrrev_i32_e32 v32, 31, v33
	v_cmp_gt_i64_e32 vcc, 0, v[20:21]
	v_not_b32_e32 v33, v21
	v_lshlrev_b32_e32 v21, 26, v22
	v_and_b32_e32 v27, v30, v27
	v_and_b32_e32 v26, v26, v31
	v_xor_b32_e32 v30, s1, v32
	v_xor_b32_e32 v31, s0, v32
	v_ashrrev_i32_e32 v32, 31, v33
	v_cmp_gt_i64_e64 s[0:1], 0, v[20:21]
	v_not_b32_e32 v33, v21
	v_lshlrev_b32_e32 v21, 25, v22
	v_and_b32_e32 v27, v27, v30
	v_and_b32_e32 v26, v26, v31
	v_xor_b32_e32 v30, vcc_hi, v32
	v_xor_b32_e32 v31, vcc_lo, v32
	v_ashrrev_i32_e32 v32, 31, v33
	v_not_b32_e32 v33, v21
	v_mul_u32_u24_e32 v3, 5, v2
	v_lshl_add_u32 v25, v22, 4, v22
	v_cmp_gt_i64_e32 vcc, 0, v[20:21]
	v_lshlrev_b32_e32 v21, 24, v22
	v_and_b32_e32 v22, v27, v30
	v_and_b32_e32 v26, v26, v31
	v_xor_b32_e32 v27, s1, v32
	v_ashrrev_i32_e32 v31, 31, v33
	v_lshlrev_b32_e32 v3, 2, v3
	v_xor_b32_e32 v30, s0, v32
	v_cmp_gt_i64_e64 s[0:1], 0, v[20:21]
	v_not_b32_e32 v21, v21
	v_and_b32_e32 v22, v22, v27
	v_xor_b32_e32 v27, vcc_hi, v31
	v_and_b32_e32 v26, v26, v30
	v_xor_b32_e32 v30, vcc_lo, v31
	v_and_b32_e32 v31, v22, v27
	v_ashrrev_i32_e32 v21, 31, v21
	v_and_b32_e32 v26, v26, v30
	ds_write2_b32 v3, v20, v20 offset0:16 offset1:17
	ds_write2_b32 v3, v20, v20 offset0:18 offset1:19
	ds_write_b32 v3, v20 offset:80
	s_waitcnt lgkmcnt(0)
	s_barrier
	s_waitcnt lgkmcnt(0)
	; wave barrier
	s_waitcnt vmcnt(0)
	v_mad_u64_u32 v[22:23], s[2:3], v23, v24, v[2:3]
	v_lshrrev_b32_e32 v27, 6, v22
	v_xor_b32_e32 v22, s1, v21
	v_xor_b32_e32 v21, s0, v21
	v_and_b32_e32 v23, v31, v22
	v_and_b32_e32 v22, v26, v21
	v_mbcnt_lo_u32_b32 v21, v22, 0
	v_mbcnt_hi_u32_b32 v30, v23, v21
	v_cmp_eq_u32_e32 vcc, 0, v30
	v_cmp_ne_u64_e64 s[0:1], 0, v[22:23]
	v_add_lshl_u32 v24, v27, v25, 2
	s_and_b64 s[2:3], s[0:1], vcc
	s_and_saveexec_b64 s[0:1], s[2:3]
	s_cbranch_execz .LBB1103_19
; %bb.18:
	v_bcnt_u32_b32 v21, v22, 0
	v_bcnt_u32_b32 v21, v23, v21
	ds_write_b32 v24, v21 offset:64
.LBB1103_19:
	s_or_b64 exec, exec, s[0:1]
	v_xor_b32_e32 v7, 0x80000000, v7
	v_lshrrev_b64 v[22:23], s16, v[6:7]
	v_and_b32_e32 v22, s27, v22
	v_lshl_add_u32 v21, v22, 4, v22
	v_add_lshl_u32 v25, v27, v21, 2
	v_and_b32_e32 v21, 1, v22
	v_add_co_u32_e32 v23, vcc, -1, v21
	v_addc_co_u32_e64 v26, s[0:1], 0, -1, vcc
	v_cmp_ne_u32_e32 vcc, 0, v21
	v_xor_b32_e32 v21, vcc_hi, v26
	v_and_b32_e32 v26, exec_hi, v21
	v_lshlrev_b32_e32 v21, 30, v22
	v_xor_b32_e32 v23, vcc_lo, v23
	v_cmp_gt_i64_e32 vcc, 0, v[20:21]
	v_not_b32_e32 v21, v21
	v_ashrrev_i32_e32 v21, 31, v21
	v_and_b32_e32 v23, exec_lo, v23
	v_xor_b32_e32 v32, vcc_hi, v21
	v_xor_b32_e32 v21, vcc_lo, v21
	v_and_b32_e32 v23, v23, v21
	v_lshlrev_b32_e32 v21, 29, v22
	v_cmp_gt_i64_e32 vcc, 0, v[20:21]
	v_not_b32_e32 v21, v21
	v_ashrrev_i32_e32 v21, 31, v21
	v_and_b32_e32 v26, v26, v32
	v_xor_b32_e32 v32, vcc_hi, v21
	v_xor_b32_e32 v21, vcc_lo, v21
	v_and_b32_e32 v23, v23, v21
	v_lshlrev_b32_e32 v21, 28, v22
	v_cmp_gt_i64_e32 vcc, 0, v[20:21]
	v_not_b32_e32 v21, v21
	v_ashrrev_i32_e32 v21, 31, v21
	v_and_b32_e32 v26, v26, v32
	v_xor_b32_e32 v32, vcc_hi, v21
	v_xor_b32_e32 v21, vcc_lo, v21
	v_and_b32_e32 v23, v23, v21
	v_lshlrev_b32_e32 v21, 27, v22
	v_cmp_gt_i64_e32 vcc, 0, v[20:21]
	v_not_b32_e32 v21, v21
	v_ashrrev_i32_e32 v21, 31, v21
	v_and_b32_e32 v26, v26, v32
	v_xor_b32_e32 v32, vcc_hi, v21
	v_xor_b32_e32 v21, vcc_lo, v21
	v_and_b32_e32 v23, v23, v21
	v_lshlrev_b32_e32 v21, 26, v22
	v_cmp_gt_i64_e32 vcc, 0, v[20:21]
	v_not_b32_e32 v21, v21
	v_ashrrev_i32_e32 v21, 31, v21
	v_and_b32_e32 v26, v26, v32
	v_xor_b32_e32 v32, vcc_hi, v21
	v_xor_b32_e32 v21, vcc_lo, v21
	v_and_b32_e32 v23, v23, v21
	v_lshlrev_b32_e32 v21, 25, v22
	v_cmp_gt_i64_e32 vcc, 0, v[20:21]
	v_not_b32_e32 v21, v21
	v_ashrrev_i32_e32 v21, 31, v21
	v_and_b32_e32 v26, v26, v32
	v_xor_b32_e32 v32, vcc_hi, v21
	v_xor_b32_e32 v21, vcc_lo, v21
	v_and_b32_e32 v23, v23, v21
	v_lshlrev_b32_e32 v21, 24, v22
	v_cmp_gt_i64_e32 vcc, 0, v[20:21]
	v_not_b32_e32 v20, v21
	v_ashrrev_i32_e32 v20, 31, v20
	v_xor_b32_e32 v21, vcc_hi, v20
	v_xor_b32_e32 v20, vcc_lo, v20
	; wave barrier
	ds_read_b32 v31, v25 offset:64
	v_and_b32_e32 v26, v26, v32
	v_and_b32_e32 v20, v23, v20
	;; [unrolled: 1-line block ×3, first 2 shown]
	v_mbcnt_lo_u32_b32 v22, v20, 0
	v_mbcnt_hi_u32_b32 v32, v21, v22
	v_cmp_eq_u32_e32 vcc, 0, v32
	v_cmp_ne_u64_e64 s[0:1], 0, v[20:21]
	s_and_b64 s[2:3], s[0:1], vcc
	; wave barrier
	s_and_saveexec_b64 s[0:1], s[2:3]
	s_cbranch_execz .LBB1103_21
; %bb.20:
	v_bcnt_u32_b32 v20, v20, 0
	v_bcnt_u32_b32 v20, v21, v20
	s_waitcnt lgkmcnt(0)
	v_add_u32_e32 v20, v31, v20
	ds_write_b32 v25, v20 offset:64
.LBB1103_21:
	s_or_b64 exec, exec, s[0:1]
	v_xor_b32_e32 v9, 0x80000000, v9
	v_lshrrev_b64 v[20:21], s16, v[8:9]
	v_and_b32_e32 v22, s27, v20
	v_and_b32_e32 v21, 1, v22
	v_add_co_u32_e32 v23, vcc, -1, v21
	v_addc_co_u32_e64 v34, s[0:1], 0, -1, vcc
	v_cmp_ne_u32_e32 vcc, 0, v21
	v_lshl_add_u32 v20, v22, 4, v22
	v_xor_b32_e32 v21, vcc_hi, v34
	v_add_lshl_u32 v26, v27, v20, 2
	v_mov_b32_e32 v20, 0
	v_and_b32_e32 v34, exec_hi, v21
	v_lshlrev_b32_e32 v21, 30, v22
	v_xor_b32_e32 v23, vcc_lo, v23
	v_cmp_gt_i64_e32 vcc, 0, v[20:21]
	v_not_b32_e32 v21, v21
	v_ashrrev_i32_e32 v21, 31, v21
	v_and_b32_e32 v23, exec_lo, v23
	v_xor_b32_e32 v35, vcc_hi, v21
	v_xor_b32_e32 v21, vcc_lo, v21
	v_and_b32_e32 v23, v23, v21
	v_lshlrev_b32_e32 v21, 29, v22
	v_cmp_gt_i64_e32 vcc, 0, v[20:21]
	v_not_b32_e32 v21, v21
	v_ashrrev_i32_e32 v21, 31, v21
	v_and_b32_e32 v34, v34, v35
	v_xor_b32_e32 v35, vcc_hi, v21
	v_xor_b32_e32 v21, vcc_lo, v21
	v_and_b32_e32 v23, v23, v21
	v_lshlrev_b32_e32 v21, 28, v22
	v_cmp_gt_i64_e32 vcc, 0, v[20:21]
	v_not_b32_e32 v21, v21
	v_ashrrev_i32_e32 v21, 31, v21
	v_and_b32_e32 v34, v34, v35
	;; [unrolled: 8-line block ×5, first 2 shown]
	v_xor_b32_e32 v35, vcc_hi, v21
	v_xor_b32_e32 v21, vcc_lo, v21
	v_and_b32_e32 v34, v34, v35
	v_and_b32_e32 v35, v23, v21
	v_lshlrev_b32_e32 v21, 24, v22
	v_cmp_gt_i64_e32 vcc, 0, v[20:21]
	v_not_b32_e32 v21, v21
	v_ashrrev_i32_e32 v21, 31, v21
	v_xor_b32_e32 v22, vcc_hi, v21
	v_xor_b32_e32 v21, vcc_lo, v21
	; wave barrier
	ds_read_b32 v33, v26 offset:64
	v_and_b32_e32 v23, v34, v22
	v_and_b32_e32 v22, v35, v21
	v_mbcnt_lo_u32_b32 v21, v22, 0
	v_mbcnt_hi_u32_b32 v34, v23, v21
	v_cmp_eq_u32_e32 vcc, 0, v34
	v_cmp_ne_u64_e64 s[0:1], 0, v[22:23]
	s_and_b64 s[2:3], s[0:1], vcc
	; wave barrier
	s_and_saveexec_b64 s[0:1], s[2:3]
	s_cbranch_execz .LBB1103_23
; %bb.22:
	v_bcnt_u32_b32 v21, v22, 0
	v_bcnt_u32_b32 v21, v23, v21
	s_waitcnt lgkmcnt(0)
	v_add_u32_e32 v21, v33, v21
	ds_write_b32 v26, v21 offset:64
.LBB1103_23:
	s_or_b64 exec, exec, s[0:1]
	v_xor_b32_e32 v11, 0x80000000, v11
	v_lshrrev_b64 v[22:23], s16, v[10:11]
	v_and_b32_e32 v22, s27, v22
	v_lshl_add_u32 v21, v22, 4, v22
	v_add_lshl_u32 v38, v27, v21, 2
	v_and_b32_e32 v21, 1, v22
	v_add_co_u32_e32 v23, vcc, -1, v21
	v_addc_co_u32_e64 v36, s[0:1], 0, -1, vcc
	v_cmp_ne_u32_e32 vcc, 0, v21
	v_xor_b32_e32 v21, vcc_hi, v36
	v_and_b32_e32 v36, exec_hi, v21
	v_lshlrev_b32_e32 v21, 30, v22
	v_xor_b32_e32 v23, vcc_lo, v23
	v_cmp_gt_i64_e32 vcc, 0, v[20:21]
	v_not_b32_e32 v21, v21
	v_ashrrev_i32_e32 v21, 31, v21
	v_and_b32_e32 v23, exec_lo, v23
	v_xor_b32_e32 v37, vcc_hi, v21
	v_xor_b32_e32 v21, vcc_lo, v21
	v_and_b32_e32 v23, v23, v21
	v_lshlrev_b32_e32 v21, 29, v22
	v_cmp_gt_i64_e32 vcc, 0, v[20:21]
	v_not_b32_e32 v21, v21
	v_ashrrev_i32_e32 v21, 31, v21
	v_and_b32_e32 v36, v36, v37
	v_xor_b32_e32 v37, vcc_hi, v21
	v_xor_b32_e32 v21, vcc_lo, v21
	v_and_b32_e32 v23, v23, v21
	v_lshlrev_b32_e32 v21, 28, v22
	v_cmp_gt_i64_e32 vcc, 0, v[20:21]
	v_not_b32_e32 v21, v21
	v_ashrrev_i32_e32 v21, 31, v21
	v_and_b32_e32 v36, v36, v37
	;; [unrolled: 8-line block ×5, first 2 shown]
	v_xor_b32_e32 v37, vcc_hi, v21
	v_xor_b32_e32 v21, vcc_lo, v21
	v_and_b32_e32 v23, v23, v21
	v_lshlrev_b32_e32 v21, 24, v22
	v_cmp_gt_i64_e32 vcc, 0, v[20:21]
	v_not_b32_e32 v20, v21
	v_ashrrev_i32_e32 v20, 31, v20
	v_xor_b32_e32 v21, vcc_hi, v20
	v_xor_b32_e32 v20, vcc_lo, v20
	; wave barrier
	ds_read_b32 v35, v38 offset:64
	v_and_b32_e32 v36, v36, v37
	v_and_b32_e32 v20, v23, v20
	;; [unrolled: 1-line block ×3, first 2 shown]
	v_mbcnt_lo_u32_b32 v22, v20, 0
	v_mbcnt_hi_u32_b32 v36, v21, v22
	v_cmp_eq_u32_e32 vcc, 0, v36
	v_cmp_ne_u64_e64 s[0:1], 0, v[20:21]
	s_and_b64 s[2:3], s[0:1], vcc
	; wave barrier
	s_and_saveexec_b64 s[0:1], s[2:3]
	s_cbranch_execz .LBB1103_25
; %bb.24:
	v_bcnt_u32_b32 v20, v20, 0
	v_bcnt_u32_b32 v20, v21, v20
	s_waitcnt lgkmcnt(0)
	v_add_u32_e32 v20, v35, v20
	ds_write_b32 v38, v20 offset:64
.LBB1103_25:
	s_or_b64 exec, exec, s[0:1]
	v_xor_b32_e32 v13, 0x80000000, v13
	v_lshrrev_b64 v[20:21], s16, v[12:13]
	v_and_b32_e32 v22, s27, v20
	v_and_b32_e32 v21, 1, v22
	v_add_co_u32_e32 v23, vcc, -1, v21
	v_addc_co_u32_e64 v39, s[0:1], 0, -1, vcc
	v_cmp_ne_u32_e32 vcc, 0, v21
	v_lshl_add_u32 v20, v22, 4, v22
	v_xor_b32_e32 v21, vcc_hi, v39
	v_add_lshl_u32 v42, v27, v20, 2
	v_mov_b32_e32 v20, 0
	v_and_b32_e32 v39, exec_hi, v21
	v_lshlrev_b32_e32 v21, 30, v22
	v_xor_b32_e32 v23, vcc_lo, v23
	v_cmp_gt_i64_e32 vcc, 0, v[20:21]
	v_not_b32_e32 v21, v21
	v_ashrrev_i32_e32 v21, 31, v21
	v_and_b32_e32 v23, exec_lo, v23
	v_xor_b32_e32 v40, vcc_hi, v21
	v_xor_b32_e32 v21, vcc_lo, v21
	v_and_b32_e32 v23, v23, v21
	v_lshlrev_b32_e32 v21, 29, v22
	v_cmp_gt_i64_e32 vcc, 0, v[20:21]
	v_not_b32_e32 v21, v21
	v_ashrrev_i32_e32 v21, 31, v21
	v_and_b32_e32 v39, v39, v40
	v_xor_b32_e32 v40, vcc_hi, v21
	v_xor_b32_e32 v21, vcc_lo, v21
	v_and_b32_e32 v23, v23, v21
	v_lshlrev_b32_e32 v21, 28, v22
	v_cmp_gt_i64_e32 vcc, 0, v[20:21]
	v_not_b32_e32 v21, v21
	v_ashrrev_i32_e32 v21, 31, v21
	v_and_b32_e32 v39, v39, v40
	;; [unrolled: 8-line block ×5, first 2 shown]
	v_xor_b32_e32 v40, vcc_hi, v21
	v_xor_b32_e32 v21, vcc_lo, v21
	v_and_b32_e32 v39, v39, v40
	v_and_b32_e32 v40, v23, v21
	v_lshlrev_b32_e32 v21, 24, v22
	v_cmp_gt_i64_e32 vcc, 0, v[20:21]
	v_not_b32_e32 v21, v21
	v_ashrrev_i32_e32 v21, 31, v21
	v_xor_b32_e32 v22, vcc_hi, v21
	v_xor_b32_e32 v21, vcc_lo, v21
	; wave barrier
	ds_read_b32 v37, v42 offset:64
	v_and_b32_e32 v23, v39, v22
	v_and_b32_e32 v22, v40, v21
	v_mbcnt_lo_u32_b32 v21, v22, 0
	v_mbcnt_hi_u32_b32 v39, v23, v21
	v_cmp_eq_u32_e32 vcc, 0, v39
	v_cmp_ne_u64_e64 s[0:1], 0, v[22:23]
	s_and_b64 s[2:3], s[0:1], vcc
	; wave barrier
	s_and_saveexec_b64 s[0:1], s[2:3]
	s_cbranch_execz .LBB1103_27
; %bb.26:
	v_bcnt_u32_b32 v21, v22, 0
	v_bcnt_u32_b32 v21, v23, v21
	s_waitcnt lgkmcnt(0)
	v_add_u32_e32 v21, v37, v21
	ds_write_b32 v42, v21 offset:64
.LBB1103_27:
	s_or_b64 exec, exec, s[0:1]
	v_xor_b32_e32 v15, 0x80000000, v15
	v_lshrrev_b64 v[22:23], s16, v[14:15]
	v_and_b32_e32 v22, s27, v22
	v_lshl_add_u32 v21, v22, 4, v22
	v_add_lshl_u32 v45, v27, v21, 2
	v_and_b32_e32 v21, 1, v22
	v_add_co_u32_e32 v23, vcc, -1, v21
	v_addc_co_u32_e64 v41, s[0:1], 0, -1, vcc
	v_cmp_ne_u32_e32 vcc, 0, v21
	v_xor_b32_e32 v21, vcc_hi, v41
	v_and_b32_e32 v41, exec_hi, v21
	v_lshlrev_b32_e32 v21, 30, v22
	v_xor_b32_e32 v23, vcc_lo, v23
	v_cmp_gt_i64_e32 vcc, 0, v[20:21]
	v_not_b32_e32 v21, v21
	v_ashrrev_i32_e32 v21, 31, v21
	v_and_b32_e32 v23, exec_lo, v23
	v_xor_b32_e32 v43, vcc_hi, v21
	v_xor_b32_e32 v21, vcc_lo, v21
	v_and_b32_e32 v23, v23, v21
	v_lshlrev_b32_e32 v21, 29, v22
	v_cmp_gt_i64_e32 vcc, 0, v[20:21]
	v_not_b32_e32 v21, v21
	v_ashrrev_i32_e32 v21, 31, v21
	v_and_b32_e32 v41, v41, v43
	v_xor_b32_e32 v43, vcc_hi, v21
	v_xor_b32_e32 v21, vcc_lo, v21
	v_and_b32_e32 v23, v23, v21
	v_lshlrev_b32_e32 v21, 28, v22
	v_cmp_gt_i64_e32 vcc, 0, v[20:21]
	v_not_b32_e32 v21, v21
	v_ashrrev_i32_e32 v21, 31, v21
	v_and_b32_e32 v41, v41, v43
	;; [unrolled: 8-line block ×5, first 2 shown]
	v_xor_b32_e32 v43, vcc_hi, v21
	v_xor_b32_e32 v21, vcc_lo, v21
	v_and_b32_e32 v23, v23, v21
	v_lshlrev_b32_e32 v21, 24, v22
	v_cmp_gt_i64_e32 vcc, 0, v[20:21]
	v_not_b32_e32 v20, v21
	v_ashrrev_i32_e32 v20, 31, v20
	v_xor_b32_e32 v21, vcc_hi, v20
	v_xor_b32_e32 v20, vcc_lo, v20
	; wave barrier
	ds_read_b32 v40, v45 offset:64
	v_and_b32_e32 v41, v41, v43
	v_and_b32_e32 v20, v23, v20
	;; [unrolled: 1-line block ×3, first 2 shown]
	v_mbcnt_lo_u32_b32 v22, v20, 0
	v_mbcnt_hi_u32_b32 v41, v21, v22
	v_cmp_eq_u32_e32 vcc, 0, v41
	v_cmp_ne_u64_e64 s[0:1], 0, v[20:21]
	s_and_b64 s[2:3], s[0:1], vcc
	; wave barrier
	s_and_saveexec_b64 s[0:1], s[2:3]
	s_cbranch_execz .LBB1103_29
; %bb.28:
	v_bcnt_u32_b32 v20, v20, 0
	v_bcnt_u32_b32 v20, v21, v20
	s_waitcnt lgkmcnt(0)
	v_add_u32_e32 v20, v40, v20
	ds_write_b32 v45, v20 offset:64
.LBB1103_29:
	s_or_b64 exec, exec, s[0:1]
	v_xor_b32_e32 v17, 0x80000000, v17
	v_lshrrev_b64 v[20:21], s16, v[16:17]
	v_and_b32_e32 v22, s27, v20
	v_and_b32_e32 v21, 1, v22
	v_add_co_u32_e32 v23, vcc, -1, v21
	v_addc_co_u32_e64 v44, s[0:1], 0, -1, vcc
	v_cmp_ne_u32_e32 vcc, 0, v21
	v_lshl_add_u32 v20, v22, 4, v22
	v_xor_b32_e32 v21, vcc_hi, v44
	v_add_lshl_u32 v47, v27, v20, 2
	v_mov_b32_e32 v20, 0
	v_and_b32_e32 v44, exec_hi, v21
	v_lshlrev_b32_e32 v21, 30, v22
	v_xor_b32_e32 v23, vcc_lo, v23
	v_cmp_gt_i64_e32 vcc, 0, v[20:21]
	v_not_b32_e32 v21, v21
	v_ashrrev_i32_e32 v21, 31, v21
	v_and_b32_e32 v23, exec_lo, v23
	v_xor_b32_e32 v46, vcc_hi, v21
	v_xor_b32_e32 v21, vcc_lo, v21
	v_and_b32_e32 v23, v23, v21
	v_lshlrev_b32_e32 v21, 29, v22
	v_cmp_gt_i64_e32 vcc, 0, v[20:21]
	v_not_b32_e32 v21, v21
	v_ashrrev_i32_e32 v21, 31, v21
	v_and_b32_e32 v44, v44, v46
	v_xor_b32_e32 v46, vcc_hi, v21
	v_xor_b32_e32 v21, vcc_lo, v21
	v_and_b32_e32 v23, v23, v21
	v_lshlrev_b32_e32 v21, 28, v22
	v_cmp_gt_i64_e32 vcc, 0, v[20:21]
	v_not_b32_e32 v21, v21
	v_ashrrev_i32_e32 v21, 31, v21
	v_and_b32_e32 v44, v44, v46
	;; [unrolled: 8-line block ×5, first 2 shown]
	v_xor_b32_e32 v46, vcc_hi, v21
	v_xor_b32_e32 v21, vcc_lo, v21
	v_and_b32_e32 v44, v44, v46
	v_and_b32_e32 v46, v23, v21
	v_lshlrev_b32_e32 v21, 24, v22
	v_cmp_gt_i64_e32 vcc, 0, v[20:21]
	v_not_b32_e32 v21, v21
	v_ashrrev_i32_e32 v21, 31, v21
	v_xor_b32_e32 v22, vcc_hi, v21
	v_xor_b32_e32 v21, vcc_lo, v21
	; wave barrier
	ds_read_b32 v43, v47 offset:64
	v_and_b32_e32 v23, v44, v22
	v_and_b32_e32 v22, v46, v21
	v_mbcnt_lo_u32_b32 v21, v22, 0
	v_mbcnt_hi_u32_b32 v44, v23, v21
	v_cmp_eq_u32_e32 vcc, 0, v44
	v_cmp_ne_u64_e64 s[0:1], 0, v[22:23]
	s_and_b64 s[2:3], s[0:1], vcc
	; wave barrier
	s_and_saveexec_b64 s[0:1], s[2:3]
	s_cbranch_execz .LBB1103_31
; %bb.30:
	v_bcnt_u32_b32 v21, v22, 0
	v_bcnt_u32_b32 v21, v23, v21
	s_waitcnt lgkmcnt(0)
	v_add_u32_e32 v21, v43, v21
	ds_write_b32 v47, v21 offset:64
.LBB1103_31:
	s_or_b64 exec, exec, s[0:1]
	v_xor_b32_e32 v19, 0x80000000, v19
	v_lshrrev_b64 v[22:23], s16, v[18:19]
	v_and_b32_e32 v22, s27, v22
	v_lshl_add_u32 v21, v22, 4, v22
	v_add_lshl_u32 v27, v27, v21, 2
	v_and_b32_e32 v21, 1, v22
	v_add_co_u32_e32 v23, vcc, -1, v21
	v_addc_co_u32_e64 v48, s[0:1], 0, -1, vcc
	v_cmp_ne_u32_e32 vcc, 0, v21
	v_xor_b32_e32 v21, vcc_hi, v48
	v_and_b32_e32 v48, exec_hi, v21
	v_lshlrev_b32_e32 v21, 30, v22
	v_xor_b32_e32 v23, vcc_lo, v23
	v_cmp_gt_i64_e32 vcc, 0, v[20:21]
	v_not_b32_e32 v21, v21
	v_ashrrev_i32_e32 v21, 31, v21
	v_and_b32_e32 v23, exec_lo, v23
	v_xor_b32_e32 v50, vcc_hi, v21
	v_xor_b32_e32 v21, vcc_lo, v21
	v_and_b32_e32 v23, v23, v21
	v_lshlrev_b32_e32 v21, 29, v22
	v_cmp_gt_i64_e32 vcc, 0, v[20:21]
	v_not_b32_e32 v21, v21
	v_ashrrev_i32_e32 v21, 31, v21
	v_and_b32_e32 v48, v48, v50
	v_xor_b32_e32 v50, vcc_hi, v21
	v_xor_b32_e32 v21, vcc_lo, v21
	v_and_b32_e32 v23, v23, v21
	v_lshlrev_b32_e32 v21, 28, v22
	v_cmp_gt_i64_e32 vcc, 0, v[20:21]
	v_not_b32_e32 v21, v21
	v_ashrrev_i32_e32 v21, 31, v21
	v_and_b32_e32 v48, v48, v50
	;; [unrolled: 8-line block ×5, first 2 shown]
	v_xor_b32_e32 v50, vcc_hi, v21
	v_xor_b32_e32 v21, vcc_lo, v21
	v_and_b32_e32 v23, v23, v21
	v_lshlrev_b32_e32 v21, 24, v22
	v_cmp_gt_i64_e32 vcc, 0, v[20:21]
	v_not_b32_e32 v20, v21
	v_ashrrev_i32_e32 v20, 31, v20
	v_xor_b32_e32 v21, vcc_hi, v20
	v_xor_b32_e32 v20, vcc_lo, v20
	; wave barrier
	ds_read_b32 v46, v27 offset:64
	v_and_b32_e32 v48, v48, v50
	v_and_b32_e32 v20, v23, v20
	v_and_b32_e32 v21, v48, v21
	v_mbcnt_lo_u32_b32 v22, v20, 0
	v_mbcnt_hi_u32_b32 v48, v21, v22
	v_cmp_eq_u32_e32 vcc, 0, v48
	v_cmp_ne_u64_e64 s[0:1], 0, v[20:21]
	v_add_u32_e32 v49, 64, v3
	s_and_b64 s[2:3], s[0:1], vcc
	; wave barrier
	s_and_saveexec_b64 s[0:1], s[2:3]
	s_cbranch_execz .LBB1103_33
; %bb.32:
	v_bcnt_u32_b32 v20, v20, 0
	v_bcnt_u32_b32 v20, v21, v20
	s_waitcnt lgkmcnt(0)
	v_add_u32_e32 v20, v46, v20
	ds_write_b32 v27, v20 offset:64
.LBB1103_33:
	s_or_b64 exec, exec, s[0:1]
	; wave barrier
	s_waitcnt lgkmcnt(0)
	s_barrier
	ds_read2_b32 v[22:23], v3 offset0:16 offset1:17
	ds_read2_b32 v[20:21], v49 offset0:2 offset1:3
	ds_read_b32 v50, v49 offset:16
	v_cmp_lt_u32_e64 s[10:11], 31, v1
	s_waitcnt lgkmcnt(1)
	v_add3_u32 v51, v23, v22, v20
	s_waitcnt lgkmcnt(0)
	v_add3_u32 v50, v51, v21, v50
	v_and_b32_e32 v51, 15, v1
	v_cmp_eq_u32_e32 vcc, 0, v51
	v_mov_b32_dpp v52, v50 row_shr:1 row_mask:0xf bank_mask:0xf
	v_cndmask_b32_e64 v52, v52, 0, vcc
	v_add_u32_e32 v50, v52, v50
	v_cmp_lt_u32_e64 s[0:1], 1, v51
	v_cmp_lt_u32_e64 s[2:3], 3, v51
	v_mov_b32_dpp v52, v50 row_shr:2 row_mask:0xf bank_mask:0xf
	v_cndmask_b32_e64 v52, 0, v52, s[0:1]
	v_add_u32_e32 v50, v50, v52
	v_cmp_lt_u32_e64 s[8:9], 7, v51
	s_nop 0
	v_mov_b32_dpp v52, v50 row_shr:4 row_mask:0xf bank_mask:0xf
	v_cndmask_b32_e64 v52, 0, v52, s[2:3]
	v_add_u32_e32 v50, v50, v52
	s_nop 1
	v_mov_b32_dpp v52, v50 row_shr:8 row_mask:0xf bank_mask:0xf
	v_cndmask_b32_e64 v51, 0, v52, s[8:9]
	v_add_u32_e32 v50, v50, v51
	v_bfe_i32 v52, v1, 4, 1
	s_nop 0
	v_mov_b32_dpp v51, v50 row_bcast:15 row_mask:0xf bank_mask:0xf
	v_and_b32_e32 v51, v52, v51
	v_add_u32_e32 v50, v50, v51
	v_and_b32_e32 v52, 63, v2
	s_nop 0
	v_mov_b32_dpp v51, v50 row_bcast:31 row_mask:0xf bank_mask:0xf
	v_cndmask_b32_e64 v51, 0, v51, s[10:11]
	v_add_u32_e32 v50, v50, v51
	v_lshrrev_b32_e32 v51, 6, v2
	v_cmp_eq_u32_e64 s[10:11], 63, v52
	s_and_saveexec_b64 s[18:19], s[10:11]
	s_cbranch_execz .LBB1103_35
; %bb.34:
	v_lshlrev_b32_e32 v52, 2, v51
	ds_write_b32 v52, v50
.LBB1103_35:
	s_or_b64 exec, exec, s[18:19]
	v_cmp_gt_u32_e64 s[10:11], 16, v2
	s_waitcnt lgkmcnt(0)
	s_barrier
	s_and_saveexec_b64 s[18:19], s[10:11]
	s_cbranch_execz .LBB1103_37
; %bb.36:
	v_lshlrev_b32_e32 v52, 2, v2
	ds_read_b32 v53, v52
	s_waitcnt lgkmcnt(0)
	s_nop 0
	v_mov_b32_dpp v54, v53 row_shr:1 row_mask:0xf bank_mask:0xf
	v_cndmask_b32_e64 v54, v54, 0, vcc
	v_add_u32_e32 v53, v54, v53
	s_nop 1
	v_mov_b32_dpp v54, v53 row_shr:2 row_mask:0xf bank_mask:0xf
	v_cndmask_b32_e64 v54, 0, v54, s[0:1]
	v_add_u32_e32 v53, v53, v54
	s_nop 1
	v_mov_b32_dpp v54, v53 row_shr:4 row_mask:0xf bank_mask:0xf
	v_cndmask_b32_e64 v54, 0, v54, s[2:3]
	;; [unrolled: 4-line block ×3, first 2 shown]
	v_add_u32_e32 v53, v53, v54
	ds_write_b32 v52, v53
.LBB1103_37:
	s_or_b64 exec, exec, s[18:19]
	v_cmp_lt_u32_e32 vcc, 63, v2
	v_mov_b32_e32 v52, 0
	s_waitcnt lgkmcnt(0)
	s_barrier
	s_and_saveexec_b64 s[0:1], vcc
	s_cbranch_execz .LBB1103_39
; %bb.38:
	v_lshl_add_u32 v51, v51, 2, -4
	ds_read_b32 v52, v51
.LBB1103_39:
	s_or_b64 exec, exec, s[0:1]
	v_add_u32_e32 v51, -1, v1
	v_and_b32_e32 v53, 64, v1
	v_cmp_lt_i32_e32 vcc, v51, v53
	v_cndmask_b32_e32 v51, v51, v1, vcc
	s_waitcnt lgkmcnt(0)
	v_add_u32_e32 v50, v52, v50
	v_lshlrev_b32_e32 v51, 2, v51
	ds_bpermute_b32 v50, v51, v50
	v_cmp_eq_u32_e32 vcc, 0, v1
	s_movk_i32 s2, 0xff
	s_movk_i32 s0, 0x100
	v_cmp_gt_u32_e64 s[0:1], s0, v2
	s_waitcnt lgkmcnt(0)
	v_cndmask_b32_e32 v1, v50, v52, vcc
	v_cmp_ne_u32_e32 vcc, 0, v2
	v_cndmask_b32_e32 v1, 0, v1, vcc
	v_add_u32_e32 v22, v1, v22
	v_add_u32_e32 v23, v22, v23
	;; [unrolled: 1-line block ×4, first 2 shown]
	ds_write2_b32 v3, v1, v22 offset0:16 offset1:17
	ds_write2_b32 v49, v23, v20 offset0:2 offset1:3
	ds_write_b32 v49, v21 offset:16
	s_waitcnt lgkmcnt(0)
	s_barrier
	ds_read_b32 v51, v24 offset:64
	ds_read_b32 v1, v25 offset:64
	;; [unrolled: 1-line block ×8, first 2 shown]
	v_cmp_lt_u32_e32 vcc, s2, v2
	v_pk_mov_b32 v[20:21], 0, 0
                                        ; implicit-def: $vgpr38
	s_and_saveexec_b64 s[8:9], s[0:1]
	s_cbranch_execz .LBB1103_43
; %bb.40:
	v_mul_u32_u24_e32 v3, 17, v2
	v_lshlrev_b32_e32 v21, 2, v3
	ds_read_b32 v20, v21 offset:64
	v_cmp_ne_u32_e64 s[2:3], s2, v2
	v_mov_b32_e32 v3, 0x2000
	s_and_saveexec_b64 s[10:11], s[2:3]
	s_cbranch_execz .LBB1103_42
; %bb.41:
	ds_read_b32 v3, v21 offset:132
.LBB1103_42:
	s_or_b64 exec, exec, s[10:11]
	s_waitcnt lgkmcnt(0)
	v_sub_u32_e32 v38, v3, v20
	v_mov_b32_e32 v21, 0
.LBB1103_43:
	s_or_b64 exec, exec, s[8:9]
	s_waitcnt lgkmcnt(0)
	s_barrier
	s_and_saveexec_b64 s[2:3], vcc
	s_xor_b64 s[2:3], exec, s[2:3]
; %bb.44:
	v_mov_b32_e32 v3, 0
; %bb.45:
	s_andn2_saveexec_b64 s[2:3], s[2:3]
	s_cbranch_execz .LBB1103_55
; %bb.46:
	v_lshl_or_b32 v22, s6, 8, v2
	v_mov_b32_e32 v23, 0
	v_lshlrev_b64 v[24:25], 2, v[22:23]
	v_mov_b32_e32 v3, s25
	v_add_co_u32_e32 v24, vcc, s24, v24
	v_addc_co_u32_e32 v25, vcc, v3, v25, vcc
	v_or_b32_e32 v22, 2.0, v38
	s_mov_b64 s[8:9], 0
	s_brev_b32 s28, 1
	s_mov_b32 s29, s6
	v_mov_b32_e32 v53, 0
	global_store_dword v[24:25], v22, off
                                        ; implicit-def: $sgpr10_sgpr11
	s_branch .LBB1103_48
.LBB1103_47:                            ;   in Loop: Header=BB1103_48 Depth=1
	s_or_b64 exec, exec, s[10:11]
	v_and_b32_e32 v26, 0x3fffffff, v54
	v_add_u32_e32 v53, v26, v53
	v_cmp_eq_u32_e64 s[10:11], s28, v22
	s_and_b64 s[18:19], exec, s[10:11]
	s_or_b64 s[8:9], s[18:19], s[8:9]
	s_andn2_b64 exec, exec, s[8:9]
	s_cbranch_execz .LBB1103_54
.LBB1103_48:                            ; =>This Loop Header: Depth=1
                                        ;     Child Loop BB1103_51 Depth 2
	s_or_b64 s[10:11], s[10:11], exec
	s_cmp_eq_u32 s29, 0
	s_cbranch_scc1 .LBB1103_53
; %bb.49:                               ;   in Loop: Header=BB1103_48 Depth=1
	s_add_i32 s29, s29, -1
	v_lshl_or_b32 v22, s29, 8, v2
	v_lshlrev_b64 v[26:27], 2, v[22:23]
	v_add_co_u32_e32 v26, vcc, s24, v26
	v_addc_co_u32_e32 v27, vcc, v3, v27, vcc
	global_load_dword v54, v[26:27], off glc
	s_waitcnt vmcnt(0)
	v_and_b32_e32 v22, -2.0, v54
	v_cmp_eq_u32_e32 vcc, 0, v22
	s_and_saveexec_b64 s[10:11], vcc
	s_cbranch_execz .LBB1103_47
; %bb.50:                               ;   in Loop: Header=BB1103_48 Depth=1
	s_mov_b64 s[18:19], 0
.LBB1103_51:                            ;   Parent Loop BB1103_48 Depth=1
                                        ; =>  This Inner Loop Header: Depth=2
	global_load_dword v54, v[26:27], off glc
	s_waitcnt vmcnt(0)
	v_and_b32_e32 v22, -2.0, v54
	v_cmp_ne_u32_e32 vcc, 0, v22
	s_or_b64 s[18:19], vcc, s[18:19]
	s_andn2_b64 exec, exec, s[18:19]
	s_cbranch_execnz .LBB1103_51
; %bb.52:                               ;   in Loop: Header=BB1103_48 Depth=1
	s_or_b64 exec, exec, s[18:19]
	s_branch .LBB1103_47
.LBB1103_53:                            ;   in Loop: Header=BB1103_48 Depth=1
                                        ; implicit-def: $sgpr29
	s_and_b64 s[18:19], exec, s[10:11]
	s_or_b64 s[8:9], s[18:19], s[8:9]
	s_andn2_b64 exec, exec, s[8:9]
	s_cbranch_execnz .LBB1103_48
.LBB1103_54:
	s_or_b64 exec, exec, s[8:9]
	v_add_u32_e32 v3, v53, v38
	v_or_b32_e32 v3, 0x80000000, v3
	global_store_dword v[24:25], v3, off
	global_load_dwordx2 v[22:23], v29, s[12:13]
	v_sub_co_u32_e32 v24, vcc, v53, v20
	v_subb_co_u32_e32 v25, vcc, 0, v21, vcc
	v_mov_b32_e32 v3, 0
	s_waitcnt vmcnt(0)
	v_add_co_u32_e32 v22, vcc, v24, v22
	v_addc_co_u32_e32 v23, vcc, v25, v23, vcc
	ds_write_b64 v29, v[22:23]
.LBB1103_55:
	s_or_b64 exec, exec, s[2:3]
	v_add_u32_e32 v23, v51, v30
	v_add3_u32 v30, v39, v42, v37
	v_add3_u32 v35, v36, v50, v35
	v_lshlrev_b64 v[36:37], 3, v[2:3]
	v_add3_u32 v31, v32, v1, v31
	v_mov_b32_e32 v1, s23
	v_add_co_u32_e32 v22, vcc, s22, v36
	v_add_u32_e32 v24, 0x800, v29
	v_add3_u32 v25, v48, v52, v46
	v_add3_u32 v26, v44, v47, v43
	;; [unrolled: 1-line block ×4, first 2 shown]
	v_addc_co_u32_e32 v1, vcc, v1, v37, vcc
	s_mov_b32 s8, 0
	v_mov_b32_e32 v32, v2
	s_branch .LBB1103_57
.LBB1103_56:                            ;   in Loop: Header=BB1103_57 Depth=1
	s_or_b64 exec, exec, s[2:3]
	s_addk_i32 s8, 0xf800
	v_add_co_u32_e32 v22, vcc, 0x4000, v22
	v_addc_co_u32_e32 v1, vcc, 0, v1, vcc
	s_cmpk_eq_i32 s8, 0xe000
	v_add_u32_e32 v32, 0x800, v32
	s_barrier
	s_cbranch_scc1 .LBB1103_62
.LBB1103_57:                            ; =>This Inner Loop Header: Depth=1
	v_add_u32_e32 v34, s8, v23
	v_min_u32_e32 v34, 0x800, v34
	v_lshlrev_b32_e32 v34, 3, v34
	ds_write_b64 v34, v[4:5] offset:2048
	v_add_u32_e32 v34, s8, v31
	v_min_u32_e32 v34, 0x800, v34
	v_lshlrev_b32_e32 v34, 3, v34
	ds_write_b64 v34, v[6:7] offset:2048
	;; [unrolled: 4-line block ×7, first 2 shown]
	v_add_u32_e32 v34, s8, v25
	v_min_u32_e32 v34, 0x800, v34
	v_lshlrev_b32_e32 v34, 3, v34
	v_cmp_gt_u32_e32 vcc, s7, v32
	ds_write_b64 v34, v[18:19] offset:2048
	s_waitcnt lgkmcnt(0)
	s_barrier
	s_and_saveexec_b64 s[2:3], vcc
	s_cbranch_execz .LBB1103_59
; %bb.58:                               ;   in Loop: Header=BB1103_57 Depth=1
	ds_read_b64 v[36:37], v29 offset:2048
	s_waitcnt lgkmcnt(0)
	v_lshrrev_b64 v[40:41], s16, v[36:37]
	v_and_b32_e32 v34, s27, v40
	v_lshlrev_b32_e32 v34, 3, v34
	ds_read_b64 v[40:41], v34
	v_xor_b32_e32 v37, 0x80000000, v37
	s_waitcnt lgkmcnt(0)
	v_lshlrev_b64 v[40:41], 3, v[40:41]
	v_add_co_u32_e32 v40, vcc, v22, v40
	v_addc_co_u32_e32 v41, vcc, v1, v41, vcc
	global_store_dwordx2 v[40:41], v[36:37], off
.LBB1103_59:                            ;   in Loop: Header=BB1103_57 Depth=1
	s_or_b64 exec, exec, s[2:3]
	v_add_u32_e32 v34, 0x400, v32
	v_cmp_gt_u32_e32 vcc, s7, v34
	s_and_saveexec_b64 s[2:3], vcc
	s_cbranch_execz .LBB1103_56
; %bb.60:                               ;   in Loop: Header=BB1103_57 Depth=1
	ds_read_b64 v[36:37], v24 offset:8192
	s_waitcnt lgkmcnt(0)
	v_lshrrev_b64 v[40:41], s16, v[36:37]
	v_and_b32_e32 v34, s27, v40
	v_lshlrev_b32_e32 v34, 3, v34
	ds_read_b64 v[40:41], v34
	v_xor_b32_e32 v37, 0x80000000, v37
	s_waitcnt lgkmcnt(0)
	v_lshlrev_b64 v[40:41], 3, v[40:41]
	v_add_co_u32_e32 v34, vcc, v22, v40
	v_addc_co_u32_e32 v39, vcc, v1, v41, vcc
	v_add_co_u32_e32 v40, vcc, 0x2000, v34
	v_addc_co_u32_e32 v41, vcc, 0, v39, vcc
	global_store_dwordx2 v[40:41], v[36:37], off
	s_branch .LBB1103_56
.LBB1103_61:
	s_mov_b64 s[0:1], 0
                                        ; implicit-def: $vgpr2
                                        ; implicit-def: $vgpr20_vgpr21
                                        ; implicit-def: $vgpr38
	s_cbranch_execnz .LBB1103_63
	s_branch .LBB1103_104
.LBB1103_62:
	s_add_i32 s26, s26, -1
	s_cmp_eq_u32 s26, s6
	s_cselect_b64 s[2:3], -1, 0
	s_and_b64 s[0:1], s[0:1], s[2:3]
	s_branch .LBB1103_104
.LBB1103_63:
	s_lshl_b32 s0, s6, 13
	s_mov_b32 s1, 0
	v_mbcnt_hi_u32_b32 v3, -1, v28
	s_lshl_b64 s[0:1], s[0:1], 3
	v_and_b32_e32 v1, 63, v3
	s_add_u32 s0, s20, s0
	v_lshlrev_b32_e32 v1, 3, v1
	v_add_co_u32_e32 v1, vcc, s0, v1
	s_load_dword s7, s[4:5], 0x58
	s_load_dword s0, s[4:5], 0x64
	v_and_b32_e32 v2, 0x3ff, v0
	s_addc_u32 s1, s21, s1
	v_mov_b32_e32 v4, s1
	v_lshlrev_b32_e32 v5, 6, v2
	v_addc_co_u32_e32 v4, vcc, 0, v4, vcc
	v_and_b32_e32 v5, 0xf000, v5
	s_add_u32 s1, s4, 0x58
	v_add_co_u32_e32 v20, vcc, v1, v5
	s_addc_u32 s2, s5, 0
	s_waitcnt lgkmcnt(0)
	s_lshr_b32 s3, s0, 16
	v_addc_co_u32_e32 v21, vcc, 0, v4, vcc
	s_cmp_lt_u32 s6, s7
	global_load_dwordx2 v[4:5], v[20:21], off
	s_cselect_b32 s0, 12, 18
	s_add_u32 s0, s1, s0
	v_mov_b32_e32 v18, 0
	s_addc_u32 s1, s2, 0
	global_load_ushort v19, v18, s[0:1]
	v_mul_u32_u24_e32 v6, 5, v2
	v_lshlrev_b32_e32 v22, 2, v6
	v_bfe_u32 v1, v0, 10, 10
	v_bfe_u32 v0, v0, 20, 10
	ds_write2_b32 v22, v18, v18 offset0:16 offset1:17
	ds_write2_b32 v22, v18, v18 offset0:18 offset1:19
	ds_write_b32 v22, v18 offset:80
	v_mad_u32_u24 v23, v0, s3, v1
	global_load_dwordx2 v[0:1], v[20:21], off offset:512
	global_load_dwordx2 v[6:7], v[20:21], off offset:1024
	;; [unrolled: 1-line block ×7, first 2 shown]
	s_lshl_b32 s0, -1, s17
	s_not_b32 s17, s0
	s_waitcnt lgkmcnt(0)
	s_barrier
	s_waitcnt lgkmcnt(0)
	; wave barrier
	s_waitcnt vmcnt(8)
	v_xor_b32_e32 v5, 0x80000000, v5
	v_lshrrev_b64 v[20:21], s16, v[4:5]
	v_and_b32_e32 v24, s17, v20
	s_waitcnt vmcnt(7)
	v_mad_u64_u32 v[20:21], s[0:1], v23, v19, v[2:3]
	v_and_b32_e32 v23, 1, v24
	v_lshrrev_b32_e32 v25, 6, v20
	v_add_co_u32_e32 v20, vcc, -1, v23
	v_lshlrev_b32_e32 v19, 30, v24
	v_addc_co_u32_e64 v26, s[0:1], 0, -1, vcc
	v_lshl_add_u32 v21, v24, 4, v24
	v_cmp_ne_u32_e32 vcc, 0, v23
	v_cmp_gt_i64_e64 s[0:1], 0, v[18:19]
	v_not_b32_e32 v27, v19
	v_lshlrev_b32_e32 v19, 29, v24
	v_add_lshl_u32 v23, v25, v21, 2
	v_xor_b32_e32 v21, vcc_hi, v26
	v_xor_b32_e32 v20, vcc_lo, v20
	v_ashrrev_i32_e32 v26, 31, v27
	v_cmp_gt_i64_e32 vcc, 0, v[18:19]
	v_not_b32_e32 v27, v19
	v_lshlrev_b32_e32 v19, 28, v24
	v_and_b32_e32 v21, exec_hi, v21
	v_and_b32_e32 v20, exec_lo, v20
	v_xor_b32_e32 v28, s1, v26
	v_xor_b32_e32 v26, s0, v26
	v_ashrrev_i32_e32 v27, 31, v27
	v_cmp_gt_i64_e64 s[0:1], 0, v[18:19]
	v_not_b32_e32 v29, v19
	v_lshlrev_b32_e32 v19, 27, v24
	v_and_b32_e32 v21, v21, v28
	v_and_b32_e32 v20, v20, v26
	v_xor_b32_e32 v26, vcc_hi, v27
	v_xor_b32_e32 v27, vcc_lo, v27
	v_ashrrev_i32_e32 v28, 31, v29
	v_cmp_gt_i64_e32 vcc, 0, v[18:19]
	v_not_b32_e32 v19, v19
	v_and_b32_e32 v21, v21, v26
	v_and_b32_e32 v20, v20, v27
	v_xor_b32_e32 v26, s1, v28
	v_xor_b32_e32 v27, s0, v28
	v_ashrrev_i32_e32 v19, 31, v19
	v_and_b32_e32 v21, v21, v26
	v_and_b32_e32 v20, v20, v27
	v_xor_b32_e32 v26, vcc_hi, v19
	v_xor_b32_e32 v19, vcc_lo, v19
	v_and_b32_e32 v20, v20, v19
	v_lshlrev_b32_e32 v19, 26, v24
	v_cmp_gt_i64_e32 vcc, 0, v[18:19]
	v_not_b32_e32 v19, v19
	v_ashrrev_i32_e32 v19, 31, v19
	v_and_b32_e32 v21, v21, v26
	v_xor_b32_e32 v26, vcc_hi, v19
	v_xor_b32_e32 v19, vcc_lo, v19
	v_and_b32_e32 v20, v20, v19
	v_lshlrev_b32_e32 v19, 25, v24
	v_cmp_gt_i64_e32 vcc, 0, v[18:19]
	v_not_b32_e32 v19, v19
	v_ashrrev_i32_e32 v19, 31, v19
	;; [unrolled: 8-line block ×3, first 2 shown]
	v_xor_b32_e32 v24, vcc_hi, v19
	v_xor_b32_e32 v19, vcc_lo, v19
	v_and_b32_e32 v21, v21, v26
	v_and_b32_e32 v20, v20, v19
	;; [unrolled: 1-line block ×3, first 2 shown]
	v_mbcnt_lo_u32_b32 v19, v20, 0
	v_mbcnt_hi_u32_b32 v26, v21, v19
	v_cmp_eq_u32_e32 vcc, 0, v26
	v_cmp_ne_u64_e64 s[0:1], 0, v[20:21]
	s_and_b64 s[2:3], s[0:1], vcc
	s_and_saveexec_b64 s[0:1], s[2:3]
	s_cbranch_execz .LBB1103_65
; %bb.64:
	v_bcnt_u32_b32 v19, v20, 0
	v_bcnt_u32_b32 v19, v21, v19
	ds_write_b32 v23, v19 offset:64
.LBB1103_65:
	s_or_b64 exec, exec, s[0:1]
	s_waitcnt vmcnt(6)
	v_xor_b32_e32 v1, 0x80000000, v1
	v_lshrrev_b64 v[20:21], s16, v[0:1]
	v_and_b32_e32 v20, s17, v20
	v_lshl_add_u32 v19, v20, 4, v20
	v_add_lshl_u32 v24, v25, v19, 2
	v_and_b32_e32 v19, 1, v20
	v_add_co_u32_e32 v21, vcc, -1, v19
	v_addc_co_u32_e64 v28, s[0:1], 0, -1, vcc
	v_cmp_ne_u32_e32 vcc, 0, v19
	v_xor_b32_e32 v19, vcc_hi, v28
	v_and_b32_e32 v28, exec_hi, v19
	v_lshlrev_b32_e32 v19, 30, v20
	v_xor_b32_e32 v21, vcc_lo, v21
	v_cmp_gt_i64_e32 vcc, 0, v[18:19]
	v_not_b32_e32 v19, v19
	v_ashrrev_i32_e32 v19, 31, v19
	v_and_b32_e32 v21, exec_lo, v21
	v_xor_b32_e32 v29, vcc_hi, v19
	v_xor_b32_e32 v19, vcc_lo, v19
	v_and_b32_e32 v21, v21, v19
	v_lshlrev_b32_e32 v19, 29, v20
	v_cmp_gt_i64_e32 vcc, 0, v[18:19]
	v_not_b32_e32 v19, v19
	v_ashrrev_i32_e32 v19, 31, v19
	v_and_b32_e32 v28, v28, v29
	v_xor_b32_e32 v29, vcc_hi, v19
	v_xor_b32_e32 v19, vcc_lo, v19
	v_and_b32_e32 v21, v21, v19
	v_lshlrev_b32_e32 v19, 28, v20
	v_cmp_gt_i64_e32 vcc, 0, v[18:19]
	v_not_b32_e32 v19, v19
	v_ashrrev_i32_e32 v19, 31, v19
	v_and_b32_e32 v28, v28, v29
	;; [unrolled: 8-line block ×5, first 2 shown]
	v_xor_b32_e32 v29, vcc_hi, v19
	v_xor_b32_e32 v19, vcc_lo, v19
	v_and_b32_e32 v21, v21, v19
	v_lshlrev_b32_e32 v19, 24, v20
	v_cmp_gt_i64_e32 vcc, 0, v[18:19]
	v_not_b32_e32 v18, v19
	v_ashrrev_i32_e32 v18, 31, v18
	v_xor_b32_e32 v19, vcc_hi, v18
	v_xor_b32_e32 v18, vcc_lo, v18
	; wave barrier
	ds_read_b32 v27, v24 offset:64
	v_and_b32_e32 v28, v28, v29
	v_and_b32_e32 v18, v21, v18
	;; [unrolled: 1-line block ×3, first 2 shown]
	v_mbcnt_lo_u32_b32 v20, v18, 0
	v_mbcnt_hi_u32_b32 v28, v19, v20
	v_cmp_eq_u32_e32 vcc, 0, v28
	v_cmp_ne_u64_e64 s[0:1], 0, v[18:19]
	s_and_b64 s[2:3], s[0:1], vcc
	; wave barrier
	s_and_saveexec_b64 s[0:1], s[2:3]
	s_cbranch_execz .LBB1103_67
; %bb.66:
	v_bcnt_u32_b32 v18, v18, 0
	v_bcnt_u32_b32 v18, v19, v18
	s_waitcnt lgkmcnt(0)
	v_add_u32_e32 v18, v27, v18
	ds_write_b32 v24, v18 offset:64
.LBB1103_67:
	s_or_b64 exec, exec, s[0:1]
	s_waitcnt vmcnt(5)
	v_xor_b32_e32 v7, 0x80000000, v7
	v_lshrrev_b64 v[18:19], s16, v[6:7]
	v_and_b32_e32 v20, s17, v18
	v_and_b32_e32 v19, 1, v20
	v_add_co_u32_e32 v21, vcc, -1, v19
	v_addc_co_u32_e64 v30, s[0:1], 0, -1, vcc
	v_cmp_ne_u32_e32 vcc, 0, v19
	v_lshl_add_u32 v18, v20, 4, v20
	v_xor_b32_e32 v19, vcc_hi, v30
	v_add_lshl_u32 v33, v25, v18, 2
	v_mov_b32_e32 v18, 0
	v_and_b32_e32 v30, exec_hi, v19
	v_lshlrev_b32_e32 v19, 30, v20
	v_xor_b32_e32 v21, vcc_lo, v21
	v_cmp_gt_i64_e32 vcc, 0, v[18:19]
	v_not_b32_e32 v19, v19
	v_ashrrev_i32_e32 v19, 31, v19
	v_and_b32_e32 v21, exec_lo, v21
	v_xor_b32_e32 v31, vcc_hi, v19
	v_xor_b32_e32 v19, vcc_lo, v19
	v_and_b32_e32 v21, v21, v19
	v_lshlrev_b32_e32 v19, 29, v20
	v_cmp_gt_i64_e32 vcc, 0, v[18:19]
	v_not_b32_e32 v19, v19
	v_ashrrev_i32_e32 v19, 31, v19
	v_and_b32_e32 v30, v30, v31
	v_xor_b32_e32 v31, vcc_hi, v19
	v_xor_b32_e32 v19, vcc_lo, v19
	v_and_b32_e32 v21, v21, v19
	v_lshlrev_b32_e32 v19, 28, v20
	v_cmp_gt_i64_e32 vcc, 0, v[18:19]
	v_not_b32_e32 v19, v19
	v_ashrrev_i32_e32 v19, 31, v19
	v_and_b32_e32 v30, v30, v31
	;; [unrolled: 8-line block ×5, first 2 shown]
	v_xor_b32_e32 v31, vcc_hi, v19
	v_xor_b32_e32 v19, vcc_lo, v19
	v_and_b32_e32 v30, v30, v31
	v_and_b32_e32 v31, v21, v19
	v_lshlrev_b32_e32 v19, 24, v20
	v_cmp_gt_i64_e32 vcc, 0, v[18:19]
	v_not_b32_e32 v19, v19
	v_ashrrev_i32_e32 v19, 31, v19
	v_xor_b32_e32 v20, vcc_hi, v19
	v_xor_b32_e32 v19, vcc_lo, v19
	; wave barrier
	ds_read_b32 v29, v33 offset:64
	v_and_b32_e32 v21, v30, v20
	v_and_b32_e32 v20, v31, v19
	v_mbcnt_lo_u32_b32 v19, v20, 0
	v_mbcnt_hi_u32_b32 v30, v21, v19
	v_cmp_eq_u32_e32 vcc, 0, v30
	v_cmp_ne_u64_e64 s[0:1], 0, v[20:21]
	s_and_b64 s[2:3], s[0:1], vcc
	; wave barrier
	s_and_saveexec_b64 s[0:1], s[2:3]
	s_cbranch_execz .LBB1103_69
; %bb.68:
	v_bcnt_u32_b32 v19, v20, 0
	v_bcnt_u32_b32 v19, v21, v19
	s_waitcnt lgkmcnt(0)
	v_add_u32_e32 v19, v29, v19
	ds_write_b32 v33, v19 offset:64
.LBB1103_69:
	s_or_b64 exec, exec, s[0:1]
	s_waitcnt vmcnt(4)
	v_xor_b32_e32 v9, 0x80000000, v9
	v_lshrrev_b64 v[20:21], s16, v[8:9]
	v_and_b32_e32 v20, s17, v20
	v_lshl_add_u32 v19, v20, 4, v20
	v_add_lshl_u32 v36, v25, v19, 2
	v_and_b32_e32 v19, 1, v20
	v_add_co_u32_e32 v21, vcc, -1, v19
	v_addc_co_u32_e64 v32, s[0:1], 0, -1, vcc
	v_cmp_ne_u32_e32 vcc, 0, v19
	v_xor_b32_e32 v19, vcc_hi, v32
	v_and_b32_e32 v32, exec_hi, v19
	v_lshlrev_b32_e32 v19, 30, v20
	v_xor_b32_e32 v21, vcc_lo, v21
	v_cmp_gt_i64_e32 vcc, 0, v[18:19]
	v_not_b32_e32 v19, v19
	v_ashrrev_i32_e32 v19, 31, v19
	v_and_b32_e32 v21, exec_lo, v21
	v_xor_b32_e32 v34, vcc_hi, v19
	v_xor_b32_e32 v19, vcc_lo, v19
	v_and_b32_e32 v21, v21, v19
	v_lshlrev_b32_e32 v19, 29, v20
	v_cmp_gt_i64_e32 vcc, 0, v[18:19]
	v_not_b32_e32 v19, v19
	v_ashrrev_i32_e32 v19, 31, v19
	v_and_b32_e32 v32, v32, v34
	v_xor_b32_e32 v34, vcc_hi, v19
	v_xor_b32_e32 v19, vcc_lo, v19
	v_and_b32_e32 v21, v21, v19
	v_lshlrev_b32_e32 v19, 28, v20
	v_cmp_gt_i64_e32 vcc, 0, v[18:19]
	v_not_b32_e32 v19, v19
	v_ashrrev_i32_e32 v19, 31, v19
	v_and_b32_e32 v32, v32, v34
	;; [unrolled: 8-line block ×5, first 2 shown]
	v_xor_b32_e32 v34, vcc_hi, v19
	v_xor_b32_e32 v19, vcc_lo, v19
	v_and_b32_e32 v21, v21, v19
	v_lshlrev_b32_e32 v19, 24, v20
	v_cmp_gt_i64_e32 vcc, 0, v[18:19]
	v_not_b32_e32 v18, v19
	v_ashrrev_i32_e32 v18, 31, v18
	v_xor_b32_e32 v19, vcc_hi, v18
	v_xor_b32_e32 v18, vcc_lo, v18
	; wave barrier
	ds_read_b32 v31, v36 offset:64
	v_and_b32_e32 v32, v32, v34
	v_and_b32_e32 v18, v21, v18
	;; [unrolled: 1-line block ×3, first 2 shown]
	v_mbcnt_lo_u32_b32 v20, v18, 0
	v_mbcnt_hi_u32_b32 v32, v19, v20
	v_cmp_eq_u32_e32 vcc, 0, v32
	v_cmp_ne_u64_e64 s[0:1], 0, v[18:19]
	s_and_b64 s[2:3], s[0:1], vcc
	; wave barrier
	s_and_saveexec_b64 s[0:1], s[2:3]
	s_cbranch_execz .LBB1103_71
; %bb.70:
	v_bcnt_u32_b32 v18, v18, 0
	v_bcnt_u32_b32 v18, v19, v18
	s_waitcnt lgkmcnt(0)
	v_add_u32_e32 v18, v31, v18
	ds_write_b32 v36, v18 offset:64
.LBB1103_71:
	s_or_b64 exec, exec, s[0:1]
	s_waitcnt vmcnt(3)
	v_xor_b32_e32 v11, 0x80000000, v11
	v_lshrrev_b64 v[18:19], s16, v[10:11]
	v_and_b32_e32 v20, s17, v18
	v_and_b32_e32 v19, 1, v20
	v_add_co_u32_e32 v21, vcc, -1, v19
	v_addc_co_u32_e64 v35, s[0:1], 0, -1, vcc
	v_cmp_ne_u32_e32 vcc, 0, v19
	v_lshl_add_u32 v18, v20, 4, v20
	v_xor_b32_e32 v19, vcc_hi, v35
	v_add_lshl_u32 v38, v25, v18, 2
	v_mov_b32_e32 v18, 0
	v_and_b32_e32 v35, exec_hi, v19
	v_lshlrev_b32_e32 v19, 30, v20
	v_xor_b32_e32 v21, vcc_lo, v21
	v_cmp_gt_i64_e32 vcc, 0, v[18:19]
	v_not_b32_e32 v19, v19
	v_ashrrev_i32_e32 v19, 31, v19
	v_and_b32_e32 v21, exec_lo, v21
	v_xor_b32_e32 v37, vcc_hi, v19
	v_xor_b32_e32 v19, vcc_lo, v19
	v_and_b32_e32 v21, v21, v19
	v_lshlrev_b32_e32 v19, 29, v20
	v_cmp_gt_i64_e32 vcc, 0, v[18:19]
	v_not_b32_e32 v19, v19
	v_ashrrev_i32_e32 v19, 31, v19
	v_and_b32_e32 v35, v35, v37
	v_xor_b32_e32 v37, vcc_hi, v19
	v_xor_b32_e32 v19, vcc_lo, v19
	v_and_b32_e32 v21, v21, v19
	v_lshlrev_b32_e32 v19, 28, v20
	v_cmp_gt_i64_e32 vcc, 0, v[18:19]
	v_not_b32_e32 v19, v19
	v_ashrrev_i32_e32 v19, 31, v19
	v_and_b32_e32 v35, v35, v37
	;; [unrolled: 8-line block ×5, first 2 shown]
	v_xor_b32_e32 v37, vcc_hi, v19
	v_xor_b32_e32 v19, vcc_lo, v19
	v_and_b32_e32 v35, v35, v37
	v_and_b32_e32 v37, v21, v19
	v_lshlrev_b32_e32 v19, 24, v20
	v_cmp_gt_i64_e32 vcc, 0, v[18:19]
	v_not_b32_e32 v19, v19
	v_ashrrev_i32_e32 v19, 31, v19
	v_xor_b32_e32 v20, vcc_hi, v19
	v_xor_b32_e32 v19, vcc_lo, v19
	; wave barrier
	ds_read_b32 v34, v38 offset:64
	v_and_b32_e32 v21, v35, v20
	v_and_b32_e32 v20, v37, v19
	v_mbcnt_lo_u32_b32 v19, v20, 0
	v_mbcnt_hi_u32_b32 v35, v21, v19
	v_cmp_eq_u32_e32 vcc, 0, v35
	v_cmp_ne_u64_e64 s[0:1], 0, v[20:21]
	s_and_b64 s[2:3], s[0:1], vcc
	; wave barrier
	s_and_saveexec_b64 s[0:1], s[2:3]
	s_cbranch_execz .LBB1103_73
; %bb.72:
	v_bcnt_u32_b32 v19, v20, 0
	v_bcnt_u32_b32 v19, v21, v19
	s_waitcnt lgkmcnt(0)
	v_add_u32_e32 v19, v34, v19
	ds_write_b32 v38, v19 offset:64
.LBB1103_73:
	s_or_b64 exec, exec, s[0:1]
	s_waitcnt vmcnt(2)
	v_xor_b32_e32 v13, 0x80000000, v13
	v_lshrrev_b64 v[20:21], s16, v[12:13]
	v_and_b32_e32 v20, s17, v20
	v_lshl_add_u32 v19, v20, 4, v20
	v_add_lshl_u32 v42, v25, v19, 2
	v_and_b32_e32 v19, 1, v20
	v_add_co_u32_e32 v21, vcc, -1, v19
	v_addc_co_u32_e64 v39, s[0:1], 0, -1, vcc
	v_cmp_ne_u32_e32 vcc, 0, v19
	v_xor_b32_e32 v19, vcc_hi, v39
	v_and_b32_e32 v39, exec_hi, v19
	v_lshlrev_b32_e32 v19, 30, v20
	v_xor_b32_e32 v21, vcc_lo, v21
	v_cmp_gt_i64_e32 vcc, 0, v[18:19]
	v_not_b32_e32 v19, v19
	v_ashrrev_i32_e32 v19, 31, v19
	v_and_b32_e32 v21, exec_lo, v21
	v_xor_b32_e32 v40, vcc_hi, v19
	v_xor_b32_e32 v19, vcc_lo, v19
	v_and_b32_e32 v21, v21, v19
	v_lshlrev_b32_e32 v19, 29, v20
	v_cmp_gt_i64_e32 vcc, 0, v[18:19]
	v_not_b32_e32 v19, v19
	v_ashrrev_i32_e32 v19, 31, v19
	v_and_b32_e32 v39, v39, v40
	v_xor_b32_e32 v40, vcc_hi, v19
	v_xor_b32_e32 v19, vcc_lo, v19
	v_and_b32_e32 v21, v21, v19
	v_lshlrev_b32_e32 v19, 28, v20
	v_cmp_gt_i64_e32 vcc, 0, v[18:19]
	v_not_b32_e32 v19, v19
	v_ashrrev_i32_e32 v19, 31, v19
	v_and_b32_e32 v39, v39, v40
	;; [unrolled: 8-line block ×5, first 2 shown]
	v_xor_b32_e32 v40, vcc_hi, v19
	v_xor_b32_e32 v19, vcc_lo, v19
	v_and_b32_e32 v21, v21, v19
	v_lshlrev_b32_e32 v19, 24, v20
	v_cmp_gt_i64_e32 vcc, 0, v[18:19]
	v_not_b32_e32 v18, v19
	v_ashrrev_i32_e32 v18, 31, v18
	v_xor_b32_e32 v19, vcc_hi, v18
	v_xor_b32_e32 v18, vcc_lo, v18
	; wave barrier
	ds_read_b32 v37, v42 offset:64
	v_and_b32_e32 v39, v39, v40
	v_and_b32_e32 v18, v21, v18
	;; [unrolled: 1-line block ×3, first 2 shown]
	v_mbcnt_lo_u32_b32 v20, v18, 0
	v_mbcnt_hi_u32_b32 v39, v19, v20
	v_cmp_eq_u32_e32 vcc, 0, v39
	v_cmp_ne_u64_e64 s[0:1], 0, v[18:19]
	s_and_b64 s[2:3], s[0:1], vcc
	; wave barrier
	s_and_saveexec_b64 s[0:1], s[2:3]
	s_cbranch_execz .LBB1103_75
; %bb.74:
	v_bcnt_u32_b32 v18, v18, 0
	v_bcnt_u32_b32 v18, v19, v18
	s_waitcnt lgkmcnt(0)
	v_add_u32_e32 v18, v37, v18
	ds_write_b32 v42, v18 offset:64
.LBB1103_75:
	s_or_b64 exec, exec, s[0:1]
	s_waitcnt vmcnt(1)
	v_xor_b32_e32 v15, 0x80000000, v15
	v_lshrrev_b64 v[18:19], s16, v[14:15]
	v_and_b32_e32 v20, s17, v18
	v_and_b32_e32 v19, 1, v20
	v_add_co_u32_e32 v21, vcc, -1, v19
	v_addc_co_u32_e64 v41, s[0:1], 0, -1, vcc
	v_cmp_ne_u32_e32 vcc, 0, v19
	v_lshl_add_u32 v18, v20, 4, v20
	v_xor_b32_e32 v19, vcc_hi, v41
	v_add_lshl_u32 v45, v25, v18, 2
	v_mov_b32_e32 v18, 0
	v_and_b32_e32 v41, exec_hi, v19
	v_lshlrev_b32_e32 v19, 30, v20
	v_xor_b32_e32 v21, vcc_lo, v21
	v_cmp_gt_i64_e32 vcc, 0, v[18:19]
	v_not_b32_e32 v19, v19
	v_ashrrev_i32_e32 v19, 31, v19
	v_and_b32_e32 v21, exec_lo, v21
	v_xor_b32_e32 v43, vcc_hi, v19
	v_xor_b32_e32 v19, vcc_lo, v19
	v_and_b32_e32 v21, v21, v19
	v_lshlrev_b32_e32 v19, 29, v20
	v_cmp_gt_i64_e32 vcc, 0, v[18:19]
	v_not_b32_e32 v19, v19
	v_ashrrev_i32_e32 v19, 31, v19
	v_and_b32_e32 v41, v41, v43
	v_xor_b32_e32 v43, vcc_hi, v19
	v_xor_b32_e32 v19, vcc_lo, v19
	v_and_b32_e32 v21, v21, v19
	v_lshlrev_b32_e32 v19, 28, v20
	v_cmp_gt_i64_e32 vcc, 0, v[18:19]
	v_not_b32_e32 v19, v19
	v_ashrrev_i32_e32 v19, 31, v19
	v_and_b32_e32 v41, v41, v43
	;; [unrolled: 8-line block ×5, first 2 shown]
	v_xor_b32_e32 v43, vcc_hi, v19
	v_xor_b32_e32 v19, vcc_lo, v19
	v_and_b32_e32 v41, v41, v43
	v_and_b32_e32 v43, v21, v19
	v_lshlrev_b32_e32 v19, 24, v20
	v_cmp_gt_i64_e32 vcc, 0, v[18:19]
	v_not_b32_e32 v19, v19
	v_ashrrev_i32_e32 v19, 31, v19
	v_xor_b32_e32 v20, vcc_hi, v19
	v_xor_b32_e32 v19, vcc_lo, v19
	; wave barrier
	ds_read_b32 v40, v45 offset:64
	v_and_b32_e32 v21, v41, v20
	v_and_b32_e32 v20, v43, v19
	v_mbcnt_lo_u32_b32 v19, v20, 0
	v_mbcnt_hi_u32_b32 v41, v21, v19
	v_cmp_eq_u32_e32 vcc, 0, v41
	v_cmp_ne_u64_e64 s[0:1], 0, v[20:21]
	s_and_b64 s[2:3], s[0:1], vcc
	; wave barrier
	s_and_saveexec_b64 s[0:1], s[2:3]
	s_cbranch_execz .LBB1103_77
; %bb.76:
	v_bcnt_u32_b32 v19, v20, 0
	v_bcnt_u32_b32 v19, v21, v19
	s_waitcnt lgkmcnt(0)
	v_add_u32_e32 v19, v40, v19
	ds_write_b32 v45, v19 offset:64
.LBB1103_77:
	s_or_b64 exec, exec, s[0:1]
	s_waitcnt vmcnt(0)
	v_xor_b32_e32 v17, 0x80000000, v17
	v_lshrrev_b64 v[20:21], s16, v[16:17]
	v_and_b32_e32 v20, s17, v20
	v_lshl_add_u32 v19, v20, 4, v20
	v_add_lshl_u32 v25, v25, v19, 2
	v_and_b32_e32 v19, 1, v20
	v_add_co_u32_e32 v21, vcc, -1, v19
	v_addc_co_u32_e64 v44, s[0:1], 0, -1, vcc
	v_cmp_ne_u32_e32 vcc, 0, v19
	v_xor_b32_e32 v19, vcc_hi, v44
	v_and_b32_e32 v44, exec_hi, v19
	v_lshlrev_b32_e32 v19, 30, v20
	v_xor_b32_e32 v21, vcc_lo, v21
	v_cmp_gt_i64_e32 vcc, 0, v[18:19]
	v_not_b32_e32 v19, v19
	v_ashrrev_i32_e32 v19, 31, v19
	v_and_b32_e32 v21, exec_lo, v21
	v_xor_b32_e32 v47, vcc_hi, v19
	v_xor_b32_e32 v19, vcc_lo, v19
	v_and_b32_e32 v21, v21, v19
	v_lshlrev_b32_e32 v19, 29, v20
	v_cmp_gt_i64_e32 vcc, 0, v[18:19]
	v_not_b32_e32 v19, v19
	v_ashrrev_i32_e32 v19, 31, v19
	v_and_b32_e32 v44, v44, v47
	v_xor_b32_e32 v47, vcc_hi, v19
	v_xor_b32_e32 v19, vcc_lo, v19
	v_and_b32_e32 v21, v21, v19
	v_lshlrev_b32_e32 v19, 28, v20
	v_cmp_gt_i64_e32 vcc, 0, v[18:19]
	v_not_b32_e32 v19, v19
	v_ashrrev_i32_e32 v19, 31, v19
	v_and_b32_e32 v44, v44, v47
	;; [unrolled: 8-line block ×5, first 2 shown]
	v_xor_b32_e32 v47, vcc_hi, v19
	v_xor_b32_e32 v19, vcc_lo, v19
	v_and_b32_e32 v21, v21, v19
	v_lshlrev_b32_e32 v19, 24, v20
	v_cmp_gt_i64_e32 vcc, 0, v[18:19]
	v_not_b32_e32 v18, v19
	v_ashrrev_i32_e32 v18, 31, v18
	v_xor_b32_e32 v19, vcc_hi, v18
	v_xor_b32_e32 v18, vcc_lo, v18
	; wave barrier
	ds_read_b32 v43, v25 offset:64
	v_and_b32_e32 v44, v44, v47
	v_and_b32_e32 v18, v21, v18
	;; [unrolled: 1-line block ×3, first 2 shown]
	v_mbcnt_lo_u32_b32 v20, v18, 0
	v_mbcnt_hi_u32_b32 v44, v19, v20
	v_cmp_eq_u32_e32 vcc, 0, v44
	v_cmp_ne_u64_e64 s[0:1], 0, v[18:19]
	v_add_u32_e32 v46, 64, v22
	s_and_b64 s[2:3], s[0:1], vcc
	; wave barrier
	s_and_saveexec_b64 s[0:1], s[2:3]
	s_cbranch_execz .LBB1103_79
; %bb.78:
	v_bcnt_u32_b32 v18, v18, 0
	v_bcnt_u32_b32 v18, v19, v18
	s_waitcnt lgkmcnt(0)
	v_add_u32_e32 v18, v43, v18
	ds_write_b32 v25, v18 offset:64
.LBB1103_79:
	s_or_b64 exec, exec, s[0:1]
	; wave barrier
	s_waitcnt lgkmcnt(0)
	s_barrier
	ds_read2_b32 v[20:21], v22 offset0:16 offset1:17
	ds_read2_b32 v[18:19], v46 offset0:2 offset1:3
	ds_read_b32 v47, v46 offset:16
	v_cmp_lt_u32_e64 s[8:9], 31, v3
	s_waitcnt lgkmcnt(1)
	v_add3_u32 v48, v21, v20, v18
	s_waitcnt lgkmcnt(0)
	v_add3_u32 v47, v48, v19, v47
	v_and_b32_e32 v48, 15, v3
	v_cmp_eq_u32_e32 vcc, 0, v48
	v_mov_b32_dpp v49, v47 row_shr:1 row_mask:0xf bank_mask:0xf
	v_cndmask_b32_e64 v49, v49, 0, vcc
	v_add_u32_e32 v47, v49, v47
	v_cmp_lt_u32_e64 s[0:1], 1, v48
	v_cmp_lt_u32_e64 s[2:3], 3, v48
	v_mov_b32_dpp v49, v47 row_shr:2 row_mask:0xf bank_mask:0xf
	v_cndmask_b32_e64 v49, 0, v49, s[0:1]
	v_add_u32_e32 v47, v47, v49
	v_cmp_lt_u32_e64 s[4:5], 7, v48
	s_nop 0
	v_mov_b32_dpp v49, v47 row_shr:4 row_mask:0xf bank_mask:0xf
	v_cndmask_b32_e64 v49, 0, v49, s[2:3]
	v_add_u32_e32 v47, v47, v49
	s_nop 1
	v_mov_b32_dpp v49, v47 row_shr:8 row_mask:0xf bank_mask:0xf
	v_cndmask_b32_e64 v48, 0, v49, s[4:5]
	v_add_u32_e32 v47, v47, v48
	v_bfe_i32 v49, v3, 4, 1
	s_nop 0
	v_mov_b32_dpp v48, v47 row_bcast:15 row_mask:0xf bank_mask:0xf
	v_and_b32_e32 v48, v49, v48
	v_add_u32_e32 v47, v47, v48
	v_and_b32_e32 v49, 63, v2
	s_nop 0
	v_mov_b32_dpp v48, v47 row_bcast:31 row_mask:0xf bank_mask:0xf
	v_cndmask_b32_e64 v48, 0, v48, s[8:9]
	v_add_u32_e32 v47, v47, v48
	v_lshrrev_b32_e32 v48, 6, v2
	v_cmp_eq_u32_e64 s[8:9], 63, v49
	s_and_saveexec_b64 s[10:11], s[8:9]
	s_cbranch_execz .LBB1103_81
; %bb.80:
	v_lshlrev_b32_e32 v49, 2, v48
	ds_write_b32 v49, v47
.LBB1103_81:
	s_or_b64 exec, exec, s[10:11]
	v_cmp_gt_u32_e64 s[8:9], 16, v2
	s_waitcnt lgkmcnt(0)
	s_barrier
	s_and_saveexec_b64 s[10:11], s[8:9]
	s_cbranch_execz .LBB1103_83
; %bb.82:
	v_lshlrev_b32_e32 v49, 2, v2
	ds_read_b32 v50, v49
	s_waitcnt lgkmcnt(0)
	s_nop 0
	v_mov_b32_dpp v51, v50 row_shr:1 row_mask:0xf bank_mask:0xf
	v_cndmask_b32_e64 v51, v51, 0, vcc
	v_add_u32_e32 v50, v51, v50
	s_nop 1
	v_mov_b32_dpp v51, v50 row_shr:2 row_mask:0xf bank_mask:0xf
	v_cndmask_b32_e64 v51, 0, v51, s[0:1]
	v_add_u32_e32 v50, v50, v51
	s_nop 1
	v_mov_b32_dpp v51, v50 row_shr:4 row_mask:0xf bank_mask:0xf
	v_cndmask_b32_e64 v51, 0, v51, s[2:3]
	;; [unrolled: 4-line block ×3, first 2 shown]
	v_add_u32_e32 v50, v50, v51
	ds_write_b32 v49, v50
.LBB1103_83:
	s_or_b64 exec, exec, s[10:11]
	v_cmp_lt_u32_e32 vcc, 63, v2
	v_mov_b32_e32 v49, 0
	s_waitcnt lgkmcnt(0)
	s_barrier
	s_and_saveexec_b64 s[0:1], vcc
	s_cbranch_execz .LBB1103_85
; %bb.84:
	v_lshl_add_u32 v48, v48, 2, -4
	ds_read_b32 v49, v48
.LBB1103_85:
	s_or_b64 exec, exec, s[0:1]
	v_add_u32_e32 v48, -1, v3
	v_and_b32_e32 v50, 64, v3
	v_cmp_lt_i32_e32 vcc, v48, v50
	v_cndmask_b32_e32 v48, v48, v3, vcc
	s_waitcnt lgkmcnt(0)
	v_add_u32_e32 v47, v49, v47
	v_lshlrev_b32_e32 v48, 2, v48
	ds_bpermute_b32 v47, v48, v47
	v_cmp_eq_u32_e32 vcc, 0, v3
	s_movk_i32 s2, 0xff
	s_movk_i32 s0, 0x100
	v_cmp_gt_u32_e64 s[0:1], s0, v2
	s_waitcnt lgkmcnt(0)
	v_cndmask_b32_e32 v3, v47, v49, vcc
	v_cmp_ne_u32_e32 vcc, 0, v2
	v_cndmask_b32_e32 v3, 0, v3, vcc
	v_add_u32_e32 v20, v3, v20
	v_add_u32_e32 v21, v20, v21
	;; [unrolled: 1-line block ×4, first 2 shown]
	ds_write2_b32 v22, v3, v20 offset0:16 offset1:17
	ds_write2_b32 v46, v21, v18 offset0:2 offset1:3
	ds_write_b32 v46, v19 offset:16
	s_waitcnt lgkmcnt(0)
	s_barrier
	ds_read_b32 v48, v23 offset:64
	ds_read_b32 v46, v24 offset:64
	;; [unrolled: 1-line block ×8, first 2 shown]
	v_cmp_lt_u32_e32 vcc, s2, v2
	v_pk_mov_b32 v[20:21], 0, 0
                                        ; implicit-def: $vgpr38
	s_and_saveexec_b64 s[4:5], s[0:1]
	s_cbranch_execz .LBB1103_89
; %bb.86:
	v_mul_u32_u24_e32 v3, 17, v2
	v_lshlrev_b32_e32 v18, 2, v3
	ds_read_b32 v20, v18 offset:64
	v_cmp_ne_u32_e64 s[2:3], s2, v2
	v_mov_b32_e32 v3, 0x2000
	s_and_saveexec_b64 s[8:9], s[2:3]
	s_cbranch_execz .LBB1103_88
; %bb.87:
	ds_read_b32 v3, v18 offset:132
.LBB1103_88:
	s_or_b64 exec, exec, s[8:9]
	s_waitcnt lgkmcnt(0)
	v_sub_u32_e32 v38, v3, v20
	v_mov_b32_e32 v21, 0
.LBB1103_89:
	s_or_b64 exec, exec, s[4:5]
	s_waitcnt lgkmcnt(0)
	s_barrier
	s_and_saveexec_b64 s[2:3], vcc
	s_xor_b64 s[2:3], exec, s[2:3]
; %bb.90:
	v_mov_b32_e32 v3, 0
; %bb.91:
	s_andn2_saveexec_b64 s[2:3], s[2:3]
	s_cbranch_execz .LBB1103_101
; %bb.92:
	v_lshl_or_b32 v18, s6, 8, v2
	v_mov_b32_e32 v19, 0
	v_lshlrev_b64 v[22:23], 2, v[18:19]
	v_mov_b32_e32 v3, s25
	v_add_co_u32_e32 v22, vcc, s24, v22
	v_addc_co_u32_e32 v23, vcc, v3, v23, vcc
	v_or_b32_e32 v18, 2.0, v38
	s_mov_b64 s[4:5], 0
	s_brev_b32 s18, 1
	s_mov_b32 s19, s6
	v_mov_b32_e32 v50, 0
	global_store_dword v[22:23], v18, off
                                        ; implicit-def: $sgpr8_sgpr9
	s_branch .LBB1103_95
.LBB1103_93:                            ;   in Loop: Header=BB1103_95 Depth=1
	s_or_b64 exec, exec, s[10:11]
.LBB1103_94:                            ;   in Loop: Header=BB1103_95 Depth=1
	s_or_b64 exec, exec, s[8:9]
	v_and_b32_e32 v24, 0x3fffffff, v51
	v_add_u32_e32 v50, v24, v50
	v_cmp_eq_u32_e64 s[8:9], s18, v18
	s_and_b64 s[10:11], exec, s[8:9]
	s_or_b64 s[4:5], s[10:11], s[4:5]
	s_andn2_b64 exec, exec, s[4:5]
	s_cbranch_execz .LBB1103_100
.LBB1103_95:                            ; =>This Loop Header: Depth=1
                                        ;     Child Loop BB1103_98 Depth 2
	s_or_b64 s[8:9], s[8:9], exec
	s_cmp_eq_u32 s19, 0
	s_cbranch_scc1 .LBB1103_99
; %bb.96:                               ;   in Loop: Header=BB1103_95 Depth=1
	s_add_i32 s19, s19, -1
	v_lshl_or_b32 v18, s19, 8, v2
	v_lshlrev_b64 v[24:25], 2, v[18:19]
	v_add_co_u32_e32 v24, vcc, s24, v24
	v_addc_co_u32_e32 v25, vcc, v3, v25, vcc
	global_load_dword v51, v[24:25], off glc
	s_waitcnt vmcnt(0)
	v_and_b32_e32 v18, -2.0, v51
	v_cmp_eq_u32_e32 vcc, 0, v18
	s_and_saveexec_b64 s[8:9], vcc
	s_cbranch_execz .LBB1103_94
; %bb.97:                               ;   in Loop: Header=BB1103_95 Depth=1
	s_mov_b64 s[10:11], 0
.LBB1103_98:                            ;   Parent Loop BB1103_95 Depth=1
                                        ; =>  This Inner Loop Header: Depth=2
	global_load_dword v51, v[24:25], off glc
	s_waitcnt vmcnt(0)
	v_and_b32_e32 v18, -2.0, v51
	v_cmp_ne_u32_e32 vcc, 0, v18
	s_or_b64 s[10:11], vcc, s[10:11]
	s_andn2_b64 exec, exec, s[10:11]
	s_cbranch_execnz .LBB1103_98
	s_branch .LBB1103_93
.LBB1103_99:                            ;   in Loop: Header=BB1103_95 Depth=1
                                        ; implicit-def: $sgpr19
	s_and_b64 s[10:11], exec, s[8:9]
	s_or_b64 s[4:5], s[10:11], s[4:5]
	s_andn2_b64 exec, exec, s[4:5]
	s_cbranch_execnz .LBB1103_95
.LBB1103_100:
	s_or_b64 exec, exec, s[4:5]
	v_add_u32_e32 v3, v50, v38
	v_or_b32_e32 v3, 0x80000000, v3
	global_store_dword v[22:23], v3, off
	v_lshlrev_b32_e32 v22, 3, v2
	global_load_dwordx2 v[18:19], v22, s[12:13]
	v_sub_co_u32_e32 v23, vcc, v50, v20
	v_subb_co_u32_e32 v24, vcc, 0, v21, vcc
	v_mov_b32_e32 v3, 0
	s_waitcnt vmcnt(0)
	v_add_co_u32_e32 v18, vcc, v23, v18
	v_addc_co_u32_e32 v19, vcc, v24, v19, vcc
	ds_write_b64 v22, v[18:19]
.LBB1103_101:
	s_or_b64 exec, exec, s[2:3]
	v_lshlrev_b64 v[18:19], 3, v[2:3]
	v_lshlrev_b32_e32 v23, 3, v2
	v_add3_u32 v27, v28, v46, v27
	v_mov_b32_e32 v28, s23
	v_add_co_u32_e32 v18, vcc, s22, v18
	v_add_u32_e32 v22, v48, v26
	v_add_u32_e32 v24, 0x800, v23
	v_add3_u32 v25, v44, v49, v43
	v_add3_u32 v26, v41, v45, v40
	;; [unrolled: 1-line block ×6, first 2 shown]
	v_addc_co_u32_e32 v19, vcc, v28, v19, vcc
	s_mov_b32 s2, 0
.LBB1103_102:                           ; =>This Inner Loop Header: Depth=1
	v_add_u32_e32 v28, s2, v22
	v_add_u32_e32 v32, s2, v29
	;; [unrolled: 1-line block ×8, first 2 shown]
	v_min_u32_e32 v28, 0x800, v28
	v_min_u32_e32 v32, 0x800, v32
	;; [unrolled: 1-line block ×8, first 2 shown]
	v_lshlrev_b32_e32 v28, 3, v28
	v_lshlrev_b32_e32 v32, 3, v32
	v_lshlrev_b32_e32 v33, 3, v33
	v_lshlrev_b32_e32 v40, 3, v40
	v_lshlrev_b32_e32 v30, 3, v30
	v_lshlrev_b32_e32 v35, 3, v35
	v_lshlrev_b32_e32 v36, 3, v36
	v_lshlrev_b32_e32 v39, 3, v39
	ds_write_b64 v28, v[4:5] offset:2048
	ds_write_b64 v30, v[0:1] offset:2048
	;; [unrolled: 1-line block ×8, first 2 shown]
	s_waitcnt lgkmcnt(0)
	s_barrier
	ds_read_b64 v[32:33], v23 offset:2048
	ds_read_b64 v[40:41], v24 offset:8192
	s_addk_i32 s2, 0xf800
	s_cmpk_lg_i32 s2, 0xe000
	s_waitcnt lgkmcnt(1)
	v_lshrrev_b64 v[42:43], s16, v[32:33]
	s_waitcnt lgkmcnt(0)
	v_lshrrev_b64 v[44:45], s16, v[40:41]
	v_and_b32_e32 v28, s17, v42
	v_and_b32_e32 v30, s17, v44
	v_lshlrev_b32_e32 v28, 3, v28
	v_lshlrev_b32_e32 v30, 3, v30
	ds_read_b64 v[42:43], v28
	ds_read_b64 v[44:45], v30
	v_xor_b32_e32 v33, 0x80000000, v33
	v_xor_b32_e32 v41, 0x80000000, v41
	s_waitcnt lgkmcnt(1)
	v_lshlrev_b64 v[42:43], 3, v[42:43]
	v_add_co_u32_e32 v42, vcc, v18, v42
	s_waitcnt lgkmcnt(0)
	v_lshlrev_b64 v[44:45], 3, v[44:45]
	v_addc_co_u32_e32 v43, vcc, v19, v43, vcc
	v_add_co_u32_e32 v28, vcc, v18, v44
	v_addc_co_u32_e32 v30, vcc, v19, v45, vcc
	global_store_dwordx2 v[42:43], v[32:33], off
	v_add_co_u32_e32 v32, vcc, 0x2000, v28
	v_addc_co_u32_e32 v33, vcc, 0, v30, vcc
	v_add_co_u32_e32 v18, vcc, 0x4000, v18
	v_addc_co_u32_e32 v19, vcc, 0, v19, vcc
	global_store_dwordx2 v[32:33], v[40:41], off
	s_barrier
	s_cbranch_scc1 .LBB1103_102
; %bb.103:
	s_add_i32 s7, s7, -1
	s_cmp_eq_u32 s7, s6
	s_cselect_b64 s[2:3], -1, 0
	s_and_b64 s[0:1], s[0:1], s[2:3]
.LBB1103_104:
	s_and_saveexec_b64 s[2:3], s[0:1]
	s_cbranch_execnz .LBB1103_106
; %bb.105:
	s_endpgm
.LBB1103_106:
	v_lshlrev_b32_e32 v6, 3, v2
	v_lshlrev_b64 v[0:1], 3, v[2:3]
	ds_read_b64 v[2:3], v6
	v_add_co_u32_e32 v4, vcc, v20, v38
	v_addc_co_u32_e32 v5, vcc, 0, v21, vcc
	v_mov_b32_e32 v7, s15
	v_add_co_u32_e32 v0, vcc, s14, v0
	v_addc_co_u32_e32 v1, vcc, v7, v1, vcc
	s_waitcnt lgkmcnt(0)
	v_add_co_u32_e32 v2, vcc, v4, v2
	v_addc_co_u32_e32 v3, vcc, v5, v3, vcc
	global_store_dwordx2 v[0:1], v[2:3], off
	s_endpgm
	.section	.rodata,"a",@progbits
	.p2align	6, 0x0
	.amdhsa_kernel _ZN7rocprim17ROCPRIM_400000_NS6detail17trampoline_kernelINS0_14default_configENS1_35radix_sort_onesweep_config_selectorIxNS0_10empty_typeEEEZZNS1_29radix_sort_onesweep_iterationIS3_Lb0EPxS8_PS5_S9_mNS0_19identity_decomposerENS1_16block_id_wrapperIjLb0EEEEE10hipError_tT1_PNSt15iterator_traitsISE_E10value_typeET2_T3_PNSF_ISK_E10value_typeET4_T5_PSP_SQ_PNS1_23onesweep_lookback_stateEbbT6_jjT7_P12ihipStream_tbENKUlT_T0_SE_SJ_E_clIS8_S8_S9_S9_EEDaSX_SY_SE_SJ_EUlSX_E_NS1_11comp_targetILNS1_3genE4ELNS1_11target_archE910ELNS1_3gpuE8ELNS1_3repE0EEENS1_47radix_sort_onesweep_sort_config_static_selectorELNS0_4arch9wavefront6targetE1EEEvSE_
		.amdhsa_group_segment_fixed_size 20552
		.amdhsa_private_segment_fixed_size 0
		.amdhsa_kernarg_size 344
		.amdhsa_user_sgpr_count 6
		.amdhsa_user_sgpr_private_segment_buffer 1
		.amdhsa_user_sgpr_dispatch_ptr 0
		.amdhsa_user_sgpr_queue_ptr 0
		.amdhsa_user_sgpr_kernarg_segment_ptr 1
		.amdhsa_user_sgpr_dispatch_id 0
		.amdhsa_user_sgpr_flat_scratch_init 0
		.amdhsa_user_sgpr_kernarg_preload_length 0
		.amdhsa_user_sgpr_kernarg_preload_offset 0
		.amdhsa_user_sgpr_private_segment_size 0
		.amdhsa_uses_dynamic_stack 0
		.amdhsa_system_sgpr_private_segment_wavefront_offset 0
		.amdhsa_system_sgpr_workgroup_id_x 1
		.amdhsa_system_sgpr_workgroup_id_y 0
		.amdhsa_system_sgpr_workgroup_id_z 0
		.amdhsa_system_sgpr_workgroup_info 0
		.amdhsa_system_vgpr_workitem_id 2
		.amdhsa_next_free_vgpr 55
		.amdhsa_next_free_sgpr 30
		.amdhsa_accum_offset 56
		.amdhsa_reserve_vcc 1
		.amdhsa_reserve_flat_scratch 0
		.amdhsa_float_round_mode_32 0
		.amdhsa_float_round_mode_16_64 0
		.amdhsa_float_denorm_mode_32 3
		.amdhsa_float_denorm_mode_16_64 3
		.amdhsa_dx10_clamp 1
		.amdhsa_ieee_mode 1
		.amdhsa_fp16_overflow 0
		.amdhsa_tg_split 0
		.amdhsa_exception_fp_ieee_invalid_op 0
		.amdhsa_exception_fp_denorm_src 0
		.amdhsa_exception_fp_ieee_div_zero 0
		.amdhsa_exception_fp_ieee_overflow 0
		.amdhsa_exception_fp_ieee_underflow 0
		.amdhsa_exception_fp_ieee_inexact 0
		.amdhsa_exception_int_div_zero 0
	.end_amdhsa_kernel
	.section	.text._ZN7rocprim17ROCPRIM_400000_NS6detail17trampoline_kernelINS0_14default_configENS1_35radix_sort_onesweep_config_selectorIxNS0_10empty_typeEEEZZNS1_29radix_sort_onesweep_iterationIS3_Lb0EPxS8_PS5_S9_mNS0_19identity_decomposerENS1_16block_id_wrapperIjLb0EEEEE10hipError_tT1_PNSt15iterator_traitsISE_E10value_typeET2_T3_PNSF_ISK_E10value_typeET4_T5_PSP_SQ_PNS1_23onesweep_lookback_stateEbbT6_jjT7_P12ihipStream_tbENKUlT_T0_SE_SJ_E_clIS8_S8_S9_S9_EEDaSX_SY_SE_SJ_EUlSX_E_NS1_11comp_targetILNS1_3genE4ELNS1_11target_archE910ELNS1_3gpuE8ELNS1_3repE0EEENS1_47radix_sort_onesweep_sort_config_static_selectorELNS0_4arch9wavefront6targetE1EEEvSE_,"axG",@progbits,_ZN7rocprim17ROCPRIM_400000_NS6detail17trampoline_kernelINS0_14default_configENS1_35radix_sort_onesweep_config_selectorIxNS0_10empty_typeEEEZZNS1_29radix_sort_onesweep_iterationIS3_Lb0EPxS8_PS5_S9_mNS0_19identity_decomposerENS1_16block_id_wrapperIjLb0EEEEE10hipError_tT1_PNSt15iterator_traitsISE_E10value_typeET2_T3_PNSF_ISK_E10value_typeET4_T5_PSP_SQ_PNS1_23onesweep_lookback_stateEbbT6_jjT7_P12ihipStream_tbENKUlT_T0_SE_SJ_E_clIS8_S8_S9_S9_EEDaSX_SY_SE_SJ_EUlSX_E_NS1_11comp_targetILNS1_3genE4ELNS1_11target_archE910ELNS1_3gpuE8ELNS1_3repE0EEENS1_47radix_sort_onesweep_sort_config_static_selectorELNS0_4arch9wavefront6targetE1EEEvSE_,comdat
.Lfunc_end1103:
	.size	_ZN7rocprim17ROCPRIM_400000_NS6detail17trampoline_kernelINS0_14default_configENS1_35radix_sort_onesweep_config_selectorIxNS0_10empty_typeEEEZZNS1_29radix_sort_onesweep_iterationIS3_Lb0EPxS8_PS5_S9_mNS0_19identity_decomposerENS1_16block_id_wrapperIjLb0EEEEE10hipError_tT1_PNSt15iterator_traitsISE_E10value_typeET2_T3_PNSF_ISK_E10value_typeET4_T5_PSP_SQ_PNS1_23onesweep_lookback_stateEbbT6_jjT7_P12ihipStream_tbENKUlT_T0_SE_SJ_E_clIS8_S8_S9_S9_EEDaSX_SY_SE_SJ_EUlSX_E_NS1_11comp_targetILNS1_3genE4ELNS1_11target_archE910ELNS1_3gpuE8ELNS1_3repE0EEENS1_47radix_sort_onesweep_sort_config_static_selectorELNS0_4arch9wavefront6targetE1EEEvSE_, .Lfunc_end1103-_ZN7rocprim17ROCPRIM_400000_NS6detail17trampoline_kernelINS0_14default_configENS1_35radix_sort_onesweep_config_selectorIxNS0_10empty_typeEEEZZNS1_29radix_sort_onesweep_iterationIS3_Lb0EPxS8_PS5_S9_mNS0_19identity_decomposerENS1_16block_id_wrapperIjLb0EEEEE10hipError_tT1_PNSt15iterator_traitsISE_E10value_typeET2_T3_PNSF_ISK_E10value_typeET4_T5_PSP_SQ_PNS1_23onesweep_lookback_stateEbbT6_jjT7_P12ihipStream_tbENKUlT_T0_SE_SJ_E_clIS8_S8_S9_S9_EEDaSX_SY_SE_SJ_EUlSX_E_NS1_11comp_targetILNS1_3genE4ELNS1_11target_archE910ELNS1_3gpuE8ELNS1_3repE0EEENS1_47radix_sort_onesweep_sort_config_static_selectorELNS0_4arch9wavefront6targetE1EEEvSE_
                                        ; -- End function
	.section	.AMDGPU.csdata,"",@progbits
; Kernel info:
; codeLenInByte = 10368
; NumSgprs: 34
; NumVgprs: 55
; NumAgprs: 0
; TotalNumVgprs: 55
; ScratchSize: 0
; MemoryBound: 0
; FloatMode: 240
; IeeeMode: 1
; LDSByteSize: 20552 bytes/workgroup (compile time only)
; SGPRBlocks: 4
; VGPRBlocks: 6
; NumSGPRsForWavesPerEU: 34
; NumVGPRsForWavesPerEU: 55
; AccumOffset: 56
; Occupancy: 8
; WaveLimiterHint : 1
; COMPUTE_PGM_RSRC2:SCRATCH_EN: 0
; COMPUTE_PGM_RSRC2:USER_SGPR: 6
; COMPUTE_PGM_RSRC2:TRAP_HANDLER: 0
; COMPUTE_PGM_RSRC2:TGID_X_EN: 1
; COMPUTE_PGM_RSRC2:TGID_Y_EN: 0
; COMPUTE_PGM_RSRC2:TGID_Z_EN: 0
; COMPUTE_PGM_RSRC2:TIDIG_COMP_CNT: 2
; COMPUTE_PGM_RSRC3_GFX90A:ACCUM_OFFSET: 13
; COMPUTE_PGM_RSRC3_GFX90A:TG_SPLIT: 0
	.section	.text._ZN7rocprim17ROCPRIM_400000_NS6detail17trampoline_kernelINS0_14default_configENS1_35radix_sort_onesweep_config_selectorIxNS0_10empty_typeEEEZZNS1_29radix_sort_onesweep_iterationIS3_Lb0EPxS8_PS5_S9_mNS0_19identity_decomposerENS1_16block_id_wrapperIjLb0EEEEE10hipError_tT1_PNSt15iterator_traitsISE_E10value_typeET2_T3_PNSF_ISK_E10value_typeET4_T5_PSP_SQ_PNS1_23onesweep_lookback_stateEbbT6_jjT7_P12ihipStream_tbENKUlT_T0_SE_SJ_E_clIS8_S8_S9_S9_EEDaSX_SY_SE_SJ_EUlSX_E_NS1_11comp_targetILNS1_3genE3ELNS1_11target_archE908ELNS1_3gpuE7ELNS1_3repE0EEENS1_47radix_sort_onesweep_sort_config_static_selectorELNS0_4arch9wavefront6targetE1EEEvSE_,"axG",@progbits,_ZN7rocprim17ROCPRIM_400000_NS6detail17trampoline_kernelINS0_14default_configENS1_35radix_sort_onesweep_config_selectorIxNS0_10empty_typeEEEZZNS1_29radix_sort_onesweep_iterationIS3_Lb0EPxS8_PS5_S9_mNS0_19identity_decomposerENS1_16block_id_wrapperIjLb0EEEEE10hipError_tT1_PNSt15iterator_traitsISE_E10value_typeET2_T3_PNSF_ISK_E10value_typeET4_T5_PSP_SQ_PNS1_23onesweep_lookback_stateEbbT6_jjT7_P12ihipStream_tbENKUlT_T0_SE_SJ_E_clIS8_S8_S9_S9_EEDaSX_SY_SE_SJ_EUlSX_E_NS1_11comp_targetILNS1_3genE3ELNS1_11target_archE908ELNS1_3gpuE7ELNS1_3repE0EEENS1_47radix_sort_onesweep_sort_config_static_selectorELNS0_4arch9wavefront6targetE1EEEvSE_,comdat
	.protected	_ZN7rocprim17ROCPRIM_400000_NS6detail17trampoline_kernelINS0_14default_configENS1_35radix_sort_onesweep_config_selectorIxNS0_10empty_typeEEEZZNS1_29radix_sort_onesweep_iterationIS3_Lb0EPxS8_PS5_S9_mNS0_19identity_decomposerENS1_16block_id_wrapperIjLb0EEEEE10hipError_tT1_PNSt15iterator_traitsISE_E10value_typeET2_T3_PNSF_ISK_E10value_typeET4_T5_PSP_SQ_PNS1_23onesweep_lookback_stateEbbT6_jjT7_P12ihipStream_tbENKUlT_T0_SE_SJ_E_clIS8_S8_S9_S9_EEDaSX_SY_SE_SJ_EUlSX_E_NS1_11comp_targetILNS1_3genE3ELNS1_11target_archE908ELNS1_3gpuE7ELNS1_3repE0EEENS1_47radix_sort_onesweep_sort_config_static_selectorELNS0_4arch9wavefront6targetE1EEEvSE_ ; -- Begin function _ZN7rocprim17ROCPRIM_400000_NS6detail17trampoline_kernelINS0_14default_configENS1_35radix_sort_onesweep_config_selectorIxNS0_10empty_typeEEEZZNS1_29radix_sort_onesweep_iterationIS3_Lb0EPxS8_PS5_S9_mNS0_19identity_decomposerENS1_16block_id_wrapperIjLb0EEEEE10hipError_tT1_PNSt15iterator_traitsISE_E10value_typeET2_T3_PNSF_ISK_E10value_typeET4_T5_PSP_SQ_PNS1_23onesweep_lookback_stateEbbT6_jjT7_P12ihipStream_tbENKUlT_T0_SE_SJ_E_clIS8_S8_S9_S9_EEDaSX_SY_SE_SJ_EUlSX_E_NS1_11comp_targetILNS1_3genE3ELNS1_11target_archE908ELNS1_3gpuE7ELNS1_3repE0EEENS1_47radix_sort_onesweep_sort_config_static_selectorELNS0_4arch9wavefront6targetE1EEEvSE_
	.globl	_ZN7rocprim17ROCPRIM_400000_NS6detail17trampoline_kernelINS0_14default_configENS1_35radix_sort_onesweep_config_selectorIxNS0_10empty_typeEEEZZNS1_29radix_sort_onesweep_iterationIS3_Lb0EPxS8_PS5_S9_mNS0_19identity_decomposerENS1_16block_id_wrapperIjLb0EEEEE10hipError_tT1_PNSt15iterator_traitsISE_E10value_typeET2_T3_PNSF_ISK_E10value_typeET4_T5_PSP_SQ_PNS1_23onesweep_lookback_stateEbbT6_jjT7_P12ihipStream_tbENKUlT_T0_SE_SJ_E_clIS8_S8_S9_S9_EEDaSX_SY_SE_SJ_EUlSX_E_NS1_11comp_targetILNS1_3genE3ELNS1_11target_archE908ELNS1_3gpuE7ELNS1_3repE0EEENS1_47radix_sort_onesweep_sort_config_static_selectorELNS0_4arch9wavefront6targetE1EEEvSE_
	.p2align	8
	.type	_ZN7rocprim17ROCPRIM_400000_NS6detail17trampoline_kernelINS0_14default_configENS1_35radix_sort_onesweep_config_selectorIxNS0_10empty_typeEEEZZNS1_29radix_sort_onesweep_iterationIS3_Lb0EPxS8_PS5_S9_mNS0_19identity_decomposerENS1_16block_id_wrapperIjLb0EEEEE10hipError_tT1_PNSt15iterator_traitsISE_E10value_typeET2_T3_PNSF_ISK_E10value_typeET4_T5_PSP_SQ_PNS1_23onesweep_lookback_stateEbbT6_jjT7_P12ihipStream_tbENKUlT_T0_SE_SJ_E_clIS8_S8_S9_S9_EEDaSX_SY_SE_SJ_EUlSX_E_NS1_11comp_targetILNS1_3genE3ELNS1_11target_archE908ELNS1_3gpuE7ELNS1_3repE0EEENS1_47radix_sort_onesweep_sort_config_static_selectorELNS0_4arch9wavefront6targetE1EEEvSE_,@function
_ZN7rocprim17ROCPRIM_400000_NS6detail17trampoline_kernelINS0_14default_configENS1_35radix_sort_onesweep_config_selectorIxNS0_10empty_typeEEEZZNS1_29radix_sort_onesweep_iterationIS3_Lb0EPxS8_PS5_S9_mNS0_19identity_decomposerENS1_16block_id_wrapperIjLb0EEEEE10hipError_tT1_PNSt15iterator_traitsISE_E10value_typeET2_T3_PNSF_ISK_E10value_typeET4_T5_PSP_SQ_PNS1_23onesweep_lookback_stateEbbT6_jjT7_P12ihipStream_tbENKUlT_T0_SE_SJ_E_clIS8_S8_S9_S9_EEDaSX_SY_SE_SJ_EUlSX_E_NS1_11comp_targetILNS1_3genE3ELNS1_11target_archE908ELNS1_3gpuE7ELNS1_3repE0EEENS1_47radix_sort_onesweep_sort_config_static_selectorELNS0_4arch9wavefront6targetE1EEEvSE_: ; @_ZN7rocprim17ROCPRIM_400000_NS6detail17trampoline_kernelINS0_14default_configENS1_35radix_sort_onesweep_config_selectorIxNS0_10empty_typeEEEZZNS1_29radix_sort_onesweep_iterationIS3_Lb0EPxS8_PS5_S9_mNS0_19identity_decomposerENS1_16block_id_wrapperIjLb0EEEEE10hipError_tT1_PNSt15iterator_traitsISE_E10value_typeET2_T3_PNSF_ISK_E10value_typeET4_T5_PSP_SQ_PNS1_23onesweep_lookback_stateEbbT6_jjT7_P12ihipStream_tbENKUlT_T0_SE_SJ_E_clIS8_S8_S9_S9_EEDaSX_SY_SE_SJ_EUlSX_E_NS1_11comp_targetILNS1_3genE3ELNS1_11target_archE908ELNS1_3gpuE7ELNS1_3repE0EEENS1_47radix_sort_onesweep_sort_config_static_selectorELNS0_4arch9wavefront6targetE1EEEvSE_
; %bb.0:
	.section	.rodata,"a",@progbits
	.p2align	6, 0x0
	.amdhsa_kernel _ZN7rocprim17ROCPRIM_400000_NS6detail17trampoline_kernelINS0_14default_configENS1_35radix_sort_onesweep_config_selectorIxNS0_10empty_typeEEEZZNS1_29radix_sort_onesweep_iterationIS3_Lb0EPxS8_PS5_S9_mNS0_19identity_decomposerENS1_16block_id_wrapperIjLb0EEEEE10hipError_tT1_PNSt15iterator_traitsISE_E10value_typeET2_T3_PNSF_ISK_E10value_typeET4_T5_PSP_SQ_PNS1_23onesweep_lookback_stateEbbT6_jjT7_P12ihipStream_tbENKUlT_T0_SE_SJ_E_clIS8_S8_S9_S9_EEDaSX_SY_SE_SJ_EUlSX_E_NS1_11comp_targetILNS1_3genE3ELNS1_11target_archE908ELNS1_3gpuE7ELNS1_3repE0EEENS1_47radix_sort_onesweep_sort_config_static_selectorELNS0_4arch9wavefront6targetE1EEEvSE_
		.amdhsa_group_segment_fixed_size 0
		.amdhsa_private_segment_fixed_size 0
		.amdhsa_kernarg_size 88
		.amdhsa_user_sgpr_count 6
		.amdhsa_user_sgpr_private_segment_buffer 1
		.amdhsa_user_sgpr_dispatch_ptr 0
		.amdhsa_user_sgpr_queue_ptr 0
		.amdhsa_user_sgpr_kernarg_segment_ptr 1
		.amdhsa_user_sgpr_dispatch_id 0
		.amdhsa_user_sgpr_flat_scratch_init 0
		.amdhsa_user_sgpr_kernarg_preload_length 0
		.amdhsa_user_sgpr_kernarg_preload_offset 0
		.amdhsa_user_sgpr_private_segment_size 0
		.amdhsa_uses_dynamic_stack 0
		.amdhsa_system_sgpr_private_segment_wavefront_offset 0
		.amdhsa_system_sgpr_workgroup_id_x 1
		.amdhsa_system_sgpr_workgroup_id_y 0
		.amdhsa_system_sgpr_workgroup_id_z 0
		.amdhsa_system_sgpr_workgroup_info 0
		.amdhsa_system_vgpr_workitem_id 0
		.amdhsa_next_free_vgpr 1
		.amdhsa_next_free_sgpr 0
		.amdhsa_accum_offset 4
		.amdhsa_reserve_vcc 0
		.amdhsa_reserve_flat_scratch 0
		.amdhsa_float_round_mode_32 0
		.amdhsa_float_round_mode_16_64 0
		.amdhsa_float_denorm_mode_32 3
		.amdhsa_float_denorm_mode_16_64 3
		.amdhsa_dx10_clamp 1
		.amdhsa_ieee_mode 1
		.amdhsa_fp16_overflow 0
		.amdhsa_tg_split 0
		.amdhsa_exception_fp_ieee_invalid_op 0
		.amdhsa_exception_fp_denorm_src 0
		.amdhsa_exception_fp_ieee_div_zero 0
		.amdhsa_exception_fp_ieee_overflow 0
		.amdhsa_exception_fp_ieee_underflow 0
		.amdhsa_exception_fp_ieee_inexact 0
		.amdhsa_exception_int_div_zero 0
	.end_amdhsa_kernel
	.section	.text._ZN7rocprim17ROCPRIM_400000_NS6detail17trampoline_kernelINS0_14default_configENS1_35radix_sort_onesweep_config_selectorIxNS0_10empty_typeEEEZZNS1_29radix_sort_onesweep_iterationIS3_Lb0EPxS8_PS5_S9_mNS0_19identity_decomposerENS1_16block_id_wrapperIjLb0EEEEE10hipError_tT1_PNSt15iterator_traitsISE_E10value_typeET2_T3_PNSF_ISK_E10value_typeET4_T5_PSP_SQ_PNS1_23onesweep_lookback_stateEbbT6_jjT7_P12ihipStream_tbENKUlT_T0_SE_SJ_E_clIS8_S8_S9_S9_EEDaSX_SY_SE_SJ_EUlSX_E_NS1_11comp_targetILNS1_3genE3ELNS1_11target_archE908ELNS1_3gpuE7ELNS1_3repE0EEENS1_47radix_sort_onesweep_sort_config_static_selectorELNS0_4arch9wavefront6targetE1EEEvSE_,"axG",@progbits,_ZN7rocprim17ROCPRIM_400000_NS6detail17trampoline_kernelINS0_14default_configENS1_35radix_sort_onesweep_config_selectorIxNS0_10empty_typeEEEZZNS1_29radix_sort_onesweep_iterationIS3_Lb0EPxS8_PS5_S9_mNS0_19identity_decomposerENS1_16block_id_wrapperIjLb0EEEEE10hipError_tT1_PNSt15iterator_traitsISE_E10value_typeET2_T3_PNSF_ISK_E10value_typeET4_T5_PSP_SQ_PNS1_23onesweep_lookback_stateEbbT6_jjT7_P12ihipStream_tbENKUlT_T0_SE_SJ_E_clIS8_S8_S9_S9_EEDaSX_SY_SE_SJ_EUlSX_E_NS1_11comp_targetILNS1_3genE3ELNS1_11target_archE908ELNS1_3gpuE7ELNS1_3repE0EEENS1_47radix_sort_onesweep_sort_config_static_selectorELNS0_4arch9wavefront6targetE1EEEvSE_,comdat
.Lfunc_end1104:
	.size	_ZN7rocprim17ROCPRIM_400000_NS6detail17trampoline_kernelINS0_14default_configENS1_35radix_sort_onesweep_config_selectorIxNS0_10empty_typeEEEZZNS1_29radix_sort_onesweep_iterationIS3_Lb0EPxS8_PS5_S9_mNS0_19identity_decomposerENS1_16block_id_wrapperIjLb0EEEEE10hipError_tT1_PNSt15iterator_traitsISE_E10value_typeET2_T3_PNSF_ISK_E10value_typeET4_T5_PSP_SQ_PNS1_23onesweep_lookback_stateEbbT6_jjT7_P12ihipStream_tbENKUlT_T0_SE_SJ_E_clIS8_S8_S9_S9_EEDaSX_SY_SE_SJ_EUlSX_E_NS1_11comp_targetILNS1_3genE3ELNS1_11target_archE908ELNS1_3gpuE7ELNS1_3repE0EEENS1_47radix_sort_onesweep_sort_config_static_selectorELNS0_4arch9wavefront6targetE1EEEvSE_, .Lfunc_end1104-_ZN7rocprim17ROCPRIM_400000_NS6detail17trampoline_kernelINS0_14default_configENS1_35radix_sort_onesweep_config_selectorIxNS0_10empty_typeEEEZZNS1_29radix_sort_onesweep_iterationIS3_Lb0EPxS8_PS5_S9_mNS0_19identity_decomposerENS1_16block_id_wrapperIjLb0EEEEE10hipError_tT1_PNSt15iterator_traitsISE_E10value_typeET2_T3_PNSF_ISK_E10value_typeET4_T5_PSP_SQ_PNS1_23onesweep_lookback_stateEbbT6_jjT7_P12ihipStream_tbENKUlT_T0_SE_SJ_E_clIS8_S8_S9_S9_EEDaSX_SY_SE_SJ_EUlSX_E_NS1_11comp_targetILNS1_3genE3ELNS1_11target_archE908ELNS1_3gpuE7ELNS1_3repE0EEENS1_47radix_sort_onesweep_sort_config_static_selectorELNS0_4arch9wavefront6targetE1EEEvSE_
                                        ; -- End function
	.section	.AMDGPU.csdata,"",@progbits
; Kernel info:
; codeLenInByte = 0
; NumSgprs: 4
; NumVgprs: 0
; NumAgprs: 0
; TotalNumVgprs: 0
; ScratchSize: 0
; MemoryBound: 0
; FloatMode: 240
; IeeeMode: 1
; LDSByteSize: 0 bytes/workgroup (compile time only)
; SGPRBlocks: 0
; VGPRBlocks: 0
; NumSGPRsForWavesPerEU: 4
; NumVGPRsForWavesPerEU: 1
; AccumOffset: 4
; Occupancy: 8
; WaveLimiterHint : 0
; COMPUTE_PGM_RSRC2:SCRATCH_EN: 0
; COMPUTE_PGM_RSRC2:USER_SGPR: 6
; COMPUTE_PGM_RSRC2:TRAP_HANDLER: 0
; COMPUTE_PGM_RSRC2:TGID_X_EN: 1
; COMPUTE_PGM_RSRC2:TGID_Y_EN: 0
; COMPUTE_PGM_RSRC2:TGID_Z_EN: 0
; COMPUTE_PGM_RSRC2:TIDIG_COMP_CNT: 0
; COMPUTE_PGM_RSRC3_GFX90A:ACCUM_OFFSET: 0
; COMPUTE_PGM_RSRC3_GFX90A:TG_SPLIT: 0
	.section	.text._ZN7rocprim17ROCPRIM_400000_NS6detail17trampoline_kernelINS0_14default_configENS1_35radix_sort_onesweep_config_selectorIxNS0_10empty_typeEEEZZNS1_29radix_sort_onesweep_iterationIS3_Lb0EPxS8_PS5_S9_mNS0_19identity_decomposerENS1_16block_id_wrapperIjLb0EEEEE10hipError_tT1_PNSt15iterator_traitsISE_E10value_typeET2_T3_PNSF_ISK_E10value_typeET4_T5_PSP_SQ_PNS1_23onesweep_lookback_stateEbbT6_jjT7_P12ihipStream_tbENKUlT_T0_SE_SJ_E_clIS8_S8_S9_S9_EEDaSX_SY_SE_SJ_EUlSX_E_NS1_11comp_targetILNS1_3genE10ELNS1_11target_archE1201ELNS1_3gpuE5ELNS1_3repE0EEENS1_47radix_sort_onesweep_sort_config_static_selectorELNS0_4arch9wavefront6targetE1EEEvSE_,"axG",@progbits,_ZN7rocprim17ROCPRIM_400000_NS6detail17trampoline_kernelINS0_14default_configENS1_35radix_sort_onesweep_config_selectorIxNS0_10empty_typeEEEZZNS1_29radix_sort_onesweep_iterationIS3_Lb0EPxS8_PS5_S9_mNS0_19identity_decomposerENS1_16block_id_wrapperIjLb0EEEEE10hipError_tT1_PNSt15iterator_traitsISE_E10value_typeET2_T3_PNSF_ISK_E10value_typeET4_T5_PSP_SQ_PNS1_23onesweep_lookback_stateEbbT6_jjT7_P12ihipStream_tbENKUlT_T0_SE_SJ_E_clIS8_S8_S9_S9_EEDaSX_SY_SE_SJ_EUlSX_E_NS1_11comp_targetILNS1_3genE10ELNS1_11target_archE1201ELNS1_3gpuE5ELNS1_3repE0EEENS1_47radix_sort_onesweep_sort_config_static_selectorELNS0_4arch9wavefront6targetE1EEEvSE_,comdat
	.protected	_ZN7rocprim17ROCPRIM_400000_NS6detail17trampoline_kernelINS0_14default_configENS1_35radix_sort_onesweep_config_selectorIxNS0_10empty_typeEEEZZNS1_29radix_sort_onesweep_iterationIS3_Lb0EPxS8_PS5_S9_mNS0_19identity_decomposerENS1_16block_id_wrapperIjLb0EEEEE10hipError_tT1_PNSt15iterator_traitsISE_E10value_typeET2_T3_PNSF_ISK_E10value_typeET4_T5_PSP_SQ_PNS1_23onesweep_lookback_stateEbbT6_jjT7_P12ihipStream_tbENKUlT_T0_SE_SJ_E_clIS8_S8_S9_S9_EEDaSX_SY_SE_SJ_EUlSX_E_NS1_11comp_targetILNS1_3genE10ELNS1_11target_archE1201ELNS1_3gpuE5ELNS1_3repE0EEENS1_47radix_sort_onesweep_sort_config_static_selectorELNS0_4arch9wavefront6targetE1EEEvSE_ ; -- Begin function _ZN7rocprim17ROCPRIM_400000_NS6detail17trampoline_kernelINS0_14default_configENS1_35radix_sort_onesweep_config_selectorIxNS0_10empty_typeEEEZZNS1_29radix_sort_onesweep_iterationIS3_Lb0EPxS8_PS5_S9_mNS0_19identity_decomposerENS1_16block_id_wrapperIjLb0EEEEE10hipError_tT1_PNSt15iterator_traitsISE_E10value_typeET2_T3_PNSF_ISK_E10value_typeET4_T5_PSP_SQ_PNS1_23onesweep_lookback_stateEbbT6_jjT7_P12ihipStream_tbENKUlT_T0_SE_SJ_E_clIS8_S8_S9_S9_EEDaSX_SY_SE_SJ_EUlSX_E_NS1_11comp_targetILNS1_3genE10ELNS1_11target_archE1201ELNS1_3gpuE5ELNS1_3repE0EEENS1_47radix_sort_onesweep_sort_config_static_selectorELNS0_4arch9wavefront6targetE1EEEvSE_
	.globl	_ZN7rocprim17ROCPRIM_400000_NS6detail17trampoline_kernelINS0_14default_configENS1_35radix_sort_onesweep_config_selectorIxNS0_10empty_typeEEEZZNS1_29radix_sort_onesweep_iterationIS3_Lb0EPxS8_PS5_S9_mNS0_19identity_decomposerENS1_16block_id_wrapperIjLb0EEEEE10hipError_tT1_PNSt15iterator_traitsISE_E10value_typeET2_T3_PNSF_ISK_E10value_typeET4_T5_PSP_SQ_PNS1_23onesweep_lookback_stateEbbT6_jjT7_P12ihipStream_tbENKUlT_T0_SE_SJ_E_clIS8_S8_S9_S9_EEDaSX_SY_SE_SJ_EUlSX_E_NS1_11comp_targetILNS1_3genE10ELNS1_11target_archE1201ELNS1_3gpuE5ELNS1_3repE0EEENS1_47radix_sort_onesweep_sort_config_static_selectorELNS0_4arch9wavefront6targetE1EEEvSE_
	.p2align	8
	.type	_ZN7rocprim17ROCPRIM_400000_NS6detail17trampoline_kernelINS0_14default_configENS1_35radix_sort_onesweep_config_selectorIxNS0_10empty_typeEEEZZNS1_29radix_sort_onesweep_iterationIS3_Lb0EPxS8_PS5_S9_mNS0_19identity_decomposerENS1_16block_id_wrapperIjLb0EEEEE10hipError_tT1_PNSt15iterator_traitsISE_E10value_typeET2_T3_PNSF_ISK_E10value_typeET4_T5_PSP_SQ_PNS1_23onesweep_lookback_stateEbbT6_jjT7_P12ihipStream_tbENKUlT_T0_SE_SJ_E_clIS8_S8_S9_S9_EEDaSX_SY_SE_SJ_EUlSX_E_NS1_11comp_targetILNS1_3genE10ELNS1_11target_archE1201ELNS1_3gpuE5ELNS1_3repE0EEENS1_47radix_sort_onesweep_sort_config_static_selectorELNS0_4arch9wavefront6targetE1EEEvSE_,@function
_ZN7rocprim17ROCPRIM_400000_NS6detail17trampoline_kernelINS0_14default_configENS1_35radix_sort_onesweep_config_selectorIxNS0_10empty_typeEEEZZNS1_29radix_sort_onesweep_iterationIS3_Lb0EPxS8_PS5_S9_mNS0_19identity_decomposerENS1_16block_id_wrapperIjLb0EEEEE10hipError_tT1_PNSt15iterator_traitsISE_E10value_typeET2_T3_PNSF_ISK_E10value_typeET4_T5_PSP_SQ_PNS1_23onesweep_lookback_stateEbbT6_jjT7_P12ihipStream_tbENKUlT_T0_SE_SJ_E_clIS8_S8_S9_S9_EEDaSX_SY_SE_SJ_EUlSX_E_NS1_11comp_targetILNS1_3genE10ELNS1_11target_archE1201ELNS1_3gpuE5ELNS1_3repE0EEENS1_47radix_sort_onesweep_sort_config_static_selectorELNS0_4arch9wavefront6targetE1EEEvSE_: ; @_ZN7rocprim17ROCPRIM_400000_NS6detail17trampoline_kernelINS0_14default_configENS1_35radix_sort_onesweep_config_selectorIxNS0_10empty_typeEEEZZNS1_29radix_sort_onesweep_iterationIS3_Lb0EPxS8_PS5_S9_mNS0_19identity_decomposerENS1_16block_id_wrapperIjLb0EEEEE10hipError_tT1_PNSt15iterator_traitsISE_E10value_typeET2_T3_PNSF_ISK_E10value_typeET4_T5_PSP_SQ_PNS1_23onesweep_lookback_stateEbbT6_jjT7_P12ihipStream_tbENKUlT_T0_SE_SJ_E_clIS8_S8_S9_S9_EEDaSX_SY_SE_SJ_EUlSX_E_NS1_11comp_targetILNS1_3genE10ELNS1_11target_archE1201ELNS1_3gpuE5ELNS1_3repE0EEENS1_47radix_sort_onesweep_sort_config_static_selectorELNS0_4arch9wavefront6targetE1EEEvSE_
; %bb.0:
	.section	.rodata,"a",@progbits
	.p2align	6, 0x0
	.amdhsa_kernel _ZN7rocprim17ROCPRIM_400000_NS6detail17trampoline_kernelINS0_14default_configENS1_35radix_sort_onesweep_config_selectorIxNS0_10empty_typeEEEZZNS1_29radix_sort_onesweep_iterationIS3_Lb0EPxS8_PS5_S9_mNS0_19identity_decomposerENS1_16block_id_wrapperIjLb0EEEEE10hipError_tT1_PNSt15iterator_traitsISE_E10value_typeET2_T3_PNSF_ISK_E10value_typeET4_T5_PSP_SQ_PNS1_23onesweep_lookback_stateEbbT6_jjT7_P12ihipStream_tbENKUlT_T0_SE_SJ_E_clIS8_S8_S9_S9_EEDaSX_SY_SE_SJ_EUlSX_E_NS1_11comp_targetILNS1_3genE10ELNS1_11target_archE1201ELNS1_3gpuE5ELNS1_3repE0EEENS1_47radix_sort_onesweep_sort_config_static_selectorELNS0_4arch9wavefront6targetE1EEEvSE_
		.amdhsa_group_segment_fixed_size 0
		.amdhsa_private_segment_fixed_size 0
		.amdhsa_kernarg_size 88
		.amdhsa_user_sgpr_count 6
		.amdhsa_user_sgpr_private_segment_buffer 1
		.amdhsa_user_sgpr_dispatch_ptr 0
		.amdhsa_user_sgpr_queue_ptr 0
		.amdhsa_user_sgpr_kernarg_segment_ptr 1
		.amdhsa_user_sgpr_dispatch_id 0
		.amdhsa_user_sgpr_flat_scratch_init 0
		.amdhsa_user_sgpr_kernarg_preload_length 0
		.amdhsa_user_sgpr_kernarg_preload_offset 0
		.amdhsa_user_sgpr_private_segment_size 0
		.amdhsa_uses_dynamic_stack 0
		.amdhsa_system_sgpr_private_segment_wavefront_offset 0
		.amdhsa_system_sgpr_workgroup_id_x 1
		.amdhsa_system_sgpr_workgroup_id_y 0
		.amdhsa_system_sgpr_workgroup_id_z 0
		.amdhsa_system_sgpr_workgroup_info 0
		.amdhsa_system_vgpr_workitem_id 0
		.amdhsa_next_free_vgpr 1
		.amdhsa_next_free_sgpr 0
		.amdhsa_accum_offset 4
		.amdhsa_reserve_vcc 0
		.amdhsa_reserve_flat_scratch 0
		.amdhsa_float_round_mode_32 0
		.amdhsa_float_round_mode_16_64 0
		.amdhsa_float_denorm_mode_32 3
		.amdhsa_float_denorm_mode_16_64 3
		.amdhsa_dx10_clamp 1
		.amdhsa_ieee_mode 1
		.amdhsa_fp16_overflow 0
		.amdhsa_tg_split 0
		.amdhsa_exception_fp_ieee_invalid_op 0
		.amdhsa_exception_fp_denorm_src 0
		.amdhsa_exception_fp_ieee_div_zero 0
		.amdhsa_exception_fp_ieee_overflow 0
		.amdhsa_exception_fp_ieee_underflow 0
		.amdhsa_exception_fp_ieee_inexact 0
		.amdhsa_exception_int_div_zero 0
	.end_amdhsa_kernel
	.section	.text._ZN7rocprim17ROCPRIM_400000_NS6detail17trampoline_kernelINS0_14default_configENS1_35radix_sort_onesweep_config_selectorIxNS0_10empty_typeEEEZZNS1_29radix_sort_onesweep_iterationIS3_Lb0EPxS8_PS5_S9_mNS0_19identity_decomposerENS1_16block_id_wrapperIjLb0EEEEE10hipError_tT1_PNSt15iterator_traitsISE_E10value_typeET2_T3_PNSF_ISK_E10value_typeET4_T5_PSP_SQ_PNS1_23onesweep_lookback_stateEbbT6_jjT7_P12ihipStream_tbENKUlT_T0_SE_SJ_E_clIS8_S8_S9_S9_EEDaSX_SY_SE_SJ_EUlSX_E_NS1_11comp_targetILNS1_3genE10ELNS1_11target_archE1201ELNS1_3gpuE5ELNS1_3repE0EEENS1_47radix_sort_onesweep_sort_config_static_selectorELNS0_4arch9wavefront6targetE1EEEvSE_,"axG",@progbits,_ZN7rocprim17ROCPRIM_400000_NS6detail17trampoline_kernelINS0_14default_configENS1_35radix_sort_onesweep_config_selectorIxNS0_10empty_typeEEEZZNS1_29radix_sort_onesweep_iterationIS3_Lb0EPxS8_PS5_S9_mNS0_19identity_decomposerENS1_16block_id_wrapperIjLb0EEEEE10hipError_tT1_PNSt15iterator_traitsISE_E10value_typeET2_T3_PNSF_ISK_E10value_typeET4_T5_PSP_SQ_PNS1_23onesweep_lookback_stateEbbT6_jjT7_P12ihipStream_tbENKUlT_T0_SE_SJ_E_clIS8_S8_S9_S9_EEDaSX_SY_SE_SJ_EUlSX_E_NS1_11comp_targetILNS1_3genE10ELNS1_11target_archE1201ELNS1_3gpuE5ELNS1_3repE0EEENS1_47radix_sort_onesweep_sort_config_static_selectorELNS0_4arch9wavefront6targetE1EEEvSE_,comdat
.Lfunc_end1105:
	.size	_ZN7rocprim17ROCPRIM_400000_NS6detail17trampoline_kernelINS0_14default_configENS1_35radix_sort_onesweep_config_selectorIxNS0_10empty_typeEEEZZNS1_29radix_sort_onesweep_iterationIS3_Lb0EPxS8_PS5_S9_mNS0_19identity_decomposerENS1_16block_id_wrapperIjLb0EEEEE10hipError_tT1_PNSt15iterator_traitsISE_E10value_typeET2_T3_PNSF_ISK_E10value_typeET4_T5_PSP_SQ_PNS1_23onesweep_lookback_stateEbbT6_jjT7_P12ihipStream_tbENKUlT_T0_SE_SJ_E_clIS8_S8_S9_S9_EEDaSX_SY_SE_SJ_EUlSX_E_NS1_11comp_targetILNS1_3genE10ELNS1_11target_archE1201ELNS1_3gpuE5ELNS1_3repE0EEENS1_47radix_sort_onesweep_sort_config_static_selectorELNS0_4arch9wavefront6targetE1EEEvSE_, .Lfunc_end1105-_ZN7rocprim17ROCPRIM_400000_NS6detail17trampoline_kernelINS0_14default_configENS1_35radix_sort_onesweep_config_selectorIxNS0_10empty_typeEEEZZNS1_29radix_sort_onesweep_iterationIS3_Lb0EPxS8_PS5_S9_mNS0_19identity_decomposerENS1_16block_id_wrapperIjLb0EEEEE10hipError_tT1_PNSt15iterator_traitsISE_E10value_typeET2_T3_PNSF_ISK_E10value_typeET4_T5_PSP_SQ_PNS1_23onesweep_lookback_stateEbbT6_jjT7_P12ihipStream_tbENKUlT_T0_SE_SJ_E_clIS8_S8_S9_S9_EEDaSX_SY_SE_SJ_EUlSX_E_NS1_11comp_targetILNS1_3genE10ELNS1_11target_archE1201ELNS1_3gpuE5ELNS1_3repE0EEENS1_47radix_sort_onesweep_sort_config_static_selectorELNS0_4arch9wavefront6targetE1EEEvSE_
                                        ; -- End function
	.section	.AMDGPU.csdata,"",@progbits
; Kernel info:
; codeLenInByte = 0
; NumSgprs: 4
; NumVgprs: 0
; NumAgprs: 0
; TotalNumVgprs: 0
; ScratchSize: 0
; MemoryBound: 0
; FloatMode: 240
; IeeeMode: 1
; LDSByteSize: 0 bytes/workgroup (compile time only)
; SGPRBlocks: 0
; VGPRBlocks: 0
; NumSGPRsForWavesPerEU: 4
; NumVGPRsForWavesPerEU: 1
; AccumOffset: 4
; Occupancy: 8
; WaveLimiterHint : 0
; COMPUTE_PGM_RSRC2:SCRATCH_EN: 0
; COMPUTE_PGM_RSRC2:USER_SGPR: 6
; COMPUTE_PGM_RSRC2:TRAP_HANDLER: 0
; COMPUTE_PGM_RSRC2:TGID_X_EN: 1
; COMPUTE_PGM_RSRC2:TGID_Y_EN: 0
; COMPUTE_PGM_RSRC2:TGID_Z_EN: 0
; COMPUTE_PGM_RSRC2:TIDIG_COMP_CNT: 0
; COMPUTE_PGM_RSRC3_GFX90A:ACCUM_OFFSET: 0
; COMPUTE_PGM_RSRC3_GFX90A:TG_SPLIT: 0
	.section	.text._ZN7rocprim17ROCPRIM_400000_NS6detail17trampoline_kernelINS0_14default_configENS1_35radix_sort_onesweep_config_selectorIxNS0_10empty_typeEEEZZNS1_29radix_sort_onesweep_iterationIS3_Lb0EPxS8_PS5_S9_mNS0_19identity_decomposerENS1_16block_id_wrapperIjLb0EEEEE10hipError_tT1_PNSt15iterator_traitsISE_E10value_typeET2_T3_PNSF_ISK_E10value_typeET4_T5_PSP_SQ_PNS1_23onesweep_lookback_stateEbbT6_jjT7_P12ihipStream_tbENKUlT_T0_SE_SJ_E_clIS8_S8_S9_S9_EEDaSX_SY_SE_SJ_EUlSX_E_NS1_11comp_targetILNS1_3genE9ELNS1_11target_archE1100ELNS1_3gpuE3ELNS1_3repE0EEENS1_47radix_sort_onesweep_sort_config_static_selectorELNS0_4arch9wavefront6targetE1EEEvSE_,"axG",@progbits,_ZN7rocprim17ROCPRIM_400000_NS6detail17trampoline_kernelINS0_14default_configENS1_35radix_sort_onesweep_config_selectorIxNS0_10empty_typeEEEZZNS1_29radix_sort_onesweep_iterationIS3_Lb0EPxS8_PS5_S9_mNS0_19identity_decomposerENS1_16block_id_wrapperIjLb0EEEEE10hipError_tT1_PNSt15iterator_traitsISE_E10value_typeET2_T3_PNSF_ISK_E10value_typeET4_T5_PSP_SQ_PNS1_23onesweep_lookback_stateEbbT6_jjT7_P12ihipStream_tbENKUlT_T0_SE_SJ_E_clIS8_S8_S9_S9_EEDaSX_SY_SE_SJ_EUlSX_E_NS1_11comp_targetILNS1_3genE9ELNS1_11target_archE1100ELNS1_3gpuE3ELNS1_3repE0EEENS1_47radix_sort_onesweep_sort_config_static_selectorELNS0_4arch9wavefront6targetE1EEEvSE_,comdat
	.protected	_ZN7rocprim17ROCPRIM_400000_NS6detail17trampoline_kernelINS0_14default_configENS1_35radix_sort_onesweep_config_selectorIxNS0_10empty_typeEEEZZNS1_29radix_sort_onesweep_iterationIS3_Lb0EPxS8_PS5_S9_mNS0_19identity_decomposerENS1_16block_id_wrapperIjLb0EEEEE10hipError_tT1_PNSt15iterator_traitsISE_E10value_typeET2_T3_PNSF_ISK_E10value_typeET4_T5_PSP_SQ_PNS1_23onesweep_lookback_stateEbbT6_jjT7_P12ihipStream_tbENKUlT_T0_SE_SJ_E_clIS8_S8_S9_S9_EEDaSX_SY_SE_SJ_EUlSX_E_NS1_11comp_targetILNS1_3genE9ELNS1_11target_archE1100ELNS1_3gpuE3ELNS1_3repE0EEENS1_47radix_sort_onesweep_sort_config_static_selectorELNS0_4arch9wavefront6targetE1EEEvSE_ ; -- Begin function _ZN7rocprim17ROCPRIM_400000_NS6detail17trampoline_kernelINS0_14default_configENS1_35radix_sort_onesweep_config_selectorIxNS0_10empty_typeEEEZZNS1_29radix_sort_onesweep_iterationIS3_Lb0EPxS8_PS5_S9_mNS0_19identity_decomposerENS1_16block_id_wrapperIjLb0EEEEE10hipError_tT1_PNSt15iterator_traitsISE_E10value_typeET2_T3_PNSF_ISK_E10value_typeET4_T5_PSP_SQ_PNS1_23onesweep_lookback_stateEbbT6_jjT7_P12ihipStream_tbENKUlT_T0_SE_SJ_E_clIS8_S8_S9_S9_EEDaSX_SY_SE_SJ_EUlSX_E_NS1_11comp_targetILNS1_3genE9ELNS1_11target_archE1100ELNS1_3gpuE3ELNS1_3repE0EEENS1_47radix_sort_onesweep_sort_config_static_selectorELNS0_4arch9wavefront6targetE1EEEvSE_
	.globl	_ZN7rocprim17ROCPRIM_400000_NS6detail17trampoline_kernelINS0_14default_configENS1_35radix_sort_onesweep_config_selectorIxNS0_10empty_typeEEEZZNS1_29radix_sort_onesweep_iterationIS3_Lb0EPxS8_PS5_S9_mNS0_19identity_decomposerENS1_16block_id_wrapperIjLb0EEEEE10hipError_tT1_PNSt15iterator_traitsISE_E10value_typeET2_T3_PNSF_ISK_E10value_typeET4_T5_PSP_SQ_PNS1_23onesweep_lookback_stateEbbT6_jjT7_P12ihipStream_tbENKUlT_T0_SE_SJ_E_clIS8_S8_S9_S9_EEDaSX_SY_SE_SJ_EUlSX_E_NS1_11comp_targetILNS1_3genE9ELNS1_11target_archE1100ELNS1_3gpuE3ELNS1_3repE0EEENS1_47radix_sort_onesweep_sort_config_static_selectorELNS0_4arch9wavefront6targetE1EEEvSE_
	.p2align	8
	.type	_ZN7rocprim17ROCPRIM_400000_NS6detail17trampoline_kernelINS0_14default_configENS1_35radix_sort_onesweep_config_selectorIxNS0_10empty_typeEEEZZNS1_29radix_sort_onesweep_iterationIS3_Lb0EPxS8_PS5_S9_mNS0_19identity_decomposerENS1_16block_id_wrapperIjLb0EEEEE10hipError_tT1_PNSt15iterator_traitsISE_E10value_typeET2_T3_PNSF_ISK_E10value_typeET4_T5_PSP_SQ_PNS1_23onesweep_lookback_stateEbbT6_jjT7_P12ihipStream_tbENKUlT_T0_SE_SJ_E_clIS8_S8_S9_S9_EEDaSX_SY_SE_SJ_EUlSX_E_NS1_11comp_targetILNS1_3genE9ELNS1_11target_archE1100ELNS1_3gpuE3ELNS1_3repE0EEENS1_47radix_sort_onesweep_sort_config_static_selectorELNS0_4arch9wavefront6targetE1EEEvSE_,@function
_ZN7rocprim17ROCPRIM_400000_NS6detail17trampoline_kernelINS0_14default_configENS1_35radix_sort_onesweep_config_selectorIxNS0_10empty_typeEEEZZNS1_29radix_sort_onesweep_iterationIS3_Lb0EPxS8_PS5_S9_mNS0_19identity_decomposerENS1_16block_id_wrapperIjLb0EEEEE10hipError_tT1_PNSt15iterator_traitsISE_E10value_typeET2_T3_PNSF_ISK_E10value_typeET4_T5_PSP_SQ_PNS1_23onesweep_lookback_stateEbbT6_jjT7_P12ihipStream_tbENKUlT_T0_SE_SJ_E_clIS8_S8_S9_S9_EEDaSX_SY_SE_SJ_EUlSX_E_NS1_11comp_targetILNS1_3genE9ELNS1_11target_archE1100ELNS1_3gpuE3ELNS1_3repE0EEENS1_47radix_sort_onesweep_sort_config_static_selectorELNS0_4arch9wavefront6targetE1EEEvSE_: ; @_ZN7rocprim17ROCPRIM_400000_NS6detail17trampoline_kernelINS0_14default_configENS1_35radix_sort_onesweep_config_selectorIxNS0_10empty_typeEEEZZNS1_29radix_sort_onesweep_iterationIS3_Lb0EPxS8_PS5_S9_mNS0_19identity_decomposerENS1_16block_id_wrapperIjLb0EEEEE10hipError_tT1_PNSt15iterator_traitsISE_E10value_typeET2_T3_PNSF_ISK_E10value_typeET4_T5_PSP_SQ_PNS1_23onesweep_lookback_stateEbbT6_jjT7_P12ihipStream_tbENKUlT_T0_SE_SJ_E_clIS8_S8_S9_S9_EEDaSX_SY_SE_SJ_EUlSX_E_NS1_11comp_targetILNS1_3genE9ELNS1_11target_archE1100ELNS1_3gpuE3ELNS1_3repE0EEENS1_47radix_sort_onesweep_sort_config_static_selectorELNS0_4arch9wavefront6targetE1EEEvSE_
; %bb.0:
	.section	.rodata,"a",@progbits
	.p2align	6, 0x0
	.amdhsa_kernel _ZN7rocprim17ROCPRIM_400000_NS6detail17trampoline_kernelINS0_14default_configENS1_35radix_sort_onesweep_config_selectorIxNS0_10empty_typeEEEZZNS1_29radix_sort_onesweep_iterationIS3_Lb0EPxS8_PS5_S9_mNS0_19identity_decomposerENS1_16block_id_wrapperIjLb0EEEEE10hipError_tT1_PNSt15iterator_traitsISE_E10value_typeET2_T3_PNSF_ISK_E10value_typeET4_T5_PSP_SQ_PNS1_23onesweep_lookback_stateEbbT6_jjT7_P12ihipStream_tbENKUlT_T0_SE_SJ_E_clIS8_S8_S9_S9_EEDaSX_SY_SE_SJ_EUlSX_E_NS1_11comp_targetILNS1_3genE9ELNS1_11target_archE1100ELNS1_3gpuE3ELNS1_3repE0EEENS1_47radix_sort_onesweep_sort_config_static_selectorELNS0_4arch9wavefront6targetE1EEEvSE_
		.amdhsa_group_segment_fixed_size 0
		.amdhsa_private_segment_fixed_size 0
		.amdhsa_kernarg_size 88
		.amdhsa_user_sgpr_count 6
		.amdhsa_user_sgpr_private_segment_buffer 1
		.amdhsa_user_sgpr_dispatch_ptr 0
		.amdhsa_user_sgpr_queue_ptr 0
		.amdhsa_user_sgpr_kernarg_segment_ptr 1
		.amdhsa_user_sgpr_dispatch_id 0
		.amdhsa_user_sgpr_flat_scratch_init 0
		.amdhsa_user_sgpr_kernarg_preload_length 0
		.amdhsa_user_sgpr_kernarg_preload_offset 0
		.amdhsa_user_sgpr_private_segment_size 0
		.amdhsa_uses_dynamic_stack 0
		.amdhsa_system_sgpr_private_segment_wavefront_offset 0
		.amdhsa_system_sgpr_workgroup_id_x 1
		.amdhsa_system_sgpr_workgroup_id_y 0
		.amdhsa_system_sgpr_workgroup_id_z 0
		.amdhsa_system_sgpr_workgroup_info 0
		.amdhsa_system_vgpr_workitem_id 0
		.amdhsa_next_free_vgpr 1
		.amdhsa_next_free_sgpr 0
		.amdhsa_accum_offset 4
		.amdhsa_reserve_vcc 0
		.amdhsa_reserve_flat_scratch 0
		.amdhsa_float_round_mode_32 0
		.amdhsa_float_round_mode_16_64 0
		.amdhsa_float_denorm_mode_32 3
		.amdhsa_float_denorm_mode_16_64 3
		.amdhsa_dx10_clamp 1
		.amdhsa_ieee_mode 1
		.amdhsa_fp16_overflow 0
		.amdhsa_tg_split 0
		.amdhsa_exception_fp_ieee_invalid_op 0
		.amdhsa_exception_fp_denorm_src 0
		.amdhsa_exception_fp_ieee_div_zero 0
		.amdhsa_exception_fp_ieee_overflow 0
		.amdhsa_exception_fp_ieee_underflow 0
		.amdhsa_exception_fp_ieee_inexact 0
		.amdhsa_exception_int_div_zero 0
	.end_amdhsa_kernel
	.section	.text._ZN7rocprim17ROCPRIM_400000_NS6detail17trampoline_kernelINS0_14default_configENS1_35radix_sort_onesweep_config_selectorIxNS0_10empty_typeEEEZZNS1_29radix_sort_onesweep_iterationIS3_Lb0EPxS8_PS5_S9_mNS0_19identity_decomposerENS1_16block_id_wrapperIjLb0EEEEE10hipError_tT1_PNSt15iterator_traitsISE_E10value_typeET2_T3_PNSF_ISK_E10value_typeET4_T5_PSP_SQ_PNS1_23onesweep_lookback_stateEbbT6_jjT7_P12ihipStream_tbENKUlT_T0_SE_SJ_E_clIS8_S8_S9_S9_EEDaSX_SY_SE_SJ_EUlSX_E_NS1_11comp_targetILNS1_3genE9ELNS1_11target_archE1100ELNS1_3gpuE3ELNS1_3repE0EEENS1_47radix_sort_onesweep_sort_config_static_selectorELNS0_4arch9wavefront6targetE1EEEvSE_,"axG",@progbits,_ZN7rocprim17ROCPRIM_400000_NS6detail17trampoline_kernelINS0_14default_configENS1_35radix_sort_onesweep_config_selectorIxNS0_10empty_typeEEEZZNS1_29radix_sort_onesweep_iterationIS3_Lb0EPxS8_PS5_S9_mNS0_19identity_decomposerENS1_16block_id_wrapperIjLb0EEEEE10hipError_tT1_PNSt15iterator_traitsISE_E10value_typeET2_T3_PNSF_ISK_E10value_typeET4_T5_PSP_SQ_PNS1_23onesweep_lookback_stateEbbT6_jjT7_P12ihipStream_tbENKUlT_T0_SE_SJ_E_clIS8_S8_S9_S9_EEDaSX_SY_SE_SJ_EUlSX_E_NS1_11comp_targetILNS1_3genE9ELNS1_11target_archE1100ELNS1_3gpuE3ELNS1_3repE0EEENS1_47radix_sort_onesweep_sort_config_static_selectorELNS0_4arch9wavefront6targetE1EEEvSE_,comdat
.Lfunc_end1106:
	.size	_ZN7rocprim17ROCPRIM_400000_NS6detail17trampoline_kernelINS0_14default_configENS1_35radix_sort_onesweep_config_selectorIxNS0_10empty_typeEEEZZNS1_29radix_sort_onesweep_iterationIS3_Lb0EPxS8_PS5_S9_mNS0_19identity_decomposerENS1_16block_id_wrapperIjLb0EEEEE10hipError_tT1_PNSt15iterator_traitsISE_E10value_typeET2_T3_PNSF_ISK_E10value_typeET4_T5_PSP_SQ_PNS1_23onesweep_lookback_stateEbbT6_jjT7_P12ihipStream_tbENKUlT_T0_SE_SJ_E_clIS8_S8_S9_S9_EEDaSX_SY_SE_SJ_EUlSX_E_NS1_11comp_targetILNS1_3genE9ELNS1_11target_archE1100ELNS1_3gpuE3ELNS1_3repE0EEENS1_47radix_sort_onesweep_sort_config_static_selectorELNS0_4arch9wavefront6targetE1EEEvSE_, .Lfunc_end1106-_ZN7rocprim17ROCPRIM_400000_NS6detail17trampoline_kernelINS0_14default_configENS1_35radix_sort_onesweep_config_selectorIxNS0_10empty_typeEEEZZNS1_29radix_sort_onesweep_iterationIS3_Lb0EPxS8_PS5_S9_mNS0_19identity_decomposerENS1_16block_id_wrapperIjLb0EEEEE10hipError_tT1_PNSt15iterator_traitsISE_E10value_typeET2_T3_PNSF_ISK_E10value_typeET4_T5_PSP_SQ_PNS1_23onesweep_lookback_stateEbbT6_jjT7_P12ihipStream_tbENKUlT_T0_SE_SJ_E_clIS8_S8_S9_S9_EEDaSX_SY_SE_SJ_EUlSX_E_NS1_11comp_targetILNS1_3genE9ELNS1_11target_archE1100ELNS1_3gpuE3ELNS1_3repE0EEENS1_47radix_sort_onesweep_sort_config_static_selectorELNS0_4arch9wavefront6targetE1EEEvSE_
                                        ; -- End function
	.section	.AMDGPU.csdata,"",@progbits
; Kernel info:
; codeLenInByte = 0
; NumSgprs: 4
; NumVgprs: 0
; NumAgprs: 0
; TotalNumVgprs: 0
; ScratchSize: 0
; MemoryBound: 0
; FloatMode: 240
; IeeeMode: 1
; LDSByteSize: 0 bytes/workgroup (compile time only)
; SGPRBlocks: 0
; VGPRBlocks: 0
; NumSGPRsForWavesPerEU: 4
; NumVGPRsForWavesPerEU: 1
; AccumOffset: 4
; Occupancy: 8
; WaveLimiterHint : 0
; COMPUTE_PGM_RSRC2:SCRATCH_EN: 0
; COMPUTE_PGM_RSRC2:USER_SGPR: 6
; COMPUTE_PGM_RSRC2:TRAP_HANDLER: 0
; COMPUTE_PGM_RSRC2:TGID_X_EN: 1
; COMPUTE_PGM_RSRC2:TGID_Y_EN: 0
; COMPUTE_PGM_RSRC2:TGID_Z_EN: 0
; COMPUTE_PGM_RSRC2:TIDIG_COMP_CNT: 0
; COMPUTE_PGM_RSRC3_GFX90A:ACCUM_OFFSET: 0
; COMPUTE_PGM_RSRC3_GFX90A:TG_SPLIT: 0
	.section	.text._ZN7rocprim17ROCPRIM_400000_NS6detail17trampoline_kernelINS0_14default_configENS1_35radix_sort_onesweep_config_selectorIxNS0_10empty_typeEEEZZNS1_29radix_sort_onesweep_iterationIS3_Lb0EPxS8_PS5_S9_mNS0_19identity_decomposerENS1_16block_id_wrapperIjLb0EEEEE10hipError_tT1_PNSt15iterator_traitsISE_E10value_typeET2_T3_PNSF_ISK_E10value_typeET4_T5_PSP_SQ_PNS1_23onesweep_lookback_stateEbbT6_jjT7_P12ihipStream_tbENKUlT_T0_SE_SJ_E_clIS8_S8_S9_S9_EEDaSX_SY_SE_SJ_EUlSX_E_NS1_11comp_targetILNS1_3genE8ELNS1_11target_archE1030ELNS1_3gpuE2ELNS1_3repE0EEENS1_47radix_sort_onesweep_sort_config_static_selectorELNS0_4arch9wavefront6targetE1EEEvSE_,"axG",@progbits,_ZN7rocprim17ROCPRIM_400000_NS6detail17trampoline_kernelINS0_14default_configENS1_35radix_sort_onesweep_config_selectorIxNS0_10empty_typeEEEZZNS1_29radix_sort_onesweep_iterationIS3_Lb0EPxS8_PS5_S9_mNS0_19identity_decomposerENS1_16block_id_wrapperIjLb0EEEEE10hipError_tT1_PNSt15iterator_traitsISE_E10value_typeET2_T3_PNSF_ISK_E10value_typeET4_T5_PSP_SQ_PNS1_23onesweep_lookback_stateEbbT6_jjT7_P12ihipStream_tbENKUlT_T0_SE_SJ_E_clIS8_S8_S9_S9_EEDaSX_SY_SE_SJ_EUlSX_E_NS1_11comp_targetILNS1_3genE8ELNS1_11target_archE1030ELNS1_3gpuE2ELNS1_3repE0EEENS1_47radix_sort_onesweep_sort_config_static_selectorELNS0_4arch9wavefront6targetE1EEEvSE_,comdat
	.protected	_ZN7rocprim17ROCPRIM_400000_NS6detail17trampoline_kernelINS0_14default_configENS1_35radix_sort_onesweep_config_selectorIxNS0_10empty_typeEEEZZNS1_29radix_sort_onesweep_iterationIS3_Lb0EPxS8_PS5_S9_mNS0_19identity_decomposerENS1_16block_id_wrapperIjLb0EEEEE10hipError_tT1_PNSt15iterator_traitsISE_E10value_typeET2_T3_PNSF_ISK_E10value_typeET4_T5_PSP_SQ_PNS1_23onesweep_lookback_stateEbbT6_jjT7_P12ihipStream_tbENKUlT_T0_SE_SJ_E_clIS8_S8_S9_S9_EEDaSX_SY_SE_SJ_EUlSX_E_NS1_11comp_targetILNS1_3genE8ELNS1_11target_archE1030ELNS1_3gpuE2ELNS1_3repE0EEENS1_47radix_sort_onesweep_sort_config_static_selectorELNS0_4arch9wavefront6targetE1EEEvSE_ ; -- Begin function _ZN7rocprim17ROCPRIM_400000_NS6detail17trampoline_kernelINS0_14default_configENS1_35radix_sort_onesweep_config_selectorIxNS0_10empty_typeEEEZZNS1_29radix_sort_onesweep_iterationIS3_Lb0EPxS8_PS5_S9_mNS0_19identity_decomposerENS1_16block_id_wrapperIjLb0EEEEE10hipError_tT1_PNSt15iterator_traitsISE_E10value_typeET2_T3_PNSF_ISK_E10value_typeET4_T5_PSP_SQ_PNS1_23onesweep_lookback_stateEbbT6_jjT7_P12ihipStream_tbENKUlT_T0_SE_SJ_E_clIS8_S8_S9_S9_EEDaSX_SY_SE_SJ_EUlSX_E_NS1_11comp_targetILNS1_3genE8ELNS1_11target_archE1030ELNS1_3gpuE2ELNS1_3repE0EEENS1_47radix_sort_onesweep_sort_config_static_selectorELNS0_4arch9wavefront6targetE1EEEvSE_
	.globl	_ZN7rocprim17ROCPRIM_400000_NS6detail17trampoline_kernelINS0_14default_configENS1_35radix_sort_onesweep_config_selectorIxNS0_10empty_typeEEEZZNS1_29radix_sort_onesweep_iterationIS3_Lb0EPxS8_PS5_S9_mNS0_19identity_decomposerENS1_16block_id_wrapperIjLb0EEEEE10hipError_tT1_PNSt15iterator_traitsISE_E10value_typeET2_T3_PNSF_ISK_E10value_typeET4_T5_PSP_SQ_PNS1_23onesweep_lookback_stateEbbT6_jjT7_P12ihipStream_tbENKUlT_T0_SE_SJ_E_clIS8_S8_S9_S9_EEDaSX_SY_SE_SJ_EUlSX_E_NS1_11comp_targetILNS1_3genE8ELNS1_11target_archE1030ELNS1_3gpuE2ELNS1_3repE0EEENS1_47radix_sort_onesweep_sort_config_static_selectorELNS0_4arch9wavefront6targetE1EEEvSE_
	.p2align	8
	.type	_ZN7rocprim17ROCPRIM_400000_NS6detail17trampoline_kernelINS0_14default_configENS1_35radix_sort_onesweep_config_selectorIxNS0_10empty_typeEEEZZNS1_29radix_sort_onesweep_iterationIS3_Lb0EPxS8_PS5_S9_mNS0_19identity_decomposerENS1_16block_id_wrapperIjLb0EEEEE10hipError_tT1_PNSt15iterator_traitsISE_E10value_typeET2_T3_PNSF_ISK_E10value_typeET4_T5_PSP_SQ_PNS1_23onesweep_lookback_stateEbbT6_jjT7_P12ihipStream_tbENKUlT_T0_SE_SJ_E_clIS8_S8_S9_S9_EEDaSX_SY_SE_SJ_EUlSX_E_NS1_11comp_targetILNS1_3genE8ELNS1_11target_archE1030ELNS1_3gpuE2ELNS1_3repE0EEENS1_47radix_sort_onesweep_sort_config_static_selectorELNS0_4arch9wavefront6targetE1EEEvSE_,@function
_ZN7rocprim17ROCPRIM_400000_NS6detail17trampoline_kernelINS0_14default_configENS1_35radix_sort_onesweep_config_selectorIxNS0_10empty_typeEEEZZNS1_29radix_sort_onesweep_iterationIS3_Lb0EPxS8_PS5_S9_mNS0_19identity_decomposerENS1_16block_id_wrapperIjLb0EEEEE10hipError_tT1_PNSt15iterator_traitsISE_E10value_typeET2_T3_PNSF_ISK_E10value_typeET4_T5_PSP_SQ_PNS1_23onesweep_lookback_stateEbbT6_jjT7_P12ihipStream_tbENKUlT_T0_SE_SJ_E_clIS8_S8_S9_S9_EEDaSX_SY_SE_SJ_EUlSX_E_NS1_11comp_targetILNS1_3genE8ELNS1_11target_archE1030ELNS1_3gpuE2ELNS1_3repE0EEENS1_47radix_sort_onesweep_sort_config_static_selectorELNS0_4arch9wavefront6targetE1EEEvSE_: ; @_ZN7rocprim17ROCPRIM_400000_NS6detail17trampoline_kernelINS0_14default_configENS1_35radix_sort_onesweep_config_selectorIxNS0_10empty_typeEEEZZNS1_29radix_sort_onesweep_iterationIS3_Lb0EPxS8_PS5_S9_mNS0_19identity_decomposerENS1_16block_id_wrapperIjLb0EEEEE10hipError_tT1_PNSt15iterator_traitsISE_E10value_typeET2_T3_PNSF_ISK_E10value_typeET4_T5_PSP_SQ_PNS1_23onesweep_lookback_stateEbbT6_jjT7_P12ihipStream_tbENKUlT_T0_SE_SJ_E_clIS8_S8_S9_S9_EEDaSX_SY_SE_SJ_EUlSX_E_NS1_11comp_targetILNS1_3genE8ELNS1_11target_archE1030ELNS1_3gpuE2ELNS1_3repE0EEENS1_47radix_sort_onesweep_sort_config_static_selectorELNS0_4arch9wavefront6targetE1EEEvSE_
; %bb.0:
	.section	.rodata,"a",@progbits
	.p2align	6, 0x0
	.amdhsa_kernel _ZN7rocprim17ROCPRIM_400000_NS6detail17trampoline_kernelINS0_14default_configENS1_35radix_sort_onesweep_config_selectorIxNS0_10empty_typeEEEZZNS1_29radix_sort_onesweep_iterationIS3_Lb0EPxS8_PS5_S9_mNS0_19identity_decomposerENS1_16block_id_wrapperIjLb0EEEEE10hipError_tT1_PNSt15iterator_traitsISE_E10value_typeET2_T3_PNSF_ISK_E10value_typeET4_T5_PSP_SQ_PNS1_23onesweep_lookback_stateEbbT6_jjT7_P12ihipStream_tbENKUlT_T0_SE_SJ_E_clIS8_S8_S9_S9_EEDaSX_SY_SE_SJ_EUlSX_E_NS1_11comp_targetILNS1_3genE8ELNS1_11target_archE1030ELNS1_3gpuE2ELNS1_3repE0EEENS1_47radix_sort_onesweep_sort_config_static_selectorELNS0_4arch9wavefront6targetE1EEEvSE_
		.amdhsa_group_segment_fixed_size 0
		.amdhsa_private_segment_fixed_size 0
		.amdhsa_kernarg_size 88
		.amdhsa_user_sgpr_count 6
		.amdhsa_user_sgpr_private_segment_buffer 1
		.amdhsa_user_sgpr_dispatch_ptr 0
		.amdhsa_user_sgpr_queue_ptr 0
		.amdhsa_user_sgpr_kernarg_segment_ptr 1
		.amdhsa_user_sgpr_dispatch_id 0
		.amdhsa_user_sgpr_flat_scratch_init 0
		.amdhsa_user_sgpr_kernarg_preload_length 0
		.amdhsa_user_sgpr_kernarg_preload_offset 0
		.amdhsa_user_sgpr_private_segment_size 0
		.amdhsa_uses_dynamic_stack 0
		.amdhsa_system_sgpr_private_segment_wavefront_offset 0
		.amdhsa_system_sgpr_workgroup_id_x 1
		.amdhsa_system_sgpr_workgroup_id_y 0
		.amdhsa_system_sgpr_workgroup_id_z 0
		.amdhsa_system_sgpr_workgroup_info 0
		.amdhsa_system_vgpr_workitem_id 0
		.amdhsa_next_free_vgpr 1
		.amdhsa_next_free_sgpr 0
		.amdhsa_accum_offset 4
		.amdhsa_reserve_vcc 0
		.amdhsa_reserve_flat_scratch 0
		.amdhsa_float_round_mode_32 0
		.amdhsa_float_round_mode_16_64 0
		.amdhsa_float_denorm_mode_32 3
		.amdhsa_float_denorm_mode_16_64 3
		.amdhsa_dx10_clamp 1
		.amdhsa_ieee_mode 1
		.amdhsa_fp16_overflow 0
		.amdhsa_tg_split 0
		.amdhsa_exception_fp_ieee_invalid_op 0
		.amdhsa_exception_fp_denorm_src 0
		.amdhsa_exception_fp_ieee_div_zero 0
		.amdhsa_exception_fp_ieee_overflow 0
		.amdhsa_exception_fp_ieee_underflow 0
		.amdhsa_exception_fp_ieee_inexact 0
		.amdhsa_exception_int_div_zero 0
	.end_amdhsa_kernel
	.section	.text._ZN7rocprim17ROCPRIM_400000_NS6detail17trampoline_kernelINS0_14default_configENS1_35radix_sort_onesweep_config_selectorIxNS0_10empty_typeEEEZZNS1_29radix_sort_onesweep_iterationIS3_Lb0EPxS8_PS5_S9_mNS0_19identity_decomposerENS1_16block_id_wrapperIjLb0EEEEE10hipError_tT1_PNSt15iterator_traitsISE_E10value_typeET2_T3_PNSF_ISK_E10value_typeET4_T5_PSP_SQ_PNS1_23onesweep_lookback_stateEbbT6_jjT7_P12ihipStream_tbENKUlT_T0_SE_SJ_E_clIS8_S8_S9_S9_EEDaSX_SY_SE_SJ_EUlSX_E_NS1_11comp_targetILNS1_3genE8ELNS1_11target_archE1030ELNS1_3gpuE2ELNS1_3repE0EEENS1_47radix_sort_onesweep_sort_config_static_selectorELNS0_4arch9wavefront6targetE1EEEvSE_,"axG",@progbits,_ZN7rocprim17ROCPRIM_400000_NS6detail17trampoline_kernelINS0_14default_configENS1_35radix_sort_onesweep_config_selectorIxNS0_10empty_typeEEEZZNS1_29radix_sort_onesweep_iterationIS3_Lb0EPxS8_PS5_S9_mNS0_19identity_decomposerENS1_16block_id_wrapperIjLb0EEEEE10hipError_tT1_PNSt15iterator_traitsISE_E10value_typeET2_T3_PNSF_ISK_E10value_typeET4_T5_PSP_SQ_PNS1_23onesweep_lookback_stateEbbT6_jjT7_P12ihipStream_tbENKUlT_T0_SE_SJ_E_clIS8_S8_S9_S9_EEDaSX_SY_SE_SJ_EUlSX_E_NS1_11comp_targetILNS1_3genE8ELNS1_11target_archE1030ELNS1_3gpuE2ELNS1_3repE0EEENS1_47radix_sort_onesweep_sort_config_static_selectorELNS0_4arch9wavefront6targetE1EEEvSE_,comdat
.Lfunc_end1107:
	.size	_ZN7rocprim17ROCPRIM_400000_NS6detail17trampoline_kernelINS0_14default_configENS1_35radix_sort_onesweep_config_selectorIxNS0_10empty_typeEEEZZNS1_29radix_sort_onesweep_iterationIS3_Lb0EPxS8_PS5_S9_mNS0_19identity_decomposerENS1_16block_id_wrapperIjLb0EEEEE10hipError_tT1_PNSt15iterator_traitsISE_E10value_typeET2_T3_PNSF_ISK_E10value_typeET4_T5_PSP_SQ_PNS1_23onesweep_lookback_stateEbbT6_jjT7_P12ihipStream_tbENKUlT_T0_SE_SJ_E_clIS8_S8_S9_S9_EEDaSX_SY_SE_SJ_EUlSX_E_NS1_11comp_targetILNS1_3genE8ELNS1_11target_archE1030ELNS1_3gpuE2ELNS1_3repE0EEENS1_47radix_sort_onesweep_sort_config_static_selectorELNS0_4arch9wavefront6targetE1EEEvSE_, .Lfunc_end1107-_ZN7rocprim17ROCPRIM_400000_NS6detail17trampoline_kernelINS0_14default_configENS1_35radix_sort_onesweep_config_selectorIxNS0_10empty_typeEEEZZNS1_29radix_sort_onesweep_iterationIS3_Lb0EPxS8_PS5_S9_mNS0_19identity_decomposerENS1_16block_id_wrapperIjLb0EEEEE10hipError_tT1_PNSt15iterator_traitsISE_E10value_typeET2_T3_PNSF_ISK_E10value_typeET4_T5_PSP_SQ_PNS1_23onesweep_lookback_stateEbbT6_jjT7_P12ihipStream_tbENKUlT_T0_SE_SJ_E_clIS8_S8_S9_S9_EEDaSX_SY_SE_SJ_EUlSX_E_NS1_11comp_targetILNS1_3genE8ELNS1_11target_archE1030ELNS1_3gpuE2ELNS1_3repE0EEENS1_47radix_sort_onesweep_sort_config_static_selectorELNS0_4arch9wavefront6targetE1EEEvSE_
                                        ; -- End function
	.section	.AMDGPU.csdata,"",@progbits
; Kernel info:
; codeLenInByte = 0
; NumSgprs: 4
; NumVgprs: 0
; NumAgprs: 0
; TotalNumVgprs: 0
; ScratchSize: 0
; MemoryBound: 0
; FloatMode: 240
; IeeeMode: 1
; LDSByteSize: 0 bytes/workgroup (compile time only)
; SGPRBlocks: 0
; VGPRBlocks: 0
; NumSGPRsForWavesPerEU: 4
; NumVGPRsForWavesPerEU: 1
; AccumOffset: 4
; Occupancy: 8
; WaveLimiterHint : 0
; COMPUTE_PGM_RSRC2:SCRATCH_EN: 0
; COMPUTE_PGM_RSRC2:USER_SGPR: 6
; COMPUTE_PGM_RSRC2:TRAP_HANDLER: 0
; COMPUTE_PGM_RSRC2:TGID_X_EN: 1
; COMPUTE_PGM_RSRC2:TGID_Y_EN: 0
; COMPUTE_PGM_RSRC2:TGID_Z_EN: 0
; COMPUTE_PGM_RSRC2:TIDIG_COMP_CNT: 0
; COMPUTE_PGM_RSRC3_GFX90A:ACCUM_OFFSET: 0
; COMPUTE_PGM_RSRC3_GFX90A:TG_SPLIT: 0
	.section	.text._ZN7rocprim17ROCPRIM_400000_NS6detail17trampoline_kernelINS0_13kernel_configILj256ELj4ELj4294967295EEENS1_37radix_sort_block_sort_config_selectorIyNS0_10empty_typeEEEZNS1_21radix_sort_block_sortIS4_Lb0EPyS9_PS6_SA_NS0_19identity_decomposerEEE10hipError_tT1_T2_T3_T4_jRjT5_jjP12ihipStream_tbEUlT_E_NS1_11comp_targetILNS1_3genE0ELNS1_11target_archE4294967295ELNS1_3gpuE0ELNS1_3repE0EEENS1_44radix_sort_block_sort_config_static_selectorELNS0_4arch9wavefront6targetE1EEEvSD_,"axG",@progbits,_ZN7rocprim17ROCPRIM_400000_NS6detail17trampoline_kernelINS0_13kernel_configILj256ELj4ELj4294967295EEENS1_37radix_sort_block_sort_config_selectorIyNS0_10empty_typeEEEZNS1_21radix_sort_block_sortIS4_Lb0EPyS9_PS6_SA_NS0_19identity_decomposerEEE10hipError_tT1_T2_T3_T4_jRjT5_jjP12ihipStream_tbEUlT_E_NS1_11comp_targetILNS1_3genE0ELNS1_11target_archE4294967295ELNS1_3gpuE0ELNS1_3repE0EEENS1_44radix_sort_block_sort_config_static_selectorELNS0_4arch9wavefront6targetE1EEEvSD_,comdat
	.protected	_ZN7rocprim17ROCPRIM_400000_NS6detail17trampoline_kernelINS0_13kernel_configILj256ELj4ELj4294967295EEENS1_37radix_sort_block_sort_config_selectorIyNS0_10empty_typeEEEZNS1_21radix_sort_block_sortIS4_Lb0EPyS9_PS6_SA_NS0_19identity_decomposerEEE10hipError_tT1_T2_T3_T4_jRjT5_jjP12ihipStream_tbEUlT_E_NS1_11comp_targetILNS1_3genE0ELNS1_11target_archE4294967295ELNS1_3gpuE0ELNS1_3repE0EEENS1_44radix_sort_block_sort_config_static_selectorELNS0_4arch9wavefront6targetE1EEEvSD_ ; -- Begin function _ZN7rocprim17ROCPRIM_400000_NS6detail17trampoline_kernelINS0_13kernel_configILj256ELj4ELj4294967295EEENS1_37radix_sort_block_sort_config_selectorIyNS0_10empty_typeEEEZNS1_21radix_sort_block_sortIS4_Lb0EPyS9_PS6_SA_NS0_19identity_decomposerEEE10hipError_tT1_T2_T3_T4_jRjT5_jjP12ihipStream_tbEUlT_E_NS1_11comp_targetILNS1_3genE0ELNS1_11target_archE4294967295ELNS1_3gpuE0ELNS1_3repE0EEENS1_44radix_sort_block_sort_config_static_selectorELNS0_4arch9wavefront6targetE1EEEvSD_
	.globl	_ZN7rocprim17ROCPRIM_400000_NS6detail17trampoline_kernelINS0_13kernel_configILj256ELj4ELj4294967295EEENS1_37radix_sort_block_sort_config_selectorIyNS0_10empty_typeEEEZNS1_21radix_sort_block_sortIS4_Lb0EPyS9_PS6_SA_NS0_19identity_decomposerEEE10hipError_tT1_T2_T3_T4_jRjT5_jjP12ihipStream_tbEUlT_E_NS1_11comp_targetILNS1_3genE0ELNS1_11target_archE4294967295ELNS1_3gpuE0ELNS1_3repE0EEENS1_44radix_sort_block_sort_config_static_selectorELNS0_4arch9wavefront6targetE1EEEvSD_
	.p2align	8
	.type	_ZN7rocprim17ROCPRIM_400000_NS6detail17trampoline_kernelINS0_13kernel_configILj256ELj4ELj4294967295EEENS1_37radix_sort_block_sort_config_selectorIyNS0_10empty_typeEEEZNS1_21radix_sort_block_sortIS4_Lb0EPyS9_PS6_SA_NS0_19identity_decomposerEEE10hipError_tT1_T2_T3_T4_jRjT5_jjP12ihipStream_tbEUlT_E_NS1_11comp_targetILNS1_3genE0ELNS1_11target_archE4294967295ELNS1_3gpuE0ELNS1_3repE0EEENS1_44radix_sort_block_sort_config_static_selectorELNS0_4arch9wavefront6targetE1EEEvSD_,@function
_ZN7rocprim17ROCPRIM_400000_NS6detail17trampoline_kernelINS0_13kernel_configILj256ELj4ELj4294967295EEENS1_37radix_sort_block_sort_config_selectorIyNS0_10empty_typeEEEZNS1_21radix_sort_block_sortIS4_Lb0EPyS9_PS6_SA_NS0_19identity_decomposerEEE10hipError_tT1_T2_T3_T4_jRjT5_jjP12ihipStream_tbEUlT_E_NS1_11comp_targetILNS1_3genE0ELNS1_11target_archE4294967295ELNS1_3gpuE0ELNS1_3repE0EEENS1_44radix_sort_block_sort_config_static_selectorELNS0_4arch9wavefront6targetE1EEEvSD_: ; @_ZN7rocprim17ROCPRIM_400000_NS6detail17trampoline_kernelINS0_13kernel_configILj256ELj4ELj4294967295EEENS1_37radix_sort_block_sort_config_selectorIyNS0_10empty_typeEEEZNS1_21radix_sort_block_sortIS4_Lb0EPyS9_PS6_SA_NS0_19identity_decomposerEEE10hipError_tT1_T2_T3_T4_jRjT5_jjP12ihipStream_tbEUlT_E_NS1_11comp_targetILNS1_3genE0ELNS1_11target_archE4294967295ELNS1_3gpuE0ELNS1_3repE0EEENS1_44radix_sort_block_sort_config_static_selectorELNS0_4arch9wavefront6targetE1EEEvSD_
; %bb.0:
	.section	.rodata,"a",@progbits
	.p2align	6, 0x0
	.amdhsa_kernel _ZN7rocprim17ROCPRIM_400000_NS6detail17trampoline_kernelINS0_13kernel_configILj256ELj4ELj4294967295EEENS1_37radix_sort_block_sort_config_selectorIyNS0_10empty_typeEEEZNS1_21radix_sort_block_sortIS4_Lb0EPyS9_PS6_SA_NS0_19identity_decomposerEEE10hipError_tT1_T2_T3_T4_jRjT5_jjP12ihipStream_tbEUlT_E_NS1_11comp_targetILNS1_3genE0ELNS1_11target_archE4294967295ELNS1_3gpuE0ELNS1_3repE0EEENS1_44radix_sort_block_sort_config_static_selectorELNS0_4arch9wavefront6targetE1EEEvSD_
		.amdhsa_group_segment_fixed_size 0
		.amdhsa_private_segment_fixed_size 0
		.amdhsa_kernarg_size 48
		.amdhsa_user_sgpr_count 6
		.amdhsa_user_sgpr_private_segment_buffer 1
		.amdhsa_user_sgpr_dispatch_ptr 0
		.amdhsa_user_sgpr_queue_ptr 0
		.amdhsa_user_sgpr_kernarg_segment_ptr 1
		.amdhsa_user_sgpr_dispatch_id 0
		.amdhsa_user_sgpr_flat_scratch_init 0
		.amdhsa_user_sgpr_kernarg_preload_length 0
		.amdhsa_user_sgpr_kernarg_preload_offset 0
		.amdhsa_user_sgpr_private_segment_size 0
		.amdhsa_uses_dynamic_stack 0
		.amdhsa_system_sgpr_private_segment_wavefront_offset 0
		.amdhsa_system_sgpr_workgroup_id_x 1
		.amdhsa_system_sgpr_workgroup_id_y 0
		.amdhsa_system_sgpr_workgroup_id_z 0
		.amdhsa_system_sgpr_workgroup_info 0
		.amdhsa_system_vgpr_workitem_id 0
		.amdhsa_next_free_vgpr 1
		.amdhsa_next_free_sgpr 0
		.amdhsa_accum_offset 4
		.amdhsa_reserve_vcc 0
		.amdhsa_reserve_flat_scratch 0
		.amdhsa_float_round_mode_32 0
		.amdhsa_float_round_mode_16_64 0
		.amdhsa_float_denorm_mode_32 3
		.amdhsa_float_denorm_mode_16_64 3
		.amdhsa_dx10_clamp 1
		.amdhsa_ieee_mode 1
		.amdhsa_fp16_overflow 0
		.amdhsa_tg_split 0
		.amdhsa_exception_fp_ieee_invalid_op 0
		.amdhsa_exception_fp_denorm_src 0
		.amdhsa_exception_fp_ieee_div_zero 0
		.amdhsa_exception_fp_ieee_overflow 0
		.amdhsa_exception_fp_ieee_underflow 0
		.amdhsa_exception_fp_ieee_inexact 0
		.amdhsa_exception_int_div_zero 0
	.end_amdhsa_kernel
	.section	.text._ZN7rocprim17ROCPRIM_400000_NS6detail17trampoline_kernelINS0_13kernel_configILj256ELj4ELj4294967295EEENS1_37radix_sort_block_sort_config_selectorIyNS0_10empty_typeEEEZNS1_21radix_sort_block_sortIS4_Lb0EPyS9_PS6_SA_NS0_19identity_decomposerEEE10hipError_tT1_T2_T3_T4_jRjT5_jjP12ihipStream_tbEUlT_E_NS1_11comp_targetILNS1_3genE0ELNS1_11target_archE4294967295ELNS1_3gpuE0ELNS1_3repE0EEENS1_44radix_sort_block_sort_config_static_selectorELNS0_4arch9wavefront6targetE1EEEvSD_,"axG",@progbits,_ZN7rocprim17ROCPRIM_400000_NS6detail17trampoline_kernelINS0_13kernel_configILj256ELj4ELj4294967295EEENS1_37radix_sort_block_sort_config_selectorIyNS0_10empty_typeEEEZNS1_21radix_sort_block_sortIS4_Lb0EPyS9_PS6_SA_NS0_19identity_decomposerEEE10hipError_tT1_T2_T3_T4_jRjT5_jjP12ihipStream_tbEUlT_E_NS1_11comp_targetILNS1_3genE0ELNS1_11target_archE4294967295ELNS1_3gpuE0ELNS1_3repE0EEENS1_44radix_sort_block_sort_config_static_selectorELNS0_4arch9wavefront6targetE1EEEvSD_,comdat
.Lfunc_end1108:
	.size	_ZN7rocprim17ROCPRIM_400000_NS6detail17trampoline_kernelINS0_13kernel_configILj256ELj4ELj4294967295EEENS1_37radix_sort_block_sort_config_selectorIyNS0_10empty_typeEEEZNS1_21radix_sort_block_sortIS4_Lb0EPyS9_PS6_SA_NS0_19identity_decomposerEEE10hipError_tT1_T2_T3_T4_jRjT5_jjP12ihipStream_tbEUlT_E_NS1_11comp_targetILNS1_3genE0ELNS1_11target_archE4294967295ELNS1_3gpuE0ELNS1_3repE0EEENS1_44radix_sort_block_sort_config_static_selectorELNS0_4arch9wavefront6targetE1EEEvSD_, .Lfunc_end1108-_ZN7rocprim17ROCPRIM_400000_NS6detail17trampoline_kernelINS0_13kernel_configILj256ELj4ELj4294967295EEENS1_37radix_sort_block_sort_config_selectorIyNS0_10empty_typeEEEZNS1_21radix_sort_block_sortIS4_Lb0EPyS9_PS6_SA_NS0_19identity_decomposerEEE10hipError_tT1_T2_T3_T4_jRjT5_jjP12ihipStream_tbEUlT_E_NS1_11comp_targetILNS1_3genE0ELNS1_11target_archE4294967295ELNS1_3gpuE0ELNS1_3repE0EEENS1_44radix_sort_block_sort_config_static_selectorELNS0_4arch9wavefront6targetE1EEEvSD_
                                        ; -- End function
	.section	.AMDGPU.csdata,"",@progbits
; Kernel info:
; codeLenInByte = 0
; NumSgprs: 4
; NumVgprs: 0
; NumAgprs: 0
; TotalNumVgprs: 0
; ScratchSize: 0
; MemoryBound: 0
; FloatMode: 240
; IeeeMode: 1
; LDSByteSize: 0 bytes/workgroup (compile time only)
; SGPRBlocks: 0
; VGPRBlocks: 0
; NumSGPRsForWavesPerEU: 4
; NumVGPRsForWavesPerEU: 1
; AccumOffset: 4
; Occupancy: 8
; WaveLimiterHint : 0
; COMPUTE_PGM_RSRC2:SCRATCH_EN: 0
; COMPUTE_PGM_RSRC2:USER_SGPR: 6
; COMPUTE_PGM_RSRC2:TRAP_HANDLER: 0
; COMPUTE_PGM_RSRC2:TGID_X_EN: 1
; COMPUTE_PGM_RSRC2:TGID_Y_EN: 0
; COMPUTE_PGM_RSRC2:TGID_Z_EN: 0
; COMPUTE_PGM_RSRC2:TIDIG_COMP_CNT: 0
; COMPUTE_PGM_RSRC3_GFX90A:ACCUM_OFFSET: 0
; COMPUTE_PGM_RSRC3_GFX90A:TG_SPLIT: 0
	.section	.text._ZN7rocprim17ROCPRIM_400000_NS6detail17trampoline_kernelINS0_13kernel_configILj256ELj4ELj4294967295EEENS1_37radix_sort_block_sort_config_selectorIyNS0_10empty_typeEEEZNS1_21radix_sort_block_sortIS4_Lb0EPyS9_PS6_SA_NS0_19identity_decomposerEEE10hipError_tT1_T2_T3_T4_jRjT5_jjP12ihipStream_tbEUlT_E_NS1_11comp_targetILNS1_3genE5ELNS1_11target_archE942ELNS1_3gpuE9ELNS1_3repE0EEENS1_44radix_sort_block_sort_config_static_selectorELNS0_4arch9wavefront6targetE1EEEvSD_,"axG",@progbits,_ZN7rocprim17ROCPRIM_400000_NS6detail17trampoline_kernelINS0_13kernel_configILj256ELj4ELj4294967295EEENS1_37radix_sort_block_sort_config_selectorIyNS0_10empty_typeEEEZNS1_21radix_sort_block_sortIS4_Lb0EPyS9_PS6_SA_NS0_19identity_decomposerEEE10hipError_tT1_T2_T3_T4_jRjT5_jjP12ihipStream_tbEUlT_E_NS1_11comp_targetILNS1_3genE5ELNS1_11target_archE942ELNS1_3gpuE9ELNS1_3repE0EEENS1_44radix_sort_block_sort_config_static_selectorELNS0_4arch9wavefront6targetE1EEEvSD_,comdat
	.protected	_ZN7rocprim17ROCPRIM_400000_NS6detail17trampoline_kernelINS0_13kernel_configILj256ELj4ELj4294967295EEENS1_37radix_sort_block_sort_config_selectorIyNS0_10empty_typeEEEZNS1_21radix_sort_block_sortIS4_Lb0EPyS9_PS6_SA_NS0_19identity_decomposerEEE10hipError_tT1_T2_T3_T4_jRjT5_jjP12ihipStream_tbEUlT_E_NS1_11comp_targetILNS1_3genE5ELNS1_11target_archE942ELNS1_3gpuE9ELNS1_3repE0EEENS1_44radix_sort_block_sort_config_static_selectorELNS0_4arch9wavefront6targetE1EEEvSD_ ; -- Begin function _ZN7rocprim17ROCPRIM_400000_NS6detail17trampoline_kernelINS0_13kernel_configILj256ELj4ELj4294967295EEENS1_37radix_sort_block_sort_config_selectorIyNS0_10empty_typeEEEZNS1_21radix_sort_block_sortIS4_Lb0EPyS9_PS6_SA_NS0_19identity_decomposerEEE10hipError_tT1_T2_T3_T4_jRjT5_jjP12ihipStream_tbEUlT_E_NS1_11comp_targetILNS1_3genE5ELNS1_11target_archE942ELNS1_3gpuE9ELNS1_3repE0EEENS1_44radix_sort_block_sort_config_static_selectorELNS0_4arch9wavefront6targetE1EEEvSD_
	.globl	_ZN7rocprim17ROCPRIM_400000_NS6detail17trampoline_kernelINS0_13kernel_configILj256ELj4ELj4294967295EEENS1_37radix_sort_block_sort_config_selectorIyNS0_10empty_typeEEEZNS1_21radix_sort_block_sortIS4_Lb0EPyS9_PS6_SA_NS0_19identity_decomposerEEE10hipError_tT1_T2_T3_T4_jRjT5_jjP12ihipStream_tbEUlT_E_NS1_11comp_targetILNS1_3genE5ELNS1_11target_archE942ELNS1_3gpuE9ELNS1_3repE0EEENS1_44radix_sort_block_sort_config_static_selectorELNS0_4arch9wavefront6targetE1EEEvSD_
	.p2align	8
	.type	_ZN7rocprim17ROCPRIM_400000_NS6detail17trampoline_kernelINS0_13kernel_configILj256ELj4ELj4294967295EEENS1_37radix_sort_block_sort_config_selectorIyNS0_10empty_typeEEEZNS1_21radix_sort_block_sortIS4_Lb0EPyS9_PS6_SA_NS0_19identity_decomposerEEE10hipError_tT1_T2_T3_T4_jRjT5_jjP12ihipStream_tbEUlT_E_NS1_11comp_targetILNS1_3genE5ELNS1_11target_archE942ELNS1_3gpuE9ELNS1_3repE0EEENS1_44radix_sort_block_sort_config_static_selectorELNS0_4arch9wavefront6targetE1EEEvSD_,@function
_ZN7rocprim17ROCPRIM_400000_NS6detail17trampoline_kernelINS0_13kernel_configILj256ELj4ELj4294967295EEENS1_37radix_sort_block_sort_config_selectorIyNS0_10empty_typeEEEZNS1_21radix_sort_block_sortIS4_Lb0EPyS9_PS6_SA_NS0_19identity_decomposerEEE10hipError_tT1_T2_T3_T4_jRjT5_jjP12ihipStream_tbEUlT_E_NS1_11comp_targetILNS1_3genE5ELNS1_11target_archE942ELNS1_3gpuE9ELNS1_3repE0EEENS1_44radix_sort_block_sort_config_static_selectorELNS0_4arch9wavefront6targetE1EEEvSD_: ; @_ZN7rocprim17ROCPRIM_400000_NS6detail17trampoline_kernelINS0_13kernel_configILj256ELj4ELj4294967295EEENS1_37radix_sort_block_sort_config_selectorIyNS0_10empty_typeEEEZNS1_21radix_sort_block_sortIS4_Lb0EPyS9_PS6_SA_NS0_19identity_decomposerEEE10hipError_tT1_T2_T3_T4_jRjT5_jjP12ihipStream_tbEUlT_E_NS1_11comp_targetILNS1_3genE5ELNS1_11target_archE942ELNS1_3gpuE9ELNS1_3repE0EEENS1_44radix_sort_block_sort_config_static_selectorELNS0_4arch9wavefront6targetE1EEEvSD_
; %bb.0:
	.section	.rodata,"a",@progbits
	.p2align	6, 0x0
	.amdhsa_kernel _ZN7rocprim17ROCPRIM_400000_NS6detail17trampoline_kernelINS0_13kernel_configILj256ELj4ELj4294967295EEENS1_37radix_sort_block_sort_config_selectorIyNS0_10empty_typeEEEZNS1_21radix_sort_block_sortIS4_Lb0EPyS9_PS6_SA_NS0_19identity_decomposerEEE10hipError_tT1_T2_T3_T4_jRjT5_jjP12ihipStream_tbEUlT_E_NS1_11comp_targetILNS1_3genE5ELNS1_11target_archE942ELNS1_3gpuE9ELNS1_3repE0EEENS1_44radix_sort_block_sort_config_static_selectorELNS0_4arch9wavefront6targetE1EEEvSD_
		.amdhsa_group_segment_fixed_size 0
		.amdhsa_private_segment_fixed_size 0
		.amdhsa_kernarg_size 48
		.amdhsa_user_sgpr_count 6
		.amdhsa_user_sgpr_private_segment_buffer 1
		.amdhsa_user_sgpr_dispatch_ptr 0
		.amdhsa_user_sgpr_queue_ptr 0
		.amdhsa_user_sgpr_kernarg_segment_ptr 1
		.amdhsa_user_sgpr_dispatch_id 0
		.amdhsa_user_sgpr_flat_scratch_init 0
		.amdhsa_user_sgpr_kernarg_preload_length 0
		.amdhsa_user_sgpr_kernarg_preload_offset 0
		.amdhsa_user_sgpr_private_segment_size 0
		.amdhsa_uses_dynamic_stack 0
		.amdhsa_system_sgpr_private_segment_wavefront_offset 0
		.amdhsa_system_sgpr_workgroup_id_x 1
		.amdhsa_system_sgpr_workgroup_id_y 0
		.amdhsa_system_sgpr_workgroup_id_z 0
		.amdhsa_system_sgpr_workgroup_info 0
		.amdhsa_system_vgpr_workitem_id 0
		.amdhsa_next_free_vgpr 1
		.amdhsa_next_free_sgpr 0
		.amdhsa_accum_offset 4
		.amdhsa_reserve_vcc 0
		.amdhsa_reserve_flat_scratch 0
		.amdhsa_float_round_mode_32 0
		.amdhsa_float_round_mode_16_64 0
		.amdhsa_float_denorm_mode_32 3
		.amdhsa_float_denorm_mode_16_64 3
		.amdhsa_dx10_clamp 1
		.amdhsa_ieee_mode 1
		.amdhsa_fp16_overflow 0
		.amdhsa_tg_split 0
		.amdhsa_exception_fp_ieee_invalid_op 0
		.amdhsa_exception_fp_denorm_src 0
		.amdhsa_exception_fp_ieee_div_zero 0
		.amdhsa_exception_fp_ieee_overflow 0
		.amdhsa_exception_fp_ieee_underflow 0
		.amdhsa_exception_fp_ieee_inexact 0
		.amdhsa_exception_int_div_zero 0
	.end_amdhsa_kernel
	.section	.text._ZN7rocprim17ROCPRIM_400000_NS6detail17trampoline_kernelINS0_13kernel_configILj256ELj4ELj4294967295EEENS1_37radix_sort_block_sort_config_selectorIyNS0_10empty_typeEEEZNS1_21radix_sort_block_sortIS4_Lb0EPyS9_PS6_SA_NS0_19identity_decomposerEEE10hipError_tT1_T2_T3_T4_jRjT5_jjP12ihipStream_tbEUlT_E_NS1_11comp_targetILNS1_3genE5ELNS1_11target_archE942ELNS1_3gpuE9ELNS1_3repE0EEENS1_44radix_sort_block_sort_config_static_selectorELNS0_4arch9wavefront6targetE1EEEvSD_,"axG",@progbits,_ZN7rocprim17ROCPRIM_400000_NS6detail17trampoline_kernelINS0_13kernel_configILj256ELj4ELj4294967295EEENS1_37radix_sort_block_sort_config_selectorIyNS0_10empty_typeEEEZNS1_21radix_sort_block_sortIS4_Lb0EPyS9_PS6_SA_NS0_19identity_decomposerEEE10hipError_tT1_T2_T3_T4_jRjT5_jjP12ihipStream_tbEUlT_E_NS1_11comp_targetILNS1_3genE5ELNS1_11target_archE942ELNS1_3gpuE9ELNS1_3repE0EEENS1_44radix_sort_block_sort_config_static_selectorELNS0_4arch9wavefront6targetE1EEEvSD_,comdat
.Lfunc_end1109:
	.size	_ZN7rocprim17ROCPRIM_400000_NS6detail17trampoline_kernelINS0_13kernel_configILj256ELj4ELj4294967295EEENS1_37radix_sort_block_sort_config_selectorIyNS0_10empty_typeEEEZNS1_21radix_sort_block_sortIS4_Lb0EPyS9_PS6_SA_NS0_19identity_decomposerEEE10hipError_tT1_T2_T3_T4_jRjT5_jjP12ihipStream_tbEUlT_E_NS1_11comp_targetILNS1_3genE5ELNS1_11target_archE942ELNS1_3gpuE9ELNS1_3repE0EEENS1_44radix_sort_block_sort_config_static_selectorELNS0_4arch9wavefront6targetE1EEEvSD_, .Lfunc_end1109-_ZN7rocprim17ROCPRIM_400000_NS6detail17trampoline_kernelINS0_13kernel_configILj256ELj4ELj4294967295EEENS1_37radix_sort_block_sort_config_selectorIyNS0_10empty_typeEEEZNS1_21radix_sort_block_sortIS4_Lb0EPyS9_PS6_SA_NS0_19identity_decomposerEEE10hipError_tT1_T2_T3_T4_jRjT5_jjP12ihipStream_tbEUlT_E_NS1_11comp_targetILNS1_3genE5ELNS1_11target_archE942ELNS1_3gpuE9ELNS1_3repE0EEENS1_44radix_sort_block_sort_config_static_selectorELNS0_4arch9wavefront6targetE1EEEvSD_
                                        ; -- End function
	.section	.AMDGPU.csdata,"",@progbits
; Kernel info:
; codeLenInByte = 0
; NumSgprs: 4
; NumVgprs: 0
; NumAgprs: 0
; TotalNumVgprs: 0
; ScratchSize: 0
; MemoryBound: 0
; FloatMode: 240
; IeeeMode: 1
; LDSByteSize: 0 bytes/workgroup (compile time only)
; SGPRBlocks: 0
; VGPRBlocks: 0
; NumSGPRsForWavesPerEU: 4
; NumVGPRsForWavesPerEU: 1
; AccumOffset: 4
; Occupancy: 8
; WaveLimiterHint : 0
; COMPUTE_PGM_RSRC2:SCRATCH_EN: 0
; COMPUTE_PGM_RSRC2:USER_SGPR: 6
; COMPUTE_PGM_RSRC2:TRAP_HANDLER: 0
; COMPUTE_PGM_RSRC2:TGID_X_EN: 1
; COMPUTE_PGM_RSRC2:TGID_Y_EN: 0
; COMPUTE_PGM_RSRC2:TGID_Z_EN: 0
; COMPUTE_PGM_RSRC2:TIDIG_COMP_CNT: 0
; COMPUTE_PGM_RSRC3_GFX90A:ACCUM_OFFSET: 0
; COMPUTE_PGM_RSRC3_GFX90A:TG_SPLIT: 0
	.section	.text._ZN7rocprim17ROCPRIM_400000_NS6detail17trampoline_kernelINS0_13kernel_configILj256ELj4ELj4294967295EEENS1_37radix_sort_block_sort_config_selectorIyNS0_10empty_typeEEEZNS1_21radix_sort_block_sortIS4_Lb0EPyS9_PS6_SA_NS0_19identity_decomposerEEE10hipError_tT1_T2_T3_T4_jRjT5_jjP12ihipStream_tbEUlT_E_NS1_11comp_targetILNS1_3genE4ELNS1_11target_archE910ELNS1_3gpuE8ELNS1_3repE0EEENS1_44radix_sort_block_sort_config_static_selectorELNS0_4arch9wavefront6targetE1EEEvSD_,"axG",@progbits,_ZN7rocprim17ROCPRIM_400000_NS6detail17trampoline_kernelINS0_13kernel_configILj256ELj4ELj4294967295EEENS1_37radix_sort_block_sort_config_selectorIyNS0_10empty_typeEEEZNS1_21radix_sort_block_sortIS4_Lb0EPyS9_PS6_SA_NS0_19identity_decomposerEEE10hipError_tT1_T2_T3_T4_jRjT5_jjP12ihipStream_tbEUlT_E_NS1_11comp_targetILNS1_3genE4ELNS1_11target_archE910ELNS1_3gpuE8ELNS1_3repE0EEENS1_44radix_sort_block_sort_config_static_selectorELNS0_4arch9wavefront6targetE1EEEvSD_,comdat
	.protected	_ZN7rocprim17ROCPRIM_400000_NS6detail17trampoline_kernelINS0_13kernel_configILj256ELj4ELj4294967295EEENS1_37radix_sort_block_sort_config_selectorIyNS0_10empty_typeEEEZNS1_21radix_sort_block_sortIS4_Lb0EPyS9_PS6_SA_NS0_19identity_decomposerEEE10hipError_tT1_T2_T3_T4_jRjT5_jjP12ihipStream_tbEUlT_E_NS1_11comp_targetILNS1_3genE4ELNS1_11target_archE910ELNS1_3gpuE8ELNS1_3repE0EEENS1_44radix_sort_block_sort_config_static_selectorELNS0_4arch9wavefront6targetE1EEEvSD_ ; -- Begin function _ZN7rocprim17ROCPRIM_400000_NS6detail17trampoline_kernelINS0_13kernel_configILj256ELj4ELj4294967295EEENS1_37radix_sort_block_sort_config_selectorIyNS0_10empty_typeEEEZNS1_21radix_sort_block_sortIS4_Lb0EPyS9_PS6_SA_NS0_19identity_decomposerEEE10hipError_tT1_T2_T3_T4_jRjT5_jjP12ihipStream_tbEUlT_E_NS1_11comp_targetILNS1_3genE4ELNS1_11target_archE910ELNS1_3gpuE8ELNS1_3repE0EEENS1_44radix_sort_block_sort_config_static_selectorELNS0_4arch9wavefront6targetE1EEEvSD_
	.globl	_ZN7rocprim17ROCPRIM_400000_NS6detail17trampoline_kernelINS0_13kernel_configILj256ELj4ELj4294967295EEENS1_37radix_sort_block_sort_config_selectorIyNS0_10empty_typeEEEZNS1_21radix_sort_block_sortIS4_Lb0EPyS9_PS6_SA_NS0_19identity_decomposerEEE10hipError_tT1_T2_T3_T4_jRjT5_jjP12ihipStream_tbEUlT_E_NS1_11comp_targetILNS1_3genE4ELNS1_11target_archE910ELNS1_3gpuE8ELNS1_3repE0EEENS1_44radix_sort_block_sort_config_static_selectorELNS0_4arch9wavefront6targetE1EEEvSD_
	.p2align	8
	.type	_ZN7rocprim17ROCPRIM_400000_NS6detail17trampoline_kernelINS0_13kernel_configILj256ELj4ELj4294967295EEENS1_37radix_sort_block_sort_config_selectorIyNS0_10empty_typeEEEZNS1_21radix_sort_block_sortIS4_Lb0EPyS9_PS6_SA_NS0_19identity_decomposerEEE10hipError_tT1_T2_T3_T4_jRjT5_jjP12ihipStream_tbEUlT_E_NS1_11comp_targetILNS1_3genE4ELNS1_11target_archE910ELNS1_3gpuE8ELNS1_3repE0EEENS1_44radix_sort_block_sort_config_static_selectorELNS0_4arch9wavefront6targetE1EEEvSD_,@function
_ZN7rocprim17ROCPRIM_400000_NS6detail17trampoline_kernelINS0_13kernel_configILj256ELj4ELj4294967295EEENS1_37radix_sort_block_sort_config_selectorIyNS0_10empty_typeEEEZNS1_21radix_sort_block_sortIS4_Lb0EPyS9_PS6_SA_NS0_19identity_decomposerEEE10hipError_tT1_T2_T3_T4_jRjT5_jjP12ihipStream_tbEUlT_E_NS1_11comp_targetILNS1_3genE4ELNS1_11target_archE910ELNS1_3gpuE8ELNS1_3repE0EEENS1_44radix_sort_block_sort_config_static_selectorELNS0_4arch9wavefront6targetE1EEEvSD_: ; @_ZN7rocprim17ROCPRIM_400000_NS6detail17trampoline_kernelINS0_13kernel_configILj256ELj4ELj4294967295EEENS1_37radix_sort_block_sort_config_selectorIyNS0_10empty_typeEEEZNS1_21radix_sort_block_sortIS4_Lb0EPyS9_PS6_SA_NS0_19identity_decomposerEEE10hipError_tT1_T2_T3_T4_jRjT5_jjP12ihipStream_tbEUlT_E_NS1_11comp_targetILNS1_3genE4ELNS1_11target_archE910ELNS1_3gpuE8ELNS1_3repE0EEENS1_44radix_sort_block_sort_config_static_selectorELNS0_4arch9wavefront6targetE1EEEvSD_
; %bb.0:
	s_load_dword s7, s[4:5], 0x20
	s_load_dwordx4 s[28:31], s[4:5], 0x0
	s_lshl_b32 s0, s6, 10
	s_mov_b32 s1, 0
	v_mbcnt_lo_u32_b32 v1, -1, 0
	s_waitcnt lgkmcnt(0)
	s_lshr_b32 s2, s7, 10
	s_cmp_lg_u32 s6, s2
	s_cselect_b64 s[34:35], -1, 0
	s_lshl_b64 s[36:37], s[0:1], 3
	v_mbcnt_hi_u32_b32 v1, -1, v1
	v_and_b32_e32 v10, 0x3ff, v0
	s_add_u32 s1, s28, s36
	v_and_b32_e32 v15, 63, v1
	s_addc_u32 s3, s29, s37
	v_lshlrev_b32_e32 v11, 2, v10
	v_lshlrev_b32_e32 v2, 3, v15
	v_and_b32_e32 v16, 0x300, v11
	v_mov_b32_e32 v3, s3
	v_add_co_u32_e32 v2, vcc, s1, v2
	v_addc_co_u32_e32 v3, vcc, 0, v3, vcc
	v_lshlrev_b32_e32 v4, 3, v16
	v_add_co_u32_e32 v12, vcc, v2, v4
	s_cmp_eq_u32 s6, s2
	v_addc_co_u32_e32 v13, vcc, 0, v3, vcc
	v_or_b32_e32 v14, v15, v16
	s_cbranch_scc1 .LBB1110_2
; %bb.1:
	global_load_dwordx2 v[2:3], v[12:13], off
	global_load_dwordx2 v[4:5], v[12:13], off offset:512
	global_load_dwordx2 v[6:7], v[12:13], off offset:1024
	global_load_dwordx2 v[8:9], v[12:13], off offset:1536
	v_or_b32_e32 v18, v15, v16
	v_or_b32_e32 v15, 64, v18
	;; [unrolled: 1-line block ×4, first 2 shown]
	s_load_dwordx2 s[28:29], s[4:5], 0x28
	s_sub_i32 s33, s7, s0
	s_cbranch_execz .LBB1110_3
	s_branch .LBB1110_12
.LBB1110_2:
                                        ; implicit-def: $vgpr2_vgpr3_vgpr4_vgpr5_vgpr6_vgpr7_vgpr8_vgpr9
                                        ; implicit-def: $vgpr18
                                        ; implicit-def: $vgpr15
                                        ; implicit-def: $vgpr16
                                        ; implicit-def: $vgpr17
	s_load_dwordx2 s[28:29], s[4:5], 0x28
	s_sub_i32 s33, s7, s0
.LBB1110_3:
	s_mov_b32 s8, -1
	s_mov_b32 s9, s8
	s_mov_b32 s10, s8
	;; [unrolled: 1-line block ×7, first 2 shown]
	s_waitcnt vmcnt(0)
	v_pk_mov_b32 v[2:3], s[8:9], s[8:9] op_sel:[0,1]
	v_cmp_gt_u32_e32 vcc, s33, v14
	v_pk_mov_b32 v[4:5], s[10:11], s[10:11] op_sel:[0,1]
	v_pk_mov_b32 v[6:7], s[12:13], s[12:13] op_sel:[0,1]
	;; [unrolled: 1-line block ×3, first 2 shown]
	s_and_saveexec_b64 s[0:1], vcc
	s_cbranch_execz .LBB1110_5
; %bb.4:
	global_load_dwordx2 v[2:3], v[12:13], off
	v_mov_b32_e32 v4, -1
	v_mov_b32_e32 v5, v4
	v_mov_b32_e32 v6, v4
	v_mov_b32_e32 v7, v4
	v_mov_b32_e32 v8, v4
	v_mov_b32_e32 v9, v4
.LBB1110_5:
	s_or_b64 exec, exec, s[0:1]
	v_or_b32_e32 v15, 64, v14
	v_cmp_gt_u32_e32 vcc, s33, v15
	s_and_saveexec_b64 s[0:1], vcc
	s_cbranch_execz .LBB1110_7
; %bb.6:
	global_load_dwordx2 v[4:5], v[12:13], off offset:512
.LBB1110_7:
	s_or_b64 exec, exec, s[0:1]
	v_or_b32_e32 v16, 0x80, v14
	v_cmp_gt_u32_e32 vcc, s33, v16
	s_and_saveexec_b64 s[0:1], vcc
	s_cbranch_execz .LBB1110_9
; %bb.8:
	global_load_dwordx2 v[6:7], v[12:13], off offset:1024
.LBB1110_9:
	;; [unrolled: 8-line block ×3, first 2 shown]
	s_or_b64 exec, exec, s[0:1]
	v_mov_b32_e32 v18, v14
.LBB1110_12:
	s_load_dword s2, s[4:5], 0x3c
	s_waitcnt lgkmcnt(0)
	s_add_i32 s38, s29, s28
	s_getpc_b64 s[0:1]
	s_add_u32 s0, s0, _ZN7rocprim17ROCPRIM_400000_NS16block_radix_sortIyLj256ELj4ENS0_10empty_typeELj1ELj1ELj0ELNS0_26block_radix_rank_algorithmE1ELNS0_18block_padding_hintE2ELNS0_4arch9wavefront6targetE1EE19radix_bits_per_passE@rel32@lo+4
	s_addc_u32 s1, s1, _ZN7rocprim17ROCPRIM_400000_NS16block_radix_sortIyLj256ELj4ENS0_10empty_typeELj1ELj1ELj0ELNS0_26block_radix_rank_algorithmE1ELNS0_18block_padding_hintE2ELNS0_4arch9wavefront6targetE1EE19radix_bits_per_passE@rel32@hi+12
	s_load_dword s39, s[0:1], 0x0
	v_bfe_u32 v12, v0, 10, 10
	s_lshr_b32 s0, s2, 16
	v_bfe_u32 v0, v0, 20, 10
	s_and_b32 s1, s2, 0xffff
	v_mad_u32_u24 v0, v0, s0, v12
	v_mad_u64_u32 v[12:13], s[0:1], v0, s1, v[10:11]
	v_and_b32_e32 v0, 15, v1
	v_cmp_eq_u32_e64 s[0:1], 0, v0
	v_cmp_lt_u32_e64 s[2:3], 1, v0
	v_cmp_lt_u32_e64 s[4:5], 3, v0
	;; [unrolled: 1-line block ×3, first 2 shown]
	v_and_b32_e32 v0, 16, v1
	v_cmp_eq_u32_e64 s[8:9], 0, v0
	v_and_b32_e32 v0, 0x3c0, v10
	v_min_u32_e32 v0, 0xc0, v0
	v_or_b32_e32 v0, 63, v0
	v_lshrrev_b32_e32 v26, 6, v12
	v_cmp_eq_u32_e64 s[12:13], v0, v10
	v_add_u32_e32 v0, -1, v1
	v_and_b32_e32 v12, 64, v1
	v_cmp_lt_i32_e32 vcc, v0, v12
	v_cndmask_b32_e32 v0, v0, v1, vcc
	s_mov_b32 s26, 0
	v_lshlrev_b32_e32 v27, 2, v0
	v_lshrrev_b32_e32 v0, 4, v10
	v_lshlrev_b32_e32 v11, 2, v11
	v_cmp_lt_u32_e64 s[10:11], 31, v1
	v_cmp_eq_u32_e64 s[18:19], 0, v1
	v_and_b32_e32 v28, 60, v0
	v_mul_i32_i24_e32 v0, -12, v10
	v_and_b32_e32 v1, 3, v1
	s_mov_b32 s27, s26
	s_mov_b32 s40, s26
	;; [unrolled: 1-line block ×3, first 2 shown]
	v_cmp_gt_u32_e64 s[14:15], 4, v10
	v_cmp_lt_u32_e64 s[16:17], 63, v10
	v_cmp_eq_u32_e64 s[20:21], 0, v10
	v_cmp_eq_u32_e64 s[22:23], 0, v1
	v_cmp_lt_u32_e64 s[24:25], 1, v1
	v_add_u32_e32 v29, -4, v28
	v_lshlrev_b32_e32 v30, 3, v18
	v_lshlrev_b32_e32 v31, 3, v15
	;; [unrolled: 1-line block ×4, first 2 shown]
	v_pk_mov_b32 v[12:13], s[26:27], s[26:27] op_sel:[0,1]
	v_pk_mov_b32 v[14:15], s[40:41], s[40:41] op_sel:[0,1]
	v_add_u32_e32 v34, v11, v0
	v_mov_b32_e32 v16, 0
	s_branch .LBB1110_14
.LBB1110_13:                            ;   in Loop: Header=BB1110_14 Depth=1
	s_barrier
	ds_write_b64 v0, v[18:19]
	ds_write_b64 v1, v[20:21]
	;; [unrolled: 1-line block ×4, first 2 shown]
	s_waitcnt lgkmcnt(0)
	s_barrier
	ds_read_b64 v[2:3], v30
	ds_read_b64 v[4:5], v31
	;; [unrolled: 1-line block ×4, first 2 shown]
	s_add_i32 s29, s29, -8
	s_waitcnt lgkmcnt(0)
	s_barrier
	s_cbranch_execz .LBB1110_30
.LBB1110_14:                            ; =>This Inner Loop Header: Depth=1
	s_waitcnt lgkmcnt(0)
	s_min_u32 s26, s39, s29
	s_lshl_b32 s26, -1, s26
	s_waitcnt vmcnt(0)
	v_mov_b32_e32 v18, v2
	v_mov_b32_e32 v19, v3
	s_not_b32 s40, s26
	v_lshrrev_b64 v[0:1], s28, v[18:19]
	v_and_b32_e32 v0, s40, v0
	v_lshl_add_u32 v1, v0, 2, v26
	v_lshl_add_u32 v35, v1, 2, 16
	v_and_b32_e32 v1, 1, v0
	v_add_co_u32_e32 v2, vcc, -1, v1
	v_addc_co_u32_e64 v3, s[26:27], 0, -1, vcc
	v_cmp_ne_u32_e32 vcc, 0, v1
	v_lshlrev_b32_e32 v17, 30, v0
	v_xor_b32_e32 v1, vcc_hi, v3
	v_not_b32_e32 v3, v17
	v_xor_b32_e32 v2, vcc_lo, v2
	v_cmp_gt_i64_e32 vcc, 0, v[16:17]
	v_ashrrev_i32_e32 v3, 31, v3
	v_and_b32_e32 v1, exec_hi, v1
	v_xor_b32_e32 v17, vcc_hi, v3
	v_and_b32_e32 v2, exec_lo, v2
	v_xor_b32_e32 v3, vcc_lo, v3
	v_and_b32_e32 v1, v1, v17
	v_lshlrev_b32_e32 v17, 29, v0
	v_and_b32_e32 v2, v2, v3
	v_not_b32_e32 v3, v17
	v_cmp_gt_i64_e32 vcc, 0, v[16:17]
	v_ashrrev_i32_e32 v3, 31, v3
	v_xor_b32_e32 v17, vcc_hi, v3
	v_xor_b32_e32 v3, vcc_lo, v3
	v_and_b32_e32 v1, v1, v17
	v_lshlrev_b32_e32 v17, 28, v0
	v_and_b32_e32 v2, v2, v3
	v_not_b32_e32 v3, v17
	v_cmp_gt_i64_e32 vcc, 0, v[16:17]
	v_ashrrev_i32_e32 v3, 31, v3
	v_xor_b32_e32 v17, vcc_hi, v3
	;; [unrolled: 8-line block ×5, first 2 shown]
	v_and_b32_e32 v1, v1, v17
	v_lshlrev_b32_e32 v17, 24, v0
	v_not_b32_e32 v0, v17
	v_xor_b32_e32 v3, vcc_lo, v3
	v_cmp_gt_i64_e32 vcc, 0, v[16:17]
	v_ashrrev_i32_e32 v0, 31, v0
	v_and_b32_e32 v2, v2, v3
	v_xor_b32_e32 v3, vcc_hi, v0
	v_xor_b32_e32 v0, vcc_lo, v0
	v_and_b32_e32 v0, v2, v0
	v_and_b32_e32 v1, v1, v3
	v_mbcnt_lo_u32_b32 v2, v0, 0
	v_mbcnt_hi_u32_b32 v36, v1, v2
	v_cmp_eq_u32_e32 vcc, 0, v36
	v_cmp_ne_u64_e64 s[26:27], 0, v[0:1]
	s_and_b64 s[42:43], s[26:27], vcc
	ds_write2_b64 v11, v[12:13], v[14:15] offset0:2 offset1:3
	s_waitcnt lgkmcnt(0)
	s_barrier
	s_waitcnt lgkmcnt(0)
	; wave barrier
	s_and_saveexec_b64 s[26:27], s[42:43]
	s_cbranch_execz .LBB1110_16
; %bb.15:                               ;   in Loop: Header=BB1110_14 Depth=1
	v_bcnt_u32_b32 v0, v0, 0
	v_bcnt_u32_b32 v0, v1, v0
	ds_write_b32 v35, v0
.LBB1110_16:                            ;   in Loop: Header=BB1110_14 Depth=1
	s_or_b64 exec, exec, s[26:27]
	v_mov_b32_e32 v20, v4
	v_mov_b32_e32 v21, v5
	v_lshrrev_b64 v[0:1], s28, v[20:21]
	v_and_b32_e32 v0, s40, v0
	v_lshlrev_b32_e32 v1, 2, v0
	v_add_lshl_u32 v1, v1, v26, 2
	; wave barrier
	v_add_u32_e32 v5, 16, v1
	ds_read_b32 v4, v1 offset:16
	v_and_b32_e32 v1, 1, v0
	v_add_co_u32_e32 v2, vcc, -1, v1
	v_addc_co_u32_e64 v3, s[26:27], 0, -1, vcc
	v_cmp_ne_u32_e32 vcc, 0, v1
	v_lshlrev_b32_e32 v17, 30, v0
	v_xor_b32_e32 v1, vcc_hi, v3
	v_not_b32_e32 v3, v17
	v_xor_b32_e32 v2, vcc_lo, v2
	v_cmp_gt_i64_e32 vcc, 0, v[16:17]
	v_ashrrev_i32_e32 v3, 31, v3
	v_and_b32_e32 v1, exec_hi, v1
	v_xor_b32_e32 v17, vcc_hi, v3
	v_and_b32_e32 v2, exec_lo, v2
	v_xor_b32_e32 v3, vcc_lo, v3
	v_and_b32_e32 v1, v1, v17
	v_lshlrev_b32_e32 v17, 29, v0
	v_and_b32_e32 v2, v2, v3
	v_not_b32_e32 v3, v17
	v_cmp_gt_i64_e32 vcc, 0, v[16:17]
	v_ashrrev_i32_e32 v3, 31, v3
	v_xor_b32_e32 v17, vcc_hi, v3
	v_xor_b32_e32 v3, vcc_lo, v3
	v_and_b32_e32 v1, v1, v17
	v_lshlrev_b32_e32 v17, 28, v0
	v_and_b32_e32 v2, v2, v3
	v_not_b32_e32 v3, v17
	v_cmp_gt_i64_e32 vcc, 0, v[16:17]
	v_ashrrev_i32_e32 v3, 31, v3
	v_xor_b32_e32 v17, vcc_hi, v3
	;; [unrolled: 8-line block ×5, first 2 shown]
	v_and_b32_e32 v1, v1, v17
	v_lshlrev_b32_e32 v17, 24, v0
	v_not_b32_e32 v0, v17
	v_xor_b32_e32 v3, vcc_lo, v3
	v_cmp_gt_i64_e32 vcc, 0, v[16:17]
	v_ashrrev_i32_e32 v0, 31, v0
	v_and_b32_e32 v2, v2, v3
	v_xor_b32_e32 v3, vcc_hi, v0
	v_xor_b32_e32 v0, vcc_lo, v0
	v_and_b32_e32 v0, v2, v0
	v_and_b32_e32 v1, v1, v3
	v_mbcnt_lo_u32_b32 v2, v0, 0
	v_mbcnt_hi_u32_b32 v37, v1, v2
	v_cmp_eq_u32_e32 vcc, 0, v37
	v_cmp_ne_u64_e64 s[26:27], 0, v[0:1]
	s_and_b64 s[42:43], s[26:27], vcc
	; wave barrier
	s_and_saveexec_b64 s[26:27], s[42:43]
	s_cbranch_execz .LBB1110_18
; %bb.17:                               ;   in Loop: Header=BB1110_14 Depth=1
	v_bcnt_u32_b32 v0, v0, 0
	v_bcnt_u32_b32 v0, v1, v0
	s_waitcnt lgkmcnt(0)
	v_add_u32_e32 v0, v4, v0
	ds_write_b32 v5, v0
.LBB1110_18:                            ;   in Loop: Header=BB1110_14 Depth=1
	s_or_b64 exec, exec, s[26:27]
	v_mov_b32_e32 v22, v6
	v_mov_b32_e32 v23, v7
	v_lshrrev_b64 v[0:1], s28, v[22:23]
	v_and_b32_e32 v0, s40, v0
	v_lshlrev_b32_e32 v1, 2, v0
	v_add_lshl_u32 v1, v1, v26, 2
	; wave barrier
	v_add_u32_e32 v7, 16, v1
	ds_read_b32 v6, v1 offset:16
	v_and_b32_e32 v1, 1, v0
	v_add_co_u32_e32 v2, vcc, -1, v1
	v_addc_co_u32_e64 v3, s[26:27], 0, -1, vcc
	v_cmp_ne_u32_e32 vcc, 0, v1
	v_lshlrev_b32_e32 v17, 30, v0
	v_xor_b32_e32 v1, vcc_hi, v3
	v_not_b32_e32 v3, v17
	v_xor_b32_e32 v2, vcc_lo, v2
	v_cmp_gt_i64_e32 vcc, 0, v[16:17]
	v_ashrrev_i32_e32 v3, 31, v3
	v_and_b32_e32 v1, exec_hi, v1
	v_xor_b32_e32 v17, vcc_hi, v3
	v_and_b32_e32 v2, exec_lo, v2
	v_xor_b32_e32 v3, vcc_lo, v3
	v_and_b32_e32 v1, v1, v17
	v_lshlrev_b32_e32 v17, 29, v0
	v_and_b32_e32 v2, v2, v3
	v_not_b32_e32 v3, v17
	v_cmp_gt_i64_e32 vcc, 0, v[16:17]
	v_ashrrev_i32_e32 v3, 31, v3
	v_xor_b32_e32 v17, vcc_hi, v3
	v_xor_b32_e32 v3, vcc_lo, v3
	v_and_b32_e32 v1, v1, v17
	v_lshlrev_b32_e32 v17, 28, v0
	v_and_b32_e32 v2, v2, v3
	v_not_b32_e32 v3, v17
	v_cmp_gt_i64_e32 vcc, 0, v[16:17]
	v_ashrrev_i32_e32 v3, 31, v3
	v_xor_b32_e32 v17, vcc_hi, v3
	;; [unrolled: 8-line block ×5, first 2 shown]
	v_and_b32_e32 v1, v1, v17
	v_lshlrev_b32_e32 v17, 24, v0
	v_not_b32_e32 v0, v17
	v_xor_b32_e32 v3, vcc_lo, v3
	v_cmp_gt_i64_e32 vcc, 0, v[16:17]
	v_ashrrev_i32_e32 v0, 31, v0
	v_and_b32_e32 v2, v2, v3
	v_xor_b32_e32 v3, vcc_hi, v0
	v_xor_b32_e32 v0, vcc_lo, v0
	v_and_b32_e32 v0, v2, v0
	v_and_b32_e32 v1, v1, v3
	v_mbcnt_lo_u32_b32 v2, v0, 0
	v_mbcnt_hi_u32_b32 v38, v1, v2
	v_cmp_eq_u32_e32 vcc, 0, v38
	v_cmp_ne_u64_e64 s[26:27], 0, v[0:1]
	s_and_b64 s[42:43], s[26:27], vcc
	; wave barrier
	s_and_saveexec_b64 s[26:27], s[42:43]
	s_cbranch_execz .LBB1110_20
; %bb.19:                               ;   in Loop: Header=BB1110_14 Depth=1
	v_bcnt_u32_b32 v0, v0, 0
	v_bcnt_u32_b32 v0, v1, v0
	s_waitcnt lgkmcnt(0)
	v_add_u32_e32 v0, v6, v0
	ds_write_b32 v7, v0
.LBB1110_20:                            ;   in Loop: Header=BB1110_14 Depth=1
	s_or_b64 exec, exec, s[26:27]
	v_mov_b32_e32 v24, v8
	v_mov_b32_e32 v25, v9
	v_lshrrev_b64 v[0:1], s28, v[24:25]
	v_and_b32_e32 v0, s40, v0
	v_lshlrev_b32_e32 v1, 2, v0
	v_add_lshl_u32 v1, v1, v26, 2
	; wave barrier
	v_add_u32_e32 v9, 16, v1
	ds_read_b32 v8, v1 offset:16
	v_and_b32_e32 v1, 1, v0
	v_add_co_u32_e32 v2, vcc, -1, v1
	v_addc_co_u32_e64 v3, s[26:27], 0, -1, vcc
	v_cmp_ne_u32_e32 vcc, 0, v1
	v_lshlrev_b32_e32 v17, 30, v0
	v_xor_b32_e32 v1, vcc_hi, v3
	v_not_b32_e32 v3, v17
	v_xor_b32_e32 v2, vcc_lo, v2
	v_cmp_gt_i64_e32 vcc, 0, v[16:17]
	v_ashrrev_i32_e32 v3, 31, v3
	v_and_b32_e32 v1, exec_hi, v1
	v_xor_b32_e32 v17, vcc_hi, v3
	v_and_b32_e32 v2, exec_lo, v2
	v_xor_b32_e32 v3, vcc_lo, v3
	v_and_b32_e32 v1, v1, v17
	v_lshlrev_b32_e32 v17, 29, v0
	v_and_b32_e32 v2, v2, v3
	v_not_b32_e32 v3, v17
	v_cmp_gt_i64_e32 vcc, 0, v[16:17]
	v_ashrrev_i32_e32 v3, 31, v3
	v_xor_b32_e32 v17, vcc_hi, v3
	v_xor_b32_e32 v3, vcc_lo, v3
	v_and_b32_e32 v1, v1, v17
	v_lshlrev_b32_e32 v17, 28, v0
	v_and_b32_e32 v2, v2, v3
	v_not_b32_e32 v3, v17
	v_cmp_gt_i64_e32 vcc, 0, v[16:17]
	v_ashrrev_i32_e32 v3, 31, v3
	v_xor_b32_e32 v17, vcc_hi, v3
	;; [unrolled: 8-line block ×5, first 2 shown]
	v_and_b32_e32 v1, v1, v17
	v_lshlrev_b32_e32 v17, 24, v0
	v_not_b32_e32 v0, v17
	v_xor_b32_e32 v3, vcc_lo, v3
	v_cmp_gt_i64_e32 vcc, 0, v[16:17]
	v_ashrrev_i32_e32 v0, 31, v0
	v_and_b32_e32 v2, v2, v3
	v_xor_b32_e32 v3, vcc_hi, v0
	v_xor_b32_e32 v0, vcc_lo, v0
	v_and_b32_e32 v0, v2, v0
	v_and_b32_e32 v1, v1, v3
	v_mbcnt_lo_u32_b32 v2, v0, 0
	v_mbcnt_hi_u32_b32 v17, v1, v2
	v_cmp_eq_u32_e32 vcc, 0, v17
	v_cmp_ne_u64_e64 s[26:27], 0, v[0:1]
	s_and_b64 s[40:41], s[26:27], vcc
	; wave barrier
	s_and_saveexec_b64 s[26:27], s[40:41]
	s_cbranch_execz .LBB1110_22
; %bb.21:                               ;   in Loop: Header=BB1110_14 Depth=1
	v_bcnt_u32_b32 v0, v0, 0
	v_bcnt_u32_b32 v0, v1, v0
	s_waitcnt lgkmcnt(0)
	v_add_u32_e32 v0, v8, v0
	ds_write_b32 v9, v0
.LBB1110_22:                            ;   in Loop: Header=BB1110_14 Depth=1
	s_or_b64 exec, exec, s[26:27]
	; wave barrier
	s_waitcnt lgkmcnt(0)
	s_barrier
	ds_read2_b64 v[0:3], v11 offset0:2 offset1:3
	s_waitcnt lgkmcnt(0)
	v_add_u32_e32 v39, v1, v0
	v_add3_u32 v3, v39, v2, v3
	s_nop 1
	v_mov_b32_dpp v39, v3 row_shr:1 row_mask:0xf bank_mask:0xf
	v_cndmask_b32_e64 v39, v39, 0, s[0:1]
	v_add_u32_e32 v3, v39, v3
	s_nop 1
	v_mov_b32_dpp v39, v3 row_shr:2 row_mask:0xf bank_mask:0xf
	v_cndmask_b32_e64 v39, 0, v39, s[2:3]
	v_add_u32_e32 v3, v3, v39
	;; [unrolled: 4-line block ×4, first 2 shown]
	s_nop 1
	v_mov_b32_dpp v39, v3 row_bcast:15 row_mask:0xf bank_mask:0xf
	v_cndmask_b32_e64 v39, v39, 0, s[8:9]
	v_add_u32_e32 v3, v3, v39
	s_nop 1
	v_mov_b32_dpp v39, v3 row_bcast:31 row_mask:0xf bank_mask:0xf
	v_cndmask_b32_e64 v39, 0, v39, s[10:11]
	v_add_u32_e32 v3, v3, v39
	s_and_saveexec_b64 s[26:27], s[12:13]
	s_cbranch_execz .LBB1110_24
; %bb.23:                               ;   in Loop: Header=BB1110_14 Depth=1
	ds_write_b32 v28, v3
.LBB1110_24:                            ;   in Loop: Header=BB1110_14 Depth=1
	s_or_b64 exec, exec, s[26:27]
	s_waitcnt lgkmcnt(0)
	s_barrier
	s_and_saveexec_b64 s[26:27], s[14:15]
	s_cbranch_execz .LBB1110_26
; %bb.25:                               ;   in Loop: Header=BB1110_14 Depth=1
	ds_read_b32 v39, v34
	s_waitcnt lgkmcnt(0)
	s_nop 0
	v_mov_b32_dpp v40, v39 row_shr:1 row_mask:0xf bank_mask:0xf
	v_cndmask_b32_e64 v40, v40, 0, s[22:23]
	v_add_u32_e32 v39, v40, v39
	s_nop 1
	v_mov_b32_dpp v40, v39 row_shr:2 row_mask:0xf bank_mask:0xf
	v_cndmask_b32_e64 v40, 0, v40, s[24:25]
	v_add_u32_e32 v39, v39, v40
	ds_write_b32 v34, v39
.LBB1110_26:                            ;   in Loop: Header=BB1110_14 Depth=1
	s_or_b64 exec, exec, s[26:27]
	v_mov_b32_e32 v39, 0
	s_waitcnt lgkmcnt(0)
	s_barrier
	s_and_saveexec_b64 s[26:27], s[16:17]
	s_cbranch_execz .LBB1110_28
; %bb.27:                               ;   in Loop: Header=BB1110_14 Depth=1
	ds_read_b32 v39, v29
.LBB1110_28:                            ;   in Loop: Header=BB1110_14 Depth=1
	s_or_b64 exec, exec, s[26:27]
	s_waitcnt lgkmcnt(0)
	v_add_u32_e32 v3, v39, v3
	ds_bpermute_b32 v3, v27, v3
	v_lshlrev_b32_e32 v4, 3, v4
	s_add_i32 s28, s28, 8
	s_cmp_ge_u32 s28, s38
	s_waitcnt lgkmcnt(0)
	v_cndmask_b32_e64 v3, v3, v39, s[18:19]
	v_cndmask_b32_e64 v40, v3, 0, s[20:21]
	v_add_u32_e32 v41, v40, v0
	v_add_u32_e32 v0, v41, v1
	;; [unrolled: 1-line block ×3, first 2 shown]
	ds_write2_b64 v11, v[40:41], v[0:1] offset0:2 offset1:3
	s_waitcnt lgkmcnt(0)
	s_barrier
	ds_read_b32 v0, v35
	ds_read_b32 v1, v5
	;; [unrolled: 1-line block ×4, first 2 shown]
	v_lshlrev_b32_e32 v5, 3, v36
	s_waitcnt lgkmcnt(3)
	v_lshl_add_u32 v0, v0, 3, v5
	v_lshlrev_b32_e32 v5, 3, v37
	s_waitcnt lgkmcnt(2)
	v_lshlrev_b32_e32 v1, 3, v1
	v_add3_u32 v1, v5, v4, v1
	v_lshlrev_b32_e32 v4, 3, v38
	v_lshlrev_b32_e32 v5, 3, v6
	s_waitcnt lgkmcnt(1)
	v_lshlrev_b32_e32 v2, 3, v2
	v_add3_u32 v35, v4, v5, v2
	v_lshlrev_b32_e32 v2, 3, v17
	v_lshlrev_b32_e32 v4, 3, v8
	s_waitcnt lgkmcnt(0)
	v_lshlrev_b32_e32 v3, 3, v3
	v_add3_u32 v17, v2, v4, v3
	s_cbranch_scc0 .LBB1110_13
; %bb.29:
                                        ; implicit-def: $sgpr28
                                        ; implicit-def: $vgpr2_vgpr3_vgpr4_vgpr5_vgpr6_vgpr7_vgpr8_vgpr9
.LBB1110_30:
	v_lshlrev_b32_e32 v8, 3, v10
	s_barrier
	ds_write_b64 v0, v[18:19]
	ds_write_b64 v1, v[20:21]
	ds_write_b64 v35, v[22:23]
	ds_write_b64 v17, v[24:25]
	s_waitcnt lgkmcnt(0)
	s_barrier
	ds_read2st64_b64 v[4:7], v8 offset1:4
	ds_read2st64_b64 v[0:3], v8 offset0:8 offset1:12
	s_add_u32 s0, s30, s36
	s_addc_u32 s1, s31, s37
	v_mov_b32_e32 v9, s1
	v_add_co_u32_e64 v8, s[0:1], s0, v8
	s_andn2_b64 vcc, exec, s[34:35]
	v_addc_co_u32_e64 v9, s[0:1], 0, v9, s[0:1]
	s_cbranch_vccnz .LBB1110_32
; %bb.31:
	v_add_co_u32_e32 v12, vcc, 0x1000, v8
	v_addc_co_u32_e32 v13, vcc, 0, v9, vcc
	s_mov_b64 s[0:1], -1
	s_waitcnt lgkmcnt(1)
	global_store_dwordx2 v[8:9], v[4:5], off
	global_store_dwordx2 v[8:9], v[6:7], off offset:2048
	s_waitcnt lgkmcnt(0)
	global_store_dwordx2 v[12:13], v[0:1], off
	s_cbranch_execz .LBB1110_33
	s_branch .LBB1110_40
.LBB1110_32:
	s_mov_b64 s[0:1], 0
.LBB1110_33:
	v_cmp_gt_u32_e32 vcc, s33, v10
	s_and_saveexec_b64 s[0:1], vcc
	s_cbranch_execz .LBB1110_35
; %bb.34:
	s_waitcnt lgkmcnt(1)
	global_store_dwordx2 v[8:9], v[4:5], off
.LBB1110_35:
	s_or_b64 exec, exec, s[0:1]
	s_waitcnt lgkmcnt(1)
	v_add_u32_e32 v4, 0x100, v10
	v_cmp_gt_u32_e32 vcc, s33, v4
	s_and_saveexec_b64 s[0:1], vcc
	s_cbranch_execz .LBB1110_37
; %bb.36:
	global_store_dwordx2 v[8:9], v[6:7], off offset:2048
.LBB1110_37:
	s_or_b64 exec, exec, s[0:1]
	v_add_u32_e32 v4, 0x200, v10
	v_cmp_gt_u32_e32 vcc, s33, v4
	s_and_saveexec_b64 s[0:1], vcc
	s_cbranch_execz .LBB1110_39
; %bb.38:
	v_add_co_u32_e32 v4, vcc, 0x1000, v8
	v_addc_co_u32_e32 v5, vcc, 0, v9, vcc
	s_waitcnt lgkmcnt(0)
	global_store_dwordx2 v[4:5], v[0:1], off
.LBB1110_39:
	s_or_b64 exec, exec, s[0:1]
	s_waitcnt lgkmcnt(0)
	v_add_u32_e32 v0, 0x300, v10
	v_cmp_gt_u32_e64 s[0:1], s33, v0
.LBB1110_40:
	s_and_saveexec_b64 s[2:3], s[0:1]
	s_cbranch_execnz .LBB1110_42
; %bb.41:
	s_endpgm
.LBB1110_42:
	s_waitcnt lgkmcnt(0)
	v_add_co_u32_e32 v0, vcc, 0x1000, v8
	v_addc_co_u32_e32 v1, vcc, 0, v9, vcc
	global_store_dwordx2 v[0:1], v[2:3], off offset:2048
	s_endpgm
	.section	.rodata,"a",@progbits
	.p2align	6, 0x0
	.amdhsa_kernel _ZN7rocprim17ROCPRIM_400000_NS6detail17trampoline_kernelINS0_13kernel_configILj256ELj4ELj4294967295EEENS1_37radix_sort_block_sort_config_selectorIyNS0_10empty_typeEEEZNS1_21radix_sort_block_sortIS4_Lb0EPyS9_PS6_SA_NS0_19identity_decomposerEEE10hipError_tT1_T2_T3_T4_jRjT5_jjP12ihipStream_tbEUlT_E_NS1_11comp_targetILNS1_3genE4ELNS1_11target_archE910ELNS1_3gpuE8ELNS1_3repE0EEENS1_44radix_sort_block_sort_config_static_selectorELNS0_4arch9wavefront6targetE1EEEvSD_
		.amdhsa_group_segment_fixed_size 8192
		.amdhsa_private_segment_fixed_size 0
		.amdhsa_kernarg_size 304
		.amdhsa_user_sgpr_count 6
		.amdhsa_user_sgpr_private_segment_buffer 1
		.amdhsa_user_sgpr_dispatch_ptr 0
		.amdhsa_user_sgpr_queue_ptr 0
		.amdhsa_user_sgpr_kernarg_segment_ptr 1
		.amdhsa_user_sgpr_dispatch_id 0
		.amdhsa_user_sgpr_flat_scratch_init 0
		.amdhsa_user_sgpr_kernarg_preload_length 0
		.amdhsa_user_sgpr_kernarg_preload_offset 0
		.amdhsa_user_sgpr_private_segment_size 0
		.amdhsa_uses_dynamic_stack 0
		.amdhsa_system_sgpr_private_segment_wavefront_offset 0
		.amdhsa_system_sgpr_workgroup_id_x 1
		.amdhsa_system_sgpr_workgroup_id_y 0
		.amdhsa_system_sgpr_workgroup_id_z 0
		.amdhsa_system_sgpr_workgroup_info 0
		.amdhsa_system_vgpr_workitem_id 2
		.amdhsa_next_free_vgpr 42
		.amdhsa_next_free_sgpr 44
		.amdhsa_accum_offset 44
		.amdhsa_reserve_vcc 1
		.amdhsa_reserve_flat_scratch 0
		.amdhsa_float_round_mode_32 0
		.amdhsa_float_round_mode_16_64 0
		.amdhsa_float_denorm_mode_32 3
		.amdhsa_float_denorm_mode_16_64 3
		.amdhsa_dx10_clamp 1
		.amdhsa_ieee_mode 1
		.amdhsa_fp16_overflow 0
		.amdhsa_tg_split 0
		.amdhsa_exception_fp_ieee_invalid_op 0
		.amdhsa_exception_fp_denorm_src 0
		.amdhsa_exception_fp_ieee_div_zero 0
		.amdhsa_exception_fp_ieee_overflow 0
		.amdhsa_exception_fp_ieee_underflow 0
		.amdhsa_exception_fp_ieee_inexact 0
		.amdhsa_exception_int_div_zero 0
	.end_amdhsa_kernel
	.section	.text._ZN7rocprim17ROCPRIM_400000_NS6detail17trampoline_kernelINS0_13kernel_configILj256ELj4ELj4294967295EEENS1_37radix_sort_block_sort_config_selectorIyNS0_10empty_typeEEEZNS1_21radix_sort_block_sortIS4_Lb0EPyS9_PS6_SA_NS0_19identity_decomposerEEE10hipError_tT1_T2_T3_T4_jRjT5_jjP12ihipStream_tbEUlT_E_NS1_11comp_targetILNS1_3genE4ELNS1_11target_archE910ELNS1_3gpuE8ELNS1_3repE0EEENS1_44radix_sort_block_sort_config_static_selectorELNS0_4arch9wavefront6targetE1EEEvSD_,"axG",@progbits,_ZN7rocprim17ROCPRIM_400000_NS6detail17trampoline_kernelINS0_13kernel_configILj256ELj4ELj4294967295EEENS1_37radix_sort_block_sort_config_selectorIyNS0_10empty_typeEEEZNS1_21radix_sort_block_sortIS4_Lb0EPyS9_PS6_SA_NS0_19identity_decomposerEEE10hipError_tT1_T2_T3_T4_jRjT5_jjP12ihipStream_tbEUlT_E_NS1_11comp_targetILNS1_3genE4ELNS1_11target_archE910ELNS1_3gpuE8ELNS1_3repE0EEENS1_44radix_sort_block_sort_config_static_selectorELNS0_4arch9wavefront6targetE1EEEvSD_,comdat
.Lfunc_end1110:
	.size	_ZN7rocprim17ROCPRIM_400000_NS6detail17trampoline_kernelINS0_13kernel_configILj256ELj4ELj4294967295EEENS1_37radix_sort_block_sort_config_selectorIyNS0_10empty_typeEEEZNS1_21radix_sort_block_sortIS4_Lb0EPyS9_PS6_SA_NS0_19identity_decomposerEEE10hipError_tT1_T2_T3_T4_jRjT5_jjP12ihipStream_tbEUlT_E_NS1_11comp_targetILNS1_3genE4ELNS1_11target_archE910ELNS1_3gpuE8ELNS1_3repE0EEENS1_44radix_sort_block_sort_config_static_selectorELNS0_4arch9wavefront6targetE1EEEvSD_, .Lfunc_end1110-_ZN7rocprim17ROCPRIM_400000_NS6detail17trampoline_kernelINS0_13kernel_configILj256ELj4ELj4294967295EEENS1_37radix_sort_block_sort_config_selectorIyNS0_10empty_typeEEEZNS1_21radix_sort_block_sortIS4_Lb0EPyS9_PS6_SA_NS0_19identity_decomposerEEE10hipError_tT1_T2_T3_T4_jRjT5_jjP12ihipStream_tbEUlT_E_NS1_11comp_targetILNS1_3genE4ELNS1_11target_archE910ELNS1_3gpuE8ELNS1_3repE0EEENS1_44radix_sort_block_sort_config_static_selectorELNS0_4arch9wavefront6targetE1EEEvSD_
                                        ; -- End function
	.section	.AMDGPU.csdata,"",@progbits
; Kernel info:
; codeLenInByte = 3240
; NumSgprs: 48
; NumVgprs: 42
; NumAgprs: 0
; TotalNumVgprs: 42
; ScratchSize: 0
; MemoryBound: 1
; FloatMode: 240
; IeeeMode: 1
; LDSByteSize: 8192 bytes/workgroup (compile time only)
; SGPRBlocks: 5
; VGPRBlocks: 5
; NumSGPRsForWavesPerEU: 48
; NumVGPRsForWavesPerEU: 42
; AccumOffset: 44
; Occupancy: 8
; WaveLimiterHint : 1
; COMPUTE_PGM_RSRC2:SCRATCH_EN: 0
; COMPUTE_PGM_RSRC2:USER_SGPR: 6
; COMPUTE_PGM_RSRC2:TRAP_HANDLER: 0
; COMPUTE_PGM_RSRC2:TGID_X_EN: 1
; COMPUTE_PGM_RSRC2:TGID_Y_EN: 0
; COMPUTE_PGM_RSRC2:TGID_Z_EN: 0
; COMPUTE_PGM_RSRC2:TIDIG_COMP_CNT: 2
; COMPUTE_PGM_RSRC3_GFX90A:ACCUM_OFFSET: 10
; COMPUTE_PGM_RSRC3_GFX90A:TG_SPLIT: 0
	.section	.text._ZN7rocprim17ROCPRIM_400000_NS6detail17trampoline_kernelINS0_13kernel_configILj256ELj4ELj4294967295EEENS1_37radix_sort_block_sort_config_selectorIyNS0_10empty_typeEEEZNS1_21radix_sort_block_sortIS4_Lb0EPyS9_PS6_SA_NS0_19identity_decomposerEEE10hipError_tT1_T2_T3_T4_jRjT5_jjP12ihipStream_tbEUlT_E_NS1_11comp_targetILNS1_3genE3ELNS1_11target_archE908ELNS1_3gpuE7ELNS1_3repE0EEENS1_44radix_sort_block_sort_config_static_selectorELNS0_4arch9wavefront6targetE1EEEvSD_,"axG",@progbits,_ZN7rocprim17ROCPRIM_400000_NS6detail17trampoline_kernelINS0_13kernel_configILj256ELj4ELj4294967295EEENS1_37radix_sort_block_sort_config_selectorIyNS0_10empty_typeEEEZNS1_21radix_sort_block_sortIS4_Lb0EPyS9_PS6_SA_NS0_19identity_decomposerEEE10hipError_tT1_T2_T3_T4_jRjT5_jjP12ihipStream_tbEUlT_E_NS1_11comp_targetILNS1_3genE3ELNS1_11target_archE908ELNS1_3gpuE7ELNS1_3repE0EEENS1_44radix_sort_block_sort_config_static_selectorELNS0_4arch9wavefront6targetE1EEEvSD_,comdat
	.protected	_ZN7rocprim17ROCPRIM_400000_NS6detail17trampoline_kernelINS0_13kernel_configILj256ELj4ELj4294967295EEENS1_37radix_sort_block_sort_config_selectorIyNS0_10empty_typeEEEZNS1_21radix_sort_block_sortIS4_Lb0EPyS9_PS6_SA_NS0_19identity_decomposerEEE10hipError_tT1_T2_T3_T4_jRjT5_jjP12ihipStream_tbEUlT_E_NS1_11comp_targetILNS1_3genE3ELNS1_11target_archE908ELNS1_3gpuE7ELNS1_3repE0EEENS1_44radix_sort_block_sort_config_static_selectorELNS0_4arch9wavefront6targetE1EEEvSD_ ; -- Begin function _ZN7rocprim17ROCPRIM_400000_NS6detail17trampoline_kernelINS0_13kernel_configILj256ELj4ELj4294967295EEENS1_37radix_sort_block_sort_config_selectorIyNS0_10empty_typeEEEZNS1_21radix_sort_block_sortIS4_Lb0EPyS9_PS6_SA_NS0_19identity_decomposerEEE10hipError_tT1_T2_T3_T4_jRjT5_jjP12ihipStream_tbEUlT_E_NS1_11comp_targetILNS1_3genE3ELNS1_11target_archE908ELNS1_3gpuE7ELNS1_3repE0EEENS1_44radix_sort_block_sort_config_static_selectorELNS0_4arch9wavefront6targetE1EEEvSD_
	.globl	_ZN7rocprim17ROCPRIM_400000_NS6detail17trampoline_kernelINS0_13kernel_configILj256ELj4ELj4294967295EEENS1_37radix_sort_block_sort_config_selectorIyNS0_10empty_typeEEEZNS1_21radix_sort_block_sortIS4_Lb0EPyS9_PS6_SA_NS0_19identity_decomposerEEE10hipError_tT1_T2_T3_T4_jRjT5_jjP12ihipStream_tbEUlT_E_NS1_11comp_targetILNS1_3genE3ELNS1_11target_archE908ELNS1_3gpuE7ELNS1_3repE0EEENS1_44radix_sort_block_sort_config_static_selectorELNS0_4arch9wavefront6targetE1EEEvSD_
	.p2align	8
	.type	_ZN7rocprim17ROCPRIM_400000_NS6detail17trampoline_kernelINS0_13kernel_configILj256ELj4ELj4294967295EEENS1_37radix_sort_block_sort_config_selectorIyNS0_10empty_typeEEEZNS1_21radix_sort_block_sortIS4_Lb0EPyS9_PS6_SA_NS0_19identity_decomposerEEE10hipError_tT1_T2_T3_T4_jRjT5_jjP12ihipStream_tbEUlT_E_NS1_11comp_targetILNS1_3genE3ELNS1_11target_archE908ELNS1_3gpuE7ELNS1_3repE0EEENS1_44radix_sort_block_sort_config_static_selectorELNS0_4arch9wavefront6targetE1EEEvSD_,@function
_ZN7rocprim17ROCPRIM_400000_NS6detail17trampoline_kernelINS0_13kernel_configILj256ELj4ELj4294967295EEENS1_37radix_sort_block_sort_config_selectorIyNS0_10empty_typeEEEZNS1_21radix_sort_block_sortIS4_Lb0EPyS9_PS6_SA_NS0_19identity_decomposerEEE10hipError_tT1_T2_T3_T4_jRjT5_jjP12ihipStream_tbEUlT_E_NS1_11comp_targetILNS1_3genE3ELNS1_11target_archE908ELNS1_3gpuE7ELNS1_3repE0EEENS1_44radix_sort_block_sort_config_static_selectorELNS0_4arch9wavefront6targetE1EEEvSD_: ; @_ZN7rocprim17ROCPRIM_400000_NS6detail17trampoline_kernelINS0_13kernel_configILj256ELj4ELj4294967295EEENS1_37radix_sort_block_sort_config_selectorIyNS0_10empty_typeEEEZNS1_21radix_sort_block_sortIS4_Lb0EPyS9_PS6_SA_NS0_19identity_decomposerEEE10hipError_tT1_T2_T3_T4_jRjT5_jjP12ihipStream_tbEUlT_E_NS1_11comp_targetILNS1_3genE3ELNS1_11target_archE908ELNS1_3gpuE7ELNS1_3repE0EEENS1_44radix_sort_block_sort_config_static_selectorELNS0_4arch9wavefront6targetE1EEEvSD_
; %bb.0:
	.section	.rodata,"a",@progbits
	.p2align	6, 0x0
	.amdhsa_kernel _ZN7rocprim17ROCPRIM_400000_NS6detail17trampoline_kernelINS0_13kernel_configILj256ELj4ELj4294967295EEENS1_37radix_sort_block_sort_config_selectorIyNS0_10empty_typeEEEZNS1_21radix_sort_block_sortIS4_Lb0EPyS9_PS6_SA_NS0_19identity_decomposerEEE10hipError_tT1_T2_T3_T4_jRjT5_jjP12ihipStream_tbEUlT_E_NS1_11comp_targetILNS1_3genE3ELNS1_11target_archE908ELNS1_3gpuE7ELNS1_3repE0EEENS1_44radix_sort_block_sort_config_static_selectorELNS0_4arch9wavefront6targetE1EEEvSD_
		.amdhsa_group_segment_fixed_size 0
		.amdhsa_private_segment_fixed_size 0
		.amdhsa_kernarg_size 48
		.amdhsa_user_sgpr_count 6
		.amdhsa_user_sgpr_private_segment_buffer 1
		.amdhsa_user_sgpr_dispatch_ptr 0
		.amdhsa_user_sgpr_queue_ptr 0
		.amdhsa_user_sgpr_kernarg_segment_ptr 1
		.amdhsa_user_sgpr_dispatch_id 0
		.amdhsa_user_sgpr_flat_scratch_init 0
		.amdhsa_user_sgpr_kernarg_preload_length 0
		.amdhsa_user_sgpr_kernarg_preload_offset 0
		.amdhsa_user_sgpr_private_segment_size 0
		.amdhsa_uses_dynamic_stack 0
		.amdhsa_system_sgpr_private_segment_wavefront_offset 0
		.amdhsa_system_sgpr_workgroup_id_x 1
		.amdhsa_system_sgpr_workgroup_id_y 0
		.amdhsa_system_sgpr_workgroup_id_z 0
		.amdhsa_system_sgpr_workgroup_info 0
		.amdhsa_system_vgpr_workitem_id 0
		.amdhsa_next_free_vgpr 1
		.amdhsa_next_free_sgpr 0
		.amdhsa_accum_offset 4
		.amdhsa_reserve_vcc 0
		.amdhsa_reserve_flat_scratch 0
		.amdhsa_float_round_mode_32 0
		.amdhsa_float_round_mode_16_64 0
		.amdhsa_float_denorm_mode_32 3
		.amdhsa_float_denorm_mode_16_64 3
		.amdhsa_dx10_clamp 1
		.amdhsa_ieee_mode 1
		.amdhsa_fp16_overflow 0
		.amdhsa_tg_split 0
		.amdhsa_exception_fp_ieee_invalid_op 0
		.amdhsa_exception_fp_denorm_src 0
		.amdhsa_exception_fp_ieee_div_zero 0
		.amdhsa_exception_fp_ieee_overflow 0
		.amdhsa_exception_fp_ieee_underflow 0
		.amdhsa_exception_fp_ieee_inexact 0
		.amdhsa_exception_int_div_zero 0
	.end_amdhsa_kernel
	.section	.text._ZN7rocprim17ROCPRIM_400000_NS6detail17trampoline_kernelINS0_13kernel_configILj256ELj4ELj4294967295EEENS1_37radix_sort_block_sort_config_selectorIyNS0_10empty_typeEEEZNS1_21radix_sort_block_sortIS4_Lb0EPyS9_PS6_SA_NS0_19identity_decomposerEEE10hipError_tT1_T2_T3_T4_jRjT5_jjP12ihipStream_tbEUlT_E_NS1_11comp_targetILNS1_3genE3ELNS1_11target_archE908ELNS1_3gpuE7ELNS1_3repE0EEENS1_44radix_sort_block_sort_config_static_selectorELNS0_4arch9wavefront6targetE1EEEvSD_,"axG",@progbits,_ZN7rocprim17ROCPRIM_400000_NS6detail17trampoline_kernelINS0_13kernel_configILj256ELj4ELj4294967295EEENS1_37radix_sort_block_sort_config_selectorIyNS0_10empty_typeEEEZNS1_21radix_sort_block_sortIS4_Lb0EPyS9_PS6_SA_NS0_19identity_decomposerEEE10hipError_tT1_T2_T3_T4_jRjT5_jjP12ihipStream_tbEUlT_E_NS1_11comp_targetILNS1_3genE3ELNS1_11target_archE908ELNS1_3gpuE7ELNS1_3repE0EEENS1_44radix_sort_block_sort_config_static_selectorELNS0_4arch9wavefront6targetE1EEEvSD_,comdat
.Lfunc_end1111:
	.size	_ZN7rocprim17ROCPRIM_400000_NS6detail17trampoline_kernelINS0_13kernel_configILj256ELj4ELj4294967295EEENS1_37radix_sort_block_sort_config_selectorIyNS0_10empty_typeEEEZNS1_21radix_sort_block_sortIS4_Lb0EPyS9_PS6_SA_NS0_19identity_decomposerEEE10hipError_tT1_T2_T3_T4_jRjT5_jjP12ihipStream_tbEUlT_E_NS1_11comp_targetILNS1_3genE3ELNS1_11target_archE908ELNS1_3gpuE7ELNS1_3repE0EEENS1_44radix_sort_block_sort_config_static_selectorELNS0_4arch9wavefront6targetE1EEEvSD_, .Lfunc_end1111-_ZN7rocprim17ROCPRIM_400000_NS6detail17trampoline_kernelINS0_13kernel_configILj256ELj4ELj4294967295EEENS1_37radix_sort_block_sort_config_selectorIyNS0_10empty_typeEEEZNS1_21radix_sort_block_sortIS4_Lb0EPyS9_PS6_SA_NS0_19identity_decomposerEEE10hipError_tT1_T2_T3_T4_jRjT5_jjP12ihipStream_tbEUlT_E_NS1_11comp_targetILNS1_3genE3ELNS1_11target_archE908ELNS1_3gpuE7ELNS1_3repE0EEENS1_44radix_sort_block_sort_config_static_selectorELNS0_4arch9wavefront6targetE1EEEvSD_
                                        ; -- End function
	.section	.AMDGPU.csdata,"",@progbits
; Kernel info:
; codeLenInByte = 0
; NumSgprs: 4
; NumVgprs: 0
; NumAgprs: 0
; TotalNumVgprs: 0
; ScratchSize: 0
; MemoryBound: 0
; FloatMode: 240
; IeeeMode: 1
; LDSByteSize: 0 bytes/workgroup (compile time only)
; SGPRBlocks: 0
; VGPRBlocks: 0
; NumSGPRsForWavesPerEU: 4
; NumVGPRsForWavesPerEU: 1
; AccumOffset: 4
; Occupancy: 8
; WaveLimiterHint : 0
; COMPUTE_PGM_RSRC2:SCRATCH_EN: 0
; COMPUTE_PGM_RSRC2:USER_SGPR: 6
; COMPUTE_PGM_RSRC2:TRAP_HANDLER: 0
; COMPUTE_PGM_RSRC2:TGID_X_EN: 1
; COMPUTE_PGM_RSRC2:TGID_Y_EN: 0
; COMPUTE_PGM_RSRC2:TGID_Z_EN: 0
; COMPUTE_PGM_RSRC2:TIDIG_COMP_CNT: 0
; COMPUTE_PGM_RSRC3_GFX90A:ACCUM_OFFSET: 0
; COMPUTE_PGM_RSRC3_GFX90A:TG_SPLIT: 0
	.section	.text._ZN7rocprim17ROCPRIM_400000_NS6detail17trampoline_kernelINS0_13kernel_configILj256ELj4ELj4294967295EEENS1_37radix_sort_block_sort_config_selectorIyNS0_10empty_typeEEEZNS1_21radix_sort_block_sortIS4_Lb0EPyS9_PS6_SA_NS0_19identity_decomposerEEE10hipError_tT1_T2_T3_T4_jRjT5_jjP12ihipStream_tbEUlT_E_NS1_11comp_targetILNS1_3genE2ELNS1_11target_archE906ELNS1_3gpuE6ELNS1_3repE0EEENS1_44radix_sort_block_sort_config_static_selectorELNS0_4arch9wavefront6targetE1EEEvSD_,"axG",@progbits,_ZN7rocprim17ROCPRIM_400000_NS6detail17trampoline_kernelINS0_13kernel_configILj256ELj4ELj4294967295EEENS1_37radix_sort_block_sort_config_selectorIyNS0_10empty_typeEEEZNS1_21radix_sort_block_sortIS4_Lb0EPyS9_PS6_SA_NS0_19identity_decomposerEEE10hipError_tT1_T2_T3_T4_jRjT5_jjP12ihipStream_tbEUlT_E_NS1_11comp_targetILNS1_3genE2ELNS1_11target_archE906ELNS1_3gpuE6ELNS1_3repE0EEENS1_44radix_sort_block_sort_config_static_selectorELNS0_4arch9wavefront6targetE1EEEvSD_,comdat
	.protected	_ZN7rocprim17ROCPRIM_400000_NS6detail17trampoline_kernelINS0_13kernel_configILj256ELj4ELj4294967295EEENS1_37radix_sort_block_sort_config_selectorIyNS0_10empty_typeEEEZNS1_21radix_sort_block_sortIS4_Lb0EPyS9_PS6_SA_NS0_19identity_decomposerEEE10hipError_tT1_T2_T3_T4_jRjT5_jjP12ihipStream_tbEUlT_E_NS1_11comp_targetILNS1_3genE2ELNS1_11target_archE906ELNS1_3gpuE6ELNS1_3repE0EEENS1_44radix_sort_block_sort_config_static_selectorELNS0_4arch9wavefront6targetE1EEEvSD_ ; -- Begin function _ZN7rocprim17ROCPRIM_400000_NS6detail17trampoline_kernelINS0_13kernel_configILj256ELj4ELj4294967295EEENS1_37radix_sort_block_sort_config_selectorIyNS0_10empty_typeEEEZNS1_21radix_sort_block_sortIS4_Lb0EPyS9_PS6_SA_NS0_19identity_decomposerEEE10hipError_tT1_T2_T3_T4_jRjT5_jjP12ihipStream_tbEUlT_E_NS1_11comp_targetILNS1_3genE2ELNS1_11target_archE906ELNS1_3gpuE6ELNS1_3repE0EEENS1_44radix_sort_block_sort_config_static_selectorELNS0_4arch9wavefront6targetE1EEEvSD_
	.globl	_ZN7rocprim17ROCPRIM_400000_NS6detail17trampoline_kernelINS0_13kernel_configILj256ELj4ELj4294967295EEENS1_37radix_sort_block_sort_config_selectorIyNS0_10empty_typeEEEZNS1_21radix_sort_block_sortIS4_Lb0EPyS9_PS6_SA_NS0_19identity_decomposerEEE10hipError_tT1_T2_T3_T4_jRjT5_jjP12ihipStream_tbEUlT_E_NS1_11comp_targetILNS1_3genE2ELNS1_11target_archE906ELNS1_3gpuE6ELNS1_3repE0EEENS1_44radix_sort_block_sort_config_static_selectorELNS0_4arch9wavefront6targetE1EEEvSD_
	.p2align	8
	.type	_ZN7rocprim17ROCPRIM_400000_NS6detail17trampoline_kernelINS0_13kernel_configILj256ELj4ELj4294967295EEENS1_37radix_sort_block_sort_config_selectorIyNS0_10empty_typeEEEZNS1_21radix_sort_block_sortIS4_Lb0EPyS9_PS6_SA_NS0_19identity_decomposerEEE10hipError_tT1_T2_T3_T4_jRjT5_jjP12ihipStream_tbEUlT_E_NS1_11comp_targetILNS1_3genE2ELNS1_11target_archE906ELNS1_3gpuE6ELNS1_3repE0EEENS1_44radix_sort_block_sort_config_static_selectorELNS0_4arch9wavefront6targetE1EEEvSD_,@function
_ZN7rocprim17ROCPRIM_400000_NS6detail17trampoline_kernelINS0_13kernel_configILj256ELj4ELj4294967295EEENS1_37radix_sort_block_sort_config_selectorIyNS0_10empty_typeEEEZNS1_21radix_sort_block_sortIS4_Lb0EPyS9_PS6_SA_NS0_19identity_decomposerEEE10hipError_tT1_T2_T3_T4_jRjT5_jjP12ihipStream_tbEUlT_E_NS1_11comp_targetILNS1_3genE2ELNS1_11target_archE906ELNS1_3gpuE6ELNS1_3repE0EEENS1_44radix_sort_block_sort_config_static_selectorELNS0_4arch9wavefront6targetE1EEEvSD_: ; @_ZN7rocprim17ROCPRIM_400000_NS6detail17trampoline_kernelINS0_13kernel_configILj256ELj4ELj4294967295EEENS1_37radix_sort_block_sort_config_selectorIyNS0_10empty_typeEEEZNS1_21radix_sort_block_sortIS4_Lb0EPyS9_PS6_SA_NS0_19identity_decomposerEEE10hipError_tT1_T2_T3_T4_jRjT5_jjP12ihipStream_tbEUlT_E_NS1_11comp_targetILNS1_3genE2ELNS1_11target_archE906ELNS1_3gpuE6ELNS1_3repE0EEENS1_44radix_sort_block_sort_config_static_selectorELNS0_4arch9wavefront6targetE1EEEvSD_
; %bb.0:
	.section	.rodata,"a",@progbits
	.p2align	6, 0x0
	.amdhsa_kernel _ZN7rocprim17ROCPRIM_400000_NS6detail17trampoline_kernelINS0_13kernel_configILj256ELj4ELj4294967295EEENS1_37radix_sort_block_sort_config_selectorIyNS0_10empty_typeEEEZNS1_21radix_sort_block_sortIS4_Lb0EPyS9_PS6_SA_NS0_19identity_decomposerEEE10hipError_tT1_T2_T3_T4_jRjT5_jjP12ihipStream_tbEUlT_E_NS1_11comp_targetILNS1_3genE2ELNS1_11target_archE906ELNS1_3gpuE6ELNS1_3repE0EEENS1_44radix_sort_block_sort_config_static_selectorELNS0_4arch9wavefront6targetE1EEEvSD_
		.amdhsa_group_segment_fixed_size 0
		.amdhsa_private_segment_fixed_size 0
		.amdhsa_kernarg_size 48
		.amdhsa_user_sgpr_count 6
		.amdhsa_user_sgpr_private_segment_buffer 1
		.amdhsa_user_sgpr_dispatch_ptr 0
		.amdhsa_user_sgpr_queue_ptr 0
		.amdhsa_user_sgpr_kernarg_segment_ptr 1
		.amdhsa_user_sgpr_dispatch_id 0
		.amdhsa_user_sgpr_flat_scratch_init 0
		.amdhsa_user_sgpr_kernarg_preload_length 0
		.amdhsa_user_sgpr_kernarg_preload_offset 0
		.amdhsa_user_sgpr_private_segment_size 0
		.amdhsa_uses_dynamic_stack 0
		.amdhsa_system_sgpr_private_segment_wavefront_offset 0
		.amdhsa_system_sgpr_workgroup_id_x 1
		.amdhsa_system_sgpr_workgroup_id_y 0
		.amdhsa_system_sgpr_workgroup_id_z 0
		.amdhsa_system_sgpr_workgroup_info 0
		.amdhsa_system_vgpr_workitem_id 0
		.amdhsa_next_free_vgpr 1
		.amdhsa_next_free_sgpr 0
		.amdhsa_accum_offset 4
		.amdhsa_reserve_vcc 0
		.amdhsa_reserve_flat_scratch 0
		.amdhsa_float_round_mode_32 0
		.amdhsa_float_round_mode_16_64 0
		.amdhsa_float_denorm_mode_32 3
		.amdhsa_float_denorm_mode_16_64 3
		.amdhsa_dx10_clamp 1
		.amdhsa_ieee_mode 1
		.amdhsa_fp16_overflow 0
		.amdhsa_tg_split 0
		.amdhsa_exception_fp_ieee_invalid_op 0
		.amdhsa_exception_fp_denorm_src 0
		.amdhsa_exception_fp_ieee_div_zero 0
		.amdhsa_exception_fp_ieee_overflow 0
		.amdhsa_exception_fp_ieee_underflow 0
		.amdhsa_exception_fp_ieee_inexact 0
		.amdhsa_exception_int_div_zero 0
	.end_amdhsa_kernel
	.section	.text._ZN7rocprim17ROCPRIM_400000_NS6detail17trampoline_kernelINS0_13kernel_configILj256ELj4ELj4294967295EEENS1_37radix_sort_block_sort_config_selectorIyNS0_10empty_typeEEEZNS1_21radix_sort_block_sortIS4_Lb0EPyS9_PS6_SA_NS0_19identity_decomposerEEE10hipError_tT1_T2_T3_T4_jRjT5_jjP12ihipStream_tbEUlT_E_NS1_11comp_targetILNS1_3genE2ELNS1_11target_archE906ELNS1_3gpuE6ELNS1_3repE0EEENS1_44radix_sort_block_sort_config_static_selectorELNS0_4arch9wavefront6targetE1EEEvSD_,"axG",@progbits,_ZN7rocprim17ROCPRIM_400000_NS6detail17trampoline_kernelINS0_13kernel_configILj256ELj4ELj4294967295EEENS1_37radix_sort_block_sort_config_selectorIyNS0_10empty_typeEEEZNS1_21radix_sort_block_sortIS4_Lb0EPyS9_PS6_SA_NS0_19identity_decomposerEEE10hipError_tT1_T2_T3_T4_jRjT5_jjP12ihipStream_tbEUlT_E_NS1_11comp_targetILNS1_3genE2ELNS1_11target_archE906ELNS1_3gpuE6ELNS1_3repE0EEENS1_44radix_sort_block_sort_config_static_selectorELNS0_4arch9wavefront6targetE1EEEvSD_,comdat
.Lfunc_end1112:
	.size	_ZN7rocprim17ROCPRIM_400000_NS6detail17trampoline_kernelINS0_13kernel_configILj256ELj4ELj4294967295EEENS1_37radix_sort_block_sort_config_selectorIyNS0_10empty_typeEEEZNS1_21radix_sort_block_sortIS4_Lb0EPyS9_PS6_SA_NS0_19identity_decomposerEEE10hipError_tT1_T2_T3_T4_jRjT5_jjP12ihipStream_tbEUlT_E_NS1_11comp_targetILNS1_3genE2ELNS1_11target_archE906ELNS1_3gpuE6ELNS1_3repE0EEENS1_44radix_sort_block_sort_config_static_selectorELNS0_4arch9wavefront6targetE1EEEvSD_, .Lfunc_end1112-_ZN7rocprim17ROCPRIM_400000_NS6detail17trampoline_kernelINS0_13kernel_configILj256ELj4ELj4294967295EEENS1_37radix_sort_block_sort_config_selectorIyNS0_10empty_typeEEEZNS1_21radix_sort_block_sortIS4_Lb0EPyS9_PS6_SA_NS0_19identity_decomposerEEE10hipError_tT1_T2_T3_T4_jRjT5_jjP12ihipStream_tbEUlT_E_NS1_11comp_targetILNS1_3genE2ELNS1_11target_archE906ELNS1_3gpuE6ELNS1_3repE0EEENS1_44radix_sort_block_sort_config_static_selectorELNS0_4arch9wavefront6targetE1EEEvSD_
                                        ; -- End function
	.section	.AMDGPU.csdata,"",@progbits
; Kernel info:
; codeLenInByte = 0
; NumSgprs: 4
; NumVgprs: 0
; NumAgprs: 0
; TotalNumVgprs: 0
; ScratchSize: 0
; MemoryBound: 0
; FloatMode: 240
; IeeeMode: 1
; LDSByteSize: 0 bytes/workgroup (compile time only)
; SGPRBlocks: 0
; VGPRBlocks: 0
; NumSGPRsForWavesPerEU: 4
; NumVGPRsForWavesPerEU: 1
; AccumOffset: 4
; Occupancy: 8
; WaveLimiterHint : 0
; COMPUTE_PGM_RSRC2:SCRATCH_EN: 0
; COMPUTE_PGM_RSRC2:USER_SGPR: 6
; COMPUTE_PGM_RSRC2:TRAP_HANDLER: 0
; COMPUTE_PGM_RSRC2:TGID_X_EN: 1
; COMPUTE_PGM_RSRC2:TGID_Y_EN: 0
; COMPUTE_PGM_RSRC2:TGID_Z_EN: 0
; COMPUTE_PGM_RSRC2:TIDIG_COMP_CNT: 0
; COMPUTE_PGM_RSRC3_GFX90A:ACCUM_OFFSET: 0
; COMPUTE_PGM_RSRC3_GFX90A:TG_SPLIT: 0
	.section	.text._ZN7rocprim17ROCPRIM_400000_NS6detail17trampoline_kernelINS0_13kernel_configILj256ELj4ELj4294967295EEENS1_37radix_sort_block_sort_config_selectorIyNS0_10empty_typeEEEZNS1_21radix_sort_block_sortIS4_Lb0EPyS9_PS6_SA_NS0_19identity_decomposerEEE10hipError_tT1_T2_T3_T4_jRjT5_jjP12ihipStream_tbEUlT_E_NS1_11comp_targetILNS1_3genE10ELNS1_11target_archE1201ELNS1_3gpuE5ELNS1_3repE0EEENS1_44radix_sort_block_sort_config_static_selectorELNS0_4arch9wavefront6targetE1EEEvSD_,"axG",@progbits,_ZN7rocprim17ROCPRIM_400000_NS6detail17trampoline_kernelINS0_13kernel_configILj256ELj4ELj4294967295EEENS1_37radix_sort_block_sort_config_selectorIyNS0_10empty_typeEEEZNS1_21radix_sort_block_sortIS4_Lb0EPyS9_PS6_SA_NS0_19identity_decomposerEEE10hipError_tT1_T2_T3_T4_jRjT5_jjP12ihipStream_tbEUlT_E_NS1_11comp_targetILNS1_3genE10ELNS1_11target_archE1201ELNS1_3gpuE5ELNS1_3repE0EEENS1_44radix_sort_block_sort_config_static_selectorELNS0_4arch9wavefront6targetE1EEEvSD_,comdat
	.protected	_ZN7rocprim17ROCPRIM_400000_NS6detail17trampoline_kernelINS0_13kernel_configILj256ELj4ELj4294967295EEENS1_37radix_sort_block_sort_config_selectorIyNS0_10empty_typeEEEZNS1_21radix_sort_block_sortIS4_Lb0EPyS9_PS6_SA_NS0_19identity_decomposerEEE10hipError_tT1_T2_T3_T4_jRjT5_jjP12ihipStream_tbEUlT_E_NS1_11comp_targetILNS1_3genE10ELNS1_11target_archE1201ELNS1_3gpuE5ELNS1_3repE0EEENS1_44radix_sort_block_sort_config_static_selectorELNS0_4arch9wavefront6targetE1EEEvSD_ ; -- Begin function _ZN7rocprim17ROCPRIM_400000_NS6detail17trampoline_kernelINS0_13kernel_configILj256ELj4ELj4294967295EEENS1_37radix_sort_block_sort_config_selectorIyNS0_10empty_typeEEEZNS1_21radix_sort_block_sortIS4_Lb0EPyS9_PS6_SA_NS0_19identity_decomposerEEE10hipError_tT1_T2_T3_T4_jRjT5_jjP12ihipStream_tbEUlT_E_NS1_11comp_targetILNS1_3genE10ELNS1_11target_archE1201ELNS1_3gpuE5ELNS1_3repE0EEENS1_44radix_sort_block_sort_config_static_selectorELNS0_4arch9wavefront6targetE1EEEvSD_
	.globl	_ZN7rocprim17ROCPRIM_400000_NS6detail17trampoline_kernelINS0_13kernel_configILj256ELj4ELj4294967295EEENS1_37radix_sort_block_sort_config_selectorIyNS0_10empty_typeEEEZNS1_21radix_sort_block_sortIS4_Lb0EPyS9_PS6_SA_NS0_19identity_decomposerEEE10hipError_tT1_T2_T3_T4_jRjT5_jjP12ihipStream_tbEUlT_E_NS1_11comp_targetILNS1_3genE10ELNS1_11target_archE1201ELNS1_3gpuE5ELNS1_3repE0EEENS1_44radix_sort_block_sort_config_static_selectorELNS0_4arch9wavefront6targetE1EEEvSD_
	.p2align	8
	.type	_ZN7rocprim17ROCPRIM_400000_NS6detail17trampoline_kernelINS0_13kernel_configILj256ELj4ELj4294967295EEENS1_37radix_sort_block_sort_config_selectorIyNS0_10empty_typeEEEZNS1_21radix_sort_block_sortIS4_Lb0EPyS9_PS6_SA_NS0_19identity_decomposerEEE10hipError_tT1_T2_T3_T4_jRjT5_jjP12ihipStream_tbEUlT_E_NS1_11comp_targetILNS1_3genE10ELNS1_11target_archE1201ELNS1_3gpuE5ELNS1_3repE0EEENS1_44radix_sort_block_sort_config_static_selectorELNS0_4arch9wavefront6targetE1EEEvSD_,@function
_ZN7rocprim17ROCPRIM_400000_NS6detail17trampoline_kernelINS0_13kernel_configILj256ELj4ELj4294967295EEENS1_37radix_sort_block_sort_config_selectorIyNS0_10empty_typeEEEZNS1_21radix_sort_block_sortIS4_Lb0EPyS9_PS6_SA_NS0_19identity_decomposerEEE10hipError_tT1_T2_T3_T4_jRjT5_jjP12ihipStream_tbEUlT_E_NS1_11comp_targetILNS1_3genE10ELNS1_11target_archE1201ELNS1_3gpuE5ELNS1_3repE0EEENS1_44radix_sort_block_sort_config_static_selectorELNS0_4arch9wavefront6targetE1EEEvSD_: ; @_ZN7rocprim17ROCPRIM_400000_NS6detail17trampoline_kernelINS0_13kernel_configILj256ELj4ELj4294967295EEENS1_37radix_sort_block_sort_config_selectorIyNS0_10empty_typeEEEZNS1_21radix_sort_block_sortIS4_Lb0EPyS9_PS6_SA_NS0_19identity_decomposerEEE10hipError_tT1_T2_T3_T4_jRjT5_jjP12ihipStream_tbEUlT_E_NS1_11comp_targetILNS1_3genE10ELNS1_11target_archE1201ELNS1_3gpuE5ELNS1_3repE0EEENS1_44radix_sort_block_sort_config_static_selectorELNS0_4arch9wavefront6targetE1EEEvSD_
; %bb.0:
	.section	.rodata,"a",@progbits
	.p2align	6, 0x0
	.amdhsa_kernel _ZN7rocprim17ROCPRIM_400000_NS6detail17trampoline_kernelINS0_13kernel_configILj256ELj4ELj4294967295EEENS1_37radix_sort_block_sort_config_selectorIyNS0_10empty_typeEEEZNS1_21radix_sort_block_sortIS4_Lb0EPyS9_PS6_SA_NS0_19identity_decomposerEEE10hipError_tT1_T2_T3_T4_jRjT5_jjP12ihipStream_tbEUlT_E_NS1_11comp_targetILNS1_3genE10ELNS1_11target_archE1201ELNS1_3gpuE5ELNS1_3repE0EEENS1_44radix_sort_block_sort_config_static_selectorELNS0_4arch9wavefront6targetE1EEEvSD_
		.amdhsa_group_segment_fixed_size 0
		.amdhsa_private_segment_fixed_size 0
		.amdhsa_kernarg_size 48
		.amdhsa_user_sgpr_count 6
		.amdhsa_user_sgpr_private_segment_buffer 1
		.amdhsa_user_sgpr_dispatch_ptr 0
		.amdhsa_user_sgpr_queue_ptr 0
		.amdhsa_user_sgpr_kernarg_segment_ptr 1
		.amdhsa_user_sgpr_dispatch_id 0
		.amdhsa_user_sgpr_flat_scratch_init 0
		.amdhsa_user_sgpr_kernarg_preload_length 0
		.amdhsa_user_sgpr_kernarg_preload_offset 0
		.amdhsa_user_sgpr_private_segment_size 0
		.amdhsa_uses_dynamic_stack 0
		.amdhsa_system_sgpr_private_segment_wavefront_offset 0
		.amdhsa_system_sgpr_workgroup_id_x 1
		.amdhsa_system_sgpr_workgroup_id_y 0
		.amdhsa_system_sgpr_workgroup_id_z 0
		.amdhsa_system_sgpr_workgroup_info 0
		.amdhsa_system_vgpr_workitem_id 0
		.amdhsa_next_free_vgpr 1
		.amdhsa_next_free_sgpr 0
		.amdhsa_accum_offset 4
		.amdhsa_reserve_vcc 0
		.amdhsa_reserve_flat_scratch 0
		.amdhsa_float_round_mode_32 0
		.amdhsa_float_round_mode_16_64 0
		.amdhsa_float_denorm_mode_32 3
		.amdhsa_float_denorm_mode_16_64 3
		.amdhsa_dx10_clamp 1
		.amdhsa_ieee_mode 1
		.amdhsa_fp16_overflow 0
		.amdhsa_tg_split 0
		.amdhsa_exception_fp_ieee_invalid_op 0
		.amdhsa_exception_fp_denorm_src 0
		.amdhsa_exception_fp_ieee_div_zero 0
		.amdhsa_exception_fp_ieee_overflow 0
		.amdhsa_exception_fp_ieee_underflow 0
		.amdhsa_exception_fp_ieee_inexact 0
		.amdhsa_exception_int_div_zero 0
	.end_amdhsa_kernel
	.section	.text._ZN7rocprim17ROCPRIM_400000_NS6detail17trampoline_kernelINS0_13kernel_configILj256ELj4ELj4294967295EEENS1_37radix_sort_block_sort_config_selectorIyNS0_10empty_typeEEEZNS1_21radix_sort_block_sortIS4_Lb0EPyS9_PS6_SA_NS0_19identity_decomposerEEE10hipError_tT1_T2_T3_T4_jRjT5_jjP12ihipStream_tbEUlT_E_NS1_11comp_targetILNS1_3genE10ELNS1_11target_archE1201ELNS1_3gpuE5ELNS1_3repE0EEENS1_44radix_sort_block_sort_config_static_selectorELNS0_4arch9wavefront6targetE1EEEvSD_,"axG",@progbits,_ZN7rocprim17ROCPRIM_400000_NS6detail17trampoline_kernelINS0_13kernel_configILj256ELj4ELj4294967295EEENS1_37radix_sort_block_sort_config_selectorIyNS0_10empty_typeEEEZNS1_21radix_sort_block_sortIS4_Lb0EPyS9_PS6_SA_NS0_19identity_decomposerEEE10hipError_tT1_T2_T3_T4_jRjT5_jjP12ihipStream_tbEUlT_E_NS1_11comp_targetILNS1_3genE10ELNS1_11target_archE1201ELNS1_3gpuE5ELNS1_3repE0EEENS1_44radix_sort_block_sort_config_static_selectorELNS0_4arch9wavefront6targetE1EEEvSD_,comdat
.Lfunc_end1113:
	.size	_ZN7rocprim17ROCPRIM_400000_NS6detail17trampoline_kernelINS0_13kernel_configILj256ELj4ELj4294967295EEENS1_37radix_sort_block_sort_config_selectorIyNS0_10empty_typeEEEZNS1_21radix_sort_block_sortIS4_Lb0EPyS9_PS6_SA_NS0_19identity_decomposerEEE10hipError_tT1_T2_T3_T4_jRjT5_jjP12ihipStream_tbEUlT_E_NS1_11comp_targetILNS1_3genE10ELNS1_11target_archE1201ELNS1_3gpuE5ELNS1_3repE0EEENS1_44radix_sort_block_sort_config_static_selectorELNS0_4arch9wavefront6targetE1EEEvSD_, .Lfunc_end1113-_ZN7rocprim17ROCPRIM_400000_NS6detail17trampoline_kernelINS0_13kernel_configILj256ELj4ELj4294967295EEENS1_37radix_sort_block_sort_config_selectorIyNS0_10empty_typeEEEZNS1_21radix_sort_block_sortIS4_Lb0EPyS9_PS6_SA_NS0_19identity_decomposerEEE10hipError_tT1_T2_T3_T4_jRjT5_jjP12ihipStream_tbEUlT_E_NS1_11comp_targetILNS1_3genE10ELNS1_11target_archE1201ELNS1_3gpuE5ELNS1_3repE0EEENS1_44radix_sort_block_sort_config_static_selectorELNS0_4arch9wavefront6targetE1EEEvSD_
                                        ; -- End function
	.section	.AMDGPU.csdata,"",@progbits
; Kernel info:
; codeLenInByte = 0
; NumSgprs: 4
; NumVgprs: 0
; NumAgprs: 0
; TotalNumVgprs: 0
; ScratchSize: 0
; MemoryBound: 0
; FloatMode: 240
; IeeeMode: 1
; LDSByteSize: 0 bytes/workgroup (compile time only)
; SGPRBlocks: 0
; VGPRBlocks: 0
; NumSGPRsForWavesPerEU: 4
; NumVGPRsForWavesPerEU: 1
; AccumOffset: 4
; Occupancy: 8
; WaveLimiterHint : 0
; COMPUTE_PGM_RSRC2:SCRATCH_EN: 0
; COMPUTE_PGM_RSRC2:USER_SGPR: 6
; COMPUTE_PGM_RSRC2:TRAP_HANDLER: 0
; COMPUTE_PGM_RSRC2:TGID_X_EN: 1
; COMPUTE_PGM_RSRC2:TGID_Y_EN: 0
; COMPUTE_PGM_RSRC2:TGID_Z_EN: 0
; COMPUTE_PGM_RSRC2:TIDIG_COMP_CNT: 0
; COMPUTE_PGM_RSRC3_GFX90A:ACCUM_OFFSET: 0
; COMPUTE_PGM_RSRC3_GFX90A:TG_SPLIT: 0
	.section	.text._ZN7rocprim17ROCPRIM_400000_NS6detail17trampoline_kernelINS0_13kernel_configILj256ELj4ELj4294967295EEENS1_37radix_sort_block_sort_config_selectorIyNS0_10empty_typeEEEZNS1_21radix_sort_block_sortIS4_Lb0EPyS9_PS6_SA_NS0_19identity_decomposerEEE10hipError_tT1_T2_T3_T4_jRjT5_jjP12ihipStream_tbEUlT_E_NS1_11comp_targetILNS1_3genE10ELNS1_11target_archE1200ELNS1_3gpuE4ELNS1_3repE0EEENS1_44radix_sort_block_sort_config_static_selectorELNS0_4arch9wavefront6targetE1EEEvSD_,"axG",@progbits,_ZN7rocprim17ROCPRIM_400000_NS6detail17trampoline_kernelINS0_13kernel_configILj256ELj4ELj4294967295EEENS1_37radix_sort_block_sort_config_selectorIyNS0_10empty_typeEEEZNS1_21radix_sort_block_sortIS4_Lb0EPyS9_PS6_SA_NS0_19identity_decomposerEEE10hipError_tT1_T2_T3_T4_jRjT5_jjP12ihipStream_tbEUlT_E_NS1_11comp_targetILNS1_3genE10ELNS1_11target_archE1200ELNS1_3gpuE4ELNS1_3repE0EEENS1_44radix_sort_block_sort_config_static_selectorELNS0_4arch9wavefront6targetE1EEEvSD_,comdat
	.protected	_ZN7rocprim17ROCPRIM_400000_NS6detail17trampoline_kernelINS0_13kernel_configILj256ELj4ELj4294967295EEENS1_37radix_sort_block_sort_config_selectorIyNS0_10empty_typeEEEZNS1_21radix_sort_block_sortIS4_Lb0EPyS9_PS6_SA_NS0_19identity_decomposerEEE10hipError_tT1_T2_T3_T4_jRjT5_jjP12ihipStream_tbEUlT_E_NS1_11comp_targetILNS1_3genE10ELNS1_11target_archE1200ELNS1_3gpuE4ELNS1_3repE0EEENS1_44radix_sort_block_sort_config_static_selectorELNS0_4arch9wavefront6targetE1EEEvSD_ ; -- Begin function _ZN7rocprim17ROCPRIM_400000_NS6detail17trampoline_kernelINS0_13kernel_configILj256ELj4ELj4294967295EEENS1_37radix_sort_block_sort_config_selectorIyNS0_10empty_typeEEEZNS1_21radix_sort_block_sortIS4_Lb0EPyS9_PS6_SA_NS0_19identity_decomposerEEE10hipError_tT1_T2_T3_T4_jRjT5_jjP12ihipStream_tbEUlT_E_NS1_11comp_targetILNS1_3genE10ELNS1_11target_archE1200ELNS1_3gpuE4ELNS1_3repE0EEENS1_44radix_sort_block_sort_config_static_selectorELNS0_4arch9wavefront6targetE1EEEvSD_
	.globl	_ZN7rocprim17ROCPRIM_400000_NS6detail17trampoline_kernelINS0_13kernel_configILj256ELj4ELj4294967295EEENS1_37radix_sort_block_sort_config_selectorIyNS0_10empty_typeEEEZNS1_21radix_sort_block_sortIS4_Lb0EPyS9_PS6_SA_NS0_19identity_decomposerEEE10hipError_tT1_T2_T3_T4_jRjT5_jjP12ihipStream_tbEUlT_E_NS1_11comp_targetILNS1_3genE10ELNS1_11target_archE1200ELNS1_3gpuE4ELNS1_3repE0EEENS1_44radix_sort_block_sort_config_static_selectorELNS0_4arch9wavefront6targetE1EEEvSD_
	.p2align	8
	.type	_ZN7rocprim17ROCPRIM_400000_NS6detail17trampoline_kernelINS0_13kernel_configILj256ELj4ELj4294967295EEENS1_37radix_sort_block_sort_config_selectorIyNS0_10empty_typeEEEZNS1_21radix_sort_block_sortIS4_Lb0EPyS9_PS6_SA_NS0_19identity_decomposerEEE10hipError_tT1_T2_T3_T4_jRjT5_jjP12ihipStream_tbEUlT_E_NS1_11comp_targetILNS1_3genE10ELNS1_11target_archE1200ELNS1_3gpuE4ELNS1_3repE0EEENS1_44radix_sort_block_sort_config_static_selectorELNS0_4arch9wavefront6targetE1EEEvSD_,@function
_ZN7rocprim17ROCPRIM_400000_NS6detail17trampoline_kernelINS0_13kernel_configILj256ELj4ELj4294967295EEENS1_37radix_sort_block_sort_config_selectorIyNS0_10empty_typeEEEZNS1_21radix_sort_block_sortIS4_Lb0EPyS9_PS6_SA_NS0_19identity_decomposerEEE10hipError_tT1_T2_T3_T4_jRjT5_jjP12ihipStream_tbEUlT_E_NS1_11comp_targetILNS1_3genE10ELNS1_11target_archE1200ELNS1_3gpuE4ELNS1_3repE0EEENS1_44radix_sort_block_sort_config_static_selectorELNS0_4arch9wavefront6targetE1EEEvSD_: ; @_ZN7rocprim17ROCPRIM_400000_NS6detail17trampoline_kernelINS0_13kernel_configILj256ELj4ELj4294967295EEENS1_37radix_sort_block_sort_config_selectorIyNS0_10empty_typeEEEZNS1_21radix_sort_block_sortIS4_Lb0EPyS9_PS6_SA_NS0_19identity_decomposerEEE10hipError_tT1_T2_T3_T4_jRjT5_jjP12ihipStream_tbEUlT_E_NS1_11comp_targetILNS1_3genE10ELNS1_11target_archE1200ELNS1_3gpuE4ELNS1_3repE0EEENS1_44radix_sort_block_sort_config_static_selectorELNS0_4arch9wavefront6targetE1EEEvSD_
; %bb.0:
	.section	.rodata,"a",@progbits
	.p2align	6, 0x0
	.amdhsa_kernel _ZN7rocprim17ROCPRIM_400000_NS6detail17trampoline_kernelINS0_13kernel_configILj256ELj4ELj4294967295EEENS1_37radix_sort_block_sort_config_selectorIyNS0_10empty_typeEEEZNS1_21radix_sort_block_sortIS4_Lb0EPyS9_PS6_SA_NS0_19identity_decomposerEEE10hipError_tT1_T2_T3_T4_jRjT5_jjP12ihipStream_tbEUlT_E_NS1_11comp_targetILNS1_3genE10ELNS1_11target_archE1200ELNS1_3gpuE4ELNS1_3repE0EEENS1_44radix_sort_block_sort_config_static_selectorELNS0_4arch9wavefront6targetE1EEEvSD_
		.amdhsa_group_segment_fixed_size 0
		.amdhsa_private_segment_fixed_size 0
		.amdhsa_kernarg_size 48
		.amdhsa_user_sgpr_count 6
		.amdhsa_user_sgpr_private_segment_buffer 1
		.amdhsa_user_sgpr_dispatch_ptr 0
		.amdhsa_user_sgpr_queue_ptr 0
		.amdhsa_user_sgpr_kernarg_segment_ptr 1
		.amdhsa_user_sgpr_dispatch_id 0
		.amdhsa_user_sgpr_flat_scratch_init 0
		.amdhsa_user_sgpr_kernarg_preload_length 0
		.amdhsa_user_sgpr_kernarg_preload_offset 0
		.amdhsa_user_sgpr_private_segment_size 0
		.amdhsa_uses_dynamic_stack 0
		.amdhsa_system_sgpr_private_segment_wavefront_offset 0
		.amdhsa_system_sgpr_workgroup_id_x 1
		.amdhsa_system_sgpr_workgroup_id_y 0
		.amdhsa_system_sgpr_workgroup_id_z 0
		.amdhsa_system_sgpr_workgroup_info 0
		.amdhsa_system_vgpr_workitem_id 0
		.amdhsa_next_free_vgpr 1
		.amdhsa_next_free_sgpr 0
		.amdhsa_accum_offset 4
		.amdhsa_reserve_vcc 0
		.amdhsa_reserve_flat_scratch 0
		.amdhsa_float_round_mode_32 0
		.amdhsa_float_round_mode_16_64 0
		.amdhsa_float_denorm_mode_32 3
		.amdhsa_float_denorm_mode_16_64 3
		.amdhsa_dx10_clamp 1
		.amdhsa_ieee_mode 1
		.amdhsa_fp16_overflow 0
		.amdhsa_tg_split 0
		.amdhsa_exception_fp_ieee_invalid_op 0
		.amdhsa_exception_fp_denorm_src 0
		.amdhsa_exception_fp_ieee_div_zero 0
		.amdhsa_exception_fp_ieee_overflow 0
		.amdhsa_exception_fp_ieee_underflow 0
		.amdhsa_exception_fp_ieee_inexact 0
		.amdhsa_exception_int_div_zero 0
	.end_amdhsa_kernel
	.section	.text._ZN7rocprim17ROCPRIM_400000_NS6detail17trampoline_kernelINS0_13kernel_configILj256ELj4ELj4294967295EEENS1_37radix_sort_block_sort_config_selectorIyNS0_10empty_typeEEEZNS1_21radix_sort_block_sortIS4_Lb0EPyS9_PS6_SA_NS0_19identity_decomposerEEE10hipError_tT1_T2_T3_T4_jRjT5_jjP12ihipStream_tbEUlT_E_NS1_11comp_targetILNS1_3genE10ELNS1_11target_archE1200ELNS1_3gpuE4ELNS1_3repE0EEENS1_44radix_sort_block_sort_config_static_selectorELNS0_4arch9wavefront6targetE1EEEvSD_,"axG",@progbits,_ZN7rocprim17ROCPRIM_400000_NS6detail17trampoline_kernelINS0_13kernel_configILj256ELj4ELj4294967295EEENS1_37radix_sort_block_sort_config_selectorIyNS0_10empty_typeEEEZNS1_21radix_sort_block_sortIS4_Lb0EPyS9_PS6_SA_NS0_19identity_decomposerEEE10hipError_tT1_T2_T3_T4_jRjT5_jjP12ihipStream_tbEUlT_E_NS1_11comp_targetILNS1_3genE10ELNS1_11target_archE1200ELNS1_3gpuE4ELNS1_3repE0EEENS1_44radix_sort_block_sort_config_static_selectorELNS0_4arch9wavefront6targetE1EEEvSD_,comdat
.Lfunc_end1114:
	.size	_ZN7rocprim17ROCPRIM_400000_NS6detail17trampoline_kernelINS0_13kernel_configILj256ELj4ELj4294967295EEENS1_37radix_sort_block_sort_config_selectorIyNS0_10empty_typeEEEZNS1_21radix_sort_block_sortIS4_Lb0EPyS9_PS6_SA_NS0_19identity_decomposerEEE10hipError_tT1_T2_T3_T4_jRjT5_jjP12ihipStream_tbEUlT_E_NS1_11comp_targetILNS1_3genE10ELNS1_11target_archE1200ELNS1_3gpuE4ELNS1_3repE0EEENS1_44radix_sort_block_sort_config_static_selectorELNS0_4arch9wavefront6targetE1EEEvSD_, .Lfunc_end1114-_ZN7rocprim17ROCPRIM_400000_NS6detail17trampoline_kernelINS0_13kernel_configILj256ELj4ELj4294967295EEENS1_37radix_sort_block_sort_config_selectorIyNS0_10empty_typeEEEZNS1_21radix_sort_block_sortIS4_Lb0EPyS9_PS6_SA_NS0_19identity_decomposerEEE10hipError_tT1_T2_T3_T4_jRjT5_jjP12ihipStream_tbEUlT_E_NS1_11comp_targetILNS1_3genE10ELNS1_11target_archE1200ELNS1_3gpuE4ELNS1_3repE0EEENS1_44radix_sort_block_sort_config_static_selectorELNS0_4arch9wavefront6targetE1EEEvSD_
                                        ; -- End function
	.section	.AMDGPU.csdata,"",@progbits
; Kernel info:
; codeLenInByte = 0
; NumSgprs: 4
; NumVgprs: 0
; NumAgprs: 0
; TotalNumVgprs: 0
; ScratchSize: 0
; MemoryBound: 0
; FloatMode: 240
; IeeeMode: 1
; LDSByteSize: 0 bytes/workgroup (compile time only)
; SGPRBlocks: 0
; VGPRBlocks: 0
; NumSGPRsForWavesPerEU: 4
; NumVGPRsForWavesPerEU: 1
; AccumOffset: 4
; Occupancy: 8
; WaveLimiterHint : 0
; COMPUTE_PGM_RSRC2:SCRATCH_EN: 0
; COMPUTE_PGM_RSRC2:USER_SGPR: 6
; COMPUTE_PGM_RSRC2:TRAP_HANDLER: 0
; COMPUTE_PGM_RSRC2:TGID_X_EN: 1
; COMPUTE_PGM_RSRC2:TGID_Y_EN: 0
; COMPUTE_PGM_RSRC2:TGID_Z_EN: 0
; COMPUTE_PGM_RSRC2:TIDIG_COMP_CNT: 0
; COMPUTE_PGM_RSRC3_GFX90A:ACCUM_OFFSET: 0
; COMPUTE_PGM_RSRC3_GFX90A:TG_SPLIT: 0
	.section	.text._ZN7rocprim17ROCPRIM_400000_NS6detail17trampoline_kernelINS0_13kernel_configILj256ELj4ELj4294967295EEENS1_37radix_sort_block_sort_config_selectorIyNS0_10empty_typeEEEZNS1_21radix_sort_block_sortIS4_Lb0EPyS9_PS6_SA_NS0_19identity_decomposerEEE10hipError_tT1_T2_T3_T4_jRjT5_jjP12ihipStream_tbEUlT_E_NS1_11comp_targetILNS1_3genE9ELNS1_11target_archE1100ELNS1_3gpuE3ELNS1_3repE0EEENS1_44radix_sort_block_sort_config_static_selectorELNS0_4arch9wavefront6targetE1EEEvSD_,"axG",@progbits,_ZN7rocprim17ROCPRIM_400000_NS6detail17trampoline_kernelINS0_13kernel_configILj256ELj4ELj4294967295EEENS1_37radix_sort_block_sort_config_selectorIyNS0_10empty_typeEEEZNS1_21radix_sort_block_sortIS4_Lb0EPyS9_PS6_SA_NS0_19identity_decomposerEEE10hipError_tT1_T2_T3_T4_jRjT5_jjP12ihipStream_tbEUlT_E_NS1_11comp_targetILNS1_3genE9ELNS1_11target_archE1100ELNS1_3gpuE3ELNS1_3repE0EEENS1_44radix_sort_block_sort_config_static_selectorELNS0_4arch9wavefront6targetE1EEEvSD_,comdat
	.protected	_ZN7rocprim17ROCPRIM_400000_NS6detail17trampoline_kernelINS0_13kernel_configILj256ELj4ELj4294967295EEENS1_37radix_sort_block_sort_config_selectorIyNS0_10empty_typeEEEZNS1_21radix_sort_block_sortIS4_Lb0EPyS9_PS6_SA_NS0_19identity_decomposerEEE10hipError_tT1_T2_T3_T4_jRjT5_jjP12ihipStream_tbEUlT_E_NS1_11comp_targetILNS1_3genE9ELNS1_11target_archE1100ELNS1_3gpuE3ELNS1_3repE0EEENS1_44radix_sort_block_sort_config_static_selectorELNS0_4arch9wavefront6targetE1EEEvSD_ ; -- Begin function _ZN7rocprim17ROCPRIM_400000_NS6detail17trampoline_kernelINS0_13kernel_configILj256ELj4ELj4294967295EEENS1_37radix_sort_block_sort_config_selectorIyNS0_10empty_typeEEEZNS1_21radix_sort_block_sortIS4_Lb0EPyS9_PS6_SA_NS0_19identity_decomposerEEE10hipError_tT1_T2_T3_T4_jRjT5_jjP12ihipStream_tbEUlT_E_NS1_11comp_targetILNS1_3genE9ELNS1_11target_archE1100ELNS1_3gpuE3ELNS1_3repE0EEENS1_44radix_sort_block_sort_config_static_selectorELNS0_4arch9wavefront6targetE1EEEvSD_
	.globl	_ZN7rocprim17ROCPRIM_400000_NS6detail17trampoline_kernelINS0_13kernel_configILj256ELj4ELj4294967295EEENS1_37radix_sort_block_sort_config_selectorIyNS0_10empty_typeEEEZNS1_21radix_sort_block_sortIS4_Lb0EPyS9_PS6_SA_NS0_19identity_decomposerEEE10hipError_tT1_T2_T3_T4_jRjT5_jjP12ihipStream_tbEUlT_E_NS1_11comp_targetILNS1_3genE9ELNS1_11target_archE1100ELNS1_3gpuE3ELNS1_3repE0EEENS1_44radix_sort_block_sort_config_static_selectorELNS0_4arch9wavefront6targetE1EEEvSD_
	.p2align	8
	.type	_ZN7rocprim17ROCPRIM_400000_NS6detail17trampoline_kernelINS0_13kernel_configILj256ELj4ELj4294967295EEENS1_37radix_sort_block_sort_config_selectorIyNS0_10empty_typeEEEZNS1_21radix_sort_block_sortIS4_Lb0EPyS9_PS6_SA_NS0_19identity_decomposerEEE10hipError_tT1_T2_T3_T4_jRjT5_jjP12ihipStream_tbEUlT_E_NS1_11comp_targetILNS1_3genE9ELNS1_11target_archE1100ELNS1_3gpuE3ELNS1_3repE0EEENS1_44radix_sort_block_sort_config_static_selectorELNS0_4arch9wavefront6targetE1EEEvSD_,@function
_ZN7rocprim17ROCPRIM_400000_NS6detail17trampoline_kernelINS0_13kernel_configILj256ELj4ELj4294967295EEENS1_37radix_sort_block_sort_config_selectorIyNS0_10empty_typeEEEZNS1_21radix_sort_block_sortIS4_Lb0EPyS9_PS6_SA_NS0_19identity_decomposerEEE10hipError_tT1_T2_T3_T4_jRjT5_jjP12ihipStream_tbEUlT_E_NS1_11comp_targetILNS1_3genE9ELNS1_11target_archE1100ELNS1_3gpuE3ELNS1_3repE0EEENS1_44radix_sort_block_sort_config_static_selectorELNS0_4arch9wavefront6targetE1EEEvSD_: ; @_ZN7rocprim17ROCPRIM_400000_NS6detail17trampoline_kernelINS0_13kernel_configILj256ELj4ELj4294967295EEENS1_37radix_sort_block_sort_config_selectorIyNS0_10empty_typeEEEZNS1_21radix_sort_block_sortIS4_Lb0EPyS9_PS6_SA_NS0_19identity_decomposerEEE10hipError_tT1_T2_T3_T4_jRjT5_jjP12ihipStream_tbEUlT_E_NS1_11comp_targetILNS1_3genE9ELNS1_11target_archE1100ELNS1_3gpuE3ELNS1_3repE0EEENS1_44radix_sort_block_sort_config_static_selectorELNS0_4arch9wavefront6targetE1EEEvSD_
; %bb.0:
	.section	.rodata,"a",@progbits
	.p2align	6, 0x0
	.amdhsa_kernel _ZN7rocprim17ROCPRIM_400000_NS6detail17trampoline_kernelINS0_13kernel_configILj256ELj4ELj4294967295EEENS1_37radix_sort_block_sort_config_selectorIyNS0_10empty_typeEEEZNS1_21radix_sort_block_sortIS4_Lb0EPyS9_PS6_SA_NS0_19identity_decomposerEEE10hipError_tT1_T2_T3_T4_jRjT5_jjP12ihipStream_tbEUlT_E_NS1_11comp_targetILNS1_3genE9ELNS1_11target_archE1100ELNS1_3gpuE3ELNS1_3repE0EEENS1_44radix_sort_block_sort_config_static_selectorELNS0_4arch9wavefront6targetE1EEEvSD_
		.amdhsa_group_segment_fixed_size 0
		.amdhsa_private_segment_fixed_size 0
		.amdhsa_kernarg_size 48
		.amdhsa_user_sgpr_count 6
		.amdhsa_user_sgpr_private_segment_buffer 1
		.amdhsa_user_sgpr_dispatch_ptr 0
		.amdhsa_user_sgpr_queue_ptr 0
		.amdhsa_user_sgpr_kernarg_segment_ptr 1
		.amdhsa_user_sgpr_dispatch_id 0
		.amdhsa_user_sgpr_flat_scratch_init 0
		.amdhsa_user_sgpr_kernarg_preload_length 0
		.amdhsa_user_sgpr_kernarg_preload_offset 0
		.amdhsa_user_sgpr_private_segment_size 0
		.amdhsa_uses_dynamic_stack 0
		.amdhsa_system_sgpr_private_segment_wavefront_offset 0
		.amdhsa_system_sgpr_workgroup_id_x 1
		.amdhsa_system_sgpr_workgroup_id_y 0
		.amdhsa_system_sgpr_workgroup_id_z 0
		.amdhsa_system_sgpr_workgroup_info 0
		.amdhsa_system_vgpr_workitem_id 0
		.amdhsa_next_free_vgpr 1
		.amdhsa_next_free_sgpr 0
		.amdhsa_accum_offset 4
		.amdhsa_reserve_vcc 0
		.amdhsa_reserve_flat_scratch 0
		.amdhsa_float_round_mode_32 0
		.amdhsa_float_round_mode_16_64 0
		.amdhsa_float_denorm_mode_32 3
		.amdhsa_float_denorm_mode_16_64 3
		.amdhsa_dx10_clamp 1
		.amdhsa_ieee_mode 1
		.amdhsa_fp16_overflow 0
		.amdhsa_tg_split 0
		.amdhsa_exception_fp_ieee_invalid_op 0
		.amdhsa_exception_fp_denorm_src 0
		.amdhsa_exception_fp_ieee_div_zero 0
		.amdhsa_exception_fp_ieee_overflow 0
		.amdhsa_exception_fp_ieee_underflow 0
		.amdhsa_exception_fp_ieee_inexact 0
		.amdhsa_exception_int_div_zero 0
	.end_amdhsa_kernel
	.section	.text._ZN7rocprim17ROCPRIM_400000_NS6detail17trampoline_kernelINS0_13kernel_configILj256ELj4ELj4294967295EEENS1_37radix_sort_block_sort_config_selectorIyNS0_10empty_typeEEEZNS1_21radix_sort_block_sortIS4_Lb0EPyS9_PS6_SA_NS0_19identity_decomposerEEE10hipError_tT1_T2_T3_T4_jRjT5_jjP12ihipStream_tbEUlT_E_NS1_11comp_targetILNS1_3genE9ELNS1_11target_archE1100ELNS1_3gpuE3ELNS1_3repE0EEENS1_44radix_sort_block_sort_config_static_selectorELNS0_4arch9wavefront6targetE1EEEvSD_,"axG",@progbits,_ZN7rocprim17ROCPRIM_400000_NS6detail17trampoline_kernelINS0_13kernel_configILj256ELj4ELj4294967295EEENS1_37radix_sort_block_sort_config_selectorIyNS0_10empty_typeEEEZNS1_21radix_sort_block_sortIS4_Lb0EPyS9_PS6_SA_NS0_19identity_decomposerEEE10hipError_tT1_T2_T3_T4_jRjT5_jjP12ihipStream_tbEUlT_E_NS1_11comp_targetILNS1_3genE9ELNS1_11target_archE1100ELNS1_3gpuE3ELNS1_3repE0EEENS1_44radix_sort_block_sort_config_static_selectorELNS0_4arch9wavefront6targetE1EEEvSD_,comdat
.Lfunc_end1115:
	.size	_ZN7rocprim17ROCPRIM_400000_NS6detail17trampoline_kernelINS0_13kernel_configILj256ELj4ELj4294967295EEENS1_37radix_sort_block_sort_config_selectorIyNS0_10empty_typeEEEZNS1_21radix_sort_block_sortIS4_Lb0EPyS9_PS6_SA_NS0_19identity_decomposerEEE10hipError_tT1_T2_T3_T4_jRjT5_jjP12ihipStream_tbEUlT_E_NS1_11comp_targetILNS1_3genE9ELNS1_11target_archE1100ELNS1_3gpuE3ELNS1_3repE0EEENS1_44radix_sort_block_sort_config_static_selectorELNS0_4arch9wavefront6targetE1EEEvSD_, .Lfunc_end1115-_ZN7rocprim17ROCPRIM_400000_NS6detail17trampoline_kernelINS0_13kernel_configILj256ELj4ELj4294967295EEENS1_37radix_sort_block_sort_config_selectorIyNS0_10empty_typeEEEZNS1_21radix_sort_block_sortIS4_Lb0EPyS9_PS6_SA_NS0_19identity_decomposerEEE10hipError_tT1_T2_T3_T4_jRjT5_jjP12ihipStream_tbEUlT_E_NS1_11comp_targetILNS1_3genE9ELNS1_11target_archE1100ELNS1_3gpuE3ELNS1_3repE0EEENS1_44radix_sort_block_sort_config_static_selectorELNS0_4arch9wavefront6targetE1EEEvSD_
                                        ; -- End function
	.section	.AMDGPU.csdata,"",@progbits
; Kernel info:
; codeLenInByte = 0
; NumSgprs: 4
; NumVgprs: 0
; NumAgprs: 0
; TotalNumVgprs: 0
; ScratchSize: 0
; MemoryBound: 0
; FloatMode: 240
; IeeeMode: 1
; LDSByteSize: 0 bytes/workgroup (compile time only)
; SGPRBlocks: 0
; VGPRBlocks: 0
; NumSGPRsForWavesPerEU: 4
; NumVGPRsForWavesPerEU: 1
; AccumOffset: 4
; Occupancy: 8
; WaveLimiterHint : 0
; COMPUTE_PGM_RSRC2:SCRATCH_EN: 0
; COMPUTE_PGM_RSRC2:USER_SGPR: 6
; COMPUTE_PGM_RSRC2:TRAP_HANDLER: 0
; COMPUTE_PGM_RSRC2:TGID_X_EN: 1
; COMPUTE_PGM_RSRC2:TGID_Y_EN: 0
; COMPUTE_PGM_RSRC2:TGID_Z_EN: 0
; COMPUTE_PGM_RSRC2:TIDIG_COMP_CNT: 0
; COMPUTE_PGM_RSRC3_GFX90A:ACCUM_OFFSET: 0
; COMPUTE_PGM_RSRC3_GFX90A:TG_SPLIT: 0
	.section	.text._ZN7rocprim17ROCPRIM_400000_NS6detail17trampoline_kernelINS0_13kernel_configILj256ELj4ELj4294967295EEENS1_37radix_sort_block_sort_config_selectorIyNS0_10empty_typeEEEZNS1_21radix_sort_block_sortIS4_Lb0EPyS9_PS6_SA_NS0_19identity_decomposerEEE10hipError_tT1_T2_T3_T4_jRjT5_jjP12ihipStream_tbEUlT_E_NS1_11comp_targetILNS1_3genE8ELNS1_11target_archE1030ELNS1_3gpuE2ELNS1_3repE0EEENS1_44radix_sort_block_sort_config_static_selectorELNS0_4arch9wavefront6targetE1EEEvSD_,"axG",@progbits,_ZN7rocprim17ROCPRIM_400000_NS6detail17trampoline_kernelINS0_13kernel_configILj256ELj4ELj4294967295EEENS1_37radix_sort_block_sort_config_selectorIyNS0_10empty_typeEEEZNS1_21radix_sort_block_sortIS4_Lb0EPyS9_PS6_SA_NS0_19identity_decomposerEEE10hipError_tT1_T2_T3_T4_jRjT5_jjP12ihipStream_tbEUlT_E_NS1_11comp_targetILNS1_3genE8ELNS1_11target_archE1030ELNS1_3gpuE2ELNS1_3repE0EEENS1_44radix_sort_block_sort_config_static_selectorELNS0_4arch9wavefront6targetE1EEEvSD_,comdat
	.protected	_ZN7rocprim17ROCPRIM_400000_NS6detail17trampoline_kernelINS0_13kernel_configILj256ELj4ELj4294967295EEENS1_37radix_sort_block_sort_config_selectorIyNS0_10empty_typeEEEZNS1_21radix_sort_block_sortIS4_Lb0EPyS9_PS6_SA_NS0_19identity_decomposerEEE10hipError_tT1_T2_T3_T4_jRjT5_jjP12ihipStream_tbEUlT_E_NS1_11comp_targetILNS1_3genE8ELNS1_11target_archE1030ELNS1_3gpuE2ELNS1_3repE0EEENS1_44radix_sort_block_sort_config_static_selectorELNS0_4arch9wavefront6targetE1EEEvSD_ ; -- Begin function _ZN7rocprim17ROCPRIM_400000_NS6detail17trampoline_kernelINS0_13kernel_configILj256ELj4ELj4294967295EEENS1_37radix_sort_block_sort_config_selectorIyNS0_10empty_typeEEEZNS1_21radix_sort_block_sortIS4_Lb0EPyS9_PS6_SA_NS0_19identity_decomposerEEE10hipError_tT1_T2_T3_T4_jRjT5_jjP12ihipStream_tbEUlT_E_NS1_11comp_targetILNS1_3genE8ELNS1_11target_archE1030ELNS1_3gpuE2ELNS1_3repE0EEENS1_44radix_sort_block_sort_config_static_selectorELNS0_4arch9wavefront6targetE1EEEvSD_
	.globl	_ZN7rocprim17ROCPRIM_400000_NS6detail17trampoline_kernelINS0_13kernel_configILj256ELj4ELj4294967295EEENS1_37radix_sort_block_sort_config_selectorIyNS0_10empty_typeEEEZNS1_21radix_sort_block_sortIS4_Lb0EPyS9_PS6_SA_NS0_19identity_decomposerEEE10hipError_tT1_T2_T3_T4_jRjT5_jjP12ihipStream_tbEUlT_E_NS1_11comp_targetILNS1_3genE8ELNS1_11target_archE1030ELNS1_3gpuE2ELNS1_3repE0EEENS1_44radix_sort_block_sort_config_static_selectorELNS0_4arch9wavefront6targetE1EEEvSD_
	.p2align	8
	.type	_ZN7rocprim17ROCPRIM_400000_NS6detail17trampoline_kernelINS0_13kernel_configILj256ELj4ELj4294967295EEENS1_37radix_sort_block_sort_config_selectorIyNS0_10empty_typeEEEZNS1_21radix_sort_block_sortIS4_Lb0EPyS9_PS6_SA_NS0_19identity_decomposerEEE10hipError_tT1_T2_T3_T4_jRjT5_jjP12ihipStream_tbEUlT_E_NS1_11comp_targetILNS1_3genE8ELNS1_11target_archE1030ELNS1_3gpuE2ELNS1_3repE0EEENS1_44radix_sort_block_sort_config_static_selectorELNS0_4arch9wavefront6targetE1EEEvSD_,@function
_ZN7rocprim17ROCPRIM_400000_NS6detail17trampoline_kernelINS0_13kernel_configILj256ELj4ELj4294967295EEENS1_37radix_sort_block_sort_config_selectorIyNS0_10empty_typeEEEZNS1_21radix_sort_block_sortIS4_Lb0EPyS9_PS6_SA_NS0_19identity_decomposerEEE10hipError_tT1_T2_T3_T4_jRjT5_jjP12ihipStream_tbEUlT_E_NS1_11comp_targetILNS1_3genE8ELNS1_11target_archE1030ELNS1_3gpuE2ELNS1_3repE0EEENS1_44radix_sort_block_sort_config_static_selectorELNS0_4arch9wavefront6targetE1EEEvSD_: ; @_ZN7rocprim17ROCPRIM_400000_NS6detail17trampoline_kernelINS0_13kernel_configILj256ELj4ELj4294967295EEENS1_37radix_sort_block_sort_config_selectorIyNS0_10empty_typeEEEZNS1_21radix_sort_block_sortIS4_Lb0EPyS9_PS6_SA_NS0_19identity_decomposerEEE10hipError_tT1_T2_T3_T4_jRjT5_jjP12ihipStream_tbEUlT_E_NS1_11comp_targetILNS1_3genE8ELNS1_11target_archE1030ELNS1_3gpuE2ELNS1_3repE0EEENS1_44radix_sort_block_sort_config_static_selectorELNS0_4arch9wavefront6targetE1EEEvSD_
; %bb.0:
	.section	.rodata,"a",@progbits
	.p2align	6, 0x0
	.amdhsa_kernel _ZN7rocprim17ROCPRIM_400000_NS6detail17trampoline_kernelINS0_13kernel_configILj256ELj4ELj4294967295EEENS1_37radix_sort_block_sort_config_selectorIyNS0_10empty_typeEEEZNS1_21radix_sort_block_sortIS4_Lb0EPyS9_PS6_SA_NS0_19identity_decomposerEEE10hipError_tT1_T2_T3_T4_jRjT5_jjP12ihipStream_tbEUlT_E_NS1_11comp_targetILNS1_3genE8ELNS1_11target_archE1030ELNS1_3gpuE2ELNS1_3repE0EEENS1_44radix_sort_block_sort_config_static_selectorELNS0_4arch9wavefront6targetE1EEEvSD_
		.amdhsa_group_segment_fixed_size 0
		.amdhsa_private_segment_fixed_size 0
		.amdhsa_kernarg_size 48
		.amdhsa_user_sgpr_count 6
		.amdhsa_user_sgpr_private_segment_buffer 1
		.amdhsa_user_sgpr_dispatch_ptr 0
		.amdhsa_user_sgpr_queue_ptr 0
		.amdhsa_user_sgpr_kernarg_segment_ptr 1
		.amdhsa_user_sgpr_dispatch_id 0
		.amdhsa_user_sgpr_flat_scratch_init 0
		.amdhsa_user_sgpr_kernarg_preload_length 0
		.amdhsa_user_sgpr_kernarg_preload_offset 0
		.amdhsa_user_sgpr_private_segment_size 0
		.amdhsa_uses_dynamic_stack 0
		.amdhsa_system_sgpr_private_segment_wavefront_offset 0
		.amdhsa_system_sgpr_workgroup_id_x 1
		.amdhsa_system_sgpr_workgroup_id_y 0
		.amdhsa_system_sgpr_workgroup_id_z 0
		.amdhsa_system_sgpr_workgroup_info 0
		.amdhsa_system_vgpr_workitem_id 0
		.amdhsa_next_free_vgpr 1
		.amdhsa_next_free_sgpr 0
		.amdhsa_accum_offset 4
		.amdhsa_reserve_vcc 0
		.amdhsa_reserve_flat_scratch 0
		.amdhsa_float_round_mode_32 0
		.amdhsa_float_round_mode_16_64 0
		.amdhsa_float_denorm_mode_32 3
		.amdhsa_float_denorm_mode_16_64 3
		.amdhsa_dx10_clamp 1
		.amdhsa_ieee_mode 1
		.amdhsa_fp16_overflow 0
		.amdhsa_tg_split 0
		.amdhsa_exception_fp_ieee_invalid_op 0
		.amdhsa_exception_fp_denorm_src 0
		.amdhsa_exception_fp_ieee_div_zero 0
		.amdhsa_exception_fp_ieee_overflow 0
		.amdhsa_exception_fp_ieee_underflow 0
		.amdhsa_exception_fp_ieee_inexact 0
		.amdhsa_exception_int_div_zero 0
	.end_amdhsa_kernel
	.section	.text._ZN7rocprim17ROCPRIM_400000_NS6detail17trampoline_kernelINS0_13kernel_configILj256ELj4ELj4294967295EEENS1_37radix_sort_block_sort_config_selectorIyNS0_10empty_typeEEEZNS1_21radix_sort_block_sortIS4_Lb0EPyS9_PS6_SA_NS0_19identity_decomposerEEE10hipError_tT1_T2_T3_T4_jRjT5_jjP12ihipStream_tbEUlT_E_NS1_11comp_targetILNS1_3genE8ELNS1_11target_archE1030ELNS1_3gpuE2ELNS1_3repE0EEENS1_44radix_sort_block_sort_config_static_selectorELNS0_4arch9wavefront6targetE1EEEvSD_,"axG",@progbits,_ZN7rocprim17ROCPRIM_400000_NS6detail17trampoline_kernelINS0_13kernel_configILj256ELj4ELj4294967295EEENS1_37radix_sort_block_sort_config_selectorIyNS0_10empty_typeEEEZNS1_21radix_sort_block_sortIS4_Lb0EPyS9_PS6_SA_NS0_19identity_decomposerEEE10hipError_tT1_T2_T3_T4_jRjT5_jjP12ihipStream_tbEUlT_E_NS1_11comp_targetILNS1_3genE8ELNS1_11target_archE1030ELNS1_3gpuE2ELNS1_3repE0EEENS1_44radix_sort_block_sort_config_static_selectorELNS0_4arch9wavefront6targetE1EEEvSD_,comdat
.Lfunc_end1116:
	.size	_ZN7rocprim17ROCPRIM_400000_NS6detail17trampoline_kernelINS0_13kernel_configILj256ELj4ELj4294967295EEENS1_37radix_sort_block_sort_config_selectorIyNS0_10empty_typeEEEZNS1_21radix_sort_block_sortIS4_Lb0EPyS9_PS6_SA_NS0_19identity_decomposerEEE10hipError_tT1_T2_T3_T4_jRjT5_jjP12ihipStream_tbEUlT_E_NS1_11comp_targetILNS1_3genE8ELNS1_11target_archE1030ELNS1_3gpuE2ELNS1_3repE0EEENS1_44radix_sort_block_sort_config_static_selectorELNS0_4arch9wavefront6targetE1EEEvSD_, .Lfunc_end1116-_ZN7rocprim17ROCPRIM_400000_NS6detail17trampoline_kernelINS0_13kernel_configILj256ELj4ELj4294967295EEENS1_37radix_sort_block_sort_config_selectorIyNS0_10empty_typeEEEZNS1_21radix_sort_block_sortIS4_Lb0EPyS9_PS6_SA_NS0_19identity_decomposerEEE10hipError_tT1_T2_T3_T4_jRjT5_jjP12ihipStream_tbEUlT_E_NS1_11comp_targetILNS1_3genE8ELNS1_11target_archE1030ELNS1_3gpuE2ELNS1_3repE0EEENS1_44radix_sort_block_sort_config_static_selectorELNS0_4arch9wavefront6targetE1EEEvSD_
                                        ; -- End function
	.section	.AMDGPU.csdata,"",@progbits
; Kernel info:
; codeLenInByte = 0
; NumSgprs: 4
; NumVgprs: 0
; NumAgprs: 0
; TotalNumVgprs: 0
; ScratchSize: 0
; MemoryBound: 0
; FloatMode: 240
; IeeeMode: 1
; LDSByteSize: 0 bytes/workgroup (compile time only)
; SGPRBlocks: 0
; VGPRBlocks: 0
; NumSGPRsForWavesPerEU: 4
; NumVGPRsForWavesPerEU: 1
; AccumOffset: 4
; Occupancy: 8
; WaveLimiterHint : 0
; COMPUTE_PGM_RSRC2:SCRATCH_EN: 0
; COMPUTE_PGM_RSRC2:USER_SGPR: 6
; COMPUTE_PGM_RSRC2:TRAP_HANDLER: 0
; COMPUTE_PGM_RSRC2:TGID_X_EN: 1
; COMPUTE_PGM_RSRC2:TGID_Y_EN: 0
; COMPUTE_PGM_RSRC2:TGID_Z_EN: 0
; COMPUTE_PGM_RSRC2:TIDIG_COMP_CNT: 0
; COMPUTE_PGM_RSRC3_GFX90A:ACCUM_OFFSET: 0
; COMPUTE_PGM_RSRC3_GFX90A:TG_SPLIT: 0
	.section	.text._ZN7rocprim17ROCPRIM_400000_NS6detail44device_merge_sort_compile_time_verifier_archINS1_11comp_targetILNS1_3genE0ELNS1_11target_archE4294967295ELNS1_3gpuE0ELNS1_3repE0EEES8_NS1_28merge_sort_block_sort_configILj256ELj4ELNS0_20block_sort_algorithmE0EEENS0_14default_configENS1_37merge_sort_block_sort_config_selectorIyNS0_10empty_typeEEENS1_38merge_sort_block_merge_config_selectorIySE_EEEEvv,"axG",@progbits,_ZN7rocprim17ROCPRIM_400000_NS6detail44device_merge_sort_compile_time_verifier_archINS1_11comp_targetILNS1_3genE0ELNS1_11target_archE4294967295ELNS1_3gpuE0ELNS1_3repE0EEES8_NS1_28merge_sort_block_sort_configILj256ELj4ELNS0_20block_sort_algorithmE0EEENS0_14default_configENS1_37merge_sort_block_sort_config_selectorIyNS0_10empty_typeEEENS1_38merge_sort_block_merge_config_selectorIySE_EEEEvv,comdat
	.protected	_ZN7rocprim17ROCPRIM_400000_NS6detail44device_merge_sort_compile_time_verifier_archINS1_11comp_targetILNS1_3genE0ELNS1_11target_archE4294967295ELNS1_3gpuE0ELNS1_3repE0EEES8_NS1_28merge_sort_block_sort_configILj256ELj4ELNS0_20block_sort_algorithmE0EEENS0_14default_configENS1_37merge_sort_block_sort_config_selectorIyNS0_10empty_typeEEENS1_38merge_sort_block_merge_config_selectorIySE_EEEEvv ; -- Begin function _ZN7rocprim17ROCPRIM_400000_NS6detail44device_merge_sort_compile_time_verifier_archINS1_11comp_targetILNS1_3genE0ELNS1_11target_archE4294967295ELNS1_3gpuE0ELNS1_3repE0EEES8_NS1_28merge_sort_block_sort_configILj256ELj4ELNS0_20block_sort_algorithmE0EEENS0_14default_configENS1_37merge_sort_block_sort_config_selectorIyNS0_10empty_typeEEENS1_38merge_sort_block_merge_config_selectorIySE_EEEEvv
	.globl	_ZN7rocprim17ROCPRIM_400000_NS6detail44device_merge_sort_compile_time_verifier_archINS1_11comp_targetILNS1_3genE0ELNS1_11target_archE4294967295ELNS1_3gpuE0ELNS1_3repE0EEES8_NS1_28merge_sort_block_sort_configILj256ELj4ELNS0_20block_sort_algorithmE0EEENS0_14default_configENS1_37merge_sort_block_sort_config_selectorIyNS0_10empty_typeEEENS1_38merge_sort_block_merge_config_selectorIySE_EEEEvv
	.p2align	8
	.type	_ZN7rocprim17ROCPRIM_400000_NS6detail44device_merge_sort_compile_time_verifier_archINS1_11comp_targetILNS1_3genE0ELNS1_11target_archE4294967295ELNS1_3gpuE0ELNS1_3repE0EEES8_NS1_28merge_sort_block_sort_configILj256ELj4ELNS0_20block_sort_algorithmE0EEENS0_14default_configENS1_37merge_sort_block_sort_config_selectorIyNS0_10empty_typeEEENS1_38merge_sort_block_merge_config_selectorIySE_EEEEvv,@function
_ZN7rocprim17ROCPRIM_400000_NS6detail44device_merge_sort_compile_time_verifier_archINS1_11comp_targetILNS1_3genE0ELNS1_11target_archE4294967295ELNS1_3gpuE0ELNS1_3repE0EEES8_NS1_28merge_sort_block_sort_configILj256ELj4ELNS0_20block_sort_algorithmE0EEENS0_14default_configENS1_37merge_sort_block_sort_config_selectorIyNS0_10empty_typeEEENS1_38merge_sort_block_merge_config_selectorIySE_EEEEvv: ; @_ZN7rocprim17ROCPRIM_400000_NS6detail44device_merge_sort_compile_time_verifier_archINS1_11comp_targetILNS1_3genE0ELNS1_11target_archE4294967295ELNS1_3gpuE0ELNS1_3repE0EEES8_NS1_28merge_sort_block_sort_configILj256ELj4ELNS0_20block_sort_algorithmE0EEENS0_14default_configENS1_37merge_sort_block_sort_config_selectorIyNS0_10empty_typeEEENS1_38merge_sort_block_merge_config_selectorIySE_EEEEvv
; %bb.0:
	s_endpgm
	.section	.rodata,"a",@progbits
	.p2align	6, 0x0
	.amdhsa_kernel _ZN7rocprim17ROCPRIM_400000_NS6detail44device_merge_sort_compile_time_verifier_archINS1_11comp_targetILNS1_3genE0ELNS1_11target_archE4294967295ELNS1_3gpuE0ELNS1_3repE0EEES8_NS1_28merge_sort_block_sort_configILj256ELj4ELNS0_20block_sort_algorithmE0EEENS0_14default_configENS1_37merge_sort_block_sort_config_selectorIyNS0_10empty_typeEEENS1_38merge_sort_block_merge_config_selectorIySE_EEEEvv
		.amdhsa_group_segment_fixed_size 0
		.amdhsa_private_segment_fixed_size 0
		.amdhsa_kernarg_size 0
		.amdhsa_user_sgpr_count 4
		.amdhsa_user_sgpr_private_segment_buffer 1
		.amdhsa_user_sgpr_dispatch_ptr 0
		.amdhsa_user_sgpr_queue_ptr 0
		.amdhsa_user_sgpr_kernarg_segment_ptr 0
		.amdhsa_user_sgpr_dispatch_id 0
		.amdhsa_user_sgpr_flat_scratch_init 0
		.amdhsa_user_sgpr_kernarg_preload_length 0
		.amdhsa_user_sgpr_kernarg_preload_offset 0
		.amdhsa_user_sgpr_private_segment_size 0
		.amdhsa_uses_dynamic_stack 0
		.amdhsa_system_sgpr_private_segment_wavefront_offset 0
		.amdhsa_system_sgpr_workgroup_id_x 1
		.amdhsa_system_sgpr_workgroup_id_y 0
		.amdhsa_system_sgpr_workgroup_id_z 0
		.amdhsa_system_sgpr_workgroup_info 0
		.amdhsa_system_vgpr_workitem_id 0
		.amdhsa_next_free_vgpr 1
		.amdhsa_next_free_sgpr 0
		.amdhsa_accum_offset 4
		.amdhsa_reserve_vcc 0
		.amdhsa_reserve_flat_scratch 0
		.amdhsa_float_round_mode_32 0
		.amdhsa_float_round_mode_16_64 0
		.amdhsa_float_denorm_mode_32 3
		.amdhsa_float_denorm_mode_16_64 3
		.amdhsa_dx10_clamp 1
		.amdhsa_ieee_mode 1
		.amdhsa_fp16_overflow 0
		.amdhsa_tg_split 0
		.amdhsa_exception_fp_ieee_invalid_op 0
		.amdhsa_exception_fp_denorm_src 0
		.amdhsa_exception_fp_ieee_div_zero 0
		.amdhsa_exception_fp_ieee_overflow 0
		.amdhsa_exception_fp_ieee_underflow 0
		.amdhsa_exception_fp_ieee_inexact 0
		.amdhsa_exception_int_div_zero 0
	.end_amdhsa_kernel
	.section	.text._ZN7rocprim17ROCPRIM_400000_NS6detail44device_merge_sort_compile_time_verifier_archINS1_11comp_targetILNS1_3genE0ELNS1_11target_archE4294967295ELNS1_3gpuE0ELNS1_3repE0EEES8_NS1_28merge_sort_block_sort_configILj256ELj4ELNS0_20block_sort_algorithmE0EEENS0_14default_configENS1_37merge_sort_block_sort_config_selectorIyNS0_10empty_typeEEENS1_38merge_sort_block_merge_config_selectorIySE_EEEEvv,"axG",@progbits,_ZN7rocprim17ROCPRIM_400000_NS6detail44device_merge_sort_compile_time_verifier_archINS1_11comp_targetILNS1_3genE0ELNS1_11target_archE4294967295ELNS1_3gpuE0ELNS1_3repE0EEES8_NS1_28merge_sort_block_sort_configILj256ELj4ELNS0_20block_sort_algorithmE0EEENS0_14default_configENS1_37merge_sort_block_sort_config_selectorIyNS0_10empty_typeEEENS1_38merge_sort_block_merge_config_selectorIySE_EEEEvv,comdat
.Lfunc_end1117:
	.size	_ZN7rocprim17ROCPRIM_400000_NS6detail44device_merge_sort_compile_time_verifier_archINS1_11comp_targetILNS1_3genE0ELNS1_11target_archE4294967295ELNS1_3gpuE0ELNS1_3repE0EEES8_NS1_28merge_sort_block_sort_configILj256ELj4ELNS0_20block_sort_algorithmE0EEENS0_14default_configENS1_37merge_sort_block_sort_config_selectorIyNS0_10empty_typeEEENS1_38merge_sort_block_merge_config_selectorIySE_EEEEvv, .Lfunc_end1117-_ZN7rocprim17ROCPRIM_400000_NS6detail44device_merge_sort_compile_time_verifier_archINS1_11comp_targetILNS1_3genE0ELNS1_11target_archE4294967295ELNS1_3gpuE0ELNS1_3repE0EEES8_NS1_28merge_sort_block_sort_configILj256ELj4ELNS0_20block_sort_algorithmE0EEENS0_14default_configENS1_37merge_sort_block_sort_config_selectorIyNS0_10empty_typeEEENS1_38merge_sort_block_merge_config_selectorIySE_EEEEvv
                                        ; -- End function
	.section	.AMDGPU.csdata,"",@progbits
; Kernel info:
; codeLenInByte = 4
; NumSgprs: 4
; NumVgprs: 0
; NumAgprs: 0
; TotalNumVgprs: 0
; ScratchSize: 0
; MemoryBound: 0
; FloatMode: 240
; IeeeMode: 1
; LDSByteSize: 0 bytes/workgroup (compile time only)
; SGPRBlocks: 0
; VGPRBlocks: 0
; NumSGPRsForWavesPerEU: 4
; NumVGPRsForWavesPerEU: 1
; AccumOffset: 4
; Occupancy: 8
; WaveLimiterHint : 0
; COMPUTE_PGM_RSRC2:SCRATCH_EN: 0
; COMPUTE_PGM_RSRC2:USER_SGPR: 4
; COMPUTE_PGM_RSRC2:TRAP_HANDLER: 0
; COMPUTE_PGM_RSRC2:TGID_X_EN: 1
; COMPUTE_PGM_RSRC2:TGID_Y_EN: 0
; COMPUTE_PGM_RSRC2:TGID_Z_EN: 0
; COMPUTE_PGM_RSRC2:TIDIG_COMP_CNT: 0
; COMPUTE_PGM_RSRC3_GFX90A:ACCUM_OFFSET: 0
; COMPUTE_PGM_RSRC3_GFX90A:TG_SPLIT: 0
	.section	.text._ZN7rocprim17ROCPRIM_400000_NS6detail44device_merge_sort_compile_time_verifier_archINS1_11comp_targetILNS1_3genE5ELNS1_11target_archE942ELNS1_3gpuE9ELNS1_3repE0EEES8_NS1_28merge_sort_block_sort_configILj256ELj4ELNS0_20block_sort_algorithmE0EEENS0_14default_configENS1_37merge_sort_block_sort_config_selectorIyNS0_10empty_typeEEENS1_38merge_sort_block_merge_config_selectorIySE_EEEEvv,"axG",@progbits,_ZN7rocprim17ROCPRIM_400000_NS6detail44device_merge_sort_compile_time_verifier_archINS1_11comp_targetILNS1_3genE5ELNS1_11target_archE942ELNS1_3gpuE9ELNS1_3repE0EEES8_NS1_28merge_sort_block_sort_configILj256ELj4ELNS0_20block_sort_algorithmE0EEENS0_14default_configENS1_37merge_sort_block_sort_config_selectorIyNS0_10empty_typeEEENS1_38merge_sort_block_merge_config_selectorIySE_EEEEvv,comdat
	.protected	_ZN7rocprim17ROCPRIM_400000_NS6detail44device_merge_sort_compile_time_verifier_archINS1_11comp_targetILNS1_3genE5ELNS1_11target_archE942ELNS1_3gpuE9ELNS1_3repE0EEES8_NS1_28merge_sort_block_sort_configILj256ELj4ELNS0_20block_sort_algorithmE0EEENS0_14default_configENS1_37merge_sort_block_sort_config_selectorIyNS0_10empty_typeEEENS1_38merge_sort_block_merge_config_selectorIySE_EEEEvv ; -- Begin function _ZN7rocprim17ROCPRIM_400000_NS6detail44device_merge_sort_compile_time_verifier_archINS1_11comp_targetILNS1_3genE5ELNS1_11target_archE942ELNS1_3gpuE9ELNS1_3repE0EEES8_NS1_28merge_sort_block_sort_configILj256ELj4ELNS0_20block_sort_algorithmE0EEENS0_14default_configENS1_37merge_sort_block_sort_config_selectorIyNS0_10empty_typeEEENS1_38merge_sort_block_merge_config_selectorIySE_EEEEvv
	.globl	_ZN7rocprim17ROCPRIM_400000_NS6detail44device_merge_sort_compile_time_verifier_archINS1_11comp_targetILNS1_3genE5ELNS1_11target_archE942ELNS1_3gpuE9ELNS1_3repE0EEES8_NS1_28merge_sort_block_sort_configILj256ELj4ELNS0_20block_sort_algorithmE0EEENS0_14default_configENS1_37merge_sort_block_sort_config_selectorIyNS0_10empty_typeEEENS1_38merge_sort_block_merge_config_selectorIySE_EEEEvv
	.p2align	8
	.type	_ZN7rocprim17ROCPRIM_400000_NS6detail44device_merge_sort_compile_time_verifier_archINS1_11comp_targetILNS1_3genE5ELNS1_11target_archE942ELNS1_3gpuE9ELNS1_3repE0EEES8_NS1_28merge_sort_block_sort_configILj256ELj4ELNS0_20block_sort_algorithmE0EEENS0_14default_configENS1_37merge_sort_block_sort_config_selectorIyNS0_10empty_typeEEENS1_38merge_sort_block_merge_config_selectorIySE_EEEEvv,@function
_ZN7rocprim17ROCPRIM_400000_NS6detail44device_merge_sort_compile_time_verifier_archINS1_11comp_targetILNS1_3genE5ELNS1_11target_archE942ELNS1_3gpuE9ELNS1_3repE0EEES8_NS1_28merge_sort_block_sort_configILj256ELj4ELNS0_20block_sort_algorithmE0EEENS0_14default_configENS1_37merge_sort_block_sort_config_selectorIyNS0_10empty_typeEEENS1_38merge_sort_block_merge_config_selectorIySE_EEEEvv: ; @_ZN7rocprim17ROCPRIM_400000_NS6detail44device_merge_sort_compile_time_verifier_archINS1_11comp_targetILNS1_3genE5ELNS1_11target_archE942ELNS1_3gpuE9ELNS1_3repE0EEES8_NS1_28merge_sort_block_sort_configILj256ELj4ELNS0_20block_sort_algorithmE0EEENS0_14default_configENS1_37merge_sort_block_sort_config_selectorIyNS0_10empty_typeEEENS1_38merge_sort_block_merge_config_selectorIySE_EEEEvv
; %bb.0:
	s_endpgm
	.section	.rodata,"a",@progbits
	.p2align	6, 0x0
	.amdhsa_kernel _ZN7rocprim17ROCPRIM_400000_NS6detail44device_merge_sort_compile_time_verifier_archINS1_11comp_targetILNS1_3genE5ELNS1_11target_archE942ELNS1_3gpuE9ELNS1_3repE0EEES8_NS1_28merge_sort_block_sort_configILj256ELj4ELNS0_20block_sort_algorithmE0EEENS0_14default_configENS1_37merge_sort_block_sort_config_selectorIyNS0_10empty_typeEEENS1_38merge_sort_block_merge_config_selectorIySE_EEEEvv
		.amdhsa_group_segment_fixed_size 0
		.amdhsa_private_segment_fixed_size 0
		.amdhsa_kernarg_size 0
		.amdhsa_user_sgpr_count 4
		.amdhsa_user_sgpr_private_segment_buffer 1
		.amdhsa_user_sgpr_dispatch_ptr 0
		.amdhsa_user_sgpr_queue_ptr 0
		.amdhsa_user_sgpr_kernarg_segment_ptr 0
		.amdhsa_user_sgpr_dispatch_id 0
		.amdhsa_user_sgpr_flat_scratch_init 0
		.amdhsa_user_sgpr_kernarg_preload_length 0
		.amdhsa_user_sgpr_kernarg_preload_offset 0
		.amdhsa_user_sgpr_private_segment_size 0
		.amdhsa_uses_dynamic_stack 0
		.amdhsa_system_sgpr_private_segment_wavefront_offset 0
		.amdhsa_system_sgpr_workgroup_id_x 1
		.amdhsa_system_sgpr_workgroup_id_y 0
		.amdhsa_system_sgpr_workgroup_id_z 0
		.amdhsa_system_sgpr_workgroup_info 0
		.amdhsa_system_vgpr_workitem_id 0
		.amdhsa_next_free_vgpr 1
		.amdhsa_next_free_sgpr 0
		.amdhsa_accum_offset 4
		.amdhsa_reserve_vcc 0
		.amdhsa_reserve_flat_scratch 0
		.amdhsa_float_round_mode_32 0
		.amdhsa_float_round_mode_16_64 0
		.amdhsa_float_denorm_mode_32 3
		.amdhsa_float_denorm_mode_16_64 3
		.amdhsa_dx10_clamp 1
		.amdhsa_ieee_mode 1
		.amdhsa_fp16_overflow 0
		.amdhsa_tg_split 0
		.amdhsa_exception_fp_ieee_invalid_op 0
		.amdhsa_exception_fp_denorm_src 0
		.amdhsa_exception_fp_ieee_div_zero 0
		.amdhsa_exception_fp_ieee_overflow 0
		.amdhsa_exception_fp_ieee_underflow 0
		.amdhsa_exception_fp_ieee_inexact 0
		.amdhsa_exception_int_div_zero 0
	.end_amdhsa_kernel
	.section	.text._ZN7rocprim17ROCPRIM_400000_NS6detail44device_merge_sort_compile_time_verifier_archINS1_11comp_targetILNS1_3genE5ELNS1_11target_archE942ELNS1_3gpuE9ELNS1_3repE0EEES8_NS1_28merge_sort_block_sort_configILj256ELj4ELNS0_20block_sort_algorithmE0EEENS0_14default_configENS1_37merge_sort_block_sort_config_selectorIyNS0_10empty_typeEEENS1_38merge_sort_block_merge_config_selectorIySE_EEEEvv,"axG",@progbits,_ZN7rocprim17ROCPRIM_400000_NS6detail44device_merge_sort_compile_time_verifier_archINS1_11comp_targetILNS1_3genE5ELNS1_11target_archE942ELNS1_3gpuE9ELNS1_3repE0EEES8_NS1_28merge_sort_block_sort_configILj256ELj4ELNS0_20block_sort_algorithmE0EEENS0_14default_configENS1_37merge_sort_block_sort_config_selectorIyNS0_10empty_typeEEENS1_38merge_sort_block_merge_config_selectorIySE_EEEEvv,comdat
.Lfunc_end1118:
	.size	_ZN7rocprim17ROCPRIM_400000_NS6detail44device_merge_sort_compile_time_verifier_archINS1_11comp_targetILNS1_3genE5ELNS1_11target_archE942ELNS1_3gpuE9ELNS1_3repE0EEES8_NS1_28merge_sort_block_sort_configILj256ELj4ELNS0_20block_sort_algorithmE0EEENS0_14default_configENS1_37merge_sort_block_sort_config_selectorIyNS0_10empty_typeEEENS1_38merge_sort_block_merge_config_selectorIySE_EEEEvv, .Lfunc_end1118-_ZN7rocprim17ROCPRIM_400000_NS6detail44device_merge_sort_compile_time_verifier_archINS1_11comp_targetILNS1_3genE5ELNS1_11target_archE942ELNS1_3gpuE9ELNS1_3repE0EEES8_NS1_28merge_sort_block_sort_configILj256ELj4ELNS0_20block_sort_algorithmE0EEENS0_14default_configENS1_37merge_sort_block_sort_config_selectorIyNS0_10empty_typeEEENS1_38merge_sort_block_merge_config_selectorIySE_EEEEvv
                                        ; -- End function
	.section	.AMDGPU.csdata,"",@progbits
; Kernel info:
; codeLenInByte = 4
; NumSgprs: 4
; NumVgprs: 0
; NumAgprs: 0
; TotalNumVgprs: 0
; ScratchSize: 0
; MemoryBound: 0
; FloatMode: 240
; IeeeMode: 1
; LDSByteSize: 0 bytes/workgroup (compile time only)
; SGPRBlocks: 0
; VGPRBlocks: 0
; NumSGPRsForWavesPerEU: 4
; NumVGPRsForWavesPerEU: 1
; AccumOffset: 4
; Occupancy: 8
; WaveLimiterHint : 0
; COMPUTE_PGM_RSRC2:SCRATCH_EN: 0
; COMPUTE_PGM_RSRC2:USER_SGPR: 4
; COMPUTE_PGM_RSRC2:TRAP_HANDLER: 0
; COMPUTE_PGM_RSRC2:TGID_X_EN: 1
; COMPUTE_PGM_RSRC2:TGID_Y_EN: 0
; COMPUTE_PGM_RSRC2:TGID_Z_EN: 0
; COMPUTE_PGM_RSRC2:TIDIG_COMP_CNT: 0
; COMPUTE_PGM_RSRC3_GFX90A:ACCUM_OFFSET: 0
; COMPUTE_PGM_RSRC3_GFX90A:TG_SPLIT: 0
	.section	.text._ZN7rocprim17ROCPRIM_400000_NS6detail44device_merge_sort_compile_time_verifier_archINS1_11comp_targetILNS1_3genE4ELNS1_11target_archE910ELNS1_3gpuE8ELNS1_3repE0EEES8_NS1_28merge_sort_block_sort_configILj256ELj4ELNS0_20block_sort_algorithmE0EEENS0_14default_configENS1_37merge_sort_block_sort_config_selectorIyNS0_10empty_typeEEENS1_38merge_sort_block_merge_config_selectorIySE_EEEEvv,"axG",@progbits,_ZN7rocprim17ROCPRIM_400000_NS6detail44device_merge_sort_compile_time_verifier_archINS1_11comp_targetILNS1_3genE4ELNS1_11target_archE910ELNS1_3gpuE8ELNS1_3repE0EEES8_NS1_28merge_sort_block_sort_configILj256ELj4ELNS0_20block_sort_algorithmE0EEENS0_14default_configENS1_37merge_sort_block_sort_config_selectorIyNS0_10empty_typeEEENS1_38merge_sort_block_merge_config_selectorIySE_EEEEvv,comdat
	.protected	_ZN7rocprim17ROCPRIM_400000_NS6detail44device_merge_sort_compile_time_verifier_archINS1_11comp_targetILNS1_3genE4ELNS1_11target_archE910ELNS1_3gpuE8ELNS1_3repE0EEES8_NS1_28merge_sort_block_sort_configILj256ELj4ELNS0_20block_sort_algorithmE0EEENS0_14default_configENS1_37merge_sort_block_sort_config_selectorIyNS0_10empty_typeEEENS1_38merge_sort_block_merge_config_selectorIySE_EEEEvv ; -- Begin function _ZN7rocprim17ROCPRIM_400000_NS6detail44device_merge_sort_compile_time_verifier_archINS1_11comp_targetILNS1_3genE4ELNS1_11target_archE910ELNS1_3gpuE8ELNS1_3repE0EEES8_NS1_28merge_sort_block_sort_configILj256ELj4ELNS0_20block_sort_algorithmE0EEENS0_14default_configENS1_37merge_sort_block_sort_config_selectorIyNS0_10empty_typeEEENS1_38merge_sort_block_merge_config_selectorIySE_EEEEvv
	.globl	_ZN7rocprim17ROCPRIM_400000_NS6detail44device_merge_sort_compile_time_verifier_archINS1_11comp_targetILNS1_3genE4ELNS1_11target_archE910ELNS1_3gpuE8ELNS1_3repE0EEES8_NS1_28merge_sort_block_sort_configILj256ELj4ELNS0_20block_sort_algorithmE0EEENS0_14default_configENS1_37merge_sort_block_sort_config_selectorIyNS0_10empty_typeEEENS1_38merge_sort_block_merge_config_selectorIySE_EEEEvv
	.p2align	8
	.type	_ZN7rocprim17ROCPRIM_400000_NS6detail44device_merge_sort_compile_time_verifier_archINS1_11comp_targetILNS1_3genE4ELNS1_11target_archE910ELNS1_3gpuE8ELNS1_3repE0EEES8_NS1_28merge_sort_block_sort_configILj256ELj4ELNS0_20block_sort_algorithmE0EEENS0_14default_configENS1_37merge_sort_block_sort_config_selectorIyNS0_10empty_typeEEENS1_38merge_sort_block_merge_config_selectorIySE_EEEEvv,@function
_ZN7rocprim17ROCPRIM_400000_NS6detail44device_merge_sort_compile_time_verifier_archINS1_11comp_targetILNS1_3genE4ELNS1_11target_archE910ELNS1_3gpuE8ELNS1_3repE0EEES8_NS1_28merge_sort_block_sort_configILj256ELj4ELNS0_20block_sort_algorithmE0EEENS0_14default_configENS1_37merge_sort_block_sort_config_selectorIyNS0_10empty_typeEEENS1_38merge_sort_block_merge_config_selectorIySE_EEEEvv: ; @_ZN7rocprim17ROCPRIM_400000_NS6detail44device_merge_sort_compile_time_verifier_archINS1_11comp_targetILNS1_3genE4ELNS1_11target_archE910ELNS1_3gpuE8ELNS1_3repE0EEES8_NS1_28merge_sort_block_sort_configILj256ELj4ELNS0_20block_sort_algorithmE0EEENS0_14default_configENS1_37merge_sort_block_sort_config_selectorIyNS0_10empty_typeEEENS1_38merge_sort_block_merge_config_selectorIySE_EEEEvv
; %bb.0:
	s_endpgm
	.section	.rodata,"a",@progbits
	.p2align	6, 0x0
	.amdhsa_kernel _ZN7rocprim17ROCPRIM_400000_NS6detail44device_merge_sort_compile_time_verifier_archINS1_11comp_targetILNS1_3genE4ELNS1_11target_archE910ELNS1_3gpuE8ELNS1_3repE0EEES8_NS1_28merge_sort_block_sort_configILj256ELj4ELNS0_20block_sort_algorithmE0EEENS0_14default_configENS1_37merge_sort_block_sort_config_selectorIyNS0_10empty_typeEEENS1_38merge_sort_block_merge_config_selectorIySE_EEEEvv
		.amdhsa_group_segment_fixed_size 0
		.amdhsa_private_segment_fixed_size 0
		.amdhsa_kernarg_size 0
		.amdhsa_user_sgpr_count 4
		.amdhsa_user_sgpr_private_segment_buffer 1
		.amdhsa_user_sgpr_dispatch_ptr 0
		.amdhsa_user_sgpr_queue_ptr 0
		.amdhsa_user_sgpr_kernarg_segment_ptr 0
		.amdhsa_user_sgpr_dispatch_id 0
		.amdhsa_user_sgpr_flat_scratch_init 0
		.amdhsa_user_sgpr_kernarg_preload_length 0
		.amdhsa_user_sgpr_kernarg_preload_offset 0
		.amdhsa_user_sgpr_private_segment_size 0
		.amdhsa_uses_dynamic_stack 0
		.amdhsa_system_sgpr_private_segment_wavefront_offset 0
		.amdhsa_system_sgpr_workgroup_id_x 1
		.amdhsa_system_sgpr_workgroup_id_y 0
		.amdhsa_system_sgpr_workgroup_id_z 0
		.amdhsa_system_sgpr_workgroup_info 0
		.amdhsa_system_vgpr_workitem_id 0
		.amdhsa_next_free_vgpr 1
		.amdhsa_next_free_sgpr 0
		.amdhsa_accum_offset 4
		.amdhsa_reserve_vcc 0
		.amdhsa_reserve_flat_scratch 0
		.amdhsa_float_round_mode_32 0
		.amdhsa_float_round_mode_16_64 0
		.amdhsa_float_denorm_mode_32 3
		.amdhsa_float_denorm_mode_16_64 3
		.amdhsa_dx10_clamp 1
		.amdhsa_ieee_mode 1
		.amdhsa_fp16_overflow 0
		.amdhsa_tg_split 0
		.amdhsa_exception_fp_ieee_invalid_op 0
		.amdhsa_exception_fp_denorm_src 0
		.amdhsa_exception_fp_ieee_div_zero 0
		.amdhsa_exception_fp_ieee_overflow 0
		.amdhsa_exception_fp_ieee_underflow 0
		.amdhsa_exception_fp_ieee_inexact 0
		.amdhsa_exception_int_div_zero 0
	.end_amdhsa_kernel
	.section	.text._ZN7rocprim17ROCPRIM_400000_NS6detail44device_merge_sort_compile_time_verifier_archINS1_11comp_targetILNS1_3genE4ELNS1_11target_archE910ELNS1_3gpuE8ELNS1_3repE0EEES8_NS1_28merge_sort_block_sort_configILj256ELj4ELNS0_20block_sort_algorithmE0EEENS0_14default_configENS1_37merge_sort_block_sort_config_selectorIyNS0_10empty_typeEEENS1_38merge_sort_block_merge_config_selectorIySE_EEEEvv,"axG",@progbits,_ZN7rocprim17ROCPRIM_400000_NS6detail44device_merge_sort_compile_time_verifier_archINS1_11comp_targetILNS1_3genE4ELNS1_11target_archE910ELNS1_3gpuE8ELNS1_3repE0EEES8_NS1_28merge_sort_block_sort_configILj256ELj4ELNS0_20block_sort_algorithmE0EEENS0_14default_configENS1_37merge_sort_block_sort_config_selectorIyNS0_10empty_typeEEENS1_38merge_sort_block_merge_config_selectorIySE_EEEEvv,comdat
.Lfunc_end1119:
	.size	_ZN7rocprim17ROCPRIM_400000_NS6detail44device_merge_sort_compile_time_verifier_archINS1_11comp_targetILNS1_3genE4ELNS1_11target_archE910ELNS1_3gpuE8ELNS1_3repE0EEES8_NS1_28merge_sort_block_sort_configILj256ELj4ELNS0_20block_sort_algorithmE0EEENS0_14default_configENS1_37merge_sort_block_sort_config_selectorIyNS0_10empty_typeEEENS1_38merge_sort_block_merge_config_selectorIySE_EEEEvv, .Lfunc_end1119-_ZN7rocprim17ROCPRIM_400000_NS6detail44device_merge_sort_compile_time_verifier_archINS1_11comp_targetILNS1_3genE4ELNS1_11target_archE910ELNS1_3gpuE8ELNS1_3repE0EEES8_NS1_28merge_sort_block_sort_configILj256ELj4ELNS0_20block_sort_algorithmE0EEENS0_14default_configENS1_37merge_sort_block_sort_config_selectorIyNS0_10empty_typeEEENS1_38merge_sort_block_merge_config_selectorIySE_EEEEvv
                                        ; -- End function
	.section	.AMDGPU.csdata,"",@progbits
; Kernel info:
; codeLenInByte = 4
; NumSgprs: 4
; NumVgprs: 0
; NumAgprs: 0
; TotalNumVgprs: 0
; ScratchSize: 0
; MemoryBound: 0
; FloatMode: 240
; IeeeMode: 1
; LDSByteSize: 0 bytes/workgroup (compile time only)
; SGPRBlocks: 0
; VGPRBlocks: 0
; NumSGPRsForWavesPerEU: 4
; NumVGPRsForWavesPerEU: 1
; AccumOffset: 4
; Occupancy: 8
; WaveLimiterHint : 0
; COMPUTE_PGM_RSRC2:SCRATCH_EN: 0
; COMPUTE_PGM_RSRC2:USER_SGPR: 4
; COMPUTE_PGM_RSRC2:TRAP_HANDLER: 0
; COMPUTE_PGM_RSRC2:TGID_X_EN: 1
; COMPUTE_PGM_RSRC2:TGID_Y_EN: 0
; COMPUTE_PGM_RSRC2:TGID_Z_EN: 0
; COMPUTE_PGM_RSRC2:TIDIG_COMP_CNT: 0
; COMPUTE_PGM_RSRC3_GFX90A:ACCUM_OFFSET: 0
; COMPUTE_PGM_RSRC3_GFX90A:TG_SPLIT: 0
	.section	.text._ZN7rocprim17ROCPRIM_400000_NS6detail44device_merge_sort_compile_time_verifier_archINS1_11comp_targetILNS1_3genE3ELNS1_11target_archE908ELNS1_3gpuE7ELNS1_3repE0EEES8_NS1_28merge_sort_block_sort_configILj256ELj4ELNS0_20block_sort_algorithmE0EEENS0_14default_configENS1_37merge_sort_block_sort_config_selectorIyNS0_10empty_typeEEENS1_38merge_sort_block_merge_config_selectorIySE_EEEEvv,"axG",@progbits,_ZN7rocprim17ROCPRIM_400000_NS6detail44device_merge_sort_compile_time_verifier_archINS1_11comp_targetILNS1_3genE3ELNS1_11target_archE908ELNS1_3gpuE7ELNS1_3repE0EEES8_NS1_28merge_sort_block_sort_configILj256ELj4ELNS0_20block_sort_algorithmE0EEENS0_14default_configENS1_37merge_sort_block_sort_config_selectorIyNS0_10empty_typeEEENS1_38merge_sort_block_merge_config_selectorIySE_EEEEvv,comdat
	.protected	_ZN7rocprim17ROCPRIM_400000_NS6detail44device_merge_sort_compile_time_verifier_archINS1_11comp_targetILNS1_3genE3ELNS1_11target_archE908ELNS1_3gpuE7ELNS1_3repE0EEES8_NS1_28merge_sort_block_sort_configILj256ELj4ELNS0_20block_sort_algorithmE0EEENS0_14default_configENS1_37merge_sort_block_sort_config_selectorIyNS0_10empty_typeEEENS1_38merge_sort_block_merge_config_selectorIySE_EEEEvv ; -- Begin function _ZN7rocprim17ROCPRIM_400000_NS6detail44device_merge_sort_compile_time_verifier_archINS1_11comp_targetILNS1_3genE3ELNS1_11target_archE908ELNS1_3gpuE7ELNS1_3repE0EEES8_NS1_28merge_sort_block_sort_configILj256ELj4ELNS0_20block_sort_algorithmE0EEENS0_14default_configENS1_37merge_sort_block_sort_config_selectorIyNS0_10empty_typeEEENS1_38merge_sort_block_merge_config_selectorIySE_EEEEvv
	.globl	_ZN7rocprim17ROCPRIM_400000_NS6detail44device_merge_sort_compile_time_verifier_archINS1_11comp_targetILNS1_3genE3ELNS1_11target_archE908ELNS1_3gpuE7ELNS1_3repE0EEES8_NS1_28merge_sort_block_sort_configILj256ELj4ELNS0_20block_sort_algorithmE0EEENS0_14default_configENS1_37merge_sort_block_sort_config_selectorIyNS0_10empty_typeEEENS1_38merge_sort_block_merge_config_selectorIySE_EEEEvv
	.p2align	8
	.type	_ZN7rocprim17ROCPRIM_400000_NS6detail44device_merge_sort_compile_time_verifier_archINS1_11comp_targetILNS1_3genE3ELNS1_11target_archE908ELNS1_3gpuE7ELNS1_3repE0EEES8_NS1_28merge_sort_block_sort_configILj256ELj4ELNS0_20block_sort_algorithmE0EEENS0_14default_configENS1_37merge_sort_block_sort_config_selectorIyNS0_10empty_typeEEENS1_38merge_sort_block_merge_config_selectorIySE_EEEEvv,@function
_ZN7rocprim17ROCPRIM_400000_NS6detail44device_merge_sort_compile_time_verifier_archINS1_11comp_targetILNS1_3genE3ELNS1_11target_archE908ELNS1_3gpuE7ELNS1_3repE0EEES8_NS1_28merge_sort_block_sort_configILj256ELj4ELNS0_20block_sort_algorithmE0EEENS0_14default_configENS1_37merge_sort_block_sort_config_selectorIyNS0_10empty_typeEEENS1_38merge_sort_block_merge_config_selectorIySE_EEEEvv: ; @_ZN7rocprim17ROCPRIM_400000_NS6detail44device_merge_sort_compile_time_verifier_archINS1_11comp_targetILNS1_3genE3ELNS1_11target_archE908ELNS1_3gpuE7ELNS1_3repE0EEES8_NS1_28merge_sort_block_sort_configILj256ELj4ELNS0_20block_sort_algorithmE0EEENS0_14default_configENS1_37merge_sort_block_sort_config_selectorIyNS0_10empty_typeEEENS1_38merge_sort_block_merge_config_selectorIySE_EEEEvv
; %bb.0:
	s_endpgm
	.section	.rodata,"a",@progbits
	.p2align	6, 0x0
	.amdhsa_kernel _ZN7rocprim17ROCPRIM_400000_NS6detail44device_merge_sort_compile_time_verifier_archINS1_11comp_targetILNS1_3genE3ELNS1_11target_archE908ELNS1_3gpuE7ELNS1_3repE0EEES8_NS1_28merge_sort_block_sort_configILj256ELj4ELNS0_20block_sort_algorithmE0EEENS0_14default_configENS1_37merge_sort_block_sort_config_selectorIyNS0_10empty_typeEEENS1_38merge_sort_block_merge_config_selectorIySE_EEEEvv
		.amdhsa_group_segment_fixed_size 0
		.amdhsa_private_segment_fixed_size 0
		.amdhsa_kernarg_size 0
		.amdhsa_user_sgpr_count 4
		.amdhsa_user_sgpr_private_segment_buffer 1
		.amdhsa_user_sgpr_dispatch_ptr 0
		.amdhsa_user_sgpr_queue_ptr 0
		.amdhsa_user_sgpr_kernarg_segment_ptr 0
		.amdhsa_user_sgpr_dispatch_id 0
		.amdhsa_user_sgpr_flat_scratch_init 0
		.amdhsa_user_sgpr_kernarg_preload_length 0
		.amdhsa_user_sgpr_kernarg_preload_offset 0
		.amdhsa_user_sgpr_private_segment_size 0
		.amdhsa_uses_dynamic_stack 0
		.amdhsa_system_sgpr_private_segment_wavefront_offset 0
		.amdhsa_system_sgpr_workgroup_id_x 1
		.amdhsa_system_sgpr_workgroup_id_y 0
		.amdhsa_system_sgpr_workgroup_id_z 0
		.amdhsa_system_sgpr_workgroup_info 0
		.amdhsa_system_vgpr_workitem_id 0
		.amdhsa_next_free_vgpr 1
		.amdhsa_next_free_sgpr 0
		.amdhsa_accum_offset 4
		.amdhsa_reserve_vcc 0
		.amdhsa_reserve_flat_scratch 0
		.amdhsa_float_round_mode_32 0
		.amdhsa_float_round_mode_16_64 0
		.amdhsa_float_denorm_mode_32 3
		.amdhsa_float_denorm_mode_16_64 3
		.amdhsa_dx10_clamp 1
		.amdhsa_ieee_mode 1
		.amdhsa_fp16_overflow 0
		.amdhsa_tg_split 0
		.amdhsa_exception_fp_ieee_invalid_op 0
		.amdhsa_exception_fp_denorm_src 0
		.amdhsa_exception_fp_ieee_div_zero 0
		.amdhsa_exception_fp_ieee_overflow 0
		.amdhsa_exception_fp_ieee_underflow 0
		.amdhsa_exception_fp_ieee_inexact 0
		.amdhsa_exception_int_div_zero 0
	.end_amdhsa_kernel
	.section	.text._ZN7rocprim17ROCPRIM_400000_NS6detail44device_merge_sort_compile_time_verifier_archINS1_11comp_targetILNS1_3genE3ELNS1_11target_archE908ELNS1_3gpuE7ELNS1_3repE0EEES8_NS1_28merge_sort_block_sort_configILj256ELj4ELNS0_20block_sort_algorithmE0EEENS0_14default_configENS1_37merge_sort_block_sort_config_selectorIyNS0_10empty_typeEEENS1_38merge_sort_block_merge_config_selectorIySE_EEEEvv,"axG",@progbits,_ZN7rocprim17ROCPRIM_400000_NS6detail44device_merge_sort_compile_time_verifier_archINS1_11comp_targetILNS1_3genE3ELNS1_11target_archE908ELNS1_3gpuE7ELNS1_3repE0EEES8_NS1_28merge_sort_block_sort_configILj256ELj4ELNS0_20block_sort_algorithmE0EEENS0_14default_configENS1_37merge_sort_block_sort_config_selectorIyNS0_10empty_typeEEENS1_38merge_sort_block_merge_config_selectorIySE_EEEEvv,comdat
.Lfunc_end1120:
	.size	_ZN7rocprim17ROCPRIM_400000_NS6detail44device_merge_sort_compile_time_verifier_archINS1_11comp_targetILNS1_3genE3ELNS1_11target_archE908ELNS1_3gpuE7ELNS1_3repE0EEES8_NS1_28merge_sort_block_sort_configILj256ELj4ELNS0_20block_sort_algorithmE0EEENS0_14default_configENS1_37merge_sort_block_sort_config_selectorIyNS0_10empty_typeEEENS1_38merge_sort_block_merge_config_selectorIySE_EEEEvv, .Lfunc_end1120-_ZN7rocprim17ROCPRIM_400000_NS6detail44device_merge_sort_compile_time_verifier_archINS1_11comp_targetILNS1_3genE3ELNS1_11target_archE908ELNS1_3gpuE7ELNS1_3repE0EEES8_NS1_28merge_sort_block_sort_configILj256ELj4ELNS0_20block_sort_algorithmE0EEENS0_14default_configENS1_37merge_sort_block_sort_config_selectorIyNS0_10empty_typeEEENS1_38merge_sort_block_merge_config_selectorIySE_EEEEvv
                                        ; -- End function
	.section	.AMDGPU.csdata,"",@progbits
; Kernel info:
; codeLenInByte = 4
; NumSgprs: 4
; NumVgprs: 0
; NumAgprs: 0
; TotalNumVgprs: 0
; ScratchSize: 0
; MemoryBound: 0
; FloatMode: 240
; IeeeMode: 1
; LDSByteSize: 0 bytes/workgroup (compile time only)
; SGPRBlocks: 0
; VGPRBlocks: 0
; NumSGPRsForWavesPerEU: 4
; NumVGPRsForWavesPerEU: 1
; AccumOffset: 4
; Occupancy: 8
; WaveLimiterHint : 0
; COMPUTE_PGM_RSRC2:SCRATCH_EN: 0
; COMPUTE_PGM_RSRC2:USER_SGPR: 4
; COMPUTE_PGM_RSRC2:TRAP_HANDLER: 0
; COMPUTE_PGM_RSRC2:TGID_X_EN: 1
; COMPUTE_PGM_RSRC2:TGID_Y_EN: 0
; COMPUTE_PGM_RSRC2:TGID_Z_EN: 0
; COMPUTE_PGM_RSRC2:TIDIG_COMP_CNT: 0
; COMPUTE_PGM_RSRC3_GFX90A:ACCUM_OFFSET: 0
; COMPUTE_PGM_RSRC3_GFX90A:TG_SPLIT: 0
	.section	.text._ZN7rocprim17ROCPRIM_400000_NS6detail44device_merge_sort_compile_time_verifier_archINS1_11comp_targetILNS1_3genE2ELNS1_11target_archE906ELNS1_3gpuE6ELNS1_3repE0EEES8_NS1_28merge_sort_block_sort_configILj256ELj4ELNS0_20block_sort_algorithmE0EEENS0_14default_configENS1_37merge_sort_block_sort_config_selectorIyNS0_10empty_typeEEENS1_38merge_sort_block_merge_config_selectorIySE_EEEEvv,"axG",@progbits,_ZN7rocprim17ROCPRIM_400000_NS6detail44device_merge_sort_compile_time_verifier_archINS1_11comp_targetILNS1_3genE2ELNS1_11target_archE906ELNS1_3gpuE6ELNS1_3repE0EEES8_NS1_28merge_sort_block_sort_configILj256ELj4ELNS0_20block_sort_algorithmE0EEENS0_14default_configENS1_37merge_sort_block_sort_config_selectorIyNS0_10empty_typeEEENS1_38merge_sort_block_merge_config_selectorIySE_EEEEvv,comdat
	.protected	_ZN7rocprim17ROCPRIM_400000_NS6detail44device_merge_sort_compile_time_verifier_archINS1_11comp_targetILNS1_3genE2ELNS1_11target_archE906ELNS1_3gpuE6ELNS1_3repE0EEES8_NS1_28merge_sort_block_sort_configILj256ELj4ELNS0_20block_sort_algorithmE0EEENS0_14default_configENS1_37merge_sort_block_sort_config_selectorIyNS0_10empty_typeEEENS1_38merge_sort_block_merge_config_selectorIySE_EEEEvv ; -- Begin function _ZN7rocprim17ROCPRIM_400000_NS6detail44device_merge_sort_compile_time_verifier_archINS1_11comp_targetILNS1_3genE2ELNS1_11target_archE906ELNS1_3gpuE6ELNS1_3repE0EEES8_NS1_28merge_sort_block_sort_configILj256ELj4ELNS0_20block_sort_algorithmE0EEENS0_14default_configENS1_37merge_sort_block_sort_config_selectorIyNS0_10empty_typeEEENS1_38merge_sort_block_merge_config_selectorIySE_EEEEvv
	.globl	_ZN7rocprim17ROCPRIM_400000_NS6detail44device_merge_sort_compile_time_verifier_archINS1_11comp_targetILNS1_3genE2ELNS1_11target_archE906ELNS1_3gpuE6ELNS1_3repE0EEES8_NS1_28merge_sort_block_sort_configILj256ELj4ELNS0_20block_sort_algorithmE0EEENS0_14default_configENS1_37merge_sort_block_sort_config_selectorIyNS0_10empty_typeEEENS1_38merge_sort_block_merge_config_selectorIySE_EEEEvv
	.p2align	8
	.type	_ZN7rocprim17ROCPRIM_400000_NS6detail44device_merge_sort_compile_time_verifier_archINS1_11comp_targetILNS1_3genE2ELNS1_11target_archE906ELNS1_3gpuE6ELNS1_3repE0EEES8_NS1_28merge_sort_block_sort_configILj256ELj4ELNS0_20block_sort_algorithmE0EEENS0_14default_configENS1_37merge_sort_block_sort_config_selectorIyNS0_10empty_typeEEENS1_38merge_sort_block_merge_config_selectorIySE_EEEEvv,@function
_ZN7rocprim17ROCPRIM_400000_NS6detail44device_merge_sort_compile_time_verifier_archINS1_11comp_targetILNS1_3genE2ELNS1_11target_archE906ELNS1_3gpuE6ELNS1_3repE0EEES8_NS1_28merge_sort_block_sort_configILj256ELj4ELNS0_20block_sort_algorithmE0EEENS0_14default_configENS1_37merge_sort_block_sort_config_selectorIyNS0_10empty_typeEEENS1_38merge_sort_block_merge_config_selectorIySE_EEEEvv: ; @_ZN7rocprim17ROCPRIM_400000_NS6detail44device_merge_sort_compile_time_verifier_archINS1_11comp_targetILNS1_3genE2ELNS1_11target_archE906ELNS1_3gpuE6ELNS1_3repE0EEES8_NS1_28merge_sort_block_sort_configILj256ELj4ELNS0_20block_sort_algorithmE0EEENS0_14default_configENS1_37merge_sort_block_sort_config_selectorIyNS0_10empty_typeEEENS1_38merge_sort_block_merge_config_selectorIySE_EEEEvv
; %bb.0:
	s_endpgm
	.section	.rodata,"a",@progbits
	.p2align	6, 0x0
	.amdhsa_kernel _ZN7rocprim17ROCPRIM_400000_NS6detail44device_merge_sort_compile_time_verifier_archINS1_11comp_targetILNS1_3genE2ELNS1_11target_archE906ELNS1_3gpuE6ELNS1_3repE0EEES8_NS1_28merge_sort_block_sort_configILj256ELj4ELNS0_20block_sort_algorithmE0EEENS0_14default_configENS1_37merge_sort_block_sort_config_selectorIyNS0_10empty_typeEEENS1_38merge_sort_block_merge_config_selectorIySE_EEEEvv
		.amdhsa_group_segment_fixed_size 0
		.amdhsa_private_segment_fixed_size 0
		.amdhsa_kernarg_size 0
		.amdhsa_user_sgpr_count 4
		.amdhsa_user_sgpr_private_segment_buffer 1
		.amdhsa_user_sgpr_dispatch_ptr 0
		.amdhsa_user_sgpr_queue_ptr 0
		.amdhsa_user_sgpr_kernarg_segment_ptr 0
		.amdhsa_user_sgpr_dispatch_id 0
		.amdhsa_user_sgpr_flat_scratch_init 0
		.amdhsa_user_sgpr_kernarg_preload_length 0
		.amdhsa_user_sgpr_kernarg_preload_offset 0
		.amdhsa_user_sgpr_private_segment_size 0
		.amdhsa_uses_dynamic_stack 0
		.amdhsa_system_sgpr_private_segment_wavefront_offset 0
		.amdhsa_system_sgpr_workgroup_id_x 1
		.amdhsa_system_sgpr_workgroup_id_y 0
		.amdhsa_system_sgpr_workgroup_id_z 0
		.amdhsa_system_sgpr_workgroup_info 0
		.amdhsa_system_vgpr_workitem_id 0
		.amdhsa_next_free_vgpr 1
		.amdhsa_next_free_sgpr 0
		.amdhsa_accum_offset 4
		.amdhsa_reserve_vcc 0
		.amdhsa_reserve_flat_scratch 0
		.amdhsa_float_round_mode_32 0
		.amdhsa_float_round_mode_16_64 0
		.amdhsa_float_denorm_mode_32 3
		.amdhsa_float_denorm_mode_16_64 3
		.amdhsa_dx10_clamp 1
		.amdhsa_ieee_mode 1
		.amdhsa_fp16_overflow 0
		.amdhsa_tg_split 0
		.amdhsa_exception_fp_ieee_invalid_op 0
		.amdhsa_exception_fp_denorm_src 0
		.amdhsa_exception_fp_ieee_div_zero 0
		.amdhsa_exception_fp_ieee_overflow 0
		.amdhsa_exception_fp_ieee_underflow 0
		.amdhsa_exception_fp_ieee_inexact 0
		.amdhsa_exception_int_div_zero 0
	.end_amdhsa_kernel
	.section	.text._ZN7rocprim17ROCPRIM_400000_NS6detail44device_merge_sort_compile_time_verifier_archINS1_11comp_targetILNS1_3genE2ELNS1_11target_archE906ELNS1_3gpuE6ELNS1_3repE0EEES8_NS1_28merge_sort_block_sort_configILj256ELj4ELNS0_20block_sort_algorithmE0EEENS0_14default_configENS1_37merge_sort_block_sort_config_selectorIyNS0_10empty_typeEEENS1_38merge_sort_block_merge_config_selectorIySE_EEEEvv,"axG",@progbits,_ZN7rocprim17ROCPRIM_400000_NS6detail44device_merge_sort_compile_time_verifier_archINS1_11comp_targetILNS1_3genE2ELNS1_11target_archE906ELNS1_3gpuE6ELNS1_3repE0EEES8_NS1_28merge_sort_block_sort_configILj256ELj4ELNS0_20block_sort_algorithmE0EEENS0_14default_configENS1_37merge_sort_block_sort_config_selectorIyNS0_10empty_typeEEENS1_38merge_sort_block_merge_config_selectorIySE_EEEEvv,comdat
.Lfunc_end1121:
	.size	_ZN7rocprim17ROCPRIM_400000_NS6detail44device_merge_sort_compile_time_verifier_archINS1_11comp_targetILNS1_3genE2ELNS1_11target_archE906ELNS1_3gpuE6ELNS1_3repE0EEES8_NS1_28merge_sort_block_sort_configILj256ELj4ELNS0_20block_sort_algorithmE0EEENS0_14default_configENS1_37merge_sort_block_sort_config_selectorIyNS0_10empty_typeEEENS1_38merge_sort_block_merge_config_selectorIySE_EEEEvv, .Lfunc_end1121-_ZN7rocprim17ROCPRIM_400000_NS6detail44device_merge_sort_compile_time_verifier_archINS1_11comp_targetILNS1_3genE2ELNS1_11target_archE906ELNS1_3gpuE6ELNS1_3repE0EEES8_NS1_28merge_sort_block_sort_configILj256ELj4ELNS0_20block_sort_algorithmE0EEENS0_14default_configENS1_37merge_sort_block_sort_config_selectorIyNS0_10empty_typeEEENS1_38merge_sort_block_merge_config_selectorIySE_EEEEvv
                                        ; -- End function
	.section	.AMDGPU.csdata,"",@progbits
; Kernel info:
; codeLenInByte = 4
; NumSgprs: 4
; NumVgprs: 0
; NumAgprs: 0
; TotalNumVgprs: 0
; ScratchSize: 0
; MemoryBound: 0
; FloatMode: 240
; IeeeMode: 1
; LDSByteSize: 0 bytes/workgroup (compile time only)
; SGPRBlocks: 0
; VGPRBlocks: 0
; NumSGPRsForWavesPerEU: 4
; NumVGPRsForWavesPerEU: 1
; AccumOffset: 4
; Occupancy: 8
; WaveLimiterHint : 0
; COMPUTE_PGM_RSRC2:SCRATCH_EN: 0
; COMPUTE_PGM_RSRC2:USER_SGPR: 4
; COMPUTE_PGM_RSRC2:TRAP_HANDLER: 0
; COMPUTE_PGM_RSRC2:TGID_X_EN: 1
; COMPUTE_PGM_RSRC2:TGID_Y_EN: 0
; COMPUTE_PGM_RSRC2:TGID_Z_EN: 0
; COMPUTE_PGM_RSRC2:TIDIG_COMP_CNT: 0
; COMPUTE_PGM_RSRC3_GFX90A:ACCUM_OFFSET: 0
; COMPUTE_PGM_RSRC3_GFX90A:TG_SPLIT: 0
	.section	.text._ZN7rocprim17ROCPRIM_400000_NS6detail44device_merge_sort_compile_time_verifier_archINS1_11comp_targetILNS1_3genE10ELNS1_11target_archE1201ELNS1_3gpuE5ELNS1_3repE0EEES8_NS1_28merge_sort_block_sort_configILj256ELj4ELNS0_20block_sort_algorithmE0EEENS0_14default_configENS1_37merge_sort_block_sort_config_selectorIyNS0_10empty_typeEEENS1_38merge_sort_block_merge_config_selectorIySE_EEEEvv,"axG",@progbits,_ZN7rocprim17ROCPRIM_400000_NS6detail44device_merge_sort_compile_time_verifier_archINS1_11comp_targetILNS1_3genE10ELNS1_11target_archE1201ELNS1_3gpuE5ELNS1_3repE0EEES8_NS1_28merge_sort_block_sort_configILj256ELj4ELNS0_20block_sort_algorithmE0EEENS0_14default_configENS1_37merge_sort_block_sort_config_selectorIyNS0_10empty_typeEEENS1_38merge_sort_block_merge_config_selectorIySE_EEEEvv,comdat
	.protected	_ZN7rocprim17ROCPRIM_400000_NS6detail44device_merge_sort_compile_time_verifier_archINS1_11comp_targetILNS1_3genE10ELNS1_11target_archE1201ELNS1_3gpuE5ELNS1_3repE0EEES8_NS1_28merge_sort_block_sort_configILj256ELj4ELNS0_20block_sort_algorithmE0EEENS0_14default_configENS1_37merge_sort_block_sort_config_selectorIyNS0_10empty_typeEEENS1_38merge_sort_block_merge_config_selectorIySE_EEEEvv ; -- Begin function _ZN7rocprim17ROCPRIM_400000_NS6detail44device_merge_sort_compile_time_verifier_archINS1_11comp_targetILNS1_3genE10ELNS1_11target_archE1201ELNS1_3gpuE5ELNS1_3repE0EEES8_NS1_28merge_sort_block_sort_configILj256ELj4ELNS0_20block_sort_algorithmE0EEENS0_14default_configENS1_37merge_sort_block_sort_config_selectorIyNS0_10empty_typeEEENS1_38merge_sort_block_merge_config_selectorIySE_EEEEvv
	.globl	_ZN7rocprim17ROCPRIM_400000_NS6detail44device_merge_sort_compile_time_verifier_archINS1_11comp_targetILNS1_3genE10ELNS1_11target_archE1201ELNS1_3gpuE5ELNS1_3repE0EEES8_NS1_28merge_sort_block_sort_configILj256ELj4ELNS0_20block_sort_algorithmE0EEENS0_14default_configENS1_37merge_sort_block_sort_config_selectorIyNS0_10empty_typeEEENS1_38merge_sort_block_merge_config_selectorIySE_EEEEvv
	.p2align	8
	.type	_ZN7rocprim17ROCPRIM_400000_NS6detail44device_merge_sort_compile_time_verifier_archINS1_11comp_targetILNS1_3genE10ELNS1_11target_archE1201ELNS1_3gpuE5ELNS1_3repE0EEES8_NS1_28merge_sort_block_sort_configILj256ELj4ELNS0_20block_sort_algorithmE0EEENS0_14default_configENS1_37merge_sort_block_sort_config_selectorIyNS0_10empty_typeEEENS1_38merge_sort_block_merge_config_selectorIySE_EEEEvv,@function
_ZN7rocprim17ROCPRIM_400000_NS6detail44device_merge_sort_compile_time_verifier_archINS1_11comp_targetILNS1_3genE10ELNS1_11target_archE1201ELNS1_3gpuE5ELNS1_3repE0EEES8_NS1_28merge_sort_block_sort_configILj256ELj4ELNS0_20block_sort_algorithmE0EEENS0_14default_configENS1_37merge_sort_block_sort_config_selectorIyNS0_10empty_typeEEENS1_38merge_sort_block_merge_config_selectorIySE_EEEEvv: ; @_ZN7rocprim17ROCPRIM_400000_NS6detail44device_merge_sort_compile_time_verifier_archINS1_11comp_targetILNS1_3genE10ELNS1_11target_archE1201ELNS1_3gpuE5ELNS1_3repE0EEES8_NS1_28merge_sort_block_sort_configILj256ELj4ELNS0_20block_sort_algorithmE0EEENS0_14default_configENS1_37merge_sort_block_sort_config_selectorIyNS0_10empty_typeEEENS1_38merge_sort_block_merge_config_selectorIySE_EEEEvv
; %bb.0:
	s_endpgm
	.section	.rodata,"a",@progbits
	.p2align	6, 0x0
	.amdhsa_kernel _ZN7rocprim17ROCPRIM_400000_NS6detail44device_merge_sort_compile_time_verifier_archINS1_11comp_targetILNS1_3genE10ELNS1_11target_archE1201ELNS1_3gpuE5ELNS1_3repE0EEES8_NS1_28merge_sort_block_sort_configILj256ELj4ELNS0_20block_sort_algorithmE0EEENS0_14default_configENS1_37merge_sort_block_sort_config_selectorIyNS0_10empty_typeEEENS1_38merge_sort_block_merge_config_selectorIySE_EEEEvv
		.amdhsa_group_segment_fixed_size 0
		.amdhsa_private_segment_fixed_size 0
		.amdhsa_kernarg_size 0
		.amdhsa_user_sgpr_count 4
		.amdhsa_user_sgpr_private_segment_buffer 1
		.amdhsa_user_sgpr_dispatch_ptr 0
		.amdhsa_user_sgpr_queue_ptr 0
		.amdhsa_user_sgpr_kernarg_segment_ptr 0
		.amdhsa_user_sgpr_dispatch_id 0
		.amdhsa_user_sgpr_flat_scratch_init 0
		.amdhsa_user_sgpr_kernarg_preload_length 0
		.amdhsa_user_sgpr_kernarg_preload_offset 0
		.amdhsa_user_sgpr_private_segment_size 0
		.amdhsa_uses_dynamic_stack 0
		.amdhsa_system_sgpr_private_segment_wavefront_offset 0
		.amdhsa_system_sgpr_workgroup_id_x 1
		.amdhsa_system_sgpr_workgroup_id_y 0
		.amdhsa_system_sgpr_workgroup_id_z 0
		.amdhsa_system_sgpr_workgroup_info 0
		.amdhsa_system_vgpr_workitem_id 0
		.amdhsa_next_free_vgpr 1
		.amdhsa_next_free_sgpr 0
		.amdhsa_accum_offset 4
		.amdhsa_reserve_vcc 0
		.amdhsa_reserve_flat_scratch 0
		.amdhsa_float_round_mode_32 0
		.amdhsa_float_round_mode_16_64 0
		.amdhsa_float_denorm_mode_32 3
		.amdhsa_float_denorm_mode_16_64 3
		.amdhsa_dx10_clamp 1
		.amdhsa_ieee_mode 1
		.amdhsa_fp16_overflow 0
		.amdhsa_tg_split 0
		.amdhsa_exception_fp_ieee_invalid_op 0
		.amdhsa_exception_fp_denorm_src 0
		.amdhsa_exception_fp_ieee_div_zero 0
		.amdhsa_exception_fp_ieee_overflow 0
		.amdhsa_exception_fp_ieee_underflow 0
		.amdhsa_exception_fp_ieee_inexact 0
		.amdhsa_exception_int_div_zero 0
	.end_amdhsa_kernel
	.section	.text._ZN7rocprim17ROCPRIM_400000_NS6detail44device_merge_sort_compile_time_verifier_archINS1_11comp_targetILNS1_3genE10ELNS1_11target_archE1201ELNS1_3gpuE5ELNS1_3repE0EEES8_NS1_28merge_sort_block_sort_configILj256ELj4ELNS0_20block_sort_algorithmE0EEENS0_14default_configENS1_37merge_sort_block_sort_config_selectorIyNS0_10empty_typeEEENS1_38merge_sort_block_merge_config_selectorIySE_EEEEvv,"axG",@progbits,_ZN7rocprim17ROCPRIM_400000_NS6detail44device_merge_sort_compile_time_verifier_archINS1_11comp_targetILNS1_3genE10ELNS1_11target_archE1201ELNS1_3gpuE5ELNS1_3repE0EEES8_NS1_28merge_sort_block_sort_configILj256ELj4ELNS0_20block_sort_algorithmE0EEENS0_14default_configENS1_37merge_sort_block_sort_config_selectorIyNS0_10empty_typeEEENS1_38merge_sort_block_merge_config_selectorIySE_EEEEvv,comdat
.Lfunc_end1122:
	.size	_ZN7rocprim17ROCPRIM_400000_NS6detail44device_merge_sort_compile_time_verifier_archINS1_11comp_targetILNS1_3genE10ELNS1_11target_archE1201ELNS1_3gpuE5ELNS1_3repE0EEES8_NS1_28merge_sort_block_sort_configILj256ELj4ELNS0_20block_sort_algorithmE0EEENS0_14default_configENS1_37merge_sort_block_sort_config_selectorIyNS0_10empty_typeEEENS1_38merge_sort_block_merge_config_selectorIySE_EEEEvv, .Lfunc_end1122-_ZN7rocprim17ROCPRIM_400000_NS6detail44device_merge_sort_compile_time_verifier_archINS1_11comp_targetILNS1_3genE10ELNS1_11target_archE1201ELNS1_3gpuE5ELNS1_3repE0EEES8_NS1_28merge_sort_block_sort_configILj256ELj4ELNS0_20block_sort_algorithmE0EEENS0_14default_configENS1_37merge_sort_block_sort_config_selectorIyNS0_10empty_typeEEENS1_38merge_sort_block_merge_config_selectorIySE_EEEEvv
                                        ; -- End function
	.section	.AMDGPU.csdata,"",@progbits
; Kernel info:
; codeLenInByte = 4
; NumSgprs: 4
; NumVgprs: 0
; NumAgprs: 0
; TotalNumVgprs: 0
; ScratchSize: 0
; MemoryBound: 0
; FloatMode: 240
; IeeeMode: 1
; LDSByteSize: 0 bytes/workgroup (compile time only)
; SGPRBlocks: 0
; VGPRBlocks: 0
; NumSGPRsForWavesPerEU: 4
; NumVGPRsForWavesPerEU: 1
; AccumOffset: 4
; Occupancy: 8
; WaveLimiterHint : 0
; COMPUTE_PGM_RSRC2:SCRATCH_EN: 0
; COMPUTE_PGM_RSRC2:USER_SGPR: 4
; COMPUTE_PGM_RSRC2:TRAP_HANDLER: 0
; COMPUTE_PGM_RSRC2:TGID_X_EN: 1
; COMPUTE_PGM_RSRC2:TGID_Y_EN: 0
; COMPUTE_PGM_RSRC2:TGID_Z_EN: 0
; COMPUTE_PGM_RSRC2:TIDIG_COMP_CNT: 0
; COMPUTE_PGM_RSRC3_GFX90A:ACCUM_OFFSET: 0
; COMPUTE_PGM_RSRC3_GFX90A:TG_SPLIT: 0
	.section	.text._ZN7rocprim17ROCPRIM_400000_NS6detail44device_merge_sort_compile_time_verifier_archINS1_11comp_targetILNS1_3genE10ELNS1_11target_archE1200ELNS1_3gpuE4ELNS1_3repE0EEENS3_ILS4_10ELS5_1201ELS6_5ELS7_0EEENS1_28merge_sort_block_sort_configILj256ELj4ELNS0_20block_sort_algorithmE0EEENS0_14default_configENS1_37merge_sort_block_sort_config_selectorIyNS0_10empty_typeEEENS1_38merge_sort_block_merge_config_selectorIySF_EEEEvv,"axG",@progbits,_ZN7rocprim17ROCPRIM_400000_NS6detail44device_merge_sort_compile_time_verifier_archINS1_11comp_targetILNS1_3genE10ELNS1_11target_archE1200ELNS1_3gpuE4ELNS1_3repE0EEENS3_ILS4_10ELS5_1201ELS6_5ELS7_0EEENS1_28merge_sort_block_sort_configILj256ELj4ELNS0_20block_sort_algorithmE0EEENS0_14default_configENS1_37merge_sort_block_sort_config_selectorIyNS0_10empty_typeEEENS1_38merge_sort_block_merge_config_selectorIySF_EEEEvv,comdat
	.protected	_ZN7rocprim17ROCPRIM_400000_NS6detail44device_merge_sort_compile_time_verifier_archINS1_11comp_targetILNS1_3genE10ELNS1_11target_archE1200ELNS1_3gpuE4ELNS1_3repE0EEENS3_ILS4_10ELS5_1201ELS6_5ELS7_0EEENS1_28merge_sort_block_sort_configILj256ELj4ELNS0_20block_sort_algorithmE0EEENS0_14default_configENS1_37merge_sort_block_sort_config_selectorIyNS0_10empty_typeEEENS1_38merge_sort_block_merge_config_selectorIySF_EEEEvv ; -- Begin function _ZN7rocprim17ROCPRIM_400000_NS6detail44device_merge_sort_compile_time_verifier_archINS1_11comp_targetILNS1_3genE10ELNS1_11target_archE1200ELNS1_3gpuE4ELNS1_3repE0EEENS3_ILS4_10ELS5_1201ELS6_5ELS7_0EEENS1_28merge_sort_block_sort_configILj256ELj4ELNS0_20block_sort_algorithmE0EEENS0_14default_configENS1_37merge_sort_block_sort_config_selectorIyNS0_10empty_typeEEENS1_38merge_sort_block_merge_config_selectorIySF_EEEEvv
	.globl	_ZN7rocprim17ROCPRIM_400000_NS6detail44device_merge_sort_compile_time_verifier_archINS1_11comp_targetILNS1_3genE10ELNS1_11target_archE1200ELNS1_3gpuE4ELNS1_3repE0EEENS3_ILS4_10ELS5_1201ELS6_5ELS7_0EEENS1_28merge_sort_block_sort_configILj256ELj4ELNS0_20block_sort_algorithmE0EEENS0_14default_configENS1_37merge_sort_block_sort_config_selectorIyNS0_10empty_typeEEENS1_38merge_sort_block_merge_config_selectorIySF_EEEEvv
	.p2align	8
	.type	_ZN7rocprim17ROCPRIM_400000_NS6detail44device_merge_sort_compile_time_verifier_archINS1_11comp_targetILNS1_3genE10ELNS1_11target_archE1200ELNS1_3gpuE4ELNS1_3repE0EEENS3_ILS4_10ELS5_1201ELS6_5ELS7_0EEENS1_28merge_sort_block_sort_configILj256ELj4ELNS0_20block_sort_algorithmE0EEENS0_14default_configENS1_37merge_sort_block_sort_config_selectorIyNS0_10empty_typeEEENS1_38merge_sort_block_merge_config_selectorIySF_EEEEvv,@function
_ZN7rocprim17ROCPRIM_400000_NS6detail44device_merge_sort_compile_time_verifier_archINS1_11comp_targetILNS1_3genE10ELNS1_11target_archE1200ELNS1_3gpuE4ELNS1_3repE0EEENS3_ILS4_10ELS5_1201ELS6_5ELS7_0EEENS1_28merge_sort_block_sort_configILj256ELj4ELNS0_20block_sort_algorithmE0EEENS0_14default_configENS1_37merge_sort_block_sort_config_selectorIyNS0_10empty_typeEEENS1_38merge_sort_block_merge_config_selectorIySF_EEEEvv: ; @_ZN7rocprim17ROCPRIM_400000_NS6detail44device_merge_sort_compile_time_verifier_archINS1_11comp_targetILNS1_3genE10ELNS1_11target_archE1200ELNS1_3gpuE4ELNS1_3repE0EEENS3_ILS4_10ELS5_1201ELS6_5ELS7_0EEENS1_28merge_sort_block_sort_configILj256ELj4ELNS0_20block_sort_algorithmE0EEENS0_14default_configENS1_37merge_sort_block_sort_config_selectorIyNS0_10empty_typeEEENS1_38merge_sort_block_merge_config_selectorIySF_EEEEvv
; %bb.0:
	s_endpgm
	.section	.rodata,"a",@progbits
	.p2align	6, 0x0
	.amdhsa_kernel _ZN7rocprim17ROCPRIM_400000_NS6detail44device_merge_sort_compile_time_verifier_archINS1_11comp_targetILNS1_3genE10ELNS1_11target_archE1200ELNS1_3gpuE4ELNS1_3repE0EEENS3_ILS4_10ELS5_1201ELS6_5ELS7_0EEENS1_28merge_sort_block_sort_configILj256ELj4ELNS0_20block_sort_algorithmE0EEENS0_14default_configENS1_37merge_sort_block_sort_config_selectorIyNS0_10empty_typeEEENS1_38merge_sort_block_merge_config_selectorIySF_EEEEvv
		.amdhsa_group_segment_fixed_size 0
		.amdhsa_private_segment_fixed_size 0
		.amdhsa_kernarg_size 0
		.amdhsa_user_sgpr_count 4
		.amdhsa_user_sgpr_private_segment_buffer 1
		.amdhsa_user_sgpr_dispatch_ptr 0
		.amdhsa_user_sgpr_queue_ptr 0
		.amdhsa_user_sgpr_kernarg_segment_ptr 0
		.amdhsa_user_sgpr_dispatch_id 0
		.amdhsa_user_sgpr_flat_scratch_init 0
		.amdhsa_user_sgpr_kernarg_preload_length 0
		.amdhsa_user_sgpr_kernarg_preload_offset 0
		.amdhsa_user_sgpr_private_segment_size 0
		.amdhsa_uses_dynamic_stack 0
		.amdhsa_system_sgpr_private_segment_wavefront_offset 0
		.amdhsa_system_sgpr_workgroup_id_x 1
		.amdhsa_system_sgpr_workgroup_id_y 0
		.amdhsa_system_sgpr_workgroup_id_z 0
		.amdhsa_system_sgpr_workgroup_info 0
		.amdhsa_system_vgpr_workitem_id 0
		.amdhsa_next_free_vgpr 1
		.amdhsa_next_free_sgpr 0
		.amdhsa_accum_offset 4
		.amdhsa_reserve_vcc 0
		.amdhsa_reserve_flat_scratch 0
		.amdhsa_float_round_mode_32 0
		.amdhsa_float_round_mode_16_64 0
		.amdhsa_float_denorm_mode_32 3
		.amdhsa_float_denorm_mode_16_64 3
		.amdhsa_dx10_clamp 1
		.amdhsa_ieee_mode 1
		.amdhsa_fp16_overflow 0
		.amdhsa_tg_split 0
		.amdhsa_exception_fp_ieee_invalid_op 0
		.amdhsa_exception_fp_denorm_src 0
		.amdhsa_exception_fp_ieee_div_zero 0
		.amdhsa_exception_fp_ieee_overflow 0
		.amdhsa_exception_fp_ieee_underflow 0
		.amdhsa_exception_fp_ieee_inexact 0
		.amdhsa_exception_int_div_zero 0
	.end_amdhsa_kernel
	.section	.text._ZN7rocprim17ROCPRIM_400000_NS6detail44device_merge_sort_compile_time_verifier_archINS1_11comp_targetILNS1_3genE10ELNS1_11target_archE1200ELNS1_3gpuE4ELNS1_3repE0EEENS3_ILS4_10ELS5_1201ELS6_5ELS7_0EEENS1_28merge_sort_block_sort_configILj256ELj4ELNS0_20block_sort_algorithmE0EEENS0_14default_configENS1_37merge_sort_block_sort_config_selectorIyNS0_10empty_typeEEENS1_38merge_sort_block_merge_config_selectorIySF_EEEEvv,"axG",@progbits,_ZN7rocprim17ROCPRIM_400000_NS6detail44device_merge_sort_compile_time_verifier_archINS1_11comp_targetILNS1_3genE10ELNS1_11target_archE1200ELNS1_3gpuE4ELNS1_3repE0EEENS3_ILS4_10ELS5_1201ELS6_5ELS7_0EEENS1_28merge_sort_block_sort_configILj256ELj4ELNS0_20block_sort_algorithmE0EEENS0_14default_configENS1_37merge_sort_block_sort_config_selectorIyNS0_10empty_typeEEENS1_38merge_sort_block_merge_config_selectorIySF_EEEEvv,comdat
.Lfunc_end1123:
	.size	_ZN7rocprim17ROCPRIM_400000_NS6detail44device_merge_sort_compile_time_verifier_archINS1_11comp_targetILNS1_3genE10ELNS1_11target_archE1200ELNS1_3gpuE4ELNS1_3repE0EEENS3_ILS4_10ELS5_1201ELS6_5ELS7_0EEENS1_28merge_sort_block_sort_configILj256ELj4ELNS0_20block_sort_algorithmE0EEENS0_14default_configENS1_37merge_sort_block_sort_config_selectorIyNS0_10empty_typeEEENS1_38merge_sort_block_merge_config_selectorIySF_EEEEvv, .Lfunc_end1123-_ZN7rocprim17ROCPRIM_400000_NS6detail44device_merge_sort_compile_time_verifier_archINS1_11comp_targetILNS1_3genE10ELNS1_11target_archE1200ELNS1_3gpuE4ELNS1_3repE0EEENS3_ILS4_10ELS5_1201ELS6_5ELS7_0EEENS1_28merge_sort_block_sort_configILj256ELj4ELNS0_20block_sort_algorithmE0EEENS0_14default_configENS1_37merge_sort_block_sort_config_selectorIyNS0_10empty_typeEEENS1_38merge_sort_block_merge_config_selectorIySF_EEEEvv
                                        ; -- End function
	.section	.AMDGPU.csdata,"",@progbits
; Kernel info:
; codeLenInByte = 4
; NumSgprs: 4
; NumVgprs: 0
; NumAgprs: 0
; TotalNumVgprs: 0
; ScratchSize: 0
; MemoryBound: 0
; FloatMode: 240
; IeeeMode: 1
; LDSByteSize: 0 bytes/workgroup (compile time only)
; SGPRBlocks: 0
; VGPRBlocks: 0
; NumSGPRsForWavesPerEU: 4
; NumVGPRsForWavesPerEU: 1
; AccumOffset: 4
; Occupancy: 8
; WaveLimiterHint : 0
; COMPUTE_PGM_RSRC2:SCRATCH_EN: 0
; COMPUTE_PGM_RSRC2:USER_SGPR: 4
; COMPUTE_PGM_RSRC2:TRAP_HANDLER: 0
; COMPUTE_PGM_RSRC2:TGID_X_EN: 1
; COMPUTE_PGM_RSRC2:TGID_Y_EN: 0
; COMPUTE_PGM_RSRC2:TGID_Z_EN: 0
; COMPUTE_PGM_RSRC2:TIDIG_COMP_CNT: 0
; COMPUTE_PGM_RSRC3_GFX90A:ACCUM_OFFSET: 0
; COMPUTE_PGM_RSRC3_GFX90A:TG_SPLIT: 0
	.section	.text._ZN7rocprim17ROCPRIM_400000_NS6detail44device_merge_sort_compile_time_verifier_archINS1_11comp_targetILNS1_3genE9ELNS1_11target_archE1100ELNS1_3gpuE3ELNS1_3repE0EEES8_NS1_28merge_sort_block_sort_configILj256ELj4ELNS0_20block_sort_algorithmE0EEENS0_14default_configENS1_37merge_sort_block_sort_config_selectorIyNS0_10empty_typeEEENS1_38merge_sort_block_merge_config_selectorIySE_EEEEvv,"axG",@progbits,_ZN7rocprim17ROCPRIM_400000_NS6detail44device_merge_sort_compile_time_verifier_archINS1_11comp_targetILNS1_3genE9ELNS1_11target_archE1100ELNS1_3gpuE3ELNS1_3repE0EEES8_NS1_28merge_sort_block_sort_configILj256ELj4ELNS0_20block_sort_algorithmE0EEENS0_14default_configENS1_37merge_sort_block_sort_config_selectorIyNS0_10empty_typeEEENS1_38merge_sort_block_merge_config_selectorIySE_EEEEvv,comdat
	.protected	_ZN7rocprim17ROCPRIM_400000_NS6detail44device_merge_sort_compile_time_verifier_archINS1_11comp_targetILNS1_3genE9ELNS1_11target_archE1100ELNS1_3gpuE3ELNS1_3repE0EEES8_NS1_28merge_sort_block_sort_configILj256ELj4ELNS0_20block_sort_algorithmE0EEENS0_14default_configENS1_37merge_sort_block_sort_config_selectorIyNS0_10empty_typeEEENS1_38merge_sort_block_merge_config_selectorIySE_EEEEvv ; -- Begin function _ZN7rocprim17ROCPRIM_400000_NS6detail44device_merge_sort_compile_time_verifier_archINS1_11comp_targetILNS1_3genE9ELNS1_11target_archE1100ELNS1_3gpuE3ELNS1_3repE0EEES8_NS1_28merge_sort_block_sort_configILj256ELj4ELNS0_20block_sort_algorithmE0EEENS0_14default_configENS1_37merge_sort_block_sort_config_selectorIyNS0_10empty_typeEEENS1_38merge_sort_block_merge_config_selectorIySE_EEEEvv
	.globl	_ZN7rocprim17ROCPRIM_400000_NS6detail44device_merge_sort_compile_time_verifier_archINS1_11comp_targetILNS1_3genE9ELNS1_11target_archE1100ELNS1_3gpuE3ELNS1_3repE0EEES8_NS1_28merge_sort_block_sort_configILj256ELj4ELNS0_20block_sort_algorithmE0EEENS0_14default_configENS1_37merge_sort_block_sort_config_selectorIyNS0_10empty_typeEEENS1_38merge_sort_block_merge_config_selectorIySE_EEEEvv
	.p2align	8
	.type	_ZN7rocprim17ROCPRIM_400000_NS6detail44device_merge_sort_compile_time_verifier_archINS1_11comp_targetILNS1_3genE9ELNS1_11target_archE1100ELNS1_3gpuE3ELNS1_3repE0EEES8_NS1_28merge_sort_block_sort_configILj256ELj4ELNS0_20block_sort_algorithmE0EEENS0_14default_configENS1_37merge_sort_block_sort_config_selectorIyNS0_10empty_typeEEENS1_38merge_sort_block_merge_config_selectorIySE_EEEEvv,@function
_ZN7rocprim17ROCPRIM_400000_NS6detail44device_merge_sort_compile_time_verifier_archINS1_11comp_targetILNS1_3genE9ELNS1_11target_archE1100ELNS1_3gpuE3ELNS1_3repE0EEES8_NS1_28merge_sort_block_sort_configILj256ELj4ELNS0_20block_sort_algorithmE0EEENS0_14default_configENS1_37merge_sort_block_sort_config_selectorIyNS0_10empty_typeEEENS1_38merge_sort_block_merge_config_selectorIySE_EEEEvv: ; @_ZN7rocprim17ROCPRIM_400000_NS6detail44device_merge_sort_compile_time_verifier_archINS1_11comp_targetILNS1_3genE9ELNS1_11target_archE1100ELNS1_3gpuE3ELNS1_3repE0EEES8_NS1_28merge_sort_block_sort_configILj256ELj4ELNS0_20block_sort_algorithmE0EEENS0_14default_configENS1_37merge_sort_block_sort_config_selectorIyNS0_10empty_typeEEENS1_38merge_sort_block_merge_config_selectorIySE_EEEEvv
; %bb.0:
	s_endpgm
	.section	.rodata,"a",@progbits
	.p2align	6, 0x0
	.amdhsa_kernel _ZN7rocprim17ROCPRIM_400000_NS6detail44device_merge_sort_compile_time_verifier_archINS1_11comp_targetILNS1_3genE9ELNS1_11target_archE1100ELNS1_3gpuE3ELNS1_3repE0EEES8_NS1_28merge_sort_block_sort_configILj256ELj4ELNS0_20block_sort_algorithmE0EEENS0_14default_configENS1_37merge_sort_block_sort_config_selectorIyNS0_10empty_typeEEENS1_38merge_sort_block_merge_config_selectorIySE_EEEEvv
		.amdhsa_group_segment_fixed_size 0
		.amdhsa_private_segment_fixed_size 0
		.amdhsa_kernarg_size 0
		.amdhsa_user_sgpr_count 4
		.amdhsa_user_sgpr_private_segment_buffer 1
		.amdhsa_user_sgpr_dispatch_ptr 0
		.amdhsa_user_sgpr_queue_ptr 0
		.amdhsa_user_sgpr_kernarg_segment_ptr 0
		.amdhsa_user_sgpr_dispatch_id 0
		.amdhsa_user_sgpr_flat_scratch_init 0
		.amdhsa_user_sgpr_kernarg_preload_length 0
		.amdhsa_user_sgpr_kernarg_preload_offset 0
		.amdhsa_user_sgpr_private_segment_size 0
		.amdhsa_uses_dynamic_stack 0
		.amdhsa_system_sgpr_private_segment_wavefront_offset 0
		.amdhsa_system_sgpr_workgroup_id_x 1
		.amdhsa_system_sgpr_workgroup_id_y 0
		.amdhsa_system_sgpr_workgroup_id_z 0
		.amdhsa_system_sgpr_workgroup_info 0
		.amdhsa_system_vgpr_workitem_id 0
		.amdhsa_next_free_vgpr 1
		.amdhsa_next_free_sgpr 0
		.amdhsa_accum_offset 4
		.amdhsa_reserve_vcc 0
		.amdhsa_reserve_flat_scratch 0
		.amdhsa_float_round_mode_32 0
		.amdhsa_float_round_mode_16_64 0
		.amdhsa_float_denorm_mode_32 3
		.amdhsa_float_denorm_mode_16_64 3
		.amdhsa_dx10_clamp 1
		.amdhsa_ieee_mode 1
		.amdhsa_fp16_overflow 0
		.amdhsa_tg_split 0
		.amdhsa_exception_fp_ieee_invalid_op 0
		.amdhsa_exception_fp_denorm_src 0
		.amdhsa_exception_fp_ieee_div_zero 0
		.amdhsa_exception_fp_ieee_overflow 0
		.amdhsa_exception_fp_ieee_underflow 0
		.amdhsa_exception_fp_ieee_inexact 0
		.amdhsa_exception_int_div_zero 0
	.end_amdhsa_kernel
	.section	.text._ZN7rocprim17ROCPRIM_400000_NS6detail44device_merge_sort_compile_time_verifier_archINS1_11comp_targetILNS1_3genE9ELNS1_11target_archE1100ELNS1_3gpuE3ELNS1_3repE0EEES8_NS1_28merge_sort_block_sort_configILj256ELj4ELNS0_20block_sort_algorithmE0EEENS0_14default_configENS1_37merge_sort_block_sort_config_selectorIyNS0_10empty_typeEEENS1_38merge_sort_block_merge_config_selectorIySE_EEEEvv,"axG",@progbits,_ZN7rocprim17ROCPRIM_400000_NS6detail44device_merge_sort_compile_time_verifier_archINS1_11comp_targetILNS1_3genE9ELNS1_11target_archE1100ELNS1_3gpuE3ELNS1_3repE0EEES8_NS1_28merge_sort_block_sort_configILj256ELj4ELNS0_20block_sort_algorithmE0EEENS0_14default_configENS1_37merge_sort_block_sort_config_selectorIyNS0_10empty_typeEEENS1_38merge_sort_block_merge_config_selectorIySE_EEEEvv,comdat
.Lfunc_end1124:
	.size	_ZN7rocprim17ROCPRIM_400000_NS6detail44device_merge_sort_compile_time_verifier_archINS1_11comp_targetILNS1_3genE9ELNS1_11target_archE1100ELNS1_3gpuE3ELNS1_3repE0EEES8_NS1_28merge_sort_block_sort_configILj256ELj4ELNS0_20block_sort_algorithmE0EEENS0_14default_configENS1_37merge_sort_block_sort_config_selectorIyNS0_10empty_typeEEENS1_38merge_sort_block_merge_config_selectorIySE_EEEEvv, .Lfunc_end1124-_ZN7rocprim17ROCPRIM_400000_NS6detail44device_merge_sort_compile_time_verifier_archINS1_11comp_targetILNS1_3genE9ELNS1_11target_archE1100ELNS1_3gpuE3ELNS1_3repE0EEES8_NS1_28merge_sort_block_sort_configILj256ELj4ELNS0_20block_sort_algorithmE0EEENS0_14default_configENS1_37merge_sort_block_sort_config_selectorIyNS0_10empty_typeEEENS1_38merge_sort_block_merge_config_selectorIySE_EEEEvv
                                        ; -- End function
	.section	.AMDGPU.csdata,"",@progbits
; Kernel info:
; codeLenInByte = 4
; NumSgprs: 4
; NumVgprs: 0
; NumAgprs: 0
; TotalNumVgprs: 0
; ScratchSize: 0
; MemoryBound: 0
; FloatMode: 240
; IeeeMode: 1
; LDSByteSize: 0 bytes/workgroup (compile time only)
; SGPRBlocks: 0
; VGPRBlocks: 0
; NumSGPRsForWavesPerEU: 4
; NumVGPRsForWavesPerEU: 1
; AccumOffset: 4
; Occupancy: 8
; WaveLimiterHint : 0
; COMPUTE_PGM_RSRC2:SCRATCH_EN: 0
; COMPUTE_PGM_RSRC2:USER_SGPR: 4
; COMPUTE_PGM_RSRC2:TRAP_HANDLER: 0
; COMPUTE_PGM_RSRC2:TGID_X_EN: 1
; COMPUTE_PGM_RSRC2:TGID_Y_EN: 0
; COMPUTE_PGM_RSRC2:TGID_Z_EN: 0
; COMPUTE_PGM_RSRC2:TIDIG_COMP_CNT: 0
; COMPUTE_PGM_RSRC3_GFX90A:ACCUM_OFFSET: 0
; COMPUTE_PGM_RSRC3_GFX90A:TG_SPLIT: 0
	.section	.text._ZN7rocprim17ROCPRIM_400000_NS6detail44device_merge_sort_compile_time_verifier_archINS1_11comp_targetILNS1_3genE8ELNS1_11target_archE1030ELNS1_3gpuE2ELNS1_3repE0EEES8_NS1_28merge_sort_block_sort_configILj256ELj4ELNS0_20block_sort_algorithmE0EEENS0_14default_configENS1_37merge_sort_block_sort_config_selectorIyNS0_10empty_typeEEENS1_38merge_sort_block_merge_config_selectorIySE_EEEEvv,"axG",@progbits,_ZN7rocprim17ROCPRIM_400000_NS6detail44device_merge_sort_compile_time_verifier_archINS1_11comp_targetILNS1_3genE8ELNS1_11target_archE1030ELNS1_3gpuE2ELNS1_3repE0EEES8_NS1_28merge_sort_block_sort_configILj256ELj4ELNS0_20block_sort_algorithmE0EEENS0_14default_configENS1_37merge_sort_block_sort_config_selectorIyNS0_10empty_typeEEENS1_38merge_sort_block_merge_config_selectorIySE_EEEEvv,comdat
	.protected	_ZN7rocprim17ROCPRIM_400000_NS6detail44device_merge_sort_compile_time_verifier_archINS1_11comp_targetILNS1_3genE8ELNS1_11target_archE1030ELNS1_3gpuE2ELNS1_3repE0EEES8_NS1_28merge_sort_block_sort_configILj256ELj4ELNS0_20block_sort_algorithmE0EEENS0_14default_configENS1_37merge_sort_block_sort_config_selectorIyNS0_10empty_typeEEENS1_38merge_sort_block_merge_config_selectorIySE_EEEEvv ; -- Begin function _ZN7rocprim17ROCPRIM_400000_NS6detail44device_merge_sort_compile_time_verifier_archINS1_11comp_targetILNS1_3genE8ELNS1_11target_archE1030ELNS1_3gpuE2ELNS1_3repE0EEES8_NS1_28merge_sort_block_sort_configILj256ELj4ELNS0_20block_sort_algorithmE0EEENS0_14default_configENS1_37merge_sort_block_sort_config_selectorIyNS0_10empty_typeEEENS1_38merge_sort_block_merge_config_selectorIySE_EEEEvv
	.globl	_ZN7rocprim17ROCPRIM_400000_NS6detail44device_merge_sort_compile_time_verifier_archINS1_11comp_targetILNS1_3genE8ELNS1_11target_archE1030ELNS1_3gpuE2ELNS1_3repE0EEES8_NS1_28merge_sort_block_sort_configILj256ELj4ELNS0_20block_sort_algorithmE0EEENS0_14default_configENS1_37merge_sort_block_sort_config_selectorIyNS0_10empty_typeEEENS1_38merge_sort_block_merge_config_selectorIySE_EEEEvv
	.p2align	8
	.type	_ZN7rocprim17ROCPRIM_400000_NS6detail44device_merge_sort_compile_time_verifier_archINS1_11comp_targetILNS1_3genE8ELNS1_11target_archE1030ELNS1_3gpuE2ELNS1_3repE0EEES8_NS1_28merge_sort_block_sort_configILj256ELj4ELNS0_20block_sort_algorithmE0EEENS0_14default_configENS1_37merge_sort_block_sort_config_selectorIyNS0_10empty_typeEEENS1_38merge_sort_block_merge_config_selectorIySE_EEEEvv,@function
_ZN7rocprim17ROCPRIM_400000_NS6detail44device_merge_sort_compile_time_verifier_archINS1_11comp_targetILNS1_3genE8ELNS1_11target_archE1030ELNS1_3gpuE2ELNS1_3repE0EEES8_NS1_28merge_sort_block_sort_configILj256ELj4ELNS0_20block_sort_algorithmE0EEENS0_14default_configENS1_37merge_sort_block_sort_config_selectorIyNS0_10empty_typeEEENS1_38merge_sort_block_merge_config_selectorIySE_EEEEvv: ; @_ZN7rocprim17ROCPRIM_400000_NS6detail44device_merge_sort_compile_time_verifier_archINS1_11comp_targetILNS1_3genE8ELNS1_11target_archE1030ELNS1_3gpuE2ELNS1_3repE0EEES8_NS1_28merge_sort_block_sort_configILj256ELj4ELNS0_20block_sort_algorithmE0EEENS0_14default_configENS1_37merge_sort_block_sort_config_selectorIyNS0_10empty_typeEEENS1_38merge_sort_block_merge_config_selectorIySE_EEEEvv
; %bb.0:
	s_endpgm
	.section	.rodata,"a",@progbits
	.p2align	6, 0x0
	.amdhsa_kernel _ZN7rocprim17ROCPRIM_400000_NS6detail44device_merge_sort_compile_time_verifier_archINS1_11comp_targetILNS1_3genE8ELNS1_11target_archE1030ELNS1_3gpuE2ELNS1_3repE0EEES8_NS1_28merge_sort_block_sort_configILj256ELj4ELNS0_20block_sort_algorithmE0EEENS0_14default_configENS1_37merge_sort_block_sort_config_selectorIyNS0_10empty_typeEEENS1_38merge_sort_block_merge_config_selectorIySE_EEEEvv
		.amdhsa_group_segment_fixed_size 0
		.amdhsa_private_segment_fixed_size 0
		.amdhsa_kernarg_size 0
		.amdhsa_user_sgpr_count 4
		.amdhsa_user_sgpr_private_segment_buffer 1
		.amdhsa_user_sgpr_dispatch_ptr 0
		.amdhsa_user_sgpr_queue_ptr 0
		.amdhsa_user_sgpr_kernarg_segment_ptr 0
		.amdhsa_user_sgpr_dispatch_id 0
		.amdhsa_user_sgpr_flat_scratch_init 0
		.amdhsa_user_sgpr_kernarg_preload_length 0
		.amdhsa_user_sgpr_kernarg_preload_offset 0
		.amdhsa_user_sgpr_private_segment_size 0
		.amdhsa_uses_dynamic_stack 0
		.amdhsa_system_sgpr_private_segment_wavefront_offset 0
		.amdhsa_system_sgpr_workgroup_id_x 1
		.amdhsa_system_sgpr_workgroup_id_y 0
		.amdhsa_system_sgpr_workgroup_id_z 0
		.amdhsa_system_sgpr_workgroup_info 0
		.amdhsa_system_vgpr_workitem_id 0
		.amdhsa_next_free_vgpr 1
		.amdhsa_next_free_sgpr 0
		.amdhsa_accum_offset 4
		.amdhsa_reserve_vcc 0
		.amdhsa_reserve_flat_scratch 0
		.amdhsa_float_round_mode_32 0
		.amdhsa_float_round_mode_16_64 0
		.amdhsa_float_denorm_mode_32 3
		.amdhsa_float_denorm_mode_16_64 3
		.amdhsa_dx10_clamp 1
		.amdhsa_ieee_mode 1
		.amdhsa_fp16_overflow 0
		.amdhsa_tg_split 0
		.amdhsa_exception_fp_ieee_invalid_op 0
		.amdhsa_exception_fp_denorm_src 0
		.amdhsa_exception_fp_ieee_div_zero 0
		.amdhsa_exception_fp_ieee_overflow 0
		.amdhsa_exception_fp_ieee_underflow 0
		.amdhsa_exception_fp_ieee_inexact 0
		.amdhsa_exception_int_div_zero 0
	.end_amdhsa_kernel
	.section	.text._ZN7rocprim17ROCPRIM_400000_NS6detail44device_merge_sort_compile_time_verifier_archINS1_11comp_targetILNS1_3genE8ELNS1_11target_archE1030ELNS1_3gpuE2ELNS1_3repE0EEES8_NS1_28merge_sort_block_sort_configILj256ELj4ELNS0_20block_sort_algorithmE0EEENS0_14default_configENS1_37merge_sort_block_sort_config_selectorIyNS0_10empty_typeEEENS1_38merge_sort_block_merge_config_selectorIySE_EEEEvv,"axG",@progbits,_ZN7rocprim17ROCPRIM_400000_NS6detail44device_merge_sort_compile_time_verifier_archINS1_11comp_targetILNS1_3genE8ELNS1_11target_archE1030ELNS1_3gpuE2ELNS1_3repE0EEES8_NS1_28merge_sort_block_sort_configILj256ELj4ELNS0_20block_sort_algorithmE0EEENS0_14default_configENS1_37merge_sort_block_sort_config_selectorIyNS0_10empty_typeEEENS1_38merge_sort_block_merge_config_selectorIySE_EEEEvv,comdat
.Lfunc_end1125:
	.size	_ZN7rocprim17ROCPRIM_400000_NS6detail44device_merge_sort_compile_time_verifier_archINS1_11comp_targetILNS1_3genE8ELNS1_11target_archE1030ELNS1_3gpuE2ELNS1_3repE0EEES8_NS1_28merge_sort_block_sort_configILj256ELj4ELNS0_20block_sort_algorithmE0EEENS0_14default_configENS1_37merge_sort_block_sort_config_selectorIyNS0_10empty_typeEEENS1_38merge_sort_block_merge_config_selectorIySE_EEEEvv, .Lfunc_end1125-_ZN7rocprim17ROCPRIM_400000_NS6detail44device_merge_sort_compile_time_verifier_archINS1_11comp_targetILNS1_3genE8ELNS1_11target_archE1030ELNS1_3gpuE2ELNS1_3repE0EEES8_NS1_28merge_sort_block_sort_configILj256ELj4ELNS0_20block_sort_algorithmE0EEENS0_14default_configENS1_37merge_sort_block_sort_config_selectorIyNS0_10empty_typeEEENS1_38merge_sort_block_merge_config_selectorIySE_EEEEvv
                                        ; -- End function
	.section	.AMDGPU.csdata,"",@progbits
; Kernel info:
; codeLenInByte = 4
; NumSgprs: 4
; NumVgprs: 0
; NumAgprs: 0
; TotalNumVgprs: 0
; ScratchSize: 0
; MemoryBound: 0
; FloatMode: 240
; IeeeMode: 1
; LDSByteSize: 0 bytes/workgroup (compile time only)
; SGPRBlocks: 0
; VGPRBlocks: 0
; NumSGPRsForWavesPerEU: 4
; NumVGPRsForWavesPerEU: 1
; AccumOffset: 4
; Occupancy: 8
; WaveLimiterHint : 0
; COMPUTE_PGM_RSRC2:SCRATCH_EN: 0
; COMPUTE_PGM_RSRC2:USER_SGPR: 4
; COMPUTE_PGM_RSRC2:TRAP_HANDLER: 0
; COMPUTE_PGM_RSRC2:TGID_X_EN: 1
; COMPUTE_PGM_RSRC2:TGID_Y_EN: 0
; COMPUTE_PGM_RSRC2:TGID_Z_EN: 0
; COMPUTE_PGM_RSRC2:TIDIG_COMP_CNT: 0
; COMPUTE_PGM_RSRC3_GFX90A:ACCUM_OFFSET: 0
; COMPUTE_PGM_RSRC3_GFX90A:TG_SPLIT: 0
	.section	.text._ZN7rocprim17ROCPRIM_400000_NS6detail17trampoline_kernelINS0_14default_configENS1_38merge_sort_block_merge_config_selectorIyNS0_10empty_typeEEEZZNS1_27merge_sort_block_merge_implIS3_PyPS5_jNS1_19radix_merge_compareILb0ELb0EyNS0_19identity_decomposerEEEEE10hipError_tT0_T1_T2_jT3_P12ihipStream_tbPNSt15iterator_traitsISE_E10value_typeEPNSK_ISF_E10value_typeEPSG_NS1_7vsmem_tEENKUlT_SE_SF_SG_E_clIS8_S8_S9_S9_EESD_ST_SE_SF_SG_EUlST_E_NS1_11comp_targetILNS1_3genE0ELNS1_11target_archE4294967295ELNS1_3gpuE0ELNS1_3repE0EEENS1_48merge_mergepath_partition_config_static_selectorELNS0_4arch9wavefront6targetE1EEEvSF_,"axG",@progbits,_ZN7rocprim17ROCPRIM_400000_NS6detail17trampoline_kernelINS0_14default_configENS1_38merge_sort_block_merge_config_selectorIyNS0_10empty_typeEEEZZNS1_27merge_sort_block_merge_implIS3_PyPS5_jNS1_19radix_merge_compareILb0ELb0EyNS0_19identity_decomposerEEEEE10hipError_tT0_T1_T2_jT3_P12ihipStream_tbPNSt15iterator_traitsISE_E10value_typeEPNSK_ISF_E10value_typeEPSG_NS1_7vsmem_tEENKUlT_SE_SF_SG_E_clIS8_S8_S9_S9_EESD_ST_SE_SF_SG_EUlST_E_NS1_11comp_targetILNS1_3genE0ELNS1_11target_archE4294967295ELNS1_3gpuE0ELNS1_3repE0EEENS1_48merge_mergepath_partition_config_static_selectorELNS0_4arch9wavefront6targetE1EEEvSF_,comdat
	.protected	_ZN7rocprim17ROCPRIM_400000_NS6detail17trampoline_kernelINS0_14default_configENS1_38merge_sort_block_merge_config_selectorIyNS0_10empty_typeEEEZZNS1_27merge_sort_block_merge_implIS3_PyPS5_jNS1_19radix_merge_compareILb0ELb0EyNS0_19identity_decomposerEEEEE10hipError_tT0_T1_T2_jT3_P12ihipStream_tbPNSt15iterator_traitsISE_E10value_typeEPNSK_ISF_E10value_typeEPSG_NS1_7vsmem_tEENKUlT_SE_SF_SG_E_clIS8_S8_S9_S9_EESD_ST_SE_SF_SG_EUlST_E_NS1_11comp_targetILNS1_3genE0ELNS1_11target_archE4294967295ELNS1_3gpuE0ELNS1_3repE0EEENS1_48merge_mergepath_partition_config_static_selectorELNS0_4arch9wavefront6targetE1EEEvSF_ ; -- Begin function _ZN7rocprim17ROCPRIM_400000_NS6detail17trampoline_kernelINS0_14default_configENS1_38merge_sort_block_merge_config_selectorIyNS0_10empty_typeEEEZZNS1_27merge_sort_block_merge_implIS3_PyPS5_jNS1_19radix_merge_compareILb0ELb0EyNS0_19identity_decomposerEEEEE10hipError_tT0_T1_T2_jT3_P12ihipStream_tbPNSt15iterator_traitsISE_E10value_typeEPNSK_ISF_E10value_typeEPSG_NS1_7vsmem_tEENKUlT_SE_SF_SG_E_clIS8_S8_S9_S9_EESD_ST_SE_SF_SG_EUlST_E_NS1_11comp_targetILNS1_3genE0ELNS1_11target_archE4294967295ELNS1_3gpuE0ELNS1_3repE0EEENS1_48merge_mergepath_partition_config_static_selectorELNS0_4arch9wavefront6targetE1EEEvSF_
	.globl	_ZN7rocprim17ROCPRIM_400000_NS6detail17trampoline_kernelINS0_14default_configENS1_38merge_sort_block_merge_config_selectorIyNS0_10empty_typeEEEZZNS1_27merge_sort_block_merge_implIS3_PyPS5_jNS1_19radix_merge_compareILb0ELb0EyNS0_19identity_decomposerEEEEE10hipError_tT0_T1_T2_jT3_P12ihipStream_tbPNSt15iterator_traitsISE_E10value_typeEPNSK_ISF_E10value_typeEPSG_NS1_7vsmem_tEENKUlT_SE_SF_SG_E_clIS8_S8_S9_S9_EESD_ST_SE_SF_SG_EUlST_E_NS1_11comp_targetILNS1_3genE0ELNS1_11target_archE4294967295ELNS1_3gpuE0ELNS1_3repE0EEENS1_48merge_mergepath_partition_config_static_selectorELNS0_4arch9wavefront6targetE1EEEvSF_
	.p2align	8
	.type	_ZN7rocprim17ROCPRIM_400000_NS6detail17trampoline_kernelINS0_14default_configENS1_38merge_sort_block_merge_config_selectorIyNS0_10empty_typeEEEZZNS1_27merge_sort_block_merge_implIS3_PyPS5_jNS1_19radix_merge_compareILb0ELb0EyNS0_19identity_decomposerEEEEE10hipError_tT0_T1_T2_jT3_P12ihipStream_tbPNSt15iterator_traitsISE_E10value_typeEPNSK_ISF_E10value_typeEPSG_NS1_7vsmem_tEENKUlT_SE_SF_SG_E_clIS8_S8_S9_S9_EESD_ST_SE_SF_SG_EUlST_E_NS1_11comp_targetILNS1_3genE0ELNS1_11target_archE4294967295ELNS1_3gpuE0ELNS1_3repE0EEENS1_48merge_mergepath_partition_config_static_selectorELNS0_4arch9wavefront6targetE1EEEvSF_,@function
_ZN7rocprim17ROCPRIM_400000_NS6detail17trampoline_kernelINS0_14default_configENS1_38merge_sort_block_merge_config_selectorIyNS0_10empty_typeEEEZZNS1_27merge_sort_block_merge_implIS3_PyPS5_jNS1_19radix_merge_compareILb0ELb0EyNS0_19identity_decomposerEEEEE10hipError_tT0_T1_T2_jT3_P12ihipStream_tbPNSt15iterator_traitsISE_E10value_typeEPNSK_ISF_E10value_typeEPSG_NS1_7vsmem_tEENKUlT_SE_SF_SG_E_clIS8_S8_S9_S9_EESD_ST_SE_SF_SG_EUlST_E_NS1_11comp_targetILNS1_3genE0ELNS1_11target_archE4294967295ELNS1_3gpuE0ELNS1_3repE0EEENS1_48merge_mergepath_partition_config_static_selectorELNS0_4arch9wavefront6targetE1EEEvSF_: ; @_ZN7rocprim17ROCPRIM_400000_NS6detail17trampoline_kernelINS0_14default_configENS1_38merge_sort_block_merge_config_selectorIyNS0_10empty_typeEEEZZNS1_27merge_sort_block_merge_implIS3_PyPS5_jNS1_19radix_merge_compareILb0ELb0EyNS0_19identity_decomposerEEEEE10hipError_tT0_T1_T2_jT3_P12ihipStream_tbPNSt15iterator_traitsISE_E10value_typeEPNSK_ISF_E10value_typeEPSG_NS1_7vsmem_tEENKUlT_SE_SF_SG_E_clIS8_S8_S9_S9_EESD_ST_SE_SF_SG_EUlST_E_NS1_11comp_targetILNS1_3genE0ELNS1_11target_archE4294967295ELNS1_3gpuE0ELNS1_3repE0EEENS1_48merge_mergepath_partition_config_static_selectorELNS0_4arch9wavefront6targetE1EEEvSF_
; %bb.0:
	.section	.rodata,"a",@progbits
	.p2align	6, 0x0
	.amdhsa_kernel _ZN7rocprim17ROCPRIM_400000_NS6detail17trampoline_kernelINS0_14default_configENS1_38merge_sort_block_merge_config_selectorIyNS0_10empty_typeEEEZZNS1_27merge_sort_block_merge_implIS3_PyPS5_jNS1_19radix_merge_compareILb0ELb0EyNS0_19identity_decomposerEEEEE10hipError_tT0_T1_T2_jT3_P12ihipStream_tbPNSt15iterator_traitsISE_E10value_typeEPNSK_ISF_E10value_typeEPSG_NS1_7vsmem_tEENKUlT_SE_SF_SG_E_clIS8_S8_S9_S9_EESD_ST_SE_SF_SG_EUlST_E_NS1_11comp_targetILNS1_3genE0ELNS1_11target_archE4294967295ELNS1_3gpuE0ELNS1_3repE0EEENS1_48merge_mergepath_partition_config_static_selectorELNS0_4arch9wavefront6targetE1EEEvSF_
		.amdhsa_group_segment_fixed_size 0
		.amdhsa_private_segment_fixed_size 0
		.amdhsa_kernarg_size 40
		.amdhsa_user_sgpr_count 6
		.amdhsa_user_sgpr_private_segment_buffer 1
		.amdhsa_user_sgpr_dispatch_ptr 0
		.amdhsa_user_sgpr_queue_ptr 0
		.amdhsa_user_sgpr_kernarg_segment_ptr 1
		.amdhsa_user_sgpr_dispatch_id 0
		.amdhsa_user_sgpr_flat_scratch_init 0
		.amdhsa_user_sgpr_kernarg_preload_length 0
		.amdhsa_user_sgpr_kernarg_preload_offset 0
		.amdhsa_user_sgpr_private_segment_size 0
		.amdhsa_uses_dynamic_stack 0
		.amdhsa_system_sgpr_private_segment_wavefront_offset 0
		.amdhsa_system_sgpr_workgroup_id_x 1
		.amdhsa_system_sgpr_workgroup_id_y 0
		.amdhsa_system_sgpr_workgroup_id_z 0
		.amdhsa_system_sgpr_workgroup_info 0
		.amdhsa_system_vgpr_workitem_id 0
		.amdhsa_next_free_vgpr 1
		.amdhsa_next_free_sgpr 0
		.amdhsa_accum_offset 4
		.amdhsa_reserve_vcc 0
		.amdhsa_reserve_flat_scratch 0
		.amdhsa_float_round_mode_32 0
		.amdhsa_float_round_mode_16_64 0
		.amdhsa_float_denorm_mode_32 3
		.amdhsa_float_denorm_mode_16_64 3
		.amdhsa_dx10_clamp 1
		.amdhsa_ieee_mode 1
		.amdhsa_fp16_overflow 0
		.amdhsa_tg_split 0
		.amdhsa_exception_fp_ieee_invalid_op 0
		.amdhsa_exception_fp_denorm_src 0
		.amdhsa_exception_fp_ieee_div_zero 0
		.amdhsa_exception_fp_ieee_overflow 0
		.amdhsa_exception_fp_ieee_underflow 0
		.amdhsa_exception_fp_ieee_inexact 0
		.amdhsa_exception_int_div_zero 0
	.end_amdhsa_kernel
	.section	.text._ZN7rocprim17ROCPRIM_400000_NS6detail17trampoline_kernelINS0_14default_configENS1_38merge_sort_block_merge_config_selectorIyNS0_10empty_typeEEEZZNS1_27merge_sort_block_merge_implIS3_PyPS5_jNS1_19radix_merge_compareILb0ELb0EyNS0_19identity_decomposerEEEEE10hipError_tT0_T1_T2_jT3_P12ihipStream_tbPNSt15iterator_traitsISE_E10value_typeEPNSK_ISF_E10value_typeEPSG_NS1_7vsmem_tEENKUlT_SE_SF_SG_E_clIS8_S8_S9_S9_EESD_ST_SE_SF_SG_EUlST_E_NS1_11comp_targetILNS1_3genE0ELNS1_11target_archE4294967295ELNS1_3gpuE0ELNS1_3repE0EEENS1_48merge_mergepath_partition_config_static_selectorELNS0_4arch9wavefront6targetE1EEEvSF_,"axG",@progbits,_ZN7rocprim17ROCPRIM_400000_NS6detail17trampoline_kernelINS0_14default_configENS1_38merge_sort_block_merge_config_selectorIyNS0_10empty_typeEEEZZNS1_27merge_sort_block_merge_implIS3_PyPS5_jNS1_19radix_merge_compareILb0ELb0EyNS0_19identity_decomposerEEEEE10hipError_tT0_T1_T2_jT3_P12ihipStream_tbPNSt15iterator_traitsISE_E10value_typeEPNSK_ISF_E10value_typeEPSG_NS1_7vsmem_tEENKUlT_SE_SF_SG_E_clIS8_S8_S9_S9_EESD_ST_SE_SF_SG_EUlST_E_NS1_11comp_targetILNS1_3genE0ELNS1_11target_archE4294967295ELNS1_3gpuE0ELNS1_3repE0EEENS1_48merge_mergepath_partition_config_static_selectorELNS0_4arch9wavefront6targetE1EEEvSF_,comdat
.Lfunc_end1126:
	.size	_ZN7rocprim17ROCPRIM_400000_NS6detail17trampoline_kernelINS0_14default_configENS1_38merge_sort_block_merge_config_selectorIyNS0_10empty_typeEEEZZNS1_27merge_sort_block_merge_implIS3_PyPS5_jNS1_19radix_merge_compareILb0ELb0EyNS0_19identity_decomposerEEEEE10hipError_tT0_T1_T2_jT3_P12ihipStream_tbPNSt15iterator_traitsISE_E10value_typeEPNSK_ISF_E10value_typeEPSG_NS1_7vsmem_tEENKUlT_SE_SF_SG_E_clIS8_S8_S9_S9_EESD_ST_SE_SF_SG_EUlST_E_NS1_11comp_targetILNS1_3genE0ELNS1_11target_archE4294967295ELNS1_3gpuE0ELNS1_3repE0EEENS1_48merge_mergepath_partition_config_static_selectorELNS0_4arch9wavefront6targetE1EEEvSF_, .Lfunc_end1126-_ZN7rocprim17ROCPRIM_400000_NS6detail17trampoline_kernelINS0_14default_configENS1_38merge_sort_block_merge_config_selectorIyNS0_10empty_typeEEEZZNS1_27merge_sort_block_merge_implIS3_PyPS5_jNS1_19radix_merge_compareILb0ELb0EyNS0_19identity_decomposerEEEEE10hipError_tT0_T1_T2_jT3_P12ihipStream_tbPNSt15iterator_traitsISE_E10value_typeEPNSK_ISF_E10value_typeEPSG_NS1_7vsmem_tEENKUlT_SE_SF_SG_E_clIS8_S8_S9_S9_EESD_ST_SE_SF_SG_EUlST_E_NS1_11comp_targetILNS1_3genE0ELNS1_11target_archE4294967295ELNS1_3gpuE0ELNS1_3repE0EEENS1_48merge_mergepath_partition_config_static_selectorELNS0_4arch9wavefront6targetE1EEEvSF_
                                        ; -- End function
	.section	.AMDGPU.csdata,"",@progbits
; Kernel info:
; codeLenInByte = 0
; NumSgprs: 4
; NumVgprs: 0
; NumAgprs: 0
; TotalNumVgprs: 0
; ScratchSize: 0
; MemoryBound: 0
; FloatMode: 240
; IeeeMode: 1
; LDSByteSize: 0 bytes/workgroup (compile time only)
; SGPRBlocks: 0
; VGPRBlocks: 0
; NumSGPRsForWavesPerEU: 4
; NumVGPRsForWavesPerEU: 1
; AccumOffset: 4
; Occupancy: 8
; WaveLimiterHint : 0
; COMPUTE_PGM_RSRC2:SCRATCH_EN: 0
; COMPUTE_PGM_RSRC2:USER_SGPR: 6
; COMPUTE_PGM_RSRC2:TRAP_HANDLER: 0
; COMPUTE_PGM_RSRC2:TGID_X_EN: 1
; COMPUTE_PGM_RSRC2:TGID_Y_EN: 0
; COMPUTE_PGM_RSRC2:TGID_Z_EN: 0
; COMPUTE_PGM_RSRC2:TIDIG_COMP_CNT: 0
; COMPUTE_PGM_RSRC3_GFX90A:ACCUM_OFFSET: 0
; COMPUTE_PGM_RSRC3_GFX90A:TG_SPLIT: 0
	.section	.text._ZN7rocprim17ROCPRIM_400000_NS6detail17trampoline_kernelINS0_14default_configENS1_38merge_sort_block_merge_config_selectorIyNS0_10empty_typeEEEZZNS1_27merge_sort_block_merge_implIS3_PyPS5_jNS1_19radix_merge_compareILb0ELb0EyNS0_19identity_decomposerEEEEE10hipError_tT0_T1_T2_jT3_P12ihipStream_tbPNSt15iterator_traitsISE_E10value_typeEPNSK_ISF_E10value_typeEPSG_NS1_7vsmem_tEENKUlT_SE_SF_SG_E_clIS8_S8_S9_S9_EESD_ST_SE_SF_SG_EUlST_E_NS1_11comp_targetILNS1_3genE10ELNS1_11target_archE1201ELNS1_3gpuE5ELNS1_3repE0EEENS1_48merge_mergepath_partition_config_static_selectorELNS0_4arch9wavefront6targetE1EEEvSF_,"axG",@progbits,_ZN7rocprim17ROCPRIM_400000_NS6detail17trampoline_kernelINS0_14default_configENS1_38merge_sort_block_merge_config_selectorIyNS0_10empty_typeEEEZZNS1_27merge_sort_block_merge_implIS3_PyPS5_jNS1_19radix_merge_compareILb0ELb0EyNS0_19identity_decomposerEEEEE10hipError_tT0_T1_T2_jT3_P12ihipStream_tbPNSt15iterator_traitsISE_E10value_typeEPNSK_ISF_E10value_typeEPSG_NS1_7vsmem_tEENKUlT_SE_SF_SG_E_clIS8_S8_S9_S9_EESD_ST_SE_SF_SG_EUlST_E_NS1_11comp_targetILNS1_3genE10ELNS1_11target_archE1201ELNS1_3gpuE5ELNS1_3repE0EEENS1_48merge_mergepath_partition_config_static_selectorELNS0_4arch9wavefront6targetE1EEEvSF_,comdat
	.protected	_ZN7rocprim17ROCPRIM_400000_NS6detail17trampoline_kernelINS0_14default_configENS1_38merge_sort_block_merge_config_selectorIyNS0_10empty_typeEEEZZNS1_27merge_sort_block_merge_implIS3_PyPS5_jNS1_19radix_merge_compareILb0ELb0EyNS0_19identity_decomposerEEEEE10hipError_tT0_T1_T2_jT3_P12ihipStream_tbPNSt15iterator_traitsISE_E10value_typeEPNSK_ISF_E10value_typeEPSG_NS1_7vsmem_tEENKUlT_SE_SF_SG_E_clIS8_S8_S9_S9_EESD_ST_SE_SF_SG_EUlST_E_NS1_11comp_targetILNS1_3genE10ELNS1_11target_archE1201ELNS1_3gpuE5ELNS1_3repE0EEENS1_48merge_mergepath_partition_config_static_selectorELNS0_4arch9wavefront6targetE1EEEvSF_ ; -- Begin function _ZN7rocprim17ROCPRIM_400000_NS6detail17trampoline_kernelINS0_14default_configENS1_38merge_sort_block_merge_config_selectorIyNS0_10empty_typeEEEZZNS1_27merge_sort_block_merge_implIS3_PyPS5_jNS1_19radix_merge_compareILb0ELb0EyNS0_19identity_decomposerEEEEE10hipError_tT0_T1_T2_jT3_P12ihipStream_tbPNSt15iterator_traitsISE_E10value_typeEPNSK_ISF_E10value_typeEPSG_NS1_7vsmem_tEENKUlT_SE_SF_SG_E_clIS8_S8_S9_S9_EESD_ST_SE_SF_SG_EUlST_E_NS1_11comp_targetILNS1_3genE10ELNS1_11target_archE1201ELNS1_3gpuE5ELNS1_3repE0EEENS1_48merge_mergepath_partition_config_static_selectorELNS0_4arch9wavefront6targetE1EEEvSF_
	.globl	_ZN7rocprim17ROCPRIM_400000_NS6detail17trampoline_kernelINS0_14default_configENS1_38merge_sort_block_merge_config_selectorIyNS0_10empty_typeEEEZZNS1_27merge_sort_block_merge_implIS3_PyPS5_jNS1_19radix_merge_compareILb0ELb0EyNS0_19identity_decomposerEEEEE10hipError_tT0_T1_T2_jT3_P12ihipStream_tbPNSt15iterator_traitsISE_E10value_typeEPNSK_ISF_E10value_typeEPSG_NS1_7vsmem_tEENKUlT_SE_SF_SG_E_clIS8_S8_S9_S9_EESD_ST_SE_SF_SG_EUlST_E_NS1_11comp_targetILNS1_3genE10ELNS1_11target_archE1201ELNS1_3gpuE5ELNS1_3repE0EEENS1_48merge_mergepath_partition_config_static_selectorELNS0_4arch9wavefront6targetE1EEEvSF_
	.p2align	8
	.type	_ZN7rocprim17ROCPRIM_400000_NS6detail17trampoline_kernelINS0_14default_configENS1_38merge_sort_block_merge_config_selectorIyNS0_10empty_typeEEEZZNS1_27merge_sort_block_merge_implIS3_PyPS5_jNS1_19radix_merge_compareILb0ELb0EyNS0_19identity_decomposerEEEEE10hipError_tT0_T1_T2_jT3_P12ihipStream_tbPNSt15iterator_traitsISE_E10value_typeEPNSK_ISF_E10value_typeEPSG_NS1_7vsmem_tEENKUlT_SE_SF_SG_E_clIS8_S8_S9_S9_EESD_ST_SE_SF_SG_EUlST_E_NS1_11comp_targetILNS1_3genE10ELNS1_11target_archE1201ELNS1_3gpuE5ELNS1_3repE0EEENS1_48merge_mergepath_partition_config_static_selectorELNS0_4arch9wavefront6targetE1EEEvSF_,@function
_ZN7rocprim17ROCPRIM_400000_NS6detail17trampoline_kernelINS0_14default_configENS1_38merge_sort_block_merge_config_selectorIyNS0_10empty_typeEEEZZNS1_27merge_sort_block_merge_implIS3_PyPS5_jNS1_19radix_merge_compareILb0ELb0EyNS0_19identity_decomposerEEEEE10hipError_tT0_T1_T2_jT3_P12ihipStream_tbPNSt15iterator_traitsISE_E10value_typeEPNSK_ISF_E10value_typeEPSG_NS1_7vsmem_tEENKUlT_SE_SF_SG_E_clIS8_S8_S9_S9_EESD_ST_SE_SF_SG_EUlST_E_NS1_11comp_targetILNS1_3genE10ELNS1_11target_archE1201ELNS1_3gpuE5ELNS1_3repE0EEENS1_48merge_mergepath_partition_config_static_selectorELNS0_4arch9wavefront6targetE1EEEvSF_: ; @_ZN7rocprim17ROCPRIM_400000_NS6detail17trampoline_kernelINS0_14default_configENS1_38merge_sort_block_merge_config_selectorIyNS0_10empty_typeEEEZZNS1_27merge_sort_block_merge_implIS3_PyPS5_jNS1_19radix_merge_compareILb0ELb0EyNS0_19identity_decomposerEEEEE10hipError_tT0_T1_T2_jT3_P12ihipStream_tbPNSt15iterator_traitsISE_E10value_typeEPNSK_ISF_E10value_typeEPSG_NS1_7vsmem_tEENKUlT_SE_SF_SG_E_clIS8_S8_S9_S9_EESD_ST_SE_SF_SG_EUlST_E_NS1_11comp_targetILNS1_3genE10ELNS1_11target_archE1201ELNS1_3gpuE5ELNS1_3repE0EEENS1_48merge_mergepath_partition_config_static_selectorELNS0_4arch9wavefront6targetE1EEEvSF_
; %bb.0:
	.section	.rodata,"a",@progbits
	.p2align	6, 0x0
	.amdhsa_kernel _ZN7rocprim17ROCPRIM_400000_NS6detail17trampoline_kernelINS0_14default_configENS1_38merge_sort_block_merge_config_selectorIyNS0_10empty_typeEEEZZNS1_27merge_sort_block_merge_implIS3_PyPS5_jNS1_19radix_merge_compareILb0ELb0EyNS0_19identity_decomposerEEEEE10hipError_tT0_T1_T2_jT3_P12ihipStream_tbPNSt15iterator_traitsISE_E10value_typeEPNSK_ISF_E10value_typeEPSG_NS1_7vsmem_tEENKUlT_SE_SF_SG_E_clIS8_S8_S9_S9_EESD_ST_SE_SF_SG_EUlST_E_NS1_11comp_targetILNS1_3genE10ELNS1_11target_archE1201ELNS1_3gpuE5ELNS1_3repE0EEENS1_48merge_mergepath_partition_config_static_selectorELNS0_4arch9wavefront6targetE1EEEvSF_
		.amdhsa_group_segment_fixed_size 0
		.amdhsa_private_segment_fixed_size 0
		.amdhsa_kernarg_size 40
		.amdhsa_user_sgpr_count 6
		.amdhsa_user_sgpr_private_segment_buffer 1
		.amdhsa_user_sgpr_dispatch_ptr 0
		.amdhsa_user_sgpr_queue_ptr 0
		.amdhsa_user_sgpr_kernarg_segment_ptr 1
		.amdhsa_user_sgpr_dispatch_id 0
		.amdhsa_user_sgpr_flat_scratch_init 0
		.amdhsa_user_sgpr_kernarg_preload_length 0
		.amdhsa_user_sgpr_kernarg_preload_offset 0
		.amdhsa_user_sgpr_private_segment_size 0
		.amdhsa_uses_dynamic_stack 0
		.amdhsa_system_sgpr_private_segment_wavefront_offset 0
		.amdhsa_system_sgpr_workgroup_id_x 1
		.amdhsa_system_sgpr_workgroup_id_y 0
		.amdhsa_system_sgpr_workgroup_id_z 0
		.amdhsa_system_sgpr_workgroup_info 0
		.amdhsa_system_vgpr_workitem_id 0
		.amdhsa_next_free_vgpr 1
		.amdhsa_next_free_sgpr 0
		.amdhsa_accum_offset 4
		.amdhsa_reserve_vcc 0
		.amdhsa_reserve_flat_scratch 0
		.amdhsa_float_round_mode_32 0
		.amdhsa_float_round_mode_16_64 0
		.amdhsa_float_denorm_mode_32 3
		.amdhsa_float_denorm_mode_16_64 3
		.amdhsa_dx10_clamp 1
		.amdhsa_ieee_mode 1
		.amdhsa_fp16_overflow 0
		.amdhsa_tg_split 0
		.amdhsa_exception_fp_ieee_invalid_op 0
		.amdhsa_exception_fp_denorm_src 0
		.amdhsa_exception_fp_ieee_div_zero 0
		.amdhsa_exception_fp_ieee_overflow 0
		.amdhsa_exception_fp_ieee_underflow 0
		.amdhsa_exception_fp_ieee_inexact 0
		.amdhsa_exception_int_div_zero 0
	.end_amdhsa_kernel
	.section	.text._ZN7rocprim17ROCPRIM_400000_NS6detail17trampoline_kernelINS0_14default_configENS1_38merge_sort_block_merge_config_selectorIyNS0_10empty_typeEEEZZNS1_27merge_sort_block_merge_implIS3_PyPS5_jNS1_19radix_merge_compareILb0ELb0EyNS0_19identity_decomposerEEEEE10hipError_tT0_T1_T2_jT3_P12ihipStream_tbPNSt15iterator_traitsISE_E10value_typeEPNSK_ISF_E10value_typeEPSG_NS1_7vsmem_tEENKUlT_SE_SF_SG_E_clIS8_S8_S9_S9_EESD_ST_SE_SF_SG_EUlST_E_NS1_11comp_targetILNS1_3genE10ELNS1_11target_archE1201ELNS1_3gpuE5ELNS1_3repE0EEENS1_48merge_mergepath_partition_config_static_selectorELNS0_4arch9wavefront6targetE1EEEvSF_,"axG",@progbits,_ZN7rocprim17ROCPRIM_400000_NS6detail17trampoline_kernelINS0_14default_configENS1_38merge_sort_block_merge_config_selectorIyNS0_10empty_typeEEEZZNS1_27merge_sort_block_merge_implIS3_PyPS5_jNS1_19radix_merge_compareILb0ELb0EyNS0_19identity_decomposerEEEEE10hipError_tT0_T1_T2_jT3_P12ihipStream_tbPNSt15iterator_traitsISE_E10value_typeEPNSK_ISF_E10value_typeEPSG_NS1_7vsmem_tEENKUlT_SE_SF_SG_E_clIS8_S8_S9_S9_EESD_ST_SE_SF_SG_EUlST_E_NS1_11comp_targetILNS1_3genE10ELNS1_11target_archE1201ELNS1_3gpuE5ELNS1_3repE0EEENS1_48merge_mergepath_partition_config_static_selectorELNS0_4arch9wavefront6targetE1EEEvSF_,comdat
.Lfunc_end1127:
	.size	_ZN7rocprim17ROCPRIM_400000_NS6detail17trampoline_kernelINS0_14default_configENS1_38merge_sort_block_merge_config_selectorIyNS0_10empty_typeEEEZZNS1_27merge_sort_block_merge_implIS3_PyPS5_jNS1_19radix_merge_compareILb0ELb0EyNS0_19identity_decomposerEEEEE10hipError_tT0_T1_T2_jT3_P12ihipStream_tbPNSt15iterator_traitsISE_E10value_typeEPNSK_ISF_E10value_typeEPSG_NS1_7vsmem_tEENKUlT_SE_SF_SG_E_clIS8_S8_S9_S9_EESD_ST_SE_SF_SG_EUlST_E_NS1_11comp_targetILNS1_3genE10ELNS1_11target_archE1201ELNS1_3gpuE5ELNS1_3repE0EEENS1_48merge_mergepath_partition_config_static_selectorELNS0_4arch9wavefront6targetE1EEEvSF_, .Lfunc_end1127-_ZN7rocprim17ROCPRIM_400000_NS6detail17trampoline_kernelINS0_14default_configENS1_38merge_sort_block_merge_config_selectorIyNS0_10empty_typeEEEZZNS1_27merge_sort_block_merge_implIS3_PyPS5_jNS1_19radix_merge_compareILb0ELb0EyNS0_19identity_decomposerEEEEE10hipError_tT0_T1_T2_jT3_P12ihipStream_tbPNSt15iterator_traitsISE_E10value_typeEPNSK_ISF_E10value_typeEPSG_NS1_7vsmem_tEENKUlT_SE_SF_SG_E_clIS8_S8_S9_S9_EESD_ST_SE_SF_SG_EUlST_E_NS1_11comp_targetILNS1_3genE10ELNS1_11target_archE1201ELNS1_3gpuE5ELNS1_3repE0EEENS1_48merge_mergepath_partition_config_static_selectorELNS0_4arch9wavefront6targetE1EEEvSF_
                                        ; -- End function
	.section	.AMDGPU.csdata,"",@progbits
; Kernel info:
; codeLenInByte = 0
; NumSgprs: 4
; NumVgprs: 0
; NumAgprs: 0
; TotalNumVgprs: 0
; ScratchSize: 0
; MemoryBound: 0
; FloatMode: 240
; IeeeMode: 1
; LDSByteSize: 0 bytes/workgroup (compile time only)
; SGPRBlocks: 0
; VGPRBlocks: 0
; NumSGPRsForWavesPerEU: 4
; NumVGPRsForWavesPerEU: 1
; AccumOffset: 4
; Occupancy: 8
; WaveLimiterHint : 0
; COMPUTE_PGM_RSRC2:SCRATCH_EN: 0
; COMPUTE_PGM_RSRC2:USER_SGPR: 6
; COMPUTE_PGM_RSRC2:TRAP_HANDLER: 0
; COMPUTE_PGM_RSRC2:TGID_X_EN: 1
; COMPUTE_PGM_RSRC2:TGID_Y_EN: 0
; COMPUTE_PGM_RSRC2:TGID_Z_EN: 0
; COMPUTE_PGM_RSRC2:TIDIG_COMP_CNT: 0
; COMPUTE_PGM_RSRC3_GFX90A:ACCUM_OFFSET: 0
; COMPUTE_PGM_RSRC3_GFX90A:TG_SPLIT: 0
	.section	.text._ZN7rocprim17ROCPRIM_400000_NS6detail17trampoline_kernelINS0_14default_configENS1_38merge_sort_block_merge_config_selectorIyNS0_10empty_typeEEEZZNS1_27merge_sort_block_merge_implIS3_PyPS5_jNS1_19radix_merge_compareILb0ELb0EyNS0_19identity_decomposerEEEEE10hipError_tT0_T1_T2_jT3_P12ihipStream_tbPNSt15iterator_traitsISE_E10value_typeEPNSK_ISF_E10value_typeEPSG_NS1_7vsmem_tEENKUlT_SE_SF_SG_E_clIS8_S8_S9_S9_EESD_ST_SE_SF_SG_EUlST_E_NS1_11comp_targetILNS1_3genE5ELNS1_11target_archE942ELNS1_3gpuE9ELNS1_3repE0EEENS1_48merge_mergepath_partition_config_static_selectorELNS0_4arch9wavefront6targetE1EEEvSF_,"axG",@progbits,_ZN7rocprim17ROCPRIM_400000_NS6detail17trampoline_kernelINS0_14default_configENS1_38merge_sort_block_merge_config_selectorIyNS0_10empty_typeEEEZZNS1_27merge_sort_block_merge_implIS3_PyPS5_jNS1_19radix_merge_compareILb0ELb0EyNS0_19identity_decomposerEEEEE10hipError_tT0_T1_T2_jT3_P12ihipStream_tbPNSt15iterator_traitsISE_E10value_typeEPNSK_ISF_E10value_typeEPSG_NS1_7vsmem_tEENKUlT_SE_SF_SG_E_clIS8_S8_S9_S9_EESD_ST_SE_SF_SG_EUlST_E_NS1_11comp_targetILNS1_3genE5ELNS1_11target_archE942ELNS1_3gpuE9ELNS1_3repE0EEENS1_48merge_mergepath_partition_config_static_selectorELNS0_4arch9wavefront6targetE1EEEvSF_,comdat
	.protected	_ZN7rocprim17ROCPRIM_400000_NS6detail17trampoline_kernelINS0_14default_configENS1_38merge_sort_block_merge_config_selectorIyNS0_10empty_typeEEEZZNS1_27merge_sort_block_merge_implIS3_PyPS5_jNS1_19radix_merge_compareILb0ELb0EyNS0_19identity_decomposerEEEEE10hipError_tT0_T1_T2_jT3_P12ihipStream_tbPNSt15iterator_traitsISE_E10value_typeEPNSK_ISF_E10value_typeEPSG_NS1_7vsmem_tEENKUlT_SE_SF_SG_E_clIS8_S8_S9_S9_EESD_ST_SE_SF_SG_EUlST_E_NS1_11comp_targetILNS1_3genE5ELNS1_11target_archE942ELNS1_3gpuE9ELNS1_3repE0EEENS1_48merge_mergepath_partition_config_static_selectorELNS0_4arch9wavefront6targetE1EEEvSF_ ; -- Begin function _ZN7rocprim17ROCPRIM_400000_NS6detail17trampoline_kernelINS0_14default_configENS1_38merge_sort_block_merge_config_selectorIyNS0_10empty_typeEEEZZNS1_27merge_sort_block_merge_implIS3_PyPS5_jNS1_19radix_merge_compareILb0ELb0EyNS0_19identity_decomposerEEEEE10hipError_tT0_T1_T2_jT3_P12ihipStream_tbPNSt15iterator_traitsISE_E10value_typeEPNSK_ISF_E10value_typeEPSG_NS1_7vsmem_tEENKUlT_SE_SF_SG_E_clIS8_S8_S9_S9_EESD_ST_SE_SF_SG_EUlST_E_NS1_11comp_targetILNS1_3genE5ELNS1_11target_archE942ELNS1_3gpuE9ELNS1_3repE0EEENS1_48merge_mergepath_partition_config_static_selectorELNS0_4arch9wavefront6targetE1EEEvSF_
	.globl	_ZN7rocprim17ROCPRIM_400000_NS6detail17trampoline_kernelINS0_14default_configENS1_38merge_sort_block_merge_config_selectorIyNS0_10empty_typeEEEZZNS1_27merge_sort_block_merge_implIS3_PyPS5_jNS1_19radix_merge_compareILb0ELb0EyNS0_19identity_decomposerEEEEE10hipError_tT0_T1_T2_jT3_P12ihipStream_tbPNSt15iterator_traitsISE_E10value_typeEPNSK_ISF_E10value_typeEPSG_NS1_7vsmem_tEENKUlT_SE_SF_SG_E_clIS8_S8_S9_S9_EESD_ST_SE_SF_SG_EUlST_E_NS1_11comp_targetILNS1_3genE5ELNS1_11target_archE942ELNS1_3gpuE9ELNS1_3repE0EEENS1_48merge_mergepath_partition_config_static_selectorELNS0_4arch9wavefront6targetE1EEEvSF_
	.p2align	8
	.type	_ZN7rocprim17ROCPRIM_400000_NS6detail17trampoline_kernelINS0_14default_configENS1_38merge_sort_block_merge_config_selectorIyNS0_10empty_typeEEEZZNS1_27merge_sort_block_merge_implIS3_PyPS5_jNS1_19radix_merge_compareILb0ELb0EyNS0_19identity_decomposerEEEEE10hipError_tT0_T1_T2_jT3_P12ihipStream_tbPNSt15iterator_traitsISE_E10value_typeEPNSK_ISF_E10value_typeEPSG_NS1_7vsmem_tEENKUlT_SE_SF_SG_E_clIS8_S8_S9_S9_EESD_ST_SE_SF_SG_EUlST_E_NS1_11comp_targetILNS1_3genE5ELNS1_11target_archE942ELNS1_3gpuE9ELNS1_3repE0EEENS1_48merge_mergepath_partition_config_static_selectorELNS0_4arch9wavefront6targetE1EEEvSF_,@function
_ZN7rocprim17ROCPRIM_400000_NS6detail17trampoline_kernelINS0_14default_configENS1_38merge_sort_block_merge_config_selectorIyNS0_10empty_typeEEEZZNS1_27merge_sort_block_merge_implIS3_PyPS5_jNS1_19radix_merge_compareILb0ELb0EyNS0_19identity_decomposerEEEEE10hipError_tT0_T1_T2_jT3_P12ihipStream_tbPNSt15iterator_traitsISE_E10value_typeEPNSK_ISF_E10value_typeEPSG_NS1_7vsmem_tEENKUlT_SE_SF_SG_E_clIS8_S8_S9_S9_EESD_ST_SE_SF_SG_EUlST_E_NS1_11comp_targetILNS1_3genE5ELNS1_11target_archE942ELNS1_3gpuE9ELNS1_3repE0EEENS1_48merge_mergepath_partition_config_static_selectorELNS0_4arch9wavefront6targetE1EEEvSF_: ; @_ZN7rocprim17ROCPRIM_400000_NS6detail17trampoline_kernelINS0_14default_configENS1_38merge_sort_block_merge_config_selectorIyNS0_10empty_typeEEEZZNS1_27merge_sort_block_merge_implIS3_PyPS5_jNS1_19radix_merge_compareILb0ELb0EyNS0_19identity_decomposerEEEEE10hipError_tT0_T1_T2_jT3_P12ihipStream_tbPNSt15iterator_traitsISE_E10value_typeEPNSK_ISF_E10value_typeEPSG_NS1_7vsmem_tEENKUlT_SE_SF_SG_E_clIS8_S8_S9_S9_EESD_ST_SE_SF_SG_EUlST_E_NS1_11comp_targetILNS1_3genE5ELNS1_11target_archE942ELNS1_3gpuE9ELNS1_3repE0EEENS1_48merge_mergepath_partition_config_static_selectorELNS0_4arch9wavefront6targetE1EEEvSF_
; %bb.0:
	.section	.rodata,"a",@progbits
	.p2align	6, 0x0
	.amdhsa_kernel _ZN7rocprim17ROCPRIM_400000_NS6detail17trampoline_kernelINS0_14default_configENS1_38merge_sort_block_merge_config_selectorIyNS0_10empty_typeEEEZZNS1_27merge_sort_block_merge_implIS3_PyPS5_jNS1_19radix_merge_compareILb0ELb0EyNS0_19identity_decomposerEEEEE10hipError_tT0_T1_T2_jT3_P12ihipStream_tbPNSt15iterator_traitsISE_E10value_typeEPNSK_ISF_E10value_typeEPSG_NS1_7vsmem_tEENKUlT_SE_SF_SG_E_clIS8_S8_S9_S9_EESD_ST_SE_SF_SG_EUlST_E_NS1_11comp_targetILNS1_3genE5ELNS1_11target_archE942ELNS1_3gpuE9ELNS1_3repE0EEENS1_48merge_mergepath_partition_config_static_selectorELNS0_4arch9wavefront6targetE1EEEvSF_
		.amdhsa_group_segment_fixed_size 0
		.amdhsa_private_segment_fixed_size 0
		.amdhsa_kernarg_size 40
		.amdhsa_user_sgpr_count 6
		.amdhsa_user_sgpr_private_segment_buffer 1
		.amdhsa_user_sgpr_dispatch_ptr 0
		.amdhsa_user_sgpr_queue_ptr 0
		.amdhsa_user_sgpr_kernarg_segment_ptr 1
		.amdhsa_user_sgpr_dispatch_id 0
		.amdhsa_user_sgpr_flat_scratch_init 0
		.amdhsa_user_sgpr_kernarg_preload_length 0
		.amdhsa_user_sgpr_kernarg_preload_offset 0
		.amdhsa_user_sgpr_private_segment_size 0
		.amdhsa_uses_dynamic_stack 0
		.amdhsa_system_sgpr_private_segment_wavefront_offset 0
		.amdhsa_system_sgpr_workgroup_id_x 1
		.amdhsa_system_sgpr_workgroup_id_y 0
		.amdhsa_system_sgpr_workgroup_id_z 0
		.amdhsa_system_sgpr_workgroup_info 0
		.amdhsa_system_vgpr_workitem_id 0
		.amdhsa_next_free_vgpr 1
		.amdhsa_next_free_sgpr 0
		.amdhsa_accum_offset 4
		.amdhsa_reserve_vcc 0
		.amdhsa_reserve_flat_scratch 0
		.amdhsa_float_round_mode_32 0
		.amdhsa_float_round_mode_16_64 0
		.amdhsa_float_denorm_mode_32 3
		.amdhsa_float_denorm_mode_16_64 3
		.amdhsa_dx10_clamp 1
		.amdhsa_ieee_mode 1
		.amdhsa_fp16_overflow 0
		.amdhsa_tg_split 0
		.amdhsa_exception_fp_ieee_invalid_op 0
		.amdhsa_exception_fp_denorm_src 0
		.amdhsa_exception_fp_ieee_div_zero 0
		.amdhsa_exception_fp_ieee_overflow 0
		.amdhsa_exception_fp_ieee_underflow 0
		.amdhsa_exception_fp_ieee_inexact 0
		.amdhsa_exception_int_div_zero 0
	.end_amdhsa_kernel
	.section	.text._ZN7rocprim17ROCPRIM_400000_NS6detail17trampoline_kernelINS0_14default_configENS1_38merge_sort_block_merge_config_selectorIyNS0_10empty_typeEEEZZNS1_27merge_sort_block_merge_implIS3_PyPS5_jNS1_19radix_merge_compareILb0ELb0EyNS0_19identity_decomposerEEEEE10hipError_tT0_T1_T2_jT3_P12ihipStream_tbPNSt15iterator_traitsISE_E10value_typeEPNSK_ISF_E10value_typeEPSG_NS1_7vsmem_tEENKUlT_SE_SF_SG_E_clIS8_S8_S9_S9_EESD_ST_SE_SF_SG_EUlST_E_NS1_11comp_targetILNS1_3genE5ELNS1_11target_archE942ELNS1_3gpuE9ELNS1_3repE0EEENS1_48merge_mergepath_partition_config_static_selectorELNS0_4arch9wavefront6targetE1EEEvSF_,"axG",@progbits,_ZN7rocprim17ROCPRIM_400000_NS6detail17trampoline_kernelINS0_14default_configENS1_38merge_sort_block_merge_config_selectorIyNS0_10empty_typeEEEZZNS1_27merge_sort_block_merge_implIS3_PyPS5_jNS1_19radix_merge_compareILb0ELb0EyNS0_19identity_decomposerEEEEE10hipError_tT0_T1_T2_jT3_P12ihipStream_tbPNSt15iterator_traitsISE_E10value_typeEPNSK_ISF_E10value_typeEPSG_NS1_7vsmem_tEENKUlT_SE_SF_SG_E_clIS8_S8_S9_S9_EESD_ST_SE_SF_SG_EUlST_E_NS1_11comp_targetILNS1_3genE5ELNS1_11target_archE942ELNS1_3gpuE9ELNS1_3repE0EEENS1_48merge_mergepath_partition_config_static_selectorELNS0_4arch9wavefront6targetE1EEEvSF_,comdat
.Lfunc_end1128:
	.size	_ZN7rocprim17ROCPRIM_400000_NS6detail17trampoline_kernelINS0_14default_configENS1_38merge_sort_block_merge_config_selectorIyNS0_10empty_typeEEEZZNS1_27merge_sort_block_merge_implIS3_PyPS5_jNS1_19radix_merge_compareILb0ELb0EyNS0_19identity_decomposerEEEEE10hipError_tT0_T1_T2_jT3_P12ihipStream_tbPNSt15iterator_traitsISE_E10value_typeEPNSK_ISF_E10value_typeEPSG_NS1_7vsmem_tEENKUlT_SE_SF_SG_E_clIS8_S8_S9_S9_EESD_ST_SE_SF_SG_EUlST_E_NS1_11comp_targetILNS1_3genE5ELNS1_11target_archE942ELNS1_3gpuE9ELNS1_3repE0EEENS1_48merge_mergepath_partition_config_static_selectorELNS0_4arch9wavefront6targetE1EEEvSF_, .Lfunc_end1128-_ZN7rocprim17ROCPRIM_400000_NS6detail17trampoline_kernelINS0_14default_configENS1_38merge_sort_block_merge_config_selectorIyNS0_10empty_typeEEEZZNS1_27merge_sort_block_merge_implIS3_PyPS5_jNS1_19radix_merge_compareILb0ELb0EyNS0_19identity_decomposerEEEEE10hipError_tT0_T1_T2_jT3_P12ihipStream_tbPNSt15iterator_traitsISE_E10value_typeEPNSK_ISF_E10value_typeEPSG_NS1_7vsmem_tEENKUlT_SE_SF_SG_E_clIS8_S8_S9_S9_EESD_ST_SE_SF_SG_EUlST_E_NS1_11comp_targetILNS1_3genE5ELNS1_11target_archE942ELNS1_3gpuE9ELNS1_3repE0EEENS1_48merge_mergepath_partition_config_static_selectorELNS0_4arch9wavefront6targetE1EEEvSF_
                                        ; -- End function
	.section	.AMDGPU.csdata,"",@progbits
; Kernel info:
; codeLenInByte = 0
; NumSgprs: 4
; NumVgprs: 0
; NumAgprs: 0
; TotalNumVgprs: 0
; ScratchSize: 0
; MemoryBound: 0
; FloatMode: 240
; IeeeMode: 1
; LDSByteSize: 0 bytes/workgroup (compile time only)
; SGPRBlocks: 0
; VGPRBlocks: 0
; NumSGPRsForWavesPerEU: 4
; NumVGPRsForWavesPerEU: 1
; AccumOffset: 4
; Occupancy: 8
; WaveLimiterHint : 0
; COMPUTE_PGM_RSRC2:SCRATCH_EN: 0
; COMPUTE_PGM_RSRC2:USER_SGPR: 6
; COMPUTE_PGM_RSRC2:TRAP_HANDLER: 0
; COMPUTE_PGM_RSRC2:TGID_X_EN: 1
; COMPUTE_PGM_RSRC2:TGID_Y_EN: 0
; COMPUTE_PGM_RSRC2:TGID_Z_EN: 0
; COMPUTE_PGM_RSRC2:TIDIG_COMP_CNT: 0
; COMPUTE_PGM_RSRC3_GFX90A:ACCUM_OFFSET: 0
; COMPUTE_PGM_RSRC3_GFX90A:TG_SPLIT: 0
	.section	.text._ZN7rocprim17ROCPRIM_400000_NS6detail17trampoline_kernelINS0_14default_configENS1_38merge_sort_block_merge_config_selectorIyNS0_10empty_typeEEEZZNS1_27merge_sort_block_merge_implIS3_PyPS5_jNS1_19radix_merge_compareILb0ELb0EyNS0_19identity_decomposerEEEEE10hipError_tT0_T1_T2_jT3_P12ihipStream_tbPNSt15iterator_traitsISE_E10value_typeEPNSK_ISF_E10value_typeEPSG_NS1_7vsmem_tEENKUlT_SE_SF_SG_E_clIS8_S8_S9_S9_EESD_ST_SE_SF_SG_EUlST_E_NS1_11comp_targetILNS1_3genE4ELNS1_11target_archE910ELNS1_3gpuE8ELNS1_3repE0EEENS1_48merge_mergepath_partition_config_static_selectorELNS0_4arch9wavefront6targetE1EEEvSF_,"axG",@progbits,_ZN7rocprim17ROCPRIM_400000_NS6detail17trampoline_kernelINS0_14default_configENS1_38merge_sort_block_merge_config_selectorIyNS0_10empty_typeEEEZZNS1_27merge_sort_block_merge_implIS3_PyPS5_jNS1_19radix_merge_compareILb0ELb0EyNS0_19identity_decomposerEEEEE10hipError_tT0_T1_T2_jT3_P12ihipStream_tbPNSt15iterator_traitsISE_E10value_typeEPNSK_ISF_E10value_typeEPSG_NS1_7vsmem_tEENKUlT_SE_SF_SG_E_clIS8_S8_S9_S9_EESD_ST_SE_SF_SG_EUlST_E_NS1_11comp_targetILNS1_3genE4ELNS1_11target_archE910ELNS1_3gpuE8ELNS1_3repE0EEENS1_48merge_mergepath_partition_config_static_selectorELNS0_4arch9wavefront6targetE1EEEvSF_,comdat
	.protected	_ZN7rocprim17ROCPRIM_400000_NS6detail17trampoline_kernelINS0_14default_configENS1_38merge_sort_block_merge_config_selectorIyNS0_10empty_typeEEEZZNS1_27merge_sort_block_merge_implIS3_PyPS5_jNS1_19radix_merge_compareILb0ELb0EyNS0_19identity_decomposerEEEEE10hipError_tT0_T1_T2_jT3_P12ihipStream_tbPNSt15iterator_traitsISE_E10value_typeEPNSK_ISF_E10value_typeEPSG_NS1_7vsmem_tEENKUlT_SE_SF_SG_E_clIS8_S8_S9_S9_EESD_ST_SE_SF_SG_EUlST_E_NS1_11comp_targetILNS1_3genE4ELNS1_11target_archE910ELNS1_3gpuE8ELNS1_3repE0EEENS1_48merge_mergepath_partition_config_static_selectorELNS0_4arch9wavefront6targetE1EEEvSF_ ; -- Begin function _ZN7rocprim17ROCPRIM_400000_NS6detail17trampoline_kernelINS0_14default_configENS1_38merge_sort_block_merge_config_selectorIyNS0_10empty_typeEEEZZNS1_27merge_sort_block_merge_implIS3_PyPS5_jNS1_19radix_merge_compareILb0ELb0EyNS0_19identity_decomposerEEEEE10hipError_tT0_T1_T2_jT3_P12ihipStream_tbPNSt15iterator_traitsISE_E10value_typeEPNSK_ISF_E10value_typeEPSG_NS1_7vsmem_tEENKUlT_SE_SF_SG_E_clIS8_S8_S9_S9_EESD_ST_SE_SF_SG_EUlST_E_NS1_11comp_targetILNS1_3genE4ELNS1_11target_archE910ELNS1_3gpuE8ELNS1_3repE0EEENS1_48merge_mergepath_partition_config_static_selectorELNS0_4arch9wavefront6targetE1EEEvSF_
	.globl	_ZN7rocprim17ROCPRIM_400000_NS6detail17trampoline_kernelINS0_14default_configENS1_38merge_sort_block_merge_config_selectorIyNS0_10empty_typeEEEZZNS1_27merge_sort_block_merge_implIS3_PyPS5_jNS1_19radix_merge_compareILb0ELb0EyNS0_19identity_decomposerEEEEE10hipError_tT0_T1_T2_jT3_P12ihipStream_tbPNSt15iterator_traitsISE_E10value_typeEPNSK_ISF_E10value_typeEPSG_NS1_7vsmem_tEENKUlT_SE_SF_SG_E_clIS8_S8_S9_S9_EESD_ST_SE_SF_SG_EUlST_E_NS1_11comp_targetILNS1_3genE4ELNS1_11target_archE910ELNS1_3gpuE8ELNS1_3repE0EEENS1_48merge_mergepath_partition_config_static_selectorELNS0_4arch9wavefront6targetE1EEEvSF_
	.p2align	8
	.type	_ZN7rocprim17ROCPRIM_400000_NS6detail17trampoline_kernelINS0_14default_configENS1_38merge_sort_block_merge_config_selectorIyNS0_10empty_typeEEEZZNS1_27merge_sort_block_merge_implIS3_PyPS5_jNS1_19radix_merge_compareILb0ELb0EyNS0_19identity_decomposerEEEEE10hipError_tT0_T1_T2_jT3_P12ihipStream_tbPNSt15iterator_traitsISE_E10value_typeEPNSK_ISF_E10value_typeEPSG_NS1_7vsmem_tEENKUlT_SE_SF_SG_E_clIS8_S8_S9_S9_EESD_ST_SE_SF_SG_EUlST_E_NS1_11comp_targetILNS1_3genE4ELNS1_11target_archE910ELNS1_3gpuE8ELNS1_3repE0EEENS1_48merge_mergepath_partition_config_static_selectorELNS0_4arch9wavefront6targetE1EEEvSF_,@function
_ZN7rocprim17ROCPRIM_400000_NS6detail17trampoline_kernelINS0_14default_configENS1_38merge_sort_block_merge_config_selectorIyNS0_10empty_typeEEEZZNS1_27merge_sort_block_merge_implIS3_PyPS5_jNS1_19radix_merge_compareILb0ELb0EyNS0_19identity_decomposerEEEEE10hipError_tT0_T1_T2_jT3_P12ihipStream_tbPNSt15iterator_traitsISE_E10value_typeEPNSK_ISF_E10value_typeEPSG_NS1_7vsmem_tEENKUlT_SE_SF_SG_E_clIS8_S8_S9_S9_EESD_ST_SE_SF_SG_EUlST_E_NS1_11comp_targetILNS1_3genE4ELNS1_11target_archE910ELNS1_3gpuE8ELNS1_3repE0EEENS1_48merge_mergepath_partition_config_static_selectorELNS0_4arch9wavefront6targetE1EEEvSF_: ; @_ZN7rocprim17ROCPRIM_400000_NS6detail17trampoline_kernelINS0_14default_configENS1_38merge_sort_block_merge_config_selectorIyNS0_10empty_typeEEEZZNS1_27merge_sort_block_merge_implIS3_PyPS5_jNS1_19radix_merge_compareILb0ELb0EyNS0_19identity_decomposerEEEEE10hipError_tT0_T1_T2_jT3_P12ihipStream_tbPNSt15iterator_traitsISE_E10value_typeEPNSK_ISF_E10value_typeEPSG_NS1_7vsmem_tEENKUlT_SE_SF_SG_E_clIS8_S8_S9_S9_EESD_ST_SE_SF_SG_EUlST_E_NS1_11comp_targetILNS1_3genE4ELNS1_11target_archE910ELNS1_3gpuE8ELNS1_3repE0EEENS1_48merge_mergepath_partition_config_static_selectorELNS0_4arch9wavefront6targetE1EEEvSF_
; %bb.0:
	s_load_dword s0, s[4:5], 0x0
	v_lshl_or_b32 v0, s6, 7, v0
	s_waitcnt lgkmcnt(0)
	v_cmp_gt_u32_e32 vcc, s0, v0
	s_and_saveexec_b64 s[0:1], vcc
	s_cbranch_execz .LBB1129_6
; %bb.1:
	s_load_dwordx2 s[2:3], s[4:5], 0x4
	s_load_dwordx2 s[0:1], s[4:5], 0x20
	s_waitcnt lgkmcnt(0)
	s_lshr_b32 s6, s2, 9
	s_and_b32 s6, s6, 0x7ffffe
	s_add_i32 s7, s6, -1
	s_sub_i32 s6, 0, s6
	v_and_b32_e32 v1, s6, v0
	v_lshlrev_b32_e32 v1, 10, v1
	v_min_u32_e32 v2, s3, v1
	v_add_u32_e32 v1, s2, v1
	v_min_u32_e32 v4, s3, v1
	v_add_u32_e32 v1, s2, v4
	v_and_b32_e32 v3, s7, v0
	v_min_u32_e32 v1, s3, v1
	v_sub_u32_e32 v5, v1, v2
	v_lshlrev_b32_e32 v3, 10, v3
	v_min_u32_e32 v6, v5, v3
	v_sub_u32_e32 v3, v4, v2
	v_sub_u32_e32 v1, v1, v4
	v_sub_u32_e64 v1, v6, v1 clamp
	v_min_u32_e32 v7, v6, v3
	v_cmp_lt_u32_e32 vcc, v1, v7
	s_and_saveexec_b64 s[2:3], vcc
	s_cbranch_execz .LBB1129_5
; %bb.2:
	s_load_dwordx2 s[4:5], s[4:5], 0x10
	v_mov_b32_e32 v5, 0
	v_mov_b32_e32 v3, v5
	v_lshlrev_b64 v[8:9], 3, v[2:3]
	v_lshlrev_b64 v[10:11], 3, v[4:5]
	s_waitcnt lgkmcnt(0)
	v_mov_b32_e32 v12, s5
	v_add_co_u32_e32 v3, vcc, s4, v8
	v_addc_co_u32_e32 v8, vcc, v12, v9, vcc
	v_add_co_u32_e32 v9, vcc, s4, v10
	v_addc_co_u32_e32 v10, vcc, v12, v11, vcc
	s_mov_b64 s[4:5], 0
.LBB1129_3:                             ; =>This Inner Loop Header: Depth=1
	v_add_u32_e32 v4, v7, v1
	v_lshrrev_b32_e32 v4, 1, v4
	v_lshlrev_b64 v[14:15], 3, v[4:5]
	v_mov_b32_e32 v13, v5
	v_xad_u32 v12, v4, -1, v6
	v_add_co_u32_e32 v14, vcc, v3, v14
	v_addc_co_u32_e32 v15, vcc, v8, v15, vcc
	v_lshlrev_b64 v[12:13], 3, v[12:13]
	v_add_co_u32_e32 v12, vcc, v9, v12
	v_addc_co_u32_e32 v13, vcc, v10, v13, vcc
	global_load_dwordx2 v[16:17], v[14:15], off
	global_load_dwordx2 v[18:19], v[12:13], off
	v_add_u32_e32 v11, 1, v4
	s_waitcnt vmcnt(0)
	v_cmp_gt_u64_e32 vcc, v[16:17], v[18:19]
	v_cndmask_b32_e32 v7, v7, v4, vcc
	v_cndmask_b32_e32 v1, v11, v1, vcc
	v_cmp_ge_u32_e32 vcc, v1, v7
	s_or_b64 s[4:5], vcc, s[4:5]
	s_andn2_b64 exec, exec, s[4:5]
	s_cbranch_execnz .LBB1129_3
; %bb.4:
	s_or_b64 exec, exec, s[4:5]
.LBB1129_5:
	s_or_b64 exec, exec, s[2:3]
	v_add_u32_e32 v2, v1, v2
	v_mov_b32_e32 v1, 0
	v_lshlrev_b64 v[0:1], 2, v[0:1]
	v_mov_b32_e32 v3, s1
	v_add_co_u32_e32 v0, vcc, s0, v0
	v_addc_co_u32_e32 v1, vcc, v3, v1, vcc
	global_store_dword v[0:1], v2, off
.LBB1129_6:
	s_endpgm
	.section	.rodata,"a",@progbits
	.p2align	6, 0x0
	.amdhsa_kernel _ZN7rocprim17ROCPRIM_400000_NS6detail17trampoline_kernelINS0_14default_configENS1_38merge_sort_block_merge_config_selectorIyNS0_10empty_typeEEEZZNS1_27merge_sort_block_merge_implIS3_PyPS5_jNS1_19radix_merge_compareILb0ELb0EyNS0_19identity_decomposerEEEEE10hipError_tT0_T1_T2_jT3_P12ihipStream_tbPNSt15iterator_traitsISE_E10value_typeEPNSK_ISF_E10value_typeEPSG_NS1_7vsmem_tEENKUlT_SE_SF_SG_E_clIS8_S8_S9_S9_EESD_ST_SE_SF_SG_EUlST_E_NS1_11comp_targetILNS1_3genE4ELNS1_11target_archE910ELNS1_3gpuE8ELNS1_3repE0EEENS1_48merge_mergepath_partition_config_static_selectorELNS0_4arch9wavefront6targetE1EEEvSF_
		.amdhsa_group_segment_fixed_size 0
		.amdhsa_private_segment_fixed_size 0
		.amdhsa_kernarg_size 40
		.amdhsa_user_sgpr_count 6
		.amdhsa_user_sgpr_private_segment_buffer 1
		.amdhsa_user_sgpr_dispatch_ptr 0
		.amdhsa_user_sgpr_queue_ptr 0
		.amdhsa_user_sgpr_kernarg_segment_ptr 1
		.amdhsa_user_sgpr_dispatch_id 0
		.amdhsa_user_sgpr_flat_scratch_init 0
		.amdhsa_user_sgpr_kernarg_preload_length 0
		.amdhsa_user_sgpr_kernarg_preload_offset 0
		.amdhsa_user_sgpr_private_segment_size 0
		.amdhsa_uses_dynamic_stack 0
		.amdhsa_system_sgpr_private_segment_wavefront_offset 0
		.amdhsa_system_sgpr_workgroup_id_x 1
		.amdhsa_system_sgpr_workgroup_id_y 0
		.amdhsa_system_sgpr_workgroup_id_z 0
		.amdhsa_system_sgpr_workgroup_info 0
		.amdhsa_system_vgpr_workitem_id 0
		.amdhsa_next_free_vgpr 20
		.amdhsa_next_free_sgpr 8
		.amdhsa_accum_offset 20
		.amdhsa_reserve_vcc 1
		.amdhsa_reserve_flat_scratch 0
		.amdhsa_float_round_mode_32 0
		.amdhsa_float_round_mode_16_64 0
		.amdhsa_float_denorm_mode_32 3
		.amdhsa_float_denorm_mode_16_64 3
		.amdhsa_dx10_clamp 1
		.amdhsa_ieee_mode 1
		.amdhsa_fp16_overflow 0
		.amdhsa_tg_split 0
		.amdhsa_exception_fp_ieee_invalid_op 0
		.amdhsa_exception_fp_denorm_src 0
		.amdhsa_exception_fp_ieee_div_zero 0
		.amdhsa_exception_fp_ieee_overflow 0
		.amdhsa_exception_fp_ieee_underflow 0
		.amdhsa_exception_fp_ieee_inexact 0
		.amdhsa_exception_int_div_zero 0
	.end_amdhsa_kernel
	.section	.text._ZN7rocprim17ROCPRIM_400000_NS6detail17trampoline_kernelINS0_14default_configENS1_38merge_sort_block_merge_config_selectorIyNS0_10empty_typeEEEZZNS1_27merge_sort_block_merge_implIS3_PyPS5_jNS1_19radix_merge_compareILb0ELb0EyNS0_19identity_decomposerEEEEE10hipError_tT0_T1_T2_jT3_P12ihipStream_tbPNSt15iterator_traitsISE_E10value_typeEPNSK_ISF_E10value_typeEPSG_NS1_7vsmem_tEENKUlT_SE_SF_SG_E_clIS8_S8_S9_S9_EESD_ST_SE_SF_SG_EUlST_E_NS1_11comp_targetILNS1_3genE4ELNS1_11target_archE910ELNS1_3gpuE8ELNS1_3repE0EEENS1_48merge_mergepath_partition_config_static_selectorELNS0_4arch9wavefront6targetE1EEEvSF_,"axG",@progbits,_ZN7rocprim17ROCPRIM_400000_NS6detail17trampoline_kernelINS0_14default_configENS1_38merge_sort_block_merge_config_selectorIyNS0_10empty_typeEEEZZNS1_27merge_sort_block_merge_implIS3_PyPS5_jNS1_19radix_merge_compareILb0ELb0EyNS0_19identity_decomposerEEEEE10hipError_tT0_T1_T2_jT3_P12ihipStream_tbPNSt15iterator_traitsISE_E10value_typeEPNSK_ISF_E10value_typeEPSG_NS1_7vsmem_tEENKUlT_SE_SF_SG_E_clIS8_S8_S9_S9_EESD_ST_SE_SF_SG_EUlST_E_NS1_11comp_targetILNS1_3genE4ELNS1_11target_archE910ELNS1_3gpuE8ELNS1_3repE0EEENS1_48merge_mergepath_partition_config_static_selectorELNS0_4arch9wavefront6targetE1EEEvSF_,comdat
.Lfunc_end1129:
	.size	_ZN7rocprim17ROCPRIM_400000_NS6detail17trampoline_kernelINS0_14default_configENS1_38merge_sort_block_merge_config_selectorIyNS0_10empty_typeEEEZZNS1_27merge_sort_block_merge_implIS3_PyPS5_jNS1_19radix_merge_compareILb0ELb0EyNS0_19identity_decomposerEEEEE10hipError_tT0_T1_T2_jT3_P12ihipStream_tbPNSt15iterator_traitsISE_E10value_typeEPNSK_ISF_E10value_typeEPSG_NS1_7vsmem_tEENKUlT_SE_SF_SG_E_clIS8_S8_S9_S9_EESD_ST_SE_SF_SG_EUlST_E_NS1_11comp_targetILNS1_3genE4ELNS1_11target_archE910ELNS1_3gpuE8ELNS1_3repE0EEENS1_48merge_mergepath_partition_config_static_selectorELNS0_4arch9wavefront6targetE1EEEvSF_, .Lfunc_end1129-_ZN7rocprim17ROCPRIM_400000_NS6detail17trampoline_kernelINS0_14default_configENS1_38merge_sort_block_merge_config_selectorIyNS0_10empty_typeEEEZZNS1_27merge_sort_block_merge_implIS3_PyPS5_jNS1_19radix_merge_compareILb0ELb0EyNS0_19identity_decomposerEEEEE10hipError_tT0_T1_T2_jT3_P12ihipStream_tbPNSt15iterator_traitsISE_E10value_typeEPNSK_ISF_E10value_typeEPSG_NS1_7vsmem_tEENKUlT_SE_SF_SG_E_clIS8_S8_S9_S9_EESD_ST_SE_SF_SG_EUlST_E_NS1_11comp_targetILNS1_3genE4ELNS1_11target_archE910ELNS1_3gpuE8ELNS1_3repE0EEENS1_48merge_mergepath_partition_config_static_selectorELNS0_4arch9wavefront6targetE1EEEvSF_
                                        ; -- End function
	.section	.AMDGPU.csdata,"",@progbits
; Kernel info:
; codeLenInByte = 360
; NumSgprs: 12
; NumVgprs: 20
; NumAgprs: 0
; TotalNumVgprs: 20
; ScratchSize: 0
; MemoryBound: 0
; FloatMode: 240
; IeeeMode: 1
; LDSByteSize: 0 bytes/workgroup (compile time only)
; SGPRBlocks: 1
; VGPRBlocks: 2
; NumSGPRsForWavesPerEU: 12
; NumVGPRsForWavesPerEU: 20
; AccumOffset: 20
; Occupancy: 8
; WaveLimiterHint : 0
; COMPUTE_PGM_RSRC2:SCRATCH_EN: 0
; COMPUTE_PGM_RSRC2:USER_SGPR: 6
; COMPUTE_PGM_RSRC2:TRAP_HANDLER: 0
; COMPUTE_PGM_RSRC2:TGID_X_EN: 1
; COMPUTE_PGM_RSRC2:TGID_Y_EN: 0
; COMPUTE_PGM_RSRC2:TGID_Z_EN: 0
; COMPUTE_PGM_RSRC2:TIDIG_COMP_CNT: 0
; COMPUTE_PGM_RSRC3_GFX90A:ACCUM_OFFSET: 4
; COMPUTE_PGM_RSRC3_GFX90A:TG_SPLIT: 0
	.section	.text._ZN7rocprim17ROCPRIM_400000_NS6detail17trampoline_kernelINS0_14default_configENS1_38merge_sort_block_merge_config_selectorIyNS0_10empty_typeEEEZZNS1_27merge_sort_block_merge_implIS3_PyPS5_jNS1_19radix_merge_compareILb0ELb0EyNS0_19identity_decomposerEEEEE10hipError_tT0_T1_T2_jT3_P12ihipStream_tbPNSt15iterator_traitsISE_E10value_typeEPNSK_ISF_E10value_typeEPSG_NS1_7vsmem_tEENKUlT_SE_SF_SG_E_clIS8_S8_S9_S9_EESD_ST_SE_SF_SG_EUlST_E_NS1_11comp_targetILNS1_3genE3ELNS1_11target_archE908ELNS1_3gpuE7ELNS1_3repE0EEENS1_48merge_mergepath_partition_config_static_selectorELNS0_4arch9wavefront6targetE1EEEvSF_,"axG",@progbits,_ZN7rocprim17ROCPRIM_400000_NS6detail17trampoline_kernelINS0_14default_configENS1_38merge_sort_block_merge_config_selectorIyNS0_10empty_typeEEEZZNS1_27merge_sort_block_merge_implIS3_PyPS5_jNS1_19radix_merge_compareILb0ELb0EyNS0_19identity_decomposerEEEEE10hipError_tT0_T1_T2_jT3_P12ihipStream_tbPNSt15iterator_traitsISE_E10value_typeEPNSK_ISF_E10value_typeEPSG_NS1_7vsmem_tEENKUlT_SE_SF_SG_E_clIS8_S8_S9_S9_EESD_ST_SE_SF_SG_EUlST_E_NS1_11comp_targetILNS1_3genE3ELNS1_11target_archE908ELNS1_3gpuE7ELNS1_3repE0EEENS1_48merge_mergepath_partition_config_static_selectorELNS0_4arch9wavefront6targetE1EEEvSF_,comdat
	.protected	_ZN7rocprim17ROCPRIM_400000_NS6detail17trampoline_kernelINS0_14default_configENS1_38merge_sort_block_merge_config_selectorIyNS0_10empty_typeEEEZZNS1_27merge_sort_block_merge_implIS3_PyPS5_jNS1_19radix_merge_compareILb0ELb0EyNS0_19identity_decomposerEEEEE10hipError_tT0_T1_T2_jT3_P12ihipStream_tbPNSt15iterator_traitsISE_E10value_typeEPNSK_ISF_E10value_typeEPSG_NS1_7vsmem_tEENKUlT_SE_SF_SG_E_clIS8_S8_S9_S9_EESD_ST_SE_SF_SG_EUlST_E_NS1_11comp_targetILNS1_3genE3ELNS1_11target_archE908ELNS1_3gpuE7ELNS1_3repE0EEENS1_48merge_mergepath_partition_config_static_selectorELNS0_4arch9wavefront6targetE1EEEvSF_ ; -- Begin function _ZN7rocprim17ROCPRIM_400000_NS6detail17trampoline_kernelINS0_14default_configENS1_38merge_sort_block_merge_config_selectorIyNS0_10empty_typeEEEZZNS1_27merge_sort_block_merge_implIS3_PyPS5_jNS1_19radix_merge_compareILb0ELb0EyNS0_19identity_decomposerEEEEE10hipError_tT0_T1_T2_jT3_P12ihipStream_tbPNSt15iterator_traitsISE_E10value_typeEPNSK_ISF_E10value_typeEPSG_NS1_7vsmem_tEENKUlT_SE_SF_SG_E_clIS8_S8_S9_S9_EESD_ST_SE_SF_SG_EUlST_E_NS1_11comp_targetILNS1_3genE3ELNS1_11target_archE908ELNS1_3gpuE7ELNS1_3repE0EEENS1_48merge_mergepath_partition_config_static_selectorELNS0_4arch9wavefront6targetE1EEEvSF_
	.globl	_ZN7rocprim17ROCPRIM_400000_NS6detail17trampoline_kernelINS0_14default_configENS1_38merge_sort_block_merge_config_selectorIyNS0_10empty_typeEEEZZNS1_27merge_sort_block_merge_implIS3_PyPS5_jNS1_19radix_merge_compareILb0ELb0EyNS0_19identity_decomposerEEEEE10hipError_tT0_T1_T2_jT3_P12ihipStream_tbPNSt15iterator_traitsISE_E10value_typeEPNSK_ISF_E10value_typeEPSG_NS1_7vsmem_tEENKUlT_SE_SF_SG_E_clIS8_S8_S9_S9_EESD_ST_SE_SF_SG_EUlST_E_NS1_11comp_targetILNS1_3genE3ELNS1_11target_archE908ELNS1_3gpuE7ELNS1_3repE0EEENS1_48merge_mergepath_partition_config_static_selectorELNS0_4arch9wavefront6targetE1EEEvSF_
	.p2align	8
	.type	_ZN7rocprim17ROCPRIM_400000_NS6detail17trampoline_kernelINS0_14default_configENS1_38merge_sort_block_merge_config_selectorIyNS0_10empty_typeEEEZZNS1_27merge_sort_block_merge_implIS3_PyPS5_jNS1_19radix_merge_compareILb0ELb0EyNS0_19identity_decomposerEEEEE10hipError_tT0_T1_T2_jT3_P12ihipStream_tbPNSt15iterator_traitsISE_E10value_typeEPNSK_ISF_E10value_typeEPSG_NS1_7vsmem_tEENKUlT_SE_SF_SG_E_clIS8_S8_S9_S9_EESD_ST_SE_SF_SG_EUlST_E_NS1_11comp_targetILNS1_3genE3ELNS1_11target_archE908ELNS1_3gpuE7ELNS1_3repE0EEENS1_48merge_mergepath_partition_config_static_selectorELNS0_4arch9wavefront6targetE1EEEvSF_,@function
_ZN7rocprim17ROCPRIM_400000_NS6detail17trampoline_kernelINS0_14default_configENS1_38merge_sort_block_merge_config_selectorIyNS0_10empty_typeEEEZZNS1_27merge_sort_block_merge_implIS3_PyPS5_jNS1_19radix_merge_compareILb0ELb0EyNS0_19identity_decomposerEEEEE10hipError_tT0_T1_T2_jT3_P12ihipStream_tbPNSt15iterator_traitsISE_E10value_typeEPNSK_ISF_E10value_typeEPSG_NS1_7vsmem_tEENKUlT_SE_SF_SG_E_clIS8_S8_S9_S9_EESD_ST_SE_SF_SG_EUlST_E_NS1_11comp_targetILNS1_3genE3ELNS1_11target_archE908ELNS1_3gpuE7ELNS1_3repE0EEENS1_48merge_mergepath_partition_config_static_selectorELNS0_4arch9wavefront6targetE1EEEvSF_: ; @_ZN7rocprim17ROCPRIM_400000_NS6detail17trampoline_kernelINS0_14default_configENS1_38merge_sort_block_merge_config_selectorIyNS0_10empty_typeEEEZZNS1_27merge_sort_block_merge_implIS3_PyPS5_jNS1_19radix_merge_compareILb0ELb0EyNS0_19identity_decomposerEEEEE10hipError_tT0_T1_T2_jT3_P12ihipStream_tbPNSt15iterator_traitsISE_E10value_typeEPNSK_ISF_E10value_typeEPSG_NS1_7vsmem_tEENKUlT_SE_SF_SG_E_clIS8_S8_S9_S9_EESD_ST_SE_SF_SG_EUlST_E_NS1_11comp_targetILNS1_3genE3ELNS1_11target_archE908ELNS1_3gpuE7ELNS1_3repE0EEENS1_48merge_mergepath_partition_config_static_selectorELNS0_4arch9wavefront6targetE1EEEvSF_
; %bb.0:
	.section	.rodata,"a",@progbits
	.p2align	6, 0x0
	.amdhsa_kernel _ZN7rocprim17ROCPRIM_400000_NS6detail17trampoline_kernelINS0_14default_configENS1_38merge_sort_block_merge_config_selectorIyNS0_10empty_typeEEEZZNS1_27merge_sort_block_merge_implIS3_PyPS5_jNS1_19radix_merge_compareILb0ELb0EyNS0_19identity_decomposerEEEEE10hipError_tT0_T1_T2_jT3_P12ihipStream_tbPNSt15iterator_traitsISE_E10value_typeEPNSK_ISF_E10value_typeEPSG_NS1_7vsmem_tEENKUlT_SE_SF_SG_E_clIS8_S8_S9_S9_EESD_ST_SE_SF_SG_EUlST_E_NS1_11comp_targetILNS1_3genE3ELNS1_11target_archE908ELNS1_3gpuE7ELNS1_3repE0EEENS1_48merge_mergepath_partition_config_static_selectorELNS0_4arch9wavefront6targetE1EEEvSF_
		.amdhsa_group_segment_fixed_size 0
		.amdhsa_private_segment_fixed_size 0
		.amdhsa_kernarg_size 40
		.amdhsa_user_sgpr_count 6
		.amdhsa_user_sgpr_private_segment_buffer 1
		.amdhsa_user_sgpr_dispatch_ptr 0
		.amdhsa_user_sgpr_queue_ptr 0
		.amdhsa_user_sgpr_kernarg_segment_ptr 1
		.amdhsa_user_sgpr_dispatch_id 0
		.amdhsa_user_sgpr_flat_scratch_init 0
		.amdhsa_user_sgpr_kernarg_preload_length 0
		.amdhsa_user_sgpr_kernarg_preload_offset 0
		.amdhsa_user_sgpr_private_segment_size 0
		.amdhsa_uses_dynamic_stack 0
		.amdhsa_system_sgpr_private_segment_wavefront_offset 0
		.amdhsa_system_sgpr_workgroup_id_x 1
		.amdhsa_system_sgpr_workgroup_id_y 0
		.amdhsa_system_sgpr_workgroup_id_z 0
		.amdhsa_system_sgpr_workgroup_info 0
		.amdhsa_system_vgpr_workitem_id 0
		.amdhsa_next_free_vgpr 1
		.amdhsa_next_free_sgpr 0
		.amdhsa_accum_offset 4
		.amdhsa_reserve_vcc 0
		.amdhsa_reserve_flat_scratch 0
		.amdhsa_float_round_mode_32 0
		.amdhsa_float_round_mode_16_64 0
		.amdhsa_float_denorm_mode_32 3
		.amdhsa_float_denorm_mode_16_64 3
		.amdhsa_dx10_clamp 1
		.amdhsa_ieee_mode 1
		.amdhsa_fp16_overflow 0
		.amdhsa_tg_split 0
		.amdhsa_exception_fp_ieee_invalid_op 0
		.amdhsa_exception_fp_denorm_src 0
		.amdhsa_exception_fp_ieee_div_zero 0
		.amdhsa_exception_fp_ieee_overflow 0
		.amdhsa_exception_fp_ieee_underflow 0
		.amdhsa_exception_fp_ieee_inexact 0
		.amdhsa_exception_int_div_zero 0
	.end_amdhsa_kernel
	.section	.text._ZN7rocprim17ROCPRIM_400000_NS6detail17trampoline_kernelINS0_14default_configENS1_38merge_sort_block_merge_config_selectorIyNS0_10empty_typeEEEZZNS1_27merge_sort_block_merge_implIS3_PyPS5_jNS1_19radix_merge_compareILb0ELb0EyNS0_19identity_decomposerEEEEE10hipError_tT0_T1_T2_jT3_P12ihipStream_tbPNSt15iterator_traitsISE_E10value_typeEPNSK_ISF_E10value_typeEPSG_NS1_7vsmem_tEENKUlT_SE_SF_SG_E_clIS8_S8_S9_S9_EESD_ST_SE_SF_SG_EUlST_E_NS1_11comp_targetILNS1_3genE3ELNS1_11target_archE908ELNS1_3gpuE7ELNS1_3repE0EEENS1_48merge_mergepath_partition_config_static_selectorELNS0_4arch9wavefront6targetE1EEEvSF_,"axG",@progbits,_ZN7rocprim17ROCPRIM_400000_NS6detail17trampoline_kernelINS0_14default_configENS1_38merge_sort_block_merge_config_selectorIyNS0_10empty_typeEEEZZNS1_27merge_sort_block_merge_implIS3_PyPS5_jNS1_19radix_merge_compareILb0ELb0EyNS0_19identity_decomposerEEEEE10hipError_tT0_T1_T2_jT3_P12ihipStream_tbPNSt15iterator_traitsISE_E10value_typeEPNSK_ISF_E10value_typeEPSG_NS1_7vsmem_tEENKUlT_SE_SF_SG_E_clIS8_S8_S9_S9_EESD_ST_SE_SF_SG_EUlST_E_NS1_11comp_targetILNS1_3genE3ELNS1_11target_archE908ELNS1_3gpuE7ELNS1_3repE0EEENS1_48merge_mergepath_partition_config_static_selectorELNS0_4arch9wavefront6targetE1EEEvSF_,comdat
.Lfunc_end1130:
	.size	_ZN7rocprim17ROCPRIM_400000_NS6detail17trampoline_kernelINS0_14default_configENS1_38merge_sort_block_merge_config_selectorIyNS0_10empty_typeEEEZZNS1_27merge_sort_block_merge_implIS3_PyPS5_jNS1_19radix_merge_compareILb0ELb0EyNS0_19identity_decomposerEEEEE10hipError_tT0_T1_T2_jT3_P12ihipStream_tbPNSt15iterator_traitsISE_E10value_typeEPNSK_ISF_E10value_typeEPSG_NS1_7vsmem_tEENKUlT_SE_SF_SG_E_clIS8_S8_S9_S9_EESD_ST_SE_SF_SG_EUlST_E_NS1_11comp_targetILNS1_3genE3ELNS1_11target_archE908ELNS1_3gpuE7ELNS1_3repE0EEENS1_48merge_mergepath_partition_config_static_selectorELNS0_4arch9wavefront6targetE1EEEvSF_, .Lfunc_end1130-_ZN7rocprim17ROCPRIM_400000_NS6detail17trampoline_kernelINS0_14default_configENS1_38merge_sort_block_merge_config_selectorIyNS0_10empty_typeEEEZZNS1_27merge_sort_block_merge_implIS3_PyPS5_jNS1_19radix_merge_compareILb0ELb0EyNS0_19identity_decomposerEEEEE10hipError_tT0_T1_T2_jT3_P12ihipStream_tbPNSt15iterator_traitsISE_E10value_typeEPNSK_ISF_E10value_typeEPSG_NS1_7vsmem_tEENKUlT_SE_SF_SG_E_clIS8_S8_S9_S9_EESD_ST_SE_SF_SG_EUlST_E_NS1_11comp_targetILNS1_3genE3ELNS1_11target_archE908ELNS1_3gpuE7ELNS1_3repE0EEENS1_48merge_mergepath_partition_config_static_selectorELNS0_4arch9wavefront6targetE1EEEvSF_
                                        ; -- End function
	.section	.AMDGPU.csdata,"",@progbits
; Kernel info:
; codeLenInByte = 0
; NumSgprs: 4
; NumVgprs: 0
; NumAgprs: 0
; TotalNumVgprs: 0
; ScratchSize: 0
; MemoryBound: 0
; FloatMode: 240
; IeeeMode: 1
; LDSByteSize: 0 bytes/workgroup (compile time only)
; SGPRBlocks: 0
; VGPRBlocks: 0
; NumSGPRsForWavesPerEU: 4
; NumVGPRsForWavesPerEU: 1
; AccumOffset: 4
; Occupancy: 8
; WaveLimiterHint : 0
; COMPUTE_PGM_RSRC2:SCRATCH_EN: 0
; COMPUTE_PGM_RSRC2:USER_SGPR: 6
; COMPUTE_PGM_RSRC2:TRAP_HANDLER: 0
; COMPUTE_PGM_RSRC2:TGID_X_EN: 1
; COMPUTE_PGM_RSRC2:TGID_Y_EN: 0
; COMPUTE_PGM_RSRC2:TGID_Z_EN: 0
; COMPUTE_PGM_RSRC2:TIDIG_COMP_CNT: 0
; COMPUTE_PGM_RSRC3_GFX90A:ACCUM_OFFSET: 0
; COMPUTE_PGM_RSRC3_GFX90A:TG_SPLIT: 0
	.section	.text._ZN7rocprim17ROCPRIM_400000_NS6detail17trampoline_kernelINS0_14default_configENS1_38merge_sort_block_merge_config_selectorIyNS0_10empty_typeEEEZZNS1_27merge_sort_block_merge_implIS3_PyPS5_jNS1_19radix_merge_compareILb0ELb0EyNS0_19identity_decomposerEEEEE10hipError_tT0_T1_T2_jT3_P12ihipStream_tbPNSt15iterator_traitsISE_E10value_typeEPNSK_ISF_E10value_typeEPSG_NS1_7vsmem_tEENKUlT_SE_SF_SG_E_clIS8_S8_S9_S9_EESD_ST_SE_SF_SG_EUlST_E_NS1_11comp_targetILNS1_3genE2ELNS1_11target_archE906ELNS1_3gpuE6ELNS1_3repE0EEENS1_48merge_mergepath_partition_config_static_selectorELNS0_4arch9wavefront6targetE1EEEvSF_,"axG",@progbits,_ZN7rocprim17ROCPRIM_400000_NS6detail17trampoline_kernelINS0_14default_configENS1_38merge_sort_block_merge_config_selectorIyNS0_10empty_typeEEEZZNS1_27merge_sort_block_merge_implIS3_PyPS5_jNS1_19radix_merge_compareILb0ELb0EyNS0_19identity_decomposerEEEEE10hipError_tT0_T1_T2_jT3_P12ihipStream_tbPNSt15iterator_traitsISE_E10value_typeEPNSK_ISF_E10value_typeEPSG_NS1_7vsmem_tEENKUlT_SE_SF_SG_E_clIS8_S8_S9_S9_EESD_ST_SE_SF_SG_EUlST_E_NS1_11comp_targetILNS1_3genE2ELNS1_11target_archE906ELNS1_3gpuE6ELNS1_3repE0EEENS1_48merge_mergepath_partition_config_static_selectorELNS0_4arch9wavefront6targetE1EEEvSF_,comdat
	.protected	_ZN7rocprim17ROCPRIM_400000_NS6detail17trampoline_kernelINS0_14default_configENS1_38merge_sort_block_merge_config_selectorIyNS0_10empty_typeEEEZZNS1_27merge_sort_block_merge_implIS3_PyPS5_jNS1_19radix_merge_compareILb0ELb0EyNS0_19identity_decomposerEEEEE10hipError_tT0_T1_T2_jT3_P12ihipStream_tbPNSt15iterator_traitsISE_E10value_typeEPNSK_ISF_E10value_typeEPSG_NS1_7vsmem_tEENKUlT_SE_SF_SG_E_clIS8_S8_S9_S9_EESD_ST_SE_SF_SG_EUlST_E_NS1_11comp_targetILNS1_3genE2ELNS1_11target_archE906ELNS1_3gpuE6ELNS1_3repE0EEENS1_48merge_mergepath_partition_config_static_selectorELNS0_4arch9wavefront6targetE1EEEvSF_ ; -- Begin function _ZN7rocprim17ROCPRIM_400000_NS6detail17trampoline_kernelINS0_14default_configENS1_38merge_sort_block_merge_config_selectorIyNS0_10empty_typeEEEZZNS1_27merge_sort_block_merge_implIS3_PyPS5_jNS1_19radix_merge_compareILb0ELb0EyNS0_19identity_decomposerEEEEE10hipError_tT0_T1_T2_jT3_P12ihipStream_tbPNSt15iterator_traitsISE_E10value_typeEPNSK_ISF_E10value_typeEPSG_NS1_7vsmem_tEENKUlT_SE_SF_SG_E_clIS8_S8_S9_S9_EESD_ST_SE_SF_SG_EUlST_E_NS1_11comp_targetILNS1_3genE2ELNS1_11target_archE906ELNS1_3gpuE6ELNS1_3repE0EEENS1_48merge_mergepath_partition_config_static_selectorELNS0_4arch9wavefront6targetE1EEEvSF_
	.globl	_ZN7rocprim17ROCPRIM_400000_NS6detail17trampoline_kernelINS0_14default_configENS1_38merge_sort_block_merge_config_selectorIyNS0_10empty_typeEEEZZNS1_27merge_sort_block_merge_implIS3_PyPS5_jNS1_19radix_merge_compareILb0ELb0EyNS0_19identity_decomposerEEEEE10hipError_tT0_T1_T2_jT3_P12ihipStream_tbPNSt15iterator_traitsISE_E10value_typeEPNSK_ISF_E10value_typeEPSG_NS1_7vsmem_tEENKUlT_SE_SF_SG_E_clIS8_S8_S9_S9_EESD_ST_SE_SF_SG_EUlST_E_NS1_11comp_targetILNS1_3genE2ELNS1_11target_archE906ELNS1_3gpuE6ELNS1_3repE0EEENS1_48merge_mergepath_partition_config_static_selectorELNS0_4arch9wavefront6targetE1EEEvSF_
	.p2align	8
	.type	_ZN7rocprim17ROCPRIM_400000_NS6detail17trampoline_kernelINS0_14default_configENS1_38merge_sort_block_merge_config_selectorIyNS0_10empty_typeEEEZZNS1_27merge_sort_block_merge_implIS3_PyPS5_jNS1_19radix_merge_compareILb0ELb0EyNS0_19identity_decomposerEEEEE10hipError_tT0_T1_T2_jT3_P12ihipStream_tbPNSt15iterator_traitsISE_E10value_typeEPNSK_ISF_E10value_typeEPSG_NS1_7vsmem_tEENKUlT_SE_SF_SG_E_clIS8_S8_S9_S9_EESD_ST_SE_SF_SG_EUlST_E_NS1_11comp_targetILNS1_3genE2ELNS1_11target_archE906ELNS1_3gpuE6ELNS1_3repE0EEENS1_48merge_mergepath_partition_config_static_selectorELNS0_4arch9wavefront6targetE1EEEvSF_,@function
_ZN7rocprim17ROCPRIM_400000_NS6detail17trampoline_kernelINS0_14default_configENS1_38merge_sort_block_merge_config_selectorIyNS0_10empty_typeEEEZZNS1_27merge_sort_block_merge_implIS3_PyPS5_jNS1_19radix_merge_compareILb0ELb0EyNS0_19identity_decomposerEEEEE10hipError_tT0_T1_T2_jT3_P12ihipStream_tbPNSt15iterator_traitsISE_E10value_typeEPNSK_ISF_E10value_typeEPSG_NS1_7vsmem_tEENKUlT_SE_SF_SG_E_clIS8_S8_S9_S9_EESD_ST_SE_SF_SG_EUlST_E_NS1_11comp_targetILNS1_3genE2ELNS1_11target_archE906ELNS1_3gpuE6ELNS1_3repE0EEENS1_48merge_mergepath_partition_config_static_selectorELNS0_4arch9wavefront6targetE1EEEvSF_: ; @_ZN7rocprim17ROCPRIM_400000_NS6detail17trampoline_kernelINS0_14default_configENS1_38merge_sort_block_merge_config_selectorIyNS0_10empty_typeEEEZZNS1_27merge_sort_block_merge_implIS3_PyPS5_jNS1_19radix_merge_compareILb0ELb0EyNS0_19identity_decomposerEEEEE10hipError_tT0_T1_T2_jT3_P12ihipStream_tbPNSt15iterator_traitsISE_E10value_typeEPNSK_ISF_E10value_typeEPSG_NS1_7vsmem_tEENKUlT_SE_SF_SG_E_clIS8_S8_S9_S9_EESD_ST_SE_SF_SG_EUlST_E_NS1_11comp_targetILNS1_3genE2ELNS1_11target_archE906ELNS1_3gpuE6ELNS1_3repE0EEENS1_48merge_mergepath_partition_config_static_selectorELNS0_4arch9wavefront6targetE1EEEvSF_
; %bb.0:
	.section	.rodata,"a",@progbits
	.p2align	6, 0x0
	.amdhsa_kernel _ZN7rocprim17ROCPRIM_400000_NS6detail17trampoline_kernelINS0_14default_configENS1_38merge_sort_block_merge_config_selectorIyNS0_10empty_typeEEEZZNS1_27merge_sort_block_merge_implIS3_PyPS5_jNS1_19radix_merge_compareILb0ELb0EyNS0_19identity_decomposerEEEEE10hipError_tT0_T1_T2_jT3_P12ihipStream_tbPNSt15iterator_traitsISE_E10value_typeEPNSK_ISF_E10value_typeEPSG_NS1_7vsmem_tEENKUlT_SE_SF_SG_E_clIS8_S8_S9_S9_EESD_ST_SE_SF_SG_EUlST_E_NS1_11comp_targetILNS1_3genE2ELNS1_11target_archE906ELNS1_3gpuE6ELNS1_3repE0EEENS1_48merge_mergepath_partition_config_static_selectorELNS0_4arch9wavefront6targetE1EEEvSF_
		.amdhsa_group_segment_fixed_size 0
		.amdhsa_private_segment_fixed_size 0
		.amdhsa_kernarg_size 40
		.amdhsa_user_sgpr_count 6
		.amdhsa_user_sgpr_private_segment_buffer 1
		.amdhsa_user_sgpr_dispatch_ptr 0
		.amdhsa_user_sgpr_queue_ptr 0
		.amdhsa_user_sgpr_kernarg_segment_ptr 1
		.amdhsa_user_sgpr_dispatch_id 0
		.amdhsa_user_sgpr_flat_scratch_init 0
		.amdhsa_user_sgpr_kernarg_preload_length 0
		.amdhsa_user_sgpr_kernarg_preload_offset 0
		.amdhsa_user_sgpr_private_segment_size 0
		.amdhsa_uses_dynamic_stack 0
		.amdhsa_system_sgpr_private_segment_wavefront_offset 0
		.amdhsa_system_sgpr_workgroup_id_x 1
		.amdhsa_system_sgpr_workgroup_id_y 0
		.amdhsa_system_sgpr_workgroup_id_z 0
		.amdhsa_system_sgpr_workgroup_info 0
		.amdhsa_system_vgpr_workitem_id 0
		.amdhsa_next_free_vgpr 1
		.amdhsa_next_free_sgpr 0
		.amdhsa_accum_offset 4
		.amdhsa_reserve_vcc 0
		.amdhsa_reserve_flat_scratch 0
		.amdhsa_float_round_mode_32 0
		.amdhsa_float_round_mode_16_64 0
		.amdhsa_float_denorm_mode_32 3
		.amdhsa_float_denorm_mode_16_64 3
		.amdhsa_dx10_clamp 1
		.amdhsa_ieee_mode 1
		.amdhsa_fp16_overflow 0
		.amdhsa_tg_split 0
		.amdhsa_exception_fp_ieee_invalid_op 0
		.amdhsa_exception_fp_denorm_src 0
		.amdhsa_exception_fp_ieee_div_zero 0
		.amdhsa_exception_fp_ieee_overflow 0
		.amdhsa_exception_fp_ieee_underflow 0
		.amdhsa_exception_fp_ieee_inexact 0
		.amdhsa_exception_int_div_zero 0
	.end_amdhsa_kernel
	.section	.text._ZN7rocprim17ROCPRIM_400000_NS6detail17trampoline_kernelINS0_14default_configENS1_38merge_sort_block_merge_config_selectorIyNS0_10empty_typeEEEZZNS1_27merge_sort_block_merge_implIS3_PyPS5_jNS1_19radix_merge_compareILb0ELb0EyNS0_19identity_decomposerEEEEE10hipError_tT0_T1_T2_jT3_P12ihipStream_tbPNSt15iterator_traitsISE_E10value_typeEPNSK_ISF_E10value_typeEPSG_NS1_7vsmem_tEENKUlT_SE_SF_SG_E_clIS8_S8_S9_S9_EESD_ST_SE_SF_SG_EUlST_E_NS1_11comp_targetILNS1_3genE2ELNS1_11target_archE906ELNS1_3gpuE6ELNS1_3repE0EEENS1_48merge_mergepath_partition_config_static_selectorELNS0_4arch9wavefront6targetE1EEEvSF_,"axG",@progbits,_ZN7rocprim17ROCPRIM_400000_NS6detail17trampoline_kernelINS0_14default_configENS1_38merge_sort_block_merge_config_selectorIyNS0_10empty_typeEEEZZNS1_27merge_sort_block_merge_implIS3_PyPS5_jNS1_19radix_merge_compareILb0ELb0EyNS0_19identity_decomposerEEEEE10hipError_tT0_T1_T2_jT3_P12ihipStream_tbPNSt15iterator_traitsISE_E10value_typeEPNSK_ISF_E10value_typeEPSG_NS1_7vsmem_tEENKUlT_SE_SF_SG_E_clIS8_S8_S9_S9_EESD_ST_SE_SF_SG_EUlST_E_NS1_11comp_targetILNS1_3genE2ELNS1_11target_archE906ELNS1_3gpuE6ELNS1_3repE0EEENS1_48merge_mergepath_partition_config_static_selectorELNS0_4arch9wavefront6targetE1EEEvSF_,comdat
.Lfunc_end1131:
	.size	_ZN7rocprim17ROCPRIM_400000_NS6detail17trampoline_kernelINS0_14default_configENS1_38merge_sort_block_merge_config_selectorIyNS0_10empty_typeEEEZZNS1_27merge_sort_block_merge_implIS3_PyPS5_jNS1_19radix_merge_compareILb0ELb0EyNS0_19identity_decomposerEEEEE10hipError_tT0_T1_T2_jT3_P12ihipStream_tbPNSt15iterator_traitsISE_E10value_typeEPNSK_ISF_E10value_typeEPSG_NS1_7vsmem_tEENKUlT_SE_SF_SG_E_clIS8_S8_S9_S9_EESD_ST_SE_SF_SG_EUlST_E_NS1_11comp_targetILNS1_3genE2ELNS1_11target_archE906ELNS1_3gpuE6ELNS1_3repE0EEENS1_48merge_mergepath_partition_config_static_selectorELNS0_4arch9wavefront6targetE1EEEvSF_, .Lfunc_end1131-_ZN7rocprim17ROCPRIM_400000_NS6detail17trampoline_kernelINS0_14default_configENS1_38merge_sort_block_merge_config_selectorIyNS0_10empty_typeEEEZZNS1_27merge_sort_block_merge_implIS3_PyPS5_jNS1_19radix_merge_compareILb0ELb0EyNS0_19identity_decomposerEEEEE10hipError_tT0_T1_T2_jT3_P12ihipStream_tbPNSt15iterator_traitsISE_E10value_typeEPNSK_ISF_E10value_typeEPSG_NS1_7vsmem_tEENKUlT_SE_SF_SG_E_clIS8_S8_S9_S9_EESD_ST_SE_SF_SG_EUlST_E_NS1_11comp_targetILNS1_3genE2ELNS1_11target_archE906ELNS1_3gpuE6ELNS1_3repE0EEENS1_48merge_mergepath_partition_config_static_selectorELNS0_4arch9wavefront6targetE1EEEvSF_
                                        ; -- End function
	.section	.AMDGPU.csdata,"",@progbits
; Kernel info:
; codeLenInByte = 0
; NumSgprs: 4
; NumVgprs: 0
; NumAgprs: 0
; TotalNumVgprs: 0
; ScratchSize: 0
; MemoryBound: 0
; FloatMode: 240
; IeeeMode: 1
; LDSByteSize: 0 bytes/workgroup (compile time only)
; SGPRBlocks: 0
; VGPRBlocks: 0
; NumSGPRsForWavesPerEU: 4
; NumVGPRsForWavesPerEU: 1
; AccumOffset: 4
; Occupancy: 8
; WaveLimiterHint : 0
; COMPUTE_PGM_RSRC2:SCRATCH_EN: 0
; COMPUTE_PGM_RSRC2:USER_SGPR: 6
; COMPUTE_PGM_RSRC2:TRAP_HANDLER: 0
; COMPUTE_PGM_RSRC2:TGID_X_EN: 1
; COMPUTE_PGM_RSRC2:TGID_Y_EN: 0
; COMPUTE_PGM_RSRC2:TGID_Z_EN: 0
; COMPUTE_PGM_RSRC2:TIDIG_COMP_CNT: 0
; COMPUTE_PGM_RSRC3_GFX90A:ACCUM_OFFSET: 0
; COMPUTE_PGM_RSRC3_GFX90A:TG_SPLIT: 0
	.section	.text._ZN7rocprim17ROCPRIM_400000_NS6detail17trampoline_kernelINS0_14default_configENS1_38merge_sort_block_merge_config_selectorIyNS0_10empty_typeEEEZZNS1_27merge_sort_block_merge_implIS3_PyPS5_jNS1_19radix_merge_compareILb0ELb0EyNS0_19identity_decomposerEEEEE10hipError_tT0_T1_T2_jT3_P12ihipStream_tbPNSt15iterator_traitsISE_E10value_typeEPNSK_ISF_E10value_typeEPSG_NS1_7vsmem_tEENKUlT_SE_SF_SG_E_clIS8_S8_S9_S9_EESD_ST_SE_SF_SG_EUlST_E_NS1_11comp_targetILNS1_3genE9ELNS1_11target_archE1100ELNS1_3gpuE3ELNS1_3repE0EEENS1_48merge_mergepath_partition_config_static_selectorELNS0_4arch9wavefront6targetE1EEEvSF_,"axG",@progbits,_ZN7rocprim17ROCPRIM_400000_NS6detail17trampoline_kernelINS0_14default_configENS1_38merge_sort_block_merge_config_selectorIyNS0_10empty_typeEEEZZNS1_27merge_sort_block_merge_implIS3_PyPS5_jNS1_19radix_merge_compareILb0ELb0EyNS0_19identity_decomposerEEEEE10hipError_tT0_T1_T2_jT3_P12ihipStream_tbPNSt15iterator_traitsISE_E10value_typeEPNSK_ISF_E10value_typeEPSG_NS1_7vsmem_tEENKUlT_SE_SF_SG_E_clIS8_S8_S9_S9_EESD_ST_SE_SF_SG_EUlST_E_NS1_11comp_targetILNS1_3genE9ELNS1_11target_archE1100ELNS1_3gpuE3ELNS1_3repE0EEENS1_48merge_mergepath_partition_config_static_selectorELNS0_4arch9wavefront6targetE1EEEvSF_,comdat
	.protected	_ZN7rocprim17ROCPRIM_400000_NS6detail17trampoline_kernelINS0_14default_configENS1_38merge_sort_block_merge_config_selectorIyNS0_10empty_typeEEEZZNS1_27merge_sort_block_merge_implIS3_PyPS5_jNS1_19radix_merge_compareILb0ELb0EyNS0_19identity_decomposerEEEEE10hipError_tT0_T1_T2_jT3_P12ihipStream_tbPNSt15iterator_traitsISE_E10value_typeEPNSK_ISF_E10value_typeEPSG_NS1_7vsmem_tEENKUlT_SE_SF_SG_E_clIS8_S8_S9_S9_EESD_ST_SE_SF_SG_EUlST_E_NS1_11comp_targetILNS1_3genE9ELNS1_11target_archE1100ELNS1_3gpuE3ELNS1_3repE0EEENS1_48merge_mergepath_partition_config_static_selectorELNS0_4arch9wavefront6targetE1EEEvSF_ ; -- Begin function _ZN7rocprim17ROCPRIM_400000_NS6detail17trampoline_kernelINS0_14default_configENS1_38merge_sort_block_merge_config_selectorIyNS0_10empty_typeEEEZZNS1_27merge_sort_block_merge_implIS3_PyPS5_jNS1_19radix_merge_compareILb0ELb0EyNS0_19identity_decomposerEEEEE10hipError_tT0_T1_T2_jT3_P12ihipStream_tbPNSt15iterator_traitsISE_E10value_typeEPNSK_ISF_E10value_typeEPSG_NS1_7vsmem_tEENKUlT_SE_SF_SG_E_clIS8_S8_S9_S9_EESD_ST_SE_SF_SG_EUlST_E_NS1_11comp_targetILNS1_3genE9ELNS1_11target_archE1100ELNS1_3gpuE3ELNS1_3repE0EEENS1_48merge_mergepath_partition_config_static_selectorELNS0_4arch9wavefront6targetE1EEEvSF_
	.globl	_ZN7rocprim17ROCPRIM_400000_NS6detail17trampoline_kernelINS0_14default_configENS1_38merge_sort_block_merge_config_selectorIyNS0_10empty_typeEEEZZNS1_27merge_sort_block_merge_implIS3_PyPS5_jNS1_19radix_merge_compareILb0ELb0EyNS0_19identity_decomposerEEEEE10hipError_tT0_T1_T2_jT3_P12ihipStream_tbPNSt15iterator_traitsISE_E10value_typeEPNSK_ISF_E10value_typeEPSG_NS1_7vsmem_tEENKUlT_SE_SF_SG_E_clIS8_S8_S9_S9_EESD_ST_SE_SF_SG_EUlST_E_NS1_11comp_targetILNS1_3genE9ELNS1_11target_archE1100ELNS1_3gpuE3ELNS1_3repE0EEENS1_48merge_mergepath_partition_config_static_selectorELNS0_4arch9wavefront6targetE1EEEvSF_
	.p2align	8
	.type	_ZN7rocprim17ROCPRIM_400000_NS6detail17trampoline_kernelINS0_14default_configENS1_38merge_sort_block_merge_config_selectorIyNS0_10empty_typeEEEZZNS1_27merge_sort_block_merge_implIS3_PyPS5_jNS1_19radix_merge_compareILb0ELb0EyNS0_19identity_decomposerEEEEE10hipError_tT0_T1_T2_jT3_P12ihipStream_tbPNSt15iterator_traitsISE_E10value_typeEPNSK_ISF_E10value_typeEPSG_NS1_7vsmem_tEENKUlT_SE_SF_SG_E_clIS8_S8_S9_S9_EESD_ST_SE_SF_SG_EUlST_E_NS1_11comp_targetILNS1_3genE9ELNS1_11target_archE1100ELNS1_3gpuE3ELNS1_3repE0EEENS1_48merge_mergepath_partition_config_static_selectorELNS0_4arch9wavefront6targetE1EEEvSF_,@function
_ZN7rocprim17ROCPRIM_400000_NS6detail17trampoline_kernelINS0_14default_configENS1_38merge_sort_block_merge_config_selectorIyNS0_10empty_typeEEEZZNS1_27merge_sort_block_merge_implIS3_PyPS5_jNS1_19radix_merge_compareILb0ELb0EyNS0_19identity_decomposerEEEEE10hipError_tT0_T1_T2_jT3_P12ihipStream_tbPNSt15iterator_traitsISE_E10value_typeEPNSK_ISF_E10value_typeEPSG_NS1_7vsmem_tEENKUlT_SE_SF_SG_E_clIS8_S8_S9_S9_EESD_ST_SE_SF_SG_EUlST_E_NS1_11comp_targetILNS1_3genE9ELNS1_11target_archE1100ELNS1_3gpuE3ELNS1_3repE0EEENS1_48merge_mergepath_partition_config_static_selectorELNS0_4arch9wavefront6targetE1EEEvSF_: ; @_ZN7rocprim17ROCPRIM_400000_NS6detail17trampoline_kernelINS0_14default_configENS1_38merge_sort_block_merge_config_selectorIyNS0_10empty_typeEEEZZNS1_27merge_sort_block_merge_implIS3_PyPS5_jNS1_19radix_merge_compareILb0ELb0EyNS0_19identity_decomposerEEEEE10hipError_tT0_T1_T2_jT3_P12ihipStream_tbPNSt15iterator_traitsISE_E10value_typeEPNSK_ISF_E10value_typeEPSG_NS1_7vsmem_tEENKUlT_SE_SF_SG_E_clIS8_S8_S9_S9_EESD_ST_SE_SF_SG_EUlST_E_NS1_11comp_targetILNS1_3genE9ELNS1_11target_archE1100ELNS1_3gpuE3ELNS1_3repE0EEENS1_48merge_mergepath_partition_config_static_selectorELNS0_4arch9wavefront6targetE1EEEvSF_
; %bb.0:
	.section	.rodata,"a",@progbits
	.p2align	6, 0x0
	.amdhsa_kernel _ZN7rocprim17ROCPRIM_400000_NS6detail17trampoline_kernelINS0_14default_configENS1_38merge_sort_block_merge_config_selectorIyNS0_10empty_typeEEEZZNS1_27merge_sort_block_merge_implIS3_PyPS5_jNS1_19radix_merge_compareILb0ELb0EyNS0_19identity_decomposerEEEEE10hipError_tT0_T1_T2_jT3_P12ihipStream_tbPNSt15iterator_traitsISE_E10value_typeEPNSK_ISF_E10value_typeEPSG_NS1_7vsmem_tEENKUlT_SE_SF_SG_E_clIS8_S8_S9_S9_EESD_ST_SE_SF_SG_EUlST_E_NS1_11comp_targetILNS1_3genE9ELNS1_11target_archE1100ELNS1_3gpuE3ELNS1_3repE0EEENS1_48merge_mergepath_partition_config_static_selectorELNS0_4arch9wavefront6targetE1EEEvSF_
		.amdhsa_group_segment_fixed_size 0
		.amdhsa_private_segment_fixed_size 0
		.amdhsa_kernarg_size 40
		.amdhsa_user_sgpr_count 6
		.amdhsa_user_sgpr_private_segment_buffer 1
		.amdhsa_user_sgpr_dispatch_ptr 0
		.amdhsa_user_sgpr_queue_ptr 0
		.amdhsa_user_sgpr_kernarg_segment_ptr 1
		.amdhsa_user_sgpr_dispatch_id 0
		.amdhsa_user_sgpr_flat_scratch_init 0
		.amdhsa_user_sgpr_kernarg_preload_length 0
		.amdhsa_user_sgpr_kernarg_preload_offset 0
		.amdhsa_user_sgpr_private_segment_size 0
		.amdhsa_uses_dynamic_stack 0
		.amdhsa_system_sgpr_private_segment_wavefront_offset 0
		.amdhsa_system_sgpr_workgroup_id_x 1
		.amdhsa_system_sgpr_workgroup_id_y 0
		.amdhsa_system_sgpr_workgroup_id_z 0
		.amdhsa_system_sgpr_workgroup_info 0
		.amdhsa_system_vgpr_workitem_id 0
		.amdhsa_next_free_vgpr 1
		.amdhsa_next_free_sgpr 0
		.amdhsa_accum_offset 4
		.amdhsa_reserve_vcc 0
		.amdhsa_reserve_flat_scratch 0
		.amdhsa_float_round_mode_32 0
		.amdhsa_float_round_mode_16_64 0
		.amdhsa_float_denorm_mode_32 3
		.amdhsa_float_denorm_mode_16_64 3
		.amdhsa_dx10_clamp 1
		.amdhsa_ieee_mode 1
		.amdhsa_fp16_overflow 0
		.amdhsa_tg_split 0
		.amdhsa_exception_fp_ieee_invalid_op 0
		.amdhsa_exception_fp_denorm_src 0
		.amdhsa_exception_fp_ieee_div_zero 0
		.amdhsa_exception_fp_ieee_overflow 0
		.amdhsa_exception_fp_ieee_underflow 0
		.amdhsa_exception_fp_ieee_inexact 0
		.amdhsa_exception_int_div_zero 0
	.end_amdhsa_kernel
	.section	.text._ZN7rocprim17ROCPRIM_400000_NS6detail17trampoline_kernelINS0_14default_configENS1_38merge_sort_block_merge_config_selectorIyNS0_10empty_typeEEEZZNS1_27merge_sort_block_merge_implIS3_PyPS5_jNS1_19radix_merge_compareILb0ELb0EyNS0_19identity_decomposerEEEEE10hipError_tT0_T1_T2_jT3_P12ihipStream_tbPNSt15iterator_traitsISE_E10value_typeEPNSK_ISF_E10value_typeEPSG_NS1_7vsmem_tEENKUlT_SE_SF_SG_E_clIS8_S8_S9_S9_EESD_ST_SE_SF_SG_EUlST_E_NS1_11comp_targetILNS1_3genE9ELNS1_11target_archE1100ELNS1_3gpuE3ELNS1_3repE0EEENS1_48merge_mergepath_partition_config_static_selectorELNS0_4arch9wavefront6targetE1EEEvSF_,"axG",@progbits,_ZN7rocprim17ROCPRIM_400000_NS6detail17trampoline_kernelINS0_14default_configENS1_38merge_sort_block_merge_config_selectorIyNS0_10empty_typeEEEZZNS1_27merge_sort_block_merge_implIS3_PyPS5_jNS1_19radix_merge_compareILb0ELb0EyNS0_19identity_decomposerEEEEE10hipError_tT0_T1_T2_jT3_P12ihipStream_tbPNSt15iterator_traitsISE_E10value_typeEPNSK_ISF_E10value_typeEPSG_NS1_7vsmem_tEENKUlT_SE_SF_SG_E_clIS8_S8_S9_S9_EESD_ST_SE_SF_SG_EUlST_E_NS1_11comp_targetILNS1_3genE9ELNS1_11target_archE1100ELNS1_3gpuE3ELNS1_3repE0EEENS1_48merge_mergepath_partition_config_static_selectorELNS0_4arch9wavefront6targetE1EEEvSF_,comdat
.Lfunc_end1132:
	.size	_ZN7rocprim17ROCPRIM_400000_NS6detail17trampoline_kernelINS0_14default_configENS1_38merge_sort_block_merge_config_selectorIyNS0_10empty_typeEEEZZNS1_27merge_sort_block_merge_implIS3_PyPS5_jNS1_19radix_merge_compareILb0ELb0EyNS0_19identity_decomposerEEEEE10hipError_tT0_T1_T2_jT3_P12ihipStream_tbPNSt15iterator_traitsISE_E10value_typeEPNSK_ISF_E10value_typeEPSG_NS1_7vsmem_tEENKUlT_SE_SF_SG_E_clIS8_S8_S9_S9_EESD_ST_SE_SF_SG_EUlST_E_NS1_11comp_targetILNS1_3genE9ELNS1_11target_archE1100ELNS1_3gpuE3ELNS1_3repE0EEENS1_48merge_mergepath_partition_config_static_selectorELNS0_4arch9wavefront6targetE1EEEvSF_, .Lfunc_end1132-_ZN7rocprim17ROCPRIM_400000_NS6detail17trampoline_kernelINS0_14default_configENS1_38merge_sort_block_merge_config_selectorIyNS0_10empty_typeEEEZZNS1_27merge_sort_block_merge_implIS3_PyPS5_jNS1_19radix_merge_compareILb0ELb0EyNS0_19identity_decomposerEEEEE10hipError_tT0_T1_T2_jT3_P12ihipStream_tbPNSt15iterator_traitsISE_E10value_typeEPNSK_ISF_E10value_typeEPSG_NS1_7vsmem_tEENKUlT_SE_SF_SG_E_clIS8_S8_S9_S9_EESD_ST_SE_SF_SG_EUlST_E_NS1_11comp_targetILNS1_3genE9ELNS1_11target_archE1100ELNS1_3gpuE3ELNS1_3repE0EEENS1_48merge_mergepath_partition_config_static_selectorELNS0_4arch9wavefront6targetE1EEEvSF_
                                        ; -- End function
	.section	.AMDGPU.csdata,"",@progbits
; Kernel info:
; codeLenInByte = 0
; NumSgprs: 4
; NumVgprs: 0
; NumAgprs: 0
; TotalNumVgprs: 0
; ScratchSize: 0
; MemoryBound: 0
; FloatMode: 240
; IeeeMode: 1
; LDSByteSize: 0 bytes/workgroup (compile time only)
; SGPRBlocks: 0
; VGPRBlocks: 0
; NumSGPRsForWavesPerEU: 4
; NumVGPRsForWavesPerEU: 1
; AccumOffset: 4
; Occupancy: 8
; WaveLimiterHint : 0
; COMPUTE_PGM_RSRC2:SCRATCH_EN: 0
; COMPUTE_PGM_RSRC2:USER_SGPR: 6
; COMPUTE_PGM_RSRC2:TRAP_HANDLER: 0
; COMPUTE_PGM_RSRC2:TGID_X_EN: 1
; COMPUTE_PGM_RSRC2:TGID_Y_EN: 0
; COMPUTE_PGM_RSRC2:TGID_Z_EN: 0
; COMPUTE_PGM_RSRC2:TIDIG_COMP_CNT: 0
; COMPUTE_PGM_RSRC3_GFX90A:ACCUM_OFFSET: 0
; COMPUTE_PGM_RSRC3_GFX90A:TG_SPLIT: 0
	.section	.text._ZN7rocprim17ROCPRIM_400000_NS6detail17trampoline_kernelINS0_14default_configENS1_38merge_sort_block_merge_config_selectorIyNS0_10empty_typeEEEZZNS1_27merge_sort_block_merge_implIS3_PyPS5_jNS1_19radix_merge_compareILb0ELb0EyNS0_19identity_decomposerEEEEE10hipError_tT0_T1_T2_jT3_P12ihipStream_tbPNSt15iterator_traitsISE_E10value_typeEPNSK_ISF_E10value_typeEPSG_NS1_7vsmem_tEENKUlT_SE_SF_SG_E_clIS8_S8_S9_S9_EESD_ST_SE_SF_SG_EUlST_E_NS1_11comp_targetILNS1_3genE8ELNS1_11target_archE1030ELNS1_3gpuE2ELNS1_3repE0EEENS1_48merge_mergepath_partition_config_static_selectorELNS0_4arch9wavefront6targetE1EEEvSF_,"axG",@progbits,_ZN7rocprim17ROCPRIM_400000_NS6detail17trampoline_kernelINS0_14default_configENS1_38merge_sort_block_merge_config_selectorIyNS0_10empty_typeEEEZZNS1_27merge_sort_block_merge_implIS3_PyPS5_jNS1_19radix_merge_compareILb0ELb0EyNS0_19identity_decomposerEEEEE10hipError_tT0_T1_T2_jT3_P12ihipStream_tbPNSt15iterator_traitsISE_E10value_typeEPNSK_ISF_E10value_typeEPSG_NS1_7vsmem_tEENKUlT_SE_SF_SG_E_clIS8_S8_S9_S9_EESD_ST_SE_SF_SG_EUlST_E_NS1_11comp_targetILNS1_3genE8ELNS1_11target_archE1030ELNS1_3gpuE2ELNS1_3repE0EEENS1_48merge_mergepath_partition_config_static_selectorELNS0_4arch9wavefront6targetE1EEEvSF_,comdat
	.protected	_ZN7rocprim17ROCPRIM_400000_NS6detail17trampoline_kernelINS0_14default_configENS1_38merge_sort_block_merge_config_selectorIyNS0_10empty_typeEEEZZNS1_27merge_sort_block_merge_implIS3_PyPS5_jNS1_19radix_merge_compareILb0ELb0EyNS0_19identity_decomposerEEEEE10hipError_tT0_T1_T2_jT3_P12ihipStream_tbPNSt15iterator_traitsISE_E10value_typeEPNSK_ISF_E10value_typeEPSG_NS1_7vsmem_tEENKUlT_SE_SF_SG_E_clIS8_S8_S9_S9_EESD_ST_SE_SF_SG_EUlST_E_NS1_11comp_targetILNS1_3genE8ELNS1_11target_archE1030ELNS1_3gpuE2ELNS1_3repE0EEENS1_48merge_mergepath_partition_config_static_selectorELNS0_4arch9wavefront6targetE1EEEvSF_ ; -- Begin function _ZN7rocprim17ROCPRIM_400000_NS6detail17trampoline_kernelINS0_14default_configENS1_38merge_sort_block_merge_config_selectorIyNS0_10empty_typeEEEZZNS1_27merge_sort_block_merge_implIS3_PyPS5_jNS1_19radix_merge_compareILb0ELb0EyNS0_19identity_decomposerEEEEE10hipError_tT0_T1_T2_jT3_P12ihipStream_tbPNSt15iterator_traitsISE_E10value_typeEPNSK_ISF_E10value_typeEPSG_NS1_7vsmem_tEENKUlT_SE_SF_SG_E_clIS8_S8_S9_S9_EESD_ST_SE_SF_SG_EUlST_E_NS1_11comp_targetILNS1_3genE8ELNS1_11target_archE1030ELNS1_3gpuE2ELNS1_3repE0EEENS1_48merge_mergepath_partition_config_static_selectorELNS0_4arch9wavefront6targetE1EEEvSF_
	.globl	_ZN7rocprim17ROCPRIM_400000_NS6detail17trampoline_kernelINS0_14default_configENS1_38merge_sort_block_merge_config_selectorIyNS0_10empty_typeEEEZZNS1_27merge_sort_block_merge_implIS3_PyPS5_jNS1_19radix_merge_compareILb0ELb0EyNS0_19identity_decomposerEEEEE10hipError_tT0_T1_T2_jT3_P12ihipStream_tbPNSt15iterator_traitsISE_E10value_typeEPNSK_ISF_E10value_typeEPSG_NS1_7vsmem_tEENKUlT_SE_SF_SG_E_clIS8_S8_S9_S9_EESD_ST_SE_SF_SG_EUlST_E_NS1_11comp_targetILNS1_3genE8ELNS1_11target_archE1030ELNS1_3gpuE2ELNS1_3repE0EEENS1_48merge_mergepath_partition_config_static_selectorELNS0_4arch9wavefront6targetE1EEEvSF_
	.p2align	8
	.type	_ZN7rocprim17ROCPRIM_400000_NS6detail17trampoline_kernelINS0_14default_configENS1_38merge_sort_block_merge_config_selectorIyNS0_10empty_typeEEEZZNS1_27merge_sort_block_merge_implIS3_PyPS5_jNS1_19radix_merge_compareILb0ELb0EyNS0_19identity_decomposerEEEEE10hipError_tT0_T1_T2_jT3_P12ihipStream_tbPNSt15iterator_traitsISE_E10value_typeEPNSK_ISF_E10value_typeEPSG_NS1_7vsmem_tEENKUlT_SE_SF_SG_E_clIS8_S8_S9_S9_EESD_ST_SE_SF_SG_EUlST_E_NS1_11comp_targetILNS1_3genE8ELNS1_11target_archE1030ELNS1_3gpuE2ELNS1_3repE0EEENS1_48merge_mergepath_partition_config_static_selectorELNS0_4arch9wavefront6targetE1EEEvSF_,@function
_ZN7rocprim17ROCPRIM_400000_NS6detail17trampoline_kernelINS0_14default_configENS1_38merge_sort_block_merge_config_selectorIyNS0_10empty_typeEEEZZNS1_27merge_sort_block_merge_implIS3_PyPS5_jNS1_19radix_merge_compareILb0ELb0EyNS0_19identity_decomposerEEEEE10hipError_tT0_T1_T2_jT3_P12ihipStream_tbPNSt15iterator_traitsISE_E10value_typeEPNSK_ISF_E10value_typeEPSG_NS1_7vsmem_tEENKUlT_SE_SF_SG_E_clIS8_S8_S9_S9_EESD_ST_SE_SF_SG_EUlST_E_NS1_11comp_targetILNS1_3genE8ELNS1_11target_archE1030ELNS1_3gpuE2ELNS1_3repE0EEENS1_48merge_mergepath_partition_config_static_selectorELNS0_4arch9wavefront6targetE1EEEvSF_: ; @_ZN7rocprim17ROCPRIM_400000_NS6detail17trampoline_kernelINS0_14default_configENS1_38merge_sort_block_merge_config_selectorIyNS0_10empty_typeEEEZZNS1_27merge_sort_block_merge_implIS3_PyPS5_jNS1_19radix_merge_compareILb0ELb0EyNS0_19identity_decomposerEEEEE10hipError_tT0_T1_T2_jT3_P12ihipStream_tbPNSt15iterator_traitsISE_E10value_typeEPNSK_ISF_E10value_typeEPSG_NS1_7vsmem_tEENKUlT_SE_SF_SG_E_clIS8_S8_S9_S9_EESD_ST_SE_SF_SG_EUlST_E_NS1_11comp_targetILNS1_3genE8ELNS1_11target_archE1030ELNS1_3gpuE2ELNS1_3repE0EEENS1_48merge_mergepath_partition_config_static_selectorELNS0_4arch9wavefront6targetE1EEEvSF_
; %bb.0:
	.section	.rodata,"a",@progbits
	.p2align	6, 0x0
	.amdhsa_kernel _ZN7rocprim17ROCPRIM_400000_NS6detail17trampoline_kernelINS0_14default_configENS1_38merge_sort_block_merge_config_selectorIyNS0_10empty_typeEEEZZNS1_27merge_sort_block_merge_implIS3_PyPS5_jNS1_19radix_merge_compareILb0ELb0EyNS0_19identity_decomposerEEEEE10hipError_tT0_T1_T2_jT3_P12ihipStream_tbPNSt15iterator_traitsISE_E10value_typeEPNSK_ISF_E10value_typeEPSG_NS1_7vsmem_tEENKUlT_SE_SF_SG_E_clIS8_S8_S9_S9_EESD_ST_SE_SF_SG_EUlST_E_NS1_11comp_targetILNS1_3genE8ELNS1_11target_archE1030ELNS1_3gpuE2ELNS1_3repE0EEENS1_48merge_mergepath_partition_config_static_selectorELNS0_4arch9wavefront6targetE1EEEvSF_
		.amdhsa_group_segment_fixed_size 0
		.amdhsa_private_segment_fixed_size 0
		.amdhsa_kernarg_size 40
		.amdhsa_user_sgpr_count 6
		.amdhsa_user_sgpr_private_segment_buffer 1
		.amdhsa_user_sgpr_dispatch_ptr 0
		.amdhsa_user_sgpr_queue_ptr 0
		.amdhsa_user_sgpr_kernarg_segment_ptr 1
		.amdhsa_user_sgpr_dispatch_id 0
		.amdhsa_user_sgpr_flat_scratch_init 0
		.amdhsa_user_sgpr_kernarg_preload_length 0
		.amdhsa_user_sgpr_kernarg_preload_offset 0
		.amdhsa_user_sgpr_private_segment_size 0
		.amdhsa_uses_dynamic_stack 0
		.amdhsa_system_sgpr_private_segment_wavefront_offset 0
		.amdhsa_system_sgpr_workgroup_id_x 1
		.amdhsa_system_sgpr_workgroup_id_y 0
		.amdhsa_system_sgpr_workgroup_id_z 0
		.amdhsa_system_sgpr_workgroup_info 0
		.amdhsa_system_vgpr_workitem_id 0
		.amdhsa_next_free_vgpr 1
		.amdhsa_next_free_sgpr 0
		.amdhsa_accum_offset 4
		.amdhsa_reserve_vcc 0
		.amdhsa_reserve_flat_scratch 0
		.amdhsa_float_round_mode_32 0
		.amdhsa_float_round_mode_16_64 0
		.amdhsa_float_denorm_mode_32 3
		.amdhsa_float_denorm_mode_16_64 3
		.amdhsa_dx10_clamp 1
		.amdhsa_ieee_mode 1
		.amdhsa_fp16_overflow 0
		.amdhsa_tg_split 0
		.amdhsa_exception_fp_ieee_invalid_op 0
		.amdhsa_exception_fp_denorm_src 0
		.amdhsa_exception_fp_ieee_div_zero 0
		.amdhsa_exception_fp_ieee_overflow 0
		.amdhsa_exception_fp_ieee_underflow 0
		.amdhsa_exception_fp_ieee_inexact 0
		.amdhsa_exception_int_div_zero 0
	.end_amdhsa_kernel
	.section	.text._ZN7rocprim17ROCPRIM_400000_NS6detail17trampoline_kernelINS0_14default_configENS1_38merge_sort_block_merge_config_selectorIyNS0_10empty_typeEEEZZNS1_27merge_sort_block_merge_implIS3_PyPS5_jNS1_19radix_merge_compareILb0ELb0EyNS0_19identity_decomposerEEEEE10hipError_tT0_T1_T2_jT3_P12ihipStream_tbPNSt15iterator_traitsISE_E10value_typeEPNSK_ISF_E10value_typeEPSG_NS1_7vsmem_tEENKUlT_SE_SF_SG_E_clIS8_S8_S9_S9_EESD_ST_SE_SF_SG_EUlST_E_NS1_11comp_targetILNS1_3genE8ELNS1_11target_archE1030ELNS1_3gpuE2ELNS1_3repE0EEENS1_48merge_mergepath_partition_config_static_selectorELNS0_4arch9wavefront6targetE1EEEvSF_,"axG",@progbits,_ZN7rocprim17ROCPRIM_400000_NS6detail17trampoline_kernelINS0_14default_configENS1_38merge_sort_block_merge_config_selectorIyNS0_10empty_typeEEEZZNS1_27merge_sort_block_merge_implIS3_PyPS5_jNS1_19radix_merge_compareILb0ELb0EyNS0_19identity_decomposerEEEEE10hipError_tT0_T1_T2_jT3_P12ihipStream_tbPNSt15iterator_traitsISE_E10value_typeEPNSK_ISF_E10value_typeEPSG_NS1_7vsmem_tEENKUlT_SE_SF_SG_E_clIS8_S8_S9_S9_EESD_ST_SE_SF_SG_EUlST_E_NS1_11comp_targetILNS1_3genE8ELNS1_11target_archE1030ELNS1_3gpuE2ELNS1_3repE0EEENS1_48merge_mergepath_partition_config_static_selectorELNS0_4arch9wavefront6targetE1EEEvSF_,comdat
.Lfunc_end1133:
	.size	_ZN7rocprim17ROCPRIM_400000_NS6detail17trampoline_kernelINS0_14default_configENS1_38merge_sort_block_merge_config_selectorIyNS0_10empty_typeEEEZZNS1_27merge_sort_block_merge_implIS3_PyPS5_jNS1_19radix_merge_compareILb0ELb0EyNS0_19identity_decomposerEEEEE10hipError_tT0_T1_T2_jT3_P12ihipStream_tbPNSt15iterator_traitsISE_E10value_typeEPNSK_ISF_E10value_typeEPSG_NS1_7vsmem_tEENKUlT_SE_SF_SG_E_clIS8_S8_S9_S9_EESD_ST_SE_SF_SG_EUlST_E_NS1_11comp_targetILNS1_3genE8ELNS1_11target_archE1030ELNS1_3gpuE2ELNS1_3repE0EEENS1_48merge_mergepath_partition_config_static_selectorELNS0_4arch9wavefront6targetE1EEEvSF_, .Lfunc_end1133-_ZN7rocprim17ROCPRIM_400000_NS6detail17trampoline_kernelINS0_14default_configENS1_38merge_sort_block_merge_config_selectorIyNS0_10empty_typeEEEZZNS1_27merge_sort_block_merge_implIS3_PyPS5_jNS1_19radix_merge_compareILb0ELb0EyNS0_19identity_decomposerEEEEE10hipError_tT0_T1_T2_jT3_P12ihipStream_tbPNSt15iterator_traitsISE_E10value_typeEPNSK_ISF_E10value_typeEPSG_NS1_7vsmem_tEENKUlT_SE_SF_SG_E_clIS8_S8_S9_S9_EESD_ST_SE_SF_SG_EUlST_E_NS1_11comp_targetILNS1_3genE8ELNS1_11target_archE1030ELNS1_3gpuE2ELNS1_3repE0EEENS1_48merge_mergepath_partition_config_static_selectorELNS0_4arch9wavefront6targetE1EEEvSF_
                                        ; -- End function
	.section	.AMDGPU.csdata,"",@progbits
; Kernel info:
; codeLenInByte = 0
; NumSgprs: 4
; NumVgprs: 0
; NumAgprs: 0
; TotalNumVgprs: 0
; ScratchSize: 0
; MemoryBound: 0
; FloatMode: 240
; IeeeMode: 1
; LDSByteSize: 0 bytes/workgroup (compile time only)
; SGPRBlocks: 0
; VGPRBlocks: 0
; NumSGPRsForWavesPerEU: 4
; NumVGPRsForWavesPerEU: 1
; AccumOffset: 4
; Occupancy: 8
; WaveLimiterHint : 0
; COMPUTE_PGM_RSRC2:SCRATCH_EN: 0
; COMPUTE_PGM_RSRC2:USER_SGPR: 6
; COMPUTE_PGM_RSRC2:TRAP_HANDLER: 0
; COMPUTE_PGM_RSRC2:TGID_X_EN: 1
; COMPUTE_PGM_RSRC2:TGID_Y_EN: 0
; COMPUTE_PGM_RSRC2:TGID_Z_EN: 0
; COMPUTE_PGM_RSRC2:TIDIG_COMP_CNT: 0
; COMPUTE_PGM_RSRC3_GFX90A:ACCUM_OFFSET: 0
; COMPUTE_PGM_RSRC3_GFX90A:TG_SPLIT: 0
	.section	.text._ZN7rocprim17ROCPRIM_400000_NS6detail17trampoline_kernelINS0_14default_configENS1_38merge_sort_block_merge_config_selectorIyNS0_10empty_typeEEEZZNS1_27merge_sort_block_merge_implIS3_PyPS5_jNS1_19radix_merge_compareILb0ELb0EyNS0_19identity_decomposerEEEEE10hipError_tT0_T1_T2_jT3_P12ihipStream_tbPNSt15iterator_traitsISE_E10value_typeEPNSK_ISF_E10value_typeEPSG_NS1_7vsmem_tEENKUlT_SE_SF_SG_E_clIS8_S8_S9_S9_EESD_ST_SE_SF_SG_EUlST_E0_NS1_11comp_targetILNS1_3genE0ELNS1_11target_archE4294967295ELNS1_3gpuE0ELNS1_3repE0EEENS1_38merge_mergepath_config_static_selectorELNS0_4arch9wavefront6targetE1EEEvSF_,"axG",@progbits,_ZN7rocprim17ROCPRIM_400000_NS6detail17trampoline_kernelINS0_14default_configENS1_38merge_sort_block_merge_config_selectorIyNS0_10empty_typeEEEZZNS1_27merge_sort_block_merge_implIS3_PyPS5_jNS1_19radix_merge_compareILb0ELb0EyNS0_19identity_decomposerEEEEE10hipError_tT0_T1_T2_jT3_P12ihipStream_tbPNSt15iterator_traitsISE_E10value_typeEPNSK_ISF_E10value_typeEPSG_NS1_7vsmem_tEENKUlT_SE_SF_SG_E_clIS8_S8_S9_S9_EESD_ST_SE_SF_SG_EUlST_E0_NS1_11comp_targetILNS1_3genE0ELNS1_11target_archE4294967295ELNS1_3gpuE0ELNS1_3repE0EEENS1_38merge_mergepath_config_static_selectorELNS0_4arch9wavefront6targetE1EEEvSF_,comdat
	.protected	_ZN7rocprim17ROCPRIM_400000_NS6detail17trampoline_kernelINS0_14default_configENS1_38merge_sort_block_merge_config_selectorIyNS0_10empty_typeEEEZZNS1_27merge_sort_block_merge_implIS3_PyPS5_jNS1_19radix_merge_compareILb0ELb0EyNS0_19identity_decomposerEEEEE10hipError_tT0_T1_T2_jT3_P12ihipStream_tbPNSt15iterator_traitsISE_E10value_typeEPNSK_ISF_E10value_typeEPSG_NS1_7vsmem_tEENKUlT_SE_SF_SG_E_clIS8_S8_S9_S9_EESD_ST_SE_SF_SG_EUlST_E0_NS1_11comp_targetILNS1_3genE0ELNS1_11target_archE4294967295ELNS1_3gpuE0ELNS1_3repE0EEENS1_38merge_mergepath_config_static_selectorELNS0_4arch9wavefront6targetE1EEEvSF_ ; -- Begin function _ZN7rocprim17ROCPRIM_400000_NS6detail17trampoline_kernelINS0_14default_configENS1_38merge_sort_block_merge_config_selectorIyNS0_10empty_typeEEEZZNS1_27merge_sort_block_merge_implIS3_PyPS5_jNS1_19radix_merge_compareILb0ELb0EyNS0_19identity_decomposerEEEEE10hipError_tT0_T1_T2_jT3_P12ihipStream_tbPNSt15iterator_traitsISE_E10value_typeEPNSK_ISF_E10value_typeEPSG_NS1_7vsmem_tEENKUlT_SE_SF_SG_E_clIS8_S8_S9_S9_EESD_ST_SE_SF_SG_EUlST_E0_NS1_11comp_targetILNS1_3genE0ELNS1_11target_archE4294967295ELNS1_3gpuE0ELNS1_3repE0EEENS1_38merge_mergepath_config_static_selectorELNS0_4arch9wavefront6targetE1EEEvSF_
	.globl	_ZN7rocprim17ROCPRIM_400000_NS6detail17trampoline_kernelINS0_14default_configENS1_38merge_sort_block_merge_config_selectorIyNS0_10empty_typeEEEZZNS1_27merge_sort_block_merge_implIS3_PyPS5_jNS1_19radix_merge_compareILb0ELb0EyNS0_19identity_decomposerEEEEE10hipError_tT0_T1_T2_jT3_P12ihipStream_tbPNSt15iterator_traitsISE_E10value_typeEPNSK_ISF_E10value_typeEPSG_NS1_7vsmem_tEENKUlT_SE_SF_SG_E_clIS8_S8_S9_S9_EESD_ST_SE_SF_SG_EUlST_E0_NS1_11comp_targetILNS1_3genE0ELNS1_11target_archE4294967295ELNS1_3gpuE0ELNS1_3repE0EEENS1_38merge_mergepath_config_static_selectorELNS0_4arch9wavefront6targetE1EEEvSF_
	.p2align	8
	.type	_ZN7rocprim17ROCPRIM_400000_NS6detail17trampoline_kernelINS0_14default_configENS1_38merge_sort_block_merge_config_selectorIyNS0_10empty_typeEEEZZNS1_27merge_sort_block_merge_implIS3_PyPS5_jNS1_19radix_merge_compareILb0ELb0EyNS0_19identity_decomposerEEEEE10hipError_tT0_T1_T2_jT3_P12ihipStream_tbPNSt15iterator_traitsISE_E10value_typeEPNSK_ISF_E10value_typeEPSG_NS1_7vsmem_tEENKUlT_SE_SF_SG_E_clIS8_S8_S9_S9_EESD_ST_SE_SF_SG_EUlST_E0_NS1_11comp_targetILNS1_3genE0ELNS1_11target_archE4294967295ELNS1_3gpuE0ELNS1_3repE0EEENS1_38merge_mergepath_config_static_selectorELNS0_4arch9wavefront6targetE1EEEvSF_,@function
_ZN7rocprim17ROCPRIM_400000_NS6detail17trampoline_kernelINS0_14default_configENS1_38merge_sort_block_merge_config_selectorIyNS0_10empty_typeEEEZZNS1_27merge_sort_block_merge_implIS3_PyPS5_jNS1_19radix_merge_compareILb0ELb0EyNS0_19identity_decomposerEEEEE10hipError_tT0_T1_T2_jT3_P12ihipStream_tbPNSt15iterator_traitsISE_E10value_typeEPNSK_ISF_E10value_typeEPSG_NS1_7vsmem_tEENKUlT_SE_SF_SG_E_clIS8_S8_S9_S9_EESD_ST_SE_SF_SG_EUlST_E0_NS1_11comp_targetILNS1_3genE0ELNS1_11target_archE4294967295ELNS1_3gpuE0ELNS1_3repE0EEENS1_38merge_mergepath_config_static_selectorELNS0_4arch9wavefront6targetE1EEEvSF_: ; @_ZN7rocprim17ROCPRIM_400000_NS6detail17trampoline_kernelINS0_14default_configENS1_38merge_sort_block_merge_config_selectorIyNS0_10empty_typeEEEZZNS1_27merge_sort_block_merge_implIS3_PyPS5_jNS1_19radix_merge_compareILb0ELb0EyNS0_19identity_decomposerEEEEE10hipError_tT0_T1_T2_jT3_P12ihipStream_tbPNSt15iterator_traitsISE_E10value_typeEPNSK_ISF_E10value_typeEPSG_NS1_7vsmem_tEENKUlT_SE_SF_SG_E_clIS8_S8_S9_S9_EESD_ST_SE_SF_SG_EUlST_E0_NS1_11comp_targetILNS1_3genE0ELNS1_11target_archE4294967295ELNS1_3gpuE0ELNS1_3repE0EEENS1_38merge_mergepath_config_static_selectorELNS0_4arch9wavefront6targetE1EEEvSF_
; %bb.0:
	.section	.rodata,"a",@progbits
	.p2align	6, 0x0
	.amdhsa_kernel _ZN7rocprim17ROCPRIM_400000_NS6detail17trampoline_kernelINS0_14default_configENS1_38merge_sort_block_merge_config_selectorIyNS0_10empty_typeEEEZZNS1_27merge_sort_block_merge_implIS3_PyPS5_jNS1_19radix_merge_compareILb0ELb0EyNS0_19identity_decomposerEEEEE10hipError_tT0_T1_T2_jT3_P12ihipStream_tbPNSt15iterator_traitsISE_E10value_typeEPNSK_ISF_E10value_typeEPSG_NS1_7vsmem_tEENKUlT_SE_SF_SG_E_clIS8_S8_S9_S9_EESD_ST_SE_SF_SG_EUlST_E0_NS1_11comp_targetILNS1_3genE0ELNS1_11target_archE4294967295ELNS1_3gpuE0ELNS1_3repE0EEENS1_38merge_mergepath_config_static_selectorELNS0_4arch9wavefront6targetE1EEEvSF_
		.amdhsa_group_segment_fixed_size 0
		.amdhsa_private_segment_fixed_size 0
		.amdhsa_kernarg_size 64
		.amdhsa_user_sgpr_count 6
		.amdhsa_user_sgpr_private_segment_buffer 1
		.amdhsa_user_sgpr_dispatch_ptr 0
		.amdhsa_user_sgpr_queue_ptr 0
		.amdhsa_user_sgpr_kernarg_segment_ptr 1
		.amdhsa_user_sgpr_dispatch_id 0
		.amdhsa_user_sgpr_flat_scratch_init 0
		.amdhsa_user_sgpr_kernarg_preload_length 0
		.amdhsa_user_sgpr_kernarg_preload_offset 0
		.amdhsa_user_sgpr_private_segment_size 0
		.amdhsa_uses_dynamic_stack 0
		.amdhsa_system_sgpr_private_segment_wavefront_offset 0
		.amdhsa_system_sgpr_workgroup_id_x 1
		.amdhsa_system_sgpr_workgroup_id_y 0
		.amdhsa_system_sgpr_workgroup_id_z 0
		.amdhsa_system_sgpr_workgroup_info 0
		.amdhsa_system_vgpr_workitem_id 0
		.amdhsa_next_free_vgpr 1
		.amdhsa_next_free_sgpr 0
		.amdhsa_accum_offset 4
		.amdhsa_reserve_vcc 0
		.amdhsa_reserve_flat_scratch 0
		.amdhsa_float_round_mode_32 0
		.amdhsa_float_round_mode_16_64 0
		.amdhsa_float_denorm_mode_32 3
		.amdhsa_float_denorm_mode_16_64 3
		.amdhsa_dx10_clamp 1
		.amdhsa_ieee_mode 1
		.amdhsa_fp16_overflow 0
		.amdhsa_tg_split 0
		.amdhsa_exception_fp_ieee_invalid_op 0
		.amdhsa_exception_fp_denorm_src 0
		.amdhsa_exception_fp_ieee_div_zero 0
		.amdhsa_exception_fp_ieee_overflow 0
		.amdhsa_exception_fp_ieee_underflow 0
		.amdhsa_exception_fp_ieee_inexact 0
		.amdhsa_exception_int_div_zero 0
	.end_amdhsa_kernel
	.section	.text._ZN7rocprim17ROCPRIM_400000_NS6detail17trampoline_kernelINS0_14default_configENS1_38merge_sort_block_merge_config_selectorIyNS0_10empty_typeEEEZZNS1_27merge_sort_block_merge_implIS3_PyPS5_jNS1_19radix_merge_compareILb0ELb0EyNS0_19identity_decomposerEEEEE10hipError_tT0_T1_T2_jT3_P12ihipStream_tbPNSt15iterator_traitsISE_E10value_typeEPNSK_ISF_E10value_typeEPSG_NS1_7vsmem_tEENKUlT_SE_SF_SG_E_clIS8_S8_S9_S9_EESD_ST_SE_SF_SG_EUlST_E0_NS1_11comp_targetILNS1_3genE0ELNS1_11target_archE4294967295ELNS1_3gpuE0ELNS1_3repE0EEENS1_38merge_mergepath_config_static_selectorELNS0_4arch9wavefront6targetE1EEEvSF_,"axG",@progbits,_ZN7rocprim17ROCPRIM_400000_NS6detail17trampoline_kernelINS0_14default_configENS1_38merge_sort_block_merge_config_selectorIyNS0_10empty_typeEEEZZNS1_27merge_sort_block_merge_implIS3_PyPS5_jNS1_19radix_merge_compareILb0ELb0EyNS0_19identity_decomposerEEEEE10hipError_tT0_T1_T2_jT3_P12ihipStream_tbPNSt15iterator_traitsISE_E10value_typeEPNSK_ISF_E10value_typeEPSG_NS1_7vsmem_tEENKUlT_SE_SF_SG_E_clIS8_S8_S9_S9_EESD_ST_SE_SF_SG_EUlST_E0_NS1_11comp_targetILNS1_3genE0ELNS1_11target_archE4294967295ELNS1_3gpuE0ELNS1_3repE0EEENS1_38merge_mergepath_config_static_selectorELNS0_4arch9wavefront6targetE1EEEvSF_,comdat
.Lfunc_end1134:
	.size	_ZN7rocprim17ROCPRIM_400000_NS6detail17trampoline_kernelINS0_14default_configENS1_38merge_sort_block_merge_config_selectorIyNS0_10empty_typeEEEZZNS1_27merge_sort_block_merge_implIS3_PyPS5_jNS1_19radix_merge_compareILb0ELb0EyNS0_19identity_decomposerEEEEE10hipError_tT0_T1_T2_jT3_P12ihipStream_tbPNSt15iterator_traitsISE_E10value_typeEPNSK_ISF_E10value_typeEPSG_NS1_7vsmem_tEENKUlT_SE_SF_SG_E_clIS8_S8_S9_S9_EESD_ST_SE_SF_SG_EUlST_E0_NS1_11comp_targetILNS1_3genE0ELNS1_11target_archE4294967295ELNS1_3gpuE0ELNS1_3repE0EEENS1_38merge_mergepath_config_static_selectorELNS0_4arch9wavefront6targetE1EEEvSF_, .Lfunc_end1134-_ZN7rocprim17ROCPRIM_400000_NS6detail17trampoline_kernelINS0_14default_configENS1_38merge_sort_block_merge_config_selectorIyNS0_10empty_typeEEEZZNS1_27merge_sort_block_merge_implIS3_PyPS5_jNS1_19radix_merge_compareILb0ELb0EyNS0_19identity_decomposerEEEEE10hipError_tT0_T1_T2_jT3_P12ihipStream_tbPNSt15iterator_traitsISE_E10value_typeEPNSK_ISF_E10value_typeEPSG_NS1_7vsmem_tEENKUlT_SE_SF_SG_E_clIS8_S8_S9_S9_EESD_ST_SE_SF_SG_EUlST_E0_NS1_11comp_targetILNS1_3genE0ELNS1_11target_archE4294967295ELNS1_3gpuE0ELNS1_3repE0EEENS1_38merge_mergepath_config_static_selectorELNS0_4arch9wavefront6targetE1EEEvSF_
                                        ; -- End function
	.section	.AMDGPU.csdata,"",@progbits
; Kernel info:
; codeLenInByte = 0
; NumSgprs: 4
; NumVgprs: 0
; NumAgprs: 0
; TotalNumVgprs: 0
; ScratchSize: 0
; MemoryBound: 0
; FloatMode: 240
; IeeeMode: 1
; LDSByteSize: 0 bytes/workgroup (compile time only)
; SGPRBlocks: 0
; VGPRBlocks: 0
; NumSGPRsForWavesPerEU: 4
; NumVGPRsForWavesPerEU: 1
; AccumOffset: 4
; Occupancy: 8
; WaveLimiterHint : 0
; COMPUTE_PGM_RSRC2:SCRATCH_EN: 0
; COMPUTE_PGM_RSRC2:USER_SGPR: 6
; COMPUTE_PGM_RSRC2:TRAP_HANDLER: 0
; COMPUTE_PGM_RSRC2:TGID_X_EN: 1
; COMPUTE_PGM_RSRC2:TGID_Y_EN: 0
; COMPUTE_PGM_RSRC2:TGID_Z_EN: 0
; COMPUTE_PGM_RSRC2:TIDIG_COMP_CNT: 0
; COMPUTE_PGM_RSRC3_GFX90A:ACCUM_OFFSET: 0
; COMPUTE_PGM_RSRC3_GFX90A:TG_SPLIT: 0
	.section	.text._ZN7rocprim17ROCPRIM_400000_NS6detail17trampoline_kernelINS0_14default_configENS1_38merge_sort_block_merge_config_selectorIyNS0_10empty_typeEEEZZNS1_27merge_sort_block_merge_implIS3_PyPS5_jNS1_19radix_merge_compareILb0ELb0EyNS0_19identity_decomposerEEEEE10hipError_tT0_T1_T2_jT3_P12ihipStream_tbPNSt15iterator_traitsISE_E10value_typeEPNSK_ISF_E10value_typeEPSG_NS1_7vsmem_tEENKUlT_SE_SF_SG_E_clIS8_S8_S9_S9_EESD_ST_SE_SF_SG_EUlST_E0_NS1_11comp_targetILNS1_3genE10ELNS1_11target_archE1201ELNS1_3gpuE5ELNS1_3repE0EEENS1_38merge_mergepath_config_static_selectorELNS0_4arch9wavefront6targetE1EEEvSF_,"axG",@progbits,_ZN7rocprim17ROCPRIM_400000_NS6detail17trampoline_kernelINS0_14default_configENS1_38merge_sort_block_merge_config_selectorIyNS0_10empty_typeEEEZZNS1_27merge_sort_block_merge_implIS3_PyPS5_jNS1_19radix_merge_compareILb0ELb0EyNS0_19identity_decomposerEEEEE10hipError_tT0_T1_T2_jT3_P12ihipStream_tbPNSt15iterator_traitsISE_E10value_typeEPNSK_ISF_E10value_typeEPSG_NS1_7vsmem_tEENKUlT_SE_SF_SG_E_clIS8_S8_S9_S9_EESD_ST_SE_SF_SG_EUlST_E0_NS1_11comp_targetILNS1_3genE10ELNS1_11target_archE1201ELNS1_3gpuE5ELNS1_3repE0EEENS1_38merge_mergepath_config_static_selectorELNS0_4arch9wavefront6targetE1EEEvSF_,comdat
	.protected	_ZN7rocprim17ROCPRIM_400000_NS6detail17trampoline_kernelINS0_14default_configENS1_38merge_sort_block_merge_config_selectorIyNS0_10empty_typeEEEZZNS1_27merge_sort_block_merge_implIS3_PyPS5_jNS1_19radix_merge_compareILb0ELb0EyNS0_19identity_decomposerEEEEE10hipError_tT0_T1_T2_jT3_P12ihipStream_tbPNSt15iterator_traitsISE_E10value_typeEPNSK_ISF_E10value_typeEPSG_NS1_7vsmem_tEENKUlT_SE_SF_SG_E_clIS8_S8_S9_S9_EESD_ST_SE_SF_SG_EUlST_E0_NS1_11comp_targetILNS1_3genE10ELNS1_11target_archE1201ELNS1_3gpuE5ELNS1_3repE0EEENS1_38merge_mergepath_config_static_selectorELNS0_4arch9wavefront6targetE1EEEvSF_ ; -- Begin function _ZN7rocprim17ROCPRIM_400000_NS6detail17trampoline_kernelINS0_14default_configENS1_38merge_sort_block_merge_config_selectorIyNS0_10empty_typeEEEZZNS1_27merge_sort_block_merge_implIS3_PyPS5_jNS1_19radix_merge_compareILb0ELb0EyNS0_19identity_decomposerEEEEE10hipError_tT0_T1_T2_jT3_P12ihipStream_tbPNSt15iterator_traitsISE_E10value_typeEPNSK_ISF_E10value_typeEPSG_NS1_7vsmem_tEENKUlT_SE_SF_SG_E_clIS8_S8_S9_S9_EESD_ST_SE_SF_SG_EUlST_E0_NS1_11comp_targetILNS1_3genE10ELNS1_11target_archE1201ELNS1_3gpuE5ELNS1_3repE0EEENS1_38merge_mergepath_config_static_selectorELNS0_4arch9wavefront6targetE1EEEvSF_
	.globl	_ZN7rocprim17ROCPRIM_400000_NS6detail17trampoline_kernelINS0_14default_configENS1_38merge_sort_block_merge_config_selectorIyNS0_10empty_typeEEEZZNS1_27merge_sort_block_merge_implIS3_PyPS5_jNS1_19radix_merge_compareILb0ELb0EyNS0_19identity_decomposerEEEEE10hipError_tT0_T1_T2_jT3_P12ihipStream_tbPNSt15iterator_traitsISE_E10value_typeEPNSK_ISF_E10value_typeEPSG_NS1_7vsmem_tEENKUlT_SE_SF_SG_E_clIS8_S8_S9_S9_EESD_ST_SE_SF_SG_EUlST_E0_NS1_11comp_targetILNS1_3genE10ELNS1_11target_archE1201ELNS1_3gpuE5ELNS1_3repE0EEENS1_38merge_mergepath_config_static_selectorELNS0_4arch9wavefront6targetE1EEEvSF_
	.p2align	8
	.type	_ZN7rocprim17ROCPRIM_400000_NS6detail17trampoline_kernelINS0_14default_configENS1_38merge_sort_block_merge_config_selectorIyNS0_10empty_typeEEEZZNS1_27merge_sort_block_merge_implIS3_PyPS5_jNS1_19radix_merge_compareILb0ELb0EyNS0_19identity_decomposerEEEEE10hipError_tT0_T1_T2_jT3_P12ihipStream_tbPNSt15iterator_traitsISE_E10value_typeEPNSK_ISF_E10value_typeEPSG_NS1_7vsmem_tEENKUlT_SE_SF_SG_E_clIS8_S8_S9_S9_EESD_ST_SE_SF_SG_EUlST_E0_NS1_11comp_targetILNS1_3genE10ELNS1_11target_archE1201ELNS1_3gpuE5ELNS1_3repE0EEENS1_38merge_mergepath_config_static_selectorELNS0_4arch9wavefront6targetE1EEEvSF_,@function
_ZN7rocprim17ROCPRIM_400000_NS6detail17trampoline_kernelINS0_14default_configENS1_38merge_sort_block_merge_config_selectorIyNS0_10empty_typeEEEZZNS1_27merge_sort_block_merge_implIS3_PyPS5_jNS1_19radix_merge_compareILb0ELb0EyNS0_19identity_decomposerEEEEE10hipError_tT0_T1_T2_jT3_P12ihipStream_tbPNSt15iterator_traitsISE_E10value_typeEPNSK_ISF_E10value_typeEPSG_NS1_7vsmem_tEENKUlT_SE_SF_SG_E_clIS8_S8_S9_S9_EESD_ST_SE_SF_SG_EUlST_E0_NS1_11comp_targetILNS1_3genE10ELNS1_11target_archE1201ELNS1_3gpuE5ELNS1_3repE0EEENS1_38merge_mergepath_config_static_selectorELNS0_4arch9wavefront6targetE1EEEvSF_: ; @_ZN7rocprim17ROCPRIM_400000_NS6detail17trampoline_kernelINS0_14default_configENS1_38merge_sort_block_merge_config_selectorIyNS0_10empty_typeEEEZZNS1_27merge_sort_block_merge_implIS3_PyPS5_jNS1_19radix_merge_compareILb0ELb0EyNS0_19identity_decomposerEEEEE10hipError_tT0_T1_T2_jT3_P12ihipStream_tbPNSt15iterator_traitsISE_E10value_typeEPNSK_ISF_E10value_typeEPSG_NS1_7vsmem_tEENKUlT_SE_SF_SG_E_clIS8_S8_S9_S9_EESD_ST_SE_SF_SG_EUlST_E0_NS1_11comp_targetILNS1_3genE10ELNS1_11target_archE1201ELNS1_3gpuE5ELNS1_3repE0EEENS1_38merge_mergepath_config_static_selectorELNS0_4arch9wavefront6targetE1EEEvSF_
; %bb.0:
	.section	.rodata,"a",@progbits
	.p2align	6, 0x0
	.amdhsa_kernel _ZN7rocprim17ROCPRIM_400000_NS6detail17trampoline_kernelINS0_14default_configENS1_38merge_sort_block_merge_config_selectorIyNS0_10empty_typeEEEZZNS1_27merge_sort_block_merge_implIS3_PyPS5_jNS1_19radix_merge_compareILb0ELb0EyNS0_19identity_decomposerEEEEE10hipError_tT0_T1_T2_jT3_P12ihipStream_tbPNSt15iterator_traitsISE_E10value_typeEPNSK_ISF_E10value_typeEPSG_NS1_7vsmem_tEENKUlT_SE_SF_SG_E_clIS8_S8_S9_S9_EESD_ST_SE_SF_SG_EUlST_E0_NS1_11comp_targetILNS1_3genE10ELNS1_11target_archE1201ELNS1_3gpuE5ELNS1_3repE0EEENS1_38merge_mergepath_config_static_selectorELNS0_4arch9wavefront6targetE1EEEvSF_
		.amdhsa_group_segment_fixed_size 0
		.amdhsa_private_segment_fixed_size 0
		.amdhsa_kernarg_size 64
		.amdhsa_user_sgpr_count 6
		.amdhsa_user_sgpr_private_segment_buffer 1
		.amdhsa_user_sgpr_dispatch_ptr 0
		.amdhsa_user_sgpr_queue_ptr 0
		.amdhsa_user_sgpr_kernarg_segment_ptr 1
		.amdhsa_user_sgpr_dispatch_id 0
		.amdhsa_user_sgpr_flat_scratch_init 0
		.amdhsa_user_sgpr_kernarg_preload_length 0
		.amdhsa_user_sgpr_kernarg_preload_offset 0
		.amdhsa_user_sgpr_private_segment_size 0
		.amdhsa_uses_dynamic_stack 0
		.amdhsa_system_sgpr_private_segment_wavefront_offset 0
		.amdhsa_system_sgpr_workgroup_id_x 1
		.amdhsa_system_sgpr_workgroup_id_y 0
		.amdhsa_system_sgpr_workgroup_id_z 0
		.amdhsa_system_sgpr_workgroup_info 0
		.amdhsa_system_vgpr_workitem_id 0
		.amdhsa_next_free_vgpr 1
		.amdhsa_next_free_sgpr 0
		.amdhsa_accum_offset 4
		.amdhsa_reserve_vcc 0
		.amdhsa_reserve_flat_scratch 0
		.amdhsa_float_round_mode_32 0
		.amdhsa_float_round_mode_16_64 0
		.amdhsa_float_denorm_mode_32 3
		.amdhsa_float_denorm_mode_16_64 3
		.amdhsa_dx10_clamp 1
		.amdhsa_ieee_mode 1
		.amdhsa_fp16_overflow 0
		.amdhsa_tg_split 0
		.amdhsa_exception_fp_ieee_invalid_op 0
		.amdhsa_exception_fp_denorm_src 0
		.amdhsa_exception_fp_ieee_div_zero 0
		.amdhsa_exception_fp_ieee_overflow 0
		.amdhsa_exception_fp_ieee_underflow 0
		.amdhsa_exception_fp_ieee_inexact 0
		.amdhsa_exception_int_div_zero 0
	.end_amdhsa_kernel
	.section	.text._ZN7rocprim17ROCPRIM_400000_NS6detail17trampoline_kernelINS0_14default_configENS1_38merge_sort_block_merge_config_selectorIyNS0_10empty_typeEEEZZNS1_27merge_sort_block_merge_implIS3_PyPS5_jNS1_19radix_merge_compareILb0ELb0EyNS0_19identity_decomposerEEEEE10hipError_tT0_T1_T2_jT3_P12ihipStream_tbPNSt15iterator_traitsISE_E10value_typeEPNSK_ISF_E10value_typeEPSG_NS1_7vsmem_tEENKUlT_SE_SF_SG_E_clIS8_S8_S9_S9_EESD_ST_SE_SF_SG_EUlST_E0_NS1_11comp_targetILNS1_3genE10ELNS1_11target_archE1201ELNS1_3gpuE5ELNS1_3repE0EEENS1_38merge_mergepath_config_static_selectorELNS0_4arch9wavefront6targetE1EEEvSF_,"axG",@progbits,_ZN7rocprim17ROCPRIM_400000_NS6detail17trampoline_kernelINS0_14default_configENS1_38merge_sort_block_merge_config_selectorIyNS0_10empty_typeEEEZZNS1_27merge_sort_block_merge_implIS3_PyPS5_jNS1_19radix_merge_compareILb0ELb0EyNS0_19identity_decomposerEEEEE10hipError_tT0_T1_T2_jT3_P12ihipStream_tbPNSt15iterator_traitsISE_E10value_typeEPNSK_ISF_E10value_typeEPSG_NS1_7vsmem_tEENKUlT_SE_SF_SG_E_clIS8_S8_S9_S9_EESD_ST_SE_SF_SG_EUlST_E0_NS1_11comp_targetILNS1_3genE10ELNS1_11target_archE1201ELNS1_3gpuE5ELNS1_3repE0EEENS1_38merge_mergepath_config_static_selectorELNS0_4arch9wavefront6targetE1EEEvSF_,comdat
.Lfunc_end1135:
	.size	_ZN7rocprim17ROCPRIM_400000_NS6detail17trampoline_kernelINS0_14default_configENS1_38merge_sort_block_merge_config_selectorIyNS0_10empty_typeEEEZZNS1_27merge_sort_block_merge_implIS3_PyPS5_jNS1_19radix_merge_compareILb0ELb0EyNS0_19identity_decomposerEEEEE10hipError_tT0_T1_T2_jT3_P12ihipStream_tbPNSt15iterator_traitsISE_E10value_typeEPNSK_ISF_E10value_typeEPSG_NS1_7vsmem_tEENKUlT_SE_SF_SG_E_clIS8_S8_S9_S9_EESD_ST_SE_SF_SG_EUlST_E0_NS1_11comp_targetILNS1_3genE10ELNS1_11target_archE1201ELNS1_3gpuE5ELNS1_3repE0EEENS1_38merge_mergepath_config_static_selectorELNS0_4arch9wavefront6targetE1EEEvSF_, .Lfunc_end1135-_ZN7rocprim17ROCPRIM_400000_NS6detail17trampoline_kernelINS0_14default_configENS1_38merge_sort_block_merge_config_selectorIyNS0_10empty_typeEEEZZNS1_27merge_sort_block_merge_implIS3_PyPS5_jNS1_19radix_merge_compareILb0ELb0EyNS0_19identity_decomposerEEEEE10hipError_tT0_T1_T2_jT3_P12ihipStream_tbPNSt15iterator_traitsISE_E10value_typeEPNSK_ISF_E10value_typeEPSG_NS1_7vsmem_tEENKUlT_SE_SF_SG_E_clIS8_S8_S9_S9_EESD_ST_SE_SF_SG_EUlST_E0_NS1_11comp_targetILNS1_3genE10ELNS1_11target_archE1201ELNS1_3gpuE5ELNS1_3repE0EEENS1_38merge_mergepath_config_static_selectorELNS0_4arch9wavefront6targetE1EEEvSF_
                                        ; -- End function
	.section	.AMDGPU.csdata,"",@progbits
; Kernel info:
; codeLenInByte = 0
; NumSgprs: 4
; NumVgprs: 0
; NumAgprs: 0
; TotalNumVgprs: 0
; ScratchSize: 0
; MemoryBound: 0
; FloatMode: 240
; IeeeMode: 1
; LDSByteSize: 0 bytes/workgroup (compile time only)
; SGPRBlocks: 0
; VGPRBlocks: 0
; NumSGPRsForWavesPerEU: 4
; NumVGPRsForWavesPerEU: 1
; AccumOffset: 4
; Occupancy: 8
; WaveLimiterHint : 0
; COMPUTE_PGM_RSRC2:SCRATCH_EN: 0
; COMPUTE_PGM_RSRC2:USER_SGPR: 6
; COMPUTE_PGM_RSRC2:TRAP_HANDLER: 0
; COMPUTE_PGM_RSRC2:TGID_X_EN: 1
; COMPUTE_PGM_RSRC2:TGID_Y_EN: 0
; COMPUTE_PGM_RSRC2:TGID_Z_EN: 0
; COMPUTE_PGM_RSRC2:TIDIG_COMP_CNT: 0
; COMPUTE_PGM_RSRC3_GFX90A:ACCUM_OFFSET: 0
; COMPUTE_PGM_RSRC3_GFX90A:TG_SPLIT: 0
	.section	.text._ZN7rocprim17ROCPRIM_400000_NS6detail17trampoline_kernelINS0_14default_configENS1_38merge_sort_block_merge_config_selectorIyNS0_10empty_typeEEEZZNS1_27merge_sort_block_merge_implIS3_PyPS5_jNS1_19radix_merge_compareILb0ELb0EyNS0_19identity_decomposerEEEEE10hipError_tT0_T1_T2_jT3_P12ihipStream_tbPNSt15iterator_traitsISE_E10value_typeEPNSK_ISF_E10value_typeEPSG_NS1_7vsmem_tEENKUlT_SE_SF_SG_E_clIS8_S8_S9_S9_EESD_ST_SE_SF_SG_EUlST_E0_NS1_11comp_targetILNS1_3genE5ELNS1_11target_archE942ELNS1_3gpuE9ELNS1_3repE0EEENS1_38merge_mergepath_config_static_selectorELNS0_4arch9wavefront6targetE1EEEvSF_,"axG",@progbits,_ZN7rocprim17ROCPRIM_400000_NS6detail17trampoline_kernelINS0_14default_configENS1_38merge_sort_block_merge_config_selectorIyNS0_10empty_typeEEEZZNS1_27merge_sort_block_merge_implIS3_PyPS5_jNS1_19radix_merge_compareILb0ELb0EyNS0_19identity_decomposerEEEEE10hipError_tT0_T1_T2_jT3_P12ihipStream_tbPNSt15iterator_traitsISE_E10value_typeEPNSK_ISF_E10value_typeEPSG_NS1_7vsmem_tEENKUlT_SE_SF_SG_E_clIS8_S8_S9_S9_EESD_ST_SE_SF_SG_EUlST_E0_NS1_11comp_targetILNS1_3genE5ELNS1_11target_archE942ELNS1_3gpuE9ELNS1_3repE0EEENS1_38merge_mergepath_config_static_selectorELNS0_4arch9wavefront6targetE1EEEvSF_,comdat
	.protected	_ZN7rocprim17ROCPRIM_400000_NS6detail17trampoline_kernelINS0_14default_configENS1_38merge_sort_block_merge_config_selectorIyNS0_10empty_typeEEEZZNS1_27merge_sort_block_merge_implIS3_PyPS5_jNS1_19radix_merge_compareILb0ELb0EyNS0_19identity_decomposerEEEEE10hipError_tT0_T1_T2_jT3_P12ihipStream_tbPNSt15iterator_traitsISE_E10value_typeEPNSK_ISF_E10value_typeEPSG_NS1_7vsmem_tEENKUlT_SE_SF_SG_E_clIS8_S8_S9_S9_EESD_ST_SE_SF_SG_EUlST_E0_NS1_11comp_targetILNS1_3genE5ELNS1_11target_archE942ELNS1_3gpuE9ELNS1_3repE0EEENS1_38merge_mergepath_config_static_selectorELNS0_4arch9wavefront6targetE1EEEvSF_ ; -- Begin function _ZN7rocprim17ROCPRIM_400000_NS6detail17trampoline_kernelINS0_14default_configENS1_38merge_sort_block_merge_config_selectorIyNS0_10empty_typeEEEZZNS1_27merge_sort_block_merge_implIS3_PyPS5_jNS1_19radix_merge_compareILb0ELb0EyNS0_19identity_decomposerEEEEE10hipError_tT0_T1_T2_jT3_P12ihipStream_tbPNSt15iterator_traitsISE_E10value_typeEPNSK_ISF_E10value_typeEPSG_NS1_7vsmem_tEENKUlT_SE_SF_SG_E_clIS8_S8_S9_S9_EESD_ST_SE_SF_SG_EUlST_E0_NS1_11comp_targetILNS1_3genE5ELNS1_11target_archE942ELNS1_3gpuE9ELNS1_3repE0EEENS1_38merge_mergepath_config_static_selectorELNS0_4arch9wavefront6targetE1EEEvSF_
	.globl	_ZN7rocprim17ROCPRIM_400000_NS6detail17trampoline_kernelINS0_14default_configENS1_38merge_sort_block_merge_config_selectorIyNS0_10empty_typeEEEZZNS1_27merge_sort_block_merge_implIS3_PyPS5_jNS1_19radix_merge_compareILb0ELb0EyNS0_19identity_decomposerEEEEE10hipError_tT0_T1_T2_jT3_P12ihipStream_tbPNSt15iterator_traitsISE_E10value_typeEPNSK_ISF_E10value_typeEPSG_NS1_7vsmem_tEENKUlT_SE_SF_SG_E_clIS8_S8_S9_S9_EESD_ST_SE_SF_SG_EUlST_E0_NS1_11comp_targetILNS1_3genE5ELNS1_11target_archE942ELNS1_3gpuE9ELNS1_3repE0EEENS1_38merge_mergepath_config_static_selectorELNS0_4arch9wavefront6targetE1EEEvSF_
	.p2align	8
	.type	_ZN7rocprim17ROCPRIM_400000_NS6detail17trampoline_kernelINS0_14default_configENS1_38merge_sort_block_merge_config_selectorIyNS0_10empty_typeEEEZZNS1_27merge_sort_block_merge_implIS3_PyPS5_jNS1_19radix_merge_compareILb0ELb0EyNS0_19identity_decomposerEEEEE10hipError_tT0_T1_T2_jT3_P12ihipStream_tbPNSt15iterator_traitsISE_E10value_typeEPNSK_ISF_E10value_typeEPSG_NS1_7vsmem_tEENKUlT_SE_SF_SG_E_clIS8_S8_S9_S9_EESD_ST_SE_SF_SG_EUlST_E0_NS1_11comp_targetILNS1_3genE5ELNS1_11target_archE942ELNS1_3gpuE9ELNS1_3repE0EEENS1_38merge_mergepath_config_static_selectorELNS0_4arch9wavefront6targetE1EEEvSF_,@function
_ZN7rocprim17ROCPRIM_400000_NS6detail17trampoline_kernelINS0_14default_configENS1_38merge_sort_block_merge_config_selectorIyNS0_10empty_typeEEEZZNS1_27merge_sort_block_merge_implIS3_PyPS5_jNS1_19radix_merge_compareILb0ELb0EyNS0_19identity_decomposerEEEEE10hipError_tT0_T1_T2_jT3_P12ihipStream_tbPNSt15iterator_traitsISE_E10value_typeEPNSK_ISF_E10value_typeEPSG_NS1_7vsmem_tEENKUlT_SE_SF_SG_E_clIS8_S8_S9_S9_EESD_ST_SE_SF_SG_EUlST_E0_NS1_11comp_targetILNS1_3genE5ELNS1_11target_archE942ELNS1_3gpuE9ELNS1_3repE0EEENS1_38merge_mergepath_config_static_selectorELNS0_4arch9wavefront6targetE1EEEvSF_: ; @_ZN7rocprim17ROCPRIM_400000_NS6detail17trampoline_kernelINS0_14default_configENS1_38merge_sort_block_merge_config_selectorIyNS0_10empty_typeEEEZZNS1_27merge_sort_block_merge_implIS3_PyPS5_jNS1_19radix_merge_compareILb0ELb0EyNS0_19identity_decomposerEEEEE10hipError_tT0_T1_T2_jT3_P12ihipStream_tbPNSt15iterator_traitsISE_E10value_typeEPNSK_ISF_E10value_typeEPSG_NS1_7vsmem_tEENKUlT_SE_SF_SG_E_clIS8_S8_S9_S9_EESD_ST_SE_SF_SG_EUlST_E0_NS1_11comp_targetILNS1_3genE5ELNS1_11target_archE942ELNS1_3gpuE9ELNS1_3repE0EEENS1_38merge_mergepath_config_static_selectorELNS0_4arch9wavefront6targetE1EEEvSF_
; %bb.0:
	.section	.rodata,"a",@progbits
	.p2align	6, 0x0
	.amdhsa_kernel _ZN7rocprim17ROCPRIM_400000_NS6detail17trampoline_kernelINS0_14default_configENS1_38merge_sort_block_merge_config_selectorIyNS0_10empty_typeEEEZZNS1_27merge_sort_block_merge_implIS3_PyPS5_jNS1_19radix_merge_compareILb0ELb0EyNS0_19identity_decomposerEEEEE10hipError_tT0_T1_T2_jT3_P12ihipStream_tbPNSt15iterator_traitsISE_E10value_typeEPNSK_ISF_E10value_typeEPSG_NS1_7vsmem_tEENKUlT_SE_SF_SG_E_clIS8_S8_S9_S9_EESD_ST_SE_SF_SG_EUlST_E0_NS1_11comp_targetILNS1_3genE5ELNS1_11target_archE942ELNS1_3gpuE9ELNS1_3repE0EEENS1_38merge_mergepath_config_static_selectorELNS0_4arch9wavefront6targetE1EEEvSF_
		.amdhsa_group_segment_fixed_size 0
		.amdhsa_private_segment_fixed_size 0
		.amdhsa_kernarg_size 64
		.amdhsa_user_sgpr_count 6
		.amdhsa_user_sgpr_private_segment_buffer 1
		.amdhsa_user_sgpr_dispatch_ptr 0
		.amdhsa_user_sgpr_queue_ptr 0
		.amdhsa_user_sgpr_kernarg_segment_ptr 1
		.amdhsa_user_sgpr_dispatch_id 0
		.amdhsa_user_sgpr_flat_scratch_init 0
		.amdhsa_user_sgpr_kernarg_preload_length 0
		.amdhsa_user_sgpr_kernarg_preload_offset 0
		.amdhsa_user_sgpr_private_segment_size 0
		.amdhsa_uses_dynamic_stack 0
		.amdhsa_system_sgpr_private_segment_wavefront_offset 0
		.amdhsa_system_sgpr_workgroup_id_x 1
		.amdhsa_system_sgpr_workgroup_id_y 0
		.amdhsa_system_sgpr_workgroup_id_z 0
		.amdhsa_system_sgpr_workgroup_info 0
		.amdhsa_system_vgpr_workitem_id 0
		.amdhsa_next_free_vgpr 1
		.amdhsa_next_free_sgpr 0
		.amdhsa_accum_offset 4
		.amdhsa_reserve_vcc 0
		.amdhsa_reserve_flat_scratch 0
		.amdhsa_float_round_mode_32 0
		.amdhsa_float_round_mode_16_64 0
		.amdhsa_float_denorm_mode_32 3
		.amdhsa_float_denorm_mode_16_64 3
		.amdhsa_dx10_clamp 1
		.amdhsa_ieee_mode 1
		.amdhsa_fp16_overflow 0
		.amdhsa_tg_split 0
		.amdhsa_exception_fp_ieee_invalid_op 0
		.amdhsa_exception_fp_denorm_src 0
		.amdhsa_exception_fp_ieee_div_zero 0
		.amdhsa_exception_fp_ieee_overflow 0
		.amdhsa_exception_fp_ieee_underflow 0
		.amdhsa_exception_fp_ieee_inexact 0
		.amdhsa_exception_int_div_zero 0
	.end_amdhsa_kernel
	.section	.text._ZN7rocprim17ROCPRIM_400000_NS6detail17trampoline_kernelINS0_14default_configENS1_38merge_sort_block_merge_config_selectorIyNS0_10empty_typeEEEZZNS1_27merge_sort_block_merge_implIS3_PyPS5_jNS1_19radix_merge_compareILb0ELb0EyNS0_19identity_decomposerEEEEE10hipError_tT0_T1_T2_jT3_P12ihipStream_tbPNSt15iterator_traitsISE_E10value_typeEPNSK_ISF_E10value_typeEPSG_NS1_7vsmem_tEENKUlT_SE_SF_SG_E_clIS8_S8_S9_S9_EESD_ST_SE_SF_SG_EUlST_E0_NS1_11comp_targetILNS1_3genE5ELNS1_11target_archE942ELNS1_3gpuE9ELNS1_3repE0EEENS1_38merge_mergepath_config_static_selectorELNS0_4arch9wavefront6targetE1EEEvSF_,"axG",@progbits,_ZN7rocprim17ROCPRIM_400000_NS6detail17trampoline_kernelINS0_14default_configENS1_38merge_sort_block_merge_config_selectorIyNS0_10empty_typeEEEZZNS1_27merge_sort_block_merge_implIS3_PyPS5_jNS1_19radix_merge_compareILb0ELb0EyNS0_19identity_decomposerEEEEE10hipError_tT0_T1_T2_jT3_P12ihipStream_tbPNSt15iterator_traitsISE_E10value_typeEPNSK_ISF_E10value_typeEPSG_NS1_7vsmem_tEENKUlT_SE_SF_SG_E_clIS8_S8_S9_S9_EESD_ST_SE_SF_SG_EUlST_E0_NS1_11comp_targetILNS1_3genE5ELNS1_11target_archE942ELNS1_3gpuE9ELNS1_3repE0EEENS1_38merge_mergepath_config_static_selectorELNS0_4arch9wavefront6targetE1EEEvSF_,comdat
.Lfunc_end1136:
	.size	_ZN7rocprim17ROCPRIM_400000_NS6detail17trampoline_kernelINS0_14default_configENS1_38merge_sort_block_merge_config_selectorIyNS0_10empty_typeEEEZZNS1_27merge_sort_block_merge_implIS3_PyPS5_jNS1_19radix_merge_compareILb0ELb0EyNS0_19identity_decomposerEEEEE10hipError_tT0_T1_T2_jT3_P12ihipStream_tbPNSt15iterator_traitsISE_E10value_typeEPNSK_ISF_E10value_typeEPSG_NS1_7vsmem_tEENKUlT_SE_SF_SG_E_clIS8_S8_S9_S9_EESD_ST_SE_SF_SG_EUlST_E0_NS1_11comp_targetILNS1_3genE5ELNS1_11target_archE942ELNS1_3gpuE9ELNS1_3repE0EEENS1_38merge_mergepath_config_static_selectorELNS0_4arch9wavefront6targetE1EEEvSF_, .Lfunc_end1136-_ZN7rocprim17ROCPRIM_400000_NS6detail17trampoline_kernelINS0_14default_configENS1_38merge_sort_block_merge_config_selectorIyNS0_10empty_typeEEEZZNS1_27merge_sort_block_merge_implIS3_PyPS5_jNS1_19radix_merge_compareILb0ELb0EyNS0_19identity_decomposerEEEEE10hipError_tT0_T1_T2_jT3_P12ihipStream_tbPNSt15iterator_traitsISE_E10value_typeEPNSK_ISF_E10value_typeEPSG_NS1_7vsmem_tEENKUlT_SE_SF_SG_E_clIS8_S8_S9_S9_EESD_ST_SE_SF_SG_EUlST_E0_NS1_11comp_targetILNS1_3genE5ELNS1_11target_archE942ELNS1_3gpuE9ELNS1_3repE0EEENS1_38merge_mergepath_config_static_selectorELNS0_4arch9wavefront6targetE1EEEvSF_
                                        ; -- End function
	.section	.AMDGPU.csdata,"",@progbits
; Kernel info:
; codeLenInByte = 0
; NumSgprs: 4
; NumVgprs: 0
; NumAgprs: 0
; TotalNumVgprs: 0
; ScratchSize: 0
; MemoryBound: 0
; FloatMode: 240
; IeeeMode: 1
; LDSByteSize: 0 bytes/workgroup (compile time only)
; SGPRBlocks: 0
; VGPRBlocks: 0
; NumSGPRsForWavesPerEU: 4
; NumVGPRsForWavesPerEU: 1
; AccumOffset: 4
; Occupancy: 8
; WaveLimiterHint : 0
; COMPUTE_PGM_RSRC2:SCRATCH_EN: 0
; COMPUTE_PGM_RSRC2:USER_SGPR: 6
; COMPUTE_PGM_RSRC2:TRAP_HANDLER: 0
; COMPUTE_PGM_RSRC2:TGID_X_EN: 1
; COMPUTE_PGM_RSRC2:TGID_Y_EN: 0
; COMPUTE_PGM_RSRC2:TGID_Z_EN: 0
; COMPUTE_PGM_RSRC2:TIDIG_COMP_CNT: 0
; COMPUTE_PGM_RSRC3_GFX90A:ACCUM_OFFSET: 0
; COMPUTE_PGM_RSRC3_GFX90A:TG_SPLIT: 0
	.section	.text._ZN7rocprim17ROCPRIM_400000_NS6detail17trampoline_kernelINS0_14default_configENS1_38merge_sort_block_merge_config_selectorIyNS0_10empty_typeEEEZZNS1_27merge_sort_block_merge_implIS3_PyPS5_jNS1_19radix_merge_compareILb0ELb0EyNS0_19identity_decomposerEEEEE10hipError_tT0_T1_T2_jT3_P12ihipStream_tbPNSt15iterator_traitsISE_E10value_typeEPNSK_ISF_E10value_typeEPSG_NS1_7vsmem_tEENKUlT_SE_SF_SG_E_clIS8_S8_S9_S9_EESD_ST_SE_SF_SG_EUlST_E0_NS1_11comp_targetILNS1_3genE4ELNS1_11target_archE910ELNS1_3gpuE8ELNS1_3repE0EEENS1_38merge_mergepath_config_static_selectorELNS0_4arch9wavefront6targetE1EEEvSF_,"axG",@progbits,_ZN7rocprim17ROCPRIM_400000_NS6detail17trampoline_kernelINS0_14default_configENS1_38merge_sort_block_merge_config_selectorIyNS0_10empty_typeEEEZZNS1_27merge_sort_block_merge_implIS3_PyPS5_jNS1_19radix_merge_compareILb0ELb0EyNS0_19identity_decomposerEEEEE10hipError_tT0_T1_T2_jT3_P12ihipStream_tbPNSt15iterator_traitsISE_E10value_typeEPNSK_ISF_E10value_typeEPSG_NS1_7vsmem_tEENKUlT_SE_SF_SG_E_clIS8_S8_S9_S9_EESD_ST_SE_SF_SG_EUlST_E0_NS1_11comp_targetILNS1_3genE4ELNS1_11target_archE910ELNS1_3gpuE8ELNS1_3repE0EEENS1_38merge_mergepath_config_static_selectorELNS0_4arch9wavefront6targetE1EEEvSF_,comdat
	.protected	_ZN7rocprim17ROCPRIM_400000_NS6detail17trampoline_kernelINS0_14default_configENS1_38merge_sort_block_merge_config_selectorIyNS0_10empty_typeEEEZZNS1_27merge_sort_block_merge_implIS3_PyPS5_jNS1_19radix_merge_compareILb0ELb0EyNS0_19identity_decomposerEEEEE10hipError_tT0_T1_T2_jT3_P12ihipStream_tbPNSt15iterator_traitsISE_E10value_typeEPNSK_ISF_E10value_typeEPSG_NS1_7vsmem_tEENKUlT_SE_SF_SG_E_clIS8_S8_S9_S9_EESD_ST_SE_SF_SG_EUlST_E0_NS1_11comp_targetILNS1_3genE4ELNS1_11target_archE910ELNS1_3gpuE8ELNS1_3repE0EEENS1_38merge_mergepath_config_static_selectorELNS0_4arch9wavefront6targetE1EEEvSF_ ; -- Begin function _ZN7rocprim17ROCPRIM_400000_NS6detail17trampoline_kernelINS0_14default_configENS1_38merge_sort_block_merge_config_selectorIyNS0_10empty_typeEEEZZNS1_27merge_sort_block_merge_implIS3_PyPS5_jNS1_19radix_merge_compareILb0ELb0EyNS0_19identity_decomposerEEEEE10hipError_tT0_T1_T2_jT3_P12ihipStream_tbPNSt15iterator_traitsISE_E10value_typeEPNSK_ISF_E10value_typeEPSG_NS1_7vsmem_tEENKUlT_SE_SF_SG_E_clIS8_S8_S9_S9_EESD_ST_SE_SF_SG_EUlST_E0_NS1_11comp_targetILNS1_3genE4ELNS1_11target_archE910ELNS1_3gpuE8ELNS1_3repE0EEENS1_38merge_mergepath_config_static_selectorELNS0_4arch9wavefront6targetE1EEEvSF_
	.globl	_ZN7rocprim17ROCPRIM_400000_NS6detail17trampoline_kernelINS0_14default_configENS1_38merge_sort_block_merge_config_selectorIyNS0_10empty_typeEEEZZNS1_27merge_sort_block_merge_implIS3_PyPS5_jNS1_19radix_merge_compareILb0ELb0EyNS0_19identity_decomposerEEEEE10hipError_tT0_T1_T2_jT3_P12ihipStream_tbPNSt15iterator_traitsISE_E10value_typeEPNSK_ISF_E10value_typeEPSG_NS1_7vsmem_tEENKUlT_SE_SF_SG_E_clIS8_S8_S9_S9_EESD_ST_SE_SF_SG_EUlST_E0_NS1_11comp_targetILNS1_3genE4ELNS1_11target_archE910ELNS1_3gpuE8ELNS1_3repE0EEENS1_38merge_mergepath_config_static_selectorELNS0_4arch9wavefront6targetE1EEEvSF_
	.p2align	8
	.type	_ZN7rocprim17ROCPRIM_400000_NS6detail17trampoline_kernelINS0_14default_configENS1_38merge_sort_block_merge_config_selectorIyNS0_10empty_typeEEEZZNS1_27merge_sort_block_merge_implIS3_PyPS5_jNS1_19radix_merge_compareILb0ELb0EyNS0_19identity_decomposerEEEEE10hipError_tT0_T1_T2_jT3_P12ihipStream_tbPNSt15iterator_traitsISE_E10value_typeEPNSK_ISF_E10value_typeEPSG_NS1_7vsmem_tEENKUlT_SE_SF_SG_E_clIS8_S8_S9_S9_EESD_ST_SE_SF_SG_EUlST_E0_NS1_11comp_targetILNS1_3genE4ELNS1_11target_archE910ELNS1_3gpuE8ELNS1_3repE0EEENS1_38merge_mergepath_config_static_selectorELNS0_4arch9wavefront6targetE1EEEvSF_,@function
_ZN7rocprim17ROCPRIM_400000_NS6detail17trampoline_kernelINS0_14default_configENS1_38merge_sort_block_merge_config_selectorIyNS0_10empty_typeEEEZZNS1_27merge_sort_block_merge_implIS3_PyPS5_jNS1_19radix_merge_compareILb0ELb0EyNS0_19identity_decomposerEEEEE10hipError_tT0_T1_T2_jT3_P12ihipStream_tbPNSt15iterator_traitsISE_E10value_typeEPNSK_ISF_E10value_typeEPSG_NS1_7vsmem_tEENKUlT_SE_SF_SG_E_clIS8_S8_S9_S9_EESD_ST_SE_SF_SG_EUlST_E0_NS1_11comp_targetILNS1_3genE4ELNS1_11target_archE910ELNS1_3gpuE8ELNS1_3repE0EEENS1_38merge_mergepath_config_static_selectorELNS0_4arch9wavefront6targetE1EEEvSF_: ; @_ZN7rocprim17ROCPRIM_400000_NS6detail17trampoline_kernelINS0_14default_configENS1_38merge_sort_block_merge_config_selectorIyNS0_10empty_typeEEEZZNS1_27merge_sort_block_merge_implIS3_PyPS5_jNS1_19radix_merge_compareILb0ELb0EyNS0_19identity_decomposerEEEEE10hipError_tT0_T1_T2_jT3_P12ihipStream_tbPNSt15iterator_traitsISE_E10value_typeEPNSK_ISF_E10value_typeEPSG_NS1_7vsmem_tEENKUlT_SE_SF_SG_E_clIS8_S8_S9_S9_EESD_ST_SE_SF_SG_EUlST_E0_NS1_11comp_targetILNS1_3genE4ELNS1_11target_archE910ELNS1_3gpuE8ELNS1_3repE0EEENS1_38merge_mergepath_config_static_selectorELNS0_4arch9wavefront6targetE1EEEvSF_
; %bb.0:
	s_load_dwordx2 s[14:15], s[4:5], 0x40
	s_load_dword s3, s[4:5], 0x30
	s_add_u32 s0, s4, 64
	s_addc_u32 s1, s5, 0
	s_waitcnt lgkmcnt(0)
	s_mul_i32 s2, s15, s8
	s_add_i32 s2, s2, s7
	s_mul_i32 s2, s2, s14
	s_add_i32 s2, s2, s6
	s_cmp_ge_u32 s2, s3
	s_cbranch_scc1 .LBB1137_31
; %bb.1:
	s_load_dwordx2 s[8:9], s[4:5], 0x28
	s_load_dwordx2 s[10:11], s[4:5], 0x38
	;; [unrolled: 1-line block ×3, first 2 shown]
	s_mov_b32 s3, 0
	v_mov_b32_e32 v9, 0
	s_waitcnt lgkmcnt(0)
	s_lshr_b32 s7, s8, 10
	s_cmp_lg_u32 s2, s7
	s_cselect_b64 s[12:13], -1, 0
	s_lshl_b64 s[18:19], s[2:3], 2
	s_add_u32 s10, s10, s18
	s_addc_u32 s11, s11, s19
	s_load_dwordx2 s[18:19], s[10:11], 0x0
	s_lshr_b32 s10, s9, 9
	s_and_b32 s10, s10, 0x7ffffe
	s_sub_i32 s11, 0, s10
	s_and_b32 s15, s2, s11
	s_lshl_b32 s21, s15, 10
	s_lshl_b32 s10, s2, 10
	;; [unrolled: 1-line block ×3, first 2 shown]
	s_sub_i32 s20, s10, s21
	s_add_i32 s15, s15, s9
	s_add_i32 s22, s15, s20
	s_waitcnt lgkmcnt(0)
	s_sub_i32 s20, s22, s18
	s_sub_i32 s22, s22, s19
	;; [unrolled: 1-line block ×3, first 2 shown]
	s_min_u32 s20, s8, s20
	s_addk_i32 s22, 0x400
	s_or_b32 s11, s2, s11
	s_min_u32 s21, s8, s15
	s_add_i32 s15, s15, s9
	s_cmp_eq_u32 s11, -1
	s_cselect_b32 s9, s15, s22
	s_cselect_b32 s11, s21, s19
	s_min_u32 s15, s9, s8
	s_mov_b32 s19, s3
	s_sub_i32 s9, s11, s18
	s_sub_i32 s15, s15, s20
	s_lshl_b64 s[18:19], s[18:19], 3
	s_add_u32 s18, s16, s18
	s_mov_b32 s21, s3
	s_addc_u32 s19, s17, s19
	s_lshl_b64 s[20:21], s[20:21], 3
	s_add_u32 s16, s16, s20
	s_addc_u32 s17, s17, s21
	s_cmp_lt_u32 s6, s14
	s_cselect_b32 s3, 12, 18
	global_load_dword v1, v9, s[0:1] offset:14
	s_add_u32 s0, s0, s3
	s_addc_u32 s1, s1, 0
	global_load_ushort v2, v9, s[0:1]
	s_cmp_eq_u32 s2, s7
	s_waitcnt vmcnt(1)
	v_lshrrev_b32_e32 v3, 16, v1
	v_and_b32_e32 v1, 0xffff, v1
	v_mul_lo_u32 v1, v1, v3
	s_waitcnt vmcnt(0)
	v_mul_lo_u32 v14, v1, v2
	v_add_u32_e32 v12, v14, v0
	v_lshlrev_b32_e32 v1, 3, v0
	v_add_u32_e32 v10, v12, v14
	s_cbranch_scc1 .LBB1137_3
; %bb.2:
	v_mov_b32_e32 v2, s19
	v_add_co_u32_e32 v4, vcc, s18, v1
	v_subrev_u32_e32 v8, s9, v0
	v_addc_co_u32_e32 v5, vcc, 0, v2, vcc
	v_lshlrev_b64 v[2:3], 3, v[8:9]
	v_mov_b32_e32 v6, s17
	v_add_co_u32_e32 v2, vcc, s16, v2
	v_addc_co_u32_e32 v3, vcc, v6, v3, vcc
	v_cmp_gt_u32_e32 vcc, s9, v0
	v_mov_b32_e32 v13, v9
	v_cndmask_b32_e32 v3, v3, v5, vcc
	v_cndmask_b32_e32 v2, v2, v4, vcc
	v_lshlrev_b64 v[4:5], 3, v[12:13]
	v_mov_b32_e32 v6, s19
	v_add_co_u32_e32 v7, vcc, s18, v4
	v_subrev_u32_e32 v8, s9, v12
	v_addc_co_u32_e32 v6, vcc, v6, v5, vcc
	v_lshlrev_b64 v[4:5], 3, v[8:9]
	v_mov_b32_e32 v8, s17
	v_add_co_u32_e32 v4, vcc, s16, v4
	v_addc_co_u32_e32 v5, vcc, v8, v5, vcc
	v_cmp_gt_u32_e32 vcc, s9, v12
	v_mov_b32_e32 v11, v9
	v_cndmask_b32_e32 v5, v5, v6, vcc
	v_cndmask_b32_e32 v4, v4, v7, vcc
	v_lshlrev_b64 v[6:7], 3, v[10:11]
	v_mov_b32_e32 v8, s19
	v_add_co_u32_e32 v11, vcc, s18, v6
	v_addc_co_u32_e32 v13, vcc, v8, v7, vcc
	v_subrev_u32_e32 v8, s9, v10
	v_lshlrev_b64 v[6:7], 3, v[8:9]
	v_mov_b32_e32 v8, s17
	v_add_co_u32_e32 v6, vcc, s16, v6
	v_addc_co_u32_e32 v7, vcc, v8, v7, vcc
	v_add_u32_e32 v8, v10, v14
	v_cmp_gt_u32_e32 vcc, s9, v10
	v_lshlrev_b64 v[16:17], 3, v[8:9]
	v_cndmask_b32_e32 v7, v7, v13, vcc
	v_cndmask_b32_e32 v6, v6, v11, vcc
	v_mov_b32_e32 v11, s19
	v_add_co_u32_e32 v13, vcc, s18, v16
	v_addc_co_u32_e32 v11, vcc, v11, v17, vcc
	v_cmp_gt_u32_e32 vcc, s9, v8
	v_subrev_u32_e32 v8, s9, v8
	v_lshlrev_b64 v[8:9], 3, v[8:9]
	v_mov_b32_e32 v15, s17
	v_add_co_u32_e64 v8, s[0:1], s16, v8
	v_addc_co_u32_e64 v9, s[0:1], v15, v9, s[0:1]
	v_cndmask_b32_e32 v9, v9, v11, vcc
	v_cndmask_b32_e32 v8, v8, v13, vcc
	global_load_dwordx2 v[2:3], v[2:3], off
	s_add_i32 s11, s15, s9
	global_load_dwordx2 v[4:5], v[4:5], off
	s_nop 0
	global_load_dwordx2 v[6:7], v[6:7], off
	s_nop 0
	global_load_dwordx2 v[8:9], v[8:9], off
	s_load_dwordx2 s[6:7], s[4:5], 0x10
	s_cbranch_execz .LBB1137_4
	s_branch .LBB1137_11
.LBB1137_3:
                                        ; implicit-def: $vgpr2_vgpr3_vgpr4_vgpr5_vgpr6_vgpr7_vgpr8_vgpr9
                                        ; implicit-def: $sgpr11
	s_load_dwordx2 s[6:7], s[4:5], 0x10
.LBB1137_4:
	s_add_i32 s11, s15, s9
	v_cmp_gt_u32_e32 vcc, s11, v0
                                        ; implicit-def: $vgpr2_vgpr3_vgpr4_vgpr5_vgpr6_vgpr7_vgpr8_vgpr9
	s_and_saveexec_b64 s[0:1], vcc
	s_cbranch_execnz .LBB1137_32
; %bb.5:
	s_or_b64 exec, exec, s[0:1]
	v_cmp_gt_u32_e32 vcc, s11, v12
	s_and_saveexec_b64 s[2:3], vcc
	s_cbranch_execnz .LBB1137_33
.LBB1137_6:
	s_or_b64 exec, exec, s[2:3]
	v_cmp_gt_u32_e32 vcc, s11, v10
	s_and_saveexec_b64 s[0:1], vcc
	s_cbranch_execz .LBB1137_8
.LBB1137_7:
	v_mov_b32_e32 v11, 0
	s_waitcnt vmcnt(1)
	v_lshlrev_b64 v[6:7], 3, v[10:11]
	v_mov_b32_e32 v12, s19
	v_add_co_u32_e32 v13, vcc, s18, v6
	v_addc_co_u32_e32 v12, vcc, v12, v7, vcc
	v_subrev_u32_e32 v6, s9, v10
	v_mov_b32_e32 v7, v11
	v_lshlrev_b64 v[6:7], 3, v[6:7]
	v_mov_b32_e32 v11, s17
	v_add_co_u32_e32 v6, vcc, s16, v6
	v_addc_co_u32_e32 v7, vcc, v11, v7, vcc
	v_cmp_gt_u32_e32 vcc, s9, v10
	v_cndmask_b32_e32 v7, v7, v12, vcc
	v_cndmask_b32_e32 v6, v6, v13, vcc
	global_load_dwordx2 v[6:7], v[6:7], off
.LBB1137_8:
	s_or_b64 exec, exec, s[0:1]
	v_add_u32_e32 v10, v10, v14
	v_cmp_gt_u32_e32 vcc, s11, v10
	s_and_saveexec_b64 s[2:3], vcc
	s_cbranch_execz .LBB1137_10
; %bb.9:
	v_mov_b32_e32 v11, 0
	s_waitcnt vmcnt(0)
	v_lshlrev_b64 v[8:9], 3, v[10:11]
	v_mov_b32_e32 v12, s19
	v_add_co_u32_e32 v13, vcc, s18, v8
	v_addc_co_u32_e32 v12, vcc, v12, v9, vcc
	v_cmp_gt_u32_e32 vcc, s9, v10
	v_subrev_u32_e32 v10, s9, v10
	v_lshlrev_b64 v[8:9], 3, v[10:11]
	v_mov_b32_e32 v10, s17
	v_add_co_u32_e64 v8, s[0:1], s16, v8
	v_addc_co_u32_e64 v9, s[0:1], v10, v9, s[0:1]
	v_cndmask_b32_e32 v9, v9, v12, vcc
	v_cndmask_b32_e32 v8, v8, v13, vcc
	global_load_dwordx2 v[8:9], v[8:9], off
.LBB1137_10:
	s_or_b64 exec, exec, s[2:3]
.LBB1137_11:
	v_lshlrev_b32_e32 v10, 2, v0
	v_min_u32_e32 v12, s11, v10
	v_sub_u32_e64 v11, v12, s15 clamp
	v_min_u32_e32 v13, s9, v12
	v_cmp_lt_u32_e32 vcc, v11, v13
	s_waitcnt vmcnt(0)
	ds_write2st64_b64 v1, v[2:3], v[4:5] offset1:4
	ds_write2st64_b64 v1, v[6:7], v[8:9] offset0:8 offset1:12
	s_waitcnt lgkmcnt(0)
	s_barrier
	s_and_saveexec_b64 s[0:1], vcc
	s_cbranch_execz .LBB1137_15
; %bb.12:
	v_lshlrev_b32_e32 v14, 3, v12
	v_lshl_add_u32 v14, s9, 3, v14
	s_mov_b64 s[2:3], 0
.LBB1137_13:                            ; =>This Inner Loop Header: Depth=1
	v_add_u32_e32 v15, v13, v11
	v_lshrrev_b32_e32 v15, 1, v15
	v_not_b32_e32 v16, v15
	v_lshlrev_b32_e32 v17, 3, v15
	v_lshl_add_u32 v18, v16, 3, v14
	ds_read_b64 v[16:17], v17
	ds_read_b64 v[18:19], v18
	v_add_u32_e32 v20, 1, v15
	s_waitcnt lgkmcnt(0)
	v_cmp_gt_u64_e32 vcc, v[16:17], v[18:19]
	v_cndmask_b32_e32 v13, v13, v15, vcc
	v_cndmask_b32_e32 v11, v20, v11, vcc
	v_cmp_ge_u32_e32 vcc, v11, v13
	s_or_b64 s[2:3], vcc, s[2:3]
	s_andn2_b64 exec, exec, s[2:3]
	s_cbranch_execnz .LBB1137_13
; %bb.14:
	s_or_b64 exec, exec, s[2:3]
.LBB1137_15:
	s_or_b64 exec, exec, s[0:1]
	v_sub_u32_e32 v12, v12, v11
	v_add_u32_e32 v12, s9, v12
	v_cmp_ge_u32_e32 vcc, s9, v11
	v_cmp_ge_u32_e64 s[0:1], s11, v12
	s_or_b64 s[0:1], vcc, s[0:1]
	s_and_saveexec_b64 s[14:15], s[0:1]
	s_cbranch_execz .LBB1137_21
; %bb.16:
	v_cmp_gt_u32_e32 vcc, s9, v11
                                        ; implicit-def: $vgpr2_vgpr3
	s_and_saveexec_b64 s[0:1], vcc
	s_cbranch_execz .LBB1137_18
; %bb.17:
	v_lshlrev_b32_e32 v2, 3, v11
	ds_read_b64 v[2:3], v2
.LBB1137_18:
	s_or_b64 exec, exec, s[0:1]
	v_cmp_le_u32_e64 s[0:1], s11, v12
	v_cmp_gt_u32_e64 s[2:3], s11, v12
                                        ; implicit-def: $vgpr4_vgpr5
	s_and_saveexec_b64 s[4:5], s[2:3]
	s_cbranch_execz .LBB1137_20
; %bb.19:
	v_lshlrev_b32_e32 v4, 3, v12
	ds_read_b64 v[4:5], v4
.LBB1137_20:
	s_or_b64 exec, exec, s[4:5]
	s_waitcnt lgkmcnt(0)
	v_cmp_le_u64_e64 s[2:3], v[2:3], v[4:5]
	s_and_b64 s[2:3], vcc, s[2:3]
	s_or_b64 vcc, s[0:1], s[2:3]
	v_mov_b32_e32 v16, s11
	v_mov_b32_e32 v17, s9
	v_cndmask_b32_e32 v6, v12, v11, vcc
	v_cndmask_b32_e32 v7, v16, v17, vcc
	v_add_u32_e32 v13, 1, v6
	v_add_u32_e32 v6, -1, v7
	v_min_u32_e32 v6, v13, v6
	v_lshlrev_b32_e32 v6, 3, v6
	ds_read_b64 v[6:7], v6
	v_cndmask_b32_e32 v11, v11, v13, vcc
	v_cndmask_b32_e32 v18, v13, v12, vcc
	v_cmp_gt_u32_e64 s[2:3], s9, v11
	v_cmp_le_u32_e64 s[0:1], s11, v18
	s_waitcnt lgkmcnt(0)
	v_cndmask_b32_e32 v9, v7, v5, vcc
	v_cndmask_b32_e32 v8, v6, v4, vcc
	;; [unrolled: 1-line block ×4, first 2 shown]
	v_cmp_le_u64_e64 s[4:5], v[6:7], v[8:9]
	s_and_b64 s[2:3], s[2:3], s[4:5]
	s_or_b64 s[0:1], s[0:1], s[2:3]
	v_cndmask_b32_e64 v12, v18, v11, s[0:1]
	v_cndmask_b32_e64 v13, v16, v17, s[0:1]
	v_add_u32_e32 v19, 1, v12
	v_add_u32_e32 v12, -1, v13
	v_min_u32_e32 v12, v19, v12
	v_lshlrev_b32_e32 v12, 3, v12
	ds_read_b64 v[12:13], v12
	v_cndmask_b32_e64 v11, v11, v19, s[0:1]
	v_cndmask_b32_e64 v18, v19, v18, s[0:1]
	v_cmp_gt_u32_e64 s[2:3], s9, v11
	v_cndmask_b32_e32 v3, v5, v3, vcc
	s_waitcnt lgkmcnt(0)
	v_cndmask_b32_e64 v15, v13, v9, s[0:1]
	v_cndmask_b32_e64 v14, v12, v8, s[0:1]
	;; [unrolled: 1-line block ×4, first 2 shown]
	v_cmp_le_u64_e64 s[4:5], v[12:13], v[14:15]
	v_cndmask_b32_e32 v2, v4, v2, vcc
	v_cmp_le_u32_e32 vcc, s11, v18
	s_and_b64 s[2:3], s[2:3], s[4:5]
	s_or_b64 vcc, vcc, s[2:3]
	v_cndmask_b32_e32 v4, v18, v11, vcc
	v_cndmask_b32_e32 v5, v16, v17, vcc
	v_add_u32_e32 v19, 1, v4
	v_add_u32_e32 v4, -1, v5
	v_min_u32_e32 v4, v19, v4
	v_lshlrev_b32_e32 v4, 3, v4
	ds_read_b64 v[16:17], v4
	v_cndmask_b32_e64 v5, v9, v7, s[0:1]
	v_cndmask_b32_e64 v4, v8, v6, s[0:1]
	v_cndmask_b32_e32 v7, v15, v13, vcc
	v_cndmask_b32_e32 v6, v14, v12, vcc
	s_waitcnt lgkmcnt(0)
	v_cndmask_b32_e32 v9, v17, v15, vcc
	v_cndmask_b32_e32 v8, v16, v14, vcc
	;; [unrolled: 1-line block ×6, first 2 shown]
	v_cmp_gt_u32_e64 s[0:1], s9, v11
	v_cmp_le_u64_e64 s[2:3], v[12:13], v[8:9]
	v_cmp_le_u32_e32 vcc, s11, v14
	s_and_b64 s[0:1], s[0:1], s[2:3]
	s_or_b64 vcc, vcc, s[0:1]
	v_cndmask_b32_e32 v9, v9, v13, vcc
	v_cndmask_b32_e32 v8, v8, v12, vcc
.LBB1137_21:
	s_or_b64 exec, exec, s[14:15]
	v_and_b32_e32 v11, 0xf8, v0
	v_lshl_add_u32 v10, v10, 3, v11
	s_barrier
	s_barrier
	ds_write2_b64 v10, v[2:3], v[4:5] offset1:1
	ds_write2_b64 v10, v[6:7], v[8:9] offset0:2 offset1:3
	v_lshrrev_b32_e32 v2, 2, v0
	v_and_b32_e32 v2, 56, v2
	v_or_b32_e32 v12, 0x100, v0
	v_add_u32_e32 v13, v1, v2
	v_lshrrev_b32_e32 v2, 2, v12
	v_and_b32_e32 v2, 0x78, v2
	v_or_b32_e32 v11, 0x200, v0
	s_mov_b32 s11, 0
	v_add_u32_e32 v6, v1, v2
	v_lshrrev_b32_e32 v2, 2, v11
	s_lshl_b64 s[0:1], s[10:11], 3
	v_and_b32_e32 v2, 0xb8, v2
	v_or_b32_e32 v10, 0x300, v0
	s_add_u32 s0, s6, s0
	v_add_u32_e32 v7, v1, v2
	v_lshrrev_b32_e32 v2, 2, v10
	s_addc_u32 s1, s7, s1
	v_and_b32_e32 v2, 0xf8, v2
	v_add_u32_e32 v14, v1, v2
	v_mov_b32_e32 v3, s1
	v_add_co_u32_e32 v2, vcc, s0, v1
	v_addc_co_u32_e32 v3, vcc, 0, v3, vcc
	s_and_b64 vcc, exec, s[12:13]
	s_waitcnt lgkmcnt(0)
	s_cbranch_vccz .LBB1137_23
; %bb.22:
	s_barrier
	ds_read_b64 v[8:9], v13
	ds_read_b64 v[16:17], v6 offset:2048
	ds_read_b64 v[18:19], v7 offset:4096
	;; [unrolled: 1-line block ×3, first 2 shown]
	s_waitcnt lgkmcnt(3)
	global_store_dwordx2 v[2:3], v[8:9], off
	s_waitcnt lgkmcnt(2)
	global_store_dwordx2 v[2:3], v[16:17], off offset:2048
	v_add_co_u32_e32 v8, vcc, 0x1000, v2
	v_addc_co_u32_e32 v9, vcc, 0, v3, vcc
	s_waitcnt lgkmcnt(1)
	global_store_dwordx2 v[8:9], v[18:19], off
	s_mov_b64 s[0:1], -1
	s_cbranch_execz .LBB1137_24
	s_branch .LBB1137_29
.LBB1137_23:
	s_mov_b64 s[0:1], 0
                                        ; implicit-def: $vgpr4_vgpr5
.LBB1137_24:
	s_barrier
	s_waitcnt lgkmcnt(0)
	ds_read_b64 v[8:9], v6 offset:2048
	ds_read_b64 v[6:7], v7 offset:4096
	;; [unrolled: 1-line block ×3, first 2 shown]
	s_sub_i32 s2, s8, s10
	v_cmp_gt_u32_e32 vcc, s2, v0
	s_and_saveexec_b64 s[0:1], vcc
	s_cbranch_execnz .LBB1137_34
; %bb.25:
	s_or_b64 exec, exec, s[0:1]
	v_cmp_gt_u32_e32 vcc, s2, v12
	s_and_saveexec_b64 s[0:1], vcc
	s_cbranch_execnz .LBB1137_35
.LBB1137_26:
	s_or_b64 exec, exec, s[0:1]
	v_cmp_gt_u32_e32 vcc, s2, v11
	s_and_saveexec_b64 s[0:1], vcc
	s_cbranch_execz .LBB1137_28
.LBB1137_27:
	v_add_co_u32_e32 v0, vcc, 0x1000, v2
	v_addc_co_u32_e32 v1, vcc, 0, v3, vcc
	s_waitcnt lgkmcnt(1)
	global_store_dwordx2 v[0:1], v[6:7], off
.LBB1137_28:
	s_or_b64 exec, exec, s[0:1]
	v_cmp_gt_u32_e64 s[0:1], s2, v10
.LBB1137_29:
	s_and_saveexec_b64 s[2:3], s[0:1]
	s_cbranch_execz .LBB1137_31
; %bb.30:
	v_add_co_u32_e32 v0, vcc, 0x1000, v2
	v_addc_co_u32_e32 v1, vcc, 0, v3, vcc
	s_waitcnt lgkmcnt(0)
	global_store_dwordx2 v[0:1], v[4:5], off offset:2048
.LBB1137_31:
	s_endpgm
.LBB1137_32:
	s_waitcnt vmcnt(3)
	v_mov_b32_e32 v2, s19
	s_waitcnt vmcnt(2)
	v_add_co_u32_e32 v4, vcc, s18, v1
	v_mov_b32_e32 v3, 0
	v_addc_co_u32_e32 v5, vcc, 0, v2, vcc
	v_subrev_u32_e32 v2, s9, v0
	v_lshlrev_b64 v[2:3], 3, v[2:3]
	s_waitcnt vmcnt(1)
	v_mov_b32_e32 v6, s17
	v_add_co_u32_e32 v2, vcc, s16, v2
	v_addc_co_u32_e32 v3, vcc, v6, v3, vcc
	v_cmp_gt_u32_e32 vcc, s9, v0
	v_cndmask_b32_e32 v3, v3, v5, vcc
	v_cndmask_b32_e32 v2, v2, v4, vcc
	global_load_dwordx2 v[2:3], v[2:3], off
	s_or_b64 exec, exec, s[0:1]
	v_cmp_gt_u32_e32 vcc, s11, v12
	s_and_saveexec_b64 s[2:3], vcc
	s_cbranch_execz .LBB1137_6
.LBB1137_33:
	v_mov_b32_e32 v13, 0
	s_waitcnt vmcnt(2)
	v_lshlrev_b64 v[4:5], 3, v[12:13]
	v_mov_b32_e32 v11, s19
	v_add_co_u32_e32 v15, vcc, s18, v4
	v_addc_co_u32_e32 v11, vcc, v11, v5, vcc
	v_cmp_gt_u32_e32 vcc, s9, v12
	v_subrev_u32_e32 v12, s9, v12
	v_lshlrev_b64 v[4:5], 3, v[12:13]
	v_mov_b32_e32 v12, s17
	v_add_co_u32_e64 v4, s[0:1], s16, v4
	v_addc_co_u32_e64 v5, s[0:1], v12, v5, s[0:1]
	v_cndmask_b32_e32 v5, v5, v11, vcc
	v_cndmask_b32_e32 v4, v4, v15, vcc
	global_load_dwordx2 v[4:5], v[4:5], off
	s_or_b64 exec, exec, s[2:3]
	v_cmp_gt_u32_e32 vcc, s11, v10
	s_and_saveexec_b64 s[0:1], vcc
	s_cbranch_execnz .LBB1137_7
	s_branch .LBB1137_8
.LBB1137_34:
	ds_read_b64 v[0:1], v13
	s_waitcnt lgkmcnt(0)
	global_store_dwordx2 v[2:3], v[0:1], off
	s_or_b64 exec, exec, s[0:1]
	v_cmp_gt_u32_e32 vcc, s2, v12
	s_and_saveexec_b64 s[0:1], vcc
	s_cbranch_execz .LBB1137_26
.LBB1137_35:
	s_waitcnt lgkmcnt(2)
	global_store_dwordx2 v[2:3], v[8:9], off offset:2048
	s_or_b64 exec, exec, s[0:1]
	v_cmp_gt_u32_e32 vcc, s2, v11
	s_and_saveexec_b64 s[0:1], vcc
	s_cbranch_execnz .LBB1137_27
	s_branch .LBB1137_28
	.section	.rodata,"a",@progbits
	.p2align	6, 0x0
	.amdhsa_kernel _ZN7rocprim17ROCPRIM_400000_NS6detail17trampoline_kernelINS0_14default_configENS1_38merge_sort_block_merge_config_selectorIyNS0_10empty_typeEEEZZNS1_27merge_sort_block_merge_implIS3_PyPS5_jNS1_19radix_merge_compareILb0ELb0EyNS0_19identity_decomposerEEEEE10hipError_tT0_T1_T2_jT3_P12ihipStream_tbPNSt15iterator_traitsISE_E10value_typeEPNSK_ISF_E10value_typeEPSG_NS1_7vsmem_tEENKUlT_SE_SF_SG_E_clIS8_S8_S9_S9_EESD_ST_SE_SF_SG_EUlST_E0_NS1_11comp_targetILNS1_3genE4ELNS1_11target_archE910ELNS1_3gpuE8ELNS1_3repE0EEENS1_38merge_mergepath_config_static_selectorELNS0_4arch9wavefront6targetE1EEEvSF_
		.amdhsa_group_segment_fixed_size 8448
		.amdhsa_private_segment_fixed_size 0
		.amdhsa_kernarg_size 320
		.amdhsa_user_sgpr_count 6
		.amdhsa_user_sgpr_private_segment_buffer 1
		.amdhsa_user_sgpr_dispatch_ptr 0
		.amdhsa_user_sgpr_queue_ptr 0
		.amdhsa_user_sgpr_kernarg_segment_ptr 1
		.amdhsa_user_sgpr_dispatch_id 0
		.amdhsa_user_sgpr_flat_scratch_init 0
		.amdhsa_user_sgpr_kernarg_preload_length 0
		.amdhsa_user_sgpr_kernarg_preload_offset 0
		.amdhsa_user_sgpr_private_segment_size 0
		.amdhsa_uses_dynamic_stack 0
		.amdhsa_system_sgpr_private_segment_wavefront_offset 0
		.amdhsa_system_sgpr_workgroup_id_x 1
		.amdhsa_system_sgpr_workgroup_id_y 1
		.amdhsa_system_sgpr_workgroup_id_z 1
		.amdhsa_system_sgpr_workgroup_info 0
		.amdhsa_system_vgpr_workitem_id 0
		.amdhsa_next_free_vgpr 21
		.amdhsa_next_free_sgpr 23
		.amdhsa_accum_offset 24
		.amdhsa_reserve_vcc 1
		.amdhsa_reserve_flat_scratch 0
		.amdhsa_float_round_mode_32 0
		.amdhsa_float_round_mode_16_64 0
		.amdhsa_float_denorm_mode_32 3
		.amdhsa_float_denorm_mode_16_64 3
		.amdhsa_dx10_clamp 1
		.amdhsa_ieee_mode 1
		.amdhsa_fp16_overflow 0
		.amdhsa_tg_split 0
		.amdhsa_exception_fp_ieee_invalid_op 0
		.amdhsa_exception_fp_denorm_src 0
		.amdhsa_exception_fp_ieee_div_zero 0
		.amdhsa_exception_fp_ieee_overflow 0
		.amdhsa_exception_fp_ieee_underflow 0
		.amdhsa_exception_fp_ieee_inexact 0
		.amdhsa_exception_int_div_zero 0
	.end_amdhsa_kernel
	.section	.text._ZN7rocprim17ROCPRIM_400000_NS6detail17trampoline_kernelINS0_14default_configENS1_38merge_sort_block_merge_config_selectorIyNS0_10empty_typeEEEZZNS1_27merge_sort_block_merge_implIS3_PyPS5_jNS1_19radix_merge_compareILb0ELb0EyNS0_19identity_decomposerEEEEE10hipError_tT0_T1_T2_jT3_P12ihipStream_tbPNSt15iterator_traitsISE_E10value_typeEPNSK_ISF_E10value_typeEPSG_NS1_7vsmem_tEENKUlT_SE_SF_SG_E_clIS8_S8_S9_S9_EESD_ST_SE_SF_SG_EUlST_E0_NS1_11comp_targetILNS1_3genE4ELNS1_11target_archE910ELNS1_3gpuE8ELNS1_3repE0EEENS1_38merge_mergepath_config_static_selectorELNS0_4arch9wavefront6targetE1EEEvSF_,"axG",@progbits,_ZN7rocprim17ROCPRIM_400000_NS6detail17trampoline_kernelINS0_14default_configENS1_38merge_sort_block_merge_config_selectorIyNS0_10empty_typeEEEZZNS1_27merge_sort_block_merge_implIS3_PyPS5_jNS1_19radix_merge_compareILb0ELb0EyNS0_19identity_decomposerEEEEE10hipError_tT0_T1_T2_jT3_P12ihipStream_tbPNSt15iterator_traitsISE_E10value_typeEPNSK_ISF_E10value_typeEPSG_NS1_7vsmem_tEENKUlT_SE_SF_SG_E_clIS8_S8_S9_S9_EESD_ST_SE_SF_SG_EUlST_E0_NS1_11comp_targetILNS1_3genE4ELNS1_11target_archE910ELNS1_3gpuE8ELNS1_3repE0EEENS1_38merge_mergepath_config_static_selectorELNS0_4arch9wavefront6targetE1EEEvSF_,comdat
.Lfunc_end1137:
	.size	_ZN7rocprim17ROCPRIM_400000_NS6detail17trampoline_kernelINS0_14default_configENS1_38merge_sort_block_merge_config_selectorIyNS0_10empty_typeEEEZZNS1_27merge_sort_block_merge_implIS3_PyPS5_jNS1_19radix_merge_compareILb0ELb0EyNS0_19identity_decomposerEEEEE10hipError_tT0_T1_T2_jT3_P12ihipStream_tbPNSt15iterator_traitsISE_E10value_typeEPNSK_ISF_E10value_typeEPSG_NS1_7vsmem_tEENKUlT_SE_SF_SG_E_clIS8_S8_S9_S9_EESD_ST_SE_SF_SG_EUlST_E0_NS1_11comp_targetILNS1_3genE4ELNS1_11target_archE910ELNS1_3gpuE8ELNS1_3repE0EEENS1_38merge_mergepath_config_static_selectorELNS0_4arch9wavefront6targetE1EEEvSF_, .Lfunc_end1137-_ZN7rocprim17ROCPRIM_400000_NS6detail17trampoline_kernelINS0_14default_configENS1_38merge_sort_block_merge_config_selectorIyNS0_10empty_typeEEEZZNS1_27merge_sort_block_merge_implIS3_PyPS5_jNS1_19radix_merge_compareILb0ELb0EyNS0_19identity_decomposerEEEEE10hipError_tT0_T1_T2_jT3_P12ihipStream_tbPNSt15iterator_traitsISE_E10value_typeEPNSK_ISF_E10value_typeEPSG_NS1_7vsmem_tEENKUlT_SE_SF_SG_E_clIS8_S8_S9_S9_EESD_ST_SE_SF_SG_EUlST_E0_NS1_11comp_targetILNS1_3genE4ELNS1_11target_archE910ELNS1_3gpuE8ELNS1_3repE0EEENS1_38merge_mergepath_config_static_selectorELNS0_4arch9wavefront6targetE1EEEvSF_
                                        ; -- End function
	.section	.AMDGPU.csdata,"",@progbits
; Kernel info:
; codeLenInByte = 2180
; NumSgprs: 27
; NumVgprs: 21
; NumAgprs: 0
; TotalNumVgprs: 21
; ScratchSize: 0
; MemoryBound: 0
; FloatMode: 240
; IeeeMode: 1
; LDSByteSize: 8448 bytes/workgroup (compile time only)
; SGPRBlocks: 3
; VGPRBlocks: 2
; NumSGPRsForWavesPerEU: 27
; NumVGPRsForWavesPerEU: 21
; AccumOffset: 24
; Occupancy: 7
; WaveLimiterHint : 1
; COMPUTE_PGM_RSRC2:SCRATCH_EN: 0
; COMPUTE_PGM_RSRC2:USER_SGPR: 6
; COMPUTE_PGM_RSRC2:TRAP_HANDLER: 0
; COMPUTE_PGM_RSRC2:TGID_X_EN: 1
; COMPUTE_PGM_RSRC2:TGID_Y_EN: 1
; COMPUTE_PGM_RSRC2:TGID_Z_EN: 1
; COMPUTE_PGM_RSRC2:TIDIG_COMP_CNT: 0
; COMPUTE_PGM_RSRC3_GFX90A:ACCUM_OFFSET: 5
; COMPUTE_PGM_RSRC3_GFX90A:TG_SPLIT: 0
	.section	.text._ZN7rocprim17ROCPRIM_400000_NS6detail17trampoline_kernelINS0_14default_configENS1_38merge_sort_block_merge_config_selectorIyNS0_10empty_typeEEEZZNS1_27merge_sort_block_merge_implIS3_PyPS5_jNS1_19radix_merge_compareILb0ELb0EyNS0_19identity_decomposerEEEEE10hipError_tT0_T1_T2_jT3_P12ihipStream_tbPNSt15iterator_traitsISE_E10value_typeEPNSK_ISF_E10value_typeEPSG_NS1_7vsmem_tEENKUlT_SE_SF_SG_E_clIS8_S8_S9_S9_EESD_ST_SE_SF_SG_EUlST_E0_NS1_11comp_targetILNS1_3genE3ELNS1_11target_archE908ELNS1_3gpuE7ELNS1_3repE0EEENS1_38merge_mergepath_config_static_selectorELNS0_4arch9wavefront6targetE1EEEvSF_,"axG",@progbits,_ZN7rocprim17ROCPRIM_400000_NS6detail17trampoline_kernelINS0_14default_configENS1_38merge_sort_block_merge_config_selectorIyNS0_10empty_typeEEEZZNS1_27merge_sort_block_merge_implIS3_PyPS5_jNS1_19radix_merge_compareILb0ELb0EyNS0_19identity_decomposerEEEEE10hipError_tT0_T1_T2_jT3_P12ihipStream_tbPNSt15iterator_traitsISE_E10value_typeEPNSK_ISF_E10value_typeEPSG_NS1_7vsmem_tEENKUlT_SE_SF_SG_E_clIS8_S8_S9_S9_EESD_ST_SE_SF_SG_EUlST_E0_NS1_11comp_targetILNS1_3genE3ELNS1_11target_archE908ELNS1_3gpuE7ELNS1_3repE0EEENS1_38merge_mergepath_config_static_selectorELNS0_4arch9wavefront6targetE1EEEvSF_,comdat
	.protected	_ZN7rocprim17ROCPRIM_400000_NS6detail17trampoline_kernelINS0_14default_configENS1_38merge_sort_block_merge_config_selectorIyNS0_10empty_typeEEEZZNS1_27merge_sort_block_merge_implIS3_PyPS5_jNS1_19radix_merge_compareILb0ELb0EyNS0_19identity_decomposerEEEEE10hipError_tT0_T1_T2_jT3_P12ihipStream_tbPNSt15iterator_traitsISE_E10value_typeEPNSK_ISF_E10value_typeEPSG_NS1_7vsmem_tEENKUlT_SE_SF_SG_E_clIS8_S8_S9_S9_EESD_ST_SE_SF_SG_EUlST_E0_NS1_11comp_targetILNS1_3genE3ELNS1_11target_archE908ELNS1_3gpuE7ELNS1_3repE0EEENS1_38merge_mergepath_config_static_selectorELNS0_4arch9wavefront6targetE1EEEvSF_ ; -- Begin function _ZN7rocprim17ROCPRIM_400000_NS6detail17trampoline_kernelINS0_14default_configENS1_38merge_sort_block_merge_config_selectorIyNS0_10empty_typeEEEZZNS1_27merge_sort_block_merge_implIS3_PyPS5_jNS1_19radix_merge_compareILb0ELb0EyNS0_19identity_decomposerEEEEE10hipError_tT0_T1_T2_jT3_P12ihipStream_tbPNSt15iterator_traitsISE_E10value_typeEPNSK_ISF_E10value_typeEPSG_NS1_7vsmem_tEENKUlT_SE_SF_SG_E_clIS8_S8_S9_S9_EESD_ST_SE_SF_SG_EUlST_E0_NS1_11comp_targetILNS1_3genE3ELNS1_11target_archE908ELNS1_3gpuE7ELNS1_3repE0EEENS1_38merge_mergepath_config_static_selectorELNS0_4arch9wavefront6targetE1EEEvSF_
	.globl	_ZN7rocprim17ROCPRIM_400000_NS6detail17trampoline_kernelINS0_14default_configENS1_38merge_sort_block_merge_config_selectorIyNS0_10empty_typeEEEZZNS1_27merge_sort_block_merge_implIS3_PyPS5_jNS1_19radix_merge_compareILb0ELb0EyNS0_19identity_decomposerEEEEE10hipError_tT0_T1_T2_jT3_P12ihipStream_tbPNSt15iterator_traitsISE_E10value_typeEPNSK_ISF_E10value_typeEPSG_NS1_7vsmem_tEENKUlT_SE_SF_SG_E_clIS8_S8_S9_S9_EESD_ST_SE_SF_SG_EUlST_E0_NS1_11comp_targetILNS1_3genE3ELNS1_11target_archE908ELNS1_3gpuE7ELNS1_3repE0EEENS1_38merge_mergepath_config_static_selectorELNS0_4arch9wavefront6targetE1EEEvSF_
	.p2align	8
	.type	_ZN7rocprim17ROCPRIM_400000_NS6detail17trampoline_kernelINS0_14default_configENS1_38merge_sort_block_merge_config_selectorIyNS0_10empty_typeEEEZZNS1_27merge_sort_block_merge_implIS3_PyPS5_jNS1_19radix_merge_compareILb0ELb0EyNS0_19identity_decomposerEEEEE10hipError_tT0_T1_T2_jT3_P12ihipStream_tbPNSt15iterator_traitsISE_E10value_typeEPNSK_ISF_E10value_typeEPSG_NS1_7vsmem_tEENKUlT_SE_SF_SG_E_clIS8_S8_S9_S9_EESD_ST_SE_SF_SG_EUlST_E0_NS1_11comp_targetILNS1_3genE3ELNS1_11target_archE908ELNS1_3gpuE7ELNS1_3repE0EEENS1_38merge_mergepath_config_static_selectorELNS0_4arch9wavefront6targetE1EEEvSF_,@function
_ZN7rocprim17ROCPRIM_400000_NS6detail17trampoline_kernelINS0_14default_configENS1_38merge_sort_block_merge_config_selectorIyNS0_10empty_typeEEEZZNS1_27merge_sort_block_merge_implIS3_PyPS5_jNS1_19radix_merge_compareILb0ELb0EyNS0_19identity_decomposerEEEEE10hipError_tT0_T1_T2_jT3_P12ihipStream_tbPNSt15iterator_traitsISE_E10value_typeEPNSK_ISF_E10value_typeEPSG_NS1_7vsmem_tEENKUlT_SE_SF_SG_E_clIS8_S8_S9_S9_EESD_ST_SE_SF_SG_EUlST_E0_NS1_11comp_targetILNS1_3genE3ELNS1_11target_archE908ELNS1_3gpuE7ELNS1_3repE0EEENS1_38merge_mergepath_config_static_selectorELNS0_4arch9wavefront6targetE1EEEvSF_: ; @_ZN7rocprim17ROCPRIM_400000_NS6detail17trampoline_kernelINS0_14default_configENS1_38merge_sort_block_merge_config_selectorIyNS0_10empty_typeEEEZZNS1_27merge_sort_block_merge_implIS3_PyPS5_jNS1_19radix_merge_compareILb0ELb0EyNS0_19identity_decomposerEEEEE10hipError_tT0_T1_T2_jT3_P12ihipStream_tbPNSt15iterator_traitsISE_E10value_typeEPNSK_ISF_E10value_typeEPSG_NS1_7vsmem_tEENKUlT_SE_SF_SG_E_clIS8_S8_S9_S9_EESD_ST_SE_SF_SG_EUlST_E0_NS1_11comp_targetILNS1_3genE3ELNS1_11target_archE908ELNS1_3gpuE7ELNS1_3repE0EEENS1_38merge_mergepath_config_static_selectorELNS0_4arch9wavefront6targetE1EEEvSF_
; %bb.0:
	.section	.rodata,"a",@progbits
	.p2align	6, 0x0
	.amdhsa_kernel _ZN7rocprim17ROCPRIM_400000_NS6detail17trampoline_kernelINS0_14default_configENS1_38merge_sort_block_merge_config_selectorIyNS0_10empty_typeEEEZZNS1_27merge_sort_block_merge_implIS3_PyPS5_jNS1_19radix_merge_compareILb0ELb0EyNS0_19identity_decomposerEEEEE10hipError_tT0_T1_T2_jT3_P12ihipStream_tbPNSt15iterator_traitsISE_E10value_typeEPNSK_ISF_E10value_typeEPSG_NS1_7vsmem_tEENKUlT_SE_SF_SG_E_clIS8_S8_S9_S9_EESD_ST_SE_SF_SG_EUlST_E0_NS1_11comp_targetILNS1_3genE3ELNS1_11target_archE908ELNS1_3gpuE7ELNS1_3repE0EEENS1_38merge_mergepath_config_static_selectorELNS0_4arch9wavefront6targetE1EEEvSF_
		.amdhsa_group_segment_fixed_size 0
		.amdhsa_private_segment_fixed_size 0
		.amdhsa_kernarg_size 64
		.amdhsa_user_sgpr_count 6
		.amdhsa_user_sgpr_private_segment_buffer 1
		.amdhsa_user_sgpr_dispatch_ptr 0
		.amdhsa_user_sgpr_queue_ptr 0
		.amdhsa_user_sgpr_kernarg_segment_ptr 1
		.amdhsa_user_sgpr_dispatch_id 0
		.amdhsa_user_sgpr_flat_scratch_init 0
		.amdhsa_user_sgpr_kernarg_preload_length 0
		.amdhsa_user_sgpr_kernarg_preload_offset 0
		.amdhsa_user_sgpr_private_segment_size 0
		.amdhsa_uses_dynamic_stack 0
		.amdhsa_system_sgpr_private_segment_wavefront_offset 0
		.amdhsa_system_sgpr_workgroup_id_x 1
		.amdhsa_system_sgpr_workgroup_id_y 0
		.amdhsa_system_sgpr_workgroup_id_z 0
		.amdhsa_system_sgpr_workgroup_info 0
		.amdhsa_system_vgpr_workitem_id 0
		.amdhsa_next_free_vgpr 1
		.amdhsa_next_free_sgpr 0
		.amdhsa_accum_offset 4
		.amdhsa_reserve_vcc 0
		.amdhsa_reserve_flat_scratch 0
		.amdhsa_float_round_mode_32 0
		.amdhsa_float_round_mode_16_64 0
		.amdhsa_float_denorm_mode_32 3
		.amdhsa_float_denorm_mode_16_64 3
		.amdhsa_dx10_clamp 1
		.amdhsa_ieee_mode 1
		.amdhsa_fp16_overflow 0
		.amdhsa_tg_split 0
		.amdhsa_exception_fp_ieee_invalid_op 0
		.amdhsa_exception_fp_denorm_src 0
		.amdhsa_exception_fp_ieee_div_zero 0
		.amdhsa_exception_fp_ieee_overflow 0
		.amdhsa_exception_fp_ieee_underflow 0
		.amdhsa_exception_fp_ieee_inexact 0
		.amdhsa_exception_int_div_zero 0
	.end_amdhsa_kernel
	.section	.text._ZN7rocprim17ROCPRIM_400000_NS6detail17trampoline_kernelINS0_14default_configENS1_38merge_sort_block_merge_config_selectorIyNS0_10empty_typeEEEZZNS1_27merge_sort_block_merge_implIS3_PyPS5_jNS1_19radix_merge_compareILb0ELb0EyNS0_19identity_decomposerEEEEE10hipError_tT0_T1_T2_jT3_P12ihipStream_tbPNSt15iterator_traitsISE_E10value_typeEPNSK_ISF_E10value_typeEPSG_NS1_7vsmem_tEENKUlT_SE_SF_SG_E_clIS8_S8_S9_S9_EESD_ST_SE_SF_SG_EUlST_E0_NS1_11comp_targetILNS1_3genE3ELNS1_11target_archE908ELNS1_3gpuE7ELNS1_3repE0EEENS1_38merge_mergepath_config_static_selectorELNS0_4arch9wavefront6targetE1EEEvSF_,"axG",@progbits,_ZN7rocprim17ROCPRIM_400000_NS6detail17trampoline_kernelINS0_14default_configENS1_38merge_sort_block_merge_config_selectorIyNS0_10empty_typeEEEZZNS1_27merge_sort_block_merge_implIS3_PyPS5_jNS1_19radix_merge_compareILb0ELb0EyNS0_19identity_decomposerEEEEE10hipError_tT0_T1_T2_jT3_P12ihipStream_tbPNSt15iterator_traitsISE_E10value_typeEPNSK_ISF_E10value_typeEPSG_NS1_7vsmem_tEENKUlT_SE_SF_SG_E_clIS8_S8_S9_S9_EESD_ST_SE_SF_SG_EUlST_E0_NS1_11comp_targetILNS1_3genE3ELNS1_11target_archE908ELNS1_3gpuE7ELNS1_3repE0EEENS1_38merge_mergepath_config_static_selectorELNS0_4arch9wavefront6targetE1EEEvSF_,comdat
.Lfunc_end1138:
	.size	_ZN7rocprim17ROCPRIM_400000_NS6detail17trampoline_kernelINS0_14default_configENS1_38merge_sort_block_merge_config_selectorIyNS0_10empty_typeEEEZZNS1_27merge_sort_block_merge_implIS3_PyPS5_jNS1_19radix_merge_compareILb0ELb0EyNS0_19identity_decomposerEEEEE10hipError_tT0_T1_T2_jT3_P12ihipStream_tbPNSt15iterator_traitsISE_E10value_typeEPNSK_ISF_E10value_typeEPSG_NS1_7vsmem_tEENKUlT_SE_SF_SG_E_clIS8_S8_S9_S9_EESD_ST_SE_SF_SG_EUlST_E0_NS1_11comp_targetILNS1_3genE3ELNS1_11target_archE908ELNS1_3gpuE7ELNS1_3repE0EEENS1_38merge_mergepath_config_static_selectorELNS0_4arch9wavefront6targetE1EEEvSF_, .Lfunc_end1138-_ZN7rocprim17ROCPRIM_400000_NS6detail17trampoline_kernelINS0_14default_configENS1_38merge_sort_block_merge_config_selectorIyNS0_10empty_typeEEEZZNS1_27merge_sort_block_merge_implIS3_PyPS5_jNS1_19radix_merge_compareILb0ELb0EyNS0_19identity_decomposerEEEEE10hipError_tT0_T1_T2_jT3_P12ihipStream_tbPNSt15iterator_traitsISE_E10value_typeEPNSK_ISF_E10value_typeEPSG_NS1_7vsmem_tEENKUlT_SE_SF_SG_E_clIS8_S8_S9_S9_EESD_ST_SE_SF_SG_EUlST_E0_NS1_11comp_targetILNS1_3genE3ELNS1_11target_archE908ELNS1_3gpuE7ELNS1_3repE0EEENS1_38merge_mergepath_config_static_selectorELNS0_4arch9wavefront6targetE1EEEvSF_
                                        ; -- End function
	.section	.AMDGPU.csdata,"",@progbits
; Kernel info:
; codeLenInByte = 0
; NumSgprs: 4
; NumVgprs: 0
; NumAgprs: 0
; TotalNumVgprs: 0
; ScratchSize: 0
; MemoryBound: 0
; FloatMode: 240
; IeeeMode: 1
; LDSByteSize: 0 bytes/workgroup (compile time only)
; SGPRBlocks: 0
; VGPRBlocks: 0
; NumSGPRsForWavesPerEU: 4
; NumVGPRsForWavesPerEU: 1
; AccumOffset: 4
; Occupancy: 8
; WaveLimiterHint : 0
; COMPUTE_PGM_RSRC2:SCRATCH_EN: 0
; COMPUTE_PGM_RSRC2:USER_SGPR: 6
; COMPUTE_PGM_RSRC2:TRAP_HANDLER: 0
; COMPUTE_PGM_RSRC2:TGID_X_EN: 1
; COMPUTE_PGM_RSRC2:TGID_Y_EN: 0
; COMPUTE_PGM_RSRC2:TGID_Z_EN: 0
; COMPUTE_PGM_RSRC2:TIDIG_COMP_CNT: 0
; COMPUTE_PGM_RSRC3_GFX90A:ACCUM_OFFSET: 0
; COMPUTE_PGM_RSRC3_GFX90A:TG_SPLIT: 0
	.section	.text._ZN7rocprim17ROCPRIM_400000_NS6detail17trampoline_kernelINS0_14default_configENS1_38merge_sort_block_merge_config_selectorIyNS0_10empty_typeEEEZZNS1_27merge_sort_block_merge_implIS3_PyPS5_jNS1_19radix_merge_compareILb0ELb0EyNS0_19identity_decomposerEEEEE10hipError_tT0_T1_T2_jT3_P12ihipStream_tbPNSt15iterator_traitsISE_E10value_typeEPNSK_ISF_E10value_typeEPSG_NS1_7vsmem_tEENKUlT_SE_SF_SG_E_clIS8_S8_S9_S9_EESD_ST_SE_SF_SG_EUlST_E0_NS1_11comp_targetILNS1_3genE2ELNS1_11target_archE906ELNS1_3gpuE6ELNS1_3repE0EEENS1_38merge_mergepath_config_static_selectorELNS0_4arch9wavefront6targetE1EEEvSF_,"axG",@progbits,_ZN7rocprim17ROCPRIM_400000_NS6detail17trampoline_kernelINS0_14default_configENS1_38merge_sort_block_merge_config_selectorIyNS0_10empty_typeEEEZZNS1_27merge_sort_block_merge_implIS3_PyPS5_jNS1_19radix_merge_compareILb0ELb0EyNS0_19identity_decomposerEEEEE10hipError_tT0_T1_T2_jT3_P12ihipStream_tbPNSt15iterator_traitsISE_E10value_typeEPNSK_ISF_E10value_typeEPSG_NS1_7vsmem_tEENKUlT_SE_SF_SG_E_clIS8_S8_S9_S9_EESD_ST_SE_SF_SG_EUlST_E0_NS1_11comp_targetILNS1_3genE2ELNS1_11target_archE906ELNS1_3gpuE6ELNS1_3repE0EEENS1_38merge_mergepath_config_static_selectorELNS0_4arch9wavefront6targetE1EEEvSF_,comdat
	.protected	_ZN7rocprim17ROCPRIM_400000_NS6detail17trampoline_kernelINS0_14default_configENS1_38merge_sort_block_merge_config_selectorIyNS0_10empty_typeEEEZZNS1_27merge_sort_block_merge_implIS3_PyPS5_jNS1_19radix_merge_compareILb0ELb0EyNS0_19identity_decomposerEEEEE10hipError_tT0_T1_T2_jT3_P12ihipStream_tbPNSt15iterator_traitsISE_E10value_typeEPNSK_ISF_E10value_typeEPSG_NS1_7vsmem_tEENKUlT_SE_SF_SG_E_clIS8_S8_S9_S9_EESD_ST_SE_SF_SG_EUlST_E0_NS1_11comp_targetILNS1_3genE2ELNS1_11target_archE906ELNS1_3gpuE6ELNS1_3repE0EEENS1_38merge_mergepath_config_static_selectorELNS0_4arch9wavefront6targetE1EEEvSF_ ; -- Begin function _ZN7rocprim17ROCPRIM_400000_NS6detail17trampoline_kernelINS0_14default_configENS1_38merge_sort_block_merge_config_selectorIyNS0_10empty_typeEEEZZNS1_27merge_sort_block_merge_implIS3_PyPS5_jNS1_19radix_merge_compareILb0ELb0EyNS0_19identity_decomposerEEEEE10hipError_tT0_T1_T2_jT3_P12ihipStream_tbPNSt15iterator_traitsISE_E10value_typeEPNSK_ISF_E10value_typeEPSG_NS1_7vsmem_tEENKUlT_SE_SF_SG_E_clIS8_S8_S9_S9_EESD_ST_SE_SF_SG_EUlST_E0_NS1_11comp_targetILNS1_3genE2ELNS1_11target_archE906ELNS1_3gpuE6ELNS1_3repE0EEENS1_38merge_mergepath_config_static_selectorELNS0_4arch9wavefront6targetE1EEEvSF_
	.globl	_ZN7rocprim17ROCPRIM_400000_NS6detail17trampoline_kernelINS0_14default_configENS1_38merge_sort_block_merge_config_selectorIyNS0_10empty_typeEEEZZNS1_27merge_sort_block_merge_implIS3_PyPS5_jNS1_19radix_merge_compareILb0ELb0EyNS0_19identity_decomposerEEEEE10hipError_tT0_T1_T2_jT3_P12ihipStream_tbPNSt15iterator_traitsISE_E10value_typeEPNSK_ISF_E10value_typeEPSG_NS1_7vsmem_tEENKUlT_SE_SF_SG_E_clIS8_S8_S9_S9_EESD_ST_SE_SF_SG_EUlST_E0_NS1_11comp_targetILNS1_3genE2ELNS1_11target_archE906ELNS1_3gpuE6ELNS1_3repE0EEENS1_38merge_mergepath_config_static_selectorELNS0_4arch9wavefront6targetE1EEEvSF_
	.p2align	8
	.type	_ZN7rocprim17ROCPRIM_400000_NS6detail17trampoline_kernelINS0_14default_configENS1_38merge_sort_block_merge_config_selectorIyNS0_10empty_typeEEEZZNS1_27merge_sort_block_merge_implIS3_PyPS5_jNS1_19radix_merge_compareILb0ELb0EyNS0_19identity_decomposerEEEEE10hipError_tT0_T1_T2_jT3_P12ihipStream_tbPNSt15iterator_traitsISE_E10value_typeEPNSK_ISF_E10value_typeEPSG_NS1_7vsmem_tEENKUlT_SE_SF_SG_E_clIS8_S8_S9_S9_EESD_ST_SE_SF_SG_EUlST_E0_NS1_11comp_targetILNS1_3genE2ELNS1_11target_archE906ELNS1_3gpuE6ELNS1_3repE0EEENS1_38merge_mergepath_config_static_selectorELNS0_4arch9wavefront6targetE1EEEvSF_,@function
_ZN7rocprim17ROCPRIM_400000_NS6detail17trampoline_kernelINS0_14default_configENS1_38merge_sort_block_merge_config_selectorIyNS0_10empty_typeEEEZZNS1_27merge_sort_block_merge_implIS3_PyPS5_jNS1_19radix_merge_compareILb0ELb0EyNS0_19identity_decomposerEEEEE10hipError_tT0_T1_T2_jT3_P12ihipStream_tbPNSt15iterator_traitsISE_E10value_typeEPNSK_ISF_E10value_typeEPSG_NS1_7vsmem_tEENKUlT_SE_SF_SG_E_clIS8_S8_S9_S9_EESD_ST_SE_SF_SG_EUlST_E0_NS1_11comp_targetILNS1_3genE2ELNS1_11target_archE906ELNS1_3gpuE6ELNS1_3repE0EEENS1_38merge_mergepath_config_static_selectorELNS0_4arch9wavefront6targetE1EEEvSF_: ; @_ZN7rocprim17ROCPRIM_400000_NS6detail17trampoline_kernelINS0_14default_configENS1_38merge_sort_block_merge_config_selectorIyNS0_10empty_typeEEEZZNS1_27merge_sort_block_merge_implIS3_PyPS5_jNS1_19radix_merge_compareILb0ELb0EyNS0_19identity_decomposerEEEEE10hipError_tT0_T1_T2_jT3_P12ihipStream_tbPNSt15iterator_traitsISE_E10value_typeEPNSK_ISF_E10value_typeEPSG_NS1_7vsmem_tEENKUlT_SE_SF_SG_E_clIS8_S8_S9_S9_EESD_ST_SE_SF_SG_EUlST_E0_NS1_11comp_targetILNS1_3genE2ELNS1_11target_archE906ELNS1_3gpuE6ELNS1_3repE0EEENS1_38merge_mergepath_config_static_selectorELNS0_4arch9wavefront6targetE1EEEvSF_
; %bb.0:
	.section	.rodata,"a",@progbits
	.p2align	6, 0x0
	.amdhsa_kernel _ZN7rocprim17ROCPRIM_400000_NS6detail17trampoline_kernelINS0_14default_configENS1_38merge_sort_block_merge_config_selectorIyNS0_10empty_typeEEEZZNS1_27merge_sort_block_merge_implIS3_PyPS5_jNS1_19radix_merge_compareILb0ELb0EyNS0_19identity_decomposerEEEEE10hipError_tT0_T1_T2_jT3_P12ihipStream_tbPNSt15iterator_traitsISE_E10value_typeEPNSK_ISF_E10value_typeEPSG_NS1_7vsmem_tEENKUlT_SE_SF_SG_E_clIS8_S8_S9_S9_EESD_ST_SE_SF_SG_EUlST_E0_NS1_11comp_targetILNS1_3genE2ELNS1_11target_archE906ELNS1_3gpuE6ELNS1_3repE0EEENS1_38merge_mergepath_config_static_selectorELNS0_4arch9wavefront6targetE1EEEvSF_
		.amdhsa_group_segment_fixed_size 0
		.amdhsa_private_segment_fixed_size 0
		.amdhsa_kernarg_size 64
		.amdhsa_user_sgpr_count 6
		.amdhsa_user_sgpr_private_segment_buffer 1
		.amdhsa_user_sgpr_dispatch_ptr 0
		.amdhsa_user_sgpr_queue_ptr 0
		.amdhsa_user_sgpr_kernarg_segment_ptr 1
		.amdhsa_user_sgpr_dispatch_id 0
		.amdhsa_user_sgpr_flat_scratch_init 0
		.amdhsa_user_sgpr_kernarg_preload_length 0
		.amdhsa_user_sgpr_kernarg_preload_offset 0
		.amdhsa_user_sgpr_private_segment_size 0
		.amdhsa_uses_dynamic_stack 0
		.amdhsa_system_sgpr_private_segment_wavefront_offset 0
		.amdhsa_system_sgpr_workgroup_id_x 1
		.amdhsa_system_sgpr_workgroup_id_y 0
		.amdhsa_system_sgpr_workgroup_id_z 0
		.amdhsa_system_sgpr_workgroup_info 0
		.amdhsa_system_vgpr_workitem_id 0
		.amdhsa_next_free_vgpr 1
		.amdhsa_next_free_sgpr 0
		.amdhsa_accum_offset 4
		.amdhsa_reserve_vcc 0
		.amdhsa_reserve_flat_scratch 0
		.amdhsa_float_round_mode_32 0
		.amdhsa_float_round_mode_16_64 0
		.amdhsa_float_denorm_mode_32 3
		.amdhsa_float_denorm_mode_16_64 3
		.amdhsa_dx10_clamp 1
		.amdhsa_ieee_mode 1
		.amdhsa_fp16_overflow 0
		.amdhsa_tg_split 0
		.amdhsa_exception_fp_ieee_invalid_op 0
		.amdhsa_exception_fp_denorm_src 0
		.amdhsa_exception_fp_ieee_div_zero 0
		.amdhsa_exception_fp_ieee_overflow 0
		.amdhsa_exception_fp_ieee_underflow 0
		.amdhsa_exception_fp_ieee_inexact 0
		.amdhsa_exception_int_div_zero 0
	.end_amdhsa_kernel
	.section	.text._ZN7rocprim17ROCPRIM_400000_NS6detail17trampoline_kernelINS0_14default_configENS1_38merge_sort_block_merge_config_selectorIyNS0_10empty_typeEEEZZNS1_27merge_sort_block_merge_implIS3_PyPS5_jNS1_19radix_merge_compareILb0ELb0EyNS0_19identity_decomposerEEEEE10hipError_tT0_T1_T2_jT3_P12ihipStream_tbPNSt15iterator_traitsISE_E10value_typeEPNSK_ISF_E10value_typeEPSG_NS1_7vsmem_tEENKUlT_SE_SF_SG_E_clIS8_S8_S9_S9_EESD_ST_SE_SF_SG_EUlST_E0_NS1_11comp_targetILNS1_3genE2ELNS1_11target_archE906ELNS1_3gpuE6ELNS1_3repE0EEENS1_38merge_mergepath_config_static_selectorELNS0_4arch9wavefront6targetE1EEEvSF_,"axG",@progbits,_ZN7rocprim17ROCPRIM_400000_NS6detail17trampoline_kernelINS0_14default_configENS1_38merge_sort_block_merge_config_selectorIyNS0_10empty_typeEEEZZNS1_27merge_sort_block_merge_implIS3_PyPS5_jNS1_19radix_merge_compareILb0ELb0EyNS0_19identity_decomposerEEEEE10hipError_tT0_T1_T2_jT3_P12ihipStream_tbPNSt15iterator_traitsISE_E10value_typeEPNSK_ISF_E10value_typeEPSG_NS1_7vsmem_tEENKUlT_SE_SF_SG_E_clIS8_S8_S9_S9_EESD_ST_SE_SF_SG_EUlST_E0_NS1_11comp_targetILNS1_3genE2ELNS1_11target_archE906ELNS1_3gpuE6ELNS1_3repE0EEENS1_38merge_mergepath_config_static_selectorELNS0_4arch9wavefront6targetE1EEEvSF_,comdat
.Lfunc_end1139:
	.size	_ZN7rocprim17ROCPRIM_400000_NS6detail17trampoline_kernelINS0_14default_configENS1_38merge_sort_block_merge_config_selectorIyNS0_10empty_typeEEEZZNS1_27merge_sort_block_merge_implIS3_PyPS5_jNS1_19radix_merge_compareILb0ELb0EyNS0_19identity_decomposerEEEEE10hipError_tT0_T1_T2_jT3_P12ihipStream_tbPNSt15iterator_traitsISE_E10value_typeEPNSK_ISF_E10value_typeEPSG_NS1_7vsmem_tEENKUlT_SE_SF_SG_E_clIS8_S8_S9_S9_EESD_ST_SE_SF_SG_EUlST_E0_NS1_11comp_targetILNS1_3genE2ELNS1_11target_archE906ELNS1_3gpuE6ELNS1_3repE0EEENS1_38merge_mergepath_config_static_selectorELNS0_4arch9wavefront6targetE1EEEvSF_, .Lfunc_end1139-_ZN7rocprim17ROCPRIM_400000_NS6detail17trampoline_kernelINS0_14default_configENS1_38merge_sort_block_merge_config_selectorIyNS0_10empty_typeEEEZZNS1_27merge_sort_block_merge_implIS3_PyPS5_jNS1_19radix_merge_compareILb0ELb0EyNS0_19identity_decomposerEEEEE10hipError_tT0_T1_T2_jT3_P12ihipStream_tbPNSt15iterator_traitsISE_E10value_typeEPNSK_ISF_E10value_typeEPSG_NS1_7vsmem_tEENKUlT_SE_SF_SG_E_clIS8_S8_S9_S9_EESD_ST_SE_SF_SG_EUlST_E0_NS1_11comp_targetILNS1_3genE2ELNS1_11target_archE906ELNS1_3gpuE6ELNS1_3repE0EEENS1_38merge_mergepath_config_static_selectorELNS0_4arch9wavefront6targetE1EEEvSF_
                                        ; -- End function
	.section	.AMDGPU.csdata,"",@progbits
; Kernel info:
; codeLenInByte = 0
; NumSgprs: 4
; NumVgprs: 0
; NumAgprs: 0
; TotalNumVgprs: 0
; ScratchSize: 0
; MemoryBound: 0
; FloatMode: 240
; IeeeMode: 1
; LDSByteSize: 0 bytes/workgroup (compile time only)
; SGPRBlocks: 0
; VGPRBlocks: 0
; NumSGPRsForWavesPerEU: 4
; NumVGPRsForWavesPerEU: 1
; AccumOffset: 4
; Occupancy: 8
; WaveLimiterHint : 0
; COMPUTE_PGM_RSRC2:SCRATCH_EN: 0
; COMPUTE_PGM_RSRC2:USER_SGPR: 6
; COMPUTE_PGM_RSRC2:TRAP_HANDLER: 0
; COMPUTE_PGM_RSRC2:TGID_X_EN: 1
; COMPUTE_PGM_RSRC2:TGID_Y_EN: 0
; COMPUTE_PGM_RSRC2:TGID_Z_EN: 0
; COMPUTE_PGM_RSRC2:TIDIG_COMP_CNT: 0
; COMPUTE_PGM_RSRC3_GFX90A:ACCUM_OFFSET: 0
; COMPUTE_PGM_RSRC3_GFX90A:TG_SPLIT: 0
	.section	.text._ZN7rocprim17ROCPRIM_400000_NS6detail17trampoline_kernelINS0_14default_configENS1_38merge_sort_block_merge_config_selectorIyNS0_10empty_typeEEEZZNS1_27merge_sort_block_merge_implIS3_PyPS5_jNS1_19radix_merge_compareILb0ELb0EyNS0_19identity_decomposerEEEEE10hipError_tT0_T1_T2_jT3_P12ihipStream_tbPNSt15iterator_traitsISE_E10value_typeEPNSK_ISF_E10value_typeEPSG_NS1_7vsmem_tEENKUlT_SE_SF_SG_E_clIS8_S8_S9_S9_EESD_ST_SE_SF_SG_EUlST_E0_NS1_11comp_targetILNS1_3genE9ELNS1_11target_archE1100ELNS1_3gpuE3ELNS1_3repE0EEENS1_38merge_mergepath_config_static_selectorELNS0_4arch9wavefront6targetE1EEEvSF_,"axG",@progbits,_ZN7rocprim17ROCPRIM_400000_NS6detail17trampoline_kernelINS0_14default_configENS1_38merge_sort_block_merge_config_selectorIyNS0_10empty_typeEEEZZNS1_27merge_sort_block_merge_implIS3_PyPS5_jNS1_19radix_merge_compareILb0ELb0EyNS0_19identity_decomposerEEEEE10hipError_tT0_T1_T2_jT3_P12ihipStream_tbPNSt15iterator_traitsISE_E10value_typeEPNSK_ISF_E10value_typeEPSG_NS1_7vsmem_tEENKUlT_SE_SF_SG_E_clIS8_S8_S9_S9_EESD_ST_SE_SF_SG_EUlST_E0_NS1_11comp_targetILNS1_3genE9ELNS1_11target_archE1100ELNS1_3gpuE3ELNS1_3repE0EEENS1_38merge_mergepath_config_static_selectorELNS0_4arch9wavefront6targetE1EEEvSF_,comdat
	.protected	_ZN7rocprim17ROCPRIM_400000_NS6detail17trampoline_kernelINS0_14default_configENS1_38merge_sort_block_merge_config_selectorIyNS0_10empty_typeEEEZZNS1_27merge_sort_block_merge_implIS3_PyPS5_jNS1_19radix_merge_compareILb0ELb0EyNS0_19identity_decomposerEEEEE10hipError_tT0_T1_T2_jT3_P12ihipStream_tbPNSt15iterator_traitsISE_E10value_typeEPNSK_ISF_E10value_typeEPSG_NS1_7vsmem_tEENKUlT_SE_SF_SG_E_clIS8_S8_S9_S9_EESD_ST_SE_SF_SG_EUlST_E0_NS1_11comp_targetILNS1_3genE9ELNS1_11target_archE1100ELNS1_3gpuE3ELNS1_3repE0EEENS1_38merge_mergepath_config_static_selectorELNS0_4arch9wavefront6targetE1EEEvSF_ ; -- Begin function _ZN7rocprim17ROCPRIM_400000_NS6detail17trampoline_kernelINS0_14default_configENS1_38merge_sort_block_merge_config_selectorIyNS0_10empty_typeEEEZZNS1_27merge_sort_block_merge_implIS3_PyPS5_jNS1_19radix_merge_compareILb0ELb0EyNS0_19identity_decomposerEEEEE10hipError_tT0_T1_T2_jT3_P12ihipStream_tbPNSt15iterator_traitsISE_E10value_typeEPNSK_ISF_E10value_typeEPSG_NS1_7vsmem_tEENKUlT_SE_SF_SG_E_clIS8_S8_S9_S9_EESD_ST_SE_SF_SG_EUlST_E0_NS1_11comp_targetILNS1_3genE9ELNS1_11target_archE1100ELNS1_3gpuE3ELNS1_3repE0EEENS1_38merge_mergepath_config_static_selectorELNS0_4arch9wavefront6targetE1EEEvSF_
	.globl	_ZN7rocprim17ROCPRIM_400000_NS6detail17trampoline_kernelINS0_14default_configENS1_38merge_sort_block_merge_config_selectorIyNS0_10empty_typeEEEZZNS1_27merge_sort_block_merge_implIS3_PyPS5_jNS1_19radix_merge_compareILb0ELb0EyNS0_19identity_decomposerEEEEE10hipError_tT0_T1_T2_jT3_P12ihipStream_tbPNSt15iterator_traitsISE_E10value_typeEPNSK_ISF_E10value_typeEPSG_NS1_7vsmem_tEENKUlT_SE_SF_SG_E_clIS8_S8_S9_S9_EESD_ST_SE_SF_SG_EUlST_E0_NS1_11comp_targetILNS1_3genE9ELNS1_11target_archE1100ELNS1_3gpuE3ELNS1_3repE0EEENS1_38merge_mergepath_config_static_selectorELNS0_4arch9wavefront6targetE1EEEvSF_
	.p2align	8
	.type	_ZN7rocprim17ROCPRIM_400000_NS6detail17trampoline_kernelINS0_14default_configENS1_38merge_sort_block_merge_config_selectorIyNS0_10empty_typeEEEZZNS1_27merge_sort_block_merge_implIS3_PyPS5_jNS1_19radix_merge_compareILb0ELb0EyNS0_19identity_decomposerEEEEE10hipError_tT0_T1_T2_jT3_P12ihipStream_tbPNSt15iterator_traitsISE_E10value_typeEPNSK_ISF_E10value_typeEPSG_NS1_7vsmem_tEENKUlT_SE_SF_SG_E_clIS8_S8_S9_S9_EESD_ST_SE_SF_SG_EUlST_E0_NS1_11comp_targetILNS1_3genE9ELNS1_11target_archE1100ELNS1_3gpuE3ELNS1_3repE0EEENS1_38merge_mergepath_config_static_selectorELNS0_4arch9wavefront6targetE1EEEvSF_,@function
_ZN7rocprim17ROCPRIM_400000_NS6detail17trampoline_kernelINS0_14default_configENS1_38merge_sort_block_merge_config_selectorIyNS0_10empty_typeEEEZZNS1_27merge_sort_block_merge_implIS3_PyPS5_jNS1_19radix_merge_compareILb0ELb0EyNS0_19identity_decomposerEEEEE10hipError_tT0_T1_T2_jT3_P12ihipStream_tbPNSt15iterator_traitsISE_E10value_typeEPNSK_ISF_E10value_typeEPSG_NS1_7vsmem_tEENKUlT_SE_SF_SG_E_clIS8_S8_S9_S9_EESD_ST_SE_SF_SG_EUlST_E0_NS1_11comp_targetILNS1_3genE9ELNS1_11target_archE1100ELNS1_3gpuE3ELNS1_3repE0EEENS1_38merge_mergepath_config_static_selectorELNS0_4arch9wavefront6targetE1EEEvSF_: ; @_ZN7rocprim17ROCPRIM_400000_NS6detail17trampoline_kernelINS0_14default_configENS1_38merge_sort_block_merge_config_selectorIyNS0_10empty_typeEEEZZNS1_27merge_sort_block_merge_implIS3_PyPS5_jNS1_19radix_merge_compareILb0ELb0EyNS0_19identity_decomposerEEEEE10hipError_tT0_T1_T2_jT3_P12ihipStream_tbPNSt15iterator_traitsISE_E10value_typeEPNSK_ISF_E10value_typeEPSG_NS1_7vsmem_tEENKUlT_SE_SF_SG_E_clIS8_S8_S9_S9_EESD_ST_SE_SF_SG_EUlST_E0_NS1_11comp_targetILNS1_3genE9ELNS1_11target_archE1100ELNS1_3gpuE3ELNS1_3repE0EEENS1_38merge_mergepath_config_static_selectorELNS0_4arch9wavefront6targetE1EEEvSF_
; %bb.0:
	.section	.rodata,"a",@progbits
	.p2align	6, 0x0
	.amdhsa_kernel _ZN7rocprim17ROCPRIM_400000_NS6detail17trampoline_kernelINS0_14default_configENS1_38merge_sort_block_merge_config_selectorIyNS0_10empty_typeEEEZZNS1_27merge_sort_block_merge_implIS3_PyPS5_jNS1_19radix_merge_compareILb0ELb0EyNS0_19identity_decomposerEEEEE10hipError_tT0_T1_T2_jT3_P12ihipStream_tbPNSt15iterator_traitsISE_E10value_typeEPNSK_ISF_E10value_typeEPSG_NS1_7vsmem_tEENKUlT_SE_SF_SG_E_clIS8_S8_S9_S9_EESD_ST_SE_SF_SG_EUlST_E0_NS1_11comp_targetILNS1_3genE9ELNS1_11target_archE1100ELNS1_3gpuE3ELNS1_3repE0EEENS1_38merge_mergepath_config_static_selectorELNS0_4arch9wavefront6targetE1EEEvSF_
		.amdhsa_group_segment_fixed_size 0
		.amdhsa_private_segment_fixed_size 0
		.amdhsa_kernarg_size 64
		.amdhsa_user_sgpr_count 6
		.amdhsa_user_sgpr_private_segment_buffer 1
		.amdhsa_user_sgpr_dispatch_ptr 0
		.amdhsa_user_sgpr_queue_ptr 0
		.amdhsa_user_sgpr_kernarg_segment_ptr 1
		.amdhsa_user_sgpr_dispatch_id 0
		.amdhsa_user_sgpr_flat_scratch_init 0
		.amdhsa_user_sgpr_kernarg_preload_length 0
		.amdhsa_user_sgpr_kernarg_preload_offset 0
		.amdhsa_user_sgpr_private_segment_size 0
		.amdhsa_uses_dynamic_stack 0
		.amdhsa_system_sgpr_private_segment_wavefront_offset 0
		.amdhsa_system_sgpr_workgroup_id_x 1
		.amdhsa_system_sgpr_workgroup_id_y 0
		.amdhsa_system_sgpr_workgroup_id_z 0
		.amdhsa_system_sgpr_workgroup_info 0
		.amdhsa_system_vgpr_workitem_id 0
		.amdhsa_next_free_vgpr 1
		.amdhsa_next_free_sgpr 0
		.amdhsa_accum_offset 4
		.amdhsa_reserve_vcc 0
		.amdhsa_reserve_flat_scratch 0
		.amdhsa_float_round_mode_32 0
		.amdhsa_float_round_mode_16_64 0
		.amdhsa_float_denorm_mode_32 3
		.amdhsa_float_denorm_mode_16_64 3
		.amdhsa_dx10_clamp 1
		.amdhsa_ieee_mode 1
		.amdhsa_fp16_overflow 0
		.amdhsa_tg_split 0
		.amdhsa_exception_fp_ieee_invalid_op 0
		.amdhsa_exception_fp_denorm_src 0
		.amdhsa_exception_fp_ieee_div_zero 0
		.amdhsa_exception_fp_ieee_overflow 0
		.amdhsa_exception_fp_ieee_underflow 0
		.amdhsa_exception_fp_ieee_inexact 0
		.amdhsa_exception_int_div_zero 0
	.end_amdhsa_kernel
	.section	.text._ZN7rocprim17ROCPRIM_400000_NS6detail17trampoline_kernelINS0_14default_configENS1_38merge_sort_block_merge_config_selectorIyNS0_10empty_typeEEEZZNS1_27merge_sort_block_merge_implIS3_PyPS5_jNS1_19radix_merge_compareILb0ELb0EyNS0_19identity_decomposerEEEEE10hipError_tT0_T1_T2_jT3_P12ihipStream_tbPNSt15iterator_traitsISE_E10value_typeEPNSK_ISF_E10value_typeEPSG_NS1_7vsmem_tEENKUlT_SE_SF_SG_E_clIS8_S8_S9_S9_EESD_ST_SE_SF_SG_EUlST_E0_NS1_11comp_targetILNS1_3genE9ELNS1_11target_archE1100ELNS1_3gpuE3ELNS1_3repE0EEENS1_38merge_mergepath_config_static_selectorELNS0_4arch9wavefront6targetE1EEEvSF_,"axG",@progbits,_ZN7rocprim17ROCPRIM_400000_NS6detail17trampoline_kernelINS0_14default_configENS1_38merge_sort_block_merge_config_selectorIyNS0_10empty_typeEEEZZNS1_27merge_sort_block_merge_implIS3_PyPS5_jNS1_19radix_merge_compareILb0ELb0EyNS0_19identity_decomposerEEEEE10hipError_tT0_T1_T2_jT3_P12ihipStream_tbPNSt15iterator_traitsISE_E10value_typeEPNSK_ISF_E10value_typeEPSG_NS1_7vsmem_tEENKUlT_SE_SF_SG_E_clIS8_S8_S9_S9_EESD_ST_SE_SF_SG_EUlST_E0_NS1_11comp_targetILNS1_3genE9ELNS1_11target_archE1100ELNS1_3gpuE3ELNS1_3repE0EEENS1_38merge_mergepath_config_static_selectorELNS0_4arch9wavefront6targetE1EEEvSF_,comdat
.Lfunc_end1140:
	.size	_ZN7rocprim17ROCPRIM_400000_NS6detail17trampoline_kernelINS0_14default_configENS1_38merge_sort_block_merge_config_selectorIyNS0_10empty_typeEEEZZNS1_27merge_sort_block_merge_implIS3_PyPS5_jNS1_19radix_merge_compareILb0ELb0EyNS0_19identity_decomposerEEEEE10hipError_tT0_T1_T2_jT3_P12ihipStream_tbPNSt15iterator_traitsISE_E10value_typeEPNSK_ISF_E10value_typeEPSG_NS1_7vsmem_tEENKUlT_SE_SF_SG_E_clIS8_S8_S9_S9_EESD_ST_SE_SF_SG_EUlST_E0_NS1_11comp_targetILNS1_3genE9ELNS1_11target_archE1100ELNS1_3gpuE3ELNS1_3repE0EEENS1_38merge_mergepath_config_static_selectorELNS0_4arch9wavefront6targetE1EEEvSF_, .Lfunc_end1140-_ZN7rocprim17ROCPRIM_400000_NS6detail17trampoline_kernelINS0_14default_configENS1_38merge_sort_block_merge_config_selectorIyNS0_10empty_typeEEEZZNS1_27merge_sort_block_merge_implIS3_PyPS5_jNS1_19radix_merge_compareILb0ELb0EyNS0_19identity_decomposerEEEEE10hipError_tT0_T1_T2_jT3_P12ihipStream_tbPNSt15iterator_traitsISE_E10value_typeEPNSK_ISF_E10value_typeEPSG_NS1_7vsmem_tEENKUlT_SE_SF_SG_E_clIS8_S8_S9_S9_EESD_ST_SE_SF_SG_EUlST_E0_NS1_11comp_targetILNS1_3genE9ELNS1_11target_archE1100ELNS1_3gpuE3ELNS1_3repE0EEENS1_38merge_mergepath_config_static_selectorELNS0_4arch9wavefront6targetE1EEEvSF_
                                        ; -- End function
	.section	.AMDGPU.csdata,"",@progbits
; Kernel info:
; codeLenInByte = 0
; NumSgprs: 4
; NumVgprs: 0
; NumAgprs: 0
; TotalNumVgprs: 0
; ScratchSize: 0
; MemoryBound: 0
; FloatMode: 240
; IeeeMode: 1
; LDSByteSize: 0 bytes/workgroup (compile time only)
; SGPRBlocks: 0
; VGPRBlocks: 0
; NumSGPRsForWavesPerEU: 4
; NumVGPRsForWavesPerEU: 1
; AccumOffset: 4
; Occupancy: 8
; WaveLimiterHint : 0
; COMPUTE_PGM_RSRC2:SCRATCH_EN: 0
; COMPUTE_PGM_RSRC2:USER_SGPR: 6
; COMPUTE_PGM_RSRC2:TRAP_HANDLER: 0
; COMPUTE_PGM_RSRC2:TGID_X_EN: 1
; COMPUTE_PGM_RSRC2:TGID_Y_EN: 0
; COMPUTE_PGM_RSRC2:TGID_Z_EN: 0
; COMPUTE_PGM_RSRC2:TIDIG_COMP_CNT: 0
; COMPUTE_PGM_RSRC3_GFX90A:ACCUM_OFFSET: 0
; COMPUTE_PGM_RSRC3_GFX90A:TG_SPLIT: 0
	.section	.text._ZN7rocprim17ROCPRIM_400000_NS6detail17trampoline_kernelINS0_14default_configENS1_38merge_sort_block_merge_config_selectorIyNS0_10empty_typeEEEZZNS1_27merge_sort_block_merge_implIS3_PyPS5_jNS1_19radix_merge_compareILb0ELb0EyNS0_19identity_decomposerEEEEE10hipError_tT0_T1_T2_jT3_P12ihipStream_tbPNSt15iterator_traitsISE_E10value_typeEPNSK_ISF_E10value_typeEPSG_NS1_7vsmem_tEENKUlT_SE_SF_SG_E_clIS8_S8_S9_S9_EESD_ST_SE_SF_SG_EUlST_E0_NS1_11comp_targetILNS1_3genE8ELNS1_11target_archE1030ELNS1_3gpuE2ELNS1_3repE0EEENS1_38merge_mergepath_config_static_selectorELNS0_4arch9wavefront6targetE1EEEvSF_,"axG",@progbits,_ZN7rocprim17ROCPRIM_400000_NS6detail17trampoline_kernelINS0_14default_configENS1_38merge_sort_block_merge_config_selectorIyNS0_10empty_typeEEEZZNS1_27merge_sort_block_merge_implIS3_PyPS5_jNS1_19radix_merge_compareILb0ELb0EyNS0_19identity_decomposerEEEEE10hipError_tT0_T1_T2_jT3_P12ihipStream_tbPNSt15iterator_traitsISE_E10value_typeEPNSK_ISF_E10value_typeEPSG_NS1_7vsmem_tEENKUlT_SE_SF_SG_E_clIS8_S8_S9_S9_EESD_ST_SE_SF_SG_EUlST_E0_NS1_11comp_targetILNS1_3genE8ELNS1_11target_archE1030ELNS1_3gpuE2ELNS1_3repE0EEENS1_38merge_mergepath_config_static_selectorELNS0_4arch9wavefront6targetE1EEEvSF_,comdat
	.protected	_ZN7rocprim17ROCPRIM_400000_NS6detail17trampoline_kernelINS0_14default_configENS1_38merge_sort_block_merge_config_selectorIyNS0_10empty_typeEEEZZNS1_27merge_sort_block_merge_implIS3_PyPS5_jNS1_19radix_merge_compareILb0ELb0EyNS0_19identity_decomposerEEEEE10hipError_tT0_T1_T2_jT3_P12ihipStream_tbPNSt15iterator_traitsISE_E10value_typeEPNSK_ISF_E10value_typeEPSG_NS1_7vsmem_tEENKUlT_SE_SF_SG_E_clIS8_S8_S9_S9_EESD_ST_SE_SF_SG_EUlST_E0_NS1_11comp_targetILNS1_3genE8ELNS1_11target_archE1030ELNS1_3gpuE2ELNS1_3repE0EEENS1_38merge_mergepath_config_static_selectorELNS0_4arch9wavefront6targetE1EEEvSF_ ; -- Begin function _ZN7rocprim17ROCPRIM_400000_NS6detail17trampoline_kernelINS0_14default_configENS1_38merge_sort_block_merge_config_selectorIyNS0_10empty_typeEEEZZNS1_27merge_sort_block_merge_implIS3_PyPS5_jNS1_19radix_merge_compareILb0ELb0EyNS0_19identity_decomposerEEEEE10hipError_tT0_T1_T2_jT3_P12ihipStream_tbPNSt15iterator_traitsISE_E10value_typeEPNSK_ISF_E10value_typeEPSG_NS1_7vsmem_tEENKUlT_SE_SF_SG_E_clIS8_S8_S9_S9_EESD_ST_SE_SF_SG_EUlST_E0_NS1_11comp_targetILNS1_3genE8ELNS1_11target_archE1030ELNS1_3gpuE2ELNS1_3repE0EEENS1_38merge_mergepath_config_static_selectorELNS0_4arch9wavefront6targetE1EEEvSF_
	.globl	_ZN7rocprim17ROCPRIM_400000_NS6detail17trampoline_kernelINS0_14default_configENS1_38merge_sort_block_merge_config_selectorIyNS0_10empty_typeEEEZZNS1_27merge_sort_block_merge_implIS3_PyPS5_jNS1_19radix_merge_compareILb0ELb0EyNS0_19identity_decomposerEEEEE10hipError_tT0_T1_T2_jT3_P12ihipStream_tbPNSt15iterator_traitsISE_E10value_typeEPNSK_ISF_E10value_typeEPSG_NS1_7vsmem_tEENKUlT_SE_SF_SG_E_clIS8_S8_S9_S9_EESD_ST_SE_SF_SG_EUlST_E0_NS1_11comp_targetILNS1_3genE8ELNS1_11target_archE1030ELNS1_3gpuE2ELNS1_3repE0EEENS1_38merge_mergepath_config_static_selectorELNS0_4arch9wavefront6targetE1EEEvSF_
	.p2align	8
	.type	_ZN7rocprim17ROCPRIM_400000_NS6detail17trampoline_kernelINS0_14default_configENS1_38merge_sort_block_merge_config_selectorIyNS0_10empty_typeEEEZZNS1_27merge_sort_block_merge_implIS3_PyPS5_jNS1_19radix_merge_compareILb0ELb0EyNS0_19identity_decomposerEEEEE10hipError_tT0_T1_T2_jT3_P12ihipStream_tbPNSt15iterator_traitsISE_E10value_typeEPNSK_ISF_E10value_typeEPSG_NS1_7vsmem_tEENKUlT_SE_SF_SG_E_clIS8_S8_S9_S9_EESD_ST_SE_SF_SG_EUlST_E0_NS1_11comp_targetILNS1_3genE8ELNS1_11target_archE1030ELNS1_3gpuE2ELNS1_3repE0EEENS1_38merge_mergepath_config_static_selectorELNS0_4arch9wavefront6targetE1EEEvSF_,@function
_ZN7rocprim17ROCPRIM_400000_NS6detail17trampoline_kernelINS0_14default_configENS1_38merge_sort_block_merge_config_selectorIyNS0_10empty_typeEEEZZNS1_27merge_sort_block_merge_implIS3_PyPS5_jNS1_19radix_merge_compareILb0ELb0EyNS0_19identity_decomposerEEEEE10hipError_tT0_T1_T2_jT3_P12ihipStream_tbPNSt15iterator_traitsISE_E10value_typeEPNSK_ISF_E10value_typeEPSG_NS1_7vsmem_tEENKUlT_SE_SF_SG_E_clIS8_S8_S9_S9_EESD_ST_SE_SF_SG_EUlST_E0_NS1_11comp_targetILNS1_3genE8ELNS1_11target_archE1030ELNS1_3gpuE2ELNS1_3repE0EEENS1_38merge_mergepath_config_static_selectorELNS0_4arch9wavefront6targetE1EEEvSF_: ; @_ZN7rocprim17ROCPRIM_400000_NS6detail17trampoline_kernelINS0_14default_configENS1_38merge_sort_block_merge_config_selectorIyNS0_10empty_typeEEEZZNS1_27merge_sort_block_merge_implIS3_PyPS5_jNS1_19radix_merge_compareILb0ELb0EyNS0_19identity_decomposerEEEEE10hipError_tT0_T1_T2_jT3_P12ihipStream_tbPNSt15iterator_traitsISE_E10value_typeEPNSK_ISF_E10value_typeEPSG_NS1_7vsmem_tEENKUlT_SE_SF_SG_E_clIS8_S8_S9_S9_EESD_ST_SE_SF_SG_EUlST_E0_NS1_11comp_targetILNS1_3genE8ELNS1_11target_archE1030ELNS1_3gpuE2ELNS1_3repE0EEENS1_38merge_mergepath_config_static_selectorELNS0_4arch9wavefront6targetE1EEEvSF_
; %bb.0:
	.section	.rodata,"a",@progbits
	.p2align	6, 0x0
	.amdhsa_kernel _ZN7rocprim17ROCPRIM_400000_NS6detail17trampoline_kernelINS0_14default_configENS1_38merge_sort_block_merge_config_selectorIyNS0_10empty_typeEEEZZNS1_27merge_sort_block_merge_implIS3_PyPS5_jNS1_19radix_merge_compareILb0ELb0EyNS0_19identity_decomposerEEEEE10hipError_tT0_T1_T2_jT3_P12ihipStream_tbPNSt15iterator_traitsISE_E10value_typeEPNSK_ISF_E10value_typeEPSG_NS1_7vsmem_tEENKUlT_SE_SF_SG_E_clIS8_S8_S9_S9_EESD_ST_SE_SF_SG_EUlST_E0_NS1_11comp_targetILNS1_3genE8ELNS1_11target_archE1030ELNS1_3gpuE2ELNS1_3repE0EEENS1_38merge_mergepath_config_static_selectorELNS0_4arch9wavefront6targetE1EEEvSF_
		.amdhsa_group_segment_fixed_size 0
		.amdhsa_private_segment_fixed_size 0
		.amdhsa_kernarg_size 64
		.amdhsa_user_sgpr_count 6
		.amdhsa_user_sgpr_private_segment_buffer 1
		.amdhsa_user_sgpr_dispatch_ptr 0
		.amdhsa_user_sgpr_queue_ptr 0
		.amdhsa_user_sgpr_kernarg_segment_ptr 1
		.amdhsa_user_sgpr_dispatch_id 0
		.amdhsa_user_sgpr_flat_scratch_init 0
		.amdhsa_user_sgpr_kernarg_preload_length 0
		.amdhsa_user_sgpr_kernarg_preload_offset 0
		.amdhsa_user_sgpr_private_segment_size 0
		.amdhsa_uses_dynamic_stack 0
		.amdhsa_system_sgpr_private_segment_wavefront_offset 0
		.amdhsa_system_sgpr_workgroup_id_x 1
		.amdhsa_system_sgpr_workgroup_id_y 0
		.amdhsa_system_sgpr_workgroup_id_z 0
		.amdhsa_system_sgpr_workgroup_info 0
		.amdhsa_system_vgpr_workitem_id 0
		.amdhsa_next_free_vgpr 1
		.amdhsa_next_free_sgpr 0
		.amdhsa_accum_offset 4
		.amdhsa_reserve_vcc 0
		.amdhsa_reserve_flat_scratch 0
		.amdhsa_float_round_mode_32 0
		.amdhsa_float_round_mode_16_64 0
		.amdhsa_float_denorm_mode_32 3
		.amdhsa_float_denorm_mode_16_64 3
		.amdhsa_dx10_clamp 1
		.amdhsa_ieee_mode 1
		.amdhsa_fp16_overflow 0
		.amdhsa_tg_split 0
		.amdhsa_exception_fp_ieee_invalid_op 0
		.amdhsa_exception_fp_denorm_src 0
		.amdhsa_exception_fp_ieee_div_zero 0
		.amdhsa_exception_fp_ieee_overflow 0
		.amdhsa_exception_fp_ieee_underflow 0
		.amdhsa_exception_fp_ieee_inexact 0
		.amdhsa_exception_int_div_zero 0
	.end_amdhsa_kernel
	.section	.text._ZN7rocprim17ROCPRIM_400000_NS6detail17trampoline_kernelINS0_14default_configENS1_38merge_sort_block_merge_config_selectorIyNS0_10empty_typeEEEZZNS1_27merge_sort_block_merge_implIS3_PyPS5_jNS1_19radix_merge_compareILb0ELb0EyNS0_19identity_decomposerEEEEE10hipError_tT0_T1_T2_jT3_P12ihipStream_tbPNSt15iterator_traitsISE_E10value_typeEPNSK_ISF_E10value_typeEPSG_NS1_7vsmem_tEENKUlT_SE_SF_SG_E_clIS8_S8_S9_S9_EESD_ST_SE_SF_SG_EUlST_E0_NS1_11comp_targetILNS1_3genE8ELNS1_11target_archE1030ELNS1_3gpuE2ELNS1_3repE0EEENS1_38merge_mergepath_config_static_selectorELNS0_4arch9wavefront6targetE1EEEvSF_,"axG",@progbits,_ZN7rocprim17ROCPRIM_400000_NS6detail17trampoline_kernelINS0_14default_configENS1_38merge_sort_block_merge_config_selectorIyNS0_10empty_typeEEEZZNS1_27merge_sort_block_merge_implIS3_PyPS5_jNS1_19radix_merge_compareILb0ELb0EyNS0_19identity_decomposerEEEEE10hipError_tT0_T1_T2_jT3_P12ihipStream_tbPNSt15iterator_traitsISE_E10value_typeEPNSK_ISF_E10value_typeEPSG_NS1_7vsmem_tEENKUlT_SE_SF_SG_E_clIS8_S8_S9_S9_EESD_ST_SE_SF_SG_EUlST_E0_NS1_11comp_targetILNS1_3genE8ELNS1_11target_archE1030ELNS1_3gpuE2ELNS1_3repE0EEENS1_38merge_mergepath_config_static_selectorELNS0_4arch9wavefront6targetE1EEEvSF_,comdat
.Lfunc_end1141:
	.size	_ZN7rocprim17ROCPRIM_400000_NS6detail17trampoline_kernelINS0_14default_configENS1_38merge_sort_block_merge_config_selectorIyNS0_10empty_typeEEEZZNS1_27merge_sort_block_merge_implIS3_PyPS5_jNS1_19radix_merge_compareILb0ELb0EyNS0_19identity_decomposerEEEEE10hipError_tT0_T1_T2_jT3_P12ihipStream_tbPNSt15iterator_traitsISE_E10value_typeEPNSK_ISF_E10value_typeEPSG_NS1_7vsmem_tEENKUlT_SE_SF_SG_E_clIS8_S8_S9_S9_EESD_ST_SE_SF_SG_EUlST_E0_NS1_11comp_targetILNS1_3genE8ELNS1_11target_archE1030ELNS1_3gpuE2ELNS1_3repE0EEENS1_38merge_mergepath_config_static_selectorELNS0_4arch9wavefront6targetE1EEEvSF_, .Lfunc_end1141-_ZN7rocprim17ROCPRIM_400000_NS6detail17trampoline_kernelINS0_14default_configENS1_38merge_sort_block_merge_config_selectorIyNS0_10empty_typeEEEZZNS1_27merge_sort_block_merge_implIS3_PyPS5_jNS1_19radix_merge_compareILb0ELb0EyNS0_19identity_decomposerEEEEE10hipError_tT0_T1_T2_jT3_P12ihipStream_tbPNSt15iterator_traitsISE_E10value_typeEPNSK_ISF_E10value_typeEPSG_NS1_7vsmem_tEENKUlT_SE_SF_SG_E_clIS8_S8_S9_S9_EESD_ST_SE_SF_SG_EUlST_E0_NS1_11comp_targetILNS1_3genE8ELNS1_11target_archE1030ELNS1_3gpuE2ELNS1_3repE0EEENS1_38merge_mergepath_config_static_selectorELNS0_4arch9wavefront6targetE1EEEvSF_
                                        ; -- End function
	.section	.AMDGPU.csdata,"",@progbits
; Kernel info:
; codeLenInByte = 0
; NumSgprs: 4
; NumVgprs: 0
; NumAgprs: 0
; TotalNumVgprs: 0
; ScratchSize: 0
; MemoryBound: 0
; FloatMode: 240
; IeeeMode: 1
; LDSByteSize: 0 bytes/workgroup (compile time only)
; SGPRBlocks: 0
; VGPRBlocks: 0
; NumSGPRsForWavesPerEU: 4
; NumVGPRsForWavesPerEU: 1
; AccumOffset: 4
; Occupancy: 8
; WaveLimiterHint : 0
; COMPUTE_PGM_RSRC2:SCRATCH_EN: 0
; COMPUTE_PGM_RSRC2:USER_SGPR: 6
; COMPUTE_PGM_RSRC2:TRAP_HANDLER: 0
; COMPUTE_PGM_RSRC2:TGID_X_EN: 1
; COMPUTE_PGM_RSRC2:TGID_Y_EN: 0
; COMPUTE_PGM_RSRC2:TGID_Z_EN: 0
; COMPUTE_PGM_RSRC2:TIDIG_COMP_CNT: 0
; COMPUTE_PGM_RSRC3_GFX90A:ACCUM_OFFSET: 0
; COMPUTE_PGM_RSRC3_GFX90A:TG_SPLIT: 0
	.section	.text._ZN7rocprim17ROCPRIM_400000_NS6detail17trampoline_kernelINS0_14default_configENS1_38merge_sort_block_merge_config_selectorIyNS0_10empty_typeEEEZZNS1_27merge_sort_block_merge_implIS3_PyPS5_jNS1_19radix_merge_compareILb0ELb0EyNS0_19identity_decomposerEEEEE10hipError_tT0_T1_T2_jT3_P12ihipStream_tbPNSt15iterator_traitsISE_E10value_typeEPNSK_ISF_E10value_typeEPSG_NS1_7vsmem_tEENKUlT_SE_SF_SG_E_clIS8_S8_S9_S9_EESD_ST_SE_SF_SG_EUlST_E1_NS1_11comp_targetILNS1_3genE0ELNS1_11target_archE4294967295ELNS1_3gpuE0ELNS1_3repE0EEENS1_36merge_oddeven_config_static_selectorELNS0_4arch9wavefront6targetE1EEEvSF_,"axG",@progbits,_ZN7rocprim17ROCPRIM_400000_NS6detail17trampoline_kernelINS0_14default_configENS1_38merge_sort_block_merge_config_selectorIyNS0_10empty_typeEEEZZNS1_27merge_sort_block_merge_implIS3_PyPS5_jNS1_19radix_merge_compareILb0ELb0EyNS0_19identity_decomposerEEEEE10hipError_tT0_T1_T2_jT3_P12ihipStream_tbPNSt15iterator_traitsISE_E10value_typeEPNSK_ISF_E10value_typeEPSG_NS1_7vsmem_tEENKUlT_SE_SF_SG_E_clIS8_S8_S9_S9_EESD_ST_SE_SF_SG_EUlST_E1_NS1_11comp_targetILNS1_3genE0ELNS1_11target_archE4294967295ELNS1_3gpuE0ELNS1_3repE0EEENS1_36merge_oddeven_config_static_selectorELNS0_4arch9wavefront6targetE1EEEvSF_,comdat
	.protected	_ZN7rocprim17ROCPRIM_400000_NS6detail17trampoline_kernelINS0_14default_configENS1_38merge_sort_block_merge_config_selectorIyNS0_10empty_typeEEEZZNS1_27merge_sort_block_merge_implIS3_PyPS5_jNS1_19radix_merge_compareILb0ELb0EyNS0_19identity_decomposerEEEEE10hipError_tT0_T1_T2_jT3_P12ihipStream_tbPNSt15iterator_traitsISE_E10value_typeEPNSK_ISF_E10value_typeEPSG_NS1_7vsmem_tEENKUlT_SE_SF_SG_E_clIS8_S8_S9_S9_EESD_ST_SE_SF_SG_EUlST_E1_NS1_11comp_targetILNS1_3genE0ELNS1_11target_archE4294967295ELNS1_3gpuE0ELNS1_3repE0EEENS1_36merge_oddeven_config_static_selectorELNS0_4arch9wavefront6targetE1EEEvSF_ ; -- Begin function _ZN7rocprim17ROCPRIM_400000_NS6detail17trampoline_kernelINS0_14default_configENS1_38merge_sort_block_merge_config_selectorIyNS0_10empty_typeEEEZZNS1_27merge_sort_block_merge_implIS3_PyPS5_jNS1_19radix_merge_compareILb0ELb0EyNS0_19identity_decomposerEEEEE10hipError_tT0_T1_T2_jT3_P12ihipStream_tbPNSt15iterator_traitsISE_E10value_typeEPNSK_ISF_E10value_typeEPSG_NS1_7vsmem_tEENKUlT_SE_SF_SG_E_clIS8_S8_S9_S9_EESD_ST_SE_SF_SG_EUlST_E1_NS1_11comp_targetILNS1_3genE0ELNS1_11target_archE4294967295ELNS1_3gpuE0ELNS1_3repE0EEENS1_36merge_oddeven_config_static_selectorELNS0_4arch9wavefront6targetE1EEEvSF_
	.globl	_ZN7rocprim17ROCPRIM_400000_NS6detail17trampoline_kernelINS0_14default_configENS1_38merge_sort_block_merge_config_selectorIyNS0_10empty_typeEEEZZNS1_27merge_sort_block_merge_implIS3_PyPS5_jNS1_19radix_merge_compareILb0ELb0EyNS0_19identity_decomposerEEEEE10hipError_tT0_T1_T2_jT3_P12ihipStream_tbPNSt15iterator_traitsISE_E10value_typeEPNSK_ISF_E10value_typeEPSG_NS1_7vsmem_tEENKUlT_SE_SF_SG_E_clIS8_S8_S9_S9_EESD_ST_SE_SF_SG_EUlST_E1_NS1_11comp_targetILNS1_3genE0ELNS1_11target_archE4294967295ELNS1_3gpuE0ELNS1_3repE0EEENS1_36merge_oddeven_config_static_selectorELNS0_4arch9wavefront6targetE1EEEvSF_
	.p2align	8
	.type	_ZN7rocprim17ROCPRIM_400000_NS6detail17trampoline_kernelINS0_14default_configENS1_38merge_sort_block_merge_config_selectorIyNS0_10empty_typeEEEZZNS1_27merge_sort_block_merge_implIS3_PyPS5_jNS1_19radix_merge_compareILb0ELb0EyNS0_19identity_decomposerEEEEE10hipError_tT0_T1_T2_jT3_P12ihipStream_tbPNSt15iterator_traitsISE_E10value_typeEPNSK_ISF_E10value_typeEPSG_NS1_7vsmem_tEENKUlT_SE_SF_SG_E_clIS8_S8_S9_S9_EESD_ST_SE_SF_SG_EUlST_E1_NS1_11comp_targetILNS1_3genE0ELNS1_11target_archE4294967295ELNS1_3gpuE0ELNS1_3repE0EEENS1_36merge_oddeven_config_static_selectorELNS0_4arch9wavefront6targetE1EEEvSF_,@function
_ZN7rocprim17ROCPRIM_400000_NS6detail17trampoline_kernelINS0_14default_configENS1_38merge_sort_block_merge_config_selectorIyNS0_10empty_typeEEEZZNS1_27merge_sort_block_merge_implIS3_PyPS5_jNS1_19radix_merge_compareILb0ELb0EyNS0_19identity_decomposerEEEEE10hipError_tT0_T1_T2_jT3_P12ihipStream_tbPNSt15iterator_traitsISE_E10value_typeEPNSK_ISF_E10value_typeEPSG_NS1_7vsmem_tEENKUlT_SE_SF_SG_E_clIS8_S8_S9_S9_EESD_ST_SE_SF_SG_EUlST_E1_NS1_11comp_targetILNS1_3genE0ELNS1_11target_archE4294967295ELNS1_3gpuE0ELNS1_3repE0EEENS1_36merge_oddeven_config_static_selectorELNS0_4arch9wavefront6targetE1EEEvSF_: ; @_ZN7rocprim17ROCPRIM_400000_NS6detail17trampoline_kernelINS0_14default_configENS1_38merge_sort_block_merge_config_selectorIyNS0_10empty_typeEEEZZNS1_27merge_sort_block_merge_implIS3_PyPS5_jNS1_19radix_merge_compareILb0ELb0EyNS0_19identity_decomposerEEEEE10hipError_tT0_T1_T2_jT3_P12ihipStream_tbPNSt15iterator_traitsISE_E10value_typeEPNSK_ISF_E10value_typeEPSG_NS1_7vsmem_tEENKUlT_SE_SF_SG_E_clIS8_S8_S9_S9_EESD_ST_SE_SF_SG_EUlST_E1_NS1_11comp_targetILNS1_3genE0ELNS1_11target_archE4294967295ELNS1_3gpuE0ELNS1_3repE0EEENS1_36merge_oddeven_config_static_selectorELNS0_4arch9wavefront6targetE1EEEvSF_
; %bb.0:
	.section	.rodata,"a",@progbits
	.p2align	6, 0x0
	.amdhsa_kernel _ZN7rocprim17ROCPRIM_400000_NS6detail17trampoline_kernelINS0_14default_configENS1_38merge_sort_block_merge_config_selectorIyNS0_10empty_typeEEEZZNS1_27merge_sort_block_merge_implIS3_PyPS5_jNS1_19radix_merge_compareILb0ELb0EyNS0_19identity_decomposerEEEEE10hipError_tT0_T1_T2_jT3_P12ihipStream_tbPNSt15iterator_traitsISE_E10value_typeEPNSK_ISF_E10value_typeEPSG_NS1_7vsmem_tEENKUlT_SE_SF_SG_E_clIS8_S8_S9_S9_EESD_ST_SE_SF_SG_EUlST_E1_NS1_11comp_targetILNS1_3genE0ELNS1_11target_archE4294967295ELNS1_3gpuE0ELNS1_3repE0EEENS1_36merge_oddeven_config_static_selectorELNS0_4arch9wavefront6targetE1EEEvSF_
		.amdhsa_group_segment_fixed_size 0
		.amdhsa_private_segment_fixed_size 0
		.amdhsa_kernarg_size 48
		.amdhsa_user_sgpr_count 6
		.amdhsa_user_sgpr_private_segment_buffer 1
		.amdhsa_user_sgpr_dispatch_ptr 0
		.amdhsa_user_sgpr_queue_ptr 0
		.amdhsa_user_sgpr_kernarg_segment_ptr 1
		.amdhsa_user_sgpr_dispatch_id 0
		.amdhsa_user_sgpr_flat_scratch_init 0
		.amdhsa_user_sgpr_kernarg_preload_length 0
		.amdhsa_user_sgpr_kernarg_preload_offset 0
		.amdhsa_user_sgpr_private_segment_size 0
		.amdhsa_uses_dynamic_stack 0
		.amdhsa_system_sgpr_private_segment_wavefront_offset 0
		.amdhsa_system_sgpr_workgroup_id_x 1
		.amdhsa_system_sgpr_workgroup_id_y 0
		.amdhsa_system_sgpr_workgroup_id_z 0
		.amdhsa_system_sgpr_workgroup_info 0
		.amdhsa_system_vgpr_workitem_id 0
		.amdhsa_next_free_vgpr 1
		.amdhsa_next_free_sgpr 0
		.amdhsa_accum_offset 4
		.amdhsa_reserve_vcc 0
		.amdhsa_reserve_flat_scratch 0
		.amdhsa_float_round_mode_32 0
		.amdhsa_float_round_mode_16_64 0
		.amdhsa_float_denorm_mode_32 3
		.amdhsa_float_denorm_mode_16_64 3
		.amdhsa_dx10_clamp 1
		.amdhsa_ieee_mode 1
		.amdhsa_fp16_overflow 0
		.amdhsa_tg_split 0
		.amdhsa_exception_fp_ieee_invalid_op 0
		.amdhsa_exception_fp_denorm_src 0
		.amdhsa_exception_fp_ieee_div_zero 0
		.amdhsa_exception_fp_ieee_overflow 0
		.amdhsa_exception_fp_ieee_underflow 0
		.amdhsa_exception_fp_ieee_inexact 0
		.amdhsa_exception_int_div_zero 0
	.end_amdhsa_kernel
	.section	.text._ZN7rocprim17ROCPRIM_400000_NS6detail17trampoline_kernelINS0_14default_configENS1_38merge_sort_block_merge_config_selectorIyNS0_10empty_typeEEEZZNS1_27merge_sort_block_merge_implIS3_PyPS5_jNS1_19radix_merge_compareILb0ELb0EyNS0_19identity_decomposerEEEEE10hipError_tT0_T1_T2_jT3_P12ihipStream_tbPNSt15iterator_traitsISE_E10value_typeEPNSK_ISF_E10value_typeEPSG_NS1_7vsmem_tEENKUlT_SE_SF_SG_E_clIS8_S8_S9_S9_EESD_ST_SE_SF_SG_EUlST_E1_NS1_11comp_targetILNS1_3genE0ELNS1_11target_archE4294967295ELNS1_3gpuE0ELNS1_3repE0EEENS1_36merge_oddeven_config_static_selectorELNS0_4arch9wavefront6targetE1EEEvSF_,"axG",@progbits,_ZN7rocprim17ROCPRIM_400000_NS6detail17trampoline_kernelINS0_14default_configENS1_38merge_sort_block_merge_config_selectorIyNS0_10empty_typeEEEZZNS1_27merge_sort_block_merge_implIS3_PyPS5_jNS1_19radix_merge_compareILb0ELb0EyNS0_19identity_decomposerEEEEE10hipError_tT0_T1_T2_jT3_P12ihipStream_tbPNSt15iterator_traitsISE_E10value_typeEPNSK_ISF_E10value_typeEPSG_NS1_7vsmem_tEENKUlT_SE_SF_SG_E_clIS8_S8_S9_S9_EESD_ST_SE_SF_SG_EUlST_E1_NS1_11comp_targetILNS1_3genE0ELNS1_11target_archE4294967295ELNS1_3gpuE0ELNS1_3repE0EEENS1_36merge_oddeven_config_static_selectorELNS0_4arch9wavefront6targetE1EEEvSF_,comdat
.Lfunc_end1142:
	.size	_ZN7rocprim17ROCPRIM_400000_NS6detail17trampoline_kernelINS0_14default_configENS1_38merge_sort_block_merge_config_selectorIyNS0_10empty_typeEEEZZNS1_27merge_sort_block_merge_implIS3_PyPS5_jNS1_19radix_merge_compareILb0ELb0EyNS0_19identity_decomposerEEEEE10hipError_tT0_T1_T2_jT3_P12ihipStream_tbPNSt15iterator_traitsISE_E10value_typeEPNSK_ISF_E10value_typeEPSG_NS1_7vsmem_tEENKUlT_SE_SF_SG_E_clIS8_S8_S9_S9_EESD_ST_SE_SF_SG_EUlST_E1_NS1_11comp_targetILNS1_3genE0ELNS1_11target_archE4294967295ELNS1_3gpuE0ELNS1_3repE0EEENS1_36merge_oddeven_config_static_selectorELNS0_4arch9wavefront6targetE1EEEvSF_, .Lfunc_end1142-_ZN7rocprim17ROCPRIM_400000_NS6detail17trampoline_kernelINS0_14default_configENS1_38merge_sort_block_merge_config_selectorIyNS0_10empty_typeEEEZZNS1_27merge_sort_block_merge_implIS3_PyPS5_jNS1_19radix_merge_compareILb0ELb0EyNS0_19identity_decomposerEEEEE10hipError_tT0_T1_T2_jT3_P12ihipStream_tbPNSt15iterator_traitsISE_E10value_typeEPNSK_ISF_E10value_typeEPSG_NS1_7vsmem_tEENKUlT_SE_SF_SG_E_clIS8_S8_S9_S9_EESD_ST_SE_SF_SG_EUlST_E1_NS1_11comp_targetILNS1_3genE0ELNS1_11target_archE4294967295ELNS1_3gpuE0ELNS1_3repE0EEENS1_36merge_oddeven_config_static_selectorELNS0_4arch9wavefront6targetE1EEEvSF_
                                        ; -- End function
	.section	.AMDGPU.csdata,"",@progbits
; Kernel info:
; codeLenInByte = 0
; NumSgprs: 4
; NumVgprs: 0
; NumAgprs: 0
; TotalNumVgprs: 0
; ScratchSize: 0
; MemoryBound: 0
; FloatMode: 240
; IeeeMode: 1
; LDSByteSize: 0 bytes/workgroup (compile time only)
; SGPRBlocks: 0
; VGPRBlocks: 0
; NumSGPRsForWavesPerEU: 4
; NumVGPRsForWavesPerEU: 1
; AccumOffset: 4
; Occupancy: 8
; WaveLimiterHint : 0
; COMPUTE_PGM_RSRC2:SCRATCH_EN: 0
; COMPUTE_PGM_RSRC2:USER_SGPR: 6
; COMPUTE_PGM_RSRC2:TRAP_HANDLER: 0
; COMPUTE_PGM_RSRC2:TGID_X_EN: 1
; COMPUTE_PGM_RSRC2:TGID_Y_EN: 0
; COMPUTE_PGM_RSRC2:TGID_Z_EN: 0
; COMPUTE_PGM_RSRC2:TIDIG_COMP_CNT: 0
; COMPUTE_PGM_RSRC3_GFX90A:ACCUM_OFFSET: 0
; COMPUTE_PGM_RSRC3_GFX90A:TG_SPLIT: 0
	.section	.text._ZN7rocprim17ROCPRIM_400000_NS6detail17trampoline_kernelINS0_14default_configENS1_38merge_sort_block_merge_config_selectorIyNS0_10empty_typeEEEZZNS1_27merge_sort_block_merge_implIS3_PyPS5_jNS1_19radix_merge_compareILb0ELb0EyNS0_19identity_decomposerEEEEE10hipError_tT0_T1_T2_jT3_P12ihipStream_tbPNSt15iterator_traitsISE_E10value_typeEPNSK_ISF_E10value_typeEPSG_NS1_7vsmem_tEENKUlT_SE_SF_SG_E_clIS8_S8_S9_S9_EESD_ST_SE_SF_SG_EUlST_E1_NS1_11comp_targetILNS1_3genE10ELNS1_11target_archE1201ELNS1_3gpuE5ELNS1_3repE0EEENS1_36merge_oddeven_config_static_selectorELNS0_4arch9wavefront6targetE1EEEvSF_,"axG",@progbits,_ZN7rocprim17ROCPRIM_400000_NS6detail17trampoline_kernelINS0_14default_configENS1_38merge_sort_block_merge_config_selectorIyNS0_10empty_typeEEEZZNS1_27merge_sort_block_merge_implIS3_PyPS5_jNS1_19radix_merge_compareILb0ELb0EyNS0_19identity_decomposerEEEEE10hipError_tT0_T1_T2_jT3_P12ihipStream_tbPNSt15iterator_traitsISE_E10value_typeEPNSK_ISF_E10value_typeEPSG_NS1_7vsmem_tEENKUlT_SE_SF_SG_E_clIS8_S8_S9_S9_EESD_ST_SE_SF_SG_EUlST_E1_NS1_11comp_targetILNS1_3genE10ELNS1_11target_archE1201ELNS1_3gpuE5ELNS1_3repE0EEENS1_36merge_oddeven_config_static_selectorELNS0_4arch9wavefront6targetE1EEEvSF_,comdat
	.protected	_ZN7rocprim17ROCPRIM_400000_NS6detail17trampoline_kernelINS0_14default_configENS1_38merge_sort_block_merge_config_selectorIyNS0_10empty_typeEEEZZNS1_27merge_sort_block_merge_implIS3_PyPS5_jNS1_19radix_merge_compareILb0ELb0EyNS0_19identity_decomposerEEEEE10hipError_tT0_T1_T2_jT3_P12ihipStream_tbPNSt15iterator_traitsISE_E10value_typeEPNSK_ISF_E10value_typeEPSG_NS1_7vsmem_tEENKUlT_SE_SF_SG_E_clIS8_S8_S9_S9_EESD_ST_SE_SF_SG_EUlST_E1_NS1_11comp_targetILNS1_3genE10ELNS1_11target_archE1201ELNS1_3gpuE5ELNS1_3repE0EEENS1_36merge_oddeven_config_static_selectorELNS0_4arch9wavefront6targetE1EEEvSF_ ; -- Begin function _ZN7rocprim17ROCPRIM_400000_NS6detail17trampoline_kernelINS0_14default_configENS1_38merge_sort_block_merge_config_selectorIyNS0_10empty_typeEEEZZNS1_27merge_sort_block_merge_implIS3_PyPS5_jNS1_19radix_merge_compareILb0ELb0EyNS0_19identity_decomposerEEEEE10hipError_tT0_T1_T2_jT3_P12ihipStream_tbPNSt15iterator_traitsISE_E10value_typeEPNSK_ISF_E10value_typeEPSG_NS1_7vsmem_tEENKUlT_SE_SF_SG_E_clIS8_S8_S9_S9_EESD_ST_SE_SF_SG_EUlST_E1_NS1_11comp_targetILNS1_3genE10ELNS1_11target_archE1201ELNS1_3gpuE5ELNS1_3repE0EEENS1_36merge_oddeven_config_static_selectorELNS0_4arch9wavefront6targetE1EEEvSF_
	.globl	_ZN7rocprim17ROCPRIM_400000_NS6detail17trampoline_kernelINS0_14default_configENS1_38merge_sort_block_merge_config_selectorIyNS0_10empty_typeEEEZZNS1_27merge_sort_block_merge_implIS3_PyPS5_jNS1_19radix_merge_compareILb0ELb0EyNS0_19identity_decomposerEEEEE10hipError_tT0_T1_T2_jT3_P12ihipStream_tbPNSt15iterator_traitsISE_E10value_typeEPNSK_ISF_E10value_typeEPSG_NS1_7vsmem_tEENKUlT_SE_SF_SG_E_clIS8_S8_S9_S9_EESD_ST_SE_SF_SG_EUlST_E1_NS1_11comp_targetILNS1_3genE10ELNS1_11target_archE1201ELNS1_3gpuE5ELNS1_3repE0EEENS1_36merge_oddeven_config_static_selectorELNS0_4arch9wavefront6targetE1EEEvSF_
	.p2align	8
	.type	_ZN7rocprim17ROCPRIM_400000_NS6detail17trampoline_kernelINS0_14default_configENS1_38merge_sort_block_merge_config_selectorIyNS0_10empty_typeEEEZZNS1_27merge_sort_block_merge_implIS3_PyPS5_jNS1_19radix_merge_compareILb0ELb0EyNS0_19identity_decomposerEEEEE10hipError_tT0_T1_T2_jT3_P12ihipStream_tbPNSt15iterator_traitsISE_E10value_typeEPNSK_ISF_E10value_typeEPSG_NS1_7vsmem_tEENKUlT_SE_SF_SG_E_clIS8_S8_S9_S9_EESD_ST_SE_SF_SG_EUlST_E1_NS1_11comp_targetILNS1_3genE10ELNS1_11target_archE1201ELNS1_3gpuE5ELNS1_3repE0EEENS1_36merge_oddeven_config_static_selectorELNS0_4arch9wavefront6targetE1EEEvSF_,@function
_ZN7rocprim17ROCPRIM_400000_NS6detail17trampoline_kernelINS0_14default_configENS1_38merge_sort_block_merge_config_selectorIyNS0_10empty_typeEEEZZNS1_27merge_sort_block_merge_implIS3_PyPS5_jNS1_19radix_merge_compareILb0ELb0EyNS0_19identity_decomposerEEEEE10hipError_tT0_T1_T2_jT3_P12ihipStream_tbPNSt15iterator_traitsISE_E10value_typeEPNSK_ISF_E10value_typeEPSG_NS1_7vsmem_tEENKUlT_SE_SF_SG_E_clIS8_S8_S9_S9_EESD_ST_SE_SF_SG_EUlST_E1_NS1_11comp_targetILNS1_3genE10ELNS1_11target_archE1201ELNS1_3gpuE5ELNS1_3repE0EEENS1_36merge_oddeven_config_static_selectorELNS0_4arch9wavefront6targetE1EEEvSF_: ; @_ZN7rocprim17ROCPRIM_400000_NS6detail17trampoline_kernelINS0_14default_configENS1_38merge_sort_block_merge_config_selectorIyNS0_10empty_typeEEEZZNS1_27merge_sort_block_merge_implIS3_PyPS5_jNS1_19radix_merge_compareILb0ELb0EyNS0_19identity_decomposerEEEEE10hipError_tT0_T1_T2_jT3_P12ihipStream_tbPNSt15iterator_traitsISE_E10value_typeEPNSK_ISF_E10value_typeEPSG_NS1_7vsmem_tEENKUlT_SE_SF_SG_E_clIS8_S8_S9_S9_EESD_ST_SE_SF_SG_EUlST_E1_NS1_11comp_targetILNS1_3genE10ELNS1_11target_archE1201ELNS1_3gpuE5ELNS1_3repE0EEENS1_36merge_oddeven_config_static_selectorELNS0_4arch9wavefront6targetE1EEEvSF_
; %bb.0:
	.section	.rodata,"a",@progbits
	.p2align	6, 0x0
	.amdhsa_kernel _ZN7rocprim17ROCPRIM_400000_NS6detail17trampoline_kernelINS0_14default_configENS1_38merge_sort_block_merge_config_selectorIyNS0_10empty_typeEEEZZNS1_27merge_sort_block_merge_implIS3_PyPS5_jNS1_19radix_merge_compareILb0ELb0EyNS0_19identity_decomposerEEEEE10hipError_tT0_T1_T2_jT3_P12ihipStream_tbPNSt15iterator_traitsISE_E10value_typeEPNSK_ISF_E10value_typeEPSG_NS1_7vsmem_tEENKUlT_SE_SF_SG_E_clIS8_S8_S9_S9_EESD_ST_SE_SF_SG_EUlST_E1_NS1_11comp_targetILNS1_3genE10ELNS1_11target_archE1201ELNS1_3gpuE5ELNS1_3repE0EEENS1_36merge_oddeven_config_static_selectorELNS0_4arch9wavefront6targetE1EEEvSF_
		.amdhsa_group_segment_fixed_size 0
		.amdhsa_private_segment_fixed_size 0
		.amdhsa_kernarg_size 48
		.amdhsa_user_sgpr_count 6
		.amdhsa_user_sgpr_private_segment_buffer 1
		.amdhsa_user_sgpr_dispatch_ptr 0
		.amdhsa_user_sgpr_queue_ptr 0
		.amdhsa_user_sgpr_kernarg_segment_ptr 1
		.amdhsa_user_sgpr_dispatch_id 0
		.amdhsa_user_sgpr_flat_scratch_init 0
		.amdhsa_user_sgpr_kernarg_preload_length 0
		.amdhsa_user_sgpr_kernarg_preload_offset 0
		.amdhsa_user_sgpr_private_segment_size 0
		.amdhsa_uses_dynamic_stack 0
		.amdhsa_system_sgpr_private_segment_wavefront_offset 0
		.amdhsa_system_sgpr_workgroup_id_x 1
		.amdhsa_system_sgpr_workgroup_id_y 0
		.amdhsa_system_sgpr_workgroup_id_z 0
		.amdhsa_system_sgpr_workgroup_info 0
		.amdhsa_system_vgpr_workitem_id 0
		.amdhsa_next_free_vgpr 1
		.amdhsa_next_free_sgpr 0
		.amdhsa_accum_offset 4
		.amdhsa_reserve_vcc 0
		.amdhsa_reserve_flat_scratch 0
		.amdhsa_float_round_mode_32 0
		.amdhsa_float_round_mode_16_64 0
		.amdhsa_float_denorm_mode_32 3
		.amdhsa_float_denorm_mode_16_64 3
		.amdhsa_dx10_clamp 1
		.amdhsa_ieee_mode 1
		.amdhsa_fp16_overflow 0
		.amdhsa_tg_split 0
		.amdhsa_exception_fp_ieee_invalid_op 0
		.amdhsa_exception_fp_denorm_src 0
		.amdhsa_exception_fp_ieee_div_zero 0
		.amdhsa_exception_fp_ieee_overflow 0
		.amdhsa_exception_fp_ieee_underflow 0
		.amdhsa_exception_fp_ieee_inexact 0
		.amdhsa_exception_int_div_zero 0
	.end_amdhsa_kernel
	.section	.text._ZN7rocprim17ROCPRIM_400000_NS6detail17trampoline_kernelINS0_14default_configENS1_38merge_sort_block_merge_config_selectorIyNS0_10empty_typeEEEZZNS1_27merge_sort_block_merge_implIS3_PyPS5_jNS1_19radix_merge_compareILb0ELb0EyNS0_19identity_decomposerEEEEE10hipError_tT0_T1_T2_jT3_P12ihipStream_tbPNSt15iterator_traitsISE_E10value_typeEPNSK_ISF_E10value_typeEPSG_NS1_7vsmem_tEENKUlT_SE_SF_SG_E_clIS8_S8_S9_S9_EESD_ST_SE_SF_SG_EUlST_E1_NS1_11comp_targetILNS1_3genE10ELNS1_11target_archE1201ELNS1_3gpuE5ELNS1_3repE0EEENS1_36merge_oddeven_config_static_selectorELNS0_4arch9wavefront6targetE1EEEvSF_,"axG",@progbits,_ZN7rocprim17ROCPRIM_400000_NS6detail17trampoline_kernelINS0_14default_configENS1_38merge_sort_block_merge_config_selectorIyNS0_10empty_typeEEEZZNS1_27merge_sort_block_merge_implIS3_PyPS5_jNS1_19radix_merge_compareILb0ELb0EyNS0_19identity_decomposerEEEEE10hipError_tT0_T1_T2_jT3_P12ihipStream_tbPNSt15iterator_traitsISE_E10value_typeEPNSK_ISF_E10value_typeEPSG_NS1_7vsmem_tEENKUlT_SE_SF_SG_E_clIS8_S8_S9_S9_EESD_ST_SE_SF_SG_EUlST_E1_NS1_11comp_targetILNS1_3genE10ELNS1_11target_archE1201ELNS1_3gpuE5ELNS1_3repE0EEENS1_36merge_oddeven_config_static_selectorELNS0_4arch9wavefront6targetE1EEEvSF_,comdat
.Lfunc_end1143:
	.size	_ZN7rocprim17ROCPRIM_400000_NS6detail17trampoline_kernelINS0_14default_configENS1_38merge_sort_block_merge_config_selectorIyNS0_10empty_typeEEEZZNS1_27merge_sort_block_merge_implIS3_PyPS5_jNS1_19radix_merge_compareILb0ELb0EyNS0_19identity_decomposerEEEEE10hipError_tT0_T1_T2_jT3_P12ihipStream_tbPNSt15iterator_traitsISE_E10value_typeEPNSK_ISF_E10value_typeEPSG_NS1_7vsmem_tEENKUlT_SE_SF_SG_E_clIS8_S8_S9_S9_EESD_ST_SE_SF_SG_EUlST_E1_NS1_11comp_targetILNS1_3genE10ELNS1_11target_archE1201ELNS1_3gpuE5ELNS1_3repE0EEENS1_36merge_oddeven_config_static_selectorELNS0_4arch9wavefront6targetE1EEEvSF_, .Lfunc_end1143-_ZN7rocprim17ROCPRIM_400000_NS6detail17trampoline_kernelINS0_14default_configENS1_38merge_sort_block_merge_config_selectorIyNS0_10empty_typeEEEZZNS1_27merge_sort_block_merge_implIS3_PyPS5_jNS1_19radix_merge_compareILb0ELb0EyNS0_19identity_decomposerEEEEE10hipError_tT0_T1_T2_jT3_P12ihipStream_tbPNSt15iterator_traitsISE_E10value_typeEPNSK_ISF_E10value_typeEPSG_NS1_7vsmem_tEENKUlT_SE_SF_SG_E_clIS8_S8_S9_S9_EESD_ST_SE_SF_SG_EUlST_E1_NS1_11comp_targetILNS1_3genE10ELNS1_11target_archE1201ELNS1_3gpuE5ELNS1_3repE0EEENS1_36merge_oddeven_config_static_selectorELNS0_4arch9wavefront6targetE1EEEvSF_
                                        ; -- End function
	.section	.AMDGPU.csdata,"",@progbits
; Kernel info:
; codeLenInByte = 0
; NumSgprs: 4
; NumVgprs: 0
; NumAgprs: 0
; TotalNumVgprs: 0
; ScratchSize: 0
; MemoryBound: 0
; FloatMode: 240
; IeeeMode: 1
; LDSByteSize: 0 bytes/workgroup (compile time only)
; SGPRBlocks: 0
; VGPRBlocks: 0
; NumSGPRsForWavesPerEU: 4
; NumVGPRsForWavesPerEU: 1
; AccumOffset: 4
; Occupancy: 8
; WaveLimiterHint : 0
; COMPUTE_PGM_RSRC2:SCRATCH_EN: 0
; COMPUTE_PGM_RSRC2:USER_SGPR: 6
; COMPUTE_PGM_RSRC2:TRAP_HANDLER: 0
; COMPUTE_PGM_RSRC2:TGID_X_EN: 1
; COMPUTE_PGM_RSRC2:TGID_Y_EN: 0
; COMPUTE_PGM_RSRC2:TGID_Z_EN: 0
; COMPUTE_PGM_RSRC2:TIDIG_COMP_CNT: 0
; COMPUTE_PGM_RSRC3_GFX90A:ACCUM_OFFSET: 0
; COMPUTE_PGM_RSRC3_GFX90A:TG_SPLIT: 0
	.section	.text._ZN7rocprim17ROCPRIM_400000_NS6detail17trampoline_kernelINS0_14default_configENS1_38merge_sort_block_merge_config_selectorIyNS0_10empty_typeEEEZZNS1_27merge_sort_block_merge_implIS3_PyPS5_jNS1_19radix_merge_compareILb0ELb0EyNS0_19identity_decomposerEEEEE10hipError_tT0_T1_T2_jT3_P12ihipStream_tbPNSt15iterator_traitsISE_E10value_typeEPNSK_ISF_E10value_typeEPSG_NS1_7vsmem_tEENKUlT_SE_SF_SG_E_clIS8_S8_S9_S9_EESD_ST_SE_SF_SG_EUlST_E1_NS1_11comp_targetILNS1_3genE5ELNS1_11target_archE942ELNS1_3gpuE9ELNS1_3repE0EEENS1_36merge_oddeven_config_static_selectorELNS0_4arch9wavefront6targetE1EEEvSF_,"axG",@progbits,_ZN7rocprim17ROCPRIM_400000_NS6detail17trampoline_kernelINS0_14default_configENS1_38merge_sort_block_merge_config_selectorIyNS0_10empty_typeEEEZZNS1_27merge_sort_block_merge_implIS3_PyPS5_jNS1_19radix_merge_compareILb0ELb0EyNS0_19identity_decomposerEEEEE10hipError_tT0_T1_T2_jT3_P12ihipStream_tbPNSt15iterator_traitsISE_E10value_typeEPNSK_ISF_E10value_typeEPSG_NS1_7vsmem_tEENKUlT_SE_SF_SG_E_clIS8_S8_S9_S9_EESD_ST_SE_SF_SG_EUlST_E1_NS1_11comp_targetILNS1_3genE5ELNS1_11target_archE942ELNS1_3gpuE9ELNS1_3repE0EEENS1_36merge_oddeven_config_static_selectorELNS0_4arch9wavefront6targetE1EEEvSF_,comdat
	.protected	_ZN7rocprim17ROCPRIM_400000_NS6detail17trampoline_kernelINS0_14default_configENS1_38merge_sort_block_merge_config_selectorIyNS0_10empty_typeEEEZZNS1_27merge_sort_block_merge_implIS3_PyPS5_jNS1_19radix_merge_compareILb0ELb0EyNS0_19identity_decomposerEEEEE10hipError_tT0_T1_T2_jT3_P12ihipStream_tbPNSt15iterator_traitsISE_E10value_typeEPNSK_ISF_E10value_typeEPSG_NS1_7vsmem_tEENKUlT_SE_SF_SG_E_clIS8_S8_S9_S9_EESD_ST_SE_SF_SG_EUlST_E1_NS1_11comp_targetILNS1_3genE5ELNS1_11target_archE942ELNS1_3gpuE9ELNS1_3repE0EEENS1_36merge_oddeven_config_static_selectorELNS0_4arch9wavefront6targetE1EEEvSF_ ; -- Begin function _ZN7rocprim17ROCPRIM_400000_NS6detail17trampoline_kernelINS0_14default_configENS1_38merge_sort_block_merge_config_selectorIyNS0_10empty_typeEEEZZNS1_27merge_sort_block_merge_implIS3_PyPS5_jNS1_19radix_merge_compareILb0ELb0EyNS0_19identity_decomposerEEEEE10hipError_tT0_T1_T2_jT3_P12ihipStream_tbPNSt15iterator_traitsISE_E10value_typeEPNSK_ISF_E10value_typeEPSG_NS1_7vsmem_tEENKUlT_SE_SF_SG_E_clIS8_S8_S9_S9_EESD_ST_SE_SF_SG_EUlST_E1_NS1_11comp_targetILNS1_3genE5ELNS1_11target_archE942ELNS1_3gpuE9ELNS1_3repE0EEENS1_36merge_oddeven_config_static_selectorELNS0_4arch9wavefront6targetE1EEEvSF_
	.globl	_ZN7rocprim17ROCPRIM_400000_NS6detail17trampoline_kernelINS0_14default_configENS1_38merge_sort_block_merge_config_selectorIyNS0_10empty_typeEEEZZNS1_27merge_sort_block_merge_implIS3_PyPS5_jNS1_19radix_merge_compareILb0ELb0EyNS0_19identity_decomposerEEEEE10hipError_tT0_T1_T2_jT3_P12ihipStream_tbPNSt15iterator_traitsISE_E10value_typeEPNSK_ISF_E10value_typeEPSG_NS1_7vsmem_tEENKUlT_SE_SF_SG_E_clIS8_S8_S9_S9_EESD_ST_SE_SF_SG_EUlST_E1_NS1_11comp_targetILNS1_3genE5ELNS1_11target_archE942ELNS1_3gpuE9ELNS1_3repE0EEENS1_36merge_oddeven_config_static_selectorELNS0_4arch9wavefront6targetE1EEEvSF_
	.p2align	8
	.type	_ZN7rocprim17ROCPRIM_400000_NS6detail17trampoline_kernelINS0_14default_configENS1_38merge_sort_block_merge_config_selectorIyNS0_10empty_typeEEEZZNS1_27merge_sort_block_merge_implIS3_PyPS5_jNS1_19radix_merge_compareILb0ELb0EyNS0_19identity_decomposerEEEEE10hipError_tT0_T1_T2_jT3_P12ihipStream_tbPNSt15iterator_traitsISE_E10value_typeEPNSK_ISF_E10value_typeEPSG_NS1_7vsmem_tEENKUlT_SE_SF_SG_E_clIS8_S8_S9_S9_EESD_ST_SE_SF_SG_EUlST_E1_NS1_11comp_targetILNS1_3genE5ELNS1_11target_archE942ELNS1_3gpuE9ELNS1_3repE0EEENS1_36merge_oddeven_config_static_selectorELNS0_4arch9wavefront6targetE1EEEvSF_,@function
_ZN7rocprim17ROCPRIM_400000_NS6detail17trampoline_kernelINS0_14default_configENS1_38merge_sort_block_merge_config_selectorIyNS0_10empty_typeEEEZZNS1_27merge_sort_block_merge_implIS3_PyPS5_jNS1_19radix_merge_compareILb0ELb0EyNS0_19identity_decomposerEEEEE10hipError_tT0_T1_T2_jT3_P12ihipStream_tbPNSt15iterator_traitsISE_E10value_typeEPNSK_ISF_E10value_typeEPSG_NS1_7vsmem_tEENKUlT_SE_SF_SG_E_clIS8_S8_S9_S9_EESD_ST_SE_SF_SG_EUlST_E1_NS1_11comp_targetILNS1_3genE5ELNS1_11target_archE942ELNS1_3gpuE9ELNS1_3repE0EEENS1_36merge_oddeven_config_static_selectorELNS0_4arch9wavefront6targetE1EEEvSF_: ; @_ZN7rocprim17ROCPRIM_400000_NS6detail17trampoline_kernelINS0_14default_configENS1_38merge_sort_block_merge_config_selectorIyNS0_10empty_typeEEEZZNS1_27merge_sort_block_merge_implIS3_PyPS5_jNS1_19radix_merge_compareILb0ELb0EyNS0_19identity_decomposerEEEEE10hipError_tT0_T1_T2_jT3_P12ihipStream_tbPNSt15iterator_traitsISE_E10value_typeEPNSK_ISF_E10value_typeEPSG_NS1_7vsmem_tEENKUlT_SE_SF_SG_E_clIS8_S8_S9_S9_EESD_ST_SE_SF_SG_EUlST_E1_NS1_11comp_targetILNS1_3genE5ELNS1_11target_archE942ELNS1_3gpuE9ELNS1_3repE0EEENS1_36merge_oddeven_config_static_selectorELNS0_4arch9wavefront6targetE1EEEvSF_
; %bb.0:
	.section	.rodata,"a",@progbits
	.p2align	6, 0x0
	.amdhsa_kernel _ZN7rocprim17ROCPRIM_400000_NS6detail17trampoline_kernelINS0_14default_configENS1_38merge_sort_block_merge_config_selectorIyNS0_10empty_typeEEEZZNS1_27merge_sort_block_merge_implIS3_PyPS5_jNS1_19radix_merge_compareILb0ELb0EyNS0_19identity_decomposerEEEEE10hipError_tT0_T1_T2_jT3_P12ihipStream_tbPNSt15iterator_traitsISE_E10value_typeEPNSK_ISF_E10value_typeEPSG_NS1_7vsmem_tEENKUlT_SE_SF_SG_E_clIS8_S8_S9_S9_EESD_ST_SE_SF_SG_EUlST_E1_NS1_11comp_targetILNS1_3genE5ELNS1_11target_archE942ELNS1_3gpuE9ELNS1_3repE0EEENS1_36merge_oddeven_config_static_selectorELNS0_4arch9wavefront6targetE1EEEvSF_
		.amdhsa_group_segment_fixed_size 0
		.amdhsa_private_segment_fixed_size 0
		.amdhsa_kernarg_size 48
		.amdhsa_user_sgpr_count 6
		.amdhsa_user_sgpr_private_segment_buffer 1
		.amdhsa_user_sgpr_dispatch_ptr 0
		.amdhsa_user_sgpr_queue_ptr 0
		.amdhsa_user_sgpr_kernarg_segment_ptr 1
		.amdhsa_user_sgpr_dispatch_id 0
		.amdhsa_user_sgpr_flat_scratch_init 0
		.amdhsa_user_sgpr_kernarg_preload_length 0
		.amdhsa_user_sgpr_kernarg_preload_offset 0
		.amdhsa_user_sgpr_private_segment_size 0
		.amdhsa_uses_dynamic_stack 0
		.amdhsa_system_sgpr_private_segment_wavefront_offset 0
		.amdhsa_system_sgpr_workgroup_id_x 1
		.amdhsa_system_sgpr_workgroup_id_y 0
		.amdhsa_system_sgpr_workgroup_id_z 0
		.amdhsa_system_sgpr_workgroup_info 0
		.amdhsa_system_vgpr_workitem_id 0
		.amdhsa_next_free_vgpr 1
		.amdhsa_next_free_sgpr 0
		.amdhsa_accum_offset 4
		.amdhsa_reserve_vcc 0
		.amdhsa_reserve_flat_scratch 0
		.amdhsa_float_round_mode_32 0
		.amdhsa_float_round_mode_16_64 0
		.amdhsa_float_denorm_mode_32 3
		.amdhsa_float_denorm_mode_16_64 3
		.amdhsa_dx10_clamp 1
		.amdhsa_ieee_mode 1
		.amdhsa_fp16_overflow 0
		.amdhsa_tg_split 0
		.amdhsa_exception_fp_ieee_invalid_op 0
		.amdhsa_exception_fp_denorm_src 0
		.amdhsa_exception_fp_ieee_div_zero 0
		.amdhsa_exception_fp_ieee_overflow 0
		.amdhsa_exception_fp_ieee_underflow 0
		.amdhsa_exception_fp_ieee_inexact 0
		.amdhsa_exception_int_div_zero 0
	.end_amdhsa_kernel
	.section	.text._ZN7rocprim17ROCPRIM_400000_NS6detail17trampoline_kernelINS0_14default_configENS1_38merge_sort_block_merge_config_selectorIyNS0_10empty_typeEEEZZNS1_27merge_sort_block_merge_implIS3_PyPS5_jNS1_19radix_merge_compareILb0ELb0EyNS0_19identity_decomposerEEEEE10hipError_tT0_T1_T2_jT3_P12ihipStream_tbPNSt15iterator_traitsISE_E10value_typeEPNSK_ISF_E10value_typeEPSG_NS1_7vsmem_tEENKUlT_SE_SF_SG_E_clIS8_S8_S9_S9_EESD_ST_SE_SF_SG_EUlST_E1_NS1_11comp_targetILNS1_3genE5ELNS1_11target_archE942ELNS1_3gpuE9ELNS1_3repE0EEENS1_36merge_oddeven_config_static_selectorELNS0_4arch9wavefront6targetE1EEEvSF_,"axG",@progbits,_ZN7rocprim17ROCPRIM_400000_NS6detail17trampoline_kernelINS0_14default_configENS1_38merge_sort_block_merge_config_selectorIyNS0_10empty_typeEEEZZNS1_27merge_sort_block_merge_implIS3_PyPS5_jNS1_19radix_merge_compareILb0ELb0EyNS0_19identity_decomposerEEEEE10hipError_tT0_T1_T2_jT3_P12ihipStream_tbPNSt15iterator_traitsISE_E10value_typeEPNSK_ISF_E10value_typeEPSG_NS1_7vsmem_tEENKUlT_SE_SF_SG_E_clIS8_S8_S9_S9_EESD_ST_SE_SF_SG_EUlST_E1_NS1_11comp_targetILNS1_3genE5ELNS1_11target_archE942ELNS1_3gpuE9ELNS1_3repE0EEENS1_36merge_oddeven_config_static_selectorELNS0_4arch9wavefront6targetE1EEEvSF_,comdat
.Lfunc_end1144:
	.size	_ZN7rocprim17ROCPRIM_400000_NS6detail17trampoline_kernelINS0_14default_configENS1_38merge_sort_block_merge_config_selectorIyNS0_10empty_typeEEEZZNS1_27merge_sort_block_merge_implIS3_PyPS5_jNS1_19radix_merge_compareILb0ELb0EyNS0_19identity_decomposerEEEEE10hipError_tT0_T1_T2_jT3_P12ihipStream_tbPNSt15iterator_traitsISE_E10value_typeEPNSK_ISF_E10value_typeEPSG_NS1_7vsmem_tEENKUlT_SE_SF_SG_E_clIS8_S8_S9_S9_EESD_ST_SE_SF_SG_EUlST_E1_NS1_11comp_targetILNS1_3genE5ELNS1_11target_archE942ELNS1_3gpuE9ELNS1_3repE0EEENS1_36merge_oddeven_config_static_selectorELNS0_4arch9wavefront6targetE1EEEvSF_, .Lfunc_end1144-_ZN7rocprim17ROCPRIM_400000_NS6detail17trampoline_kernelINS0_14default_configENS1_38merge_sort_block_merge_config_selectorIyNS0_10empty_typeEEEZZNS1_27merge_sort_block_merge_implIS3_PyPS5_jNS1_19radix_merge_compareILb0ELb0EyNS0_19identity_decomposerEEEEE10hipError_tT0_T1_T2_jT3_P12ihipStream_tbPNSt15iterator_traitsISE_E10value_typeEPNSK_ISF_E10value_typeEPSG_NS1_7vsmem_tEENKUlT_SE_SF_SG_E_clIS8_S8_S9_S9_EESD_ST_SE_SF_SG_EUlST_E1_NS1_11comp_targetILNS1_3genE5ELNS1_11target_archE942ELNS1_3gpuE9ELNS1_3repE0EEENS1_36merge_oddeven_config_static_selectorELNS0_4arch9wavefront6targetE1EEEvSF_
                                        ; -- End function
	.section	.AMDGPU.csdata,"",@progbits
; Kernel info:
; codeLenInByte = 0
; NumSgprs: 4
; NumVgprs: 0
; NumAgprs: 0
; TotalNumVgprs: 0
; ScratchSize: 0
; MemoryBound: 0
; FloatMode: 240
; IeeeMode: 1
; LDSByteSize: 0 bytes/workgroup (compile time only)
; SGPRBlocks: 0
; VGPRBlocks: 0
; NumSGPRsForWavesPerEU: 4
; NumVGPRsForWavesPerEU: 1
; AccumOffset: 4
; Occupancy: 8
; WaveLimiterHint : 0
; COMPUTE_PGM_RSRC2:SCRATCH_EN: 0
; COMPUTE_PGM_RSRC2:USER_SGPR: 6
; COMPUTE_PGM_RSRC2:TRAP_HANDLER: 0
; COMPUTE_PGM_RSRC2:TGID_X_EN: 1
; COMPUTE_PGM_RSRC2:TGID_Y_EN: 0
; COMPUTE_PGM_RSRC2:TGID_Z_EN: 0
; COMPUTE_PGM_RSRC2:TIDIG_COMP_CNT: 0
; COMPUTE_PGM_RSRC3_GFX90A:ACCUM_OFFSET: 0
; COMPUTE_PGM_RSRC3_GFX90A:TG_SPLIT: 0
	.section	.text._ZN7rocprim17ROCPRIM_400000_NS6detail17trampoline_kernelINS0_14default_configENS1_38merge_sort_block_merge_config_selectorIyNS0_10empty_typeEEEZZNS1_27merge_sort_block_merge_implIS3_PyPS5_jNS1_19radix_merge_compareILb0ELb0EyNS0_19identity_decomposerEEEEE10hipError_tT0_T1_T2_jT3_P12ihipStream_tbPNSt15iterator_traitsISE_E10value_typeEPNSK_ISF_E10value_typeEPSG_NS1_7vsmem_tEENKUlT_SE_SF_SG_E_clIS8_S8_S9_S9_EESD_ST_SE_SF_SG_EUlST_E1_NS1_11comp_targetILNS1_3genE4ELNS1_11target_archE910ELNS1_3gpuE8ELNS1_3repE0EEENS1_36merge_oddeven_config_static_selectorELNS0_4arch9wavefront6targetE1EEEvSF_,"axG",@progbits,_ZN7rocprim17ROCPRIM_400000_NS6detail17trampoline_kernelINS0_14default_configENS1_38merge_sort_block_merge_config_selectorIyNS0_10empty_typeEEEZZNS1_27merge_sort_block_merge_implIS3_PyPS5_jNS1_19radix_merge_compareILb0ELb0EyNS0_19identity_decomposerEEEEE10hipError_tT0_T1_T2_jT3_P12ihipStream_tbPNSt15iterator_traitsISE_E10value_typeEPNSK_ISF_E10value_typeEPSG_NS1_7vsmem_tEENKUlT_SE_SF_SG_E_clIS8_S8_S9_S9_EESD_ST_SE_SF_SG_EUlST_E1_NS1_11comp_targetILNS1_3genE4ELNS1_11target_archE910ELNS1_3gpuE8ELNS1_3repE0EEENS1_36merge_oddeven_config_static_selectorELNS0_4arch9wavefront6targetE1EEEvSF_,comdat
	.protected	_ZN7rocprim17ROCPRIM_400000_NS6detail17trampoline_kernelINS0_14default_configENS1_38merge_sort_block_merge_config_selectorIyNS0_10empty_typeEEEZZNS1_27merge_sort_block_merge_implIS3_PyPS5_jNS1_19radix_merge_compareILb0ELb0EyNS0_19identity_decomposerEEEEE10hipError_tT0_T1_T2_jT3_P12ihipStream_tbPNSt15iterator_traitsISE_E10value_typeEPNSK_ISF_E10value_typeEPSG_NS1_7vsmem_tEENKUlT_SE_SF_SG_E_clIS8_S8_S9_S9_EESD_ST_SE_SF_SG_EUlST_E1_NS1_11comp_targetILNS1_3genE4ELNS1_11target_archE910ELNS1_3gpuE8ELNS1_3repE0EEENS1_36merge_oddeven_config_static_selectorELNS0_4arch9wavefront6targetE1EEEvSF_ ; -- Begin function _ZN7rocprim17ROCPRIM_400000_NS6detail17trampoline_kernelINS0_14default_configENS1_38merge_sort_block_merge_config_selectorIyNS0_10empty_typeEEEZZNS1_27merge_sort_block_merge_implIS3_PyPS5_jNS1_19radix_merge_compareILb0ELb0EyNS0_19identity_decomposerEEEEE10hipError_tT0_T1_T2_jT3_P12ihipStream_tbPNSt15iterator_traitsISE_E10value_typeEPNSK_ISF_E10value_typeEPSG_NS1_7vsmem_tEENKUlT_SE_SF_SG_E_clIS8_S8_S9_S9_EESD_ST_SE_SF_SG_EUlST_E1_NS1_11comp_targetILNS1_3genE4ELNS1_11target_archE910ELNS1_3gpuE8ELNS1_3repE0EEENS1_36merge_oddeven_config_static_selectorELNS0_4arch9wavefront6targetE1EEEvSF_
	.globl	_ZN7rocprim17ROCPRIM_400000_NS6detail17trampoline_kernelINS0_14default_configENS1_38merge_sort_block_merge_config_selectorIyNS0_10empty_typeEEEZZNS1_27merge_sort_block_merge_implIS3_PyPS5_jNS1_19radix_merge_compareILb0ELb0EyNS0_19identity_decomposerEEEEE10hipError_tT0_T1_T2_jT3_P12ihipStream_tbPNSt15iterator_traitsISE_E10value_typeEPNSK_ISF_E10value_typeEPSG_NS1_7vsmem_tEENKUlT_SE_SF_SG_E_clIS8_S8_S9_S9_EESD_ST_SE_SF_SG_EUlST_E1_NS1_11comp_targetILNS1_3genE4ELNS1_11target_archE910ELNS1_3gpuE8ELNS1_3repE0EEENS1_36merge_oddeven_config_static_selectorELNS0_4arch9wavefront6targetE1EEEvSF_
	.p2align	8
	.type	_ZN7rocprim17ROCPRIM_400000_NS6detail17trampoline_kernelINS0_14default_configENS1_38merge_sort_block_merge_config_selectorIyNS0_10empty_typeEEEZZNS1_27merge_sort_block_merge_implIS3_PyPS5_jNS1_19radix_merge_compareILb0ELb0EyNS0_19identity_decomposerEEEEE10hipError_tT0_T1_T2_jT3_P12ihipStream_tbPNSt15iterator_traitsISE_E10value_typeEPNSK_ISF_E10value_typeEPSG_NS1_7vsmem_tEENKUlT_SE_SF_SG_E_clIS8_S8_S9_S9_EESD_ST_SE_SF_SG_EUlST_E1_NS1_11comp_targetILNS1_3genE4ELNS1_11target_archE910ELNS1_3gpuE8ELNS1_3repE0EEENS1_36merge_oddeven_config_static_selectorELNS0_4arch9wavefront6targetE1EEEvSF_,@function
_ZN7rocprim17ROCPRIM_400000_NS6detail17trampoline_kernelINS0_14default_configENS1_38merge_sort_block_merge_config_selectorIyNS0_10empty_typeEEEZZNS1_27merge_sort_block_merge_implIS3_PyPS5_jNS1_19radix_merge_compareILb0ELb0EyNS0_19identity_decomposerEEEEE10hipError_tT0_T1_T2_jT3_P12ihipStream_tbPNSt15iterator_traitsISE_E10value_typeEPNSK_ISF_E10value_typeEPSG_NS1_7vsmem_tEENKUlT_SE_SF_SG_E_clIS8_S8_S9_S9_EESD_ST_SE_SF_SG_EUlST_E1_NS1_11comp_targetILNS1_3genE4ELNS1_11target_archE910ELNS1_3gpuE8ELNS1_3repE0EEENS1_36merge_oddeven_config_static_selectorELNS0_4arch9wavefront6targetE1EEEvSF_: ; @_ZN7rocprim17ROCPRIM_400000_NS6detail17trampoline_kernelINS0_14default_configENS1_38merge_sort_block_merge_config_selectorIyNS0_10empty_typeEEEZZNS1_27merge_sort_block_merge_implIS3_PyPS5_jNS1_19radix_merge_compareILb0ELb0EyNS0_19identity_decomposerEEEEE10hipError_tT0_T1_T2_jT3_P12ihipStream_tbPNSt15iterator_traitsISE_E10value_typeEPNSK_ISF_E10value_typeEPSG_NS1_7vsmem_tEENKUlT_SE_SF_SG_E_clIS8_S8_S9_S9_EESD_ST_SE_SF_SG_EUlST_E1_NS1_11comp_targetILNS1_3genE4ELNS1_11target_archE910ELNS1_3gpuE8ELNS1_3repE0EEENS1_36merge_oddeven_config_static_selectorELNS0_4arch9wavefront6targetE1EEEvSF_
; %bb.0:
	s_load_dword s18, s[4:5], 0x20
	s_waitcnt lgkmcnt(0)
	s_lshr_b32 s0, s18, 8
	s_cmp_lg_u32 s6, s0
	s_cselect_b64 s[14:15], -1, 0
	s_cmp_eq_u32 s6, s0
	s_cselect_b64 s[12:13], -1, 0
	s_lshl_b32 s16, s6, 8
	s_sub_i32 s0, s18, s16
	v_cmp_gt_u32_e64 s[2:3], s0, v0
	s_or_b64 s[0:1], s[14:15], s[2:3]
	s_and_saveexec_b64 s[8:9], s[0:1]
	s_cbranch_execz .LBB1145_20
; %bb.1:
	s_load_dwordx4 s[8:11], s[4:5], 0x0
	s_load_dword s19, s[4:5], 0x24
	s_mov_b32 s17, 0
	s_lshl_b64 s[0:1], s[16:17], 3
	v_lshlrev_b32_e32 v1, 3, v0
	s_waitcnt lgkmcnt(0)
	s_add_u32 s0, s8, s0
	s_addc_u32 s1, s9, s1
	global_load_dwordx2 v[2:3], v1, s[0:1]
	s_lshr_b32 s0, s19, 8
	s_sub_i32 s1, 0, s0
	s_and_b32 s1, s6, s1
	s_and_b32 s0, s1, s0
	s_lshl_b32 s20, s1, 8
	s_sub_i32 s6, 0, s19
	s_cmp_eq_u32 s0, 0
	s_cselect_b64 s[0:1], -1, 0
	s_and_b64 s[4:5], s[0:1], exec
	s_cselect_b32 s17, s19, s6
	s_add_i32 s17, s17, s20
	s_cmp_lt_u32 s17, s18
	v_add_u32_e32 v0, s16, v0
	s_cbranch_scc1 .LBB1145_3
; %bb.2:
	v_cmp_gt_u32_e32 vcc, s18, v0
	s_or_b64 s[4:5], vcc, s[14:15]
	s_and_b64 s[4:5], s[4:5], exec
	s_cbranch_execz .LBB1145_4
	s_branch .LBB1145_18
.LBB1145_3:
	s_mov_b64 s[4:5], 0
.LBB1145_4:
	s_min_u32 s14, s17, s18
	s_add_i32 s6, s14, s19
	s_min_u32 s15, s6, s18
	s_min_u32 s6, s20, s14
	s_add_i32 s20, s20, s14
	v_subrev_u32_e32 v0, s20, v0
	v_add_u32_e32 v4, s6, v0
	s_and_b64 vcc, exec, s[12:13]
	s_cbranch_vccz .LBB1145_12
; %bb.5:
                                        ; implicit-def: $vgpr0
	s_and_saveexec_b64 s[6:7], s[2:3]
	s_cbranch_execz .LBB1145_11
; %bb.6:
	s_cmp_ge_u32 s17, s15
	v_mov_b32_e32 v5, s14
	s_cbranch_scc1 .LBB1145_10
; %bb.7:
	s_mov_b64 s[2:3], 0
	v_mov_b32_e32 v6, s15
	v_mov_b32_e32 v5, s14
	;; [unrolled: 1-line block ×4, first 2 shown]
.LBB1145_8:                             ; =>This Inner Loop Header: Depth=1
	v_add_u32_e32 v0, v5, v6
	v_lshrrev_b32_e32 v0, 1, v0
	v_lshlrev_b64 v[8:9], 3, v[0:1]
	v_add_co_u32_e32 v8, vcc, s8, v8
	v_addc_co_u32_e32 v9, vcc, v7, v9, vcc
	global_load_dwordx2 v[8:9], v[8:9], off
	v_add_u32_e32 v10, 1, v0
	s_waitcnt vmcnt(0)
	v_cmp_gt_u64_e32 vcc, v[2:3], v[8:9]
	v_cndmask_b32_e64 v11, 0, 1, vcc
	v_cmp_le_u64_e32 vcc, v[8:9], v[2:3]
	v_cndmask_b32_e64 v8, 0, 1, vcc
	v_cndmask_b32_e64 v8, v8, v11, s[0:1]
	v_and_b32_e32 v8, 1, v8
	v_cmp_eq_u32_e32 vcc, 1, v8
	v_cndmask_b32_e32 v6, v0, v6, vcc
	v_cndmask_b32_e32 v5, v5, v10, vcc
	v_cmp_ge_u32_e32 vcc, v5, v6
	s_or_b64 s[2:3], vcc, s[2:3]
	s_andn2_b64 exec, exec, s[2:3]
	s_cbranch_execnz .LBB1145_8
; %bb.9:
	s_or_b64 exec, exec, s[2:3]
.LBB1145_10:
	v_add_u32_e32 v0, v5, v4
	s_or_b64 s[4:5], s[4:5], exec
.LBB1145_11:
	s_or_b64 exec, exec, s[6:7]
	s_branch .LBB1145_18
.LBB1145_12:
                                        ; implicit-def: $vgpr0
	s_cbranch_execz .LBB1145_18
; %bb.13:
	s_cmp_ge_u32 s17, s15
	v_mov_b32_e32 v5, s14
	s_cbranch_scc1 .LBB1145_17
; %bb.14:
	s_mov_b64 s[2:3], 0
	v_mov_b32_e32 v6, s15
	v_mov_b32_e32 v5, s14
	;; [unrolled: 1-line block ×4, first 2 shown]
.LBB1145_15:                            ; =>This Inner Loop Header: Depth=1
	v_add_u32_e32 v0, v5, v6
	v_lshrrev_b32_e32 v0, 1, v0
	v_lshlrev_b64 v[8:9], 3, v[0:1]
	v_add_co_u32_e32 v8, vcc, s8, v8
	v_addc_co_u32_e32 v9, vcc, v7, v9, vcc
	global_load_dwordx2 v[8:9], v[8:9], off
	v_add_u32_e32 v10, 1, v0
	s_waitcnt vmcnt(0)
	v_cmp_gt_u64_e32 vcc, v[2:3], v[8:9]
	v_cndmask_b32_e64 v11, 0, 1, vcc
	v_cmp_le_u64_e32 vcc, v[8:9], v[2:3]
	v_cndmask_b32_e64 v8, 0, 1, vcc
	v_cndmask_b32_e64 v8, v8, v11, s[0:1]
	v_and_b32_e32 v8, 1, v8
	v_cmp_eq_u32_e32 vcc, 1, v8
	v_cndmask_b32_e32 v6, v0, v6, vcc
	v_cndmask_b32_e32 v5, v5, v10, vcc
	v_cmp_ge_u32_e32 vcc, v5, v6
	s_or_b64 s[2:3], vcc, s[2:3]
	s_andn2_b64 exec, exec, s[2:3]
	s_cbranch_execnz .LBB1145_15
; %bb.16:
	s_or_b64 exec, exec, s[2:3]
.LBB1145_17:
	v_add_u32_e32 v0, v5, v4
	s_mov_b64 s[4:5], -1
.LBB1145_18:
	s_and_b64 exec, exec, s[4:5]
	s_cbranch_execz .LBB1145_20
; %bb.19:
	v_mov_b32_e32 v1, 0
	v_lshlrev_b64 v[0:1], 3, v[0:1]
	v_mov_b32_e32 v4, s11
	v_add_co_u32_e32 v0, vcc, s10, v0
	v_addc_co_u32_e32 v1, vcc, v4, v1, vcc
	s_waitcnt vmcnt(0)
	global_store_dwordx2 v[0:1], v[2:3], off
.LBB1145_20:
	s_endpgm
	.section	.rodata,"a",@progbits
	.p2align	6, 0x0
	.amdhsa_kernel _ZN7rocprim17ROCPRIM_400000_NS6detail17trampoline_kernelINS0_14default_configENS1_38merge_sort_block_merge_config_selectorIyNS0_10empty_typeEEEZZNS1_27merge_sort_block_merge_implIS3_PyPS5_jNS1_19radix_merge_compareILb0ELb0EyNS0_19identity_decomposerEEEEE10hipError_tT0_T1_T2_jT3_P12ihipStream_tbPNSt15iterator_traitsISE_E10value_typeEPNSK_ISF_E10value_typeEPSG_NS1_7vsmem_tEENKUlT_SE_SF_SG_E_clIS8_S8_S9_S9_EESD_ST_SE_SF_SG_EUlST_E1_NS1_11comp_targetILNS1_3genE4ELNS1_11target_archE910ELNS1_3gpuE8ELNS1_3repE0EEENS1_36merge_oddeven_config_static_selectorELNS0_4arch9wavefront6targetE1EEEvSF_
		.amdhsa_group_segment_fixed_size 0
		.amdhsa_private_segment_fixed_size 0
		.amdhsa_kernarg_size 48
		.amdhsa_user_sgpr_count 6
		.amdhsa_user_sgpr_private_segment_buffer 1
		.amdhsa_user_sgpr_dispatch_ptr 0
		.amdhsa_user_sgpr_queue_ptr 0
		.amdhsa_user_sgpr_kernarg_segment_ptr 1
		.amdhsa_user_sgpr_dispatch_id 0
		.amdhsa_user_sgpr_flat_scratch_init 0
		.amdhsa_user_sgpr_kernarg_preload_length 0
		.amdhsa_user_sgpr_kernarg_preload_offset 0
		.amdhsa_user_sgpr_private_segment_size 0
		.amdhsa_uses_dynamic_stack 0
		.amdhsa_system_sgpr_private_segment_wavefront_offset 0
		.amdhsa_system_sgpr_workgroup_id_x 1
		.amdhsa_system_sgpr_workgroup_id_y 0
		.amdhsa_system_sgpr_workgroup_id_z 0
		.amdhsa_system_sgpr_workgroup_info 0
		.amdhsa_system_vgpr_workitem_id 0
		.amdhsa_next_free_vgpr 12
		.amdhsa_next_free_sgpr 21
		.amdhsa_accum_offset 12
		.amdhsa_reserve_vcc 1
		.amdhsa_reserve_flat_scratch 0
		.amdhsa_float_round_mode_32 0
		.amdhsa_float_round_mode_16_64 0
		.amdhsa_float_denorm_mode_32 3
		.amdhsa_float_denorm_mode_16_64 3
		.amdhsa_dx10_clamp 1
		.amdhsa_ieee_mode 1
		.amdhsa_fp16_overflow 0
		.amdhsa_tg_split 0
		.amdhsa_exception_fp_ieee_invalid_op 0
		.amdhsa_exception_fp_denorm_src 0
		.amdhsa_exception_fp_ieee_div_zero 0
		.amdhsa_exception_fp_ieee_overflow 0
		.amdhsa_exception_fp_ieee_underflow 0
		.amdhsa_exception_fp_ieee_inexact 0
		.amdhsa_exception_int_div_zero 0
	.end_amdhsa_kernel
	.section	.text._ZN7rocprim17ROCPRIM_400000_NS6detail17trampoline_kernelINS0_14default_configENS1_38merge_sort_block_merge_config_selectorIyNS0_10empty_typeEEEZZNS1_27merge_sort_block_merge_implIS3_PyPS5_jNS1_19radix_merge_compareILb0ELb0EyNS0_19identity_decomposerEEEEE10hipError_tT0_T1_T2_jT3_P12ihipStream_tbPNSt15iterator_traitsISE_E10value_typeEPNSK_ISF_E10value_typeEPSG_NS1_7vsmem_tEENKUlT_SE_SF_SG_E_clIS8_S8_S9_S9_EESD_ST_SE_SF_SG_EUlST_E1_NS1_11comp_targetILNS1_3genE4ELNS1_11target_archE910ELNS1_3gpuE8ELNS1_3repE0EEENS1_36merge_oddeven_config_static_selectorELNS0_4arch9wavefront6targetE1EEEvSF_,"axG",@progbits,_ZN7rocprim17ROCPRIM_400000_NS6detail17trampoline_kernelINS0_14default_configENS1_38merge_sort_block_merge_config_selectorIyNS0_10empty_typeEEEZZNS1_27merge_sort_block_merge_implIS3_PyPS5_jNS1_19radix_merge_compareILb0ELb0EyNS0_19identity_decomposerEEEEE10hipError_tT0_T1_T2_jT3_P12ihipStream_tbPNSt15iterator_traitsISE_E10value_typeEPNSK_ISF_E10value_typeEPSG_NS1_7vsmem_tEENKUlT_SE_SF_SG_E_clIS8_S8_S9_S9_EESD_ST_SE_SF_SG_EUlST_E1_NS1_11comp_targetILNS1_3genE4ELNS1_11target_archE910ELNS1_3gpuE8ELNS1_3repE0EEENS1_36merge_oddeven_config_static_selectorELNS0_4arch9wavefront6targetE1EEEvSF_,comdat
.Lfunc_end1145:
	.size	_ZN7rocprim17ROCPRIM_400000_NS6detail17trampoline_kernelINS0_14default_configENS1_38merge_sort_block_merge_config_selectorIyNS0_10empty_typeEEEZZNS1_27merge_sort_block_merge_implIS3_PyPS5_jNS1_19radix_merge_compareILb0ELb0EyNS0_19identity_decomposerEEEEE10hipError_tT0_T1_T2_jT3_P12ihipStream_tbPNSt15iterator_traitsISE_E10value_typeEPNSK_ISF_E10value_typeEPSG_NS1_7vsmem_tEENKUlT_SE_SF_SG_E_clIS8_S8_S9_S9_EESD_ST_SE_SF_SG_EUlST_E1_NS1_11comp_targetILNS1_3genE4ELNS1_11target_archE910ELNS1_3gpuE8ELNS1_3repE0EEENS1_36merge_oddeven_config_static_selectorELNS0_4arch9wavefront6targetE1EEEvSF_, .Lfunc_end1145-_ZN7rocprim17ROCPRIM_400000_NS6detail17trampoline_kernelINS0_14default_configENS1_38merge_sort_block_merge_config_selectorIyNS0_10empty_typeEEEZZNS1_27merge_sort_block_merge_implIS3_PyPS5_jNS1_19radix_merge_compareILb0ELb0EyNS0_19identity_decomposerEEEEE10hipError_tT0_T1_T2_jT3_P12ihipStream_tbPNSt15iterator_traitsISE_E10value_typeEPNSK_ISF_E10value_typeEPSG_NS1_7vsmem_tEENKUlT_SE_SF_SG_E_clIS8_S8_S9_S9_EESD_ST_SE_SF_SG_EUlST_E1_NS1_11comp_targetILNS1_3genE4ELNS1_11target_archE910ELNS1_3gpuE8ELNS1_3repE0EEENS1_36merge_oddeven_config_static_selectorELNS0_4arch9wavefront6targetE1EEEvSF_
                                        ; -- End function
	.section	.AMDGPU.csdata,"",@progbits
; Kernel info:
; codeLenInByte = 588
; NumSgprs: 25
; NumVgprs: 12
; NumAgprs: 0
; TotalNumVgprs: 12
; ScratchSize: 0
; MemoryBound: 0
; FloatMode: 240
; IeeeMode: 1
; LDSByteSize: 0 bytes/workgroup (compile time only)
; SGPRBlocks: 3
; VGPRBlocks: 1
; NumSGPRsForWavesPerEU: 25
; NumVGPRsForWavesPerEU: 12
; AccumOffset: 12
; Occupancy: 8
; WaveLimiterHint : 0
; COMPUTE_PGM_RSRC2:SCRATCH_EN: 0
; COMPUTE_PGM_RSRC2:USER_SGPR: 6
; COMPUTE_PGM_RSRC2:TRAP_HANDLER: 0
; COMPUTE_PGM_RSRC2:TGID_X_EN: 1
; COMPUTE_PGM_RSRC2:TGID_Y_EN: 0
; COMPUTE_PGM_RSRC2:TGID_Z_EN: 0
; COMPUTE_PGM_RSRC2:TIDIG_COMP_CNT: 0
; COMPUTE_PGM_RSRC3_GFX90A:ACCUM_OFFSET: 2
; COMPUTE_PGM_RSRC3_GFX90A:TG_SPLIT: 0
	.section	.text._ZN7rocprim17ROCPRIM_400000_NS6detail17trampoline_kernelINS0_14default_configENS1_38merge_sort_block_merge_config_selectorIyNS0_10empty_typeEEEZZNS1_27merge_sort_block_merge_implIS3_PyPS5_jNS1_19radix_merge_compareILb0ELb0EyNS0_19identity_decomposerEEEEE10hipError_tT0_T1_T2_jT3_P12ihipStream_tbPNSt15iterator_traitsISE_E10value_typeEPNSK_ISF_E10value_typeEPSG_NS1_7vsmem_tEENKUlT_SE_SF_SG_E_clIS8_S8_S9_S9_EESD_ST_SE_SF_SG_EUlST_E1_NS1_11comp_targetILNS1_3genE3ELNS1_11target_archE908ELNS1_3gpuE7ELNS1_3repE0EEENS1_36merge_oddeven_config_static_selectorELNS0_4arch9wavefront6targetE1EEEvSF_,"axG",@progbits,_ZN7rocprim17ROCPRIM_400000_NS6detail17trampoline_kernelINS0_14default_configENS1_38merge_sort_block_merge_config_selectorIyNS0_10empty_typeEEEZZNS1_27merge_sort_block_merge_implIS3_PyPS5_jNS1_19radix_merge_compareILb0ELb0EyNS0_19identity_decomposerEEEEE10hipError_tT0_T1_T2_jT3_P12ihipStream_tbPNSt15iterator_traitsISE_E10value_typeEPNSK_ISF_E10value_typeEPSG_NS1_7vsmem_tEENKUlT_SE_SF_SG_E_clIS8_S8_S9_S9_EESD_ST_SE_SF_SG_EUlST_E1_NS1_11comp_targetILNS1_3genE3ELNS1_11target_archE908ELNS1_3gpuE7ELNS1_3repE0EEENS1_36merge_oddeven_config_static_selectorELNS0_4arch9wavefront6targetE1EEEvSF_,comdat
	.protected	_ZN7rocprim17ROCPRIM_400000_NS6detail17trampoline_kernelINS0_14default_configENS1_38merge_sort_block_merge_config_selectorIyNS0_10empty_typeEEEZZNS1_27merge_sort_block_merge_implIS3_PyPS5_jNS1_19radix_merge_compareILb0ELb0EyNS0_19identity_decomposerEEEEE10hipError_tT0_T1_T2_jT3_P12ihipStream_tbPNSt15iterator_traitsISE_E10value_typeEPNSK_ISF_E10value_typeEPSG_NS1_7vsmem_tEENKUlT_SE_SF_SG_E_clIS8_S8_S9_S9_EESD_ST_SE_SF_SG_EUlST_E1_NS1_11comp_targetILNS1_3genE3ELNS1_11target_archE908ELNS1_3gpuE7ELNS1_3repE0EEENS1_36merge_oddeven_config_static_selectorELNS0_4arch9wavefront6targetE1EEEvSF_ ; -- Begin function _ZN7rocprim17ROCPRIM_400000_NS6detail17trampoline_kernelINS0_14default_configENS1_38merge_sort_block_merge_config_selectorIyNS0_10empty_typeEEEZZNS1_27merge_sort_block_merge_implIS3_PyPS5_jNS1_19radix_merge_compareILb0ELb0EyNS0_19identity_decomposerEEEEE10hipError_tT0_T1_T2_jT3_P12ihipStream_tbPNSt15iterator_traitsISE_E10value_typeEPNSK_ISF_E10value_typeEPSG_NS1_7vsmem_tEENKUlT_SE_SF_SG_E_clIS8_S8_S9_S9_EESD_ST_SE_SF_SG_EUlST_E1_NS1_11comp_targetILNS1_3genE3ELNS1_11target_archE908ELNS1_3gpuE7ELNS1_3repE0EEENS1_36merge_oddeven_config_static_selectorELNS0_4arch9wavefront6targetE1EEEvSF_
	.globl	_ZN7rocprim17ROCPRIM_400000_NS6detail17trampoline_kernelINS0_14default_configENS1_38merge_sort_block_merge_config_selectorIyNS0_10empty_typeEEEZZNS1_27merge_sort_block_merge_implIS3_PyPS5_jNS1_19radix_merge_compareILb0ELb0EyNS0_19identity_decomposerEEEEE10hipError_tT0_T1_T2_jT3_P12ihipStream_tbPNSt15iterator_traitsISE_E10value_typeEPNSK_ISF_E10value_typeEPSG_NS1_7vsmem_tEENKUlT_SE_SF_SG_E_clIS8_S8_S9_S9_EESD_ST_SE_SF_SG_EUlST_E1_NS1_11comp_targetILNS1_3genE3ELNS1_11target_archE908ELNS1_3gpuE7ELNS1_3repE0EEENS1_36merge_oddeven_config_static_selectorELNS0_4arch9wavefront6targetE1EEEvSF_
	.p2align	8
	.type	_ZN7rocprim17ROCPRIM_400000_NS6detail17trampoline_kernelINS0_14default_configENS1_38merge_sort_block_merge_config_selectorIyNS0_10empty_typeEEEZZNS1_27merge_sort_block_merge_implIS3_PyPS5_jNS1_19radix_merge_compareILb0ELb0EyNS0_19identity_decomposerEEEEE10hipError_tT0_T1_T2_jT3_P12ihipStream_tbPNSt15iterator_traitsISE_E10value_typeEPNSK_ISF_E10value_typeEPSG_NS1_7vsmem_tEENKUlT_SE_SF_SG_E_clIS8_S8_S9_S9_EESD_ST_SE_SF_SG_EUlST_E1_NS1_11comp_targetILNS1_3genE3ELNS1_11target_archE908ELNS1_3gpuE7ELNS1_3repE0EEENS1_36merge_oddeven_config_static_selectorELNS0_4arch9wavefront6targetE1EEEvSF_,@function
_ZN7rocprim17ROCPRIM_400000_NS6detail17trampoline_kernelINS0_14default_configENS1_38merge_sort_block_merge_config_selectorIyNS0_10empty_typeEEEZZNS1_27merge_sort_block_merge_implIS3_PyPS5_jNS1_19radix_merge_compareILb0ELb0EyNS0_19identity_decomposerEEEEE10hipError_tT0_T1_T2_jT3_P12ihipStream_tbPNSt15iterator_traitsISE_E10value_typeEPNSK_ISF_E10value_typeEPSG_NS1_7vsmem_tEENKUlT_SE_SF_SG_E_clIS8_S8_S9_S9_EESD_ST_SE_SF_SG_EUlST_E1_NS1_11comp_targetILNS1_3genE3ELNS1_11target_archE908ELNS1_3gpuE7ELNS1_3repE0EEENS1_36merge_oddeven_config_static_selectorELNS0_4arch9wavefront6targetE1EEEvSF_: ; @_ZN7rocprim17ROCPRIM_400000_NS6detail17trampoline_kernelINS0_14default_configENS1_38merge_sort_block_merge_config_selectorIyNS0_10empty_typeEEEZZNS1_27merge_sort_block_merge_implIS3_PyPS5_jNS1_19radix_merge_compareILb0ELb0EyNS0_19identity_decomposerEEEEE10hipError_tT0_T1_T2_jT3_P12ihipStream_tbPNSt15iterator_traitsISE_E10value_typeEPNSK_ISF_E10value_typeEPSG_NS1_7vsmem_tEENKUlT_SE_SF_SG_E_clIS8_S8_S9_S9_EESD_ST_SE_SF_SG_EUlST_E1_NS1_11comp_targetILNS1_3genE3ELNS1_11target_archE908ELNS1_3gpuE7ELNS1_3repE0EEENS1_36merge_oddeven_config_static_selectorELNS0_4arch9wavefront6targetE1EEEvSF_
; %bb.0:
	.section	.rodata,"a",@progbits
	.p2align	6, 0x0
	.amdhsa_kernel _ZN7rocprim17ROCPRIM_400000_NS6detail17trampoline_kernelINS0_14default_configENS1_38merge_sort_block_merge_config_selectorIyNS0_10empty_typeEEEZZNS1_27merge_sort_block_merge_implIS3_PyPS5_jNS1_19radix_merge_compareILb0ELb0EyNS0_19identity_decomposerEEEEE10hipError_tT0_T1_T2_jT3_P12ihipStream_tbPNSt15iterator_traitsISE_E10value_typeEPNSK_ISF_E10value_typeEPSG_NS1_7vsmem_tEENKUlT_SE_SF_SG_E_clIS8_S8_S9_S9_EESD_ST_SE_SF_SG_EUlST_E1_NS1_11comp_targetILNS1_3genE3ELNS1_11target_archE908ELNS1_3gpuE7ELNS1_3repE0EEENS1_36merge_oddeven_config_static_selectorELNS0_4arch9wavefront6targetE1EEEvSF_
		.amdhsa_group_segment_fixed_size 0
		.amdhsa_private_segment_fixed_size 0
		.amdhsa_kernarg_size 48
		.amdhsa_user_sgpr_count 6
		.amdhsa_user_sgpr_private_segment_buffer 1
		.amdhsa_user_sgpr_dispatch_ptr 0
		.amdhsa_user_sgpr_queue_ptr 0
		.amdhsa_user_sgpr_kernarg_segment_ptr 1
		.amdhsa_user_sgpr_dispatch_id 0
		.amdhsa_user_sgpr_flat_scratch_init 0
		.amdhsa_user_sgpr_kernarg_preload_length 0
		.amdhsa_user_sgpr_kernarg_preload_offset 0
		.amdhsa_user_sgpr_private_segment_size 0
		.amdhsa_uses_dynamic_stack 0
		.amdhsa_system_sgpr_private_segment_wavefront_offset 0
		.amdhsa_system_sgpr_workgroup_id_x 1
		.amdhsa_system_sgpr_workgroup_id_y 0
		.amdhsa_system_sgpr_workgroup_id_z 0
		.amdhsa_system_sgpr_workgroup_info 0
		.amdhsa_system_vgpr_workitem_id 0
		.amdhsa_next_free_vgpr 1
		.amdhsa_next_free_sgpr 0
		.amdhsa_accum_offset 4
		.amdhsa_reserve_vcc 0
		.amdhsa_reserve_flat_scratch 0
		.amdhsa_float_round_mode_32 0
		.amdhsa_float_round_mode_16_64 0
		.amdhsa_float_denorm_mode_32 3
		.amdhsa_float_denorm_mode_16_64 3
		.amdhsa_dx10_clamp 1
		.amdhsa_ieee_mode 1
		.amdhsa_fp16_overflow 0
		.amdhsa_tg_split 0
		.amdhsa_exception_fp_ieee_invalid_op 0
		.amdhsa_exception_fp_denorm_src 0
		.amdhsa_exception_fp_ieee_div_zero 0
		.amdhsa_exception_fp_ieee_overflow 0
		.amdhsa_exception_fp_ieee_underflow 0
		.amdhsa_exception_fp_ieee_inexact 0
		.amdhsa_exception_int_div_zero 0
	.end_amdhsa_kernel
	.section	.text._ZN7rocprim17ROCPRIM_400000_NS6detail17trampoline_kernelINS0_14default_configENS1_38merge_sort_block_merge_config_selectorIyNS0_10empty_typeEEEZZNS1_27merge_sort_block_merge_implIS3_PyPS5_jNS1_19radix_merge_compareILb0ELb0EyNS0_19identity_decomposerEEEEE10hipError_tT0_T1_T2_jT3_P12ihipStream_tbPNSt15iterator_traitsISE_E10value_typeEPNSK_ISF_E10value_typeEPSG_NS1_7vsmem_tEENKUlT_SE_SF_SG_E_clIS8_S8_S9_S9_EESD_ST_SE_SF_SG_EUlST_E1_NS1_11comp_targetILNS1_3genE3ELNS1_11target_archE908ELNS1_3gpuE7ELNS1_3repE0EEENS1_36merge_oddeven_config_static_selectorELNS0_4arch9wavefront6targetE1EEEvSF_,"axG",@progbits,_ZN7rocprim17ROCPRIM_400000_NS6detail17trampoline_kernelINS0_14default_configENS1_38merge_sort_block_merge_config_selectorIyNS0_10empty_typeEEEZZNS1_27merge_sort_block_merge_implIS3_PyPS5_jNS1_19radix_merge_compareILb0ELb0EyNS0_19identity_decomposerEEEEE10hipError_tT0_T1_T2_jT3_P12ihipStream_tbPNSt15iterator_traitsISE_E10value_typeEPNSK_ISF_E10value_typeEPSG_NS1_7vsmem_tEENKUlT_SE_SF_SG_E_clIS8_S8_S9_S9_EESD_ST_SE_SF_SG_EUlST_E1_NS1_11comp_targetILNS1_3genE3ELNS1_11target_archE908ELNS1_3gpuE7ELNS1_3repE0EEENS1_36merge_oddeven_config_static_selectorELNS0_4arch9wavefront6targetE1EEEvSF_,comdat
.Lfunc_end1146:
	.size	_ZN7rocprim17ROCPRIM_400000_NS6detail17trampoline_kernelINS0_14default_configENS1_38merge_sort_block_merge_config_selectorIyNS0_10empty_typeEEEZZNS1_27merge_sort_block_merge_implIS3_PyPS5_jNS1_19radix_merge_compareILb0ELb0EyNS0_19identity_decomposerEEEEE10hipError_tT0_T1_T2_jT3_P12ihipStream_tbPNSt15iterator_traitsISE_E10value_typeEPNSK_ISF_E10value_typeEPSG_NS1_7vsmem_tEENKUlT_SE_SF_SG_E_clIS8_S8_S9_S9_EESD_ST_SE_SF_SG_EUlST_E1_NS1_11comp_targetILNS1_3genE3ELNS1_11target_archE908ELNS1_3gpuE7ELNS1_3repE0EEENS1_36merge_oddeven_config_static_selectorELNS0_4arch9wavefront6targetE1EEEvSF_, .Lfunc_end1146-_ZN7rocprim17ROCPRIM_400000_NS6detail17trampoline_kernelINS0_14default_configENS1_38merge_sort_block_merge_config_selectorIyNS0_10empty_typeEEEZZNS1_27merge_sort_block_merge_implIS3_PyPS5_jNS1_19radix_merge_compareILb0ELb0EyNS0_19identity_decomposerEEEEE10hipError_tT0_T1_T2_jT3_P12ihipStream_tbPNSt15iterator_traitsISE_E10value_typeEPNSK_ISF_E10value_typeEPSG_NS1_7vsmem_tEENKUlT_SE_SF_SG_E_clIS8_S8_S9_S9_EESD_ST_SE_SF_SG_EUlST_E1_NS1_11comp_targetILNS1_3genE3ELNS1_11target_archE908ELNS1_3gpuE7ELNS1_3repE0EEENS1_36merge_oddeven_config_static_selectorELNS0_4arch9wavefront6targetE1EEEvSF_
                                        ; -- End function
	.section	.AMDGPU.csdata,"",@progbits
; Kernel info:
; codeLenInByte = 0
; NumSgprs: 4
; NumVgprs: 0
; NumAgprs: 0
; TotalNumVgprs: 0
; ScratchSize: 0
; MemoryBound: 0
; FloatMode: 240
; IeeeMode: 1
; LDSByteSize: 0 bytes/workgroup (compile time only)
; SGPRBlocks: 0
; VGPRBlocks: 0
; NumSGPRsForWavesPerEU: 4
; NumVGPRsForWavesPerEU: 1
; AccumOffset: 4
; Occupancy: 8
; WaveLimiterHint : 0
; COMPUTE_PGM_RSRC2:SCRATCH_EN: 0
; COMPUTE_PGM_RSRC2:USER_SGPR: 6
; COMPUTE_PGM_RSRC2:TRAP_HANDLER: 0
; COMPUTE_PGM_RSRC2:TGID_X_EN: 1
; COMPUTE_PGM_RSRC2:TGID_Y_EN: 0
; COMPUTE_PGM_RSRC2:TGID_Z_EN: 0
; COMPUTE_PGM_RSRC2:TIDIG_COMP_CNT: 0
; COMPUTE_PGM_RSRC3_GFX90A:ACCUM_OFFSET: 0
; COMPUTE_PGM_RSRC3_GFX90A:TG_SPLIT: 0
	.section	.text._ZN7rocprim17ROCPRIM_400000_NS6detail17trampoline_kernelINS0_14default_configENS1_38merge_sort_block_merge_config_selectorIyNS0_10empty_typeEEEZZNS1_27merge_sort_block_merge_implIS3_PyPS5_jNS1_19radix_merge_compareILb0ELb0EyNS0_19identity_decomposerEEEEE10hipError_tT0_T1_T2_jT3_P12ihipStream_tbPNSt15iterator_traitsISE_E10value_typeEPNSK_ISF_E10value_typeEPSG_NS1_7vsmem_tEENKUlT_SE_SF_SG_E_clIS8_S8_S9_S9_EESD_ST_SE_SF_SG_EUlST_E1_NS1_11comp_targetILNS1_3genE2ELNS1_11target_archE906ELNS1_3gpuE6ELNS1_3repE0EEENS1_36merge_oddeven_config_static_selectorELNS0_4arch9wavefront6targetE1EEEvSF_,"axG",@progbits,_ZN7rocprim17ROCPRIM_400000_NS6detail17trampoline_kernelINS0_14default_configENS1_38merge_sort_block_merge_config_selectorIyNS0_10empty_typeEEEZZNS1_27merge_sort_block_merge_implIS3_PyPS5_jNS1_19radix_merge_compareILb0ELb0EyNS0_19identity_decomposerEEEEE10hipError_tT0_T1_T2_jT3_P12ihipStream_tbPNSt15iterator_traitsISE_E10value_typeEPNSK_ISF_E10value_typeEPSG_NS1_7vsmem_tEENKUlT_SE_SF_SG_E_clIS8_S8_S9_S9_EESD_ST_SE_SF_SG_EUlST_E1_NS1_11comp_targetILNS1_3genE2ELNS1_11target_archE906ELNS1_3gpuE6ELNS1_3repE0EEENS1_36merge_oddeven_config_static_selectorELNS0_4arch9wavefront6targetE1EEEvSF_,comdat
	.protected	_ZN7rocprim17ROCPRIM_400000_NS6detail17trampoline_kernelINS0_14default_configENS1_38merge_sort_block_merge_config_selectorIyNS0_10empty_typeEEEZZNS1_27merge_sort_block_merge_implIS3_PyPS5_jNS1_19radix_merge_compareILb0ELb0EyNS0_19identity_decomposerEEEEE10hipError_tT0_T1_T2_jT3_P12ihipStream_tbPNSt15iterator_traitsISE_E10value_typeEPNSK_ISF_E10value_typeEPSG_NS1_7vsmem_tEENKUlT_SE_SF_SG_E_clIS8_S8_S9_S9_EESD_ST_SE_SF_SG_EUlST_E1_NS1_11comp_targetILNS1_3genE2ELNS1_11target_archE906ELNS1_3gpuE6ELNS1_3repE0EEENS1_36merge_oddeven_config_static_selectorELNS0_4arch9wavefront6targetE1EEEvSF_ ; -- Begin function _ZN7rocprim17ROCPRIM_400000_NS6detail17trampoline_kernelINS0_14default_configENS1_38merge_sort_block_merge_config_selectorIyNS0_10empty_typeEEEZZNS1_27merge_sort_block_merge_implIS3_PyPS5_jNS1_19radix_merge_compareILb0ELb0EyNS0_19identity_decomposerEEEEE10hipError_tT0_T1_T2_jT3_P12ihipStream_tbPNSt15iterator_traitsISE_E10value_typeEPNSK_ISF_E10value_typeEPSG_NS1_7vsmem_tEENKUlT_SE_SF_SG_E_clIS8_S8_S9_S9_EESD_ST_SE_SF_SG_EUlST_E1_NS1_11comp_targetILNS1_3genE2ELNS1_11target_archE906ELNS1_3gpuE6ELNS1_3repE0EEENS1_36merge_oddeven_config_static_selectorELNS0_4arch9wavefront6targetE1EEEvSF_
	.globl	_ZN7rocprim17ROCPRIM_400000_NS6detail17trampoline_kernelINS0_14default_configENS1_38merge_sort_block_merge_config_selectorIyNS0_10empty_typeEEEZZNS1_27merge_sort_block_merge_implIS3_PyPS5_jNS1_19radix_merge_compareILb0ELb0EyNS0_19identity_decomposerEEEEE10hipError_tT0_T1_T2_jT3_P12ihipStream_tbPNSt15iterator_traitsISE_E10value_typeEPNSK_ISF_E10value_typeEPSG_NS1_7vsmem_tEENKUlT_SE_SF_SG_E_clIS8_S8_S9_S9_EESD_ST_SE_SF_SG_EUlST_E1_NS1_11comp_targetILNS1_3genE2ELNS1_11target_archE906ELNS1_3gpuE6ELNS1_3repE0EEENS1_36merge_oddeven_config_static_selectorELNS0_4arch9wavefront6targetE1EEEvSF_
	.p2align	8
	.type	_ZN7rocprim17ROCPRIM_400000_NS6detail17trampoline_kernelINS0_14default_configENS1_38merge_sort_block_merge_config_selectorIyNS0_10empty_typeEEEZZNS1_27merge_sort_block_merge_implIS3_PyPS5_jNS1_19radix_merge_compareILb0ELb0EyNS0_19identity_decomposerEEEEE10hipError_tT0_T1_T2_jT3_P12ihipStream_tbPNSt15iterator_traitsISE_E10value_typeEPNSK_ISF_E10value_typeEPSG_NS1_7vsmem_tEENKUlT_SE_SF_SG_E_clIS8_S8_S9_S9_EESD_ST_SE_SF_SG_EUlST_E1_NS1_11comp_targetILNS1_3genE2ELNS1_11target_archE906ELNS1_3gpuE6ELNS1_3repE0EEENS1_36merge_oddeven_config_static_selectorELNS0_4arch9wavefront6targetE1EEEvSF_,@function
_ZN7rocprim17ROCPRIM_400000_NS6detail17trampoline_kernelINS0_14default_configENS1_38merge_sort_block_merge_config_selectorIyNS0_10empty_typeEEEZZNS1_27merge_sort_block_merge_implIS3_PyPS5_jNS1_19radix_merge_compareILb0ELb0EyNS0_19identity_decomposerEEEEE10hipError_tT0_T1_T2_jT3_P12ihipStream_tbPNSt15iterator_traitsISE_E10value_typeEPNSK_ISF_E10value_typeEPSG_NS1_7vsmem_tEENKUlT_SE_SF_SG_E_clIS8_S8_S9_S9_EESD_ST_SE_SF_SG_EUlST_E1_NS1_11comp_targetILNS1_3genE2ELNS1_11target_archE906ELNS1_3gpuE6ELNS1_3repE0EEENS1_36merge_oddeven_config_static_selectorELNS0_4arch9wavefront6targetE1EEEvSF_: ; @_ZN7rocprim17ROCPRIM_400000_NS6detail17trampoline_kernelINS0_14default_configENS1_38merge_sort_block_merge_config_selectorIyNS0_10empty_typeEEEZZNS1_27merge_sort_block_merge_implIS3_PyPS5_jNS1_19radix_merge_compareILb0ELb0EyNS0_19identity_decomposerEEEEE10hipError_tT0_T1_T2_jT3_P12ihipStream_tbPNSt15iterator_traitsISE_E10value_typeEPNSK_ISF_E10value_typeEPSG_NS1_7vsmem_tEENKUlT_SE_SF_SG_E_clIS8_S8_S9_S9_EESD_ST_SE_SF_SG_EUlST_E1_NS1_11comp_targetILNS1_3genE2ELNS1_11target_archE906ELNS1_3gpuE6ELNS1_3repE0EEENS1_36merge_oddeven_config_static_selectorELNS0_4arch9wavefront6targetE1EEEvSF_
; %bb.0:
	.section	.rodata,"a",@progbits
	.p2align	6, 0x0
	.amdhsa_kernel _ZN7rocprim17ROCPRIM_400000_NS6detail17trampoline_kernelINS0_14default_configENS1_38merge_sort_block_merge_config_selectorIyNS0_10empty_typeEEEZZNS1_27merge_sort_block_merge_implIS3_PyPS5_jNS1_19radix_merge_compareILb0ELb0EyNS0_19identity_decomposerEEEEE10hipError_tT0_T1_T2_jT3_P12ihipStream_tbPNSt15iterator_traitsISE_E10value_typeEPNSK_ISF_E10value_typeEPSG_NS1_7vsmem_tEENKUlT_SE_SF_SG_E_clIS8_S8_S9_S9_EESD_ST_SE_SF_SG_EUlST_E1_NS1_11comp_targetILNS1_3genE2ELNS1_11target_archE906ELNS1_3gpuE6ELNS1_3repE0EEENS1_36merge_oddeven_config_static_selectorELNS0_4arch9wavefront6targetE1EEEvSF_
		.amdhsa_group_segment_fixed_size 0
		.amdhsa_private_segment_fixed_size 0
		.amdhsa_kernarg_size 48
		.amdhsa_user_sgpr_count 6
		.amdhsa_user_sgpr_private_segment_buffer 1
		.amdhsa_user_sgpr_dispatch_ptr 0
		.amdhsa_user_sgpr_queue_ptr 0
		.amdhsa_user_sgpr_kernarg_segment_ptr 1
		.amdhsa_user_sgpr_dispatch_id 0
		.amdhsa_user_sgpr_flat_scratch_init 0
		.amdhsa_user_sgpr_kernarg_preload_length 0
		.amdhsa_user_sgpr_kernarg_preload_offset 0
		.amdhsa_user_sgpr_private_segment_size 0
		.amdhsa_uses_dynamic_stack 0
		.amdhsa_system_sgpr_private_segment_wavefront_offset 0
		.amdhsa_system_sgpr_workgroup_id_x 1
		.amdhsa_system_sgpr_workgroup_id_y 0
		.amdhsa_system_sgpr_workgroup_id_z 0
		.amdhsa_system_sgpr_workgroup_info 0
		.amdhsa_system_vgpr_workitem_id 0
		.amdhsa_next_free_vgpr 1
		.amdhsa_next_free_sgpr 0
		.amdhsa_accum_offset 4
		.amdhsa_reserve_vcc 0
		.amdhsa_reserve_flat_scratch 0
		.amdhsa_float_round_mode_32 0
		.amdhsa_float_round_mode_16_64 0
		.amdhsa_float_denorm_mode_32 3
		.amdhsa_float_denorm_mode_16_64 3
		.amdhsa_dx10_clamp 1
		.amdhsa_ieee_mode 1
		.amdhsa_fp16_overflow 0
		.amdhsa_tg_split 0
		.amdhsa_exception_fp_ieee_invalid_op 0
		.amdhsa_exception_fp_denorm_src 0
		.amdhsa_exception_fp_ieee_div_zero 0
		.amdhsa_exception_fp_ieee_overflow 0
		.amdhsa_exception_fp_ieee_underflow 0
		.amdhsa_exception_fp_ieee_inexact 0
		.amdhsa_exception_int_div_zero 0
	.end_amdhsa_kernel
	.section	.text._ZN7rocprim17ROCPRIM_400000_NS6detail17trampoline_kernelINS0_14default_configENS1_38merge_sort_block_merge_config_selectorIyNS0_10empty_typeEEEZZNS1_27merge_sort_block_merge_implIS3_PyPS5_jNS1_19radix_merge_compareILb0ELb0EyNS0_19identity_decomposerEEEEE10hipError_tT0_T1_T2_jT3_P12ihipStream_tbPNSt15iterator_traitsISE_E10value_typeEPNSK_ISF_E10value_typeEPSG_NS1_7vsmem_tEENKUlT_SE_SF_SG_E_clIS8_S8_S9_S9_EESD_ST_SE_SF_SG_EUlST_E1_NS1_11comp_targetILNS1_3genE2ELNS1_11target_archE906ELNS1_3gpuE6ELNS1_3repE0EEENS1_36merge_oddeven_config_static_selectorELNS0_4arch9wavefront6targetE1EEEvSF_,"axG",@progbits,_ZN7rocprim17ROCPRIM_400000_NS6detail17trampoline_kernelINS0_14default_configENS1_38merge_sort_block_merge_config_selectorIyNS0_10empty_typeEEEZZNS1_27merge_sort_block_merge_implIS3_PyPS5_jNS1_19radix_merge_compareILb0ELb0EyNS0_19identity_decomposerEEEEE10hipError_tT0_T1_T2_jT3_P12ihipStream_tbPNSt15iterator_traitsISE_E10value_typeEPNSK_ISF_E10value_typeEPSG_NS1_7vsmem_tEENKUlT_SE_SF_SG_E_clIS8_S8_S9_S9_EESD_ST_SE_SF_SG_EUlST_E1_NS1_11comp_targetILNS1_3genE2ELNS1_11target_archE906ELNS1_3gpuE6ELNS1_3repE0EEENS1_36merge_oddeven_config_static_selectorELNS0_4arch9wavefront6targetE1EEEvSF_,comdat
.Lfunc_end1147:
	.size	_ZN7rocprim17ROCPRIM_400000_NS6detail17trampoline_kernelINS0_14default_configENS1_38merge_sort_block_merge_config_selectorIyNS0_10empty_typeEEEZZNS1_27merge_sort_block_merge_implIS3_PyPS5_jNS1_19radix_merge_compareILb0ELb0EyNS0_19identity_decomposerEEEEE10hipError_tT0_T1_T2_jT3_P12ihipStream_tbPNSt15iterator_traitsISE_E10value_typeEPNSK_ISF_E10value_typeEPSG_NS1_7vsmem_tEENKUlT_SE_SF_SG_E_clIS8_S8_S9_S9_EESD_ST_SE_SF_SG_EUlST_E1_NS1_11comp_targetILNS1_3genE2ELNS1_11target_archE906ELNS1_3gpuE6ELNS1_3repE0EEENS1_36merge_oddeven_config_static_selectorELNS0_4arch9wavefront6targetE1EEEvSF_, .Lfunc_end1147-_ZN7rocprim17ROCPRIM_400000_NS6detail17trampoline_kernelINS0_14default_configENS1_38merge_sort_block_merge_config_selectorIyNS0_10empty_typeEEEZZNS1_27merge_sort_block_merge_implIS3_PyPS5_jNS1_19radix_merge_compareILb0ELb0EyNS0_19identity_decomposerEEEEE10hipError_tT0_T1_T2_jT3_P12ihipStream_tbPNSt15iterator_traitsISE_E10value_typeEPNSK_ISF_E10value_typeEPSG_NS1_7vsmem_tEENKUlT_SE_SF_SG_E_clIS8_S8_S9_S9_EESD_ST_SE_SF_SG_EUlST_E1_NS1_11comp_targetILNS1_3genE2ELNS1_11target_archE906ELNS1_3gpuE6ELNS1_3repE0EEENS1_36merge_oddeven_config_static_selectorELNS0_4arch9wavefront6targetE1EEEvSF_
                                        ; -- End function
	.section	.AMDGPU.csdata,"",@progbits
; Kernel info:
; codeLenInByte = 0
; NumSgprs: 4
; NumVgprs: 0
; NumAgprs: 0
; TotalNumVgprs: 0
; ScratchSize: 0
; MemoryBound: 0
; FloatMode: 240
; IeeeMode: 1
; LDSByteSize: 0 bytes/workgroup (compile time only)
; SGPRBlocks: 0
; VGPRBlocks: 0
; NumSGPRsForWavesPerEU: 4
; NumVGPRsForWavesPerEU: 1
; AccumOffset: 4
; Occupancy: 8
; WaveLimiterHint : 0
; COMPUTE_PGM_RSRC2:SCRATCH_EN: 0
; COMPUTE_PGM_RSRC2:USER_SGPR: 6
; COMPUTE_PGM_RSRC2:TRAP_HANDLER: 0
; COMPUTE_PGM_RSRC2:TGID_X_EN: 1
; COMPUTE_PGM_RSRC2:TGID_Y_EN: 0
; COMPUTE_PGM_RSRC2:TGID_Z_EN: 0
; COMPUTE_PGM_RSRC2:TIDIG_COMP_CNT: 0
; COMPUTE_PGM_RSRC3_GFX90A:ACCUM_OFFSET: 0
; COMPUTE_PGM_RSRC3_GFX90A:TG_SPLIT: 0
	.section	.text._ZN7rocprim17ROCPRIM_400000_NS6detail17trampoline_kernelINS0_14default_configENS1_38merge_sort_block_merge_config_selectorIyNS0_10empty_typeEEEZZNS1_27merge_sort_block_merge_implIS3_PyPS5_jNS1_19radix_merge_compareILb0ELb0EyNS0_19identity_decomposerEEEEE10hipError_tT0_T1_T2_jT3_P12ihipStream_tbPNSt15iterator_traitsISE_E10value_typeEPNSK_ISF_E10value_typeEPSG_NS1_7vsmem_tEENKUlT_SE_SF_SG_E_clIS8_S8_S9_S9_EESD_ST_SE_SF_SG_EUlST_E1_NS1_11comp_targetILNS1_3genE9ELNS1_11target_archE1100ELNS1_3gpuE3ELNS1_3repE0EEENS1_36merge_oddeven_config_static_selectorELNS0_4arch9wavefront6targetE1EEEvSF_,"axG",@progbits,_ZN7rocprim17ROCPRIM_400000_NS6detail17trampoline_kernelINS0_14default_configENS1_38merge_sort_block_merge_config_selectorIyNS0_10empty_typeEEEZZNS1_27merge_sort_block_merge_implIS3_PyPS5_jNS1_19radix_merge_compareILb0ELb0EyNS0_19identity_decomposerEEEEE10hipError_tT0_T1_T2_jT3_P12ihipStream_tbPNSt15iterator_traitsISE_E10value_typeEPNSK_ISF_E10value_typeEPSG_NS1_7vsmem_tEENKUlT_SE_SF_SG_E_clIS8_S8_S9_S9_EESD_ST_SE_SF_SG_EUlST_E1_NS1_11comp_targetILNS1_3genE9ELNS1_11target_archE1100ELNS1_3gpuE3ELNS1_3repE0EEENS1_36merge_oddeven_config_static_selectorELNS0_4arch9wavefront6targetE1EEEvSF_,comdat
	.protected	_ZN7rocprim17ROCPRIM_400000_NS6detail17trampoline_kernelINS0_14default_configENS1_38merge_sort_block_merge_config_selectorIyNS0_10empty_typeEEEZZNS1_27merge_sort_block_merge_implIS3_PyPS5_jNS1_19radix_merge_compareILb0ELb0EyNS0_19identity_decomposerEEEEE10hipError_tT0_T1_T2_jT3_P12ihipStream_tbPNSt15iterator_traitsISE_E10value_typeEPNSK_ISF_E10value_typeEPSG_NS1_7vsmem_tEENKUlT_SE_SF_SG_E_clIS8_S8_S9_S9_EESD_ST_SE_SF_SG_EUlST_E1_NS1_11comp_targetILNS1_3genE9ELNS1_11target_archE1100ELNS1_3gpuE3ELNS1_3repE0EEENS1_36merge_oddeven_config_static_selectorELNS0_4arch9wavefront6targetE1EEEvSF_ ; -- Begin function _ZN7rocprim17ROCPRIM_400000_NS6detail17trampoline_kernelINS0_14default_configENS1_38merge_sort_block_merge_config_selectorIyNS0_10empty_typeEEEZZNS1_27merge_sort_block_merge_implIS3_PyPS5_jNS1_19radix_merge_compareILb0ELb0EyNS0_19identity_decomposerEEEEE10hipError_tT0_T1_T2_jT3_P12ihipStream_tbPNSt15iterator_traitsISE_E10value_typeEPNSK_ISF_E10value_typeEPSG_NS1_7vsmem_tEENKUlT_SE_SF_SG_E_clIS8_S8_S9_S9_EESD_ST_SE_SF_SG_EUlST_E1_NS1_11comp_targetILNS1_3genE9ELNS1_11target_archE1100ELNS1_3gpuE3ELNS1_3repE0EEENS1_36merge_oddeven_config_static_selectorELNS0_4arch9wavefront6targetE1EEEvSF_
	.globl	_ZN7rocprim17ROCPRIM_400000_NS6detail17trampoline_kernelINS0_14default_configENS1_38merge_sort_block_merge_config_selectorIyNS0_10empty_typeEEEZZNS1_27merge_sort_block_merge_implIS3_PyPS5_jNS1_19radix_merge_compareILb0ELb0EyNS0_19identity_decomposerEEEEE10hipError_tT0_T1_T2_jT3_P12ihipStream_tbPNSt15iterator_traitsISE_E10value_typeEPNSK_ISF_E10value_typeEPSG_NS1_7vsmem_tEENKUlT_SE_SF_SG_E_clIS8_S8_S9_S9_EESD_ST_SE_SF_SG_EUlST_E1_NS1_11comp_targetILNS1_3genE9ELNS1_11target_archE1100ELNS1_3gpuE3ELNS1_3repE0EEENS1_36merge_oddeven_config_static_selectorELNS0_4arch9wavefront6targetE1EEEvSF_
	.p2align	8
	.type	_ZN7rocprim17ROCPRIM_400000_NS6detail17trampoline_kernelINS0_14default_configENS1_38merge_sort_block_merge_config_selectorIyNS0_10empty_typeEEEZZNS1_27merge_sort_block_merge_implIS3_PyPS5_jNS1_19radix_merge_compareILb0ELb0EyNS0_19identity_decomposerEEEEE10hipError_tT0_T1_T2_jT3_P12ihipStream_tbPNSt15iterator_traitsISE_E10value_typeEPNSK_ISF_E10value_typeEPSG_NS1_7vsmem_tEENKUlT_SE_SF_SG_E_clIS8_S8_S9_S9_EESD_ST_SE_SF_SG_EUlST_E1_NS1_11comp_targetILNS1_3genE9ELNS1_11target_archE1100ELNS1_3gpuE3ELNS1_3repE0EEENS1_36merge_oddeven_config_static_selectorELNS0_4arch9wavefront6targetE1EEEvSF_,@function
_ZN7rocprim17ROCPRIM_400000_NS6detail17trampoline_kernelINS0_14default_configENS1_38merge_sort_block_merge_config_selectorIyNS0_10empty_typeEEEZZNS1_27merge_sort_block_merge_implIS3_PyPS5_jNS1_19radix_merge_compareILb0ELb0EyNS0_19identity_decomposerEEEEE10hipError_tT0_T1_T2_jT3_P12ihipStream_tbPNSt15iterator_traitsISE_E10value_typeEPNSK_ISF_E10value_typeEPSG_NS1_7vsmem_tEENKUlT_SE_SF_SG_E_clIS8_S8_S9_S9_EESD_ST_SE_SF_SG_EUlST_E1_NS1_11comp_targetILNS1_3genE9ELNS1_11target_archE1100ELNS1_3gpuE3ELNS1_3repE0EEENS1_36merge_oddeven_config_static_selectorELNS0_4arch9wavefront6targetE1EEEvSF_: ; @_ZN7rocprim17ROCPRIM_400000_NS6detail17trampoline_kernelINS0_14default_configENS1_38merge_sort_block_merge_config_selectorIyNS0_10empty_typeEEEZZNS1_27merge_sort_block_merge_implIS3_PyPS5_jNS1_19radix_merge_compareILb0ELb0EyNS0_19identity_decomposerEEEEE10hipError_tT0_T1_T2_jT3_P12ihipStream_tbPNSt15iterator_traitsISE_E10value_typeEPNSK_ISF_E10value_typeEPSG_NS1_7vsmem_tEENKUlT_SE_SF_SG_E_clIS8_S8_S9_S9_EESD_ST_SE_SF_SG_EUlST_E1_NS1_11comp_targetILNS1_3genE9ELNS1_11target_archE1100ELNS1_3gpuE3ELNS1_3repE0EEENS1_36merge_oddeven_config_static_selectorELNS0_4arch9wavefront6targetE1EEEvSF_
; %bb.0:
	.section	.rodata,"a",@progbits
	.p2align	6, 0x0
	.amdhsa_kernel _ZN7rocprim17ROCPRIM_400000_NS6detail17trampoline_kernelINS0_14default_configENS1_38merge_sort_block_merge_config_selectorIyNS0_10empty_typeEEEZZNS1_27merge_sort_block_merge_implIS3_PyPS5_jNS1_19radix_merge_compareILb0ELb0EyNS0_19identity_decomposerEEEEE10hipError_tT0_T1_T2_jT3_P12ihipStream_tbPNSt15iterator_traitsISE_E10value_typeEPNSK_ISF_E10value_typeEPSG_NS1_7vsmem_tEENKUlT_SE_SF_SG_E_clIS8_S8_S9_S9_EESD_ST_SE_SF_SG_EUlST_E1_NS1_11comp_targetILNS1_3genE9ELNS1_11target_archE1100ELNS1_3gpuE3ELNS1_3repE0EEENS1_36merge_oddeven_config_static_selectorELNS0_4arch9wavefront6targetE1EEEvSF_
		.amdhsa_group_segment_fixed_size 0
		.amdhsa_private_segment_fixed_size 0
		.amdhsa_kernarg_size 48
		.amdhsa_user_sgpr_count 6
		.amdhsa_user_sgpr_private_segment_buffer 1
		.amdhsa_user_sgpr_dispatch_ptr 0
		.amdhsa_user_sgpr_queue_ptr 0
		.amdhsa_user_sgpr_kernarg_segment_ptr 1
		.amdhsa_user_sgpr_dispatch_id 0
		.amdhsa_user_sgpr_flat_scratch_init 0
		.amdhsa_user_sgpr_kernarg_preload_length 0
		.amdhsa_user_sgpr_kernarg_preload_offset 0
		.amdhsa_user_sgpr_private_segment_size 0
		.amdhsa_uses_dynamic_stack 0
		.amdhsa_system_sgpr_private_segment_wavefront_offset 0
		.amdhsa_system_sgpr_workgroup_id_x 1
		.amdhsa_system_sgpr_workgroup_id_y 0
		.amdhsa_system_sgpr_workgroup_id_z 0
		.amdhsa_system_sgpr_workgroup_info 0
		.amdhsa_system_vgpr_workitem_id 0
		.amdhsa_next_free_vgpr 1
		.amdhsa_next_free_sgpr 0
		.amdhsa_accum_offset 4
		.amdhsa_reserve_vcc 0
		.amdhsa_reserve_flat_scratch 0
		.amdhsa_float_round_mode_32 0
		.amdhsa_float_round_mode_16_64 0
		.amdhsa_float_denorm_mode_32 3
		.amdhsa_float_denorm_mode_16_64 3
		.amdhsa_dx10_clamp 1
		.amdhsa_ieee_mode 1
		.amdhsa_fp16_overflow 0
		.amdhsa_tg_split 0
		.amdhsa_exception_fp_ieee_invalid_op 0
		.amdhsa_exception_fp_denorm_src 0
		.amdhsa_exception_fp_ieee_div_zero 0
		.amdhsa_exception_fp_ieee_overflow 0
		.amdhsa_exception_fp_ieee_underflow 0
		.amdhsa_exception_fp_ieee_inexact 0
		.amdhsa_exception_int_div_zero 0
	.end_amdhsa_kernel
	.section	.text._ZN7rocprim17ROCPRIM_400000_NS6detail17trampoline_kernelINS0_14default_configENS1_38merge_sort_block_merge_config_selectorIyNS0_10empty_typeEEEZZNS1_27merge_sort_block_merge_implIS3_PyPS5_jNS1_19radix_merge_compareILb0ELb0EyNS0_19identity_decomposerEEEEE10hipError_tT0_T1_T2_jT3_P12ihipStream_tbPNSt15iterator_traitsISE_E10value_typeEPNSK_ISF_E10value_typeEPSG_NS1_7vsmem_tEENKUlT_SE_SF_SG_E_clIS8_S8_S9_S9_EESD_ST_SE_SF_SG_EUlST_E1_NS1_11comp_targetILNS1_3genE9ELNS1_11target_archE1100ELNS1_3gpuE3ELNS1_3repE0EEENS1_36merge_oddeven_config_static_selectorELNS0_4arch9wavefront6targetE1EEEvSF_,"axG",@progbits,_ZN7rocprim17ROCPRIM_400000_NS6detail17trampoline_kernelINS0_14default_configENS1_38merge_sort_block_merge_config_selectorIyNS0_10empty_typeEEEZZNS1_27merge_sort_block_merge_implIS3_PyPS5_jNS1_19radix_merge_compareILb0ELb0EyNS0_19identity_decomposerEEEEE10hipError_tT0_T1_T2_jT3_P12ihipStream_tbPNSt15iterator_traitsISE_E10value_typeEPNSK_ISF_E10value_typeEPSG_NS1_7vsmem_tEENKUlT_SE_SF_SG_E_clIS8_S8_S9_S9_EESD_ST_SE_SF_SG_EUlST_E1_NS1_11comp_targetILNS1_3genE9ELNS1_11target_archE1100ELNS1_3gpuE3ELNS1_3repE0EEENS1_36merge_oddeven_config_static_selectorELNS0_4arch9wavefront6targetE1EEEvSF_,comdat
.Lfunc_end1148:
	.size	_ZN7rocprim17ROCPRIM_400000_NS6detail17trampoline_kernelINS0_14default_configENS1_38merge_sort_block_merge_config_selectorIyNS0_10empty_typeEEEZZNS1_27merge_sort_block_merge_implIS3_PyPS5_jNS1_19radix_merge_compareILb0ELb0EyNS0_19identity_decomposerEEEEE10hipError_tT0_T1_T2_jT3_P12ihipStream_tbPNSt15iterator_traitsISE_E10value_typeEPNSK_ISF_E10value_typeEPSG_NS1_7vsmem_tEENKUlT_SE_SF_SG_E_clIS8_S8_S9_S9_EESD_ST_SE_SF_SG_EUlST_E1_NS1_11comp_targetILNS1_3genE9ELNS1_11target_archE1100ELNS1_3gpuE3ELNS1_3repE0EEENS1_36merge_oddeven_config_static_selectorELNS0_4arch9wavefront6targetE1EEEvSF_, .Lfunc_end1148-_ZN7rocprim17ROCPRIM_400000_NS6detail17trampoline_kernelINS0_14default_configENS1_38merge_sort_block_merge_config_selectorIyNS0_10empty_typeEEEZZNS1_27merge_sort_block_merge_implIS3_PyPS5_jNS1_19radix_merge_compareILb0ELb0EyNS0_19identity_decomposerEEEEE10hipError_tT0_T1_T2_jT3_P12ihipStream_tbPNSt15iterator_traitsISE_E10value_typeEPNSK_ISF_E10value_typeEPSG_NS1_7vsmem_tEENKUlT_SE_SF_SG_E_clIS8_S8_S9_S9_EESD_ST_SE_SF_SG_EUlST_E1_NS1_11comp_targetILNS1_3genE9ELNS1_11target_archE1100ELNS1_3gpuE3ELNS1_3repE0EEENS1_36merge_oddeven_config_static_selectorELNS0_4arch9wavefront6targetE1EEEvSF_
                                        ; -- End function
	.section	.AMDGPU.csdata,"",@progbits
; Kernel info:
; codeLenInByte = 0
; NumSgprs: 4
; NumVgprs: 0
; NumAgprs: 0
; TotalNumVgprs: 0
; ScratchSize: 0
; MemoryBound: 0
; FloatMode: 240
; IeeeMode: 1
; LDSByteSize: 0 bytes/workgroup (compile time only)
; SGPRBlocks: 0
; VGPRBlocks: 0
; NumSGPRsForWavesPerEU: 4
; NumVGPRsForWavesPerEU: 1
; AccumOffset: 4
; Occupancy: 8
; WaveLimiterHint : 0
; COMPUTE_PGM_RSRC2:SCRATCH_EN: 0
; COMPUTE_PGM_RSRC2:USER_SGPR: 6
; COMPUTE_PGM_RSRC2:TRAP_HANDLER: 0
; COMPUTE_PGM_RSRC2:TGID_X_EN: 1
; COMPUTE_PGM_RSRC2:TGID_Y_EN: 0
; COMPUTE_PGM_RSRC2:TGID_Z_EN: 0
; COMPUTE_PGM_RSRC2:TIDIG_COMP_CNT: 0
; COMPUTE_PGM_RSRC3_GFX90A:ACCUM_OFFSET: 0
; COMPUTE_PGM_RSRC3_GFX90A:TG_SPLIT: 0
	.section	.text._ZN7rocprim17ROCPRIM_400000_NS6detail17trampoline_kernelINS0_14default_configENS1_38merge_sort_block_merge_config_selectorIyNS0_10empty_typeEEEZZNS1_27merge_sort_block_merge_implIS3_PyPS5_jNS1_19radix_merge_compareILb0ELb0EyNS0_19identity_decomposerEEEEE10hipError_tT0_T1_T2_jT3_P12ihipStream_tbPNSt15iterator_traitsISE_E10value_typeEPNSK_ISF_E10value_typeEPSG_NS1_7vsmem_tEENKUlT_SE_SF_SG_E_clIS8_S8_S9_S9_EESD_ST_SE_SF_SG_EUlST_E1_NS1_11comp_targetILNS1_3genE8ELNS1_11target_archE1030ELNS1_3gpuE2ELNS1_3repE0EEENS1_36merge_oddeven_config_static_selectorELNS0_4arch9wavefront6targetE1EEEvSF_,"axG",@progbits,_ZN7rocprim17ROCPRIM_400000_NS6detail17trampoline_kernelINS0_14default_configENS1_38merge_sort_block_merge_config_selectorIyNS0_10empty_typeEEEZZNS1_27merge_sort_block_merge_implIS3_PyPS5_jNS1_19radix_merge_compareILb0ELb0EyNS0_19identity_decomposerEEEEE10hipError_tT0_T1_T2_jT3_P12ihipStream_tbPNSt15iterator_traitsISE_E10value_typeEPNSK_ISF_E10value_typeEPSG_NS1_7vsmem_tEENKUlT_SE_SF_SG_E_clIS8_S8_S9_S9_EESD_ST_SE_SF_SG_EUlST_E1_NS1_11comp_targetILNS1_3genE8ELNS1_11target_archE1030ELNS1_3gpuE2ELNS1_3repE0EEENS1_36merge_oddeven_config_static_selectorELNS0_4arch9wavefront6targetE1EEEvSF_,comdat
	.protected	_ZN7rocprim17ROCPRIM_400000_NS6detail17trampoline_kernelINS0_14default_configENS1_38merge_sort_block_merge_config_selectorIyNS0_10empty_typeEEEZZNS1_27merge_sort_block_merge_implIS3_PyPS5_jNS1_19radix_merge_compareILb0ELb0EyNS0_19identity_decomposerEEEEE10hipError_tT0_T1_T2_jT3_P12ihipStream_tbPNSt15iterator_traitsISE_E10value_typeEPNSK_ISF_E10value_typeEPSG_NS1_7vsmem_tEENKUlT_SE_SF_SG_E_clIS8_S8_S9_S9_EESD_ST_SE_SF_SG_EUlST_E1_NS1_11comp_targetILNS1_3genE8ELNS1_11target_archE1030ELNS1_3gpuE2ELNS1_3repE0EEENS1_36merge_oddeven_config_static_selectorELNS0_4arch9wavefront6targetE1EEEvSF_ ; -- Begin function _ZN7rocprim17ROCPRIM_400000_NS6detail17trampoline_kernelINS0_14default_configENS1_38merge_sort_block_merge_config_selectorIyNS0_10empty_typeEEEZZNS1_27merge_sort_block_merge_implIS3_PyPS5_jNS1_19radix_merge_compareILb0ELb0EyNS0_19identity_decomposerEEEEE10hipError_tT0_T1_T2_jT3_P12ihipStream_tbPNSt15iterator_traitsISE_E10value_typeEPNSK_ISF_E10value_typeEPSG_NS1_7vsmem_tEENKUlT_SE_SF_SG_E_clIS8_S8_S9_S9_EESD_ST_SE_SF_SG_EUlST_E1_NS1_11comp_targetILNS1_3genE8ELNS1_11target_archE1030ELNS1_3gpuE2ELNS1_3repE0EEENS1_36merge_oddeven_config_static_selectorELNS0_4arch9wavefront6targetE1EEEvSF_
	.globl	_ZN7rocprim17ROCPRIM_400000_NS6detail17trampoline_kernelINS0_14default_configENS1_38merge_sort_block_merge_config_selectorIyNS0_10empty_typeEEEZZNS1_27merge_sort_block_merge_implIS3_PyPS5_jNS1_19radix_merge_compareILb0ELb0EyNS0_19identity_decomposerEEEEE10hipError_tT0_T1_T2_jT3_P12ihipStream_tbPNSt15iterator_traitsISE_E10value_typeEPNSK_ISF_E10value_typeEPSG_NS1_7vsmem_tEENKUlT_SE_SF_SG_E_clIS8_S8_S9_S9_EESD_ST_SE_SF_SG_EUlST_E1_NS1_11comp_targetILNS1_3genE8ELNS1_11target_archE1030ELNS1_3gpuE2ELNS1_3repE0EEENS1_36merge_oddeven_config_static_selectorELNS0_4arch9wavefront6targetE1EEEvSF_
	.p2align	8
	.type	_ZN7rocprim17ROCPRIM_400000_NS6detail17trampoline_kernelINS0_14default_configENS1_38merge_sort_block_merge_config_selectorIyNS0_10empty_typeEEEZZNS1_27merge_sort_block_merge_implIS3_PyPS5_jNS1_19radix_merge_compareILb0ELb0EyNS0_19identity_decomposerEEEEE10hipError_tT0_T1_T2_jT3_P12ihipStream_tbPNSt15iterator_traitsISE_E10value_typeEPNSK_ISF_E10value_typeEPSG_NS1_7vsmem_tEENKUlT_SE_SF_SG_E_clIS8_S8_S9_S9_EESD_ST_SE_SF_SG_EUlST_E1_NS1_11comp_targetILNS1_3genE8ELNS1_11target_archE1030ELNS1_3gpuE2ELNS1_3repE0EEENS1_36merge_oddeven_config_static_selectorELNS0_4arch9wavefront6targetE1EEEvSF_,@function
_ZN7rocprim17ROCPRIM_400000_NS6detail17trampoline_kernelINS0_14default_configENS1_38merge_sort_block_merge_config_selectorIyNS0_10empty_typeEEEZZNS1_27merge_sort_block_merge_implIS3_PyPS5_jNS1_19radix_merge_compareILb0ELb0EyNS0_19identity_decomposerEEEEE10hipError_tT0_T1_T2_jT3_P12ihipStream_tbPNSt15iterator_traitsISE_E10value_typeEPNSK_ISF_E10value_typeEPSG_NS1_7vsmem_tEENKUlT_SE_SF_SG_E_clIS8_S8_S9_S9_EESD_ST_SE_SF_SG_EUlST_E1_NS1_11comp_targetILNS1_3genE8ELNS1_11target_archE1030ELNS1_3gpuE2ELNS1_3repE0EEENS1_36merge_oddeven_config_static_selectorELNS0_4arch9wavefront6targetE1EEEvSF_: ; @_ZN7rocprim17ROCPRIM_400000_NS6detail17trampoline_kernelINS0_14default_configENS1_38merge_sort_block_merge_config_selectorIyNS0_10empty_typeEEEZZNS1_27merge_sort_block_merge_implIS3_PyPS5_jNS1_19radix_merge_compareILb0ELb0EyNS0_19identity_decomposerEEEEE10hipError_tT0_T1_T2_jT3_P12ihipStream_tbPNSt15iterator_traitsISE_E10value_typeEPNSK_ISF_E10value_typeEPSG_NS1_7vsmem_tEENKUlT_SE_SF_SG_E_clIS8_S8_S9_S9_EESD_ST_SE_SF_SG_EUlST_E1_NS1_11comp_targetILNS1_3genE8ELNS1_11target_archE1030ELNS1_3gpuE2ELNS1_3repE0EEENS1_36merge_oddeven_config_static_selectorELNS0_4arch9wavefront6targetE1EEEvSF_
; %bb.0:
	.section	.rodata,"a",@progbits
	.p2align	6, 0x0
	.amdhsa_kernel _ZN7rocprim17ROCPRIM_400000_NS6detail17trampoline_kernelINS0_14default_configENS1_38merge_sort_block_merge_config_selectorIyNS0_10empty_typeEEEZZNS1_27merge_sort_block_merge_implIS3_PyPS5_jNS1_19radix_merge_compareILb0ELb0EyNS0_19identity_decomposerEEEEE10hipError_tT0_T1_T2_jT3_P12ihipStream_tbPNSt15iterator_traitsISE_E10value_typeEPNSK_ISF_E10value_typeEPSG_NS1_7vsmem_tEENKUlT_SE_SF_SG_E_clIS8_S8_S9_S9_EESD_ST_SE_SF_SG_EUlST_E1_NS1_11comp_targetILNS1_3genE8ELNS1_11target_archE1030ELNS1_3gpuE2ELNS1_3repE0EEENS1_36merge_oddeven_config_static_selectorELNS0_4arch9wavefront6targetE1EEEvSF_
		.amdhsa_group_segment_fixed_size 0
		.amdhsa_private_segment_fixed_size 0
		.amdhsa_kernarg_size 48
		.amdhsa_user_sgpr_count 6
		.amdhsa_user_sgpr_private_segment_buffer 1
		.amdhsa_user_sgpr_dispatch_ptr 0
		.amdhsa_user_sgpr_queue_ptr 0
		.amdhsa_user_sgpr_kernarg_segment_ptr 1
		.amdhsa_user_sgpr_dispatch_id 0
		.amdhsa_user_sgpr_flat_scratch_init 0
		.amdhsa_user_sgpr_kernarg_preload_length 0
		.amdhsa_user_sgpr_kernarg_preload_offset 0
		.amdhsa_user_sgpr_private_segment_size 0
		.amdhsa_uses_dynamic_stack 0
		.amdhsa_system_sgpr_private_segment_wavefront_offset 0
		.amdhsa_system_sgpr_workgroup_id_x 1
		.amdhsa_system_sgpr_workgroup_id_y 0
		.amdhsa_system_sgpr_workgroup_id_z 0
		.amdhsa_system_sgpr_workgroup_info 0
		.amdhsa_system_vgpr_workitem_id 0
		.amdhsa_next_free_vgpr 1
		.amdhsa_next_free_sgpr 0
		.amdhsa_accum_offset 4
		.amdhsa_reserve_vcc 0
		.amdhsa_reserve_flat_scratch 0
		.amdhsa_float_round_mode_32 0
		.amdhsa_float_round_mode_16_64 0
		.amdhsa_float_denorm_mode_32 3
		.amdhsa_float_denorm_mode_16_64 3
		.amdhsa_dx10_clamp 1
		.amdhsa_ieee_mode 1
		.amdhsa_fp16_overflow 0
		.amdhsa_tg_split 0
		.amdhsa_exception_fp_ieee_invalid_op 0
		.amdhsa_exception_fp_denorm_src 0
		.amdhsa_exception_fp_ieee_div_zero 0
		.amdhsa_exception_fp_ieee_overflow 0
		.amdhsa_exception_fp_ieee_underflow 0
		.amdhsa_exception_fp_ieee_inexact 0
		.amdhsa_exception_int_div_zero 0
	.end_amdhsa_kernel
	.section	.text._ZN7rocprim17ROCPRIM_400000_NS6detail17trampoline_kernelINS0_14default_configENS1_38merge_sort_block_merge_config_selectorIyNS0_10empty_typeEEEZZNS1_27merge_sort_block_merge_implIS3_PyPS5_jNS1_19radix_merge_compareILb0ELb0EyNS0_19identity_decomposerEEEEE10hipError_tT0_T1_T2_jT3_P12ihipStream_tbPNSt15iterator_traitsISE_E10value_typeEPNSK_ISF_E10value_typeEPSG_NS1_7vsmem_tEENKUlT_SE_SF_SG_E_clIS8_S8_S9_S9_EESD_ST_SE_SF_SG_EUlST_E1_NS1_11comp_targetILNS1_3genE8ELNS1_11target_archE1030ELNS1_3gpuE2ELNS1_3repE0EEENS1_36merge_oddeven_config_static_selectorELNS0_4arch9wavefront6targetE1EEEvSF_,"axG",@progbits,_ZN7rocprim17ROCPRIM_400000_NS6detail17trampoline_kernelINS0_14default_configENS1_38merge_sort_block_merge_config_selectorIyNS0_10empty_typeEEEZZNS1_27merge_sort_block_merge_implIS3_PyPS5_jNS1_19radix_merge_compareILb0ELb0EyNS0_19identity_decomposerEEEEE10hipError_tT0_T1_T2_jT3_P12ihipStream_tbPNSt15iterator_traitsISE_E10value_typeEPNSK_ISF_E10value_typeEPSG_NS1_7vsmem_tEENKUlT_SE_SF_SG_E_clIS8_S8_S9_S9_EESD_ST_SE_SF_SG_EUlST_E1_NS1_11comp_targetILNS1_3genE8ELNS1_11target_archE1030ELNS1_3gpuE2ELNS1_3repE0EEENS1_36merge_oddeven_config_static_selectorELNS0_4arch9wavefront6targetE1EEEvSF_,comdat
.Lfunc_end1149:
	.size	_ZN7rocprim17ROCPRIM_400000_NS6detail17trampoline_kernelINS0_14default_configENS1_38merge_sort_block_merge_config_selectorIyNS0_10empty_typeEEEZZNS1_27merge_sort_block_merge_implIS3_PyPS5_jNS1_19radix_merge_compareILb0ELb0EyNS0_19identity_decomposerEEEEE10hipError_tT0_T1_T2_jT3_P12ihipStream_tbPNSt15iterator_traitsISE_E10value_typeEPNSK_ISF_E10value_typeEPSG_NS1_7vsmem_tEENKUlT_SE_SF_SG_E_clIS8_S8_S9_S9_EESD_ST_SE_SF_SG_EUlST_E1_NS1_11comp_targetILNS1_3genE8ELNS1_11target_archE1030ELNS1_3gpuE2ELNS1_3repE0EEENS1_36merge_oddeven_config_static_selectorELNS0_4arch9wavefront6targetE1EEEvSF_, .Lfunc_end1149-_ZN7rocprim17ROCPRIM_400000_NS6detail17trampoline_kernelINS0_14default_configENS1_38merge_sort_block_merge_config_selectorIyNS0_10empty_typeEEEZZNS1_27merge_sort_block_merge_implIS3_PyPS5_jNS1_19radix_merge_compareILb0ELb0EyNS0_19identity_decomposerEEEEE10hipError_tT0_T1_T2_jT3_P12ihipStream_tbPNSt15iterator_traitsISE_E10value_typeEPNSK_ISF_E10value_typeEPSG_NS1_7vsmem_tEENKUlT_SE_SF_SG_E_clIS8_S8_S9_S9_EESD_ST_SE_SF_SG_EUlST_E1_NS1_11comp_targetILNS1_3genE8ELNS1_11target_archE1030ELNS1_3gpuE2ELNS1_3repE0EEENS1_36merge_oddeven_config_static_selectorELNS0_4arch9wavefront6targetE1EEEvSF_
                                        ; -- End function
	.section	.AMDGPU.csdata,"",@progbits
; Kernel info:
; codeLenInByte = 0
; NumSgprs: 4
; NumVgprs: 0
; NumAgprs: 0
; TotalNumVgprs: 0
; ScratchSize: 0
; MemoryBound: 0
; FloatMode: 240
; IeeeMode: 1
; LDSByteSize: 0 bytes/workgroup (compile time only)
; SGPRBlocks: 0
; VGPRBlocks: 0
; NumSGPRsForWavesPerEU: 4
; NumVGPRsForWavesPerEU: 1
; AccumOffset: 4
; Occupancy: 8
; WaveLimiterHint : 0
; COMPUTE_PGM_RSRC2:SCRATCH_EN: 0
; COMPUTE_PGM_RSRC2:USER_SGPR: 6
; COMPUTE_PGM_RSRC2:TRAP_HANDLER: 0
; COMPUTE_PGM_RSRC2:TGID_X_EN: 1
; COMPUTE_PGM_RSRC2:TGID_Y_EN: 0
; COMPUTE_PGM_RSRC2:TGID_Z_EN: 0
; COMPUTE_PGM_RSRC2:TIDIG_COMP_CNT: 0
; COMPUTE_PGM_RSRC3_GFX90A:ACCUM_OFFSET: 0
; COMPUTE_PGM_RSRC3_GFX90A:TG_SPLIT: 0
	.section	.text._ZN7rocprim17ROCPRIM_400000_NS6detail17trampoline_kernelINS0_14default_configENS1_25transform_config_selectorIyLb1EEEZNS1_14transform_implILb1ES3_S5_PyS7_NS0_8identityIyEEEE10hipError_tT2_T3_mT4_P12ihipStream_tbEUlT_E_NS1_11comp_targetILNS1_3genE0ELNS1_11target_archE4294967295ELNS1_3gpuE0ELNS1_3repE0EEENS1_30default_config_static_selectorELNS0_4arch9wavefront6targetE1EEEvT1_,"axG",@progbits,_ZN7rocprim17ROCPRIM_400000_NS6detail17trampoline_kernelINS0_14default_configENS1_25transform_config_selectorIyLb1EEEZNS1_14transform_implILb1ES3_S5_PyS7_NS0_8identityIyEEEE10hipError_tT2_T3_mT4_P12ihipStream_tbEUlT_E_NS1_11comp_targetILNS1_3genE0ELNS1_11target_archE4294967295ELNS1_3gpuE0ELNS1_3repE0EEENS1_30default_config_static_selectorELNS0_4arch9wavefront6targetE1EEEvT1_,comdat
	.protected	_ZN7rocprim17ROCPRIM_400000_NS6detail17trampoline_kernelINS0_14default_configENS1_25transform_config_selectorIyLb1EEEZNS1_14transform_implILb1ES3_S5_PyS7_NS0_8identityIyEEEE10hipError_tT2_T3_mT4_P12ihipStream_tbEUlT_E_NS1_11comp_targetILNS1_3genE0ELNS1_11target_archE4294967295ELNS1_3gpuE0ELNS1_3repE0EEENS1_30default_config_static_selectorELNS0_4arch9wavefront6targetE1EEEvT1_ ; -- Begin function _ZN7rocprim17ROCPRIM_400000_NS6detail17trampoline_kernelINS0_14default_configENS1_25transform_config_selectorIyLb1EEEZNS1_14transform_implILb1ES3_S5_PyS7_NS0_8identityIyEEEE10hipError_tT2_T3_mT4_P12ihipStream_tbEUlT_E_NS1_11comp_targetILNS1_3genE0ELNS1_11target_archE4294967295ELNS1_3gpuE0ELNS1_3repE0EEENS1_30default_config_static_selectorELNS0_4arch9wavefront6targetE1EEEvT1_
	.globl	_ZN7rocprim17ROCPRIM_400000_NS6detail17trampoline_kernelINS0_14default_configENS1_25transform_config_selectorIyLb1EEEZNS1_14transform_implILb1ES3_S5_PyS7_NS0_8identityIyEEEE10hipError_tT2_T3_mT4_P12ihipStream_tbEUlT_E_NS1_11comp_targetILNS1_3genE0ELNS1_11target_archE4294967295ELNS1_3gpuE0ELNS1_3repE0EEENS1_30default_config_static_selectorELNS0_4arch9wavefront6targetE1EEEvT1_
	.p2align	8
	.type	_ZN7rocprim17ROCPRIM_400000_NS6detail17trampoline_kernelINS0_14default_configENS1_25transform_config_selectorIyLb1EEEZNS1_14transform_implILb1ES3_S5_PyS7_NS0_8identityIyEEEE10hipError_tT2_T3_mT4_P12ihipStream_tbEUlT_E_NS1_11comp_targetILNS1_3genE0ELNS1_11target_archE4294967295ELNS1_3gpuE0ELNS1_3repE0EEENS1_30default_config_static_selectorELNS0_4arch9wavefront6targetE1EEEvT1_,@function
_ZN7rocprim17ROCPRIM_400000_NS6detail17trampoline_kernelINS0_14default_configENS1_25transform_config_selectorIyLb1EEEZNS1_14transform_implILb1ES3_S5_PyS7_NS0_8identityIyEEEE10hipError_tT2_T3_mT4_P12ihipStream_tbEUlT_E_NS1_11comp_targetILNS1_3genE0ELNS1_11target_archE4294967295ELNS1_3gpuE0ELNS1_3repE0EEENS1_30default_config_static_selectorELNS0_4arch9wavefront6targetE1EEEvT1_: ; @_ZN7rocprim17ROCPRIM_400000_NS6detail17trampoline_kernelINS0_14default_configENS1_25transform_config_selectorIyLb1EEEZNS1_14transform_implILb1ES3_S5_PyS7_NS0_8identityIyEEEE10hipError_tT2_T3_mT4_P12ihipStream_tbEUlT_E_NS1_11comp_targetILNS1_3genE0ELNS1_11target_archE4294967295ELNS1_3gpuE0ELNS1_3repE0EEENS1_30default_config_static_selectorELNS0_4arch9wavefront6targetE1EEEvT1_
; %bb.0:
	.section	.rodata,"a",@progbits
	.p2align	6, 0x0
	.amdhsa_kernel _ZN7rocprim17ROCPRIM_400000_NS6detail17trampoline_kernelINS0_14default_configENS1_25transform_config_selectorIyLb1EEEZNS1_14transform_implILb1ES3_S5_PyS7_NS0_8identityIyEEEE10hipError_tT2_T3_mT4_P12ihipStream_tbEUlT_E_NS1_11comp_targetILNS1_3genE0ELNS1_11target_archE4294967295ELNS1_3gpuE0ELNS1_3repE0EEENS1_30default_config_static_selectorELNS0_4arch9wavefront6targetE1EEEvT1_
		.amdhsa_group_segment_fixed_size 0
		.amdhsa_private_segment_fixed_size 0
		.amdhsa_kernarg_size 40
		.amdhsa_user_sgpr_count 6
		.amdhsa_user_sgpr_private_segment_buffer 1
		.amdhsa_user_sgpr_dispatch_ptr 0
		.amdhsa_user_sgpr_queue_ptr 0
		.amdhsa_user_sgpr_kernarg_segment_ptr 1
		.amdhsa_user_sgpr_dispatch_id 0
		.amdhsa_user_sgpr_flat_scratch_init 0
		.amdhsa_user_sgpr_kernarg_preload_length 0
		.amdhsa_user_sgpr_kernarg_preload_offset 0
		.amdhsa_user_sgpr_private_segment_size 0
		.amdhsa_uses_dynamic_stack 0
		.amdhsa_system_sgpr_private_segment_wavefront_offset 0
		.amdhsa_system_sgpr_workgroup_id_x 1
		.amdhsa_system_sgpr_workgroup_id_y 0
		.amdhsa_system_sgpr_workgroup_id_z 0
		.amdhsa_system_sgpr_workgroup_info 0
		.amdhsa_system_vgpr_workitem_id 0
		.amdhsa_next_free_vgpr 1
		.amdhsa_next_free_sgpr 0
		.amdhsa_accum_offset 4
		.amdhsa_reserve_vcc 0
		.amdhsa_reserve_flat_scratch 0
		.amdhsa_float_round_mode_32 0
		.amdhsa_float_round_mode_16_64 0
		.amdhsa_float_denorm_mode_32 3
		.amdhsa_float_denorm_mode_16_64 3
		.amdhsa_dx10_clamp 1
		.amdhsa_ieee_mode 1
		.amdhsa_fp16_overflow 0
		.amdhsa_tg_split 0
		.amdhsa_exception_fp_ieee_invalid_op 0
		.amdhsa_exception_fp_denorm_src 0
		.amdhsa_exception_fp_ieee_div_zero 0
		.amdhsa_exception_fp_ieee_overflow 0
		.amdhsa_exception_fp_ieee_underflow 0
		.amdhsa_exception_fp_ieee_inexact 0
		.amdhsa_exception_int_div_zero 0
	.end_amdhsa_kernel
	.section	.text._ZN7rocprim17ROCPRIM_400000_NS6detail17trampoline_kernelINS0_14default_configENS1_25transform_config_selectorIyLb1EEEZNS1_14transform_implILb1ES3_S5_PyS7_NS0_8identityIyEEEE10hipError_tT2_T3_mT4_P12ihipStream_tbEUlT_E_NS1_11comp_targetILNS1_3genE0ELNS1_11target_archE4294967295ELNS1_3gpuE0ELNS1_3repE0EEENS1_30default_config_static_selectorELNS0_4arch9wavefront6targetE1EEEvT1_,"axG",@progbits,_ZN7rocprim17ROCPRIM_400000_NS6detail17trampoline_kernelINS0_14default_configENS1_25transform_config_selectorIyLb1EEEZNS1_14transform_implILb1ES3_S5_PyS7_NS0_8identityIyEEEE10hipError_tT2_T3_mT4_P12ihipStream_tbEUlT_E_NS1_11comp_targetILNS1_3genE0ELNS1_11target_archE4294967295ELNS1_3gpuE0ELNS1_3repE0EEENS1_30default_config_static_selectorELNS0_4arch9wavefront6targetE1EEEvT1_,comdat
.Lfunc_end1150:
	.size	_ZN7rocprim17ROCPRIM_400000_NS6detail17trampoline_kernelINS0_14default_configENS1_25transform_config_selectorIyLb1EEEZNS1_14transform_implILb1ES3_S5_PyS7_NS0_8identityIyEEEE10hipError_tT2_T3_mT4_P12ihipStream_tbEUlT_E_NS1_11comp_targetILNS1_3genE0ELNS1_11target_archE4294967295ELNS1_3gpuE0ELNS1_3repE0EEENS1_30default_config_static_selectorELNS0_4arch9wavefront6targetE1EEEvT1_, .Lfunc_end1150-_ZN7rocprim17ROCPRIM_400000_NS6detail17trampoline_kernelINS0_14default_configENS1_25transform_config_selectorIyLb1EEEZNS1_14transform_implILb1ES3_S5_PyS7_NS0_8identityIyEEEE10hipError_tT2_T3_mT4_P12ihipStream_tbEUlT_E_NS1_11comp_targetILNS1_3genE0ELNS1_11target_archE4294967295ELNS1_3gpuE0ELNS1_3repE0EEENS1_30default_config_static_selectorELNS0_4arch9wavefront6targetE1EEEvT1_
                                        ; -- End function
	.section	.AMDGPU.csdata,"",@progbits
; Kernel info:
; codeLenInByte = 0
; NumSgprs: 4
; NumVgprs: 0
; NumAgprs: 0
; TotalNumVgprs: 0
; ScratchSize: 0
; MemoryBound: 0
; FloatMode: 240
; IeeeMode: 1
; LDSByteSize: 0 bytes/workgroup (compile time only)
; SGPRBlocks: 0
; VGPRBlocks: 0
; NumSGPRsForWavesPerEU: 4
; NumVGPRsForWavesPerEU: 1
; AccumOffset: 4
; Occupancy: 8
; WaveLimiterHint : 0
; COMPUTE_PGM_RSRC2:SCRATCH_EN: 0
; COMPUTE_PGM_RSRC2:USER_SGPR: 6
; COMPUTE_PGM_RSRC2:TRAP_HANDLER: 0
; COMPUTE_PGM_RSRC2:TGID_X_EN: 1
; COMPUTE_PGM_RSRC2:TGID_Y_EN: 0
; COMPUTE_PGM_RSRC2:TGID_Z_EN: 0
; COMPUTE_PGM_RSRC2:TIDIG_COMP_CNT: 0
; COMPUTE_PGM_RSRC3_GFX90A:ACCUM_OFFSET: 0
; COMPUTE_PGM_RSRC3_GFX90A:TG_SPLIT: 0
	.section	.text._ZN7rocprim17ROCPRIM_400000_NS6detail17trampoline_kernelINS0_14default_configENS1_25transform_config_selectorIyLb1EEEZNS1_14transform_implILb1ES3_S5_PyS7_NS0_8identityIyEEEE10hipError_tT2_T3_mT4_P12ihipStream_tbEUlT_E_NS1_11comp_targetILNS1_3genE10ELNS1_11target_archE1201ELNS1_3gpuE5ELNS1_3repE0EEENS1_30default_config_static_selectorELNS0_4arch9wavefront6targetE1EEEvT1_,"axG",@progbits,_ZN7rocprim17ROCPRIM_400000_NS6detail17trampoline_kernelINS0_14default_configENS1_25transform_config_selectorIyLb1EEEZNS1_14transform_implILb1ES3_S5_PyS7_NS0_8identityIyEEEE10hipError_tT2_T3_mT4_P12ihipStream_tbEUlT_E_NS1_11comp_targetILNS1_3genE10ELNS1_11target_archE1201ELNS1_3gpuE5ELNS1_3repE0EEENS1_30default_config_static_selectorELNS0_4arch9wavefront6targetE1EEEvT1_,comdat
	.protected	_ZN7rocprim17ROCPRIM_400000_NS6detail17trampoline_kernelINS0_14default_configENS1_25transform_config_selectorIyLb1EEEZNS1_14transform_implILb1ES3_S5_PyS7_NS0_8identityIyEEEE10hipError_tT2_T3_mT4_P12ihipStream_tbEUlT_E_NS1_11comp_targetILNS1_3genE10ELNS1_11target_archE1201ELNS1_3gpuE5ELNS1_3repE0EEENS1_30default_config_static_selectorELNS0_4arch9wavefront6targetE1EEEvT1_ ; -- Begin function _ZN7rocprim17ROCPRIM_400000_NS6detail17trampoline_kernelINS0_14default_configENS1_25transform_config_selectorIyLb1EEEZNS1_14transform_implILb1ES3_S5_PyS7_NS0_8identityIyEEEE10hipError_tT2_T3_mT4_P12ihipStream_tbEUlT_E_NS1_11comp_targetILNS1_3genE10ELNS1_11target_archE1201ELNS1_3gpuE5ELNS1_3repE0EEENS1_30default_config_static_selectorELNS0_4arch9wavefront6targetE1EEEvT1_
	.globl	_ZN7rocprim17ROCPRIM_400000_NS6detail17trampoline_kernelINS0_14default_configENS1_25transform_config_selectorIyLb1EEEZNS1_14transform_implILb1ES3_S5_PyS7_NS0_8identityIyEEEE10hipError_tT2_T3_mT4_P12ihipStream_tbEUlT_E_NS1_11comp_targetILNS1_3genE10ELNS1_11target_archE1201ELNS1_3gpuE5ELNS1_3repE0EEENS1_30default_config_static_selectorELNS0_4arch9wavefront6targetE1EEEvT1_
	.p2align	8
	.type	_ZN7rocprim17ROCPRIM_400000_NS6detail17trampoline_kernelINS0_14default_configENS1_25transform_config_selectorIyLb1EEEZNS1_14transform_implILb1ES3_S5_PyS7_NS0_8identityIyEEEE10hipError_tT2_T3_mT4_P12ihipStream_tbEUlT_E_NS1_11comp_targetILNS1_3genE10ELNS1_11target_archE1201ELNS1_3gpuE5ELNS1_3repE0EEENS1_30default_config_static_selectorELNS0_4arch9wavefront6targetE1EEEvT1_,@function
_ZN7rocprim17ROCPRIM_400000_NS6detail17trampoline_kernelINS0_14default_configENS1_25transform_config_selectorIyLb1EEEZNS1_14transform_implILb1ES3_S5_PyS7_NS0_8identityIyEEEE10hipError_tT2_T3_mT4_P12ihipStream_tbEUlT_E_NS1_11comp_targetILNS1_3genE10ELNS1_11target_archE1201ELNS1_3gpuE5ELNS1_3repE0EEENS1_30default_config_static_selectorELNS0_4arch9wavefront6targetE1EEEvT1_: ; @_ZN7rocprim17ROCPRIM_400000_NS6detail17trampoline_kernelINS0_14default_configENS1_25transform_config_selectorIyLb1EEEZNS1_14transform_implILb1ES3_S5_PyS7_NS0_8identityIyEEEE10hipError_tT2_T3_mT4_P12ihipStream_tbEUlT_E_NS1_11comp_targetILNS1_3genE10ELNS1_11target_archE1201ELNS1_3gpuE5ELNS1_3repE0EEENS1_30default_config_static_selectorELNS0_4arch9wavefront6targetE1EEEvT1_
; %bb.0:
	.section	.rodata,"a",@progbits
	.p2align	6, 0x0
	.amdhsa_kernel _ZN7rocprim17ROCPRIM_400000_NS6detail17trampoline_kernelINS0_14default_configENS1_25transform_config_selectorIyLb1EEEZNS1_14transform_implILb1ES3_S5_PyS7_NS0_8identityIyEEEE10hipError_tT2_T3_mT4_P12ihipStream_tbEUlT_E_NS1_11comp_targetILNS1_3genE10ELNS1_11target_archE1201ELNS1_3gpuE5ELNS1_3repE0EEENS1_30default_config_static_selectorELNS0_4arch9wavefront6targetE1EEEvT1_
		.amdhsa_group_segment_fixed_size 0
		.amdhsa_private_segment_fixed_size 0
		.amdhsa_kernarg_size 40
		.amdhsa_user_sgpr_count 6
		.amdhsa_user_sgpr_private_segment_buffer 1
		.amdhsa_user_sgpr_dispatch_ptr 0
		.amdhsa_user_sgpr_queue_ptr 0
		.amdhsa_user_sgpr_kernarg_segment_ptr 1
		.amdhsa_user_sgpr_dispatch_id 0
		.amdhsa_user_sgpr_flat_scratch_init 0
		.amdhsa_user_sgpr_kernarg_preload_length 0
		.amdhsa_user_sgpr_kernarg_preload_offset 0
		.amdhsa_user_sgpr_private_segment_size 0
		.amdhsa_uses_dynamic_stack 0
		.amdhsa_system_sgpr_private_segment_wavefront_offset 0
		.amdhsa_system_sgpr_workgroup_id_x 1
		.amdhsa_system_sgpr_workgroup_id_y 0
		.amdhsa_system_sgpr_workgroup_id_z 0
		.amdhsa_system_sgpr_workgroup_info 0
		.amdhsa_system_vgpr_workitem_id 0
		.amdhsa_next_free_vgpr 1
		.amdhsa_next_free_sgpr 0
		.amdhsa_accum_offset 4
		.amdhsa_reserve_vcc 0
		.amdhsa_reserve_flat_scratch 0
		.amdhsa_float_round_mode_32 0
		.amdhsa_float_round_mode_16_64 0
		.amdhsa_float_denorm_mode_32 3
		.amdhsa_float_denorm_mode_16_64 3
		.amdhsa_dx10_clamp 1
		.amdhsa_ieee_mode 1
		.amdhsa_fp16_overflow 0
		.amdhsa_tg_split 0
		.amdhsa_exception_fp_ieee_invalid_op 0
		.amdhsa_exception_fp_denorm_src 0
		.amdhsa_exception_fp_ieee_div_zero 0
		.amdhsa_exception_fp_ieee_overflow 0
		.amdhsa_exception_fp_ieee_underflow 0
		.amdhsa_exception_fp_ieee_inexact 0
		.amdhsa_exception_int_div_zero 0
	.end_amdhsa_kernel
	.section	.text._ZN7rocprim17ROCPRIM_400000_NS6detail17trampoline_kernelINS0_14default_configENS1_25transform_config_selectorIyLb1EEEZNS1_14transform_implILb1ES3_S5_PyS7_NS0_8identityIyEEEE10hipError_tT2_T3_mT4_P12ihipStream_tbEUlT_E_NS1_11comp_targetILNS1_3genE10ELNS1_11target_archE1201ELNS1_3gpuE5ELNS1_3repE0EEENS1_30default_config_static_selectorELNS0_4arch9wavefront6targetE1EEEvT1_,"axG",@progbits,_ZN7rocprim17ROCPRIM_400000_NS6detail17trampoline_kernelINS0_14default_configENS1_25transform_config_selectorIyLb1EEEZNS1_14transform_implILb1ES3_S5_PyS7_NS0_8identityIyEEEE10hipError_tT2_T3_mT4_P12ihipStream_tbEUlT_E_NS1_11comp_targetILNS1_3genE10ELNS1_11target_archE1201ELNS1_3gpuE5ELNS1_3repE0EEENS1_30default_config_static_selectorELNS0_4arch9wavefront6targetE1EEEvT1_,comdat
.Lfunc_end1151:
	.size	_ZN7rocprim17ROCPRIM_400000_NS6detail17trampoline_kernelINS0_14default_configENS1_25transform_config_selectorIyLb1EEEZNS1_14transform_implILb1ES3_S5_PyS7_NS0_8identityIyEEEE10hipError_tT2_T3_mT4_P12ihipStream_tbEUlT_E_NS1_11comp_targetILNS1_3genE10ELNS1_11target_archE1201ELNS1_3gpuE5ELNS1_3repE0EEENS1_30default_config_static_selectorELNS0_4arch9wavefront6targetE1EEEvT1_, .Lfunc_end1151-_ZN7rocprim17ROCPRIM_400000_NS6detail17trampoline_kernelINS0_14default_configENS1_25transform_config_selectorIyLb1EEEZNS1_14transform_implILb1ES3_S5_PyS7_NS0_8identityIyEEEE10hipError_tT2_T3_mT4_P12ihipStream_tbEUlT_E_NS1_11comp_targetILNS1_3genE10ELNS1_11target_archE1201ELNS1_3gpuE5ELNS1_3repE0EEENS1_30default_config_static_selectorELNS0_4arch9wavefront6targetE1EEEvT1_
                                        ; -- End function
	.section	.AMDGPU.csdata,"",@progbits
; Kernel info:
; codeLenInByte = 0
; NumSgprs: 4
; NumVgprs: 0
; NumAgprs: 0
; TotalNumVgprs: 0
; ScratchSize: 0
; MemoryBound: 0
; FloatMode: 240
; IeeeMode: 1
; LDSByteSize: 0 bytes/workgroup (compile time only)
; SGPRBlocks: 0
; VGPRBlocks: 0
; NumSGPRsForWavesPerEU: 4
; NumVGPRsForWavesPerEU: 1
; AccumOffset: 4
; Occupancy: 8
; WaveLimiterHint : 0
; COMPUTE_PGM_RSRC2:SCRATCH_EN: 0
; COMPUTE_PGM_RSRC2:USER_SGPR: 6
; COMPUTE_PGM_RSRC2:TRAP_HANDLER: 0
; COMPUTE_PGM_RSRC2:TGID_X_EN: 1
; COMPUTE_PGM_RSRC2:TGID_Y_EN: 0
; COMPUTE_PGM_RSRC2:TGID_Z_EN: 0
; COMPUTE_PGM_RSRC2:TIDIG_COMP_CNT: 0
; COMPUTE_PGM_RSRC3_GFX90A:ACCUM_OFFSET: 0
; COMPUTE_PGM_RSRC3_GFX90A:TG_SPLIT: 0
	.section	.text._ZN7rocprim17ROCPRIM_400000_NS6detail17trampoline_kernelINS0_14default_configENS1_25transform_config_selectorIyLb1EEEZNS1_14transform_implILb1ES3_S5_PyS7_NS0_8identityIyEEEE10hipError_tT2_T3_mT4_P12ihipStream_tbEUlT_E_NS1_11comp_targetILNS1_3genE5ELNS1_11target_archE942ELNS1_3gpuE9ELNS1_3repE0EEENS1_30default_config_static_selectorELNS0_4arch9wavefront6targetE1EEEvT1_,"axG",@progbits,_ZN7rocprim17ROCPRIM_400000_NS6detail17trampoline_kernelINS0_14default_configENS1_25transform_config_selectorIyLb1EEEZNS1_14transform_implILb1ES3_S5_PyS7_NS0_8identityIyEEEE10hipError_tT2_T3_mT4_P12ihipStream_tbEUlT_E_NS1_11comp_targetILNS1_3genE5ELNS1_11target_archE942ELNS1_3gpuE9ELNS1_3repE0EEENS1_30default_config_static_selectorELNS0_4arch9wavefront6targetE1EEEvT1_,comdat
	.protected	_ZN7rocprim17ROCPRIM_400000_NS6detail17trampoline_kernelINS0_14default_configENS1_25transform_config_selectorIyLb1EEEZNS1_14transform_implILb1ES3_S5_PyS7_NS0_8identityIyEEEE10hipError_tT2_T3_mT4_P12ihipStream_tbEUlT_E_NS1_11comp_targetILNS1_3genE5ELNS1_11target_archE942ELNS1_3gpuE9ELNS1_3repE0EEENS1_30default_config_static_selectorELNS0_4arch9wavefront6targetE1EEEvT1_ ; -- Begin function _ZN7rocprim17ROCPRIM_400000_NS6detail17trampoline_kernelINS0_14default_configENS1_25transform_config_selectorIyLb1EEEZNS1_14transform_implILb1ES3_S5_PyS7_NS0_8identityIyEEEE10hipError_tT2_T3_mT4_P12ihipStream_tbEUlT_E_NS1_11comp_targetILNS1_3genE5ELNS1_11target_archE942ELNS1_3gpuE9ELNS1_3repE0EEENS1_30default_config_static_selectorELNS0_4arch9wavefront6targetE1EEEvT1_
	.globl	_ZN7rocprim17ROCPRIM_400000_NS6detail17trampoline_kernelINS0_14default_configENS1_25transform_config_selectorIyLb1EEEZNS1_14transform_implILb1ES3_S5_PyS7_NS0_8identityIyEEEE10hipError_tT2_T3_mT4_P12ihipStream_tbEUlT_E_NS1_11comp_targetILNS1_3genE5ELNS1_11target_archE942ELNS1_3gpuE9ELNS1_3repE0EEENS1_30default_config_static_selectorELNS0_4arch9wavefront6targetE1EEEvT1_
	.p2align	8
	.type	_ZN7rocprim17ROCPRIM_400000_NS6detail17trampoline_kernelINS0_14default_configENS1_25transform_config_selectorIyLb1EEEZNS1_14transform_implILb1ES3_S5_PyS7_NS0_8identityIyEEEE10hipError_tT2_T3_mT4_P12ihipStream_tbEUlT_E_NS1_11comp_targetILNS1_3genE5ELNS1_11target_archE942ELNS1_3gpuE9ELNS1_3repE0EEENS1_30default_config_static_selectorELNS0_4arch9wavefront6targetE1EEEvT1_,@function
_ZN7rocprim17ROCPRIM_400000_NS6detail17trampoline_kernelINS0_14default_configENS1_25transform_config_selectorIyLb1EEEZNS1_14transform_implILb1ES3_S5_PyS7_NS0_8identityIyEEEE10hipError_tT2_T3_mT4_P12ihipStream_tbEUlT_E_NS1_11comp_targetILNS1_3genE5ELNS1_11target_archE942ELNS1_3gpuE9ELNS1_3repE0EEENS1_30default_config_static_selectorELNS0_4arch9wavefront6targetE1EEEvT1_: ; @_ZN7rocprim17ROCPRIM_400000_NS6detail17trampoline_kernelINS0_14default_configENS1_25transform_config_selectorIyLb1EEEZNS1_14transform_implILb1ES3_S5_PyS7_NS0_8identityIyEEEE10hipError_tT2_T3_mT4_P12ihipStream_tbEUlT_E_NS1_11comp_targetILNS1_3genE5ELNS1_11target_archE942ELNS1_3gpuE9ELNS1_3repE0EEENS1_30default_config_static_selectorELNS0_4arch9wavefront6targetE1EEEvT1_
; %bb.0:
	.section	.rodata,"a",@progbits
	.p2align	6, 0x0
	.amdhsa_kernel _ZN7rocprim17ROCPRIM_400000_NS6detail17trampoline_kernelINS0_14default_configENS1_25transform_config_selectorIyLb1EEEZNS1_14transform_implILb1ES3_S5_PyS7_NS0_8identityIyEEEE10hipError_tT2_T3_mT4_P12ihipStream_tbEUlT_E_NS1_11comp_targetILNS1_3genE5ELNS1_11target_archE942ELNS1_3gpuE9ELNS1_3repE0EEENS1_30default_config_static_selectorELNS0_4arch9wavefront6targetE1EEEvT1_
		.amdhsa_group_segment_fixed_size 0
		.amdhsa_private_segment_fixed_size 0
		.amdhsa_kernarg_size 40
		.amdhsa_user_sgpr_count 6
		.amdhsa_user_sgpr_private_segment_buffer 1
		.amdhsa_user_sgpr_dispatch_ptr 0
		.amdhsa_user_sgpr_queue_ptr 0
		.amdhsa_user_sgpr_kernarg_segment_ptr 1
		.amdhsa_user_sgpr_dispatch_id 0
		.amdhsa_user_sgpr_flat_scratch_init 0
		.amdhsa_user_sgpr_kernarg_preload_length 0
		.amdhsa_user_sgpr_kernarg_preload_offset 0
		.amdhsa_user_sgpr_private_segment_size 0
		.amdhsa_uses_dynamic_stack 0
		.amdhsa_system_sgpr_private_segment_wavefront_offset 0
		.amdhsa_system_sgpr_workgroup_id_x 1
		.amdhsa_system_sgpr_workgroup_id_y 0
		.amdhsa_system_sgpr_workgroup_id_z 0
		.amdhsa_system_sgpr_workgroup_info 0
		.amdhsa_system_vgpr_workitem_id 0
		.amdhsa_next_free_vgpr 1
		.amdhsa_next_free_sgpr 0
		.amdhsa_accum_offset 4
		.amdhsa_reserve_vcc 0
		.amdhsa_reserve_flat_scratch 0
		.amdhsa_float_round_mode_32 0
		.amdhsa_float_round_mode_16_64 0
		.amdhsa_float_denorm_mode_32 3
		.amdhsa_float_denorm_mode_16_64 3
		.amdhsa_dx10_clamp 1
		.amdhsa_ieee_mode 1
		.amdhsa_fp16_overflow 0
		.amdhsa_tg_split 0
		.amdhsa_exception_fp_ieee_invalid_op 0
		.amdhsa_exception_fp_denorm_src 0
		.amdhsa_exception_fp_ieee_div_zero 0
		.amdhsa_exception_fp_ieee_overflow 0
		.amdhsa_exception_fp_ieee_underflow 0
		.amdhsa_exception_fp_ieee_inexact 0
		.amdhsa_exception_int_div_zero 0
	.end_amdhsa_kernel
	.section	.text._ZN7rocprim17ROCPRIM_400000_NS6detail17trampoline_kernelINS0_14default_configENS1_25transform_config_selectorIyLb1EEEZNS1_14transform_implILb1ES3_S5_PyS7_NS0_8identityIyEEEE10hipError_tT2_T3_mT4_P12ihipStream_tbEUlT_E_NS1_11comp_targetILNS1_3genE5ELNS1_11target_archE942ELNS1_3gpuE9ELNS1_3repE0EEENS1_30default_config_static_selectorELNS0_4arch9wavefront6targetE1EEEvT1_,"axG",@progbits,_ZN7rocprim17ROCPRIM_400000_NS6detail17trampoline_kernelINS0_14default_configENS1_25transform_config_selectorIyLb1EEEZNS1_14transform_implILb1ES3_S5_PyS7_NS0_8identityIyEEEE10hipError_tT2_T3_mT4_P12ihipStream_tbEUlT_E_NS1_11comp_targetILNS1_3genE5ELNS1_11target_archE942ELNS1_3gpuE9ELNS1_3repE0EEENS1_30default_config_static_selectorELNS0_4arch9wavefront6targetE1EEEvT1_,comdat
.Lfunc_end1152:
	.size	_ZN7rocprim17ROCPRIM_400000_NS6detail17trampoline_kernelINS0_14default_configENS1_25transform_config_selectorIyLb1EEEZNS1_14transform_implILb1ES3_S5_PyS7_NS0_8identityIyEEEE10hipError_tT2_T3_mT4_P12ihipStream_tbEUlT_E_NS1_11comp_targetILNS1_3genE5ELNS1_11target_archE942ELNS1_3gpuE9ELNS1_3repE0EEENS1_30default_config_static_selectorELNS0_4arch9wavefront6targetE1EEEvT1_, .Lfunc_end1152-_ZN7rocprim17ROCPRIM_400000_NS6detail17trampoline_kernelINS0_14default_configENS1_25transform_config_selectorIyLb1EEEZNS1_14transform_implILb1ES3_S5_PyS7_NS0_8identityIyEEEE10hipError_tT2_T3_mT4_P12ihipStream_tbEUlT_E_NS1_11comp_targetILNS1_3genE5ELNS1_11target_archE942ELNS1_3gpuE9ELNS1_3repE0EEENS1_30default_config_static_selectorELNS0_4arch9wavefront6targetE1EEEvT1_
                                        ; -- End function
	.section	.AMDGPU.csdata,"",@progbits
; Kernel info:
; codeLenInByte = 0
; NumSgprs: 4
; NumVgprs: 0
; NumAgprs: 0
; TotalNumVgprs: 0
; ScratchSize: 0
; MemoryBound: 0
; FloatMode: 240
; IeeeMode: 1
; LDSByteSize: 0 bytes/workgroup (compile time only)
; SGPRBlocks: 0
; VGPRBlocks: 0
; NumSGPRsForWavesPerEU: 4
; NumVGPRsForWavesPerEU: 1
; AccumOffset: 4
; Occupancy: 8
; WaveLimiterHint : 0
; COMPUTE_PGM_RSRC2:SCRATCH_EN: 0
; COMPUTE_PGM_RSRC2:USER_SGPR: 6
; COMPUTE_PGM_RSRC2:TRAP_HANDLER: 0
; COMPUTE_PGM_RSRC2:TGID_X_EN: 1
; COMPUTE_PGM_RSRC2:TGID_Y_EN: 0
; COMPUTE_PGM_RSRC2:TGID_Z_EN: 0
; COMPUTE_PGM_RSRC2:TIDIG_COMP_CNT: 0
; COMPUTE_PGM_RSRC3_GFX90A:ACCUM_OFFSET: 0
; COMPUTE_PGM_RSRC3_GFX90A:TG_SPLIT: 0
	.section	.text._ZN7rocprim17ROCPRIM_400000_NS6detail17trampoline_kernelINS0_14default_configENS1_25transform_config_selectorIyLb1EEEZNS1_14transform_implILb1ES3_S5_PyS7_NS0_8identityIyEEEE10hipError_tT2_T3_mT4_P12ihipStream_tbEUlT_E_NS1_11comp_targetILNS1_3genE4ELNS1_11target_archE910ELNS1_3gpuE8ELNS1_3repE0EEENS1_30default_config_static_selectorELNS0_4arch9wavefront6targetE1EEEvT1_,"axG",@progbits,_ZN7rocprim17ROCPRIM_400000_NS6detail17trampoline_kernelINS0_14default_configENS1_25transform_config_selectorIyLb1EEEZNS1_14transform_implILb1ES3_S5_PyS7_NS0_8identityIyEEEE10hipError_tT2_T3_mT4_P12ihipStream_tbEUlT_E_NS1_11comp_targetILNS1_3genE4ELNS1_11target_archE910ELNS1_3gpuE8ELNS1_3repE0EEENS1_30default_config_static_selectorELNS0_4arch9wavefront6targetE1EEEvT1_,comdat
	.protected	_ZN7rocprim17ROCPRIM_400000_NS6detail17trampoline_kernelINS0_14default_configENS1_25transform_config_selectorIyLb1EEEZNS1_14transform_implILb1ES3_S5_PyS7_NS0_8identityIyEEEE10hipError_tT2_T3_mT4_P12ihipStream_tbEUlT_E_NS1_11comp_targetILNS1_3genE4ELNS1_11target_archE910ELNS1_3gpuE8ELNS1_3repE0EEENS1_30default_config_static_selectorELNS0_4arch9wavefront6targetE1EEEvT1_ ; -- Begin function _ZN7rocprim17ROCPRIM_400000_NS6detail17trampoline_kernelINS0_14default_configENS1_25transform_config_selectorIyLb1EEEZNS1_14transform_implILb1ES3_S5_PyS7_NS0_8identityIyEEEE10hipError_tT2_T3_mT4_P12ihipStream_tbEUlT_E_NS1_11comp_targetILNS1_3genE4ELNS1_11target_archE910ELNS1_3gpuE8ELNS1_3repE0EEENS1_30default_config_static_selectorELNS0_4arch9wavefront6targetE1EEEvT1_
	.globl	_ZN7rocprim17ROCPRIM_400000_NS6detail17trampoline_kernelINS0_14default_configENS1_25transform_config_selectorIyLb1EEEZNS1_14transform_implILb1ES3_S5_PyS7_NS0_8identityIyEEEE10hipError_tT2_T3_mT4_P12ihipStream_tbEUlT_E_NS1_11comp_targetILNS1_3genE4ELNS1_11target_archE910ELNS1_3gpuE8ELNS1_3repE0EEENS1_30default_config_static_selectorELNS0_4arch9wavefront6targetE1EEEvT1_
	.p2align	8
	.type	_ZN7rocprim17ROCPRIM_400000_NS6detail17trampoline_kernelINS0_14default_configENS1_25transform_config_selectorIyLb1EEEZNS1_14transform_implILb1ES3_S5_PyS7_NS0_8identityIyEEEE10hipError_tT2_T3_mT4_P12ihipStream_tbEUlT_E_NS1_11comp_targetILNS1_3genE4ELNS1_11target_archE910ELNS1_3gpuE8ELNS1_3repE0EEENS1_30default_config_static_selectorELNS0_4arch9wavefront6targetE1EEEvT1_,@function
_ZN7rocprim17ROCPRIM_400000_NS6detail17trampoline_kernelINS0_14default_configENS1_25transform_config_selectorIyLb1EEEZNS1_14transform_implILb1ES3_S5_PyS7_NS0_8identityIyEEEE10hipError_tT2_T3_mT4_P12ihipStream_tbEUlT_E_NS1_11comp_targetILNS1_3genE4ELNS1_11target_archE910ELNS1_3gpuE8ELNS1_3repE0EEENS1_30default_config_static_selectorELNS0_4arch9wavefront6targetE1EEEvT1_: ; @_ZN7rocprim17ROCPRIM_400000_NS6detail17trampoline_kernelINS0_14default_configENS1_25transform_config_selectorIyLb1EEEZNS1_14transform_implILb1ES3_S5_PyS7_NS0_8identityIyEEEE10hipError_tT2_T3_mT4_P12ihipStream_tbEUlT_E_NS1_11comp_targetILNS1_3genE4ELNS1_11target_archE910ELNS1_3gpuE8ELNS1_3repE0EEENS1_30default_config_static_selectorELNS0_4arch9wavefront6targetE1EEEvT1_
; %bb.0:
	s_load_dwordx8 s[8:15], s[4:5], 0x0
	s_load_dword s2, s[4:5], 0x28
	s_waitcnt lgkmcnt(0)
	s_lshl_b64 s[0:1], s[10:11], 3
	s_add_u32 s4, s8, s0
	s_addc_u32 s5, s9, s1
	s_add_u32 s8, s14, s0
	s_addc_u32 s9, s15, s1
	s_lshl_b32 s0, s6, 11
	s_mov_b32 s1, 0
	s_add_i32 s7, s2, -1
	s_lshl_b64 s[2:3], s[0:1], 3
	s_add_u32 s4, s4, s2
	s_addc_u32 s5, s5, s3
	s_cmp_lg_u32 s6, s7
	s_mov_b64 s[6:7], -1
	s_cbranch_scc0 .LBB1153_2
; %bb.1:
	v_lshlrev_b32_e32 v1, 4, v0
	global_load_dwordx4 v[2:5], v1, s[4:5]
	s_add_u32 s6, s8, s2
	s_addc_u32 s7, s9, s3
	s_waitcnt vmcnt(0)
	global_store_dwordx4 v1, v[2:5], s[6:7]
	s_mov_b64 s[6:7], 0
.LBB1153_2:
	s_andn2_b64 vcc, exec, s[6:7]
	s_cbranch_vccnz .LBB1153_11
; %bb.3:
	s_sub_i32 s6, s12, s0
	v_cmp_gt_u32_e32 vcc, s6, v0
	v_lshlrev_b32_e32 v1, 3, v0
                                        ; implicit-def: $vgpr2_vgpr3_vgpr4_vgpr5
	s_and_saveexec_b64 s[0:1], vcc
	s_cbranch_execz .LBB1153_5
; %bb.4:
	global_load_dwordx2 v[2:3], v1, s[4:5]
.LBB1153_5:
	s_or_b64 exec, exec, s[0:1]
	v_or_b32_e32 v0, 0x400, v0
	v_cmp_gt_u32_e64 s[0:1], s6, v0
	s_and_saveexec_b64 s[6:7], s[0:1]
	s_cbranch_execz .LBB1153_7
; %bb.6:
	v_lshlrev_b32_e32 v0, 3, v0
	global_load_dwordx2 v[4:5], v0, s[4:5]
.LBB1153_7:
	s_or_b64 exec, exec, s[6:7]
	s_add_u32 s2, s8, s2
	s_addc_u32 s3, s9, s3
	v_mov_b32_e32 v6, s3
	v_add_co_u32_e64 v0, s[2:3], s2, v1
	v_addc_co_u32_e64 v1, s[2:3], 0, v6, s[2:3]
	s_and_saveexec_b64 s[2:3], vcc
	s_cbranch_execz .LBB1153_9
; %bb.8:
	s_waitcnt vmcnt(0)
	global_store_dwordx2 v[0:1], v[2:3], off
.LBB1153_9:
	s_or_b64 exec, exec, s[2:3]
	s_and_saveexec_b64 s[2:3], s[0:1]
	s_cbranch_execz .LBB1153_11
; %bb.10:
	v_add_co_u32_e32 v0, vcc, 0x2000, v0
	v_addc_co_u32_e32 v1, vcc, 0, v1, vcc
	s_waitcnt vmcnt(0)
	global_store_dwordx2 v[0:1], v[4:5], off
.LBB1153_11:
	s_endpgm
	.section	.rodata,"a",@progbits
	.p2align	6, 0x0
	.amdhsa_kernel _ZN7rocprim17ROCPRIM_400000_NS6detail17trampoline_kernelINS0_14default_configENS1_25transform_config_selectorIyLb1EEEZNS1_14transform_implILb1ES3_S5_PyS7_NS0_8identityIyEEEE10hipError_tT2_T3_mT4_P12ihipStream_tbEUlT_E_NS1_11comp_targetILNS1_3genE4ELNS1_11target_archE910ELNS1_3gpuE8ELNS1_3repE0EEENS1_30default_config_static_selectorELNS0_4arch9wavefront6targetE1EEEvT1_
		.amdhsa_group_segment_fixed_size 0
		.amdhsa_private_segment_fixed_size 0
		.amdhsa_kernarg_size 296
		.amdhsa_user_sgpr_count 6
		.amdhsa_user_sgpr_private_segment_buffer 1
		.amdhsa_user_sgpr_dispatch_ptr 0
		.amdhsa_user_sgpr_queue_ptr 0
		.amdhsa_user_sgpr_kernarg_segment_ptr 1
		.amdhsa_user_sgpr_dispatch_id 0
		.amdhsa_user_sgpr_flat_scratch_init 0
		.amdhsa_user_sgpr_kernarg_preload_length 0
		.amdhsa_user_sgpr_kernarg_preload_offset 0
		.amdhsa_user_sgpr_private_segment_size 0
		.amdhsa_uses_dynamic_stack 0
		.amdhsa_system_sgpr_private_segment_wavefront_offset 0
		.amdhsa_system_sgpr_workgroup_id_x 1
		.amdhsa_system_sgpr_workgroup_id_y 0
		.amdhsa_system_sgpr_workgroup_id_z 0
		.amdhsa_system_sgpr_workgroup_info 0
		.amdhsa_system_vgpr_workitem_id 0
		.amdhsa_next_free_vgpr 7
		.amdhsa_next_free_sgpr 16
		.amdhsa_accum_offset 8
		.amdhsa_reserve_vcc 1
		.amdhsa_reserve_flat_scratch 0
		.amdhsa_float_round_mode_32 0
		.amdhsa_float_round_mode_16_64 0
		.amdhsa_float_denorm_mode_32 3
		.amdhsa_float_denorm_mode_16_64 3
		.amdhsa_dx10_clamp 1
		.amdhsa_ieee_mode 1
		.amdhsa_fp16_overflow 0
		.amdhsa_tg_split 0
		.amdhsa_exception_fp_ieee_invalid_op 0
		.amdhsa_exception_fp_denorm_src 0
		.amdhsa_exception_fp_ieee_div_zero 0
		.amdhsa_exception_fp_ieee_overflow 0
		.amdhsa_exception_fp_ieee_underflow 0
		.amdhsa_exception_fp_ieee_inexact 0
		.amdhsa_exception_int_div_zero 0
	.end_amdhsa_kernel
	.section	.text._ZN7rocprim17ROCPRIM_400000_NS6detail17trampoline_kernelINS0_14default_configENS1_25transform_config_selectorIyLb1EEEZNS1_14transform_implILb1ES3_S5_PyS7_NS0_8identityIyEEEE10hipError_tT2_T3_mT4_P12ihipStream_tbEUlT_E_NS1_11comp_targetILNS1_3genE4ELNS1_11target_archE910ELNS1_3gpuE8ELNS1_3repE0EEENS1_30default_config_static_selectorELNS0_4arch9wavefront6targetE1EEEvT1_,"axG",@progbits,_ZN7rocprim17ROCPRIM_400000_NS6detail17trampoline_kernelINS0_14default_configENS1_25transform_config_selectorIyLb1EEEZNS1_14transform_implILb1ES3_S5_PyS7_NS0_8identityIyEEEE10hipError_tT2_T3_mT4_P12ihipStream_tbEUlT_E_NS1_11comp_targetILNS1_3genE4ELNS1_11target_archE910ELNS1_3gpuE8ELNS1_3repE0EEENS1_30default_config_static_selectorELNS0_4arch9wavefront6targetE1EEEvT1_,comdat
.Lfunc_end1153:
	.size	_ZN7rocprim17ROCPRIM_400000_NS6detail17trampoline_kernelINS0_14default_configENS1_25transform_config_selectorIyLb1EEEZNS1_14transform_implILb1ES3_S5_PyS7_NS0_8identityIyEEEE10hipError_tT2_T3_mT4_P12ihipStream_tbEUlT_E_NS1_11comp_targetILNS1_3genE4ELNS1_11target_archE910ELNS1_3gpuE8ELNS1_3repE0EEENS1_30default_config_static_selectorELNS0_4arch9wavefront6targetE1EEEvT1_, .Lfunc_end1153-_ZN7rocprim17ROCPRIM_400000_NS6detail17trampoline_kernelINS0_14default_configENS1_25transform_config_selectorIyLb1EEEZNS1_14transform_implILb1ES3_S5_PyS7_NS0_8identityIyEEEE10hipError_tT2_T3_mT4_P12ihipStream_tbEUlT_E_NS1_11comp_targetILNS1_3genE4ELNS1_11target_archE910ELNS1_3gpuE8ELNS1_3repE0EEENS1_30default_config_static_selectorELNS0_4arch9wavefront6targetE1EEEvT1_
                                        ; -- End function
	.section	.AMDGPU.csdata,"",@progbits
; Kernel info:
; codeLenInByte = 280
; NumSgprs: 20
; NumVgprs: 7
; NumAgprs: 0
; TotalNumVgprs: 7
; ScratchSize: 0
; MemoryBound: 1
; FloatMode: 240
; IeeeMode: 1
; LDSByteSize: 0 bytes/workgroup (compile time only)
; SGPRBlocks: 2
; VGPRBlocks: 0
; NumSGPRsForWavesPerEU: 20
; NumVGPRsForWavesPerEU: 7
; AccumOffset: 8
; Occupancy: 8
; WaveLimiterHint : 0
; COMPUTE_PGM_RSRC2:SCRATCH_EN: 0
; COMPUTE_PGM_RSRC2:USER_SGPR: 6
; COMPUTE_PGM_RSRC2:TRAP_HANDLER: 0
; COMPUTE_PGM_RSRC2:TGID_X_EN: 1
; COMPUTE_PGM_RSRC2:TGID_Y_EN: 0
; COMPUTE_PGM_RSRC2:TGID_Z_EN: 0
; COMPUTE_PGM_RSRC2:TIDIG_COMP_CNT: 0
; COMPUTE_PGM_RSRC3_GFX90A:ACCUM_OFFSET: 1
; COMPUTE_PGM_RSRC3_GFX90A:TG_SPLIT: 0
	.section	.text._ZN7rocprim17ROCPRIM_400000_NS6detail17trampoline_kernelINS0_14default_configENS1_25transform_config_selectorIyLb1EEEZNS1_14transform_implILb1ES3_S5_PyS7_NS0_8identityIyEEEE10hipError_tT2_T3_mT4_P12ihipStream_tbEUlT_E_NS1_11comp_targetILNS1_3genE3ELNS1_11target_archE908ELNS1_3gpuE7ELNS1_3repE0EEENS1_30default_config_static_selectorELNS0_4arch9wavefront6targetE1EEEvT1_,"axG",@progbits,_ZN7rocprim17ROCPRIM_400000_NS6detail17trampoline_kernelINS0_14default_configENS1_25transform_config_selectorIyLb1EEEZNS1_14transform_implILb1ES3_S5_PyS7_NS0_8identityIyEEEE10hipError_tT2_T3_mT4_P12ihipStream_tbEUlT_E_NS1_11comp_targetILNS1_3genE3ELNS1_11target_archE908ELNS1_3gpuE7ELNS1_3repE0EEENS1_30default_config_static_selectorELNS0_4arch9wavefront6targetE1EEEvT1_,comdat
	.protected	_ZN7rocprim17ROCPRIM_400000_NS6detail17trampoline_kernelINS0_14default_configENS1_25transform_config_selectorIyLb1EEEZNS1_14transform_implILb1ES3_S5_PyS7_NS0_8identityIyEEEE10hipError_tT2_T3_mT4_P12ihipStream_tbEUlT_E_NS1_11comp_targetILNS1_3genE3ELNS1_11target_archE908ELNS1_3gpuE7ELNS1_3repE0EEENS1_30default_config_static_selectorELNS0_4arch9wavefront6targetE1EEEvT1_ ; -- Begin function _ZN7rocprim17ROCPRIM_400000_NS6detail17trampoline_kernelINS0_14default_configENS1_25transform_config_selectorIyLb1EEEZNS1_14transform_implILb1ES3_S5_PyS7_NS0_8identityIyEEEE10hipError_tT2_T3_mT4_P12ihipStream_tbEUlT_E_NS1_11comp_targetILNS1_3genE3ELNS1_11target_archE908ELNS1_3gpuE7ELNS1_3repE0EEENS1_30default_config_static_selectorELNS0_4arch9wavefront6targetE1EEEvT1_
	.globl	_ZN7rocprim17ROCPRIM_400000_NS6detail17trampoline_kernelINS0_14default_configENS1_25transform_config_selectorIyLb1EEEZNS1_14transform_implILb1ES3_S5_PyS7_NS0_8identityIyEEEE10hipError_tT2_T3_mT4_P12ihipStream_tbEUlT_E_NS1_11comp_targetILNS1_3genE3ELNS1_11target_archE908ELNS1_3gpuE7ELNS1_3repE0EEENS1_30default_config_static_selectorELNS0_4arch9wavefront6targetE1EEEvT1_
	.p2align	8
	.type	_ZN7rocprim17ROCPRIM_400000_NS6detail17trampoline_kernelINS0_14default_configENS1_25transform_config_selectorIyLb1EEEZNS1_14transform_implILb1ES3_S5_PyS7_NS0_8identityIyEEEE10hipError_tT2_T3_mT4_P12ihipStream_tbEUlT_E_NS1_11comp_targetILNS1_3genE3ELNS1_11target_archE908ELNS1_3gpuE7ELNS1_3repE0EEENS1_30default_config_static_selectorELNS0_4arch9wavefront6targetE1EEEvT1_,@function
_ZN7rocprim17ROCPRIM_400000_NS6detail17trampoline_kernelINS0_14default_configENS1_25transform_config_selectorIyLb1EEEZNS1_14transform_implILb1ES3_S5_PyS7_NS0_8identityIyEEEE10hipError_tT2_T3_mT4_P12ihipStream_tbEUlT_E_NS1_11comp_targetILNS1_3genE3ELNS1_11target_archE908ELNS1_3gpuE7ELNS1_3repE0EEENS1_30default_config_static_selectorELNS0_4arch9wavefront6targetE1EEEvT1_: ; @_ZN7rocprim17ROCPRIM_400000_NS6detail17trampoline_kernelINS0_14default_configENS1_25transform_config_selectorIyLb1EEEZNS1_14transform_implILb1ES3_S5_PyS7_NS0_8identityIyEEEE10hipError_tT2_T3_mT4_P12ihipStream_tbEUlT_E_NS1_11comp_targetILNS1_3genE3ELNS1_11target_archE908ELNS1_3gpuE7ELNS1_3repE0EEENS1_30default_config_static_selectorELNS0_4arch9wavefront6targetE1EEEvT1_
; %bb.0:
	.section	.rodata,"a",@progbits
	.p2align	6, 0x0
	.amdhsa_kernel _ZN7rocprim17ROCPRIM_400000_NS6detail17trampoline_kernelINS0_14default_configENS1_25transform_config_selectorIyLb1EEEZNS1_14transform_implILb1ES3_S5_PyS7_NS0_8identityIyEEEE10hipError_tT2_T3_mT4_P12ihipStream_tbEUlT_E_NS1_11comp_targetILNS1_3genE3ELNS1_11target_archE908ELNS1_3gpuE7ELNS1_3repE0EEENS1_30default_config_static_selectorELNS0_4arch9wavefront6targetE1EEEvT1_
		.amdhsa_group_segment_fixed_size 0
		.amdhsa_private_segment_fixed_size 0
		.amdhsa_kernarg_size 40
		.amdhsa_user_sgpr_count 6
		.amdhsa_user_sgpr_private_segment_buffer 1
		.amdhsa_user_sgpr_dispatch_ptr 0
		.amdhsa_user_sgpr_queue_ptr 0
		.amdhsa_user_sgpr_kernarg_segment_ptr 1
		.amdhsa_user_sgpr_dispatch_id 0
		.amdhsa_user_sgpr_flat_scratch_init 0
		.amdhsa_user_sgpr_kernarg_preload_length 0
		.amdhsa_user_sgpr_kernarg_preload_offset 0
		.amdhsa_user_sgpr_private_segment_size 0
		.amdhsa_uses_dynamic_stack 0
		.amdhsa_system_sgpr_private_segment_wavefront_offset 0
		.amdhsa_system_sgpr_workgroup_id_x 1
		.amdhsa_system_sgpr_workgroup_id_y 0
		.amdhsa_system_sgpr_workgroup_id_z 0
		.amdhsa_system_sgpr_workgroup_info 0
		.amdhsa_system_vgpr_workitem_id 0
		.amdhsa_next_free_vgpr 1
		.amdhsa_next_free_sgpr 0
		.amdhsa_accum_offset 4
		.amdhsa_reserve_vcc 0
		.amdhsa_reserve_flat_scratch 0
		.amdhsa_float_round_mode_32 0
		.amdhsa_float_round_mode_16_64 0
		.amdhsa_float_denorm_mode_32 3
		.amdhsa_float_denorm_mode_16_64 3
		.amdhsa_dx10_clamp 1
		.amdhsa_ieee_mode 1
		.amdhsa_fp16_overflow 0
		.amdhsa_tg_split 0
		.amdhsa_exception_fp_ieee_invalid_op 0
		.amdhsa_exception_fp_denorm_src 0
		.amdhsa_exception_fp_ieee_div_zero 0
		.amdhsa_exception_fp_ieee_overflow 0
		.amdhsa_exception_fp_ieee_underflow 0
		.amdhsa_exception_fp_ieee_inexact 0
		.amdhsa_exception_int_div_zero 0
	.end_amdhsa_kernel
	.section	.text._ZN7rocprim17ROCPRIM_400000_NS6detail17trampoline_kernelINS0_14default_configENS1_25transform_config_selectorIyLb1EEEZNS1_14transform_implILb1ES3_S5_PyS7_NS0_8identityIyEEEE10hipError_tT2_T3_mT4_P12ihipStream_tbEUlT_E_NS1_11comp_targetILNS1_3genE3ELNS1_11target_archE908ELNS1_3gpuE7ELNS1_3repE0EEENS1_30default_config_static_selectorELNS0_4arch9wavefront6targetE1EEEvT1_,"axG",@progbits,_ZN7rocprim17ROCPRIM_400000_NS6detail17trampoline_kernelINS0_14default_configENS1_25transform_config_selectorIyLb1EEEZNS1_14transform_implILb1ES3_S5_PyS7_NS0_8identityIyEEEE10hipError_tT2_T3_mT4_P12ihipStream_tbEUlT_E_NS1_11comp_targetILNS1_3genE3ELNS1_11target_archE908ELNS1_3gpuE7ELNS1_3repE0EEENS1_30default_config_static_selectorELNS0_4arch9wavefront6targetE1EEEvT1_,comdat
.Lfunc_end1154:
	.size	_ZN7rocprim17ROCPRIM_400000_NS6detail17trampoline_kernelINS0_14default_configENS1_25transform_config_selectorIyLb1EEEZNS1_14transform_implILb1ES3_S5_PyS7_NS0_8identityIyEEEE10hipError_tT2_T3_mT4_P12ihipStream_tbEUlT_E_NS1_11comp_targetILNS1_3genE3ELNS1_11target_archE908ELNS1_3gpuE7ELNS1_3repE0EEENS1_30default_config_static_selectorELNS0_4arch9wavefront6targetE1EEEvT1_, .Lfunc_end1154-_ZN7rocprim17ROCPRIM_400000_NS6detail17trampoline_kernelINS0_14default_configENS1_25transform_config_selectorIyLb1EEEZNS1_14transform_implILb1ES3_S5_PyS7_NS0_8identityIyEEEE10hipError_tT2_T3_mT4_P12ihipStream_tbEUlT_E_NS1_11comp_targetILNS1_3genE3ELNS1_11target_archE908ELNS1_3gpuE7ELNS1_3repE0EEENS1_30default_config_static_selectorELNS0_4arch9wavefront6targetE1EEEvT1_
                                        ; -- End function
	.section	.AMDGPU.csdata,"",@progbits
; Kernel info:
; codeLenInByte = 0
; NumSgprs: 4
; NumVgprs: 0
; NumAgprs: 0
; TotalNumVgprs: 0
; ScratchSize: 0
; MemoryBound: 0
; FloatMode: 240
; IeeeMode: 1
; LDSByteSize: 0 bytes/workgroup (compile time only)
; SGPRBlocks: 0
; VGPRBlocks: 0
; NumSGPRsForWavesPerEU: 4
; NumVGPRsForWavesPerEU: 1
; AccumOffset: 4
; Occupancy: 8
; WaveLimiterHint : 0
; COMPUTE_PGM_RSRC2:SCRATCH_EN: 0
; COMPUTE_PGM_RSRC2:USER_SGPR: 6
; COMPUTE_PGM_RSRC2:TRAP_HANDLER: 0
; COMPUTE_PGM_RSRC2:TGID_X_EN: 1
; COMPUTE_PGM_RSRC2:TGID_Y_EN: 0
; COMPUTE_PGM_RSRC2:TGID_Z_EN: 0
; COMPUTE_PGM_RSRC2:TIDIG_COMP_CNT: 0
; COMPUTE_PGM_RSRC3_GFX90A:ACCUM_OFFSET: 0
; COMPUTE_PGM_RSRC3_GFX90A:TG_SPLIT: 0
	.section	.text._ZN7rocprim17ROCPRIM_400000_NS6detail17trampoline_kernelINS0_14default_configENS1_25transform_config_selectorIyLb1EEEZNS1_14transform_implILb1ES3_S5_PyS7_NS0_8identityIyEEEE10hipError_tT2_T3_mT4_P12ihipStream_tbEUlT_E_NS1_11comp_targetILNS1_3genE2ELNS1_11target_archE906ELNS1_3gpuE6ELNS1_3repE0EEENS1_30default_config_static_selectorELNS0_4arch9wavefront6targetE1EEEvT1_,"axG",@progbits,_ZN7rocprim17ROCPRIM_400000_NS6detail17trampoline_kernelINS0_14default_configENS1_25transform_config_selectorIyLb1EEEZNS1_14transform_implILb1ES3_S5_PyS7_NS0_8identityIyEEEE10hipError_tT2_T3_mT4_P12ihipStream_tbEUlT_E_NS1_11comp_targetILNS1_3genE2ELNS1_11target_archE906ELNS1_3gpuE6ELNS1_3repE0EEENS1_30default_config_static_selectorELNS0_4arch9wavefront6targetE1EEEvT1_,comdat
	.protected	_ZN7rocprim17ROCPRIM_400000_NS6detail17trampoline_kernelINS0_14default_configENS1_25transform_config_selectorIyLb1EEEZNS1_14transform_implILb1ES3_S5_PyS7_NS0_8identityIyEEEE10hipError_tT2_T3_mT4_P12ihipStream_tbEUlT_E_NS1_11comp_targetILNS1_3genE2ELNS1_11target_archE906ELNS1_3gpuE6ELNS1_3repE0EEENS1_30default_config_static_selectorELNS0_4arch9wavefront6targetE1EEEvT1_ ; -- Begin function _ZN7rocprim17ROCPRIM_400000_NS6detail17trampoline_kernelINS0_14default_configENS1_25transform_config_selectorIyLb1EEEZNS1_14transform_implILb1ES3_S5_PyS7_NS0_8identityIyEEEE10hipError_tT2_T3_mT4_P12ihipStream_tbEUlT_E_NS1_11comp_targetILNS1_3genE2ELNS1_11target_archE906ELNS1_3gpuE6ELNS1_3repE0EEENS1_30default_config_static_selectorELNS0_4arch9wavefront6targetE1EEEvT1_
	.globl	_ZN7rocprim17ROCPRIM_400000_NS6detail17trampoline_kernelINS0_14default_configENS1_25transform_config_selectorIyLb1EEEZNS1_14transform_implILb1ES3_S5_PyS7_NS0_8identityIyEEEE10hipError_tT2_T3_mT4_P12ihipStream_tbEUlT_E_NS1_11comp_targetILNS1_3genE2ELNS1_11target_archE906ELNS1_3gpuE6ELNS1_3repE0EEENS1_30default_config_static_selectorELNS0_4arch9wavefront6targetE1EEEvT1_
	.p2align	8
	.type	_ZN7rocprim17ROCPRIM_400000_NS6detail17trampoline_kernelINS0_14default_configENS1_25transform_config_selectorIyLb1EEEZNS1_14transform_implILb1ES3_S5_PyS7_NS0_8identityIyEEEE10hipError_tT2_T3_mT4_P12ihipStream_tbEUlT_E_NS1_11comp_targetILNS1_3genE2ELNS1_11target_archE906ELNS1_3gpuE6ELNS1_3repE0EEENS1_30default_config_static_selectorELNS0_4arch9wavefront6targetE1EEEvT1_,@function
_ZN7rocprim17ROCPRIM_400000_NS6detail17trampoline_kernelINS0_14default_configENS1_25transform_config_selectorIyLb1EEEZNS1_14transform_implILb1ES3_S5_PyS7_NS0_8identityIyEEEE10hipError_tT2_T3_mT4_P12ihipStream_tbEUlT_E_NS1_11comp_targetILNS1_3genE2ELNS1_11target_archE906ELNS1_3gpuE6ELNS1_3repE0EEENS1_30default_config_static_selectorELNS0_4arch9wavefront6targetE1EEEvT1_: ; @_ZN7rocprim17ROCPRIM_400000_NS6detail17trampoline_kernelINS0_14default_configENS1_25transform_config_selectorIyLb1EEEZNS1_14transform_implILb1ES3_S5_PyS7_NS0_8identityIyEEEE10hipError_tT2_T3_mT4_P12ihipStream_tbEUlT_E_NS1_11comp_targetILNS1_3genE2ELNS1_11target_archE906ELNS1_3gpuE6ELNS1_3repE0EEENS1_30default_config_static_selectorELNS0_4arch9wavefront6targetE1EEEvT1_
; %bb.0:
	.section	.rodata,"a",@progbits
	.p2align	6, 0x0
	.amdhsa_kernel _ZN7rocprim17ROCPRIM_400000_NS6detail17trampoline_kernelINS0_14default_configENS1_25transform_config_selectorIyLb1EEEZNS1_14transform_implILb1ES3_S5_PyS7_NS0_8identityIyEEEE10hipError_tT2_T3_mT4_P12ihipStream_tbEUlT_E_NS1_11comp_targetILNS1_3genE2ELNS1_11target_archE906ELNS1_3gpuE6ELNS1_3repE0EEENS1_30default_config_static_selectorELNS0_4arch9wavefront6targetE1EEEvT1_
		.amdhsa_group_segment_fixed_size 0
		.amdhsa_private_segment_fixed_size 0
		.amdhsa_kernarg_size 40
		.amdhsa_user_sgpr_count 6
		.amdhsa_user_sgpr_private_segment_buffer 1
		.amdhsa_user_sgpr_dispatch_ptr 0
		.amdhsa_user_sgpr_queue_ptr 0
		.amdhsa_user_sgpr_kernarg_segment_ptr 1
		.amdhsa_user_sgpr_dispatch_id 0
		.amdhsa_user_sgpr_flat_scratch_init 0
		.amdhsa_user_sgpr_kernarg_preload_length 0
		.amdhsa_user_sgpr_kernarg_preload_offset 0
		.amdhsa_user_sgpr_private_segment_size 0
		.amdhsa_uses_dynamic_stack 0
		.amdhsa_system_sgpr_private_segment_wavefront_offset 0
		.amdhsa_system_sgpr_workgroup_id_x 1
		.amdhsa_system_sgpr_workgroup_id_y 0
		.amdhsa_system_sgpr_workgroup_id_z 0
		.amdhsa_system_sgpr_workgroup_info 0
		.amdhsa_system_vgpr_workitem_id 0
		.amdhsa_next_free_vgpr 1
		.amdhsa_next_free_sgpr 0
		.amdhsa_accum_offset 4
		.amdhsa_reserve_vcc 0
		.amdhsa_reserve_flat_scratch 0
		.amdhsa_float_round_mode_32 0
		.amdhsa_float_round_mode_16_64 0
		.amdhsa_float_denorm_mode_32 3
		.amdhsa_float_denorm_mode_16_64 3
		.amdhsa_dx10_clamp 1
		.amdhsa_ieee_mode 1
		.amdhsa_fp16_overflow 0
		.amdhsa_tg_split 0
		.amdhsa_exception_fp_ieee_invalid_op 0
		.amdhsa_exception_fp_denorm_src 0
		.amdhsa_exception_fp_ieee_div_zero 0
		.amdhsa_exception_fp_ieee_overflow 0
		.amdhsa_exception_fp_ieee_underflow 0
		.amdhsa_exception_fp_ieee_inexact 0
		.amdhsa_exception_int_div_zero 0
	.end_amdhsa_kernel
	.section	.text._ZN7rocprim17ROCPRIM_400000_NS6detail17trampoline_kernelINS0_14default_configENS1_25transform_config_selectorIyLb1EEEZNS1_14transform_implILb1ES3_S5_PyS7_NS0_8identityIyEEEE10hipError_tT2_T3_mT4_P12ihipStream_tbEUlT_E_NS1_11comp_targetILNS1_3genE2ELNS1_11target_archE906ELNS1_3gpuE6ELNS1_3repE0EEENS1_30default_config_static_selectorELNS0_4arch9wavefront6targetE1EEEvT1_,"axG",@progbits,_ZN7rocprim17ROCPRIM_400000_NS6detail17trampoline_kernelINS0_14default_configENS1_25transform_config_selectorIyLb1EEEZNS1_14transform_implILb1ES3_S5_PyS7_NS0_8identityIyEEEE10hipError_tT2_T3_mT4_P12ihipStream_tbEUlT_E_NS1_11comp_targetILNS1_3genE2ELNS1_11target_archE906ELNS1_3gpuE6ELNS1_3repE0EEENS1_30default_config_static_selectorELNS0_4arch9wavefront6targetE1EEEvT1_,comdat
.Lfunc_end1155:
	.size	_ZN7rocprim17ROCPRIM_400000_NS6detail17trampoline_kernelINS0_14default_configENS1_25transform_config_selectorIyLb1EEEZNS1_14transform_implILb1ES3_S5_PyS7_NS0_8identityIyEEEE10hipError_tT2_T3_mT4_P12ihipStream_tbEUlT_E_NS1_11comp_targetILNS1_3genE2ELNS1_11target_archE906ELNS1_3gpuE6ELNS1_3repE0EEENS1_30default_config_static_selectorELNS0_4arch9wavefront6targetE1EEEvT1_, .Lfunc_end1155-_ZN7rocprim17ROCPRIM_400000_NS6detail17trampoline_kernelINS0_14default_configENS1_25transform_config_selectorIyLb1EEEZNS1_14transform_implILb1ES3_S5_PyS7_NS0_8identityIyEEEE10hipError_tT2_T3_mT4_P12ihipStream_tbEUlT_E_NS1_11comp_targetILNS1_3genE2ELNS1_11target_archE906ELNS1_3gpuE6ELNS1_3repE0EEENS1_30default_config_static_selectorELNS0_4arch9wavefront6targetE1EEEvT1_
                                        ; -- End function
	.section	.AMDGPU.csdata,"",@progbits
; Kernel info:
; codeLenInByte = 0
; NumSgprs: 4
; NumVgprs: 0
; NumAgprs: 0
; TotalNumVgprs: 0
; ScratchSize: 0
; MemoryBound: 0
; FloatMode: 240
; IeeeMode: 1
; LDSByteSize: 0 bytes/workgroup (compile time only)
; SGPRBlocks: 0
; VGPRBlocks: 0
; NumSGPRsForWavesPerEU: 4
; NumVGPRsForWavesPerEU: 1
; AccumOffset: 4
; Occupancy: 8
; WaveLimiterHint : 0
; COMPUTE_PGM_RSRC2:SCRATCH_EN: 0
; COMPUTE_PGM_RSRC2:USER_SGPR: 6
; COMPUTE_PGM_RSRC2:TRAP_HANDLER: 0
; COMPUTE_PGM_RSRC2:TGID_X_EN: 1
; COMPUTE_PGM_RSRC2:TGID_Y_EN: 0
; COMPUTE_PGM_RSRC2:TGID_Z_EN: 0
; COMPUTE_PGM_RSRC2:TIDIG_COMP_CNT: 0
; COMPUTE_PGM_RSRC3_GFX90A:ACCUM_OFFSET: 0
; COMPUTE_PGM_RSRC3_GFX90A:TG_SPLIT: 0
	.section	.text._ZN7rocprim17ROCPRIM_400000_NS6detail17trampoline_kernelINS0_14default_configENS1_25transform_config_selectorIyLb1EEEZNS1_14transform_implILb1ES3_S5_PyS7_NS0_8identityIyEEEE10hipError_tT2_T3_mT4_P12ihipStream_tbEUlT_E_NS1_11comp_targetILNS1_3genE9ELNS1_11target_archE1100ELNS1_3gpuE3ELNS1_3repE0EEENS1_30default_config_static_selectorELNS0_4arch9wavefront6targetE1EEEvT1_,"axG",@progbits,_ZN7rocprim17ROCPRIM_400000_NS6detail17trampoline_kernelINS0_14default_configENS1_25transform_config_selectorIyLb1EEEZNS1_14transform_implILb1ES3_S5_PyS7_NS0_8identityIyEEEE10hipError_tT2_T3_mT4_P12ihipStream_tbEUlT_E_NS1_11comp_targetILNS1_3genE9ELNS1_11target_archE1100ELNS1_3gpuE3ELNS1_3repE0EEENS1_30default_config_static_selectorELNS0_4arch9wavefront6targetE1EEEvT1_,comdat
	.protected	_ZN7rocprim17ROCPRIM_400000_NS6detail17trampoline_kernelINS0_14default_configENS1_25transform_config_selectorIyLb1EEEZNS1_14transform_implILb1ES3_S5_PyS7_NS0_8identityIyEEEE10hipError_tT2_T3_mT4_P12ihipStream_tbEUlT_E_NS1_11comp_targetILNS1_3genE9ELNS1_11target_archE1100ELNS1_3gpuE3ELNS1_3repE0EEENS1_30default_config_static_selectorELNS0_4arch9wavefront6targetE1EEEvT1_ ; -- Begin function _ZN7rocprim17ROCPRIM_400000_NS6detail17trampoline_kernelINS0_14default_configENS1_25transform_config_selectorIyLb1EEEZNS1_14transform_implILb1ES3_S5_PyS7_NS0_8identityIyEEEE10hipError_tT2_T3_mT4_P12ihipStream_tbEUlT_E_NS1_11comp_targetILNS1_3genE9ELNS1_11target_archE1100ELNS1_3gpuE3ELNS1_3repE0EEENS1_30default_config_static_selectorELNS0_4arch9wavefront6targetE1EEEvT1_
	.globl	_ZN7rocprim17ROCPRIM_400000_NS6detail17trampoline_kernelINS0_14default_configENS1_25transform_config_selectorIyLb1EEEZNS1_14transform_implILb1ES3_S5_PyS7_NS0_8identityIyEEEE10hipError_tT2_T3_mT4_P12ihipStream_tbEUlT_E_NS1_11comp_targetILNS1_3genE9ELNS1_11target_archE1100ELNS1_3gpuE3ELNS1_3repE0EEENS1_30default_config_static_selectorELNS0_4arch9wavefront6targetE1EEEvT1_
	.p2align	8
	.type	_ZN7rocprim17ROCPRIM_400000_NS6detail17trampoline_kernelINS0_14default_configENS1_25transform_config_selectorIyLb1EEEZNS1_14transform_implILb1ES3_S5_PyS7_NS0_8identityIyEEEE10hipError_tT2_T3_mT4_P12ihipStream_tbEUlT_E_NS1_11comp_targetILNS1_3genE9ELNS1_11target_archE1100ELNS1_3gpuE3ELNS1_3repE0EEENS1_30default_config_static_selectorELNS0_4arch9wavefront6targetE1EEEvT1_,@function
_ZN7rocprim17ROCPRIM_400000_NS6detail17trampoline_kernelINS0_14default_configENS1_25transform_config_selectorIyLb1EEEZNS1_14transform_implILb1ES3_S5_PyS7_NS0_8identityIyEEEE10hipError_tT2_T3_mT4_P12ihipStream_tbEUlT_E_NS1_11comp_targetILNS1_3genE9ELNS1_11target_archE1100ELNS1_3gpuE3ELNS1_3repE0EEENS1_30default_config_static_selectorELNS0_4arch9wavefront6targetE1EEEvT1_: ; @_ZN7rocprim17ROCPRIM_400000_NS6detail17trampoline_kernelINS0_14default_configENS1_25transform_config_selectorIyLb1EEEZNS1_14transform_implILb1ES3_S5_PyS7_NS0_8identityIyEEEE10hipError_tT2_T3_mT4_P12ihipStream_tbEUlT_E_NS1_11comp_targetILNS1_3genE9ELNS1_11target_archE1100ELNS1_3gpuE3ELNS1_3repE0EEENS1_30default_config_static_selectorELNS0_4arch9wavefront6targetE1EEEvT1_
; %bb.0:
	.section	.rodata,"a",@progbits
	.p2align	6, 0x0
	.amdhsa_kernel _ZN7rocprim17ROCPRIM_400000_NS6detail17trampoline_kernelINS0_14default_configENS1_25transform_config_selectorIyLb1EEEZNS1_14transform_implILb1ES3_S5_PyS7_NS0_8identityIyEEEE10hipError_tT2_T3_mT4_P12ihipStream_tbEUlT_E_NS1_11comp_targetILNS1_3genE9ELNS1_11target_archE1100ELNS1_3gpuE3ELNS1_3repE0EEENS1_30default_config_static_selectorELNS0_4arch9wavefront6targetE1EEEvT1_
		.amdhsa_group_segment_fixed_size 0
		.amdhsa_private_segment_fixed_size 0
		.amdhsa_kernarg_size 40
		.amdhsa_user_sgpr_count 6
		.amdhsa_user_sgpr_private_segment_buffer 1
		.amdhsa_user_sgpr_dispatch_ptr 0
		.amdhsa_user_sgpr_queue_ptr 0
		.amdhsa_user_sgpr_kernarg_segment_ptr 1
		.amdhsa_user_sgpr_dispatch_id 0
		.amdhsa_user_sgpr_flat_scratch_init 0
		.amdhsa_user_sgpr_kernarg_preload_length 0
		.amdhsa_user_sgpr_kernarg_preload_offset 0
		.amdhsa_user_sgpr_private_segment_size 0
		.amdhsa_uses_dynamic_stack 0
		.amdhsa_system_sgpr_private_segment_wavefront_offset 0
		.amdhsa_system_sgpr_workgroup_id_x 1
		.amdhsa_system_sgpr_workgroup_id_y 0
		.amdhsa_system_sgpr_workgroup_id_z 0
		.amdhsa_system_sgpr_workgroup_info 0
		.amdhsa_system_vgpr_workitem_id 0
		.amdhsa_next_free_vgpr 1
		.amdhsa_next_free_sgpr 0
		.amdhsa_accum_offset 4
		.amdhsa_reserve_vcc 0
		.amdhsa_reserve_flat_scratch 0
		.amdhsa_float_round_mode_32 0
		.amdhsa_float_round_mode_16_64 0
		.amdhsa_float_denorm_mode_32 3
		.amdhsa_float_denorm_mode_16_64 3
		.amdhsa_dx10_clamp 1
		.amdhsa_ieee_mode 1
		.amdhsa_fp16_overflow 0
		.amdhsa_tg_split 0
		.amdhsa_exception_fp_ieee_invalid_op 0
		.amdhsa_exception_fp_denorm_src 0
		.amdhsa_exception_fp_ieee_div_zero 0
		.amdhsa_exception_fp_ieee_overflow 0
		.amdhsa_exception_fp_ieee_underflow 0
		.amdhsa_exception_fp_ieee_inexact 0
		.amdhsa_exception_int_div_zero 0
	.end_amdhsa_kernel
	.section	.text._ZN7rocprim17ROCPRIM_400000_NS6detail17trampoline_kernelINS0_14default_configENS1_25transform_config_selectorIyLb1EEEZNS1_14transform_implILb1ES3_S5_PyS7_NS0_8identityIyEEEE10hipError_tT2_T3_mT4_P12ihipStream_tbEUlT_E_NS1_11comp_targetILNS1_3genE9ELNS1_11target_archE1100ELNS1_3gpuE3ELNS1_3repE0EEENS1_30default_config_static_selectorELNS0_4arch9wavefront6targetE1EEEvT1_,"axG",@progbits,_ZN7rocprim17ROCPRIM_400000_NS6detail17trampoline_kernelINS0_14default_configENS1_25transform_config_selectorIyLb1EEEZNS1_14transform_implILb1ES3_S5_PyS7_NS0_8identityIyEEEE10hipError_tT2_T3_mT4_P12ihipStream_tbEUlT_E_NS1_11comp_targetILNS1_3genE9ELNS1_11target_archE1100ELNS1_3gpuE3ELNS1_3repE0EEENS1_30default_config_static_selectorELNS0_4arch9wavefront6targetE1EEEvT1_,comdat
.Lfunc_end1156:
	.size	_ZN7rocprim17ROCPRIM_400000_NS6detail17trampoline_kernelINS0_14default_configENS1_25transform_config_selectorIyLb1EEEZNS1_14transform_implILb1ES3_S5_PyS7_NS0_8identityIyEEEE10hipError_tT2_T3_mT4_P12ihipStream_tbEUlT_E_NS1_11comp_targetILNS1_3genE9ELNS1_11target_archE1100ELNS1_3gpuE3ELNS1_3repE0EEENS1_30default_config_static_selectorELNS0_4arch9wavefront6targetE1EEEvT1_, .Lfunc_end1156-_ZN7rocprim17ROCPRIM_400000_NS6detail17trampoline_kernelINS0_14default_configENS1_25transform_config_selectorIyLb1EEEZNS1_14transform_implILb1ES3_S5_PyS7_NS0_8identityIyEEEE10hipError_tT2_T3_mT4_P12ihipStream_tbEUlT_E_NS1_11comp_targetILNS1_3genE9ELNS1_11target_archE1100ELNS1_3gpuE3ELNS1_3repE0EEENS1_30default_config_static_selectorELNS0_4arch9wavefront6targetE1EEEvT1_
                                        ; -- End function
	.section	.AMDGPU.csdata,"",@progbits
; Kernel info:
; codeLenInByte = 0
; NumSgprs: 4
; NumVgprs: 0
; NumAgprs: 0
; TotalNumVgprs: 0
; ScratchSize: 0
; MemoryBound: 0
; FloatMode: 240
; IeeeMode: 1
; LDSByteSize: 0 bytes/workgroup (compile time only)
; SGPRBlocks: 0
; VGPRBlocks: 0
; NumSGPRsForWavesPerEU: 4
; NumVGPRsForWavesPerEU: 1
; AccumOffset: 4
; Occupancy: 8
; WaveLimiterHint : 0
; COMPUTE_PGM_RSRC2:SCRATCH_EN: 0
; COMPUTE_PGM_RSRC2:USER_SGPR: 6
; COMPUTE_PGM_RSRC2:TRAP_HANDLER: 0
; COMPUTE_PGM_RSRC2:TGID_X_EN: 1
; COMPUTE_PGM_RSRC2:TGID_Y_EN: 0
; COMPUTE_PGM_RSRC2:TGID_Z_EN: 0
; COMPUTE_PGM_RSRC2:TIDIG_COMP_CNT: 0
; COMPUTE_PGM_RSRC3_GFX90A:ACCUM_OFFSET: 0
; COMPUTE_PGM_RSRC3_GFX90A:TG_SPLIT: 0
	.section	.text._ZN7rocprim17ROCPRIM_400000_NS6detail17trampoline_kernelINS0_14default_configENS1_25transform_config_selectorIyLb1EEEZNS1_14transform_implILb1ES3_S5_PyS7_NS0_8identityIyEEEE10hipError_tT2_T3_mT4_P12ihipStream_tbEUlT_E_NS1_11comp_targetILNS1_3genE8ELNS1_11target_archE1030ELNS1_3gpuE2ELNS1_3repE0EEENS1_30default_config_static_selectorELNS0_4arch9wavefront6targetE1EEEvT1_,"axG",@progbits,_ZN7rocprim17ROCPRIM_400000_NS6detail17trampoline_kernelINS0_14default_configENS1_25transform_config_selectorIyLb1EEEZNS1_14transform_implILb1ES3_S5_PyS7_NS0_8identityIyEEEE10hipError_tT2_T3_mT4_P12ihipStream_tbEUlT_E_NS1_11comp_targetILNS1_3genE8ELNS1_11target_archE1030ELNS1_3gpuE2ELNS1_3repE0EEENS1_30default_config_static_selectorELNS0_4arch9wavefront6targetE1EEEvT1_,comdat
	.protected	_ZN7rocprim17ROCPRIM_400000_NS6detail17trampoline_kernelINS0_14default_configENS1_25transform_config_selectorIyLb1EEEZNS1_14transform_implILb1ES3_S5_PyS7_NS0_8identityIyEEEE10hipError_tT2_T3_mT4_P12ihipStream_tbEUlT_E_NS1_11comp_targetILNS1_3genE8ELNS1_11target_archE1030ELNS1_3gpuE2ELNS1_3repE0EEENS1_30default_config_static_selectorELNS0_4arch9wavefront6targetE1EEEvT1_ ; -- Begin function _ZN7rocprim17ROCPRIM_400000_NS6detail17trampoline_kernelINS0_14default_configENS1_25transform_config_selectorIyLb1EEEZNS1_14transform_implILb1ES3_S5_PyS7_NS0_8identityIyEEEE10hipError_tT2_T3_mT4_P12ihipStream_tbEUlT_E_NS1_11comp_targetILNS1_3genE8ELNS1_11target_archE1030ELNS1_3gpuE2ELNS1_3repE0EEENS1_30default_config_static_selectorELNS0_4arch9wavefront6targetE1EEEvT1_
	.globl	_ZN7rocprim17ROCPRIM_400000_NS6detail17trampoline_kernelINS0_14default_configENS1_25transform_config_selectorIyLb1EEEZNS1_14transform_implILb1ES3_S5_PyS7_NS0_8identityIyEEEE10hipError_tT2_T3_mT4_P12ihipStream_tbEUlT_E_NS1_11comp_targetILNS1_3genE8ELNS1_11target_archE1030ELNS1_3gpuE2ELNS1_3repE0EEENS1_30default_config_static_selectorELNS0_4arch9wavefront6targetE1EEEvT1_
	.p2align	8
	.type	_ZN7rocprim17ROCPRIM_400000_NS6detail17trampoline_kernelINS0_14default_configENS1_25transform_config_selectorIyLb1EEEZNS1_14transform_implILb1ES3_S5_PyS7_NS0_8identityIyEEEE10hipError_tT2_T3_mT4_P12ihipStream_tbEUlT_E_NS1_11comp_targetILNS1_3genE8ELNS1_11target_archE1030ELNS1_3gpuE2ELNS1_3repE0EEENS1_30default_config_static_selectorELNS0_4arch9wavefront6targetE1EEEvT1_,@function
_ZN7rocprim17ROCPRIM_400000_NS6detail17trampoline_kernelINS0_14default_configENS1_25transform_config_selectorIyLb1EEEZNS1_14transform_implILb1ES3_S5_PyS7_NS0_8identityIyEEEE10hipError_tT2_T3_mT4_P12ihipStream_tbEUlT_E_NS1_11comp_targetILNS1_3genE8ELNS1_11target_archE1030ELNS1_3gpuE2ELNS1_3repE0EEENS1_30default_config_static_selectorELNS0_4arch9wavefront6targetE1EEEvT1_: ; @_ZN7rocprim17ROCPRIM_400000_NS6detail17trampoline_kernelINS0_14default_configENS1_25transform_config_selectorIyLb1EEEZNS1_14transform_implILb1ES3_S5_PyS7_NS0_8identityIyEEEE10hipError_tT2_T3_mT4_P12ihipStream_tbEUlT_E_NS1_11comp_targetILNS1_3genE8ELNS1_11target_archE1030ELNS1_3gpuE2ELNS1_3repE0EEENS1_30default_config_static_selectorELNS0_4arch9wavefront6targetE1EEEvT1_
; %bb.0:
	.section	.rodata,"a",@progbits
	.p2align	6, 0x0
	.amdhsa_kernel _ZN7rocprim17ROCPRIM_400000_NS6detail17trampoline_kernelINS0_14default_configENS1_25transform_config_selectorIyLb1EEEZNS1_14transform_implILb1ES3_S5_PyS7_NS0_8identityIyEEEE10hipError_tT2_T3_mT4_P12ihipStream_tbEUlT_E_NS1_11comp_targetILNS1_3genE8ELNS1_11target_archE1030ELNS1_3gpuE2ELNS1_3repE0EEENS1_30default_config_static_selectorELNS0_4arch9wavefront6targetE1EEEvT1_
		.amdhsa_group_segment_fixed_size 0
		.amdhsa_private_segment_fixed_size 0
		.amdhsa_kernarg_size 40
		.amdhsa_user_sgpr_count 6
		.amdhsa_user_sgpr_private_segment_buffer 1
		.amdhsa_user_sgpr_dispatch_ptr 0
		.amdhsa_user_sgpr_queue_ptr 0
		.amdhsa_user_sgpr_kernarg_segment_ptr 1
		.amdhsa_user_sgpr_dispatch_id 0
		.amdhsa_user_sgpr_flat_scratch_init 0
		.amdhsa_user_sgpr_kernarg_preload_length 0
		.amdhsa_user_sgpr_kernarg_preload_offset 0
		.amdhsa_user_sgpr_private_segment_size 0
		.amdhsa_uses_dynamic_stack 0
		.amdhsa_system_sgpr_private_segment_wavefront_offset 0
		.amdhsa_system_sgpr_workgroup_id_x 1
		.amdhsa_system_sgpr_workgroup_id_y 0
		.amdhsa_system_sgpr_workgroup_id_z 0
		.amdhsa_system_sgpr_workgroup_info 0
		.amdhsa_system_vgpr_workitem_id 0
		.amdhsa_next_free_vgpr 1
		.amdhsa_next_free_sgpr 0
		.amdhsa_accum_offset 4
		.amdhsa_reserve_vcc 0
		.amdhsa_reserve_flat_scratch 0
		.amdhsa_float_round_mode_32 0
		.amdhsa_float_round_mode_16_64 0
		.amdhsa_float_denorm_mode_32 3
		.amdhsa_float_denorm_mode_16_64 3
		.amdhsa_dx10_clamp 1
		.amdhsa_ieee_mode 1
		.amdhsa_fp16_overflow 0
		.amdhsa_tg_split 0
		.amdhsa_exception_fp_ieee_invalid_op 0
		.amdhsa_exception_fp_denorm_src 0
		.amdhsa_exception_fp_ieee_div_zero 0
		.amdhsa_exception_fp_ieee_overflow 0
		.amdhsa_exception_fp_ieee_underflow 0
		.amdhsa_exception_fp_ieee_inexact 0
		.amdhsa_exception_int_div_zero 0
	.end_amdhsa_kernel
	.section	.text._ZN7rocprim17ROCPRIM_400000_NS6detail17trampoline_kernelINS0_14default_configENS1_25transform_config_selectorIyLb1EEEZNS1_14transform_implILb1ES3_S5_PyS7_NS0_8identityIyEEEE10hipError_tT2_T3_mT4_P12ihipStream_tbEUlT_E_NS1_11comp_targetILNS1_3genE8ELNS1_11target_archE1030ELNS1_3gpuE2ELNS1_3repE0EEENS1_30default_config_static_selectorELNS0_4arch9wavefront6targetE1EEEvT1_,"axG",@progbits,_ZN7rocprim17ROCPRIM_400000_NS6detail17trampoline_kernelINS0_14default_configENS1_25transform_config_selectorIyLb1EEEZNS1_14transform_implILb1ES3_S5_PyS7_NS0_8identityIyEEEE10hipError_tT2_T3_mT4_P12ihipStream_tbEUlT_E_NS1_11comp_targetILNS1_3genE8ELNS1_11target_archE1030ELNS1_3gpuE2ELNS1_3repE0EEENS1_30default_config_static_selectorELNS0_4arch9wavefront6targetE1EEEvT1_,comdat
.Lfunc_end1157:
	.size	_ZN7rocprim17ROCPRIM_400000_NS6detail17trampoline_kernelINS0_14default_configENS1_25transform_config_selectorIyLb1EEEZNS1_14transform_implILb1ES3_S5_PyS7_NS0_8identityIyEEEE10hipError_tT2_T3_mT4_P12ihipStream_tbEUlT_E_NS1_11comp_targetILNS1_3genE8ELNS1_11target_archE1030ELNS1_3gpuE2ELNS1_3repE0EEENS1_30default_config_static_selectorELNS0_4arch9wavefront6targetE1EEEvT1_, .Lfunc_end1157-_ZN7rocprim17ROCPRIM_400000_NS6detail17trampoline_kernelINS0_14default_configENS1_25transform_config_selectorIyLb1EEEZNS1_14transform_implILb1ES3_S5_PyS7_NS0_8identityIyEEEE10hipError_tT2_T3_mT4_P12ihipStream_tbEUlT_E_NS1_11comp_targetILNS1_3genE8ELNS1_11target_archE1030ELNS1_3gpuE2ELNS1_3repE0EEENS1_30default_config_static_selectorELNS0_4arch9wavefront6targetE1EEEvT1_
                                        ; -- End function
	.section	.AMDGPU.csdata,"",@progbits
; Kernel info:
; codeLenInByte = 0
; NumSgprs: 4
; NumVgprs: 0
; NumAgprs: 0
; TotalNumVgprs: 0
; ScratchSize: 0
; MemoryBound: 0
; FloatMode: 240
; IeeeMode: 1
; LDSByteSize: 0 bytes/workgroup (compile time only)
; SGPRBlocks: 0
; VGPRBlocks: 0
; NumSGPRsForWavesPerEU: 4
; NumVGPRsForWavesPerEU: 1
; AccumOffset: 4
; Occupancy: 8
; WaveLimiterHint : 0
; COMPUTE_PGM_RSRC2:SCRATCH_EN: 0
; COMPUTE_PGM_RSRC2:USER_SGPR: 6
; COMPUTE_PGM_RSRC2:TRAP_HANDLER: 0
; COMPUTE_PGM_RSRC2:TGID_X_EN: 1
; COMPUTE_PGM_RSRC2:TGID_Y_EN: 0
; COMPUTE_PGM_RSRC2:TGID_Z_EN: 0
; COMPUTE_PGM_RSRC2:TIDIG_COMP_CNT: 0
; COMPUTE_PGM_RSRC3_GFX90A:ACCUM_OFFSET: 0
; COMPUTE_PGM_RSRC3_GFX90A:TG_SPLIT: 0
	.section	.text._ZN7rocprim17ROCPRIM_400000_NS6detail17trampoline_kernelINS0_14default_configENS1_38merge_sort_block_merge_config_selectorIyNS0_10empty_typeEEEZZNS1_27merge_sort_block_merge_implIS3_PyPS5_jNS1_19radix_merge_compareILb0ELb1EyNS0_19identity_decomposerEEEEE10hipError_tT0_T1_T2_jT3_P12ihipStream_tbPNSt15iterator_traitsISE_E10value_typeEPNSK_ISF_E10value_typeEPSG_NS1_7vsmem_tEENKUlT_SE_SF_SG_E_clIS8_S8_S9_S9_EESD_ST_SE_SF_SG_EUlST_E_NS1_11comp_targetILNS1_3genE0ELNS1_11target_archE4294967295ELNS1_3gpuE0ELNS1_3repE0EEENS1_48merge_mergepath_partition_config_static_selectorELNS0_4arch9wavefront6targetE1EEEvSF_,"axG",@progbits,_ZN7rocprim17ROCPRIM_400000_NS6detail17trampoline_kernelINS0_14default_configENS1_38merge_sort_block_merge_config_selectorIyNS0_10empty_typeEEEZZNS1_27merge_sort_block_merge_implIS3_PyPS5_jNS1_19radix_merge_compareILb0ELb1EyNS0_19identity_decomposerEEEEE10hipError_tT0_T1_T2_jT3_P12ihipStream_tbPNSt15iterator_traitsISE_E10value_typeEPNSK_ISF_E10value_typeEPSG_NS1_7vsmem_tEENKUlT_SE_SF_SG_E_clIS8_S8_S9_S9_EESD_ST_SE_SF_SG_EUlST_E_NS1_11comp_targetILNS1_3genE0ELNS1_11target_archE4294967295ELNS1_3gpuE0ELNS1_3repE0EEENS1_48merge_mergepath_partition_config_static_selectorELNS0_4arch9wavefront6targetE1EEEvSF_,comdat
	.protected	_ZN7rocprim17ROCPRIM_400000_NS6detail17trampoline_kernelINS0_14default_configENS1_38merge_sort_block_merge_config_selectorIyNS0_10empty_typeEEEZZNS1_27merge_sort_block_merge_implIS3_PyPS5_jNS1_19radix_merge_compareILb0ELb1EyNS0_19identity_decomposerEEEEE10hipError_tT0_T1_T2_jT3_P12ihipStream_tbPNSt15iterator_traitsISE_E10value_typeEPNSK_ISF_E10value_typeEPSG_NS1_7vsmem_tEENKUlT_SE_SF_SG_E_clIS8_S8_S9_S9_EESD_ST_SE_SF_SG_EUlST_E_NS1_11comp_targetILNS1_3genE0ELNS1_11target_archE4294967295ELNS1_3gpuE0ELNS1_3repE0EEENS1_48merge_mergepath_partition_config_static_selectorELNS0_4arch9wavefront6targetE1EEEvSF_ ; -- Begin function _ZN7rocprim17ROCPRIM_400000_NS6detail17trampoline_kernelINS0_14default_configENS1_38merge_sort_block_merge_config_selectorIyNS0_10empty_typeEEEZZNS1_27merge_sort_block_merge_implIS3_PyPS5_jNS1_19radix_merge_compareILb0ELb1EyNS0_19identity_decomposerEEEEE10hipError_tT0_T1_T2_jT3_P12ihipStream_tbPNSt15iterator_traitsISE_E10value_typeEPNSK_ISF_E10value_typeEPSG_NS1_7vsmem_tEENKUlT_SE_SF_SG_E_clIS8_S8_S9_S9_EESD_ST_SE_SF_SG_EUlST_E_NS1_11comp_targetILNS1_3genE0ELNS1_11target_archE4294967295ELNS1_3gpuE0ELNS1_3repE0EEENS1_48merge_mergepath_partition_config_static_selectorELNS0_4arch9wavefront6targetE1EEEvSF_
	.globl	_ZN7rocprim17ROCPRIM_400000_NS6detail17trampoline_kernelINS0_14default_configENS1_38merge_sort_block_merge_config_selectorIyNS0_10empty_typeEEEZZNS1_27merge_sort_block_merge_implIS3_PyPS5_jNS1_19radix_merge_compareILb0ELb1EyNS0_19identity_decomposerEEEEE10hipError_tT0_T1_T2_jT3_P12ihipStream_tbPNSt15iterator_traitsISE_E10value_typeEPNSK_ISF_E10value_typeEPSG_NS1_7vsmem_tEENKUlT_SE_SF_SG_E_clIS8_S8_S9_S9_EESD_ST_SE_SF_SG_EUlST_E_NS1_11comp_targetILNS1_3genE0ELNS1_11target_archE4294967295ELNS1_3gpuE0ELNS1_3repE0EEENS1_48merge_mergepath_partition_config_static_selectorELNS0_4arch9wavefront6targetE1EEEvSF_
	.p2align	8
	.type	_ZN7rocprim17ROCPRIM_400000_NS6detail17trampoline_kernelINS0_14default_configENS1_38merge_sort_block_merge_config_selectorIyNS0_10empty_typeEEEZZNS1_27merge_sort_block_merge_implIS3_PyPS5_jNS1_19radix_merge_compareILb0ELb1EyNS0_19identity_decomposerEEEEE10hipError_tT0_T1_T2_jT3_P12ihipStream_tbPNSt15iterator_traitsISE_E10value_typeEPNSK_ISF_E10value_typeEPSG_NS1_7vsmem_tEENKUlT_SE_SF_SG_E_clIS8_S8_S9_S9_EESD_ST_SE_SF_SG_EUlST_E_NS1_11comp_targetILNS1_3genE0ELNS1_11target_archE4294967295ELNS1_3gpuE0ELNS1_3repE0EEENS1_48merge_mergepath_partition_config_static_selectorELNS0_4arch9wavefront6targetE1EEEvSF_,@function
_ZN7rocprim17ROCPRIM_400000_NS6detail17trampoline_kernelINS0_14default_configENS1_38merge_sort_block_merge_config_selectorIyNS0_10empty_typeEEEZZNS1_27merge_sort_block_merge_implIS3_PyPS5_jNS1_19radix_merge_compareILb0ELb1EyNS0_19identity_decomposerEEEEE10hipError_tT0_T1_T2_jT3_P12ihipStream_tbPNSt15iterator_traitsISE_E10value_typeEPNSK_ISF_E10value_typeEPSG_NS1_7vsmem_tEENKUlT_SE_SF_SG_E_clIS8_S8_S9_S9_EESD_ST_SE_SF_SG_EUlST_E_NS1_11comp_targetILNS1_3genE0ELNS1_11target_archE4294967295ELNS1_3gpuE0ELNS1_3repE0EEENS1_48merge_mergepath_partition_config_static_selectorELNS0_4arch9wavefront6targetE1EEEvSF_: ; @_ZN7rocprim17ROCPRIM_400000_NS6detail17trampoline_kernelINS0_14default_configENS1_38merge_sort_block_merge_config_selectorIyNS0_10empty_typeEEEZZNS1_27merge_sort_block_merge_implIS3_PyPS5_jNS1_19radix_merge_compareILb0ELb1EyNS0_19identity_decomposerEEEEE10hipError_tT0_T1_T2_jT3_P12ihipStream_tbPNSt15iterator_traitsISE_E10value_typeEPNSK_ISF_E10value_typeEPSG_NS1_7vsmem_tEENKUlT_SE_SF_SG_E_clIS8_S8_S9_S9_EESD_ST_SE_SF_SG_EUlST_E_NS1_11comp_targetILNS1_3genE0ELNS1_11target_archE4294967295ELNS1_3gpuE0ELNS1_3repE0EEENS1_48merge_mergepath_partition_config_static_selectorELNS0_4arch9wavefront6targetE1EEEvSF_
; %bb.0:
	.section	.rodata,"a",@progbits
	.p2align	6, 0x0
	.amdhsa_kernel _ZN7rocprim17ROCPRIM_400000_NS6detail17trampoline_kernelINS0_14default_configENS1_38merge_sort_block_merge_config_selectorIyNS0_10empty_typeEEEZZNS1_27merge_sort_block_merge_implIS3_PyPS5_jNS1_19radix_merge_compareILb0ELb1EyNS0_19identity_decomposerEEEEE10hipError_tT0_T1_T2_jT3_P12ihipStream_tbPNSt15iterator_traitsISE_E10value_typeEPNSK_ISF_E10value_typeEPSG_NS1_7vsmem_tEENKUlT_SE_SF_SG_E_clIS8_S8_S9_S9_EESD_ST_SE_SF_SG_EUlST_E_NS1_11comp_targetILNS1_3genE0ELNS1_11target_archE4294967295ELNS1_3gpuE0ELNS1_3repE0EEENS1_48merge_mergepath_partition_config_static_selectorELNS0_4arch9wavefront6targetE1EEEvSF_
		.amdhsa_group_segment_fixed_size 0
		.amdhsa_private_segment_fixed_size 0
		.amdhsa_kernarg_size 40
		.amdhsa_user_sgpr_count 6
		.amdhsa_user_sgpr_private_segment_buffer 1
		.amdhsa_user_sgpr_dispatch_ptr 0
		.amdhsa_user_sgpr_queue_ptr 0
		.amdhsa_user_sgpr_kernarg_segment_ptr 1
		.amdhsa_user_sgpr_dispatch_id 0
		.amdhsa_user_sgpr_flat_scratch_init 0
		.amdhsa_user_sgpr_kernarg_preload_length 0
		.amdhsa_user_sgpr_kernarg_preload_offset 0
		.amdhsa_user_sgpr_private_segment_size 0
		.amdhsa_uses_dynamic_stack 0
		.amdhsa_system_sgpr_private_segment_wavefront_offset 0
		.amdhsa_system_sgpr_workgroup_id_x 1
		.amdhsa_system_sgpr_workgroup_id_y 0
		.amdhsa_system_sgpr_workgroup_id_z 0
		.amdhsa_system_sgpr_workgroup_info 0
		.amdhsa_system_vgpr_workitem_id 0
		.amdhsa_next_free_vgpr 1
		.amdhsa_next_free_sgpr 0
		.amdhsa_accum_offset 4
		.amdhsa_reserve_vcc 0
		.amdhsa_reserve_flat_scratch 0
		.amdhsa_float_round_mode_32 0
		.amdhsa_float_round_mode_16_64 0
		.amdhsa_float_denorm_mode_32 3
		.amdhsa_float_denorm_mode_16_64 3
		.amdhsa_dx10_clamp 1
		.amdhsa_ieee_mode 1
		.amdhsa_fp16_overflow 0
		.amdhsa_tg_split 0
		.amdhsa_exception_fp_ieee_invalid_op 0
		.amdhsa_exception_fp_denorm_src 0
		.amdhsa_exception_fp_ieee_div_zero 0
		.amdhsa_exception_fp_ieee_overflow 0
		.amdhsa_exception_fp_ieee_underflow 0
		.amdhsa_exception_fp_ieee_inexact 0
		.amdhsa_exception_int_div_zero 0
	.end_amdhsa_kernel
	.section	.text._ZN7rocprim17ROCPRIM_400000_NS6detail17trampoline_kernelINS0_14default_configENS1_38merge_sort_block_merge_config_selectorIyNS0_10empty_typeEEEZZNS1_27merge_sort_block_merge_implIS3_PyPS5_jNS1_19radix_merge_compareILb0ELb1EyNS0_19identity_decomposerEEEEE10hipError_tT0_T1_T2_jT3_P12ihipStream_tbPNSt15iterator_traitsISE_E10value_typeEPNSK_ISF_E10value_typeEPSG_NS1_7vsmem_tEENKUlT_SE_SF_SG_E_clIS8_S8_S9_S9_EESD_ST_SE_SF_SG_EUlST_E_NS1_11comp_targetILNS1_3genE0ELNS1_11target_archE4294967295ELNS1_3gpuE0ELNS1_3repE0EEENS1_48merge_mergepath_partition_config_static_selectorELNS0_4arch9wavefront6targetE1EEEvSF_,"axG",@progbits,_ZN7rocprim17ROCPRIM_400000_NS6detail17trampoline_kernelINS0_14default_configENS1_38merge_sort_block_merge_config_selectorIyNS0_10empty_typeEEEZZNS1_27merge_sort_block_merge_implIS3_PyPS5_jNS1_19radix_merge_compareILb0ELb1EyNS0_19identity_decomposerEEEEE10hipError_tT0_T1_T2_jT3_P12ihipStream_tbPNSt15iterator_traitsISE_E10value_typeEPNSK_ISF_E10value_typeEPSG_NS1_7vsmem_tEENKUlT_SE_SF_SG_E_clIS8_S8_S9_S9_EESD_ST_SE_SF_SG_EUlST_E_NS1_11comp_targetILNS1_3genE0ELNS1_11target_archE4294967295ELNS1_3gpuE0ELNS1_3repE0EEENS1_48merge_mergepath_partition_config_static_selectorELNS0_4arch9wavefront6targetE1EEEvSF_,comdat
.Lfunc_end1158:
	.size	_ZN7rocprim17ROCPRIM_400000_NS6detail17trampoline_kernelINS0_14default_configENS1_38merge_sort_block_merge_config_selectorIyNS0_10empty_typeEEEZZNS1_27merge_sort_block_merge_implIS3_PyPS5_jNS1_19radix_merge_compareILb0ELb1EyNS0_19identity_decomposerEEEEE10hipError_tT0_T1_T2_jT3_P12ihipStream_tbPNSt15iterator_traitsISE_E10value_typeEPNSK_ISF_E10value_typeEPSG_NS1_7vsmem_tEENKUlT_SE_SF_SG_E_clIS8_S8_S9_S9_EESD_ST_SE_SF_SG_EUlST_E_NS1_11comp_targetILNS1_3genE0ELNS1_11target_archE4294967295ELNS1_3gpuE0ELNS1_3repE0EEENS1_48merge_mergepath_partition_config_static_selectorELNS0_4arch9wavefront6targetE1EEEvSF_, .Lfunc_end1158-_ZN7rocprim17ROCPRIM_400000_NS6detail17trampoline_kernelINS0_14default_configENS1_38merge_sort_block_merge_config_selectorIyNS0_10empty_typeEEEZZNS1_27merge_sort_block_merge_implIS3_PyPS5_jNS1_19radix_merge_compareILb0ELb1EyNS0_19identity_decomposerEEEEE10hipError_tT0_T1_T2_jT3_P12ihipStream_tbPNSt15iterator_traitsISE_E10value_typeEPNSK_ISF_E10value_typeEPSG_NS1_7vsmem_tEENKUlT_SE_SF_SG_E_clIS8_S8_S9_S9_EESD_ST_SE_SF_SG_EUlST_E_NS1_11comp_targetILNS1_3genE0ELNS1_11target_archE4294967295ELNS1_3gpuE0ELNS1_3repE0EEENS1_48merge_mergepath_partition_config_static_selectorELNS0_4arch9wavefront6targetE1EEEvSF_
                                        ; -- End function
	.section	.AMDGPU.csdata,"",@progbits
; Kernel info:
; codeLenInByte = 0
; NumSgprs: 4
; NumVgprs: 0
; NumAgprs: 0
; TotalNumVgprs: 0
; ScratchSize: 0
; MemoryBound: 0
; FloatMode: 240
; IeeeMode: 1
; LDSByteSize: 0 bytes/workgroup (compile time only)
; SGPRBlocks: 0
; VGPRBlocks: 0
; NumSGPRsForWavesPerEU: 4
; NumVGPRsForWavesPerEU: 1
; AccumOffset: 4
; Occupancy: 8
; WaveLimiterHint : 0
; COMPUTE_PGM_RSRC2:SCRATCH_EN: 0
; COMPUTE_PGM_RSRC2:USER_SGPR: 6
; COMPUTE_PGM_RSRC2:TRAP_HANDLER: 0
; COMPUTE_PGM_RSRC2:TGID_X_EN: 1
; COMPUTE_PGM_RSRC2:TGID_Y_EN: 0
; COMPUTE_PGM_RSRC2:TGID_Z_EN: 0
; COMPUTE_PGM_RSRC2:TIDIG_COMP_CNT: 0
; COMPUTE_PGM_RSRC3_GFX90A:ACCUM_OFFSET: 0
; COMPUTE_PGM_RSRC3_GFX90A:TG_SPLIT: 0
	.section	.text._ZN7rocprim17ROCPRIM_400000_NS6detail17trampoline_kernelINS0_14default_configENS1_38merge_sort_block_merge_config_selectorIyNS0_10empty_typeEEEZZNS1_27merge_sort_block_merge_implIS3_PyPS5_jNS1_19radix_merge_compareILb0ELb1EyNS0_19identity_decomposerEEEEE10hipError_tT0_T1_T2_jT3_P12ihipStream_tbPNSt15iterator_traitsISE_E10value_typeEPNSK_ISF_E10value_typeEPSG_NS1_7vsmem_tEENKUlT_SE_SF_SG_E_clIS8_S8_S9_S9_EESD_ST_SE_SF_SG_EUlST_E_NS1_11comp_targetILNS1_3genE10ELNS1_11target_archE1201ELNS1_3gpuE5ELNS1_3repE0EEENS1_48merge_mergepath_partition_config_static_selectorELNS0_4arch9wavefront6targetE1EEEvSF_,"axG",@progbits,_ZN7rocprim17ROCPRIM_400000_NS6detail17trampoline_kernelINS0_14default_configENS1_38merge_sort_block_merge_config_selectorIyNS0_10empty_typeEEEZZNS1_27merge_sort_block_merge_implIS3_PyPS5_jNS1_19radix_merge_compareILb0ELb1EyNS0_19identity_decomposerEEEEE10hipError_tT0_T1_T2_jT3_P12ihipStream_tbPNSt15iterator_traitsISE_E10value_typeEPNSK_ISF_E10value_typeEPSG_NS1_7vsmem_tEENKUlT_SE_SF_SG_E_clIS8_S8_S9_S9_EESD_ST_SE_SF_SG_EUlST_E_NS1_11comp_targetILNS1_3genE10ELNS1_11target_archE1201ELNS1_3gpuE5ELNS1_3repE0EEENS1_48merge_mergepath_partition_config_static_selectorELNS0_4arch9wavefront6targetE1EEEvSF_,comdat
	.protected	_ZN7rocprim17ROCPRIM_400000_NS6detail17trampoline_kernelINS0_14default_configENS1_38merge_sort_block_merge_config_selectorIyNS0_10empty_typeEEEZZNS1_27merge_sort_block_merge_implIS3_PyPS5_jNS1_19radix_merge_compareILb0ELb1EyNS0_19identity_decomposerEEEEE10hipError_tT0_T1_T2_jT3_P12ihipStream_tbPNSt15iterator_traitsISE_E10value_typeEPNSK_ISF_E10value_typeEPSG_NS1_7vsmem_tEENKUlT_SE_SF_SG_E_clIS8_S8_S9_S9_EESD_ST_SE_SF_SG_EUlST_E_NS1_11comp_targetILNS1_3genE10ELNS1_11target_archE1201ELNS1_3gpuE5ELNS1_3repE0EEENS1_48merge_mergepath_partition_config_static_selectorELNS0_4arch9wavefront6targetE1EEEvSF_ ; -- Begin function _ZN7rocprim17ROCPRIM_400000_NS6detail17trampoline_kernelINS0_14default_configENS1_38merge_sort_block_merge_config_selectorIyNS0_10empty_typeEEEZZNS1_27merge_sort_block_merge_implIS3_PyPS5_jNS1_19radix_merge_compareILb0ELb1EyNS0_19identity_decomposerEEEEE10hipError_tT0_T1_T2_jT3_P12ihipStream_tbPNSt15iterator_traitsISE_E10value_typeEPNSK_ISF_E10value_typeEPSG_NS1_7vsmem_tEENKUlT_SE_SF_SG_E_clIS8_S8_S9_S9_EESD_ST_SE_SF_SG_EUlST_E_NS1_11comp_targetILNS1_3genE10ELNS1_11target_archE1201ELNS1_3gpuE5ELNS1_3repE0EEENS1_48merge_mergepath_partition_config_static_selectorELNS0_4arch9wavefront6targetE1EEEvSF_
	.globl	_ZN7rocprim17ROCPRIM_400000_NS6detail17trampoline_kernelINS0_14default_configENS1_38merge_sort_block_merge_config_selectorIyNS0_10empty_typeEEEZZNS1_27merge_sort_block_merge_implIS3_PyPS5_jNS1_19radix_merge_compareILb0ELb1EyNS0_19identity_decomposerEEEEE10hipError_tT0_T1_T2_jT3_P12ihipStream_tbPNSt15iterator_traitsISE_E10value_typeEPNSK_ISF_E10value_typeEPSG_NS1_7vsmem_tEENKUlT_SE_SF_SG_E_clIS8_S8_S9_S9_EESD_ST_SE_SF_SG_EUlST_E_NS1_11comp_targetILNS1_3genE10ELNS1_11target_archE1201ELNS1_3gpuE5ELNS1_3repE0EEENS1_48merge_mergepath_partition_config_static_selectorELNS0_4arch9wavefront6targetE1EEEvSF_
	.p2align	8
	.type	_ZN7rocprim17ROCPRIM_400000_NS6detail17trampoline_kernelINS0_14default_configENS1_38merge_sort_block_merge_config_selectorIyNS0_10empty_typeEEEZZNS1_27merge_sort_block_merge_implIS3_PyPS5_jNS1_19radix_merge_compareILb0ELb1EyNS0_19identity_decomposerEEEEE10hipError_tT0_T1_T2_jT3_P12ihipStream_tbPNSt15iterator_traitsISE_E10value_typeEPNSK_ISF_E10value_typeEPSG_NS1_7vsmem_tEENKUlT_SE_SF_SG_E_clIS8_S8_S9_S9_EESD_ST_SE_SF_SG_EUlST_E_NS1_11comp_targetILNS1_3genE10ELNS1_11target_archE1201ELNS1_3gpuE5ELNS1_3repE0EEENS1_48merge_mergepath_partition_config_static_selectorELNS0_4arch9wavefront6targetE1EEEvSF_,@function
_ZN7rocprim17ROCPRIM_400000_NS6detail17trampoline_kernelINS0_14default_configENS1_38merge_sort_block_merge_config_selectorIyNS0_10empty_typeEEEZZNS1_27merge_sort_block_merge_implIS3_PyPS5_jNS1_19radix_merge_compareILb0ELb1EyNS0_19identity_decomposerEEEEE10hipError_tT0_T1_T2_jT3_P12ihipStream_tbPNSt15iterator_traitsISE_E10value_typeEPNSK_ISF_E10value_typeEPSG_NS1_7vsmem_tEENKUlT_SE_SF_SG_E_clIS8_S8_S9_S9_EESD_ST_SE_SF_SG_EUlST_E_NS1_11comp_targetILNS1_3genE10ELNS1_11target_archE1201ELNS1_3gpuE5ELNS1_3repE0EEENS1_48merge_mergepath_partition_config_static_selectorELNS0_4arch9wavefront6targetE1EEEvSF_: ; @_ZN7rocprim17ROCPRIM_400000_NS6detail17trampoline_kernelINS0_14default_configENS1_38merge_sort_block_merge_config_selectorIyNS0_10empty_typeEEEZZNS1_27merge_sort_block_merge_implIS3_PyPS5_jNS1_19radix_merge_compareILb0ELb1EyNS0_19identity_decomposerEEEEE10hipError_tT0_T1_T2_jT3_P12ihipStream_tbPNSt15iterator_traitsISE_E10value_typeEPNSK_ISF_E10value_typeEPSG_NS1_7vsmem_tEENKUlT_SE_SF_SG_E_clIS8_S8_S9_S9_EESD_ST_SE_SF_SG_EUlST_E_NS1_11comp_targetILNS1_3genE10ELNS1_11target_archE1201ELNS1_3gpuE5ELNS1_3repE0EEENS1_48merge_mergepath_partition_config_static_selectorELNS0_4arch9wavefront6targetE1EEEvSF_
; %bb.0:
	.section	.rodata,"a",@progbits
	.p2align	6, 0x0
	.amdhsa_kernel _ZN7rocprim17ROCPRIM_400000_NS6detail17trampoline_kernelINS0_14default_configENS1_38merge_sort_block_merge_config_selectorIyNS0_10empty_typeEEEZZNS1_27merge_sort_block_merge_implIS3_PyPS5_jNS1_19radix_merge_compareILb0ELb1EyNS0_19identity_decomposerEEEEE10hipError_tT0_T1_T2_jT3_P12ihipStream_tbPNSt15iterator_traitsISE_E10value_typeEPNSK_ISF_E10value_typeEPSG_NS1_7vsmem_tEENKUlT_SE_SF_SG_E_clIS8_S8_S9_S9_EESD_ST_SE_SF_SG_EUlST_E_NS1_11comp_targetILNS1_3genE10ELNS1_11target_archE1201ELNS1_3gpuE5ELNS1_3repE0EEENS1_48merge_mergepath_partition_config_static_selectorELNS0_4arch9wavefront6targetE1EEEvSF_
		.amdhsa_group_segment_fixed_size 0
		.amdhsa_private_segment_fixed_size 0
		.amdhsa_kernarg_size 40
		.amdhsa_user_sgpr_count 6
		.amdhsa_user_sgpr_private_segment_buffer 1
		.amdhsa_user_sgpr_dispatch_ptr 0
		.amdhsa_user_sgpr_queue_ptr 0
		.amdhsa_user_sgpr_kernarg_segment_ptr 1
		.amdhsa_user_sgpr_dispatch_id 0
		.amdhsa_user_sgpr_flat_scratch_init 0
		.amdhsa_user_sgpr_kernarg_preload_length 0
		.amdhsa_user_sgpr_kernarg_preload_offset 0
		.amdhsa_user_sgpr_private_segment_size 0
		.amdhsa_uses_dynamic_stack 0
		.amdhsa_system_sgpr_private_segment_wavefront_offset 0
		.amdhsa_system_sgpr_workgroup_id_x 1
		.amdhsa_system_sgpr_workgroup_id_y 0
		.amdhsa_system_sgpr_workgroup_id_z 0
		.amdhsa_system_sgpr_workgroup_info 0
		.amdhsa_system_vgpr_workitem_id 0
		.amdhsa_next_free_vgpr 1
		.amdhsa_next_free_sgpr 0
		.amdhsa_accum_offset 4
		.amdhsa_reserve_vcc 0
		.amdhsa_reserve_flat_scratch 0
		.amdhsa_float_round_mode_32 0
		.amdhsa_float_round_mode_16_64 0
		.amdhsa_float_denorm_mode_32 3
		.amdhsa_float_denorm_mode_16_64 3
		.amdhsa_dx10_clamp 1
		.amdhsa_ieee_mode 1
		.amdhsa_fp16_overflow 0
		.amdhsa_tg_split 0
		.amdhsa_exception_fp_ieee_invalid_op 0
		.amdhsa_exception_fp_denorm_src 0
		.amdhsa_exception_fp_ieee_div_zero 0
		.amdhsa_exception_fp_ieee_overflow 0
		.amdhsa_exception_fp_ieee_underflow 0
		.amdhsa_exception_fp_ieee_inexact 0
		.amdhsa_exception_int_div_zero 0
	.end_amdhsa_kernel
	.section	.text._ZN7rocprim17ROCPRIM_400000_NS6detail17trampoline_kernelINS0_14default_configENS1_38merge_sort_block_merge_config_selectorIyNS0_10empty_typeEEEZZNS1_27merge_sort_block_merge_implIS3_PyPS5_jNS1_19radix_merge_compareILb0ELb1EyNS0_19identity_decomposerEEEEE10hipError_tT0_T1_T2_jT3_P12ihipStream_tbPNSt15iterator_traitsISE_E10value_typeEPNSK_ISF_E10value_typeEPSG_NS1_7vsmem_tEENKUlT_SE_SF_SG_E_clIS8_S8_S9_S9_EESD_ST_SE_SF_SG_EUlST_E_NS1_11comp_targetILNS1_3genE10ELNS1_11target_archE1201ELNS1_3gpuE5ELNS1_3repE0EEENS1_48merge_mergepath_partition_config_static_selectorELNS0_4arch9wavefront6targetE1EEEvSF_,"axG",@progbits,_ZN7rocprim17ROCPRIM_400000_NS6detail17trampoline_kernelINS0_14default_configENS1_38merge_sort_block_merge_config_selectorIyNS0_10empty_typeEEEZZNS1_27merge_sort_block_merge_implIS3_PyPS5_jNS1_19radix_merge_compareILb0ELb1EyNS0_19identity_decomposerEEEEE10hipError_tT0_T1_T2_jT3_P12ihipStream_tbPNSt15iterator_traitsISE_E10value_typeEPNSK_ISF_E10value_typeEPSG_NS1_7vsmem_tEENKUlT_SE_SF_SG_E_clIS8_S8_S9_S9_EESD_ST_SE_SF_SG_EUlST_E_NS1_11comp_targetILNS1_3genE10ELNS1_11target_archE1201ELNS1_3gpuE5ELNS1_3repE0EEENS1_48merge_mergepath_partition_config_static_selectorELNS0_4arch9wavefront6targetE1EEEvSF_,comdat
.Lfunc_end1159:
	.size	_ZN7rocprim17ROCPRIM_400000_NS6detail17trampoline_kernelINS0_14default_configENS1_38merge_sort_block_merge_config_selectorIyNS0_10empty_typeEEEZZNS1_27merge_sort_block_merge_implIS3_PyPS5_jNS1_19radix_merge_compareILb0ELb1EyNS0_19identity_decomposerEEEEE10hipError_tT0_T1_T2_jT3_P12ihipStream_tbPNSt15iterator_traitsISE_E10value_typeEPNSK_ISF_E10value_typeEPSG_NS1_7vsmem_tEENKUlT_SE_SF_SG_E_clIS8_S8_S9_S9_EESD_ST_SE_SF_SG_EUlST_E_NS1_11comp_targetILNS1_3genE10ELNS1_11target_archE1201ELNS1_3gpuE5ELNS1_3repE0EEENS1_48merge_mergepath_partition_config_static_selectorELNS0_4arch9wavefront6targetE1EEEvSF_, .Lfunc_end1159-_ZN7rocprim17ROCPRIM_400000_NS6detail17trampoline_kernelINS0_14default_configENS1_38merge_sort_block_merge_config_selectorIyNS0_10empty_typeEEEZZNS1_27merge_sort_block_merge_implIS3_PyPS5_jNS1_19radix_merge_compareILb0ELb1EyNS0_19identity_decomposerEEEEE10hipError_tT0_T1_T2_jT3_P12ihipStream_tbPNSt15iterator_traitsISE_E10value_typeEPNSK_ISF_E10value_typeEPSG_NS1_7vsmem_tEENKUlT_SE_SF_SG_E_clIS8_S8_S9_S9_EESD_ST_SE_SF_SG_EUlST_E_NS1_11comp_targetILNS1_3genE10ELNS1_11target_archE1201ELNS1_3gpuE5ELNS1_3repE0EEENS1_48merge_mergepath_partition_config_static_selectorELNS0_4arch9wavefront6targetE1EEEvSF_
                                        ; -- End function
	.section	.AMDGPU.csdata,"",@progbits
; Kernel info:
; codeLenInByte = 0
; NumSgprs: 4
; NumVgprs: 0
; NumAgprs: 0
; TotalNumVgprs: 0
; ScratchSize: 0
; MemoryBound: 0
; FloatMode: 240
; IeeeMode: 1
; LDSByteSize: 0 bytes/workgroup (compile time only)
; SGPRBlocks: 0
; VGPRBlocks: 0
; NumSGPRsForWavesPerEU: 4
; NumVGPRsForWavesPerEU: 1
; AccumOffset: 4
; Occupancy: 8
; WaveLimiterHint : 0
; COMPUTE_PGM_RSRC2:SCRATCH_EN: 0
; COMPUTE_PGM_RSRC2:USER_SGPR: 6
; COMPUTE_PGM_RSRC2:TRAP_HANDLER: 0
; COMPUTE_PGM_RSRC2:TGID_X_EN: 1
; COMPUTE_PGM_RSRC2:TGID_Y_EN: 0
; COMPUTE_PGM_RSRC2:TGID_Z_EN: 0
; COMPUTE_PGM_RSRC2:TIDIG_COMP_CNT: 0
; COMPUTE_PGM_RSRC3_GFX90A:ACCUM_OFFSET: 0
; COMPUTE_PGM_RSRC3_GFX90A:TG_SPLIT: 0
	.section	.text._ZN7rocprim17ROCPRIM_400000_NS6detail17trampoline_kernelINS0_14default_configENS1_38merge_sort_block_merge_config_selectorIyNS0_10empty_typeEEEZZNS1_27merge_sort_block_merge_implIS3_PyPS5_jNS1_19radix_merge_compareILb0ELb1EyNS0_19identity_decomposerEEEEE10hipError_tT0_T1_T2_jT3_P12ihipStream_tbPNSt15iterator_traitsISE_E10value_typeEPNSK_ISF_E10value_typeEPSG_NS1_7vsmem_tEENKUlT_SE_SF_SG_E_clIS8_S8_S9_S9_EESD_ST_SE_SF_SG_EUlST_E_NS1_11comp_targetILNS1_3genE5ELNS1_11target_archE942ELNS1_3gpuE9ELNS1_3repE0EEENS1_48merge_mergepath_partition_config_static_selectorELNS0_4arch9wavefront6targetE1EEEvSF_,"axG",@progbits,_ZN7rocprim17ROCPRIM_400000_NS6detail17trampoline_kernelINS0_14default_configENS1_38merge_sort_block_merge_config_selectorIyNS0_10empty_typeEEEZZNS1_27merge_sort_block_merge_implIS3_PyPS5_jNS1_19radix_merge_compareILb0ELb1EyNS0_19identity_decomposerEEEEE10hipError_tT0_T1_T2_jT3_P12ihipStream_tbPNSt15iterator_traitsISE_E10value_typeEPNSK_ISF_E10value_typeEPSG_NS1_7vsmem_tEENKUlT_SE_SF_SG_E_clIS8_S8_S9_S9_EESD_ST_SE_SF_SG_EUlST_E_NS1_11comp_targetILNS1_3genE5ELNS1_11target_archE942ELNS1_3gpuE9ELNS1_3repE0EEENS1_48merge_mergepath_partition_config_static_selectorELNS0_4arch9wavefront6targetE1EEEvSF_,comdat
	.protected	_ZN7rocprim17ROCPRIM_400000_NS6detail17trampoline_kernelINS0_14default_configENS1_38merge_sort_block_merge_config_selectorIyNS0_10empty_typeEEEZZNS1_27merge_sort_block_merge_implIS3_PyPS5_jNS1_19radix_merge_compareILb0ELb1EyNS0_19identity_decomposerEEEEE10hipError_tT0_T1_T2_jT3_P12ihipStream_tbPNSt15iterator_traitsISE_E10value_typeEPNSK_ISF_E10value_typeEPSG_NS1_7vsmem_tEENKUlT_SE_SF_SG_E_clIS8_S8_S9_S9_EESD_ST_SE_SF_SG_EUlST_E_NS1_11comp_targetILNS1_3genE5ELNS1_11target_archE942ELNS1_3gpuE9ELNS1_3repE0EEENS1_48merge_mergepath_partition_config_static_selectorELNS0_4arch9wavefront6targetE1EEEvSF_ ; -- Begin function _ZN7rocprim17ROCPRIM_400000_NS6detail17trampoline_kernelINS0_14default_configENS1_38merge_sort_block_merge_config_selectorIyNS0_10empty_typeEEEZZNS1_27merge_sort_block_merge_implIS3_PyPS5_jNS1_19radix_merge_compareILb0ELb1EyNS0_19identity_decomposerEEEEE10hipError_tT0_T1_T2_jT3_P12ihipStream_tbPNSt15iterator_traitsISE_E10value_typeEPNSK_ISF_E10value_typeEPSG_NS1_7vsmem_tEENKUlT_SE_SF_SG_E_clIS8_S8_S9_S9_EESD_ST_SE_SF_SG_EUlST_E_NS1_11comp_targetILNS1_3genE5ELNS1_11target_archE942ELNS1_3gpuE9ELNS1_3repE0EEENS1_48merge_mergepath_partition_config_static_selectorELNS0_4arch9wavefront6targetE1EEEvSF_
	.globl	_ZN7rocprim17ROCPRIM_400000_NS6detail17trampoline_kernelINS0_14default_configENS1_38merge_sort_block_merge_config_selectorIyNS0_10empty_typeEEEZZNS1_27merge_sort_block_merge_implIS3_PyPS5_jNS1_19radix_merge_compareILb0ELb1EyNS0_19identity_decomposerEEEEE10hipError_tT0_T1_T2_jT3_P12ihipStream_tbPNSt15iterator_traitsISE_E10value_typeEPNSK_ISF_E10value_typeEPSG_NS1_7vsmem_tEENKUlT_SE_SF_SG_E_clIS8_S8_S9_S9_EESD_ST_SE_SF_SG_EUlST_E_NS1_11comp_targetILNS1_3genE5ELNS1_11target_archE942ELNS1_3gpuE9ELNS1_3repE0EEENS1_48merge_mergepath_partition_config_static_selectorELNS0_4arch9wavefront6targetE1EEEvSF_
	.p2align	8
	.type	_ZN7rocprim17ROCPRIM_400000_NS6detail17trampoline_kernelINS0_14default_configENS1_38merge_sort_block_merge_config_selectorIyNS0_10empty_typeEEEZZNS1_27merge_sort_block_merge_implIS3_PyPS5_jNS1_19radix_merge_compareILb0ELb1EyNS0_19identity_decomposerEEEEE10hipError_tT0_T1_T2_jT3_P12ihipStream_tbPNSt15iterator_traitsISE_E10value_typeEPNSK_ISF_E10value_typeEPSG_NS1_7vsmem_tEENKUlT_SE_SF_SG_E_clIS8_S8_S9_S9_EESD_ST_SE_SF_SG_EUlST_E_NS1_11comp_targetILNS1_3genE5ELNS1_11target_archE942ELNS1_3gpuE9ELNS1_3repE0EEENS1_48merge_mergepath_partition_config_static_selectorELNS0_4arch9wavefront6targetE1EEEvSF_,@function
_ZN7rocprim17ROCPRIM_400000_NS6detail17trampoline_kernelINS0_14default_configENS1_38merge_sort_block_merge_config_selectorIyNS0_10empty_typeEEEZZNS1_27merge_sort_block_merge_implIS3_PyPS5_jNS1_19radix_merge_compareILb0ELb1EyNS0_19identity_decomposerEEEEE10hipError_tT0_T1_T2_jT3_P12ihipStream_tbPNSt15iterator_traitsISE_E10value_typeEPNSK_ISF_E10value_typeEPSG_NS1_7vsmem_tEENKUlT_SE_SF_SG_E_clIS8_S8_S9_S9_EESD_ST_SE_SF_SG_EUlST_E_NS1_11comp_targetILNS1_3genE5ELNS1_11target_archE942ELNS1_3gpuE9ELNS1_3repE0EEENS1_48merge_mergepath_partition_config_static_selectorELNS0_4arch9wavefront6targetE1EEEvSF_: ; @_ZN7rocprim17ROCPRIM_400000_NS6detail17trampoline_kernelINS0_14default_configENS1_38merge_sort_block_merge_config_selectorIyNS0_10empty_typeEEEZZNS1_27merge_sort_block_merge_implIS3_PyPS5_jNS1_19radix_merge_compareILb0ELb1EyNS0_19identity_decomposerEEEEE10hipError_tT0_T1_T2_jT3_P12ihipStream_tbPNSt15iterator_traitsISE_E10value_typeEPNSK_ISF_E10value_typeEPSG_NS1_7vsmem_tEENKUlT_SE_SF_SG_E_clIS8_S8_S9_S9_EESD_ST_SE_SF_SG_EUlST_E_NS1_11comp_targetILNS1_3genE5ELNS1_11target_archE942ELNS1_3gpuE9ELNS1_3repE0EEENS1_48merge_mergepath_partition_config_static_selectorELNS0_4arch9wavefront6targetE1EEEvSF_
; %bb.0:
	.section	.rodata,"a",@progbits
	.p2align	6, 0x0
	.amdhsa_kernel _ZN7rocprim17ROCPRIM_400000_NS6detail17trampoline_kernelINS0_14default_configENS1_38merge_sort_block_merge_config_selectorIyNS0_10empty_typeEEEZZNS1_27merge_sort_block_merge_implIS3_PyPS5_jNS1_19radix_merge_compareILb0ELb1EyNS0_19identity_decomposerEEEEE10hipError_tT0_T1_T2_jT3_P12ihipStream_tbPNSt15iterator_traitsISE_E10value_typeEPNSK_ISF_E10value_typeEPSG_NS1_7vsmem_tEENKUlT_SE_SF_SG_E_clIS8_S8_S9_S9_EESD_ST_SE_SF_SG_EUlST_E_NS1_11comp_targetILNS1_3genE5ELNS1_11target_archE942ELNS1_3gpuE9ELNS1_3repE0EEENS1_48merge_mergepath_partition_config_static_selectorELNS0_4arch9wavefront6targetE1EEEvSF_
		.amdhsa_group_segment_fixed_size 0
		.amdhsa_private_segment_fixed_size 0
		.amdhsa_kernarg_size 40
		.amdhsa_user_sgpr_count 6
		.amdhsa_user_sgpr_private_segment_buffer 1
		.amdhsa_user_sgpr_dispatch_ptr 0
		.amdhsa_user_sgpr_queue_ptr 0
		.amdhsa_user_sgpr_kernarg_segment_ptr 1
		.amdhsa_user_sgpr_dispatch_id 0
		.amdhsa_user_sgpr_flat_scratch_init 0
		.amdhsa_user_sgpr_kernarg_preload_length 0
		.amdhsa_user_sgpr_kernarg_preload_offset 0
		.amdhsa_user_sgpr_private_segment_size 0
		.amdhsa_uses_dynamic_stack 0
		.amdhsa_system_sgpr_private_segment_wavefront_offset 0
		.amdhsa_system_sgpr_workgroup_id_x 1
		.amdhsa_system_sgpr_workgroup_id_y 0
		.amdhsa_system_sgpr_workgroup_id_z 0
		.amdhsa_system_sgpr_workgroup_info 0
		.amdhsa_system_vgpr_workitem_id 0
		.amdhsa_next_free_vgpr 1
		.amdhsa_next_free_sgpr 0
		.amdhsa_accum_offset 4
		.amdhsa_reserve_vcc 0
		.amdhsa_reserve_flat_scratch 0
		.amdhsa_float_round_mode_32 0
		.amdhsa_float_round_mode_16_64 0
		.amdhsa_float_denorm_mode_32 3
		.amdhsa_float_denorm_mode_16_64 3
		.amdhsa_dx10_clamp 1
		.amdhsa_ieee_mode 1
		.amdhsa_fp16_overflow 0
		.amdhsa_tg_split 0
		.amdhsa_exception_fp_ieee_invalid_op 0
		.amdhsa_exception_fp_denorm_src 0
		.amdhsa_exception_fp_ieee_div_zero 0
		.amdhsa_exception_fp_ieee_overflow 0
		.amdhsa_exception_fp_ieee_underflow 0
		.amdhsa_exception_fp_ieee_inexact 0
		.amdhsa_exception_int_div_zero 0
	.end_amdhsa_kernel
	.section	.text._ZN7rocprim17ROCPRIM_400000_NS6detail17trampoline_kernelINS0_14default_configENS1_38merge_sort_block_merge_config_selectorIyNS0_10empty_typeEEEZZNS1_27merge_sort_block_merge_implIS3_PyPS5_jNS1_19radix_merge_compareILb0ELb1EyNS0_19identity_decomposerEEEEE10hipError_tT0_T1_T2_jT3_P12ihipStream_tbPNSt15iterator_traitsISE_E10value_typeEPNSK_ISF_E10value_typeEPSG_NS1_7vsmem_tEENKUlT_SE_SF_SG_E_clIS8_S8_S9_S9_EESD_ST_SE_SF_SG_EUlST_E_NS1_11comp_targetILNS1_3genE5ELNS1_11target_archE942ELNS1_3gpuE9ELNS1_3repE0EEENS1_48merge_mergepath_partition_config_static_selectorELNS0_4arch9wavefront6targetE1EEEvSF_,"axG",@progbits,_ZN7rocprim17ROCPRIM_400000_NS6detail17trampoline_kernelINS0_14default_configENS1_38merge_sort_block_merge_config_selectorIyNS0_10empty_typeEEEZZNS1_27merge_sort_block_merge_implIS3_PyPS5_jNS1_19radix_merge_compareILb0ELb1EyNS0_19identity_decomposerEEEEE10hipError_tT0_T1_T2_jT3_P12ihipStream_tbPNSt15iterator_traitsISE_E10value_typeEPNSK_ISF_E10value_typeEPSG_NS1_7vsmem_tEENKUlT_SE_SF_SG_E_clIS8_S8_S9_S9_EESD_ST_SE_SF_SG_EUlST_E_NS1_11comp_targetILNS1_3genE5ELNS1_11target_archE942ELNS1_3gpuE9ELNS1_3repE0EEENS1_48merge_mergepath_partition_config_static_selectorELNS0_4arch9wavefront6targetE1EEEvSF_,comdat
.Lfunc_end1160:
	.size	_ZN7rocprim17ROCPRIM_400000_NS6detail17trampoline_kernelINS0_14default_configENS1_38merge_sort_block_merge_config_selectorIyNS0_10empty_typeEEEZZNS1_27merge_sort_block_merge_implIS3_PyPS5_jNS1_19radix_merge_compareILb0ELb1EyNS0_19identity_decomposerEEEEE10hipError_tT0_T1_T2_jT3_P12ihipStream_tbPNSt15iterator_traitsISE_E10value_typeEPNSK_ISF_E10value_typeEPSG_NS1_7vsmem_tEENKUlT_SE_SF_SG_E_clIS8_S8_S9_S9_EESD_ST_SE_SF_SG_EUlST_E_NS1_11comp_targetILNS1_3genE5ELNS1_11target_archE942ELNS1_3gpuE9ELNS1_3repE0EEENS1_48merge_mergepath_partition_config_static_selectorELNS0_4arch9wavefront6targetE1EEEvSF_, .Lfunc_end1160-_ZN7rocprim17ROCPRIM_400000_NS6detail17trampoline_kernelINS0_14default_configENS1_38merge_sort_block_merge_config_selectorIyNS0_10empty_typeEEEZZNS1_27merge_sort_block_merge_implIS3_PyPS5_jNS1_19radix_merge_compareILb0ELb1EyNS0_19identity_decomposerEEEEE10hipError_tT0_T1_T2_jT3_P12ihipStream_tbPNSt15iterator_traitsISE_E10value_typeEPNSK_ISF_E10value_typeEPSG_NS1_7vsmem_tEENKUlT_SE_SF_SG_E_clIS8_S8_S9_S9_EESD_ST_SE_SF_SG_EUlST_E_NS1_11comp_targetILNS1_3genE5ELNS1_11target_archE942ELNS1_3gpuE9ELNS1_3repE0EEENS1_48merge_mergepath_partition_config_static_selectorELNS0_4arch9wavefront6targetE1EEEvSF_
                                        ; -- End function
	.section	.AMDGPU.csdata,"",@progbits
; Kernel info:
; codeLenInByte = 0
; NumSgprs: 4
; NumVgprs: 0
; NumAgprs: 0
; TotalNumVgprs: 0
; ScratchSize: 0
; MemoryBound: 0
; FloatMode: 240
; IeeeMode: 1
; LDSByteSize: 0 bytes/workgroup (compile time only)
; SGPRBlocks: 0
; VGPRBlocks: 0
; NumSGPRsForWavesPerEU: 4
; NumVGPRsForWavesPerEU: 1
; AccumOffset: 4
; Occupancy: 8
; WaveLimiterHint : 0
; COMPUTE_PGM_RSRC2:SCRATCH_EN: 0
; COMPUTE_PGM_RSRC2:USER_SGPR: 6
; COMPUTE_PGM_RSRC2:TRAP_HANDLER: 0
; COMPUTE_PGM_RSRC2:TGID_X_EN: 1
; COMPUTE_PGM_RSRC2:TGID_Y_EN: 0
; COMPUTE_PGM_RSRC2:TGID_Z_EN: 0
; COMPUTE_PGM_RSRC2:TIDIG_COMP_CNT: 0
; COMPUTE_PGM_RSRC3_GFX90A:ACCUM_OFFSET: 0
; COMPUTE_PGM_RSRC3_GFX90A:TG_SPLIT: 0
	.section	.text._ZN7rocprim17ROCPRIM_400000_NS6detail17trampoline_kernelINS0_14default_configENS1_38merge_sort_block_merge_config_selectorIyNS0_10empty_typeEEEZZNS1_27merge_sort_block_merge_implIS3_PyPS5_jNS1_19radix_merge_compareILb0ELb1EyNS0_19identity_decomposerEEEEE10hipError_tT0_T1_T2_jT3_P12ihipStream_tbPNSt15iterator_traitsISE_E10value_typeEPNSK_ISF_E10value_typeEPSG_NS1_7vsmem_tEENKUlT_SE_SF_SG_E_clIS8_S8_S9_S9_EESD_ST_SE_SF_SG_EUlST_E_NS1_11comp_targetILNS1_3genE4ELNS1_11target_archE910ELNS1_3gpuE8ELNS1_3repE0EEENS1_48merge_mergepath_partition_config_static_selectorELNS0_4arch9wavefront6targetE1EEEvSF_,"axG",@progbits,_ZN7rocprim17ROCPRIM_400000_NS6detail17trampoline_kernelINS0_14default_configENS1_38merge_sort_block_merge_config_selectorIyNS0_10empty_typeEEEZZNS1_27merge_sort_block_merge_implIS3_PyPS5_jNS1_19radix_merge_compareILb0ELb1EyNS0_19identity_decomposerEEEEE10hipError_tT0_T1_T2_jT3_P12ihipStream_tbPNSt15iterator_traitsISE_E10value_typeEPNSK_ISF_E10value_typeEPSG_NS1_7vsmem_tEENKUlT_SE_SF_SG_E_clIS8_S8_S9_S9_EESD_ST_SE_SF_SG_EUlST_E_NS1_11comp_targetILNS1_3genE4ELNS1_11target_archE910ELNS1_3gpuE8ELNS1_3repE0EEENS1_48merge_mergepath_partition_config_static_selectorELNS0_4arch9wavefront6targetE1EEEvSF_,comdat
	.protected	_ZN7rocprim17ROCPRIM_400000_NS6detail17trampoline_kernelINS0_14default_configENS1_38merge_sort_block_merge_config_selectorIyNS0_10empty_typeEEEZZNS1_27merge_sort_block_merge_implIS3_PyPS5_jNS1_19radix_merge_compareILb0ELb1EyNS0_19identity_decomposerEEEEE10hipError_tT0_T1_T2_jT3_P12ihipStream_tbPNSt15iterator_traitsISE_E10value_typeEPNSK_ISF_E10value_typeEPSG_NS1_7vsmem_tEENKUlT_SE_SF_SG_E_clIS8_S8_S9_S9_EESD_ST_SE_SF_SG_EUlST_E_NS1_11comp_targetILNS1_3genE4ELNS1_11target_archE910ELNS1_3gpuE8ELNS1_3repE0EEENS1_48merge_mergepath_partition_config_static_selectorELNS0_4arch9wavefront6targetE1EEEvSF_ ; -- Begin function _ZN7rocprim17ROCPRIM_400000_NS6detail17trampoline_kernelINS0_14default_configENS1_38merge_sort_block_merge_config_selectorIyNS0_10empty_typeEEEZZNS1_27merge_sort_block_merge_implIS3_PyPS5_jNS1_19radix_merge_compareILb0ELb1EyNS0_19identity_decomposerEEEEE10hipError_tT0_T1_T2_jT3_P12ihipStream_tbPNSt15iterator_traitsISE_E10value_typeEPNSK_ISF_E10value_typeEPSG_NS1_7vsmem_tEENKUlT_SE_SF_SG_E_clIS8_S8_S9_S9_EESD_ST_SE_SF_SG_EUlST_E_NS1_11comp_targetILNS1_3genE4ELNS1_11target_archE910ELNS1_3gpuE8ELNS1_3repE0EEENS1_48merge_mergepath_partition_config_static_selectorELNS0_4arch9wavefront6targetE1EEEvSF_
	.globl	_ZN7rocprim17ROCPRIM_400000_NS6detail17trampoline_kernelINS0_14default_configENS1_38merge_sort_block_merge_config_selectorIyNS0_10empty_typeEEEZZNS1_27merge_sort_block_merge_implIS3_PyPS5_jNS1_19radix_merge_compareILb0ELb1EyNS0_19identity_decomposerEEEEE10hipError_tT0_T1_T2_jT3_P12ihipStream_tbPNSt15iterator_traitsISE_E10value_typeEPNSK_ISF_E10value_typeEPSG_NS1_7vsmem_tEENKUlT_SE_SF_SG_E_clIS8_S8_S9_S9_EESD_ST_SE_SF_SG_EUlST_E_NS1_11comp_targetILNS1_3genE4ELNS1_11target_archE910ELNS1_3gpuE8ELNS1_3repE0EEENS1_48merge_mergepath_partition_config_static_selectorELNS0_4arch9wavefront6targetE1EEEvSF_
	.p2align	8
	.type	_ZN7rocprim17ROCPRIM_400000_NS6detail17trampoline_kernelINS0_14default_configENS1_38merge_sort_block_merge_config_selectorIyNS0_10empty_typeEEEZZNS1_27merge_sort_block_merge_implIS3_PyPS5_jNS1_19radix_merge_compareILb0ELb1EyNS0_19identity_decomposerEEEEE10hipError_tT0_T1_T2_jT3_P12ihipStream_tbPNSt15iterator_traitsISE_E10value_typeEPNSK_ISF_E10value_typeEPSG_NS1_7vsmem_tEENKUlT_SE_SF_SG_E_clIS8_S8_S9_S9_EESD_ST_SE_SF_SG_EUlST_E_NS1_11comp_targetILNS1_3genE4ELNS1_11target_archE910ELNS1_3gpuE8ELNS1_3repE0EEENS1_48merge_mergepath_partition_config_static_selectorELNS0_4arch9wavefront6targetE1EEEvSF_,@function
_ZN7rocprim17ROCPRIM_400000_NS6detail17trampoline_kernelINS0_14default_configENS1_38merge_sort_block_merge_config_selectorIyNS0_10empty_typeEEEZZNS1_27merge_sort_block_merge_implIS3_PyPS5_jNS1_19radix_merge_compareILb0ELb1EyNS0_19identity_decomposerEEEEE10hipError_tT0_T1_T2_jT3_P12ihipStream_tbPNSt15iterator_traitsISE_E10value_typeEPNSK_ISF_E10value_typeEPSG_NS1_7vsmem_tEENKUlT_SE_SF_SG_E_clIS8_S8_S9_S9_EESD_ST_SE_SF_SG_EUlST_E_NS1_11comp_targetILNS1_3genE4ELNS1_11target_archE910ELNS1_3gpuE8ELNS1_3repE0EEENS1_48merge_mergepath_partition_config_static_selectorELNS0_4arch9wavefront6targetE1EEEvSF_: ; @_ZN7rocprim17ROCPRIM_400000_NS6detail17trampoline_kernelINS0_14default_configENS1_38merge_sort_block_merge_config_selectorIyNS0_10empty_typeEEEZZNS1_27merge_sort_block_merge_implIS3_PyPS5_jNS1_19radix_merge_compareILb0ELb1EyNS0_19identity_decomposerEEEEE10hipError_tT0_T1_T2_jT3_P12ihipStream_tbPNSt15iterator_traitsISE_E10value_typeEPNSK_ISF_E10value_typeEPSG_NS1_7vsmem_tEENKUlT_SE_SF_SG_E_clIS8_S8_S9_S9_EESD_ST_SE_SF_SG_EUlST_E_NS1_11comp_targetILNS1_3genE4ELNS1_11target_archE910ELNS1_3gpuE8ELNS1_3repE0EEENS1_48merge_mergepath_partition_config_static_selectorELNS0_4arch9wavefront6targetE1EEEvSF_
; %bb.0:
	s_load_dword s0, s[4:5], 0x0
	v_lshl_or_b32 v0, s6, 7, v0
	s_waitcnt lgkmcnt(0)
	v_cmp_gt_u32_e32 vcc, s0, v0
	s_and_saveexec_b64 s[0:1], vcc
	s_cbranch_execz .LBB1161_6
; %bb.1:
	s_load_dwordx2 s[6:7], s[4:5], 0x4
	s_load_dwordx4 s[0:3], s[4:5], 0x18
	s_waitcnt lgkmcnt(0)
	s_lshr_b32 s8, s6, 9
	s_and_b32 s8, s8, 0x7ffffe
	s_add_i32 s9, s8, -1
	s_sub_i32 s8, 0, s8
	v_and_b32_e32 v1, s8, v0
	v_lshlrev_b32_e32 v1, 10, v1
	v_min_u32_e32 v2, s7, v1
	v_add_u32_e32 v1, s6, v1
	v_min_u32_e32 v4, s7, v1
	v_add_u32_e32 v1, s6, v4
	v_and_b32_e32 v3, s9, v0
	v_min_u32_e32 v1, s7, v1
	v_sub_u32_e32 v5, v1, v2
	v_lshlrev_b32_e32 v3, 10, v3
	v_min_u32_e32 v6, v5, v3
	v_sub_u32_e32 v3, v4, v2
	v_sub_u32_e32 v1, v1, v4
	v_sub_u32_e64 v1, v6, v1 clamp
	v_min_u32_e32 v7, v6, v3
	v_cmp_lt_u32_e32 vcc, v1, v7
	s_and_saveexec_b64 s[6:7], vcc
	s_cbranch_execz .LBB1161_5
; %bb.2:
	s_load_dwordx2 s[4:5], s[4:5], 0x10
	v_mov_b32_e32 v5, 0
	v_mov_b32_e32 v3, v5
	v_lshlrev_b64 v[8:9], 3, v[2:3]
	v_lshlrev_b64 v[10:11], 3, v[4:5]
	s_waitcnt lgkmcnt(0)
	v_mov_b32_e32 v12, s5
	v_add_co_u32_e32 v3, vcc, s4, v8
	v_addc_co_u32_e32 v8, vcc, v12, v9, vcc
	v_add_co_u32_e32 v9, vcc, s4, v10
	v_addc_co_u32_e32 v10, vcc, v12, v11, vcc
	s_mov_b64 s[4:5], 0
.LBB1161_3:                             ; =>This Inner Loop Header: Depth=1
	v_add_u32_e32 v4, v7, v1
	v_lshrrev_b32_e32 v4, 1, v4
	v_lshlrev_b64 v[14:15], 3, v[4:5]
	v_mov_b32_e32 v13, v5
	v_xad_u32 v12, v4, -1, v6
	v_add_co_u32_e32 v14, vcc, v3, v14
	v_addc_co_u32_e32 v15, vcc, v8, v15, vcc
	v_lshlrev_b64 v[12:13], 3, v[12:13]
	v_add_co_u32_e32 v12, vcc, v9, v12
	v_addc_co_u32_e32 v13, vcc, v10, v13, vcc
	global_load_dwordx2 v[14:15], v[14:15], off
	v_add_u32_e32 v11, 1, v4
	global_load_dwordx2 v[12:13], v[12:13], off
	s_waitcnt vmcnt(1)
	v_and_b32_e32 v15, s1, v15
	v_and_b32_e32 v14, s0, v14
	s_waitcnt vmcnt(0)
	v_and_b32_e32 v13, s1, v13
	v_and_b32_e32 v12, s0, v12
	v_cmp_gt_u64_e32 vcc, v[14:15], v[12:13]
	v_cndmask_b32_e32 v7, v7, v4, vcc
	v_cndmask_b32_e32 v1, v11, v1, vcc
	v_cmp_ge_u32_e32 vcc, v1, v7
	s_or_b64 s[4:5], vcc, s[4:5]
	s_andn2_b64 exec, exec, s[4:5]
	s_cbranch_execnz .LBB1161_3
; %bb.4:
	s_or_b64 exec, exec, s[4:5]
.LBB1161_5:
	s_or_b64 exec, exec, s[6:7]
	v_add_u32_e32 v2, v1, v2
	v_mov_b32_e32 v1, 0
	v_lshlrev_b64 v[0:1], 2, v[0:1]
	v_mov_b32_e32 v3, s3
	v_add_co_u32_e32 v0, vcc, s2, v0
	v_addc_co_u32_e32 v1, vcc, v3, v1, vcc
	global_store_dword v[0:1], v2, off
.LBB1161_6:
	s_endpgm
	.section	.rodata,"a",@progbits
	.p2align	6, 0x0
	.amdhsa_kernel _ZN7rocprim17ROCPRIM_400000_NS6detail17trampoline_kernelINS0_14default_configENS1_38merge_sort_block_merge_config_selectorIyNS0_10empty_typeEEEZZNS1_27merge_sort_block_merge_implIS3_PyPS5_jNS1_19radix_merge_compareILb0ELb1EyNS0_19identity_decomposerEEEEE10hipError_tT0_T1_T2_jT3_P12ihipStream_tbPNSt15iterator_traitsISE_E10value_typeEPNSK_ISF_E10value_typeEPSG_NS1_7vsmem_tEENKUlT_SE_SF_SG_E_clIS8_S8_S9_S9_EESD_ST_SE_SF_SG_EUlST_E_NS1_11comp_targetILNS1_3genE4ELNS1_11target_archE910ELNS1_3gpuE8ELNS1_3repE0EEENS1_48merge_mergepath_partition_config_static_selectorELNS0_4arch9wavefront6targetE1EEEvSF_
		.amdhsa_group_segment_fixed_size 0
		.amdhsa_private_segment_fixed_size 0
		.amdhsa_kernarg_size 40
		.amdhsa_user_sgpr_count 6
		.amdhsa_user_sgpr_private_segment_buffer 1
		.amdhsa_user_sgpr_dispatch_ptr 0
		.amdhsa_user_sgpr_queue_ptr 0
		.amdhsa_user_sgpr_kernarg_segment_ptr 1
		.amdhsa_user_sgpr_dispatch_id 0
		.amdhsa_user_sgpr_flat_scratch_init 0
		.amdhsa_user_sgpr_kernarg_preload_length 0
		.amdhsa_user_sgpr_kernarg_preload_offset 0
		.amdhsa_user_sgpr_private_segment_size 0
		.amdhsa_uses_dynamic_stack 0
		.amdhsa_system_sgpr_private_segment_wavefront_offset 0
		.amdhsa_system_sgpr_workgroup_id_x 1
		.amdhsa_system_sgpr_workgroup_id_y 0
		.amdhsa_system_sgpr_workgroup_id_z 0
		.amdhsa_system_sgpr_workgroup_info 0
		.amdhsa_system_vgpr_workitem_id 0
		.amdhsa_next_free_vgpr 16
		.amdhsa_next_free_sgpr 10
		.amdhsa_accum_offset 16
		.amdhsa_reserve_vcc 1
		.amdhsa_reserve_flat_scratch 0
		.amdhsa_float_round_mode_32 0
		.amdhsa_float_round_mode_16_64 0
		.amdhsa_float_denorm_mode_32 3
		.amdhsa_float_denorm_mode_16_64 3
		.amdhsa_dx10_clamp 1
		.amdhsa_ieee_mode 1
		.amdhsa_fp16_overflow 0
		.amdhsa_tg_split 0
		.amdhsa_exception_fp_ieee_invalid_op 0
		.amdhsa_exception_fp_denorm_src 0
		.amdhsa_exception_fp_ieee_div_zero 0
		.amdhsa_exception_fp_ieee_overflow 0
		.amdhsa_exception_fp_ieee_underflow 0
		.amdhsa_exception_fp_ieee_inexact 0
		.amdhsa_exception_int_div_zero 0
	.end_amdhsa_kernel
	.section	.text._ZN7rocprim17ROCPRIM_400000_NS6detail17trampoline_kernelINS0_14default_configENS1_38merge_sort_block_merge_config_selectorIyNS0_10empty_typeEEEZZNS1_27merge_sort_block_merge_implIS3_PyPS5_jNS1_19radix_merge_compareILb0ELb1EyNS0_19identity_decomposerEEEEE10hipError_tT0_T1_T2_jT3_P12ihipStream_tbPNSt15iterator_traitsISE_E10value_typeEPNSK_ISF_E10value_typeEPSG_NS1_7vsmem_tEENKUlT_SE_SF_SG_E_clIS8_S8_S9_S9_EESD_ST_SE_SF_SG_EUlST_E_NS1_11comp_targetILNS1_3genE4ELNS1_11target_archE910ELNS1_3gpuE8ELNS1_3repE0EEENS1_48merge_mergepath_partition_config_static_selectorELNS0_4arch9wavefront6targetE1EEEvSF_,"axG",@progbits,_ZN7rocprim17ROCPRIM_400000_NS6detail17trampoline_kernelINS0_14default_configENS1_38merge_sort_block_merge_config_selectorIyNS0_10empty_typeEEEZZNS1_27merge_sort_block_merge_implIS3_PyPS5_jNS1_19radix_merge_compareILb0ELb1EyNS0_19identity_decomposerEEEEE10hipError_tT0_T1_T2_jT3_P12ihipStream_tbPNSt15iterator_traitsISE_E10value_typeEPNSK_ISF_E10value_typeEPSG_NS1_7vsmem_tEENKUlT_SE_SF_SG_E_clIS8_S8_S9_S9_EESD_ST_SE_SF_SG_EUlST_E_NS1_11comp_targetILNS1_3genE4ELNS1_11target_archE910ELNS1_3gpuE8ELNS1_3repE0EEENS1_48merge_mergepath_partition_config_static_selectorELNS0_4arch9wavefront6targetE1EEEvSF_,comdat
.Lfunc_end1161:
	.size	_ZN7rocprim17ROCPRIM_400000_NS6detail17trampoline_kernelINS0_14default_configENS1_38merge_sort_block_merge_config_selectorIyNS0_10empty_typeEEEZZNS1_27merge_sort_block_merge_implIS3_PyPS5_jNS1_19radix_merge_compareILb0ELb1EyNS0_19identity_decomposerEEEEE10hipError_tT0_T1_T2_jT3_P12ihipStream_tbPNSt15iterator_traitsISE_E10value_typeEPNSK_ISF_E10value_typeEPSG_NS1_7vsmem_tEENKUlT_SE_SF_SG_E_clIS8_S8_S9_S9_EESD_ST_SE_SF_SG_EUlST_E_NS1_11comp_targetILNS1_3genE4ELNS1_11target_archE910ELNS1_3gpuE8ELNS1_3repE0EEENS1_48merge_mergepath_partition_config_static_selectorELNS0_4arch9wavefront6targetE1EEEvSF_, .Lfunc_end1161-_ZN7rocprim17ROCPRIM_400000_NS6detail17trampoline_kernelINS0_14default_configENS1_38merge_sort_block_merge_config_selectorIyNS0_10empty_typeEEEZZNS1_27merge_sort_block_merge_implIS3_PyPS5_jNS1_19radix_merge_compareILb0ELb1EyNS0_19identity_decomposerEEEEE10hipError_tT0_T1_T2_jT3_P12ihipStream_tbPNSt15iterator_traitsISE_E10value_typeEPNSK_ISF_E10value_typeEPSG_NS1_7vsmem_tEENKUlT_SE_SF_SG_E_clIS8_S8_S9_S9_EESD_ST_SE_SF_SG_EUlST_E_NS1_11comp_targetILNS1_3genE4ELNS1_11target_archE910ELNS1_3gpuE8ELNS1_3repE0EEENS1_48merge_mergepath_partition_config_static_selectorELNS0_4arch9wavefront6targetE1EEEvSF_
                                        ; -- End function
	.section	.AMDGPU.csdata,"",@progbits
; Kernel info:
; codeLenInByte = 380
; NumSgprs: 14
; NumVgprs: 16
; NumAgprs: 0
; TotalNumVgprs: 16
; ScratchSize: 0
; MemoryBound: 0
; FloatMode: 240
; IeeeMode: 1
; LDSByteSize: 0 bytes/workgroup (compile time only)
; SGPRBlocks: 1
; VGPRBlocks: 1
; NumSGPRsForWavesPerEU: 14
; NumVGPRsForWavesPerEU: 16
; AccumOffset: 16
; Occupancy: 8
; WaveLimiterHint : 0
; COMPUTE_PGM_RSRC2:SCRATCH_EN: 0
; COMPUTE_PGM_RSRC2:USER_SGPR: 6
; COMPUTE_PGM_RSRC2:TRAP_HANDLER: 0
; COMPUTE_PGM_RSRC2:TGID_X_EN: 1
; COMPUTE_PGM_RSRC2:TGID_Y_EN: 0
; COMPUTE_PGM_RSRC2:TGID_Z_EN: 0
; COMPUTE_PGM_RSRC2:TIDIG_COMP_CNT: 0
; COMPUTE_PGM_RSRC3_GFX90A:ACCUM_OFFSET: 3
; COMPUTE_PGM_RSRC3_GFX90A:TG_SPLIT: 0
	.section	.text._ZN7rocprim17ROCPRIM_400000_NS6detail17trampoline_kernelINS0_14default_configENS1_38merge_sort_block_merge_config_selectorIyNS0_10empty_typeEEEZZNS1_27merge_sort_block_merge_implIS3_PyPS5_jNS1_19radix_merge_compareILb0ELb1EyNS0_19identity_decomposerEEEEE10hipError_tT0_T1_T2_jT3_P12ihipStream_tbPNSt15iterator_traitsISE_E10value_typeEPNSK_ISF_E10value_typeEPSG_NS1_7vsmem_tEENKUlT_SE_SF_SG_E_clIS8_S8_S9_S9_EESD_ST_SE_SF_SG_EUlST_E_NS1_11comp_targetILNS1_3genE3ELNS1_11target_archE908ELNS1_3gpuE7ELNS1_3repE0EEENS1_48merge_mergepath_partition_config_static_selectorELNS0_4arch9wavefront6targetE1EEEvSF_,"axG",@progbits,_ZN7rocprim17ROCPRIM_400000_NS6detail17trampoline_kernelINS0_14default_configENS1_38merge_sort_block_merge_config_selectorIyNS0_10empty_typeEEEZZNS1_27merge_sort_block_merge_implIS3_PyPS5_jNS1_19radix_merge_compareILb0ELb1EyNS0_19identity_decomposerEEEEE10hipError_tT0_T1_T2_jT3_P12ihipStream_tbPNSt15iterator_traitsISE_E10value_typeEPNSK_ISF_E10value_typeEPSG_NS1_7vsmem_tEENKUlT_SE_SF_SG_E_clIS8_S8_S9_S9_EESD_ST_SE_SF_SG_EUlST_E_NS1_11comp_targetILNS1_3genE3ELNS1_11target_archE908ELNS1_3gpuE7ELNS1_3repE0EEENS1_48merge_mergepath_partition_config_static_selectorELNS0_4arch9wavefront6targetE1EEEvSF_,comdat
	.protected	_ZN7rocprim17ROCPRIM_400000_NS6detail17trampoline_kernelINS0_14default_configENS1_38merge_sort_block_merge_config_selectorIyNS0_10empty_typeEEEZZNS1_27merge_sort_block_merge_implIS3_PyPS5_jNS1_19radix_merge_compareILb0ELb1EyNS0_19identity_decomposerEEEEE10hipError_tT0_T1_T2_jT3_P12ihipStream_tbPNSt15iterator_traitsISE_E10value_typeEPNSK_ISF_E10value_typeEPSG_NS1_7vsmem_tEENKUlT_SE_SF_SG_E_clIS8_S8_S9_S9_EESD_ST_SE_SF_SG_EUlST_E_NS1_11comp_targetILNS1_3genE3ELNS1_11target_archE908ELNS1_3gpuE7ELNS1_3repE0EEENS1_48merge_mergepath_partition_config_static_selectorELNS0_4arch9wavefront6targetE1EEEvSF_ ; -- Begin function _ZN7rocprim17ROCPRIM_400000_NS6detail17trampoline_kernelINS0_14default_configENS1_38merge_sort_block_merge_config_selectorIyNS0_10empty_typeEEEZZNS1_27merge_sort_block_merge_implIS3_PyPS5_jNS1_19radix_merge_compareILb0ELb1EyNS0_19identity_decomposerEEEEE10hipError_tT0_T1_T2_jT3_P12ihipStream_tbPNSt15iterator_traitsISE_E10value_typeEPNSK_ISF_E10value_typeEPSG_NS1_7vsmem_tEENKUlT_SE_SF_SG_E_clIS8_S8_S9_S9_EESD_ST_SE_SF_SG_EUlST_E_NS1_11comp_targetILNS1_3genE3ELNS1_11target_archE908ELNS1_3gpuE7ELNS1_3repE0EEENS1_48merge_mergepath_partition_config_static_selectorELNS0_4arch9wavefront6targetE1EEEvSF_
	.globl	_ZN7rocprim17ROCPRIM_400000_NS6detail17trampoline_kernelINS0_14default_configENS1_38merge_sort_block_merge_config_selectorIyNS0_10empty_typeEEEZZNS1_27merge_sort_block_merge_implIS3_PyPS5_jNS1_19radix_merge_compareILb0ELb1EyNS0_19identity_decomposerEEEEE10hipError_tT0_T1_T2_jT3_P12ihipStream_tbPNSt15iterator_traitsISE_E10value_typeEPNSK_ISF_E10value_typeEPSG_NS1_7vsmem_tEENKUlT_SE_SF_SG_E_clIS8_S8_S9_S9_EESD_ST_SE_SF_SG_EUlST_E_NS1_11comp_targetILNS1_3genE3ELNS1_11target_archE908ELNS1_3gpuE7ELNS1_3repE0EEENS1_48merge_mergepath_partition_config_static_selectorELNS0_4arch9wavefront6targetE1EEEvSF_
	.p2align	8
	.type	_ZN7rocprim17ROCPRIM_400000_NS6detail17trampoline_kernelINS0_14default_configENS1_38merge_sort_block_merge_config_selectorIyNS0_10empty_typeEEEZZNS1_27merge_sort_block_merge_implIS3_PyPS5_jNS1_19radix_merge_compareILb0ELb1EyNS0_19identity_decomposerEEEEE10hipError_tT0_T1_T2_jT3_P12ihipStream_tbPNSt15iterator_traitsISE_E10value_typeEPNSK_ISF_E10value_typeEPSG_NS1_7vsmem_tEENKUlT_SE_SF_SG_E_clIS8_S8_S9_S9_EESD_ST_SE_SF_SG_EUlST_E_NS1_11comp_targetILNS1_3genE3ELNS1_11target_archE908ELNS1_3gpuE7ELNS1_3repE0EEENS1_48merge_mergepath_partition_config_static_selectorELNS0_4arch9wavefront6targetE1EEEvSF_,@function
_ZN7rocprim17ROCPRIM_400000_NS6detail17trampoline_kernelINS0_14default_configENS1_38merge_sort_block_merge_config_selectorIyNS0_10empty_typeEEEZZNS1_27merge_sort_block_merge_implIS3_PyPS5_jNS1_19radix_merge_compareILb0ELb1EyNS0_19identity_decomposerEEEEE10hipError_tT0_T1_T2_jT3_P12ihipStream_tbPNSt15iterator_traitsISE_E10value_typeEPNSK_ISF_E10value_typeEPSG_NS1_7vsmem_tEENKUlT_SE_SF_SG_E_clIS8_S8_S9_S9_EESD_ST_SE_SF_SG_EUlST_E_NS1_11comp_targetILNS1_3genE3ELNS1_11target_archE908ELNS1_3gpuE7ELNS1_3repE0EEENS1_48merge_mergepath_partition_config_static_selectorELNS0_4arch9wavefront6targetE1EEEvSF_: ; @_ZN7rocprim17ROCPRIM_400000_NS6detail17trampoline_kernelINS0_14default_configENS1_38merge_sort_block_merge_config_selectorIyNS0_10empty_typeEEEZZNS1_27merge_sort_block_merge_implIS3_PyPS5_jNS1_19radix_merge_compareILb0ELb1EyNS0_19identity_decomposerEEEEE10hipError_tT0_T1_T2_jT3_P12ihipStream_tbPNSt15iterator_traitsISE_E10value_typeEPNSK_ISF_E10value_typeEPSG_NS1_7vsmem_tEENKUlT_SE_SF_SG_E_clIS8_S8_S9_S9_EESD_ST_SE_SF_SG_EUlST_E_NS1_11comp_targetILNS1_3genE3ELNS1_11target_archE908ELNS1_3gpuE7ELNS1_3repE0EEENS1_48merge_mergepath_partition_config_static_selectorELNS0_4arch9wavefront6targetE1EEEvSF_
; %bb.0:
	.section	.rodata,"a",@progbits
	.p2align	6, 0x0
	.amdhsa_kernel _ZN7rocprim17ROCPRIM_400000_NS6detail17trampoline_kernelINS0_14default_configENS1_38merge_sort_block_merge_config_selectorIyNS0_10empty_typeEEEZZNS1_27merge_sort_block_merge_implIS3_PyPS5_jNS1_19radix_merge_compareILb0ELb1EyNS0_19identity_decomposerEEEEE10hipError_tT0_T1_T2_jT3_P12ihipStream_tbPNSt15iterator_traitsISE_E10value_typeEPNSK_ISF_E10value_typeEPSG_NS1_7vsmem_tEENKUlT_SE_SF_SG_E_clIS8_S8_S9_S9_EESD_ST_SE_SF_SG_EUlST_E_NS1_11comp_targetILNS1_3genE3ELNS1_11target_archE908ELNS1_3gpuE7ELNS1_3repE0EEENS1_48merge_mergepath_partition_config_static_selectorELNS0_4arch9wavefront6targetE1EEEvSF_
		.amdhsa_group_segment_fixed_size 0
		.amdhsa_private_segment_fixed_size 0
		.amdhsa_kernarg_size 40
		.amdhsa_user_sgpr_count 6
		.amdhsa_user_sgpr_private_segment_buffer 1
		.amdhsa_user_sgpr_dispatch_ptr 0
		.amdhsa_user_sgpr_queue_ptr 0
		.amdhsa_user_sgpr_kernarg_segment_ptr 1
		.amdhsa_user_sgpr_dispatch_id 0
		.amdhsa_user_sgpr_flat_scratch_init 0
		.amdhsa_user_sgpr_kernarg_preload_length 0
		.amdhsa_user_sgpr_kernarg_preload_offset 0
		.amdhsa_user_sgpr_private_segment_size 0
		.amdhsa_uses_dynamic_stack 0
		.amdhsa_system_sgpr_private_segment_wavefront_offset 0
		.amdhsa_system_sgpr_workgroup_id_x 1
		.amdhsa_system_sgpr_workgroup_id_y 0
		.amdhsa_system_sgpr_workgroup_id_z 0
		.amdhsa_system_sgpr_workgroup_info 0
		.amdhsa_system_vgpr_workitem_id 0
		.amdhsa_next_free_vgpr 1
		.amdhsa_next_free_sgpr 0
		.amdhsa_accum_offset 4
		.amdhsa_reserve_vcc 0
		.amdhsa_reserve_flat_scratch 0
		.amdhsa_float_round_mode_32 0
		.amdhsa_float_round_mode_16_64 0
		.amdhsa_float_denorm_mode_32 3
		.amdhsa_float_denorm_mode_16_64 3
		.amdhsa_dx10_clamp 1
		.amdhsa_ieee_mode 1
		.amdhsa_fp16_overflow 0
		.amdhsa_tg_split 0
		.amdhsa_exception_fp_ieee_invalid_op 0
		.amdhsa_exception_fp_denorm_src 0
		.amdhsa_exception_fp_ieee_div_zero 0
		.amdhsa_exception_fp_ieee_overflow 0
		.amdhsa_exception_fp_ieee_underflow 0
		.amdhsa_exception_fp_ieee_inexact 0
		.amdhsa_exception_int_div_zero 0
	.end_amdhsa_kernel
	.section	.text._ZN7rocprim17ROCPRIM_400000_NS6detail17trampoline_kernelINS0_14default_configENS1_38merge_sort_block_merge_config_selectorIyNS0_10empty_typeEEEZZNS1_27merge_sort_block_merge_implIS3_PyPS5_jNS1_19radix_merge_compareILb0ELb1EyNS0_19identity_decomposerEEEEE10hipError_tT0_T1_T2_jT3_P12ihipStream_tbPNSt15iterator_traitsISE_E10value_typeEPNSK_ISF_E10value_typeEPSG_NS1_7vsmem_tEENKUlT_SE_SF_SG_E_clIS8_S8_S9_S9_EESD_ST_SE_SF_SG_EUlST_E_NS1_11comp_targetILNS1_3genE3ELNS1_11target_archE908ELNS1_3gpuE7ELNS1_3repE0EEENS1_48merge_mergepath_partition_config_static_selectorELNS0_4arch9wavefront6targetE1EEEvSF_,"axG",@progbits,_ZN7rocprim17ROCPRIM_400000_NS6detail17trampoline_kernelINS0_14default_configENS1_38merge_sort_block_merge_config_selectorIyNS0_10empty_typeEEEZZNS1_27merge_sort_block_merge_implIS3_PyPS5_jNS1_19radix_merge_compareILb0ELb1EyNS0_19identity_decomposerEEEEE10hipError_tT0_T1_T2_jT3_P12ihipStream_tbPNSt15iterator_traitsISE_E10value_typeEPNSK_ISF_E10value_typeEPSG_NS1_7vsmem_tEENKUlT_SE_SF_SG_E_clIS8_S8_S9_S9_EESD_ST_SE_SF_SG_EUlST_E_NS1_11comp_targetILNS1_3genE3ELNS1_11target_archE908ELNS1_3gpuE7ELNS1_3repE0EEENS1_48merge_mergepath_partition_config_static_selectorELNS0_4arch9wavefront6targetE1EEEvSF_,comdat
.Lfunc_end1162:
	.size	_ZN7rocprim17ROCPRIM_400000_NS6detail17trampoline_kernelINS0_14default_configENS1_38merge_sort_block_merge_config_selectorIyNS0_10empty_typeEEEZZNS1_27merge_sort_block_merge_implIS3_PyPS5_jNS1_19radix_merge_compareILb0ELb1EyNS0_19identity_decomposerEEEEE10hipError_tT0_T1_T2_jT3_P12ihipStream_tbPNSt15iterator_traitsISE_E10value_typeEPNSK_ISF_E10value_typeEPSG_NS1_7vsmem_tEENKUlT_SE_SF_SG_E_clIS8_S8_S9_S9_EESD_ST_SE_SF_SG_EUlST_E_NS1_11comp_targetILNS1_3genE3ELNS1_11target_archE908ELNS1_3gpuE7ELNS1_3repE0EEENS1_48merge_mergepath_partition_config_static_selectorELNS0_4arch9wavefront6targetE1EEEvSF_, .Lfunc_end1162-_ZN7rocprim17ROCPRIM_400000_NS6detail17trampoline_kernelINS0_14default_configENS1_38merge_sort_block_merge_config_selectorIyNS0_10empty_typeEEEZZNS1_27merge_sort_block_merge_implIS3_PyPS5_jNS1_19radix_merge_compareILb0ELb1EyNS0_19identity_decomposerEEEEE10hipError_tT0_T1_T2_jT3_P12ihipStream_tbPNSt15iterator_traitsISE_E10value_typeEPNSK_ISF_E10value_typeEPSG_NS1_7vsmem_tEENKUlT_SE_SF_SG_E_clIS8_S8_S9_S9_EESD_ST_SE_SF_SG_EUlST_E_NS1_11comp_targetILNS1_3genE3ELNS1_11target_archE908ELNS1_3gpuE7ELNS1_3repE0EEENS1_48merge_mergepath_partition_config_static_selectorELNS0_4arch9wavefront6targetE1EEEvSF_
                                        ; -- End function
	.section	.AMDGPU.csdata,"",@progbits
; Kernel info:
; codeLenInByte = 0
; NumSgprs: 4
; NumVgprs: 0
; NumAgprs: 0
; TotalNumVgprs: 0
; ScratchSize: 0
; MemoryBound: 0
; FloatMode: 240
; IeeeMode: 1
; LDSByteSize: 0 bytes/workgroup (compile time only)
; SGPRBlocks: 0
; VGPRBlocks: 0
; NumSGPRsForWavesPerEU: 4
; NumVGPRsForWavesPerEU: 1
; AccumOffset: 4
; Occupancy: 8
; WaveLimiterHint : 0
; COMPUTE_PGM_RSRC2:SCRATCH_EN: 0
; COMPUTE_PGM_RSRC2:USER_SGPR: 6
; COMPUTE_PGM_RSRC2:TRAP_HANDLER: 0
; COMPUTE_PGM_RSRC2:TGID_X_EN: 1
; COMPUTE_PGM_RSRC2:TGID_Y_EN: 0
; COMPUTE_PGM_RSRC2:TGID_Z_EN: 0
; COMPUTE_PGM_RSRC2:TIDIG_COMP_CNT: 0
; COMPUTE_PGM_RSRC3_GFX90A:ACCUM_OFFSET: 0
; COMPUTE_PGM_RSRC3_GFX90A:TG_SPLIT: 0
	.section	.text._ZN7rocprim17ROCPRIM_400000_NS6detail17trampoline_kernelINS0_14default_configENS1_38merge_sort_block_merge_config_selectorIyNS0_10empty_typeEEEZZNS1_27merge_sort_block_merge_implIS3_PyPS5_jNS1_19radix_merge_compareILb0ELb1EyNS0_19identity_decomposerEEEEE10hipError_tT0_T1_T2_jT3_P12ihipStream_tbPNSt15iterator_traitsISE_E10value_typeEPNSK_ISF_E10value_typeEPSG_NS1_7vsmem_tEENKUlT_SE_SF_SG_E_clIS8_S8_S9_S9_EESD_ST_SE_SF_SG_EUlST_E_NS1_11comp_targetILNS1_3genE2ELNS1_11target_archE906ELNS1_3gpuE6ELNS1_3repE0EEENS1_48merge_mergepath_partition_config_static_selectorELNS0_4arch9wavefront6targetE1EEEvSF_,"axG",@progbits,_ZN7rocprim17ROCPRIM_400000_NS6detail17trampoline_kernelINS0_14default_configENS1_38merge_sort_block_merge_config_selectorIyNS0_10empty_typeEEEZZNS1_27merge_sort_block_merge_implIS3_PyPS5_jNS1_19radix_merge_compareILb0ELb1EyNS0_19identity_decomposerEEEEE10hipError_tT0_T1_T2_jT3_P12ihipStream_tbPNSt15iterator_traitsISE_E10value_typeEPNSK_ISF_E10value_typeEPSG_NS1_7vsmem_tEENKUlT_SE_SF_SG_E_clIS8_S8_S9_S9_EESD_ST_SE_SF_SG_EUlST_E_NS1_11comp_targetILNS1_3genE2ELNS1_11target_archE906ELNS1_3gpuE6ELNS1_3repE0EEENS1_48merge_mergepath_partition_config_static_selectorELNS0_4arch9wavefront6targetE1EEEvSF_,comdat
	.protected	_ZN7rocprim17ROCPRIM_400000_NS6detail17trampoline_kernelINS0_14default_configENS1_38merge_sort_block_merge_config_selectorIyNS0_10empty_typeEEEZZNS1_27merge_sort_block_merge_implIS3_PyPS5_jNS1_19radix_merge_compareILb0ELb1EyNS0_19identity_decomposerEEEEE10hipError_tT0_T1_T2_jT3_P12ihipStream_tbPNSt15iterator_traitsISE_E10value_typeEPNSK_ISF_E10value_typeEPSG_NS1_7vsmem_tEENKUlT_SE_SF_SG_E_clIS8_S8_S9_S9_EESD_ST_SE_SF_SG_EUlST_E_NS1_11comp_targetILNS1_3genE2ELNS1_11target_archE906ELNS1_3gpuE6ELNS1_3repE0EEENS1_48merge_mergepath_partition_config_static_selectorELNS0_4arch9wavefront6targetE1EEEvSF_ ; -- Begin function _ZN7rocprim17ROCPRIM_400000_NS6detail17trampoline_kernelINS0_14default_configENS1_38merge_sort_block_merge_config_selectorIyNS0_10empty_typeEEEZZNS1_27merge_sort_block_merge_implIS3_PyPS5_jNS1_19radix_merge_compareILb0ELb1EyNS0_19identity_decomposerEEEEE10hipError_tT0_T1_T2_jT3_P12ihipStream_tbPNSt15iterator_traitsISE_E10value_typeEPNSK_ISF_E10value_typeEPSG_NS1_7vsmem_tEENKUlT_SE_SF_SG_E_clIS8_S8_S9_S9_EESD_ST_SE_SF_SG_EUlST_E_NS1_11comp_targetILNS1_3genE2ELNS1_11target_archE906ELNS1_3gpuE6ELNS1_3repE0EEENS1_48merge_mergepath_partition_config_static_selectorELNS0_4arch9wavefront6targetE1EEEvSF_
	.globl	_ZN7rocprim17ROCPRIM_400000_NS6detail17trampoline_kernelINS0_14default_configENS1_38merge_sort_block_merge_config_selectorIyNS0_10empty_typeEEEZZNS1_27merge_sort_block_merge_implIS3_PyPS5_jNS1_19radix_merge_compareILb0ELb1EyNS0_19identity_decomposerEEEEE10hipError_tT0_T1_T2_jT3_P12ihipStream_tbPNSt15iterator_traitsISE_E10value_typeEPNSK_ISF_E10value_typeEPSG_NS1_7vsmem_tEENKUlT_SE_SF_SG_E_clIS8_S8_S9_S9_EESD_ST_SE_SF_SG_EUlST_E_NS1_11comp_targetILNS1_3genE2ELNS1_11target_archE906ELNS1_3gpuE6ELNS1_3repE0EEENS1_48merge_mergepath_partition_config_static_selectorELNS0_4arch9wavefront6targetE1EEEvSF_
	.p2align	8
	.type	_ZN7rocprim17ROCPRIM_400000_NS6detail17trampoline_kernelINS0_14default_configENS1_38merge_sort_block_merge_config_selectorIyNS0_10empty_typeEEEZZNS1_27merge_sort_block_merge_implIS3_PyPS5_jNS1_19radix_merge_compareILb0ELb1EyNS0_19identity_decomposerEEEEE10hipError_tT0_T1_T2_jT3_P12ihipStream_tbPNSt15iterator_traitsISE_E10value_typeEPNSK_ISF_E10value_typeEPSG_NS1_7vsmem_tEENKUlT_SE_SF_SG_E_clIS8_S8_S9_S9_EESD_ST_SE_SF_SG_EUlST_E_NS1_11comp_targetILNS1_3genE2ELNS1_11target_archE906ELNS1_3gpuE6ELNS1_3repE0EEENS1_48merge_mergepath_partition_config_static_selectorELNS0_4arch9wavefront6targetE1EEEvSF_,@function
_ZN7rocprim17ROCPRIM_400000_NS6detail17trampoline_kernelINS0_14default_configENS1_38merge_sort_block_merge_config_selectorIyNS0_10empty_typeEEEZZNS1_27merge_sort_block_merge_implIS3_PyPS5_jNS1_19radix_merge_compareILb0ELb1EyNS0_19identity_decomposerEEEEE10hipError_tT0_T1_T2_jT3_P12ihipStream_tbPNSt15iterator_traitsISE_E10value_typeEPNSK_ISF_E10value_typeEPSG_NS1_7vsmem_tEENKUlT_SE_SF_SG_E_clIS8_S8_S9_S9_EESD_ST_SE_SF_SG_EUlST_E_NS1_11comp_targetILNS1_3genE2ELNS1_11target_archE906ELNS1_3gpuE6ELNS1_3repE0EEENS1_48merge_mergepath_partition_config_static_selectorELNS0_4arch9wavefront6targetE1EEEvSF_: ; @_ZN7rocprim17ROCPRIM_400000_NS6detail17trampoline_kernelINS0_14default_configENS1_38merge_sort_block_merge_config_selectorIyNS0_10empty_typeEEEZZNS1_27merge_sort_block_merge_implIS3_PyPS5_jNS1_19radix_merge_compareILb0ELb1EyNS0_19identity_decomposerEEEEE10hipError_tT0_T1_T2_jT3_P12ihipStream_tbPNSt15iterator_traitsISE_E10value_typeEPNSK_ISF_E10value_typeEPSG_NS1_7vsmem_tEENKUlT_SE_SF_SG_E_clIS8_S8_S9_S9_EESD_ST_SE_SF_SG_EUlST_E_NS1_11comp_targetILNS1_3genE2ELNS1_11target_archE906ELNS1_3gpuE6ELNS1_3repE0EEENS1_48merge_mergepath_partition_config_static_selectorELNS0_4arch9wavefront6targetE1EEEvSF_
; %bb.0:
	.section	.rodata,"a",@progbits
	.p2align	6, 0x0
	.amdhsa_kernel _ZN7rocprim17ROCPRIM_400000_NS6detail17trampoline_kernelINS0_14default_configENS1_38merge_sort_block_merge_config_selectorIyNS0_10empty_typeEEEZZNS1_27merge_sort_block_merge_implIS3_PyPS5_jNS1_19radix_merge_compareILb0ELb1EyNS0_19identity_decomposerEEEEE10hipError_tT0_T1_T2_jT3_P12ihipStream_tbPNSt15iterator_traitsISE_E10value_typeEPNSK_ISF_E10value_typeEPSG_NS1_7vsmem_tEENKUlT_SE_SF_SG_E_clIS8_S8_S9_S9_EESD_ST_SE_SF_SG_EUlST_E_NS1_11comp_targetILNS1_3genE2ELNS1_11target_archE906ELNS1_3gpuE6ELNS1_3repE0EEENS1_48merge_mergepath_partition_config_static_selectorELNS0_4arch9wavefront6targetE1EEEvSF_
		.amdhsa_group_segment_fixed_size 0
		.amdhsa_private_segment_fixed_size 0
		.amdhsa_kernarg_size 40
		.amdhsa_user_sgpr_count 6
		.amdhsa_user_sgpr_private_segment_buffer 1
		.amdhsa_user_sgpr_dispatch_ptr 0
		.amdhsa_user_sgpr_queue_ptr 0
		.amdhsa_user_sgpr_kernarg_segment_ptr 1
		.amdhsa_user_sgpr_dispatch_id 0
		.amdhsa_user_sgpr_flat_scratch_init 0
		.amdhsa_user_sgpr_kernarg_preload_length 0
		.amdhsa_user_sgpr_kernarg_preload_offset 0
		.amdhsa_user_sgpr_private_segment_size 0
		.amdhsa_uses_dynamic_stack 0
		.amdhsa_system_sgpr_private_segment_wavefront_offset 0
		.amdhsa_system_sgpr_workgroup_id_x 1
		.amdhsa_system_sgpr_workgroup_id_y 0
		.amdhsa_system_sgpr_workgroup_id_z 0
		.amdhsa_system_sgpr_workgroup_info 0
		.amdhsa_system_vgpr_workitem_id 0
		.amdhsa_next_free_vgpr 1
		.amdhsa_next_free_sgpr 0
		.amdhsa_accum_offset 4
		.amdhsa_reserve_vcc 0
		.amdhsa_reserve_flat_scratch 0
		.amdhsa_float_round_mode_32 0
		.amdhsa_float_round_mode_16_64 0
		.amdhsa_float_denorm_mode_32 3
		.amdhsa_float_denorm_mode_16_64 3
		.amdhsa_dx10_clamp 1
		.amdhsa_ieee_mode 1
		.amdhsa_fp16_overflow 0
		.amdhsa_tg_split 0
		.amdhsa_exception_fp_ieee_invalid_op 0
		.amdhsa_exception_fp_denorm_src 0
		.amdhsa_exception_fp_ieee_div_zero 0
		.amdhsa_exception_fp_ieee_overflow 0
		.amdhsa_exception_fp_ieee_underflow 0
		.amdhsa_exception_fp_ieee_inexact 0
		.amdhsa_exception_int_div_zero 0
	.end_amdhsa_kernel
	.section	.text._ZN7rocprim17ROCPRIM_400000_NS6detail17trampoline_kernelINS0_14default_configENS1_38merge_sort_block_merge_config_selectorIyNS0_10empty_typeEEEZZNS1_27merge_sort_block_merge_implIS3_PyPS5_jNS1_19radix_merge_compareILb0ELb1EyNS0_19identity_decomposerEEEEE10hipError_tT0_T1_T2_jT3_P12ihipStream_tbPNSt15iterator_traitsISE_E10value_typeEPNSK_ISF_E10value_typeEPSG_NS1_7vsmem_tEENKUlT_SE_SF_SG_E_clIS8_S8_S9_S9_EESD_ST_SE_SF_SG_EUlST_E_NS1_11comp_targetILNS1_3genE2ELNS1_11target_archE906ELNS1_3gpuE6ELNS1_3repE0EEENS1_48merge_mergepath_partition_config_static_selectorELNS0_4arch9wavefront6targetE1EEEvSF_,"axG",@progbits,_ZN7rocprim17ROCPRIM_400000_NS6detail17trampoline_kernelINS0_14default_configENS1_38merge_sort_block_merge_config_selectorIyNS0_10empty_typeEEEZZNS1_27merge_sort_block_merge_implIS3_PyPS5_jNS1_19radix_merge_compareILb0ELb1EyNS0_19identity_decomposerEEEEE10hipError_tT0_T1_T2_jT3_P12ihipStream_tbPNSt15iterator_traitsISE_E10value_typeEPNSK_ISF_E10value_typeEPSG_NS1_7vsmem_tEENKUlT_SE_SF_SG_E_clIS8_S8_S9_S9_EESD_ST_SE_SF_SG_EUlST_E_NS1_11comp_targetILNS1_3genE2ELNS1_11target_archE906ELNS1_3gpuE6ELNS1_3repE0EEENS1_48merge_mergepath_partition_config_static_selectorELNS0_4arch9wavefront6targetE1EEEvSF_,comdat
.Lfunc_end1163:
	.size	_ZN7rocprim17ROCPRIM_400000_NS6detail17trampoline_kernelINS0_14default_configENS1_38merge_sort_block_merge_config_selectorIyNS0_10empty_typeEEEZZNS1_27merge_sort_block_merge_implIS3_PyPS5_jNS1_19radix_merge_compareILb0ELb1EyNS0_19identity_decomposerEEEEE10hipError_tT0_T1_T2_jT3_P12ihipStream_tbPNSt15iterator_traitsISE_E10value_typeEPNSK_ISF_E10value_typeEPSG_NS1_7vsmem_tEENKUlT_SE_SF_SG_E_clIS8_S8_S9_S9_EESD_ST_SE_SF_SG_EUlST_E_NS1_11comp_targetILNS1_3genE2ELNS1_11target_archE906ELNS1_3gpuE6ELNS1_3repE0EEENS1_48merge_mergepath_partition_config_static_selectorELNS0_4arch9wavefront6targetE1EEEvSF_, .Lfunc_end1163-_ZN7rocprim17ROCPRIM_400000_NS6detail17trampoline_kernelINS0_14default_configENS1_38merge_sort_block_merge_config_selectorIyNS0_10empty_typeEEEZZNS1_27merge_sort_block_merge_implIS3_PyPS5_jNS1_19radix_merge_compareILb0ELb1EyNS0_19identity_decomposerEEEEE10hipError_tT0_T1_T2_jT3_P12ihipStream_tbPNSt15iterator_traitsISE_E10value_typeEPNSK_ISF_E10value_typeEPSG_NS1_7vsmem_tEENKUlT_SE_SF_SG_E_clIS8_S8_S9_S9_EESD_ST_SE_SF_SG_EUlST_E_NS1_11comp_targetILNS1_3genE2ELNS1_11target_archE906ELNS1_3gpuE6ELNS1_3repE0EEENS1_48merge_mergepath_partition_config_static_selectorELNS0_4arch9wavefront6targetE1EEEvSF_
                                        ; -- End function
	.section	.AMDGPU.csdata,"",@progbits
; Kernel info:
; codeLenInByte = 0
; NumSgprs: 4
; NumVgprs: 0
; NumAgprs: 0
; TotalNumVgprs: 0
; ScratchSize: 0
; MemoryBound: 0
; FloatMode: 240
; IeeeMode: 1
; LDSByteSize: 0 bytes/workgroup (compile time only)
; SGPRBlocks: 0
; VGPRBlocks: 0
; NumSGPRsForWavesPerEU: 4
; NumVGPRsForWavesPerEU: 1
; AccumOffset: 4
; Occupancy: 8
; WaveLimiterHint : 0
; COMPUTE_PGM_RSRC2:SCRATCH_EN: 0
; COMPUTE_PGM_RSRC2:USER_SGPR: 6
; COMPUTE_PGM_RSRC2:TRAP_HANDLER: 0
; COMPUTE_PGM_RSRC2:TGID_X_EN: 1
; COMPUTE_PGM_RSRC2:TGID_Y_EN: 0
; COMPUTE_PGM_RSRC2:TGID_Z_EN: 0
; COMPUTE_PGM_RSRC2:TIDIG_COMP_CNT: 0
; COMPUTE_PGM_RSRC3_GFX90A:ACCUM_OFFSET: 0
; COMPUTE_PGM_RSRC3_GFX90A:TG_SPLIT: 0
	.section	.text._ZN7rocprim17ROCPRIM_400000_NS6detail17trampoline_kernelINS0_14default_configENS1_38merge_sort_block_merge_config_selectorIyNS0_10empty_typeEEEZZNS1_27merge_sort_block_merge_implIS3_PyPS5_jNS1_19radix_merge_compareILb0ELb1EyNS0_19identity_decomposerEEEEE10hipError_tT0_T1_T2_jT3_P12ihipStream_tbPNSt15iterator_traitsISE_E10value_typeEPNSK_ISF_E10value_typeEPSG_NS1_7vsmem_tEENKUlT_SE_SF_SG_E_clIS8_S8_S9_S9_EESD_ST_SE_SF_SG_EUlST_E_NS1_11comp_targetILNS1_3genE9ELNS1_11target_archE1100ELNS1_3gpuE3ELNS1_3repE0EEENS1_48merge_mergepath_partition_config_static_selectorELNS0_4arch9wavefront6targetE1EEEvSF_,"axG",@progbits,_ZN7rocprim17ROCPRIM_400000_NS6detail17trampoline_kernelINS0_14default_configENS1_38merge_sort_block_merge_config_selectorIyNS0_10empty_typeEEEZZNS1_27merge_sort_block_merge_implIS3_PyPS5_jNS1_19radix_merge_compareILb0ELb1EyNS0_19identity_decomposerEEEEE10hipError_tT0_T1_T2_jT3_P12ihipStream_tbPNSt15iterator_traitsISE_E10value_typeEPNSK_ISF_E10value_typeEPSG_NS1_7vsmem_tEENKUlT_SE_SF_SG_E_clIS8_S8_S9_S9_EESD_ST_SE_SF_SG_EUlST_E_NS1_11comp_targetILNS1_3genE9ELNS1_11target_archE1100ELNS1_3gpuE3ELNS1_3repE0EEENS1_48merge_mergepath_partition_config_static_selectorELNS0_4arch9wavefront6targetE1EEEvSF_,comdat
	.protected	_ZN7rocprim17ROCPRIM_400000_NS6detail17trampoline_kernelINS0_14default_configENS1_38merge_sort_block_merge_config_selectorIyNS0_10empty_typeEEEZZNS1_27merge_sort_block_merge_implIS3_PyPS5_jNS1_19radix_merge_compareILb0ELb1EyNS0_19identity_decomposerEEEEE10hipError_tT0_T1_T2_jT3_P12ihipStream_tbPNSt15iterator_traitsISE_E10value_typeEPNSK_ISF_E10value_typeEPSG_NS1_7vsmem_tEENKUlT_SE_SF_SG_E_clIS8_S8_S9_S9_EESD_ST_SE_SF_SG_EUlST_E_NS1_11comp_targetILNS1_3genE9ELNS1_11target_archE1100ELNS1_3gpuE3ELNS1_3repE0EEENS1_48merge_mergepath_partition_config_static_selectorELNS0_4arch9wavefront6targetE1EEEvSF_ ; -- Begin function _ZN7rocprim17ROCPRIM_400000_NS6detail17trampoline_kernelINS0_14default_configENS1_38merge_sort_block_merge_config_selectorIyNS0_10empty_typeEEEZZNS1_27merge_sort_block_merge_implIS3_PyPS5_jNS1_19radix_merge_compareILb0ELb1EyNS0_19identity_decomposerEEEEE10hipError_tT0_T1_T2_jT3_P12ihipStream_tbPNSt15iterator_traitsISE_E10value_typeEPNSK_ISF_E10value_typeEPSG_NS1_7vsmem_tEENKUlT_SE_SF_SG_E_clIS8_S8_S9_S9_EESD_ST_SE_SF_SG_EUlST_E_NS1_11comp_targetILNS1_3genE9ELNS1_11target_archE1100ELNS1_3gpuE3ELNS1_3repE0EEENS1_48merge_mergepath_partition_config_static_selectorELNS0_4arch9wavefront6targetE1EEEvSF_
	.globl	_ZN7rocprim17ROCPRIM_400000_NS6detail17trampoline_kernelINS0_14default_configENS1_38merge_sort_block_merge_config_selectorIyNS0_10empty_typeEEEZZNS1_27merge_sort_block_merge_implIS3_PyPS5_jNS1_19radix_merge_compareILb0ELb1EyNS0_19identity_decomposerEEEEE10hipError_tT0_T1_T2_jT3_P12ihipStream_tbPNSt15iterator_traitsISE_E10value_typeEPNSK_ISF_E10value_typeEPSG_NS1_7vsmem_tEENKUlT_SE_SF_SG_E_clIS8_S8_S9_S9_EESD_ST_SE_SF_SG_EUlST_E_NS1_11comp_targetILNS1_3genE9ELNS1_11target_archE1100ELNS1_3gpuE3ELNS1_3repE0EEENS1_48merge_mergepath_partition_config_static_selectorELNS0_4arch9wavefront6targetE1EEEvSF_
	.p2align	8
	.type	_ZN7rocprim17ROCPRIM_400000_NS6detail17trampoline_kernelINS0_14default_configENS1_38merge_sort_block_merge_config_selectorIyNS0_10empty_typeEEEZZNS1_27merge_sort_block_merge_implIS3_PyPS5_jNS1_19radix_merge_compareILb0ELb1EyNS0_19identity_decomposerEEEEE10hipError_tT0_T1_T2_jT3_P12ihipStream_tbPNSt15iterator_traitsISE_E10value_typeEPNSK_ISF_E10value_typeEPSG_NS1_7vsmem_tEENKUlT_SE_SF_SG_E_clIS8_S8_S9_S9_EESD_ST_SE_SF_SG_EUlST_E_NS1_11comp_targetILNS1_3genE9ELNS1_11target_archE1100ELNS1_3gpuE3ELNS1_3repE0EEENS1_48merge_mergepath_partition_config_static_selectorELNS0_4arch9wavefront6targetE1EEEvSF_,@function
_ZN7rocprim17ROCPRIM_400000_NS6detail17trampoline_kernelINS0_14default_configENS1_38merge_sort_block_merge_config_selectorIyNS0_10empty_typeEEEZZNS1_27merge_sort_block_merge_implIS3_PyPS5_jNS1_19radix_merge_compareILb0ELb1EyNS0_19identity_decomposerEEEEE10hipError_tT0_T1_T2_jT3_P12ihipStream_tbPNSt15iterator_traitsISE_E10value_typeEPNSK_ISF_E10value_typeEPSG_NS1_7vsmem_tEENKUlT_SE_SF_SG_E_clIS8_S8_S9_S9_EESD_ST_SE_SF_SG_EUlST_E_NS1_11comp_targetILNS1_3genE9ELNS1_11target_archE1100ELNS1_3gpuE3ELNS1_3repE0EEENS1_48merge_mergepath_partition_config_static_selectorELNS0_4arch9wavefront6targetE1EEEvSF_: ; @_ZN7rocprim17ROCPRIM_400000_NS6detail17trampoline_kernelINS0_14default_configENS1_38merge_sort_block_merge_config_selectorIyNS0_10empty_typeEEEZZNS1_27merge_sort_block_merge_implIS3_PyPS5_jNS1_19radix_merge_compareILb0ELb1EyNS0_19identity_decomposerEEEEE10hipError_tT0_T1_T2_jT3_P12ihipStream_tbPNSt15iterator_traitsISE_E10value_typeEPNSK_ISF_E10value_typeEPSG_NS1_7vsmem_tEENKUlT_SE_SF_SG_E_clIS8_S8_S9_S9_EESD_ST_SE_SF_SG_EUlST_E_NS1_11comp_targetILNS1_3genE9ELNS1_11target_archE1100ELNS1_3gpuE3ELNS1_3repE0EEENS1_48merge_mergepath_partition_config_static_selectorELNS0_4arch9wavefront6targetE1EEEvSF_
; %bb.0:
	.section	.rodata,"a",@progbits
	.p2align	6, 0x0
	.amdhsa_kernel _ZN7rocprim17ROCPRIM_400000_NS6detail17trampoline_kernelINS0_14default_configENS1_38merge_sort_block_merge_config_selectorIyNS0_10empty_typeEEEZZNS1_27merge_sort_block_merge_implIS3_PyPS5_jNS1_19radix_merge_compareILb0ELb1EyNS0_19identity_decomposerEEEEE10hipError_tT0_T1_T2_jT3_P12ihipStream_tbPNSt15iterator_traitsISE_E10value_typeEPNSK_ISF_E10value_typeEPSG_NS1_7vsmem_tEENKUlT_SE_SF_SG_E_clIS8_S8_S9_S9_EESD_ST_SE_SF_SG_EUlST_E_NS1_11comp_targetILNS1_3genE9ELNS1_11target_archE1100ELNS1_3gpuE3ELNS1_3repE0EEENS1_48merge_mergepath_partition_config_static_selectorELNS0_4arch9wavefront6targetE1EEEvSF_
		.amdhsa_group_segment_fixed_size 0
		.amdhsa_private_segment_fixed_size 0
		.amdhsa_kernarg_size 40
		.amdhsa_user_sgpr_count 6
		.amdhsa_user_sgpr_private_segment_buffer 1
		.amdhsa_user_sgpr_dispatch_ptr 0
		.amdhsa_user_sgpr_queue_ptr 0
		.amdhsa_user_sgpr_kernarg_segment_ptr 1
		.amdhsa_user_sgpr_dispatch_id 0
		.amdhsa_user_sgpr_flat_scratch_init 0
		.amdhsa_user_sgpr_kernarg_preload_length 0
		.amdhsa_user_sgpr_kernarg_preload_offset 0
		.amdhsa_user_sgpr_private_segment_size 0
		.amdhsa_uses_dynamic_stack 0
		.amdhsa_system_sgpr_private_segment_wavefront_offset 0
		.amdhsa_system_sgpr_workgroup_id_x 1
		.amdhsa_system_sgpr_workgroup_id_y 0
		.amdhsa_system_sgpr_workgroup_id_z 0
		.amdhsa_system_sgpr_workgroup_info 0
		.amdhsa_system_vgpr_workitem_id 0
		.amdhsa_next_free_vgpr 1
		.amdhsa_next_free_sgpr 0
		.amdhsa_accum_offset 4
		.amdhsa_reserve_vcc 0
		.amdhsa_reserve_flat_scratch 0
		.amdhsa_float_round_mode_32 0
		.amdhsa_float_round_mode_16_64 0
		.amdhsa_float_denorm_mode_32 3
		.amdhsa_float_denorm_mode_16_64 3
		.amdhsa_dx10_clamp 1
		.amdhsa_ieee_mode 1
		.amdhsa_fp16_overflow 0
		.amdhsa_tg_split 0
		.amdhsa_exception_fp_ieee_invalid_op 0
		.amdhsa_exception_fp_denorm_src 0
		.amdhsa_exception_fp_ieee_div_zero 0
		.amdhsa_exception_fp_ieee_overflow 0
		.amdhsa_exception_fp_ieee_underflow 0
		.amdhsa_exception_fp_ieee_inexact 0
		.amdhsa_exception_int_div_zero 0
	.end_amdhsa_kernel
	.section	.text._ZN7rocprim17ROCPRIM_400000_NS6detail17trampoline_kernelINS0_14default_configENS1_38merge_sort_block_merge_config_selectorIyNS0_10empty_typeEEEZZNS1_27merge_sort_block_merge_implIS3_PyPS5_jNS1_19radix_merge_compareILb0ELb1EyNS0_19identity_decomposerEEEEE10hipError_tT0_T1_T2_jT3_P12ihipStream_tbPNSt15iterator_traitsISE_E10value_typeEPNSK_ISF_E10value_typeEPSG_NS1_7vsmem_tEENKUlT_SE_SF_SG_E_clIS8_S8_S9_S9_EESD_ST_SE_SF_SG_EUlST_E_NS1_11comp_targetILNS1_3genE9ELNS1_11target_archE1100ELNS1_3gpuE3ELNS1_3repE0EEENS1_48merge_mergepath_partition_config_static_selectorELNS0_4arch9wavefront6targetE1EEEvSF_,"axG",@progbits,_ZN7rocprim17ROCPRIM_400000_NS6detail17trampoline_kernelINS0_14default_configENS1_38merge_sort_block_merge_config_selectorIyNS0_10empty_typeEEEZZNS1_27merge_sort_block_merge_implIS3_PyPS5_jNS1_19radix_merge_compareILb0ELb1EyNS0_19identity_decomposerEEEEE10hipError_tT0_T1_T2_jT3_P12ihipStream_tbPNSt15iterator_traitsISE_E10value_typeEPNSK_ISF_E10value_typeEPSG_NS1_7vsmem_tEENKUlT_SE_SF_SG_E_clIS8_S8_S9_S9_EESD_ST_SE_SF_SG_EUlST_E_NS1_11comp_targetILNS1_3genE9ELNS1_11target_archE1100ELNS1_3gpuE3ELNS1_3repE0EEENS1_48merge_mergepath_partition_config_static_selectorELNS0_4arch9wavefront6targetE1EEEvSF_,comdat
.Lfunc_end1164:
	.size	_ZN7rocprim17ROCPRIM_400000_NS6detail17trampoline_kernelINS0_14default_configENS1_38merge_sort_block_merge_config_selectorIyNS0_10empty_typeEEEZZNS1_27merge_sort_block_merge_implIS3_PyPS5_jNS1_19radix_merge_compareILb0ELb1EyNS0_19identity_decomposerEEEEE10hipError_tT0_T1_T2_jT3_P12ihipStream_tbPNSt15iterator_traitsISE_E10value_typeEPNSK_ISF_E10value_typeEPSG_NS1_7vsmem_tEENKUlT_SE_SF_SG_E_clIS8_S8_S9_S9_EESD_ST_SE_SF_SG_EUlST_E_NS1_11comp_targetILNS1_3genE9ELNS1_11target_archE1100ELNS1_3gpuE3ELNS1_3repE0EEENS1_48merge_mergepath_partition_config_static_selectorELNS0_4arch9wavefront6targetE1EEEvSF_, .Lfunc_end1164-_ZN7rocprim17ROCPRIM_400000_NS6detail17trampoline_kernelINS0_14default_configENS1_38merge_sort_block_merge_config_selectorIyNS0_10empty_typeEEEZZNS1_27merge_sort_block_merge_implIS3_PyPS5_jNS1_19radix_merge_compareILb0ELb1EyNS0_19identity_decomposerEEEEE10hipError_tT0_T1_T2_jT3_P12ihipStream_tbPNSt15iterator_traitsISE_E10value_typeEPNSK_ISF_E10value_typeEPSG_NS1_7vsmem_tEENKUlT_SE_SF_SG_E_clIS8_S8_S9_S9_EESD_ST_SE_SF_SG_EUlST_E_NS1_11comp_targetILNS1_3genE9ELNS1_11target_archE1100ELNS1_3gpuE3ELNS1_3repE0EEENS1_48merge_mergepath_partition_config_static_selectorELNS0_4arch9wavefront6targetE1EEEvSF_
                                        ; -- End function
	.section	.AMDGPU.csdata,"",@progbits
; Kernel info:
; codeLenInByte = 0
; NumSgprs: 4
; NumVgprs: 0
; NumAgprs: 0
; TotalNumVgprs: 0
; ScratchSize: 0
; MemoryBound: 0
; FloatMode: 240
; IeeeMode: 1
; LDSByteSize: 0 bytes/workgroup (compile time only)
; SGPRBlocks: 0
; VGPRBlocks: 0
; NumSGPRsForWavesPerEU: 4
; NumVGPRsForWavesPerEU: 1
; AccumOffset: 4
; Occupancy: 8
; WaveLimiterHint : 0
; COMPUTE_PGM_RSRC2:SCRATCH_EN: 0
; COMPUTE_PGM_RSRC2:USER_SGPR: 6
; COMPUTE_PGM_RSRC2:TRAP_HANDLER: 0
; COMPUTE_PGM_RSRC2:TGID_X_EN: 1
; COMPUTE_PGM_RSRC2:TGID_Y_EN: 0
; COMPUTE_PGM_RSRC2:TGID_Z_EN: 0
; COMPUTE_PGM_RSRC2:TIDIG_COMP_CNT: 0
; COMPUTE_PGM_RSRC3_GFX90A:ACCUM_OFFSET: 0
; COMPUTE_PGM_RSRC3_GFX90A:TG_SPLIT: 0
	.section	.text._ZN7rocprim17ROCPRIM_400000_NS6detail17trampoline_kernelINS0_14default_configENS1_38merge_sort_block_merge_config_selectorIyNS0_10empty_typeEEEZZNS1_27merge_sort_block_merge_implIS3_PyPS5_jNS1_19radix_merge_compareILb0ELb1EyNS0_19identity_decomposerEEEEE10hipError_tT0_T1_T2_jT3_P12ihipStream_tbPNSt15iterator_traitsISE_E10value_typeEPNSK_ISF_E10value_typeEPSG_NS1_7vsmem_tEENKUlT_SE_SF_SG_E_clIS8_S8_S9_S9_EESD_ST_SE_SF_SG_EUlST_E_NS1_11comp_targetILNS1_3genE8ELNS1_11target_archE1030ELNS1_3gpuE2ELNS1_3repE0EEENS1_48merge_mergepath_partition_config_static_selectorELNS0_4arch9wavefront6targetE1EEEvSF_,"axG",@progbits,_ZN7rocprim17ROCPRIM_400000_NS6detail17trampoline_kernelINS0_14default_configENS1_38merge_sort_block_merge_config_selectorIyNS0_10empty_typeEEEZZNS1_27merge_sort_block_merge_implIS3_PyPS5_jNS1_19radix_merge_compareILb0ELb1EyNS0_19identity_decomposerEEEEE10hipError_tT0_T1_T2_jT3_P12ihipStream_tbPNSt15iterator_traitsISE_E10value_typeEPNSK_ISF_E10value_typeEPSG_NS1_7vsmem_tEENKUlT_SE_SF_SG_E_clIS8_S8_S9_S9_EESD_ST_SE_SF_SG_EUlST_E_NS1_11comp_targetILNS1_3genE8ELNS1_11target_archE1030ELNS1_3gpuE2ELNS1_3repE0EEENS1_48merge_mergepath_partition_config_static_selectorELNS0_4arch9wavefront6targetE1EEEvSF_,comdat
	.protected	_ZN7rocprim17ROCPRIM_400000_NS6detail17trampoline_kernelINS0_14default_configENS1_38merge_sort_block_merge_config_selectorIyNS0_10empty_typeEEEZZNS1_27merge_sort_block_merge_implIS3_PyPS5_jNS1_19radix_merge_compareILb0ELb1EyNS0_19identity_decomposerEEEEE10hipError_tT0_T1_T2_jT3_P12ihipStream_tbPNSt15iterator_traitsISE_E10value_typeEPNSK_ISF_E10value_typeEPSG_NS1_7vsmem_tEENKUlT_SE_SF_SG_E_clIS8_S8_S9_S9_EESD_ST_SE_SF_SG_EUlST_E_NS1_11comp_targetILNS1_3genE8ELNS1_11target_archE1030ELNS1_3gpuE2ELNS1_3repE0EEENS1_48merge_mergepath_partition_config_static_selectorELNS0_4arch9wavefront6targetE1EEEvSF_ ; -- Begin function _ZN7rocprim17ROCPRIM_400000_NS6detail17trampoline_kernelINS0_14default_configENS1_38merge_sort_block_merge_config_selectorIyNS0_10empty_typeEEEZZNS1_27merge_sort_block_merge_implIS3_PyPS5_jNS1_19radix_merge_compareILb0ELb1EyNS0_19identity_decomposerEEEEE10hipError_tT0_T1_T2_jT3_P12ihipStream_tbPNSt15iterator_traitsISE_E10value_typeEPNSK_ISF_E10value_typeEPSG_NS1_7vsmem_tEENKUlT_SE_SF_SG_E_clIS8_S8_S9_S9_EESD_ST_SE_SF_SG_EUlST_E_NS1_11comp_targetILNS1_3genE8ELNS1_11target_archE1030ELNS1_3gpuE2ELNS1_3repE0EEENS1_48merge_mergepath_partition_config_static_selectorELNS0_4arch9wavefront6targetE1EEEvSF_
	.globl	_ZN7rocprim17ROCPRIM_400000_NS6detail17trampoline_kernelINS0_14default_configENS1_38merge_sort_block_merge_config_selectorIyNS0_10empty_typeEEEZZNS1_27merge_sort_block_merge_implIS3_PyPS5_jNS1_19radix_merge_compareILb0ELb1EyNS0_19identity_decomposerEEEEE10hipError_tT0_T1_T2_jT3_P12ihipStream_tbPNSt15iterator_traitsISE_E10value_typeEPNSK_ISF_E10value_typeEPSG_NS1_7vsmem_tEENKUlT_SE_SF_SG_E_clIS8_S8_S9_S9_EESD_ST_SE_SF_SG_EUlST_E_NS1_11comp_targetILNS1_3genE8ELNS1_11target_archE1030ELNS1_3gpuE2ELNS1_3repE0EEENS1_48merge_mergepath_partition_config_static_selectorELNS0_4arch9wavefront6targetE1EEEvSF_
	.p2align	8
	.type	_ZN7rocprim17ROCPRIM_400000_NS6detail17trampoline_kernelINS0_14default_configENS1_38merge_sort_block_merge_config_selectorIyNS0_10empty_typeEEEZZNS1_27merge_sort_block_merge_implIS3_PyPS5_jNS1_19radix_merge_compareILb0ELb1EyNS0_19identity_decomposerEEEEE10hipError_tT0_T1_T2_jT3_P12ihipStream_tbPNSt15iterator_traitsISE_E10value_typeEPNSK_ISF_E10value_typeEPSG_NS1_7vsmem_tEENKUlT_SE_SF_SG_E_clIS8_S8_S9_S9_EESD_ST_SE_SF_SG_EUlST_E_NS1_11comp_targetILNS1_3genE8ELNS1_11target_archE1030ELNS1_3gpuE2ELNS1_3repE0EEENS1_48merge_mergepath_partition_config_static_selectorELNS0_4arch9wavefront6targetE1EEEvSF_,@function
_ZN7rocprim17ROCPRIM_400000_NS6detail17trampoline_kernelINS0_14default_configENS1_38merge_sort_block_merge_config_selectorIyNS0_10empty_typeEEEZZNS1_27merge_sort_block_merge_implIS3_PyPS5_jNS1_19radix_merge_compareILb0ELb1EyNS0_19identity_decomposerEEEEE10hipError_tT0_T1_T2_jT3_P12ihipStream_tbPNSt15iterator_traitsISE_E10value_typeEPNSK_ISF_E10value_typeEPSG_NS1_7vsmem_tEENKUlT_SE_SF_SG_E_clIS8_S8_S9_S9_EESD_ST_SE_SF_SG_EUlST_E_NS1_11comp_targetILNS1_3genE8ELNS1_11target_archE1030ELNS1_3gpuE2ELNS1_3repE0EEENS1_48merge_mergepath_partition_config_static_selectorELNS0_4arch9wavefront6targetE1EEEvSF_: ; @_ZN7rocprim17ROCPRIM_400000_NS6detail17trampoline_kernelINS0_14default_configENS1_38merge_sort_block_merge_config_selectorIyNS0_10empty_typeEEEZZNS1_27merge_sort_block_merge_implIS3_PyPS5_jNS1_19radix_merge_compareILb0ELb1EyNS0_19identity_decomposerEEEEE10hipError_tT0_T1_T2_jT3_P12ihipStream_tbPNSt15iterator_traitsISE_E10value_typeEPNSK_ISF_E10value_typeEPSG_NS1_7vsmem_tEENKUlT_SE_SF_SG_E_clIS8_S8_S9_S9_EESD_ST_SE_SF_SG_EUlST_E_NS1_11comp_targetILNS1_3genE8ELNS1_11target_archE1030ELNS1_3gpuE2ELNS1_3repE0EEENS1_48merge_mergepath_partition_config_static_selectorELNS0_4arch9wavefront6targetE1EEEvSF_
; %bb.0:
	.section	.rodata,"a",@progbits
	.p2align	6, 0x0
	.amdhsa_kernel _ZN7rocprim17ROCPRIM_400000_NS6detail17trampoline_kernelINS0_14default_configENS1_38merge_sort_block_merge_config_selectorIyNS0_10empty_typeEEEZZNS1_27merge_sort_block_merge_implIS3_PyPS5_jNS1_19radix_merge_compareILb0ELb1EyNS0_19identity_decomposerEEEEE10hipError_tT0_T1_T2_jT3_P12ihipStream_tbPNSt15iterator_traitsISE_E10value_typeEPNSK_ISF_E10value_typeEPSG_NS1_7vsmem_tEENKUlT_SE_SF_SG_E_clIS8_S8_S9_S9_EESD_ST_SE_SF_SG_EUlST_E_NS1_11comp_targetILNS1_3genE8ELNS1_11target_archE1030ELNS1_3gpuE2ELNS1_3repE0EEENS1_48merge_mergepath_partition_config_static_selectorELNS0_4arch9wavefront6targetE1EEEvSF_
		.amdhsa_group_segment_fixed_size 0
		.amdhsa_private_segment_fixed_size 0
		.amdhsa_kernarg_size 40
		.amdhsa_user_sgpr_count 6
		.amdhsa_user_sgpr_private_segment_buffer 1
		.amdhsa_user_sgpr_dispatch_ptr 0
		.amdhsa_user_sgpr_queue_ptr 0
		.amdhsa_user_sgpr_kernarg_segment_ptr 1
		.amdhsa_user_sgpr_dispatch_id 0
		.amdhsa_user_sgpr_flat_scratch_init 0
		.amdhsa_user_sgpr_kernarg_preload_length 0
		.amdhsa_user_sgpr_kernarg_preload_offset 0
		.amdhsa_user_sgpr_private_segment_size 0
		.amdhsa_uses_dynamic_stack 0
		.amdhsa_system_sgpr_private_segment_wavefront_offset 0
		.amdhsa_system_sgpr_workgroup_id_x 1
		.amdhsa_system_sgpr_workgroup_id_y 0
		.amdhsa_system_sgpr_workgroup_id_z 0
		.amdhsa_system_sgpr_workgroup_info 0
		.amdhsa_system_vgpr_workitem_id 0
		.amdhsa_next_free_vgpr 1
		.amdhsa_next_free_sgpr 0
		.amdhsa_accum_offset 4
		.amdhsa_reserve_vcc 0
		.amdhsa_reserve_flat_scratch 0
		.amdhsa_float_round_mode_32 0
		.amdhsa_float_round_mode_16_64 0
		.amdhsa_float_denorm_mode_32 3
		.amdhsa_float_denorm_mode_16_64 3
		.amdhsa_dx10_clamp 1
		.amdhsa_ieee_mode 1
		.amdhsa_fp16_overflow 0
		.amdhsa_tg_split 0
		.amdhsa_exception_fp_ieee_invalid_op 0
		.amdhsa_exception_fp_denorm_src 0
		.amdhsa_exception_fp_ieee_div_zero 0
		.amdhsa_exception_fp_ieee_overflow 0
		.amdhsa_exception_fp_ieee_underflow 0
		.amdhsa_exception_fp_ieee_inexact 0
		.amdhsa_exception_int_div_zero 0
	.end_amdhsa_kernel
	.section	.text._ZN7rocprim17ROCPRIM_400000_NS6detail17trampoline_kernelINS0_14default_configENS1_38merge_sort_block_merge_config_selectorIyNS0_10empty_typeEEEZZNS1_27merge_sort_block_merge_implIS3_PyPS5_jNS1_19radix_merge_compareILb0ELb1EyNS0_19identity_decomposerEEEEE10hipError_tT0_T1_T2_jT3_P12ihipStream_tbPNSt15iterator_traitsISE_E10value_typeEPNSK_ISF_E10value_typeEPSG_NS1_7vsmem_tEENKUlT_SE_SF_SG_E_clIS8_S8_S9_S9_EESD_ST_SE_SF_SG_EUlST_E_NS1_11comp_targetILNS1_3genE8ELNS1_11target_archE1030ELNS1_3gpuE2ELNS1_3repE0EEENS1_48merge_mergepath_partition_config_static_selectorELNS0_4arch9wavefront6targetE1EEEvSF_,"axG",@progbits,_ZN7rocprim17ROCPRIM_400000_NS6detail17trampoline_kernelINS0_14default_configENS1_38merge_sort_block_merge_config_selectorIyNS0_10empty_typeEEEZZNS1_27merge_sort_block_merge_implIS3_PyPS5_jNS1_19radix_merge_compareILb0ELb1EyNS0_19identity_decomposerEEEEE10hipError_tT0_T1_T2_jT3_P12ihipStream_tbPNSt15iterator_traitsISE_E10value_typeEPNSK_ISF_E10value_typeEPSG_NS1_7vsmem_tEENKUlT_SE_SF_SG_E_clIS8_S8_S9_S9_EESD_ST_SE_SF_SG_EUlST_E_NS1_11comp_targetILNS1_3genE8ELNS1_11target_archE1030ELNS1_3gpuE2ELNS1_3repE0EEENS1_48merge_mergepath_partition_config_static_selectorELNS0_4arch9wavefront6targetE1EEEvSF_,comdat
.Lfunc_end1165:
	.size	_ZN7rocprim17ROCPRIM_400000_NS6detail17trampoline_kernelINS0_14default_configENS1_38merge_sort_block_merge_config_selectorIyNS0_10empty_typeEEEZZNS1_27merge_sort_block_merge_implIS3_PyPS5_jNS1_19radix_merge_compareILb0ELb1EyNS0_19identity_decomposerEEEEE10hipError_tT0_T1_T2_jT3_P12ihipStream_tbPNSt15iterator_traitsISE_E10value_typeEPNSK_ISF_E10value_typeEPSG_NS1_7vsmem_tEENKUlT_SE_SF_SG_E_clIS8_S8_S9_S9_EESD_ST_SE_SF_SG_EUlST_E_NS1_11comp_targetILNS1_3genE8ELNS1_11target_archE1030ELNS1_3gpuE2ELNS1_3repE0EEENS1_48merge_mergepath_partition_config_static_selectorELNS0_4arch9wavefront6targetE1EEEvSF_, .Lfunc_end1165-_ZN7rocprim17ROCPRIM_400000_NS6detail17trampoline_kernelINS0_14default_configENS1_38merge_sort_block_merge_config_selectorIyNS0_10empty_typeEEEZZNS1_27merge_sort_block_merge_implIS3_PyPS5_jNS1_19radix_merge_compareILb0ELb1EyNS0_19identity_decomposerEEEEE10hipError_tT0_T1_T2_jT3_P12ihipStream_tbPNSt15iterator_traitsISE_E10value_typeEPNSK_ISF_E10value_typeEPSG_NS1_7vsmem_tEENKUlT_SE_SF_SG_E_clIS8_S8_S9_S9_EESD_ST_SE_SF_SG_EUlST_E_NS1_11comp_targetILNS1_3genE8ELNS1_11target_archE1030ELNS1_3gpuE2ELNS1_3repE0EEENS1_48merge_mergepath_partition_config_static_selectorELNS0_4arch9wavefront6targetE1EEEvSF_
                                        ; -- End function
	.section	.AMDGPU.csdata,"",@progbits
; Kernel info:
; codeLenInByte = 0
; NumSgprs: 4
; NumVgprs: 0
; NumAgprs: 0
; TotalNumVgprs: 0
; ScratchSize: 0
; MemoryBound: 0
; FloatMode: 240
; IeeeMode: 1
; LDSByteSize: 0 bytes/workgroup (compile time only)
; SGPRBlocks: 0
; VGPRBlocks: 0
; NumSGPRsForWavesPerEU: 4
; NumVGPRsForWavesPerEU: 1
; AccumOffset: 4
; Occupancy: 8
; WaveLimiterHint : 0
; COMPUTE_PGM_RSRC2:SCRATCH_EN: 0
; COMPUTE_PGM_RSRC2:USER_SGPR: 6
; COMPUTE_PGM_RSRC2:TRAP_HANDLER: 0
; COMPUTE_PGM_RSRC2:TGID_X_EN: 1
; COMPUTE_PGM_RSRC2:TGID_Y_EN: 0
; COMPUTE_PGM_RSRC2:TGID_Z_EN: 0
; COMPUTE_PGM_RSRC2:TIDIG_COMP_CNT: 0
; COMPUTE_PGM_RSRC3_GFX90A:ACCUM_OFFSET: 0
; COMPUTE_PGM_RSRC3_GFX90A:TG_SPLIT: 0
	.section	.text._ZN7rocprim17ROCPRIM_400000_NS6detail17trampoline_kernelINS0_14default_configENS1_38merge_sort_block_merge_config_selectorIyNS0_10empty_typeEEEZZNS1_27merge_sort_block_merge_implIS3_PyPS5_jNS1_19radix_merge_compareILb0ELb1EyNS0_19identity_decomposerEEEEE10hipError_tT0_T1_T2_jT3_P12ihipStream_tbPNSt15iterator_traitsISE_E10value_typeEPNSK_ISF_E10value_typeEPSG_NS1_7vsmem_tEENKUlT_SE_SF_SG_E_clIS8_S8_S9_S9_EESD_ST_SE_SF_SG_EUlST_E0_NS1_11comp_targetILNS1_3genE0ELNS1_11target_archE4294967295ELNS1_3gpuE0ELNS1_3repE0EEENS1_38merge_mergepath_config_static_selectorELNS0_4arch9wavefront6targetE1EEEvSF_,"axG",@progbits,_ZN7rocprim17ROCPRIM_400000_NS6detail17trampoline_kernelINS0_14default_configENS1_38merge_sort_block_merge_config_selectorIyNS0_10empty_typeEEEZZNS1_27merge_sort_block_merge_implIS3_PyPS5_jNS1_19radix_merge_compareILb0ELb1EyNS0_19identity_decomposerEEEEE10hipError_tT0_T1_T2_jT3_P12ihipStream_tbPNSt15iterator_traitsISE_E10value_typeEPNSK_ISF_E10value_typeEPSG_NS1_7vsmem_tEENKUlT_SE_SF_SG_E_clIS8_S8_S9_S9_EESD_ST_SE_SF_SG_EUlST_E0_NS1_11comp_targetILNS1_3genE0ELNS1_11target_archE4294967295ELNS1_3gpuE0ELNS1_3repE0EEENS1_38merge_mergepath_config_static_selectorELNS0_4arch9wavefront6targetE1EEEvSF_,comdat
	.protected	_ZN7rocprim17ROCPRIM_400000_NS6detail17trampoline_kernelINS0_14default_configENS1_38merge_sort_block_merge_config_selectorIyNS0_10empty_typeEEEZZNS1_27merge_sort_block_merge_implIS3_PyPS5_jNS1_19radix_merge_compareILb0ELb1EyNS0_19identity_decomposerEEEEE10hipError_tT0_T1_T2_jT3_P12ihipStream_tbPNSt15iterator_traitsISE_E10value_typeEPNSK_ISF_E10value_typeEPSG_NS1_7vsmem_tEENKUlT_SE_SF_SG_E_clIS8_S8_S9_S9_EESD_ST_SE_SF_SG_EUlST_E0_NS1_11comp_targetILNS1_3genE0ELNS1_11target_archE4294967295ELNS1_3gpuE0ELNS1_3repE0EEENS1_38merge_mergepath_config_static_selectorELNS0_4arch9wavefront6targetE1EEEvSF_ ; -- Begin function _ZN7rocprim17ROCPRIM_400000_NS6detail17trampoline_kernelINS0_14default_configENS1_38merge_sort_block_merge_config_selectorIyNS0_10empty_typeEEEZZNS1_27merge_sort_block_merge_implIS3_PyPS5_jNS1_19radix_merge_compareILb0ELb1EyNS0_19identity_decomposerEEEEE10hipError_tT0_T1_T2_jT3_P12ihipStream_tbPNSt15iterator_traitsISE_E10value_typeEPNSK_ISF_E10value_typeEPSG_NS1_7vsmem_tEENKUlT_SE_SF_SG_E_clIS8_S8_S9_S9_EESD_ST_SE_SF_SG_EUlST_E0_NS1_11comp_targetILNS1_3genE0ELNS1_11target_archE4294967295ELNS1_3gpuE0ELNS1_3repE0EEENS1_38merge_mergepath_config_static_selectorELNS0_4arch9wavefront6targetE1EEEvSF_
	.globl	_ZN7rocprim17ROCPRIM_400000_NS6detail17trampoline_kernelINS0_14default_configENS1_38merge_sort_block_merge_config_selectorIyNS0_10empty_typeEEEZZNS1_27merge_sort_block_merge_implIS3_PyPS5_jNS1_19radix_merge_compareILb0ELb1EyNS0_19identity_decomposerEEEEE10hipError_tT0_T1_T2_jT3_P12ihipStream_tbPNSt15iterator_traitsISE_E10value_typeEPNSK_ISF_E10value_typeEPSG_NS1_7vsmem_tEENKUlT_SE_SF_SG_E_clIS8_S8_S9_S9_EESD_ST_SE_SF_SG_EUlST_E0_NS1_11comp_targetILNS1_3genE0ELNS1_11target_archE4294967295ELNS1_3gpuE0ELNS1_3repE0EEENS1_38merge_mergepath_config_static_selectorELNS0_4arch9wavefront6targetE1EEEvSF_
	.p2align	8
	.type	_ZN7rocprim17ROCPRIM_400000_NS6detail17trampoline_kernelINS0_14default_configENS1_38merge_sort_block_merge_config_selectorIyNS0_10empty_typeEEEZZNS1_27merge_sort_block_merge_implIS3_PyPS5_jNS1_19radix_merge_compareILb0ELb1EyNS0_19identity_decomposerEEEEE10hipError_tT0_T1_T2_jT3_P12ihipStream_tbPNSt15iterator_traitsISE_E10value_typeEPNSK_ISF_E10value_typeEPSG_NS1_7vsmem_tEENKUlT_SE_SF_SG_E_clIS8_S8_S9_S9_EESD_ST_SE_SF_SG_EUlST_E0_NS1_11comp_targetILNS1_3genE0ELNS1_11target_archE4294967295ELNS1_3gpuE0ELNS1_3repE0EEENS1_38merge_mergepath_config_static_selectorELNS0_4arch9wavefront6targetE1EEEvSF_,@function
_ZN7rocprim17ROCPRIM_400000_NS6detail17trampoline_kernelINS0_14default_configENS1_38merge_sort_block_merge_config_selectorIyNS0_10empty_typeEEEZZNS1_27merge_sort_block_merge_implIS3_PyPS5_jNS1_19radix_merge_compareILb0ELb1EyNS0_19identity_decomposerEEEEE10hipError_tT0_T1_T2_jT3_P12ihipStream_tbPNSt15iterator_traitsISE_E10value_typeEPNSK_ISF_E10value_typeEPSG_NS1_7vsmem_tEENKUlT_SE_SF_SG_E_clIS8_S8_S9_S9_EESD_ST_SE_SF_SG_EUlST_E0_NS1_11comp_targetILNS1_3genE0ELNS1_11target_archE4294967295ELNS1_3gpuE0ELNS1_3repE0EEENS1_38merge_mergepath_config_static_selectorELNS0_4arch9wavefront6targetE1EEEvSF_: ; @_ZN7rocprim17ROCPRIM_400000_NS6detail17trampoline_kernelINS0_14default_configENS1_38merge_sort_block_merge_config_selectorIyNS0_10empty_typeEEEZZNS1_27merge_sort_block_merge_implIS3_PyPS5_jNS1_19radix_merge_compareILb0ELb1EyNS0_19identity_decomposerEEEEE10hipError_tT0_T1_T2_jT3_P12ihipStream_tbPNSt15iterator_traitsISE_E10value_typeEPNSK_ISF_E10value_typeEPSG_NS1_7vsmem_tEENKUlT_SE_SF_SG_E_clIS8_S8_S9_S9_EESD_ST_SE_SF_SG_EUlST_E0_NS1_11comp_targetILNS1_3genE0ELNS1_11target_archE4294967295ELNS1_3gpuE0ELNS1_3repE0EEENS1_38merge_mergepath_config_static_selectorELNS0_4arch9wavefront6targetE1EEEvSF_
; %bb.0:
	.section	.rodata,"a",@progbits
	.p2align	6, 0x0
	.amdhsa_kernel _ZN7rocprim17ROCPRIM_400000_NS6detail17trampoline_kernelINS0_14default_configENS1_38merge_sort_block_merge_config_selectorIyNS0_10empty_typeEEEZZNS1_27merge_sort_block_merge_implIS3_PyPS5_jNS1_19radix_merge_compareILb0ELb1EyNS0_19identity_decomposerEEEEE10hipError_tT0_T1_T2_jT3_P12ihipStream_tbPNSt15iterator_traitsISE_E10value_typeEPNSK_ISF_E10value_typeEPSG_NS1_7vsmem_tEENKUlT_SE_SF_SG_E_clIS8_S8_S9_S9_EESD_ST_SE_SF_SG_EUlST_E0_NS1_11comp_targetILNS1_3genE0ELNS1_11target_archE4294967295ELNS1_3gpuE0ELNS1_3repE0EEENS1_38merge_mergepath_config_static_selectorELNS0_4arch9wavefront6targetE1EEEvSF_
		.amdhsa_group_segment_fixed_size 0
		.amdhsa_private_segment_fixed_size 0
		.amdhsa_kernarg_size 72
		.amdhsa_user_sgpr_count 6
		.amdhsa_user_sgpr_private_segment_buffer 1
		.amdhsa_user_sgpr_dispatch_ptr 0
		.amdhsa_user_sgpr_queue_ptr 0
		.amdhsa_user_sgpr_kernarg_segment_ptr 1
		.amdhsa_user_sgpr_dispatch_id 0
		.amdhsa_user_sgpr_flat_scratch_init 0
		.amdhsa_user_sgpr_kernarg_preload_length 0
		.amdhsa_user_sgpr_kernarg_preload_offset 0
		.amdhsa_user_sgpr_private_segment_size 0
		.amdhsa_uses_dynamic_stack 0
		.amdhsa_system_sgpr_private_segment_wavefront_offset 0
		.amdhsa_system_sgpr_workgroup_id_x 1
		.amdhsa_system_sgpr_workgroup_id_y 0
		.amdhsa_system_sgpr_workgroup_id_z 0
		.amdhsa_system_sgpr_workgroup_info 0
		.amdhsa_system_vgpr_workitem_id 0
		.amdhsa_next_free_vgpr 1
		.amdhsa_next_free_sgpr 0
		.amdhsa_accum_offset 4
		.amdhsa_reserve_vcc 0
		.amdhsa_reserve_flat_scratch 0
		.amdhsa_float_round_mode_32 0
		.amdhsa_float_round_mode_16_64 0
		.amdhsa_float_denorm_mode_32 3
		.amdhsa_float_denorm_mode_16_64 3
		.amdhsa_dx10_clamp 1
		.amdhsa_ieee_mode 1
		.amdhsa_fp16_overflow 0
		.amdhsa_tg_split 0
		.amdhsa_exception_fp_ieee_invalid_op 0
		.amdhsa_exception_fp_denorm_src 0
		.amdhsa_exception_fp_ieee_div_zero 0
		.amdhsa_exception_fp_ieee_overflow 0
		.amdhsa_exception_fp_ieee_underflow 0
		.amdhsa_exception_fp_ieee_inexact 0
		.amdhsa_exception_int_div_zero 0
	.end_amdhsa_kernel
	.section	.text._ZN7rocprim17ROCPRIM_400000_NS6detail17trampoline_kernelINS0_14default_configENS1_38merge_sort_block_merge_config_selectorIyNS0_10empty_typeEEEZZNS1_27merge_sort_block_merge_implIS3_PyPS5_jNS1_19radix_merge_compareILb0ELb1EyNS0_19identity_decomposerEEEEE10hipError_tT0_T1_T2_jT3_P12ihipStream_tbPNSt15iterator_traitsISE_E10value_typeEPNSK_ISF_E10value_typeEPSG_NS1_7vsmem_tEENKUlT_SE_SF_SG_E_clIS8_S8_S9_S9_EESD_ST_SE_SF_SG_EUlST_E0_NS1_11comp_targetILNS1_3genE0ELNS1_11target_archE4294967295ELNS1_3gpuE0ELNS1_3repE0EEENS1_38merge_mergepath_config_static_selectorELNS0_4arch9wavefront6targetE1EEEvSF_,"axG",@progbits,_ZN7rocprim17ROCPRIM_400000_NS6detail17trampoline_kernelINS0_14default_configENS1_38merge_sort_block_merge_config_selectorIyNS0_10empty_typeEEEZZNS1_27merge_sort_block_merge_implIS3_PyPS5_jNS1_19radix_merge_compareILb0ELb1EyNS0_19identity_decomposerEEEEE10hipError_tT0_T1_T2_jT3_P12ihipStream_tbPNSt15iterator_traitsISE_E10value_typeEPNSK_ISF_E10value_typeEPSG_NS1_7vsmem_tEENKUlT_SE_SF_SG_E_clIS8_S8_S9_S9_EESD_ST_SE_SF_SG_EUlST_E0_NS1_11comp_targetILNS1_3genE0ELNS1_11target_archE4294967295ELNS1_3gpuE0ELNS1_3repE0EEENS1_38merge_mergepath_config_static_selectorELNS0_4arch9wavefront6targetE1EEEvSF_,comdat
.Lfunc_end1166:
	.size	_ZN7rocprim17ROCPRIM_400000_NS6detail17trampoline_kernelINS0_14default_configENS1_38merge_sort_block_merge_config_selectorIyNS0_10empty_typeEEEZZNS1_27merge_sort_block_merge_implIS3_PyPS5_jNS1_19radix_merge_compareILb0ELb1EyNS0_19identity_decomposerEEEEE10hipError_tT0_T1_T2_jT3_P12ihipStream_tbPNSt15iterator_traitsISE_E10value_typeEPNSK_ISF_E10value_typeEPSG_NS1_7vsmem_tEENKUlT_SE_SF_SG_E_clIS8_S8_S9_S9_EESD_ST_SE_SF_SG_EUlST_E0_NS1_11comp_targetILNS1_3genE0ELNS1_11target_archE4294967295ELNS1_3gpuE0ELNS1_3repE0EEENS1_38merge_mergepath_config_static_selectorELNS0_4arch9wavefront6targetE1EEEvSF_, .Lfunc_end1166-_ZN7rocprim17ROCPRIM_400000_NS6detail17trampoline_kernelINS0_14default_configENS1_38merge_sort_block_merge_config_selectorIyNS0_10empty_typeEEEZZNS1_27merge_sort_block_merge_implIS3_PyPS5_jNS1_19radix_merge_compareILb0ELb1EyNS0_19identity_decomposerEEEEE10hipError_tT0_T1_T2_jT3_P12ihipStream_tbPNSt15iterator_traitsISE_E10value_typeEPNSK_ISF_E10value_typeEPSG_NS1_7vsmem_tEENKUlT_SE_SF_SG_E_clIS8_S8_S9_S9_EESD_ST_SE_SF_SG_EUlST_E0_NS1_11comp_targetILNS1_3genE0ELNS1_11target_archE4294967295ELNS1_3gpuE0ELNS1_3repE0EEENS1_38merge_mergepath_config_static_selectorELNS0_4arch9wavefront6targetE1EEEvSF_
                                        ; -- End function
	.section	.AMDGPU.csdata,"",@progbits
; Kernel info:
; codeLenInByte = 0
; NumSgprs: 4
; NumVgprs: 0
; NumAgprs: 0
; TotalNumVgprs: 0
; ScratchSize: 0
; MemoryBound: 0
; FloatMode: 240
; IeeeMode: 1
; LDSByteSize: 0 bytes/workgroup (compile time only)
; SGPRBlocks: 0
; VGPRBlocks: 0
; NumSGPRsForWavesPerEU: 4
; NumVGPRsForWavesPerEU: 1
; AccumOffset: 4
; Occupancy: 8
; WaveLimiterHint : 0
; COMPUTE_PGM_RSRC2:SCRATCH_EN: 0
; COMPUTE_PGM_RSRC2:USER_SGPR: 6
; COMPUTE_PGM_RSRC2:TRAP_HANDLER: 0
; COMPUTE_PGM_RSRC2:TGID_X_EN: 1
; COMPUTE_PGM_RSRC2:TGID_Y_EN: 0
; COMPUTE_PGM_RSRC2:TGID_Z_EN: 0
; COMPUTE_PGM_RSRC2:TIDIG_COMP_CNT: 0
; COMPUTE_PGM_RSRC3_GFX90A:ACCUM_OFFSET: 0
; COMPUTE_PGM_RSRC3_GFX90A:TG_SPLIT: 0
	.section	.text._ZN7rocprim17ROCPRIM_400000_NS6detail17trampoline_kernelINS0_14default_configENS1_38merge_sort_block_merge_config_selectorIyNS0_10empty_typeEEEZZNS1_27merge_sort_block_merge_implIS3_PyPS5_jNS1_19radix_merge_compareILb0ELb1EyNS0_19identity_decomposerEEEEE10hipError_tT0_T1_T2_jT3_P12ihipStream_tbPNSt15iterator_traitsISE_E10value_typeEPNSK_ISF_E10value_typeEPSG_NS1_7vsmem_tEENKUlT_SE_SF_SG_E_clIS8_S8_S9_S9_EESD_ST_SE_SF_SG_EUlST_E0_NS1_11comp_targetILNS1_3genE10ELNS1_11target_archE1201ELNS1_3gpuE5ELNS1_3repE0EEENS1_38merge_mergepath_config_static_selectorELNS0_4arch9wavefront6targetE1EEEvSF_,"axG",@progbits,_ZN7rocprim17ROCPRIM_400000_NS6detail17trampoline_kernelINS0_14default_configENS1_38merge_sort_block_merge_config_selectorIyNS0_10empty_typeEEEZZNS1_27merge_sort_block_merge_implIS3_PyPS5_jNS1_19radix_merge_compareILb0ELb1EyNS0_19identity_decomposerEEEEE10hipError_tT0_T1_T2_jT3_P12ihipStream_tbPNSt15iterator_traitsISE_E10value_typeEPNSK_ISF_E10value_typeEPSG_NS1_7vsmem_tEENKUlT_SE_SF_SG_E_clIS8_S8_S9_S9_EESD_ST_SE_SF_SG_EUlST_E0_NS1_11comp_targetILNS1_3genE10ELNS1_11target_archE1201ELNS1_3gpuE5ELNS1_3repE0EEENS1_38merge_mergepath_config_static_selectorELNS0_4arch9wavefront6targetE1EEEvSF_,comdat
	.protected	_ZN7rocprim17ROCPRIM_400000_NS6detail17trampoline_kernelINS0_14default_configENS1_38merge_sort_block_merge_config_selectorIyNS0_10empty_typeEEEZZNS1_27merge_sort_block_merge_implIS3_PyPS5_jNS1_19radix_merge_compareILb0ELb1EyNS0_19identity_decomposerEEEEE10hipError_tT0_T1_T2_jT3_P12ihipStream_tbPNSt15iterator_traitsISE_E10value_typeEPNSK_ISF_E10value_typeEPSG_NS1_7vsmem_tEENKUlT_SE_SF_SG_E_clIS8_S8_S9_S9_EESD_ST_SE_SF_SG_EUlST_E0_NS1_11comp_targetILNS1_3genE10ELNS1_11target_archE1201ELNS1_3gpuE5ELNS1_3repE0EEENS1_38merge_mergepath_config_static_selectorELNS0_4arch9wavefront6targetE1EEEvSF_ ; -- Begin function _ZN7rocprim17ROCPRIM_400000_NS6detail17trampoline_kernelINS0_14default_configENS1_38merge_sort_block_merge_config_selectorIyNS0_10empty_typeEEEZZNS1_27merge_sort_block_merge_implIS3_PyPS5_jNS1_19radix_merge_compareILb0ELb1EyNS0_19identity_decomposerEEEEE10hipError_tT0_T1_T2_jT3_P12ihipStream_tbPNSt15iterator_traitsISE_E10value_typeEPNSK_ISF_E10value_typeEPSG_NS1_7vsmem_tEENKUlT_SE_SF_SG_E_clIS8_S8_S9_S9_EESD_ST_SE_SF_SG_EUlST_E0_NS1_11comp_targetILNS1_3genE10ELNS1_11target_archE1201ELNS1_3gpuE5ELNS1_3repE0EEENS1_38merge_mergepath_config_static_selectorELNS0_4arch9wavefront6targetE1EEEvSF_
	.globl	_ZN7rocprim17ROCPRIM_400000_NS6detail17trampoline_kernelINS0_14default_configENS1_38merge_sort_block_merge_config_selectorIyNS0_10empty_typeEEEZZNS1_27merge_sort_block_merge_implIS3_PyPS5_jNS1_19radix_merge_compareILb0ELb1EyNS0_19identity_decomposerEEEEE10hipError_tT0_T1_T2_jT3_P12ihipStream_tbPNSt15iterator_traitsISE_E10value_typeEPNSK_ISF_E10value_typeEPSG_NS1_7vsmem_tEENKUlT_SE_SF_SG_E_clIS8_S8_S9_S9_EESD_ST_SE_SF_SG_EUlST_E0_NS1_11comp_targetILNS1_3genE10ELNS1_11target_archE1201ELNS1_3gpuE5ELNS1_3repE0EEENS1_38merge_mergepath_config_static_selectorELNS0_4arch9wavefront6targetE1EEEvSF_
	.p2align	8
	.type	_ZN7rocprim17ROCPRIM_400000_NS6detail17trampoline_kernelINS0_14default_configENS1_38merge_sort_block_merge_config_selectorIyNS0_10empty_typeEEEZZNS1_27merge_sort_block_merge_implIS3_PyPS5_jNS1_19radix_merge_compareILb0ELb1EyNS0_19identity_decomposerEEEEE10hipError_tT0_T1_T2_jT3_P12ihipStream_tbPNSt15iterator_traitsISE_E10value_typeEPNSK_ISF_E10value_typeEPSG_NS1_7vsmem_tEENKUlT_SE_SF_SG_E_clIS8_S8_S9_S9_EESD_ST_SE_SF_SG_EUlST_E0_NS1_11comp_targetILNS1_3genE10ELNS1_11target_archE1201ELNS1_3gpuE5ELNS1_3repE0EEENS1_38merge_mergepath_config_static_selectorELNS0_4arch9wavefront6targetE1EEEvSF_,@function
_ZN7rocprim17ROCPRIM_400000_NS6detail17trampoline_kernelINS0_14default_configENS1_38merge_sort_block_merge_config_selectorIyNS0_10empty_typeEEEZZNS1_27merge_sort_block_merge_implIS3_PyPS5_jNS1_19radix_merge_compareILb0ELb1EyNS0_19identity_decomposerEEEEE10hipError_tT0_T1_T2_jT3_P12ihipStream_tbPNSt15iterator_traitsISE_E10value_typeEPNSK_ISF_E10value_typeEPSG_NS1_7vsmem_tEENKUlT_SE_SF_SG_E_clIS8_S8_S9_S9_EESD_ST_SE_SF_SG_EUlST_E0_NS1_11comp_targetILNS1_3genE10ELNS1_11target_archE1201ELNS1_3gpuE5ELNS1_3repE0EEENS1_38merge_mergepath_config_static_selectorELNS0_4arch9wavefront6targetE1EEEvSF_: ; @_ZN7rocprim17ROCPRIM_400000_NS6detail17trampoline_kernelINS0_14default_configENS1_38merge_sort_block_merge_config_selectorIyNS0_10empty_typeEEEZZNS1_27merge_sort_block_merge_implIS3_PyPS5_jNS1_19radix_merge_compareILb0ELb1EyNS0_19identity_decomposerEEEEE10hipError_tT0_T1_T2_jT3_P12ihipStream_tbPNSt15iterator_traitsISE_E10value_typeEPNSK_ISF_E10value_typeEPSG_NS1_7vsmem_tEENKUlT_SE_SF_SG_E_clIS8_S8_S9_S9_EESD_ST_SE_SF_SG_EUlST_E0_NS1_11comp_targetILNS1_3genE10ELNS1_11target_archE1201ELNS1_3gpuE5ELNS1_3repE0EEENS1_38merge_mergepath_config_static_selectorELNS0_4arch9wavefront6targetE1EEEvSF_
; %bb.0:
	.section	.rodata,"a",@progbits
	.p2align	6, 0x0
	.amdhsa_kernel _ZN7rocprim17ROCPRIM_400000_NS6detail17trampoline_kernelINS0_14default_configENS1_38merge_sort_block_merge_config_selectorIyNS0_10empty_typeEEEZZNS1_27merge_sort_block_merge_implIS3_PyPS5_jNS1_19radix_merge_compareILb0ELb1EyNS0_19identity_decomposerEEEEE10hipError_tT0_T1_T2_jT3_P12ihipStream_tbPNSt15iterator_traitsISE_E10value_typeEPNSK_ISF_E10value_typeEPSG_NS1_7vsmem_tEENKUlT_SE_SF_SG_E_clIS8_S8_S9_S9_EESD_ST_SE_SF_SG_EUlST_E0_NS1_11comp_targetILNS1_3genE10ELNS1_11target_archE1201ELNS1_3gpuE5ELNS1_3repE0EEENS1_38merge_mergepath_config_static_selectorELNS0_4arch9wavefront6targetE1EEEvSF_
		.amdhsa_group_segment_fixed_size 0
		.amdhsa_private_segment_fixed_size 0
		.amdhsa_kernarg_size 72
		.amdhsa_user_sgpr_count 6
		.amdhsa_user_sgpr_private_segment_buffer 1
		.amdhsa_user_sgpr_dispatch_ptr 0
		.amdhsa_user_sgpr_queue_ptr 0
		.amdhsa_user_sgpr_kernarg_segment_ptr 1
		.amdhsa_user_sgpr_dispatch_id 0
		.amdhsa_user_sgpr_flat_scratch_init 0
		.amdhsa_user_sgpr_kernarg_preload_length 0
		.amdhsa_user_sgpr_kernarg_preload_offset 0
		.amdhsa_user_sgpr_private_segment_size 0
		.amdhsa_uses_dynamic_stack 0
		.amdhsa_system_sgpr_private_segment_wavefront_offset 0
		.amdhsa_system_sgpr_workgroup_id_x 1
		.amdhsa_system_sgpr_workgroup_id_y 0
		.amdhsa_system_sgpr_workgroup_id_z 0
		.amdhsa_system_sgpr_workgroup_info 0
		.amdhsa_system_vgpr_workitem_id 0
		.amdhsa_next_free_vgpr 1
		.amdhsa_next_free_sgpr 0
		.amdhsa_accum_offset 4
		.amdhsa_reserve_vcc 0
		.amdhsa_reserve_flat_scratch 0
		.amdhsa_float_round_mode_32 0
		.amdhsa_float_round_mode_16_64 0
		.amdhsa_float_denorm_mode_32 3
		.amdhsa_float_denorm_mode_16_64 3
		.amdhsa_dx10_clamp 1
		.amdhsa_ieee_mode 1
		.amdhsa_fp16_overflow 0
		.amdhsa_tg_split 0
		.amdhsa_exception_fp_ieee_invalid_op 0
		.amdhsa_exception_fp_denorm_src 0
		.amdhsa_exception_fp_ieee_div_zero 0
		.amdhsa_exception_fp_ieee_overflow 0
		.amdhsa_exception_fp_ieee_underflow 0
		.amdhsa_exception_fp_ieee_inexact 0
		.amdhsa_exception_int_div_zero 0
	.end_amdhsa_kernel
	.section	.text._ZN7rocprim17ROCPRIM_400000_NS6detail17trampoline_kernelINS0_14default_configENS1_38merge_sort_block_merge_config_selectorIyNS0_10empty_typeEEEZZNS1_27merge_sort_block_merge_implIS3_PyPS5_jNS1_19radix_merge_compareILb0ELb1EyNS0_19identity_decomposerEEEEE10hipError_tT0_T1_T2_jT3_P12ihipStream_tbPNSt15iterator_traitsISE_E10value_typeEPNSK_ISF_E10value_typeEPSG_NS1_7vsmem_tEENKUlT_SE_SF_SG_E_clIS8_S8_S9_S9_EESD_ST_SE_SF_SG_EUlST_E0_NS1_11comp_targetILNS1_3genE10ELNS1_11target_archE1201ELNS1_3gpuE5ELNS1_3repE0EEENS1_38merge_mergepath_config_static_selectorELNS0_4arch9wavefront6targetE1EEEvSF_,"axG",@progbits,_ZN7rocprim17ROCPRIM_400000_NS6detail17trampoline_kernelINS0_14default_configENS1_38merge_sort_block_merge_config_selectorIyNS0_10empty_typeEEEZZNS1_27merge_sort_block_merge_implIS3_PyPS5_jNS1_19radix_merge_compareILb0ELb1EyNS0_19identity_decomposerEEEEE10hipError_tT0_T1_T2_jT3_P12ihipStream_tbPNSt15iterator_traitsISE_E10value_typeEPNSK_ISF_E10value_typeEPSG_NS1_7vsmem_tEENKUlT_SE_SF_SG_E_clIS8_S8_S9_S9_EESD_ST_SE_SF_SG_EUlST_E0_NS1_11comp_targetILNS1_3genE10ELNS1_11target_archE1201ELNS1_3gpuE5ELNS1_3repE0EEENS1_38merge_mergepath_config_static_selectorELNS0_4arch9wavefront6targetE1EEEvSF_,comdat
.Lfunc_end1167:
	.size	_ZN7rocprim17ROCPRIM_400000_NS6detail17trampoline_kernelINS0_14default_configENS1_38merge_sort_block_merge_config_selectorIyNS0_10empty_typeEEEZZNS1_27merge_sort_block_merge_implIS3_PyPS5_jNS1_19radix_merge_compareILb0ELb1EyNS0_19identity_decomposerEEEEE10hipError_tT0_T1_T2_jT3_P12ihipStream_tbPNSt15iterator_traitsISE_E10value_typeEPNSK_ISF_E10value_typeEPSG_NS1_7vsmem_tEENKUlT_SE_SF_SG_E_clIS8_S8_S9_S9_EESD_ST_SE_SF_SG_EUlST_E0_NS1_11comp_targetILNS1_3genE10ELNS1_11target_archE1201ELNS1_3gpuE5ELNS1_3repE0EEENS1_38merge_mergepath_config_static_selectorELNS0_4arch9wavefront6targetE1EEEvSF_, .Lfunc_end1167-_ZN7rocprim17ROCPRIM_400000_NS6detail17trampoline_kernelINS0_14default_configENS1_38merge_sort_block_merge_config_selectorIyNS0_10empty_typeEEEZZNS1_27merge_sort_block_merge_implIS3_PyPS5_jNS1_19radix_merge_compareILb0ELb1EyNS0_19identity_decomposerEEEEE10hipError_tT0_T1_T2_jT3_P12ihipStream_tbPNSt15iterator_traitsISE_E10value_typeEPNSK_ISF_E10value_typeEPSG_NS1_7vsmem_tEENKUlT_SE_SF_SG_E_clIS8_S8_S9_S9_EESD_ST_SE_SF_SG_EUlST_E0_NS1_11comp_targetILNS1_3genE10ELNS1_11target_archE1201ELNS1_3gpuE5ELNS1_3repE0EEENS1_38merge_mergepath_config_static_selectorELNS0_4arch9wavefront6targetE1EEEvSF_
                                        ; -- End function
	.section	.AMDGPU.csdata,"",@progbits
; Kernel info:
; codeLenInByte = 0
; NumSgprs: 4
; NumVgprs: 0
; NumAgprs: 0
; TotalNumVgprs: 0
; ScratchSize: 0
; MemoryBound: 0
; FloatMode: 240
; IeeeMode: 1
; LDSByteSize: 0 bytes/workgroup (compile time only)
; SGPRBlocks: 0
; VGPRBlocks: 0
; NumSGPRsForWavesPerEU: 4
; NumVGPRsForWavesPerEU: 1
; AccumOffset: 4
; Occupancy: 8
; WaveLimiterHint : 0
; COMPUTE_PGM_RSRC2:SCRATCH_EN: 0
; COMPUTE_PGM_RSRC2:USER_SGPR: 6
; COMPUTE_PGM_RSRC2:TRAP_HANDLER: 0
; COMPUTE_PGM_RSRC2:TGID_X_EN: 1
; COMPUTE_PGM_RSRC2:TGID_Y_EN: 0
; COMPUTE_PGM_RSRC2:TGID_Z_EN: 0
; COMPUTE_PGM_RSRC2:TIDIG_COMP_CNT: 0
; COMPUTE_PGM_RSRC3_GFX90A:ACCUM_OFFSET: 0
; COMPUTE_PGM_RSRC3_GFX90A:TG_SPLIT: 0
	.section	.text._ZN7rocprim17ROCPRIM_400000_NS6detail17trampoline_kernelINS0_14default_configENS1_38merge_sort_block_merge_config_selectorIyNS0_10empty_typeEEEZZNS1_27merge_sort_block_merge_implIS3_PyPS5_jNS1_19radix_merge_compareILb0ELb1EyNS0_19identity_decomposerEEEEE10hipError_tT0_T1_T2_jT3_P12ihipStream_tbPNSt15iterator_traitsISE_E10value_typeEPNSK_ISF_E10value_typeEPSG_NS1_7vsmem_tEENKUlT_SE_SF_SG_E_clIS8_S8_S9_S9_EESD_ST_SE_SF_SG_EUlST_E0_NS1_11comp_targetILNS1_3genE5ELNS1_11target_archE942ELNS1_3gpuE9ELNS1_3repE0EEENS1_38merge_mergepath_config_static_selectorELNS0_4arch9wavefront6targetE1EEEvSF_,"axG",@progbits,_ZN7rocprim17ROCPRIM_400000_NS6detail17trampoline_kernelINS0_14default_configENS1_38merge_sort_block_merge_config_selectorIyNS0_10empty_typeEEEZZNS1_27merge_sort_block_merge_implIS3_PyPS5_jNS1_19radix_merge_compareILb0ELb1EyNS0_19identity_decomposerEEEEE10hipError_tT0_T1_T2_jT3_P12ihipStream_tbPNSt15iterator_traitsISE_E10value_typeEPNSK_ISF_E10value_typeEPSG_NS1_7vsmem_tEENKUlT_SE_SF_SG_E_clIS8_S8_S9_S9_EESD_ST_SE_SF_SG_EUlST_E0_NS1_11comp_targetILNS1_3genE5ELNS1_11target_archE942ELNS1_3gpuE9ELNS1_3repE0EEENS1_38merge_mergepath_config_static_selectorELNS0_4arch9wavefront6targetE1EEEvSF_,comdat
	.protected	_ZN7rocprim17ROCPRIM_400000_NS6detail17trampoline_kernelINS0_14default_configENS1_38merge_sort_block_merge_config_selectorIyNS0_10empty_typeEEEZZNS1_27merge_sort_block_merge_implIS3_PyPS5_jNS1_19radix_merge_compareILb0ELb1EyNS0_19identity_decomposerEEEEE10hipError_tT0_T1_T2_jT3_P12ihipStream_tbPNSt15iterator_traitsISE_E10value_typeEPNSK_ISF_E10value_typeEPSG_NS1_7vsmem_tEENKUlT_SE_SF_SG_E_clIS8_S8_S9_S9_EESD_ST_SE_SF_SG_EUlST_E0_NS1_11comp_targetILNS1_3genE5ELNS1_11target_archE942ELNS1_3gpuE9ELNS1_3repE0EEENS1_38merge_mergepath_config_static_selectorELNS0_4arch9wavefront6targetE1EEEvSF_ ; -- Begin function _ZN7rocprim17ROCPRIM_400000_NS6detail17trampoline_kernelINS0_14default_configENS1_38merge_sort_block_merge_config_selectorIyNS0_10empty_typeEEEZZNS1_27merge_sort_block_merge_implIS3_PyPS5_jNS1_19radix_merge_compareILb0ELb1EyNS0_19identity_decomposerEEEEE10hipError_tT0_T1_T2_jT3_P12ihipStream_tbPNSt15iterator_traitsISE_E10value_typeEPNSK_ISF_E10value_typeEPSG_NS1_7vsmem_tEENKUlT_SE_SF_SG_E_clIS8_S8_S9_S9_EESD_ST_SE_SF_SG_EUlST_E0_NS1_11comp_targetILNS1_3genE5ELNS1_11target_archE942ELNS1_3gpuE9ELNS1_3repE0EEENS1_38merge_mergepath_config_static_selectorELNS0_4arch9wavefront6targetE1EEEvSF_
	.globl	_ZN7rocprim17ROCPRIM_400000_NS6detail17trampoline_kernelINS0_14default_configENS1_38merge_sort_block_merge_config_selectorIyNS0_10empty_typeEEEZZNS1_27merge_sort_block_merge_implIS3_PyPS5_jNS1_19radix_merge_compareILb0ELb1EyNS0_19identity_decomposerEEEEE10hipError_tT0_T1_T2_jT3_P12ihipStream_tbPNSt15iterator_traitsISE_E10value_typeEPNSK_ISF_E10value_typeEPSG_NS1_7vsmem_tEENKUlT_SE_SF_SG_E_clIS8_S8_S9_S9_EESD_ST_SE_SF_SG_EUlST_E0_NS1_11comp_targetILNS1_3genE5ELNS1_11target_archE942ELNS1_3gpuE9ELNS1_3repE0EEENS1_38merge_mergepath_config_static_selectorELNS0_4arch9wavefront6targetE1EEEvSF_
	.p2align	8
	.type	_ZN7rocprim17ROCPRIM_400000_NS6detail17trampoline_kernelINS0_14default_configENS1_38merge_sort_block_merge_config_selectorIyNS0_10empty_typeEEEZZNS1_27merge_sort_block_merge_implIS3_PyPS5_jNS1_19radix_merge_compareILb0ELb1EyNS0_19identity_decomposerEEEEE10hipError_tT0_T1_T2_jT3_P12ihipStream_tbPNSt15iterator_traitsISE_E10value_typeEPNSK_ISF_E10value_typeEPSG_NS1_7vsmem_tEENKUlT_SE_SF_SG_E_clIS8_S8_S9_S9_EESD_ST_SE_SF_SG_EUlST_E0_NS1_11comp_targetILNS1_3genE5ELNS1_11target_archE942ELNS1_3gpuE9ELNS1_3repE0EEENS1_38merge_mergepath_config_static_selectorELNS0_4arch9wavefront6targetE1EEEvSF_,@function
_ZN7rocprim17ROCPRIM_400000_NS6detail17trampoline_kernelINS0_14default_configENS1_38merge_sort_block_merge_config_selectorIyNS0_10empty_typeEEEZZNS1_27merge_sort_block_merge_implIS3_PyPS5_jNS1_19radix_merge_compareILb0ELb1EyNS0_19identity_decomposerEEEEE10hipError_tT0_T1_T2_jT3_P12ihipStream_tbPNSt15iterator_traitsISE_E10value_typeEPNSK_ISF_E10value_typeEPSG_NS1_7vsmem_tEENKUlT_SE_SF_SG_E_clIS8_S8_S9_S9_EESD_ST_SE_SF_SG_EUlST_E0_NS1_11comp_targetILNS1_3genE5ELNS1_11target_archE942ELNS1_3gpuE9ELNS1_3repE0EEENS1_38merge_mergepath_config_static_selectorELNS0_4arch9wavefront6targetE1EEEvSF_: ; @_ZN7rocprim17ROCPRIM_400000_NS6detail17trampoline_kernelINS0_14default_configENS1_38merge_sort_block_merge_config_selectorIyNS0_10empty_typeEEEZZNS1_27merge_sort_block_merge_implIS3_PyPS5_jNS1_19radix_merge_compareILb0ELb1EyNS0_19identity_decomposerEEEEE10hipError_tT0_T1_T2_jT3_P12ihipStream_tbPNSt15iterator_traitsISE_E10value_typeEPNSK_ISF_E10value_typeEPSG_NS1_7vsmem_tEENKUlT_SE_SF_SG_E_clIS8_S8_S9_S9_EESD_ST_SE_SF_SG_EUlST_E0_NS1_11comp_targetILNS1_3genE5ELNS1_11target_archE942ELNS1_3gpuE9ELNS1_3repE0EEENS1_38merge_mergepath_config_static_selectorELNS0_4arch9wavefront6targetE1EEEvSF_
; %bb.0:
	.section	.rodata,"a",@progbits
	.p2align	6, 0x0
	.amdhsa_kernel _ZN7rocprim17ROCPRIM_400000_NS6detail17trampoline_kernelINS0_14default_configENS1_38merge_sort_block_merge_config_selectorIyNS0_10empty_typeEEEZZNS1_27merge_sort_block_merge_implIS3_PyPS5_jNS1_19radix_merge_compareILb0ELb1EyNS0_19identity_decomposerEEEEE10hipError_tT0_T1_T2_jT3_P12ihipStream_tbPNSt15iterator_traitsISE_E10value_typeEPNSK_ISF_E10value_typeEPSG_NS1_7vsmem_tEENKUlT_SE_SF_SG_E_clIS8_S8_S9_S9_EESD_ST_SE_SF_SG_EUlST_E0_NS1_11comp_targetILNS1_3genE5ELNS1_11target_archE942ELNS1_3gpuE9ELNS1_3repE0EEENS1_38merge_mergepath_config_static_selectorELNS0_4arch9wavefront6targetE1EEEvSF_
		.amdhsa_group_segment_fixed_size 0
		.amdhsa_private_segment_fixed_size 0
		.amdhsa_kernarg_size 72
		.amdhsa_user_sgpr_count 6
		.amdhsa_user_sgpr_private_segment_buffer 1
		.amdhsa_user_sgpr_dispatch_ptr 0
		.amdhsa_user_sgpr_queue_ptr 0
		.amdhsa_user_sgpr_kernarg_segment_ptr 1
		.amdhsa_user_sgpr_dispatch_id 0
		.amdhsa_user_sgpr_flat_scratch_init 0
		.amdhsa_user_sgpr_kernarg_preload_length 0
		.amdhsa_user_sgpr_kernarg_preload_offset 0
		.amdhsa_user_sgpr_private_segment_size 0
		.amdhsa_uses_dynamic_stack 0
		.amdhsa_system_sgpr_private_segment_wavefront_offset 0
		.amdhsa_system_sgpr_workgroup_id_x 1
		.amdhsa_system_sgpr_workgroup_id_y 0
		.amdhsa_system_sgpr_workgroup_id_z 0
		.amdhsa_system_sgpr_workgroup_info 0
		.amdhsa_system_vgpr_workitem_id 0
		.amdhsa_next_free_vgpr 1
		.amdhsa_next_free_sgpr 0
		.amdhsa_accum_offset 4
		.amdhsa_reserve_vcc 0
		.amdhsa_reserve_flat_scratch 0
		.amdhsa_float_round_mode_32 0
		.amdhsa_float_round_mode_16_64 0
		.amdhsa_float_denorm_mode_32 3
		.amdhsa_float_denorm_mode_16_64 3
		.amdhsa_dx10_clamp 1
		.amdhsa_ieee_mode 1
		.amdhsa_fp16_overflow 0
		.amdhsa_tg_split 0
		.amdhsa_exception_fp_ieee_invalid_op 0
		.amdhsa_exception_fp_denorm_src 0
		.amdhsa_exception_fp_ieee_div_zero 0
		.amdhsa_exception_fp_ieee_overflow 0
		.amdhsa_exception_fp_ieee_underflow 0
		.amdhsa_exception_fp_ieee_inexact 0
		.amdhsa_exception_int_div_zero 0
	.end_amdhsa_kernel
	.section	.text._ZN7rocprim17ROCPRIM_400000_NS6detail17trampoline_kernelINS0_14default_configENS1_38merge_sort_block_merge_config_selectorIyNS0_10empty_typeEEEZZNS1_27merge_sort_block_merge_implIS3_PyPS5_jNS1_19radix_merge_compareILb0ELb1EyNS0_19identity_decomposerEEEEE10hipError_tT0_T1_T2_jT3_P12ihipStream_tbPNSt15iterator_traitsISE_E10value_typeEPNSK_ISF_E10value_typeEPSG_NS1_7vsmem_tEENKUlT_SE_SF_SG_E_clIS8_S8_S9_S9_EESD_ST_SE_SF_SG_EUlST_E0_NS1_11comp_targetILNS1_3genE5ELNS1_11target_archE942ELNS1_3gpuE9ELNS1_3repE0EEENS1_38merge_mergepath_config_static_selectorELNS0_4arch9wavefront6targetE1EEEvSF_,"axG",@progbits,_ZN7rocprim17ROCPRIM_400000_NS6detail17trampoline_kernelINS0_14default_configENS1_38merge_sort_block_merge_config_selectorIyNS0_10empty_typeEEEZZNS1_27merge_sort_block_merge_implIS3_PyPS5_jNS1_19radix_merge_compareILb0ELb1EyNS0_19identity_decomposerEEEEE10hipError_tT0_T1_T2_jT3_P12ihipStream_tbPNSt15iterator_traitsISE_E10value_typeEPNSK_ISF_E10value_typeEPSG_NS1_7vsmem_tEENKUlT_SE_SF_SG_E_clIS8_S8_S9_S9_EESD_ST_SE_SF_SG_EUlST_E0_NS1_11comp_targetILNS1_3genE5ELNS1_11target_archE942ELNS1_3gpuE9ELNS1_3repE0EEENS1_38merge_mergepath_config_static_selectorELNS0_4arch9wavefront6targetE1EEEvSF_,comdat
.Lfunc_end1168:
	.size	_ZN7rocprim17ROCPRIM_400000_NS6detail17trampoline_kernelINS0_14default_configENS1_38merge_sort_block_merge_config_selectorIyNS0_10empty_typeEEEZZNS1_27merge_sort_block_merge_implIS3_PyPS5_jNS1_19radix_merge_compareILb0ELb1EyNS0_19identity_decomposerEEEEE10hipError_tT0_T1_T2_jT3_P12ihipStream_tbPNSt15iterator_traitsISE_E10value_typeEPNSK_ISF_E10value_typeEPSG_NS1_7vsmem_tEENKUlT_SE_SF_SG_E_clIS8_S8_S9_S9_EESD_ST_SE_SF_SG_EUlST_E0_NS1_11comp_targetILNS1_3genE5ELNS1_11target_archE942ELNS1_3gpuE9ELNS1_3repE0EEENS1_38merge_mergepath_config_static_selectorELNS0_4arch9wavefront6targetE1EEEvSF_, .Lfunc_end1168-_ZN7rocprim17ROCPRIM_400000_NS6detail17trampoline_kernelINS0_14default_configENS1_38merge_sort_block_merge_config_selectorIyNS0_10empty_typeEEEZZNS1_27merge_sort_block_merge_implIS3_PyPS5_jNS1_19radix_merge_compareILb0ELb1EyNS0_19identity_decomposerEEEEE10hipError_tT0_T1_T2_jT3_P12ihipStream_tbPNSt15iterator_traitsISE_E10value_typeEPNSK_ISF_E10value_typeEPSG_NS1_7vsmem_tEENKUlT_SE_SF_SG_E_clIS8_S8_S9_S9_EESD_ST_SE_SF_SG_EUlST_E0_NS1_11comp_targetILNS1_3genE5ELNS1_11target_archE942ELNS1_3gpuE9ELNS1_3repE0EEENS1_38merge_mergepath_config_static_selectorELNS0_4arch9wavefront6targetE1EEEvSF_
                                        ; -- End function
	.section	.AMDGPU.csdata,"",@progbits
; Kernel info:
; codeLenInByte = 0
; NumSgprs: 4
; NumVgprs: 0
; NumAgprs: 0
; TotalNumVgprs: 0
; ScratchSize: 0
; MemoryBound: 0
; FloatMode: 240
; IeeeMode: 1
; LDSByteSize: 0 bytes/workgroup (compile time only)
; SGPRBlocks: 0
; VGPRBlocks: 0
; NumSGPRsForWavesPerEU: 4
; NumVGPRsForWavesPerEU: 1
; AccumOffset: 4
; Occupancy: 8
; WaveLimiterHint : 0
; COMPUTE_PGM_RSRC2:SCRATCH_EN: 0
; COMPUTE_PGM_RSRC2:USER_SGPR: 6
; COMPUTE_PGM_RSRC2:TRAP_HANDLER: 0
; COMPUTE_PGM_RSRC2:TGID_X_EN: 1
; COMPUTE_PGM_RSRC2:TGID_Y_EN: 0
; COMPUTE_PGM_RSRC2:TGID_Z_EN: 0
; COMPUTE_PGM_RSRC2:TIDIG_COMP_CNT: 0
; COMPUTE_PGM_RSRC3_GFX90A:ACCUM_OFFSET: 0
; COMPUTE_PGM_RSRC3_GFX90A:TG_SPLIT: 0
	.section	.text._ZN7rocprim17ROCPRIM_400000_NS6detail17trampoline_kernelINS0_14default_configENS1_38merge_sort_block_merge_config_selectorIyNS0_10empty_typeEEEZZNS1_27merge_sort_block_merge_implIS3_PyPS5_jNS1_19radix_merge_compareILb0ELb1EyNS0_19identity_decomposerEEEEE10hipError_tT0_T1_T2_jT3_P12ihipStream_tbPNSt15iterator_traitsISE_E10value_typeEPNSK_ISF_E10value_typeEPSG_NS1_7vsmem_tEENKUlT_SE_SF_SG_E_clIS8_S8_S9_S9_EESD_ST_SE_SF_SG_EUlST_E0_NS1_11comp_targetILNS1_3genE4ELNS1_11target_archE910ELNS1_3gpuE8ELNS1_3repE0EEENS1_38merge_mergepath_config_static_selectorELNS0_4arch9wavefront6targetE1EEEvSF_,"axG",@progbits,_ZN7rocprim17ROCPRIM_400000_NS6detail17trampoline_kernelINS0_14default_configENS1_38merge_sort_block_merge_config_selectorIyNS0_10empty_typeEEEZZNS1_27merge_sort_block_merge_implIS3_PyPS5_jNS1_19radix_merge_compareILb0ELb1EyNS0_19identity_decomposerEEEEE10hipError_tT0_T1_T2_jT3_P12ihipStream_tbPNSt15iterator_traitsISE_E10value_typeEPNSK_ISF_E10value_typeEPSG_NS1_7vsmem_tEENKUlT_SE_SF_SG_E_clIS8_S8_S9_S9_EESD_ST_SE_SF_SG_EUlST_E0_NS1_11comp_targetILNS1_3genE4ELNS1_11target_archE910ELNS1_3gpuE8ELNS1_3repE0EEENS1_38merge_mergepath_config_static_selectorELNS0_4arch9wavefront6targetE1EEEvSF_,comdat
	.protected	_ZN7rocprim17ROCPRIM_400000_NS6detail17trampoline_kernelINS0_14default_configENS1_38merge_sort_block_merge_config_selectorIyNS0_10empty_typeEEEZZNS1_27merge_sort_block_merge_implIS3_PyPS5_jNS1_19radix_merge_compareILb0ELb1EyNS0_19identity_decomposerEEEEE10hipError_tT0_T1_T2_jT3_P12ihipStream_tbPNSt15iterator_traitsISE_E10value_typeEPNSK_ISF_E10value_typeEPSG_NS1_7vsmem_tEENKUlT_SE_SF_SG_E_clIS8_S8_S9_S9_EESD_ST_SE_SF_SG_EUlST_E0_NS1_11comp_targetILNS1_3genE4ELNS1_11target_archE910ELNS1_3gpuE8ELNS1_3repE0EEENS1_38merge_mergepath_config_static_selectorELNS0_4arch9wavefront6targetE1EEEvSF_ ; -- Begin function _ZN7rocprim17ROCPRIM_400000_NS6detail17trampoline_kernelINS0_14default_configENS1_38merge_sort_block_merge_config_selectorIyNS0_10empty_typeEEEZZNS1_27merge_sort_block_merge_implIS3_PyPS5_jNS1_19radix_merge_compareILb0ELb1EyNS0_19identity_decomposerEEEEE10hipError_tT0_T1_T2_jT3_P12ihipStream_tbPNSt15iterator_traitsISE_E10value_typeEPNSK_ISF_E10value_typeEPSG_NS1_7vsmem_tEENKUlT_SE_SF_SG_E_clIS8_S8_S9_S9_EESD_ST_SE_SF_SG_EUlST_E0_NS1_11comp_targetILNS1_3genE4ELNS1_11target_archE910ELNS1_3gpuE8ELNS1_3repE0EEENS1_38merge_mergepath_config_static_selectorELNS0_4arch9wavefront6targetE1EEEvSF_
	.globl	_ZN7rocprim17ROCPRIM_400000_NS6detail17trampoline_kernelINS0_14default_configENS1_38merge_sort_block_merge_config_selectorIyNS0_10empty_typeEEEZZNS1_27merge_sort_block_merge_implIS3_PyPS5_jNS1_19radix_merge_compareILb0ELb1EyNS0_19identity_decomposerEEEEE10hipError_tT0_T1_T2_jT3_P12ihipStream_tbPNSt15iterator_traitsISE_E10value_typeEPNSK_ISF_E10value_typeEPSG_NS1_7vsmem_tEENKUlT_SE_SF_SG_E_clIS8_S8_S9_S9_EESD_ST_SE_SF_SG_EUlST_E0_NS1_11comp_targetILNS1_3genE4ELNS1_11target_archE910ELNS1_3gpuE8ELNS1_3repE0EEENS1_38merge_mergepath_config_static_selectorELNS0_4arch9wavefront6targetE1EEEvSF_
	.p2align	8
	.type	_ZN7rocprim17ROCPRIM_400000_NS6detail17trampoline_kernelINS0_14default_configENS1_38merge_sort_block_merge_config_selectorIyNS0_10empty_typeEEEZZNS1_27merge_sort_block_merge_implIS3_PyPS5_jNS1_19radix_merge_compareILb0ELb1EyNS0_19identity_decomposerEEEEE10hipError_tT0_T1_T2_jT3_P12ihipStream_tbPNSt15iterator_traitsISE_E10value_typeEPNSK_ISF_E10value_typeEPSG_NS1_7vsmem_tEENKUlT_SE_SF_SG_E_clIS8_S8_S9_S9_EESD_ST_SE_SF_SG_EUlST_E0_NS1_11comp_targetILNS1_3genE4ELNS1_11target_archE910ELNS1_3gpuE8ELNS1_3repE0EEENS1_38merge_mergepath_config_static_selectorELNS0_4arch9wavefront6targetE1EEEvSF_,@function
_ZN7rocprim17ROCPRIM_400000_NS6detail17trampoline_kernelINS0_14default_configENS1_38merge_sort_block_merge_config_selectorIyNS0_10empty_typeEEEZZNS1_27merge_sort_block_merge_implIS3_PyPS5_jNS1_19radix_merge_compareILb0ELb1EyNS0_19identity_decomposerEEEEE10hipError_tT0_T1_T2_jT3_P12ihipStream_tbPNSt15iterator_traitsISE_E10value_typeEPNSK_ISF_E10value_typeEPSG_NS1_7vsmem_tEENKUlT_SE_SF_SG_E_clIS8_S8_S9_S9_EESD_ST_SE_SF_SG_EUlST_E0_NS1_11comp_targetILNS1_3genE4ELNS1_11target_archE910ELNS1_3gpuE8ELNS1_3repE0EEENS1_38merge_mergepath_config_static_selectorELNS0_4arch9wavefront6targetE1EEEvSF_: ; @_ZN7rocprim17ROCPRIM_400000_NS6detail17trampoline_kernelINS0_14default_configENS1_38merge_sort_block_merge_config_selectorIyNS0_10empty_typeEEEZZNS1_27merge_sort_block_merge_implIS3_PyPS5_jNS1_19radix_merge_compareILb0ELb1EyNS0_19identity_decomposerEEEEE10hipError_tT0_T1_T2_jT3_P12ihipStream_tbPNSt15iterator_traitsISE_E10value_typeEPNSK_ISF_E10value_typeEPSG_NS1_7vsmem_tEENKUlT_SE_SF_SG_E_clIS8_S8_S9_S9_EESD_ST_SE_SF_SG_EUlST_E0_NS1_11comp_targetILNS1_3genE4ELNS1_11target_archE910ELNS1_3gpuE8ELNS1_3repE0EEENS1_38merge_mergepath_config_static_selectorELNS0_4arch9wavefront6targetE1EEEvSF_
; %bb.0:
	s_load_dwordx2 s[14:15], s[4:5], 0x48
	s_load_dword s3, s[4:5], 0x30
	s_add_u32 s0, s4, 0x48
	s_addc_u32 s1, s5, 0
	s_waitcnt lgkmcnt(0)
	s_mul_i32 s2, s15, s8
	s_add_i32 s2, s2, s7
	s_mul_i32 s2, s2, s14
	s_add_i32 s2, s2, s6
	s_cmp_ge_u32 s2, s3
	s_cbranch_scc1 .LBB1169_31
; %bb.1:
	s_load_dwordx2 s[8:9], s[4:5], 0x28
	s_load_dwordx2 s[10:11], s[4:5], 0x40
	;; [unrolled: 1-line block ×3, first 2 shown]
	s_mov_b32 s3, 0
	s_mov_b32 s25, s3
	s_waitcnt lgkmcnt(0)
	s_lshr_b32 s7, s8, 10
	s_cmp_lg_u32 s2, s7
	s_cselect_b64 s[12:13], -1, 0
	s_lshl_b64 s[16:17], s[2:3], 2
	s_add_u32 s10, s10, s16
	s_addc_u32 s11, s11, s17
	s_load_dwordx2 s[18:19], s[10:11], 0x0
	s_lshr_b32 s10, s9, 9
	s_and_b32 s10, s10, 0x7ffffe
	s_sub_i32 s11, 0, s10
	s_and_b32 s15, s2, s11
	s_lshl_b32 s16, s15, 10
	s_lshl_b32 s10, s2, 10
	;; [unrolled: 1-line block ×3, first 2 shown]
	s_sub_i32 s17, s10, s16
	s_add_i32 s15, s15, s9
	s_add_i32 s17, s15, s17
	s_waitcnt lgkmcnt(0)
	s_sub_i32 s20, s17, s18
	s_sub_i32 s17, s17, s19
	;; [unrolled: 1-line block ×3, first 2 shown]
	s_min_u32 s24, s8, s20
	s_addk_i32 s17, 0x400
	s_or_b32 s11, s2, s11
	s_min_u32 s16, s8, s15
	s_add_i32 s15, s15, s9
	s_cmp_eq_u32 s11, -1
	s_cselect_b32 s9, s15, s17
	s_cselect_b32 s11, s16, s19
	s_min_u32 s15, s9, s8
	s_mov_b32 s19, s3
	s_sub_i32 s9, s11, s18
	s_sub_i32 s16, s15, s24
	s_lshl_b64 s[20:21], s[18:19], 3
	s_add_u32 s19, s22, s20
	s_addc_u32 s20, s23, s21
	s_lshl_b64 s[24:25], s[24:25], 3
	s_add_u32 s17, s22, s24
	s_addc_u32 s18, s23, s25
	s_cmp_lt_u32 s6, s14
	v_mov_b32_e32 v9, 0
	s_cselect_b32 s3, 12, 18
	global_load_dword v1, v9, s[0:1] offset:14
	s_add_u32 s0, s0, s3
	s_addc_u32 s1, s1, 0
	global_load_ushort v2, v9, s[0:1]
	s_cmp_eq_u32 s2, s7
	s_waitcnt vmcnt(1)
	v_lshrrev_b32_e32 v3, 16, v1
	v_and_b32_e32 v1, 0xffff, v1
	v_mul_lo_u32 v1, v1, v3
	s_waitcnt vmcnt(0)
	v_mul_lo_u32 v14, v1, v2
	v_add_u32_e32 v12, v14, v0
	v_lshlrev_b32_e32 v1, 3, v0
	v_add_u32_e32 v10, v12, v14
	s_cbranch_scc1 .LBB1169_3
; %bb.2:
	v_mov_b32_e32 v2, s20
	v_add_co_u32_e32 v4, vcc, s19, v1
	v_subrev_u32_e32 v8, s9, v0
	v_addc_co_u32_e32 v5, vcc, 0, v2, vcc
	v_lshlrev_b64 v[2:3], 3, v[8:9]
	v_mov_b32_e32 v6, s18
	v_add_co_u32_e32 v2, vcc, s17, v2
	v_addc_co_u32_e32 v3, vcc, v6, v3, vcc
	v_cmp_gt_u32_e32 vcc, s9, v0
	v_mov_b32_e32 v13, v9
	v_cndmask_b32_e32 v3, v3, v5, vcc
	v_cndmask_b32_e32 v2, v2, v4, vcc
	v_lshlrev_b64 v[4:5], 3, v[12:13]
	v_mov_b32_e32 v6, s20
	v_add_co_u32_e32 v7, vcc, s19, v4
	v_subrev_u32_e32 v8, s9, v12
	v_addc_co_u32_e32 v6, vcc, v6, v5, vcc
	v_lshlrev_b64 v[4:5], 3, v[8:9]
	v_mov_b32_e32 v8, s18
	v_add_co_u32_e32 v4, vcc, s17, v4
	v_addc_co_u32_e32 v5, vcc, v8, v5, vcc
	v_cmp_gt_u32_e32 vcc, s9, v12
	v_mov_b32_e32 v11, v9
	v_cndmask_b32_e32 v5, v5, v6, vcc
	v_cndmask_b32_e32 v4, v4, v7, vcc
	v_lshlrev_b64 v[6:7], 3, v[10:11]
	v_mov_b32_e32 v8, s20
	v_add_co_u32_e32 v11, vcc, s19, v6
	v_addc_co_u32_e32 v13, vcc, v8, v7, vcc
	v_subrev_u32_e32 v8, s9, v10
	v_lshlrev_b64 v[6:7], 3, v[8:9]
	v_mov_b32_e32 v8, s18
	v_add_co_u32_e32 v6, vcc, s17, v6
	v_addc_co_u32_e32 v7, vcc, v8, v7, vcc
	v_add_u32_e32 v8, v10, v14
	v_cmp_gt_u32_e32 vcc, s9, v10
	v_lshlrev_b64 v[16:17], 3, v[8:9]
	v_cndmask_b32_e32 v7, v7, v13, vcc
	v_cndmask_b32_e32 v6, v6, v11, vcc
	v_mov_b32_e32 v11, s20
	v_add_co_u32_e32 v13, vcc, s19, v16
	v_addc_co_u32_e32 v11, vcc, v11, v17, vcc
	v_cmp_gt_u32_e32 vcc, s9, v8
	v_subrev_u32_e32 v8, s9, v8
	v_lshlrev_b64 v[8:9], 3, v[8:9]
	v_mov_b32_e32 v15, s18
	v_add_co_u32_e64 v8, s[0:1], s17, v8
	v_addc_co_u32_e64 v9, s[0:1], v15, v9, s[0:1]
	v_cndmask_b32_e32 v9, v9, v11, vcc
	v_cndmask_b32_e32 v8, v8, v13, vcc
	global_load_dwordx2 v[2:3], v[2:3], off
	s_add_i32 s11, s16, s9
	global_load_dwordx2 v[4:5], v[4:5], off
	s_nop 0
	global_load_dwordx2 v[6:7], v[6:7], off
	s_nop 0
	global_load_dwordx2 v[8:9], v[8:9], off
	s_load_dwordx2 s[6:7], s[4:5], 0x10
	s_load_dwordx2 s[14:15], s[4:5], 0x38
	s_cbranch_execz .LBB1169_4
	s_branch .LBB1169_11
.LBB1169_3:
                                        ; implicit-def: $vgpr2_vgpr3_vgpr4_vgpr5_vgpr6_vgpr7_vgpr8_vgpr9
                                        ; implicit-def: $sgpr11
	s_load_dwordx2 s[6:7], s[4:5], 0x10
	s_load_dwordx2 s[14:15], s[4:5], 0x38
.LBB1169_4:
	s_add_i32 s11, s16, s9
	v_cmp_gt_u32_e32 vcc, s11, v0
                                        ; implicit-def: $vgpr2_vgpr3_vgpr4_vgpr5_vgpr6_vgpr7_vgpr8_vgpr9
	s_and_saveexec_b64 s[0:1], vcc
	s_cbranch_execnz .LBB1169_32
; %bb.5:
	s_or_b64 exec, exec, s[0:1]
	v_cmp_gt_u32_e32 vcc, s11, v12
	s_and_saveexec_b64 s[2:3], vcc
	s_cbranch_execnz .LBB1169_33
.LBB1169_6:
	s_or_b64 exec, exec, s[2:3]
	v_cmp_gt_u32_e32 vcc, s11, v10
	s_and_saveexec_b64 s[0:1], vcc
	s_cbranch_execz .LBB1169_8
.LBB1169_7:
	v_mov_b32_e32 v11, 0
	s_waitcnt vmcnt(1)
	v_lshlrev_b64 v[6:7], 3, v[10:11]
	v_mov_b32_e32 v12, s20
	v_add_co_u32_e32 v13, vcc, s19, v6
	v_addc_co_u32_e32 v12, vcc, v12, v7, vcc
	v_subrev_u32_e32 v6, s9, v10
	v_mov_b32_e32 v7, v11
	v_lshlrev_b64 v[6:7], 3, v[6:7]
	v_mov_b32_e32 v11, s18
	v_add_co_u32_e32 v6, vcc, s17, v6
	v_addc_co_u32_e32 v7, vcc, v11, v7, vcc
	v_cmp_gt_u32_e32 vcc, s9, v10
	v_cndmask_b32_e32 v7, v7, v12, vcc
	v_cndmask_b32_e32 v6, v6, v13, vcc
	global_load_dwordx2 v[6:7], v[6:7], off
.LBB1169_8:
	s_or_b64 exec, exec, s[0:1]
	v_add_u32_e32 v10, v10, v14
	v_cmp_gt_u32_e32 vcc, s11, v10
	s_and_saveexec_b64 s[2:3], vcc
	s_cbranch_execz .LBB1169_10
; %bb.9:
	v_mov_b32_e32 v11, 0
	s_waitcnt vmcnt(0)
	v_lshlrev_b64 v[8:9], 3, v[10:11]
	v_mov_b32_e32 v12, s20
	v_add_co_u32_e32 v13, vcc, s19, v8
	v_addc_co_u32_e32 v12, vcc, v12, v9, vcc
	v_cmp_gt_u32_e32 vcc, s9, v10
	v_subrev_u32_e32 v10, s9, v10
	v_lshlrev_b64 v[8:9], 3, v[10:11]
	v_mov_b32_e32 v10, s18
	v_add_co_u32_e64 v8, s[0:1], s17, v8
	v_addc_co_u32_e64 v9, s[0:1], v10, v9, s[0:1]
	v_cndmask_b32_e32 v9, v9, v12, vcc
	v_cndmask_b32_e32 v8, v8, v13, vcc
	global_load_dwordx2 v[8:9], v[8:9], off
.LBB1169_10:
	s_or_b64 exec, exec, s[2:3]
.LBB1169_11:
	v_lshlrev_b32_e32 v10, 2, v0
	v_min_u32_e32 v12, s11, v10
	v_sub_u32_e64 v11, v12, s16 clamp
	v_min_u32_e32 v13, s9, v12
	v_cmp_lt_u32_e32 vcc, v11, v13
	s_waitcnt vmcnt(0)
	ds_write2st64_b64 v1, v[2:3], v[4:5] offset1:4
	ds_write2st64_b64 v1, v[6:7], v[8:9] offset0:8 offset1:12
	s_waitcnt lgkmcnt(0)
	s_barrier
	s_and_saveexec_b64 s[0:1], vcc
	s_cbranch_execz .LBB1169_15
; %bb.12:
	v_lshlrev_b32_e32 v14, 3, v12
	v_lshl_add_u32 v14, s9, 3, v14
	s_mov_b64 s[2:3], 0
.LBB1169_13:                            ; =>This Inner Loop Header: Depth=1
	v_add_u32_e32 v15, v13, v11
	v_lshrrev_b32_e32 v15, 1, v15
	v_not_b32_e32 v18, v15
	v_lshlrev_b32_e32 v16, 3, v15
	v_lshl_add_u32 v18, v18, 3, v14
	ds_read_b64 v[16:17], v16
	ds_read_b64 v[18:19], v18
	v_add_u32_e32 v20, 1, v15
	s_waitcnt lgkmcnt(1)
	v_and_b32_e32 v17, s15, v17
	v_and_b32_e32 v16, s14, v16
	s_waitcnt lgkmcnt(0)
	v_and_b32_e32 v19, s15, v19
	v_and_b32_e32 v18, s14, v18
	v_cmp_gt_u64_e32 vcc, v[16:17], v[18:19]
	v_cndmask_b32_e32 v13, v13, v15, vcc
	v_cndmask_b32_e32 v11, v20, v11, vcc
	v_cmp_ge_u32_e32 vcc, v11, v13
	s_or_b64 s[2:3], vcc, s[2:3]
	s_andn2_b64 exec, exec, s[2:3]
	s_cbranch_execnz .LBB1169_13
; %bb.14:
	s_or_b64 exec, exec, s[2:3]
.LBB1169_15:
	s_or_b64 exec, exec, s[0:1]
	v_sub_u32_e32 v12, v12, v11
	v_add_u32_e32 v12, s9, v12
	v_cmp_ge_u32_e32 vcc, s9, v11
	v_cmp_ge_u32_e64 s[0:1], s11, v12
	s_or_b64 s[0:1], vcc, s[0:1]
	s_and_saveexec_b64 s[16:17], s[0:1]
	s_cbranch_execz .LBB1169_21
; %bb.16:
	v_cmp_gt_u32_e32 vcc, s9, v11
                                        ; implicit-def: $vgpr2_vgpr3
	s_and_saveexec_b64 s[0:1], vcc
	s_cbranch_execz .LBB1169_18
; %bb.17:
	v_lshlrev_b32_e32 v2, 3, v11
	ds_read_b64 v[2:3], v2
.LBB1169_18:
	s_or_b64 exec, exec, s[0:1]
	v_cmp_le_u32_e64 s[0:1], s11, v12
	v_cmp_gt_u32_e64 s[2:3], s11, v12
                                        ; implicit-def: $vgpr4_vgpr5
	s_and_saveexec_b64 s[4:5], s[2:3]
	s_cbranch_execz .LBB1169_20
; %bb.19:
	v_lshlrev_b32_e32 v4, 3, v12
	ds_read_b64 v[4:5], v4
.LBB1169_20:
	s_or_b64 exec, exec, s[4:5]
	s_waitcnt lgkmcnt(0)
	v_and_b32_e32 v7, s15, v5
	v_and_b32_e32 v6, s14, v4
	;; [unrolled: 1-line block ×4, first 2 shown]
	v_cmp_le_u64_e64 s[2:3], v[8:9], v[6:7]
	s_and_b64 s[2:3], vcc, s[2:3]
	s_or_b64 vcc, s[0:1], s[2:3]
	v_mov_b32_e32 v13, s11
	v_mov_b32_e32 v14, s9
	v_cndmask_b32_e32 v6, v12, v11, vcc
	v_cndmask_b32_e32 v7, v13, v14, vcc
	v_add_u32_e32 v8, 1, v6
	v_add_u32_e32 v6, -1, v7
	v_min_u32_e32 v6, v8, v6
	v_lshlrev_b32_e32 v6, 3, v6
	ds_read_b64 v[6:7], v6
	v_cndmask_b32_e32 v12, v8, v12, vcc
	v_cndmask_b32_e32 v11, v11, v8, vcc
	v_cmp_gt_u32_e64 s[2:3], s9, v11
	v_cmp_le_u32_e64 s[0:1], s11, v12
	s_waitcnt lgkmcnt(0)
	v_cndmask_b32_e32 v15, v7, v5, vcc
	v_cndmask_b32_e32 v16, v6, v4, vcc
	;; [unrolled: 1-line block ×4, first 2 shown]
	v_and_b32_e32 v7, s15, v15
	v_and_b32_e32 v6, s14, v16
	;; [unrolled: 1-line block ×4, first 2 shown]
	v_cmp_le_u64_e64 s[4:5], v[8:9], v[6:7]
	s_and_b64 s[2:3], s[2:3], s[4:5]
	s_or_b64 s[0:1], s[0:1], s[2:3]
	v_cndmask_b32_e64 v6, v12, v11, s[0:1]
	v_cndmask_b32_e64 v7, v13, v14, s[0:1]
	v_add_u32_e32 v8, 1, v6
	v_add_u32_e32 v6, -1, v7
	v_min_u32_e32 v6, v8, v6
	v_lshlrev_b32_e32 v6, 3, v6
	ds_read_b64 v[6:7], v6
	v_cndmask_b32_e32 v3, v5, v3, vcc
	v_cndmask_b32_e32 v2, v4, v2, vcc
	v_cndmask_b32_e64 v11, v11, v8, s[0:1]
	v_cndmask_b32_e64 v12, v8, v12, s[0:1]
	s_waitcnt lgkmcnt(0)
	v_cndmask_b32_e64 v19, v7, v15, s[0:1]
	v_cndmask_b32_e64 v20, v6, v16, s[0:1]
	;; [unrolled: 1-line block ×4, first 2 shown]
	v_and_b32_e32 v5, s15, v19
	v_and_b32_e32 v4, s14, v20
	;; [unrolled: 1-line block ×4, first 2 shown]
	v_cmp_gt_u32_e64 s[2:3], s9, v11
	v_cmp_le_u64_e64 s[4:5], v[6:7], v[4:5]
	v_cmp_le_u32_e32 vcc, s11, v12
	s_and_b64 s[2:3], s[2:3], s[4:5]
	s_or_b64 vcc, vcc, s[2:3]
	v_cndmask_b32_e32 v4, v12, v11, vcc
	v_cndmask_b32_e32 v5, v13, v14, vcc
	v_add_u32_e32 v13, 1, v4
	v_add_u32_e32 v4, -1, v5
	v_min_u32_e32 v4, v13, v4
	v_lshlrev_b32_e32 v4, 3, v4
	ds_read_b64 v[8:9], v4
	v_cndmask_b32_e64 v5, v15, v17, s[0:1]
	v_cndmask_b32_e64 v4, v16, v18, s[0:1]
	v_cndmask_b32_e32 v7, v19, v21, vcc
	v_cndmask_b32_e32 v6, v20, v22, vcc
	s_waitcnt lgkmcnt(0)
	v_cndmask_b32_e32 v14, v9, v19, vcc
	v_cndmask_b32_e32 v15, v8, v20, vcc
	v_cndmask_b32_e32 v16, v21, v9, vcc
	v_cndmask_b32_e32 v17, v22, v8, vcc
	v_cndmask_b32_e32 v8, v13, v12, vcc
	v_cndmask_b32_e32 v9, v11, v13, vcc
	v_cmp_le_u32_e32 vcc, s11, v8
	v_cmp_gt_u32_e64 s[0:1], s9, v9
	v_and_b32_e32 v9, s15, v14
	v_and_b32_e32 v8, s14, v15
	;; [unrolled: 1-line block ×4, first 2 shown]
	v_cmp_le_u64_e64 s[2:3], v[12:13], v[8:9]
	s_and_b64 s[0:1], s[0:1], s[2:3]
	s_or_b64 vcc, vcc, s[0:1]
	v_cndmask_b32_e32 v9, v14, v16, vcc
	v_cndmask_b32_e32 v8, v15, v17, vcc
.LBB1169_21:
	s_or_b64 exec, exec, s[16:17]
	v_and_b32_e32 v11, 0xf8, v0
	v_lshl_add_u32 v10, v10, 3, v11
	s_barrier
	s_barrier
	ds_write2_b64 v10, v[2:3], v[4:5] offset1:1
	ds_write2_b64 v10, v[6:7], v[8:9] offset0:2 offset1:3
	v_lshrrev_b32_e32 v2, 2, v0
	v_and_b32_e32 v2, 56, v2
	v_or_b32_e32 v12, 0x100, v0
	v_add_u32_e32 v13, v1, v2
	v_lshrrev_b32_e32 v2, 2, v12
	v_and_b32_e32 v2, 0x78, v2
	v_or_b32_e32 v11, 0x200, v0
	s_mov_b32 s11, 0
	v_add_u32_e32 v6, v1, v2
	v_lshrrev_b32_e32 v2, 2, v11
	s_lshl_b64 s[0:1], s[10:11], 3
	v_and_b32_e32 v2, 0xb8, v2
	v_or_b32_e32 v10, 0x300, v0
	s_add_u32 s0, s6, s0
	v_add_u32_e32 v7, v1, v2
	v_lshrrev_b32_e32 v2, 2, v10
	s_addc_u32 s1, s7, s1
	v_and_b32_e32 v2, 0xf8, v2
	v_add_u32_e32 v14, v1, v2
	v_mov_b32_e32 v3, s1
	v_add_co_u32_e32 v2, vcc, s0, v1
	v_addc_co_u32_e32 v3, vcc, 0, v3, vcc
	s_and_b64 vcc, exec, s[12:13]
	s_waitcnt lgkmcnt(0)
	s_cbranch_vccz .LBB1169_23
; %bb.22:
	s_barrier
	ds_read_b64 v[8:9], v13
	ds_read_b64 v[16:17], v6 offset:2048
	ds_read_b64 v[18:19], v7 offset:4096
	;; [unrolled: 1-line block ×3, first 2 shown]
	s_waitcnt lgkmcnt(3)
	global_store_dwordx2 v[2:3], v[8:9], off
	s_waitcnt lgkmcnt(2)
	global_store_dwordx2 v[2:3], v[16:17], off offset:2048
	v_add_co_u32_e32 v8, vcc, 0x1000, v2
	v_addc_co_u32_e32 v9, vcc, 0, v3, vcc
	s_waitcnt lgkmcnt(1)
	global_store_dwordx2 v[8:9], v[18:19], off
	s_mov_b64 s[0:1], -1
	s_cbranch_execz .LBB1169_24
	s_branch .LBB1169_29
.LBB1169_23:
	s_mov_b64 s[0:1], 0
                                        ; implicit-def: $vgpr4_vgpr5
.LBB1169_24:
	s_barrier
	s_waitcnt lgkmcnt(0)
	ds_read_b64 v[8:9], v6 offset:2048
	ds_read_b64 v[6:7], v7 offset:4096
	;; [unrolled: 1-line block ×3, first 2 shown]
	s_sub_i32 s2, s8, s10
	v_cmp_gt_u32_e32 vcc, s2, v0
	s_and_saveexec_b64 s[0:1], vcc
	s_cbranch_execnz .LBB1169_34
; %bb.25:
	s_or_b64 exec, exec, s[0:1]
	v_cmp_gt_u32_e32 vcc, s2, v12
	s_and_saveexec_b64 s[0:1], vcc
	s_cbranch_execnz .LBB1169_35
.LBB1169_26:
	s_or_b64 exec, exec, s[0:1]
	v_cmp_gt_u32_e32 vcc, s2, v11
	s_and_saveexec_b64 s[0:1], vcc
	s_cbranch_execz .LBB1169_28
.LBB1169_27:
	v_add_co_u32_e32 v0, vcc, 0x1000, v2
	v_addc_co_u32_e32 v1, vcc, 0, v3, vcc
	s_waitcnt lgkmcnt(1)
	global_store_dwordx2 v[0:1], v[6:7], off
.LBB1169_28:
	s_or_b64 exec, exec, s[0:1]
	v_cmp_gt_u32_e64 s[0:1], s2, v10
.LBB1169_29:
	s_and_saveexec_b64 s[2:3], s[0:1]
	s_cbranch_execz .LBB1169_31
; %bb.30:
	v_add_co_u32_e32 v0, vcc, 0x1000, v2
	v_addc_co_u32_e32 v1, vcc, 0, v3, vcc
	s_waitcnt lgkmcnt(0)
	global_store_dwordx2 v[0:1], v[4:5], off offset:2048
.LBB1169_31:
	s_endpgm
.LBB1169_32:
	s_waitcnt vmcnt(3)
	v_mov_b32_e32 v2, s20
	s_waitcnt vmcnt(2)
	v_add_co_u32_e32 v4, vcc, s19, v1
	v_mov_b32_e32 v3, 0
	v_addc_co_u32_e32 v5, vcc, 0, v2, vcc
	v_subrev_u32_e32 v2, s9, v0
	v_lshlrev_b64 v[2:3], 3, v[2:3]
	s_waitcnt vmcnt(1)
	v_mov_b32_e32 v6, s18
	v_add_co_u32_e32 v2, vcc, s17, v2
	v_addc_co_u32_e32 v3, vcc, v6, v3, vcc
	v_cmp_gt_u32_e32 vcc, s9, v0
	v_cndmask_b32_e32 v3, v3, v5, vcc
	v_cndmask_b32_e32 v2, v2, v4, vcc
	global_load_dwordx2 v[2:3], v[2:3], off
	s_or_b64 exec, exec, s[0:1]
	v_cmp_gt_u32_e32 vcc, s11, v12
	s_and_saveexec_b64 s[2:3], vcc
	s_cbranch_execz .LBB1169_6
.LBB1169_33:
	v_mov_b32_e32 v13, 0
	s_waitcnt vmcnt(2)
	v_lshlrev_b64 v[4:5], 3, v[12:13]
	v_mov_b32_e32 v11, s20
	v_add_co_u32_e32 v15, vcc, s19, v4
	v_addc_co_u32_e32 v11, vcc, v11, v5, vcc
	v_cmp_gt_u32_e32 vcc, s9, v12
	v_subrev_u32_e32 v12, s9, v12
	v_lshlrev_b64 v[4:5], 3, v[12:13]
	v_mov_b32_e32 v12, s18
	v_add_co_u32_e64 v4, s[0:1], s17, v4
	v_addc_co_u32_e64 v5, s[0:1], v12, v5, s[0:1]
	v_cndmask_b32_e32 v5, v5, v11, vcc
	v_cndmask_b32_e32 v4, v4, v15, vcc
	global_load_dwordx2 v[4:5], v[4:5], off
	s_or_b64 exec, exec, s[2:3]
	v_cmp_gt_u32_e32 vcc, s11, v10
	s_and_saveexec_b64 s[0:1], vcc
	s_cbranch_execnz .LBB1169_7
	s_branch .LBB1169_8
.LBB1169_34:
	ds_read_b64 v[0:1], v13
	s_waitcnt lgkmcnt(0)
	global_store_dwordx2 v[2:3], v[0:1], off
	s_or_b64 exec, exec, s[0:1]
	v_cmp_gt_u32_e32 vcc, s2, v12
	s_and_saveexec_b64 s[0:1], vcc
	s_cbranch_execz .LBB1169_26
.LBB1169_35:
	s_waitcnt lgkmcnt(2)
	global_store_dwordx2 v[2:3], v[8:9], off offset:2048
	s_or_b64 exec, exec, s[0:1]
	v_cmp_gt_u32_e32 vcc, s2, v11
	s_and_saveexec_b64 s[0:1], vcc
	s_cbranch_execnz .LBB1169_27
	s_branch .LBB1169_28
	.section	.rodata,"a",@progbits
	.p2align	6, 0x0
	.amdhsa_kernel _ZN7rocprim17ROCPRIM_400000_NS6detail17trampoline_kernelINS0_14default_configENS1_38merge_sort_block_merge_config_selectorIyNS0_10empty_typeEEEZZNS1_27merge_sort_block_merge_implIS3_PyPS5_jNS1_19radix_merge_compareILb0ELb1EyNS0_19identity_decomposerEEEEE10hipError_tT0_T1_T2_jT3_P12ihipStream_tbPNSt15iterator_traitsISE_E10value_typeEPNSK_ISF_E10value_typeEPSG_NS1_7vsmem_tEENKUlT_SE_SF_SG_E_clIS8_S8_S9_S9_EESD_ST_SE_SF_SG_EUlST_E0_NS1_11comp_targetILNS1_3genE4ELNS1_11target_archE910ELNS1_3gpuE8ELNS1_3repE0EEENS1_38merge_mergepath_config_static_selectorELNS0_4arch9wavefront6targetE1EEEvSF_
		.amdhsa_group_segment_fixed_size 8448
		.amdhsa_private_segment_fixed_size 0
		.amdhsa_kernarg_size 328
		.amdhsa_user_sgpr_count 6
		.amdhsa_user_sgpr_private_segment_buffer 1
		.amdhsa_user_sgpr_dispatch_ptr 0
		.amdhsa_user_sgpr_queue_ptr 0
		.amdhsa_user_sgpr_kernarg_segment_ptr 1
		.amdhsa_user_sgpr_dispatch_id 0
		.amdhsa_user_sgpr_flat_scratch_init 0
		.amdhsa_user_sgpr_kernarg_preload_length 0
		.amdhsa_user_sgpr_kernarg_preload_offset 0
		.amdhsa_user_sgpr_private_segment_size 0
		.amdhsa_uses_dynamic_stack 0
		.amdhsa_system_sgpr_private_segment_wavefront_offset 0
		.amdhsa_system_sgpr_workgroup_id_x 1
		.amdhsa_system_sgpr_workgroup_id_y 1
		.amdhsa_system_sgpr_workgroup_id_z 1
		.amdhsa_system_sgpr_workgroup_info 0
		.amdhsa_system_vgpr_workitem_id 0
		.amdhsa_next_free_vgpr 23
		.amdhsa_next_free_sgpr 26
		.amdhsa_accum_offset 24
		.amdhsa_reserve_vcc 1
		.amdhsa_reserve_flat_scratch 0
		.amdhsa_float_round_mode_32 0
		.amdhsa_float_round_mode_16_64 0
		.amdhsa_float_denorm_mode_32 3
		.amdhsa_float_denorm_mode_16_64 3
		.amdhsa_dx10_clamp 1
		.amdhsa_ieee_mode 1
		.amdhsa_fp16_overflow 0
		.amdhsa_tg_split 0
		.amdhsa_exception_fp_ieee_invalid_op 0
		.amdhsa_exception_fp_denorm_src 0
		.amdhsa_exception_fp_ieee_div_zero 0
		.amdhsa_exception_fp_ieee_overflow 0
		.amdhsa_exception_fp_ieee_underflow 0
		.amdhsa_exception_fp_ieee_inexact 0
		.amdhsa_exception_int_div_zero 0
	.end_amdhsa_kernel
	.section	.text._ZN7rocprim17ROCPRIM_400000_NS6detail17trampoline_kernelINS0_14default_configENS1_38merge_sort_block_merge_config_selectorIyNS0_10empty_typeEEEZZNS1_27merge_sort_block_merge_implIS3_PyPS5_jNS1_19radix_merge_compareILb0ELb1EyNS0_19identity_decomposerEEEEE10hipError_tT0_T1_T2_jT3_P12ihipStream_tbPNSt15iterator_traitsISE_E10value_typeEPNSK_ISF_E10value_typeEPSG_NS1_7vsmem_tEENKUlT_SE_SF_SG_E_clIS8_S8_S9_S9_EESD_ST_SE_SF_SG_EUlST_E0_NS1_11comp_targetILNS1_3genE4ELNS1_11target_archE910ELNS1_3gpuE8ELNS1_3repE0EEENS1_38merge_mergepath_config_static_selectorELNS0_4arch9wavefront6targetE1EEEvSF_,"axG",@progbits,_ZN7rocprim17ROCPRIM_400000_NS6detail17trampoline_kernelINS0_14default_configENS1_38merge_sort_block_merge_config_selectorIyNS0_10empty_typeEEEZZNS1_27merge_sort_block_merge_implIS3_PyPS5_jNS1_19radix_merge_compareILb0ELb1EyNS0_19identity_decomposerEEEEE10hipError_tT0_T1_T2_jT3_P12ihipStream_tbPNSt15iterator_traitsISE_E10value_typeEPNSK_ISF_E10value_typeEPSG_NS1_7vsmem_tEENKUlT_SE_SF_SG_E_clIS8_S8_S9_S9_EESD_ST_SE_SF_SG_EUlST_E0_NS1_11comp_targetILNS1_3genE4ELNS1_11target_archE910ELNS1_3gpuE8ELNS1_3repE0EEENS1_38merge_mergepath_config_static_selectorELNS0_4arch9wavefront6targetE1EEEvSF_,comdat
.Lfunc_end1169:
	.size	_ZN7rocprim17ROCPRIM_400000_NS6detail17trampoline_kernelINS0_14default_configENS1_38merge_sort_block_merge_config_selectorIyNS0_10empty_typeEEEZZNS1_27merge_sort_block_merge_implIS3_PyPS5_jNS1_19radix_merge_compareILb0ELb1EyNS0_19identity_decomposerEEEEE10hipError_tT0_T1_T2_jT3_P12ihipStream_tbPNSt15iterator_traitsISE_E10value_typeEPNSK_ISF_E10value_typeEPSG_NS1_7vsmem_tEENKUlT_SE_SF_SG_E_clIS8_S8_S9_S9_EESD_ST_SE_SF_SG_EUlST_E0_NS1_11comp_targetILNS1_3genE4ELNS1_11target_archE910ELNS1_3gpuE8ELNS1_3repE0EEENS1_38merge_mergepath_config_static_selectorELNS0_4arch9wavefront6targetE1EEEvSF_, .Lfunc_end1169-_ZN7rocprim17ROCPRIM_400000_NS6detail17trampoline_kernelINS0_14default_configENS1_38merge_sort_block_merge_config_selectorIyNS0_10empty_typeEEEZZNS1_27merge_sort_block_merge_implIS3_PyPS5_jNS1_19radix_merge_compareILb0ELb1EyNS0_19identity_decomposerEEEEE10hipError_tT0_T1_T2_jT3_P12ihipStream_tbPNSt15iterator_traitsISE_E10value_typeEPNSK_ISF_E10value_typeEPSG_NS1_7vsmem_tEENKUlT_SE_SF_SG_E_clIS8_S8_S9_S9_EESD_ST_SE_SF_SG_EUlST_E0_NS1_11comp_targetILNS1_3genE4ELNS1_11target_archE910ELNS1_3gpuE8ELNS1_3repE0EEENS1_38merge_mergepath_config_static_selectorELNS0_4arch9wavefront6targetE1EEEvSF_
                                        ; -- End function
	.section	.AMDGPU.csdata,"",@progbits
; Kernel info:
; codeLenInByte = 2284
; NumSgprs: 30
; NumVgprs: 23
; NumAgprs: 0
; TotalNumVgprs: 23
; ScratchSize: 0
; MemoryBound: 0
; FloatMode: 240
; IeeeMode: 1
; LDSByteSize: 8448 bytes/workgroup (compile time only)
; SGPRBlocks: 3
; VGPRBlocks: 2
; NumSGPRsForWavesPerEU: 30
; NumVGPRsForWavesPerEU: 23
; AccumOffset: 24
; Occupancy: 7
; WaveLimiterHint : 1
; COMPUTE_PGM_RSRC2:SCRATCH_EN: 0
; COMPUTE_PGM_RSRC2:USER_SGPR: 6
; COMPUTE_PGM_RSRC2:TRAP_HANDLER: 0
; COMPUTE_PGM_RSRC2:TGID_X_EN: 1
; COMPUTE_PGM_RSRC2:TGID_Y_EN: 1
; COMPUTE_PGM_RSRC2:TGID_Z_EN: 1
; COMPUTE_PGM_RSRC2:TIDIG_COMP_CNT: 0
; COMPUTE_PGM_RSRC3_GFX90A:ACCUM_OFFSET: 5
; COMPUTE_PGM_RSRC3_GFX90A:TG_SPLIT: 0
	.section	.text._ZN7rocprim17ROCPRIM_400000_NS6detail17trampoline_kernelINS0_14default_configENS1_38merge_sort_block_merge_config_selectorIyNS0_10empty_typeEEEZZNS1_27merge_sort_block_merge_implIS3_PyPS5_jNS1_19radix_merge_compareILb0ELb1EyNS0_19identity_decomposerEEEEE10hipError_tT0_T1_T2_jT3_P12ihipStream_tbPNSt15iterator_traitsISE_E10value_typeEPNSK_ISF_E10value_typeEPSG_NS1_7vsmem_tEENKUlT_SE_SF_SG_E_clIS8_S8_S9_S9_EESD_ST_SE_SF_SG_EUlST_E0_NS1_11comp_targetILNS1_3genE3ELNS1_11target_archE908ELNS1_3gpuE7ELNS1_3repE0EEENS1_38merge_mergepath_config_static_selectorELNS0_4arch9wavefront6targetE1EEEvSF_,"axG",@progbits,_ZN7rocprim17ROCPRIM_400000_NS6detail17trampoline_kernelINS0_14default_configENS1_38merge_sort_block_merge_config_selectorIyNS0_10empty_typeEEEZZNS1_27merge_sort_block_merge_implIS3_PyPS5_jNS1_19radix_merge_compareILb0ELb1EyNS0_19identity_decomposerEEEEE10hipError_tT0_T1_T2_jT3_P12ihipStream_tbPNSt15iterator_traitsISE_E10value_typeEPNSK_ISF_E10value_typeEPSG_NS1_7vsmem_tEENKUlT_SE_SF_SG_E_clIS8_S8_S9_S9_EESD_ST_SE_SF_SG_EUlST_E0_NS1_11comp_targetILNS1_3genE3ELNS1_11target_archE908ELNS1_3gpuE7ELNS1_3repE0EEENS1_38merge_mergepath_config_static_selectorELNS0_4arch9wavefront6targetE1EEEvSF_,comdat
	.protected	_ZN7rocprim17ROCPRIM_400000_NS6detail17trampoline_kernelINS0_14default_configENS1_38merge_sort_block_merge_config_selectorIyNS0_10empty_typeEEEZZNS1_27merge_sort_block_merge_implIS3_PyPS5_jNS1_19radix_merge_compareILb0ELb1EyNS0_19identity_decomposerEEEEE10hipError_tT0_T1_T2_jT3_P12ihipStream_tbPNSt15iterator_traitsISE_E10value_typeEPNSK_ISF_E10value_typeEPSG_NS1_7vsmem_tEENKUlT_SE_SF_SG_E_clIS8_S8_S9_S9_EESD_ST_SE_SF_SG_EUlST_E0_NS1_11comp_targetILNS1_3genE3ELNS1_11target_archE908ELNS1_3gpuE7ELNS1_3repE0EEENS1_38merge_mergepath_config_static_selectorELNS0_4arch9wavefront6targetE1EEEvSF_ ; -- Begin function _ZN7rocprim17ROCPRIM_400000_NS6detail17trampoline_kernelINS0_14default_configENS1_38merge_sort_block_merge_config_selectorIyNS0_10empty_typeEEEZZNS1_27merge_sort_block_merge_implIS3_PyPS5_jNS1_19radix_merge_compareILb0ELb1EyNS0_19identity_decomposerEEEEE10hipError_tT0_T1_T2_jT3_P12ihipStream_tbPNSt15iterator_traitsISE_E10value_typeEPNSK_ISF_E10value_typeEPSG_NS1_7vsmem_tEENKUlT_SE_SF_SG_E_clIS8_S8_S9_S9_EESD_ST_SE_SF_SG_EUlST_E0_NS1_11comp_targetILNS1_3genE3ELNS1_11target_archE908ELNS1_3gpuE7ELNS1_3repE0EEENS1_38merge_mergepath_config_static_selectorELNS0_4arch9wavefront6targetE1EEEvSF_
	.globl	_ZN7rocprim17ROCPRIM_400000_NS6detail17trampoline_kernelINS0_14default_configENS1_38merge_sort_block_merge_config_selectorIyNS0_10empty_typeEEEZZNS1_27merge_sort_block_merge_implIS3_PyPS5_jNS1_19radix_merge_compareILb0ELb1EyNS0_19identity_decomposerEEEEE10hipError_tT0_T1_T2_jT3_P12ihipStream_tbPNSt15iterator_traitsISE_E10value_typeEPNSK_ISF_E10value_typeEPSG_NS1_7vsmem_tEENKUlT_SE_SF_SG_E_clIS8_S8_S9_S9_EESD_ST_SE_SF_SG_EUlST_E0_NS1_11comp_targetILNS1_3genE3ELNS1_11target_archE908ELNS1_3gpuE7ELNS1_3repE0EEENS1_38merge_mergepath_config_static_selectorELNS0_4arch9wavefront6targetE1EEEvSF_
	.p2align	8
	.type	_ZN7rocprim17ROCPRIM_400000_NS6detail17trampoline_kernelINS0_14default_configENS1_38merge_sort_block_merge_config_selectorIyNS0_10empty_typeEEEZZNS1_27merge_sort_block_merge_implIS3_PyPS5_jNS1_19radix_merge_compareILb0ELb1EyNS0_19identity_decomposerEEEEE10hipError_tT0_T1_T2_jT3_P12ihipStream_tbPNSt15iterator_traitsISE_E10value_typeEPNSK_ISF_E10value_typeEPSG_NS1_7vsmem_tEENKUlT_SE_SF_SG_E_clIS8_S8_S9_S9_EESD_ST_SE_SF_SG_EUlST_E0_NS1_11comp_targetILNS1_3genE3ELNS1_11target_archE908ELNS1_3gpuE7ELNS1_3repE0EEENS1_38merge_mergepath_config_static_selectorELNS0_4arch9wavefront6targetE1EEEvSF_,@function
_ZN7rocprim17ROCPRIM_400000_NS6detail17trampoline_kernelINS0_14default_configENS1_38merge_sort_block_merge_config_selectorIyNS0_10empty_typeEEEZZNS1_27merge_sort_block_merge_implIS3_PyPS5_jNS1_19radix_merge_compareILb0ELb1EyNS0_19identity_decomposerEEEEE10hipError_tT0_T1_T2_jT3_P12ihipStream_tbPNSt15iterator_traitsISE_E10value_typeEPNSK_ISF_E10value_typeEPSG_NS1_7vsmem_tEENKUlT_SE_SF_SG_E_clIS8_S8_S9_S9_EESD_ST_SE_SF_SG_EUlST_E0_NS1_11comp_targetILNS1_3genE3ELNS1_11target_archE908ELNS1_3gpuE7ELNS1_3repE0EEENS1_38merge_mergepath_config_static_selectorELNS0_4arch9wavefront6targetE1EEEvSF_: ; @_ZN7rocprim17ROCPRIM_400000_NS6detail17trampoline_kernelINS0_14default_configENS1_38merge_sort_block_merge_config_selectorIyNS0_10empty_typeEEEZZNS1_27merge_sort_block_merge_implIS3_PyPS5_jNS1_19radix_merge_compareILb0ELb1EyNS0_19identity_decomposerEEEEE10hipError_tT0_T1_T2_jT3_P12ihipStream_tbPNSt15iterator_traitsISE_E10value_typeEPNSK_ISF_E10value_typeEPSG_NS1_7vsmem_tEENKUlT_SE_SF_SG_E_clIS8_S8_S9_S9_EESD_ST_SE_SF_SG_EUlST_E0_NS1_11comp_targetILNS1_3genE3ELNS1_11target_archE908ELNS1_3gpuE7ELNS1_3repE0EEENS1_38merge_mergepath_config_static_selectorELNS0_4arch9wavefront6targetE1EEEvSF_
; %bb.0:
	.section	.rodata,"a",@progbits
	.p2align	6, 0x0
	.amdhsa_kernel _ZN7rocprim17ROCPRIM_400000_NS6detail17trampoline_kernelINS0_14default_configENS1_38merge_sort_block_merge_config_selectorIyNS0_10empty_typeEEEZZNS1_27merge_sort_block_merge_implIS3_PyPS5_jNS1_19radix_merge_compareILb0ELb1EyNS0_19identity_decomposerEEEEE10hipError_tT0_T1_T2_jT3_P12ihipStream_tbPNSt15iterator_traitsISE_E10value_typeEPNSK_ISF_E10value_typeEPSG_NS1_7vsmem_tEENKUlT_SE_SF_SG_E_clIS8_S8_S9_S9_EESD_ST_SE_SF_SG_EUlST_E0_NS1_11comp_targetILNS1_3genE3ELNS1_11target_archE908ELNS1_3gpuE7ELNS1_3repE0EEENS1_38merge_mergepath_config_static_selectorELNS0_4arch9wavefront6targetE1EEEvSF_
		.amdhsa_group_segment_fixed_size 0
		.amdhsa_private_segment_fixed_size 0
		.amdhsa_kernarg_size 72
		.amdhsa_user_sgpr_count 6
		.amdhsa_user_sgpr_private_segment_buffer 1
		.amdhsa_user_sgpr_dispatch_ptr 0
		.amdhsa_user_sgpr_queue_ptr 0
		.amdhsa_user_sgpr_kernarg_segment_ptr 1
		.amdhsa_user_sgpr_dispatch_id 0
		.amdhsa_user_sgpr_flat_scratch_init 0
		.amdhsa_user_sgpr_kernarg_preload_length 0
		.amdhsa_user_sgpr_kernarg_preload_offset 0
		.amdhsa_user_sgpr_private_segment_size 0
		.amdhsa_uses_dynamic_stack 0
		.amdhsa_system_sgpr_private_segment_wavefront_offset 0
		.amdhsa_system_sgpr_workgroup_id_x 1
		.amdhsa_system_sgpr_workgroup_id_y 0
		.amdhsa_system_sgpr_workgroup_id_z 0
		.amdhsa_system_sgpr_workgroup_info 0
		.amdhsa_system_vgpr_workitem_id 0
		.amdhsa_next_free_vgpr 1
		.amdhsa_next_free_sgpr 0
		.amdhsa_accum_offset 4
		.amdhsa_reserve_vcc 0
		.amdhsa_reserve_flat_scratch 0
		.amdhsa_float_round_mode_32 0
		.amdhsa_float_round_mode_16_64 0
		.amdhsa_float_denorm_mode_32 3
		.amdhsa_float_denorm_mode_16_64 3
		.amdhsa_dx10_clamp 1
		.amdhsa_ieee_mode 1
		.amdhsa_fp16_overflow 0
		.amdhsa_tg_split 0
		.amdhsa_exception_fp_ieee_invalid_op 0
		.amdhsa_exception_fp_denorm_src 0
		.amdhsa_exception_fp_ieee_div_zero 0
		.amdhsa_exception_fp_ieee_overflow 0
		.amdhsa_exception_fp_ieee_underflow 0
		.amdhsa_exception_fp_ieee_inexact 0
		.amdhsa_exception_int_div_zero 0
	.end_amdhsa_kernel
	.section	.text._ZN7rocprim17ROCPRIM_400000_NS6detail17trampoline_kernelINS0_14default_configENS1_38merge_sort_block_merge_config_selectorIyNS0_10empty_typeEEEZZNS1_27merge_sort_block_merge_implIS3_PyPS5_jNS1_19radix_merge_compareILb0ELb1EyNS0_19identity_decomposerEEEEE10hipError_tT0_T1_T2_jT3_P12ihipStream_tbPNSt15iterator_traitsISE_E10value_typeEPNSK_ISF_E10value_typeEPSG_NS1_7vsmem_tEENKUlT_SE_SF_SG_E_clIS8_S8_S9_S9_EESD_ST_SE_SF_SG_EUlST_E0_NS1_11comp_targetILNS1_3genE3ELNS1_11target_archE908ELNS1_3gpuE7ELNS1_3repE0EEENS1_38merge_mergepath_config_static_selectorELNS0_4arch9wavefront6targetE1EEEvSF_,"axG",@progbits,_ZN7rocprim17ROCPRIM_400000_NS6detail17trampoline_kernelINS0_14default_configENS1_38merge_sort_block_merge_config_selectorIyNS0_10empty_typeEEEZZNS1_27merge_sort_block_merge_implIS3_PyPS5_jNS1_19radix_merge_compareILb0ELb1EyNS0_19identity_decomposerEEEEE10hipError_tT0_T1_T2_jT3_P12ihipStream_tbPNSt15iterator_traitsISE_E10value_typeEPNSK_ISF_E10value_typeEPSG_NS1_7vsmem_tEENKUlT_SE_SF_SG_E_clIS8_S8_S9_S9_EESD_ST_SE_SF_SG_EUlST_E0_NS1_11comp_targetILNS1_3genE3ELNS1_11target_archE908ELNS1_3gpuE7ELNS1_3repE0EEENS1_38merge_mergepath_config_static_selectorELNS0_4arch9wavefront6targetE1EEEvSF_,comdat
.Lfunc_end1170:
	.size	_ZN7rocprim17ROCPRIM_400000_NS6detail17trampoline_kernelINS0_14default_configENS1_38merge_sort_block_merge_config_selectorIyNS0_10empty_typeEEEZZNS1_27merge_sort_block_merge_implIS3_PyPS5_jNS1_19radix_merge_compareILb0ELb1EyNS0_19identity_decomposerEEEEE10hipError_tT0_T1_T2_jT3_P12ihipStream_tbPNSt15iterator_traitsISE_E10value_typeEPNSK_ISF_E10value_typeEPSG_NS1_7vsmem_tEENKUlT_SE_SF_SG_E_clIS8_S8_S9_S9_EESD_ST_SE_SF_SG_EUlST_E0_NS1_11comp_targetILNS1_3genE3ELNS1_11target_archE908ELNS1_3gpuE7ELNS1_3repE0EEENS1_38merge_mergepath_config_static_selectorELNS0_4arch9wavefront6targetE1EEEvSF_, .Lfunc_end1170-_ZN7rocprim17ROCPRIM_400000_NS6detail17trampoline_kernelINS0_14default_configENS1_38merge_sort_block_merge_config_selectorIyNS0_10empty_typeEEEZZNS1_27merge_sort_block_merge_implIS3_PyPS5_jNS1_19radix_merge_compareILb0ELb1EyNS0_19identity_decomposerEEEEE10hipError_tT0_T1_T2_jT3_P12ihipStream_tbPNSt15iterator_traitsISE_E10value_typeEPNSK_ISF_E10value_typeEPSG_NS1_7vsmem_tEENKUlT_SE_SF_SG_E_clIS8_S8_S9_S9_EESD_ST_SE_SF_SG_EUlST_E0_NS1_11comp_targetILNS1_3genE3ELNS1_11target_archE908ELNS1_3gpuE7ELNS1_3repE0EEENS1_38merge_mergepath_config_static_selectorELNS0_4arch9wavefront6targetE1EEEvSF_
                                        ; -- End function
	.section	.AMDGPU.csdata,"",@progbits
; Kernel info:
; codeLenInByte = 0
; NumSgprs: 4
; NumVgprs: 0
; NumAgprs: 0
; TotalNumVgprs: 0
; ScratchSize: 0
; MemoryBound: 0
; FloatMode: 240
; IeeeMode: 1
; LDSByteSize: 0 bytes/workgroup (compile time only)
; SGPRBlocks: 0
; VGPRBlocks: 0
; NumSGPRsForWavesPerEU: 4
; NumVGPRsForWavesPerEU: 1
; AccumOffset: 4
; Occupancy: 8
; WaveLimiterHint : 0
; COMPUTE_PGM_RSRC2:SCRATCH_EN: 0
; COMPUTE_PGM_RSRC2:USER_SGPR: 6
; COMPUTE_PGM_RSRC2:TRAP_HANDLER: 0
; COMPUTE_PGM_RSRC2:TGID_X_EN: 1
; COMPUTE_PGM_RSRC2:TGID_Y_EN: 0
; COMPUTE_PGM_RSRC2:TGID_Z_EN: 0
; COMPUTE_PGM_RSRC2:TIDIG_COMP_CNT: 0
; COMPUTE_PGM_RSRC3_GFX90A:ACCUM_OFFSET: 0
; COMPUTE_PGM_RSRC3_GFX90A:TG_SPLIT: 0
	.section	.text._ZN7rocprim17ROCPRIM_400000_NS6detail17trampoline_kernelINS0_14default_configENS1_38merge_sort_block_merge_config_selectorIyNS0_10empty_typeEEEZZNS1_27merge_sort_block_merge_implIS3_PyPS5_jNS1_19radix_merge_compareILb0ELb1EyNS0_19identity_decomposerEEEEE10hipError_tT0_T1_T2_jT3_P12ihipStream_tbPNSt15iterator_traitsISE_E10value_typeEPNSK_ISF_E10value_typeEPSG_NS1_7vsmem_tEENKUlT_SE_SF_SG_E_clIS8_S8_S9_S9_EESD_ST_SE_SF_SG_EUlST_E0_NS1_11comp_targetILNS1_3genE2ELNS1_11target_archE906ELNS1_3gpuE6ELNS1_3repE0EEENS1_38merge_mergepath_config_static_selectorELNS0_4arch9wavefront6targetE1EEEvSF_,"axG",@progbits,_ZN7rocprim17ROCPRIM_400000_NS6detail17trampoline_kernelINS0_14default_configENS1_38merge_sort_block_merge_config_selectorIyNS0_10empty_typeEEEZZNS1_27merge_sort_block_merge_implIS3_PyPS5_jNS1_19radix_merge_compareILb0ELb1EyNS0_19identity_decomposerEEEEE10hipError_tT0_T1_T2_jT3_P12ihipStream_tbPNSt15iterator_traitsISE_E10value_typeEPNSK_ISF_E10value_typeEPSG_NS1_7vsmem_tEENKUlT_SE_SF_SG_E_clIS8_S8_S9_S9_EESD_ST_SE_SF_SG_EUlST_E0_NS1_11comp_targetILNS1_3genE2ELNS1_11target_archE906ELNS1_3gpuE6ELNS1_3repE0EEENS1_38merge_mergepath_config_static_selectorELNS0_4arch9wavefront6targetE1EEEvSF_,comdat
	.protected	_ZN7rocprim17ROCPRIM_400000_NS6detail17trampoline_kernelINS0_14default_configENS1_38merge_sort_block_merge_config_selectorIyNS0_10empty_typeEEEZZNS1_27merge_sort_block_merge_implIS3_PyPS5_jNS1_19radix_merge_compareILb0ELb1EyNS0_19identity_decomposerEEEEE10hipError_tT0_T1_T2_jT3_P12ihipStream_tbPNSt15iterator_traitsISE_E10value_typeEPNSK_ISF_E10value_typeEPSG_NS1_7vsmem_tEENKUlT_SE_SF_SG_E_clIS8_S8_S9_S9_EESD_ST_SE_SF_SG_EUlST_E0_NS1_11comp_targetILNS1_3genE2ELNS1_11target_archE906ELNS1_3gpuE6ELNS1_3repE0EEENS1_38merge_mergepath_config_static_selectorELNS0_4arch9wavefront6targetE1EEEvSF_ ; -- Begin function _ZN7rocprim17ROCPRIM_400000_NS6detail17trampoline_kernelINS0_14default_configENS1_38merge_sort_block_merge_config_selectorIyNS0_10empty_typeEEEZZNS1_27merge_sort_block_merge_implIS3_PyPS5_jNS1_19radix_merge_compareILb0ELb1EyNS0_19identity_decomposerEEEEE10hipError_tT0_T1_T2_jT3_P12ihipStream_tbPNSt15iterator_traitsISE_E10value_typeEPNSK_ISF_E10value_typeEPSG_NS1_7vsmem_tEENKUlT_SE_SF_SG_E_clIS8_S8_S9_S9_EESD_ST_SE_SF_SG_EUlST_E0_NS1_11comp_targetILNS1_3genE2ELNS1_11target_archE906ELNS1_3gpuE6ELNS1_3repE0EEENS1_38merge_mergepath_config_static_selectorELNS0_4arch9wavefront6targetE1EEEvSF_
	.globl	_ZN7rocprim17ROCPRIM_400000_NS6detail17trampoline_kernelINS0_14default_configENS1_38merge_sort_block_merge_config_selectorIyNS0_10empty_typeEEEZZNS1_27merge_sort_block_merge_implIS3_PyPS5_jNS1_19radix_merge_compareILb0ELb1EyNS0_19identity_decomposerEEEEE10hipError_tT0_T1_T2_jT3_P12ihipStream_tbPNSt15iterator_traitsISE_E10value_typeEPNSK_ISF_E10value_typeEPSG_NS1_7vsmem_tEENKUlT_SE_SF_SG_E_clIS8_S8_S9_S9_EESD_ST_SE_SF_SG_EUlST_E0_NS1_11comp_targetILNS1_3genE2ELNS1_11target_archE906ELNS1_3gpuE6ELNS1_3repE0EEENS1_38merge_mergepath_config_static_selectorELNS0_4arch9wavefront6targetE1EEEvSF_
	.p2align	8
	.type	_ZN7rocprim17ROCPRIM_400000_NS6detail17trampoline_kernelINS0_14default_configENS1_38merge_sort_block_merge_config_selectorIyNS0_10empty_typeEEEZZNS1_27merge_sort_block_merge_implIS3_PyPS5_jNS1_19radix_merge_compareILb0ELb1EyNS0_19identity_decomposerEEEEE10hipError_tT0_T1_T2_jT3_P12ihipStream_tbPNSt15iterator_traitsISE_E10value_typeEPNSK_ISF_E10value_typeEPSG_NS1_7vsmem_tEENKUlT_SE_SF_SG_E_clIS8_S8_S9_S9_EESD_ST_SE_SF_SG_EUlST_E0_NS1_11comp_targetILNS1_3genE2ELNS1_11target_archE906ELNS1_3gpuE6ELNS1_3repE0EEENS1_38merge_mergepath_config_static_selectorELNS0_4arch9wavefront6targetE1EEEvSF_,@function
_ZN7rocprim17ROCPRIM_400000_NS6detail17trampoline_kernelINS0_14default_configENS1_38merge_sort_block_merge_config_selectorIyNS0_10empty_typeEEEZZNS1_27merge_sort_block_merge_implIS3_PyPS5_jNS1_19radix_merge_compareILb0ELb1EyNS0_19identity_decomposerEEEEE10hipError_tT0_T1_T2_jT3_P12ihipStream_tbPNSt15iterator_traitsISE_E10value_typeEPNSK_ISF_E10value_typeEPSG_NS1_7vsmem_tEENKUlT_SE_SF_SG_E_clIS8_S8_S9_S9_EESD_ST_SE_SF_SG_EUlST_E0_NS1_11comp_targetILNS1_3genE2ELNS1_11target_archE906ELNS1_3gpuE6ELNS1_3repE0EEENS1_38merge_mergepath_config_static_selectorELNS0_4arch9wavefront6targetE1EEEvSF_: ; @_ZN7rocprim17ROCPRIM_400000_NS6detail17trampoline_kernelINS0_14default_configENS1_38merge_sort_block_merge_config_selectorIyNS0_10empty_typeEEEZZNS1_27merge_sort_block_merge_implIS3_PyPS5_jNS1_19radix_merge_compareILb0ELb1EyNS0_19identity_decomposerEEEEE10hipError_tT0_T1_T2_jT3_P12ihipStream_tbPNSt15iterator_traitsISE_E10value_typeEPNSK_ISF_E10value_typeEPSG_NS1_7vsmem_tEENKUlT_SE_SF_SG_E_clIS8_S8_S9_S9_EESD_ST_SE_SF_SG_EUlST_E0_NS1_11comp_targetILNS1_3genE2ELNS1_11target_archE906ELNS1_3gpuE6ELNS1_3repE0EEENS1_38merge_mergepath_config_static_selectorELNS0_4arch9wavefront6targetE1EEEvSF_
; %bb.0:
	.section	.rodata,"a",@progbits
	.p2align	6, 0x0
	.amdhsa_kernel _ZN7rocprim17ROCPRIM_400000_NS6detail17trampoline_kernelINS0_14default_configENS1_38merge_sort_block_merge_config_selectorIyNS0_10empty_typeEEEZZNS1_27merge_sort_block_merge_implIS3_PyPS5_jNS1_19radix_merge_compareILb0ELb1EyNS0_19identity_decomposerEEEEE10hipError_tT0_T1_T2_jT3_P12ihipStream_tbPNSt15iterator_traitsISE_E10value_typeEPNSK_ISF_E10value_typeEPSG_NS1_7vsmem_tEENKUlT_SE_SF_SG_E_clIS8_S8_S9_S9_EESD_ST_SE_SF_SG_EUlST_E0_NS1_11comp_targetILNS1_3genE2ELNS1_11target_archE906ELNS1_3gpuE6ELNS1_3repE0EEENS1_38merge_mergepath_config_static_selectorELNS0_4arch9wavefront6targetE1EEEvSF_
		.amdhsa_group_segment_fixed_size 0
		.amdhsa_private_segment_fixed_size 0
		.amdhsa_kernarg_size 72
		.amdhsa_user_sgpr_count 6
		.amdhsa_user_sgpr_private_segment_buffer 1
		.amdhsa_user_sgpr_dispatch_ptr 0
		.amdhsa_user_sgpr_queue_ptr 0
		.amdhsa_user_sgpr_kernarg_segment_ptr 1
		.amdhsa_user_sgpr_dispatch_id 0
		.amdhsa_user_sgpr_flat_scratch_init 0
		.amdhsa_user_sgpr_kernarg_preload_length 0
		.amdhsa_user_sgpr_kernarg_preload_offset 0
		.amdhsa_user_sgpr_private_segment_size 0
		.amdhsa_uses_dynamic_stack 0
		.amdhsa_system_sgpr_private_segment_wavefront_offset 0
		.amdhsa_system_sgpr_workgroup_id_x 1
		.amdhsa_system_sgpr_workgroup_id_y 0
		.amdhsa_system_sgpr_workgroup_id_z 0
		.amdhsa_system_sgpr_workgroup_info 0
		.amdhsa_system_vgpr_workitem_id 0
		.amdhsa_next_free_vgpr 1
		.amdhsa_next_free_sgpr 0
		.amdhsa_accum_offset 4
		.amdhsa_reserve_vcc 0
		.amdhsa_reserve_flat_scratch 0
		.amdhsa_float_round_mode_32 0
		.amdhsa_float_round_mode_16_64 0
		.amdhsa_float_denorm_mode_32 3
		.amdhsa_float_denorm_mode_16_64 3
		.amdhsa_dx10_clamp 1
		.amdhsa_ieee_mode 1
		.amdhsa_fp16_overflow 0
		.amdhsa_tg_split 0
		.amdhsa_exception_fp_ieee_invalid_op 0
		.amdhsa_exception_fp_denorm_src 0
		.amdhsa_exception_fp_ieee_div_zero 0
		.amdhsa_exception_fp_ieee_overflow 0
		.amdhsa_exception_fp_ieee_underflow 0
		.amdhsa_exception_fp_ieee_inexact 0
		.amdhsa_exception_int_div_zero 0
	.end_amdhsa_kernel
	.section	.text._ZN7rocprim17ROCPRIM_400000_NS6detail17trampoline_kernelINS0_14default_configENS1_38merge_sort_block_merge_config_selectorIyNS0_10empty_typeEEEZZNS1_27merge_sort_block_merge_implIS3_PyPS5_jNS1_19radix_merge_compareILb0ELb1EyNS0_19identity_decomposerEEEEE10hipError_tT0_T1_T2_jT3_P12ihipStream_tbPNSt15iterator_traitsISE_E10value_typeEPNSK_ISF_E10value_typeEPSG_NS1_7vsmem_tEENKUlT_SE_SF_SG_E_clIS8_S8_S9_S9_EESD_ST_SE_SF_SG_EUlST_E0_NS1_11comp_targetILNS1_3genE2ELNS1_11target_archE906ELNS1_3gpuE6ELNS1_3repE0EEENS1_38merge_mergepath_config_static_selectorELNS0_4arch9wavefront6targetE1EEEvSF_,"axG",@progbits,_ZN7rocprim17ROCPRIM_400000_NS6detail17trampoline_kernelINS0_14default_configENS1_38merge_sort_block_merge_config_selectorIyNS0_10empty_typeEEEZZNS1_27merge_sort_block_merge_implIS3_PyPS5_jNS1_19radix_merge_compareILb0ELb1EyNS0_19identity_decomposerEEEEE10hipError_tT0_T1_T2_jT3_P12ihipStream_tbPNSt15iterator_traitsISE_E10value_typeEPNSK_ISF_E10value_typeEPSG_NS1_7vsmem_tEENKUlT_SE_SF_SG_E_clIS8_S8_S9_S9_EESD_ST_SE_SF_SG_EUlST_E0_NS1_11comp_targetILNS1_3genE2ELNS1_11target_archE906ELNS1_3gpuE6ELNS1_3repE0EEENS1_38merge_mergepath_config_static_selectorELNS0_4arch9wavefront6targetE1EEEvSF_,comdat
.Lfunc_end1171:
	.size	_ZN7rocprim17ROCPRIM_400000_NS6detail17trampoline_kernelINS0_14default_configENS1_38merge_sort_block_merge_config_selectorIyNS0_10empty_typeEEEZZNS1_27merge_sort_block_merge_implIS3_PyPS5_jNS1_19radix_merge_compareILb0ELb1EyNS0_19identity_decomposerEEEEE10hipError_tT0_T1_T2_jT3_P12ihipStream_tbPNSt15iterator_traitsISE_E10value_typeEPNSK_ISF_E10value_typeEPSG_NS1_7vsmem_tEENKUlT_SE_SF_SG_E_clIS8_S8_S9_S9_EESD_ST_SE_SF_SG_EUlST_E0_NS1_11comp_targetILNS1_3genE2ELNS1_11target_archE906ELNS1_3gpuE6ELNS1_3repE0EEENS1_38merge_mergepath_config_static_selectorELNS0_4arch9wavefront6targetE1EEEvSF_, .Lfunc_end1171-_ZN7rocprim17ROCPRIM_400000_NS6detail17trampoline_kernelINS0_14default_configENS1_38merge_sort_block_merge_config_selectorIyNS0_10empty_typeEEEZZNS1_27merge_sort_block_merge_implIS3_PyPS5_jNS1_19radix_merge_compareILb0ELb1EyNS0_19identity_decomposerEEEEE10hipError_tT0_T1_T2_jT3_P12ihipStream_tbPNSt15iterator_traitsISE_E10value_typeEPNSK_ISF_E10value_typeEPSG_NS1_7vsmem_tEENKUlT_SE_SF_SG_E_clIS8_S8_S9_S9_EESD_ST_SE_SF_SG_EUlST_E0_NS1_11comp_targetILNS1_3genE2ELNS1_11target_archE906ELNS1_3gpuE6ELNS1_3repE0EEENS1_38merge_mergepath_config_static_selectorELNS0_4arch9wavefront6targetE1EEEvSF_
                                        ; -- End function
	.section	.AMDGPU.csdata,"",@progbits
; Kernel info:
; codeLenInByte = 0
; NumSgprs: 4
; NumVgprs: 0
; NumAgprs: 0
; TotalNumVgprs: 0
; ScratchSize: 0
; MemoryBound: 0
; FloatMode: 240
; IeeeMode: 1
; LDSByteSize: 0 bytes/workgroup (compile time only)
; SGPRBlocks: 0
; VGPRBlocks: 0
; NumSGPRsForWavesPerEU: 4
; NumVGPRsForWavesPerEU: 1
; AccumOffset: 4
; Occupancy: 8
; WaveLimiterHint : 0
; COMPUTE_PGM_RSRC2:SCRATCH_EN: 0
; COMPUTE_PGM_RSRC2:USER_SGPR: 6
; COMPUTE_PGM_RSRC2:TRAP_HANDLER: 0
; COMPUTE_PGM_RSRC2:TGID_X_EN: 1
; COMPUTE_PGM_RSRC2:TGID_Y_EN: 0
; COMPUTE_PGM_RSRC2:TGID_Z_EN: 0
; COMPUTE_PGM_RSRC2:TIDIG_COMP_CNT: 0
; COMPUTE_PGM_RSRC3_GFX90A:ACCUM_OFFSET: 0
; COMPUTE_PGM_RSRC3_GFX90A:TG_SPLIT: 0
	.section	.text._ZN7rocprim17ROCPRIM_400000_NS6detail17trampoline_kernelINS0_14default_configENS1_38merge_sort_block_merge_config_selectorIyNS0_10empty_typeEEEZZNS1_27merge_sort_block_merge_implIS3_PyPS5_jNS1_19radix_merge_compareILb0ELb1EyNS0_19identity_decomposerEEEEE10hipError_tT0_T1_T2_jT3_P12ihipStream_tbPNSt15iterator_traitsISE_E10value_typeEPNSK_ISF_E10value_typeEPSG_NS1_7vsmem_tEENKUlT_SE_SF_SG_E_clIS8_S8_S9_S9_EESD_ST_SE_SF_SG_EUlST_E0_NS1_11comp_targetILNS1_3genE9ELNS1_11target_archE1100ELNS1_3gpuE3ELNS1_3repE0EEENS1_38merge_mergepath_config_static_selectorELNS0_4arch9wavefront6targetE1EEEvSF_,"axG",@progbits,_ZN7rocprim17ROCPRIM_400000_NS6detail17trampoline_kernelINS0_14default_configENS1_38merge_sort_block_merge_config_selectorIyNS0_10empty_typeEEEZZNS1_27merge_sort_block_merge_implIS3_PyPS5_jNS1_19radix_merge_compareILb0ELb1EyNS0_19identity_decomposerEEEEE10hipError_tT0_T1_T2_jT3_P12ihipStream_tbPNSt15iterator_traitsISE_E10value_typeEPNSK_ISF_E10value_typeEPSG_NS1_7vsmem_tEENKUlT_SE_SF_SG_E_clIS8_S8_S9_S9_EESD_ST_SE_SF_SG_EUlST_E0_NS1_11comp_targetILNS1_3genE9ELNS1_11target_archE1100ELNS1_3gpuE3ELNS1_3repE0EEENS1_38merge_mergepath_config_static_selectorELNS0_4arch9wavefront6targetE1EEEvSF_,comdat
	.protected	_ZN7rocprim17ROCPRIM_400000_NS6detail17trampoline_kernelINS0_14default_configENS1_38merge_sort_block_merge_config_selectorIyNS0_10empty_typeEEEZZNS1_27merge_sort_block_merge_implIS3_PyPS5_jNS1_19radix_merge_compareILb0ELb1EyNS0_19identity_decomposerEEEEE10hipError_tT0_T1_T2_jT3_P12ihipStream_tbPNSt15iterator_traitsISE_E10value_typeEPNSK_ISF_E10value_typeEPSG_NS1_7vsmem_tEENKUlT_SE_SF_SG_E_clIS8_S8_S9_S9_EESD_ST_SE_SF_SG_EUlST_E0_NS1_11comp_targetILNS1_3genE9ELNS1_11target_archE1100ELNS1_3gpuE3ELNS1_3repE0EEENS1_38merge_mergepath_config_static_selectorELNS0_4arch9wavefront6targetE1EEEvSF_ ; -- Begin function _ZN7rocprim17ROCPRIM_400000_NS6detail17trampoline_kernelINS0_14default_configENS1_38merge_sort_block_merge_config_selectorIyNS0_10empty_typeEEEZZNS1_27merge_sort_block_merge_implIS3_PyPS5_jNS1_19radix_merge_compareILb0ELb1EyNS0_19identity_decomposerEEEEE10hipError_tT0_T1_T2_jT3_P12ihipStream_tbPNSt15iterator_traitsISE_E10value_typeEPNSK_ISF_E10value_typeEPSG_NS1_7vsmem_tEENKUlT_SE_SF_SG_E_clIS8_S8_S9_S9_EESD_ST_SE_SF_SG_EUlST_E0_NS1_11comp_targetILNS1_3genE9ELNS1_11target_archE1100ELNS1_3gpuE3ELNS1_3repE0EEENS1_38merge_mergepath_config_static_selectorELNS0_4arch9wavefront6targetE1EEEvSF_
	.globl	_ZN7rocprim17ROCPRIM_400000_NS6detail17trampoline_kernelINS0_14default_configENS1_38merge_sort_block_merge_config_selectorIyNS0_10empty_typeEEEZZNS1_27merge_sort_block_merge_implIS3_PyPS5_jNS1_19radix_merge_compareILb0ELb1EyNS0_19identity_decomposerEEEEE10hipError_tT0_T1_T2_jT3_P12ihipStream_tbPNSt15iterator_traitsISE_E10value_typeEPNSK_ISF_E10value_typeEPSG_NS1_7vsmem_tEENKUlT_SE_SF_SG_E_clIS8_S8_S9_S9_EESD_ST_SE_SF_SG_EUlST_E0_NS1_11comp_targetILNS1_3genE9ELNS1_11target_archE1100ELNS1_3gpuE3ELNS1_3repE0EEENS1_38merge_mergepath_config_static_selectorELNS0_4arch9wavefront6targetE1EEEvSF_
	.p2align	8
	.type	_ZN7rocprim17ROCPRIM_400000_NS6detail17trampoline_kernelINS0_14default_configENS1_38merge_sort_block_merge_config_selectorIyNS0_10empty_typeEEEZZNS1_27merge_sort_block_merge_implIS3_PyPS5_jNS1_19radix_merge_compareILb0ELb1EyNS0_19identity_decomposerEEEEE10hipError_tT0_T1_T2_jT3_P12ihipStream_tbPNSt15iterator_traitsISE_E10value_typeEPNSK_ISF_E10value_typeEPSG_NS1_7vsmem_tEENKUlT_SE_SF_SG_E_clIS8_S8_S9_S9_EESD_ST_SE_SF_SG_EUlST_E0_NS1_11comp_targetILNS1_3genE9ELNS1_11target_archE1100ELNS1_3gpuE3ELNS1_3repE0EEENS1_38merge_mergepath_config_static_selectorELNS0_4arch9wavefront6targetE1EEEvSF_,@function
_ZN7rocprim17ROCPRIM_400000_NS6detail17trampoline_kernelINS0_14default_configENS1_38merge_sort_block_merge_config_selectorIyNS0_10empty_typeEEEZZNS1_27merge_sort_block_merge_implIS3_PyPS5_jNS1_19radix_merge_compareILb0ELb1EyNS0_19identity_decomposerEEEEE10hipError_tT0_T1_T2_jT3_P12ihipStream_tbPNSt15iterator_traitsISE_E10value_typeEPNSK_ISF_E10value_typeEPSG_NS1_7vsmem_tEENKUlT_SE_SF_SG_E_clIS8_S8_S9_S9_EESD_ST_SE_SF_SG_EUlST_E0_NS1_11comp_targetILNS1_3genE9ELNS1_11target_archE1100ELNS1_3gpuE3ELNS1_3repE0EEENS1_38merge_mergepath_config_static_selectorELNS0_4arch9wavefront6targetE1EEEvSF_: ; @_ZN7rocprim17ROCPRIM_400000_NS6detail17trampoline_kernelINS0_14default_configENS1_38merge_sort_block_merge_config_selectorIyNS0_10empty_typeEEEZZNS1_27merge_sort_block_merge_implIS3_PyPS5_jNS1_19radix_merge_compareILb0ELb1EyNS0_19identity_decomposerEEEEE10hipError_tT0_T1_T2_jT3_P12ihipStream_tbPNSt15iterator_traitsISE_E10value_typeEPNSK_ISF_E10value_typeEPSG_NS1_7vsmem_tEENKUlT_SE_SF_SG_E_clIS8_S8_S9_S9_EESD_ST_SE_SF_SG_EUlST_E0_NS1_11comp_targetILNS1_3genE9ELNS1_11target_archE1100ELNS1_3gpuE3ELNS1_3repE0EEENS1_38merge_mergepath_config_static_selectorELNS0_4arch9wavefront6targetE1EEEvSF_
; %bb.0:
	.section	.rodata,"a",@progbits
	.p2align	6, 0x0
	.amdhsa_kernel _ZN7rocprim17ROCPRIM_400000_NS6detail17trampoline_kernelINS0_14default_configENS1_38merge_sort_block_merge_config_selectorIyNS0_10empty_typeEEEZZNS1_27merge_sort_block_merge_implIS3_PyPS5_jNS1_19radix_merge_compareILb0ELb1EyNS0_19identity_decomposerEEEEE10hipError_tT0_T1_T2_jT3_P12ihipStream_tbPNSt15iterator_traitsISE_E10value_typeEPNSK_ISF_E10value_typeEPSG_NS1_7vsmem_tEENKUlT_SE_SF_SG_E_clIS8_S8_S9_S9_EESD_ST_SE_SF_SG_EUlST_E0_NS1_11comp_targetILNS1_3genE9ELNS1_11target_archE1100ELNS1_3gpuE3ELNS1_3repE0EEENS1_38merge_mergepath_config_static_selectorELNS0_4arch9wavefront6targetE1EEEvSF_
		.amdhsa_group_segment_fixed_size 0
		.amdhsa_private_segment_fixed_size 0
		.amdhsa_kernarg_size 72
		.amdhsa_user_sgpr_count 6
		.amdhsa_user_sgpr_private_segment_buffer 1
		.amdhsa_user_sgpr_dispatch_ptr 0
		.amdhsa_user_sgpr_queue_ptr 0
		.amdhsa_user_sgpr_kernarg_segment_ptr 1
		.amdhsa_user_sgpr_dispatch_id 0
		.amdhsa_user_sgpr_flat_scratch_init 0
		.amdhsa_user_sgpr_kernarg_preload_length 0
		.amdhsa_user_sgpr_kernarg_preload_offset 0
		.amdhsa_user_sgpr_private_segment_size 0
		.amdhsa_uses_dynamic_stack 0
		.amdhsa_system_sgpr_private_segment_wavefront_offset 0
		.amdhsa_system_sgpr_workgroup_id_x 1
		.amdhsa_system_sgpr_workgroup_id_y 0
		.amdhsa_system_sgpr_workgroup_id_z 0
		.amdhsa_system_sgpr_workgroup_info 0
		.amdhsa_system_vgpr_workitem_id 0
		.amdhsa_next_free_vgpr 1
		.amdhsa_next_free_sgpr 0
		.amdhsa_accum_offset 4
		.amdhsa_reserve_vcc 0
		.amdhsa_reserve_flat_scratch 0
		.amdhsa_float_round_mode_32 0
		.amdhsa_float_round_mode_16_64 0
		.amdhsa_float_denorm_mode_32 3
		.amdhsa_float_denorm_mode_16_64 3
		.amdhsa_dx10_clamp 1
		.amdhsa_ieee_mode 1
		.amdhsa_fp16_overflow 0
		.amdhsa_tg_split 0
		.amdhsa_exception_fp_ieee_invalid_op 0
		.amdhsa_exception_fp_denorm_src 0
		.amdhsa_exception_fp_ieee_div_zero 0
		.amdhsa_exception_fp_ieee_overflow 0
		.amdhsa_exception_fp_ieee_underflow 0
		.amdhsa_exception_fp_ieee_inexact 0
		.amdhsa_exception_int_div_zero 0
	.end_amdhsa_kernel
	.section	.text._ZN7rocprim17ROCPRIM_400000_NS6detail17trampoline_kernelINS0_14default_configENS1_38merge_sort_block_merge_config_selectorIyNS0_10empty_typeEEEZZNS1_27merge_sort_block_merge_implIS3_PyPS5_jNS1_19radix_merge_compareILb0ELb1EyNS0_19identity_decomposerEEEEE10hipError_tT0_T1_T2_jT3_P12ihipStream_tbPNSt15iterator_traitsISE_E10value_typeEPNSK_ISF_E10value_typeEPSG_NS1_7vsmem_tEENKUlT_SE_SF_SG_E_clIS8_S8_S9_S9_EESD_ST_SE_SF_SG_EUlST_E0_NS1_11comp_targetILNS1_3genE9ELNS1_11target_archE1100ELNS1_3gpuE3ELNS1_3repE0EEENS1_38merge_mergepath_config_static_selectorELNS0_4arch9wavefront6targetE1EEEvSF_,"axG",@progbits,_ZN7rocprim17ROCPRIM_400000_NS6detail17trampoline_kernelINS0_14default_configENS1_38merge_sort_block_merge_config_selectorIyNS0_10empty_typeEEEZZNS1_27merge_sort_block_merge_implIS3_PyPS5_jNS1_19radix_merge_compareILb0ELb1EyNS0_19identity_decomposerEEEEE10hipError_tT0_T1_T2_jT3_P12ihipStream_tbPNSt15iterator_traitsISE_E10value_typeEPNSK_ISF_E10value_typeEPSG_NS1_7vsmem_tEENKUlT_SE_SF_SG_E_clIS8_S8_S9_S9_EESD_ST_SE_SF_SG_EUlST_E0_NS1_11comp_targetILNS1_3genE9ELNS1_11target_archE1100ELNS1_3gpuE3ELNS1_3repE0EEENS1_38merge_mergepath_config_static_selectorELNS0_4arch9wavefront6targetE1EEEvSF_,comdat
.Lfunc_end1172:
	.size	_ZN7rocprim17ROCPRIM_400000_NS6detail17trampoline_kernelINS0_14default_configENS1_38merge_sort_block_merge_config_selectorIyNS0_10empty_typeEEEZZNS1_27merge_sort_block_merge_implIS3_PyPS5_jNS1_19radix_merge_compareILb0ELb1EyNS0_19identity_decomposerEEEEE10hipError_tT0_T1_T2_jT3_P12ihipStream_tbPNSt15iterator_traitsISE_E10value_typeEPNSK_ISF_E10value_typeEPSG_NS1_7vsmem_tEENKUlT_SE_SF_SG_E_clIS8_S8_S9_S9_EESD_ST_SE_SF_SG_EUlST_E0_NS1_11comp_targetILNS1_3genE9ELNS1_11target_archE1100ELNS1_3gpuE3ELNS1_3repE0EEENS1_38merge_mergepath_config_static_selectorELNS0_4arch9wavefront6targetE1EEEvSF_, .Lfunc_end1172-_ZN7rocprim17ROCPRIM_400000_NS6detail17trampoline_kernelINS0_14default_configENS1_38merge_sort_block_merge_config_selectorIyNS0_10empty_typeEEEZZNS1_27merge_sort_block_merge_implIS3_PyPS5_jNS1_19radix_merge_compareILb0ELb1EyNS0_19identity_decomposerEEEEE10hipError_tT0_T1_T2_jT3_P12ihipStream_tbPNSt15iterator_traitsISE_E10value_typeEPNSK_ISF_E10value_typeEPSG_NS1_7vsmem_tEENKUlT_SE_SF_SG_E_clIS8_S8_S9_S9_EESD_ST_SE_SF_SG_EUlST_E0_NS1_11comp_targetILNS1_3genE9ELNS1_11target_archE1100ELNS1_3gpuE3ELNS1_3repE0EEENS1_38merge_mergepath_config_static_selectorELNS0_4arch9wavefront6targetE1EEEvSF_
                                        ; -- End function
	.section	.AMDGPU.csdata,"",@progbits
; Kernel info:
; codeLenInByte = 0
; NumSgprs: 4
; NumVgprs: 0
; NumAgprs: 0
; TotalNumVgprs: 0
; ScratchSize: 0
; MemoryBound: 0
; FloatMode: 240
; IeeeMode: 1
; LDSByteSize: 0 bytes/workgroup (compile time only)
; SGPRBlocks: 0
; VGPRBlocks: 0
; NumSGPRsForWavesPerEU: 4
; NumVGPRsForWavesPerEU: 1
; AccumOffset: 4
; Occupancy: 8
; WaveLimiterHint : 0
; COMPUTE_PGM_RSRC2:SCRATCH_EN: 0
; COMPUTE_PGM_RSRC2:USER_SGPR: 6
; COMPUTE_PGM_RSRC2:TRAP_HANDLER: 0
; COMPUTE_PGM_RSRC2:TGID_X_EN: 1
; COMPUTE_PGM_RSRC2:TGID_Y_EN: 0
; COMPUTE_PGM_RSRC2:TGID_Z_EN: 0
; COMPUTE_PGM_RSRC2:TIDIG_COMP_CNT: 0
; COMPUTE_PGM_RSRC3_GFX90A:ACCUM_OFFSET: 0
; COMPUTE_PGM_RSRC3_GFX90A:TG_SPLIT: 0
	.section	.text._ZN7rocprim17ROCPRIM_400000_NS6detail17trampoline_kernelINS0_14default_configENS1_38merge_sort_block_merge_config_selectorIyNS0_10empty_typeEEEZZNS1_27merge_sort_block_merge_implIS3_PyPS5_jNS1_19radix_merge_compareILb0ELb1EyNS0_19identity_decomposerEEEEE10hipError_tT0_T1_T2_jT3_P12ihipStream_tbPNSt15iterator_traitsISE_E10value_typeEPNSK_ISF_E10value_typeEPSG_NS1_7vsmem_tEENKUlT_SE_SF_SG_E_clIS8_S8_S9_S9_EESD_ST_SE_SF_SG_EUlST_E0_NS1_11comp_targetILNS1_3genE8ELNS1_11target_archE1030ELNS1_3gpuE2ELNS1_3repE0EEENS1_38merge_mergepath_config_static_selectorELNS0_4arch9wavefront6targetE1EEEvSF_,"axG",@progbits,_ZN7rocprim17ROCPRIM_400000_NS6detail17trampoline_kernelINS0_14default_configENS1_38merge_sort_block_merge_config_selectorIyNS0_10empty_typeEEEZZNS1_27merge_sort_block_merge_implIS3_PyPS5_jNS1_19radix_merge_compareILb0ELb1EyNS0_19identity_decomposerEEEEE10hipError_tT0_T1_T2_jT3_P12ihipStream_tbPNSt15iterator_traitsISE_E10value_typeEPNSK_ISF_E10value_typeEPSG_NS1_7vsmem_tEENKUlT_SE_SF_SG_E_clIS8_S8_S9_S9_EESD_ST_SE_SF_SG_EUlST_E0_NS1_11comp_targetILNS1_3genE8ELNS1_11target_archE1030ELNS1_3gpuE2ELNS1_3repE0EEENS1_38merge_mergepath_config_static_selectorELNS0_4arch9wavefront6targetE1EEEvSF_,comdat
	.protected	_ZN7rocprim17ROCPRIM_400000_NS6detail17trampoline_kernelINS0_14default_configENS1_38merge_sort_block_merge_config_selectorIyNS0_10empty_typeEEEZZNS1_27merge_sort_block_merge_implIS3_PyPS5_jNS1_19radix_merge_compareILb0ELb1EyNS0_19identity_decomposerEEEEE10hipError_tT0_T1_T2_jT3_P12ihipStream_tbPNSt15iterator_traitsISE_E10value_typeEPNSK_ISF_E10value_typeEPSG_NS1_7vsmem_tEENKUlT_SE_SF_SG_E_clIS8_S8_S9_S9_EESD_ST_SE_SF_SG_EUlST_E0_NS1_11comp_targetILNS1_3genE8ELNS1_11target_archE1030ELNS1_3gpuE2ELNS1_3repE0EEENS1_38merge_mergepath_config_static_selectorELNS0_4arch9wavefront6targetE1EEEvSF_ ; -- Begin function _ZN7rocprim17ROCPRIM_400000_NS6detail17trampoline_kernelINS0_14default_configENS1_38merge_sort_block_merge_config_selectorIyNS0_10empty_typeEEEZZNS1_27merge_sort_block_merge_implIS3_PyPS5_jNS1_19radix_merge_compareILb0ELb1EyNS0_19identity_decomposerEEEEE10hipError_tT0_T1_T2_jT3_P12ihipStream_tbPNSt15iterator_traitsISE_E10value_typeEPNSK_ISF_E10value_typeEPSG_NS1_7vsmem_tEENKUlT_SE_SF_SG_E_clIS8_S8_S9_S9_EESD_ST_SE_SF_SG_EUlST_E0_NS1_11comp_targetILNS1_3genE8ELNS1_11target_archE1030ELNS1_3gpuE2ELNS1_3repE0EEENS1_38merge_mergepath_config_static_selectorELNS0_4arch9wavefront6targetE1EEEvSF_
	.globl	_ZN7rocprim17ROCPRIM_400000_NS6detail17trampoline_kernelINS0_14default_configENS1_38merge_sort_block_merge_config_selectorIyNS0_10empty_typeEEEZZNS1_27merge_sort_block_merge_implIS3_PyPS5_jNS1_19radix_merge_compareILb0ELb1EyNS0_19identity_decomposerEEEEE10hipError_tT0_T1_T2_jT3_P12ihipStream_tbPNSt15iterator_traitsISE_E10value_typeEPNSK_ISF_E10value_typeEPSG_NS1_7vsmem_tEENKUlT_SE_SF_SG_E_clIS8_S8_S9_S9_EESD_ST_SE_SF_SG_EUlST_E0_NS1_11comp_targetILNS1_3genE8ELNS1_11target_archE1030ELNS1_3gpuE2ELNS1_3repE0EEENS1_38merge_mergepath_config_static_selectorELNS0_4arch9wavefront6targetE1EEEvSF_
	.p2align	8
	.type	_ZN7rocprim17ROCPRIM_400000_NS6detail17trampoline_kernelINS0_14default_configENS1_38merge_sort_block_merge_config_selectorIyNS0_10empty_typeEEEZZNS1_27merge_sort_block_merge_implIS3_PyPS5_jNS1_19radix_merge_compareILb0ELb1EyNS0_19identity_decomposerEEEEE10hipError_tT0_T1_T2_jT3_P12ihipStream_tbPNSt15iterator_traitsISE_E10value_typeEPNSK_ISF_E10value_typeEPSG_NS1_7vsmem_tEENKUlT_SE_SF_SG_E_clIS8_S8_S9_S9_EESD_ST_SE_SF_SG_EUlST_E0_NS1_11comp_targetILNS1_3genE8ELNS1_11target_archE1030ELNS1_3gpuE2ELNS1_3repE0EEENS1_38merge_mergepath_config_static_selectorELNS0_4arch9wavefront6targetE1EEEvSF_,@function
_ZN7rocprim17ROCPRIM_400000_NS6detail17trampoline_kernelINS0_14default_configENS1_38merge_sort_block_merge_config_selectorIyNS0_10empty_typeEEEZZNS1_27merge_sort_block_merge_implIS3_PyPS5_jNS1_19radix_merge_compareILb0ELb1EyNS0_19identity_decomposerEEEEE10hipError_tT0_T1_T2_jT3_P12ihipStream_tbPNSt15iterator_traitsISE_E10value_typeEPNSK_ISF_E10value_typeEPSG_NS1_7vsmem_tEENKUlT_SE_SF_SG_E_clIS8_S8_S9_S9_EESD_ST_SE_SF_SG_EUlST_E0_NS1_11comp_targetILNS1_3genE8ELNS1_11target_archE1030ELNS1_3gpuE2ELNS1_3repE0EEENS1_38merge_mergepath_config_static_selectorELNS0_4arch9wavefront6targetE1EEEvSF_: ; @_ZN7rocprim17ROCPRIM_400000_NS6detail17trampoline_kernelINS0_14default_configENS1_38merge_sort_block_merge_config_selectorIyNS0_10empty_typeEEEZZNS1_27merge_sort_block_merge_implIS3_PyPS5_jNS1_19radix_merge_compareILb0ELb1EyNS0_19identity_decomposerEEEEE10hipError_tT0_T1_T2_jT3_P12ihipStream_tbPNSt15iterator_traitsISE_E10value_typeEPNSK_ISF_E10value_typeEPSG_NS1_7vsmem_tEENKUlT_SE_SF_SG_E_clIS8_S8_S9_S9_EESD_ST_SE_SF_SG_EUlST_E0_NS1_11comp_targetILNS1_3genE8ELNS1_11target_archE1030ELNS1_3gpuE2ELNS1_3repE0EEENS1_38merge_mergepath_config_static_selectorELNS0_4arch9wavefront6targetE1EEEvSF_
; %bb.0:
	.section	.rodata,"a",@progbits
	.p2align	6, 0x0
	.amdhsa_kernel _ZN7rocprim17ROCPRIM_400000_NS6detail17trampoline_kernelINS0_14default_configENS1_38merge_sort_block_merge_config_selectorIyNS0_10empty_typeEEEZZNS1_27merge_sort_block_merge_implIS3_PyPS5_jNS1_19radix_merge_compareILb0ELb1EyNS0_19identity_decomposerEEEEE10hipError_tT0_T1_T2_jT3_P12ihipStream_tbPNSt15iterator_traitsISE_E10value_typeEPNSK_ISF_E10value_typeEPSG_NS1_7vsmem_tEENKUlT_SE_SF_SG_E_clIS8_S8_S9_S9_EESD_ST_SE_SF_SG_EUlST_E0_NS1_11comp_targetILNS1_3genE8ELNS1_11target_archE1030ELNS1_3gpuE2ELNS1_3repE0EEENS1_38merge_mergepath_config_static_selectorELNS0_4arch9wavefront6targetE1EEEvSF_
		.amdhsa_group_segment_fixed_size 0
		.amdhsa_private_segment_fixed_size 0
		.amdhsa_kernarg_size 72
		.amdhsa_user_sgpr_count 6
		.amdhsa_user_sgpr_private_segment_buffer 1
		.amdhsa_user_sgpr_dispatch_ptr 0
		.amdhsa_user_sgpr_queue_ptr 0
		.amdhsa_user_sgpr_kernarg_segment_ptr 1
		.amdhsa_user_sgpr_dispatch_id 0
		.amdhsa_user_sgpr_flat_scratch_init 0
		.amdhsa_user_sgpr_kernarg_preload_length 0
		.amdhsa_user_sgpr_kernarg_preload_offset 0
		.amdhsa_user_sgpr_private_segment_size 0
		.amdhsa_uses_dynamic_stack 0
		.amdhsa_system_sgpr_private_segment_wavefront_offset 0
		.amdhsa_system_sgpr_workgroup_id_x 1
		.amdhsa_system_sgpr_workgroup_id_y 0
		.amdhsa_system_sgpr_workgroup_id_z 0
		.amdhsa_system_sgpr_workgroup_info 0
		.amdhsa_system_vgpr_workitem_id 0
		.amdhsa_next_free_vgpr 1
		.amdhsa_next_free_sgpr 0
		.amdhsa_accum_offset 4
		.amdhsa_reserve_vcc 0
		.amdhsa_reserve_flat_scratch 0
		.amdhsa_float_round_mode_32 0
		.amdhsa_float_round_mode_16_64 0
		.amdhsa_float_denorm_mode_32 3
		.amdhsa_float_denorm_mode_16_64 3
		.amdhsa_dx10_clamp 1
		.amdhsa_ieee_mode 1
		.amdhsa_fp16_overflow 0
		.amdhsa_tg_split 0
		.amdhsa_exception_fp_ieee_invalid_op 0
		.amdhsa_exception_fp_denorm_src 0
		.amdhsa_exception_fp_ieee_div_zero 0
		.amdhsa_exception_fp_ieee_overflow 0
		.amdhsa_exception_fp_ieee_underflow 0
		.amdhsa_exception_fp_ieee_inexact 0
		.amdhsa_exception_int_div_zero 0
	.end_amdhsa_kernel
	.section	.text._ZN7rocprim17ROCPRIM_400000_NS6detail17trampoline_kernelINS0_14default_configENS1_38merge_sort_block_merge_config_selectorIyNS0_10empty_typeEEEZZNS1_27merge_sort_block_merge_implIS3_PyPS5_jNS1_19radix_merge_compareILb0ELb1EyNS0_19identity_decomposerEEEEE10hipError_tT0_T1_T2_jT3_P12ihipStream_tbPNSt15iterator_traitsISE_E10value_typeEPNSK_ISF_E10value_typeEPSG_NS1_7vsmem_tEENKUlT_SE_SF_SG_E_clIS8_S8_S9_S9_EESD_ST_SE_SF_SG_EUlST_E0_NS1_11comp_targetILNS1_3genE8ELNS1_11target_archE1030ELNS1_3gpuE2ELNS1_3repE0EEENS1_38merge_mergepath_config_static_selectorELNS0_4arch9wavefront6targetE1EEEvSF_,"axG",@progbits,_ZN7rocprim17ROCPRIM_400000_NS6detail17trampoline_kernelINS0_14default_configENS1_38merge_sort_block_merge_config_selectorIyNS0_10empty_typeEEEZZNS1_27merge_sort_block_merge_implIS3_PyPS5_jNS1_19radix_merge_compareILb0ELb1EyNS0_19identity_decomposerEEEEE10hipError_tT0_T1_T2_jT3_P12ihipStream_tbPNSt15iterator_traitsISE_E10value_typeEPNSK_ISF_E10value_typeEPSG_NS1_7vsmem_tEENKUlT_SE_SF_SG_E_clIS8_S8_S9_S9_EESD_ST_SE_SF_SG_EUlST_E0_NS1_11comp_targetILNS1_3genE8ELNS1_11target_archE1030ELNS1_3gpuE2ELNS1_3repE0EEENS1_38merge_mergepath_config_static_selectorELNS0_4arch9wavefront6targetE1EEEvSF_,comdat
.Lfunc_end1173:
	.size	_ZN7rocprim17ROCPRIM_400000_NS6detail17trampoline_kernelINS0_14default_configENS1_38merge_sort_block_merge_config_selectorIyNS0_10empty_typeEEEZZNS1_27merge_sort_block_merge_implIS3_PyPS5_jNS1_19radix_merge_compareILb0ELb1EyNS0_19identity_decomposerEEEEE10hipError_tT0_T1_T2_jT3_P12ihipStream_tbPNSt15iterator_traitsISE_E10value_typeEPNSK_ISF_E10value_typeEPSG_NS1_7vsmem_tEENKUlT_SE_SF_SG_E_clIS8_S8_S9_S9_EESD_ST_SE_SF_SG_EUlST_E0_NS1_11comp_targetILNS1_3genE8ELNS1_11target_archE1030ELNS1_3gpuE2ELNS1_3repE0EEENS1_38merge_mergepath_config_static_selectorELNS0_4arch9wavefront6targetE1EEEvSF_, .Lfunc_end1173-_ZN7rocprim17ROCPRIM_400000_NS6detail17trampoline_kernelINS0_14default_configENS1_38merge_sort_block_merge_config_selectorIyNS0_10empty_typeEEEZZNS1_27merge_sort_block_merge_implIS3_PyPS5_jNS1_19radix_merge_compareILb0ELb1EyNS0_19identity_decomposerEEEEE10hipError_tT0_T1_T2_jT3_P12ihipStream_tbPNSt15iterator_traitsISE_E10value_typeEPNSK_ISF_E10value_typeEPSG_NS1_7vsmem_tEENKUlT_SE_SF_SG_E_clIS8_S8_S9_S9_EESD_ST_SE_SF_SG_EUlST_E0_NS1_11comp_targetILNS1_3genE8ELNS1_11target_archE1030ELNS1_3gpuE2ELNS1_3repE0EEENS1_38merge_mergepath_config_static_selectorELNS0_4arch9wavefront6targetE1EEEvSF_
                                        ; -- End function
	.section	.AMDGPU.csdata,"",@progbits
; Kernel info:
; codeLenInByte = 0
; NumSgprs: 4
; NumVgprs: 0
; NumAgprs: 0
; TotalNumVgprs: 0
; ScratchSize: 0
; MemoryBound: 0
; FloatMode: 240
; IeeeMode: 1
; LDSByteSize: 0 bytes/workgroup (compile time only)
; SGPRBlocks: 0
; VGPRBlocks: 0
; NumSGPRsForWavesPerEU: 4
; NumVGPRsForWavesPerEU: 1
; AccumOffset: 4
; Occupancy: 8
; WaveLimiterHint : 0
; COMPUTE_PGM_RSRC2:SCRATCH_EN: 0
; COMPUTE_PGM_RSRC2:USER_SGPR: 6
; COMPUTE_PGM_RSRC2:TRAP_HANDLER: 0
; COMPUTE_PGM_RSRC2:TGID_X_EN: 1
; COMPUTE_PGM_RSRC2:TGID_Y_EN: 0
; COMPUTE_PGM_RSRC2:TGID_Z_EN: 0
; COMPUTE_PGM_RSRC2:TIDIG_COMP_CNT: 0
; COMPUTE_PGM_RSRC3_GFX90A:ACCUM_OFFSET: 0
; COMPUTE_PGM_RSRC3_GFX90A:TG_SPLIT: 0
	.section	.text._ZN7rocprim17ROCPRIM_400000_NS6detail17trampoline_kernelINS0_14default_configENS1_38merge_sort_block_merge_config_selectorIyNS0_10empty_typeEEEZZNS1_27merge_sort_block_merge_implIS3_PyPS5_jNS1_19radix_merge_compareILb0ELb1EyNS0_19identity_decomposerEEEEE10hipError_tT0_T1_T2_jT3_P12ihipStream_tbPNSt15iterator_traitsISE_E10value_typeEPNSK_ISF_E10value_typeEPSG_NS1_7vsmem_tEENKUlT_SE_SF_SG_E_clIS8_S8_S9_S9_EESD_ST_SE_SF_SG_EUlST_E1_NS1_11comp_targetILNS1_3genE0ELNS1_11target_archE4294967295ELNS1_3gpuE0ELNS1_3repE0EEENS1_36merge_oddeven_config_static_selectorELNS0_4arch9wavefront6targetE1EEEvSF_,"axG",@progbits,_ZN7rocprim17ROCPRIM_400000_NS6detail17trampoline_kernelINS0_14default_configENS1_38merge_sort_block_merge_config_selectorIyNS0_10empty_typeEEEZZNS1_27merge_sort_block_merge_implIS3_PyPS5_jNS1_19radix_merge_compareILb0ELb1EyNS0_19identity_decomposerEEEEE10hipError_tT0_T1_T2_jT3_P12ihipStream_tbPNSt15iterator_traitsISE_E10value_typeEPNSK_ISF_E10value_typeEPSG_NS1_7vsmem_tEENKUlT_SE_SF_SG_E_clIS8_S8_S9_S9_EESD_ST_SE_SF_SG_EUlST_E1_NS1_11comp_targetILNS1_3genE0ELNS1_11target_archE4294967295ELNS1_3gpuE0ELNS1_3repE0EEENS1_36merge_oddeven_config_static_selectorELNS0_4arch9wavefront6targetE1EEEvSF_,comdat
	.protected	_ZN7rocprim17ROCPRIM_400000_NS6detail17trampoline_kernelINS0_14default_configENS1_38merge_sort_block_merge_config_selectorIyNS0_10empty_typeEEEZZNS1_27merge_sort_block_merge_implIS3_PyPS5_jNS1_19radix_merge_compareILb0ELb1EyNS0_19identity_decomposerEEEEE10hipError_tT0_T1_T2_jT3_P12ihipStream_tbPNSt15iterator_traitsISE_E10value_typeEPNSK_ISF_E10value_typeEPSG_NS1_7vsmem_tEENKUlT_SE_SF_SG_E_clIS8_S8_S9_S9_EESD_ST_SE_SF_SG_EUlST_E1_NS1_11comp_targetILNS1_3genE0ELNS1_11target_archE4294967295ELNS1_3gpuE0ELNS1_3repE0EEENS1_36merge_oddeven_config_static_selectorELNS0_4arch9wavefront6targetE1EEEvSF_ ; -- Begin function _ZN7rocprim17ROCPRIM_400000_NS6detail17trampoline_kernelINS0_14default_configENS1_38merge_sort_block_merge_config_selectorIyNS0_10empty_typeEEEZZNS1_27merge_sort_block_merge_implIS3_PyPS5_jNS1_19radix_merge_compareILb0ELb1EyNS0_19identity_decomposerEEEEE10hipError_tT0_T1_T2_jT3_P12ihipStream_tbPNSt15iterator_traitsISE_E10value_typeEPNSK_ISF_E10value_typeEPSG_NS1_7vsmem_tEENKUlT_SE_SF_SG_E_clIS8_S8_S9_S9_EESD_ST_SE_SF_SG_EUlST_E1_NS1_11comp_targetILNS1_3genE0ELNS1_11target_archE4294967295ELNS1_3gpuE0ELNS1_3repE0EEENS1_36merge_oddeven_config_static_selectorELNS0_4arch9wavefront6targetE1EEEvSF_
	.globl	_ZN7rocprim17ROCPRIM_400000_NS6detail17trampoline_kernelINS0_14default_configENS1_38merge_sort_block_merge_config_selectorIyNS0_10empty_typeEEEZZNS1_27merge_sort_block_merge_implIS3_PyPS5_jNS1_19radix_merge_compareILb0ELb1EyNS0_19identity_decomposerEEEEE10hipError_tT0_T1_T2_jT3_P12ihipStream_tbPNSt15iterator_traitsISE_E10value_typeEPNSK_ISF_E10value_typeEPSG_NS1_7vsmem_tEENKUlT_SE_SF_SG_E_clIS8_S8_S9_S9_EESD_ST_SE_SF_SG_EUlST_E1_NS1_11comp_targetILNS1_3genE0ELNS1_11target_archE4294967295ELNS1_3gpuE0ELNS1_3repE0EEENS1_36merge_oddeven_config_static_selectorELNS0_4arch9wavefront6targetE1EEEvSF_
	.p2align	8
	.type	_ZN7rocprim17ROCPRIM_400000_NS6detail17trampoline_kernelINS0_14default_configENS1_38merge_sort_block_merge_config_selectorIyNS0_10empty_typeEEEZZNS1_27merge_sort_block_merge_implIS3_PyPS5_jNS1_19radix_merge_compareILb0ELb1EyNS0_19identity_decomposerEEEEE10hipError_tT0_T1_T2_jT3_P12ihipStream_tbPNSt15iterator_traitsISE_E10value_typeEPNSK_ISF_E10value_typeEPSG_NS1_7vsmem_tEENKUlT_SE_SF_SG_E_clIS8_S8_S9_S9_EESD_ST_SE_SF_SG_EUlST_E1_NS1_11comp_targetILNS1_3genE0ELNS1_11target_archE4294967295ELNS1_3gpuE0ELNS1_3repE0EEENS1_36merge_oddeven_config_static_selectorELNS0_4arch9wavefront6targetE1EEEvSF_,@function
_ZN7rocprim17ROCPRIM_400000_NS6detail17trampoline_kernelINS0_14default_configENS1_38merge_sort_block_merge_config_selectorIyNS0_10empty_typeEEEZZNS1_27merge_sort_block_merge_implIS3_PyPS5_jNS1_19radix_merge_compareILb0ELb1EyNS0_19identity_decomposerEEEEE10hipError_tT0_T1_T2_jT3_P12ihipStream_tbPNSt15iterator_traitsISE_E10value_typeEPNSK_ISF_E10value_typeEPSG_NS1_7vsmem_tEENKUlT_SE_SF_SG_E_clIS8_S8_S9_S9_EESD_ST_SE_SF_SG_EUlST_E1_NS1_11comp_targetILNS1_3genE0ELNS1_11target_archE4294967295ELNS1_3gpuE0ELNS1_3repE0EEENS1_36merge_oddeven_config_static_selectorELNS0_4arch9wavefront6targetE1EEEvSF_: ; @_ZN7rocprim17ROCPRIM_400000_NS6detail17trampoline_kernelINS0_14default_configENS1_38merge_sort_block_merge_config_selectorIyNS0_10empty_typeEEEZZNS1_27merge_sort_block_merge_implIS3_PyPS5_jNS1_19radix_merge_compareILb0ELb1EyNS0_19identity_decomposerEEEEE10hipError_tT0_T1_T2_jT3_P12ihipStream_tbPNSt15iterator_traitsISE_E10value_typeEPNSK_ISF_E10value_typeEPSG_NS1_7vsmem_tEENKUlT_SE_SF_SG_E_clIS8_S8_S9_S9_EESD_ST_SE_SF_SG_EUlST_E1_NS1_11comp_targetILNS1_3genE0ELNS1_11target_archE4294967295ELNS1_3gpuE0ELNS1_3repE0EEENS1_36merge_oddeven_config_static_selectorELNS0_4arch9wavefront6targetE1EEEvSF_
; %bb.0:
	.section	.rodata,"a",@progbits
	.p2align	6, 0x0
	.amdhsa_kernel _ZN7rocprim17ROCPRIM_400000_NS6detail17trampoline_kernelINS0_14default_configENS1_38merge_sort_block_merge_config_selectorIyNS0_10empty_typeEEEZZNS1_27merge_sort_block_merge_implIS3_PyPS5_jNS1_19radix_merge_compareILb0ELb1EyNS0_19identity_decomposerEEEEE10hipError_tT0_T1_T2_jT3_P12ihipStream_tbPNSt15iterator_traitsISE_E10value_typeEPNSK_ISF_E10value_typeEPSG_NS1_7vsmem_tEENKUlT_SE_SF_SG_E_clIS8_S8_S9_S9_EESD_ST_SE_SF_SG_EUlST_E1_NS1_11comp_targetILNS1_3genE0ELNS1_11target_archE4294967295ELNS1_3gpuE0ELNS1_3repE0EEENS1_36merge_oddeven_config_static_selectorELNS0_4arch9wavefront6targetE1EEEvSF_
		.amdhsa_group_segment_fixed_size 0
		.amdhsa_private_segment_fixed_size 0
		.amdhsa_kernarg_size 48
		.amdhsa_user_sgpr_count 6
		.amdhsa_user_sgpr_private_segment_buffer 1
		.amdhsa_user_sgpr_dispatch_ptr 0
		.amdhsa_user_sgpr_queue_ptr 0
		.amdhsa_user_sgpr_kernarg_segment_ptr 1
		.amdhsa_user_sgpr_dispatch_id 0
		.amdhsa_user_sgpr_flat_scratch_init 0
		.amdhsa_user_sgpr_kernarg_preload_length 0
		.amdhsa_user_sgpr_kernarg_preload_offset 0
		.amdhsa_user_sgpr_private_segment_size 0
		.amdhsa_uses_dynamic_stack 0
		.amdhsa_system_sgpr_private_segment_wavefront_offset 0
		.amdhsa_system_sgpr_workgroup_id_x 1
		.amdhsa_system_sgpr_workgroup_id_y 0
		.amdhsa_system_sgpr_workgroup_id_z 0
		.amdhsa_system_sgpr_workgroup_info 0
		.amdhsa_system_vgpr_workitem_id 0
		.amdhsa_next_free_vgpr 1
		.amdhsa_next_free_sgpr 0
		.amdhsa_accum_offset 4
		.amdhsa_reserve_vcc 0
		.amdhsa_reserve_flat_scratch 0
		.amdhsa_float_round_mode_32 0
		.amdhsa_float_round_mode_16_64 0
		.amdhsa_float_denorm_mode_32 3
		.amdhsa_float_denorm_mode_16_64 3
		.amdhsa_dx10_clamp 1
		.amdhsa_ieee_mode 1
		.amdhsa_fp16_overflow 0
		.amdhsa_tg_split 0
		.amdhsa_exception_fp_ieee_invalid_op 0
		.amdhsa_exception_fp_denorm_src 0
		.amdhsa_exception_fp_ieee_div_zero 0
		.amdhsa_exception_fp_ieee_overflow 0
		.amdhsa_exception_fp_ieee_underflow 0
		.amdhsa_exception_fp_ieee_inexact 0
		.amdhsa_exception_int_div_zero 0
	.end_amdhsa_kernel
	.section	.text._ZN7rocprim17ROCPRIM_400000_NS6detail17trampoline_kernelINS0_14default_configENS1_38merge_sort_block_merge_config_selectorIyNS0_10empty_typeEEEZZNS1_27merge_sort_block_merge_implIS3_PyPS5_jNS1_19radix_merge_compareILb0ELb1EyNS0_19identity_decomposerEEEEE10hipError_tT0_T1_T2_jT3_P12ihipStream_tbPNSt15iterator_traitsISE_E10value_typeEPNSK_ISF_E10value_typeEPSG_NS1_7vsmem_tEENKUlT_SE_SF_SG_E_clIS8_S8_S9_S9_EESD_ST_SE_SF_SG_EUlST_E1_NS1_11comp_targetILNS1_3genE0ELNS1_11target_archE4294967295ELNS1_3gpuE0ELNS1_3repE0EEENS1_36merge_oddeven_config_static_selectorELNS0_4arch9wavefront6targetE1EEEvSF_,"axG",@progbits,_ZN7rocprim17ROCPRIM_400000_NS6detail17trampoline_kernelINS0_14default_configENS1_38merge_sort_block_merge_config_selectorIyNS0_10empty_typeEEEZZNS1_27merge_sort_block_merge_implIS3_PyPS5_jNS1_19radix_merge_compareILb0ELb1EyNS0_19identity_decomposerEEEEE10hipError_tT0_T1_T2_jT3_P12ihipStream_tbPNSt15iterator_traitsISE_E10value_typeEPNSK_ISF_E10value_typeEPSG_NS1_7vsmem_tEENKUlT_SE_SF_SG_E_clIS8_S8_S9_S9_EESD_ST_SE_SF_SG_EUlST_E1_NS1_11comp_targetILNS1_3genE0ELNS1_11target_archE4294967295ELNS1_3gpuE0ELNS1_3repE0EEENS1_36merge_oddeven_config_static_selectorELNS0_4arch9wavefront6targetE1EEEvSF_,comdat
.Lfunc_end1174:
	.size	_ZN7rocprim17ROCPRIM_400000_NS6detail17trampoline_kernelINS0_14default_configENS1_38merge_sort_block_merge_config_selectorIyNS0_10empty_typeEEEZZNS1_27merge_sort_block_merge_implIS3_PyPS5_jNS1_19radix_merge_compareILb0ELb1EyNS0_19identity_decomposerEEEEE10hipError_tT0_T1_T2_jT3_P12ihipStream_tbPNSt15iterator_traitsISE_E10value_typeEPNSK_ISF_E10value_typeEPSG_NS1_7vsmem_tEENKUlT_SE_SF_SG_E_clIS8_S8_S9_S9_EESD_ST_SE_SF_SG_EUlST_E1_NS1_11comp_targetILNS1_3genE0ELNS1_11target_archE4294967295ELNS1_3gpuE0ELNS1_3repE0EEENS1_36merge_oddeven_config_static_selectorELNS0_4arch9wavefront6targetE1EEEvSF_, .Lfunc_end1174-_ZN7rocprim17ROCPRIM_400000_NS6detail17trampoline_kernelINS0_14default_configENS1_38merge_sort_block_merge_config_selectorIyNS0_10empty_typeEEEZZNS1_27merge_sort_block_merge_implIS3_PyPS5_jNS1_19radix_merge_compareILb0ELb1EyNS0_19identity_decomposerEEEEE10hipError_tT0_T1_T2_jT3_P12ihipStream_tbPNSt15iterator_traitsISE_E10value_typeEPNSK_ISF_E10value_typeEPSG_NS1_7vsmem_tEENKUlT_SE_SF_SG_E_clIS8_S8_S9_S9_EESD_ST_SE_SF_SG_EUlST_E1_NS1_11comp_targetILNS1_3genE0ELNS1_11target_archE4294967295ELNS1_3gpuE0ELNS1_3repE0EEENS1_36merge_oddeven_config_static_selectorELNS0_4arch9wavefront6targetE1EEEvSF_
                                        ; -- End function
	.section	.AMDGPU.csdata,"",@progbits
; Kernel info:
; codeLenInByte = 0
; NumSgprs: 4
; NumVgprs: 0
; NumAgprs: 0
; TotalNumVgprs: 0
; ScratchSize: 0
; MemoryBound: 0
; FloatMode: 240
; IeeeMode: 1
; LDSByteSize: 0 bytes/workgroup (compile time only)
; SGPRBlocks: 0
; VGPRBlocks: 0
; NumSGPRsForWavesPerEU: 4
; NumVGPRsForWavesPerEU: 1
; AccumOffset: 4
; Occupancy: 8
; WaveLimiterHint : 0
; COMPUTE_PGM_RSRC2:SCRATCH_EN: 0
; COMPUTE_PGM_RSRC2:USER_SGPR: 6
; COMPUTE_PGM_RSRC2:TRAP_HANDLER: 0
; COMPUTE_PGM_RSRC2:TGID_X_EN: 1
; COMPUTE_PGM_RSRC2:TGID_Y_EN: 0
; COMPUTE_PGM_RSRC2:TGID_Z_EN: 0
; COMPUTE_PGM_RSRC2:TIDIG_COMP_CNT: 0
; COMPUTE_PGM_RSRC3_GFX90A:ACCUM_OFFSET: 0
; COMPUTE_PGM_RSRC3_GFX90A:TG_SPLIT: 0
	.section	.text._ZN7rocprim17ROCPRIM_400000_NS6detail17trampoline_kernelINS0_14default_configENS1_38merge_sort_block_merge_config_selectorIyNS0_10empty_typeEEEZZNS1_27merge_sort_block_merge_implIS3_PyPS5_jNS1_19radix_merge_compareILb0ELb1EyNS0_19identity_decomposerEEEEE10hipError_tT0_T1_T2_jT3_P12ihipStream_tbPNSt15iterator_traitsISE_E10value_typeEPNSK_ISF_E10value_typeEPSG_NS1_7vsmem_tEENKUlT_SE_SF_SG_E_clIS8_S8_S9_S9_EESD_ST_SE_SF_SG_EUlST_E1_NS1_11comp_targetILNS1_3genE10ELNS1_11target_archE1201ELNS1_3gpuE5ELNS1_3repE0EEENS1_36merge_oddeven_config_static_selectorELNS0_4arch9wavefront6targetE1EEEvSF_,"axG",@progbits,_ZN7rocprim17ROCPRIM_400000_NS6detail17trampoline_kernelINS0_14default_configENS1_38merge_sort_block_merge_config_selectorIyNS0_10empty_typeEEEZZNS1_27merge_sort_block_merge_implIS3_PyPS5_jNS1_19radix_merge_compareILb0ELb1EyNS0_19identity_decomposerEEEEE10hipError_tT0_T1_T2_jT3_P12ihipStream_tbPNSt15iterator_traitsISE_E10value_typeEPNSK_ISF_E10value_typeEPSG_NS1_7vsmem_tEENKUlT_SE_SF_SG_E_clIS8_S8_S9_S9_EESD_ST_SE_SF_SG_EUlST_E1_NS1_11comp_targetILNS1_3genE10ELNS1_11target_archE1201ELNS1_3gpuE5ELNS1_3repE0EEENS1_36merge_oddeven_config_static_selectorELNS0_4arch9wavefront6targetE1EEEvSF_,comdat
	.protected	_ZN7rocprim17ROCPRIM_400000_NS6detail17trampoline_kernelINS0_14default_configENS1_38merge_sort_block_merge_config_selectorIyNS0_10empty_typeEEEZZNS1_27merge_sort_block_merge_implIS3_PyPS5_jNS1_19radix_merge_compareILb0ELb1EyNS0_19identity_decomposerEEEEE10hipError_tT0_T1_T2_jT3_P12ihipStream_tbPNSt15iterator_traitsISE_E10value_typeEPNSK_ISF_E10value_typeEPSG_NS1_7vsmem_tEENKUlT_SE_SF_SG_E_clIS8_S8_S9_S9_EESD_ST_SE_SF_SG_EUlST_E1_NS1_11comp_targetILNS1_3genE10ELNS1_11target_archE1201ELNS1_3gpuE5ELNS1_3repE0EEENS1_36merge_oddeven_config_static_selectorELNS0_4arch9wavefront6targetE1EEEvSF_ ; -- Begin function _ZN7rocprim17ROCPRIM_400000_NS6detail17trampoline_kernelINS0_14default_configENS1_38merge_sort_block_merge_config_selectorIyNS0_10empty_typeEEEZZNS1_27merge_sort_block_merge_implIS3_PyPS5_jNS1_19radix_merge_compareILb0ELb1EyNS0_19identity_decomposerEEEEE10hipError_tT0_T1_T2_jT3_P12ihipStream_tbPNSt15iterator_traitsISE_E10value_typeEPNSK_ISF_E10value_typeEPSG_NS1_7vsmem_tEENKUlT_SE_SF_SG_E_clIS8_S8_S9_S9_EESD_ST_SE_SF_SG_EUlST_E1_NS1_11comp_targetILNS1_3genE10ELNS1_11target_archE1201ELNS1_3gpuE5ELNS1_3repE0EEENS1_36merge_oddeven_config_static_selectorELNS0_4arch9wavefront6targetE1EEEvSF_
	.globl	_ZN7rocprim17ROCPRIM_400000_NS6detail17trampoline_kernelINS0_14default_configENS1_38merge_sort_block_merge_config_selectorIyNS0_10empty_typeEEEZZNS1_27merge_sort_block_merge_implIS3_PyPS5_jNS1_19radix_merge_compareILb0ELb1EyNS0_19identity_decomposerEEEEE10hipError_tT0_T1_T2_jT3_P12ihipStream_tbPNSt15iterator_traitsISE_E10value_typeEPNSK_ISF_E10value_typeEPSG_NS1_7vsmem_tEENKUlT_SE_SF_SG_E_clIS8_S8_S9_S9_EESD_ST_SE_SF_SG_EUlST_E1_NS1_11comp_targetILNS1_3genE10ELNS1_11target_archE1201ELNS1_3gpuE5ELNS1_3repE0EEENS1_36merge_oddeven_config_static_selectorELNS0_4arch9wavefront6targetE1EEEvSF_
	.p2align	8
	.type	_ZN7rocprim17ROCPRIM_400000_NS6detail17trampoline_kernelINS0_14default_configENS1_38merge_sort_block_merge_config_selectorIyNS0_10empty_typeEEEZZNS1_27merge_sort_block_merge_implIS3_PyPS5_jNS1_19radix_merge_compareILb0ELb1EyNS0_19identity_decomposerEEEEE10hipError_tT0_T1_T2_jT3_P12ihipStream_tbPNSt15iterator_traitsISE_E10value_typeEPNSK_ISF_E10value_typeEPSG_NS1_7vsmem_tEENKUlT_SE_SF_SG_E_clIS8_S8_S9_S9_EESD_ST_SE_SF_SG_EUlST_E1_NS1_11comp_targetILNS1_3genE10ELNS1_11target_archE1201ELNS1_3gpuE5ELNS1_3repE0EEENS1_36merge_oddeven_config_static_selectorELNS0_4arch9wavefront6targetE1EEEvSF_,@function
_ZN7rocprim17ROCPRIM_400000_NS6detail17trampoline_kernelINS0_14default_configENS1_38merge_sort_block_merge_config_selectorIyNS0_10empty_typeEEEZZNS1_27merge_sort_block_merge_implIS3_PyPS5_jNS1_19radix_merge_compareILb0ELb1EyNS0_19identity_decomposerEEEEE10hipError_tT0_T1_T2_jT3_P12ihipStream_tbPNSt15iterator_traitsISE_E10value_typeEPNSK_ISF_E10value_typeEPSG_NS1_7vsmem_tEENKUlT_SE_SF_SG_E_clIS8_S8_S9_S9_EESD_ST_SE_SF_SG_EUlST_E1_NS1_11comp_targetILNS1_3genE10ELNS1_11target_archE1201ELNS1_3gpuE5ELNS1_3repE0EEENS1_36merge_oddeven_config_static_selectorELNS0_4arch9wavefront6targetE1EEEvSF_: ; @_ZN7rocprim17ROCPRIM_400000_NS6detail17trampoline_kernelINS0_14default_configENS1_38merge_sort_block_merge_config_selectorIyNS0_10empty_typeEEEZZNS1_27merge_sort_block_merge_implIS3_PyPS5_jNS1_19radix_merge_compareILb0ELb1EyNS0_19identity_decomposerEEEEE10hipError_tT0_T1_T2_jT3_P12ihipStream_tbPNSt15iterator_traitsISE_E10value_typeEPNSK_ISF_E10value_typeEPSG_NS1_7vsmem_tEENKUlT_SE_SF_SG_E_clIS8_S8_S9_S9_EESD_ST_SE_SF_SG_EUlST_E1_NS1_11comp_targetILNS1_3genE10ELNS1_11target_archE1201ELNS1_3gpuE5ELNS1_3repE0EEENS1_36merge_oddeven_config_static_selectorELNS0_4arch9wavefront6targetE1EEEvSF_
; %bb.0:
	.section	.rodata,"a",@progbits
	.p2align	6, 0x0
	.amdhsa_kernel _ZN7rocprim17ROCPRIM_400000_NS6detail17trampoline_kernelINS0_14default_configENS1_38merge_sort_block_merge_config_selectorIyNS0_10empty_typeEEEZZNS1_27merge_sort_block_merge_implIS3_PyPS5_jNS1_19radix_merge_compareILb0ELb1EyNS0_19identity_decomposerEEEEE10hipError_tT0_T1_T2_jT3_P12ihipStream_tbPNSt15iterator_traitsISE_E10value_typeEPNSK_ISF_E10value_typeEPSG_NS1_7vsmem_tEENKUlT_SE_SF_SG_E_clIS8_S8_S9_S9_EESD_ST_SE_SF_SG_EUlST_E1_NS1_11comp_targetILNS1_3genE10ELNS1_11target_archE1201ELNS1_3gpuE5ELNS1_3repE0EEENS1_36merge_oddeven_config_static_selectorELNS0_4arch9wavefront6targetE1EEEvSF_
		.amdhsa_group_segment_fixed_size 0
		.amdhsa_private_segment_fixed_size 0
		.amdhsa_kernarg_size 48
		.amdhsa_user_sgpr_count 6
		.amdhsa_user_sgpr_private_segment_buffer 1
		.amdhsa_user_sgpr_dispatch_ptr 0
		.amdhsa_user_sgpr_queue_ptr 0
		.amdhsa_user_sgpr_kernarg_segment_ptr 1
		.amdhsa_user_sgpr_dispatch_id 0
		.amdhsa_user_sgpr_flat_scratch_init 0
		.amdhsa_user_sgpr_kernarg_preload_length 0
		.amdhsa_user_sgpr_kernarg_preload_offset 0
		.amdhsa_user_sgpr_private_segment_size 0
		.amdhsa_uses_dynamic_stack 0
		.amdhsa_system_sgpr_private_segment_wavefront_offset 0
		.amdhsa_system_sgpr_workgroup_id_x 1
		.amdhsa_system_sgpr_workgroup_id_y 0
		.amdhsa_system_sgpr_workgroup_id_z 0
		.amdhsa_system_sgpr_workgroup_info 0
		.amdhsa_system_vgpr_workitem_id 0
		.amdhsa_next_free_vgpr 1
		.amdhsa_next_free_sgpr 0
		.amdhsa_accum_offset 4
		.amdhsa_reserve_vcc 0
		.amdhsa_reserve_flat_scratch 0
		.amdhsa_float_round_mode_32 0
		.amdhsa_float_round_mode_16_64 0
		.amdhsa_float_denorm_mode_32 3
		.amdhsa_float_denorm_mode_16_64 3
		.amdhsa_dx10_clamp 1
		.amdhsa_ieee_mode 1
		.amdhsa_fp16_overflow 0
		.amdhsa_tg_split 0
		.amdhsa_exception_fp_ieee_invalid_op 0
		.amdhsa_exception_fp_denorm_src 0
		.amdhsa_exception_fp_ieee_div_zero 0
		.amdhsa_exception_fp_ieee_overflow 0
		.amdhsa_exception_fp_ieee_underflow 0
		.amdhsa_exception_fp_ieee_inexact 0
		.amdhsa_exception_int_div_zero 0
	.end_amdhsa_kernel
	.section	.text._ZN7rocprim17ROCPRIM_400000_NS6detail17trampoline_kernelINS0_14default_configENS1_38merge_sort_block_merge_config_selectorIyNS0_10empty_typeEEEZZNS1_27merge_sort_block_merge_implIS3_PyPS5_jNS1_19radix_merge_compareILb0ELb1EyNS0_19identity_decomposerEEEEE10hipError_tT0_T1_T2_jT3_P12ihipStream_tbPNSt15iterator_traitsISE_E10value_typeEPNSK_ISF_E10value_typeEPSG_NS1_7vsmem_tEENKUlT_SE_SF_SG_E_clIS8_S8_S9_S9_EESD_ST_SE_SF_SG_EUlST_E1_NS1_11comp_targetILNS1_3genE10ELNS1_11target_archE1201ELNS1_3gpuE5ELNS1_3repE0EEENS1_36merge_oddeven_config_static_selectorELNS0_4arch9wavefront6targetE1EEEvSF_,"axG",@progbits,_ZN7rocprim17ROCPRIM_400000_NS6detail17trampoline_kernelINS0_14default_configENS1_38merge_sort_block_merge_config_selectorIyNS0_10empty_typeEEEZZNS1_27merge_sort_block_merge_implIS3_PyPS5_jNS1_19radix_merge_compareILb0ELb1EyNS0_19identity_decomposerEEEEE10hipError_tT0_T1_T2_jT3_P12ihipStream_tbPNSt15iterator_traitsISE_E10value_typeEPNSK_ISF_E10value_typeEPSG_NS1_7vsmem_tEENKUlT_SE_SF_SG_E_clIS8_S8_S9_S9_EESD_ST_SE_SF_SG_EUlST_E1_NS1_11comp_targetILNS1_3genE10ELNS1_11target_archE1201ELNS1_3gpuE5ELNS1_3repE0EEENS1_36merge_oddeven_config_static_selectorELNS0_4arch9wavefront6targetE1EEEvSF_,comdat
.Lfunc_end1175:
	.size	_ZN7rocprim17ROCPRIM_400000_NS6detail17trampoline_kernelINS0_14default_configENS1_38merge_sort_block_merge_config_selectorIyNS0_10empty_typeEEEZZNS1_27merge_sort_block_merge_implIS3_PyPS5_jNS1_19radix_merge_compareILb0ELb1EyNS0_19identity_decomposerEEEEE10hipError_tT0_T1_T2_jT3_P12ihipStream_tbPNSt15iterator_traitsISE_E10value_typeEPNSK_ISF_E10value_typeEPSG_NS1_7vsmem_tEENKUlT_SE_SF_SG_E_clIS8_S8_S9_S9_EESD_ST_SE_SF_SG_EUlST_E1_NS1_11comp_targetILNS1_3genE10ELNS1_11target_archE1201ELNS1_3gpuE5ELNS1_3repE0EEENS1_36merge_oddeven_config_static_selectorELNS0_4arch9wavefront6targetE1EEEvSF_, .Lfunc_end1175-_ZN7rocprim17ROCPRIM_400000_NS6detail17trampoline_kernelINS0_14default_configENS1_38merge_sort_block_merge_config_selectorIyNS0_10empty_typeEEEZZNS1_27merge_sort_block_merge_implIS3_PyPS5_jNS1_19radix_merge_compareILb0ELb1EyNS0_19identity_decomposerEEEEE10hipError_tT0_T1_T2_jT3_P12ihipStream_tbPNSt15iterator_traitsISE_E10value_typeEPNSK_ISF_E10value_typeEPSG_NS1_7vsmem_tEENKUlT_SE_SF_SG_E_clIS8_S8_S9_S9_EESD_ST_SE_SF_SG_EUlST_E1_NS1_11comp_targetILNS1_3genE10ELNS1_11target_archE1201ELNS1_3gpuE5ELNS1_3repE0EEENS1_36merge_oddeven_config_static_selectorELNS0_4arch9wavefront6targetE1EEEvSF_
                                        ; -- End function
	.section	.AMDGPU.csdata,"",@progbits
; Kernel info:
; codeLenInByte = 0
; NumSgprs: 4
; NumVgprs: 0
; NumAgprs: 0
; TotalNumVgprs: 0
; ScratchSize: 0
; MemoryBound: 0
; FloatMode: 240
; IeeeMode: 1
; LDSByteSize: 0 bytes/workgroup (compile time only)
; SGPRBlocks: 0
; VGPRBlocks: 0
; NumSGPRsForWavesPerEU: 4
; NumVGPRsForWavesPerEU: 1
; AccumOffset: 4
; Occupancy: 8
; WaveLimiterHint : 0
; COMPUTE_PGM_RSRC2:SCRATCH_EN: 0
; COMPUTE_PGM_RSRC2:USER_SGPR: 6
; COMPUTE_PGM_RSRC2:TRAP_HANDLER: 0
; COMPUTE_PGM_RSRC2:TGID_X_EN: 1
; COMPUTE_PGM_RSRC2:TGID_Y_EN: 0
; COMPUTE_PGM_RSRC2:TGID_Z_EN: 0
; COMPUTE_PGM_RSRC2:TIDIG_COMP_CNT: 0
; COMPUTE_PGM_RSRC3_GFX90A:ACCUM_OFFSET: 0
; COMPUTE_PGM_RSRC3_GFX90A:TG_SPLIT: 0
	.section	.text._ZN7rocprim17ROCPRIM_400000_NS6detail17trampoline_kernelINS0_14default_configENS1_38merge_sort_block_merge_config_selectorIyNS0_10empty_typeEEEZZNS1_27merge_sort_block_merge_implIS3_PyPS5_jNS1_19radix_merge_compareILb0ELb1EyNS0_19identity_decomposerEEEEE10hipError_tT0_T1_T2_jT3_P12ihipStream_tbPNSt15iterator_traitsISE_E10value_typeEPNSK_ISF_E10value_typeEPSG_NS1_7vsmem_tEENKUlT_SE_SF_SG_E_clIS8_S8_S9_S9_EESD_ST_SE_SF_SG_EUlST_E1_NS1_11comp_targetILNS1_3genE5ELNS1_11target_archE942ELNS1_3gpuE9ELNS1_3repE0EEENS1_36merge_oddeven_config_static_selectorELNS0_4arch9wavefront6targetE1EEEvSF_,"axG",@progbits,_ZN7rocprim17ROCPRIM_400000_NS6detail17trampoline_kernelINS0_14default_configENS1_38merge_sort_block_merge_config_selectorIyNS0_10empty_typeEEEZZNS1_27merge_sort_block_merge_implIS3_PyPS5_jNS1_19radix_merge_compareILb0ELb1EyNS0_19identity_decomposerEEEEE10hipError_tT0_T1_T2_jT3_P12ihipStream_tbPNSt15iterator_traitsISE_E10value_typeEPNSK_ISF_E10value_typeEPSG_NS1_7vsmem_tEENKUlT_SE_SF_SG_E_clIS8_S8_S9_S9_EESD_ST_SE_SF_SG_EUlST_E1_NS1_11comp_targetILNS1_3genE5ELNS1_11target_archE942ELNS1_3gpuE9ELNS1_3repE0EEENS1_36merge_oddeven_config_static_selectorELNS0_4arch9wavefront6targetE1EEEvSF_,comdat
	.protected	_ZN7rocprim17ROCPRIM_400000_NS6detail17trampoline_kernelINS0_14default_configENS1_38merge_sort_block_merge_config_selectorIyNS0_10empty_typeEEEZZNS1_27merge_sort_block_merge_implIS3_PyPS5_jNS1_19radix_merge_compareILb0ELb1EyNS0_19identity_decomposerEEEEE10hipError_tT0_T1_T2_jT3_P12ihipStream_tbPNSt15iterator_traitsISE_E10value_typeEPNSK_ISF_E10value_typeEPSG_NS1_7vsmem_tEENKUlT_SE_SF_SG_E_clIS8_S8_S9_S9_EESD_ST_SE_SF_SG_EUlST_E1_NS1_11comp_targetILNS1_3genE5ELNS1_11target_archE942ELNS1_3gpuE9ELNS1_3repE0EEENS1_36merge_oddeven_config_static_selectorELNS0_4arch9wavefront6targetE1EEEvSF_ ; -- Begin function _ZN7rocprim17ROCPRIM_400000_NS6detail17trampoline_kernelINS0_14default_configENS1_38merge_sort_block_merge_config_selectorIyNS0_10empty_typeEEEZZNS1_27merge_sort_block_merge_implIS3_PyPS5_jNS1_19radix_merge_compareILb0ELb1EyNS0_19identity_decomposerEEEEE10hipError_tT0_T1_T2_jT3_P12ihipStream_tbPNSt15iterator_traitsISE_E10value_typeEPNSK_ISF_E10value_typeEPSG_NS1_7vsmem_tEENKUlT_SE_SF_SG_E_clIS8_S8_S9_S9_EESD_ST_SE_SF_SG_EUlST_E1_NS1_11comp_targetILNS1_3genE5ELNS1_11target_archE942ELNS1_3gpuE9ELNS1_3repE0EEENS1_36merge_oddeven_config_static_selectorELNS0_4arch9wavefront6targetE1EEEvSF_
	.globl	_ZN7rocprim17ROCPRIM_400000_NS6detail17trampoline_kernelINS0_14default_configENS1_38merge_sort_block_merge_config_selectorIyNS0_10empty_typeEEEZZNS1_27merge_sort_block_merge_implIS3_PyPS5_jNS1_19radix_merge_compareILb0ELb1EyNS0_19identity_decomposerEEEEE10hipError_tT0_T1_T2_jT3_P12ihipStream_tbPNSt15iterator_traitsISE_E10value_typeEPNSK_ISF_E10value_typeEPSG_NS1_7vsmem_tEENKUlT_SE_SF_SG_E_clIS8_S8_S9_S9_EESD_ST_SE_SF_SG_EUlST_E1_NS1_11comp_targetILNS1_3genE5ELNS1_11target_archE942ELNS1_3gpuE9ELNS1_3repE0EEENS1_36merge_oddeven_config_static_selectorELNS0_4arch9wavefront6targetE1EEEvSF_
	.p2align	8
	.type	_ZN7rocprim17ROCPRIM_400000_NS6detail17trampoline_kernelINS0_14default_configENS1_38merge_sort_block_merge_config_selectorIyNS0_10empty_typeEEEZZNS1_27merge_sort_block_merge_implIS3_PyPS5_jNS1_19radix_merge_compareILb0ELb1EyNS0_19identity_decomposerEEEEE10hipError_tT0_T1_T2_jT3_P12ihipStream_tbPNSt15iterator_traitsISE_E10value_typeEPNSK_ISF_E10value_typeEPSG_NS1_7vsmem_tEENKUlT_SE_SF_SG_E_clIS8_S8_S9_S9_EESD_ST_SE_SF_SG_EUlST_E1_NS1_11comp_targetILNS1_3genE5ELNS1_11target_archE942ELNS1_3gpuE9ELNS1_3repE0EEENS1_36merge_oddeven_config_static_selectorELNS0_4arch9wavefront6targetE1EEEvSF_,@function
_ZN7rocprim17ROCPRIM_400000_NS6detail17trampoline_kernelINS0_14default_configENS1_38merge_sort_block_merge_config_selectorIyNS0_10empty_typeEEEZZNS1_27merge_sort_block_merge_implIS3_PyPS5_jNS1_19radix_merge_compareILb0ELb1EyNS0_19identity_decomposerEEEEE10hipError_tT0_T1_T2_jT3_P12ihipStream_tbPNSt15iterator_traitsISE_E10value_typeEPNSK_ISF_E10value_typeEPSG_NS1_7vsmem_tEENKUlT_SE_SF_SG_E_clIS8_S8_S9_S9_EESD_ST_SE_SF_SG_EUlST_E1_NS1_11comp_targetILNS1_3genE5ELNS1_11target_archE942ELNS1_3gpuE9ELNS1_3repE0EEENS1_36merge_oddeven_config_static_selectorELNS0_4arch9wavefront6targetE1EEEvSF_: ; @_ZN7rocprim17ROCPRIM_400000_NS6detail17trampoline_kernelINS0_14default_configENS1_38merge_sort_block_merge_config_selectorIyNS0_10empty_typeEEEZZNS1_27merge_sort_block_merge_implIS3_PyPS5_jNS1_19radix_merge_compareILb0ELb1EyNS0_19identity_decomposerEEEEE10hipError_tT0_T1_T2_jT3_P12ihipStream_tbPNSt15iterator_traitsISE_E10value_typeEPNSK_ISF_E10value_typeEPSG_NS1_7vsmem_tEENKUlT_SE_SF_SG_E_clIS8_S8_S9_S9_EESD_ST_SE_SF_SG_EUlST_E1_NS1_11comp_targetILNS1_3genE5ELNS1_11target_archE942ELNS1_3gpuE9ELNS1_3repE0EEENS1_36merge_oddeven_config_static_selectorELNS0_4arch9wavefront6targetE1EEEvSF_
; %bb.0:
	.section	.rodata,"a",@progbits
	.p2align	6, 0x0
	.amdhsa_kernel _ZN7rocprim17ROCPRIM_400000_NS6detail17trampoline_kernelINS0_14default_configENS1_38merge_sort_block_merge_config_selectorIyNS0_10empty_typeEEEZZNS1_27merge_sort_block_merge_implIS3_PyPS5_jNS1_19radix_merge_compareILb0ELb1EyNS0_19identity_decomposerEEEEE10hipError_tT0_T1_T2_jT3_P12ihipStream_tbPNSt15iterator_traitsISE_E10value_typeEPNSK_ISF_E10value_typeEPSG_NS1_7vsmem_tEENKUlT_SE_SF_SG_E_clIS8_S8_S9_S9_EESD_ST_SE_SF_SG_EUlST_E1_NS1_11comp_targetILNS1_3genE5ELNS1_11target_archE942ELNS1_3gpuE9ELNS1_3repE0EEENS1_36merge_oddeven_config_static_selectorELNS0_4arch9wavefront6targetE1EEEvSF_
		.amdhsa_group_segment_fixed_size 0
		.amdhsa_private_segment_fixed_size 0
		.amdhsa_kernarg_size 48
		.amdhsa_user_sgpr_count 6
		.amdhsa_user_sgpr_private_segment_buffer 1
		.amdhsa_user_sgpr_dispatch_ptr 0
		.amdhsa_user_sgpr_queue_ptr 0
		.amdhsa_user_sgpr_kernarg_segment_ptr 1
		.amdhsa_user_sgpr_dispatch_id 0
		.amdhsa_user_sgpr_flat_scratch_init 0
		.amdhsa_user_sgpr_kernarg_preload_length 0
		.amdhsa_user_sgpr_kernarg_preload_offset 0
		.amdhsa_user_sgpr_private_segment_size 0
		.amdhsa_uses_dynamic_stack 0
		.amdhsa_system_sgpr_private_segment_wavefront_offset 0
		.amdhsa_system_sgpr_workgroup_id_x 1
		.amdhsa_system_sgpr_workgroup_id_y 0
		.amdhsa_system_sgpr_workgroup_id_z 0
		.amdhsa_system_sgpr_workgroup_info 0
		.amdhsa_system_vgpr_workitem_id 0
		.amdhsa_next_free_vgpr 1
		.amdhsa_next_free_sgpr 0
		.amdhsa_accum_offset 4
		.amdhsa_reserve_vcc 0
		.amdhsa_reserve_flat_scratch 0
		.amdhsa_float_round_mode_32 0
		.amdhsa_float_round_mode_16_64 0
		.amdhsa_float_denorm_mode_32 3
		.amdhsa_float_denorm_mode_16_64 3
		.amdhsa_dx10_clamp 1
		.amdhsa_ieee_mode 1
		.amdhsa_fp16_overflow 0
		.amdhsa_tg_split 0
		.amdhsa_exception_fp_ieee_invalid_op 0
		.amdhsa_exception_fp_denorm_src 0
		.amdhsa_exception_fp_ieee_div_zero 0
		.amdhsa_exception_fp_ieee_overflow 0
		.amdhsa_exception_fp_ieee_underflow 0
		.amdhsa_exception_fp_ieee_inexact 0
		.amdhsa_exception_int_div_zero 0
	.end_amdhsa_kernel
	.section	.text._ZN7rocprim17ROCPRIM_400000_NS6detail17trampoline_kernelINS0_14default_configENS1_38merge_sort_block_merge_config_selectorIyNS0_10empty_typeEEEZZNS1_27merge_sort_block_merge_implIS3_PyPS5_jNS1_19radix_merge_compareILb0ELb1EyNS0_19identity_decomposerEEEEE10hipError_tT0_T1_T2_jT3_P12ihipStream_tbPNSt15iterator_traitsISE_E10value_typeEPNSK_ISF_E10value_typeEPSG_NS1_7vsmem_tEENKUlT_SE_SF_SG_E_clIS8_S8_S9_S9_EESD_ST_SE_SF_SG_EUlST_E1_NS1_11comp_targetILNS1_3genE5ELNS1_11target_archE942ELNS1_3gpuE9ELNS1_3repE0EEENS1_36merge_oddeven_config_static_selectorELNS0_4arch9wavefront6targetE1EEEvSF_,"axG",@progbits,_ZN7rocprim17ROCPRIM_400000_NS6detail17trampoline_kernelINS0_14default_configENS1_38merge_sort_block_merge_config_selectorIyNS0_10empty_typeEEEZZNS1_27merge_sort_block_merge_implIS3_PyPS5_jNS1_19radix_merge_compareILb0ELb1EyNS0_19identity_decomposerEEEEE10hipError_tT0_T1_T2_jT3_P12ihipStream_tbPNSt15iterator_traitsISE_E10value_typeEPNSK_ISF_E10value_typeEPSG_NS1_7vsmem_tEENKUlT_SE_SF_SG_E_clIS8_S8_S9_S9_EESD_ST_SE_SF_SG_EUlST_E1_NS1_11comp_targetILNS1_3genE5ELNS1_11target_archE942ELNS1_3gpuE9ELNS1_3repE0EEENS1_36merge_oddeven_config_static_selectorELNS0_4arch9wavefront6targetE1EEEvSF_,comdat
.Lfunc_end1176:
	.size	_ZN7rocprim17ROCPRIM_400000_NS6detail17trampoline_kernelINS0_14default_configENS1_38merge_sort_block_merge_config_selectorIyNS0_10empty_typeEEEZZNS1_27merge_sort_block_merge_implIS3_PyPS5_jNS1_19radix_merge_compareILb0ELb1EyNS0_19identity_decomposerEEEEE10hipError_tT0_T1_T2_jT3_P12ihipStream_tbPNSt15iterator_traitsISE_E10value_typeEPNSK_ISF_E10value_typeEPSG_NS1_7vsmem_tEENKUlT_SE_SF_SG_E_clIS8_S8_S9_S9_EESD_ST_SE_SF_SG_EUlST_E1_NS1_11comp_targetILNS1_3genE5ELNS1_11target_archE942ELNS1_3gpuE9ELNS1_3repE0EEENS1_36merge_oddeven_config_static_selectorELNS0_4arch9wavefront6targetE1EEEvSF_, .Lfunc_end1176-_ZN7rocprim17ROCPRIM_400000_NS6detail17trampoline_kernelINS0_14default_configENS1_38merge_sort_block_merge_config_selectorIyNS0_10empty_typeEEEZZNS1_27merge_sort_block_merge_implIS3_PyPS5_jNS1_19radix_merge_compareILb0ELb1EyNS0_19identity_decomposerEEEEE10hipError_tT0_T1_T2_jT3_P12ihipStream_tbPNSt15iterator_traitsISE_E10value_typeEPNSK_ISF_E10value_typeEPSG_NS1_7vsmem_tEENKUlT_SE_SF_SG_E_clIS8_S8_S9_S9_EESD_ST_SE_SF_SG_EUlST_E1_NS1_11comp_targetILNS1_3genE5ELNS1_11target_archE942ELNS1_3gpuE9ELNS1_3repE0EEENS1_36merge_oddeven_config_static_selectorELNS0_4arch9wavefront6targetE1EEEvSF_
                                        ; -- End function
	.section	.AMDGPU.csdata,"",@progbits
; Kernel info:
; codeLenInByte = 0
; NumSgprs: 4
; NumVgprs: 0
; NumAgprs: 0
; TotalNumVgprs: 0
; ScratchSize: 0
; MemoryBound: 0
; FloatMode: 240
; IeeeMode: 1
; LDSByteSize: 0 bytes/workgroup (compile time only)
; SGPRBlocks: 0
; VGPRBlocks: 0
; NumSGPRsForWavesPerEU: 4
; NumVGPRsForWavesPerEU: 1
; AccumOffset: 4
; Occupancy: 8
; WaveLimiterHint : 0
; COMPUTE_PGM_RSRC2:SCRATCH_EN: 0
; COMPUTE_PGM_RSRC2:USER_SGPR: 6
; COMPUTE_PGM_RSRC2:TRAP_HANDLER: 0
; COMPUTE_PGM_RSRC2:TGID_X_EN: 1
; COMPUTE_PGM_RSRC2:TGID_Y_EN: 0
; COMPUTE_PGM_RSRC2:TGID_Z_EN: 0
; COMPUTE_PGM_RSRC2:TIDIG_COMP_CNT: 0
; COMPUTE_PGM_RSRC3_GFX90A:ACCUM_OFFSET: 0
; COMPUTE_PGM_RSRC3_GFX90A:TG_SPLIT: 0
	.section	.text._ZN7rocprim17ROCPRIM_400000_NS6detail17trampoline_kernelINS0_14default_configENS1_38merge_sort_block_merge_config_selectorIyNS0_10empty_typeEEEZZNS1_27merge_sort_block_merge_implIS3_PyPS5_jNS1_19radix_merge_compareILb0ELb1EyNS0_19identity_decomposerEEEEE10hipError_tT0_T1_T2_jT3_P12ihipStream_tbPNSt15iterator_traitsISE_E10value_typeEPNSK_ISF_E10value_typeEPSG_NS1_7vsmem_tEENKUlT_SE_SF_SG_E_clIS8_S8_S9_S9_EESD_ST_SE_SF_SG_EUlST_E1_NS1_11comp_targetILNS1_3genE4ELNS1_11target_archE910ELNS1_3gpuE8ELNS1_3repE0EEENS1_36merge_oddeven_config_static_selectorELNS0_4arch9wavefront6targetE1EEEvSF_,"axG",@progbits,_ZN7rocprim17ROCPRIM_400000_NS6detail17trampoline_kernelINS0_14default_configENS1_38merge_sort_block_merge_config_selectorIyNS0_10empty_typeEEEZZNS1_27merge_sort_block_merge_implIS3_PyPS5_jNS1_19radix_merge_compareILb0ELb1EyNS0_19identity_decomposerEEEEE10hipError_tT0_T1_T2_jT3_P12ihipStream_tbPNSt15iterator_traitsISE_E10value_typeEPNSK_ISF_E10value_typeEPSG_NS1_7vsmem_tEENKUlT_SE_SF_SG_E_clIS8_S8_S9_S9_EESD_ST_SE_SF_SG_EUlST_E1_NS1_11comp_targetILNS1_3genE4ELNS1_11target_archE910ELNS1_3gpuE8ELNS1_3repE0EEENS1_36merge_oddeven_config_static_selectorELNS0_4arch9wavefront6targetE1EEEvSF_,comdat
	.protected	_ZN7rocprim17ROCPRIM_400000_NS6detail17trampoline_kernelINS0_14default_configENS1_38merge_sort_block_merge_config_selectorIyNS0_10empty_typeEEEZZNS1_27merge_sort_block_merge_implIS3_PyPS5_jNS1_19radix_merge_compareILb0ELb1EyNS0_19identity_decomposerEEEEE10hipError_tT0_T1_T2_jT3_P12ihipStream_tbPNSt15iterator_traitsISE_E10value_typeEPNSK_ISF_E10value_typeEPSG_NS1_7vsmem_tEENKUlT_SE_SF_SG_E_clIS8_S8_S9_S9_EESD_ST_SE_SF_SG_EUlST_E1_NS1_11comp_targetILNS1_3genE4ELNS1_11target_archE910ELNS1_3gpuE8ELNS1_3repE0EEENS1_36merge_oddeven_config_static_selectorELNS0_4arch9wavefront6targetE1EEEvSF_ ; -- Begin function _ZN7rocprim17ROCPRIM_400000_NS6detail17trampoline_kernelINS0_14default_configENS1_38merge_sort_block_merge_config_selectorIyNS0_10empty_typeEEEZZNS1_27merge_sort_block_merge_implIS3_PyPS5_jNS1_19radix_merge_compareILb0ELb1EyNS0_19identity_decomposerEEEEE10hipError_tT0_T1_T2_jT3_P12ihipStream_tbPNSt15iterator_traitsISE_E10value_typeEPNSK_ISF_E10value_typeEPSG_NS1_7vsmem_tEENKUlT_SE_SF_SG_E_clIS8_S8_S9_S9_EESD_ST_SE_SF_SG_EUlST_E1_NS1_11comp_targetILNS1_3genE4ELNS1_11target_archE910ELNS1_3gpuE8ELNS1_3repE0EEENS1_36merge_oddeven_config_static_selectorELNS0_4arch9wavefront6targetE1EEEvSF_
	.globl	_ZN7rocprim17ROCPRIM_400000_NS6detail17trampoline_kernelINS0_14default_configENS1_38merge_sort_block_merge_config_selectorIyNS0_10empty_typeEEEZZNS1_27merge_sort_block_merge_implIS3_PyPS5_jNS1_19radix_merge_compareILb0ELb1EyNS0_19identity_decomposerEEEEE10hipError_tT0_T1_T2_jT3_P12ihipStream_tbPNSt15iterator_traitsISE_E10value_typeEPNSK_ISF_E10value_typeEPSG_NS1_7vsmem_tEENKUlT_SE_SF_SG_E_clIS8_S8_S9_S9_EESD_ST_SE_SF_SG_EUlST_E1_NS1_11comp_targetILNS1_3genE4ELNS1_11target_archE910ELNS1_3gpuE8ELNS1_3repE0EEENS1_36merge_oddeven_config_static_selectorELNS0_4arch9wavefront6targetE1EEEvSF_
	.p2align	8
	.type	_ZN7rocprim17ROCPRIM_400000_NS6detail17trampoline_kernelINS0_14default_configENS1_38merge_sort_block_merge_config_selectorIyNS0_10empty_typeEEEZZNS1_27merge_sort_block_merge_implIS3_PyPS5_jNS1_19radix_merge_compareILb0ELb1EyNS0_19identity_decomposerEEEEE10hipError_tT0_T1_T2_jT3_P12ihipStream_tbPNSt15iterator_traitsISE_E10value_typeEPNSK_ISF_E10value_typeEPSG_NS1_7vsmem_tEENKUlT_SE_SF_SG_E_clIS8_S8_S9_S9_EESD_ST_SE_SF_SG_EUlST_E1_NS1_11comp_targetILNS1_3genE4ELNS1_11target_archE910ELNS1_3gpuE8ELNS1_3repE0EEENS1_36merge_oddeven_config_static_selectorELNS0_4arch9wavefront6targetE1EEEvSF_,@function
_ZN7rocprim17ROCPRIM_400000_NS6detail17trampoline_kernelINS0_14default_configENS1_38merge_sort_block_merge_config_selectorIyNS0_10empty_typeEEEZZNS1_27merge_sort_block_merge_implIS3_PyPS5_jNS1_19radix_merge_compareILb0ELb1EyNS0_19identity_decomposerEEEEE10hipError_tT0_T1_T2_jT3_P12ihipStream_tbPNSt15iterator_traitsISE_E10value_typeEPNSK_ISF_E10value_typeEPSG_NS1_7vsmem_tEENKUlT_SE_SF_SG_E_clIS8_S8_S9_S9_EESD_ST_SE_SF_SG_EUlST_E1_NS1_11comp_targetILNS1_3genE4ELNS1_11target_archE910ELNS1_3gpuE8ELNS1_3repE0EEENS1_36merge_oddeven_config_static_selectorELNS0_4arch9wavefront6targetE1EEEvSF_: ; @_ZN7rocprim17ROCPRIM_400000_NS6detail17trampoline_kernelINS0_14default_configENS1_38merge_sort_block_merge_config_selectorIyNS0_10empty_typeEEEZZNS1_27merge_sort_block_merge_implIS3_PyPS5_jNS1_19radix_merge_compareILb0ELb1EyNS0_19identity_decomposerEEEEE10hipError_tT0_T1_T2_jT3_P12ihipStream_tbPNSt15iterator_traitsISE_E10value_typeEPNSK_ISF_E10value_typeEPSG_NS1_7vsmem_tEENKUlT_SE_SF_SG_E_clIS8_S8_S9_S9_EESD_ST_SE_SF_SG_EUlST_E1_NS1_11comp_targetILNS1_3genE4ELNS1_11target_archE910ELNS1_3gpuE8ELNS1_3repE0EEENS1_36merge_oddeven_config_static_selectorELNS0_4arch9wavefront6targetE1EEEvSF_
; %bb.0:
	s_load_dword s18, s[4:5], 0x20
	s_waitcnt lgkmcnt(0)
	s_lshr_b32 s0, s18, 8
	s_cmp_lg_u32 s6, s0
	s_cselect_b64 s[14:15], -1, 0
	s_cmp_eq_u32 s6, s0
	s_cselect_b64 s[12:13], -1, 0
	s_lshl_b32 s16, s6, 8
	s_sub_i32 s0, s18, s16
	v_cmp_gt_u32_e64 s[2:3], s0, v0
	s_or_b64 s[0:1], s[14:15], s[2:3]
	s_and_saveexec_b64 s[8:9], s[0:1]
	s_cbranch_execz .LBB1177_20
; %bb.1:
	s_load_dwordx4 s[8:11], s[4:5], 0x0
	s_load_dword s19, s[4:5], 0x24
	s_mov_b32 s17, 0
	s_lshl_b64 s[0:1], s[16:17], 3
	v_lshlrev_b32_e32 v1, 3, v0
	s_waitcnt lgkmcnt(0)
	s_add_u32 s0, s8, s0
	s_addc_u32 s1, s9, s1
	global_load_dwordx2 v[2:3], v1, s[0:1]
	s_lshr_b32 s0, s19, 8
	s_sub_i32 s1, 0, s0
	s_and_b32 s1, s6, s1
	s_and_b32 s0, s1, s0
	s_lshl_b32 s20, s1, 8
	s_sub_i32 s17, 0, s19
	s_cmp_eq_u32 s0, 0
	s_cselect_b64 s[0:1], -1, 0
	s_and_b64 s[6:7], s[0:1], exec
	s_cselect_b32 s17, s19, s17
	s_add_i32 s17, s17, s20
	s_cmp_lt_u32 s17, s18
	v_add_u32_e32 v0, s16, v0
	s_cbranch_scc1 .LBB1177_3
; %bb.2:
	v_cmp_gt_u32_e32 vcc, s18, v0
	s_or_b64 s[6:7], vcc, s[14:15]
	s_and_b64 s[6:7], s[6:7], exec
	s_cbranch_execz .LBB1177_4
	s_branch .LBB1177_18
.LBB1177_3:
	s_mov_b64 s[6:7], 0
.LBB1177_4:
	s_load_dwordx2 s[4:5], s[4:5], 0x28
	s_min_u32 s14, s17, s18
	s_min_u32 s16, s20, s14
	s_add_i32 s20, s20, s14
	s_add_i32 s15, s14, s19
	v_subrev_u32_e32 v0, s20, v0
	s_min_u32 s15, s15, s18
	v_add_u32_e32 v6, s16, v0
	s_and_b64 vcc, exec, s[12:13]
	s_cbranch_vccz .LBB1177_12
; %bb.5:
                                        ; implicit-def: $vgpr0
	s_and_saveexec_b64 s[12:13], s[2:3]
	s_cbranch_execz .LBB1177_11
; %bb.6:
	s_cmp_ge_u32 s17, s15
	v_mov_b32_e32 v7, s14
	s_cbranch_scc1 .LBB1177_10
; %bb.7:
	s_waitcnt vmcnt(0) lgkmcnt(0)
	v_and_b32_e32 v1, s5, v3
	v_and_b32_e32 v0, s4, v2
	s_mov_b64 s[2:3], 0
	v_mov_b32_e32 v8, s15
	v_mov_b32_e32 v7, s14
	v_mov_b32_e32 v5, 0
	v_mov_b32_e32 v9, s9
.LBB1177_8:                             ; =>This Inner Loop Header: Depth=1
	v_add_u32_e32 v4, v7, v8
	v_lshrrev_b32_e32 v4, 1, v4
	v_lshlrev_b64 v[10:11], 3, v[4:5]
	v_add_co_u32_e32 v10, vcc, s8, v10
	v_addc_co_u32_e32 v11, vcc, v9, v11, vcc
	global_load_dwordx2 v[10:11], v[10:11], off
	v_add_u32_e32 v12, 1, v4
	s_waitcnt vmcnt(0)
	v_and_b32_e32 v11, s5, v11
	v_and_b32_e32 v10, s4, v10
	v_cmp_gt_u64_e32 vcc, v[0:1], v[10:11]
	v_cndmask_b32_e64 v13, 0, 1, vcc
	v_cmp_le_u64_e32 vcc, v[10:11], v[0:1]
	v_cndmask_b32_e64 v10, 0, 1, vcc
	v_cndmask_b32_e64 v10, v10, v13, s[0:1]
	v_and_b32_e32 v10, 1, v10
	v_cmp_eq_u32_e32 vcc, 1, v10
	v_cndmask_b32_e32 v8, v4, v8, vcc
	v_cndmask_b32_e32 v7, v7, v12, vcc
	v_cmp_ge_u32_e32 vcc, v7, v8
	s_or_b64 s[2:3], vcc, s[2:3]
	s_andn2_b64 exec, exec, s[2:3]
	s_cbranch_execnz .LBB1177_8
; %bb.9:
	s_or_b64 exec, exec, s[2:3]
.LBB1177_10:
	v_add_u32_e32 v0, v7, v6
	s_or_b64 s[6:7], s[6:7], exec
.LBB1177_11:
	s_or_b64 exec, exec, s[12:13]
	s_branch .LBB1177_18
.LBB1177_12:
                                        ; implicit-def: $vgpr0
	s_cbranch_execz .LBB1177_18
; %bb.13:
	s_cmp_ge_u32 s17, s15
	v_mov_b32_e32 v7, s14
	s_cbranch_scc1 .LBB1177_17
; %bb.14:
	s_waitcnt vmcnt(0) lgkmcnt(0)
	v_and_b32_e32 v1, s5, v3
	v_and_b32_e32 v0, s4, v2
	s_mov_b64 s[2:3], 0
	v_mov_b32_e32 v8, s15
	v_mov_b32_e32 v7, s14
	;; [unrolled: 1-line block ×4, first 2 shown]
.LBB1177_15:                            ; =>This Inner Loop Header: Depth=1
	v_add_u32_e32 v4, v7, v8
	v_lshrrev_b32_e32 v4, 1, v4
	v_lshlrev_b64 v[10:11], 3, v[4:5]
	v_add_co_u32_e32 v10, vcc, s8, v10
	v_addc_co_u32_e32 v11, vcc, v9, v11, vcc
	global_load_dwordx2 v[10:11], v[10:11], off
	v_add_u32_e32 v12, 1, v4
	s_waitcnt vmcnt(0)
	v_and_b32_e32 v11, s5, v11
	v_and_b32_e32 v10, s4, v10
	v_cmp_gt_u64_e32 vcc, v[0:1], v[10:11]
	v_cndmask_b32_e64 v13, 0, 1, vcc
	v_cmp_le_u64_e32 vcc, v[10:11], v[0:1]
	v_cndmask_b32_e64 v10, 0, 1, vcc
	v_cndmask_b32_e64 v10, v10, v13, s[0:1]
	v_and_b32_e32 v10, 1, v10
	v_cmp_eq_u32_e32 vcc, 1, v10
	v_cndmask_b32_e32 v8, v4, v8, vcc
	v_cndmask_b32_e32 v7, v7, v12, vcc
	v_cmp_ge_u32_e32 vcc, v7, v8
	s_or_b64 s[2:3], vcc, s[2:3]
	s_andn2_b64 exec, exec, s[2:3]
	s_cbranch_execnz .LBB1177_15
; %bb.16:
	s_or_b64 exec, exec, s[2:3]
.LBB1177_17:
	v_add_u32_e32 v0, v7, v6
	s_mov_b64 s[6:7], -1
.LBB1177_18:
	s_and_b64 exec, exec, s[6:7]
	s_cbranch_execz .LBB1177_20
; %bb.19:
	v_mov_b32_e32 v1, 0
	v_lshlrev_b64 v[0:1], 3, v[0:1]
	v_mov_b32_e32 v4, s11
	v_add_co_u32_e32 v0, vcc, s10, v0
	v_addc_co_u32_e32 v1, vcc, v4, v1, vcc
	s_waitcnt vmcnt(0)
	global_store_dwordx2 v[0:1], v[2:3], off
.LBB1177_20:
	s_endpgm
	.section	.rodata,"a",@progbits
	.p2align	6, 0x0
	.amdhsa_kernel _ZN7rocprim17ROCPRIM_400000_NS6detail17trampoline_kernelINS0_14default_configENS1_38merge_sort_block_merge_config_selectorIyNS0_10empty_typeEEEZZNS1_27merge_sort_block_merge_implIS3_PyPS5_jNS1_19radix_merge_compareILb0ELb1EyNS0_19identity_decomposerEEEEE10hipError_tT0_T1_T2_jT3_P12ihipStream_tbPNSt15iterator_traitsISE_E10value_typeEPNSK_ISF_E10value_typeEPSG_NS1_7vsmem_tEENKUlT_SE_SF_SG_E_clIS8_S8_S9_S9_EESD_ST_SE_SF_SG_EUlST_E1_NS1_11comp_targetILNS1_3genE4ELNS1_11target_archE910ELNS1_3gpuE8ELNS1_3repE0EEENS1_36merge_oddeven_config_static_selectorELNS0_4arch9wavefront6targetE1EEEvSF_
		.amdhsa_group_segment_fixed_size 0
		.amdhsa_private_segment_fixed_size 0
		.amdhsa_kernarg_size 48
		.amdhsa_user_sgpr_count 6
		.amdhsa_user_sgpr_private_segment_buffer 1
		.amdhsa_user_sgpr_dispatch_ptr 0
		.amdhsa_user_sgpr_queue_ptr 0
		.amdhsa_user_sgpr_kernarg_segment_ptr 1
		.amdhsa_user_sgpr_dispatch_id 0
		.amdhsa_user_sgpr_flat_scratch_init 0
		.amdhsa_user_sgpr_kernarg_preload_length 0
		.amdhsa_user_sgpr_kernarg_preload_offset 0
		.amdhsa_user_sgpr_private_segment_size 0
		.amdhsa_uses_dynamic_stack 0
		.amdhsa_system_sgpr_private_segment_wavefront_offset 0
		.amdhsa_system_sgpr_workgroup_id_x 1
		.amdhsa_system_sgpr_workgroup_id_y 0
		.amdhsa_system_sgpr_workgroup_id_z 0
		.amdhsa_system_sgpr_workgroup_info 0
		.amdhsa_system_vgpr_workitem_id 0
		.amdhsa_next_free_vgpr 14
		.amdhsa_next_free_sgpr 21
		.amdhsa_accum_offset 16
		.amdhsa_reserve_vcc 1
		.amdhsa_reserve_flat_scratch 0
		.amdhsa_float_round_mode_32 0
		.amdhsa_float_round_mode_16_64 0
		.amdhsa_float_denorm_mode_32 3
		.amdhsa_float_denorm_mode_16_64 3
		.amdhsa_dx10_clamp 1
		.amdhsa_ieee_mode 1
		.amdhsa_fp16_overflow 0
		.amdhsa_tg_split 0
		.amdhsa_exception_fp_ieee_invalid_op 0
		.amdhsa_exception_fp_denorm_src 0
		.amdhsa_exception_fp_ieee_div_zero 0
		.amdhsa_exception_fp_ieee_overflow 0
		.amdhsa_exception_fp_ieee_underflow 0
		.amdhsa_exception_fp_ieee_inexact 0
		.amdhsa_exception_int_div_zero 0
	.end_amdhsa_kernel
	.section	.text._ZN7rocprim17ROCPRIM_400000_NS6detail17trampoline_kernelINS0_14default_configENS1_38merge_sort_block_merge_config_selectorIyNS0_10empty_typeEEEZZNS1_27merge_sort_block_merge_implIS3_PyPS5_jNS1_19radix_merge_compareILb0ELb1EyNS0_19identity_decomposerEEEEE10hipError_tT0_T1_T2_jT3_P12ihipStream_tbPNSt15iterator_traitsISE_E10value_typeEPNSK_ISF_E10value_typeEPSG_NS1_7vsmem_tEENKUlT_SE_SF_SG_E_clIS8_S8_S9_S9_EESD_ST_SE_SF_SG_EUlST_E1_NS1_11comp_targetILNS1_3genE4ELNS1_11target_archE910ELNS1_3gpuE8ELNS1_3repE0EEENS1_36merge_oddeven_config_static_selectorELNS0_4arch9wavefront6targetE1EEEvSF_,"axG",@progbits,_ZN7rocprim17ROCPRIM_400000_NS6detail17trampoline_kernelINS0_14default_configENS1_38merge_sort_block_merge_config_selectorIyNS0_10empty_typeEEEZZNS1_27merge_sort_block_merge_implIS3_PyPS5_jNS1_19radix_merge_compareILb0ELb1EyNS0_19identity_decomposerEEEEE10hipError_tT0_T1_T2_jT3_P12ihipStream_tbPNSt15iterator_traitsISE_E10value_typeEPNSK_ISF_E10value_typeEPSG_NS1_7vsmem_tEENKUlT_SE_SF_SG_E_clIS8_S8_S9_S9_EESD_ST_SE_SF_SG_EUlST_E1_NS1_11comp_targetILNS1_3genE4ELNS1_11target_archE910ELNS1_3gpuE8ELNS1_3repE0EEENS1_36merge_oddeven_config_static_selectorELNS0_4arch9wavefront6targetE1EEEvSF_,comdat
.Lfunc_end1177:
	.size	_ZN7rocprim17ROCPRIM_400000_NS6detail17trampoline_kernelINS0_14default_configENS1_38merge_sort_block_merge_config_selectorIyNS0_10empty_typeEEEZZNS1_27merge_sort_block_merge_implIS3_PyPS5_jNS1_19radix_merge_compareILb0ELb1EyNS0_19identity_decomposerEEEEE10hipError_tT0_T1_T2_jT3_P12ihipStream_tbPNSt15iterator_traitsISE_E10value_typeEPNSK_ISF_E10value_typeEPSG_NS1_7vsmem_tEENKUlT_SE_SF_SG_E_clIS8_S8_S9_S9_EESD_ST_SE_SF_SG_EUlST_E1_NS1_11comp_targetILNS1_3genE4ELNS1_11target_archE910ELNS1_3gpuE8ELNS1_3repE0EEENS1_36merge_oddeven_config_static_selectorELNS0_4arch9wavefront6targetE1EEEvSF_, .Lfunc_end1177-_ZN7rocprim17ROCPRIM_400000_NS6detail17trampoline_kernelINS0_14default_configENS1_38merge_sort_block_merge_config_selectorIyNS0_10empty_typeEEEZZNS1_27merge_sort_block_merge_implIS3_PyPS5_jNS1_19radix_merge_compareILb0ELb1EyNS0_19identity_decomposerEEEEE10hipError_tT0_T1_T2_jT3_P12ihipStream_tbPNSt15iterator_traitsISE_E10value_typeEPNSK_ISF_E10value_typeEPSG_NS1_7vsmem_tEENKUlT_SE_SF_SG_E_clIS8_S8_S9_S9_EESD_ST_SE_SF_SG_EUlST_E1_NS1_11comp_targetILNS1_3genE4ELNS1_11target_archE910ELNS1_3gpuE8ELNS1_3repE0EEENS1_36merge_oddeven_config_static_selectorELNS0_4arch9wavefront6targetE1EEEvSF_
                                        ; -- End function
	.section	.AMDGPU.csdata,"",@progbits
; Kernel info:
; codeLenInByte = 636
; NumSgprs: 25
; NumVgprs: 14
; NumAgprs: 0
; TotalNumVgprs: 14
; ScratchSize: 0
; MemoryBound: 0
; FloatMode: 240
; IeeeMode: 1
; LDSByteSize: 0 bytes/workgroup (compile time only)
; SGPRBlocks: 3
; VGPRBlocks: 1
; NumSGPRsForWavesPerEU: 25
; NumVGPRsForWavesPerEU: 14
; AccumOffset: 16
; Occupancy: 8
; WaveLimiterHint : 0
; COMPUTE_PGM_RSRC2:SCRATCH_EN: 0
; COMPUTE_PGM_RSRC2:USER_SGPR: 6
; COMPUTE_PGM_RSRC2:TRAP_HANDLER: 0
; COMPUTE_PGM_RSRC2:TGID_X_EN: 1
; COMPUTE_PGM_RSRC2:TGID_Y_EN: 0
; COMPUTE_PGM_RSRC2:TGID_Z_EN: 0
; COMPUTE_PGM_RSRC2:TIDIG_COMP_CNT: 0
; COMPUTE_PGM_RSRC3_GFX90A:ACCUM_OFFSET: 3
; COMPUTE_PGM_RSRC3_GFX90A:TG_SPLIT: 0
	.section	.text._ZN7rocprim17ROCPRIM_400000_NS6detail17trampoline_kernelINS0_14default_configENS1_38merge_sort_block_merge_config_selectorIyNS0_10empty_typeEEEZZNS1_27merge_sort_block_merge_implIS3_PyPS5_jNS1_19radix_merge_compareILb0ELb1EyNS0_19identity_decomposerEEEEE10hipError_tT0_T1_T2_jT3_P12ihipStream_tbPNSt15iterator_traitsISE_E10value_typeEPNSK_ISF_E10value_typeEPSG_NS1_7vsmem_tEENKUlT_SE_SF_SG_E_clIS8_S8_S9_S9_EESD_ST_SE_SF_SG_EUlST_E1_NS1_11comp_targetILNS1_3genE3ELNS1_11target_archE908ELNS1_3gpuE7ELNS1_3repE0EEENS1_36merge_oddeven_config_static_selectorELNS0_4arch9wavefront6targetE1EEEvSF_,"axG",@progbits,_ZN7rocprim17ROCPRIM_400000_NS6detail17trampoline_kernelINS0_14default_configENS1_38merge_sort_block_merge_config_selectorIyNS0_10empty_typeEEEZZNS1_27merge_sort_block_merge_implIS3_PyPS5_jNS1_19radix_merge_compareILb0ELb1EyNS0_19identity_decomposerEEEEE10hipError_tT0_T1_T2_jT3_P12ihipStream_tbPNSt15iterator_traitsISE_E10value_typeEPNSK_ISF_E10value_typeEPSG_NS1_7vsmem_tEENKUlT_SE_SF_SG_E_clIS8_S8_S9_S9_EESD_ST_SE_SF_SG_EUlST_E1_NS1_11comp_targetILNS1_3genE3ELNS1_11target_archE908ELNS1_3gpuE7ELNS1_3repE0EEENS1_36merge_oddeven_config_static_selectorELNS0_4arch9wavefront6targetE1EEEvSF_,comdat
	.protected	_ZN7rocprim17ROCPRIM_400000_NS6detail17trampoline_kernelINS0_14default_configENS1_38merge_sort_block_merge_config_selectorIyNS0_10empty_typeEEEZZNS1_27merge_sort_block_merge_implIS3_PyPS5_jNS1_19radix_merge_compareILb0ELb1EyNS0_19identity_decomposerEEEEE10hipError_tT0_T1_T2_jT3_P12ihipStream_tbPNSt15iterator_traitsISE_E10value_typeEPNSK_ISF_E10value_typeEPSG_NS1_7vsmem_tEENKUlT_SE_SF_SG_E_clIS8_S8_S9_S9_EESD_ST_SE_SF_SG_EUlST_E1_NS1_11comp_targetILNS1_3genE3ELNS1_11target_archE908ELNS1_3gpuE7ELNS1_3repE0EEENS1_36merge_oddeven_config_static_selectorELNS0_4arch9wavefront6targetE1EEEvSF_ ; -- Begin function _ZN7rocprim17ROCPRIM_400000_NS6detail17trampoline_kernelINS0_14default_configENS1_38merge_sort_block_merge_config_selectorIyNS0_10empty_typeEEEZZNS1_27merge_sort_block_merge_implIS3_PyPS5_jNS1_19radix_merge_compareILb0ELb1EyNS0_19identity_decomposerEEEEE10hipError_tT0_T1_T2_jT3_P12ihipStream_tbPNSt15iterator_traitsISE_E10value_typeEPNSK_ISF_E10value_typeEPSG_NS1_7vsmem_tEENKUlT_SE_SF_SG_E_clIS8_S8_S9_S9_EESD_ST_SE_SF_SG_EUlST_E1_NS1_11comp_targetILNS1_3genE3ELNS1_11target_archE908ELNS1_3gpuE7ELNS1_3repE0EEENS1_36merge_oddeven_config_static_selectorELNS0_4arch9wavefront6targetE1EEEvSF_
	.globl	_ZN7rocprim17ROCPRIM_400000_NS6detail17trampoline_kernelINS0_14default_configENS1_38merge_sort_block_merge_config_selectorIyNS0_10empty_typeEEEZZNS1_27merge_sort_block_merge_implIS3_PyPS5_jNS1_19radix_merge_compareILb0ELb1EyNS0_19identity_decomposerEEEEE10hipError_tT0_T1_T2_jT3_P12ihipStream_tbPNSt15iterator_traitsISE_E10value_typeEPNSK_ISF_E10value_typeEPSG_NS1_7vsmem_tEENKUlT_SE_SF_SG_E_clIS8_S8_S9_S9_EESD_ST_SE_SF_SG_EUlST_E1_NS1_11comp_targetILNS1_3genE3ELNS1_11target_archE908ELNS1_3gpuE7ELNS1_3repE0EEENS1_36merge_oddeven_config_static_selectorELNS0_4arch9wavefront6targetE1EEEvSF_
	.p2align	8
	.type	_ZN7rocprim17ROCPRIM_400000_NS6detail17trampoline_kernelINS0_14default_configENS1_38merge_sort_block_merge_config_selectorIyNS0_10empty_typeEEEZZNS1_27merge_sort_block_merge_implIS3_PyPS5_jNS1_19radix_merge_compareILb0ELb1EyNS0_19identity_decomposerEEEEE10hipError_tT0_T1_T2_jT3_P12ihipStream_tbPNSt15iterator_traitsISE_E10value_typeEPNSK_ISF_E10value_typeEPSG_NS1_7vsmem_tEENKUlT_SE_SF_SG_E_clIS8_S8_S9_S9_EESD_ST_SE_SF_SG_EUlST_E1_NS1_11comp_targetILNS1_3genE3ELNS1_11target_archE908ELNS1_3gpuE7ELNS1_3repE0EEENS1_36merge_oddeven_config_static_selectorELNS0_4arch9wavefront6targetE1EEEvSF_,@function
_ZN7rocprim17ROCPRIM_400000_NS6detail17trampoline_kernelINS0_14default_configENS1_38merge_sort_block_merge_config_selectorIyNS0_10empty_typeEEEZZNS1_27merge_sort_block_merge_implIS3_PyPS5_jNS1_19radix_merge_compareILb0ELb1EyNS0_19identity_decomposerEEEEE10hipError_tT0_T1_T2_jT3_P12ihipStream_tbPNSt15iterator_traitsISE_E10value_typeEPNSK_ISF_E10value_typeEPSG_NS1_7vsmem_tEENKUlT_SE_SF_SG_E_clIS8_S8_S9_S9_EESD_ST_SE_SF_SG_EUlST_E1_NS1_11comp_targetILNS1_3genE3ELNS1_11target_archE908ELNS1_3gpuE7ELNS1_3repE0EEENS1_36merge_oddeven_config_static_selectorELNS0_4arch9wavefront6targetE1EEEvSF_: ; @_ZN7rocprim17ROCPRIM_400000_NS6detail17trampoline_kernelINS0_14default_configENS1_38merge_sort_block_merge_config_selectorIyNS0_10empty_typeEEEZZNS1_27merge_sort_block_merge_implIS3_PyPS5_jNS1_19radix_merge_compareILb0ELb1EyNS0_19identity_decomposerEEEEE10hipError_tT0_T1_T2_jT3_P12ihipStream_tbPNSt15iterator_traitsISE_E10value_typeEPNSK_ISF_E10value_typeEPSG_NS1_7vsmem_tEENKUlT_SE_SF_SG_E_clIS8_S8_S9_S9_EESD_ST_SE_SF_SG_EUlST_E1_NS1_11comp_targetILNS1_3genE3ELNS1_11target_archE908ELNS1_3gpuE7ELNS1_3repE0EEENS1_36merge_oddeven_config_static_selectorELNS0_4arch9wavefront6targetE1EEEvSF_
; %bb.0:
	.section	.rodata,"a",@progbits
	.p2align	6, 0x0
	.amdhsa_kernel _ZN7rocprim17ROCPRIM_400000_NS6detail17trampoline_kernelINS0_14default_configENS1_38merge_sort_block_merge_config_selectorIyNS0_10empty_typeEEEZZNS1_27merge_sort_block_merge_implIS3_PyPS5_jNS1_19radix_merge_compareILb0ELb1EyNS0_19identity_decomposerEEEEE10hipError_tT0_T1_T2_jT3_P12ihipStream_tbPNSt15iterator_traitsISE_E10value_typeEPNSK_ISF_E10value_typeEPSG_NS1_7vsmem_tEENKUlT_SE_SF_SG_E_clIS8_S8_S9_S9_EESD_ST_SE_SF_SG_EUlST_E1_NS1_11comp_targetILNS1_3genE3ELNS1_11target_archE908ELNS1_3gpuE7ELNS1_3repE0EEENS1_36merge_oddeven_config_static_selectorELNS0_4arch9wavefront6targetE1EEEvSF_
		.amdhsa_group_segment_fixed_size 0
		.amdhsa_private_segment_fixed_size 0
		.amdhsa_kernarg_size 48
		.amdhsa_user_sgpr_count 6
		.amdhsa_user_sgpr_private_segment_buffer 1
		.amdhsa_user_sgpr_dispatch_ptr 0
		.amdhsa_user_sgpr_queue_ptr 0
		.amdhsa_user_sgpr_kernarg_segment_ptr 1
		.amdhsa_user_sgpr_dispatch_id 0
		.amdhsa_user_sgpr_flat_scratch_init 0
		.amdhsa_user_sgpr_kernarg_preload_length 0
		.amdhsa_user_sgpr_kernarg_preload_offset 0
		.amdhsa_user_sgpr_private_segment_size 0
		.amdhsa_uses_dynamic_stack 0
		.amdhsa_system_sgpr_private_segment_wavefront_offset 0
		.amdhsa_system_sgpr_workgroup_id_x 1
		.amdhsa_system_sgpr_workgroup_id_y 0
		.amdhsa_system_sgpr_workgroup_id_z 0
		.amdhsa_system_sgpr_workgroup_info 0
		.amdhsa_system_vgpr_workitem_id 0
		.amdhsa_next_free_vgpr 1
		.amdhsa_next_free_sgpr 0
		.amdhsa_accum_offset 4
		.amdhsa_reserve_vcc 0
		.amdhsa_reserve_flat_scratch 0
		.amdhsa_float_round_mode_32 0
		.amdhsa_float_round_mode_16_64 0
		.amdhsa_float_denorm_mode_32 3
		.amdhsa_float_denorm_mode_16_64 3
		.amdhsa_dx10_clamp 1
		.amdhsa_ieee_mode 1
		.amdhsa_fp16_overflow 0
		.amdhsa_tg_split 0
		.amdhsa_exception_fp_ieee_invalid_op 0
		.amdhsa_exception_fp_denorm_src 0
		.amdhsa_exception_fp_ieee_div_zero 0
		.amdhsa_exception_fp_ieee_overflow 0
		.amdhsa_exception_fp_ieee_underflow 0
		.amdhsa_exception_fp_ieee_inexact 0
		.amdhsa_exception_int_div_zero 0
	.end_amdhsa_kernel
	.section	.text._ZN7rocprim17ROCPRIM_400000_NS6detail17trampoline_kernelINS0_14default_configENS1_38merge_sort_block_merge_config_selectorIyNS0_10empty_typeEEEZZNS1_27merge_sort_block_merge_implIS3_PyPS5_jNS1_19radix_merge_compareILb0ELb1EyNS0_19identity_decomposerEEEEE10hipError_tT0_T1_T2_jT3_P12ihipStream_tbPNSt15iterator_traitsISE_E10value_typeEPNSK_ISF_E10value_typeEPSG_NS1_7vsmem_tEENKUlT_SE_SF_SG_E_clIS8_S8_S9_S9_EESD_ST_SE_SF_SG_EUlST_E1_NS1_11comp_targetILNS1_3genE3ELNS1_11target_archE908ELNS1_3gpuE7ELNS1_3repE0EEENS1_36merge_oddeven_config_static_selectorELNS0_4arch9wavefront6targetE1EEEvSF_,"axG",@progbits,_ZN7rocprim17ROCPRIM_400000_NS6detail17trampoline_kernelINS0_14default_configENS1_38merge_sort_block_merge_config_selectorIyNS0_10empty_typeEEEZZNS1_27merge_sort_block_merge_implIS3_PyPS5_jNS1_19radix_merge_compareILb0ELb1EyNS0_19identity_decomposerEEEEE10hipError_tT0_T1_T2_jT3_P12ihipStream_tbPNSt15iterator_traitsISE_E10value_typeEPNSK_ISF_E10value_typeEPSG_NS1_7vsmem_tEENKUlT_SE_SF_SG_E_clIS8_S8_S9_S9_EESD_ST_SE_SF_SG_EUlST_E1_NS1_11comp_targetILNS1_3genE3ELNS1_11target_archE908ELNS1_3gpuE7ELNS1_3repE0EEENS1_36merge_oddeven_config_static_selectorELNS0_4arch9wavefront6targetE1EEEvSF_,comdat
.Lfunc_end1178:
	.size	_ZN7rocprim17ROCPRIM_400000_NS6detail17trampoline_kernelINS0_14default_configENS1_38merge_sort_block_merge_config_selectorIyNS0_10empty_typeEEEZZNS1_27merge_sort_block_merge_implIS3_PyPS5_jNS1_19radix_merge_compareILb0ELb1EyNS0_19identity_decomposerEEEEE10hipError_tT0_T1_T2_jT3_P12ihipStream_tbPNSt15iterator_traitsISE_E10value_typeEPNSK_ISF_E10value_typeEPSG_NS1_7vsmem_tEENKUlT_SE_SF_SG_E_clIS8_S8_S9_S9_EESD_ST_SE_SF_SG_EUlST_E1_NS1_11comp_targetILNS1_3genE3ELNS1_11target_archE908ELNS1_3gpuE7ELNS1_3repE0EEENS1_36merge_oddeven_config_static_selectorELNS0_4arch9wavefront6targetE1EEEvSF_, .Lfunc_end1178-_ZN7rocprim17ROCPRIM_400000_NS6detail17trampoline_kernelINS0_14default_configENS1_38merge_sort_block_merge_config_selectorIyNS0_10empty_typeEEEZZNS1_27merge_sort_block_merge_implIS3_PyPS5_jNS1_19radix_merge_compareILb0ELb1EyNS0_19identity_decomposerEEEEE10hipError_tT0_T1_T2_jT3_P12ihipStream_tbPNSt15iterator_traitsISE_E10value_typeEPNSK_ISF_E10value_typeEPSG_NS1_7vsmem_tEENKUlT_SE_SF_SG_E_clIS8_S8_S9_S9_EESD_ST_SE_SF_SG_EUlST_E1_NS1_11comp_targetILNS1_3genE3ELNS1_11target_archE908ELNS1_3gpuE7ELNS1_3repE0EEENS1_36merge_oddeven_config_static_selectorELNS0_4arch9wavefront6targetE1EEEvSF_
                                        ; -- End function
	.section	.AMDGPU.csdata,"",@progbits
; Kernel info:
; codeLenInByte = 0
; NumSgprs: 4
; NumVgprs: 0
; NumAgprs: 0
; TotalNumVgprs: 0
; ScratchSize: 0
; MemoryBound: 0
; FloatMode: 240
; IeeeMode: 1
; LDSByteSize: 0 bytes/workgroup (compile time only)
; SGPRBlocks: 0
; VGPRBlocks: 0
; NumSGPRsForWavesPerEU: 4
; NumVGPRsForWavesPerEU: 1
; AccumOffset: 4
; Occupancy: 8
; WaveLimiterHint : 0
; COMPUTE_PGM_RSRC2:SCRATCH_EN: 0
; COMPUTE_PGM_RSRC2:USER_SGPR: 6
; COMPUTE_PGM_RSRC2:TRAP_HANDLER: 0
; COMPUTE_PGM_RSRC2:TGID_X_EN: 1
; COMPUTE_PGM_RSRC2:TGID_Y_EN: 0
; COMPUTE_PGM_RSRC2:TGID_Z_EN: 0
; COMPUTE_PGM_RSRC2:TIDIG_COMP_CNT: 0
; COMPUTE_PGM_RSRC3_GFX90A:ACCUM_OFFSET: 0
; COMPUTE_PGM_RSRC3_GFX90A:TG_SPLIT: 0
	.section	.text._ZN7rocprim17ROCPRIM_400000_NS6detail17trampoline_kernelINS0_14default_configENS1_38merge_sort_block_merge_config_selectorIyNS0_10empty_typeEEEZZNS1_27merge_sort_block_merge_implIS3_PyPS5_jNS1_19radix_merge_compareILb0ELb1EyNS0_19identity_decomposerEEEEE10hipError_tT0_T1_T2_jT3_P12ihipStream_tbPNSt15iterator_traitsISE_E10value_typeEPNSK_ISF_E10value_typeEPSG_NS1_7vsmem_tEENKUlT_SE_SF_SG_E_clIS8_S8_S9_S9_EESD_ST_SE_SF_SG_EUlST_E1_NS1_11comp_targetILNS1_3genE2ELNS1_11target_archE906ELNS1_3gpuE6ELNS1_3repE0EEENS1_36merge_oddeven_config_static_selectorELNS0_4arch9wavefront6targetE1EEEvSF_,"axG",@progbits,_ZN7rocprim17ROCPRIM_400000_NS6detail17trampoline_kernelINS0_14default_configENS1_38merge_sort_block_merge_config_selectorIyNS0_10empty_typeEEEZZNS1_27merge_sort_block_merge_implIS3_PyPS5_jNS1_19radix_merge_compareILb0ELb1EyNS0_19identity_decomposerEEEEE10hipError_tT0_T1_T2_jT3_P12ihipStream_tbPNSt15iterator_traitsISE_E10value_typeEPNSK_ISF_E10value_typeEPSG_NS1_7vsmem_tEENKUlT_SE_SF_SG_E_clIS8_S8_S9_S9_EESD_ST_SE_SF_SG_EUlST_E1_NS1_11comp_targetILNS1_3genE2ELNS1_11target_archE906ELNS1_3gpuE6ELNS1_3repE0EEENS1_36merge_oddeven_config_static_selectorELNS0_4arch9wavefront6targetE1EEEvSF_,comdat
	.protected	_ZN7rocprim17ROCPRIM_400000_NS6detail17trampoline_kernelINS0_14default_configENS1_38merge_sort_block_merge_config_selectorIyNS0_10empty_typeEEEZZNS1_27merge_sort_block_merge_implIS3_PyPS5_jNS1_19radix_merge_compareILb0ELb1EyNS0_19identity_decomposerEEEEE10hipError_tT0_T1_T2_jT3_P12ihipStream_tbPNSt15iterator_traitsISE_E10value_typeEPNSK_ISF_E10value_typeEPSG_NS1_7vsmem_tEENKUlT_SE_SF_SG_E_clIS8_S8_S9_S9_EESD_ST_SE_SF_SG_EUlST_E1_NS1_11comp_targetILNS1_3genE2ELNS1_11target_archE906ELNS1_3gpuE6ELNS1_3repE0EEENS1_36merge_oddeven_config_static_selectorELNS0_4arch9wavefront6targetE1EEEvSF_ ; -- Begin function _ZN7rocprim17ROCPRIM_400000_NS6detail17trampoline_kernelINS0_14default_configENS1_38merge_sort_block_merge_config_selectorIyNS0_10empty_typeEEEZZNS1_27merge_sort_block_merge_implIS3_PyPS5_jNS1_19radix_merge_compareILb0ELb1EyNS0_19identity_decomposerEEEEE10hipError_tT0_T1_T2_jT3_P12ihipStream_tbPNSt15iterator_traitsISE_E10value_typeEPNSK_ISF_E10value_typeEPSG_NS1_7vsmem_tEENKUlT_SE_SF_SG_E_clIS8_S8_S9_S9_EESD_ST_SE_SF_SG_EUlST_E1_NS1_11comp_targetILNS1_3genE2ELNS1_11target_archE906ELNS1_3gpuE6ELNS1_3repE0EEENS1_36merge_oddeven_config_static_selectorELNS0_4arch9wavefront6targetE1EEEvSF_
	.globl	_ZN7rocprim17ROCPRIM_400000_NS6detail17trampoline_kernelINS0_14default_configENS1_38merge_sort_block_merge_config_selectorIyNS0_10empty_typeEEEZZNS1_27merge_sort_block_merge_implIS3_PyPS5_jNS1_19radix_merge_compareILb0ELb1EyNS0_19identity_decomposerEEEEE10hipError_tT0_T1_T2_jT3_P12ihipStream_tbPNSt15iterator_traitsISE_E10value_typeEPNSK_ISF_E10value_typeEPSG_NS1_7vsmem_tEENKUlT_SE_SF_SG_E_clIS8_S8_S9_S9_EESD_ST_SE_SF_SG_EUlST_E1_NS1_11comp_targetILNS1_3genE2ELNS1_11target_archE906ELNS1_3gpuE6ELNS1_3repE0EEENS1_36merge_oddeven_config_static_selectorELNS0_4arch9wavefront6targetE1EEEvSF_
	.p2align	8
	.type	_ZN7rocprim17ROCPRIM_400000_NS6detail17trampoline_kernelINS0_14default_configENS1_38merge_sort_block_merge_config_selectorIyNS0_10empty_typeEEEZZNS1_27merge_sort_block_merge_implIS3_PyPS5_jNS1_19radix_merge_compareILb0ELb1EyNS0_19identity_decomposerEEEEE10hipError_tT0_T1_T2_jT3_P12ihipStream_tbPNSt15iterator_traitsISE_E10value_typeEPNSK_ISF_E10value_typeEPSG_NS1_7vsmem_tEENKUlT_SE_SF_SG_E_clIS8_S8_S9_S9_EESD_ST_SE_SF_SG_EUlST_E1_NS1_11comp_targetILNS1_3genE2ELNS1_11target_archE906ELNS1_3gpuE6ELNS1_3repE0EEENS1_36merge_oddeven_config_static_selectorELNS0_4arch9wavefront6targetE1EEEvSF_,@function
_ZN7rocprim17ROCPRIM_400000_NS6detail17trampoline_kernelINS0_14default_configENS1_38merge_sort_block_merge_config_selectorIyNS0_10empty_typeEEEZZNS1_27merge_sort_block_merge_implIS3_PyPS5_jNS1_19radix_merge_compareILb0ELb1EyNS0_19identity_decomposerEEEEE10hipError_tT0_T1_T2_jT3_P12ihipStream_tbPNSt15iterator_traitsISE_E10value_typeEPNSK_ISF_E10value_typeEPSG_NS1_7vsmem_tEENKUlT_SE_SF_SG_E_clIS8_S8_S9_S9_EESD_ST_SE_SF_SG_EUlST_E1_NS1_11comp_targetILNS1_3genE2ELNS1_11target_archE906ELNS1_3gpuE6ELNS1_3repE0EEENS1_36merge_oddeven_config_static_selectorELNS0_4arch9wavefront6targetE1EEEvSF_: ; @_ZN7rocprim17ROCPRIM_400000_NS6detail17trampoline_kernelINS0_14default_configENS1_38merge_sort_block_merge_config_selectorIyNS0_10empty_typeEEEZZNS1_27merge_sort_block_merge_implIS3_PyPS5_jNS1_19radix_merge_compareILb0ELb1EyNS0_19identity_decomposerEEEEE10hipError_tT0_T1_T2_jT3_P12ihipStream_tbPNSt15iterator_traitsISE_E10value_typeEPNSK_ISF_E10value_typeEPSG_NS1_7vsmem_tEENKUlT_SE_SF_SG_E_clIS8_S8_S9_S9_EESD_ST_SE_SF_SG_EUlST_E1_NS1_11comp_targetILNS1_3genE2ELNS1_11target_archE906ELNS1_3gpuE6ELNS1_3repE0EEENS1_36merge_oddeven_config_static_selectorELNS0_4arch9wavefront6targetE1EEEvSF_
; %bb.0:
	.section	.rodata,"a",@progbits
	.p2align	6, 0x0
	.amdhsa_kernel _ZN7rocprim17ROCPRIM_400000_NS6detail17trampoline_kernelINS0_14default_configENS1_38merge_sort_block_merge_config_selectorIyNS0_10empty_typeEEEZZNS1_27merge_sort_block_merge_implIS3_PyPS5_jNS1_19radix_merge_compareILb0ELb1EyNS0_19identity_decomposerEEEEE10hipError_tT0_T1_T2_jT3_P12ihipStream_tbPNSt15iterator_traitsISE_E10value_typeEPNSK_ISF_E10value_typeEPSG_NS1_7vsmem_tEENKUlT_SE_SF_SG_E_clIS8_S8_S9_S9_EESD_ST_SE_SF_SG_EUlST_E1_NS1_11comp_targetILNS1_3genE2ELNS1_11target_archE906ELNS1_3gpuE6ELNS1_3repE0EEENS1_36merge_oddeven_config_static_selectorELNS0_4arch9wavefront6targetE1EEEvSF_
		.amdhsa_group_segment_fixed_size 0
		.amdhsa_private_segment_fixed_size 0
		.amdhsa_kernarg_size 48
		.amdhsa_user_sgpr_count 6
		.amdhsa_user_sgpr_private_segment_buffer 1
		.amdhsa_user_sgpr_dispatch_ptr 0
		.amdhsa_user_sgpr_queue_ptr 0
		.amdhsa_user_sgpr_kernarg_segment_ptr 1
		.amdhsa_user_sgpr_dispatch_id 0
		.amdhsa_user_sgpr_flat_scratch_init 0
		.amdhsa_user_sgpr_kernarg_preload_length 0
		.amdhsa_user_sgpr_kernarg_preload_offset 0
		.amdhsa_user_sgpr_private_segment_size 0
		.amdhsa_uses_dynamic_stack 0
		.amdhsa_system_sgpr_private_segment_wavefront_offset 0
		.amdhsa_system_sgpr_workgroup_id_x 1
		.amdhsa_system_sgpr_workgroup_id_y 0
		.amdhsa_system_sgpr_workgroup_id_z 0
		.amdhsa_system_sgpr_workgroup_info 0
		.amdhsa_system_vgpr_workitem_id 0
		.amdhsa_next_free_vgpr 1
		.amdhsa_next_free_sgpr 0
		.amdhsa_accum_offset 4
		.amdhsa_reserve_vcc 0
		.amdhsa_reserve_flat_scratch 0
		.amdhsa_float_round_mode_32 0
		.amdhsa_float_round_mode_16_64 0
		.amdhsa_float_denorm_mode_32 3
		.amdhsa_float_denorm_mode_16_64 3
		.amdhsa_dx10_clamp 1
		.amdhsa_ieee_mode 1
		.amdhsa_fp16_overflow 0
		.amdhsa_tg_split 0
		.amdhsa_exception_fp_ieee_invalid_op 0
		.amdhsa_exception_fp_denorm_src 0
		.amdhsa_exception_fp_ieee_div_zero 0
		.amdhsa_exception_fp_ieee_overflow 0
		.amdhsa_exception_fp_ieee_underflow 0
		.amdhsa_exception_fp_ieee_inexact 0
		.amdhsa_exception_int_div_zero 0
	.end_amdhsa_kernel
	.section	.text._ZN7rocprim17ROCPRIM_400000_NS6detail17trampoline_kernelINS0_14default_configENS1_38merge_sort_block_merge_config_selectorIyNS0_10empty_typeEEEZZNS1_27merge_sort_block_merge_implIS3_PyPS5_jNS1_19radix_merge_compareILb0ELb1EyNS0_19identity_decomposerEEEEE10hipError_tT0_T1_T2_jT3_P12ihipStream_tbPNSt15iterator_traitsISE_E10value_typeEPNSK_ISF_E10value_typeEPSG_NS1_7vsmem_tEENKUlT_SE_SF_SG_E_clIS8_S8_S9_S9_EESD_ST_SE_SF_SG_EUlST_E1_NS1_11comp_targetILNS1_3genE2ELNS1_11target_archE906ELNS1_3gpuE6ELNS1_3repE0EEENS1_36merge_oddeven_config_static_selectorELNS0_4arch9wavefront6targetE1EEEvSF_,"axG",@progbits,_ZN7rocprim17ROCPRIM_400000_NS6detail17trampoline_kernelINS0_14default_configENS1_38merge_sort_block_merge_config_selectorIyNS0_10empty_typeEEEZZNS1_27merge_sort_block_merge_implIS3_PyPS5_jNS1_19radix_merge_compareILb0ELb1EyNS0_19identity_decomposerEEEEE10hipError_tT0_T1_T2_jT3_P12ihipStream_tbPNSt15iterator_traitsISE_E10value_typeEPNSK_ISF_E10value_typeEPSG_NS1_7vsmem_tEENKUlT_SE_SF_SG_E_clIS8_S8_S9_S9_EESD_ST_SE_SF_SG_EUlST_E1_NS1_11comp_targetILNS1_3genE2ELNS1_11target_archE906ELNS1_3gpuE6ELNS1_3repE0EEENS1_36merge_oddeven_config_static_selectorELNS0_4arch9wavefront6targetE1EEEvSF_,comdat
.Lfunc_end1179:
	.size	_ZN7rocprim17ROCPRIM_400000_NS6detail17trampoline_kernelINS0_14default_configENS1_38merge_sort_block_merge_config_selectorIyNS0_10empty_typeEEEZZNS1_27merge_sort_block_merge_implIS3_PyPS5_jNS1_19radix_merge_compareILb0ELb1EyNS0_19identity_decomposerEEEEE10hipError_tT0_T1_T2_jT3_P12ihipStream_tbPNSt15iterator_traitsISE_E10value_typeEPNSK_ISF_E10value_typeEPSG_NS1_7vsmem_tEENKUlT_SE_SF_SG_E_clIS8_S8_S9_S9_EESD_ST_SE_SF_SG_EUlST_E1_NS1_11comp_targetILNS1_3genE2ELNS1_11target_archE906ELNS1_3gpuE6ELNS1_3repE0EEENS1_36merge_oddeven_config_static_selectorELNS0_4arch9wavefront6targetE1EEEvSF_, .Lfunc_end1179-_ZN7rocprim17ROCPRIM_400000_NS6detail17trampoline_kernelINS0_14default_configENS1_38merge_sort_block_merge_config_selectorIyNS0_10empty_typeEEEZZNS1_27merge_sort_block_merge_implIS3_PyPS5_jNS1_19radix_merge_compareILb0ELb1EyNS0_19identity_decomposerEEEEE10hipError_tT0_T1_T2_jT3_P12ihipStream_tbPNSt15iterator_traitsISE_E10value_typeEPNSK_ISF_E10value_typeEPSG_NS1_7vsmem_tEENKUlT_SE_SF_SG_E_clIS8_S8_S9_S9_EESD_ST_SE_SF_SG_EUlST_E1_NS1_11comp_targetILNS1_3genE2ELNS1_11target_archE906ELNS1_3gpuE6ELNS1_3repE0EEENS1_36merge_oddeven_config_static_selectorELNS0_4arch9wavefront6targetE1EEEvSF_
                                        ; -- End function
	.section	.AMDGPU.csdata,"",@progbits
; Kernel info:
; codeLenInByte = 0
; NumSgprs: 4
; NumVgprs: 0
; NumAgprs: 0
; TotalNumVgprs: 0
; ScratchSize: 0
; MemoryBound: 0
; FloatMode: 240
; IeeeMode: 1
; LDSByteSize: 0 bytes/workgroup (compile time only)
; SGPRBlocks: 0
; VGPRBlocks: 0
; NumSGPRsForWavesPerEU: 4
; NumVGPRsForWavesPerEU: 1
; AccumOffset: 4
; Occupancy: 8
; WaveLimiterHint : 0
; COMPUTE_PGM_RSRC2:SCRATCH_EN: 0
; COMPUTE_PGM_RSRC2:USER_SGPR: 6
; COMPUTE_PGM_RSRC2:TRAP_HANDLER: 0
; COMPUTE_PGM_RSRC2:TGID_X_EN: 1
; COMPUTE_PGM_RSRC2:TGID_Y_EN: 0
; COMPUTE_PGM_RSRC2:TGID_Z_EN: 0
; COMPUTE_PGM_RSRC2:TIDIG_COMP_CNT: 0
; COMPUTE_PGM_RSRC3_GFX90A:ACCUM_OFFSET: 0
; COMPUTE_PGM_RSRC3_GFX90A:TG_SPLIT: 0
	.section	.text._ZN7rocprim17ROCPRIM_400000_NS6detail17trampoline_kernelINS0_14default_configENS1_38merge_sort_block_merge_config_selectorIyNS0_10empty_typeEEEZZNS1_27merge_sort_block_merge_implIS3_PyPS5_jNS1_19radix_merge_compareILb0ELb1EyNS0_19identity_decomposerEEEEE10hipError_tT0_T1_T2_jT3_P12ihipStream_tbPNSt15iterator_traitsISE_E10value_typeEPNSK_ISF_E10value_typeEPSG_NS1_7vsmem_tEENKUlT_SE_SF_SG_E_clIS8_S8_S9_S9_EESD_ST_SE_SF_SG_EUlST_E1_NS1_11comp_targetILNS1_3genE9ELNS1_11target_archE1100ELNS1_3gpuE3ELNS1_3repE0EEENS1_36merge_oddeven_config_static_selectorELNS0_4arch9wavefront6targetE1EEEvSF_,"axG",@progbits,_ZN7rocprim17ROCPRIM_400000_NS6detail17trampoline_kernelINS0_14default_configENS1_38merge_sort_block_merge_config_selectorIyNS0_10empty_typeEEEZZNS1_27merge_sort_block_merge_implIS3_PyPS5_jNS1_19radix_merge_compareILb0ELb1EyNS0_19identity_decomposerEEEEE10hipError_tT0_T1_T2_jT3_P12ihipStream_tbPNSt15iterator_traitsISE_E10value_typeEPNSK_ISF_E10value_typeEPSG_NS1_7vsmem_tEENKUlT_SE_SF_SG_E_clIS8_S8_S9_S9_EESD_ST_SE_SF_SG_EUlST_E1_NS1_11comp_targetILNS1_3genE9ELNS1_11target_archE1100ELNS1_3gpuE3ELNS1_3repE0EEENS1_36merge_oddeven_config_static_selectorELNS0_4arch9wavefront6targetE1EEEvSF_,comdat
	.protected	_ZN7rocprim17ROCPRIM_400000_NS6detail17trampoline_kernelINS0_14default_configENS1_38merge_sort_block_merge_config_selectorIyNS0_10empty_typeEEEZZNS1_27merge_sort_block_merge_implIS3_PyPS5_jNS1_19radix_merge_compareILb0ELb1EyNS0_19identity_decomposerEEEEE10hipError_tT0_T1_T2_jT3_P12ihipStream_tbPNSt15iterator_traitsISE_E10value_typeEPNSK_ISF_E10value_typeEPSG_NS1_7vsmem_tEENKUlT_SE_SF_SG_E_clIS8_S8_S9_S9_EESD_ST_SE_SF_SG_EUlST_E1_NS1_11comp_targetILNS1_3genE9ELNS1_11target_archE1100ELNS1_3gpuE3ELNS1_3repE0EEENS1_36merge_oddeven_config_static_selectorELNS0_4arch9wavefront6targetE1EEEvSF_ ; -- Begin function _ZN7rocprim17ROCPRIM_400000_NS6detail17trampoline_kernelINS0_14default_configENS1_38merge_sort_block_merge_config_selectorIyNS0_10empty_typeEEEZZNS1_27merge_sort_block_merge_implIS3_PyPS5_jNS1_19radix_merge_compareILb0ELb1EyNS0_19identity_decomposerEEEEE10hipError_tT0_T1_T2_jT3_P12ihipStream_tbPNSt15iterator_traitsISE_E10value_typeEPNSK_ISF_E10value_typeEPSG_NS1_7vsmem_tEENKUlT_SE_SF_SG_E_clIS8_S8_S9_S9_EESD_ST_SE_SF_SG_EUlST_E1_NS1_11comp_targetILNS1_3genE9ELNS1_11target_archE1100ELNS1_3gpuE3ELNS1_3repE0EEENS1_36merge_oddeven_config_static_selectorELNS0_4arch9wavefront6targetE1EEEvSF_
	.globl	_ZN7rocprim17ROCPRIM_400000_NS6detail17trampoline_kernelINS0_14default_configENS1_38merge_sort_block_merge_config_selectorIyNS0_10empty_typeEEEZZNS1_27merge_sort_block_merge_implIS3_PyPS5_jNS1_19radix_merge_compareILb0ELb1EyNS0_19identity_decomposerEEEEE10hipError_tT0_T1_T2_jT3_P12ihipStream_tbPNSt15iterator_traitsISE_E10value_typeEPNSK_ISF_E10value_typeEPSG_NS1_7vsmem_tEENKUlT_SE_SF_SG_E_clIS8_S8_S9_S9_EESD_ST_SE_SF_SG_EUlST_E1_NS1_11comp_targetILNS1_3genE9ELNS1_11target_archE1100ELNS1_3gpuE3ELNS1_3repE0EEENS1_36merge_oddeven_config_static_selectorELNS0_4arch9wavefront6targetE1EEEvSF_
	.p2align	8
	.type	_ZN7rocprim17ROCPRIM_400000_NS6detail17trampoline_kernelINS0_14default_configENS1_38merge_sort_block_merge_config_selectorIyNS0_10empty_typeEEEZZNS1_27merge_sort_block_merge_implIS3_PyPS5_jNS1_19radix_merge_compareILb0ELb1EyNS0_19identity_decomposerEEEEE10hipError_tT0_T1_T2_jT3_P12ihipStream_tbPNSt15iterator_traitsISE_E10value_typeEPNSK_ISF_E10value_typeEPSG_NS1_7vsmem_tEENKUlT_SE_SF_SG_E_clIS8_S8_S9_S9_EESD_ST_SE_SF_SG_EUlST_E1_NS1_11comp_targetILNS1_3genE9ELNS1_11target_archE1100ELNS1_3gpuE3ELNS1_3repE0EEENS1_36merge_oddeven_config_static_selectorELNS0_4arch9wavefront6targetE1EEEvSF_,@function
_ZN7rocprim17ROCPRIM_400000_NS6detail17trampoline_kernelINS0_14default_configENS1_38merge_sort_block_merge_config_selectorIyNS0_10empty_typeEEEZZNS1_27merge_sort_block_merge_implIS3_PyPS5_jNS1_19radix_merge_compareILb0ELb1EyNS0_19identity_decomposerEEEEE10hipError_tT0_T1_T2_jT3_P12ihipStream_tbPNSt15iterator_traitsISE_E10value_typeEPNSK_ISF_E10value_typeEPSG_NS1_7vsmem_tEENKUlT_SE_SF_SG_E_clIS8_S8_S9_S9_EESD_ST_SE_SF_SG_EUlST_E1_NS1_11comp_targetILNS1_3genE9ELNS1_11target_archE1100ELNS1_3gpuE3ELNS1_3repE0EEENS1_36merge_oddeven_config_static_selectorELNS0_4arch9wavefront6targetE1EEEvSF_: ; @_ZN7rocprim17ROCPRIM_400000_NS6detail17trampoline_kernelINS0_14default_configENS1_38merge_sort_block_merge_config_selectorIyNS0_10empty_typeEEEZZNS1_27merge_sort_block_merge_implIS3_PyPS5_jNS1_19radix_merge_compareILb0ELb1EyNS0_19identity_decomposerEEEEE10hipError_tT0_T1_T2_jT3_P12ihipStream_tbPNSt15iterator_traitsISE_E10value_typeEPNSK_ISF_E10value_typeEPSG_NS1_7vsmem_tEENKUlT_SE_SF_SG_E_clIS8_S8_S9_S9_EESD_ST_SE_SF_SG_EUlST_E1_NS1_11comp_targetILNS1_3genE9ELNS1_11target_archE1100ELNS1_3gpuE3ELNS1_3repE0EEENS1_36merge_oddeven_config_static_selectorELNS0_4arch9wavefront6targetE1EEEvSF_
; %bb.0:
	.section	.rodata,"a",@progbits
	.p2align	6, 0x0
	.amdhsa_kernel _ZN7rocprim17ROCPRIM_400000_NS6detail17trampoline_kernelINS0_14default_configENS1_38merge_sort_block_merge_config_selectorIyNS0_10empty_typeEEEZZNS1_27merge_sort_block_merge_implIS3_PyPS5_jNS1_19radix_merge_compareILb0ELb1EyNS0_19identity_decomposerEEEEE10hipError_tT0_T1_T2_jT3_P12ihipStream_tbPNSt15iterator_traitsISE_E10value_typeEPNSK_ISF_E10value_typeEPSG_NS1_7vsmem_tEENKUlT_SE_SF_SG_E_clIS8_S8_S9_S9_EESD_ST_SE_SF_SG_EUlST_E1_NS1_11comp_targetILNS1_3genE9ELNS1_11target_archE1100ELNS1_3gpuE3ELNS1_3repE0EEENS1_36merge_oddeven_config_static_selectorELNS0_4arch9wavefront6targetE1EEEvSF_
		.amdhsa_group_segment_fixed_size 0
		.amdhsa_private_segment_fixed_size 0
		.amdhsa_kernarg_size 48
		.amdhsa_user_sgpr_count 6
		.amdhsa_user_sgpr_private_segment_buffer 1
		.amdhsa_user_sgpr_dispatch_ptr 0
		.amdhsa_user_sgpr_queue_ptr 0
		.amdhsa_user_sgpr_kernarg_segment_ptr 1
		.amdhsa_user_sgpr_dispatch_id 0
		.amdhsa_user_sgpr_flat_scratch_init 0
		.amdhsa_user_sgpr_kernarg_preload_length 0
		.amdhsa_user_sgpr_kernarg_preload_offset 0
		.amdhsa_user_sgpr_private_segment_size 0
		.amdhsa_uses_dynamic_stack 0
		.amdhsa_system_sgpr_private_segment_wavefront_offset 0
		.amdhsa_system_sgpr_workgroup_id_x 1
		.amdhsa_system_sgpr_workgroup_id_y 0
		.amdhsa_system_sgpr_workgroup_id_z 0
		.amdhsa_system_sgpr_workgroup_info 0
		.amdhsa_system_vgpr_workitem_id 0
		.amdhsa_next_free_vgpr 1
		.amdhsa_next_free_sgpr 0
		.amdhsa_accum_offset 4
		.amdhsa_reserve_vcc 0
		.amdhsa_reserve_flat_scratch 0
		.amdhsa_float_round_mode_32 0
		.amdhsa_float_round_mode_16_64 0
		.amdhsa_float_denorm_mode_32 3
		.amdhsa_float_denorm_mode_16_64 3
		.amdhsa_dx10_clamp 1
		.amdhsa_ieee_mode 1
		.amdhsa_fp16_overflow 0
		.amdhsa_tg_split 0
		.amdhsa_exception_fp_ieee_invalid_op 0
		.amdhsa_exception_fp_denorm_src 0
		.amdhsa_exception_fp_ieee_div_zero 0
		.amdhsa_exception_fp_ieee_overflow 0
		.amdhsa_exception_fp_ieee_underflow 0
		.amdhsa_exception_fp_ieee_inexact 0
		.amdhsa_exception_int_div_zero 0
	.end_amdhsa_kernel
	.section	.text._ZN7rocprim17ROCPRIM_400000_NS6detail17trampoline_kernelINS0_14default_configENS1_38merge_sort_block_merge_config_selectorIyNS0_10empty_typeEEEZZNS1_27merge_sort_block_merge_implIS3_PyPS5_jNS1_19radix_merge_compareILb0ELb1EyNS0_19identity_decomposerEEEEE10hipError_tT0_T1_T2_jT3_P12ihipStream_tbPNSt15iterator_traitsISE_E10value_typeEPNSK_ISF_E10value_typeEPSG_NS1_7vsmem_tEENKUlT_SE_SF_SG_E_clIS8_S8_S9_S9_EESD_ST_SE_SF_SG_EUlST_E1_NS1_11comp_targetILNS1_3genE9ELNS1_11target_archE1100ELNS1_3gpuE3ELNS1_3repE0EEENS1_36merge_oddeven_config_static_selectorELNS0_4arch9wavefront6targetE1EEEvSF_,"axG",@progbits,_ZN7rocprim17ROCPRIM_400000_NS6detail17trampoline_kernelINS0_14default_configENS1_38merge_sort_block_merge_config_selectorIyNS0_10empty_typeEEEZZNS1_27merge_sort_block_merge_implIS3_PyPS5_jNS1_19radix_merge_compareILb0ELb1EyNS0_19identity_decomposerEEEEE10hipError_tT0_T1_T2_jT3_P12ihipStream_tbPNSt15iterator_traitsISE_E10value_typeEPNSK_ISF_E10value_typeEPSG_NS1_7vsmem_tEENKUlT_SE_SF_SG_E_clIS8_S8_S9_S9_EESD_ST_SE_SF_SG_EUlST_E1_NS1_11comp_targetILNS1_3genE9ELNS1_11target_archE1100ELNS1_3gpuE3ELNS1_3repE0EEENS1_36merge_oddeven_config_static_selectorELNS0_4arch9wavefront6targetE1EEEvSF_,comdat
.Lfunc_end1180:
	.size	_ZN7rocprim17ROCPRIM_400000_NS6detail17trampoline_kernelINS0_14default_configENS1_38merge_sort_block_merge_config_selectorIyNS0_10empty_typeEEEZZNS1_27merge_sort_block_merge_implIS3_PyPS5_jNS1_19radix_merge_compareILb0ELb1EyNS0_19identity_decomposerEEEEE10hipError_tT0_T1_T2_jT3_P12ihipStream_tbPNSt15iterator_traitsISE_E10value_typeEPNSK_ISF_E10value_typeEPSG_NS1_7vsmem_tEENKUlT_SE_SF_SG_E_clIS8_S8_S9_S9_EESD_ST_SE_SF_SG_EUlST_E1_NS1_11comp_targetILNS1_3genE9ELNS1_11target_archE1100ELNS1_3gpuE3ELNS1_3repE0EEENS1_36merge_oddeven_config_static_selectorELNS0_4arch9wavefront6targetE1EEEvSF_, .Lfunc_end1180-_ZN7rocprim17ROCPRIM_400000_NS6detail17trampoline_kernelINS0_14default_configENS1_38merge_sort_block_merge_config_selectorIyNS0_10empty_typeEEEZZNS1_27merge_sort_block_merge_implIS3_PyPS5_jNS1_19radix_merge_compareILb0ELb1EyNS0_19identity_decomposerEEEEE10hipError_tT0_T1_T2_jT3_P12ihipStream_tbPNSt15iterator_traitsISE_E10value_typeEPNSK_ISF_E10value_typeEPSG_NS1_7vsmem_tEENKUlT_SE_SF_SG_E_clIS8_S8_S9_S9_EESD_ST_SE_SF_SG_EUlST_E1_NS1_11comp_targetILNS1_3genE9ELNS1_11target_archE1100ELNS1_3gpuE3ELNS1_3repE0EEENS1_36merge_oddeven_config_static_selectorELNS0_4arch9wavefront6targetE1EEEvSF_
                                        ; -- End function
	.section	.AMDGPU.csdata,"",@progbits
; Kernel info:
; codeLenInByte = 0
; NumSgprs: 4
; NumVgprs: 0
; NumAgprs: 0
; TotalNumVgprs: 0
; ScratchSize: 0
; MemoryBound: 0
; FloatMode: 240
; IeeeMode: 1
; LDSByteSize: 0 bytes/workgroup (compile time only)
; SGPRBlocks: 0
; VGPRBlocks: 0
; NumSGPRsForWavesPerEU: 4
; NumVGPRsForWavesPerEU: 1
; AccumOffset: 4
; Occupancy: 8
; WaveLimiterHint : 0
; COMPUTE_PGM_RSRC2:SCRATCH_EN: 0
; COMPUTE_PGM_RSRC2:USER_SGPR: 6
; COMPUTE_PGM_RSRC2:TRAP_HANDLER: 0
; COMPUTE_PGM_RSRC2:TGID_X_EN: 1
; COMPUTE_PGM_RSRC2:TGID_Y_EN: 0
; COMPUTE_PGM_RSRC2:TGID_Z_EN: 0
; COMPUTE_PGM_RSRC2:TIDIG_COMP_CNT: 0
; COMPUTE_PGM_RSRC3_GFX90A:ACCUM_OFFSET: 0
; COMPUTE_PGM_RSRC3_GFX90A:TG_SPLIT: 0
	.section	.text._ZN7rocprim17ROCPRIM_400000_NS6detail17trampoline_kernelINS0_14default_configENS1_38merge_sort_block_merge_config_selectorIyNS0_10empty_typeEEEZZNS1_27merge_sort_block_merge_implIS3_PyPS5_jNS1_19radix_merge_compareILb0ELb1EyNS0_19identity_decomposerEEEEE10hipError_tT0_T1_T2_jT3_P12ihipStream_tbPNSt15iterator_traitsISE_E10value_typeEPNSK_ISF_E10value_typeEPSG_NS1_7vsmem_tEENKUlT_SE_SF_SG_E_clIS8_S8_S9_S9_EESD_ST_SE_SF_SG_EUlST_E1_NS1_11comp_targetILNS1_3genE8ELNS1_11target_archE1030ELNS1_3gpuE2ELNS1_3repE0EEENS1_36merge_oddeven_config_static_selectorELNS0_4arch9wavefront6targetE1EEEvSF_,"axG",@progbits,_ZN7rocprim17ROCPRIM_400000_NS6detail17trampoline_kernelINS0_14default_configENS1_38merge_sort_block_merge_config_selectorIyNS0_10empty_typeEEEZZNS1_27merge_sort_block_merge_implIS3_PyPS5_jNS1_19radix_merge_compareILb0ELb1EyNS0_19identity_decomposerEEEEE10hipError_tT0_T1_T2_jT3_P12ihipStream_tbPNSt15iterator_traitsISE_E10value_typeEPNSK_ISF_E10value_typeEPSG_NS1_7vsmem_tEENKUlT_SE_SF_SG_E_clIS8_S8_S9_S9_EESD_ST_SE_SF_SG_EUlST_E1_NS1_11comp_targetILNS1_3genE8ELNS1_11target_archE1030ELNS1_3gpuE2ELNS1_3repE0EEENS1_36merge_oddeven_config_static_selectorELNS0_4arch9wavefront6targetE1EEEvSF_,comdat
	.protected	_ZN7rocprim17ROCPRIM_400000_NS6detail17trampoline_kernelINS0_14default_configENS1_38merge_sort_block_merge_config_selectorIyNS0_10empty_typeEEEZZNS1_27merge_sort_block_merge_implIS3_PyPS5_jNS1_19radix_merge_compareILb0ELb1EyNS0_19identity_decomposerEEEEE10hipError_tT0_T1_T2_jT3_P12ihipStream_tbPNSt15iterator_traitsISE_E10value_typeEPNSK_ISF_E10value_typeEPSG_NS1_7vsmem_tEENKUlT_SE_SF_SG_E_clIS8_S8_S9_S9_EESD_ST_SE_SF_SG_EUlST_E1_NS1_11comp_targetILNS1_3genE8ELNS1_11target_archE1030ELNS1_3gpuE2ELNS1_3repE0EEENS1_36merge_oddeven_config_static_selectorELNS0_4arch9wavefront6targetE1EEEvSF_ ; -- Begin function _ZN7rocprim17ROCPRIM_400000_NS6detail17trampoline_kernelINS0_14default_configENS1_38merge_sort_block_merge_config_selectorIyNS0_10empty_typeEEEZZNS1_27merge_sort_block_merge_implIS3_PyPS5_jNS1_19radix_merge_compareILb0ELb1EyNS0_19identity_decomposerEEEEE10hipError_tT0_T1_T2_jT3_P12ihipStream_tbPNSt15iterator_traitsISE_E10value_typeEPNSK_ISF_E10value_typeEPSG_NS1_7vsmem_tEENKUlT_SE_SF_SG_E_clIS8_S8_S9_S9_EESD_ST_SE_SF_SG_EUlST_E1_NS1_11comp_targetILNS1_3genE8ELNS1_11target_archE1030ELNS1_3gpuE2ELNS1_3repE0EEENS1_36merge_oddeven_config_static_selectorELNS0_4arch9wavefront6targetE1EEEvSF_
	.globl	_ZN7rocprim17ROCPRIM_400000_NS6detail17trampoline_kernelINS0_14default_configENS1_38merge_sort_block_merge_config_selectorIyNS0_10empty_typeEEEZZNS1_27merge_sort_block_merge_implIS3_PyPS5_jNS1_19radix_merge_compareILb0ELb1EyNS0_19identity_decomposerEEEEE10hipError_tT0_T1_T2_jT3_P12ihipStream_tbPNSt15iterator_traitsISE_E10value_typeEPNSK_ISF_E10value_typeEPSG_NS1_7vsmem_tEENKUlT_SE_SF_SG_E_clIS8_S8_S9_S9_EESD_ST_SE_SF_SG_EUlST_E1_NS1_11comp_targetILNS1_3genE8ELNS1_11target_archE1030ELNS1_3gpuE2ELNS1_3repE0EEENS1_36merge_oddeven_config_static_selectorELNS0_4arch9wavefront6targetE1EEEvSF_
	.p2align	8
	.type	_ZN7rocprim17ROCPRIM_400000_NS6detail17trampoline_kernelINS0_14default_configENS1_38merge_sort_block_merge_config_selectorIyNS0_10empty_typeEEEZZNS1_27merge_sort_block_merge_implIS3_PyPS5_jNS1_19radix_merge_compareILb0ELb1EyNS0_19identity_decomposerEEEEE10hipError_tT0_T1_T2_jT3_P12ihipStream_tbPNSt15iterator_traitsISE_E10value_typeEPNSK_ISF_E10value_typeEPSG_NS1_7vsmem_tEENKUlT_SE_SF_SG_E_clIS8_S8_S9_S9_EESD_ST_SE_SF_SG_EUlST_E1_NS1_11comp_targetILNS1_3genE8ELNS1_11target_archE1030ELNS1_3gpuE2ELNS1_3repE0EEENS1_36merge_oddeven_config_static_selectorELNS0_4arch9wavefront6targetE1EEEvSF_,@function
_ZN7rocprim17ROCPRIM_400000_NS6detail17trampoline_kernelINS0_14default_configENS1_38merge_sort_block_merge_config_selectorIyNS0_10empty_typeEEEZZNS1_27merge_sort_block_merge_implIS3_PyPS5_jNS1_19radix_merge_compareILb0ELb1EyNS0_19identity_decomposerEEEEE10hipError_tT0_T1_T2_jT3_P12ihipStream_tbPNSt15iterator_traitsISE_E10value_typeEPNSK_ISF_E10value_typeEPSG_NS1_7vsmem_tEENKUlT_SE_SF_SG_E_clIS8_S8_S9_S9_EESD_ST_SE_SF_SG_EUlST_E1_NS1_11comp_targetILNS1_3genE8ELNS1_11target_archE1030ELNS1_3gpuE2ELNS1_3repE0EEENS1_36merge_oddeven_config_static_selectorELNS0_4arch9wavefront6targetE1EEEvSF_: ; @_ZN7rocprim17ROCPRIM_400000_NS6detail17trampoline_kernelINS0_14default_configENS1_38merge_sort_block_merge_config_selectorIyNS0_10empty_typeEEEZZNS1_27merge_sort_block_merge_implIS3_PyPS5_jNS1_19radix_merge_compareILb0ELb1EyNS0_19identity_decomposerEEEEE10hipError_tT0_T1_T2_jT3_P12ihipStream_tbPNSt15iterator_traitsISE_E10value_typeEPNSK_ISF_E10value_typeEPSG_NS1_7vsmem_tEENKUlT_SE_SF_SG_E_clIS8_S8_S9_S9_EESD_ST_SE_SF_SG_EUlST_E1_NS1_11comp_targetILNS1_3genE8ELNS1_11target_archE1030ELNS1_3gpuE2ELNS1_3repE0EEENS1_36merge_oddeven_config_static_selectorELNS0_4arch9wavefront6targetE1EEEvSF_
; %bb.0:
	.section	.rodata,"a",@progbits
	.p2align	6, 0x0
	.amdhsa_kernel _ZN7rocprim17ROCPRIM_400000_NS6detail17trampoline_kernelINS0_14default_configENS1_38merge_sort_block_merge_config_selectorIyNS0_10empty_typeEEEZZNS1_27merge_sort_block_merge_implIS3_PyPS5_jNS1_19radix_merge_compareILb0ELb1EyNS0_19identity_decomposerEEEEE10hipError_tT0_T1_T2_jT3_P12ihipStream_tbPNSt15iterator_traitsISE_E10value_typeEPNSK_ISF_E10value_typeEPSG_NS1_7vsmem_tEENKUlT_SE_SF_SG_E_clIS8_S8_S9_S9_EESD_ST_SE_SF_SG_EUlST_E1_NS1_11comp_targetILNS1_3genE8ELNS1_11target_archE1030ELNS1_3gpuE2ELNS1_3repE0EEENS1_36merge_oddeven_config_static_selectorELNS0_4arch9wavefront6targetE1EEEvSF_
		.amdhsa_group_segment_fixed_size 0
		.amdhsa_private_segment_fixed_size 0
		.amdhsa_kernarg_size 48
		.amdhsa_user_sgpr_count 6
		.amdhsa_user_sgpr_private_segment_buffer 1
		.amdhsa_user_sgpr_dispatch_ptr 0
		.amdhsa_user_sgpr_queue_ptr 0
		.amdhsa_user_sgpr_kernarg_segment_ptr 1
		.amdhsa_user_sgpr_dispatch_id 0
		.amdhsa_user_sgpr_flat_scratch_init 0
		.amdhsa_user_sgpr_kernarg_preload_length 0
		.amdhsa_user_sgpr_kernarg_preload_offset 0
		.amdhsa_user_sgpr_private_segment_size 0
		.amdhsa_uses_dynamic_stack 0
		.amdhsa_system_sgpr_private_segment_wavefront_offset 0
		.amdhsa_system_sgpr_workgroup_id_x 1
		.amdhsa_system_sgpr_workgroup_id_y 0
		.amdhsa_system_sgpr_workgroup_id_z 0
		.amdhsa_system_sgpr_workgroup_info 0
		.amdhsa_system_vgpr_workitem_id 0
		.amdhsa_next_free_vgpr 1
		.amdhsa_next_free_sgpr 0
		.amdhsa_accum_offset 4
		.amdhsa_reserve_vcc 0
		.amdhsa_reserve_flat_scratch 0
		.amdhsa_float_round_mode_32 0
		.amdhsa_float_round_mode_16_64 0
		.amdhsa_float_denorm_mode_32 3
		.amdhsa_float_denorm_mode_16_64 3
		.amdhsa_dx10_clamp 1
		.amdhsa_ieee_mode 1
		.amdhsa_fp16_overflow 0
		.amdhsa_tg_split 0
		.amdhsa_exception_fp_ieee_invalid_op 0
		.amdhsa_exception_fp_denorm_src 0
		.amdhsa_exception_fp_ieee_div_zero 0
		.amdhsa_exception_fp_ieee_overflow 0
		.amdhsa_exception_fp_ieee_underflow 0
		.amdhsa_exception_fp_ieee_inexact 0
		.amdhsa_exception_int_div_zero 0
	.end_amdhsa_kernel
	.section	.text._ZN7rocprim17ROCPRIM_400000_NS6detail17trampoline_kernelINS0_14default_configENS1_38merge_sort_block_merge_config_selectorIyNS0_10empty_typeEEEZZNS1_27merge_sort_block_merge_implIS3_PyPS5_jNS1_19radix_merge_compareILb0ELb1EyNS0_19identity_decomposerEEEEE10hipError_tT0_T1_T2_jT3_P12ihipStream_tbPNSt15iterator_traitsISE_E10value_typeEPNSK_ISF_E10value_typeEPSG_NS1_7vsmem_tEENKUlT_SE_SF_SG_E_clIS8_S8_S9_S9_EESD_ST_SE_SF_SG_EUlST_E1_NS1_11comp_targetILNS1_3genE8ELNS1_11target_archE1030ELNS1_3gpuE2ELNS1_3repE0EEENS1_36merge_oddeven_config_static_selectorELNS0_4arch9wavefront6targetE1EEEvSF_,"axG",@progbits,_ZN7rocprim17ROCPRIM_400000_NS6detail17trampoline_kernelINS0_14default_configENS1_38merge_sort_block_merge_config_selectorIyNS0_10empty_typeEEEZZNS1_27merge_sort_block_merge_implIS3_PyPS5_jNS1_19radix_merge_compareILb0ELb1EyNS0_19identity_decomposerEEEEE10hipError_tT0_T1_T2_jT3_P12ihipStream_tbPNSt15iterator_traitsISE_E10value_typeEPNSK_ISF_E10value_typeEPSG_NS1_7vsmem_tEENKUlT_SE_SF_SG_E_clIS8_S8_S9_S9_EESD_ST_SE_SF_SG_EUlST_E1_NS1_11comp_targetILNS1_3genE8ELNS1_11target_archE1030ELNS1_3gpuE2ELNS1_3repE0EEENS1_36merge_oddeven_config_static_selectorELNS0_4arch9wavefront6targetE1EEEvSF_,comdat
.Lfunc_end1181:
	.size	_ZN7rocprim17ROCPRIM_400000_NS6detail17trampoline_kernelINS0_14default_configENS1_38merge_sort_block_merge_config_selectorIyNS0_10empty_typeEEEZZNS1_27merge_sort_block_merge_implIS3_PyPS5_jNS1_19radix_merge_compareILb0ELb1EyNS0_19identity_decomposerEEEEE10hipError_tT0_T1_T2_jT3_P12ihipStream_tbPNSt15iterator_traitsISE_E10value_typeEPNSK_ISF_E10value_typeEPSG_NS1_7vsmem_tEENKUlT_SE_SF_SG_E_clIS8_S8_S9_S9_EESD_ST_SE_SF_SG_EUlST_E1_NS1_11comp_targetILNS1_3genE8ELNS1_11target_archE1030ELNS1_3gpuE2ELNS1_3repE0EEENS1_36merge_oddeven_config_static_selectorELNS0_4arch9wavefront6targetE1EEEvSF_, .Lfunc_end1181-_ZN7rocprim17ROCPRIM_400000_NS6detail17trampoline_kernelINS0_14default_configENS1_38merge_sort_block_merge_config_selectorIyNS0_10empty_typeEEEZZNS1_27merge_sort_block_merge_implIS3_PyPS5_jNS1_19radix_merge_compareILb0ELb1EyNS0_19identity_decomposerEEEEE10hipError_tT0_T1_T2_jT3_P12ihipStream_tbPNSt15iterator_traitsISE_E10value_typeEPNSK_ISF_E10value_typeEPSG_NS1_7vsmem_tEENKUlT_SE_SF_SG_E_clIS8_S8_S9_S9_EESD_ST_SE_SF_SG_EUlST_E1_NS1_11comp_targetILNS1_3genE8ELNS1_11target_archE1030ELNS1_3gpuE2ELNS1_3repE0EEENS1_36merge_oddeven_config_static_selectorELNS0_4arch9wavefront6targetE1EEEvSF_
                                        ; -- End function
	.section	.AMDGPU.csdata,"",@progbits
; Kernel info:
; codeLenInByte = 0
; NumSgprs: 4
; NumVgprs: 0
; NumAgprs: 0
; TotalNumVgprs: 0
; ScratchSize: 0
; MemoryBound: 0
; FloatMode: 240
; IeeeMode: 1
; LDSByteSize: 0 bytes/workgroup (compile time only)
; SGPRBlocks: 0
; VGPRBlocks: 0
; NumSGPRsForWavesPerEU: 4
; NumVGPRsForWavesPerEU: 1
; AccumOffset: 4
; Occupancy: 8
; WaveLimiterHint : 0
; COMPUTE_PGM_RSRC2:SCRATCH_EN: 0
; COMPUTE_PGM_RSRC2:USER_SGPR: 6
; COMPUTE_PGM_RSRC2:TRAP_HANDLER: 0
; COMPUTE_PGM_RSRC2:TGID_X_EN: 1
; COMPUTE_PGM_RSRC2:TGID_Y_EN: 0
; COMPUTE_PGM_RSRC2:TGID_Z_EN: 0
; COMPUTE_PGM_RSRC2:TIDIG_COMP_CNT: 0
; COMPUTE_PGM_RSRC3_GFX90A:ACCUM_OFFSET: 0
; COMPUTE_PGM_RSRC3_GFX90A:TG_SPLIT: 0
	.section	.text._ZN7rocprim17ROCPRIM_400000_NS6detail17trampoline_kernelINS0_14default_configENS1_35radix_sort_onesweep_config_selectorIyNS0_10empty_typeEEEZNS1_34radix_sort_onesweep_global_offsetsIS3_Lb0EPyPS5_mNS0_19identity_decomposerEEE10hipError_tT1_T2_PT3_SE_jT4_jjP12ihipStream_tbEUlT_E_NS1_11comp_targetILNS1_3genE0ELNS1_11target_archE4294967295ELNS1_3gpuE0ELNS1_3repE0EEENS1_52radix_sort_onesweep_histogram_config_static_selectorELNS0_4arch9wavefront6targetE1EEEvSC_,"axG",@progbits,_ZN7rocprim17ROCPRIM_400000_NS6detail17trampoline_kernelINS0_14default_configENS1_35radix_sort_onesweep_config_selectorIyNS0_10empty_typeEEEZNS1_34radix_sort_onesweep_global_offsetsIS3_Lb0EPyPS5_mNS0_19identity_decomposerEEE10hipError_tT1_T2_PT3_SE_jT4_jjP12ihipStream_tbEUlT_E_NS1_11comp_targetILNS1_3genE0ELNS1_11target_archE4294967295ELNS1_3gpuE0ELNS1_3repE0EEENS1_52radix_sort_onesweep_histogram_config_static_selectorELNS0_4arch9wavefront6targetE1EEEvSC_,comdat
	.protected	_ZN7rocprim17ROCPRIM_400000_NS6detail17trampoline_kernelINS0_14default_configENS1_35radix_sort_onesweep_config_selectorIyNS0_10empty_typeEEEZNS1_34radix_sort_onesweep_global_offsetsIS3_Lb0EPyPS5_mNS0_19identity_decomposerEEE10hipError_tT1_T2_PT3_SE_jT4_jjP12ihipStream_tbEUlT_E_NS1_11comp_targetILNS1_3genE0ELNS1_11target_archE4294967295ELNS1_3gpuE0ELNS1_3repE0EEENS1_52radix_sort_onesweep_histogram_config_static_selectorELNS0_4arch9wavefront6targetE1EEEvSC_ ; -- Begin function _ZN7rocprim17ROCPRIM_400000_NS6detail17trampoline_kernelINS0_14default_configENS1_35radix_sort_onesweep_config_selectorIyNS0_10empty_typeEEEZNS1_34radix_sort_onesweep_global_offsetsIS3_Lb0EPyPS5_mNS0_19identity_decomposerEEE10hipError_tT1_T2_PT3_SE_jT4_jjP12ihipStream_tbEUlT_E_NS1_11comp_targetILNS1_3genE0ELNS1_11target_archE4294967295ELNS1_3gpuE0ELNS1_3repE0EEENS1_52radix_sort_onesweep_histogram_config_static_selectorELNS0_4arch9wavefront6targetE1EEEvSC_
	.globl	_ZN7rocprim17ROCPRIM_400000_NS6detail17trampoline_kernelINS0_14default_configENS1_35radix_sort_onesweep_config_selectorIyNS0_10empty_typeEEEZNS1_34radix_sort_onesweep_global_offsetsIS3_Lb0EPyPS5_mNS0_19identity_decomposerEEE10hipError_tT1_T2_PT3_SE_jT4_jjP12ihipStream_tbEUlT_E_NS1_11comp_targetILNS1_3genE0ELNS1_11target_archE4294967295ELNS1_3gpuE0ELNS1_3repE0EEENS1_52radix_sort_onesweep_histogram_config_static_selectorELNS0_4arch9wavefront6targetE1EEEvSC_
	.p2align	8
	.type	_ZN7rocprim17ROCPRIM_400000_NS6detail17trampoline_kernelINS0_14default_configENS1_35radix_sort_onesweep_config_selectorIyNS0_10empty_typeEEEZNS1_34radix_sort_onesweep_global_offsetsIS3_Lb0EPyPS5_mNS0_19identity_decomposerEEE10hipError_tT1_T2_PT3_SE_jT4_jjP12ihipStream_tbEUlT_E_NS1_11comp_targetILNS1_3genE0ELNS1_11target_archE4294967295ELNS1_3gpuE0ELNS1_3repE0EEENS1_52radix_sort_onesweep_histogram_config_static_selectorELNS0_4arch9wavefront6targetE1EEEvSC_,@function
_ZN7rocprim17ROCPRIM_400000_NS6detail17trampoline_kernelINS0_14default_configENS1_35radix_sort_onesweep_config_selectorIyNS0_10empty_typeEEEZNS1_34radix_sort_onesweep_global_offsetsIS3_Lb0EPyPS5_mNS0_19identity_decomposerEEE10hipError_tT1_T2_PT3_SE_jT4_jjP12ihipStream_tbEUlT_E_NS1_11comp_targetILNS1_3genE0ELNS1_11target_archE4294967295ELNS1_3gpuE0ELNS1_3repE0EEENS1_52radix_sort_onesweep_histogram_config_static_selectorELNS0_4arch9wavefront6targetE1EEEvSC_: ; @_ZN7rocprim17ROCPRIM_400000_NS6detail17trampoline_kernelINS0_14default_configENS1_35radix_sort_onesweep_config_selectorIyNS0_10empty_typeEEEZNS1_34radix_sort_onesweep_global_offsetsIS3_Lb0EPyPS5_mNS0_19identity_decomposerEEE10hipError_tT1_T2_PT3_SE_jT4_jjP12ihipStream_tbEUlT_E_NS1_11comp_targetILNS1_3genE0ELNS1_11target_archE4294967295ELNS1_3gpuE0ELNS1_3repE0EEENS1_52radix_sort_onesweep_histogram_config_static_selectorELNS0_4arch9wavefront6targetE1EEEvSC_
; %bb.0:
	.section	.rodata,"a",@progbits
	.p2align	6, 0x0
	.amdhsa_kernel _ZN7rocprim17ROCPRIM_400000_NS6detail17trampoline_kernelINS0_14default_configENS1_35radix_sort_onesweep_config_selectorIyNS0_10empty_typeEEEZNS1_34radix_sort_onesweep_global_offsetsIS3_Lb0EPyPS5_mNS0_19identity_decomposerEEE10hipError_tT1_T2_PT3_SE_jT4_jjP12ihipStream_tbEUlT_E_NS1_11comp_targetILNS1_3genE0ELNS1_11target_archE4294967295ELNS1_3gpuE0ELNS1_3repE0EEENS1_52radix_sort_onesweep_histogram_config_static_selectorELNS0_4arch9wavefront6targetE1EEEvSC_
		.amdhsa_group_segment_fixed_size 0
		.amdhsa_private_segment_fixed_size 0
		.amdhsa_kernarg_size 48
		.amdhsa_user_sgpr_count 6
		.amdhsa_user_sgpr_private_segment_buffer 1
		.amdhsa_user_sgpr_dispatch_ptr 0
		.amdhsa_user_sgpr_queue_ptr 0
		.amdhsa_user_sgpr_kernarg_segment_ptr 1
		.amdhsa_user_sgpr_dispatch_id 0
		.amdhsa_user_sgpr_flat_scratch_init 0
		.amdhsa_user_sgpr_kernarg_preload_length 0
		.amdhsa_user_sgpr_kernarg_preload_offset 0
		.amdhsa_user_sgpr_private_segment_size 0
		.amdhsa_uses_dynamic_stack 0
		.amdhsa_system_sgpr_private_segment_wavefront_offset 0
		.amdhsa_system_sgpr_workgroup_id_x 1
		.amdhsa_system_sgpr_workgroup_id_y 0
		.amdhsa_system_sgpr_workgroup_id_z 0
		.amdhsa_system_sgpr_workgroup_info 0
		.amdhsa_system_vgpr_workitem_id 0
		.amdhsa_next_free_vgpr 1
		.amdhsa_next_free_sgpr 0
		.amdhsa_accum_offset 4
		.amdhsa_reserve_vcc 0
		.amdhsa_reserve_flat_scratch 0
		.amdhsa_float_round_mode_32 0
		.amdhsa_float_round_mode_16_64 0
		.amdhsa_float_denorm_mode_32 3
		.amdhsa_float_denorm_mode_16_64 3
		.amdhsa_dx10_clamp 1
		.amdhsa_ieee_mode 1
		.amdhsa_fp16_overflow 0
		.amdhsa_tg_split 0
		.amdhsa_exception_fp_ieee_invalid_op 0
		.amdhsa_exception_fp_denorm_src 0
		.amdhsa_exception_fp_ieee_div_zero 0
		.amdhsa_exception_fp_ieee_overflow 0
		.amdhsa_exception_fp_ieee_underflow 0
		.amdhsa_exception_fp_ieee_inexact 0
		.amdhsa_exception_int_div_zero 0
	.end_amdhsa_kernel
	.section	.text._ZN7rocprim17ROCPRIM_400000_NS6detail17trampoline_kernelINS0_14default_configENS1_35radix_sort_onesweep_config_selectorIyNS0_10empty_typeEEEZNS1_34radix_sort_onesweep_global_offsetsIS3_Lb0EPyPS5_mNS0_19identity_decomposerEEE10hipError_tT1_T2_PT3_SE_jT4_jjP12ihipStream_tbEUlT_E_NS1_11comp_targetILNS1_3genE0ELNS1_11target_archE4294967295ELNS1_3gpuE0ELNS1_3repE0EEENS1_52radix_sort_onesweep_histogram_config_static_selectorELNS0_4arch9wavefront6targetE1EEEvSC_,"axG",@progbits,_ZN7rocprim17ROCPRIM_400000_NS6detail17trampoline_kernelINS0_14default_configENS1_35radix_sort_onesweep_config_selectorIyNS0_10empty_typeEEEZNS1_34radix_sort_onesweep_global_offsetsIS3_Lb0EPyPS5_mNS0_19identity_decomposerEEE10hipError_tT1_T2_PT3_SE_jT4_jjP12ihipStream_tbEUlT_E_NS1_11comp_targetILNS1_3genE0ELNS1_11target_archE4294967295ELNS1_3gpuE0ELNS1_3repE0EEENS1_52radix_sort_onesweep_histogram_config_static_selectorELNS0_4arch9wavefront6targetE1EEEvSC_,comdat
.Lfunc_end1182:
	.size	_ZN7rocprim17ROCPRIM_400000_NS6detail17trampoline_kernelINS0_14default_configENS1_35radix_sort_onesweep_config_selectorIyNS0_10empty_typeEEEZNS1_34radix_sort_onesweep_global_offsetsIS3_Lb0EPyPS5_mNS0_19identity_decomposerEEE10hipError_tT1_T2_PT3_SE_jT4_jjP12ihipStream_tbEUlT_E_NS1_11comp_targetILNS1_3genE0ELNS1_11target_archE4294967295ELNS1_3gpuE0ELNS1_3repE0EEENS1_52radix_sort_onesweep_histogram_config_static_selectorELNS0_4arch9wavefront6targetE1EEEvSC_, .Lfunc_end1182-_ZN7rocprim17ROCPRIM_400000_NS6detail17trampoline_kernelINS0_14default_configENS1_35radix_sort_onesweep_config_selectorIyNS0_10empty_typeEEEZNS1_34radix_sort_onesweep_global_offsetsIS3_Lb0EPyPS5_mNS0_19identity_decomposerEEE10hipError_tT1_T2_PT3_SE_jT4_jjP12ihipStream_tbEUlT_E_NS1_11comp_targetILNS1_3genE0ELNS1_11target_archE4294967295ELNS1_3gpuE0ELNS1_3repE0EEENS1_52radix_sort_onesweep_histogram_config_static_selectorELNS0_4arch9wavefront6targetE1EEEvSC_
                                        ; -- End function
	.section	.AMDGPU.csdata,"",@progbits
; Kernel info:
; codeLenInByte = 0
; NumSgprs: 4
; NumVgprs: 0
; NumAgprs: 0
; TotalNumVgprs: 0
; ScratchSize: 0
; MemoryBound: 0
; FloatMode: 240
; IeeeMode: 1
; LDSByteSize: 0 bytes/workgroup (compile time only)
; SGPRBlocks: 0
; VGPRBlocks: 0
; NumSGPRsForWavesPerEU: 4
; NumVGPRsForWavesPerEU: 1
; AccumOffset: 4
; Occupancy: 8
; WaveLimiterHint : 0
; COMPUTE_PGM_RSRC2:SCRATCH_EN: 0
; COMPUTE_PGM_RSRC2:USER_SGPR: 6
; COMPUTE_PGM_RSRC2:TRAP_HANDLER: 0
; COMPUTE_PGM_RSRC2:TGID_X_EN: 1
; COMPUTE_PGM_RSRC2:TGID_Y_EN: 0
; COMPUTE_PGM_RSRC2:TGID_Z_EN: 0
; COMPUTE_PGM_RSRC2:TIDIG_COMP_CNT: 0
; COMPUTE_PGM_RSRC3_GFX90A:ACCUM_OFFSET: 0
; COMPUTE_PGM_RSRC3_GFX90A:TG_SPLIT: 0
	.section	.text._ZN7rocprim17ROCPRIM_400000_NS6detail17trampoline_kernelINS0_14default_configENS1_35radix_sort_onesweep_config_selectorIyNS0_10empty_typeEEEZNS1_34radix_sort_onesweep_global_offsetsIS3_Lb0EPyPS5_mNS0_19identity_decomposerEEE10hipError_tT1_T2_PT3_SE_jT4_jjP12ihipStream_tbEUlT_E_NS1_11comp_targetILNS1_3genE6ELNS1_11target_archE950ELNS1_3gpuE13ELNS1_3repE0EEENS1_52radix_sort_onesweep_histogram_config_static_selectorELNS0_4arch9wavefront6targetE1EEEvSC_,"axG",@progbits,_ZN7rocprim17ROCPRIM_400000_NS6detail17trampoline_kernelINS0_14default_configENS1_35radix_sort_onesweep_config_selectorIyNS0_10empty_typeEEEZNS1_34radix_sort_onesweep_global_offsetsIS3_Lb0EPyPS5_mNS0_19identity_decomposerEEE10hipError_tT1_T2_PT3_SE_jT4_jjP12ihipStream_tbEUlT_E_NS1_11comp_targetILNS1_3genE6ELNS1_11target_archE950ELNS1_3gpuE13ELNS1_3repE0EEENS1_52radix_sort_onesweep_histogram_config_static_selectorELNS0_4arch9wavefront6targetE1EEEvSC_,comdat
	.protected	_ZN7rocprim17ROCPRIM_400000_NS6detail17trampoline_kernelINS0_14default_configENS1_35radix_sort_onesweep_config_selectorIyNS0_10empty_typeEEEZNS1_34radix_sort_onesweep_global_offsetsIS3_Lb0EPyPS5_mNS0_19identity_decomposerEEE10hipError_tT1_T2_PT3_SE_jT4_jjP12ihipStream_tbEUlT_E_NS1_11comp_targetILNS1_3genE6ELNS1_11target_archE950ELNS1_3gpuE13ELNS1_3repE0EEENS1_52radix_sort_onesweep_histogram_config_static_selectorELNS0_4arch9wavefront6targetE1EEEvSC_ ; -- Begin function _ZN7rocprim17ROCPRIM_400000_NS6detail17trampoline_kernelINS0_14default_configENS1_35radix_sort_onesweep_config_selectorIyNS0_10empty_typeEEEZNS1_34radix_sort_onesweep_global_offsetsIS3_Lb0EPyPS5_mNS0_19identity_decomposerEEE10hipError_tT1_T2_PT3_SE_jT4_jjP12ihipStream_tbEUlT_E_NS1_11comp_targetILNS1_3genE6ELNS1_11target_archE950ELNS1_3gpuE13ELNS1_3repE0EEENS1_52radix_sort_onesweep_histogram_config_static_selectorELNS0_4arch9wavefront6targetE1EEEvSC_
	.globl	_ZN7rocprim17ROCPRIM_400000_NS6detail17trampoline_kernelINS0_14default_configENS1_35radix_sort_onesweep_config_selectorIyNS0_10empty_typeEEEZNS1_34radix_sort_onesweep_global_offsetsIS3_Lb0EPyPS5_mNS0_19identity_decomposerEEE10hipError_tT1_T2_PT3_SE_jT4_jjP12ihipStream_tbEUlT_E_NS1_11comp_targetILNS1_3genE6ELNS1_11target_archE950ELNS1_3gpuE13ELNS1_3repE0EEENS1_52radix_sort_onesweep_histogram_config_static_selectorELNS0_4arch9wavefront6targetE1EEEvSC_
	.p2align	8
	.type	_ZN7rocprim17ROCPRIM_400000_NS6detail17trampoline_kernelINS0_14default_configENS1_35radix_sort_onesweep_config_selectorIyNS0_10empty_typeEEEZNS1_34radix_sort_onesweep_global_offsetsIS3_Lb0EPyPS5_mNS0_19identity_decomposerEEE10hipError_tT1_T2_PT3_SE_jT4_jjP12ihipStream_tbEUlT_E_NS1_11comp_targetILNS1_3genE6ELNS1_11target_archE950ELNS1_3gpuE13ELNS1_3repE0EEENS1_52radix_sort_onesweep_histogram_config_static_selectorELNS0_4arch9wavefront6targetE1EEEvSC_,@function
_ZN7rocprim17ROCPRIM_400000_NS6detail17trampoline_kernelINS0_14default_configENS1_35radix_sort_onesweep_config_selectorIyNS0_10empty_typeEEEZNS1_34radix_sort_onesweep_global_offsetsIS3_Lb0EPyPS5_mNS0_19identity_decomposerEEE10hipError_tT1_T2_PT3_SE_jT4_jjP12ihipStream_tbEUlT_E_NS1_11comp_targetILNS1_3genE6ELNS1_11target_archE950ELNS1_3gpuE13ELNS1_3repE0EEENS1_52radix_sort_onesweep_histogram_config_static_selectorELNS0_4arch9wavefront6targetE1EEEvSC_: ; @_ZN7rocprim17ROCPRIM_400000_NS6detail17trampoline_kernelINS0_14default_configENS1_35radix_sort_onesweep_config_selectorIyNS0_10empty_typeEEEZNS1_34radix_sort_onesweep_global_offsetsIS3_Lb0EPyPS5_mNS0_19identity_decomposerEEE10hipError_tT1_T2_PT3_SE_jT4_jjP12ihipStream_tbEUlT_E_NS1_11comp_targetILNS1_3genE6ELNS1_11target_archE950ELNS1_3gpuE13ELNS1_3repE0EEENS1_52radix_sort_onesweep_histogram_config_static_selectorELNS0_4arch9wavefront6targetE1EEEvSC_
; %bb.0:
	.section	.rodata,"a",@progbits
	.p2align	6, 0x0
	.amdhsa_kernel _ZN7rocprim17ROCPRIM_400000_NS6detail17trampoline_kernelINS0_14default_configENS1_35radix_sort_onesweep_config_selectorIyNS0_10empty_typeEEEZNS1_34radix_sort_onesweep_global_offsetsIS3_Lb0EPyPS5_mNS0_19identity_decomposerEEE10hipError_tT1_T2_PT3_SE_jT4_jjP12ihipStream_tbEUlT_E_NS1_11comp_targetILNS1_3genE6ELNS1_11target_archE950ELNS1_3gpuE13ELNS1_3repE0EEENS1_52radix_sort_onesweep_histogram_config_static_selectorELNS0_4arch9wavefront6targetE1EEEvSC_
		.amdhsa_group_segment_fixed_size 0
		.amdhsa_private_segment_fixed_size 0
		.amdhsa_kernarg_size 48
		.amdhsa_user_sgpr_count 6
		.amdhsa_user_sgpr_private_segment_buffer 1
		.amdhsa_user_sgpr_dispatch_ptr 0
		.amdhsa_user_sgpr_queue_ptr 0
		.amdhsa_user_sgpr_kernarg_segment_ptr 1
		.amdhsa_user_sgpr_dispatch_id 0
		.amdhsa_user_sgpr_flat_scratch_init 0
		.amdhsa_user_sgpr_kernarg_preload_length 0
		.amdhsa_user_sgpr_kernarg_preload_offset 0
		.amdhsa_user_sgpr_private_segment_size 0
		.amdhsa_uses_dynamic_stack 0
		.amdhsa_system_sgpr_private_segment_wavefront_offset 0
		.amdhsa_system_sgpr_workgroup_id_x 1
		.amdhsa_system_sgpr_workgroup_id_y 0
		.amdhsa_system_sgpr_workgroup_id_z 0
		.amdhsa_system_sgpr_workgroup_info 0
		.amdhsa_system_vgpr_workitem_id 0
		.amdhsa_next_free_vgpr 1
		.amdhsa_next_free_sgpr 0
		.amdhsa_accum_offset 4
		.amdhsa_reserve_vcc 0
		.amdhsa_reserve_flat_scratch 0
		.amdhsa_float_round_mode_32 0
		.amdhsa_float_round_mode_16_64 0
		.amdhsa_float_denorm_mode_32 3
		.amdhsa_float_denorm_mode_16_64 3
		.amdhsa_dx10_clamp 1
		.amdhsa_ieee_mode 1
		.amdhsa_fp16_overflow 0
		.amdhsa_tg_split 0
		.amdhsa_exception_fp_ieee_invalid_op 0
		.amdhsa_exception_fp_denorm_src 0
		.amdhsa_exception_fp_ieee_div_zero 0
		.amdhsa_exception_fp_ieee_overflow 0
		.amdhsa_exception_fp_ieee_underflow 0
		.amdhsa_exception_fp_ieee_inexact 0
		.amdhsa_exception_int_div_zero 0
	.end_amdhsa_kernel
	.section	.text._ZN7rocprim17ROCPRIM_400000_NS6detail17trampoline_kernelINS0_14default_configENS1_35radix_sort_onesweep_config_selectorIyNS0_10empty_typeEEEZNS1_34radix_sort_onesweep_global_offsetsIS3_Lb0EPyPS5_mNS0_19identity_decomposerEEE10hipError_tT1_T2_PT3_SE_jT4_jjP12ihipStream_tbEUlT_E_NS1_11comp_targetILNS1_3genE6ELNS1_11target_archE950ELNS1_3gpuE13ELNS1_3repE0EEENS1_52radix_sort_onesweep_histogram_config_static_selectorELNS0_4arch9wavefront6targetE1EEEvSC_,"axG",@progbits,_ZN7rocprim17ROCPRIM_400000_NS6detail17trampoline_kernelINS0_14default_configENS1_35radix_sort_onesweep_config_selectorIyNS0_10empty_typeEEEZNS1_34radix_sort_onesweep_global_offsetsIS3_Lb0EPyPS5_mNS0_19identity_decomposerEEE10hipError_tT1_T2_PT3_SE_jT4_jjP12ihipStream_tbEUlT_E_NS1_11comp_targetILNS1_3genE6ELNS1_11target_archE950ELNS1_3gpuE13ELNS1_3repE0EEENS1_52radix_sort_onesweep_histogram_config_static_selectorELNS0_4arch9wavefront6targetE1EEEvSC_,comdat
.Lfunc_end1183:
	.size	_ZN7rocprim17ROCPRIM_400000_NS6detail17trampoline_kernelINS0_14default_configENS1_35radix_sort_onesweep_config_selectorIyNS0_10empty_typeEEEZNS1_34radix_sort_onesweep_global_offsetsIS3_Lb0EPyPS5_mNS0_19identity_decomposerEEE10hipError_tT1_T2_PT3_SE_jT4_jjP12ihipStream_tbEUlT_E_NS1_11comp_targetILNS1_3genE6ELNS1_11target_archE950ELNS1_3gpuE13ELNS1_3repE0EEENS1_52radix_sort_onesweep_histogram_config_static_selectorELNS0_4arch9wavefront6targetE1EEEvSC_, .Lfunc_end1183-_ZN7rocprim17ROCPRIM_400000_NS6detail17trampoline_kernelINS0_14default_configENS1_35radix_sort_onesweep_config_selectorIyNS0_10empty_typeEEEZNS1_34radix_sort_onesweep_global_offsetsIS3_Lb0EPyPS5_mNS0_19identity_decomposerEEE10hipError_tT1_T2_PT3_SE_jT4_jjP12ihipStream_tbEUlT_E_NS1_11comp_targetILNS1_3genE6ELNS1_11target_archE950ELNS1_3gpuE13ELNS1_3repE0EEENS1_52radix_sort_onesweep_histogram_config_static_selectorELNS0_4arch9wavefront6targetE1EEEvSC_
                                        ; -- End function
	.section	.AMDGPU.csdata,"",@progbits
; Kernel info:
; codeLenInByte = 0
; NumSgprs: 4
; NumVgprs: 0
; NumAgprs: 0
; TotalNumVgprs: 0
; ScratchSize: 0
; MemoryBound: 0
; FloatMode: 240
; IeeeMode: 1
; LDSByteSize: 0 bytes/workgroup (compile time only)
; SGPRBlocks: 0
; VGPRBlocks: 0
; NumSGPRsForWavesPerEU: 4
; NumVGPRsForWavesPerEU: 1
; AccumOffset: 4
; Occupancy: 8
; WaveLimiterHint : 0
; COMPUTE_PGM_RSRC2:SCRATCH_EN: 0
; COMPUTE_PGM_RSRC2:USER_SGPR: 6
; COMPUTE_PGM_RSRC2:TRAP_HANDLER: 0
; COMPUTE_PGM_RSRC2:TGID_X_EN: 1
; COMPUTE_PGM_RSRC2:TGID_Y_EN: 0
; COMPUTE_PGM_RSRC2:TGID_Z_EN: 0
; COMPUTE_PGM_RSRC2:TIDIG_COMP_CNT: 0
; COMPUTE_PGM_RSRC3_GFX90A:ACCUM_OFFSET: 0
; COMPUTE_PGM_RSRC3_GFX90A:TG_SPLIT: 0
	.section	.text._ZN7rocprim17ROCPRIM_400000_NS6detail17trampoline_kernelINS0_14default_configENS1_35radix_sort_onesweep_config_selectorIyNS0_10empty_typeEEEZNS1_34radix_sort_onesweep_global_offsetsIS3_Lb0EPyPS5_mNS0_19identity_decomposerEEE10hipError_tT1_T2_PT3_SE_jT4_jjP12ihipStream_tbEUlT_E_NS1_11comp_targetILNS1_3genE5ELNS1_11target_archE942ELNS1_3gpuE9ELNS1_3repE0EEENS1_52radix_sort_onesweep_histogram_config_static_selectorELNS0_4arch9wavefront6targetE1EEEvSC_,"axG",@progbits,_ZN7rocprim17ROCPRIM_400000_NS6detail17trampoline_kernelINS0_14default_configENS1_35radix_sort_onesweep_config_selectorIyNS0_10empty_typeEEEZNS1_34radix_sort_onesweep_global_offsetsIS3_Lb0EPyPS5_mNS0_19identity_decomposerEEE10hipError_tT1_T2_PT3_SE_jT4_jjP12ihipStream_tbEUlT_E_NS1_11comp_targetILNS1_3genE5ELNS1_11target_archE942ELNS1_3gpuE9ELNS1_3repE0EEENS1_52radix_sort_onesweep_histogram_config_static_selectorELNS0_4arch9wavefront6targetE1EEEvSC_,comdat
	.protected	_ZN7rocprim17ROCPRIM_400000_NS6detail17trampoline_kernelINS0_14default_configENS1_35radix_sort_onesweep_config_selectorIyNS0_10empty_typeEEEZNS1_34radix_sort_onesweep_global_offsetsIS3_Lb0EPyPS5_mNS0_19identity_decomposerEEE10hipError_tT1_T2_PT3_SE_jT4_jjP12ihipStream_tbEUlT_E_NS1_11comp_targetILNS1_3genE5ELNS1_11target_archE942ELNS1_3gpuE9ELNS1_3repE0EEENS1_52radix_sort_onesweep_histogram_config_static_selectorELNS0_4arch9wavefront6targetE1EEEvSC_ ; -- Begin function _ZN7rocprim17ROCPRIM_400000_NS6detail17trampoline_kernelINS0_14default_configENS1_35radix_sort_onesweep_config_selectorIyNS0_10empty_typeEEEZNS1_34radix_sort_onesweep_global_offsetsIS3_Lb0EPyPS5_mNS0_19identity_decomposerEEE10hipError_tT1_T2_PT3_SE_jT4_jjP12ihipStream_tbEUlT_E_NS1_11comp_targetILNS1_3genE5ELNS1_11target_archE942ELNS1_3gpuE9ELNS1_3repE0EEENS1_52radix_sort_onesweep_histogram_config_static_selectorELNS0_4arch9wavefront6targetE1EEEvSC_
	.globl	_ZN7rocprim17ROCPRIM_400000_NS6detail17trampoline_kernelINS0_14default_configENS1_35radix_sort_onesweep_config_selectorIyNS0_10empty_typeEEEZNS1_34radix_sort_onesweep_global_offsetsIS3_Lb0EPyPS5_mNS0_19identity_decomposerEEE10hipError_tT1_T2_PT3_SE_jT4_jjP12ihipStream_tbEUlT_E_NS1_11comp_targetILNS1_3genE5ELNS1_11target_archE942ELNS1_3gpuE9ELNS1_3repE0EEENS1_52radix_sort_onesweep_histogram_config_static_selectorELNS0_4arch9wavefront6targetE1EEEvSC_
	.p2align	8
	.type	_ZN7rocprim17ROCPRIM_400000_NS6detail17trampoline_kernelINS0_14default_configENS1_35radix_sort_onesweep_config_selectorIyNS0_10empty_typeEEEZNS1_34radix_sort_onesweep_global_offsetsIS3_Lb0EPyPS5_mNS0_19identity_decomposerEEE10hipError_tT1_T2_PT3_SE_jT4_jjP12ihipStream_tbEUlT_E_NS1_11comp_targetILNS1_3genE5ELNS1_11target_archE942ELNS1_3gpuE9ELNS1_3repE0EEENS1_52radix_sort_onesweep_histogram_config_static_selectorELNS0_4arch9wavefront6targetE1EEEvSC_,@function
_ZN7rocprim17ROCPRIM_400000_NS6detail17trampoline_kernelINS0_14default_configENS1_35radix_sort_onesweep_config_selectorIyNS0_10empty_typeEEEZNS1_34radix_sort_onesweep_global_offsetsIS3_Lb0EPyPS5_mNS0_19identity_decomposerEEE10hipError_tT1_T2_PT3_SE_jT4_jjP12ihipStream_tbEUlT_E_NS1_11comp_targetILNS1_3genE5ELNS1_11target_archE942ELNS1_3gpuE9ELNS1_3repE0EEENS1_52radix_sort_onesweep_histogram_config_static_selectorELNS0_4arch9wavefront6targetE1EEEvSC_: ; @_ZN7rocprim17ROCPRIM_400000_NS6detail17trampoline_kernelINS0_14default_configENS1_35radix_sort_onesweep_config_selectorIyNS0_10empty_typeEEEZNS1_34radix_sort_onesweep_global_offsetsIS3_Lb0EPyPS5_mNS0_19identity_decomposerEEE10hipError_tT1_T2_PT3_SE_jT4_jjP12ihipStream_tbEUlT_E_NS1_11comp_targetILNS1_3genE5ELNS1_11target_archE942ELNS1_3gpuE9ELNS1_3repE0EEENS1_52radix_sort_onesweep_histogram_config_static_selectorELNS0_4arch9wavefront6targetE1EEEvSC_
; %bb.0:
	.section	.rodata,"a",@progbits
	.p2align	6, 0x0
	.amdhsa_kernel _ZN7rocprim17ROCPRIM_400000_NS6detail17trampoline_kernelINS0_14default_configENS1_35radix_sort_onesweep_config_selectorIyNS0_10empty_typeEEEZNS1_34radix_sort_onesweep_global_offsetsIS3_Lb0EPyPS5_mNS0_19identity_decomposerEEE10hipError_tT1_T2_PT3_SE_jT4_jjP12ihipStream_tbEUlT_E_NS1_11comp_targetILNS1_3genE5ELNS1_11target_archE942ELNS1_3gpuE9ELNS1_3repE0EEENS1_52radix_sort_onesweep_histogram_config_static_selectorELNS0_4arch9wavefront6targetE1EEEvSC_
		.amdhsa_group_segment_fixed_size 0
		.amdhsa_private_segment_fixed_size 0
		.amdhsa_kernarg_size 48
		.amdhsa_user_sgpr_count 6
		.amdhsa_user_sgpr_private_segment_buffer 1
		.amdhsa_user_sgpr_dispatch_ptr 0
		.amdhsa_user_sgpr_queue_ptr 0
		.amdhsa_user_sgpr_kernarg_segment_ptr 1
		.amdhsa_user_sgpr_dispatch_id 0
		.amdhsa_user_sgpr_flat_scratch_init 0
		.amdhsa_user_sgpr_kernarg_preload_length 0
		.amdhsa_user_sgpr_kernarg_preload_offset 0
		.amdhsa_user_sgpr_private_segment_size 0
		.amdhsa_uses_dynamic_stack 0
		.amdhsa_system_sgpr_private_segment_wavefront_offset 0
		.amdhsa_system_sgpr_workgroup_id_x 1
		.amdhsa_system_sgpr_workgroup_id_y 0
		.amdhsa_system_sgpr_workgroup_id_z 0
		.amdhsa_system_sgpr_workgroup_info 0
		.amdhsa_system_vgpr_workitem_id 0
		.amdhsa_next_free_vgpr 1
		.amdhsa_next_free_sgpr 0
		.amdhsa_accum_offset 4
		.amdhsa_reserve_vcc 0
		.amdhsa_reserve_flat_scratch 0
		.amdhsa_float_round_mode_32 0
		.amdhsa_float_round_mode_16_64 0
		.amdhsa_float_denorm_mode_32 3
		.amdhsa_float_denorm_mode_16_64 3
		.amdhsa_dx10_clamp 1
		.amdhsa_ieee_mode 1
		.amdhsa_fp16_overflow 0
		.amdhsa_tg_split 0
		.amdhsa_exception_fp_ieee_invalid_op 0
		.amdhsa_exception_fp_denorm_src 0
		.amdhsa_exception_fp_ieee_div_zero 0
		.amdhsa_exception_fp_ieee_overflow 0
		.amdhsa_exception_fp_ieee_underflow 0
		.amdhsa_exception_fp_ieee_inexact 0
		.amdhsa_exception_int_div_zero 0
	.end_amdhsa_kernel
	.section	.text._ZN7rocprim17ROCPRIM_400000_NS6detail17trampoline_kernelINS0_14default_configENS1_35radix_sort_onesweep_config_selectorIyNS0_10empty_typeEEEZNS1_34radix_sort_onesweep_global_offsetsIS3_Lb0EPyPS5_mNS0_19identity_decomposerEEE10hipError_tT1_T2_PT3_SE_jT4_jjP12ihipStream_tbEUlT_E_NS1_11comp_targetILNS1_3genE5ELNS1_11target_archE942ELNS1_3gpuE9ELNS1_3repE0EEENS1_52radix_sort_onesweep_histogram_config_static_selectorELNS0_4arch9wavefront6targetE1EEEvSC_,"axG",@progbits,_ZN7rocprim17ROCPRIM_400000_NS6detail17trampoline_kernelINS0_14default_configENS1_35radix_sort_onesweep_config_selectorIyNS0_10empty_typeEEEZNS1_34radix_sort_onesweep_global_offsetsIS3_Lb0EPyPS5_mNS0_19identity_decomposerEEE10hipError_tT1_T2_PT3_SE_jT4_jjP12ihipStream_tbEUlT_E_NS1_11comp_targetILNS1_3genE5ELNS1_11target_archE942ELNS1_3gpuE9ELNS1_3repE0EEENS1_52radix_sort_onesweep_histogram_config_static_selectorELNS0_4arch9wavefront6targetE1EEEvSC_,comdat
.Lfunc_end1184:
	.size	_ZN7rocprim17ROCPRIM_400000_NS6detail17trampoline_kernelINS0_14default_configENS1_35radix_sort_onesweep_config_selectorIyNS0_10empty_typeEEEZNS1_34radix_sort_onesweep_global_offsetsIS3_Lb0EPyPS5_mNS0_19identity_decomposerEEE10hipError_tT1_T2_PT3_SE_jT4_jjP12ihipStream_tbEUlT_E_NS1_11comp_targetILNS1_3genE5ELNS1_11target_archE942ELNS1_3gpuE9ELNS1_3repE0EEENS1_52radix_sort_onesweep_histogram_config_static_selectorELNS0_4arch9wavefront6targetE1EEEvSC_, .Lfunc_end1184-_ZN7rocprim17ROCPRIM_400000_NS6detail17trampoline_kernelINS0_14default_configENS1_35radix_sort_onesweep_config_selectorIyNS0_10empty_typeEEEZNS1_34radix_sort_onesweep_global_offsetsIS3_Lb0EPyPS5_mNS0_19identity_decomposerEEE10hipError_tT1_T2_PT3_SE_jT4_jjP12ihipStream_tbEUlT_E_NS1_11comp_targetILNS1_3genE5ELNS1_11target_archE942ELNS1_3gpuE9ELNS1_3repE0EEENS1_52radix_sort_onesweep_histogram_config_static_selectorELNS0_4arch9wavefront6targetE1EEEvSC_
                                        ; -- End function
	.section	.AMDGPU.csdata,"",@progbits
; Kernel info:
; codeLenInByte = 0
; NumSgprs: 4
; NumVgprs: 0
; NumAgprs: 0
; TotalNumVgprs: 0
; ScratchSize: 0
; MemoryBound: 0
; FloatMode: 240
; IeeeMode: 1
; LDSByteSize: 0 bytes/workgroup (compile time only)
; SGPRBlocks: 0
; VGPRBlocks: 0
; NumSGPRsForWavesPerEU: 4
; NumVGPRsForWavesPerEU: 1
; AccumOffset: 4
; Occupancy: 8
; WaveLimiterHint : 0
; COMPUTE_PGM_RSRC2:SCRATCH_EN: 0
; COMPUTE_PGM_RSRC2:USER_SGPR: 6
; COMPUTE_PGM_RSRC2:TRAP_HANDLER: 0
; COMPUTE_PGM_RSRC2:TGID_X_EN: 1
; COMPUTE_PGM_RSRC2:TGID_Y_EN: 0
; COMPUTE_PGM_RSRC2:TGID_Z_EN: 0
; COMPUTE_PGM_RSRC2:TIDIG_COMP_CNT: 0
; COMPUTE_PGM_RSRC3_GFX90A:ACCUM_OFFSET: 0
; COMPUTE_PGM_RSRC3_GFX90A:TG_SPLIT: 0
	.section	.text._ZN7rocprim17ROCPRIM_400000_NS6detail17trampoline_kernelINS0_14default_configENS1_35radix_sort_onesweep_config_selectorIyNS0_10empty_typeEEEZNS1_34radix_sort_onesweep_global_offsetsIS3_Lb0EPyPS5_mNS0_19identity_decomposerEEE10hipError_tT1_T2_PT3_SE_jT4_jjP12ihipStream_tbEUlT_E_NS1_11comp_targetILNS1_3genE2ELNS1_11target_archE906ELNS1_3gpuE6ELNS1_3repE0EEENS1_52radix_sort_onesweep_histogram_config_static_selectorELNS0_4arch9wavefront6targetE1EEEvSC_,"axG",@progbits,_ZN7rocprim17ROCPRIM_400000_NS6detail17trampoline_kernelINS0_14default_configENS1_35radix_sort_onesweep_config_selectorIyNS0_10empty_typeEEEZNS1_34radix_sort_onesweep_global_offsetsIS3_Lb0EPyPS5_mNS0_19identity_decomposerEEE10hipError_tT1_T2_PT3_SE_jT4_jjP12ihipStream_tbEUlT_E_NS1_11comp_targetILNS1_3genE2ELNS1_11target_archE906ELNS1_3gpuE6ELNS1_3repE0EEENS1_52radix_sort_onesweep_histogram_config_static_selectorELNS0_4arch9wavefront6targetE1EEEvSC_,comdat
	.protected	_ZN7rocprim17ROCPRIM_400000_NS6detail17trampoline_kernelINS0_14default_configENS1_35radix_sort_onesweep_config_selectorIyNS0_10empty_typeEEEZNS1_34radix_sort_onesweep_global_offsetsIS3_Lb0EPyPS5_mNS0_19identity_decomposerEEE10hipError_tT1_T2_PT3_SE_jT4_jjP12ihipStream_tbEUlT_E_NS1_11comp_targetILNS1_3genE2ELNS1_11target_archE906ELNS1_3gpuE6ELNS1_3repE0EEENS1_52radix_sort_onesweep_histogram_config_static_selectorELNS0_4arch9wavefront6targetE1EEEvSC_ ; -- Begin function _ZN7rocprim17ROCPRIM_400000_NS6detail17trampoline_kernelINS0_14default_configENS1_35radix_sort_onesweep_config_selectorIyNS0_10empty_typeEEEZNS1_34radix_sort_onesweep_global_offsetsIS3_Lb0EPyPS5_mNS0_19identity_decomposerEEE10hipError_tT1_T2_PT3_SE_jT4_jjP12ihipStream_tbEUlT_E_NS1_11comp_targetILNS1_3genE2ELNS1_11target_archE906ELNS1_3gpuE6ELNS1_3repE0EEENS1_52radix_sort_onesweep_histogram_config_static_selectorELNS0_4arch9wavefront6targetE1EEEvSC_
	.globl	_ZN7rocprim17ROCPRIM_400000_NS6detail17trampoline_kernelINS0_14default_configENS1_35radix_sort_onesweep_config_selectorIyNS0_10empty_typeEEEZNS1_34radix_sort_onesweep_global_offsetsIS3_Lb0EPyPS5_mNS0_19identity_decomposerEEE10hipError_tT1_T2_PT3_SE_jT4_jjP12ihipStream_tbEUlT_E_NS1_11comp_targetILNS1_3genE2ELNS1_11target_archE906ELNS1_3gpuE6ELNS1_3repE0EEENS1_52radix_sort_onesweep_histogram_config_static_selectorELNS0_4arch9wavefront6targetE1EEEvSC_
	.p2align	8
	.type	_ZN7rocprim17ROCPRIM_400000_NS6detail17trampoline_kernelINS0_14default_configENS1_35radix_sort_onesweep_config_selectorIyNS0_10empty_typeEEEZNS1_34radix_sort_onesweep_global_offsetsIS3_Lb0EPyPS5_mNS0_19identity_decomposerEEE10hipError_tT1_T2_PT3_SE_jT4_jjP12ihipStream_tbEUlT_E_NS1_11comp_targetILNS1_3genE2ELNS1_11target_archE906ELNS1_3gpuE6ELNS1_3repE0EEENS1_52radix_sort_onesweep_histogram_config_static_selectorELNS0_4arch9wavefront6targetE1EEEvSC_,@function
_ZN7rocprim17ROCPRIM_400000_NS6detail17trampoline_kernelINS0_14default_configENS1_35radix_sort_onesweep_config_selectorIyNS0_10empty_typeEEEZNS1_34radix_sort_onesweep_global_offsetsIS3_Lb0EPyPS5_mNS0_19identity_decomposerEEE10hipError_tT1_T2_PT3_SE_jT4_jjP12ihipStream_tbEUlT_E_NS1_11comp_targetILNS1_3genE2ELNS1_11target_archE906ELNS1_3gpuE6ELNS1_3repE0EEENS1_52radix_sort_onesweep_histogram_config_static_selectorELNS0_4arch9wavefront6targetE1EEEvSC_: ; @_ZN7rocprim17ROCPRIM_400000_NS6detail17trampoline_kernelINS0_14default_configENS1_35radix_sort_onesweep_config_selectorIyNS0_10empty_typeEEEZNS1_34radix_sort_onesweep_global_offsetsIS3_Lb0EPyPS5_mNS0_19identity_decomposerEEE10hipError_tT1_T2_PT3_SE_jT4_jjP12ihipStream_tbEUlT_E_NS1_11comp_targetILNS1_3genE2ELNS1_11target_archE906ELNS1_3gpuE6ELNS1_3repE0EEENS1_52radix_sort_onesweep_histogram_config_static_selectorELNS0_4arch9wavefront6targetE1EEEvSC_
; %bb.0:
	.section	.rodata,"a",@progbits
	.p2align	6, 0x0
	.amdhsa_kernel _ZN7rocprim17ROCPRIM_400000_NS6detail17trampoline_kernelINS0_14default_configENS1_35radix_sort_onesweep_config_selectorIyNS0_10empty_typeEEEZNS1_34radix_sort_onesweep_global_offsetsIS3_Lb0EPyPS5_mNS0_19identity_decomposerEEE10hipError_tT1_T2_PT3_SE_jT4_jjP12ihipStream_tbEUlT_E_NS1_11comp_targetILNS1_3genE2ELNS1_11target_archE906ELNS1_3gpuE6ELNS1_3repE0EEENS1_52radix_sort_onesweep_histogram_config_static_selectorELNS0_4arch9wavefront6targetE1EEEvSC_
		.amdhsa_group_segment_fixed_size 0
		.amdhsa_private_segment_fixed_size 0
		.amdhsa_kernarg_size 48
		.amdhsa_user_sgpr_count 6
		.amdhsa_user_sgpr_private_segment_buffer 1
		.amdhsa_user_sgpr_dispatch_ptr 0
		.amdhsa_user_sgpr_queue_ptr 0
		.amdhsa_user_sgpr_kernarg_segment_ptr 1
		.amdhsa_user_sgpr_dispatch_id 0
		.amdhsa_user_sgpr_flat_scratch_init 0
		.amdhsa_user_sgpr_kernarg_preload_length 0
		.amdhsa_user_sgpr_kernarg_preload_offset 0
		.amdhsa_user_sgpr_private_segment_size 0
		.amdhsa_uses_dynamic_stack 0
		.amdhsa_system_sgpr_private_segment_wavefront_offset 0
		.amdhsa_system_sgpr_workgroup_id_x 1
		.amdhsa_system_sgpr_workgroup_id_y 0
		.amdhsa_system_sgpr_workgroup_id_z 0
		.amdhsa_system_sgpr_workgroup_info 0
		.amdhsa_system_vgpr_workitem_id 0
		.amdhsa_next_free_vgpr 1
		.amdhsa_next_free_sgpr 0
		.amdhsa_accum_offset 4
		.amdhsa_reserve_vcc 0
		.amdhsa_reserve_flat_scratch 0
		.amdhsa_float_round_mode_32 0
		.amdhsa_float_round_mode_16_64 0
		.amdhsa_float_denorm_mode_32 3
		.amdhsa_float_denorm_mode_16_64 3
		.amdhsa_dx10_clamp 1
		.amdhsa_ieee_mode 1
		.amdhsa_fp16_overflow 0
		.amdhsa_tg_split 0
		.amdhsa_exception_fp_ieee_invalid_op 0
		.amdhsa_exception_fp_denorm_src 0
		.amdhsa_exception_fp_ieee_div_zero 0
		.amdhsa_exception_fp_ieee_overflow 0
		.amdhsa_exception_fp_ieee_underflow 0
		.amdhsa_exception_fp_ieee_inexact 0
		.amdhsa_exception_int_div_zero 0
	.end_amdhsa_kernel
	.section	.text._ZN7rocprim17ROCPRIM_400000_NS6detail17trampoline_kernelINS0_14default_configENS1_35radix_sort_onesweep_config_selectorIyNS0_10empty_typeEEEZNS1_34radix_sort_onesweep_global_offsetsIS3_Lb0EPyPS5_mNS0_19identity_decomposerEEE10hipError_tT1_T2_PT3_SE_jT4_jjP12ihipStream_tbEUlT_E_NS1_11comp_targetILNS1_3genE2ELNS1_11target_archE906ELNS1_3gpuE6ELNS1_3repE0EEENS1_52radix_sort_onesweep_histogram_config_static_selectorELNS0_4arch9wavefront6targetE1EEEvSC_,"axG",@progbits,_ZN7rocprim17ROCPRIM_400000_NS6detail17trampoline_kernelINS0_14default_configENS1_35radix_sort_onesweep_config_selectorIyNS0_10empty_typeEEEZNS1_34radix_sort_onesweep_global_offsetsIS3_Lb0EPyPS5_mNS0_19identity_decomposerEEE10hipError_tT1_T2_PT3_SE_jT4_jjP12ihipStream_tbEUlT_E_NS1_11comp_targetILNS1_3genE2ELNS1_11target_archE906ELNS1_3gpuE6ELNS1_3repE0EEENS1_52radix_sort_onesweep_histogram_config_static_selectorELNS0_4arch9wavefront6targetE1EEEvSC_,comdat
.Lfunc_end1185:
	.size	_ZN7rocprim17ROCPRIM_400000_NS6detail17trampoline_kernelINS0_14default_configENS1_35radix_sort_onesweep_config_selectorIyNS0_10empty_typeEEEZNS1_34radix_sort_onesweep_global_offsetsIS3_Lb0EPyPS5_mNS0_19identity_decomposerEEE10hipError_tT1_T2_PT3_SE_jT4_jjP12ihipStream_tbEUlT_E_NS1_11comp_targetILNS1_3genE2ELNS1_11target_archE906ELNS1_3gpuE6ELNS1_3repE0EEENS1_52radix_sort_onesweep_histogram_config_static_selectorELNS0_4arch9wavefront6targetE1EEEvSC_, .Lfunc_end1185-_ZN7rocprim17ROCPRIM_400000_NS6detail17trampoline_kernelINS0_14default_configENS1_35radix_sort_onesweep_config_selectorIyNS0_10empty_typeEEEZNS1_34radix_sort_onesweep_global_offsetsIS3_Lb0EPyPS5_mNS0_19identity_decomposerEEE10hipError_tT1_T2_PT3_SE_jT4_jjP12ihipStream_tbEUlT_E_NS1_11comp_targetILNS1_3genE2ELNS1_11target_archE906ELNS1_3gpuE6ELNS1_3repE0EEENS1_52radix_sort_onesweep_histogram_config_static_selectorELNS0_4arch9wavefront6targetE1EEEvSC_
                                        ; -- End function
	.section	.AMDGPU.csdata,"",@progbits
; Kernel info:
; codeLenInByte = 0
; NumSgprs: 4
; NumVgprs: 0
; NumAgprs: 0
; TotalNumVgprs: 0
; ScratchSize: 0
; MemoryBound: 0
; FloatMode: 240
; IeeeMode: 1
; LDSByteSize: 0 bytes/workgroup (compile time only)
; SGPRBlocks: 0
; VGPRBlocks: 0
; NumSGPRsForWavesPerEU: 4
; NumVGPRsForWavesPerEU: 1
; AccumOffset: 4
; Occupancy: 8
; WaveLimiterHint : 0
; COMPUTE_PGM_RSRC2:SCRATCH_EN: 0
; COMPUTE_PGM_RSRC2:USER_SGPR: 6
; COMPUTE_PGM_RSRC2:TRAP_HANDLER: 0
; COMPUTE_PGM_RSRC2:TGID_X_EN: 1
; COMPUTE_PGM_RSRC2:TGID_Y_EN: 0
; COMPUTE_PGM_RSRC2:TGID_Z_EN: 0
; COMPUTE_PGM_RSRC2:TIDIG_COMP_CNT: 0
; COMPUTE_PGM_RSRC3_GFX90A:ACCUM_OFFSET: 0
; COMPUTE_PGM_RSRC3_GFX90A:TG_SPLIT: 0
	.section	.text._ZN7rocprim17ROCPRIM_400000_NS6detail17trampoline_kernelINS0_14default_configENS1_35radix_sort_onesweep_config_selectorIyNS0_10empty_typeEEEZNS1_34radix_sort_onesweep_global_offsetsIS3_Lb0EPyPS5_mNS0_19identity_decomposerEEE10hipError_tT1_T2_PT3_SE_jT4_jjP12ihipStream_tbEUlT_E_NS1_11comp_targetILNS1_3genE4ELNS1_11target_archE910ELNS1_3gpuE8ELNS1_3repE0EEENS1_52radix_sort_onesweep_histogram_config_static_selectorELNS0_4arch9wavefront6targetE1EEEvSC_,"axG",@progbits,_ZN7rocprim17ROCPRIM_400000_NS6detail17trampoline_kernelINS0_14default_configENS1_35radix_sort_onesweep_config_selectorIyNS0_10empty_typeEEEZNS1_34radix_sort_onesweep_global_offsetsIS3_Lb0EPyPS5_mNS0_19identity_decomposerEEE10hipError_tT1_T2_PT3_SE_jT4_jjP12ihipStream_tbEUlT_E_NS1_11comp_targetILNS1_3genE4ELNS1_11target_archE910ELNS1_3gpuE8ELNS1_3repE0EEENS1_52radix_sort_onesweep_histogram_config_static_selectorELNS0_4arch9wavefront6targetE1EEEvSC_,comdat
	.protected	_ZN7rocprim17ROCPRIM_400000_NS6detail17trampoline_kernelINS0_14default_configENS1_35radix_sort_onesweep_config_selectorIyNS0_10empty_typeEEEZNS1_34radix_sort_onesweep_global_offsetsIS3_Lb0EPyPS5_mNS0_19identity_decomposerEEE10hipError_tT1_T2_PT3_SE_jT4_jjP12ihipStream_tbEUlT_E_NS1_11comp_targetILNS1_3genE4ELNS1_11target_archE910ELNS1_3gpuE8ELNS1_3repE0EEENS1_52radix_sort_onesweep_histogram_config_static_selectorELNS0_4arch9wavefront6targetE1EEEvSC_ ; -- Begin function _ZN7rocprim17ROCPRIM_400000_NS6detail17trampoline_kernelINS0_14default_configENS1_35radix_sort_onesweep_config_selectorIyNS0_10empty_typeEEEZNS1_34radix_sort_onesweep_global_offsetsIS3_Lb0EPyPS5_mNS0_19identity_decomposerEEE10hipError_tT1_T2_PT3_SE_jT4_jjP12ihipStream_tbEUlT_E_NS1_11comp_targetILNS1_3genE4ELNS1_11target_archE910ELNS1_3gpuE8ELNS1_3repE0EEENS1_52radix_sort_onesweep_histogram_config_static_selectorELNS0_4arch9wavefront6targetE1EEEvSC_
	.globl	_ZN7rocprim17ROCPRIM_400000_NS6detail17trampoline_kernelINS0_14default_configENS1_35radix_sort_onesweep_config_selectorIyNS0_10empty_typeEEEZNS1_34radix_sort_onesweep_global_offsetsIS3_Lb0EPyPS5_mNS0_19identity_decomposerEEE10hipError_tT1_T2_PT3_SE_jT4_jjP12ihipStream_tbEUlT_E_NS1_11comp_targetILNS1_3genE4ELNS1_11target_archE910ELNS1_3gpuE8ELNS1_3repE0EEENS1_52radix_sort_onesweep_histogram_config_static_selectorELNS0_4arch9wavefront6targetE1EEEvSC_
	.p2align	8
	.type	_ZN7rocprim17ROCPRIM_400000_NS6detail17trampoline_kernelINS0_14default_configENS1_35radix_sort_onesweep_config_selectorIyNS0_10empty_typeEEEZNS1_34radix_sort_onesweep_global_offsetsIS3_Lb0EPyPS5_mNS0_19identity_decomposerEEE10hipError_tT1_T2_PT3_SE_jT4_jjP12ihipStream_tbEUlT_E_NS1_11comp_targetILNS1_3genE4ELNS1_11target_archE910ELNS1_3gpuE8ELNS1_3repE0EEENS1_52radix_sort_onesweep_histogram_config_static_selectorELNS0_4arch9wavefront6targetE1EEEvSC_,@function
_ZN7rocprim17ROCPRIM_400000_NS6detail17trampoline_kernelINS0_14default_configENS1_35radix_sort_onesweep_config_selectorIyNS0_10empty_typeEEEZNS1_34radix_sort_onesweep_global_offsetsIS3_Lb0EPyPS5_mNS0_19identity_decomposerEEE10hipError_tT1_T2_PT3_SE_jT4_jjP12ihipStream_tbEUlT_E_NS1_11comp_targetILNS1_3genE4ELNS1_11target_archE910ELNS1_3gpuE8ELNS1_3repE0EEENS1_52radix_sort_onesweep_histogram_config_static_selectorELNS0_4arch9wavefront6targetE1EEEvSC_: ; @_ZN7rocprim17ROCPRIM_400000_NS6detail17trampoline_kernelINS0_14default_configENS1_35radix_sort_onesweep_config_selectorIyNS0_10empty_typeEEEZNS1_34radix_sort_onesweep_global_offsetsIS3_Lb0EPyPS5_mNS0_19identity_decomposerEEE10hipError_tT1_T2_PT3_SE_jT4_jjP12ihipStream_tbEUlT_E_NS1_11comp_targetILNS1_3genE4ELNS1_11target_archE910ELNS1_3gpuE8ELNS1_3repE0EEENS1_52radix_sort_onesweep_histogram_config_static_selectorELNS0_4arch9wavefront6targetE1EEEvSC_
; %bb.0:
	s_load_dwordx2 s[10:11], s[4:5], 0x18
	s_load_dwordx4 s[0:3], s[4:5], 0x0
	s_load_dwordx2 s[8:9], s[4:5], 0x24
	s_mov_b32 s7, 0
	v_pk_mov_b32 v[2:3], s[6:7], s[6:7] op_sel:[0,1]
	s_lshl_b64 s[6:7], s[6:7], 16
	s_waitcnt lgkmcnt(0)
	v_cmp_le_u64_e32 vcc, s[10:11], v[2:3]
	s_add_u32 s6, s0, s6
	s_addc_u32 s7, s1, s7
	s_mov_b64 s[0:1], -1
	s_cbranch_vccz .LBB1186_319
; %bb.1:
	s_load_dword s0, s[4:5], 0x10
	s_lshl_b32 s1, s10, 13
                                        ; implicit-def: $vgpr16_vgpr17
	s_waitcnt lgkmcnt(0)
	s_sub_i32 s16, s0, s1
	v_cmp_gt_u32_e32 vcc, s16, v0
	s_and_saveexec_b64 s[0:1], vcc
	s_cbranch_execz .LBB1186_3
; %bb.2:
	v_lshlrev_b32_e32 v1, 3, v0
	global_load_dwordx2 v[16:17], v1, s[6:7]
.LBB1186_3:
	s_or_b64 exec, exec, s[0:1]
	v_or_b32_e32 v24, 0x400, v0
	v_cmp_gt_u32_e32 vcc, s16, v24
                                        ; implicit-def: $vgpr14_vgpr15
	s_and_saveexec_b64 s[0:1], vcc
	s_cbranch_execz .LBB1186_5
; %bb.4:
	v_lshlrev_b32_e32 v1, 3, v24
	global_load_dwordx2 v[14:15], v1, s[6:7]
.LBB1186_5:
	s_or_b64 exec, exec, s[0:1]
	v_or_b32_e32 v23, 0x800, v0
	v_cmp_gt_u32_e32 vcc, s16, v23
                                        ; implicit-def: $vgpr12_vgpr13
	s_and_saveexec_b64 s[0:1], vcc
	s_cbranch_execz .LBB1186_7
; %bb.6:
	v_lshlrev_b32_e32 v1, 3, v23
	global_load_dwordx2 v[12:13], v1, s[6:7]
.LBB1186_7:
	s_or_b64 exec, exec, s[0:1]
	v_or_b32_e32 v22, 0xc00, v0
	v_cmp_gt_u32_e32 vcc, s16, v22
                                        ; implicit-def: $vgpr10_vgpr11
	s_and_saveexec_b64 s[0:1], vcc
	s_cbranch_execz .LBB1186_9
; %bb.8:
	v_lshlrev_b32_e32 v1, 3, v22
	global_load_dwordx2 v[10:11], v1, s[6:7]
.LBB1186_9:
	s_or_b64 exec, exec, s[0:1]
	v_or_b32_e32 v21, 0x1000, v0
	v_cmp_gt_u32_e32 vcc, s16, v21
                                        ; implicit-def: $vgpr8_vgpr9
	s_and_saveexec_b64 s[0:1], vcc
	s_cbranch_execz .LBB1186_11
; %bb.10:
	v_lshlrev_b32_e32 v1, 3, v21
	global_load_dwordx2 v[8:9], v1, s[6:7]
.LBB1186_11:
	s_or_b64 exec, exec, s[0:1]
	v_or_b32_e32 v20, 0x1400, v0
	v_cmp_gt_u32_e32 vcc, s16, v20
                                        ; implicit-def: $vgpr6_vgpr7
	s_and_saveexec_b64 s[0:1], vcc
	s_cbranch_execz .LBB1186_13
; %bb.12:
	v_lshlrev_b32_e32 v1, 3, v20
	global_load_dwordx2 v[6:7], v1, s[6:7]
.LBB1186_13:
	s_or_b64 exec, exec, s[0:1]
	v_or_b32_e32 v19, 0x1800, v0
	v_cmp_gt_u32_e32 vcc, s16, v19
                                        ; implicit-def: $vgpr4_vgpr5
	s_and_saveexec_b64 s[0:1], vcc
	s_cbranch_execz .LBB1186_15
; %bb.14:
	v_lshlrev_b32_e32 v1, 3, v19
	global_load_dwordx2 v[4:5], v1, s[6:7]
.LBB1186_15:
	s_or_b64 exec, exec, s[0:1]
	v_or_b32_e32 v18, 0x1c00, v0
	v_cmp_gt_u32_e32 vcc, s16, v18
                                        ; implicit-def: $vgpr2_vgpr3
	s_and_saveexec_b64 s[0:1], vcc
	s_cbranch_execz .LBB1186_17
; %bb.16:
	v_lshlrev_b32_e32 v1, 3, v18
	global_load_dwordx2 v[2:3], v1, s[6:7]
.LBB1186_17:
	s_or_b64 exec, exec, s[0:1]
	s_cmp_le_u32 s9, s8
	s_cselect_b64 s[4:5], -1, 0
	v_cmp_le_u32_e32 vcc, s16, v0
	s_and_b64 s[0:1], s[4:5], exec
	v_lshlrev_b32_e32 v25, 2, v0
	v_mov_b32_e32 v26, 0
	s_cselect_b32 s17, 8, 10
	s_or_b64 s[0:1], s[4:5], vcc
	v_and_b32_e32 v1, 3, v0
	ds_write2st64_b32 v25, v26, v26 offset1:16
	ds_write2st64_b32 v25, v26, v26 offset0:32 offset1:48
	ds_write2st64_b32 v25, v26, v26 offset0:64 offset1:80
	;; [unrolled: 1-line block ×3, first 2 shown]
	s_xor_b64 s[10:11], s[0:1], -1
	v_mov_b32_e32 v25, s17
	s_waitcnt lgkmcnt(0)
	s_barrier
	s_and_saveexec_b64 s[0:1], s[10:11]
	s_cbranch_execz .LBB1186_19
; %bb.18:
	s_sub_i32 s10, s9, s8
	s_min_u32 s10, s10, 8
	s_waitcnt vmcnt(0)
	v_lshrrev_b64 v[26:27], s8, v[16:17]
	v_bfe_u32 v25, v26, 0, s10
	v_lshlrev_b32_e32 v26, 2, v1
	v_lshl_or_b32 v25, v25, 4, v26
	v_mov_b32_e32 v26, 1
	ds_add_u32 v25, v26
	v_mov_b32_e32 v25, 0
.LBB1186_19:
	s_or_b64 exec, exec, s[0:1]
	v_cmp_gt_i32_e64 s[0:1], 10, v25
	s_mov_b64 s[12:13], -1
	s_and_saveexec_b64 s[10:11], s[0:1]
; %bb.20:
	v_cmp_eq_u32_e64 s[0:1], 0, v25
	s_orn2_b64 s[12:13], s[0:1], exec
; %bb.21:
	s_or_b64 exec, exec, s[10:11]
	s_and_saveexec_b64 s[10:11], s[12:13]
	s_cbranch_execz .LBB1186_54
; %bb.22:
	s_add_i32 s12, s8, 8
	s_cmp_le_u32 s9, s12
	s_cselect_b64 s[0:1], -1, 0
	s_and_b64 s[14:15], s[0:1], exec
	s_cselect_b32 s13, 8, 10
	s_or_b64 s[0:1], s[0:1], vcc
	s_xor_b64 s[14:15], s[0:1], -1
	v_mov_b32_e32 v25, s13
	s_and_saveexec_b64 s[0:1], s[14:15]
	s_cbranch_execz .LBB1186_24
; %bb.23:
	s_sub_i32 s13, s9, s12
	s_min_u32 s13, s13, 8
	s_waitcnt vmcnt(0)
	v_lshrrev_b64 v[26:27], s12, v[16:17]
	v_bfe_u32 v25, v26, 0, s13
	v_lshlrev_b32_e32 v26, 2, v1
	v_lshl_or_b32 v25, v25, 4, v26
	v_mov_b32_e32 v26, 1
	ds_add_u32 v25, v26 offset:4096
	v_mov_b32_e32 v25, 0
.LBB1186_24:
	s_or_b64 exec, exec, s[0:1]
	v_cmp_gt_i32_e64 s[0:1], 10, v25
	s_mov_b64 s[12:13], -1
	s_and_saveexec_b64 s[14:15], s[0:1]
; %bb.25:
	v_cmp_eq_u32_e64 s[0:1], 0, v25
	s_orn2_b64 s[12:13], s[0:1], exec
; %bb.26:
	s_or_b64 exec, exec, s[14:15]
	s_and_b64 exec, exec, s[12:13]
	s_cbranch_execz .LBB1186_54
; %bb.27:
	s_add_i32 s12, s8, 16
	s_cmp_le_u32 s9, s12
	s_cselect_b64 s[0:1], -1, 0
	s_and_b64 s[14:15], s[0:1], exec
	s_cselect_b32 s13, 8, 10
	s_or_b64 s[0:1], s[0:1], vcc
	s_xor_b64 s[14:15], s[0:1], -1
	v_mov_b32_e32 v25, s13
	s_and_saveexec_b64 s[0:1], s[14:15]
	s_cbranch_execz .LBB1186_29
; %bb.28:
	s_sub_i32 s13, s9, s12
	s_min_u32 s13, s13, 8
	s_waitcnt vmcnt(0)
	v_lshrrev_b64 v[26:27], s12, v[16:17]
	v_bfe_u32 v25, v26, 0, s13
	v_lshlrev_b32_e32 v26, 2, v1
	v_lshl_or_b32 v25, v25, 4, v26
	v_mov_b32_e32 v26, 1
	ds_add_u32 v25, v26 offset:8192
	v_mov_b32_e32 v25, 0
.LBB1186_29:
	s_or_b64 exec, exec, s[0:1]
	v_cmp_gt_i32_e64 s[0:1], 10, v25
	s_mov_b64 s[12:13], -1
	s_and_saveexec_b64 s[14:15], s[0:1]
; %bb.30:
	v_cmp_eq_u32_e64 s[0:1], 0, v25
	s_orn2_b64 s[12:13], s[0:1], exec
; %bb.31:
	s_or_b64 exec, exec, s[14:15]
	s_and_b64 exec, exec, s[12:13]
	;; [unrolled: 34-line block ×6, first 2 shown]
	s_cbranch_execz .LBB1186_54
; %bb.52:
	s_add_i32 s0, s8, 56
	s_cmp_gt_u32 s9, s0
	s_cselect_b64 s[12:13], -1, 0
	s_xor_b64 s[14:15], vcc, -1
	s_and_b64 s[12:13], s[12:13], s[14:15]
	s_and_b64 exec, exec, s[12:13]
	s_cbranch_execz .LBB1186_54
; %bb.53:
	s_sub_i32 s1, s9, s0
	s_min_u32 s1, s1, 8
	s_waitcnt vmcnt(0)
	v_lshrrev_b64 v[16:17], s0, v[16:17]
	v_bfe_u32 v16, v16, 0, s1
	v_lshlrev_b32_e32 v17, 2, v1
	v_lshl_or_b32 v16, v16, 4, v17
	v_mov_b32_e32 v17, 1
	ds_add_u32 v16, v17 offset:28672
.LBB1186_54:
	s_or_b64 exec, exec, s[10:11]
	v_cmp_le_u32_e32 vcc, s16, v24
	s_or_b64 s[0:1], s[4:5], vcc
	s_xor_b64 s[10:11], s[0:1], -1
	s_waitcnt vmcnt(0)
	v_mov_b32_e32 v16, s17
	s_and_saveexec_b64 s[0:1], s[10:11]
	s_cbranch_execz .LBB1186_56
; %bb.55:
	s_sub_i32 s10, s9, s8
	s_min_u32 s10, s10, 8
	v_lshrrev_b64 v[16:17], s8, v[14:15]
	v_bfe_u32 v16, v16, 0, s10
	v_lshlrev_b32_e32 v17, 2, v1
	v_lshl_or_b32 v16, v16, 4, v17
	v_mov_b32_e32 v17, 1
	ds_add_u32 v16, v17
	v_mov_b32_e32 v16, 0
.LBB1186_56:
	s_or_b64 exec, exec, s[0:1]
	v_cmp_gt_i32_e64 s[0:1], 10, v16
	s_mov_b64 s[12:13], -1
	s_and_saveexec_b64 s[10:11], s[0:1]
; %bb.57:
	v_cmp_eq_u32_e64 s[0:1], 0, v16
	s_orn2_b64 s[12:13], s[0:1], exec
; %bb.58:
	s_or_b64 exec, exec, s[10:11]
	s_and_saveexec_b64 s[10:11], s[12:13]
	s_cbranch_execz .LBB1186_91
; %bb.59:
	s_add_i32 s12, s8, 8
	s_cmp_le_u32 s9, s12
	s_cselect_b64 s[0:1], -1, 0
	s_and_b64 s[14:15], s[0:1], exec
	s_cselect_b32 s13, 8, 10
	s_or_b64 s[0:1], s[0:1], vcc
	s_xor_b64 s[14:15], s[0:1], -1
	v_mov_b32_e32 v16, s13
	s_and_saveexec_b64 s[0:1], s[14:15]
	s_cbranch_execz .LBB1186_61
; %bb.60:
	s_sub_i32 s13, s9, s12
	s_min_u32 s13, s13, 8
	v_lshrrev_b64 v[16:17], s12, v[14:15]
	v_bfe_u32 v16, v16, 0, s13
	v_lshlrev_b32_e32 v17, 2, v1
	v_lshl_or_b32 v16, v16, 4, v17
	v_mov_b32_e32 v17, 1
	ds_add_u32 v16, v17 offset:4096
	v_mov_b32_e32 v16, 0
.LBB1186_61:
	s_or_b64 exec, exec, s[0:1]
	v_cmp_gt_i32_e64 s[0:1], 10, v16
	s_mov_b64 s[12:13], -1
	s_and_saveexec_b64 s[14:15], s[0:1]
; %bb.62:
	v_cmp_eq_u32_e64 s[0:1], 0, v16
	s_orn2_b64 s[12:13], s[0:1], exec
; %bb.63:
	s_or_b64 exec, exec, s[14:15]
	s_and_b64 exec, exec, s[12:13]
	s_cbranch_execz .LBB1186_91
; %bb.64:
	s_add_i32 s12, s8, 16
	s_cmp_le_u32 s9, s12
	s_cselect_b64 s[0:1], -1, 0
	s_and_b64 s[14:15], s[0:1], exec
	s_cselect_b32 s13, 8, 10
	s_or_b64 s[0:1], s[0:1], vcc
	s_xor_b64 s[14:15], s[0:1], -1
	v_mov_b32_e32 v16, s13
	s_and_saveexec_b64 s[0:1], s[14:15]
	s_cbranch_execz .LBB1186_66
; %bb.65:
	s_sub_i32 s13, s9, s12
	s_min_u32 s13, s13, 8
	v_lshrrev_b64 v[16:17], s12, v[14:15]
	v_bfe_u32 v16, v16, 0, s13
	v_lshlrev_b32_e32 v17, 2, v1
	v_lshl_or_b32 v16, v16, 4, v17
	v_mov_b32_e32 v17, 1
	ds_add_u32 v16, v17 offset:8192
	v_mov_b32_e32 v16, 0
.LBB1186_66:
	s_or_b64 exec, exec, s[0:1]
	v_cmp_gt_i32_e64 s[0:1], 10, v16
	s_mov_b64 s[12:13], -1
	s_and_saveexec_b64 s[14:15], s[0:1]
; %bb.67:
	v_cmp_eq_u32_e64 s[0:1], 0, v16
	s_orn2_b64 s[12:13], s[0:1], exec
; %bb.68:
	s_or_b64 exec, exec, s[14:15]
	s_and_b64 exec, exec, s[12:13]
	;; [unrolled: 33-line block ×6, first 2 shown]
	s_cbranch_execz .LBB1186_91
; %bb.89:
	s_add_i32 s0, s8, 56
	s_cmp_gt_u32 s9, s0
	s_cselect_b64 s[12:13], -1, 0
	s_xor_b64 s[14:15], vcc, -1
	s_and_b64 s[12:13], s[12:13], s[14:15]
	s_and_b64 exec, exec, s[12:13]
	s_cbranch_execz .LBB1186_91
; %bb.90:
	s_sub_i32 s1, s9, s0
	s_min_u32 s1, s1, 8
	v_lshrrev_b64 v[14:15], s0, v[14:15]
	v_bfe_u32 v14, v14, 0, s1
	v_lshlrev_b32_e32 v15, 2, v1
	v_lshl_or_b32 v14, v14, 4, v15
	v_mov_b32_e32 v15, 1
	ds_add_u32 v14, v15 offset:28672
.LBB1186_91:
	s_or_b64 exec, exec, s[10:11]
	v_cmp_le_u32_e32 vcc, s16, v23
	s_or_b64 s[0:1], s[4:5], vcc
	s_xor_b64 s[10:11], s[0:1], -1
	v_mov_b32_e32 v14, s17
	s_and_saveexec_b64 s[0:1], s[10:11]
	s_cbranch_execz .LBB1186_93
; %bb.92:
	s_sub_i32 s10, s9, s8
	s_min_u32 s10, s10, 8
	v_lshrrev_b64 v[14:15], s8, v[12:13]
	v_bfe_u32 v14, v14, 0, s10
	v_lshlrev_b32_e32 v15, 2, v1
	v_lshl_or_b32 v14, v14, 4, v15
	v_mov_b32_e32 v15, 1
	ds_add_u32 v14, v15
	v_mov_b32_e32 v14, 0
.LBB1186_93:
	s_or_b64 exec, exec, s[0:1]
	v_cmp_gt_i32_e64 s[0:1], 10, v14
	s_mov_b64 s[12:13], -1
	s_and_saveexec_b64 s[10:11], s[0:1]
; %bb.94:
	v_cmp_eq_u32_e64 s[0:1], 0, v14
	s_orn2_b64 s[12:13], s[0:1], exec
; %bb.95:
	s_or_b64 exec, exec, s[10:11]
	s_and_saveexec_b64 s[10:11], s[12:13]
	s_cbranch_execz .LBB1186_128
; %bb.96:
	s_add_i32 s12, s8, 8
	s_cmp_le_u32 s9, s12
	s_cselect_b64 s[0:1], -1, 0
	s_and_b64 s[14:15], s[0:1], exec
	s_cselect_b32 s13, 8, 10
	s_or_b64 s[0:1], s[0:1], vcc
	s_xor_b64 s[14:15], s[0:1], -1
	v_mov_b32_e32 v14, s13
	s_and_saveexec_b64 s[0:1], s[14:15]
	s_cbranch_execz .LBB1186_98
; %bb.97:
	s_sub_i32 s13, s9, s12
	s_min_u32 s13, s13, 8
	v_lshrrev_b64 v[14:15], s12, v[12:13]
	v_bfe_u32 v14, v14, 0, s13
	v_lshlrev_b32_e32 v15, 2, v1
	v_lshl_or_b32 v14, v14, 4, v15
	v_mov_b32_e32 v15, 1
	ds_add_u32 v14, v15 offset:4096
	v_mov_b32_e32 v14, 0
.LBB1186_98:
	s_or_b64 exec, exec, s[0:1]
	v_cmp_gt_i32_e64 s[0:1], 10, v14
	s_mov_b64 s[12:13], -1
	s_and_saveexec_b64 s[14:15], s[0:1]
; %bb.99:
	v_cmp_eq_u32_e64 s[0:1], 0, v14
	s_orn2_b64 s[12:13], s[0:1], exec
; %bb.100:
	s_or_b64 exec, exec, s[14:15]
	s_and_b64 exec, exec, s[12:13]
	s_cbranch_execz .LBB1186_128
; %bb.101:
	s_add_i32 s12, s8, 16
	s_cmp_le_u32 s9, s12
	s_cselect_b64 s[0:1], -1, 0
	s_and_b64 s[14:15], s[0:1], exec
	s_cselect_b32 s13, 8, 10
	s_or_b64 s[0:1], s[0:1], vcc
	s_xor_b64 s[14:15], s[0:1], -1
	v_mov_b32_e32 v14, s13
	s_and_saveexec_b64 s[0:1], s[14:15]
	s_cbranch_execz .LBB1186_103
; %bb.102:
	s_sub_i32 s13, s9, s12
	s_min_u32 s13, s13, 8
	v_lshrrev_b64 v[14:15], s12, v[12:13]
	v_bfe_u32 v14, v14, 0, s13
	v_lshlrev_b32_e32 v15, 2, v1
	v_lshl_or_b32 v14, v14, 4, v15
	v_mov_b32_e32 v15, 1
	ds_add_u32 v14, v15 offset:8192
	v_mov_b32_e32 v14, 0
.LBB1186_103:
	s_or_b64 exec, exec, s[0:1]
	v_cmp_gt_i32_e64 s[0:1], 10, v14
	s_mov_b64 s[12:13], -1
	s_and_saveexec_b64 s[14:15], s[0:1]
; %bb.104:
	v_cmp_eq_u32_e64 s[0:1], 0, v14
	s_orn2_b64 s[12:13], s[0:1], exec
; %bb.105:
	s_or_b64 exec, exec, s[14:15]
	s_and_b64 exec, exec, s[12:13]
	;; [unrolled: 33-line block ×6, first 2 shown]
	s_cbranch_execz .LBB1186_128
; %bb.126:
	s_add_i32 s0, s8, 56
	s_cmp_gt_u32 s9, s0
	s_cselect_b64 s[12:13], -1, 0
	s_xor_b64 s[14:15], vcc, -1
	s_and_b64 s[12:13], s[12:13], s[14:15]
	s_and_b64 exec, exec, s[12:13]
	s_cbranch_execz .LBB1186_128
; %bb.127:
	s_sub_i32 s1, s9, s0
	s_min_u32 s1, s1, 8
	v_lshrrev_b64 v[12:13], s0, v[12:13]
	v_bfe_u32 v12, v12, 0, s1
	v_lshlrev_b32_e32 v13, 2, v1
	v_lshl_or_b32 v12, v12, 4, v13
	v_mov_b32_e32 v13, 1
	ds_add_u32 v12, v13 offset:28672
.LBB1186_128:
	s_or_b64 exec, exec, s[10:11]
	v_cmp_le_u32_e32 vcc, s16, v22
	s_or_b64 s[0:1], s[4:5], vcc
	s_xor_b64 s[10:11], s[0:1], -1
	v_mov_b32_e32 v12, s17
	s_and_saveexec_b64 s[0:1], s[10:11]
	s_cbranch_execz .LBB1186_130
; %bb.129:
	s_sub_i32 s10, s9, s8
	s_min_u32 s10, s10, 8
	v_lshrrev_b64 v[12:13], s8, v[10:11]
	v_bfe_u32 v12, v12, 0, s10
	v_lshlrev_b32_e32 v13, 2, v1
	v_lshl_or_b32 v12, v12, 4, v13
	v_mov_b32_e32 v13, 1
	ds_add_u32 v12, v13
	v_mov_b32_e32 v12, 0
.LBB1186_130:
	s_or_b64 exec, exec, s[0:1]
	v_cmp_gt_i32_e64 s[0:1], 10, v12
	s_mov_b64 s[12:13], -1
	s_and_saveexec_b64 s[10:11], s[0:1]
; %bb.131:
	v_cmp_eq_u32_e64 s[0:1], 0, v12
	s_orn2_b64 s[12:13], s[0:1], exec
; %bb.132:
	s_or_b64 exec, exec, s[10:11]
	s_and_saveexec_b64 s[10:11], s[12:13]
	s_cbranch_execz .LBB1186_165
; %bb.133:
	s_add_i32 s12, s8, 8
	s_cmp_le_u32 s9, s12
	s_cselect_b64 s[0:1], -1, 0
	s_and_b64 s[14:15], s[0:1], exec
	s_cselect_b32 s13, 8, 10
	s_or_b64 s[0:1], s[0:1], vcc
	s_xor_b64 s[14:15], s[0:1], -1
	v_mov_b32_e32 v12, s13
	s_and_saveexec_b64 s[0:1], s[14:15]
	s_cbranch_execz .LBB1186_135
; %bb.134:
	s_sub_i32 s13, s9, s12
	s_min_u32 s13, s13, 8
	v_lshrrev_b64 v[12:13], s12, v[10:11]
	v_bfe_u32 v12, v12, 0, s13
	v_lshlrev_b32_e32 v13, 2, v1
	v_lshl_or_b32 v12, v12, 4, v13
	v_mov_b32_e32 v13, 1
	ds_add_u32 v12, v13 offset:4096
	v_mov_b32_e32 v12, 0
.LBB1186_135:
	s_or_b64 exec, exec, s[0:1]
	v_cmp_gt_i32_e64 s[0:1], 10, v12
	s_mov_b64 s[12:13], -1
	s_and_saveexec_b64 s[14:15], s[0:1]
; %bb.136:
	v_cmp_eq_u32_e64 s[0:1], 0, v12
	s_orn2_b64 s[12:13], s[0:1], exec
; %bb.137:
	s_or_b64 exec, exec, s[14:15]
	s_and_b64 exec, exec, s[12:13]
	s_cbranch_execz .LBB1186_165
; %bb.138:
	s_add_i32 s12, s8, 16
	s_cmp_le_u32 s9, s12
	s_cselect_b64 s[0:1], -1, 0
	s_and_b64 s[14:15], s[0:1], exec
	s_cselect_b32 s13, 8, 10
	s_or_b64 s[0:1], s[0:1], vcc
	s_xor_b64 s[14:15], s[0:1], -1
	v_mov_b32_e32 v12, s13
	s_and_saveexec_b64 s[0:1], s[14:15]
	s_cbranch_execz .LBB1186_140
; %bb.139:
	s_sub_i32 s13, s9, s12
	s_min_u32 s13, s13, 8
	v_lshrrev_b64 v[12:13], s12, v[10:11]
	v_bfe_u32 v12, v12, 0, s13
	v_lshlrev_b32_e32 v13, 2, v1
	v_lshl_or_b32 v12, v12, 4, v13
	v_mov_b32_e32 v13, 1
	ds_add_u32 v12, v13 offset:8192
	v_mov_b32_e32 v12, 0
.LBB1186_140:
	s_or_b64 exec, exec, s[0:1]
	v_cmp_gt_i32_e64 s[0:1], 10, v12
	s_mov_b64 s[12:13], -1
	s_and_saveexec_b64 s[14:15], s[0:1]
; %bb.141:
	v_cmp_eq_u32_e64 s[0:1], 0, v12
	s_orn2_b64 s[12:13], s[0:1], exec
; %bb.142:
	s_or_b64 exec, exec, s[14:15]
	s_and_b64 exec, exec, s[12:13]
	;; [unrolled: 33-line block ×6, first 2 shown]
	s_cbranch_execz .LBB1186_165
; %bb.163:
	s_add_i32 s0, s8, 56
	s_cmp_gt_u32 s9, s0
	s_cselect_b64 s[12:13], -1, 0
	s_xor_b64 s[14:15], vcc, -1
	s_and_b64 s[12:13], s[12:13], s[14:15]
	s_and_b64 exec, exec, s[12:13]
	s_cbranch_execz .LBB1186_165
; %bb.164:
	s_sub_i32 s1, s9, s0
	s_min_u32 s1, s1, 8
	v_lshrrev_b64 v[10:11], s0, v[10:11]
	v_bfe_u32 v10, v10, 0, s1
	v_lshlrev_b32_e32 v11, 2, v1
	v_lshl_or_b32 v10, v10, 4, v11
	v_mov_b32_e32 v11, 1
	ds_add_u32 v10, v11 offset:28672
.LBB1186_165:
	s_or_b64 exec, exec, s[10:11]
	v_cmp_le_u32_e32 vcc, s16, v21
	s_or_b64 s[0:1], s[4:5], vcc
	s_xor_b64 s[10:11], s[0:1], -1
	v_mov_b32_e32 v10, s17
	s_and_saveexec_b64 s[0:1], s[10:11]
	s_cbranch_execz .LBB1186_167
; %bb.166:
	s_sub_i32 s10, s9, s8
	s_min_u32 s10, s10, 8
	v_lshrrev_b64 v[10:11], s8, v[8:9]
	v_bfe_u32 v10, v10, 0, s10
	v_lshlrev_b32_e32 v11, 2, v1
	v_lshl_or_b32 v10, v10, 4, v11
	v_mov_b32_e32 v11, 1
	ds_add_u32 v10, v11
	v_mov_b32_e32 v10, 0
.LBB1186_167:
	s_or_b64 exec, exec, s[0:1]
	v_cmp_gt_i32_e64 s[0:1], 10, v10
	s_mov_b64 s[12:13], -1
	s_and_saveexec_b64 s[10:11], s[0:1]
; %bb.168:
	v_cmp_eq_u32_e64 s[0:1], 0, v10
	s_orn2_b64 s[12:13], s[0:1], exec
; %bb.169:
	s_or_b64 exec, exec, s[10:11]
	s_and_saveexec_b64 s[10:11], s[12:13]
	s_cbranch_execz .LBB1186_202
; %bb.170:
	s_add_i32 s12, s8, 8
	s_cmp_le_u32 s9, s12
	s_cselect_b64 s[0:1], -1, 0
	s_and_b64 s[14:15], s[0:1], exec
	s_cselect_b32 s13, 8, 10
	s_or_b64 s[0:1], s[0:1], vcc
	s_xor_b64 s[14:15], s[0:1], -1
	v_mov_b32_e32 v10, s13
	s_and_saveexec_b64 s[0:1], s[14:15]
	s_cbranch_execz .LBB1186_172
; %bb.171:
	s_sub_i32 s13, s9, s12
	s_min_u32 s13, s13, 8
	v_lshrrev_b64 v[10:11], s12, v[8:9]
	v_bfe_u32 v10, v10, 0, s13
	v_lshlrev_b32_e32 v11, 2, v1
	v_lshl_or_b32 v10, v10, 4, v11
	v_mov_b32_e32 v11, 1
	ds_add_u32 v10, v11 offset:4096
	v_mov_b32_e32 v10, 0
.LBB1186_172:
	s_or_b64 exec, exec, s[0:1]
	v_cmp_gt_i32_e64 s[0:1], 10, v10
	s_mov_b64 s[12:13], -1
	s_and_saveexec_b64 s[14:15], s[0:1]
; %bb.173:
	v_cmp_eq_u32_e64 s[0:1], 0, v10
	s_orn2_b64 s[12:13], s[0:1], exec
; %bb.174:
	s_or_b64 exec, exec, s[14:15]
	s_and_b64 exec, exec, s[12:13]
	s_cbranch_execz .LBB1186_202
; %bb.175:
	s_add_i32 s12, s8, 16
	s_cmp_le_u32 s9, s12
	s_cselect_b64 s[0:1], -1, 0
	s_and_b64 s[14:15], s[0:1], exec
	s_cselect_b32 s13, 8, 10
	s_or_b64 s[0:1], s[0:1], vcc
	s_xor_b64 s[14:15], s[0:1], -1
	v_mov_b32_e32 v10, s13
	s_and_saveexec_b64 s[0:1], s[14:15]
	s_cbranch_execz .LBB1186_177
; %bb.176:
	s_sub_i32 s13, s9, s12
	s_min_u32 s13, s13, 8
	v_lshrrev_b64 v[10:11], s12, v[8:9]
	v_bfe_u32 v10, v10, 0, s13
	v_lshlrev_b32_e32 v11, 2, v1
	v_lshl_or_b32 v10, v10, 4, v11
	v_mov_b32_e32 v11, 1
	ds_add_u32 v10, v11 offset:8192
	v_mov_b32_e32 v10, 0
.LBB1186_177:
	s_or_b64 exec, exec, s[0:1]
	v_cmp_gt_i32_e64 s[0:1], 10, v10
	s_mov_b64 s[12:13], -1
	s_and_saveexec_b64 s[14:15], s[0:1]
; %bb.178:
	v_cmp_eq_u32_e64 s[0:1], 0, v10
	s_orn2_b64 s[12:13], s[0:1], exec
; %bb.179:
	s_or_b64 exec, exec, s[14:15]
	s_and_b64 exec, exec, s[12:13]
	;; [unrolled: 33-line block ×6, first 2 shown]
	s_cbranch_execz .LBB1186_202
; %bb.200:
	s_add_i32 s0, s8, 56
	s_cmp_gt_u32 s9, s0
	s_cselect_b64 s[12:13], -1, 0
	s_xor_b64 s[14:15], vcc, -1
	s_and_b64 s[12:13], s[12:13], s[14:15]
	s_and_b64 exec, exec, s[12:13]
	s_cbranch_execz .LBB1186_202
; %bb.201:
	s_sub_i32 s1, s9, s0
	s_min_u32 s1, s1, 8
	v_lshrrev_b64 v[8:9], s0, v[8:9]
	v_bfe_u32 v8, v8, 0, s1
	v_lshlrev_b32_e32 v9, 2, v1
	v_lshl_or_b32 v8, v8, 4, v9
	v_mov_b32_e32 v9, 1
	ds_add_u32 v8, v9 offset:28672
.LBB1186_202:
	s_or_b64 exec, exec, s[10:11]
	v_cmp_le_u32_e32 vcc, s16, v20
	s_or_b64 s[0:1], s[4:5], vcc
	s_xor_b64 s[10:11], s[0:1], -1
	v_mov_b32_e32 v8, s17
	s_and_saveexec_b64 s[0:1], s[10:11]
	s_cbranch_execz .LBB1186_204
; %bb.203:
	s_sub_i32 s10, s9, s8
	s_min_u32 s10, s10, 8
	v_lshrrev_b64 v[8:9], s8, v[6:7]
	v_bfe_u32 v8, v8, 0, s10
	v_lshlrev_b32_e32 v9, 2, v1
	v_lshl_or_b32 v8, v8, 4, v9
	v_mov_b32_e32 v9, 1
	ds_add_u32 v8, v9
	v_mov_b32_e32 v8, 0
.LBB1186_204:
	s_or_b64 exec, exec, s[0:1]
	v_cmp_gt_i32_e64 s[0:1], 10, v8
	s_mov_b64 s[12:13], -1
	s_and_saveexec_b64 s[10:11], s[0:1]
; %bb.205:
	v_cmp_eq_u32_e64 s[0:1], 0, v8
	s_orn2_b64 s[12:13], s[0:1], exec
; %bb.206:
	s_or_b64 exec, exec, s[10:11]
	s_and_saveexec_b64 s[10:11], s[12:13]
	s_cbranch_execz .LBB1186_239
; %bb.207:
	s_add_i32 s12, s8, 8
	s_cmp_le_u32 s9, s12
	s_cselect_b64 s[0:1], -1, 0
	s_and_b64 s[14:15], s[0:1], exec
	s_cselect_b32 s13, 8, 10
	s_or_b64 s[0:1], s[0:1], vcc
	s_xor_b64 s[14:15], s[0:1], -1
	v_mov_b32_e32 v8, s13
	s_and_saveexec_b64 s[0:1], s[14:15]
	s_cbranch_execz .LBB1186_209
; %bb.208:
	s_sub_i32 s13, s9, s12
	s_min_u32 s13, s13, 8
	v_lshrrev_b64 v[8:9], s12, v[6:7]
	v_bfe_u32 v8, v8, 0, s13
	v_lshlrev_b32_e32 v9, 2, v1
	v_lshl_or_b32 v8, v8, 4, v9
	v_mov_b32_e32 v9, 1
	ds_add_u32 v8, v9 offset:4096
	v_mov_b32_e32 v8, 0
.LBB1186_209:
	s_or_b64 exec, exec, s[0:1]
	v_cmp_gt_i32_e64 s[0:1], 10, v8
	s_mov_b64 s[12:13], -1
	s_and_saveexec_b64 s[14:15], s[0:1]
; %bb.210:
	v_cmp_eq_u32_e64 s[0:1], 0, v8
	s_orn2_b64 s[12:13], s[0:1], exec
; %bb.211:
	s_or_b64 exec, exec, s[14:15]
	s_and_b64 exec, exec, s[12:13]
	s_cbranch_execz .LBB1186_239
; %bb.212:
	s_add_i32 s12, s8, 16
	s_cmp_le_u32 s9, s12
	s_cselect_b64 s[0:1], -1, 0
	s_and_b64 s[14:15], s[0:1], exec
	s_cselect_b32 s13, 8, 10
	s_or_b64 s[0:1], s[0:1], vcc
	s_xor_b64 s[14:15], s[0:1], -1
	v_mov_b32_e32 v8, s13
	s_and_saveexec_b64 s[0:1], s[14:15]
	s_cbranch_execz .LBB1186_214
; %bb.213:
	s_sub_i32 s13, s9, s12
	s_min_u32 s13, s13, 8
	v_lshrrev_b64 v[8:9], s12, v[6:7]
	v_bfe_u32 v8, v8, 0, s13
	v_lshlrev_b32_e32 v9, 2, v1
	v_lshl_or_b32 v8, v8, 4, v9
	v_mov_b32_e32 v9, 1
	ds_add_u32 v8, v9 offset:8192
	v_mov_b32_e32 v8, 0
.LBB1186_214:
	s_or_b64 exec, exec, s[0:1]
	v_cmp_gt_i32_e64 s[0:1], 10, v8
	s_mov_b64 s[12:13], -1
	s_and_saveexec_b64 s[14:15], s[0:1]
; %bb.215:
	v_cmp_eq_u32_e64 s[0:1], 0, v8
	s_orn2_b64 s[12:13], s[0:1], exec
; %bb.216:
	s_or_b64 exec, exec, s[14:15]
	s_and_b64 exec, exec, s[12:13]
	;; [unrolled: 33-line block ×6, first 2 shown]
	s_cbranch_execz .LBB1186_239
; %bb.237:
	s_add_i32 s0, s8, 56
	s_cmp_gt_u32 s9, s0
	s_cselect_b64 s[12:13], -1, 0
	s_xor_b64 s[14:15], vcc, -1
	s_and_b64 s[12:13], s[12:13], s[14:15]
	s_and_b64 exec, exec, s[12:13]
	s_cbranch_execz .LBB1186_239
; %bb.238:
	s_sub_i32 s1, s9, s0
	s_min_u32 s1, s1, 8
	v_lshrrev_b64 v[6:7], s0, v[6:7]
	v_bfe_u32 v6, v6, 0, s1
	v_lshlrev_b32_e32 v7, 2, v1
	v_lshl_or_b32 v6, v6, 4, v7
	v_mov_b32_e32 v7, 1
	ds_add_u32 v6, v7 offset:28672
.LBB1186_239:
	s_or_b64 exec, exec, s[10:11]
	v_cmp_le_u32_e32 vcc, s16, v19
	s_or_b64 s[0:1], s[4:5], vcc
	s_xor_b64 s[10:11], s[0:1], -1
	v_mov_b32_e32 v6, s17
	s_and_saveexec_b64 s[0:1], s[10:11]
	s_cbranch_execz .LBB1186_241
; %bb.240:
	s_sub_i32 s10, s9, s8
	s_min_u32 s10, s10, 8
	v_lshrrev_b64 v[6:7], s8, v[4:5]
	v_bfe_u32 v6, v6, 0, s10
	v_lshlrev_b32_e32 v7, 2, v1
	v_lshl_or_b32 v6, v6, 4, v7
	v_mov_b32_e32 v7, 1
	ds_add_u32 v6, v7
	v_mov_b32_e32 v6, 0
.LBB1186_241:
	s_or_b64 exec, exec, s[0:1]
	v_cmp_gt_i32_e64 s[0:1], 10, v6
	s_mov_b64 s[12:13], -1
	s_and_saveexec_b64 s[10:11], s[0:1]
; %bb.242:
	v_cmp_eq_u32_e64 s[0:1], 0, v6
	s_orn2_b64 s[12:13], s[0:1], exec
; %bb.243:
	s_or_b64 exec, exec, s[10:11]
	s_and_saveexec_b64 s[10:11], s[12:13]
	s_cbranch_execz .LBB1186_276
; %bb.244:
	s_add_i32 s12, s8, 8
	s_cmp_le_u32 s9, s12
	s_cselect_b64 s[0:1], -1, 0
	s_and_b64 s[14:15], s[0:1], exec
	s_cselect_b32 s13, 8, 10
	s_or_b64 s[0:1], s[0:1], vcc
	s_xor_b64 s[14:15], s[0:1], -1
	v_mov_b32_e32 v6, s13
	s_and_saveexec_b64 s[0:1], s[14:15]
	s_cbranch_execz .LBB1186_246
; %bb.245:
	s_sub_i32 s13, s9, s12
	s_min_u32 s13, s13, 8
	v_lshrrev_b64 v[6:7], s12, v[4:5]
	v_bfe_u32 v6, v6, 0, s13
	v_lshlrev_b32_e32 v7, 2, v1
	v_lshl_or_b32 v6, v6, 4, v7
	v_mov_b32_e32 v7, 1
	ds_add_u32 v6, v7 offset:4096
	v_mov_b32_e32 v6, 0
.LBB1186_246:
	s_or_b64 exec, exec, s[0:1]
	v_cmp_gt_i32_e64 s[0:1], 10, v6
	s_mov_b64 s[12:13], -1
	s_and_saveexec_b64 s[14:15], s[0:1]
; %bb.247:
	v_cmp_eq_u32_e64 s[0:1], 0, v6
	s_orn2_b64 s[12:13], s[0:1], exec
; %bb.248:
	s_or_b64 exec, exec, s[14:15]
	s_and_b64 exec, exec, s[12:13]
	s_cbranch_execz .LBB1186_276
; %bb.249:
	s_add_i32 s12, s8, 16
	s_cmp_le_u32 s9, s12
	s_cselect_b64 s[0:1], -1, 0
	s_and_b64 s[14:15], s[0:1], exec
	s_cselect_b32 s13, 8, 10
	s_or_b64 s[0:1], s[0:1], vcc
	s_xor_b64 s[14:15], s[0:1], -1
	v_mov_b32_e32 v6, s13
	s_and_saveexec_b64 s[0:1], s[14:15]
	s_cbranch_execz .LBB1186_251
; %bb.250:
	s_sub_i32 s13, s9, s12
	s_min_u32 s13, s13, 8
	v_lshrrev_b64 v[6:7], s12, v[4:5]
	v_bfe_u32 v6, v6, 0, s13
	v_lshlrev_b32_e32 v7, 2, v1
	v_lshl_or_b32 v6, v6, 4, v7
	v_mov_b32_e32 v7, 1
	ds_add_u32 v6, v7 offset:8192
	v_mov_b32_e32 v6, 0
.LBB1186_251:
	s_or_b64 exec, exec, s[0:1]
	v_cmp_gt_i32_e64 s[0:1], 10, v6
	s_mov_b64 s[12:13], -1
	s_and_saveexec_b64 s[14:15], s[0:1]
; %bb.252:
	v_cmp_eq_u32_e64 s[0:1], 0, v6
	s_orn2_b64 s[12:13], s[0:1], exec
; %bb.253:
	s_or_b64 exec, exec, s[14:15]
	s_and_b64 exec, exec, s[12:13]
	;; [unrolled: 33-line block ×6, first 2 shown]
	s_cbranch_execz .LBB1186_276
; %bb.274:
	s_add_i32 s0, s8, 56
	s_cmp_gt_u32 s9, s0
	s_cselect_b64 s[12:13], -1, 0
	s_xor_b64 s[14:15], vcc, -1
	s_and_b64 s[12:13], s[12:13], s[14:15]
	s_and_b64 exec, exec, s[12:13]
	s_cbranch_execz .LBB1186_276
; %bb.275:
	s_sub_i32 s1, s9, s0
	s_min_u32 s1, s1, 8
	v_lshrrev_b64 v[4:5], s0, v[4:5]
	v_bfe_u32 v4, v4, 0, s1
	v_lshlrev_b32_e32 v5, 2, v1
	v_lshl_or_b32 v4, v4, 4, v5
	v_mov_b32_e32 v5, 1
	ds_add_u32 v4, v5 offset:28672
.LBB1186_276:
	s_or_b64 exec, exec, s[10:11]
	v_cmp_le_u32_e32 vcc, s16, v18
	s_or_b64 s[0:1], s[4:5], vcc
	s_xor_b64 s[4:5], s[0:1], -1
	v_mov_b32_e32 v4, s17
	s_and_saveexec_b64 s[0:1], s[4:5]
	s_cbranch_execz .LBB1186_278
; %bb.277:
	s_sub_i32 s4, s9, s8
	s_min_u32 s4, s4, 8
	v_lshrrev_b64 v[4:5], s8, v[2:3]
	v_bfe_u32 v4, v4, 0, s4
	v_lshlrev_b32_e32 v5, 2, v1
	v_lshl_or_b32 v4, v4, 4, v5
	v_mov_b32_e32 v5, 1
	ds_add_u32 v4, v5
	v_mov_b32_e32 v4, 0
.LBB1186_278:
	s_or_b64 exec, exec, s[0:1]
	v_cmp_gt_i32_e64 s[0:1], 10, v4
	s_mov_b64 s[10:11], -1
	s_and_saveexec_b64 s[4:5], s[0:1]
; %bb.279:
	v_cmp_eq_u32_e64 s[0:1], 0, v4
	s_orn2_b64 s[10:11], s[0:1], exec
; %bb.280:
	s_or_b64 exec, exec, s[4:5]
	s_and_saveexec_b64 s[4:5], s[10:11]
	s_cbranch_execz .LBB1186_313
; %bb.281:
	s_add_i32 s10, s8, 8
	s_cmp_le_u32 s9, s10
	s_cselect_b64 s[0:1], -1, 0
	s_and_b64 s[12:13], s[0:1], exec
	s_cselect_b32 s11, 8, 10
	s_or_b64 s[0:1], s[0:1], vcc
	s_xor_b64 s[12:13], s[0:1], -1
	v_mov_b32_e32 v4, s11
	s_and_saveexec_b64 s[0:1], s[12:13]
	s_cbranch_execz .LBB1186_283
; %bb.282:
	s_sub_i32 s11, s9, s10
	s_min_u32 s11, s11, 8
	v_lshrrev_b64 v[4:5], s10, v[2:3]
	v_bfe_u32 v4, v4, 0, s11
	v_lshlrev_b32_e32 v5, 2, v1
	v_lshl_or_b32 v4, v4, 4, v5
	v_mov_b32_e32 v5, 1
	ds_add_u32 v4, v5 offset:4096
	v_mov_b32_e32 v4, 0
.LBB1186_283:
	s_or_b64 exec, exec, s[0:1]
	v_cmp_gt_i32_e64 s[0:1], 10, v4
	s_mov_b64 s[10:11], -1
	s_and_saveexec_b64 s[12:13], s[0:1]
; %bb.284:
	v_cmp_eq_u32_e64 s[0:1], 0, v4
	s_orn2_b64 s[10:11], s[0:1], exec
; %bb.285:
	s_or_b64 exec, exec, s[12:13]
	s_and_b64 exec, exec, s[10:11]
	s_cbranch_execz .LBB1186_313
; %bb.286:
	s_add_i32 s10, s8, 16
	s_cmp_le_u32 s9, s10
	s_cselect_b64 s[0:1], -1, 0
	s_and_b64 s[12:13], s[0:1], exec
	s_cselect_b32 s11, 8, 10
	s_or_b64 s[0:1], s[0:1], vcc
	s_xor_b64 s[12:13], s[0:1], -1
	v_mov_b32_e32 v4, s11
	s_and_saveexec_b64 s[0:1], s[12:13]
	s_cbranch_execz .LBB1186_288
; %bb.287:
	s_sub_i32 s11, s9, s10
	s_min_u32 s11, s11, 8
	v_lshrrev_b64 v[4:5], s10, v[2:3]
	v_bfe_u32 v4, v4, 0, s11
	v_lshlrev_b32_e32 v5, 2, v1
	v_lshl_or_b32 v4, v4, 4, v5
	v_mov_b32_e32 v5, 1
	ds_add_u32 v4, v5 offset:8192
	v_mov_b32_e32 v4, 0
.LBB1186_288:
	s_or_b64 exec, exec, s[0:1]
	v_cmp_gt_i32_e64 s[0:1], 10, v4
	s_mov_b64 s[10:11], -1
	s_and_saveexec_b64 s[12:13], s[0:1]
; %bb.289:
	v_cmp_eq_u32_e64 s[0:1], 0, v4
	s_orn2_b64 s[10:11], s[0:1], exec
; %bb.290:
	s_or_b64 exec, exec, s[12:13]
	s_and_b64 exec, exec, s[10:11]
	;; [unrolled: 33-line block ×6, first 2 shown]
	s_cbranch_execz .LBB1186_313
; %bb.311:
	s_add_i32 s0, s8, 56
	s_cmp_gt_u32 s9, s0
	s_cselect_b64 s[10:11], -1, 0
	s_xor_b64 s[12:13], vcc, -1
	s_and_b64 s[10:11], s[10:11], s[12:13]
	s_and_b64 exec, exec, s[10:11]
	s_cbranch_execz .LBB1186_313
; %bb.312:
	s_sub_i32 s1, s9, s0
	s_min_u32 s1, s1, 8
	v_lshrrev_b64 v[2:3], s0, v[2:3]
	v_bfe_u32 v2, v2, 0, s1
	v_lshlrev_b32_e32 v1, 2, v1
	v_lshl_or_b32 v1, v2, 4, v1
	v_mov_b32_e32 v2, 1
	ds_add_u32 v1, v2 offset:28672
.LBB1186_313:
	s_or_b64 exec, exec, s[4:5]
	s_cmp_gt_u32 s9, s8
	s_waitcnt lgkmcnt(0)
	s_barrier
	s_cbranch_scc0 .LBB1186_318
; %bb.314:
	s_movk_i32 s0, 0x100
	v_cmp_gt_u32_e32 vcc, s0, v0
	v_lshlrev_b32_e32 v1, 4, v0
	v_mov_b32_e32 v3, 0
	v_mov_b32_e32 v2, v0
	s_mov_b32 s10, s8
	s_branch .LBB1186_316
.LBB1186_315:                           ;   in Loop: Header=BB1186_316 Depth=1
	s_or_b64 exec, exec, s[4:5]
	s_add_i32 s10, s10, 8
	v_add_u32_e32 v2, 0x100, v2
	s_cmp_lt_u32 s10, s9
	v_add_u32_e32 v1, 0x1000, v1
	s_cbranch_scc0 .LBB1186_318
.LBB1186_316:                           ; =>This Inner Loop Header: Depth=1
	s_and_saveexec_b64 s[4:5], vcc
	s_cbranch_execz .LBB1186_315
; %bb.317:                              ;   in Loop: Header=BB1186_316 Depth=1
	ds_read2_b32 v[4:5], v1 offset1:1
	ds_read2_b32 v[6:7], v1 offset0:2 offset1:3
	v_lshlrev_b64 v[8:9], 3, v[2:3]
	v_mov_b32_e32 v10, s3
	s_waitcnt lgkmcnt(1)
	v_add_u32_e32 v4, v5, v4
	s_waitcnt lgkmcnt(0)
	v_add3_u32 v4, v4, v6, v7
	v_add_co_u32_e64 v6, s[0:1], s2, v8
	v_addc_co_u32_e64 v7, s[0:1], v10, v9, s[0:1]
	v_mov_b32_e32 v5, v3
	global_atomic_add_x2 v[6:7], v[4:5], off
	s_branch .LBB1186_315
.LBB1186_318:
	s_mov_b64 s[0:1], 0
.LBB1186_319:
	s_and_b64 vcc, exec, s[0:1]
	s_cbranch_vccz .LBB1186_411
; %bb.320:
	v_lshlrev_b32_e32 v20, 3, v0
	v_mov_b32_e32 v1, s7
	v_add_co_u32_e32 v8, vcc, s6, v20
	v_addc_co_u32_e32 v1, vcc, 0, v1, vcc
	v_add_co_u32_e32 v2, vcc, 0x2000, v8
	v_addc_co_u32_e32 v3, vcc, 0, v1, vcc
	;; [unrolled: 2-line block ×7, first 2 shown]
	v_add_co_u32_e32 v26, vcc, 0xe000, v8
	global_load_dwordx2 v[16:17], v20, s[6:7]
	global_load_dwordx2 v[14:15], v[2:3], off
	global_load_dwordx2 v[12:13], v[4:5], off
	;; [unrolled: 1-line block ×3, first 2 shown]
	v_addc_co_u32_e32 v27, vcc, 0, v1, vcc
	global_load_dwordx2 v[8:9], v[18:19], off
	global_load_dwordx2 v[6:7], v[22:23], off
	;; [unrolled: 1-line block ×4, first 2 shown]
	s_cmp_eq_u32 s8, 0
	s_cselect_b64 s[0:1], -1, 0
	s_cmp_eq_u32 s9, 64
	s_cselect_b64 s[4:5], -1, 0
	s_and_b64 s[4:5], s[0:1], s[4:5]
	s_mov_b64 s[0:1], -1
	s_and_b64 vcc, exec, s[4:5]
	v_lshlrev_b32_e32 v21, 2, v0
	s_cbranch_vccnz .LBB1186_408
; %bb.321:
	s_cmp_gt_u32 s9, s8
	s_cselect_b64 s[0:1], -1, 0
	v_mov_b32_e32 v1, 0
	s_and_b64 vcc, exec, s[0:1]
	ds_write2st64_b32 v21, v1, v1 offset1:16
	ds_write2st64_b32 v21, v1, v1 offset0:32 offset1:48
	ds_write2st64_b32 v21, v1, v1 offset0:64 offset1:80
	;; [unrolled: 1-line block ×3, first 2 shown]
	s_waitcnt lgkmcnt(0)
	s_barrier
	s_cbranch_vccz .LBB1186_402
; %bb.322:
	s_sub_i32 s4, s9, s8
	s_min_u32 s4, s4, 8
	s_lshl_b32 s4, -1, s4
	v_and_b32_e32 v1, 3, v0
	s_not_b32 s12, s4
	s_waitcnt vmcnt(7)
	v_lshrrev_b64 v[18:19], s8, v[16:17]
	v_and_b32_e32 v18, s12, v18
	v_lshlrev_b32_e32 v22, 2, v1
	v_lshl_or_b32 v18, v18, 4, v22
	v_mov_b32_e32 v19, 1
	ds_add_u32 v18, v19
	s_add_i32 s13, s8, 8
	s_cmp_le_u32 s9, s13
	s_cselect_b64 s[4:5], -1, 0
	s_and_b64 vcc, exec, s[4:5]
	s_waitcnt vmcnt(6)
	v_lshrrev_b64 v[18:19], s8, v[14:15]
	s_cbranch_vccz .LBB1186_324
; %bb.323:
	v_and_b32_e32 v19, s12, v18
	v_lshl_or_b32 v19, v19, 2, v1
	s_mov_b64 s[6:7], -1
	s_cbranch_execz .LBB1186_325
	s_branch .LBB1186_340
.LBB1186_324:
	s_mov_b64 s[6:7], 0
                                        ; implicit-def: $vgpr19
.LBB1186_325:
	s_sub_i32 s10, s9, s13
	s_min_u32 s10, s10, 8
	s_lshl_b32 s10, -1, s10
	s_not_b32 s15, s10
	v_lshrrev_b64 v[24:25], s13, v[16:17]
	v_and_b32_e32 v19, s15, v24
	v_lshl_or_b32 v23, v19, 4, v22
	v_mov_b32_e32 v19, 1
	ds_add_u32 v23, v19 offset:4096
	s_add_i32 s14, s8, 16
	s_cmp_gt_u32 s9, s14
	s_cselect_b64 s[10:11], -1, 0
	s_cmp_le_u32 s9, s14
	s_cbranch_scc1 .LBB1186_332
; %bb.326:
	s_sub_i32 s16, s9, s14
	s_min_u32 s16, s16, 8
	v_lshrrev_b64 v[24:25], s14, v[16:17]
	v_bfe_u32 v23, v24, 0, s16
	v_lshl_or_b32 v23, v23, 4, v22
	ds_add_u32 v23, v19 offset:8192
	s_add_i32 s16, s8, 24
	s_cmp_le_u32 s9, s16
	s_cbranch_scc1 .LBB1186_332
; %bb.327:
	s_sub_i32 s17, s9, s16
	s_min_u32 s17, s17, 8
	v_lshrrev_b64 v[24:25], s16, v[16:17]
	v_bfe_u32 v23, v24, 0, s17
	v_lshl_or_b32 v24, v23, 4, v22
	v_mov_b32_e32 v23, 1
	ds_add_u32 v24, v23 offset:12288
	s_add_i32 s16, s8, 32
	s_cmp_le_u32 s9, s16
	s_cbranch_scc1 .LBB1186_332
; %bb.328:
	s_sub_i32 s17, s9, s16
	s_min_u32 s17, s17, 8
	v_lshrrev_b64 v[24:25], s16, v[16:17]
	v_bfe_u32 v24, v24, 0, s17
	v_lshl_or_b32 v24, v24, 4, v22
	ds_add_u32 v24, v23 offset:16384
	s_add_i32 s16, s8, 40
	s_cmp_le_u32 s9, s16
	s_cbranch_scc1 .LBB1186_332
; %bb.329:
	s_sub_i32 s17, s9, s16
	s_min_u32 s17, s17, 8
	v_lshrrev_b64 v[24:25], s16, v[16:17]
	v_bfe_u32 v23, v24, 0, s17
	v_lshl_or_b32 v24, v23, 4, v22
	v_mov_b32_e32 v23, 1
	ds_add_u32 v24, v23 offset:20480
	s_add_i32 s16, s8, 48
	s_cmp_le_u32 s9, s16
	s_cbranch_scc1 .LBB1186_332
; %bb.330:
	s_sub_i32 s17, s9, s16
	s_min_u32 s17, s17, 8
	v_lshrrev_b64 v[24:25], s16, v[16:17]
	v_bfe_u32 v24, v24, 0, s17
	v_lshl_or_b32 v24, v24, 4, v22
	ds_add_u32 v24, v23 offset:24576
	s_add_i32 s16, s8, 56
	s_cmp_le_u32 s9, s16
	s_cbranch_scc1 .LBB1186_332
; %bb.331:
	s_sub_i32 s17, s9, s16
	s_min_u32 s17, s17, 8
	v_lshrrev_b64 v[24:25], s16, v[16:17]
	v_bfe_u32 v23, v24, 0, s17
	v_lshl_or_b32 v23, v23, 4, v22
	v_mov_b32_e32 v24, 1
	ds_add_u32 v23, v24 offset:28672
.LBB1186_332:
	v_and_b32_e32 v18, s12, v18
	v_lshl_or_b32 v18, v18, 4, v22
	v_lshrrev_b64 v[24:25], s13, v[14:15]
	ds_add_u32 v18, v19
	v_and_b32_e32 v18, s15, v24
	v_lshl_or_b32 v18, v18, 4, v22
	ds_add_u32 v18, v19 offset:4096
	s_andn2_b64 vcc, exec, s[10:11]
	s_cbranch_vccnz .LBB1186_339
; %bb.333:
	s_sub_i32 s10, s9, s14
	s_min_u32 s10, s10, 8
	v_lshrrev_b64 v[18:19], s14, v[14:15]
	v_bfe_u32 v18, v18, 0, s10
	v_lshl_or_b32 v19, v18, 4, v22
	v_mov_b32_e32 v18, 1
	ds_add_u32 v19, v18 offset:8192
	s_add_i32 s10, s8, 24
	s_cmp_gt_u32 s9, s10
	s_cbranch_scc0 .LBB1186_339
; %bb.334:
	s_sub_i32 s11, s9, s10
	s_min_u32 s11, s11, 8
	v_lshrrev_b64 v[24:25], s10, v[14:15]
	v_bfe_u32 v19, v24, 0, s11
	v_lshl_or_b32 v19, v19, 4, v22
	ds_add_u32 v19, v18 offset:12288
	s_add_i32 s10, s8, 32
	s_cmp_gt_u32 s9, s10
	s_cbranch_scc0 .LBB1186_339
; %bb.335:
	s_sub_i32 s11, s9, s10
	s_min_u32 s11, s11, 8
	v_lshrrev_b64 v[18:19], s10, v[14:15]
	v_bfe_u32 v18, v18, 0, s11
	v_lshl_or_b32 v19, v18, 4, v22
	v_mov_b32_e32 v18, 1
	ds_add_u32 v19, v18 offset:16384
	s_add_i32 s10, s8, 40
	s_cmp_gt_u32 s9, s10
	s_cbranch_scc0 .LBB1186_339
; %bb.336:
	s_sub_i32 s11, s9, s10
	s_min_u32 s11, s11, 8
	v_lshrrev_b64 v[24:25], s10, v[14:15]
	v_bfe_u32 v19, v24, 0, s11
	v_lshl_or_b32 v19, v19, 4, v22
	ds_add_u32 v19, v18 offset:20480
	s_add_i32 s10, s8, 48
	s_cmp_gt_u32 s9, s10
	s_cbranch_scc0 .LBB1186_339
; %bb.337:
	s_sub_i32 s11, s9, s10
	s_min_u32 s11, s11, 8
	v_lshrrev_b64 v[18:19], s10, v[14:15]
	v_bfe_u32 v18, v18, 0, s11
	v_lshl_or_b32 v18, v18, 4, v22
	v_mov_b32_e32 v19, 1
	ds_add_u32 v18, v19 offset:24576
	s_add_i32 s10, s8, 56
	s_cmp_gt_u32 s9, s10
	s_cbranch_scc0 .LBB1186_339
; %bb.338:
	s_sub_i32 s6, s9, s10
	s_min_u32 s6, s6, 8
	v_lshrrev_b64 v[18:19], s10, v[14:15]
	v_bfe_u32 v18, v18, 0, s6
	v_lshl_or_b32 v18, v18, 2, v1
	v_add_u32_e32 v19, 0x1c00, v18
	s_mov_b64 s[6:7], -1
	s_branch .LBB1186_340
.LBB1186_339:
                                        ; implicit-def: $vgpr19
.LBB1186_340:
	s_and_b64 vcc, exec, s[6:7]
	s_cbranch_vccz .LBB1186_342
; %bb.341:
	v_lshlrev_b32_e32 v18, 2, v19
	v_mov_b32_e32 v19, 1
	ds_add_u32 v18, v19
.LBB1186_342:
	s_waitcnt vmcnt(5)
	v_lshrrev_b64 v[18:19], s8, v[12:13]
	v_and_b32_e32 v18, s12, v18
	v_lshl_or_b32 v18, v18, 4, v22
	v_mov_b32_e32 v19, 1
	ds_add_u32 v18, v19
	s_and_b64 vcc, exec, s[4:5]
	s_waitcnt vmcnt(4)
	v_lshrrev_b64 v[18:19], s8, v[10:11]
	s_cbranch_vccz .LBB1186_344
; %bb.343:
	v_and_b32_e32 v19, s12, v18
	v_lshl_or_b32 v19, v19, 2, v1
	s_mov_b64 s[6:7], -1
	s_cbranch_execz .LBB1186_345
	s_branch .LBB1186_360
.LBB1186_344:
	s_mov_b64 s[6:7], 0
                                        ; implicit-def: $vgpr19
.LBB1186_345:
	s_sub_i32 s10, s9, s13
	s_min_u32 s10, s10, 8
	s_lshl_b32 s10, -1, s10
	s_not_b32 s15, s10
	v_lshrrev_b64 v[24:25], s13, v[12:13]
	v_and_b32_e32 v19, s15, v24
	v_lshl_or_b32 v23, v19, 4, v22
	v_mov_b32_e32 v19, 1
	ds_add_u32 v23, v19 offset:4096
	s_add_i32 s14, s8, 16
	s_cmp_gt_u32 s9, s14
	s_cselect_b64 s[10:11], -1, 0
	s_cmp_le_u32 s9, s14
	s_cbranch_scc1 .LBB1186_352
; %bb.346:
	s_sub_i32 s16, s9, s14
	s_min_u32 s16, s16, 8
	v_lshrrev_b64 v[24:25], s14, v[12:13]
	v_bfe_u32 v23, v24, 0, s16
	v_lshl_or_b32 v23, v23, 4, v22
	ds_add_u32 v23, v19 offset:8192
	s_add_i32 s16, s8, 24
	s_cmp_le_u32 s9, s16
	s_cbranch_scc1 .LBB1186_352
; %bb.347:
	s_sub_i32 s17, s9, s16
	s_min_u32 s17, s17, 8
	v_lshrrev_b64 v[24:25], s16, v[12:13]
	v_bfe_u32 v23, v24, 0, s17
	v_lshl_or_b32 v24, v23, 4, v22
	v_mov_b32_e32 v23, 1
	ds_add_u32 v24, v23 offset:12288
	s_add_i32 s16, s8, 32
	s_cmp_le_u32 s9, s16
	s_cbranch_scc1 .LBB1186_352
; %bb.348:
	s_sub_i32 s17, s9, s16
	s_min_u32 s17, s17, 8
	v_lshrrev_b64 v[24:25], s16, v[12:13]
	v_bfe_u32 v24, v24, 0, s17
	v_lshl_or_b32 v24, v24, 4, v22
	ds_add_u32 v24, v23 offset:16384
	s_add_i32 s16, s8, 40
	s_cmp_le_u32 s9, s16
	s_cbranch_scc1 .LBB1186_352
; %bb.349:
	s_sub_i32 s17, s9, s16
	s_min_u32 s17, s17, 8
	v_lshrrev_b64 v[24:25], s16, v[12:13]
	v_bfe_u32 v23, v24, 0, s17
	v_lshl_or_b32 v24, v23, 4, v22
	v_mov_b32_e32 v23, 1
	ds_add_u32 v24, v23 offset:20480
	s_add_i32 s16, s8, 48
	s_cmp_le_u32 s9, s16
	s_cbranch_scc1 .LBB1186_352
; %bb.350:
	s_sub_i32 s17, s9, s16
	s_min_u32 s17, s17, 8
	v_lshrrev_b64 v[24:25], s16, v[12:13]
	v_bfe_u32 v24, v24, 0, s17
	v_lshl_or_b32 v24, v24, 4, v22
	ds_add_u32 v24, v23 offset:24576
	s_add_i32 s16, s8, 56
	s_cmp_le_u32 s9, s16
	s_cbranch_scc1 .LBB1186_352
; %bb.351:
	s_sub_i32 s17, s9, s16
	s_min_u32 s17, s17, 8
	v_lshrrev_b64 v[24:25], s16, v[12:13]
	v_bfe_u32 v23, v24, 0, s17
	v_lshl_or_b32 v23, v23, 4, v22
	v_mov_b32_e32 v24, 1
	ds_add_u32 v23, v24 offset:28672
.LBB1186_352:
	v_and_b32_e32 v18, s12, v18
	v_lshl_or_b32 v18, v18, 4, v22
	v_lshrrev_b64 v[24:25], s13, v[10:11]
	ds_add_u32 v18, v19
	v_and_b32_e32 v18, s15, v24
	v_lshl_or_b32 v18, v18, 4, v22
	ds_add_u32 v18, v19 offset:4096
	s_andn2_b64 vcc, exec, s[10:11]
	s_cbranch_vccnz .LBB1186_359
; %bb.353:
	s_sub_i32 s10, s9, s14
	s_min_u32 s10, s10, 8
	v_lshrrev_b64 v[18:19], s14, v[10:11]
	v_bfe_u32 v18, v18, 0, s10
	v_lshl_or_b32 v19, v18, 4, v22
	v_mov_b32_e32 v18, 1
	ds_add_u32 v19, v18 offset:8192
	s_add_i32 s10, s8, 24
	s_cmp_gt_u32 s9, s10
	s_cbranch_scc0 .LBB1186_359
; %bb.354:
	s_sub_i32 s11, s9, s10
	s_min_u32 s11, s11, 8
	v_lshrrev_b64 v[24:25], s10, v[10:11]
	v_bfe_u32 v19, v24, 0, s11
	v_lshl_or_b32 v19, v19, 4, v22
	ds_add_u32 v19, v18 offset:12288
	s_add_i32 s10, s8, 32
	s_cmp_gt_u32 s9, s10
	s_cbranch_scc0 .LBB1186_359
; %bb.355:
	s_sub_i32 s11, s9, s10
	s_min_u32 s11, s11, 8
	v_lshrrev_b64 v[18:19], s10, v[10:11]
	v_bfe_u32 v18, v18, 0, s11
	v_lshl_or_b32 v19, v18, 4, v22
	v_mov_b32_e32 v18, 1
	ds_add_u32 v19, v18 offset:16384
	s_add_i32 s10, s8, 40
	s_cmp_gt_u32 s9, s10
	s_cbranch_scc0 .LBB1186_359
; %bb.356:
	s_sub_i32 s11, s9, s10
	s_min_u32 s11, s11, 8
	v_lshrrev_b64 v[24:25], s10, v[10:11]
	v_bfe_u32 v19, v24, 0, s11
	v_lshl_or_b32 v19, v19, 4, v22
	ds_add_u32 v19, v18 offset:20480
	s_add_i32 s10, s8, 48
	s_cmp_gt_u32 s9, s10
	s_cbranch_scc0 .LBB1186_359
; %bb.357:
	s_sub_i32 s11, s9, s10
	s_min_u32 s11, s11, 8
	v_lshrrev_b64 v[18:19], s10, v[10:11]
	v_bfe_u32 v18, v18, 0, s11
	v_lshl_or_b32 v18, v18, 4, v22
	v_mov_b32_e32 v19, 1
	ds_add_u32 v18, v19 offset:24576
	s_add_i32 s10, s8, 56
	s_cmp_gt_u32 s9, s10
	s_cbranch_scc0 .LBB1186_359
; %bb.358:
	s_sub_i32 s6, s9, s10
	s_min_u32 s6, s6, 8
	v_lshrrev_b64 v[18:19], s10, v[10:11]
	v_bfe_u32 v18, v18, 0, s6
	v_lshl_or_b32 v18, v18, 2, v1
	v_add_u32_e32 v19, 0x1c00, v18
	s_mov_b64 s[6:7], -1
	s_branch .LBB1186_360
.LBB1186_359:
                                        ; implicit-def: $vgpr19
.LBB1186_360:
	s_and_b64 vcc, exec, s[6:7]
	s_cbranch_vccz .LBB1186_362
; %bb.361:
	v_lshlrev_b32_e32 v18, 2, v19
	v_mov_b32_e32 v19, 1
	ds_add_u32 v18, v19
.LBB1186_362:
	s_waitcnt vmcnt(3)
	v_lshrrev_b64 v[18:19], s8, v[8:9]
	v_and_b32_e32 v18, s12, v18
	v_lshl_or_b32 v18, v18, 4, v22
	v_mov_b32_e32 v19, 1
	ds_add_u32 v18, v19
	s_and_b64 vcc, exec, s[4:5]
	s_waitcnt vmcnt(2)
	v_lshrrev_b64 v[18:19], s8, v[6:7]
	s_cbranch_vccz .LBB1186_364
; %bb.363:
	v_and_b32_e32 v19, s12, v18
	v_lshl_or_b32 v19, v19, 2, v1
	s_mov_b64 s[6:7], -1
	s_cbranch_execz .LBB1186_365
	s_branch .LBB1186_380
.LBB1186_364:
	s_mov_b64 s[6:7], 0
                                        ; implicit-def: $vgpr19
.LBB1186_365:
	s_sub_i32 s10, s9, s13
	s_min_u32 s10, s10, 8
	s_lshl_b32 s10, -1, s10
	s_not_b32 s15, s10
	v_lshrrev_b64 v[24:25], s13, v[8:9]
	v_and_b32_e32 v19, s15, v24
	v_lshl_or_b32 v23, v19, 4, v22
	v_mov_b32_e32 v19, 1
	ds_add_u32 v23, v19 offset:4096
	s_add_i32 s14, s8, 16
	s_cmp_gt_u32 s9, s14
	s_cselect_b64 s[10:11], -1, 0
	s_cmp_le_u32 s9, s14
	s_cbranch_scc1 .LBB1186_372
; %bb.366:
	s_sub_i32 s16, s9, s14
	s_min_u32 s16, s16, 8
	v_lshrrev_b64 v[24:25], s14, v[8:9]
	v_bfe_u32 v23, v24, 0, s16
	v_lshl_or_b32 v23, v23, 4, v22
	ds_add_u32 v23, v19 offset:8192
	s_add_i32 s16, s8, 24
	s_cmp_le_u32 s9, s16
	s_cbranch_scc1 .LBB1186_372
; %bb.367:
	s_sub_i32 s17, s9, s16
	s_min_u32 s17, s17, 8
	v_lshrrev_b64 v[24:25], s16, v[8:9]
	v_bfe_u32 v23, v24, 0, s17
	v_lshl_or_b32 v24, v23, 4, v22
	v_mov_b32_e32 v23, 1
	ds_add_u32 v24, v23 offset:12288
	s_add_i32 s16, s8, 32
	s_cmp_le_u32 s9, s16
	s_cbranch_scc1 .LBB1186_372
; %bb.368:
	s_sub_i32 s17, s9, s16
	s_min_u32 s17, s17, 8
	v_lshrrev_b64 v[24:25], s16, v[8:9]
	v_bfe_u32 v24, v24, 0, s17
	v_lshl_or_b32 v24, v24, 4, v22
	ds_add_u32 v24, v23 offset:16384
	s_add_i32 s16, s8, 40
	s_cmp_le_u32 s9, s16
	s_cbranch_scc1 .LBB1186_372
; %bb.369:
	s_sub_i32 s17, s9, s16
	s_min_u32 s17, s17, 8
	v_lshrrev_b64 v[24:25], s16, v[8:9]
	v_bfe_u32 v23, v24, 0, s17
	v_lshl_or_b32 v24, v23, 4, v22
	v_mov_b32_e32 v23, 1
	ds_add_u32 v24, v23 offset:20480
	s_add_i32 s16, s8, 48
	s_cmp_le_u32 s9, s16
	s_cbranch_scc1 .LBB1186_372
; %bb.370:
	s_sub_i32 s17, s9, s16
	s_min_u32 s17, s17, 8
	v_lshrrev_b64 v[24:25], s16, v[8:9]
	v_bfe_u32 v24, v24, 0, s17
	v_lshl_or_b32 v24, v24, 4, v22
	ds_add_u32 v24, v23 offset:24576
	s_add_i32 s16, s8, 56
	s_cmp_le_u32 s9, s16
	s_cbranch_scc1 .LBB1186_372
; %bb.371:
	s_sub_i32 s17, s9, s16
	s_min_u32 s17, s17, 8
	v_lshrrev_b64 v[24:25], s16, v[8:9]
	v_bfe_u32 v23, v24, 0, s17
	v_lshl_or_b32 v23, v23, 4, v22
	v_mov_b32_e32 v24, 1
	ds_add_u32 v23, v24 offset:28672
.LBB1186_372:
	v_and_b32_e32 v18, s12, v18
	v_lshl_or_b32 v18, v18, 4, v22
	v_lshrrev_b64 v[24:25], s13, v[6:7]
	ds_add_u32 v18, v19
	v_and_b32_e32 v18, s15, v24
	v_lshl_or_b32 v18, v18, 4, v22
	ds_add_u32 v18, v19 offset:4096
	s_andn2_b64 vcc, exec, s[10:11]
	s_cbranch_vccnz .LBB1186_379
; %bb.373:
	s_sub_i32 s10, s9, s14
	s_min_u32 s10, s10, 8
	v_lshrrev_b64 v[18:19], s14, v[6:7]
	v_bfe_u32 v18, v18, 0, s10
	v_lshl_or_b32 v19, v18, 4, v22
	v_mov_b32_e32 v18, 1
	ds_add_u32 v19, v18 offset:8192
	s_add_i32 s10, s8, 24
	s_cmp_gt_u32 s9, s10
	s_cbranch_scc0 .LBB1186_379
; %bb.374:
	s_sub_i32 s11, s9, s10
	s_min_u32 s11, s11, 8
	v_lshrrev_b64 v[24:25], s10, v[6:7]
	v_bfe_u32 v19, v24, 0, s11
	v_lshl_or_b32 v19, v19, 4, v22
	ds_add_u32 v19, v18 offset:12288
	s_add_i32 s10, s8, 32
	s_cmp_gt_u32 s9, s10
	s_cbranch_scc0 .LBB1186_379
; %bb.375:
	s_sub_i32 s11, s9, s10
	s_min_u32 s11, s11, 8
	v_lshrrev_b64 v[18:19], s10, v[6:7]
	v_bfe_u32 v18, v18, 0, s11
	v_lshl_or_b32 v19, v18, 4, v22
	v_mov_b32_e32 v18, 1
	ds_add_u32 v19, v18 offset:16384
	s_add_i32 s10, s8, 40
	s_cmp_gt_u32 s9, s10
	s_cbranch_scc0 .LBB1186_379
; %bb.376:
	s_sub_i32 s11, s9, s10
	s_min_u32 s11, s11, 8
	v_lshrrev_b64 v[24:25], s10, v[6:7]
	v_bfe_u32 v19, v24, 0, s11
	v_lshl_or_b32 v19, v19, 4, v22
	ds_add_u32 v19, v18 offset:20480
	s_add_i32 s10, s8, 48
	s_cmp_gt_u32 s9, s10
	s_cbranch_scc0 .LBB1186_379
; %bb.377:
	s_sub_i32 s11, s9, s10
	s_min_u32 s11, s11, 8
	v_lshrrev_b64 v[18:19], s10, v[6:7]
	v_bfe_u32 v18, v18, 0, s11
	v_lshl_or_b32 v18, v18, 4, v22
	v_mov_b32_e32 v19, 1
	ds_add_u32 v18, v19 offset:24576
	s_add_i32 s10, s8, 56
	s_cmp_gt_u32 s9, s10
	s_cbranch_scc0 .LBB1186_379
; %bb.378:
	s_sub_i32 s6, s9, s10
	s_min_u32 s6, s6, 8
	v_lshrrev_b64 v[18:19], s10, v[6:7]
	v_bfe_u32 v18, v18, 0, s6
	v_lshl_or_b32 v18, v18, 2, v1
	v_add_u32_e32 v19, 0x1c00, v18
	s_mov_b64 s[6:7], -1
	s_branch .LBB1186_380
.LBB1186_379:
                                        ; implicit-def: $vgpr19
.LBB1186_380:
	s_and_b64 vcc, exec, s[6:7]
	s_cbranch_vccz .LBB1186_382
; %bb.381:
	v_lshlrev_b32_e32 v18, 2, v19
	v_mov_b32_e32 v19, 1
	ds_add_u32 v18, v19
.LBB1186_382:
	s_waitcnt vmcnt(1)
	v_lshrrev_b64 v[18:19], s8, v[4:5]
	v_and_b32_e32 v18, s12, v18
	v_lshl_or_b32 v18, v18, 4, v22
	v_mov_b32_e32 v19, 1
	ds_add_u32 v18, v19
	s_and_b64 vcc, exec, s[4:5]
	s_waitcnt vmcnt(0)
	v_lshrrev_b64 v[18:19], s8, v[2:3]
	s_cbranch_vccz .LBB1186_384
; %bb.383:
	v_and_b32_e32 v19, s12, v18
	v_lshl_or_b32 v19, v19, 2, v1
	s_mov_b64 s[4:5], -1
	s_cbranch_execz .LBB1186_385
	s_branch .LBB1186_400
.LBB1186_384:
	s_mov_b64 s[4:5], 0
                                        ; implicit-def: $vgpr19
.LBB1186_385:
	s_sub_i32 s6, s9, s13
	s_min_u32 s6, s6, 8
	s_lshl_b32 s6, -1, s6
	s_not_b32 s11, s6
	v_lshrrev_b64 v[24:25], s13, v[4:5]
	v_and_b32_e32 v19, s11, v24
	v_lshl_or_b32 v23, v19, 4, v22
	v_mov_b32_e32 v19, 1
	ds_add_u32 v23, v19 offset:4096
	s_add_i32 s10, s8, 16
	s_cmp_gt_u32 s9, s10
	s_cselect_b64 s[6:7], -1, 0
	s_cmp_le_u32 s9, s10
	s_cbranch_scc1 .LBB1186_392
; %bb.386:
	s_sub_i32 s14, s9, s10
	s_min_u32 s14, s14, 8
	v_lshrrev_b64 v[24:25], s10, v[4:5]
	v_bfe_u32 v23, v24, 0, s14
	v_lshl_or_b32 v23, v23, 4, v22
	ds_add_u32 v23, v19 offset:8192
	s_add_i32 s14, s8, 24
	s_cmp_le_u32 s9, s14
	s_cbranch_scc1 .LBB1186_392
; %bb.387:
	s_sub_i32 s15, s9, s14
	s_min_u32 s15, s15, 8
	v_lshrrev_b64 v[24:25], s14, v[4:5]
	v_bfe_u32 v23, v24, 0, s15
	v_lshl_or_b32 v24, v23, 4, v22
	v_mov_b32_e32 v23, 1
	ds_add_u32 v24, v23 offset:12288
	s_add_i32 s14, s8, 32
	s_cmp_le_u32 s9, s14
	s_cbranch_scc1 .LBB1186_392
; %bb.388:
	s_sub_i32 s15, s9, s14
	s_min_u32 s15, s15, 8
	v_lshrrev_b64 v[24:25], s14, v[4:5]
	v_bfe_u32 v24, v24, 0, s15
	v_lshl_or_b32 v24, v24, 4, v22
	ds_add_u32 v24, v23 offset:16384
	s_add_i32 s14, s8, 40
	s_cmp_le_u32 s9, s14
	s_cbranch_scc1 .LBB1186_392
; %bb.389:
	s_sub_i32 s15, s9, s14
	s_min_u32 s15, s15, 8
	v_lshrrev_b64 v[24:25], s14, v[4:5]
	v_bfe_u32 v23, v24, 0, s15
	v_lshl_or_b32 v24, v23, 4, v22
	v_mov_b32_e32 v23, 1
	ds_add_u32 v24, v23 offset:20480
	s_add_i32 s14, s8, 48
	s_cmp_le_u32 s9, s14
	s_cbranch_scc1 .LBB1186_392
; %bb.390:
	s_sub_i32 s15, s9, s14
	s_min_u32 s15, s15, 8
	v_lshrrev_b64 v[24:25], s14, v[4:5]
	v_bfe_u32 v24, v24, 0, s15
	v_lshl_or_b32 v24, v24, 4, v22
	ds_add_u32 v24, v23 offset:24576
	s_add_i32 s14, s8, 56
	s_cmp_le_u32 s9, s14
	s_cbranch_scc1 .LBB1186_392
; %bb.391:
	s_sub_i32 s15, s9, s14
	s_min_u32 s15, s15, 8
	v_lshrrev_b64 v[24:25], s14, v[4:5]
	v_bfe_u32 v23, v24, 0, s15
	v_lshl_or_b32 v23, v23, 4, v22
	v_mov_b32_e32 v24, 1
	ds_add_u32 v23, v24 offset:28672
.LBB1186_392:
	v_and_b32_e32 v18, s12, v18
	v_lshl_or_b32 v18, v18, 4, v22
	v_lshrrev_b64 v[24:25], s13, v[2:3]
	ds_add_u32 v18, v19
	v_and_b32_e32 v18, s11, v24
	v_lshl_or_b32 v18, v18, 4, v22
	ds_add_u32 v18, v19 offset:4096
	s_andn2_b64 vcc, exec, s[6:7]
	s_cbranch_vccnz .LBB1186_399
; %bb.393:
	s_sub_i32 s6, s9, s10
	s_min_u32 s6, s6, 8
	v_lshrrev_b64 v[18:19], s10, v[2:3]
	v_bfe_u32 v18, v18, 0, s6
	v_lshl_or_b32 v19, v18, 4, v22
	v_mov_b32_e32 v18, 1
	ds_add_u32 v19, v18 offset:8192
	s_add_i32 s6, s8, 24
	s_cmp_gt_u32 s9, s6
	s_cbranch_scc0 .LBB1186_399
; %bb.394:
	s_sub_i32 s7, s9, s6
	s_min_u32 s7, s7, 8
	v_lshrrev_b64 v[24:25], s6, v[2:3]
	v_bfe_u32 v19, v24, 0, s7
	v_lshl_or_b32 v19, v19, 4, v22
	ds_add_u32 v19, v18 offset:12288
	s_add_i32 s6, s8, 32
	s_cmp_gt_u32 s9, s6
	s_cbranch_scc0 .LBB1186_399
; %bb.395:
	s_sub_i32 s7, s9, s6
	s_min_u32 s7, s7, 8
	v_lshrrev_b64 v[18:19], s6, v[2:3]
	v_bfe_u32 v18, v18, 0, s7
	v_lshl_or_b32 v19, v18, 4, v22
	v_mov_b32_e32 v18, 1
	ds_add_u32 v19, v18 offset:16384
	s_add_i32 s6, s8, 40
	s_cmp_gt_u32 s9, s6
	s_cbranch_scc0 .LBB1186_399
; %bb.396:
	s_sub_i32 s7, s9, s6
	s_min_u32 s7, s7, 8
	v_lshrrev_b64 v[24:25], s6, v[2:3]
	v_bfe_u32 v19, v24, 0, s7
	v_lshl_or_b32 v19, v19, 4, v22
	ds_add_u32 v19, v18 offset:20480
	s_add_i32 s6, s8, 48
	s_cmp_gt_u32 s9, s6
	s_cbranch_scc0 .LBB1186_399
; %bb.397:
	s_sub_i32 s7, s9, s6
	s_min_u32 s7, s7, 8
	v_lshrrev_b64 v[18:19], s6, v[2:3]
	v_bfe_u32 v18, v18, 0, s7
	v_lshl_or_b32 v18, v18, 4, v22
	v_mov_b32_e32 v19, 1
	ds_add_u32 v18, v19 offset:24576
	s_add_i32 s6, s8, 56
	s_cmp_gt_u32 s9, s6
	s_cbranch_scc0 .LBB1186_399
; %bb.398:
	s_sub_i32 s4, s9, s6
	s_min_u32 s4, s4, 8
	v_lshrrev_b64 v[18:19], s6, v[2:3]
	v_bfe_u32 v18, v18, 0, s4
	v_lshl_or_b32 v1, v18, 2, v1
	v_add_u32_e32 v19, 0x1c00, v1
	s_mov_b64 s[4:5], -1
	s_branch .LBB1186_400
.LBB1186_399:
                                        ; implicit-def: $vgpr19
.LBB1186_400:
	s_and_b64 vcc, exec, s[4:5]
	s_cbranch_vccz .LBB1186_402
; %bb.401:
	v_lshlrev_b32_e32 v1, 2, v19
	v_mov_b32_e32 v18, 1
	ds_add_u32 v1, v18
.LBB1186_402:
	s_and_b64 vcc, exec, s[0:1]
	s_waitcnt lgkmcnt(0)
	s_barrier
	s_cbranch_vccz .LBB1186_407
; %bb.403:
	s_movk_i32 s0, 0x100
	v_cmp_gt_u32_e32 vcc, s0, v0
	v_lshlrev_b32_e32 v1, 4, v0
	v_mov_b32_e32 v19, 0
	v_mov_b32_e32 v18, v0
	s_branch .LBB1186_405
.LBB1186_404:                           ;   in Loop: Header=BB1186_405 Depth=1
	s_or_b64 exec, exec, s[4:5]
	s_add_i32 s8, s8, 8
	v_add_u32_e32 v18, 0x100, v18
	s_cmp_ge_u32 s8, s9
	v_add_u32_e32 v1, 0x1000, v1
	s_cbranch_scc1 .LBB1186_407
.LBB1186_405:                           ; =>This Inner Loop Header: Depth=1
	s_and_saveexec_b64 s[4:5], vcc
	s_cbranch_execz .LBB1186_404
; %bb.406:                              ;   in Loop: Header=BB1186_405 Depth=1
	ds_read2_b32 v[22:23], v1 offset1:1
	ds_read2_b32 v[24:25], v1 offset0:2 offset1:3
	v_lshlrev_b64 v[26:27], 3, v[18:19]
	v_mov_b32_e32 v28, s3
	s_waitcnt lgkmcnt(1)
	v_add_u32_e32 v22, v23, v22
	s_waitcnt lgkmcnt(0)
	v_add3_u32 v22, v22, v24, v25
	v_add_co_u32_e64 v24, s[0:1], s2, v26
	v_addc_co_u32_e64 v25, s[0:1], v28, v27, s[0:1]
	v_mov_b32_e32 v23, v19
	global_atomic_add_x2 v[24:25], v[22:23], off
	s_branch .LBB1186_404
.LBB1186_407:
	s_mov_b64 s[0:1], 0
.LBB1186_408:
	s_and_b64 vcc, exec, s[0:1]
	s_cbranch_vccz .LBB1186_411
; %bb.409:
	v_and_b32_e32 v18, 3, v0
	s_waitcnt vmcnt(7)
	v_lshlrev_b32_e32 v19, 2, v16
	s_movk_i32 s0, 0x3fc
	v_mov_b32_e32 v1, 0
	v_and_or_b32 v19, v19, s0, v18
	ds_write2st64_b32 v21, v1, v1 offset1:16
	ds_write2st64_b32 v21, v1, v1 offset0:32 offset1:48
	ds_write2st64_b32 v21, v1, v1 offset0:64 offset1:80
	;; [unrolled: 1-line block ×3, first 2 shown]
	v_lshlrev_b32_e32 v19, 2, v19
	v_mov_b32_e32 v21, 1
	s_waitcnt lgkmcnt(0)
	s_barrier
	ds_add_u32 v19, v21
	v_bfe_u32 v19, v16, 8, 8
	v_lshl_or_b32 v19, v19, 2, v18
	v_lshlrev_b32_e32 v19, 2, v19
	ds_add_u32 v19, v21 offset:4096
	v_bfe_u32 v19, v16, 16, 8
	v_lshl_or_b32 v19, v19, 2, v18
	v_lshlrev_b32_e32 v19, 2, v19
	ds_add_u32 v19, v21 offset:8192
	v_lshrrev_b32_e32 v19, 24, v16
	v_lshl_or_b32 v19, v19, 2, v18
	v_alignbit_b32 v16, v17, v16, 30
	v_lshlrev_b32_e32 v19, 2, v19
	v_and_or_b32 v16, v16, s0, v18
	ds_add_u32 v19, v21 offset:12288
	v_lshlrev_b32_e32 v16, 2, v16
	ds_add_u32 v16, v21 offset:16384
	v_bfe_u32 v16, v17, 8, 8
	v_lshl_or_b32 v16, v16, 2, v18
	v_lshlrev_b32_e32 v16, 2, v16
	ds_add_u32 v16, v21 offset:20480
	v_bfe_u32 v16, v17, 16, 8
	v_lshl_or_b32 v16, v16, 2, v18
	v_lshlrev_b32_e32 v16, 2, v16
	ds_add_u32 v16, v21 offset:24576
	v_lshrrev_b32_e32 v16, 24, v17
	v_lshl_or_b32 v16, v16, 2, v18
	v_lshlrev_b32_e32 v16, 2, v16
	ds_add_u32 v16, v21 offset:28672
	s_waitcnt vmcnt(6)
	v_lshlrev_b32_e32 v16, 2, v14
	v_and_or_b32 v16, v16, s0, v18
	v_lshlrev_b32_e32 v16, 2, v16
	ds_add_u32 v16, v21
	v_bfe_u32 v16, v14, 8, 8
	v_lshl_or_b32 v16, v16, 2, v18
	v_lshlrev_b32_e32 v16, 2, v16
	ds_add_u32 v16, v21 offset:4096
	v_bfe_u32 v16, v14, 16, 8
	v_lshl_or_b32 v16, v16, 2, v18
	v_lshlrev_b32_e32 v16, 2, v16
	ds_add_u32 v16, v21 offset:8192
	v_lshrrev_b32_e32 v16, 24, v14
	v_lshl_or_b32 v16, v16, 2, v18
	v_alignbit_b32 v14, v15, v14, 30
	v_lshlrev_b32_e32 v16, 2, v16
	v_and_or_b32 v14, v14, s0, v18
	ds_add_u32 v16, v21 offset:12288
	v_lshlrev_b32_e32 v14, 2, v14
	ds_add_u32 v14, v21 offset:16384
	v_bfe_u32 v14, v15, 8, 8
	v_lshl_or_b32 v14, v14, 2, v18
	v_lshlrev_b32_e32 v14, 2, v14
	ds_add_u32 v14, v21 offset:20480
	v_bfe_u32 v14, v15, 16, 8
	v_lshl_or_b32 v14, v14, 2, v18
	v_lshlrev_b32_e32 v14, 2, v14
	ds_add_u32 v14, v21 offset:24576
	v_lshrrev_b32_e32 v14, 24, v15
	v_lshl_or_b32 v14, v14, 2, v18
	v_lshlrev_b32_e32 v14, 2, v14
	ds_add_u32 v14, v21 offset:28672
	s_waitcnt vmcnt(5)
	v_lshlrev_b32_e32 v14, 2, v12
	v_and_or_b32 v14, v14, s0, v18
	v_lshlrev_b32_e32 v14, 2, v14
	;; [unrolled: 33-line block ×7, first 2 shown]
	ds_add_u32 v4, v21
	v_bfe_u32 v4, v2, 8, 8
	v_lshl_or_b32 v4, v4, 2, v18
	v_lshlrev_b32_e32 v4, 2, v4
	ds_add_u32 v4, v21 offset:4096
	v_bfe_u32 v4, v2, 16, 8
	v_lshl_or_b32 v4, v4, 2, v18
	v_lshlrev_b32_e32 v4, 2, v4
	ds_add_u32 v4, v21 offset:8192
	v_lshrrev_b32_e32 v4, 24, v2
	v_lshl_or_b32 v4, v4, 2, v18
	v_alignbit_b32 v2, v3, v2, 30
	v_lshlrev_b32_e32 v4, 2, v4
	v_and_or_b32 v2, v2, s0, v18
	ds_add_u32 v4, v21 offset:12288
	v_lshlrev_b32_e32 v2, 2, v2
	ds_add_u32 v2, v21 offset:16384
	v_bfe_u32 v2, v3, 8, 8
	v_lshl_or_b32 v2, v2, 2, v18
	v_lshlrev_b32_e32 v2, 2, v2
	ds_add_u32 v2, v21 offset:20480
	v_bfe_u32 v2, v3, 16, 8
	v_lshl_or_b32 v2, v2, 2, v18
	v_lshlrev_b32_e32 v2, 2, v2
	ds_add_u32 v2, v21 offset:24576
	v_lshrrev_b32_e32 v2, 24, v3
	v_lshl_or_b32 v2, v2, 2, v18
	v_lshlrev_b32_e32 v2, 2, v2
	ds_add_u32 v2, v21 offset:28672
	s_movk_i32 s0, 0x100
	v_cmp_gt_u32_e32 vcc, s0, v0
	s_waitcnt lgkmcnt(0)
	s_barrier
	s_and_saveexec_b64 s[0:1], vcc
	s_cbranch_execz .LBB1186_411
; %bb.410:
	v_lshlrev_b32_e32 v6, 4, v0
	ds_read2_b32 v[2:3], v6 offset1:1
	ds_read2_b32 v[4:5], v6 offset0:2 offset1:3
	v_add_u32_e32 v7, 0x1000, v6
	v_add_u32_e32 v8, 0x1008, v6
	;; [unrolled: 1-line block ×3, first 2 shown]
	s_waitcnt lgkmcnt(1)
	v_add_u32_e32 v0, v3, v2
	s_waitcnt lgkmcnt(0)
	v_add3_u32 v0, v0, v4, v5
	global_atomic_add_x2 v20, v[0:1], s[2:3]
	ds_read2_b32 v[2:3], v7 offset1:1
	ds_read2_b32 v[4:5], v8 offset1:1
	v_add_u32_e32 v7, 0x2000, v6
	v_add_u32_e32 v8, 0x2008, v6
	s_waitcnt lgkmcnt(1)
	v_add_u32_e32 v0, v3, v2
	s_waitcnt lgkmcnt(0)
	v_add3_u32 v0, v0, v4, v5
	global_atomic_add_x2 v20, v[0:1], s[2:3] offset:2048
	ds_read2_b32 v[2:3], v7 offset1:1
	ds_read2_b32 v[4:5], v8 offset1:1
	v_or_b32_e32 v7, 0x1000, v20
	v_add_u32_e32 v8, 0x3000, v6
	s_waitcnt lgkmcnt(1)
	v_add_u32_e32 v0, v3, v2
	s_waitcnt lgkmcnt(0)
	v_add3_u32 v0, v0, v4, v5
	global_atomic_add_x2 v7, v[0:1], s[2:3]
	ds_read2_b32 v[2:3], v8 offset1:1
	ds_read2_b32 v[4:5], v9 offset1:1
	v_or_b32_e32 v7, 0x1800, v20
	v_or_b32_e32 v8, 0x4000, v6
	;; [unrolled: 1-line block ×3, first 2 shown]
	s_waitcnt lgkmcnt(1)
	v_add_u32_e32 v0, v3, v2
	s_waitcnt lgkmcnt(0)
	v_add3_u32 v0, v0, v4, v5
	global_atomic_add_x2 v7, v[0:1], s[2:3]
	ds_read2_b32 v[2:3], v8 offset1:1
	ds_read2_b32 v[4:5], v9 offset1:1
	v_or_b32_e32 v7, 0x2000, v20
	v_add_u32_e32 v8, 0x5000, v6
	v_add_u32_e32 v9, 0x5008, v6
	s_waitcnt lgkmcnt(1)
	v_add_u32_e32 v0, v3, v2
	s_waitcnt lgkmcnt(0)
	v_add3_u32 v0, v0, v4, v5
	global_atomic_add_x2 v7, v[0:1], s[2:3]
	ds_read2_b32 v[2:3], v8 offset1:1
	ds_read2_b32 v[4:5], v9 offset1:1
	v_or_b32_e32 v7, 0x2800, v20
	v_add_u32_e32 v8, 0x6000, v6
	v_add_u32_e32 v9, 0x6008, v6
	;; [unrolled: 10-line block ×3, first 2 shown]
	s_waitcnt lgkmcnt(1)
	v_add_u32_e32 v0, v3, v2
	s_waitcnt lgkmcnt(0)
	v_add3_u32 v0, v0, v4, v5
	global_atomic_add_x2 v7, v[0:1], s[2:3]
	ds_read2_b32 v[2:3], v8 offset1:1
	ds_read2_b32 v[4:5], v6 offset1:1
	s_waitcnt lgkmcnt(1)
	v_add_u32_e32 v0, v3, v2
	s_waitcnt lgkmcnt(0)
	v_add3_u32 v0, v0, v4, v5
	v_or_b32_e32 v2, 0x3800, v20
	global_atomic_add_x2 v2, v[0:1], s[2:3]
.LBB1186_411:
	s_endpgm
	.section	.rodata,"a",@progbits
	.p2align	6, 0x0
	.amdhsa_kernel _ZN7rocprim17ROCPRIM_400000_NS6detail17trampoline_kernelINS0_14default_configENS1_35radix_sort_onesweep_config_selectorIyNS0_10empty_typeEEEZNS1_34radix_sort_onesweep_global_offsetsIS3_Lb0EPyPS5_mNS0_19identity_decomposerEEE10hipError_tT1_T2_PT3_SE_jT4_jjP12ihipStream_tbEUlT_E_NS1_11comp_targetILNS1_3genE4ELNS1_11target_archE910ELNS1_3gpuE8ELNS1_3repE0EEENS1_52radix_sort_onesweep_histogram_config_static_selectorELNS0_4arch9wavefront6targetE1EEEvSC_
		.amdhsa_group_segment_fixed_size 32768
		.amdhsa_private_segment_fixed_size 0
		.amdhsa_kernarg_size 48
		.amdhsa_user_sgpr_count 6
		.amdhsa_user_sgpr_private_segment_buffer 1
		.amdhsa_user_sgpr_dispatch_ptr 0
		.amdhsa_user_sgpr_queue_ptr 0
		.amdhsa_user_sgpr_kernarg_segment_ptr 1
		.amdhsa_user_sgpr_dispatch_id 0
		.amdhsa_user_sgpr_flat_scratch_init 0
		.amdhsa_user_sgpr_kernarg_preload_length 0
		.amdhsa_user_sgpr_kernarg_preload_offset 0
		.amdhsa_user_sgpr_private_segment_size 0
		.amdhsa_uses_dynamic_stack 0
		.amdhsa_system_sgpr_private_segment_wavefront_offset 0
		.amdhsa_system_sgpr_workgroup_id_x 1
		.amdhsa_system_sgpr_workgroup_id_y 0
		.amdhsa_system_sgpr_workgroup_id_z 0
		.amdhsa_system_sgpr_workgroup_info 0
		.amdhsa_system_vgpr_workitem_id 0
		.amdhsa_next_free_vgpr 29
		.amdhsa_next_free_sgpr 18
		.amdhsa_accum_offset 32
		.amdhsa_reserve_vcc 1
		.amdhsa_reserve_flat_scratch 0
		.amdhsa_float_round_mode_32 0
		.amdhsa_float_round_mode_16_64 0
		.amdhsa_float_denorm_mode_32 3
		.amdhsa_float_denorm_mode_16_64 3
		.amdhsa_dx10_clamp 1
		.amdhsa_ieee_mode 1
		.amdhsa_fp16_overflow 0
		.amdhsa_tg_split 0
		.amdhsa_exception_fp_ieee_invalid_op 0
		.amdhsa_exception_fp_denorm_src 0
		.amdhsa_exception_fp_ieee_div_zero 0
		.amdhsa_exception_fp_ieee_overflow 0
		.amdhsa_exception_fp_ieee_underflow 0
		.amdhsa_exception_fp_ieee_inexact 0
		.amdhsa_exception_int_div_zero 0
	.end_amdhsa_kernel
	.section	.text._ZN7rocprim17ROCPRIM_400000_NS6detail17trampoline_kernelINS0_14default_configENS1_35radix_sort_onesweep_config_selectorIyNS0_10empty_typeEEEZNS1_34radix_sort_onesweep_global_offsetsIS3_Lb0EPyPS5_mNS0_19identity_decomposerEEE10hipError_tT1_T2_PT3_SE_jT4_jjP12ihipStream_tbEUlT_E_NS1_11comp_targetILNS1_3genE4ELNS1_11target_archE910ELNS1_3gpuE8ELNS1_3repE0EEENS1_52radix_sort_onesweep_histogram_config_static_selectorELNS0_4arch9wavefront6targetE1EEEvSC_,"axG",@progbits,_ZN7rocprim17ROCPRIM_400000_NS6detail17trampoline_kernelINS0_14default_configENS1_35radix_sort_onesweep_config_selectorIyNS0_10empty_typeEEEZNS1_34radix_sort_onesweep_global_offsetsIS3_Lb0EPyPS5_mNS0_19identity_decomposerEEE10hipError_tT1_T2_PT3_SE_jT4_jjP12ihipStream_tbEUlT_E_NS1_11comp_targetILNS1_3genE4ELNS1_11target_archE910ELNS1_3gpuE8ELNS1_3repE0EEENS1_52radix_sort_onesweep_histogram_config_static_selectorELNS0_4arch9wavefront6targetE1EEEvSC_,comdat
.Lfunc_end1186:
	.size	_ZN7rocprim17ROCPRIM_400000_NS6detail17trampoline_kernelINS0_14default_configENS1_35radix_sort_onesweep_config_selectorIyNS0_10empty_typeEEEZNS1_34radix_sort_onesweep_global_offsetsIS3_Lb0EPyPS5_mNS0_19identity_decomposerEEE10hipError_tT1_T2_PT3_SE_jT4_jjP12ihipStream_tbEUlT_E_NS1_11comp_targetILNS1_3genE4ELNS1_11target_archE910ELNS1_3gpuE8ELNS1_3repE0EEENS1_52radix_sort_onesweep_histogram_config_static_selectorELNS0_4arch9wavefront6targetE1EEEvSC_, .Lfunc_end1186-_ZN7rocprim17ROCPRIM_400000_NS6detail17trampoline_kernelINS0_14default_configENS1_35radix_sort_onesweep_config_selectorIyNS0_10empty_typeEEEZNS1_34radix_sort_onesweep_global_offsetsIS3_Lb0EPyPS5_mNS0_19identity_decomposerEEE10hipError_tT1_T2_PT3_SE_jT4_jjP12ihipStream_tbEUlT_E_NS1_11comp_targetILNS1_3genE4ELNS1_11target_archE910ELNS1_3gpuE8ELNS1_3repE0EEENS1_52radix_sort_onesweep_histogram_config_static_selectorELNS0_4arch9wavefront6targetE1EEEvSC_
                                        ; -- End function
	.section	.AMDGPU.csdata,"",@progbits
; Kernel info:
; codeLenInByte = 15024
; NumSgprs: 22
; NumVgprs: 29
; NumAgprs: 0
; TotalNumVgprs: 29
; ScratchSize: 0
; MemoryBound: 0
; FloatMode: 240
; IeeeMode: 1
; LDSByteSize: 32768 bytes/workgroup (compile time only)
; SGPRBlocks: 2
; VGPRBlocks: 3
; NumSGPRsForWavesPerEU: 22
; NumVGPRsForWavesPerEU: 29
; AccumOffset: 32
; Occupancy: 8
; WaveLimiterHint : 1
; COMPUTE_PGM_RSRC2:SCRATCH_EN: 0
; COMPUTE_PGM_RSRC2:USER_SGPR: 6
; COMPUTE_PGM_RSRC2:TRAP_HANDLER: 0
; COMPUTE_PGM_RSRC2:TGID_X_EN: 1
; COMPUTE_PGM_RSRC2:TGID_Y_EN: 0
; COMPUTE_PGM_RSRC2:TGID_Z_EN: 0
; COMPUTE_PGM_RSRC2:TIDIG_COMP_CNT: 0
; COMPUTE_PGM_RSRC3_GFX90A:ACCUM_OFFSET: 7
; COMPUTE_PGM_RSRC3_GFX90A:TG_SPLIT: 0
	.section	.text._ZN7rocprim17ROCPRIM_400000_NS6detail17trampoline_kernelINS0_14default_configENS1_35radix_sort_onesweep_config_selectorIyNS0_10empty_typeEEEZNS1_34radix_sort_onesweep_global_offsetsIS3_Lb0EPyPS5_mNS0_19identity_decomposerEEE10hipError_tT1_T2_PT3_SE_jT4_jjP12ihipStream_tbEUlT_E_NS1_11comp_targetILNS1_3genE3ELNS1_11target_archE908ELNS1_3gpuE7ELNS1_3repE0EEENS1_52radix_sort_onesweep_histogram_config_static_selectorELNS0_4arch9wavefront6targetE1EEEvSC_,"axG",@progbits,_ZN7rocprim17ROCPRIM_400000_NS6detail17trampoline_kernelINS0_14default_configENS1_35radix_sort_onesweep_config_selectorIyNS0_10empty_typeEEEZNS1_34radix_sort_onesweep_global_offsetsIS3_Lb0EPyPS5_mNS0_19identity_decomposerEEE10hipError_tT1_T2_PT3_SE_jT4_jjP12ihipStream_tbEUlT_E_NS1_11comp_targetILNS1_3genE3ELNS1_11target_archE908ELNS1_3gpuE7ELNS1_3repE0EEENS1_52radix_sort_onesweep_histogram_config_static_selectorELNS0_4arch9wavefront6targetE1EEEvSC_,comdat
	.protected	_ZN7rocprim17ROCPRIM_400000_NS6detail17trampoline_kernelINS0_14default_configENS1_35radix_sort_onesweep_config_selectorIyNS0_10empty_typeEEEZNS1_34radix_sort_onesweep_global_offsetsIS3_Lb0EPyPS5_mNS0_19identity_decomposerEEE10hipError_tT1_T2_PT3_SE_jT4_jjP12ihipStream_tbEUlT_E_NS1_11comp_targetILNS1_3genE3ELNS1_11target_archE908ELNS1_3gpuE7ELNS1_3repE0EEENS1_52radix_sort_onesweep_histogram_config_static_selectorELNS0_4arch9wavefront6targetE1EEEvSC_ ; -- Begin function _ZN7rocprim17ROCPRIM_400000_NS6detail17trampoline_kernelINS0_14default_configENS1_35radix_sort_onesweep_config_selectorIyNS0_10empty_typeEEEZNS1_34radix_sort_onesweep_global_offsetsIS3_Lb0EPyPS5_mNS0_19identity_decomposerEEE10hipError_tT1_T2_PT3_SE_jT4_jjP12ihipStream_tbEUlT_E_NS1_11comp_targetILNS1_3genE3ELNS1_11target_archE908ELNS1_3gpuE7ELNS1_3repE0EEENS1_52radix_sort_onesweep_histogram_config_static_selectorELNS0_4arch9wavefront6targetE1EEEvSC_
	.globl	_ZN7rocprim17ROCPRIM_400000_NS6detail17trampoline_kernelINS0_14default_configENS1_35radix_sort_onesweep_config_selectorIyNS0_10empty_typeEEEZNS1_34radix_sort_onesweep_global_offsetsIS3_Lb0EPyPS5_mNS0_19identity_decomposerEEE10hipError_tT1_T2_PT3_SE_jT4_jjP12ihipStream_tbEUlT_E_NS1_11comp_targetILNS1_3genE3ELNS1_11target_archE908ELNS1_3gpuE7ELNS1_3repE0EEENS1_52radix_sort_onesweep_histogram_config_static_selectorELNS0_4arch9wavefront6targetE1EEEvSC_
	.p2align	8
	.type	_ZN7rocprim17ROCPRIM_400000_NS6detail17trampoline_kernelINS0_14default_configENS1_35radix_sort_onesweep_config_selectorIyNS0_10empty_typeEEEZNS1_34radix_sort_onesweep_global_offsetsIS3_Lb0EPyPS5_mNS0_19identity_decomposerEEE10hipError_tT1_T2_PT3_SE_jT4_jjP12ihipStream_tbEUlT_E_NS1_11comp_targetILNS1_3genE3ELNS1_11target_archE908ELNS1_3gpuE7ELNS1_3repE0EEENS1_52radix_sort_onesweep_histogram_config_static_selectorELNS0_4arch9wavefront6targetE1EEEvSC_,@function
_ZN7rocprim17ROCPRIM_400000_NS6detail17trampoline_kernelINS0_14default_configENS1_35radix_sort_onesweep_config_selectorIyNS0_10empty_typeEEEZNS1_34radix_sort_onesweep_global_offsetsIS3_Lb0EPyPS5_mNS0_19identity_decomposerEEE10hipError_tT1_T2_PT3_SE_jT4_jjP12ihipStream_tbEUlT_E_NS1_11comp_targetILNS1_3genE3ELNS1_11target_archE908ELNS1_3gpuE7ELNS1_3repE0EEENS1_52radix_sort_onesweep_histogram_config_static_selectorELNS0_4arch9wavefront6targetE1EEEvSC_: ; @_ZN7rocprim17ROCPRIM_400000_NS6detail17trampoline_kernelINS0_14default_configENS1_35radix_sort_onesweep_config_selectorIyNS0_10empty_typeEEEZNS1_34radix_sort_onesweep_global_offsetsIS3_Lb0EPyPS5_mNS0_19identity_decomposerEEE10hipError_tT1_T2_PT3_SE_jT4_jjP12ihipStream_tbEUlT_E_NS1_11comp_targetILNS1_3genE3ELNS1_11target_archE908ELNS1_3gpuE7ELNS1_3repE0EEENS1_52radix_sort_onesweep_histogram_config_static_selectorELNS0_4arch9wavefront6targetE1EEEvSC_
; %bb.0:
	.section	.rodata,"a",@progbits
	.p2align	6, 0x0
	.amdhsa_kernel _ZN7rocprim17ROCPRIM_400000_NS6detail17trampoline_kernelINS0_14default_configENS1_35radix_sort_onesweep_config_selectorIyNS0_10empty_typeEEEZNS1_34radix_sort_onesweep_global_offsetsIS3_Lb0EPyPS5_mNS0_19identity_decomposerEEE10hipError_tT1_T2_PT3_SE_jT4_jjP12ihipStream_tbEUlT_E_NS1_11comp_targetILNS1_3genE3ELNS1_11target_archE908ELNS1_3gpuE7ELNS1_3repE0EEENS1_52radix_sort_onesweep_histogram_config_static_selectorELNS0_4arch9wavefront6targetE1EEEvSC_
		.amdhsa_group_segment_fixed_size 0
		.amdhsa_private_segment_fixed_size 0
		.amdhsa_kernarg_size 48
		.amdhsa_user_sgpr_count 6
		.amdhsa_user_sgpr_private_segment_buffer 1
		.amdhsa_user_sgpr_dispatch_ptr 0
		.amdhsa_user_sgpr_queue_ptr 0
		.amdhsa_user_sgpr_kernarg_segment_ptr 1
		.amdhsa_user_sgpr_dispatch_id 0
		.amdhsa_user_sgpr_flat_scratch_init 0
		.amdhsa_user_sgpr_kernarg_preload_length 0
		.amdhsa_user_sgpr_kernarg_preload_offset 0
		.amdhsa_user_sgpr_private_segment_size 0
		.amdhsa_uses_dynamic_stack 0
		.amdhsa_system_sgpr_private_segment_wavefront_offset 0
		.amdhsa_system_sgpr_workgroup_id_x 1
		.amdhsa_system_sgpr_workgroup_id_y 0
		.amdhsa_system_sgpr_workgroup_id_z 0
		.amdhsa_system_sgpr_workgroup_info 0
		.amdhsa_system_vgpr_workitem_id 0
		.amdhsa_next_free_vgpr 1
		.amdhsa_next_free_sgpr 0
		.amdhsa_accum_offset 4
		.amdhsa_reserve_vcc 0
		.amdhsa_reserve_flat_scratch 0
		.amdhsa_float_round_mode_32 0
		.amdhsa_float_round_mode_16_64 0
		.amdhsa_float_denorm_mode_32 3
		.amdhsa_float_denorm_mode_16_64 3
		.amdhsa_dx10_clamp 1
		.amdhsa_ieee_mode 1
		.amdhsa_fp16_overflow 0
		.amdhsa_tg_split 0
		.amdhsa_exception_fp_ieee_invalid_op 0
		.amdhsa_exception_fp_denorm_src 0
		.amdhsa_exception_fp_ieee_div_zero 0
		.amdhsa_exception_fp_ieee_overflow 0
		.amdhsa_exception_fp_ieee_underflow 0
		.amdhsa_exception_fp_ieee_inexact 0
		.amdhsa_exception_int_div_zero 0
	.end_amdhsa_kernel
	.section	.text._ZN7rocprim17ROCPRIM_400000_NS6detail17trampoline_kernelINS0_14default_configENS1_35radix_sort_onesweep_config_selectorIyNS0_10empty_typeEEEZNS1_34radix_sort_onesweep_global_offsetsIS3_Lb0EPyPS5_mNS0_19identity_decomposerEEE10hipError_tT1_T2_PT3_SE_jT4_jjP12ihipStream_tbEUlT_E_NS1_11comp_targetILNS1_3genE3ELNS1_11target_archE908ELNS1_3gpuE7ELNS1_3repE0EEENS1_52radix_sort_onesweep_histogram_config_static_selectorELNS0_4arch9wavefront6targetE1EEEvSC_,"axG",@progbits,_ZN7rocprim17ROCPRIM_400000_NS6detail17trampoline_kernelINS0_14default_configENS1_35radix_sort_onesweep_config_selectorIyNS0_10empty_typeEEEZNS1_34radix_sort_onesweep_global_offsetsIS3_Lb0EPyPS5_mNS0_19identity_decomposerEEE10hipError_tT1_T2_PT3_SE_jT4_jjP12ihipStream_tbEUlT_E_NS1_11comp_targetILNS1_3genE3ELNS1_11target_archE908ELNS1_3gpuE7ELNS1_3repE0EEENS1_52radix_sort_onesweep_histogram_config_static_selectorELNS0_4arch9wavefront6targetE1EEEvSC_,comdat
.Lfunc_end1187:
	.size	_ZN7rocprim17ROCPRIM_400000_NS6detail17trampoline_kernelINS0_14default_configENS1_35radix_sort_onesweep_config_selectorIyNS0_10empty_typeEEEZNS1_34radix_sort_onesweep_global_offsetsIS3_Lb0EPyPS5_mNS0_19identity_decomposerEEE10hipError_tT1_T2_PT3_SE_jT4_jjP12ihipStream_tbEUlT_E_NS1_11comp_targetILNS1_3genE3ELNS1_11target_archE908ELNS1_3gpuE7ELNS1_3repE0EEENS1_52radix_sort_onesweep_histogram_config_static_selectorELNS0_4arch9wavefront6targetE1EEEvSC_, .Lfunc_end1187-_ZN7rocprim17ROCPRIM_400000_NS6detail17trampoline_kernelINS0_14default_configENS1_35radix_sort_onesweep_config_selectorIyNS0_10empty_typeEEEZNS1_34radix_sort_onesweep_global_offsetsIS3_Lb0EPyPS5_mNS0_19identity_decomposerEEE10hipError_tT1_T2_PT3_SE_jT4_jjP12ihipStream_tbEUlT_E_NS1_11comp_targetILNS1_3genE3ELNS1_11target_archE908ELNS1_3gpuE7ELNS1_3repE0EEENS1_52radix_sort_onesweep_histogram_config_static_selectorELNS0_4arch9wavefront6targetE1EEEvSC_
                                        ; -- End function
	.section	.AMDGPU.csdata,"",@progbits
; Kernel info:
; codeLenInByte = 0
; NumSgprs: 4
; NumVgprs: 0
; NumAgprs: 0
; TotalNumVgprs: 0
; ScratchSize: 0
; MemoryBound: 0
; FloatMode: 240
; IeeeMode: 1
; LDSByteSize: 0 bytes/workgroup (compile time only)
; SGPRBlocks: 0
; VGPRBlocks: 0
; NumSGPRsForWavesPerEU: 4
; NumVGPRsForWavesPerEU: 1
; AccumOffset: 4
; Occupancy: 8
; WaveLimiterHint : 0
; COMPUTE_PGM_RSRC2:SCRATCH_EN: 0
; COMPUTE_PGM_RSRC2:USER_SGPR: 6
; COMPUTE_PGM_RSRC2:TRAP_HANDLER: 0
; COMPUTE_PGM_RSRC2:TGID_X_EN: 1
; COMPUTE_PGM_RSRC2:TGID_Y_EN: 0
; COMPUTE_PGM_RSRC2:TGID_Z_EN: 0
; COMPUTE_PGM_RSRC2:TIDIG_COMP_CNT: 0
; COMPUTE_PGM_RSRC3_GFX90A:ACCUM_OFFSET: 0
; COMPUTE_PGM_RSRC3_GFX90A:TG_SPLIT: 0
	.section	.text._ZN7rocprim17ROCPRIM_400000_NS6detail17trampoline_kernelINS0_14default_configENS1_35radix_sort_onesweep_config_selectorIyNS0_10empty_typeEEEZNS1_34radix_sort_onesweep_global_offsetsIS3_Lb0EPyPS5_mNS0_19identity_decomposerEEE10hipError_tT1_T2_PT3_SE_jT4_jjP12ihipStream_tbEUlT_E_NS1_11comp_targetILNS1_3genE10ELNS1_11target_archE1201ELNS1_3gpuE5ELNS1_3repE0EEENS1_52radix_sort_onesweep_histogram_config_static_selectorELNS0_4arch9wavefront6targetE1EEEvSC_,"axG",@progbits,_ZN7rocprim17ROCPRIM_400000_NS6detail17trampoline_kernelINS0_14default_configENS1_35radix_sort_onesweep_config_selectorIyNS0_10empty_typeEEEZNS1_34radix_sort_onesweep_global_offsetsIS3_Lb0EPyPS5_mNS0_19identity_decomposerEEE10hipError_tT1_T2_PT3_SE_jT4_jjP12ihipStream_tbEUlT_E_NS1_11comp_targetILNS1_3genE10ELNS1_11target_archE1201ELNS1_3gpuE5ELNS1_3repE0EEENS1_52radix_sort_onesweep_histogram_config_static_selectorELNS0_4arch9wavefront6targetE1EEEvSC_,comdat
	.protected	_ZN7rocprim17ROCPRIM_400000_NS6detail17trampoline_kernelINS0_14default_configENS1_35radix_sort_onesweep_config_selectorIyNS0_10empty_typeEEEZNS1_34radix_sort_onesweep_global_offsetsIS3_Lb0EPyPS5_mNS0_19identity_decomposerEEE10hipError_tT1_T2_PT3_SE_jT4_jjP12ihipStream_tbEUlT_E_NS1_11comp_targetILNS1_3genE10ELNS1_11target_archE1201ELNS1_3gpuE5ELNS1_3repE0EEENS1_52radix_sort_onesweep_histogram_config_static_selectorELNS0_4arch9wavefront6targetE1EEEvSC_ ; -- Begin function _ZN7rocprim17ROCPRIM_400000_NS6detail17trampoline_kernelINS0_14default_configENS1_35radix_sort_onesweep_config_selectorIyNS0_10empty_typeEEEZNS1_34radix_sort_onesweep_global_offsetsIS3_Lb0EPyPS5_mNS0_19identity_decomposerEEE10hipError_tT1_T2_PT3_SE_jT4_jjP12ihipStream_tbEUlT_E_NS1_11comp_targetILNS1_3genE10ELNS1_11target_archE1201ELNS1_3gpuE5ELNS1_3repE0EEENS1_52radix_sort_onesweep_histogram_config_static_selectorELNS0_4arch9wavefront6targetE1EEEvSC_
	.globl	_ZN7rocprim17ROCPRIM_400000_NS6detail17trampoline_kernelINS0_14default_configENS1_35radix_sort_onesweep_config_selectorIyNS0_10empty_typeEEEZNS1_34radix_sort_onesweep_global_offsetsIS3_Lb0EPyPS5_mNS0_19identity_decomposerEEE10hipError_tT1_T2_PT3_SE_jT4_jjP12ihipStream_tbEUlT_E_NS1_11comp_targetILNS1_3genE10ELNS1_11target_archE1201ELNS1_3gpuE5ELNS1_3repE0EEENS1_52radix_sort_onesweep_histogram_config_static_selectorELNS0_4arch9wavefront6targetE1EEEvSC_
	.p2align	8
	.type	_ZN7rocprim17ROCPRIM_400000_NS6detail17trampoline_kernelINS0_14default_configENS1_35radix_sort_onesweep_config_selectorIyNS0_10empty_typeEEEZNS1_34radix_sort_onesweep_global_offsetsIS3_Lb0EPyPS5_mNS0_19identity_decomposerEEE10hipError_tT1_T2_PT3_SE_jT4_jjP12ihipStream_tbEUlT_E_NS1_11comp_targetILNS1_3genE10ELNS1_11target_archE1201ELNS1_3gpuE5ELNS1_3repE0EEENS1_52radix_sort_onesweep_histogram_config_static_selectorELNS0_4arch9wavefront6targetE1EEEvSC_,@function
_ZN7rocprim17ROCPRIM_400000_NS6detail17trampoline_kernelINS0_14default_configENS1_35radix_sort_onesweep_config_selectorIyNS0_10empty_typeEEEZNS1_34radix_sort_onesweep_global_offsetsIS3_Lb0EPyPS5_mNS0_19identity_decomposerEEE10hipError_tT1_T2_PT3_SE_jT4_jjP12ihipStream_tbEUlT_E_NS1_11comp_targetILNS1_3genE10ELNS1_11target_archE1201ELNS1_3gpuE5ELNS1_3repE0EEENS1_52radix_sort_onesweep_histogram_config_static_selectorELNS0_4arch9wavefront6targetE1EEEvSC_: ; @_ZN7rocprim17ROCPRIM_400000_NS6detail17trampoline_kernelINS0_14default_configENS1_35radix_sort_onesweep_config_selectorIyNS0_10empty_typeEEEZNS1_34radix_sort_onesweep_global_offsetsIS3_Lb0EPyPS5_mNS0_19identity_decomposerEEE10hipError_tT1_T2_PT3_SE_jT4_jjP12ihipStream_tbEUlT_E_NS1_11comp_targetILNS1_3genE10ELNS1_11target_archE1201ELNS1_3gpuE5ELNS1_3repE0EEENS1_52radix_sort_onesweep_histogram_config_static_selectorELNS0_4arch9wavefront6targetE1EEEvSC_
; %bb.0:
	.section	.rodata,"a",@progbits
	.p2align	6, 0x0
	.amdhsa_kernel _ZN7rocprim17ROCPRIM_400000_NS6detail17trampoline_kernelINS0_14default_configENS1_35radix_sort_onesweep_config_selectorIyNS0_10empty_typeEEEZNS1_34radix_sort_onesweep_global_offsetsIS3_Lb0EPyPS5_mNS0_19identity_decomposerEEE10hipError_tT1_T2_PT3_SE_jT4_jjP12ihipStream_tbEUlT_E_NS1_11comp_targetILNS1_3genE10ELNS1_11target_archE1201ELNS1_3gpuE5ELNS1_3repE0EEENS1_52radix_sort_onesweep_histogram_config_static_selectorELNS0_4arch9wavefront6targetE1EEEvSC_
		.amdhsa_group_segment_fixed_size 0
		.amdhsa_private_segment_fixed_size 0
		.amdhsa_kernarg_size 48
		.amdhsa_user_sgpr_count 6
		.amdhsa_user_sgpr_private_segment_buffer 1
		.amdhsa_user_sgpr_dispatch_ptr 0
		.amdhsa_user_sgpr_queue_ptr 0
		.amdhsa_user_sgpr_kernarg_segment_ptr 1
		.amdhsa_user_sgpr_dispatch_id 0
		.amdhsa_user_sgpr_flat_scratch_init 0
		.amdhsa_user_sgpr_kernarg_preload_length 0
		.amdhsa_user_sgpr_kernarg_preload_offset 0
		.amdhsa_user_sgpr_private_segment_size 0
		.amdhsa_uses_dynamic_stack 0
		.amdhsa_system_sgpr_private_segment_wavefront_offset 0
		.amdhsa_system_sgpr_workgroup_id_x 1
		.amdhsa_system_sgpr_workgroup_id_y 0
		.amdhsa_system_sgpr_workgroup_id_z 0
		.amdhsa_system_sgpr_workgroup_info 0
		.amdhsa_system_vgpr_workitem_id 0
		.amdhsa_next_free_vgpr 1
		.amdhsa_next_free_sgpr 0
		.amdhsa_accum_offset 4
		.amdhsa_reserve_vcc 0
		.amdhsa_reserve_flat_scratch 0
		.amdhsa_float_round_mode_32 0
		.amdhsa_float_round_mode_16_64 0
		.amdhsa_float_denorm_mode_32 3
		.amdhsa_float_denorm_mode_16_64 3
		.amdhsa_dx10_clamp 1
		.amdhsa_ieee_mode 1
		.amdhsa_fp16_overflow 0
		.amdhsa_tg_split 0
		.amdhsa_exception_fp_ieee_invalid_op 0
		.amdhsa_exception_fp_denorm_src 0
		.amdhsa_exception_fp_ieee_div_zero 0
		.amdhsa_exception_fp_ieee_overflow 0
		.amdhsa_exception_fp_ieee_underflow 0
		.amdhsa_exception_fp_ieee_inexact 0
		.amdhsa_exception_int_div_zero 0
	.end_amdhsa_kernel
	.section	.text._ZN7rocprim17ROCPRIM_400000_NS6detail17trampoline_kernelINS0_14default_configENS1_35radix_sort_onesweep_config_selectorIyNS0_10empty_typeEEEZNS1_34radix_sort_onesweep_global_offsetsIS3_Lb0EPyPS5_mNS0_19identity_decomposerEEE10hipError_tT1_T2_PT3_SE_jT4_jjP12ihipStream_tbEUlT_E_NS1_11comp_targetILNS1_3genE10ELNS1_11target_archE1201ELNS1_3gpuE5ELNS1_3repE0EEENS1_52radix_sort_onesweep_histogram_config_static_selectorELNS0_4arch9wavefront6targetE1EEEvSC_,"axG",@progbits,_ZN7rocprim17ROCPRIM_400000_NS6detail17trampoline_kernelINS0_14default_configENS1_35radix_sort_onesweep_config_selectorIyNS0_10empty_typeEEEZNS1_34radix_sort_onesweep_global_offsetsIS3_Lb0EPyPS5_mNS0_19identity_decomposerEEE10hipError_tT1_T2_PT3_SE_jT4_jjP12ihipStream_tbEUlT_E_NS1_11comp_targetILNS1_3genE10ELNS1_11target_archE1201ELNS1_3gpuE5ELNS1_3repE0EEENS1_52radix_sort_onesweep_histogram_config_static_selectorELNS0_4arch9wavefront6targetE1EEEvSC_,comdat
.Lfunc_end1188:
	.size	_ZN7rocprim17ROCPRIM_400000_NS6detail17trampoline_kernelINS0_14default_configENS1_35radix_sort_onesweep_config_selectorIyNS0_10empty_typeEEEZNS1_34radix_sort_onesweep_global_offsetsIS3_Lb0EPyPS5_mNS0_19identity_decomposerEEE10hipError_tT1_T2_PT3_SE_jT4_jjP12ihipStream_tbEUlT_E_NS1_11comp_targetILNS1_3genE10ELNS1_11target_archE1201ELNS1_3gpuE5ELNS1_3repE0EEENS1_52radix_sort_onesweep_histogram_config_static_selectorELNS0_4arch9wavefront6targetE1EEEvSC_, .Lfunc_end1188-_ZN7rocprim17ROCPRIM_400000_NS6detail17trampoline_kernelINS0_14default_configENS1_35radix_sort_onesweep_config_selectorIyNS0_10empty_typeEEEZNS1_34radix_sort_onesweep_global_offsetsIS3_Lb0EPyPS5_mNS0_19identity_decomposerEEE10hipError_tT1_T2_PT3_SE_jT4_jjP12ihipStream_tbEUlT_E_NS1_11comp_targetILNS1_3genE10ELNS1_11target_archE1201ELNS1_3gpuE5ELNS1_3repE0EEENS1_52radix_sort_onesweep_histogram_config_static_selectorELNS0_4arch9wavefront6targetE1EEEvSC_
                                        ; -- End function
	.section	.AMDGPU.csdata,"",@progbits
; Kernel info:
; codeLenInByte = 0
; NumSgprs: 4
; NumVgprs: 0
; NumAgprs: 0
; TotalNumVgprs: 0
; ScratchSize: 0
; MemoryBound: 0
; FloatMode: 240
; IeeeMode: 1
; LDSByteSize: 0 bytes/workgroup (compile time only)
; SGPRBlocks: 0
; VGPRBlocks: 0
; NumSGPRsForWavesPerEU: 4
; NumVGPRsForWavesPerEU: 1
; AccumOffset: 4
; Occupancy: 8
; WaveLimiterHint : 0
; COMPUTE_PGM_RSRC2:SCRATCH_EN: 0
; COMPUTE_PGM_RSRC2:USER_SGPR: 6
; COMPUTE_PGM_RSRC2:TRAP_HANDLER: 0
; COMPUTE_PGM_RSRC2:TGID_X_EN: 1
; COMPUTE_PGM_RSRC2:TGID_Y_EN: 0
; COMPUTE_PGM_RSRC2:TGID_Z_EN: 0
; COMPUTE_PGM_RSRC2:TIDIG_COMP_CNT: 0
; COMPUTE_PGM_RSRC3_GFX90A:ACCUM_OFFSET: 0
; COMPUTE_PGM_RSRC3_GFX90A:TG_SPLIT: 0
	.section	.text._ZN7rocprim17ROCPRIM_400000_NS6detail17trampoline_kernelINS0_14default_configENS1_35radix_sort_onesweep_config_selectorIyNS0_10empty_typeEEEZNS1_34radix_sort_onesweep_global_offsetsIS3_Lb0EPyPS5_mNS0_19identity_decomposerEEE10hipError_tT1_T2_PT3_SE_jT4_jjP12ihipStream_tbEUlT_E_NS1_11comp_targetILNS1_3genE9ELNS1_11target_archE1100ELNS1_3gpuE3ELNS1_3repE0EEENS1_52radix_sort_onesweep_histogram_config_static_selectorELNS0_4arch9wavefront6targetE1EEEvSC_,"axG",@progbits,_ZN7rocprim17ROCPRIM_400000_NS6detail17trampoline_kernelINS0_14default_configENS1_35radix_sort_onesweep_config_selectorIyNS0_10empty_typeEEEZNS1_34radix_sort_onesweep_global_offsetsIS3_Lb0EPyPS5_mNS0_19identity_decomposerEEE10hipError_tT1_T2_PT3_SE_jT4_jjP12ihipStream_tbEUlT_E_NS1_11comp_targetILNS1_3genE9ELNS1_11target_archE1100ELNS1_3gpuE3ELNS1_3repE0EEENS1_52radix_sort_onesweep_histogram_config_static_selectorELNS0_4arch9wavefront6targetE1EEEvSC_,comdat
	.protected	_ZN7rocprim17ROCPRIM_400000_NS6detail17trampoline_kernelINS0_14default_configENS1_35radix_sort_onesweep_config_selectorIyNS0_10empty_typeEEEZNS1_34radix_sort_onesweep_global_offsetsIS3_Lb0EPyPS5_mNS0_19identity_decomposerEEE10hipError_tT1_T2_PT3_SE_jT4_jjP12ihipStream_tbEUlT_E_NS1_11comp_targetILNS1_3genE9ELNS1_11target_archE1100ELNS1_3gpuE3ELNS1_3repE0EEENS1_52radix_sort_onesweep_histogram_config_static_selectorELNS0_4arch9wavefront6targetE1EEEvSC_ ; -- Begin function _ZN7rocprim17ROCPRIM_400000_NS6detail17trampoline_kernelINS0_14default_configENS1_35radix_sort_onesweep_config_selectorIyNS0_10empty_typeEEEZNS1_34radix_sort_onesweep_global_offsetsIS3_Lb0EPyPS5_mNS0_19identity_decomposerEEE10hipError_tT1_T2_PT3_SE_jT4_jjP12ihipStream_tbEUlT_E_NS1_11comp_targetILNS1_3genE9ELNS1_11target_archE1100ELNS1_3gpuE3ELNS1_3repE0EEENS1_52radix_sort_onesweep_histogram_config_static_selectorELNS0_4arch9wavefront6targetE1EEEvSC_
	.globl	_ZN7rocprim17ROCPRIM_400000_NS6detail17trampoline_kernelINS0_14default_configENS1_35radix_sort_onesweep_config_selectorIyNS0_10empty_typeEEEZNS1_34radix_sort_onesweep_global_offsetsIS3_Lb0EPyPS5_mNS0_19identity_decomposerEEE10hipError_tT1_T2_PT3_SE_jT4_jjP12ihipStream_tbEUlT_E_NS1_11comp_targetILNS1_3genE9ELNS1_11target_archE1100ELNS1_3gpuE3ELNS1_3repE0EEENS1_52radix_sort_onesweep_histogram_config_static_selectorELNS0_4arch9wavefront6targetE1EEEvSC_
	.p2align	8
	.type	_ZN7rocprim17ROCPRIM_400000_NS6detail17trampoline_kernelINS0_14default_configENS1_35radix_sort_onesweep_config_selectorIyNS0_10empty_typeEEEZNS1_34radix_sort_onesweep_global_offsetsIS3_Lb0EPyPS5_mNS0_19identity_decomposerEEE10hipError_tT1_T2_PT3_SE_jT4_jjP12ihipStream_tbEUlT_E_NS1_11comp_targetILNS1_3genE9ELNS1_11target_archE1100ELNS1_3gpuE3ELNS1_3repE0EEENS1_52radix_sort_onesweep_histogram_config_static_selectorELNS0_4arch9wavefront6targetE1EEEvSC_,@function
_ZN7rocprim17ROCPRIM_400000_NS6detail17trampoline_kernelINS0_14default_configENS1_35radix_sort_onesweep_config_selectorIyNS0_10empty_typeEEEZNS1_34radix_sort_onesweep_global_offsetsIS3_Lb0EPyPS5_mNS0_19identity_decomposerEEE10hipError_tT1_T2_PT3_SE_jT4_jjP12ihipStream_tbEUlT_E_NS1_11comp_targetILNS1_3genE9ELNS1_11target_archE1100ELNS1_3gpuE3ELNS1_3repE0EEENS1_52radix_sort_onesweep_histogram_config_static_selectorELNS0_4arch9wavefront6targetE1EEEvSC_: ; @_ZN7rocprim17ROCPRIM_400000_NS6detail17trampoline_kernelINS0_14default_configENS1_35radix_sort_onesweep_config_selectorIyNS0_10empty_typeEEEZNS1_34radix_sort_onesweep_global_offsetsIS3_Lb0EPyPS5_mNS0_19identity_decomposerEEE10hipError_tT1_T2_PT3_SE_jT4_jjP12ihipStream_tbEUlT_E_NS1_11comp_targetILNS1_3genE9ELNS1_11target_archE1100ELNS1_3gpuE3ELNS1_3repE0EEENS1_52radix_sort_onesweep_histogram_config_static_selectorELNS0_4arch9wavefront6targetE1EEEvSC_
; %bb.0:
	.section	.rodata,"a",@progbits
	.p2align	6, 0x0
	.amdhsa_kernel _ZN7rocprim17ROCPRIM_400000_NS6detail17trampoline_kernelINS0_14default_configENS1_35radix_sort_onesweep_config_selectorIyNS0_10empty_typeEEEZNS1_34radix_sort_onesweep_global_offsetsIS3_Lb0EPyPS5_mNS0_19identity_decomposerEEE10hipError_tT1_T2_PT3_SE_jT4_jjP12ihipStream_tbEUlT_E_NS1_11comp_targetILNS1_3genE9ELNS1_11target_archE1100ELNS1_3gpuE3ELNS1_3repE0EEENS1_52radix_sort_onesweep_histogram_config_static_selectorELNS0_4arch9wavefront6targetE1EEEvSC_
		.amdhsa_group_segment_fixed_size 0
		.amdhsa_private_segment_fixed_size 0
		.amdhsa_kernarg_size 48
		.amdhsa_user_sgpr_count 6
		.amdhsa_user_sgpr_private_segment_buffer 1
		.amdhsa_user_sgpr_dispatch_ptr 0
		.amdhsa_user_sgpr_queue_ptr 0
		.amdhsa_user_sgpr_kernarg_segment_ptr 1
		.amdhsa_user_sgpr_dispatch_id 0
		.amdhsa_user_sgpr_flat_scratch_init 0
		.amdhsa_user_sgpr_kernarg_preload_length 0
		.amdhsa_user_sgpr_kernarg_preload_offset 0
		.amdhsa_user_sgpr_private_segment_size 0
		.amdhsa_uses_dynamic_stack 0
		.amdhsa_system_sgpr_private_segment_wavefront_offset 0
		.amdhsa_system_sgpr_workgroup_id_x 1
		.amdhsa_system_sgpr_workgroup_id_y 0
		.amdhsa_system_sgpr_workgroup_id_z 0
		.amdhsa_system_sgpr_workgroup_info 0
		.amdhsa_system_vgpr_workitem_id 0
		.amdhsa_next_free_vgpr 1
		.amdhsa_next_free_sgpr 0
		.amdhsa_accum_offset 4
		.amdhsa_reserve_vcc 0
		.amdhsa_reserve_flat_scratch 0
		.amdhsa_float_round_mode_32 0
		.amdhsa_float_round_mode_16_64 0
		.amdhsa_float_denorm_mode_32 3
		.amdhsa_float_denorm_mode_16_64 3
		.amdhsa_dx10_clamp 1
		.amdhsa_ieee_mode 1
		.amdhsa_fp16_overflow 0
		.amdhsa_tg_split 0
		.amdhsa_exception_fp_ieee_invalid_op 0
		.amdhsa_exception_fp_denorm_src 0
		.amdhsa_exception_fp_ieee_div_zero 0
		.amdhsa_exception_fp_ieee_overflow 0
		.amdhsa_exception_fp_ieee_underflow 0
		.amdhsa_exception_fp_ieee_inexact 0
		.amdhsa_exception_int_div_zero 0
	.end_amdhsa_kernel
	.section	.text._ZN7rocprim17ROCPRIM_400000_NS6detail17trampoline_kernelINS0_14default_configENS1_35radix_sort_onesweep_config_selectorIyNS0_10empty_typeEEEZNS1_34radix_sort_onesweep_global_offsetsIS3_Lb0EPyPS5_mNS0_19identity_decomposerEEE10hipError_tT1_T2_PT3_SE_jT4_jjP12ihipStream_tbEUlT_E_NS1_11comp_targetILNS1_3genE9ELNS1_11target_archE1100ELNS1_3gpuE3ELNS1_3repE0EEENS1_52radix_sort_onesweep_histogram_config_static_selectorELNS0_4arch9wavefront6targetE1EEEvSC_,"axG",@progbits,_ZN7rocprim17ROCPRIM_400000_NS6detail17trampoline_kernelINS0_14default_configENS1_35radix_sort_onesweep_config_selectorIyNS0_10empty_typeEEEZNS1_34radix_sort_onesweep_global_offsetsIS3_Lb0EPyPS5_mNS0_19identity_decomposerEEE10hipError_tT1_T2_PT3_SE_jT4_jjP12ihipStream_tbEUlT_E_NS1_11comp_targetILNS1_3genE9ELNS1_11target_archE1100ELNS1_3gpuE3ELNS1_3repE0EEENS1_52radix_sort_onesweep_histogram_config_static_selectorELNS0_4arch9wavefront6targetE1EEEvSC_,comdat
.Lfunc_end1189:
	.size	_ZN7rocprim17ROCPRIM_400000_NS6detail17trampoline_kernelINS0_14default_configENS1_35radix_sort_onesweep_config_selectorIyNS0_10empty_typeEEEZNS1_34radix_sort_onesweep_global_offsetsIS3_Lb0EPyPS5_mNS0_19identity_decomposerEEE10hipError_tT1_T2_PT3_SE_jT4_jjP12ihipStream_tbEUlT_E_NS1_11comp_targetILNS1_3genE9ELNS1_11target_archE1100ELNS1_3gpuE3ELNS1_3repE0EEENS1_52radix_sort_onesweep_histogram_config_static_selectorELNS0_4arch9wavefront6targetE1EEEvSC_, .Lfunc_end1189-_ZN7rocprim17ROCPRIM_400000_NS6detail17trampoline_kernelINS0_14default_configENS1_35radix_sort_onesweep_config_selectorIyNS0_10empty_typeEEEZNS1_34radix_sort_onesweep_global_offsetsIS3_Lb0EPyPS5_mNS0_19identity_decomposerEEE10hipError_tT1_T2_PT3_SE_jT4_jjP12ihipStream_tbEUlT_E_NS1_11comp_targetILNS1_3genE9ELNS1_11target_archE1100ELNS1_3gpuE3ELNS1_3repE0EEENS1_52radix_sort_onesweep_histogram_config_static_selectorELNS0_4arch9wavefront6targetE1EEEvSC_
                                        ; -- End function
	.section	.AMDGPU.csdata,"",@progbits
; Kernel info:
; codeLenInByte = 0
; NumSgprs: 4
; NumVgprs: 0
; NumAgprs: 0
; TotalNumVgprs: 0
; ScratchSize: 0
; MemoryBound: 0
; FloatMode: 240
; IeeeMode: 1
; LDSByteSize: 0 bytes/workgroup (compile time only)
; SGPRBlocks: 0
; VGPRBlocks: 0
; NumSGPRsForWavesPerEU: 4
; NumVGPRsForWavesPerEU: 1
; AccumOffset: 4
; Occupancy: 8
; WaveLimiterHint : 0
; COMPUTE_PGM_RSRC2:SCRATCH_EN: 0
; COMPUTE_PGM_RSRC2:USER_SGPR: 6
; COMPUTE_PGM_RSRC2:TRAP_HANDLER: 0
; COMPUTE_PGM_RSRC2:TGID_X_EN: 1
; COMPUTE_PGM_RSRC2:TGID_Y_EN: 0
; COMPUTE_PGM_RSRC2:TGID_Z_EN: 0
; COMPUTE_PGM_RSRC2:TIDIG_COMP_CNT: 0
; COMPUTE_PGM_RSRC3_GFX90A:ACCUM_OFFSET: 0
; COMPUTE_PGM_RSRC3_GFX90A:TG_SPLIT: 0
	.section	.text._ZN7rocprim17ROCPRIM_400000_NS6detail17trampoline_kernelINS0_14default_configENS1_35radix_sort_onesweep_config_selectorIyNS0_10empty_typeEEEZNS1_34radix_sort_onesweep_global_offsetsIS3_Lb0EPyPS5_mNS0_19identity_decomposerEEE10hipError_tT1_T2_PT3_SE_jT4_jjP12ihipStream_tbEUlT_E_NS1_11comp_targetILNS1_3genE8ELNS1_11target_archE1030ELNS1_3gpuE2ELNS1_3repE0EEENS1_52radix_sort_onesweep_histogram_config_static_selectorELNS0_4arch9wavefront6targetE1EEEvSC_,"axG",@progbits,_ZN7rocprim17ROCPRIM_400000_NS6detail17trampoline_kernelINS0_14default_configENS1_35radix_sort_onesweep_config_selectorIyNS0_10empty_typeEEEZNS1_34radix_sort_onesweep_global_offsetsIS3_Lb0EPyPS5_mNS0_19identity_decomposerEEE10hipError_tT1_T2_PT3_SE_jT4_jjP12ihipStream_tbEUlT_E_NS1_11comp_targetILNS1_3genE8ELNS1_11target_archE1030ELNS1_3gpuE2ELNS1_3repE0EEENS1_52radix_sort_onesweep_histogram_config_static_selectorELNS0_4arch9wavefront6targetE1EEEvSC_,comdat
	.protected	_ZN7rocprim17ROCPRIM_400000_NS6detail17trampoline_kernelINS0_14default_configENS1_35radix_sort_onesweep_config_selectorIyNS0_10empty_typeEEEZNS1_34radix_sort_onesweep_global_offsetsIS3_Lb0EPyPS5_mNS0_19identity_decomposerEEE10hipError_tT1_T2_PT3_SE_jT4_jjP12ihipStream_tbEUlT_E_NS1_11comp_targetILNS1_3genE8ELNS1_11target_archE1030ELNS1_3gpuE2ELNS1_3repE0EEENS1_52radix_sort_onesweep_histogram_config_static_selectorELNS0_4arch9wavefront6targetE1EEEvSC_ ; -- Begin function _ZN7rocprim17ROCPRIM_400000_NS6detail17trampoline_kernelINS0_14default_configENS1_35radix_sort_onesweep_config_selectorIyNS0_10empty_typeEEEZNS1_34radix_sort_onesweep_global_offsetsIS3_Lb0EPyPS5_mNS0_19identity_decomposerEEE10hipError_tT1_T2_PT3_SE_jT4_jjP12ihipStream_tbEUlT_E_NS1_11comp_targetILNS1_3genE8ELNS1_11target_archE1030ELNS1_3gpuE2ELNS1_3repE0EEENS1_52radix_sort_onesweep_histogram_config_static_selectorELNS0_4arch9wavefront6targetE1EEEvSC_
	.globl	_ZN7rocprim17ROCPRIM_400000_NS6detail17trampoline_kernelINS0_14default_configENS1_35radix_sort_onesweep_config_selectorIyNS0_10empty_typeEEEZNS1_34radix_sort_onesweep_global_offsetsIS3_Lb0EPyPS5_mNS0_19identity_decomposerEEE10hipError_tT1_T2_PT3_SE_jT4_jjP12ihipStream_tbEUlT_E_NS1_11comp_targetILNS1_3genE8ELNS1_11target_archE1030ELNS1_3gpuE2ELNS1_3repE0EEENS1_52radix_sort_onesweep_histogram_config_static_selectorELNS0_4arch9wavefront6targetE1EEEvSC_
	.p2align	8
	.type	_ZN7rocprim17ROCPRIM_400000_NS6detail17trampoline_kernelINS0_14default_configENS1_35radix_sort_onesweep_config_selectorIyNS0_10empty_typeEEEZNS1_34radix_sort_onesweep_global_offsetsIS3_Lb0EPyPS5_mNS0_19identity_decomposerEEE10hipError_tT1_T2_PT3_SE_jT4_jjP12ihipStream_tbEUlT_E_NS1_11comp_targetILNS1_3genE8ELNS1_11target_archE1030ELNS1_3gpuE2ELNS1_3repE0EEENS1_52radix_sort_onesweep_histogram_config_static_selectorELNS0_4arch9wavefront6targetE1EEEvSC_,@function
_ZN7rocprim17ROCPRIM_400000_NS6detail17trampoline_kernelINS0_14default_configENS1_35radix_sort_onesweep_config_selectorIyNS0_10empty_typeEEEZNS1_34radix_sort_onesweep_global_offsetsIS3_Lb0EPyPS5_mNS0_19identity_decomposerEEE10hipError_tT1_T2_PT3_SE_jT4_jjP12ihipStream_tbEUlT_E_NS1_11comp_targetILNS1_3genE8ELNS1_11target_archE1030ELNS1_3gpuE2ELNS1_3repE0EEENS1_52radix_sort_onesweep_histogram_config_static_selectorELNS0_4arch9wavefront6targetE1EEEvSC_: ; @_ZN7rocprim17ROCPRIM_400000_NS6detail17trampoline_kernelINS0_14default_configENS1_35radix_sort_onesweep_config_selectorIyNS0_10empty_typeEEEZNS1_34radix_sort_onesweep_global_offsetsIS3_Lb0EPyPS5_mNS0_19identity_decomposerEEE10hipError_tT1_T2_PT3_SE_jT4_jjP12ihipStream_tbEUlT_E_NS1_11comp_targetILNS1_3genE8ELNS1_11target_archE1030ELNS1_3gpuE2ELNS1_3repE0EEENS1_52radix_sort_onesweep_histogram_config_static_selectorELNS0_4arch9wavefront6targetE1EEEvSC_
; %bb.0:
	.section	.rodata,"a",@progbits
	.p2align	6, 0x0
	.amdhsa_kernel _ZN7rocprim17ROCPRIM_400000_NS6detail17trampoline_kernelINS0_14default_configENS1_35radix_sort_onesweep_config_selectorIyNS0_10empty_typeEEEZNS1_34radix_sort_onesweep_global_offsetsIS3_Lb0EPyPS5_mNS0_19identity_decomposerEEE10hipError_tT1_T2_PT3_SE_jT4_jjP12ihipStream_tbEUlT_E_NS1_11comp_targetILNS1_3genE8ELNS1_11target_archE1030ELNS1_3gpuE2ELNS1_3repE0EEENS1_52radix_sort_onesweep_histogram_config_static_selectorELNS0_4arch9wavefront6targetE1EEEvSC_
		.amdhsa_group_segment_fixed_size 0
		.amdhsa_private_segment_fixed_size 0
		.amdhsa_kernarg_size 48
		.amdhsa_user_sgpr_count 6
		.amdhsa_user_sgpr_private_segment_buffer 1
		.amdhsa_user_sgpr_dispatch_ptr 0
		.amdhsa_user_sgpr_queue_ptr 0
		.amdhsa_user_sgpr_kernarg_segment_ptr 1
		.amdhsa_user_sgpr_dispatch_id 0
		.amdhsa_user_sgpr_flat_scratch_init 0
		.amdhsa_user_sgpr_kernarg_preload_length 0
		.amdhsa_user_sgpr_kernarg_preload_offset 0
		.amdhsa_user_sgpr_private_segment_size 0
		.amdhsa_uses_dynamic_stack 0
		.amdhsa_system_sgpr_private_segment_wavefront_offset 0
		.amdhsa_system_sgpr_workgroup_id_x 1
		.amdhsa_system_sgpr_workgroup_id_y 0
		.amdhsa_system_sgpr_workgroup_id_z 0
		.amdhsa_system_sgpr_workgroup_info 0
		.amdhsa_system_vgpr_workitem_id 0
		.amdhsa_next_free_vgpr 1
		.amdhsa_next_free_sgpr 0
		.amdhsa_accum_offset 4
		.amdhsa_reserve_vcc 0
		.amdhsa_reserve_flat_scratch 0
		.amdhsa_float_round_mode_32 0
		.amdhsa_float_round_mode_16_64 0
		.amdhsa_float_denorm_mode_32 3
		.amdhsa_float_denorm_mode_16_64 3
		.amdhsa_dx10_clamp 1
		.amdhsa_ieee_mode 1
		.amdhsa_fp16_overflow 0
		.amdhsa_tg_split 0
		.amdhsa_exception_fp_ieee_invalid_op 0
		.amdhsa_exception_fp_denorm_src 0
		.amdhsa_exception_fp_ieee_div_zero 0
		.amdhsa_exception_fp_ieee_overflow 0
		.amdhsa_exception_fp_ieee_underflow 0
		.amdhsa_exception_fp_ieee_inexact 0
		.amdhsa_exception_int_div_zero 0
	.end_amdhsa_kernel
	.section	.text._ZN7rocprim17ROCPRIM_400000_NS6detail17trampoline_kernelINS0_14default_configENS1_35radix_sort_onesweep_config_selectorIyNS0_10empty_typeEEEZNS1_34radix_sort_onesweep_global_offsetsIS3_Lb0EPyPS5_mNS0_19identity_decomposerEEE10hipError_tT1_T2_PT3_SE_jT4_jjP12ihipStream_tbEUlT_E_NS1_11comp_targetILNS1_3genE8ELNS1_11target_archE1030ELNS1_3gpuE2ELNS1_3repE0EEENS1_52radix_sort_onesweep_histogram_config_static_selectorELNS0_4arch9wavefront6targetE1EEEvSC_,"axG",@progbits,_ZN7rocprim17ROCPRIM_400000_NS6detail17trampoline_kernelINS0_14default_configENS1_35radix_sort_onesweep_config_selectorIyNS0_10empty_typeEEEZNS1_34radix_sort_onesweep_global_offsetsIS3_Lb0EPyPS5_mNS0_19identity_decomposerEEE10hipError_tT1_T2_PT3_SE_jT4_jjP12ihipStream_tbEUlT_E_NS1_11comp_targetILNS1_3genE8ELNS1_11target_archE1030ELNS1_3gpuE2ELNS1_3repE0EEENS1_52radix_sort_onesweep_histogram_config_static_selectorELNS0_4arch9wavefront6targetE1EEEvSC_,comdat
.Lfunc_end1190:
	.size	_ZN7rocprim17ROCPRIM_400000_NS6detail17trampoline_kernelINS0_14default_configENS1_35radix_sort_onesweep_config_selectorIyNS0_10empty_typeEEEZNS1_34radix_sort_onesweep_global_offsetsIS3_Lb0EPyPS5_mNS0_19identity_decomposerEEE10hipError_tT1_T2_PT3_SE_jT4_jjP12ihipStream_tbEUlT_E_NS1_11comp_targetILNS1_3genE8ELNS1_11target_archE1030ELNS1_3gpuE2ELNS1_3repE0EEENS1_52radix_sort_onesweep_histogram_config_static_selectorELNS0_4arch9wavefront6targetE1EEEvSC_, .Lfunc_end1190-_ZN7rocprim17ROCPRIM_400000_NS6detail17trampoline_kernelINS0_14default_configENS1_35radix_sort_onesweep_config_selectorIyNS0_10empty_typeEEEZNS1_34radix_sort_onesweep_global_offsetsIS3_Lb0EPyPS5_mNS0_19identity_decomposerEEE10hipError_tT1_T2_PT3_SE_jT4_jjP12ihipStream_tbEUlT_E_NS1_11comp_targetILNS1_3genE8ELNS1_11target_archE1030ELNS1_3gpuE2ELNS1_3repE0EEENS1_52radix_sort_onesweep_histogram_config_static_selectorELNS0_4arch9wavefront6targetE1EEEvSC_
                                        ; -- End function
	.section	.AMDGPU.csdata,"",@progbits
; Kernel info:
; codeLenInByte = 0
; NumSgprs: 4
; NumVgprs: 0
; NumAgprs: 0
; TotalNumVgprs: 0
; ScratchSize: 0
; MemoryBound: 0
; FloatMode: 240
; IeeeMode: 1
; LDSByteSize: 0 bytes/workgroup (compile time only)
; SGPRBlocks: 0
; VGPRBlocks: 0
; NumSGPRsForWavesPerEU: 4
; NumVGPRsForWavesPerEU: 1
; AccumOffset: 4
; Occupancy: 8
; WaveLimiterHint : 0
; COMPUTE_PGM_RSRC2:SCRATCH_EN: 0
; COMPUTE_PGM_RSRC2:USER_SGPR: 6
; COMPUTE_PGM_RSRC2:TRAP_HANDLER: 0
; COMPUTE_PGM_RSRC2:TGID_X_EN: 1
; COMPUTE_PGM_RSRC2:TGID_Y_EN: 0
; COMPUTE_PGM_RSRC2:TGID_Z_EN: 0
; COMPUTE_PGM_RSRC2:TIDIG_COMP_CNT: 0
; COMPUTE_PGM_RSRC3_GFX90A:ACCUM_OFFSET: 0
; COMPUTE_PGM_RSRC3_GFX90A:TG_SPLIT: 0
	.section	.text._ZN7rocprim17ROCPRIM_400000_NS6detail17trampoline_kernelINS0_14default_configENS1_35radix_sort_onesweep_config_selectorIyNS0_10empty_typeEEEZNS1_34radix_sort_onesweep_global_offsetsIS3_Lb0EPyPS5_mNS0_19identity_decomposerEEE10hipError_tT1_T2_PT3_SE_jT4_jjP12ihipStream_tbEUlT_E0_NS1_11comp_targetILNS1_3genE0ELNS1_11target_archE4294967295ELNS1_3gpuE0ELNS1_3repE0EEENS1_52radix_sort_onesweep_histogram_config_static_selectorELNS0_4arch9wavefront6targetE1EEEvSC_,"axG",@progbits,_ZN7rocprim17ROCPRIM_400000_NS6detail17trampoline_kernelINS0_14default_configENS1_35radix_sort_onesweep_config_selectorIyNS0_10empty_typeEEEZNS1_34radix_sort_onesweep_global_offsetsIS3_Lb0EPyPS5_mNS0_19identity_decomposerEEE10hipError_tT1_T2_PT3_SE_jT4_jjP12ihipStream_tbEUlT_E0_NS1_11comp_targetILNS1_3genE0ELNS1_11target_archE4294967295ELNS1_3gpuE0ELNS1_3repE0EEENS1_52radix_sort_onesweep_histogram_config_static_selectorELNS0_4arch9wavefront6targetE1EEEvSC_,comdat
	.protected	_ZN7rocprim17ROCPRIM_400000_NS6detail17trampoline_kernelINS0_14default_configENS1_35radix_sort_onesweep_config_selectorIyNS0_10empty_typeEEEZNS1_34radix_sort_onesweep_global_offsetsIS3_Lb0EPyPS5_mNS0_19identity_decomposerEEE10hipError_tT1_T2_PT3_SE_jT4_jjP12ihipStream_tbEUlT_E0_NS1_11comp_targetILNS1_3genE0ELNS1_11target_archE4294967295ELNS1_3gpuE0ELNS1_3repE0EEENS1_52radix_sort_onesweep_histogram_config_static_selectorELNS0_4arch9wavefront6targetE1EEEvSC_ ; -- Begin function _ZN7rocprim17ROCPRIM_400000_NS6detail17trampoline_kernelINS0_14default_configENS1_35radix_sort_onesweep_config_selectorIyNS0_10empty_typeEEEZNS1_34radix_sort_onesweep_global_offsetsIS3_Lb0EPyPS5_mNS0_19identity_decomposerEEE10hipError_tT1_T2_PT3_SE_jT4_jjP12ihipStream_tbEUlT_E0_NS1_11comp_targetILNS1_3genE0ELNS1_11target_archE4294967295ELNS1_3gpuE0ELNS1_3repE0EEENS1_52radix_sort_onesweep_histogram_config_static_selectorELNS0_4arch9wavefront6targetE1EEEvSC_
	.globl	_ZN7rocprim17ROCPRIM_400000_NS6detail17trampoline_kernelINS0_14default_configENS1_35radix_sort_onesweep_config_selectorIyNS0_10empty_typeEEEZNS1_34radix_sort_onesweep_global_offsetsIS3_Lb0EPyPS5_mNS0_19identity_decomposerEEE10hipError_tT1_T2_PT3_SE_jT4_jjP12ihipStream_tbEUlT_E0_NS1_11comp_targetILNS1_3genE0ELNS1_11target_archE4294967295ELNS1_3gpuE0ELNS1_3repE0EEENS1_52radix_sort_onesweep_histogram_config_static_selectorELNS0_4arch9wavefront6targetE1EEEvSC_
	.p2align	8
	.type	_ZN7rocprim17ROCPRIM_400000_NS6detail17trampoline_kernelINS0_14default_configENS1_35radix_sort_onesweep_config_selectorIyNS0_10empty_typeEEEZNS1_34radix_sort_onesweep_global_offsetsIS3_Lb0EPyPS5_mNS0_19identity_decomposerEEE10hipError_tT1_T2_PT3_SE_jT4_jjP12ihipStream_tbEUlT_E0_NS1_11comp_targetILNS1_3genE0ELNS1_11target_archE4294967295ELNS1_3gpuE0ELNS1_3repE0EEENS1_52radix_sort_onesweep_histogram_config_static_selectorELNS0_4arch9wavefront6targetE1EEEvSC_,@function
_ZN7rocprim17ROCPRIM_400000_NS6detail17trampoline_kernelINS0_14default_configENS1_35radix_sort_onesweep_config_selectorIyNS0_10empty_typeEEEZNS1_34radix_sort_onesweep_global_offsetsIS3_Lb0EPyPS5_mNS0_19identity_decomposerEEE10hipError_tT1_T2_PT3_SE_jT4_jjP12ihipStream_tbEUlT_E0_NS1_11comp_targetILNS1_3genE0ELNS1_11target_archE4294967295ELNS1_3gpuE0ELNS1_3repE0EEENS1_52radix_sort_onesweep_histogram_config_static_selectorELNS0_4arch9wavefront6targetE1EEEvSC_: ; @_ZN7rocprim17ROCPRIM_400000_NS6detail17trampoline_kernelINS0_14default_configENS1_35radix_sort_onesweep_config_selectorIyNS0_10empty_typeEEEZNS1_34radix_sort_onesweep_global_offsetsIS3_Lb0EPyPS5_mNS0_19identity_decomposerEEE10hipError_tT1_T2_PT3_SE_jT4_jjP12ihipStream_tbEUlT_E0_NS1_11comp_targetILNS1_3genE0ELNS1_11target_archE4294967295ELNS1_3gpuE0ELNS1_3repE0EEENS1_52radix_sort_onesweep_histogram_config_static_selectorELNS0_4arch9wavefront6targetE1EEEvSC_
; %bb.0:
	.section	.rodata,"a",@progbits
	.p2align	6, 0x0
	.amdhsa_kernel _ZN7rocprim17ROCPRIM_400000_NS6detail17trampoline_kernelINS0_14default_configENS1_35radix_sort_onesweep_config_selectorIyNS0_10empty_typeEEEZNS1_34radix_sort_onesweep_global_offsetsIS3_Lb0EPyPS5_mNS0_19identity_decomposerEEE10hipError_tT1_T2_PT3_SE_jT4_jjP12ihipStream_tbEUlT_E0_NS1_11comp_targetILNS1_3genE0ELNS1_11target_archE4294967295ELNS1_3gpuE0ELNS1_3repE0EEENS1_52radix_sort_onesweep_histogram_config_static_selectorELNS0_4arch9wavefront6targetE1EEEvSC_
		.amdhsa_group_segment_fixed_size 0
		.amdhsa_private_segment_fixed_size 0
		.amdhsa_kernarg_size 8
		.amdhsa_user_sgpr_count 6
		.amdhsa_user_sgpr_private_segment_buffer 1
		.amdhsa_user_sgpr_dispatch_ptr 0
		.amdhsa_user_sgpr_queue_ptr 0
		.amdhsa_user_sgpr_kernarg_segment_ptr 1
		.amdhsa_user_sgpr_dispatch_id 0
		.amdhsa_user_sgpr_flat_scratch_init 0
		.amdhsa_user_sgpr_kernarg_preload_length 0
		.amdhsa_user_sgpr_kernarg_preload_offset 0
		.amdhsa_user_sgpr_private_segment_size 0
		.amdhsa_uses_dynamic_stack 0
		.amdhsa_system_sgpr_private_segment_wavefront_offset 0
		.amdhsa_system_sgpr_workgroup_id_x 1
		.amdhsa_system_sgpr_workgroup_id_y 0
		.amdhsa_system_sgpr_workgroup_id_z 0
		.amdhsa_system_sgpr_workgroup_info 0
		.amdhsa_system_vgpr_workitem_id 0
		.amdhsa_next_free_vgpr 1
		.amdhsa_next_free_sgpr 0
		.amdhsa_accum_offset 4
		.amdhsa_reserve_vcc 0
		.amdhsa_reserve_flat_scratch 0
		.amdhsa_float_round_mode_32 0
		.amdhsa_float_round_mode_16_64 0
		.amdhsa_float_denorm_mode_32 3
		.amdhsa_float_denorm_mode_16_64 3
		.amdhsa_dx10_clamp 1
		.amdhsa_ieee_mode 1
		.amdhsa_fp16_overflow 0
		.amdhsa_tg_split 0
		.amdhsa_exception_fp_ieee_invalid_op 0
		.amdhsa_exception_fp_denorm_src 0
		.amdhsa_exception_fp_ieee_div_zero 0
		.amdhsa_exception_fp_ieee_overflow 0
		.amdhsa_exception_fp_ieee_underflow 0
		.amdhsa_exception_fp_ieee_inexact 0
		.amdhsa_exception_int_div_zero 0
	.end_amdhsa_kernel
	.section	.text._ZN7rocprim17ROCPRIM_400000_NS6detail17trampoline_kernelINS0_14default_configENS1_35radix_sort_onesweep_config_selectorIyNS0_10empty_typeEEEZNS1_34radix_sort_onesweep_global_offsetsIS3_Lb0EPyPS5_mNS0_19identity_decomposerEEE10hipError_tT1_T2_PT3_SE_jT4_jjP12ihipStream_tbEUlT_E0_NS1_11comp_targetILNS1_3genE0ELNS1_11target_archE4294967295ELNS1_3gpuE0ELNS1_3repE0EEENS1_52radix_sort_onesweep_histogram_config_static_selectorELNS0_4arch9wavefront6targetE1EEEvSC_,"axG",@progbits,_ZN7rocprim17ROCPRIM_400000_NS6detail17trampoline_kernelINS0_14default_configENS1_35radix_sort_onesweep_config_selectorIyNS0_10empty_typeEEEZNS1_34radix_sort_onesweep_global_offsetsIS3_Lb0EPyPS5_mNS0_19identity_decomposerEEE10hipError_tT1_T2_PT3_SE_jT4_jjP12ihipStream_tbEUlT_E0_NS1_11comp_targetILNS1_3genE0ELNS1_11target_archE4294967295ELNS1_3gpuE0ELNS1_3repE0EEENS1_52radix_sort_onesweep_histogram_config_static_selectorELNS0_4arch9wavefront6targetE1EEEvSC_,comdat
.Lfunc_end1191:
	.size	_ZN7rocprim17ROCPRIM_400000_NS6detail17trampoline_kernelINS0_14default_configENS1_35radix_sort_onesweep_config_selectorIyNS0_10empty_typeEEEZNS1_34radix_sort_onesweep_global_offsetsIS3_Lb0EPyPS5_mNS0_19identity_decomposerEEE10hipError_tT1_T2_PT3_SE_jT4_jjP12ihipStream_tbEUlT_E0_NS1_11comp_targetILNS1_3genE0ELNS1_11target_archE4294967295ELNS1_3gpuE0ELNS1_3repE0EEENS1_52radix_sort_onesweep_histogram_config_static_selectorELNS0_4arch9wavefront6targetE1EEEvSC_, .Lfunc_end1191-_ZN7rocprim17ROCPRIM_400000_NS6detail17trampoline_kernelINS0_14default_configENS1_35radix_sort_onesweep_config_selectorIyNS0_10empty_typeEEEZNS1_34radix_sort_onesweep_global_offsetsIS3_Lb0EPyPS5_mNS0_19identity_decomposerEEE10hipError_tT1_T2_PT3_SE_jT4_jjP12ihipStream_tbEUlT_E0_NS1_11comp_targetILNS1_3genE0ELNS1_11target_archE4294967295ELNS1_3gpuE0ELNS1_3repE0EEENS1_52radix_sort_onesweep_histogram_config_static_selectorELNS0_4arch9wavefront6targetE1EEEvSC_
                                        ; -- End function
	.section	.AMDGPU.csdata,"",@progbits
; Kernel info:
; codeLenInByte = 0
; NumSgprs: 4
; NumVgprs: 0
; NumAgprs: 0
; TotalNumVgprs: 0
; ScratchSize: 0
; MemoryBound: 0
; FloatMode: 240
; IeeeMode: 1
; LDSByteSize: 0 bytes/workgroup (compile time only)
; SGPRBlocks: 0
; VGPRBlocks: 0
; NumSGPRsForWavesPerEU: 4
; NumVGPRsForWavesPerEU: 1
; AccumOffset: 4
; Occupancy: 8
; WaveLimiterHint : 0
; COMPUTE_PGM_RSRC2:SCRATCH_EN: 0
; COMPUTE_PGM_RSRC2:USER_SGPR: 6
; COMPUTE_PGM_RSRC2:TRAP_HANDLER: 0
; COMPUTE_PGM_RSRC2:TGID_X_EN: 1
; COMPUTE_PGM_RSRC2:TGID_Y_EN: 0
; COMPUTE_PGM_RSRC2:TGID_Z_EN: 0
; COMPUTE_PGM_RSRC2:TIDIG_COMP_CNT: 0
; COMPUTE_PGM_RSRC3_GFX90A:ACCUM_OFFSET: 0
; COMPUTE_PGM_RSRC3_GFX90A:TG_SPLIT: 0
	.section	.text._ZN7rocprim17ROCPRIM_400000_NS6detail17trampoline_kernelINS0_14default_configENS1_35radix_sort_onesweep_config_selectorIyNS0_10empty_typeEEEZNS1_34radix_sort_onesweep_global_offsetsIS3_Lb0EPyPS5_mNS0_19identity_decomposerEEE10hipError_tT1_T2_PT3_SE_jT4_jjP12ihipStream_tbEUlT_E0_NS1_11comp_targetILNS1_3genE6ELNS1_11target_archE950ELNS1_3gpuE13ELNS1_3repE0EEENS1_52radix_sort_onesweep_histogram_config_static_selectorELNS0_4arch9wavefront6targetE1EEEvSC_,"axG",@progbits,_ZN7rocprim17ROCPRIM_400000_NS6detail17trampoline_kernelINS0_14default_configENS1_35radix_sort_onesweep_config_selectorIyNS0_10empty_typeEEEZNS1_34radix_sort_onesweep_global_offsetsIS3_Lb0EPyPS5_mNS0_19identity_decomposerEEE10hipError_tT1_T2_PT3_SE_jT4_jjP12ihipStream_tbEUlT_E0_NS1_11comp_targetILNS1_3genE6ELNS1_11target_archE950ELNS1_3gpuE13ELNS1_3repE0EEENS1_52radix_sort_onesweep_histogram_config_static_selectorELNS0_4arch9wavefront6targetE1EEEvSC_,comdat
	.protected	_ZN7rocprim17ROCPRIM_400000_NS6detail17trampoline_kernelINS0_14default_configENS1_35radix_sort_onesweep_config_selectorIyNS0_10empty_typeEEEZNS1_34radix_sort_onesweep_global_offsetsIS3_Lb0EPyPS5_mNS0_19identity_decomposerEEE10hipError_tT1_T2_PT3_SE_jT4_jjP12ihipStream_tbEUlT_E0_NS1_11comp_targetILNS1_3genE6ELNS1_11target_archE950ELNS1_3gpuE13ELNS1_3repE0EEENS1_52radix_sort_onesweep_histogram_config_static_selectorELNS0_4arch9wavefront6targetE1EEEvSC_ ; -- Begin function _ZN7rocprim17ROCPRIM_400000_NS6detail17trampoline_kernelINS0_14default_configENS1_35radix_sort_onesweep_config_selectorIyNS0_10empty_typeEEEZNS1_34radix_sort_onesweep_global_offsetsIS3_Lb0EPyPS5_mNS0_19identity_decomposerEEE10hipError_tT1_T2_PT3_SE_jT4_jjP12ihipStream_tbEUlT_E0_NS1_11comp_targetILNS1_3genE6ELNS1_11target_archE950ELNS1_3gpuE13ELNS1_3repE0EEENS1_52radix_sort_onesweep_histogram_config_static_selectorELNS0_4arch9wavefront6targetE1EEEvSC_
	.globl	_ZN7rocprim17ROCPRIM_400000_NS6detail17trampoline_kernelINS0_14default_configENS1_35radix_sort_onesweep_config_selectorIyNS0_10empty_typeEEEZNS1_34radix_sort_onesweep_global_offsetsIS3_Lb0EPyPS5_mNS0_19identity_decomposerEEE10hipError_tT1_T2_PT3_SE_jT4_jjP12ihipStream_tbEUlT_E0_NS1_11comp_targetILNS1_3genE6ELNS1_11target_archE950ELNS1_3gpuE13ELNS1_3repE0EEENS1_52radix_sort_onesweep_histogram_config_static_selectorELNS0_4arch9wavefront6targetE1EEEvSC_
	.p2align	8
	.type	_ZN7rocprim17ROCPRIM_400000_NS6detail17trampoline_kernelINS0_14default_configENS1_35radix_sort_onesweep_config_selectorIyNS0_10empty_typeEEEZNS1_34radix_sort_onesweep_global_offsetsIS3_Lb0EPyPS5_mNS0_19identity_decomposerEEE10hipError_tT1_T2_PT3_SE_jT4_jjP12ihipStream_tbEUlT_E0_NS1_11comp_targetILNS1_3genE6ELNS1_11target_archE950ELNS1_3gpuE13ELNS1_3repE0EEENS1_52radix_sort_onesweep_histogram_config_static_selectorELNS0_4arch9wavefront6targetE1EEEvSC_,@function
_ZN7rocprim17ROCPRIM_400000_NS6detail17trampoline_kernelINS0_14default_configENS1_35radix_sort_onesweep_config_selectorIyNS0_10empty_typeEEEZNS1_34radix_sort_onesweep_global_offsetsIS3_Lb0EPyPS5_mNS0_19identity_decomposerEEE10hipError_tT1_T2_PT3_SE_jT4_jjP12ihipStream_tbEUlT_E0_NS1_11comp_targetILNS1_3genE6ELNS1_11target_archE950ELNS1_3gpuE13ELNS1_3repE0EEENS1_52radix_sort_onesweep_histogram_config_static_selectorELNS0_4arch9wavefront6targetE1EEEvSC_: ; @_ZN7rocprim17ROCPRIM_400000_NS6detail17trampoline_kernelINS0_14default_configENS1_35radix_sort_onesweep_config_selectorIyNS0_10empty_typeEEEZNS1_34radix_sort_onesweep_global_offsetsIS3_Lb0EPyPS5_mNS0_19identity_decomposerEEE10hipError_tT1_T2_PT3_SE_jT4_jjP12ihipStream_tbEUlT_E0_NS1_11comp_targetILNS1_3genE6ELNS1_11target_archE950ELNS1_3gpuE13ELNS1_3repE0EEENS1_52radix_sort_onesweep_histogram_config_static_selectorELNS0_4arch9wavefront6targetE1EEEvSC_
; %bb.0:
	.section	.rodata,"a",@progbits
	.p2align	6, 0x0
	.amdhsa_kernel _ZN7rocprim17ROCPRIM_400000_NS6detail17trampoline_kernelINS0_14default_configENS1_35radix_sort_onesweep_config_selectorIyNS0_10empty_typeEEEZNS1_34radix_sort_onesweep_global_offsetsIS3_Lb0EPyPS5_mNS0_19identity_decomposerEEE10hipError_tT1_T2_PT3_SE_jT4_jjP12ihipStream_tbEUlT_E0_NS1_11comp_targetILNS1_3genE6ELNS1_11target_archE950ELNS1_3gpuE13ELNS1_3repE0EEENS1_52radix_sort_onesweep_histogram_config_static_selectorELNS0_4arch9wavefront6targetE1EEEvSC_
		.amdhsa_group_segment_fixed_size 0
		.amdhsa_private_segment_fixed_size 0
		.amdhsa_kernarg_size 8
		.amdhsa_user_sgpr_count 6
		.amdhsa_user_sgpr_private_segment_buffer 1
		.amdhsa_user_sgpr_dispatch_ptr 0
		.amdhsa_user_sgpr_queue_ptr 0
		.amdhsa_user_sgpr_kernarg_segment_ptr 1
		.amdhsa_user_sgpr_dispatch_id 0
		.amdhsa_user_sgpr_flat_scratch_init 0
		.amdhsa_user_sgpr_kernarg_preload_length 0
		.amdhsa_user_sgpr_kernarg_preload_offset 0
		.amdhsa_user_sgpr_private_segment_size 0
		.amdhsa_uses_dynamic_stack 0
		.amdhsa_system_sgpr_private_segment_wavefront_offset 0
		.amdhsa_system_sgpr_workgroup_id_x 1
		.amdhsa_system_sgpr_workgroup_id_y 0
		.amdhsa_system_sgpr_workgroup_id_z 0
		.amdhsa_system_sgpr_workgroup_info 0
		.amdhsa_system_vgpr_workitem_id 0
		.amdhsa_next_free_vgpr 1
		.amdhsa_next_free_sgpr 0
		.amdhsa_accum_offset 4
		.amdhsa_reserve_vcc 0
		.amdhsa_reserve_flat_scratch 0
		.amdhsa_float_round_mode_32 0
		.amdhsa_float_round_mode_16_64 0
		.amdhsa_float_denorm_mode_32 3
		.amdhsa_float_denorm_mode_16_64 3
		.amdhsa_dx10_clamp 1
		.amdhsa_ieee_mode 1
		.amdhsa_fp16_overflow 0
		.amdhsa_tg_split 0
		.amdhsa_exception_fp_ieee_invalid_op 0
		.amdhsa_exception_fp_denorm_src 0
		.amdhsa_exception_fp_ieee_div_zero 0
		.amdhsa_exception_fp_ieee_overflow 0
		.amdhsa_exception_fp_ieee_underflow 0
		.amdhsa_exception_fp_ieee_inexact 0
		.amdhsa_exception_int_div_zero 0
	.end_amdhsa_kernel
	.section	.text._ZN7rocprim17ROCPRIM_400000_NS6detail17trampoline_kernelINS0_14default_configENS1_35radix_sort_onesweep_config_selectorIyNS0_10empty_typeEEEZNS1_34radix_sort_onesweep_global_offsetsIS3_Lb0EPyPS5_mNS0_19identity_decomposerEEE10hipError_tT1_T2_PT3_SE_jT4_jjP12ihipStream_tbEUlT_E0_NS1_11comp_targetILNS1_3genE6ELNS1_11target_archE950ELNS1_3gpuE13ELNS1_3repE0EEENS1_52radix_sort_onesweep_histogram_config_static_selectorELNS0_4arch9wavefront6targetE1EEEvSC_,"axG",@progbits,_ZN7rocprim17ROCPRIM_400000_NS6detail17trampoline_kernelINS0_14default_configENS1_35radix_sort_onesweep_config_selectorIyNS0_10empty_typeEEEZNS1_34radix_sort_onesweep_global_offsetsIS3_Lb0EPyPS5_mNS0_19identity_decomposerEEE10hipError_tT1_T2_PT3_SE_jT4_jjP12ihipStream_tbEUlT_E0_NS1_11comp_targetILNS1_3genE6ELNS1_11target_archE950ELNS1_3gpuE13ELNS1_3repE0EEENS1_52radix_sort_onesweep_histogram_config_static_selectorELNS0_4arch9wavefront6targetE1EEEvSC_,comdat
.Lfunc_end1192:
	.size	_ZN7rocprim17ROCPRIM_400000_NS6detail17trampoline_kernelINS0_14default_configENS1_35radix_sort_onesweep_config_selectorIyNS0_10empty_typeEEEZNS1_34radix_sort_onesweep_global_offsetsIS3_Lb0EPyPS5_mNS0_19identity_decomposerEEE10hipError_tT1_T2_PT3_SE_jT4_jjP12ihipStream_tbEUlT_E0_NS1_11comp_targetILNS1_3genE6ELNS1_11target_archE950ELNS1_3gpuE13ELNS1_3repE0EEENS1_52radix_sort_onesweep_histogram_config_static_selectorELNS0_4arch9wavefront6targetE1EEEvSC_, .Lfunc_end1192-_ZN7rocprim17ROCPRIM_400000_NS6detail17trampoline_kernelINS0_14default_configENS1_35radix_sort_onesweep_config_selectorIyNS0_10empty_typeEEEZNS1_34radix_sort_onesweep_global_offsetsIS3_Lb0EPyPS5_mNS0_19identity_decomposerEEE10hipError_tT1_T2_PT3_SE_jT4_jjP12ihipStream_tbEUlT_E0_NS1_11comp_targetILNS1_3genE6ELNS1_11target_archE950ELNS1_3gpuE13ELNS1_3repE0EEENS1_52radix_sort_onesweep_histogram_config_static_selectorELNS0_4arch9wavefront6targetE1EEEvSC_
                                        ; -- End function
	.section	.AMDGPU.csdata,"",@progbits
; Kernel info:
; codeLenInByte = 0
; NumSgprs: 4
; NumVgprs: 0
; NumAgprs: 0
; TotalNumVgprs: 0
; ScratchSize: 0
; MemoryBound: 0
; FloatMode: 240
; IeeeMode: 1
; LDSByteSize: 0 bytes/workgroup (compile time only)
; SGPRBlocks: 0
; VGPRBlocks: 0
; NumSGPRsForWavesPerEU: 4
; NumVGPRsForWavesPerEU: 1
; AccumOffset: 4
; Occupancy: 8
; WaveLimiterHint : 0
; COMPUTE_PGM_RSRC2:SCRATCH_EN: 0
; COMPUTE_PGM_RSRC2:USER_SGPR: 6
; COMPUTE_PGM_RSRC2:TRAP_HANDLER: 0
; COMPUTE_PGM_RSRC2:TGID_X_EN: 1
; COMPUTE_PGM_RSRC2:TGID_Y_EN: 0
; COMPUTE_PGM_RSRC2:TGID_Z_EN: 0
; COMPUTE_PGM_RSRC2:TIDIG_COMP_CNT: 0
; COMPUTE_PGM_RSRC3_GFX90A:ACCUM_OFFSET: 0
; COMPUTE_PGM_RSRC3_GFX90A:TG_SPLIT: 0
	.section	.text._ZN7rocprim17ROCPRIM_400000_NS6detail17trampoline_kernelINS0_14default_configENS1_35radix_sort_onesweep_config_selectorIyNS0_10empty_typeEEEZNS1_34radix_sort_onesweep_global_offsetsIS3_Lb0EPyPS5_mNS0_19identity_decomposerEEE10hipError_tT1_T2_PT3_SE_jT4_jjP12ihipStream_tbEUlT_E0_NS1_11comp_targetILNS1_3genE5ELNS1_11target_archE942ELNS1_3gpuE9ELNS1_3repE0EEENS1_52radix_sort_onesweep_histogram_config_static_selectorELNS0_4arch9wavefront6targetE1EEEvSC_,"axG",@progbits,_ZN7rocprim17ROCPRIM_400000_NS6detail17trampoline_kernelINS0_14default_configENS1_35radix_sort_onesweep_config_selectorIyNS0_10empty_typeEEEZNS1_34radix_sort_onesweep_global_offsetsIS3_Lb0EPyPS5_mNS0_19identity_decomposerEEE10hipError_tT1_T2_PT3_SE_jT4_jjP12ihipStream_tbEUlT_E0_NS1_11comp_targetILNS1_3genE5ELNS1_11target_archE942ELNS1_3gpuE9ELNS1_3repE0EEENS1_52radix_sort_onesweep_histogram_config_static_selectorELNS0_4arch9wavefront6targetE1EEEvSC_,comdat
	.protected	_ZN7rocprim17ROCPRIM_400000_NS6detail17trampoline_kernelINS0_14default_configENS1_35radix_sort_onesweep_config_selectorIyNS0_10empty_typeEEEZNS1_34radix_sort_onesweep_global_offsetsIS3_Lb0EPyPS5_mNS0_19identity_decomposerEEE10hipError_tT1_T2_PT3_SE_jT4_jjP12ihipStream_tbEUlT_E0_NS1_11comp_targetILNS1_3genE5ELNS1_11target_archE942ELNS1_3gpuE9ELNS1_3repE0EEENS1_52radix_sort_onesweep_histogram_config_static_selectorELNS0_4arch9wavefront6targetE1EEEvSC_ ; -- Begin function _ZN7rocprim17ROCPRIM_400000_NS6detail17trampoline_kernelINS0_14default_configENS1_35radix_sort_onesweep_config_selectorIyNS0_10empty_typeEEEZNS1_34radix_sort_onesweep_global_offsetsIS3_Lb0EPyPS5_mNS0_19identity_decomposerEEE10hipError_tT1_T2_PT3_SE_jT4_jjP12ihipStream_tbEUlT_E0_NS1_11comp_targetILNS1_3genE5ELNS1_11target_archE942ELNS1_3gpuE9ELNS1_3repE0EEENS1_52radix_sort_onesweep_histogram_config_static_selectorELNS0_4arch9wavefront6targetE1EEEvSC_
	.globl	_ZN7rocprim17ROCPRIM_400000_NS6detail17trampoline_kernelINS0_14default_configENS1_35radix_sort_onesweep_config_selectorIyNS0_10empty_typeEEEZNS1_34radix_sort_onesweep_global_offsetsIS3_Lb0EPyPS5_mNS0_19identity_decomposerEEE10hipError_tT1_T2_PT3_SE_jT4_jjP12ihipStream_tbEUlT_E0_NS1_11comp_targetILNS1_3genE5ELNS1_11target_archE942ELNS1_3gpuE9ELNS1_3repE0EEENS1_52radix_sort_onesweep_histogram_config_static_selectorELNS0_4arch9wavefront6targetE1EEEvSC_
	.p2align	8
	.type	_ZN7rocprim17ROCPRIM_400000_NS6detail17trampoline_kernelINS0_14default_configENS1_35radix_sort_onesweep_config_selectorIyNS0_10empty_typeEEEZNS1_34radix_sort_onesweep_global_offsetsIS3_Lb0EPyPS5_mNS0_19identity_decomposerEEE10hipError_tT1_T2_PT3_SE_jT4_jjP12ihipStream_tbEUlT_E0_NS1_11comp_targetILNS1_3genE5ELNS1_11target_archE942ELNS1_3gpuE9ELNS1_3repE0EEENS1_52radix_sort_onesweep_histogram_config_static_selectorELNS0_4arch9wavefront6targetE1EEEvSC_,@function
_ZN7rocprim17ROCPRIM_400000_NS6detail17trampoline_kernelINS0_14default_configENS1_35radix_sort_onesweep_config_selectorIyNS0_10empty_typeEEEZNS1_34radix_sort_onesweep_global_offsetsIS3_Lb0EPyPS5_mNS0_19identity_decomposerEEE10hipError_tT1_T2_PT3_SE_jT4_jjP12ihipStream_tbEUlT_E0_NS1_11comp_targetILNS1_3genE5ELNS1_11target_archE942ELNS1_3gpuE9ELNS1_3repE0EEENS1_52radix_sort_onesweep_histogram_config_static_selectorELNS0_4arch9wavefront6targetE1EEEvSC_: ; @_ZN7rocprim17ROCPRIM_400000_NS6detail17trampoline_kernelINS0_14default_configENS1_35radix_sort_onesweep_config_selectorIyNS0_10empty_typeEEEZNS1_34radix_sort_onesweep_global_offsetsIS3_Lb0EPyPS5_mNS0_19identity_decomposerEEE10hipError_tT1_T2_PT3_SE_jT4_jjP12ihipStream_tbEUlT_E0_NS1_11comp_targetILNS1_3genE5ELNS1_11target_archE942ELNS1_3gpuE9ELNS1_3repE0EEENS1_52radix_sort_onesweep_histogram_config_static_selectorELNS0_4arch9wavefront6targetE1EEEvSC_
; %bb.0:
	.section	.rodata,"a",@progbits
	.p2align	6, 0x0
	.amdhsa_kernel _ZN7rocprim17ROCPRIM_400000_NS6detail17trampoline_kernelINS0_14default_configENS1_35radix_sort_onesweep_config_selectorIyNS0_10empty_typeEEEZNS1_34radix_sort_onesweep_global_offsetsIS3_Lb0EPyPS5_mNS0_19identity_decomposerEEE10hipError_tT1_T2_PT3_SE_jT4_jjP12ihipStream_tbEUlT_E0_NS1_11comp_targetILNS1_3genE5ELNS1_11target_archE942ELNS1_3gpuE9ELNS1_3repE0EEENS1_52radix_sort_onesweep_histogram_config_static_selectorELNS0_4arch9wavefront6targetE1EEEvSC_
		.amdhsa_group_segment_fixed_size 0
		.amdhsa_private_segment_fixed_size 0
		.amdhsa_kernarg_size 8
		.amdhsa_user_sgpr_count 6
		.amdhsa_user_sgpr_private_segment_buffer 1
		.amdhsa_user_sgpr_dispatch_ptr 0
		.amdhsa_user_sgpr_queue_ptr 0
		.amdhsa_user_sgpr_kernarg_segment_ptr 1
		.amdhsa_user_sgpr_dispatch_id 0
		.amdhsa_user_sgpr_flat_scratch_init 0
		.amdhsa_user_sgpr_kernarg_preload_length 0
		.amdhsa_user_sgpr_kernarg_preload_offset 0
		.amdhsa_user_sgpr_private_segment_size 0
		.amdhsa_uses_dynamic_stack 0
		.amdhsa_system_sgpr_private_segment_wavefront_offset 0
		.amdhsa_system_sgpr_workgroup_id_x 1
		.amdhsa_system_sgpr_workgroup_id_y 0
		.amdhsa_system_sgpr_workgroup_id_z 0
		.amdhsa_system_sgpr_workgroup_info 0
		.amdhsa_system_vgpr_workitem_id 0
		.amdhsa_next_free_vgpr 1
		.amdhsa_next_free_sgpr 0
		.amdhsa_accum_offset 4
		.amdhsa_reserve_vcc 0
		.amdhsa_reserve_flat_scratch 0
		.amdhsa_float_round_mode_32 0
		.amdhsa_float_round_mode_16_64 0
		.amdhsa_float_denorm_mode_32 3
		.amdhsa_float_denorm_mode_16_64 3
		.amdhsa_dx10_clamp 1
		.amdhsa_ieee_mode 1
		.amdhsa_fp16_overflow 0
		.amdhsa_tg_split 0
		.amdhsa_exception_fp_ieee_invalid_op 0
		.amdhsa_exception_fp_denorm_src 0
		.amdhsa_exception_fp_ieee_div_zero 0
		.amdhsa_exception_fp_ieee_overflow 0
		.amdhsa_exception_fp_ieee_underflow 0
		.amdhsa_exception_fp_ieee_inexact 0
		.amdhsa_exception_int_div_zero 0
	.end_amdhsa_kernel
	.section	.text._ZN7rocprim17ROCPRIM_400000_NS6detail17trampoline_kernelINS0_14default_configENS1_35radix_sort_onesweep_config_selectorIyNS0_10empty_typeEEEZNS1_34radix_sort_onesweep_global_offsetsIS3_Lb0EPyPS5_mNS0_19identity_decomposerEEE10hipError_tT1_T2_PT3_SE_jT4_jjP12ihipStream_tbEUlT_E0_NS1_11comp_targetILNS1_3genE5ELNS1_11target_archE942ELNS1_3gpuE9ELNS1_3repE0EEENS1_52radix_sort_onesweep_histogram_config_static_selectorELNS0_4arch9wavefront6targetE1EEEvSC_,"axG",@progbits,_ZN7rocprim17ROCPRIM_400000_NS6detail17trampoline_kernelINS0_14default_configENS1_35radix_sort_onesweep_config_selectorIyNS0_10empty_typeEEEZNS1_34radix_sort_onesweep_global_offsetsIS3_Lb0EPyPS5_mNS0_19identity_decomposerEEE10hipError_tT1_T2_PT3_SE_jT4_jjP12ihipStream_tbEUlT_E0_NS1_11comp_targetILNS1_3genE5ELNS1_11target_archE942ELNS1_3gpuE9ELNS1_3repE0EEENS1_52radix_sort_onesweep_histogram_config_static_selectorELNS0_4arch9wavefront6targetE1EEEvSC_,comdat
.Lfunc_end1193:
	.size	_ZN7rocprim17ROCPRIM_400000_NS6detail17trampoline_kernelINS0_14default_configENS1_35radix_sort_onesweep_config_selectorIyNS0_10empty_typeEEEZNS1_34radix_sort_onesweep_global_offsetsIS3_Lb0EPyPS5_mNS0_19identity_decomposerEEE10hipError_tT1_T2_PT3_SE_jT4_jjP12ihipStream_tbEUlT_E0_NS1_11comp_targetILNS1_3genE5ELNS1_11target_archE942ELNS1_3gpuE9ELNS1_3repE0EEENS1_52radix_sort_onesweep_histogram_config_static_selectorELNS0_4arch9wavefront6targetE1EEEvSC_, .Lfunc_end1193-_ZN7rocprim17ROCPRIM_400000_NS6detail17trampoline_kernelINS0_14default_configENS1_35radix_sort_onesweep_config_selectorIyNS0_10empty_typeEEEZNS1_34radix_sort_onesweep_global_offsetsIS3_Lb0EPyPS5_mNS0_19identity_decomposerEEE10hipError_tT1_T2_PT3_SE_jT4_jjP12ihipStream_tbEUlT_E0_NS1_11comp_targetILNS1_3genE5ELNS1_11target_archE942ELNS1_3gpuE9ELNS1_3repE0EEENS1_52radix_sort_onesweep_histogram_config_static_selectorELNS0_4arch9wavefront6targetE1EEEvSC_
                                        ; -- End function
	.section	.AMDGPU.csdata,"",@progbits
; Kernel info:
; codeLenInByte = 0
; NumSgprs: 4
; NumVgprs: 0
; NumAgprs: 0
; TotalNumVgprs: 0
; ScratchSize: 0
; MemoryBound: 0
; FloatMode: 240
; IeeeMode: 1
; LDSByteSize: 0 bytes/workgroup (compile time only)
; SGPRBlocks: 0
; VGPRBlocks: 0
; NumSGPRsForWavesPerEU: 4
; NumVGPRsForWavesPerEU: 1
; AccumOffset: 4
; Occupancy: 8
; WaveLimiterHint : 0
; COMPUTE_PGM_RSRC2:SCRATCH_EN: 0
; COMPUTE_PGM_RSRC2:USER_SGPR: 6
; COMPUTE_PGM_RSRC2:TRAP_HANDLER: 0
; COMPUTE_PGM_RSRC2:TGID_X_EN: 1
; COMPUTE_PGM_RSRC2:TGID_Y_EN: 0
; COMPUTE_PGM_RSRC2:TGID_Z_EN: 0
; COMPUTE_PGM_RSRC2:TIDIG_COMP_CNT: 0
; COMPUTE_PGM_RSRC3_GFX90A:ACCUM_OFFSET: 0
; COMPUTE_PGM_RSRC3_GFX90A:TG_SPLIT: 0
	.section	.text._ZN7rocprim17ROCPRIM_400000_NS6detail17trampoline_kernelINS0_14default_configENS1_35radix_sort_onesweep_config_selectorIyNS0_10empty_typeEEEZNS1_34radix_sort_onesweep_global_offsetsIS3_Lb0EPyPS5_mNS0_19identity_decomposerEEE10hipError_tT1_T2_PT3_SE_jT4_jjP12ihipStream_tbEUlT_E0_NS1_11comp_targetILNS1_3genE2ELNS1_11target_archE906ELNS1_3gpuE6ELNS1_3repE0EEENS1_52radix_sort_onesweep_histogram_config_static_selectorELNS0_4arch9wavefront6targetE1EEEvSC_,"axG",@progbits,_ZN7rocprim17ROCPRIM_400000_NS6detail17trampoline_kernelINS0_14default_configENS1_35radix_sort_onesweep_config_selectorIyNS0_10empty_typeEEEZNS1_34radix_sort_onesweep_global_offsetsIS3_Lb0EPyPS5_mNS0_19identity_decomposerEEE10hipError_tT1_T2_PT3_SE_jT4_jjP12ihipStream_tbEUlT_E0_NS1_11comp_targetILNS1_3genE2ELNS1_11target_archE906ELNS1_3gpuE6ELNS1_3repE0EEENS1_52radix_sort_onesweep_histogram_config_static_selectorELNS0_4arch9wavefront6targetE1EEEvSC_,comdat
	.protected	_ZN7rocprim17ROCPRIM_400000_NS6detail17trampoline_kernelINS0_14default_configENS1_35radix_sort_onesweep_config_selectorIyNS0_10empty_typeEEEZNS1_34radix_sort_onesweep_global_offsetsIS3_Lb0EPyPS5_mNS0_19identity_decomposerEEE10hipError_tT1_T2_PT3_SE_jT4_jjP12ihipStream_tbEUlT_E0_NS1_11comp_targetILNS1_3genE2ELNS1_11target_archE906ELNS1_3gpuE6ELNS1_3repE0EEENS1_52radix_sort_onesweep_histogram_config_static_selectorELNS0_4arch9wavefront6targetE1EEEvSC_ ; -- Begin function _ZN7rocprim17ROCPRIM_400000_NS6detail17trampoline_kernelINS0_14default_configENS1_35radix_sort_onesweep_config_selectorIyNS0_10empty_typeEEEZNS1_34radix_sort_onesweep_global_offsetsIS3_Lb0EPyPS5_mNS0_19identity_decomposerEEE10hipError_tT1_T2_PT3_SE_jT4_jjP12ihipStream_tbEUlT_E0_NS1_11comp_targetILNS1_3genE2ELNS1_11target_archE906ELNS1_3gpuE6ELNS1_3repE0EEENS1_52radix_sort_onesweep_histogram_config_static_selectorELNS0_4arch9wavefront6targetE1EEEvSC_
	.globl	_ZN7rocprim17ROCPRIM_400000_NS6detail17trampoline_kernelINS0_14default_configENS1_35radix_sort_onesweep_config_selectorIyNS0_10empty_typeEEEZNS1_34radix_sort_onesweep_global_offsetsIS3_Lb0EPyPS5_mNS0_19identity_decomposerEEE10hipError_tT1_T2_PT3_SE_jT4_jjP12ihipStream_tbEUlT_E0_NS1_11comp_targetILNS1_3genE2ELNS1_11target_archE906ELNS1_3gpuE6ELNS1_3repE0EEENS1_52radix_sort_onesweep_histogram_config_static_selectorELNS0_4arch9wavefront6targetE1EEEvSC_
	.p2align	8
	.type	_ZN7rocprim17ROCPRIM_400000_NS6detail17trampoline_kernelINS0_14default_configENS1_35radix_sort_onesweep_config_selectorIyNS0_10empty_typeEEEZNS1_34radix_sort_onesweep_global_offsetsIS3_Lb0EPyPS5_mNS0_19identity_decomposerEEE10hipError_tT1_T2_PT3_SE_jT4_jjP12ihipStream_tbEUlT_E0_NS1_11comp_targetILNS1_3genE2ELNS1_11target_archE906ELNS1_3gpuE6ELNS1_3repE0EEENS1_52radix_sort_onesweep_histogram_config_static_selectorELNS0_4arch9wavefront6targetE1EEEvSC_,@function
_ZN7rocprim17ROCPRIM_400000_NS6detail17trampoline_kernelINS0_14default_configENS1_35radix_sort_onesweep_config_selectorIyNS0_10empty_typeEEEZNS1_34radix_sort_onesweep_global_offsetsIS3_Lb0EPyPS5_mNS0_19identity_decomposerEEE10hipError_tT1_T2_PT3_SE_jT4_jjP12ihipStream_tbEUlT_E0_NS1_11comp_targetILNS1_3genE2ELNS1_11target_archE906ELNS1_3gpuE6ELNS1_3repE0EEENS1_52radix_sort_onesweep_histogram_config_static_selectorELNS0_4arch9wavefront6targetE1EEEvSC_: ; @_ZN7rocprim17ROCPRIM_400000_NS6detail17trampoline_kernelINS0_14default_configENS1_35radix_sort_onesweep_config_selectorIyNS0_10empty_typeEEEZNS1_34radix_sort_onesweep_global_offsetsIS3_Lb0EPyPS5_mNS0_19identity_decomposerEEE10hipError_tT1_T2_PT3_SE_jT4_jjP12ihipStream_tbEUlT_E0_NS1_11comp_targetILNS1_3genE2ELNS1_11target_archE906ELNS1_3gpuE6ELNS1_3repE0EEENS1_52radix_sort_onesweep_histogram_config_static_selectorELNS0_4arch9wavefront6targetE1EEEvSC_
; %bb.0:
	.section	.rodata,"a",@progbits
	.p2align	6, 0x0
	.amdhsa_kernel _ZN7rocprim17ROCPRIM_400000_NS6detail17trampoline_kernelINS0_14default_configENS1_35radix_sort_onesweep_config_selectorIyNS0_10empty_typeEEEZNS1_34radix_sort_onesweep_global_offsetsIS3_Lb0EPyPS5_mNS0_19identity_decomposerEEE10hipError_tT1_T2_PT3_SE_jT4_jjP12ihipStream_tbEUlT_E0_NS1_11comp_targetILNS1_3genE2ELNS1_11target_archE906ELNS1_3gpuE6ELNS1_3repE0EEENS1_52radix_sort_onesweep_histogram_config_static_selectorELNS0_4arch9wavefront6targetE1EEEvSC_
		.amdhsa_group_segment_fixed_size 0
		.amdhsa_private_segment_fixed_size 0
		.amdhsa_kernarg_size 8
		.amdhsa_user_sgpr_count 6
		.amdhsa_user_sgpr_private_segment_buffer 1
		.amdhsa_user_sgpr_dispatch_ptr 0
		.amdhsa_user_sgpr_queue_ptr 0
		.amdhsa_user_sgpr_kernarg_segment_ptr 1
		.amdhsa_user_sgpr_dispatch_id 0
		.amdhsa_user_sgpr_flat_scratch_init 0
		.amdhsa_user_sgpr_kernarg_preload_length 0
		.amdhsa_user_sgpr_kernarg_preload_offset 0
		.amdhsa_user_sgpr_private_segment_size 0
		.amdhsa_uses_dynamic_stack 0
		.amdhsa_system_sgpr_private_segment_wavefront_offset 0
		.amdhsa_system_sgpr_workgroup_id_x 1
		.amdhsa_system_sgpr_workgroup_id_y 0
		.amdhsa_system_sgpr_workgroup_id_z 0
		.amdhsa_system_sgpr_workgroup_info 0
		.amdhsa_system_vgpr_workitem_id 0
		.amdhsa_next_free_vgpr 1
		.amdhsa_next_free_sgpr 0
		.amdhsa_accum_offset 4
		.amdhsa_reserve_vcc 0
		.amdhsa_reserve_flat_scratch 0
		.amdhsa_float_round_mode_32 0
		.amdhsa_float_round_mode_16_64 0
		.amdhsa_float_denorm_mode_32 3
		.amdhsa_float_denorm_mode_16_64 3
		.amdhsa_dx10_clamp 1
		.amdhsa_ieee_mode 1
		.amdhsa_fp16_overflow 0
		.amdhsa_tg_split 0
		.amdhsa_exception_fp_ieee_invalid_op 0
		.amdhsa_exception_fp_denorm_src 0
		.amdhsa_exception_fp_ieee_div_zero 0
		.amdhsa_exception_fp_ieee_overflow 0
		.amdhsa_exception_fp_ieee_underflow 0
		.amdhsa_exception_fp_ieee_inexact 0
		.amdhsa_exception_int_div_zero 0
	.end_amdhsa_kernel
	.section	.text._ZN7rocprim17ROCPRIM_400000_NS6detail17trampoline_kernelINS0_14default_configENS1_35radix_sort_onesweep_config_selectorIyNS0_10empty_typeEEEZNS1_34radix_sort_onesweep_global_offsetsIS3_Lb0EPyPS5_mNS0_19identity_decomposerEEE10hipError_tT1_T2_PT3_SE_jT4_jjP12ihipStream_tbEUlT_E0_NS1_11comp_targetILNS1_3genE2ELNS1_11target_archE906ELNS1_3gpuE6ELNS1_3repE0EEENS1_52radix_sort_onesweep_histogram_config_static_selectorELNS0_4arch9wavefront6targetE1EEEvSC_,"axG",@progbits,_ZN7rocprim17ROCPRIM_400000_NS6detail17trampoline_kernelINS0_14default_configENS1_35radix_sort_onesweep_config_selectorIyNS0_10empty_typeEEEZNS1_34radix_sort_onesweep_global_offsetsIS3_Lb0EPyPS5_mNS0_19identity_decomposerEEE10hipError_tT1_T2_PT3_SE_jT4_jjP12ihipStream_tbEUlT_E0_NS1_11comp_targetILNS1_3genE2ELNS1_11target_archE906ELNS1_3gpuE6ELNS1_3repE0EEENS1_52radix_sort_onesweep_histogram_config_static_selectorELNS0_4arch9wavefront6targetE1EEEvSC_,comdat
.Lfunc_end1194:
	.size	_ZN7rocprim17ROCPRIM_400000_NS6detail17trampoline_kernelINS0_14default_configENS1_35radix_sort_onesweep_config_selectorIyNS0_10empty_typeEEEZNS1_34radix_sort_onesweep_global_offsetsIS3_Lb0EPyPS5_mNS0_19identity_decomposerEEE10hipError_tT1_T2_PT3_SE_jT4_jjP12ihipStream_tbEUlT_E0_NS1_11comp_targetILNS1_3genE2ELNS1_11target_archE906ELNS1_3gpuE6ELNS1_3repE0EEENS1_52radix_sort_onesweep_histogram_config_static_selectorELNS0_4arch9wavefront6targetE1EEEvSC_, .Lfunc_end1194-_ZN7rocprim17ROCPRIM_400000_NS6detail17trampoline_kernelINS0_14default_configENS1_35radix_sort_onesweep_config_selectorIyNS0_10empty_typeEEEZNS1_34radix_sort_onesweep_global_offsetsIS3_Lb0EPyPS5_mNS0_19identity_decomposerEEE10hipError_tT1_T2_PT3_SE_jT4_jjP12ihipStream_tbEUlT_E0_NS1_11comp_targetILNS1_3genE2ELNS1_11target_archE906ELNS1_3gpuE6ELNS1_3repE0EEENS1_52radix_sort_onesweep_histogram_config_static_selectorELNS0_4arch9wavefront6targetE1EEEvSC_
                                        ; -- End function
	.section	.AMDGPU.csdata,"",@progbits
; Kernel info:
; codeLenInByte = 0
; NumSgprs: 4
; NumVgprs: 0
; NumAgprs: 0
; TotalNumVgprs: 0
; ScratchSize: 0
; MemoryBound: 0
; FloatMode: 240
; IeeeMode: 1
; LDSByteSize: 0 bytes/workgroup (compile time only)
; SGPRBlocks: 0
; VGPRBlocks: 0
; NumSGPRsForWavesPerEU: 4
; NumVGPRsForWavesPerEU: 1
; AccumOffset: 4
; Occupancy: 8
; WaveLimiterHint : 0
; COMPUTE_PGM_RSRC2:SCRATCH_EN: 0
; COMPUTE_PGM_RSRC2:USER_SGPR: 6
; COMPUTE_PGM_RSRC2:TRAP_HANDLER: 0
; COMPUTE_PGM_RSRC2:TGID_X_EN: 1
; COMPUTE_PGM_RSRC2:TGID_Y_EN: 0
; COMPUTE_PGM_RSRC2:TGID_Z_EN: 0
; COMPUTE_PGM_RSRC2:TIDIG_COMP_CNT: 0
; COMPUTE_PGM_RSRC3_GFX90A:ACCUM_OFFSET: 0
; COMPUTE_PGM_RSRC3_GFX90A:TG_SPLIT: 0
	.section	.text._ZN7rocprim17ROCPRIM_400000_NS6detail17trampoline_kernelINS0_14default_configENS1_35radix_sort_onesweep_config_selectorIyNS0_10empty_typeEEEZNS1_34radix_sort_onesweep_global_offsetsIS3_Lb0EPyPS5_mNS0_19identity_decomposerEEE10hipError_tT1_T2_PT3_SE_jT4_jjP12ihipStream_tbEUlT_E0_NS1_11comp_targetILNS1_3genE4ELNS1_11target_archE910ELNS1_3gpuE8ELNS1_3repE0EEENS1_52radix_sort_onesweep_histogram_config_static_selectorELNS0_4arch9wavefront6targetE1EEEvSC_,"axG",@progbits,_ZN7rocprim17ROCPRIM_400000_NS6detail17trampoline_kernelINS0_14default_configENS1_35radix_sort_onesweep_config_selectorIyNS0_10empty_typeEEEZNS1_34radix_sort_onesweep_global_offsetsIS3_Lb0EPyPS5_mNS0_19identity_decomposerEEE10hipError_tT1_T2_PT3_SE_jT4_jjP12ihipStream_tbEUlT_E0_NS1_11comp_targetILNS1_3genE4ELNS1_11target_archE910ELNS1_3gpuE8ELNS1_3repE0EEENS1_52radix_sort_onesweep_histogram_config_static_selectorELNS0_4arch9wavefront6targetE1EEEvSC_,comdat
	.protected	_ZN7rocprim17ROCPRIM_400000_NS6detail17trampoline_kernelINS0_14default_configENS1_35radix_sort_onesweep_config_selectorIyNS0_10empty_typeEEEZNS1_34radix_sort_onesweep_global_offsetsIS3_Lb0EPyPS5_mNS0_19identity_decomposerEEE10hipError_tT1_T2_PT3_SE_jT4_jjP12ihipStream_tbEUlT_E0_NS1_11comp_targetILNS1_3genE4ELNS1_11target_archE910ELNS1_3gpuE8ELNS1_3repE0EEENS1_52radix_sort_onesweep_histogram_config_static_selectorELNS0_4arch9wavefront6targetE1EEEvSC_ ; -- Begin function _ZN7rocprim17ROCPRIM_400000_NS6detail17trampoline_kernelINS0_14default_configENS1_35radix_sort_onesweep_config_selectorIyNS0_10empty_typeEEEZNS1_34radix_sort_onesweep_global_offsetsIS3_Lb0EPyPS5_mNS0_19identity_decomposerEEE10hipError_tT1_T2_PT3_SE_jT4_jjP12ihipStream_tbEUlT_E0_NS1_11comp_targetILNS1_3genE4ELNS1_11target_archE910ELNS1_3gpuE8ELNS1_3repE0EEENS1_52radix_sort_onesweep_histogram_config_static_selectorELNS0_4arch9wavefront6targetE1EEEvSC_
	.globl	_ZN7rocprim17ROCPRIM_400000_NS6detail17trampoline_kernelINS0_14default_configENS1_35radix_sort_onesweep_config_selectorIyNS0_10empty_typeEEEZNS1_34radix_sort_onesweep_global_offsetsIS3_Lb0EPyPS5_mNS0_19identity_decomposerEEE10hipError_tT1_T2_PT3_SE_jT4_jjP12ihipStream_tbEUlT_E0_NS1_11comp_targetILNS1_3genE4ELNS1_11target_archE910ELNS1_3gpuE8ELNS1_3repE0EEENS1_52radix_sort_onesweep_histogram_config_static_selectorELNS0_4arch9wavefront6targetE1EEEvSC_
	.p2align	8
	.type	_ZN7rocprim17ROCPRIM_400000_NS6detail17trampoline_kernelINS0_14default_configENS1_35radix_sort_onesweep_config_selectorIyNS0_10empty_typeEEEZNS1_34radix_sort_onesweep_global_offsetsIS3_Lb0EPyPS5_mNS0_19identity_decomposerEEE10hipError_tT1_T2_PT3_SE_jT4_jjP12ihipStream_tbEUlT_E0_NS1_11comp_targetILNS1_3genE4ELNS1_11target_archE910ELNS1_3gpuE8ELNS1_3repE0EEENS1_52radix_sort_onesweep_histogram_config_static_selectorELNS0_4arch9wavefront6targetE1EEEvSC_,@function
_ZN7rocprim17ROCPRIM_400000_NS6detail17trampoline_kernelINS0_14default_configENS1_35radix_sort_onesweep_config_selectorIyNS0_10empty_typeEEEZNS1_34radix_sort_onesweep_global_offsetsIS3_Lb0EPyPS5_mNS0_19identity_decomposerEEE10hipError_tT1_T2_PT3_SE_jT4_jjP12ihipStream_tbEUlT_E0_NS1_11comp_targetILNS1_3genE4ELNS1_11target_archE910ELNS1_3gpuE8ELNS1_3repE0EEENS1_52radix_sort_onesweep_histogram_config_static_selectorELNS0_4arch9wavefront6targetE1EEEvSC_: ; @_ZN7rocprim17ROCPRIM_400000_NS6detail17trampoline_kernelINS0_14default_configENS1_35radix_sort_onesweep_config_selectorIyNS0_10empty_typeEEEZNS1_34radix_sort_onesweep_global_offsetsIS3_Lb0EPyPS5_mNS0_19identity_decomposerEEE10hipError_tT1_T2_PT3_SE_jT4_jjP12ihipStream_tbEUlT_E0_NS1_11comp_targetILNS1_3genE4ELNS1_11target_archE910ELNS1_3gpuE8ELNS1_3repE0EEENS1_52radix_sort_onesweep_histogram_config_static_selectorELNS0_4arch9wavefront6targetE1EEEvSC_
; %bb.0:
	s_load_dwordx2 s[0:1], s[4:5], 0x0
	s_lshl_b32 s2, s6, 8
	s_mov_b32 s3, 0
	s_lshl_b64 s[2:3], s[2:3], 3
	v_lshlrev_b32_e32 v5, 3, v0
	s_waitcnt lgkmcnt(0)
	s_add_u32 s14, s0, s2
	s_movk_i32 s0, 0x100
	s_addc_u32 s15, s1, s3
	v_cmp_gt_u32_e32 vcc, s0, v0
                                        ; implicit-def: $vgpr2_vgpr3
	s_and_saveexec_b64 s[0:1], vcc
	s_cbranch_execz .LBB1195_2
; %bb.1:
	global_load_dwordx2 v[2:3], v5, s[14:15]
.LBB1195_2:
	s_or_b64 exec, exec, s[0:1]
	s_waitcnt vmcnt(0)
	v_mov_b32_dpp v4, v2 row_shr:1 row_mask:0xf bank_mask:0xf
	v_add_co_u32_e64 v4, s[0:1], v2, v4
	v_mbcnt_lo_u32_b32 v1, -1, 0
	v_addc_co_u32_e64 v8, s[0:1], 0, v3, s[0:1]
	v_mbcnt_hi_u32_b32 v6, -1, v1
	v_mov_b32_dpp v7, v3 row_shr:1 row_mask:0xf bank_mask:0xf
	v_add_co_u32_e64 v9, s[0:1], 0, v4
	v_and_b32_e32 v1, 15, v6
	v_addc_co_u32_e64 v7, s[0:1], v7, v8, s[0:1]
	v_cmp_eq_u32_e64 s[0:1], 0, v1
	v_cndmask_b32_e64 v4, v4, v2, s[0:1]
	v_cndmask_b32_e64 v7, v7, v3, s[0:1]
	v_cndmask_b32_e64 v8, v9, v2, s[0:1]
	v_mov_b32_dpp v9, v4 row_shr:2 row_mask:0xf bank_mask:0xf
	v_mov_b32_dpp v10, v7 row_shr:2 row_mask:0xf bank_mask:0xf
	v_add_co_u32_e64 v9, s[2:3], v9, v8
	v_cmp_lt_u32_e64 s[4:5], 1, v1
	v_addc_co_u32_e64 v10, s[2:3], v10, v7, s[2:3]
	v_cndmask_b32_e64 v4, v4, v9, s[4:5]
	v_cndmask_b32_e64 v7, v7, v10, s[4:5]
	v_cndmask_b32_e64 v8, v8, v9, s[4:5]
	v_mov_b32_dpp v9, v4 row_shr:4 row_mask:0xf bank_mask:0xf
	v_mov_b32_dpp v10, v7 row_shr:4 row_mask:0xf bank_mask:0xf
	v_add_co_u32_e64 v9, s[2:3], v9, v8
	v_cmp_lt_u32_e64 s[6:7], 3, v1
	v_addc_co_u32_e64 v10, s[2:3], v10, v7, s[2:3]
	;; [unrolled: 8-line block ×3, first 2 shown]
	v_cndmask_b32_e64 v11, v4, v9, s[8:9]
	v_cndmask_b32_e64 v1, v7, v10, s[8:9]
	;; [unrolled: 1-line block ×3, first 2 shown]
	v_mov_b32_dpp v7, v11 row_bcast:15 row_mask:0xf bank_mask:0xf
	v_mov_b32_dpp v8, v1 row_bcast:15 row_mask:0xf bank_mask:0xf
	v_and_b32_e32 v10, 16, v6
	v_add_co_u32_e64 v7, s[2:3], v7, v4
	v_addc_co_u32_e64 v9, s[2:3], v8, v1, s[2:3]
	v_cmp_eq_u32_e64 s[10:11], 0, v10
	v_cndmask_b32_e64 v10, v9, v1, s[10:11]
	v_cndmask_b32_e64 v8, v7, v11, s[10:11]
	v_cmp_eq_u32_e64 s[2:3], 0, v6
	v_mov_b32_dpp v10, v10 row_bcast:31 row_mask:0xf bank_mask:0xf
	v_mov_b32_dpp v8, v8 row_bcast:31 row_mask:0xf bank_mask:0xf
	v_cmp_ne_u32_e64 s[12:13], 0, v6
	s_and_saveexec_b64 s[16:17], s[12:13]
; %bb.3:
	v_cndmask_b32_e64 v1, v9, v1, s[10:11]
	v_cndmask_b32_e64 v2, v7, v4, s[10:11]
	v_cmp_lt_u32_e64 s[10:11], 31, v6
	v_cndmask_b32_e64 v4, 0, v8, s[10:11]
	v_cndmask_b32_e64 v3, 0, v10, s[10:11]
	v_add_co_u32_e64 v2, s[10:11], v4, v2
	v_addc_co_u32_e64 v3, s[10:11], v3, v1, s[10:11]
; %bb.4:
	s_or_b64 exec, exec, s[16:17]
	v_and_b32_e32 v1, 63, v0
	v_lshrrev_b32_e32 v4, 6, v0
	v_cmp_eq_u32_e64 s[10:11], 63, v1
	s_and_saveexec_b64 s[12:13], s[10:11]
	s_cbranch_execz .LBB1195_6
; %bb.5:
	v_lshlrev_b32_e32 v1, 3, v4
	ds_write_b64 v1, v[2:3]
.LBB1195_6:
	s_or_b64 exec, exec, s[12:13]
	v_cmp_gt_u32_e64 s[10:11], 16, v0
	s_waitcnt lgkmcnt(0)
	s_barrier
	s_and_saveexec_b64 s[12:13], s[10:11]
	s_cbranch_execz .LBB1195_8
; %bb.7:
	ds_read_b64 v[8:9], v5
	s_waitcnt lgkmcnt(0)
	s_nop 0
	v_mov_b32_dpp v1, v8 row_shr:1 row_mask:0xf bank_mask:0xf
	v_add_co_u32_e64 v1, s[10:11], v8, v1
	v_addc_co_u32_e64 v10, s[10:11], 0, v9, s[10:11]
	v_mov_b32_dpp v7, v9 row_shr:1 row_mask:0xf bank_mask:0xf
	v_add_co_u32_e64 v11, s[10:11], 0, v1
	v_addc_co_u32_e64 v7, s[10:11], v7, v10, s[10:11]
	v_cndmask_b32_e64 v1, v1, v8, s[0:1]
	v_cndmask_b32_e64 v7, v7, v9, s[0:1]
	v_cndmask_b32_e64 v10, v11, v8, s[0:1]
	v_mov_b32_dpp v11, v1 row_shr:2 row_mask:0xf bank_mask:0xf
	v_mov_b32_dpp v12, v7 row_shr:2 row_mask:0xf bank_mask:0xf
	v_add_co_u32_e64 v11, s[10:11], v11, v10
	v_addc_co_u32_e64 v12, s[10:11], v12, v7, s[10:11]
	v_cndmask_b32_e64 v1, v1, v11, s[4:5]
	v_cndmask_b32_e64 v7, v7, v12, s[4:5]
	v_cndmask_b32_e64 v10, v10, v11, s[4:5]
	v_mov_b32_dpp v11, v1 row_shr:4 row_mask:0xf bank_mask:0xf
	;; [unrolled: 7-line block ×3, first 2 shown]
	v_mov_b32_dpp v12, v7 row_shr:8 row_mask:0xf bank_mask:0xf
	v_cndmask_b32_e64 v1, 0, v1, s[8:9]
	v_cndmask_b32_e64 v11, 0, v12, s[8:9]
	v_add_co_u32_e64 v1, s[4:5], v1, v10
	v_addc_co_u32_e64 v7, s[4:5], v11, v7, s[4:5]
	v_cndmask_b32_e64 v9, v7, v9, s[0:1]
	v_cndmask_b32_e64 v8, v1, v8, s[0:1]
	ds_write_b64 v5, v[8:9]
.LBB1195_8:
	s_or_b64 exec, exec, s[12:13]
	v_cmp_lt_u32_e64 s[0:1], 63, v0
	v_pk_mov_b32 v[0:1], 0, 0
	s_waitcnt lgkmcnt(0)
	s_barrier
	s_and_saveexec_b64 s[4:5], s[0:1]
	s_cbranch_execz .LBB1195_10
; %bb.9:
	v_lshl_add_u32 v0, v4, 3, -8
	ds_read_b64 v[0:1], v0
.LBB1195_10:
	s_or_b64 exec, exec, s[4:5]
	s_waitcnt lgkmcnt(0)
	v_add_co_u32_e64 v2, s[0:1], v0, v2
	v_addc_co_u32_e64 v3, s[0:1], v1, v3, s[0:1]
	v_add_u32_e32 v4, -1, v6
	v_and_b32_e32 v7, 64, v6
	v_cmp_lt_i32_e64 s[0:1], v4, v7
	v_cndmask_b32_e64 v4, v4, v6, s[0:1]
	v_lshlrev_b32_e32 v4, 2, v4
	ds_bpermute_b32 v2, v4, v2
	ds_bpermute_b32 v3, v4, v3
	s_and_saveexec_b64 s[0:1], vcc
	s_cbranch_execz .LBB1195_12
; %bb.11:
	s_waitcnt lgkmcnt(0)
	v_cndmask_b32_e64 v1, v3, v1, s[2:3]
	v_cndmask_b32_e64 v0, v2, v0, s[2:3]
	global_store_dwordx2 v5, v[0:1], s[14:15]
.LBB1195_12:
	s_endpgm
	.section	.rodata,"a",@progbits
	.p2align	6, 0x0
	.amdhsa_kernel _ZN7rocprim17ROCPRIM_400000_NS6detail17trampoline_kernelINS0_14default_configENS1_35radix_sort_onesweep_config_selectorIyNS0_10empty_typeEEEZNS1_34radix_sort_onesweep_global_offsetsIS3_Lb0EPyPS5_mNS0_19identity_decomposerEEE10hipError_tT1_T2_PT3_SE_jT4_jjP12ihipStream_tbEUlT_E0_NS1_11comp_targetILNS1_3genE4ELNS1_11target_archE910ELNS1_3gpuE8ELNS1_3repE0EEENS1_52radix_sort_onesweep_histogram_config_static_selectorELNS0_4arch9wavefront6targetE1EEEvSC_
		.amdhsa_group_segment_fixed_size 128
		.amdhsa_private_segment_fixed_size 0
		.amdhsa_kernarg_size 8
		.amdhsa_user_sgpr_count 6
		.amdhsa_user_sgpr_private_segment_buffer 1
		.amdhsa_user_sgpr_dispatch_ptr 0
		.amdhsa_user_sgpr_queue_ptr 0
		.amdhsa_user_sgpr_kernarg_segment_ptr 1
		.amdhsa_user_sgpr_dispatch_id 0
		.amdhsa_user_sgpr_flat_scratch_init 0
		.amdhsa_user_sgpr_kernarg_preload_length 0
		.amdhsa_user_sgpr_kernarg_preload_offset 0
		.amdhsa_user_sgpr_private_segment_size 0
		.amdhsa_uses_dynamic_stack 0
		.amdhsa_system_sgpr_private_segment_wavefront_offset 0
		.amdhsa_system_sgpr_workgroup_id_x 1
		.amdhsa_system_sgpr_workgroup_id_y 0
		.amdhsa_system_sgpr_workgroup_id_z 0
		.amdhsa_system_sgpr_workgroup_info 0
		.amdhsa_system_vgpr_workitem_id 0
		.amdhsa_next_free_vgpr 13
		.amdhsa_next_free_sgpr 18
		.amdhsa_accum_offset 16
		.amdhsa_reserve_vcc 1
		.amdhsa_reserve_flat_scratch 0
		.amdhsa_float_round_mode_32 0
		.amdhsa_float_round_mode_16_64 0
		.amdhsa_float_denorm_mode_32 3
		.amdhsa_float_denorm_mode_16_64 3
		.amdhsa_dx10_clamp 1
		.amdhsa_ieee_mode 1
		.amdhsa_fp16_overflow 0
		.amdhsa_tg_split 0
		.amdhsa_exception_fp_ieee_invalid_op 0
		.amdhsa_exception_fp_denorm_src 0
		.amdhsa_exception_fp_ieee_div_zero 0
		.amdhsa_exception_fp_ieee_overflow 0
		.amdhsa_exception_fp_ieee_underflow 0
		.amdhsa_exception_fp_ieee_inexact 0
		.amdhsa_exception_int_div_zero 0
	.end_amdhsa_kernel
	.section	.text._ZN7rocprim17ROCPRIM_400000_NS6detail17trampoline_kernelINS0_14default_configENS1_35radix_sort_onesweep_config_selectorIyNS0_10empty_typeEEEZNS1_34radix_sort_onesweep_global_offsetsIS3_Lb0EPyPS5_mNS0_19identity_decomposerEEE10hipError_tT1_T2_PT3_SE_jT4_jjP12ihipStream_tbEUlT_E0_NS1_11comp_targetILNS1_3genE4ELNS1_11target_archE910ELNS1_3gpuE8ELNS1_3repE0EEENS1_52radix_sort_onesweep_histogram_config_static_selectorELNS0_4arch9wavefront6targetE1EEEvSC_,"axG",@progbits,_ZN7rocprim17ROCPRIM_400000_NS6detail17trampoline_kernelINS0_14default_configENS1_35radix_sort_onesweep_config_selectorIyNS0_10empty_typeEEEZNS1_34radix_sort_onesweep_global_offsetsIS3_Lb0EPyPS5_mNS0_19identity_decomposerEEE10hipError_tT1_T2_PT3_SE_jT4_jjP12ihipStream_tbEUlT_E0_NS1_11comp_targetILNS1_3genE4ELNS1_11target_archE910ELNS1_3gpuE8ELNS1_3repE0EEENS1_52radix_sort_onesweep_histogram_config_static_selectorELNS0_4arch9wavefront6targetE1EEEvSC_,comdat
.Lfunc_end1195:
	.size	_ZN7rocprim17ROCPRIM_400000_NS6detail17trampoline_kernelINS0_14default_configENS1_35radix_sort_onesweep_config_selectorIyNS0_10empty_typeEEEZNS1_34radix_sort_onesweep_global_offsetsIS3_Lb0EPyPS5_mNS0_19identity_decomposerEEE10hipError_tT1_T2_PT3_SE_jT4_jjP12ihipStream_tbEUlT_E0_NS1_11comp_targetILNS1_3genE4ELNS1_11target_archE910ELNS1_3gpuE8ELNS1_3repE0EEENS1_52radix_sort_onesweep_histogram_config_static_selectorELNS0_4arch9wavefront6targetE1EEEvSC_, .Lfunc_end1195-_ZN7rocprim17ROCPRIM_400000_NS6detail17trampoline_kernelINS0_14default_configENS1_35radix_sort_onesweep_config_selectorIyNS0_10empty_typeEEEZNS1_34radix_sort_onesweep_global_offsetsIS3_Lb0EPyPS5_mNS0_19identity_decomposerEEE10hipError_tT1_T2_PT3_SE_jT4_jjP12ihipStream_tbEUlT_E0_NS1_11comp_targetILNS1_3genE4ELNS1_11target_archE910ELNS1_3gpuE8ELNS1_3repE0EEENS1_52radix_sort_onesweep_histogram_config_static_selectorELNS0_4arch9wavefront6targetE1EEEvSC_
                                        ; -- End function
	.section	.AMDGPU.csdata,"",@progbits
; Kernel info:
; codeLenInByte = 1012
; NumSgprs: 22
; NumVgprs: 13
; NumAgprs: 0
; TotalNumVgprs: 13
; ScratchSize: 0
; MemoryBound: 0
; FloatMode: 240
; IeeeMode: 1
; LDSByteSize: 128 bytes/workgroup (compile time only)
; SGPRBlocks: 2
; VGPRBlocks: 1
; NumSGPRsForWavesPerEU: 22
; NumVGPRsForWavesPerEU: 13
; AccumOffset: 16
; Occupancy: 8
; WaveLimiterHint : 0
; COMPUTE_PGM_RSRC2:SCRATCH_EN: 0
; COMPUTE_PGM_RSRC2:USER_SGPR: 6
; COMPUTE_PGM_RSRC2:TRAP_HANDLER: 0
; COMPUTE_PGM_RSRC2:TGID_X_EN: 1
; COMPUTE_PGM_RSRC2:TGID_Y_EN: 0
; COMPUTE_PGM_RSRC2:TGID_Z_EN: 0
; COMPUTE_PGM_RSRC2:TIDIG_COMP_CNT: 0
; COMPUTE_PGM_RSRC3_GFX90A:ACCUM_OFFSET: 3
; COMPUTE_PGM_RSRC3_GFX90A:TG_SPLIT: 0
	.section	.text._ZN7rocprim17ROCPRIM_400000_NS6detail17trampoline_kernelINS0_14default_configENS1_35radix_sort_onesweep_config_selectorIyNS0_10empty_typeEEEZNS1_34radix_sort_onesweep_global_offsetsIS3_Lb0EPyPS5_mNS0_19identity_decomposerEEE10hipError_tT1_T2_PT3_SE_jT4_jjP12ihipStream_tbEUlT_E0_NS1_11comp_targetILNS1_3genE3ELNS1_11target_archE908ELNS1_3gpuE7ELNS1_3repE0EEENS1_52radix_sort_onesweep_histogram_config_static_selectorELNS0_4arch9wavefront6targetE1EEEvSC_,"axG",@progbits,_ZN7rocprim17ROCPRIM_400000_NS6detail17trampoline_kernelINS0_14default_configENS1_35radix_sort_onesweep_config_selectorIyNS0_10empty_typeEEEZNS1_34radix_sort_onesweep_global_offsetsIS3_Lb0EPyPS5_mNS0_19identity_decomposerEEE10hipError_tT1_T2_PT3_SE_jT4_jjP12ihipStream_tbEUlT_E0_NS1_11comp_targetILNS1_3genE3ELNS1_11target_archE908ELNS1_3gpuE7ELNS1_3repE0EEENS1_52radix_sort_onesweep_histogram_config_static_selectorELNS0_4arch9wavefront6targetE1EEEvSC_,comdat
	.protected	_ZN7rocprim17ROCPRIM_400000_NS6detail17trampoline_kernelINS0_14default_configENS1_35radix_sort_onesweep_config_selectorIyNS0_10empty_typeEEEZNS1_34radix_sort_onesweep_global_offsetsIS3_Lb0EPyPS5_mNS0_19identity_decomposerEEE10hipError_tT1_T2_PT3_SE_jT4_jjP12ihipStream_tbEUlT_E0_NS1_11comp_targetILNS1_3genE3ELNS1_11target_archE908ELNS1_3gpuE7ELNS1_3repE0EEENS1_52radix_sort_onesweep_histogram_config_static_selectorELNS0_4arch9wavefront6targetE1EEEvSC_ ; -- Begin function _ZN7rocprim17ROCPRIM_400000_NS6detail17trampoline_kernelINS0_14default_configENS1_35radix_sort_onesweep_config_selectorIyNS0_10empty_typeEEEZNS1_34radix_sort_onesweep_global_offsetsIS3_Lb0EPyPS5_mNS0_19identity_decomposerEEE10hipError_tT1_T2_PT3_SE_jT4_jjP12ihipStream_tbEUlT_E0_NS1_11comp_targetILNS1_3genE3ELNS1_11target_archE908ELNS1_3gpuE7ELNS1_3repE0EEENS1_52radix_sort_onesweep_histogram_config_static_selectorELNS0_4arch9wavefront6targetE1EEEvSC_
	.globl	_ZN7rocprim17ROCPRIM_400000_NS6detail17trampoline_kernelINS0_14default_configENS1_35radix_sort_onesweep_config_selectorIyNS0_10empty_typeEEEZNS1_34radix_sort_onesweep_global_offsetsIS3_Lb0EPyPS5_mNS0_19identity_decomposerEEE10hipError_tT1_T2_PT3_SE_jT4_jjP12ihipStream_tbEUlT_E0_NS1_11comp_targetILNS1_3genE3ELNS1_11target_archE908ELNS1_3gpuE7ELNS1_3repE0EEENS1_52radix_sort_onesweep_histogram_config_static_selectorELNS0_4arch9wavefront6targetE1EEEvSC_
	.p2align	8
	.type	_ZN7rocprim17ROCPRIM_400000_NS6detail17trampoline_kernelINS0_14default_configENS1_35radix_sort_onesweep_config_selectorIyNS0_10empty_typeEEEZNS1_34radix_sort_onesweep_global_offsetsIS3_Lb0EPyPS5_mNS0_19identity_decomposerEEE10hipError_tT1_T2_PT3_SE_jT4_jjP12ihipStream_tbEUlT_E0_NS1_11comp_targetILNS1_3genE3ELNS1_11target_archE908ELNS1_3gpuE7ELNS1_3repE0EEENS1_52radix_sort_onesweep_histogram_config_static_selectorELNS0_4arch9wavefront6targetE1EEEvSC_,@function
_ZN7rocprim17ROCPRIM_400000_NS6detail17trampoline_kernelINS0_14default_configENS1_35radix_sort_onesweep_config_selectorIyNS0_10empty_typeEEEZNS1_34radix_sort_onesweep_global_offsetsIS3_Lb0EPyPS5_mNS0_19identity_decomposerEEE10hipError_tT1_T2_PT3_SE_jT4_jjP12ihipStream_tbEUlT_E0_NS1_11comp_targetILNS1_3genE3ELNS1_11target_archE908ELNS1_3gpuE7ELNS1_3repE0EEENS1_52radix_sort_onesweep_histogram_config_static_selectorELNS0_4arch9wavefront6targetE1EEEvSC_: ; @_ZN7rocprim17ROCPRIM_400000_NS6detail17trampoline_kernelINS0_14default_configENS1_35radix_sort_onesweep_config_selectorIyNS0_10empty_typeEEEZNS1_34radix_sort_onesweep_global_offsetsIS3_Lb0EPyPS5_mNS0_19identity_decomposerEEE10hipError_tT1_T2_PT3_SE_jT4_jjP12ihipStream_tbEUlT_E0_NS1_11comp_targetILNS1_3genE3ELNS1_11target_archE908ELNS1_3gpuE7ELNS1_3repE0EEENS1_52radix_sort_onesweep_histogram_config_static_selectorELNS0_4arch9wavefront6targetE1EEEvSC_
; %bb.0:
	.section	.rodata,"a",@progbits
	.p2align	6, 0x0
	.amdhsa_kernel _ZN7rocprim17ROCPRIM_400000_NS6detail17trampoline_kernelINS0_14default_configENS1_35radix_sort_onesweep_config_selectorIyNS0_10empty_typeEEEZNS1_34radix_sort_onesweep_global_offsetsIS3_Lb0EPyPS5_mNS0_19identity_decomposerEEE10hipError_tT1_T2_PT3_SE_jT4_jjP12ihipStream_tbEUlT_E0_NS1_11comp_targetILNS1_3genE3ELNS1_11target_archE908ELNS1_3gpuE7ELNS1_3repE0EEENS1_52radix_sort_onesweep_histogram_config_static_selectorELNS0_4arch9wavefront6targetE1EEEvSC_
		.amdhsa_group_segment_fixed_size 0
		.amdhsa_private_segment_fixed_size 0
		.amdhsa_kernarg_size 8
		.amdhsa_user_sgpr_count 6
		.amdhsa_user_sgpr_private_segment_buffer 1
		.amdhsa_user_sgpr_dispatch_ptr 0
		.amdhsa_user_sgpr_queue_ptr 0
		.amdhsa_user_sgpr_kernarg_segment_ptr 1
		.amdhsa_user_sgpr_dispatch_id 0
		.amdhsa_user_sgpr_flat_scratch_init 0
		.amdhsa_user_sgpr_kernarg_preload_length 0
		.amdhsa_user_sgpr_kernarg_preload_offset 0
		.amdhsa_user_sgpr_private_segment_size 0
		.amdhsa_uses_dynamic_stack 0
		.amdhsa_system_sgpr_private_segment_wavefront_offset 0
		.amdhsa_system_sgpr_workgroup_id_x 1
		.amdhsa_system_sgpr_workgroup_id_y 0
		.amdhsa_system_sgpr_workgroup_id_z 0
		.amdhsa_system_sgpr_workgroup_info 0
		.amdhsa_system_vgpr_workitem_id 0
		.amdhsa_next_free_vgpr 1
		.amdhsa_next_free_sgpr 0
		.amdhsa_accum_offset 4
		.amdhsa_reserve_vcc 0
		.amdhsa_reserve_flat_scratch 0
		.amdhsa_float_round_mode_32 0
		.amdhsa_float_round_mode_16_64 0
		.amdhsa_float_denorm_mode_32 3
		.amdhsa_float_denorm_mode_16_64 3
		.amdhsa_dx10_clamp 1
		.amdhsa_ieee_mode 1
		.amdhsa_fp16_overflow 0
		.amdhsa_tg_split 0
		.amdhsa_exception_fp_ieee_invalid_op 0
		.amdhsa_exception_fp_denorm_src 0
		.amdhsa_exception_fp_ieee_div_zero 0
		.amdhsa_exception_fp_ieee_overflow 0
		.amdhsa_exception_fp_ieee_underflow 0
		.amdhsa_exception_fp_ieee_inexact 0
		.amdhsa_exception_int_div_zero 0
	.end_amdhsa_kernel
	.section	.text._ZN7rocprim17ROCPRIM_400000_NS6detail17trampoline_kernelINS0_14default_configENS1_35radix_sort_onesweep_config_selectorIyNS0_10empty_typeEEEZNS1_34radix_sort_onesweep_global_offsetsIS3_Lb0EPyPS5_mNS0_19identity_decomposerEEE10hipError_tT1_T2_PT3_SE_jT4_jjP12ihipStream_tbEUlT_E0_NS1_11comp_targetILNS1_3genE3ELNS1_11target_archE908ELNS1_3gpuE7ELNS1_3repE0EEENS1_52radix_sort_onesweep_histogram_config_static_selectorELNS0_4arch9wavefront6targetE1EEEvSC_,"axG",@progbits,_ZN7rocprim17ROCPRIM_400000_NS6detail17trampoline_kernelINS0_14default_configENS1_35radix_sort_onesweep_config_selectorIyNS0_10empty_typeEEEZNS1_34radix_sort_onesweep_global_offsetsIS3_Lb0EPyPS5_mNS0_19identity_decomposerEEE10hipError_tT1_T2_PT3_SE_jT4_jjP12ihipStream_tbEUlT_E0_NS1_11comp_targetILNS1_3genE3ELNS1_11target_archE908ELNS1_3gpuE7ELNS1_3repE0EEENS1_52radix_sort_onesweep_histogram_config_static_selectorELNS0_4arch9wavefront6targetE1EEEvSC_,comdat
.Lfunc_end1196:
	.size	_ZN7rocprim17ROCPRIM_400000_NS6detail17trampoline_kernelINS0_14default_configENS1_35radix_sort_onesweep_config_selectorIyNS0_10empty_typeEEEZNS1_34radix_sort_onesweep_global_offsetsIS3_Lb0EPyPS5_mNS0_19identity_decomposerEEE10hipError_tT1_T2_PT3_SE_jT4_jjP12ihipStream_tbEUlT_E0_NS1_11comp_targetILNS1_3genE3ELNS1_11target_archE908ELNS1_3gpuE7ELNS1_3repE0EEENS1_52radix_sort_onesweep_histogram_config_static_selectorELNS0_4arch9wavefront6targetE1EEEvSC_, .Lfunc_end1196-_ZN7rocprim17ROCPRIM_400000_NS6detail17trampoline_kernelINS0_14default_configENS1_35radix_sort_onesweep_config_selectorIyNS0_10empty_typeEEEZNS1_34radix_sort_onesweep_global_offsetsIS3_Lb0EPyPS5_mNS0_19identity_decomposerEEE10hipError_tT1_T2_PT3_SE_jT4_jjP12ihipStream_tbEUlT_E0_NS1_11comp_targetILNS1_3genE3ELNS1_11target_archE908ELNS1_3gpuE7ELNS1_3repE0EEENS1_52radix_sort_onesweep_histogram_config_static_selectorELNS0_4arch9wavefront6targetE1EEEvSC_
                                        ; -- End function
	.section	.AMDGPU.csdata,"",@progbits
; Kernel info:
; codeLenInByte = 0
; NumSgprs: 4
; NumVgprs: 0
; NumAgprs: 0
; TotalNumVgprs: 0
; ScratchSize: 0
; MemoryBound: 0
; FloatMode: 240
; IeeeMode: 1
; LDSByteSize: 0 bytes/workgroup (compile time only)
; SGPRBlocks: 0
; VGPRBlocks: 0
; NumSGPRsForWavesPerEU: 4
; NumVGPRsForWavesPerEU: 1
; AccumOffset: 4
; Occupancy: 8
; WaveLimiterHint : 0
; COMPUTE_PGM_RSRC2:SCRATCH_EN: 0
; COMPUTE_PGM_RSRC2:USER_SGPR: 6
; COMPUTE_PGM_RSRC2:TRAP_HANDLER: 0
; COMPUTE_PGM_RSRC2:TGID_X_EN: 1
; COMPUTE_PGM_RSRC2:TGID_Y_EN: 0
; COMPUTE_PGM_RSRC2:TGID_Z_EN: 0
; COMPUTE_PGM_RSRC2:TIDIG_COMP_CNT: 0
; COMPUTE_PGM_RSRC3_GFX90A:ACCUM_OFFSET: 0
; COMPUTE_PGM_RSRC3_GFX90A:TG_SPLIT: 0
	.section	.text._ZN7rocprim17ROCPRIM_400000_NS6detail17trampoline_kernelINS0_14default_configENS1_35radix_sort_onesweep_config_selectorIyNS0_10empty_typeEEEZNS1_34radix_sort_onesweep_global_offsetsIS3_Lb0EPyPS5_mNS0_19identity_decomposerEEE10hipError_tT1_T2_PT3_SE_jT4_jjP12ihipStream_tbEUlT_E0_NS1_11comp_targetILNS1_3genE10ELNS1_11target_archE1201ELNS1_3gpuE5ELNS1_3repE0EEENS1_52radix_sort_onesweep_histogram_config_static_selectorELNS0_4arch9wavefront6targetE1EEEvSC_,"axG",@progbits,_ZN7rocprim17ROCPRIM_400000_NS6detail17trampoline_kernelINS0_14default_configENS1_35radix_sort_onesweep_config_selectorIyNS0_10empty_typeEEEZNS1_34radix_sort_onesweep_global_offsetsIS3_Lb0EPyPS5_mNS0_19identity_decomposerEEE10hipError_tT1_T2_PT3_SE_jT4_jjP12ihipStream_tbEUlT_E0_NS1_11comp_targetILNS1_3genE10ELNS1_11target_archE1201ELNS1_3gpuE5ELNS1_3repE0EEENS1_52radix_sort_onesweep_histogram_config_static_selectorELNS0_4arch9wavefront6targetE1EEEvSC_,comdat
	.protected	_ZN7rocprim17ROCPRIM_400000_NS6detail17trampoline_kernelINS0_14default_configENS1_35radix_sort_onesweep_config_selectorIyNS0_10empty_typeEEEZNS1_34radix_sort_onesweep_global_offsetsIS3_Lb0EPyPS5_mNS0_19identity_decomposerEEE10hipError_tT1_T2_PT3_SE_jT4_jjP12ihipStream_tbEUlT_E0_NS1_11comp_targetILNS1_3genE10ELNS1_11target_archE1201ELNS1_3gpuE5ELNS1_3repE0EEENS1_52radix_sort_onesweep_histogram_config_static_selectorELNS0_4arch9wavefront6targetE1EEEvSC_ ; -- Begin function _ZN7rocprim17ROCPRIM_400000_NS6detail17trampoline_kernelINS0_14default_configENS1_35radix_sort_onesweep_config_selectorIyNS0_10empty_typeEEEZNS1_34radix_sort_onesweep_global_offsetsIS3_Lb0EPyPS5_mNS0_19identity_decomposerEEE10hipError_tT1_T2_PT3_SE_jT4_jjP12ihipStream_tbEUlT_E0_NS1_11comp_targetILNS1_3genE10ELNS1_11target_archE1201ELNS1_3gpuE5ELNS1_3repE0EEENS1_52radix_sort_onesweep_histogram_config_static_selectorELNS0_4arch9wavefront6targetE1EEEvSC_
	.globl	_ZN7rocprim17ROCPRIM_400000_NS6detail17trampoline_kernelINS0_14default_configENS1_35radix_sort_onesweep_config_selectorIyNS0_10empty_typeEEEZNS1_34radix_sort_onesweep_global_offsetsIS3_Lb0EPyPS5_mNS0_19identity_decomposerEEE10hipError_tT1_T2_PT3_SE_jT4_jjP12ihipStream_tbEUlT_E0_NS1_11comp_targetILNS1_3genE10ELNS1_11target_archE1201ELNS1_3gpuE5ELNS1_3repE0EEENS1_52radix_sort_onesweep_histogram_config_static_selectorELNS0_4arch9wavefront6targetE1EEEvSC_
	.p2align	8
	.type	_ZN7rocprim17ROCPRIM_400000_NS6detail17trampoline_kernelINS0_14default_configENS1_35radix_sort_onesweep_config_selectorIyNS0_10empty_typeEEEZNS1_34radix_sort_onesweep_global_offsetsIS3_Lb0EPyPS5_mNS0_19identity_decomposerEEE10hipError_tT1_T2_PT3_SE_jT4_jjP12ihipStream_tbEUlT_E0_NS1_11comp_targetILNS1_3genE10ELNS1_11target_archE1201ELNS1_3gpuE5ELNS1_3repE0EEENS1_52radix_sort_onesweep_histogram_config_static_selectorELNS0_4arch9wavefront6targetE1EEEvSC_,@function
_ZN7rocprim17ROCPRIM_400000_NS6detail17trampoline_kernelINS0_14default_configENS1_35radix_sort_onesweep_config_selectorIyNS0_10empty_typeEEEZNS1_34radix_sort_onesweep_global_offsetsIS3_Lb0EPyPS5_mNS0_19identity_decomposerEEE10hipError_tT1_T2_PT3_SE_jT4_jjP12ihipStream_tbEUlT_E0_NS1_11comp_targetILNS1_3genE10ELNS1_11target_archE1201ELNS1_3gpuE5ELNS1_3repE0EEENS1_52radix_sort_onesweep_histogram_config_static_selectorELNS0_4arch9wavefront6targetE1EEEvSC_: ; @_ZN7rocprim17ROCPRIM_400000_NS6detail17trampoline_kernelINS0_14default_configENS1_35radix_sort_onesweep_config_selectorIyNS0_10empty_typeEEEZNS1_34radix_sort_onesweep_global_offsetsIS3_Lb0EPyPS5_mNS0_19identity_decomposerEEE10hipError_tT1_T2_PT3_SE_jT4_jjP12ihipStream_tbEUlT_E0_NS1_11comp_targetILNS1_3genE10ELNS1_11target_archE1201ELNS1_3gpuE5ELNS1_3repE0EEENS1_52radix_sort_onesweep_histogram_config_static_selectorELNS0_4arch9wavefront6targetE1EEEvSC_
; %bb.0:
	.section	.rodata,"a",@progbits
	.p2align	6, 0x0
	.amdhsa_kernel _ZN7rocprim17ROCPRIM_400000_NS6detail17trampoline_kernelINS0_14default_configENS1_35radix_sort_onesweep_config_selectorIyNS0_10empty_typeEEEZNS1_34radix_sort_onesweep_global_offsetsIS3_Lb0EPyPS5_mNS0_19identity_decomposerEEE10hipError_tT1_T2_PT3_SE_jT4_jjP12ihipStream_tbEUlT_E0_NS1_11comp_targetILNS1_3genE10ELNS1_11target_archE1201ELNS1_3gpuE5ELNS1_3repE0EEENS1_52radix_sort_onesweep_histogram_config_static_selectorELNS0_4arch9wavefront6targetE1EEEvSC_
		.amdhsa_group_segment_fixed_size 0
		.amdhsa_private_segment_fixed_size 0
		.amdhsa_kernarg_size 8
		.amdhsa_user_sgpr_count 6
		.amdhsa_user_sgpr_private_segment_buffer 1
		.amdhsa_user_sgpr_dispatch_ptr 0
		.amdhsa_user_sgpr_queue_ptr 0
		.amdhsa_user_sgpr_kernarg_segment_ptr 1
		.amdhsa_user_sgpr_dispatch_id 0
		.amdhsa_user_sgpr_flat_scratch_init 0
		.amdhsa_user_sgpr_kernarg_preload_length 0
		.amdhsa_user_sgpr_kernarg_preload_offset 0
		.amdhsa_user_sgpr_private_segment_size 0
		.amdhsa_uses_dynamic_stack 0
		.amdhsa_system_sgpr_private_segment_wavefront_offset 0
		.amdhsa_system_sgpr_workgroup_id_x 1
		.amdhsa_system_sgpr_workgroup_id_y 0
		.amdhsa_system_sgpr_workgroup_id_z 0
		.amdhsa_system_sgpr_workgroup_info 0
		.amdhsa_system_vgpr_workitem_id 0
		.amdhsa_next_free_vgpr 1
		.amdhsa_next_free_sgpr 0
		.amdhsa_accum_offset 4
		.amdhsa_reserve_vcc 0
		.amdhsa_reserve_flat_scratch 0
		.amdhsa_float_round_mode_32 0
		.amdhsa_float_round_mode_16_64 0
		.amdhsa_float_denorm_mode_32 3
		.amdhsa_float_denorm_mode_16_64 3
		.amdhsa_dx10_clamp 1
		.amdhsa_ieee_mode 1
		.amdhsa_fp16_overflow 0
		.amdhsa_tg_split 0
		.amdhsa_exception_fp_ieee_invalid_op 0
		.amdhsa_exception_fp_denorm_src 0
		.amdhsa_exception_fp_ieee_div_zero 0
		.amdhsa_exception_fp_ieee_overflow 0
		.amdhsa_exception_fp_ieee_underflow 0
		.amdhsa_exception_fp_ieee_inexact 0
		.amdhsa_exception_int_div_zero 0
	.end_amdhsa_kernel
	.section	.text._ZN7rocprim17ROCPRIM_400000_NS6detail17trampoline_kernelINS0_14default_configENS1_35radix_sort_onesweep_config_selectorIyNS0_10empty_typeEEEZNS1_34radix_sort_onesweep_global_offsetsIS3_Lb0EPyPS5_mNS0_19identity_decomposerEEE10hipError_tT1_T2_PT3_SE_jT4_jjP12ihipStream_tbEUlT_E0_NS1_11comp_targetILNS1_3genE10ELNS1_11target_archE1201ELNS1_3gpuE5ELNS1_3repE0EEENS1_52radix_sort_onesweep_histogram_config_static_selectorELNS0_4arch9wavefront6targetE1EEEvSC_,"axG",@progbits,_ZN7rocprim17ROCPRIM_400000_NS6detail17trampoline_kernelINS0_14default_configENS1_35radix_sort_onesweep_config_selectorIyNS0_10empty_typeEEEZNS1_34radix_sort_onesweep_global_offsetsIS3_Lb0EPyPS5_mNS0_19identity_decomposerEEE10hipError_tT1_T2_PT3_SE_jT4_jjP12ihipStream_tbEUlT_E0_NS1_11comp_targetILNS1_3genE10ELNS1_11target_archE1201ELNS1_3gpuE5ELNS1_3repE0EEENS1_52radix_sort_onesweep_histogram_config_static_selectorELNS0_4arch9wavefront6targetE1EEEvSC_,comdat
.Lfunc_end1197:
	.size	_ZN7rocprim17ROCPRIM_400000_NS6detail17trampoline_kernelINS0_14default_configENS1_35radix_sort_onesweep_config_selectorIyNS0_10empty_typeEEEZNS1_34radix_sort_onesweep_global_offsetsIS3_Lb0EPyPS5_mNS0_19identity_decomposerEEE10hipError_tT1_T2_PT3_SE_jT4_jjP12ihipStream_tbEUlT_E0_NS1_11comp_targetILNS1_3genE10ELNS1_11target_archE1201ELNS1_3gpuE5ELNS1_3repE0EEENS1_52radix_sort_onesweep_histogram_config_static_selectorELNS0_4arch9wavefront6targetE1EEEvSC_, .Lfunc_end1197-_ZN7rocprim17ROCPRIM_400000_NS6detail17trampoline_kernelINS0_14default_configENS1_35radix_sort_onesweep_config_selectorIyNS0_10empty_typeEEEZNS1_34radix_sort_onesweep_global_offsetsIS3_Lb0EPyPS5_mNS0_19identity_decomposerEEE10hipError_tT1_T2_PT3_SE_jT4_jjP12ihipStream_tbEUlT_E0_NS1_11comp_targetILNS1_3genE10ELNS1_11target_archE1201ELNS1_3gpuE5ELNS1_3repE0EEENS1_52radix_sort_onesweep_histogram_config_static_selectorELNS0_4arch9wavefront6targetE1EEEvSC_
                                        ; -- End function
	.section	.AMDGPU.csdata,"",@progbits
; Kernel info:
; codeLenInByte = 0
; NumSgprs: 4
; NumVgprs: 0
; NumAgprs: 0
; TotalNumVgprs: 0
; ScratchSize: 0
; MemoryBound: 0
; FloatMode: 240
; IeeeMode: 1
; LDSByteSize: 0 bytes/workgroup (compile time only)
; SGPRBlocks: 0
; VGPRBlocks: 0
; NumSGPRsForWavesPerEU: 4
; NumVGPRsForWavesPerEU: 1
; AccumOffset: 4
; Occupancy: 8
; WaveLimiterHint : 0
; COMPUTE_PGM_RSRC2:SCRATCH_EN: 0
; COMPUTE_PGM_RSRC2:USER_SGPR: 6
; COMPUTE_PGM_RSRC2:TRAP_HANDLER: 0
; COMPUTE_PGM_RSRC2:TGID_X_EN: 1
; COMPUTE_PGM_RSRC2:TGID_Y_EN: 0
; COMPUTE_PGM_RSRC2:TGID_Z_EN: 0
; COMPUTE_PGM_RSRC2:TIDIG_COMP_CNT: 0
; COMPUTE_PGM_RSRC3_GFX90A:ACCUM_OFFSET: 0
; COMPUTE_PGM_RSRC3_GFX90A:TG_SPLIT: 0
	.section	.text._ZN7rocprim17ROCPRIM_400000_NS6detail17trampoline_kernelINS0_14default_configENS1_35radix_sort_onesweep_config_selectorIyNS0_10empty_typeEEEZNS1_34radix_sort_onesweep_global_offsetsIS3_Lb0EPyPS5_mNS0_19identity_decomposerEEE10hipError_tT1_T2_PT3_SE_jT4_jjP12ihipStream_tbEUlT_E0_NS1_11comp_targetILNS1_3genE9ELNS1_11target_archE1100ELNS1_3gpuE3ELNS1_3repE0EEENS1_52radix_sort_onesweep_histogram_config_static_selectorELNS0_4arch9wavefront6targetE1EEEvSC_,"axG",@progbits,_ZN7rocprim17ROCPRIM_400000_NS6detail17trampoline_kernelINS0_14default_configENS1_35radix_sort_onesweep_config_selectorIyNS0_10empty_typeEEEZNS1_34radix_sort_onesweep_global_offsetsIS3_Lb0EPyPS5_mNS0_19identity_decomposerEEE10hipError_tT1_T2_PT3_SE_jT4_jjP12ihipStream_tbEUlT_E0_NS1_11comp_targetILNS1_3genE9ELNS1_11target_archE1100ELNS1_3gpuE3ELNS1_3repE0EEENS1_52radix_sort_onesweep_histogram_config_static_selectorELNS0_4arch9wavefront6targetE1EEEvSC_,comdat
	.protected	_ZN7rocprim17ROCPRIM_400000_NS6detail17trampoline_kernelINS0_14default_configENS1_35radix_sort_onesweep_config_selectorIyNS0_10empty_typeEEEZNS1_34radix_sort_onesweep_global_offsetsIS3_Lb0EPyPS5_mNS0_19identity_decomposerEEE10hipError_tT1_T2_PT3_SE_jT4_jjP12ihipStream_tbEUlT_E0_NS1_11comp_targetILNS1_3genE9ELNS1_11target_archE1100ELNS1_3gpuE3ELNS1_3repE0EEENS1_52radix_sort_onesweep_histogram_config_static_selectorELNS0_4arch9wavefront6targetE1EEEvSC_ ; -- Begin function _ZN7rocprim17ROCPRIM_400000_NS6detail17trampoline_kernelINS0_14default_configENS1_35radix_sort_onesweep_config_selectorIyNS0_10empty_typeEEEZNS1_34radix_sort_onesweep_global_offsetsIS3_Lb0EPyPS5_mNS0_19identity_decomposerEEE10hipError_tT1_T2_PT3_SE_jT4_jjP12ihipStream_tbEUlT_E0_NS1_11comp_targetILNS1_3genE9ELNS1_11target_archE1100ELNS1_3gpuE3ELNS1_3repE0EEENS1_52radix_sort_onesweep_histogram_config_static_selectorELNS0_4arch9wavefront6targetE1EEEvSC_
	.globl	_ZN7rocprim17ROCPRIM_400000_NS6detail17trampoline_kernelINS0_14default_configENS1_35radix_sort_onesweep_config_selectorIyNS0_10empty_typeEEEZNS1_34radix_sort_onesweep_global_offsetsIS3_Lb0EPyPS5_mNS0_19identity_decomposerEEE10hipError_tT1_T2_PT3_SE_jT4_jjP12ihipStream_tbEUlT_E0_NS1_11comp_targetILNS1_3genE9ELNS1_11target_archE1100ELNS1_3gpuE3ELNS1_3repE0EEENS1_52radix_sort_onesweep_histogram_config_static_selectorELNS0_4arch9wavefront6targetE1EEEvSC_
	.p2align	8
	.type	_ZN7rocprim17ROCPRIM_400000_NS6detail17trampoline_kernelINS0_14default_configENS1_35radix_sort_onesweep_config_selectorIyNS0_10empty_typeEEEZNS1_34radix_sort_onesweep_global_offsetsIS3_Lb0EPyPS5_mNS0_19identity_decomposerEEE10hipError_tT1_T2_PT3_SE_jT4_jjP12ihipStream_tbEUlT_E0_NS1_11comp_targetILNS1_3genE9ELNS1_11target_archE1100ELNS1_3gpuE3ELNS1_3repE0EEENS1_52radix_sort_onesweep_histogram_config_static_selectorELNS0_4arch9wavefront6targetE1EEEvSC_,@function
_ZN7rocprim17ROCPRIM_400000_NS6detail17trampoline_kernelINS0_14default_configENS1_35radix_sort_onesweep_config_selectorIyNS0_10empty_typeEEEZNS1_34radix_sort_onesweep_global_offsetsIS3_Lb0EPyPS5_mNS0_19identity_decomposerEEE10hipError_tT1_T2_PT3_SE_jT4_jjP12ihipStream_tbEUlT_E0_NS1_11comp_targetILNS1_3genE9ELNS1_11target_archE1100ELNS1_3gpuE3ELNS1_3repE0EEENS1_52radix_sort_onesweep_histogram_config_static_selectorELNS0_4arch9wavefront6targetE1EEEvSC_: ; @_ZN7rocprim17ROCPRIM_400000_NS6detail17trampoline_kernelINS0_14default_configENS1_35radix_sort_onesweep_config_selectorIyNS0_10empty_typeEEEZNS1_34radix_sort_onesweep_global_offsetsIS3_Lb0EPyPS5_mNS0_19identity_decomposerEEE10hipError_tT1_T2_PT3_SE_jT4_jjP12ihipStream_tbEUlT_E0_NS1_11comp_targetILNS1_3genE9ELNS1_11target_archE1100ELNS1_3gpuE3ELNS1_3repE0EEENS1_52radix_sort_onesweep_histogram_config_static_selectorELNS0_4arch9wavefront6targetE1EEEvSC_
; %bb.0:
	.section	.rodata,"a",@progbits
	.p2align	6, 0x0
	.amdhsa_kernel _ZN7rocprim17ROCPRIM_400000_NS6detail17trampoline_kernelINS0_14default_configENS1_35radix_sort_onesweep_config_selectorIyNS0_10empty_typeEEEZNS1_34radix_sort_onesweep_global_offsetsIS3_Lb0EPyPS5_mNS0_19identity_decomposerEEE10hipError_tT1_T2_PT3_SE_jT4_jjP12ihipStream_tbEUlT_E0_NS1_11comp_targetILNS1_3genE9ELNS1_11target_archE1100ELNS1_3gpuE3ELNS1_3repE0EEENS1_52radix_sort_onesweep_histogram_config_static_selectorELNS0_4arch9wavefront6targetE1EEEvSC_
		.amdhsa_group_segment_fixed_size 0
		.amdhsa_private_segment_fixed_size 0
		.amdhsa_kernarg_size 8
		.amdhsa_user_sgpr_count 6
		.amdhsa_user_sgpr_private_segment_buffer 1
		.amdhsa_user_sgpr_dispatch_ptr 0
		.amdhsa_user_sgpr_queue_ptr 0
		.amdhsa_user_sgpr_kernarg_segment_ptr 1
		.amdhsa_user_sgpr_dispatch_id 0
		.amdhsa_user_sgpr_flat_scratch_init 0
		.amdhsa_user_sgpr_kernarg_preload_length 0
		.amdhsa_user_sgpr_kernarg_preload_offset 0
		.amdhsa_user_sgpr_private_segment_size 0
		.amdhsa_uses_dynamic_stack 0
		.amdhsa_system_sgpr_private_segment_wavefront_offset 0
		.amdhsa_system_sgpr_workgroup_id_x 1
		.amdhsa_system_sgpr_workgroup_id_y 0
		.amdhsa_system_sgpr_workgroup_id_z 0
		.amdhsa_system_sgpr_workgroup_info 0
		.amdhsa_system_vgpr_workitem_id 0
		.amdhsa_next_free_vgpr 1
		.amdhsa_next_free_sgpr 0
		.amdhsa_accum_offset 4
		.amdhsa_reserve_vcc 0
		.amdhsa_reserve_flat_scratch 0
		.amdhsa_float_round_mode_32 0
		.amdhsa_float_round_mode_16_64 0
		.amdhsa_float_denorm_mode_32 3
		.amdhsa_float_denorm_mode_16_64 3
		.amdhsa_dx10_clamp 1
		.amdhsa_ieee_mode 1
		.amdhsa_fp16_overflow 0
		.amdhsa_tg_split 0
		.amdhsa_exception_fp_ieee_invalid_op 0
		.amdhsa_exception_fp_denorm_src 0
		.amdhsa_exception_fp_ieee_div_zero 0
		.amdhsa_exception_fp_ieee_overflow 0
		.amdhsa_exception_fp_ieee_underflow 0
		.amdhsa_exception_fp_ieee_inexact 0
		.amdhsa_exception_int_div_zero 0
	.end_amdhsa_kernel
	.section	.text._ZN7rocprim17ROCPRIM_400000_NS6detail17trampoline_kernelINS0_14default_configENS1_35radix_sort_onesweep_config_selectorIyNS0_10empty_typeEEEZNS1_34radix_sort_onesweep_global_offsetsIS3_Lb0EPyPS5_mNS0_19identity_decomposerEEE10hipError_tT1_T2_PT3_SE_jT4_jjP12ihipStream_tbEUlT_E0_NS1_11comp_targetILNS1_3genE9ELNS1_11target_archE1100ELNS1_3gpuE3ELNS1_3repE0EEENS1_52radix_sort_onesweep_histogram_config_static_selectorELNS0_4arch9wavefront6targetE1EEEvSC_,"axG",@progbits,_ZN7rocprim17ROCPRIM_400000_NS6detail17trampoline_kernelINS0_14default_configENS1_35radix_sort_onesweep_config_selectorIyNS0_10empty_typeEEEZNS1_34radix_sort_onesweep_global_offsetsIS3_Lb0EPyPS5_mNS0_19identity_decomposerEEE10hipError_tT1_T2_PT3_SE_jT4_jjP12ihipStream_tbEUlT_E0_NS1_11comp_targetILNS1_3genE9ELNS1_11target_archE1100ELNS1_3gpuE3ELNS1_3repE0EEENS1_52radix_sort_onesweep_histogram_config_static_selectorELNS0_4arch9wavefront6targetE1EEEvSC_,comdat
.Lfunc_end1198:
	.size	_ZN7rocprim17ROCPRIM_400000_NS6detail17trampoline_kernelINS0_14default_configENS1_35radix_sort_onesweep_config_selectorIyNS0_10empty_typeEEEZNS1_34radix_sort_onesweep_global_offsetsIS3_Lb0EPyPS5_mNS0_19identity_decomposerEEE10hipError_tT1_T2_PT3_SE_jT4_jjP12ihipStream_tbEUlT_E0_NS1_11comp_targetILNS1_3genE9ELNS1_11target_archE1100ELNS1_3gpuE3ELNS1_3repE0EEENS1_52radix_sort_onesweep_histogram_config_static_selectorELNS0_4arch9wavefront6targetE1EEEvSC_, .Lfunc_end1198-_ZN7rocprim17ROCPRIM_400000_NS6detail17trampoline_kernelINS0_14default_configENS1_35radix_sort_onesweep_config_selectorIyNS0_10empty_typeEEEZNS1_34radix_sort_onesweep_global_offsetsIS3_Lb0EPyPS5_mNS0_19identity_decomposerEEE10hipError_tT1_T2_PT3_SE_jT4_jjP12ihipStream_tbEUlT_E0_NS1_11comp_targetILNS1_3genE9ELNS1_11target_archE1100ELNS1_3gpuE3ELNS1_3repE0EEENS1_52radix_sort_onesweep_histogram_config_static_selectorELNS0_4arch9wavefront6targetE1EEEvSC_
                                        ; -- End function
	.section	.AMDGPU.csdata,"",@progbits
; Kernel info:
; codeLenInByte = 0
; NumSgprs: 4
; NumVgprs: 0
; NumAgprs: 0
; TotalNumVgprs: 0
; ScratchSize: 0
; MemoryBound: 0
; FloatMode: 240
; IeeeMode: 1
; LDSByteSize: 0 bytes/workgroup (compile time only)
; SGPRBlocks: 0
; VGPRBlocks: 0
; NumSGPRsForWavesPerEU: 4
; NumVGPRsForWavesPerEU: 1
; AccumOffset: 4
; Occupancy: 8
; WaveLimiterHint : 0
; COMPUTE_PGM_RSRC2:SCRATCH_EN: 0
; COMPUTE_PGM_RSRC2:USER_SGPR: 6
; COMPUTE_PGM_RSRC2:TRAP_HANDLER: 0
; COMPUTE_PGM_RSRC2:TGID_X_EN: 1
; COMPUTE_PGM_RSRC2:TGID_Y_EN: 0
; COMPUTE_PGM_RSRC2:TGID_Z_EN: 0
; COMPUTE_PGM_RSRC2:TIDIG_COMP_CNT: 0
; COMPUTE_PGM_RSRC3_GFX90A:ACCUM_OFFSET: 0
; COMPUTE_PGM_RSRC3_GFX90A:TG_SPLIT: 0
	.section	.text._ZN7rocprim17ROCPRIM_400000_NS6detail17trampoline_kernelINS0_14default_configENS1_35radix_sort_onesweep_config_selectorIyNS0_10empty_typeEEEZNS1_34radix_sort_onesweep_global_offsetsIS3_Lb0EPyPS5_mNS0_19identity_decomposerEEE10hipError_tT1_T2_PT3_SE_jT4_jjP12ihipStream_tbEUlT_E0_NS1_11comp_targetILNS1_3genE8ELNS1_11target_archE1030ELNS1_3gpuE2ELNS1_3repE0EEENS1_52radix_sort_onesweep_histogram_config_static_selectorELNS0_4arch9wavefront6targetE1EEEvSC_,"axG",@progbits,_ZN7rocprim17ROCPRIM_400000_NS6detail17trampoline_kernelINS0_14default_configENS1_35radix_sort_onesweep_config_selectorIyNS0_10empty_typeEEEZNS1_34radix_sort_onesweep_global_offsetsIS3_Lb0EPyPS5_mNS0_19identity_decomposerEEE10hipError_tT1_T2_PT3_SE_jT4_jjP12ihipStream_tbEUlT_E0_NS1_11comp_targetILNS1_3genE8ELNS1_11target_archE1030ELNS1_3gpuE2ELNS1_3repE0EEENS1_52radix_sort_onesweep_histogram_config_static_selectorELNS0_4arch9wavefront6targetE1EEEvSC_,comdat
	.protected	_ZN7rocprim17ROCPRIM_400000_NS6detail17trampoline_kernelINS0_14default_configENS1_35radix_sort_onesweep_config_selectorIyNS0_10empty_typeEEEZNS1_34radix_sort_onesweep_global_offsetsIS3_Lb0EPyPS5_mNS0_19identity_decomposerEEE10hipError_tT1_T2_PT3_SE_jT4_jjP12ihipStream_tbEUlT_E0_NS1_11comp_targetILNS1_3genE8ELNS1_11target_archE1030ELNS1_3gpuE2ELNS1_3repE0EEENS1_52radix_sort_onesweep_histogram_config_static_selectorELNS0_4arch9wavefront6targetE1EEEvSC_ ; -- Begin function _ZN7rocprim17ROCPRIM_400000_NS6detail17trampoline_kernelINS0_14default_configENS1_35radix_sort_onesweep_config_selectorIyNS0_10empty_typeEEEZNS1_34radix_sort_onesweep_global_offsetsIS3_Lb0EPyPS5_mNS0_19identity_decomposerEEE10hipError_tT1_T2_PT3_SE_jT4_jjP12ihipStream_tbEUlT_E0_NS1_11comp_targetILNS1_3genE8ELNS1_11target_archE1030ELNS1_3gpuE2ELNS1_3repE0EEENS1_52radix_sort_onesweep_histogram_config_static_selectorELNS0_4arch9wavefront6targetE1EEEvSC_
	.globl	_ZN7rocprim17ROCPRIM_400000_NS6detail17trampoline_kernelINS0_14default_configENS1_35radix_sort_onesweep_config_selectorIyNS0_10empty_typeEEEZNS1_34radix_sort_onesweep_global_offsetsIS3_Lb0EPyPS5_mNS0_19identity_decomposerEEE10hipError_tT1_T2_PT3_SE_jT4_jjP12ihipStream_tbEUlT_E0_NS1_11comp_targetILNS1_3genE8ELNS1_11target_archE1030ELNS1_3gpuE2ELNS1_3repE0EEENS1_52radix_sort_onesweep_histogram_config_static_selectorELNS0_4arch9wavefront6targetE1EEEvSC_
	.p2align	8
	.type	_ZN7rocprim17ROCPRIM_400000_NS6detail17trampoline_kernelINS0_14default_configENS1_35radix_sort_onesweep_config_selectorIyNS0_10empty_typeEEEZNS1_34radix_sort_onesweep_global_offsetsIS3_Lb0EPyPS5_mNS0_19identity_decomposerEEE10hipError_tT1_T2_PT3_SE_jT4_jjP12ihipStream_tbEUlT_E0_NS1_11comp_targetILNS1_3genE8ELNS1_11target_archE1030ELNS1_3gpuE2ELNS1_3repE0EEENS1_52radix_sort_onesweep_histogram_config_static_selectorELNS0_4arch9wavefront6targetE1EEEvSC_,@function
_ZN7rocprim17ROCPRIM_400000_NS6detail17trampoline_kernelINS0_14default_configENS1_35radix_sort_onesweep_config_selectorIyNS0_10empty_typeEEEZNS1_34radix_sort_onesweep_global_offsetsIS3_Lb0EPyPS5_mNS0_19identity_decomposerEEE10hipError_tT1_T2_PT3_SE_jT4_jjP12ihipStream_tbEUlT_E0_NS1_11comp_targetILNS1_3genE8ELNS1_11target_archE1030ELNS1_3gpuE2ELNS1_3repE0EEENS1_52radix_sort_onesweep_histogram_config_static_selectorELNS0_4arch9wavefront6targetE1EEEvSC_: ; @_ZN7rocprim17ROCPRIM_400000_NS6detail17trampoline_kernelINS0_14default_configENS1_35radix_sort_onesweep_config_selectorIyNS0_10empty_typeEEEZNS1_34radix_sort_onesweep_global_offsetsIS3_Lb0EPyPS5_mNS0_19identity_decomposerEEE10hipError_tT1_T2_PT3_SE_jT4_jjP12ihipStream_tbEUlT_E0_NS1_11comp_targetILNS1_3genE8ELNS1_11target_archE1030ELNS1_3gpuE2ELNS1_3repE0EEENS1_52radix_sort_onesweep_histogram_config_static_selectorELNS0_4arch9wavefront6targetE1EEEvSC_
; %bb.0:
	.section	.rodata,"a",@progbits
	.p2align	6, 0x0
	.amdhsa_kernel _ZN7rocprim17ROCPRIM_400000_NS6detail17trampoline_kernelINS0_14default_configENS1_35radix_sort_onesweep_config_selectorIyNS0_10empty_typeEEEZNS1_34radix_sort_onesweep_global_offsetsIS3_Lb0EPyPS5_mNS0_19identity_decomposerEEE10hipError_tT1_T2_PT3_SE_jT4_jjP12ihipStream_tbEUlT_E0_NS1_11comp_targetILNS1_3genE8ELNS1_11target_archE1030ELNS1_3gpuE2ELNS1_3repE0EEENS1_52radix_sort_onesweep_histogram_config_static_selectorELNS0_4arch9wavefront6targetE1EEEvSC_
		.amdhsa_group_segment_fixed_size 0
		.amdhsa_private_segment_fixed_size 0
		.amdhsa_kernarg_size 8
		.amdhsa_user_sgpr_count 6
		.amdhsa_user_sgpr_private_segment_buffer 1
		.amdhsa_user_sgpr_dispatch_ptr 0
		.amdhsa_user_sgpr_queue_ptr 0
		.amdhsa_user_sgpr_kernarg_segment_ptr 1
		.amdhsa_user_sgpr_dispatch_id 0
		.amdhsa_user_sgpr_flat_scratch_init 0
		.amdhsa_user_sgpr_kernarg_preload_length 0
		.amdhsa_user_sgpr_kernarg_preload_offset 0
		.amdhsa_user_sgpr_private_segment_size 0
		.amdhsa_uses_dynamic_stack 0
		.amdhsa_system_sgpr_private_segment_wavefront_offset 0
		.amdhsa_system_sgpr_workgroup_id_x 1
		.amdhsa_system_sgpr_workgroup_id_y 0
		.amdhsa_system_sgpr_workgroup_id_z 0
		.amdhsa_system_sgpr_workgroup_info 0
		.amdhsa_system_vgpr_workitem_id 0
		.amdhsa_next_free_vgpr 1
		.amdhsa_next_free_sgpr 0
		.amdhsa_accum_offset 4
		.amdhsa_reserve_vcc 0
		.amdhsa_reserve_flat_scratch 0
		.amdhsa_float_round_mode_32 0
		.amdhsa_float_round_mode_16_64 0
		.amdhsa_float_denorm_mode_32 3
		.amdhsa_float_denorm_mode_16_64 3
		.amdhsa_dx10_clamp 1
		.amdhsa_ieee_mode 1
		.amdhsa_fp16_overflow 0
		.amdhsa_tg_split 0
		.amdhsa_exception_fp_ieee_invalid_op 0
		.amdhsa_exception_fp_denorm_src 0
		.amdhsa_exception_fp_ieee_div_zero 0
		.amdhsa_exception_fp_ieee_overflow 0
		.amdhsa_exception_fp_ieee_underflow 0
		.amdhsa_exception_fp_ieee_inexact 0
		.amdhsa_exception_int_div_zero 0
	.end_amdhsa_kernel
	.section	.text._ZN7rocprim17ROCPRIM_400000_NS6detail17trampoline_kernelINS0_14default_configENS1_35radix_sort_onesweep_config_selectorIyNS0_10empty_typeEEEZNS1_34radix_sort_onesweep_global_offsetsIS3_Lb0EPyPS5_mNS0_19identity_decomposerEEE10hipError_tT1_T2_PT3_SE_jT4_jjP12ihipStream_tbEUlT_E0_NS1_11comp_targetILNS1_3genE8ELNS1_11target_archE1030ELNS1_3gpuE2ELNS1_3repE0EEENS1_52radix_sort_onesweep_histogram_config_static_selectorELNS0_4arch9wavefront6targetE1EEEvSC_,"axG",@progbits,_ZN7rocprim17ROCPRIM_400000_NS6detail17trampoline_kernelINS0_14default_configENS1_35radix_sort_onesweep_config_selectorIyNS0_10empty_typeEEEZNS1_34radix_sort_onesweep_global_offsetsIS3_Lb0EPyPS5_mNS0_19identity_decomposerEEE10hipError_tT1_T2_PT3_SE_jT4_jjP12ihipStream_tbEUlT_E0_NS1_11comp_targetILNS1_3genE8ELNS1_11target_archE1030ELNS1_3gpuE2ELNS1_3repE0EEENS1_52radix_sort_onesweep_histogram_config_static_selectorELNS0_4arch9wavefront6targetE1EEEvSC_,comdat
.Lfunc_end1199:
	.size	_ZN7rocprim17ROCPRIM_400000_NS6detail17trampoline_kernelINS0_14default_configENS1_35radix_sort_onesweep_config_selectorIyNS0_10empty_typeEEEZNS1_34radix_sort_onesweep_global_offsetsIS3_Lb0EPyPS5_mNS0_19identity_decomposerEEE10hipError_tT1_T2_PT3_SE_jT4_jjP12ihipStream_tbEUlT_E0_NS1_11comp_targetILNS1_3genE8ELNS1_11target_archE1030ELNS1_3gpuE2ELNS1_3repE0EEENS1_52radix_sort_onesweep_histogram_config_static_selectorELNS0_4arch9wavefront6targetE1EEEvSC_, .Lfunc_end1199-_ZN7rocprim17ROCPRIM_400000_NS6detail17trampoline_kernelINS0_14default_configENS1_35radix_sort_onesweep_config_selectorIyNS0_10empty_typeEEEZNS1_34radix_sort_onesweep_global_offsetsIS3_Lb0EPyPS5_mNS0_19identity_decomposerEEE10hipError_tT1_T2_PT3_SE_jT4_jjP12ihipStream_tbEUlT_E0_NS1_11comp_targetILNS1_3genE8ELNS1_11target_archE1030ELNS1_3gpuE2ELNS1_3repE0EEENS1_52radix_sort_onesweep_histogram_config_static_selectorELNS0_4arch9wavefront6targetE1EEEvSC_
                                        ; -- End function
	.section	.AMDGPU.csdata,"",@progbits
; Kernel info:
; codeLenInByte = 0
; NumSgprs: 4
; NumVgprs: 0
; NumAgprs: 0
; TotalNumVgprs: 0
; ScratchSize: 0
; MemoryBound: 0
; FloatMode: 240
; IeeeMode: 1
; LDSByteSize: 0 bytes/workgroup (compile time only)
; SGPRBlocks: 0
; VGPRBlocks: 0
; NumSGPRsForWavesPerEU: 4
; NumVGPRsForWavesPerEU: 1
; AccumOffset: 4
; Occupancy: 8
; WaveLimiterHint : 0
; COMPUTE_PGM_RSRC2:SCRATCH_EN: 0
; COMPUTE_PGM_RSRC2:USER_SGPR: 6
; COMPUTE_PGM_RSRC2:TRAP_HANDLER: 0
; COMPUTE_PGM_RSRC2:TGID_X_EN: 1
; COMPUTE_PGM_RSRC2:TGID_Y_EN: 0
; COMPUTE_PGM_RSRC2:TGID_Z_EN: 0
; COMPUTE_PGM_RSRC2:TIDIG_COMP_CNT: 0
; COMPUTE_PGM_RSRC3_GFX90A:ACCUM_OFFSET: 0
; COMPUTE_PGM_RSRC3_GFX90A:TG_SPLIT: 0
	.section	.text._ZN7rocprim17ROCPRIM_400000_NS6detail17trampoline_kernelINS0_14default_configENS1_35radix_sort_onesweep_config_selectorIyNS0_10empty_typeEEEZZNS1_29radix_sort_onesweep_iterationIS3_Lb0EPyS8_PS5_S9_mNS0_19identity_decomposerENS1_16block_id_wrapperIjLb1EEEEE10hipError_tT1_PNSt15iterator_traitsISE_E10value_typeET2_T3_PNSF_ISK_E10value_typeET4_T5_PSP_SQ_PNS1_23onesweep_lookback_stateEbbT6_jjT7_P12ihipStream_tbENKUlT_T0_SE_SJ_E_clIS8_S8_S9_S9_EEDaSX_SY_SE_SJ_EUlSX_E_NS1_11comp_targetILNS1_3genE0ELNS1_11target_archE4294967295ELNS1_3gpuE0ELNS1_3repE0EEENS1_47radix_sort_onesweep_sort_config_static_selectorELNS0_4arch9wavefront6targetE1EEEvSE_,"axG",@progbits,_ZN7rocprim17ROCPRIM_400000_NS6detail17trampoline_kernelINS0_14default_configENS1_35radix_sort_onesweep_config_selectorIyNS0_10empty_typeEEEZZNS1_29radix_sort_onesweep_iterationIS3_Lb0EPyS8_PS5_S9_mNS0_19identity_decomposerENS1_16block_id_wrapperIjLb1EEEEE10hipError_tT1_PNSt15iterator_traitsISE_E10value_typeET2_T3_PNSF_ISK_E10value_typeET4_T5_PSP_SQ_PNS1_23onesweep_lookback_stateEbbT6_jjT7_P12ihipStream_tbENKUlT_T0_SE_SJ_E_clIS8_S8_S9_S9_EEDaSX_SY_SE_SJ_EUlSX_E_NS1_11comp_targetILNS1_3genE0ELNS1_11target_archE4294967295ELNS1_3gpuE0ELNS1_3repE0EEENS1_47radix_sort_onesweep_sort_config_static_selectorELNS0_4arch9wavefront6targetE1EEEvSE_,comdat
	.protected	_ZN7rocprim17ROCPRIM_400000_NS6detail17trampoline_kernelINS0_14default_configENS1_35radix_sort_onesweep_config_selectorIyNS0_10empty_typeEEEZZNS1_29radix_sort_onesweep_iterationIS3_Lb0EPyS8_PS5_S9_mNS0_19identity_decomposerENS1_16block_id_wrapperIjLb1EEEEE10hipError_tT1_PNSt15iterator_traitsISE_E10value_typeET2_T3_PNSF_ISK_E10value_typeET4_T5_PSP_SQ_PNS1_23onesweep_lookback_stateEbbT6_jjT7_P12ihipStream_tbENKUlT_T0_SE_SJ_E_clIS8_S8_S9_S9_EEDaSX_SY_SE_SJ_EUlSX_E_NS1_11comp_targetILNS1_3genE0ELNS1_11target_archE4294967295ELNS1_3gpuE0ELNS1_3repE0EEENS1_47radix_sort_onesweep_sort_config_static_selectorELNS0_4arch9wavefront6targetE1EEEvSE_ ; -- Begin function _ZN7rocprim17ROCPRIM_400000_NS6detail17trampoline_kernelINS0_14default_configENS1_35radix_sort_onesweep_config_selectorIyNS0_10empty_typeEEEZZNS1_29radix_sort_onesweep_iterationIS3_Lb0EPyS8_PS5_S9_mNS0_19identity_decomposerENS1_16block_id_wrapperIjLb1EEEEE10hipError_tT1_PNSt15iterator_traitsISE_E10value_typeET2_T3_PNSF_ISK_E10value_typeET4_T5_PSP_SQ_PNS1_23onesweep_lookback_stateEbbT6_jjT7_P12ihipStream_tbENKUlT_T0_SE_SJ_E_clIS8_S8_S9_S9_EEDaSX_SY_SE_SJ_EUlSX_E_NS1_11comp_targetILNS1_3genE0ELNS1_11target_archE4294967295ELNS1_3gpuE0ELNS1_3repE0EEENS1_47radix_sort_onesweep_sort_config_static_selectorELNS0_4arch9wavefront6targetE1EEEvSE_
	.globl	_ZN7rocprim17ROCPRIM_400000_NS6detail17trampoline_kernelINS0_14default_configENS1_35radix_sort_onesweep_config_selectorIyNS0_10empty_typeEEEZZNS1_29radix_sort_onesweep_iterationIS3_Lb0EPyS8_PS5_S9_mNS0_19identity_decomposerENS1_16block_id_wrapperIjLb1EEEEE10hipError_tT1_PNSt15iterator_traitsISE_E10value_typeET2_T3_PNSF_ISK_E10value_typeET4_T5_PSP_SQ_PNS1_23onesweep_lookback_stateEbbT6_jjT7_P12ihipStream_tbENKUlT_T0_SE_SJ_E_clIS8_S8_S9_S9_EEDaSX_SY_SE_SJ_EUlSX_E_NS1_11comp_targetILNS1_3genE0ELNS1_11target_archE4294967295ELNS1_3gpuE0ELNS1_3repE0EEENS1_47radix_sort_onesweep_sort_config_static_selectorELNS0_4arch9wavefront6targetE1EEEvSE_
	.p2align	8
	.type	_ZN7rocprim17ROCPRIM_400000_NS6detail17trampoline_kernelINS0_14default_configENS1_35radix_sort_onesweep_config_selectorIyNS0_10empty_typeEEEZZNS1_29radix_sort_onesweep_iterationIS3_Lb0EPyS8_PS5_S9_mNS0_19identity_decomposerENS1_16block_id_wrapperIjLb1EEEEE10hipError_tT1_PNSt15iterator_traitsISE_E10value_typeET2_T3_PNSF_ISK_E10value_typeET4_T5_PSP_SQ_PNS1_23onesweep_lookback_stateEbbT6_jjT7_P12ihipStream_tbENKUlT_T0_SE_SJ_E_clIS8_S8_S9_S9_EEDaSX_SY_SE_SJ_EUlSX_E_NS1_11comp_targetILNS1_3genE0ELNS1_11target_archE4294967295ELNS1_3gpuE0ELNS1_3repE0EEENS1_47radix_sort_onesweep_sort_config_static_selectorELNS0_4arch9wavefront6targetE1EEEvSE_,@function
_ZN7rocprim17ROCPRIM_400000_NS6detail17trampoline_kernelINS0_14default_configENS1_35radix_sort_onesweep_config_selectorIyNS0_10empty_typeEEEZZNS1_29radix_sort_onesweep_iterationIS3_Lb0EPyS8_PS5_S9_mNS0_19identity_decomposerENS1_16block_id_wrapperIjLb1EEEEE10hipError_tT1_PNSt15iterator_traitsISE_E10value_typeET2_T3_PNSF_ISK_E10value_typeET4_T5_PSP_SQ_PNS1_23onesweep_lookback_stateEbbT6_jjT7_P12ihipStream_tbENKUlT_T0_SE_SJ_E_clIS8_S8_S9_S9_EEDaSX_SY_SE_SJ_EUlSX_E_NS1_11comp_targetILNS1_3genE0ELNS1_11target_archE4294967295ELNS1_3gpuE0ELNS1_3repE0EEENS1_47radix_sort_onesweep_sort_config_static_selectorELNS0_4arch9wavefront6targetE1EEEvSE_: ; @_ZN7rocprim17ROCPRIM_400000_NS6detail17trampoline_kernelINS0_14default_configENS1_35radix_sort_onesweep_config_selectorIyNS0_10empty_typeEEEZZNS1_29radix_sort_onesweep_iterationIS3_Lb0EPyS8_PS5_S9_mNS0_19identity_decomposerENS1_16block_id_wrapperIjLb1EEEEE10hipError_tT1_PNSt15iterator_traitsISE_E10value_typeET2_T3_PNSF_ISK_E10value_typeET4_T5_PSP_SQ_PNS1_23onesweep_lookback_stateEbbT6_jjT7_P12ihipStream_tbENKUlT_T0_SE_SJ_E_clIS8_S8_S9_S9_EEDaSX_SY_SE_SJ_EUlSX_E_NS1_11comp_targetILNS1_3genE0ELNS1_11target_archE4294967295ELNS1_3gpuE0ELNS1_3repE0EEENS1_47radix_sort_onesweep_sort_config_static_selectorELNS0_4arch9wavefront6targetE1EEEvSE_
; %bb.0:
	.section	.rodata,"a",@progbits
	.p2align	6, 0x0
	.amdhsa_kernel _ZN7rocprim17ROCPRIM_400000_NS6detail17trampoline_kernelINS0_14default_configENS1_35radix_sort_onesweep_config_selectorIyNS0_10empty_typeEEEZZNS1_29radix_sort_onesweep_iterationIS3_Lb0EPyS8_PS5_S9_mNS0_19identity_decomposerENS1_16block_id_wrapperIjLb1EEEEE10hipError_tT1_PNSt15iterator_traitsISE_E10value_typeET2_T3_PNSF_ISK_E10value_typeET4_T5_PSP_SQ_PNS1_23onesweep_lookback_stateEbbT6_jjT7_P12ihipStream_tbENKUlT_T0_SE_SJ_E_clIS8_S8_S9_S9_EEDaSX_SY_SE_SJ_EUlSX_E_NS1_11comp_targetILNS1_3genE0ELNS1_11target_archE4294967295ELNS1_3gpuE0ELNS1_3repE0EEENS1_47radix_sort_onesweep_sort_config_static_selectorELNS0_4arch9wavefront6targetE1EEEvSE_
		.amdhsa_group_segment_fixed_size 0
		.amdhsa_private_segment_fixed_size 0
		.amdhsa_kernarg_size 88
		.amdhsa_user_sgpr_count 6
		.amdhsa_user_sgpr_private_segment_buffer 1
		.amdhsa_user_sgpr_dispatch_ptr 0
		.amdhsa_user_sgpr_queue_ptr 0
		.amdhsa_user_sgpr_kernarg_segment_ptr 1
		.amdhsa_user_sgpr_dispatch_id 0
		.amdhsa_user_sgpr_flat_scratch_init 0
		.amdhsa_user_sgpr_kernarg_preload_length 0
		.amdhsa_user_sgpr_kernarg_preload_offset 0
		.amdhsa_user_sgpr_private_segment_size 0
		.amdhsa_uses_dynamic_stack 0
		.amdhsa_system_sgpr_private_segment_wavefront_offset 0
		.amdhsa_system_sgpr_workgroup_id_x 1
		.amdhsa_system_sgpr_workgroup_id_y 0
		.amdhsa_system_sgpr_workgroup_id_z 0
		.amdhsa_system_sgpr_workgroup_info 0
		.amdhsa_system_vgpr_workitem_id 0
		.amdhsa_next_free_vgpr 1
		.amdhsa_next_free_sgpr 0
		.amdhsa_accum_offset 4
		.amdhsa_reserve_vcc 0
		.amdhsa_reserve_flat_scratch 0
		.amdhsa_float_round_mode_32 0
		.amdhsa_float_round_mode_16_64 0
		.amdhsa_float_denorm_mode_32 3
		.amdhsa_float_denorm_mode_16_64 3
		.amdhsa_dx10_clamp 1
		.amdhsa_ieee_mode 1
		.amdhsa_fp16_overflow 0
		.amdhsa_tg_split 0
		.amdhsa_exception_fp_ieee_invalid_op 0
		.amdhsa_exception_fp_denorm_src 0
		.amdhsa_exception_fp_ieee_div_zero 0
		.amdhsa_exception_fp_ieee_overflow 0
		.amdhsa_exception_fp_ieee_underflow 0
		.amdhsa_exception_fp_ieee_inexact 0
		.amdhsa_exception_int_div_zero 0
	.end_amdhsa_kernel
	.section	.text._ZN7rocprim17ROCPRIM_400000_NS6detail17trampoline_kernelINS0_14default_configENS1_35radix_sort_onesweep_config_selectorIyNS0_10empty_typeEEEZZNS1_29radix_sort_onesweep_iterationIS3_Lb0EPyS8_PS5_S9_mNS0_19identity_decomposerENS1_16block_id_wrapperIjLb1EEEEE10hipError_tT1_PNSt15iterator_traitsISE_E10value_typeET2_T3_PNSF_ISK_E10value_typeET4_T5_PSP_SQ_PNS1_23onesweep_lookback_stateEbbT6_jjT7_P12ihipStream_tbENKUlT_T0_SE_SJ_E_clIS8_S8_S9_S9_EEDaSX_SY_SE_SJ_EUlSX_E_NS1_11comp_targetILNS1_3genE0ELNS1_11target_archE4294967295ELNS1_3gpuE0ELNS1_3repE0EEENS1_47radix_sort_onesweep_sort_config_static_selectorELNS0_4arch9wavefront6targetE1EEEvSE_,"axG",@progbits,_ZN7rocprim17ROCPRIM_400000_NS6detail17trampoline_kernelINS0_14default_configENS1_35radix_sort_onesweep_config_selectorIyNS0_10empty_typeEEEZZNS1_29radix_sort_onesweep_iterationIS3_Lb0EPyS8_PS5_S9_mNS0_19identity_decomposerENS1_16block_id_wrapperIjLb1EEEEE10hipError_tT1_PNSt15iterator_traitsISE_E10value_typeET2_T3_PNSF_ISK_E10value_typeET4_T5_PSP_SQ_PNS1_23onesweep_lookback_stateEbbT6_jjT7_P12ihipStream_tbENKUlT_T0_SE_SJ_E_clIS8_S8_S9_S9_EEDaSX_SY_SE_SJ_EUlSX_E_NS1_11comp_targetILNS1_3genE0ELNS1_11target_archE4294967295ELNS1_3gpuE0ELNS1_3repE0EEENS1_47radix_sort_onesweep_sort_config_static_selectorELNS0_4arch9wavefront6targetE1EEEvSE_,comdat
.Lfunc_end1200:
	.size	_ZN7rocprim17ROCPRIM_400000_NS6detail17trampoline_kernelINS0_14default_configENS1_35radix_sort_onesweep_config_selectorIyNS0_10empty_typeEEEZZNS1_29radix_sort_onesweep_iterationIS3_Lb0EPyS8_PS5_S9_mNS0_19identity_decomposerENS1_16block_id_wrapperIjLb1EEEEE10hipError_tT1_PNSt15iterator_traitsISE_E10value_typeET2_T3_PNSF_ISK_E10value_typeET4_T5_PSP_SQ_PNS1_23onesweep_lookback_stateEbbT6_jjT7_P12ihipStream_tbENKUlT_T0_SE_SJ_E_clIS8_S8_S9_S9_EEDaSX_SY_SE_SJ_EUlSX_E_NS1_11comp_targetILNS1_3genE0ELNS1_11target_archE4294967295ELNS1_3gpuE0ELNS1_3repE0EEENS1_47radix_sort_onesweep_sort_config_static_selectorELNS0_4arch9wavefront6targetE1EEEvSE_, .Lfunc_end1200-_ZN7rocprim17ROCPRIM_400000_NS6detail17trampoline_kernelINS0_14default_configENS1_35radix_sort_onesweep_config_selectorIyNS0_10empty_typeEEEZZNS1_29radix_sort_onesweep_iterationIS3_Lb0EPyS8_PS5_S9_mNS0_19identity_decomposerENS1_16block_id_wrapperIjLb1EEEEE10hipError_tT1_PNSt15iterator_traitsISE_E10value_typeET2_T3_PNSF_ISK_E10value_typeET4_T5_PSP_SQ_PNS1_23onesweep_lookback_stateEbbT6_jjT7_P12ihipStream_tbENKUlT_T0_SE_SJ_E_clIS8_S8_S9_S9_EEDaSX_SY_SE_SJ_EUlSX_E_NS1_11comp_targetILNS1_3genE0ELNS1_11target_archE4294967295ELNS1_3gpuE0ELNS1_3repE0EEENS1_47radix_sort_onesweep_sort_config_static_selectorELNS0_4arch9wavefront6targetE1EEEvSE_
                                        ; -- End function
	.section	.AMDGPU.csdata,"",@progbits
; Kernel info:
; codeLenInByte = 0
; NumSgprs: 4
; NumVgprs: 0
; NumAgprs: 0
; TotalNumVgprs: 0
; ScratchSize: 0
; MemoryBound: 0
; FloatMode: 240
; IeeeMode: 1
; LDSByteSize: 0 bytes/workgroup (compile time only)
; SGPRBlocks: 0
; VGPRBlocks: 0
; NumSGPRsForWavesPerEU: 4
; NumVGPRsForWavesPerEU: 1
; AccumOffset: 4
; Occupancy: 8
; WaveLimiterHint : 0
; COMPUTE_PGM_RSRC2:SCRATCH_EN: 0
; COMPUTE_PGM_RSRC2:USER_SGPR: 6
; COMPUTE_PGM_RSRC2:TRAP_HANDLER: 0
; COMPUTE_PGM_RSRC2:TGID_X_EN: 1
; COMPUTE_PGM_RSRC2:TGID_Y_EN: 0
; COMPUTE_PGM_RSRC2:TGID_Z_EN: 0
; COMPUTE_PGM_RSRC2:TIDIG_COMP_CNT: 0
; COMPUTE_PGM_RSRC3_GFX90A:ACCUM_OFFSET: 0
; COMPUTE_PGM_RSRC3_GFX90A:TG_SPLIT: 0
	.section	.text._ZN7rocprim17ROCPRIM_400000_NS6detail17trampoline_kernelINS0_14default_configENS1_35radix_sort_onesweep_config_selectorIyNS0_10empty_typeEEEZZNS1_29radix_sort_onesweep_iterationIS3_Lb0EPyS8_PS5_S9_mNS0_19identity_decomposerENS1_16block_id_wrapperIjLb1EEEEE10hipError_tT1_PNSt15iterator_traitsISE_E10value_typeET2_T3_PNSF_ISK_E10value_typeET4_T5_PSP_SQ_PNS1_23onesweep_lookback_stateEbbT6_jjT7_P12ihipStream_tbENKUlT_T0_SE_SJ_E_clIS8_S8_S9_S9_EEDaSX_SY_SE_SJ_EUlSX_E_NS1_11comp_targetILNS1_3genE6ELNS1_11target_archE950ELNS1_3gpuE13ELNS1_3repE0EEENS1_47radix_sort_onesweep_sort_config_static_selectorELNS0_4arch9wavefront6targetE1EEEvSE_,"axG",@progbits,_ZN7rocprim17ROCPRIM_400000_NS6detail17trampoline_kernelINS0_14default_configENS1_35radix_sort_onesweep_config_selectorIyNS0_10empty_typeEEEZZNS1_29radix_sort_onesweep_iterationIS3_Lb0EPyS8_PS5_S9_mNS0_19identity_decomposerENS1_16block_id_wrapperIjLb1EEEEE10hipError_tT1_PNSt15iterator_traitsISE_E10value_typeET2_T3_PNSF_ISK_E10value_typeET4_T5_PSP_SQ_PNS1_23onesweep_lookback_stateEbbT6_jjT7_P12ihipStream_tbENKUlT_T0_SE_SJ_E_clIS8_S8_S9_S9_EEDaSX_SY_SE_SJ_EUlSX_E_NS1_11comp_targetILNS1_3genE6ELNS1_11target_archE950ELNS1_3gpuE13ELNS1_3repE0EEENS1_47radix_sort_onesweep_sort_config_static_selectorELNS0_4arch9wavefront6targetE1EEEvSE_,comdat
	.protected	_ZN7rocprim17ROCPRIM_400000_NS6detail17trampoline_kernelINS0_14default_configENS1_35radix_sort_onesweep_config_selectorIyNS0_10empty_typeEEEZZNS1_29radix_sort_onesweep_iterationIS3_Lb0EPyS8_PS5_S9_mNS0_19identity_decomposerENS1_16block_id_wrapperIjLb1EEEEE10hipError_tT1_PNSt15iterator_traitsISE_E10value_typeET2_T3_PNSF_ISK_E10value_typeET4_T5_PSP_SQ_PNS1_23onesweep_lookback_stateEbbT6_jjT7_P12ihipStream_tbENKUlT_T0_SE_SJ_E_clIS8_S8_S9_S9_EEDaSX_SY_SE_SJ_EUlSX_E_NS1_11comp_targetILNS1_3genE6ELNS1_11target_archE950ELNS1_3gpuE13ELNS1_3repE0EEENS1_47radix_sort_onesweep_sort_config_static_selectorELNS0_4arch9wavefront6targetE1EEEvSE_ ; -- Begin function _ZN7rocprim17ROCPRIM_400000_NS6detail17trampoline_kernelINS0_14default_configENS1_35radix_sort_onesweep_config_selectorIyNS0_10empty_typeEEEZZNS1_29radix_sort_onesweep_iterationIS3_Lb0EPyS8_PS5_S9_mNS0_19identity_decomposerENS1_16block_id_wrapperIjLb1EEEEE10hipError_tT1_PNSt15iterator_traitsISE_E10value_typeET2_T3_PNSF_ISK_E10value_typeET4_T5_PSP_SQ_PNS1_23onesweep_lookback_stateEbbT6_jjT7_P12ihipStream_tbENKUlT_T0_SE_SJ_E_clIS8_S8_S9_S9_EEDaSX_SY_SE_SJ_EUlSX_E_NS1_11comp_targetILNS1_3genE6ELNS1_11target_archE950ELNS1_3gpuE13ELNS1_3repE0EEENS1_47radix_sort_onesweep_sort_config_static_selectorELNS0_4arch9wavefront6targetE1EEEvSE_
	.globl	_ZN7rocprim17ROCPRIM_400000_NS6detail17trampoline_kernelINS0_14default_configENS1_35radix_sort_onesweep_config_selectorIyNS0_10empty_typeEEEZZNS1_29radix_sort_onesweep_iterationIS3_Lb0EPyS8_PS5_S9_mNS0_19identity_decomposerENS1_16block_id_wrapperIjLb1EEEEE10hipError_tT1_PNSt15iterator_traitsISE_E10value_typeET2_T3_PNSF_ISK_E10value_typeET4_T5_PSP_SQ_PNS1_23onesweep_lookback_stateEbbT6_jjT7_P12ihipStream_tbENKUlT_T0_SE_SJ_E_clIS8_S8_S9_S9_EEDaSX_SY_SE_SJ_EUlSX_E_NS1_11comp_targetILNS1_3genE6ELNS1_11target_archE950ELNS1_3gpuE13ELNS1_3repE0EEENS1_47radix_sort_onesweep_sort_config_static_selectorELNS0_4arch9wavefront6targetE1EEEvSE_
	.p2align	8
	.type	_ZN7rocprim17ROCPRIM_400000_NS6detail17trampoline_kernelINS0_14default_configENS1_35radix_sort_onesweep_config_selectorIyNS0_10empty_typeEEEZZNS1_29radix_sort_onesweep_iterationIS3_Lb0EPyS8_PS5_S9_mNS0_19identity_decomposerENS1_16block_id_wrapperIjLb1EEEEE10hipError_tT1_PNSt15iterator_traitsISE_E10value_typeET2_T3_PNSF_ISK_E10value_typeET4_T5_PSP_SQ_PNS1_23onesweep_lookback_stateEbbT6_jjT7_P12ihipStream_tbENKUlT_T0_SE_SJ_E_clIS8_S8_S9_S9_EEDaSX_SY_SE_SJ_EUlSX_E_NS1_11comp_targetILNS1_3genE6ELNS1_11target_archE950ELNS1_3gpuE13ELNS1_3repE0EEENS1_47radix_sort_onesweep_sort_config_static_selectorELNS0_4arch9wavefront6targetE1EEEvSE_,@function
_ZN7rocprim17ROCPRIM_400000_NS6detail17trampoline_kernelINS0_14default_configENS1_35radix_sort_onesweep_config_selectorIyNS0_10empty_typeEEEZZNS1_29radix_sort_onesweep_iterationIS3_Lb0EPyS8_PS5_S9_mNS0_19identity_decomposerENS1_16block_id_wrapperIjLb1EEEEE10hipError_tT1_PNSt15iterator_traitsISE_E10value_typeET2_T3_PNSF_ISK_E10value_typeET4_T5_PSP_SQ_PNS1_23onesweep_lookback_stateEbbT6_jjT7_P12ihipStream_tbENKUlT_T0_SE_SJ_E_clIS8_S8_S9_S9_EEDaSX_SY_SE_SJ_EUlSX_E_NS1_11comp_targetILNS1_3genE6ELNS1_11target_archE950ELNS1_3gpuE13ELNS1_3repE0EEENS1_47radix_sort_onesweep_sort_config_static_selectorELNS0_4arch9wavefront6targetE1EEEvSE_: ; @_ZN7rocprim17ROCPRIM_400000_NS6detail17trampoline_kernelINS0_14default_configENS1_35radix_sort_onesweep_config_selectorIyNS0_10empty_typeEEEZZNS1_29radix_sort_onesweep_iterationIS3_Lb0EPyS8_PS5_S9_mNS0_19identity_decomposerENS1_16block_id_wrapperIjLb1EEEEE10hipError_tT1_PNSt15iterator_traitsISE_E10value_typeET2_T3_PNSF_ISK_E10value_typeET4_T5_PSP_SQ_PNS1_23onesweep_lookback_stateEbbT6_jjT7_P12ihipStream_tbENKUlT_T0_SE_SJ_E_clIS8_S8_S9_S9_EEDaSX_SY_SE_SJ_EUlSX_E_NS1_11comp_targetILNS1_3genE6ELNS1_11target_archE950ELNS1_3gpuE13ELNS1_3repE0EEENS1_47radix_sort_onesweep_sort_config_static_selectorELNS0_4arch9wavefront6targetE1EEEvSE_
; %bb.0:
	.section	.rodata,"a",@progbits
	.p2align	6, 0x0
	.amdhsa_kernel _ZN7rocprim17ROCPRIM_400000_NS6detail17trampoline_kernelINS0_14default_configENS1_35radix_sort_onesweep_config_selectorIyNS0_10empty_typeEEEZZNS1_29radix_sort_onesweep_iterationIS3_Lb0EPyS8_PS5_S9_mNS0_19identity_decomposerENS1_16block_id_wrapperIjLb1EEEEE10hipError_tT1_PNSt15iterator_traitsISE_E10value_typeET2_T3_PNSF_ISK_E10value_typeET4_T5_PSP_SQ_PNS1_23onesweep_lookback_stateEbbT6_jjT7_P12ihipStream_tbENKUlT_T0_SE_SJ_E_clIS8_S8_S9_S9_EEDaSX_SY_SE_SJ_EUlSX_E_NS1_11comp_targetILNS1_3genE6ELNS1_11target_archE950ELNS1_3gpuE13ELNS1_3repE0EEENS1_47radix_sort_onesweep_sort_config_static_selectorELNS0_4arch9wavefront6targetE1EEEvSE_
		.amdhsa_group_segment_fixed_size 0
		.amdhsa_private_segment_fixed_size 0
		.amdhsa_kernarg_size 88
		.amdhsa_user_sgpr_count 6
		.amdhsa_user_sgpr_private_segment_buffer 1
		.amdhsa_user_sgpr_dispatch_ptr 0
		.amdhsa_user_sgpr_queue_ptr 0
		.amdhsa_user_sgpr_kernarg_segment_ptr 1
		.amdhsa_user_sgpr_dispatch_id 0
		.amdhsa_user_sgpr_flat_scratch_init 0
		.amdhsa_user_sgpr_kernarg_preload_length 0
		.amdhsa_user_sgpr_kernarg_preload_offset 0
		.amdhsa_user_sgpr_private_segment_size 0
		.amdhsa_uses_dynamic_stack 0
		.amdhsa_system_sgpr_private_segment_wavefront_offset 0
		.amdhsa_system_sgpr_workgroup_id_x 1
		.amdhsa_system_sgpr_workgroup_id_y 0
		.amdhsa_system_sgpr_workgroup_id_z 0
		.amdhsa_system_sgpr_workgroup_info 0
		.amdhsa_system_vgpr_workitem_id 0
		.amdhsa_next_free_vgpr 1
		.amdhsa_next_free_sgpr 0
		.amdhsa_accum_offset 4
		.amdhsa_reserve_vcc 0
		.amdhsa_reserve_flat_scratch 0
		.amdhsa_float_round_mode_32 0
		.amdhsa_float_round_mode_16_64 0
		.amdhsa_float_denorm_mode_32 3
		.amdhsa_float_denorm_mode_16_64 3
		.amdhsa_dx10_clamp 1
		.amdhsa_ieee_mode 1
		.amdhsa_fp16_overflow 0
		.amdhsa_tg_split 0
		.amdhsa_exception_fp_ieee_invalid_op 0
		.amdhsa_exception_fp_denorm_src 0
		.amdhsa_exception_fp_ieee_div_zero 0
		.amdhsa_exception_fp_ieee_overflow 0
		.amdhsa_exception_fp_ieee_underflow 0
		.amdhsa_exception_fp_ieee_inexact 0
		.amdhsa_exception_int_div_zero 0
	.end_amdhsa_kernel
	.section	.text._ZN7rocprim17ROCPRIM_400000_NS6detail17trampoline_kernelINS0_14default_configENS1_35radix_sort_onesweep_config_selectorIyNS0_10empty_typeEEEZZNS1_29radix_sort_onesweep_iterationIS3_Lb0EPyS8_PS5_S9_mNS0_19identity_decomposerENS1_16block_id_wrapperIjLb1EEEEE10hipError_tT1_PNSt15iterator_traitsISE_E10value_typeET2_T3_PNSF_ISK_E10value_typeET4_T5_PSP_SQ_PNS1_23onesweep_lookback_stateEbbT6_jjT7_P12ihipStream_tbENKUlT_T0_SE_SJ_E_clIS8_S8_S9_S9_EEDaSX_SY_SE_SJ_EUlSX_E_NS1_11comp_targetILNS1_3genE6ELNS1_11target_archE950ELNS1_3gpuE13ELNS1_3repE0EEENS1_47radix_sort_onesweep_sort_config_static_selectorELNS0_4arch9wavefront6targetE1EEEvSE_,"axG",@progbits,_ZN7rocprim17ROCPRIM_400000_NS6detail17trampoline_kernelINS0_14default_configENS1_35radix_sort_onesweep_config_selectorIyNS0_10empty_typeEEEZZNS1_29radix_sort_onesweep_iterationIS3_Lb0EPyS8_PS5_S9_mNS0_19identity_decomposerENS1_16block_id_wrapperIjLb1EEEEE10hipError_tT1_PNSt15iterator_traitsISE_E10value_typeET2_T3_PNSF_ISK_E10value_typeET4_T5_PSP_SQ_PNS1_23onesweep_lookback_stateEbbT6_jjT7_P12ihipStream_tbENKUlT_T0_SE_SJ_E_clIS8_S8_S9_S9_EEDaSX_SY_SE_SJ_EUlSX_E_NS1_11comp_targetILNS1_3genE6ELNS1_11target_archE950ELNS1_3gpuE13ELNS1_3repE0EEENS1_47radix_sort_onesweep_sort_config_static_selectorELNS0_4arch9wavefront6targetE1EEEvSE_,comdat
.Lfunc_end1201:
	.size	_ZN7rocprim17ROCPRIM_400000_NS6detail17trampoline_kernelINS0_14default_configENS1_35radix_sort_onesweep_config_selectorIyNS0_10empty_typeEEEZZNS1_29radix_sort_onesweep_iterationIS3_Lb0EPyS8_PS5_S9_mNS0_19identity_decomposerENS1_16block_id_wrapperIjLb1EEEEE10hipError_tT1_PNSt15iterator_traitsISE_E10value_typeET2_T3_PNSF_ISK_E10value_typeET4_T5_PSP_SQ_PNS1_23onesweep_lookback_stateEbbT6_jjT7_P12ihipStream_tbENKUlT_T0_SE_SJ_E_clIS8_S8_S9_S9_EEDaSX_SY_SE_SJ_EUlSX_E_NS1_11comp_targetILNS1_3genE6ELNS1_11target_archE950ELNS1_3gpuE13ELNS1_3repE0EEENS1_47radix_sort_onesweep_sort_config_static_selectorELNS0_4arch9wavefront6targetE1EEEvSE_, .Lfunc_end1201-_ZN7rocprim17ROCPRIM_400000_NS6detail17trampoline_kernelINS0_14default_configENS1_35radix_sort_onesweep_config_selectorIyNS0_10empty_typeEEEZZNS1_29radix_sort_onesweep_iterationIS3_Lb0EPyS8_PS5_S9_mNS0_19identity_decomposerENS1_16block_id_wrapperIjLb1EEEEE10hipError_tT1_PNSt15iterator_traitsISE_E10value_typeET2_T3_PNSF_ISK_E10value_typeET4_T5_PSP_SQ_PNS1_23onesweep_lookback_stateEbbT6_jjT7_P12ihipStream_tbENKUlT_T0_SE_SJ_E_clIS8_S8_S9_S9_EEDaSX_SY_SE_SJ_EUlSX_E_NS1_11comp_targetILNS1_3genE6ELNS1_11target_archE950ELNS1_3gpuE13ELNS1_3repE0EEENS1_47radix_sort_onesweep_sort_config_static_selectorELNS0_4arch9wavefront6targetE1EEEvSE_
                                        ; -- End function
	.section	.AMDGPU.csdata,"",@progbits
; Kernel info:
; codeLenInByte = 0
; NumSgprs: 4
; NumVgprs: 0
; NumAgprs: 0
; TotalNumVgprs: 0
; ScratchSize: 0
; MemoryBound: 0
; FloatMode: 240
; IeeeMode: 1
; LDSByteSize: 0 bytes/workgroup (compile time only)
; SGPRBlocks: 0
; VGPRBlocks: 0
; NumSGPRsForWavesPerEU: 4
; NumVGPRsForWavesPerEU: 1
; AccumOffset: 4
; Occupancy: 8
; WaveLimiterHint : 0
; COMPUTE_PGM_RSRC2:SCRATCH_EN: 0
; COMPUTE_PGM_RSRC2:USER_SGPR: 6
; COMPUTE_PGM_RSRC2:TRAP_HANDLER: 0
; COMPUTE_PGM_RSRC2:TGID_X_EN: 1
; COMPUTE_PGM_RSRC2:TGID_Y_EN: 0
; COMPUTE_PGM_RSRC2:TGID_Z_EN: 0
; COMPUTE_PGM_RSRC2:TIDIG_COMP_CNT: 0
; COMPUTE_PGM_RSRC3_GFX90A:ACCUM_OFFSET: 0
; COMPUTE_PGM_RSRC3_GFX90A:TG_SPLIT: 0
	.section	.text._ZN7rocprim17ROCPRIM_400000_NS6detail17trampoline_kernelINS0_14default_configENS1_35radix_sort_onesweep_config_selectorIyNS0_10empty_typeEEEZZNS1_29radix_sort_onesweep_iterationIS3_Lb0EPyS8_PS5_S9_mNS0_19identity_decomposerENS1_16block_id_wrapperIjLb1EEEEE10hipError_tT1_PNSt15iterator_traitsISE_E10value_typeET2_T3_PNSF_ISK_E10value_typeET4_T5_PSP_SQ_PNS1_23onesweep_lookback_stateEbbT6_jjT7_P12ihipStream_tbENKUlT_T0_SE_SJ_E_clIS8_S8_S9_S9_EEDaSX_SY_SE_SJ_EUlSX_E_NS1_11comp_targetILNS1_3genE5ELNS1_11target_archE942ELNS1_3gpuE9ELNS1_3repE0EEENS1_47radix_sort_onesweep_sort_config_static_selectorELNS0_4arch9wavefront6targetE1EEEvSE_,"axG",@progbits,_ZN7rocprim17ROCPRIM_400000_NS6detail17trampoline_kernelINS0_14default_configENS1_35radix_sort_onesweep_config_selectorIyNS0_10empty_typeEEEZZNS1_29radix_sort_onesweep_iterationIS3_Lb0EPyS8_PS5_S9_mNS0_19identity_decomposerENS1_16block_id_wrapperIjLb1EEEEE10hipError_tT1_PNSt15iterator_traitsISE_E10value_typeET2_T3_PNSF_ISK_E10value_typeET4_T5_PSP_SQ_PNS1_23onesweep_lookback_stateEbbT6_jjT7_P12ihipStream_tbENKUlT_T0_SE_SJ_E_clIS8_S8_S9_S9_EEDaSX_SY_SE_SJ_EUlSX_E_NS1_11comp_targetILNS1_3genE5ELNS1_11target_archE942ELNS1_3gpuE9ELNS1_3repE0EEENS1_47radix_sort_onesweep_sort_config_static_selectorELNS0_4arch9wavefront6targetE1EEEvSE_,comdat
	.protected	_ZN7rocprim17ROCPRIM_400000_NS6detail17trampoline_kernelINS0_14default_configENS1_35radix_sort_onesweep_config_selectorIyNS0_10empty_typeEEEZZNS1_29radix_sort_onesweep_iterationIS3_Lb0EPyS8_PS5_S9_mNS0_19identity_decomposerENS1_16block_id_wrapperIjLb1EEEEE10hipError_tT1_PNSt15iterator_traitsISE_E10value_typeET2_T3_PNSF_ISK_E10value_typeET4_T5_PSP_SQ_PNS1_23onesweep_lookback_stateEbbT6_jjT7_P12ihipStream_tbENKUlT_T0_SE_SJ_E_clIS8_S8_S9_S9_EEDaSX_SY_SE_SJ_EUlSX_E_NS1_11comp_targetILNS1_3genE5ELNS1_11target_archE942ELNS1_3gpuE9ELNS1_3repE0EEENS1_47radix_sort_onesweep_sort_config_static_selectorELNS0_4arch9wavefront6targetE1EEEvSE_ ; -- Begin function _ZN7rocprim17ROCPRIM_400000_NS6detail17trampoline_kernelINS0_14default_configENS1_35radix_sort_onesweep_config_selectorIyNS0_10empty_typeEEEZZNS1_29radix_sort_onesweep_iterationIS3_Lb0EPyS8_PS5_S9_mNS0_19identity_decomposerENS1_16block_id_wrapperIjLb1EEEEE10hipError_tT1_PNSt15iterator_traitsISE_E10value_typeET2_T3_PNSF_ISK_E10value_typeET4_T5_PSP_SQ_PNS1_23onesweep_lookback_stateEbbT6_jjT7_P12ihipStream_tbENKUlT_T0_SE_SJ_E_clIS8_S8_S9_S9_EEDaSX_SY_SE_SJ_EUlSX_E_NS1_11comp_targetILNS1_3genE5ELNS1_11target_archE942ELNS1_3gpuE9ELNS1_3repE0EEENS1_47radix_sort_onesweep_sort_config_static_selectorELNS0_4arch9wavefront6targetE1EEEvSE_
	.globl	_ZN7rocprim17ROCPRIM_400000_NS6detail17trampoline_kernelINS0_14default_configENS1_35radix_sort_onesweep_config_selectorIyNS0_10empty_typeEEEZZNS1_29radix_sort_onesweep_iterationIS3_Lb0EPyS8_PS5_S9_mNS0_19identity_decomposerENS1_16block_id_wrapperIjLb1EEEEE10hipError_tT1_PNSt15iterator_traitsISE_E10value_typeET2_T3_PNSF_ISK_E10value_typeET4_T5_PSP_SQ_PNS1_23onesweep_lookback_stateEbbT6_jjT7_P12ihipStream_tbENKUlT_T0_SE_SJ_E_clIS8_S8_S9_S9_EEDaSX_SY_SE_SJ_EUlSX_E_NS1_11comp_targetILNS1_3genE5ELNS1_11target_archE942ELNS1_3gpuE9ELNS1_3repE0EEENS1_47radix_sort_onesweep_sort_config_static_selectorELNS0_4arch9wavefront6targetE1EEEvSE_
	.p2align	8
	.type	_ZN7rocprim17ROCPRIM_400000_NS6detail17trampoline_kernelINS0_14default_configENS1_35radix_sort_onesweep_config_selectorIyNS0_10empty_typeEEEZZNS1_29radix_sort_onesweep_iterationIS3_Lb0EPyS8_PS5_S9_mNS0_19identity_decomposerENS1_16block_id_wrapperIjLb1EEEEE10hipError_tT1_PNSt15iterator_traitsISE_E10value_typeET2_T3_PNSF_ISK_E10value_typeET4_T5_PSP_SQ_PNS1_23onesweep_lookback_stateEbbT6_jjT7_P12ihipStream_tbENKUlT_T0_SE_SJ_E_clIS8_S8_S9_S9_EEDaSX_SY_SE_SJ_EUlSX_E_NS1_11comp_targetILNS1_3genE5ELNS1_11target_archE942ELNS1_3gpuE9ELNS1_3repE0EEENS1_47radix_sort_onesweep_sort_config_static_selectorELNS0_4arch9wavefront6targetE1EEEvSE_,@function
_ZN7rocprim17ROCPRIM_400000_NS6detail17trampoline_kernelINS0_14default_configENS1_35radix_sort_onesweep_config_selectorIyNS0_10empty_typeEEEZZNS1_29radix_sort_onesweep_iterationIS3_Lb0EPyS8_PS5_S9_mNS0_19identity_decomposerENS1_16block_id_wrapperIjLb1EEEEE10hipError_tT1_PNSt15iterator_traitsISE_E10value_typeET2_T3_PNSF_ISK_E10value_typeET4_T5_PSP_SQ_PNS1_23onesweep_lookback_stateEbbT6_jjT7_P12ihipStream_tbENKUlT_T0_SE_SJ_E_clIS8_S8_S9_S9_EEDaSX_SY_SE_SJ_EUlSX_E_NS1_11comp_targetILNS1_3genE5ELNS1_11target_archE942ELNS1_3gpuE9ELNS1_3repE0EEENS1_47radix_sort_onesweep_sort_config_static_selectorELNS0_4arch9wavefront6targetE1EEEvSE_: ; @_ZN7rocprim17ROCPRIM_400000_NS6detail17trampoline_kernelINS0_14default_configENS1_35radix_sort_onesweep_config_selectorIyNS0_10empty_typeEEEZZNS1_29radix_sort_onesweep_iterationIS3_Lb0EPyS8_PS5_S9_mNS0_19identity_decomposerENS1_16block_id_wrapperIjLb1EEEEE10hipError_tT1_PNSt15iterator_traitsISE_E10value_typeET2_T3_PNSF_ISK_E10value_typeET4_T5_PSP_SQ_PNS1_23onesweep_lookback_stateEbbT6_jjT7_P12ihipStream_tbENKUlT_T0_SE_SJ_E_clIS8_S8_S9_S9_EEDaSX_SY_SE_SJ_EUlSX_E_NS1_11comp_targetILNS1_3genE5ELNS1_11target_archE942ELNS1_3gpuE9ELNS1_3repE0EEENS1_47radix_sort_onesweep_sort_config_static_selectorELNS0_4arch9wavefront6targetE1EEEvSE_
; %bb.0:
	.section	.rodata,"a",@progbits
	.p2align	6, 0x0
	.amdhsa_kernel _ZN7rocprim17ROCPRIM_400000_NS6detail17trampoline_kernelINS0_14default_configENS1_35radix_sort_onesweep_config_selectorIyNS0_10empty_typeEEEZZNS1_29radix_sort_onesweep_iterationIS3_Lb0EPyS8_PS5_S9_mNS0_19identity_decomposerENS1_16block_id_wrapperIjLb1EEEEE10hipError_tT1_PNSt15iterator_traitsISE_E10value_typeET2_T3_PNSF_ISK_E10value_typeET4_T5_PSP_SQ_PNS1_23onesweep_lookback_stateEbbT6_jjT7_P12ihipStream_tbENKUlT_T0_SE_SJ_E_clIS8_S8_S9_S9_EEDaSX_SY_SE_SJ_EUlSX_E_NS1_11comp_targetILNS1_3genE5ELNS1_11target_archE942ELNS1_3gpuE9ELNS1_3repE0EEENS1_47radix_sort_onesweep_sort_config_static_selectorELNS0_4arch9wavefront6targetE1EEEvSE_
		.amdhsa_group_segment_fixed_size 0
		.amdhsa_private_segment_fixed_size 0
		.amdhsa_kernarg_size 88
		.amdhsa_user_sgpr_count 6
		.amdhsa_user_sgpr_private_segment_buffer 1
		.amdhsa_user_sgpr_dispatch_ptr 0
		.amdhsa_user_sgpr_queue_ptr 0
		.amdhsa_user_sgpr_kernarg_segment_ptr 1
		.amdhsa_user_sgpr_dispatch_id 0
		.amdhsa_user_sgpr_flat_scratch_init 0
		.amdhsa_user_sgpr_kernarg_preload_length 0
		.amdhsa_user_sgpr_kernarg_preload_offset 0
		.amdhsa_user_sgpr_private_segment_size 0
		.amdhsa_uses_dynamic_stack 0
		.amdhsa_system_sgpr_private_segment_wavefront_offset 0
		.amdhsa_system_sgpr_workgroup_id_x 1
		.amdhsa_system_sgpr_workgroup_id_y 0
		.amdhsa_system_sgpr_workgroup_id_z 0
		.amdhsa_system_sgpr_workgroup_info 0
		.amdhsa_system_vgpr_workitem_id 0
		.amdhsa_next_free_vgpr 1
		.amdhsa_next_free_sgpr 0
		.amdhsa_accum_offset 4
		.amdhsa_reserve_vcc 0
		.amdhsa_reserve_flat_scratch 0
		.amdhsa_float_round_mode_32 0
		.amdhsa_float_round_mode_16_64 0
		.amdhsa_float_denorm_mode_32 3
		.amdhsa_float_denorm_mode_16_64 3
		.amdhsa_dx10_clamp 1
		.amdhsa_ieee_mode 1
		.amdhsa_fp16_overflow 0
		.amdhsa_tg_split 0
		.amdhsa_exception_fp_ieee_invalid_op 0
		.amdhsa_exception_fp_denorm_src 0
		.amdhsa_exception_fp_ieee_div_zero 0
		.amdhsa_exception_fp_ieee_overflow 0
		.amdhsa_exception_fp_ieee_underflow 0
		.amdhsa_exception_fp_ieee_inexact 0
		.amdhsa_exception_int_div_zero 0
	.end_amdhsa_kernel
	.section	.text._ZN7rocprim17ROCPRIM_400000_NS6detail17trampoline_kernelINS0_14default_configENS1_35radix_sort_onesweep_config_selectorIyNS0_10empty_typeEEEZZNS1_29radix_sort_onesweep_iterationIS3_Lb0EPyS8_PS5_S9_mNS0_19identity_decomposerENS1_16block_id_wrapperIjLb1EEEEE10hipError_tT1_PNSt15iterator_traitsISE_E10value_typeET2_T3_PNSF_ISK_E10value_typeET4_T5_PSP_SQ_PNS1_23onesweep_lookback_stateEbbT6_jjT7_P12ihipStream_tbENKUlT_T0_SE_SJ_E_clIS8_S8_S9_S9_EEDaSX_SY_SE_SJ_EUlSX_E_NS1_11comp_targetILNS1_3genE5ELNS1_11target_archE942ELNS1_3gpuE9ELNS1_3repE0EEENS1_47radix_sort_onesweep_sort_config_static_selectorELNS0_4arch9wavefront6targetE1EEEvSE_,"axG",@progbits,_ZN7rocprim17ROCPRIM_400000_NS6detail17trampoline_kernelINS0_14default_configENS1_35radix_sort_onesweep_config_selectorIyNS0_10empty_typeEEEZZNS1_29radix_sort_onesweep_iterationIS3_Lb0EPyS8_PS5_S9_mNS0_19identity_decomposerENS1_16block_id_wrapperIjLb1EEEEE10hipError_tT1_PNSt15iterator_traitsISE_E10value_typeET2_T3_PNSF_ISK_E10value_typeET4_T5_PSP_SQ_PNS1_23onesweep_lookback_stateEbbT6_jjT7_P12ihipStream_tbENKUlT_T0_SE_SJ_E_clIS8_S8_S9_S9_EEDaSX_SY_SE_SJ_EUlSX_E_NS1_11comp_targetILNS1_3genE5ELNS1_11target_archE942ELNS1_3gpuE9ELNS1_3repE0EEENS1_47radix_sort_onesweep_sort_config_static_selectorELNS0_4arch9wavefront6targetE1EEEvSE_,comdat
.Lfunc_end1202:
	.size	_ZN7rocprim17ROCPRIM_400000_NS6detail17trampoline_kernelINS0_14default_configENS1_35radix_sort_onesweep_config_selectorIyNS0_10empty_typeEEEZZNS1_29radix_sort_onesweep_iterationIS3_Lb0EPyS8_PS5_S9_mNS0_19identity_decomposerENS1_16block_id_wrapperIjLb1EEEEE10hipError_tT1_PNSt15iterator_traitsISE_E10value_typeET2_T3_PNSF_ISK_E10value_typeET4_T5_PSP_SQ_PNS1_23onesweep_lookback_stateEbbT6_jjT7_P12ihipStream_tbENKUlT_T0_SE_SJ_E_clIS8_S8_S9_S9_EEDaSX_SY_SE_SJ_EUlSX_E_NS1_11comp_targetILNS1_3genE5ELNS1_11target_archE942ELNS1_3gpuE9ELNS1_3repE0EEENS1_47radix_sort_onesweep_sort_config_static_selectorELNS0_4arch9wavefront6targetE1EEEvSE_, .Lfunc_end1202-_ZN7rocprim17ROCPRIM_400000_NS6detail17trampoline_kernelINS0_14default_configENS1_35radix_sort_onesweep_config_selectorIyNS0_10empty_typeEEEZZNS1_29radix_sort_onesweep_iterationIS3_Lb0EPyS8_PS5_S9_mNS0_19identity_decomposerENS1_16block_id_wrapperIjLb1EEEEE10hipError_tT1_PNSt15iterator_traitsISE_E10value_typeET2_T3_PNSF_ISK_E10value_typeET4_T5_PSP_SQ_PNS1_23onesweep_lookback_stateEbbT6_jjT7_P12ihipStream_tbENKUlT_T0_SE_SJ_E_clIS8_S8_S9_S9_EEDaSX_SY_SE_SJ_EUlSX_E_NS1_11comp_targetILNS1_3genE5ELNS1_11target_archE942ELNS1_3gpuE9ELNS1_3repE0EEENS1_47radix_sort_onesweep_sort_config_static_selectorELNS0_4arch9wavefront6targetE1EEEvSE_
                                        ; -- End function
	.section	.AMDGPU.csdata,"",@progbits
; Kernel info:
; codeLenInByte = 0
; NumSgprs: 4
; NumVgprs: 0
; NumAgprs: 0
; TotalNumVgprs: 0
; ScratchSize: 0
; MemoryBound: 0
; FloatMode: 240
; IeeeMode: 1
; LDSByteSize: 0 bytes/workgroup (compile time only)
; SGPRBlocks: 0
; VGPRBlocks: 0
; NumSGPRsForWavesPerEU: 4
; NumVGPRsForWavesPerEU: 1
; AccumOffset: 4
; Occupancy: 8
; WaveLimiterHint : 0
; COMPUTE_PGM_RSRC2:SCRATCH_EN: 0
; COMPUTE_PGM_RSRC2:USER_SGPR: 6
; COMPUTE_PGM_RSRC2:TRAP_HANDLER: 0
; COMPUTE_PGM_RSRC2:TGID_X_EN: 1
; COMPUTE_PGM_RSRC2:TGID_Y_EN: 0
; COMPUTE_PGM_RSRC2:TGID_Z_EN: 0
; COMPUTE_PGM_RSRC2:TIDIG_COMP_CNT: 0
; COMPUTE_PGM_RSRC3_GFX90A:ACCUM_OFFSET: 0
; COMPUTE_PGM_RSRC3_GFX90A:TG_SPLIT: 0
	.section	.text._ZN7rocprim17ROCPRIM_400000_NS6detail17trampoline_kernelINS0_14default_configENS1_35radix_sort_onesweep_config_selectorIyNS0_10empty_typeEEEZZNS1_29radix_sort_onesweep_iterationIS3_Lb0EPyS8_PS5_S9_mNS0_19identity_decomposerENS1_16block_id_wrapperIjLb1EEEEE10hipError_tT1_PNSt15iterator_traitsISE_E10value_typeET2_T3_PNSF_ISK_E10value_typeET4_T5_PSP_SQ_PNS1_23onesweep_lookback_stateEbbT6_jjT7_P12ihipStream_tbENKUlT_T0_SE_SJ_E_clIS8_S8_S9_S9_EEDaSX_SY_SE_SJ_EUlSX_E_NS1_11comp_targetILNS1_3genE2ELNS1_11target_archE906ELNS1_3gpuE6ELNS1_3repE0EEENS1_47radix_sort_onesweep_sort_config_static_selectorELNS0_4arch9wavefront6targetE1EEEvSE_,"axG",@progbits,_ZN7rocprim17ROCPRIM_400000_NS6detail17trampoline_kernelINS0_14default_configENS1_35radix_sort_onesweep_config_selectorIyNS0_10empty_typeEEEZZNS1_29radix_sort_onesweep_iterationIS3_Lb0EPyS8_PS5_S9_mNS0_19identity_decomposerENS1_16block_id_wrapperIjLb1EEEEE10hipError_tT1_PNSt15iterator_traitsISE_E10value_typeET2_T3_PNSF_ISK_E10value_typeET4_T5_PSP_SQ_PNS1_23onesweep_lookback_stateEbbT6_jjT7_P12ihipStream_tbENKUlT_T0_SE_SJ_E_clIS8_S8_S9_S9_EEDaSX_SY_SE_SJ_EUlSX_E_NS1_11comp_targetILNS1_3genE2ELNS1_11target_archE906ELNS1_3gpuE6ELNS1_3repE0EEENS1_47radix_sort_onesweep_sort_config_static_selectorELNS0_4arch9wavefront6targetE1EEEvSE_,comdat
	.protected	_ZN7rocprim17ROCPRIM_400000_NS6detail17trampoline_kernelINS0_14default_configENS1_35radix_sort_onesweep_config_selectorIyNS0_10empty_typeEEEZZNS1_29radix_sort_onesweep_iterationIS3_Lb0EPyS8_PS5_S9_mNS0_19identity_decomposerENS1_16block_id_wrapperIjLb1EEEEE10hipError_tT1_PNSt15iterator_traitsISE_E10value_typeET2_T3_PNSF_ISK_E10value_typeET4_T5_PSP_SQ_PNS1_23onesweep_lookback_stateEbbT6_jjT7_P12ihipStream_tbENKUlT_T0_SE_SJ_E_clIS8_S8_S9_S9_EEDaSX_SY_SE_SJ_EUlSX_E_NS1_11comp_targetILNS1_3genE2ELNS1_11target_archE906ELNS1_3gpuE6ELNS1_3repE0EEENS1_47radix_sort_onesweep_sort_config_static_selectorELNS0_4arch9wavefront6targetE1EEEvSE_ ; -- Begin function _ZN7rocprim17ROCPRIM_400000_NS6detail17trampoline_kernelINS0_14default_configENS1_35radix_sort_onesweep_config_selectorIyNS0_10empty_typeEEEZZNS1_29radix_sort_onesweep_iterationIS3_Lb0EPyS8_PS5_S9_mNS0_19identity_decomposerENS1_16block_id_wrapperIjLb1EEEEE10hipError_tT1_PNSt15iterator_traitsISE_E10value_typeET2_T3_PNSF_ISK_E10value_typeET4_T5_PSP_SQ_PNS1_23onesweep_lookback_stateEbbT6_jjT7_P12ihipStream_tbENKUlT_T0_SE_SJ_E_clIS8_S8_S9_S9_EEDaSX_SY_SE_SJ_EUlSX_E_NS1_11comp_targetILNS1_3genE2ELNS1_11target_archE906ELNS1_3gpuE6ELNS1_3repE0EEENS1_47radix_sort_onesweep_sort_config_static_selectorELNS0_4arch9wavefront6targetE1EEEvSE_
	.globl	_ZN7rocprim17ROCPRIM_400000_NS6detail17trampoline_kernelINS0_14default_configENS1_35radix_sort_onesweep_config_selectorIyNS0_10empty_typeEEEZZNS1_29radix_sort_onesweep_iterationIS3_Lb0EPyS8_PS5_S9_mNS0_19identity_decomposerENS1_16block_id_wrapperIjLb1EEEEE10hipError_tT1_PNSt15iterator_traitsISE_E10value_typeET2_T3_PNSF_ISK_E10value_typeET4_T5_PSP_SQ_PNS1_23onesweep_lookback_stateEbbT6_jjT7_P12ihipStream_tbENKUlT_T0_SE_SJ_E_clIS8_S8_S9_S9_EEDaSX_SY_SE_SJ_EUlSX_E_NS1_11comp_targetILNS1_3genE2ELNS1_11target_archE906ELNS1_3gpuE6ELNS1_3repE0EEENS1_47radix_sort_onesweep_sort_config_static_selectorELNS0_4arch9wavefront6targetE1EEEvSE_
	.p2align	8
	.type	_ZN7rocprim17ROCPRIM_400000_NS6detail17trampoline_kernelINS0_14default_configENS1_35radix_sort_onesweep_config_selectorIyNS0_10empty_typeEEEZZNS1_29radix_sort_onesweep_iterationIS3_Lb0EPyS8_PS5_S9_mNS0_19identity_decomposerENS1_16block_id_wrapperIjLb1EEEEE10hipError_tT1_PNSt15iterator_traitsISE_E10value_typeET2_T3_PNSF_ISK_E10value_typeET4_T5_PSP_SQ_PNS1_23onesweep_lookback_stateEbbT6_jjT7_P12ihipStream_tbENKUlT_T0_SE_SJ_E_clIS8_S8_S9_S9_EEDaSX_SY_SE_SJ_EUlSX_E_NS1_11comp_targetILNS1_3genE2ELNS1_11target_archE906ELNS1_3gpuE6ELNS1_3repE0EEENS1_47radix_sort_onesweep_sort_config_static_selectorELNS0_4arch9wavefront6targetE1EEEvSE_,@function
_ZN7rocprim17ROCPRIM_400000_NS6detail17trampoline_kernelINS0_14default_configENS1_35radix_sort_onesweep_config_selectorIyNS0_10empty_typeEEEZZNS1_29radix_sort_onesweep_iterationIS3_Lb0EPyS8_PS5_S9_mNS0_19identity_decomposerENS1_16block_id_wrapperIjLb1EEEEE10hipError_tT1_PNSt15iterator_traitsISE_E10value_typeET2_T3_PNSF_ISK_E10value_typeET4_T5_PSP_SQ_PNS1_23onesweep_lookback_stateEbbT6_jjT7_P12ihipStream_tbENKUlT_T0_SE_SJ_E_clIS8_S8_S9_S9_EEDaSX_SY_SE_SJ_EUlSX_E_NS1_11comp_targetILNS1_3genE2ELNS1_11target_archE906ELNS1_3gpuE6ELNS1_3repE0EEENS1_47radix_sort_onesweep_sort_config_static_selectorELNS0_4arch9wavefront6targetE1EEEvSE_: ; @_ZN7rocprim17ROCPRIM_400000_NS6detail17trampoline_kernelINS0_14default_configENS1_35radix_sort_onesweep_config_selectorIyNS0_10empty_typeEEEZZNS1_29radix_sort_onesweep_iterationIS3_Lb0EPyS8_PS5_S9_mNS0_19identity_decomposerENS1_16block_id_wrapperIjLb1EEEEE10hipError_tT1_PNSt15iterator_traitsISE_E10value_typeET2_T3_PNSF_ISK_E10value_typeET4_T5_PSP_SQ_PNS1_23onesweep_lookback_stateEbbT6_jjT7_P12ihipStream_tbENKUlT_T0_SE_SJ_E_clIS8_S8_S9_S9_EEDaSX_SY_SE_SJ_EUlSX_E_NS1_11comp_targetILNS1_3genE2ELNS1_11target_archE906ELNS1_3gpuE6ELNS1_3repE0EEENS1_47radix_sort_onesweep_sort_config_static_selectorELNS0_4arch9wavefront6targetE1EEEvSE_
; %bb.0:
	.section	.rodata,"a",@progbits
	.p2align	6, 0x0
	.amdhsa_kernel _ZN7rocprim17ROCPRIM_400000_NS6detail17trampoline_kernelINS0_14default_configENS1_35radix_sort_onesweep_config_selectorIyNS0_10empty_typeEEEZZNS1_29radix_sort_onesweep_iterationIS3_Lb0EPyS8_PS5_S9_mNS0_19identity_decomposerENS1_16block_id_wrapperIjLb1EEEEE10hipError_tT1_PNSt15iterator_traitsISE_E10value_typeET2_T3_PNSF_ISK_E10value_typeET4_T5_PSP_SQ_PNS1_23onesweep_lookback_stateEbbT6_jjT7_P12ihipStream_tbENKUlT_T0_SE_SJ_E_clIS8_S8_S9_S9_EEDaSX_SY_SE_SJ_EUlSX_E_NS1_11comp_targetILNS1_3genE2ELNS1_11target_archE906ELNS1_3gpuE6ELNS1_3repE0EEENS1_47radix_sort_onesweep_sort_config_static_selectorELNS0_4arch9wavefront6targetE1EEEvSE_
		.amdhsa_group_segment_fixed_size 0
		.amdhsa_private_segment_fixed_size 0
		.amdhsa_kernarg_size 88
		.amdhsa_user_sgpr_count 6
		.amdhsa_user_sgpr_private_segment_buffer 1
		.amdhsa_user_sgpr_dispatch_ptr 0
		.amdhsa_user_sgpr_queue_ptr 0
		.amdhsa_user_sgpr_kernarg_segment_ptr 1
		.amdhsa_user_sgpr_dispatch_id 0
		.amdhsa_user_sgpr_flat_scratch_init 0
		.amdhsa_user_sgpr_kernarg_preload_length 0
		.amdhsa_user_sgpr_kernarg_preload_offset 0
		.amdhsa_user_sgpr_private_segment_size 0
		.amdhsa_uses_dynamic_stack 0
		.amdhsa_system_sgpr_private_segment_wavefront_offset 0
		.amdhsa_system_sgpr_workgroup_id_x 1
		.amdhsa_system_sgpr_workgroup_id_y 0
		.amdhsa_system_sgpr_workgroup_id_z 0
		.amdhsa_system_sgpr_workgroup_info 0
		.amdhsa_system_vgpr_workitem_id 0
		.amdhsa_next_free_vgpr 1
		.amdhsa_next_free_sgpr 0
		.amdhsa_accum_offset 4
		.amdhsa_reserve_vcc 0
		.amdhsa_reserve_flat_scratch 0
		.amdhsa_float_round_mode_32 0
		.amdhsa_float_round_mode_16_64 0
		.amdhsa_float_denorm_mode_32 3
		.amdhsa_float_denorm_mode_16_64 3
		.amdhsa_dx10_clamp 1
		.amdhsa_ieee_mode 1
		.amdhsa_fp16_overflow 0
		.amdhsa_tg_split 0
		.amdhsa_exception_fp_ieee_invalid_op 0
		.amdhsa_exception_fp_denorm_src 0
		.amdhsa_exception_fp_ieee_div_zero 0
		.amdhsa_exception_fp_ieee_overflow 0
		.amdhsa_exception_fp_ieee_underflow 0
		.amdhsa_exception_fp_ieee_inexact 0
		.amdhsa_exception_int_div_zero 0
	.end_amdhsa_kernel
	.section	.text._ZN7rocprim17ROCPRIM_400000_NS6detail17trampoline_kernelINS0_14default_configENS1_35radix_sort_onesweep_config_selectorIyNS0_10empty_typeEEEZZNS1_29radix_sort_onesweep_iterationIS3_Lb0EPyS8_PS5_S9_mNS0_19identity_decomposerENS1_16block_id_wrapperIjLb1EEEEE10hipError_tT1_PNSt15iterator_traitsISE_E10value_typeET2_T3_PNSF_ISK_E10value_typeET4_T5_PSP_SQ_PNS1_23onesweep_lookback_stateEbbT6_jjT7_P12ihipStream_tbENKUlT_T0_SE_SJ_E_clIS8_S8_S9_S9_EEDaSX_SY_SE_SJ_EUlSX_E_NS1_11comp_targetILNS1_3genE2ELNS1_11target_archE906ELNS1_3gpuE6ELNS1_3repE0EEENS1_47radix_sort_onesweep_sort_config_static_selectorELNS0_4arch9wavefront6targetE1EEEvSE_,"axG",@progbits,_ZN7rocprim17ROCPRIM_400000_NS6detail17trampoline_kernelINS0_14default_configENS1_35radix_sort_onesweep_config_selectorIyNS0_10empty_typeEEEZZNS1_29radix_sort_onesweep_iterationIS3_Lb0EPyS8_PS5_S9_mNS0_19identity_decomposerENS1_16block_id_wrapperIjLb1EEEEE10hipError_tT1_PNSt15iterator_traitsISE_E10value_typeET2_T3_PNSF_ISK_E10value_typeET4_T5_PSP_SQ_PNS1_23onesweep_lookback_stateEbbT6_jjT7_P12ihipStream_tbENKUlT_T0_SE_SJ_E_clIS8_S8_S9_S9_EEDaSX_SY_SE_SJ_EUlSX_E_NS1_11comp_targetILNS1_3genE2ELNS1_11target_archE906ELNS1_3gpuE6ELNS1_3repE0EEENS1_47radix_sort_onesweep_sort_config_static_selectorELNS0_4arch9wavefront6targetE1EEEvSE_,comdat
.Lfunc_end1203:
	.size	_ZN7rocprim17ROCPRIM_400000_NS6detail17trampoline_kernelINS0_14default_configENS1_35radix_sort_onesweep_config_selectorIyNS0_10empty_typeEEEZZNS1_29radix_sort_onesweep_iterationIS3_Lb0EPyS8_PS5_S9_mNS0_19identity_decomposerENS1_16block_id_wrapperIjLb1EEEEE10hipError_tT1_PNSt15iterator_traitsISE_E10value_typeET2_T3_PNSF_ISK_E10value_typeET4_T5_PSP_SQ_PNS1_23onesweep_lookback_stateEbbT6_jjT7_P12ihipStream_tbENKUlT_T0_SE_SJ_E_clIS8_S8_S9_S9_EEDaSX_SY_SE_SJ_EUlSX_E_NS1_11comp_targetILNS1_3genE2ELNS1_11target_archE906ELNS1_3gpuE6ELNS1_3repE0EEENS1_47radix_sort_onesweep_sort_config_static_selectorELNS0_4arch9wavefront6targetE1EEEvSE_, .Lfunc_end1203-_ZN7rocprim17ROCPRIM_400000_NS6detail17trampoline_kernelINS0_14default_configENS1_35radix_sort_onesweep_config_selectorIyNS0_10empty_typeEEEZZNS1_29radix_sort_onesweep_iterationIS3_Lb0EPyS8_PS5_S9_mNS0_19identity_decomposerENS1_16block_id_wrapperIjLb1EEEEE10hipError_tT1_PNSt15iterator_traitsISE_E10value_typeET2_T3_PNSF_ISK_E10value_typeET4_T5_PSP_SQ_PNS1_23onesweep_lookback_stateEbbT6_jjT7_P12ihipStream_tbENKUlT_T0_SE_SJ_E_clIS8_S8_S9_S9_EEDaSX_SY_SE_SJ_EUlSX_E_NS1_11comp_targetILNS1_3genE2ELNS1_11target_archE906ELNS1_3gpuE6ELNS1_3repE0EEENS1_47radix_sort_onesweep_sort_config_static_selectorELNS0_4arch9wavefront6targetE1EEEvSE_
                                        ; -- End function
	.section	.AMDGPU.csdata,"",@progbits
; Kernel info:
; codeLenInByte = 0
; NumSgprs: 4
; NumVgprs: 0
; NumAgprs: 0
; TotalNumVgprs: 0
; ScratchSize: 0
; MemoryBound: 0
; FloatMode: 240
; IeeeMode: 1
; LDSByteSize: 0 bytes/workgroup (compile time only)
; SGPRBlocks: 0
; VGPRBlocks: 0
; NumSGPRsForWavesPerEU: 4
; NumVGPRsForWavesPerEU: 1
; AccumOffset: 4
; Occupancy: 8
; WaveLimiterHint : 0
; COMPUTE_PGM_RSRC2:SCRATCH_EN: 0
; COMPUTE_PGM_RSRC2:USER_SGPR: 6
; COMPUTE_PGM_RSRC2:TRAP_HANDLER: 0
; COMPUTE_PGM_RSRC2:TGID_X_EN: 1
; COMPUTE_PGM_RSRC2:TGID_Y_EN: 0
; COMPUTE_PGM_RSRC2:TGID_Z_EN: 0
; COMPUTE_PGM_RSRC2:TIDIG_COMP_CNT: 0
; COMPUTE_PGM_RSRC3_GFX90A:ACCUM_OFFSET: 0
; COMPUTE_PGM_RSRC3_GFX90A:TG_SPLIT: 0
	.section	.text._ZN7rocprim17ROCPRIM_400000_NS6detail17trampoline_kernelINS0_14default_configENS1_35radix_sort_onesweep_config_selectorIyNS0_10empty_typeEEEZZNS1_29radix_sort_onesweep_iterationIS3_Lb0EPyS8_PS5_S9_mNS0_19identity_decomposerENS1_16block_id_wrapperIjLb1EEEEE10hipError_tT1_PNSt15iterator_traitsISE_E10value_typeET2_T3_PNSF_ISK_E10value_typeET4_T5_PSP_SQ_PNS1_23onesweep_lookback_stateEbbT6_jjT7_P12ihipStream_tbENKUlT_T0_SE_SJ_E_clIS8_S8_S9_S9_EEDaSX_SY_SE_SJ_EUlSX_E_NS1_11comp_targetILNS1_3genE4ELNS1_11target_archE910ELNS1_3gpuE8ELNS1_3repE0EEENS1_47radix_sort_onesweep_sort_config_static_selectorELNS0_4arch9wavefront6targetE1EEEvSE_,"axG",@progbits,_ZN7rocprim17ROCPRIM_400000_NS6detail17trampoline_kernelINS0_14default_configENS1_35radix_sort_onesweep_config_selectorIyNS0_10empty_typeEEEZZNS1_29radix_sort_onesweep_iterationIS3_Lb0EPyS8_PS5_S9_mNS0_19identity_decomposerENS1_16block_id_wrapperIjLb1EEEEE10hipError_tT1_PNSt15iterator_traitsISE_E10value_typeET2_T3_PNSF_ISK_E10value_typeET4_T5_PSP_SQ_PNS1_23onesweep_lookback_stateEbbT6_jjT7_P12ihipStream_tbENKUlT_T0_SE_SJ_E_clIS8_S8_S9_S9_EEDaSX_SY_SE_SJ_EUlSX_E_NS1_11comp_targetILNS1_3genE4ELNS1_11target_archE910ELNS1_3gpuE8ELNS1_3repE0EEENS1_47radix_sort_onesweep_sort_config_static_selectorELNS0_4arch9wavefront6targetE1EEEvSE_,comdat
	.protected	_ZN7rocprim17ROCPRIM_400000_NS6detail17trampoline_kernelINS0_14default_configENS1_35radix_sort_onesweep_config_selectorIyNS0_10empty_typeEEEZZNS1_29radix_sort_onesweep_iterationIS3_Lb0EPyS8_PS5_S9_mNS0_19identity_decomposerENS1_16block_id_wrapperIjLb1EEEEE10hipError_tT1_PNSt15iterator_traitsISE_E10value_typeET2_T3_PNSF_ISK_E10value_typeET4_T5_PSP_SQ_PNS1_23onesweep_lookback_stateEbbT6_jjT7_P12ihipStream_tbENKUlT_T0_SE_SJ_E_clIS8_S8_S9_S9_EEDaSX_SY_SE_SJ_EUlSX_E_NS1_11comp_targetILNS1_3genE4ELNS1_11target_archE910ELNS1_3gpuE8ELNS1_3repE0EEENS1_47radix_sort_onesweep_sort_config_static_selectorELNS0_4arch9wavefront6targetE1EEEvSE_ ; -- Begin function _ZN7rocprim17ROCPRIM_400000_NS6detail17trampoline_kernelINS0_14default_configENS1_35radix_sort_onesweep_config_selectorIyNS0_10empty_typeEEEZZNS1_29radix_sort_onesweep_iterationIS3_Lb0EPyS8_PS5_S9_mNS0_19identity_decomposerENS1_16block_id_wrapperIjLb1EEEEE10hipError_tT1_PNSt15iterator_traitsISE_E10value_typeET2_T3_PNSF_ISK_E10value_typeET4_T5_PSP_SQ_PNS1_23onesweep_lookback_stateEbbT6_jjT7_P12ihipStream_tbENKUlT_T0_SE_SJ_E_clIS8_S8_S9_S9_EEDaSX_SY_SE_SJ_EUlSX_E_NS1_11comp_targetILNS1_3genE4ELNS1_11target_archE910ELNS1_3gpuE8ELNS1_3repE0EEENS1_47radix_sort_onesweep_sort_config_static_selectorELNS0_4arch9wavefront6targetE1EEEvSE_
	.globl	_ZN7rocprim17ROCPRIM_400000_NS6detail17trampoline_kernelINS0_14default_configENS1_35radix_sort_onesweep_config_selectorIyNS0_10empty_typeEEEZZNS1_29radix_sort_onesweep_iterationIS3_Lb0EPyS8_PS5_S9_mNS0_19identity_decomposerENS1_16block_id_wrapperIjLb1EEEEE10hipError_tT1_PNSt15iterator_traitsISE_E10value_typeET2_T3_PNSF_ISK_E10value_typeET4_T5_PSP_SQ_PNS1_23onesweep_lookback_stateEbbT6_jjT7_P12ihipStream_tbENKUlT_T0_SE_SJ_E_clIS8_S8_S9_S9_EEDaSX_SY_SE_SJ_EUlSX_E_NS1_11comp_targetILNS1_3genE4ELNS1_11target_archE910ELNS1_3gpuE8ELNS1_3repE0EEENS1_47radix_sort_onesweep_sort_config_static_selectorELNS0_4arch9wavefront6targetE1EEEvSE_
	.p2align	8
	.type	_ZN7rocprim17ROCPRIM_400000_NS6detail17trampoline_kernelINS0_14default_configENS1_35radix_sort_onesweep_config_selectorIyNS0_10empty_typeEEEZZNS1_29radix_sort_onesweep_iterationIS3_Lb0EPyS8_PS5_S9_mNS0_19identity_decomposerENS1_16block_id_wrapperIjLb1EEEEE10hipError_tT1_PNSt15iterator_traitsISE_E10value_typeET2_T3_PNSF_ISK_E10value_typeET4_T5_PSP_SQ_PNS1_23onesweep_lookback_stateEbbT6_jjT7_P12ihipStream_tbENKUlT_T0_SE_SJ_E_clIS8_S8_S9_S9_EEDaSX_SY_SE_SJ_EUlSX_E_NS1_11comp_targetILNS1_3genE4ELNS1_11target_archE910ELNS1_3gpuE8ELNS1_3repE0EEENS1_47radix_sort_onesweep_sort_config_static_selectorELNS0_4arch9wavefront6targetE1EEEvSE_,@function
_ZN7rocprim17ROCPRIM_400000_NS6detail17trampoline_kernelINS0_14default_configENS1_35radix_sort_onesweep_config_selectorIyNS0_10empty_typeEEEZZNS1_29radix_sort_onesweep_iterationIS3_Lb0EPyS8_PS5_S9_mNS0_19identity_decomposerENS1_16block_id_wrapperIjLb1EEEEE10hipError_tT1_PNSt15iterator_traitsISE_E10value_typeET2_T3_PNSF_ISK_E10value_typeET4_T5_PSP_SQ_PNS1_23onesweep_lookback_stateEbbT6_jjT7_P12ihipStream_tbENKUlT_T0_SE_SJ_E_clIS8_S8_S9_S9_EEDaSX_SY_SE_SJ_EUlSX_E_NS1_11comp_targetILNS1_3genE4ELNS1_11target_archE910ELNS1_3gpuE8ELNS1_3repE0EEENS1_47radix_sort_onesweep_sort_config_static_selectorELNS0_4arch9wavefront6targetE1EEEvSE_: ; @_ZN7rocprim17ROCPRIM_400000_NS6detail17trampoline_kernelINS0_14default_configENS1_35radix_sort_onesweep_config_selectorIyNS0_10empty_typeEEEZZNS1_29radix_sort_onesweep_iterationIS3_Lb0EPyS8_PS5_S9_mNS0_19identity_decomposerENS1_16block_id_wrapperIjLb1EEEEE10hipError_tT1_PNSt15iterator_traitsISE_E10value_typeET2_T3_PNSF_ISK_E10value_typeET4_T5_PSP_SQ_PNS1_23onesweep_lookback_stateEbbT6_jjT7_P12ihipStream_tbENKUlT_T0_SE_SJ_E_clIS8_S8_S9_S9_EEDaSX_SY_SE_SJ_EUlSX_E_NS1_11comp_targetILNS1_3genE4ELNS1_11target_archE910ELNS1_3gpuE8ELNS1_3repE0EEENS1_47radix_sort_onesweep_sort_config_static_selectorELNS0_4arch9wavefront6targetE1EEEvSE_
; %bb.0:
	s_load_dwordx4 s[16:19], s[4:5], 0x28
	s_load_dwordx2 s[14:15], s[4:5], 0x38
	s_load_dwordx4 s[20:23], s[4:5], 0x44
	v_and_b32_e32 v2, 0x3ff, v0
	v_cmp_eq_u32_e64 s[0:1], 0, v2
	s_and_saveexec_b64 s[2:3], s[0:1]
	s_cbranch_execz .LBB1204_4
; %bb.1:
	s_mov_b64 s[10:11], exec
	v_mbcnt_lo_u32_b32 v1, s10, 0
	v_mbcnt_hi_u32_b32 v1, s11, v1
	v_cmp_eq_u32_e32 vcc, 0, v1
                                        ; implicit-def: $vgpr3
	s_and_saveexec_b64 s[8:9], vcc
	s_cbranch_execz .LBB1204_3
; %bb.2:
	s_load_dwordx2 s[12:13], s[4:5], 0x50
	s_bcnt1_i32_b64 s7, s[10:11]
	v_mov_b32_e32 v3, 0
	v_mov_b32_e32 v4, s7
	s_waitcnt lgkmcnt(0)
	global_atomic_add v3, v3, v4, s[12:13] glc
.LBB1204_3:
	s_or_b64 exec, exec, s[8:9]
	s_waitcnt vmcnt(0)
	v_readfirstlane_b32 s7, v3
	v_add_u32_e32 v1, s7, v1
	v_mov_b32_e32 v3, 0
	ds_write_b32 v3, v1 offset:20544
.LBB1204_4:
	s_or_b64 exec, exec, s[2:3]
	v_mov_b32_e32 v1, 0
	s_load_dwordx4 s[24:27], s[4:5], 0x0
	s_load_dword s2, s[4:5], 0x20
	s_waitcnt lgkmcnt(0)
	s_barrier
	ds_read_b32 v1, v1 offset:20544
	v_mbcnt_lo_u32_b32 v29, -1, 0
	v_lshlrev_b32_e32 v28, 3, v2
	s_waitcnt lgkmcnt(0)
	s_barrier
	v_cmp_le_u32_e32 vcc, s22, v1
	v_readfirstlane_b32 s28, v1
	s_cbranch_vccz .LBB1204_65
; %bb.5:
	s_lshl_b32 s3, s22, 13
	s_sub_i32 s7, s2, s3
	s_lshl_b32 s2, s28, 13
	s_mov_b32 s3, 0
	s_lshl_b64 s[2:3], s[2:3], 3
	v_mbcnt_hi_u32_b32 v1, -1, v29
	s_add_u32 s2, s24, s2
	v_and_b32_e32 v3, 63, v1
	s_addc_u32 s3, s25, s3
	v_lshlrev_b32_e32 v5, 3, v3
	v_and_b32_e32 v4, 0x1e00, v28
	v_mov_b32_e32 v6, s3
	v_add_co_u32_e32 v5, vcc, s2, v5
	v_addc_co_u32_e32 v6, vcc, 0, v6, vcc
	v_lshlrev_b32_e32 v7, 3, v4
	v_add_co_u32_e32 v20, vcc, v5, v7
	v_addc_co_u32_e32 v21, vcc, 0, v6, vcc
	v_or_b32_e32 v3, v3, v4
	v_pk_mov_b32 v[4:5], -1, -1
	v_cmp_gt_u32_e32 vcc, s7, v3
	v_pk_mov_b32 v[6:7], v[4:5], v[4:5] op_sel:[0,1]
	s_and_saveexec_b64 s[2:3], vcc
	s_cbranch_execz .LBB1204_7
; %bb.6:
	global_load_dwordx2 v[6:7], v[20:21], off
.LBB1204_7:
	s_or_b64 exec, exec, s[2:3]
	v_or_b32_e32 v8, 64, v3
	v_cmp_gt_u32_e32 vcc, s7, v8
	s_and_saveexec_b64 s[2:3], vcc
	s_cbranch_execz .LBB1204_9
; %bb.8:
	global_load_dwordx2 v[4:5], v[20:21], off offset:512
.LBB1204_9:
	s_or_b64 exec, exec, s[2:3]
	v_or_b32_e32 v8, 0x80, v3
	v_cmp_gt_u32_e32 vcc, s7, v8
	v_pk_mov_b32 v[8:9], -1, -1
	v_pk_mov_b32 v[10:11], v[8:9], v[8:9] op_sel:[0,1]
	s_and_saveexec_b64 s[2:3], vcc
	s_cbranch_execz .LBB1204_11
; %bb.10:
	global_load_dwordx2 v[10:11], v[20:21], off offset:1024
.LBB1204_11:
	s_or_b64 exec, exec, s[2:3]
	v_or_b32_e32 v12, 0xc0, v3
	v_cmp_gt_u32_e32 vcc, s7, v12
	s_and_saveexec_b64 s[2:3], vcc
	s_cbranch_execz .LBB1204_13
; %bb.12:
	global_load_dwordx2 v[8:9], v[20:21], off offset:1536
.LBB1204_13:
	s_or_b64 exec, exec, s[2:3]
	v_or_b32_e32 v12, 0x100, v3
	v_cmp_gt_u32_e32 vcc, s7, v12
	v_pk_mov_b32 v[12:13], -1, -1
	v_pk_mov_b32 v[14:15], v[12:13], v[12:13] op_sel:[0,1]
	s_and_saveexec_b64 s[2:3], vcc
	s_cbranch_execz .LBB1204_15
; %bb.14:
	global_load_dwordx2 v[14:15], v[20:21], off offset:2048
.LBB1204_15:
	;; [unrolled: 18-line block ×3, first 2 shown]
	s_or_b64 exec, exec, s[2:3]
	v_or_b32_e32 v3, 0x1c0, v3
	v_cmp_gt_u32_e32 vcc, s7, v3
	s_and_saveexec_b64 s[2:3], vcc
	s_cbranch_execz .LBB1204_21
; %bb.20:
	global_load_dwordx2 v[16:17], v[20:21], off offset:3584
.LBB1204_21:
	s_or_b64 exec, exec, s[2:3]
	s_load_dword s2, s[4:5], 0x64
	s_load_dword s29, s[4:5], 0x58
	s_add_u32 s3, s4, 0x58
	s_addc_u32 s8, s5, 0
	v_mov_b32_e32 v20, 0
	s_waitcnt lgkmcnt(0)
	s_lshr_b32 s9, s2, 16
	s_cmp_lt_u32 s6, s29
	s_cselect_b32 s2, 12, 18
	s_add_u32 s2, s3, s2
	s_addc_u32 s3, s8, 0
	global_load_ushort v24, v20, s[2:3]
	s_lshl_b32 s2, -1, s21
	s_waitcnt vmcnt(1)
	v_lshrrev_b64 v[22:23], s20, v[6:7]
	s_not_b32 s30, s2
	v_and_b32_e32 v22, s30, v22
	v_and_b32_e32 v26, 1, v22
	v_bfe_u32 v21, v0, 10, 10
	v_bfe_u32 v25, v0, 20, 10
	v_add_co_u32_e32 v27, vcc, -1, v26
	v_mad_u32_u24 v23, v25, s9, v21
	v_lshlrev_b32_e32 v21, 30, v22
	v_addc_co_u32_e64 v30, s[2:3], 0, -1, vcc
	v_cmp_ne_u32_e32 vcc, 0, v26
	v_cmp_gt_i64_e64 s[2:3], 0, v[20:21]
	v_not_b32_e32 v26, v21
	v_lshlrev_b32_e32 v21, 29, v22
	v_xor_b32_e32 v30, vcc_hi, v30
	v_xor_b32_e32 v27, vcc_lo, v27
	v_ashrrev_i32_e32 v26, 31, v26
	v_cmp_gt_i64_e32 vcc, 0, v[20:21]
	v_not_b32_e32 v31, v21
	v_lshlrev_b32_e32 v21, 28, v22
	v_and_b32_e32 v30, exec_hi, v30
	v_and_b32_e32 v27, exec_lo, v27
	v_xor_b32_e32 v32, s3, v26
	v_xor_b32_e32 v26, s2, v26
	v_ashrrev_i32_e32 v31, 31, v31
	v_cmp_gt_i64_e64 s[2:3], 0, v[20:21]
	v_not_b32_e32 v33, v21
	v_lshlrev_b32_e32 v21, 27, v22
	v_and_b32_e32 v30, v30, v32
	v_and_b32_e32 v26, v27, v26
	v_xor_b32_e32 v27, vcc_hi, v31
	v_xor_b32_e32 v31, vcc_lo, v31
	v_ashrrev_i32_e32 v32, 31, v33
	v_cmp_gt_i64_e32 vcc, 0, v[20:21]
	v_not_b32_e32 v33, v21
	v_lshlrev_b32_e32 v21, 26, v22
	v_and_b32_e32 v27, v30, v27
	v_and_b32_e32 v26, v26, v31
	v_xor_b32_e32 v30, s3, v32
	v_xor_b32_e32 v31, s2, v32
	v_ashrrev_i32_e32 v32, 31, v33
	v_cmp_gt_i64_e64 s[2:3], 0, v[20:21]
	v_not_b32_e32 v33, v21
	v_lshlrev_b32_e32 v21, 25, v22
	v_and_b32_e32 v27, v27, v30
	v_and_b32_e32 v26, v26, v31
	v_xor_b32_e32 v30, vcc_hi, v32
	v_xor_b32_e32 v31, vcc_lo, v32
	v_ashrrev_i32_e32 v32, 31, v33
	v_not_b32_e32 v33, v21
	v_mul_u32_u24_e32 v3, 5, v2
	v_lshl_add_u32 v25, v22, 4, v22
	v_cmp_gt_i64_e32 vcc, 0, v[20:21]
	v_lshlrev_b32_e32 v21, 24, v22
	v_and_b32_e32 v22, v27, v30
	v_and_b32_e32 v26, v26, v31
	v_xor_b32_e32 v27, s3, v32
	v_ashrrev_i32_e32 v31, 31, v33
	v_lshlrev_b32_e32 v3, 2, v3
	v_xor_b32_e32 v30, s2, v32
	v_cmp_gt_i64_e64 s[2:3], 0, v[20:21]
	v_not_b32_e32 v21, v21
	v_and_b32_e32 v22, v22, v27
	v_xor_b32_e32 v27, vcc_hi, v31
	v_and_b32_e32 v26, v26, v30
	v_xor_b32_e32 v30, vcc_lo, v31
	v_ashrrev_i32_e32 v21, 31, v21
	v_and_b32_e32 v31, v22, v27
	v_and_b32_e32 v26, v26, v30
	ds_write2_b32 v3, v20, v20 offset0:16 offset1:17
	ds_write2_b32 v3, v20, v20 offset0:18 offset1:19
	ds_write_b32 v3, v20 offset:80
	s_waitcnt lgkmcnt(0)
	s_barrier
	s_waitcnt lgkmcnt(0)
	; wave barrier
	s_waitcnt vmcnt(0)
	v_mad_u64_u32 v[22:23], s[8:9], v23, v24, v[2:3]
	v_lshrrev_b32_e32 v27, 6, v22
	v_xor_b32_e32 v22, s3, v21
	v_xor_b32_e32 v21, s2, v21
	v_and_b32_e32 v23, v31, v22
	v_and_b32_e32 v22, v26, v21
	v_mbcnt_lo_u32_b32 v21, v22, 0
	v_mbcnt_hi_u32_b32 v30, v23, v21
	v_cmp_eq_u32_e32 vcc, 0, v30
	v_cmp_ne_u64_e64 s[2:3], 0, v[22:23]
	v_add_lshl_u32 v24, v27, v25, 2
	s_and_b64 s[8:9], s[2:3], vcc
	s_and_saveexec_b64 s[2:3], s[8:9]
	s_cbranch_execz .LBB1204_23
; %bb.22:
	v_bcnt_u32_b32 v21, v22, 0
	v_bcnt_u32_b32 v21, v23, v21
	ds_write_b32 v24, v21 offset:64
.LBB1204_23:
	s_or_b64 exec, exec, s[2:3]
	v_lshrrev_b64 v[22:23], s20, v[4:5]
	v_and_b32_e32 v22, s30, v22
	v_lshl_add_u32 v21, v22, 4, v22
	v_add_lshl_u32 v25, v27, v21, 2
	v_and_b32_e32 v21, 1, v22
	v_add_co_u32_e32 v23, vcc, -1, v21
	v_addc_co_u32_e64 v26, s[2:3], 0, -1, vcc
	v_cmp_ne_u32_e32 vcc, 0, v21
	v_xor_b32_e32 v21, vcc_hi, v26
	v_and_b32_e32 v26, exec_hi, v21
	v_lshlrev_b32_e32 v21, 30, v22
	v_xor_b32_e32 v23, vcc_lo, v23
	v_cmp_gt_i64_e32 vcc, 0, v[20:21]
	v_not_b32_e32 v21, v21
	v_ashrrev_i32_e32 v21, 31, v21
	v_and_b32_e32 v23, exec_lo, v23
	v_xor_b32_e32 v32, vcc_hi, v21
	v_xor_b32_e32 v21, vcc_lo, v21
	v_and_b32_e32 v23, v23, v21
	v_lshlrev_b32_e32 v21, 29, v22
	v_cmp_gt_i64_e32 vcc, 0, v[20:21]
	v_not_b32_e32 v21, v21
	v_ashrrev_i32_e32 v21, 31, v21
	v_and_b32_e32 v26, v26, v32
	v_xor_b32_e32 v32, vcc_hi, v21
	v_xor_b32_e32 v21, vcc_lo, v21
	v_and_b32_e32 v23, v23, v21
	v_lshlrev_b32_e32 v21, 28, v22
	v_cmp_gt_i64_e32 vcc, 0, v[20:21]
	v_not_b32_e32 v21, v21
	v_ashrrev_i32_e32 v21, 31, v21
	v_and_b32_e32 v26, v26, v32
	;; [unrolled: 8-line block ×5, first 2 shown]
	v_xor_b32_e32 v32, vcc_hi, v21
	v_xor_b32_e32 v21, vcc_lo, v21
	v_and_b32_e32 v23, v23, v21
	v_lshlrev_b32_e32 v21, 24, v22
	v_cmp_gt_i64_e32 vcc, 0, v[20:21]
	v_not_b32_e32 v20, v21
	v_ashrrev_i32_e32 v20, 31, v20
	v_xor_b32_e32 v21, vcc_hi, v20
	v_xor_b32_e32 v20, vcc_lo, v20
	; wave barrier
	ds_read_b32 v31, v25 offset:64
	v_and_b32_e32 v26, v26, v32
	v_and_b32_e32 v20, v23, v20
	;; [unrolled: 1-line block ×3, first 2 shown]
	v_mbcnt_lo_u32_b32 v22, v20, 0
	v_mbcnt_hi_u32_b32 v32, v21, v22
	v_cmp_eq_u32_e32 vcc, 0, v32
	v_cmp_ne_u64_e64 s[2:3], 0, v[20:21]
	s_and_b64 s[8:9], s[2:3], vcc
	; wave barrier
	s_and_saveexec_b64 s[2:3], s[8:9]
	s_cbranch_execz .LBB1204_25
; %bb.24:
	v_bcnt_u32_b32 v20, v20, 0
	v_bcnt_u32_b32 v20, v21, v20
	s_waitcnt lgkmcnt(0)
	v_add_u32_e32 v20, v31, v20
	ds_write_b32 v25, v20 offset:64
.LBB1204_25:
	s_or_b64 exec, exec, s[2:3]
	v_lshrrev_b64 v[20:21], s20, v[10:11]
	v_and_b32_e32 v22, s30, v20
	v_and_b32_e32 v21, 1, v22
	v_add_co_u32_e32 v23, vcc, -1, v21
	v_addc_co_u32_e64 v34, s[2:3], 0, -1, vcc
	v_cmp_ne_u32_e32 vcc, 0, v21
	v_lshl_add_u32 v20, v22, 4, v22
	v_xor_b32_e32 v21, vcc_hi, v34
	v_add_lshl_u32 v26, v27, v20, 2
	v_mov_b32_e32 v20, 0
	v_and_b32_e32 v34, exec_hi, v21
	v_lshlrev_b32_e32 v21, 30, v22
	v_xor_b32_e32 v23, vcc_lo, v23
	v_cmp_gt_i64_e32 vcc, 0, v[20:21]
	v_not_b32_e32 v21, v21
	v_ashrrev_i32_e32 v21, 31, v21
	v_and_b32_e32 v23, exec_lo, v23
	v_xor_b32_e32 v35, vcc_hi, v21
	v_xor_b32_e32 v21, vcc_lo, v21
	v_and_b32_e32 v23, v23, v21
	v_lshlrev_b32_e32 v21, 29, v22
	v_cmp_gt_i64_e32 vcc, 0, v[20:21]
	v_not_b32_e32 v21, v21
	v_ashrrev_i32_e32 v21, 31, v21
	v_and_b32_e32 v34, v34, v35
	v_xor_b32_e32 v35, vcc_hi, v21
	v_xor_b32_e32 v21, vcc_lo, v21
	v_and_b32_e32 v23, v23, v21
	v_lshlrev_b32_e32 v21, 28, v22
	v_cmp_gt_i64_e32 vcc, 0, v[20:21]
	v_not_b32_e32 v21, v21
	v_ashrrev_i32_e32 v21, 31, v21
	v_and_b32_e32 v34, v34, v35
	;; [unrolled: 8-line block ×5, first 2 shown]
	v_xor_b32_e32 v35, vcc_hi, v21
	v_xor_b32_e32 v21, vcc_lo, v21
	v_and_b32_e32 v34, v34, v35
	v_and_b32_e32 v35, v23, v21
	v_lshlrev_b32_e32 v21, 24, v22
	v_cmp_gt_i64_e32 vcc, 0, v[20:21]
	v_not_b32_e32 v21, v21
	v_ashrrev_i32_e32 v21, 31, v21
	v_xor_b32_e32 v22, vcc_hi, v21
	v_xor_b32_e32 v21, vcc_lo, v21
	; wave barrier
	ds_read_b32 v33, v26 offset:64
	v_and_b32_e32 v23, v34, v22
	v_and_b32_e32 v22, v35, v21
	v_mbcnt_lo_u32_b32 v21, v22, 0
	v_mbcnt_hi_u32_b32 v34, v23, v21
	v_cmp_eq_u32_e32 vcc, 0, v34
	v_cmp_ne_u64_e64 s[2:3], 0, v[22:23]
	s_and_b64 s[8:9], s[2:3], vcc
	; wave barrier
	s_and_saveexec_b64 s[2:3], s[8:9]
	s_cbranch_execz .LBB1204_27
; %bb.26:
	v_bcnt_u32_b32 v21, v22, 0
	v_bcnt_u32_b32 v21, v23, v21
	s_waitcnt lgkmcnt(0)
	v_add_u32_e32 v21, v33, v21
	ds_write_b32 v26, v21 offset:64
.LBB1204_27:
	s_or_b64 exec, exec, s[2:3]
	v_lshrrev_b64 v[22:23], s20, v[8:9]
	v_and_b32_e32 v22, s30, v22
	v_lshl_add_u32 v21, v22, 4, v22
	v_add_lshl_u32 v39, v27, v21, 2
	v_and_b32_e32 v21, 1, v22
	v_add_co_u32_e32 v23, vcc, -1, v21
	v_addc_co_u32_e64 v36, s[2:3], 0, -1, vcc
	v_cmp_ne_u32_e32 vcc, 0, v21
	v_xor_b32_e32 v21, vcc_hi, v36
	v_and_b32_e32 v36, exec_hi, v21
	v_lshlrev_b32_e32 v21, 30, v22
	v_xor_b32_e32 v23, vcc_lo, v23
	v_cmp_gt_i64_e32 vcc, 0, v[20:21]
	v_not_b32_e32 v21, v21
	v_ashrrev_i32_e32 v21, 31, v21
	v_and_b32_e32 v23, exec_lo, v23
	v_xor_b32_e32 v37, vcc_hi, v21
	v_xor_b32_e32 v21, vcc_lo, v21
	v_and_b32_e32 v23, v23, v21
	v_lshlrev_b32_e32 v21, 29, v22
	v_cmp_gt_i64_e32 vcc, 0, v[20:21]
	v_not_b32_e32 v21, v21
	v_ashrrev_i32_e32 v21, 31, v21
	v_and_b32_e32 v36, v36, v37
	v_xor_b32_e32 v37, vcc_hi, v21
	v_xor_b32_e32 v21, vcc_lo, v21
	v_and_b32_e32 v23, v23, v21
	v_lshlrev_b32_e32 v21, 28, v22
	v_cmp_gt_i64_e32 vcc, 0, v[20:21]
	v_not_b32_e32 v21, v21
	v_ashrrev_i32_e32 v21, 31, v21
	v_and_b32_e32 v36, v36, v37
	;; [unrolled: 8-line block ×5, first 2 shown]
	v_xor_b32_e32 v37, vcc_hi, v21
	v_xor_b32_e32 v21, vcc_lo, v21
	v_and_b32_e32 v23, v23, v21
	v_lshlrev_b32_e32 v21, 24, v22
	v_cmp_gt_i64_e32 vcc, 0, v[20:21]
	v_not_b32_e32 v20, v21
	v_ashrrev_i32_e32 v20, 31, v20
	v_xor_b32_e32 v21, vcc_hi, v20
	v_xor_b32_e32 v20, vcc_lo, v20
	; wave barrier
	ds_read_b32 v35, v39 offset:64
	v_and_b32_e32 v36, v36, v37
	v_and_b32_e32 v20, v23, v20
	;; [unrolled: 1-line block ×3, first 2 shown]
	v_mbcnt_lo_u32_b32 v22, v20, 0
	v_mbcnt_hi_u32_b32 v36, v21, v22
	v_cmp_eq_u32_e32 vcc, 0, v36
	v_cmp_ne_u64_e64 s[2:3], 0, v[20:21]
	s_and_b64 s[8:9], s[2:3], vcc
	; wave barrier
	s_and_saveexec_b64 s[2:3], s[8:9]
	s_cbranch_execz .LBB1204_29
; %bb.28:
	v_bcnt_u32_b32 v20, v20, 0
	v_bcnt_u32_b32 v20, v21, v20
	s_waitcnt lgkmcnt(0)
	v_add_u32_e32 v20, v35, v20
	ds_write_b32 v39, v20 offset:64
.LBB1204_29:
	s_or_b64 exec, exec, s[2:3]
	v_lshrrev_b64 v[20:21], s20, v[14:15]
	v_and_b32_e32 v22, s30, v20
	v_and_b32_e32 v21, 1, v22
	v_add_co_u32_e32 v23, vcc, -1, v21
	v_addc_co_u32_e64 v38, s[2:3], 0, -1, vcc
	v_cmp_ne_u32_e32 vcc, 0, v21
	v_lshl_add_u32 v20, v22, 4, v22
	v_xor_b32_e32 v21, vcc_hi, v38
	v_add_lshl_u32 v42, v27, v20, 2
	v_mov_b32_e32 v20, 0
	v_and_b32_e32 v38, exec_hi, v21
	v_lshlrev_b32_e32 v21, 30, v22
	v_xor_b32_e32 v23, vcc_lo, v23
	v_cmp_gt_i64_e32 vcc, 0, v[20:21]
	v_not_b32_e32 v21, v21
	v_ashrrev_i32_e32 v21, 31, v21
	v_and_b32_e32 v23, exec_lo, v23
	v_xor_b32_e32 v40, vcc_hi, v21
	v_xor_b32_e32 v21, vcc_lo, v21
	v_and_b32_e32 v23, v23, v21
	v_lshlrev_b32_e32 v21, 29, v22
	v_cmp_gt_i64_e32 vcc, 0, v[20:21]
	v_not_b32_e32 v21, v21
	v_ashrrev_i32_e32 v21, 31, v21
	v_and_b32_e32 v38, v38, v40
	v_xor_b32_e32 v40, vcc_hi, v21
	v_xor_b32_e32 v21, vcc_lo, v21
	v_and_b32_e32 v23, v23, v21
	v_lshlrev_b32_e32 v21, 28, v22
	v_cmp_gt_i64_e32 vcc, 0, v[20:21]
	v_not_b32_e32 v21, v21
	v_ashrrev_i32_e32 v21, 31, v21
	v_and_b32_e32 v38, v38, v40
	;; [unrolled: 8-line block ×5, first 2 shown]
	v_xor_b32_e32 v40, vcc_hi, v21
	v_xor_b32_e32 v21, vcc_lo, v21
	v_and_b32_e32 v38, v38, v40
	v_and_b32_e32 v40, v23, v21
	v_lshlrev_b32_e32 v21, 24, v22
	v_cmp_gt_i64_e32 vcc, 0, v[20:21]
	v_not_b32_e32 v21, v21
	v_ashrrev_i32_e32 v21, 31, v21
	v_xor_b32_e32 v22, vcc_hi, v21
	v_xor_b32_e32 v21, vcc_lo, v21
	; wave barrier
	ds_read_b32 v37, v42 offset:64
	v_and_b32_e32 v23, v38, v22
	v_and_b32_e32 v22, v40, v21
	v_mbcnt_lo_u32_b32 v21, v22, 0
	v_mbcnt_hi_u32_b32 v38, v23, v21
	v_cmp_eq_u32_e32 vcc, 0, v38
	v_cmp_ne_u64_e64 s[2:3], 0, v[22:23]
	s_and_b64 s[8:9], s[2:3], vcc
	; wave barrier
	s_and_saveexec_b64 s[2:3], s[8:9]
	s_cbranch_execz .LBB1204_31
; %bb.30:
	v_bcnt_u32_b32 v21, v22, 0
	v_bcnt_u32_b32 v21, v23, v21
	s_waitcnt lgkmcnt(0)
	v_add_u32_e32 v21, v37, v21
	ds_write_b32 v42, v21 offset:64
.LBB1204_31:
	s_or_b64 exec, exec, s[2:3]
	v_lshrrev_b64 v[22:23], s20, v[12:13]
	v_and_b32_e32 v22, s30, v22
	v_lshl_add_u32 v21, v22, 4, v22
	v_add_lshl_u32 v45, v27, v21, 2
	v_and_b32_e32 v21, 1, v22
	v_add_co_u32_e32 v23, vcc, -1, v21
	v_addc_co_u32_e64 v41, s[2:3], 0, -1, vcc
	v_cmp_ne_u32_e32 vcc, 0, v21
	v_xor_b32_e32 v21, vcc_hi, v41
	v_and_b32_e32 v41, exec_hi, v21
	v_lshlrev_b32_e32 v21, 30, v22
	v_xor_b32_e32 v23, vcc_lo, v23
	v_cmp_gt_i64_e32 vcc, 0, v[20:21]
	v_not_b32_e32 v21, v21
	v_ashrrev_i32_e32 v21, 31, v21
	v_and_b32_e32 v23, exec_lo, v23
	v_xor_b32_e32 v43, vcc_hi, v21
	v_xor_b32_e32 v21, vcc_lo, v21
	v_and_b32_e32 v23, v23, v21
	v_lshlrev_b32_e32 v21, 29, v22
	v_cmp_gt_i64_e32 vcc, 0, v[20:21]
	v_not_b32_e32 v21, v21
	v_ashrrev_i32_e32 v21, 31, v21
	v_and_b32_e32 v41, v41, v43
	v_xor_b32_e32 v43, vcc_hi, v21
	v_xor_b32_e32 v21, vcc_lo, v21
	v_and_b32_e32 v23, v23, v21
	v_lshlrev_b32_e32 v21, 28, v22
	v_cmp_gt_i64_e32 vcc, 0, v[20:21]
	v_not_b32_e32 v21, v21
	v_ashrrev_i32_e32 v21, 31, v21
	v_and_b32_e32 v41, v41, v43
	;; [unrolled: 8-line block ×5, first 2 shown]
	v_xor_b32_e32 v43, vcc_hi, v21
	v_xor_b32_e32 v21, vcc_lo, v21
	v_and_b32_e32 v23, v23, v21
	v_lshlrev_b32_e32 v21, 24, v22
	v_cmp_gt_i64_e32 vcc, 0, v[20:21]
	v_not_b32_e32 v20, v21
	v_ashrrev_i32_e32 v20, 31, v20
	v_xor_b32_e32 v21, vcc_hi, v20
	v_xor_b32_e32 v20, vcc_lo, v20
	; wave barrier
	ds_read_b32 v40, v45 offset:64
	v_and_b32_e32 v41, v41, v43
	v_and_b32_e32 v20, v23, v20
	;; [unrolled: 1-line block ×3, first 2 shown]
	v_mbcnt_lo_u32_b32 v22, v20, 0
	v_mbcnt_hi_u32_b32 v41, v21, v22
	v_cmp_eq_u32_e32 vcc, 0, v41
	v_cmp_ne_u64_e64 s[2:3], 0, v[20:21]
	s_and_b64 s[8:9], s[2:3], vcc
	; wave barrier
	s_and_saveexec_b64 s[2:3], s[8:9]
	s_cbranch_execz .LBB1204_33
; %bb.32:
	v_bcnt_u32_b32 v20, v20, 0
	v_bcnt_u32_b32 v20, v21, v20
	s_waitcnt lgkmcnt(0)
	v_add_u32_e32 v20, v40, v20
	ds_write_b32 v45, v20 offset:64
.LBB1204_33:
	s_or_b64 exec, exec, s[2:3]
	v_lshrrev_b64 v[20:21], s20, v[18:19]
	v_and_b32_e32 v22, s30, v20
	v_and_b32_e32 v21, 1, v22
	v_add_co_u32_e32 v23, vcc, -1, v21
	v_addc_co_u32_e64 v44, s[2:3], 0, -1, vcc
	v_cmp_ne_u32_e32 vcc, 0, v21
	v_lshl_add_u32 v20, v22, 4, v22
	v_xor_b32_e32 v21, vcc_hi, v44
	v_add_lshl_u32 v48, v27, v20, 2
	v_mov_b32_e32 v20, 0
	v_and_b32_e32 v44, exec_hi, v21
	v_lshlrev_b32_e32 v21, 30, v22
	v_xor_b32_e32 v23, vcc_lo, v23
	v_cmp_gt_i64_e32 vcc, 0, v[20:21]
	v_not_b32_e32 v21, v21
	v_ashrrev_i32_e32 v21, 31, v21
	v_and_b32_e32 v23, exec_lo, v23
	v_xor_b32_e32 v46, vcc_hi, v21
	v_xor_b32_e32 v21, vcc_lo, v21
	v_and_b32_e32 v23, v23, v21
	v_lshlrev_b32_e32 v21, 29, v22
	v_cmp_gt_i64_e32 vcc, 0, v[20:21]
	v_not_b32_e32 v21, v21
	v_ashrrev_i32_e32 v21, 31, v21
	v_and_b32_e32 v44, v44, v46
	v_xor_b32_e32 v46, vcc_hi, v21
	v_xor_b32_e32 v21, vcc_lo, v21
	v_and_b32_e32 v23, v23, v21
	v_lshlrev_b32_e32 v21, 28, v22
	v_cmp_gt_i64_e32 vcc, 0, v[20:21]
	v_not_b32_e32 v21, v21
	v_ashrrev_i32_e32 v21, 31, v21
	v_and_b32_e32 v44, v44, v46
	;; [unrolled: 8-line block ×5, first 2 shown]
	v_xor_b32_e32 v46, vcc_hi, v21
	v_xor_b32_e32 v21, vcc_lo, v21
	v_and_b32_e32 v44, v44, v46
	v_and_b32_e32 v46, v23, v21
	v_lshlrev_b32_e32 v21, 24, v22
	v_cmp_gt_i64_e32 vcc, 0, v[20:21]
	v_not_b32_e32 v21, v21
	v_ashrrev_i32_e32 v21, 31, v21
	v_xor_b32_e32 v22, vcc_hi, v21
	v_xor_b32_e32 v21, vcc_lo, v21
	; wave barrier
	ds_read_b32 v43, v48 offset:64
	v_and_b32_e32 v23, v44, v22
	v_and_b32_e32 v22, v46, v21
	v_mbcnt_lo_u32_b32 v21, v22, 0
	v_mbcnt_hi_u32_b32 v44, v23, v21
	v_cmp_eq_u32_e32 vcc, 0, v44
	v_cmp_ne_u64_e64 s[2:3], 0, v[22:23]
	s_and_b64 s[8:9], s[2:3], vcc
	; wave barrier
	s_and_saveexec_b64 s[2:3], s[8:9]
	s_cbranch_execz .LBB1204_35
; %bb.34:
	v_bcnt_u32_b32 v21, v22, 0
	v_bcnt_u32_b32 v21, v23, v21
	s_waitcnt lgkmcnt(0)
	v_add_u32_e32 v21, v43, v21
	ds_write_b32 v48, v21 offset:64
.LBB1204_35:
	s_or_b64 exec, exec, s[2:3]
	v_lshrrev_b64 v[22:23], s20, v[16:17]
	v_and_b32_e32 v22, s30, v22
	v_lshl_add_u32 v21, v22, 4, v22
	v_add_lshl_u32 v27, v27, v21, 2
	v_and_b32_e32 v21, 1, v22
	v_add_co_u32_e32 v23, vcc, -1, v21
	v_addc_co_u32_e64 v47, s[2:3], 0, -1, vcc
	v_cmp_ne_u32_e32 vcc, 0, v21
	v_xor_b32_e32 v21, vcc_hi, v47
	v_and_b32_e32 v47, exec_hi, v21
	v_lshlrev_b32_e32 v21, 30, v22
	v_xor_b32_e32 v23, vcc_lo, v23
	v_cmp_gt_i64_e32 vcc, 0, v[20:21]
	v_not_b32_e32 v21, v21
	v_ashrrev_i32_e32 v21, 31, v21
	v_and_b32_e32 v23, exec_lo, v23
	v_xor_b32_e32 v50, vcc_hi, v21
	v_xor_b32_e32 v21, vcc_lo, v21
	v_and_b32_e32 v23, v23, v21
	v_lshlrev_b32_e32 v21, 29, v22
	v_cmp_gt_i64_e32 vcc, 0, v[20:21]
	v_not_b32_e32 v21, v21
	v_ashrrev_i32_e32 v21, 31, v21
	v_and_b32_e32 v47, v47, v50
	v_xor_b32_e32 v50, vcc_hi, v21
	v_xor_b32_e32 v21, vcc_lo, v21
	v_and_b32_e32 v23, v23, v21
	v_lshlrev_b32_e32 v21, 28, v22
	v_cmp_gt_i64_e32 vcc, 0, v[20:21]
	v_not_b32_e32 v21, v21
	v_ashrrev_i32_e32 v21, 31, v21
	v_and_b32_e32 v47, v47, v50
	;; [unrolled: 8-line block ×5, first 2 shown]
	v_xor_b32_e32 v50, vcc_hi, v21
	v_xor_b32_e32 v21, vcc_lo, v21
	v_and_b32_e32 v23, v23, v21
	v_lshlrev_b32_e32 v21, 24, v22
	v_cmp_gt_i64_e32 vcc, 0, v[20:21]
	v_not_b32_e32 v20, v21
	v_ashrrev_i32_e32 v20, 31, v20
	v_xor_b32_e32 v21, vcc_hi, v20
	v_xor_b32_e32 v20, vcc_lo, v20
	; wave barrier
	ds_read_b32 v46, v27 offset:64
	v_and_b32_e32 v47, v47, v50
	v_and_b32_e32 v20, v23, v20
	;; [unrolled: 1-line block ×3, first 2 shown]
	v_mbcnt_lo_u32_b32 v22, v20, 0
	v_mbcnt_hi_u32_b32 v47, v21, v22
	v_cmp_eq_u32_e32 vcc, 0, v47
	v_cmp_ne_u64_e64 s[2:3], 0, v[20:21]
	v_add_u32_e32 v49, 64, v3
	s_and_b64 s[8:9], s[2:3], vcc
	; wave barrier
	s_and_saveexec_b64 s[2:3], s[8:9]
	s_cbranch_execz .LBB1204_37
; %bb.36:
	v_bcnt_u32_b32 v20, v20, 0
	v_bcnt_u32_b32 v20, v21, v20
	s_waitcnt lgkmcnt(0)
	v_add_u32_e32 v20, v46, v20
	ds_write_b32 v27, v20 offset:64
.LBB1204_37:
	s_or_b64 exec, exec, s[2:3]
	; wave barrier
	s_waitcnt lgkmcnt(0)
	s_barrier
	ds_read2_b32 v[22:23], v3 offset0:16 offset1:17
	ds_read2_b32 v[20:21], v49 offset0:2 offset1:3
	ds_read_b32 v50, v49 offset:16
	v_cmp_lt_u32_e64 s[12:13], 31, v1
	s_waitcnt lgkmcnt(1)
	v_add3_u32 v51, v23, v22, v20
	s_waitcnt lgkmcnt(0)
	v_add3_u32 v50, v51, v21, v50
	v_and_b32_e32 v51, 15, v1
	v_cmp_eq_u32_e32 vcc, 0, v51
	v_mov_b32_dpp v52, v50 row_shr:1 row_mask:0xf bank_mask:0xf
	v_cndmask_b32_e64 v52, v52, 0, vcc
	v_add_u32_e32 v50, v52, v50
	v_cmp_lt_u32_e64 s[2:3], 1, v51
	v_cmp_lt_u32_e64 s[10:11], 3, v51
	v_mov_b32_dpp v52, v50 row_shr:2 row_mask:0xf bank_mask:0xf
	v_cndmask_b32_e64 v52, 0, v52, s[2:3]
	v_add_u32_e32 v50, v50, v52
	v_cmp_lt_u32_e64 s[8:9], 7, v51
	s_nop 0
	v_mov_b32_dpp v52, v50 row_shr:4 row_mask:0xf bank_mask:0xf
	v_cndmask_b32_e64 v52, 0, v52, s[10:11]
	v_add_u32_e32 v50, v50, v52
	s_nop 1
	v_mov_b32_dpp v52, v50 row_shr:8 row_mask:0xf bank_mask:0xf
	v_cndmask_b32_e64 v51, 0, v52, s[8:9]
	v_add_u32_e32 v50, v50, v51
	v_bfe_i32 v52, v1, 4, 1
	s_nop 0
	v_mov_b32_dpp v51, v50 row_bcast:15 row_mask:0xf bank_mask:0xf
	v_and_b32_e32 v51, v52, v51
	v_add_u32_e32 v50, v50, v51
	v_and_b32_e32 v52, 63, v2
	s_nop 0
	v_mov_b32_dpp v51, v50 row_bcast:31 row_mask:0xf bank_mask:0xf
	v_cndmask_b32_e64 v51, 0, v51, s[12:13]
	v_add_u32_e32 v50, v50, v51
	v_lshrrev_b32_e32 v51, 6, v2
	v_cmp_eq_u32_e64 s[12:13], 63, v52
	s_and_saveexec_b64 s[22:23], s[12:13]
	s_cbranch_execz .LBB1204_39
; %bb.38:
	v_lshlrev_b32_e32 v52, 2, v51
	ds_write_b32 v52, v50
.LBB1204_39:
	s_or_b64 exec, exec, s[22:23]
	v_cmp_gt_u32_e64 s[12:13], 16, v2
	s_waitcnt lgkmcnt(0)
	s_barrier
	s_and_saveexec_b64 s[22:23], s[12:13]
	s_cbranch_execz .LBB1204_41
; %bb.40:
	v_lshlrev_b32_e32 v52, 2, v2
	ds_read_b32 v53, v52
	s_waitcnt lgkmcnt(0)
	s_nop 0
	v_mov_b32_dpp v54, v53 row_shr:1 row_mask:0xf bank_mask:0xf
	v_cndmask_b32_e64 v54, v54, 0, vcc
	v_add_u32_e32 v53, v54, v53
	s_nop 1
	v_mov_b32_dpp v54, v53 row_shr:2 row_mask:0xf bank_mask:0xf
	v_cndmask_b32_e64 v54, 0, v54, s[2:3]
	v_add_u32_e32 v53, v53, v54
	s_nop 1
	v_mov_b32_dpp v54, v53 row_shr:4 row_mask:0xf bank_mask:0xf
	v_cndmask_b32_e64 v54, 0, v54, s[10:11]
	;; [unrolled: 4-line block ×3, first 2 shown]
	v_add_u32_e32 v53, v53, v54
	ds_write_b32 v52, v53
.LBB1204_41:
	s_or_b64 exec, exec, s[22:23]
	v_cmp_lt_u32_e32 vcc, 63, v2
	v_mov_b32_e32 v52, 0
	s_waitcnt lgkmcnt(0)
	s_barrier
	s_and_saveexec_b64 s[2:3], vcc
	s_cbranch_execz .LBB1204_43
; %bb.42:
	v_lshl_add_u32 v51, v51, 2, -4
	ds_read_b32 v52, v51
.LBB1204_43:
	s_or_b64 exec, exec, s[2:3]
	v_add_u32_e32 v51, -1, v1
	v_and_b32_e32 v53, 64, v1
	v_cmp_lt_i32_e32 vcc, v51, v53
	v_cndmask_b32_e32 v51, v51, v1, vcc
	s_waitcnt lgkmcnt(0)
	v_add_u32_e32 v50, v52, v50
	v_lshlrev_b32_e32 v51, 2, v51
	ds_bpermute_b32 v50, v51, v50
	v_cmp_eq_u32_e32 vcc, 0, v1
	s_movk_i32 s8, 0xff
	s_movk_i32 s2, 0x100
	v_cmp_gt_u32_e64 s[2:3], s2, v2
	s_waitcnt lgkmcnt(0)
	v_cndmask_b32_e32 v1, v50, v52, vcc
	v_cndmask_b32_e64 v1, v1, 0, s[0:1]
	v_add_u32_e32 v22, v1, v22
	v_add_u32_e32 v23, v22, v23
	;; [unrolled: 1-line block ×4, first 2 shown]
	ds_write2_b32 v3, v1, v22 offset0:16 offset1:17
	ds_write2_b32 v49, v23, v20 offset0:2 offset1:3
	ds_write_b32 v49, v21 offset:16
	s_waitcnt lgkmcnt(0)
	s_barrier
	ds_read_b32 v51, v24 offset:64
	ds_read_b32 v1, v25 offset:64
	;; [unrolled: 1-line block ×8, first 2 shown]
	v_cmp_lt_u32_e32 vcc, s8, v2
	v_pk_mov_b32 v[20:21], 0, 0
                                        ; implicit-def: $vgpr39
	s_and_saveexec_b64 s[10:11], s[2:3]
	s_cbranch_execz .LBB1204_47
; %bb.44:
	v_mul_u32_u24_e32 v3, 17, v2
	v_lshlrev_b32_e32 v21, 2, v3
	ds_read_b32 v20, v21 offset:64
	v_cmp_ne_u32_e64 s[8:9], s8, v2
	v_mov_b32_e32 v3, 0x2000
	s_and_saveexec_b64 s[12:13], s[8:9]
	s_cbranch_execz .LBB1204_46
; %bb.45:
	ds_read_b32 v3, v21 offset:132
.LBB1204_46:
	s_or_b64 exec, exec, s[12:13]
	s_waitcnt lgkmcnt(0)
	v_sub_u32_e32 v39, v3, v20
	v_mov_b32_e32 v21, 0
.LBB1204_47:
	s_or_b64 exec, exec, s[10:11]
	s_waitcnt lgkmcnt(0)
	s_barrier
	s_and_saveexec_b64 s[8:9], vcc
	s_xor_b64 s[8:9], exec, s[8:9]
; %bb.48:
	v_mov_b32_e32 v3, 0
; %bb.49:
	s_andn2_saveexec_b64 s[8:9], s[8:9]
	s_cbranch_execz .LBB1204_59
; %bb.50:
	v_lshl_or_b32 v22, s28, 8, v2
	v_mov_b32_e32 v23, 0
	v_lshlrev_b64 v[24:25], 2, v[22:23]
	v_mov_b32_e32 v3, s15
	v_add_co_u32_e32 v24, vcc, s14, v24
	v_addc_co_u32_e32 v25, vcc, v3, v25, vcc
	v_or_b32_e32 v22, 2.0, v39
	s_mov_b64 s[10:11], 0
	s_brev_b32 s31, 1
	s_mov_b32 s33, s28
	v_mov_b32_e32 v53, 0
	global_store_dword v[24:25], v22, off
                                        ; implicit-def: $sgpr12_sgpr13
	s_branch .LBB1204_52
.LBB1204_51:                            ;   in Loop: Header=BB1204_52 Depth=1
	s_or_b64 exec, exec, s[12:13]
	v_and_b32_e32 v26, 0x3fffffff, v54
	v_add_u32_e32 v53, v26, v53
	v_cmp_eq_u32_e64 s[12:13], s31, v22
	s_and_b64 s[22:23], exec, s[12:13]
	s_or_b64 s[10:11], s[22:23], s[10:11]
	s_andn2_b64 exec, exec, s[10:11]
	s_cbranch_execz .LBB1204_58
.LBB1204_52:                            ; =>This Loop Header: Depth=1
                                        ;     Child Loop BB1204_55 Depth 2
	s_or_b64 s[12:13], s[12:13], exec
	s_cmp_eq_u32 s33, 0
	s_cbranch_scc1 .LBB1204_57
; %bb.53:                               ;   in Loop: Header=BB1204_52 Depth=1
	s_add_i32 s33, s33, -1
	v_lshl_or_b32 v22, s33, 8, v2
	v_lshlrev_b64 v[26:27], 2, v[22:23]
	v_add_co_u32_e32 v26, vcc, s14, v26
	v_addc_co_u32_e32 v27, vcc, v3, v27, vcc
	global_load_dword v54, v[26:27], off glc
	s_waitcnt vmcnt(0)
	v_and_b32_e32 v22, -2.0, v54
	v_cmp_eq_u32_e32 vcc, 0, v22
	s_and_saveexec_b64 s[12:13], vcc
	s_cbranch_execz .LBB1204_51
; %bb.54:                               ;   in Loop: Header=BB1204_52 Depth=1
	s_mov_b64 s[22:23], 0
.LBB1204_55:                            ;   Parent Loop BB1204_52 Depth=1
                                        ; =>  This Inner Loop Header: Depth=2
	global_load_dword v54, v[26:27], off glc
	s_waitcnt vmcnt(0)
	v_and_b32_e32 v22, -2.0, v54
	v_cmp_ne_u32_e32 vcc, 0, v22
	s_or_b64 s[22:23], vcc, s[22:23]
	s_andn2_b64 exec, exec, s[22:23]
	s_cbranch_execnz .LBB1204_55
; %bb.56:                               ;   in Loop: Header=BB1204_52 Depth=1
	s_or_b64 exec, exec, s[22:23]
	s_branch .LBB1204_51
.LBB1204_57:                            ;   in Loop: Header=BB1204_52 Depth=1
                                        ; implicit-def: $sgpr33
	s_and_b64 s[22:23], exec, s[12:13]
	s_or_b64 s[10:11], s[22:23], s[10:11]
	s_andn2_b64 exec, exec, s[10:11]
	s_cbranch_execnz .LBB1204_52
.LBB1204_58:
	s_or_b64 exec, exec, s[10:11]
	v_add_u32_e32 v3, v53, v39
	v_or_b32_e32 v3, 0x80000000, v3
	global_store_dword v[24:25], v3, off
	global_load_dwordx2 v[22:23], v28, s[16:17]
	v_sub_co_u32_e32 v24, vcc, v53, v20
	v_subb_co_u32_e32 v25, vcc, 0, v21, vcc
	v_mov_b32_e32 v3, 0
	s_waitcnt vmcnt(0)
	v_add_co_u32_e32 v22, vcc, v24, v22
	v_addc_co_u32_e32 v23, vcc, v25, v23, vcc
	ds_write_b64 v28, v[22:23]
.LBB1204_59:
	s_or_b64 exec, exec, s[8:9]
	v_add_u32_e32 v23, v51, v30
	v_add3_u32 v30, v38, v42, v37
	v_add3_u32 v35, v36, v50, v35
	v_lshlrev_b64 v[36:37], 3, v[2:3]
	v_add3_u32 v31, v32, v1, v31
	v_mov_b32_e32 v1, s27
	v_add_co_u32_e32 v22, vcc, s26, v36
	v_add_u32_e32 v24, 0x800, v28
	v_add3_u32 v25, v47, v52, v46
	v_add3_u32 v26, v44, v48, v43
	v_add3_u32 v27, v41, v45, v40
	v_add3_u32 v33, v34, v49, v33
	v_addc_co_u32_e32 v1, vcc, v1, v37, vcc
	s_mov_b32 s10, 0
	v_mov_b32_e32 v32, v2
	s_branch .LBB1204_61
.LBB1204_60:                            ;   in Loop: Header=BB1204_61 Depth=1
	s_or_b64 exec, exec, s[8:9]
	s_addk_i32 s10, 0xf800
	v_add_co_u32_e32 v22, vcc, 0x4000, v22
	v_addc_co_u32_e32 v1, vcc, 0, v1, vcc
	s_cmpk_eq_i32 s10, 0xe000
	v_add_u32_e32 v32, 0x800, v32
	s_barrier
	s_cbranch_scc1 .LBB1204_66
.LBB1204_61:                            ; =>This Inner Loop Header: Depth=1
	v_add_u32_e32 v34, s10, v23
	v_min_u32_e32 v34, 0x800, v34
	v_lshlrev_b32_e32 v34, 3, v34
	ds_write_b64 v34, v[6:7] offset:2048
	v_add_u32_e32 v34, s10, v31
	v_min_u32_e32 v34, 0x800, v34
	v_lshlrev_b32_e32 v34, 3, v34
	ds_write_b64 v34, v[4:5] offset:2048
	;; [unrolled: 4-line block ×7, first 2 shown]
	v_add_u32_e32 v34, s10, v25
	v_min_u32_e32 v34, 0x800, v34
	v_lshlrev_b32_e32 v34, 3, v34
	v_cmp_gt_u32_e32 vcc, s7, v32
	ds_write_b64 v34, v[16:17] offset:2048
	s_waitcnt lgkmcnt(0)
	s_barrier
	s_and_saveexec_b64 s[8:9], vcc
	s_cbranch_execz .LBB1204_63
; %bb.62:                               ;   in Loop: Header=BB1204_61 Depth=1
	ds_read_b64 v[36:37], v28 offset:2048
	s_waitcnt lgkmcnt(0)
	v_lshrrev_b64 v[40:41], s20, v[36:37]
	v_and_b32_e32 v34, s30, v40
	v_lshlrev_b32_e32 v34, 3, v34
	ds_read_b64 v[40:41], v34
	s_waitcnt lgkmcnt(0)
	v_lshlrev_b64 v[40:41], 3, v[40:41]
	v_add_co_u32_e32 v40, vcc, v22, v40
	v_addc_co_u32_e32 v41, vcc, v1, v41, vcc
	global_store_dwordx2 v[40:41], v[36:37], off
.LBB1204_63:                            ;   in Loop: Header=BB1204_61 Depth=1
	s_or_b64 exec, exec, s[8:9]
	v_add_u32_e32 v34, 0x400, v32
	v_cmp_gt_u32_e32 vcc, s7, v34
	s_and_saveexec_b64 s[8:9], vcc
	s_cbranch_execz .LBB1204_60
; %bb.64:                               ;   in Loop: Header=BB1204_61 Depth=1
	ds_read_b64 v[36:37], v24 offset:8192
	s_waitcnt lgkmcnt(0)
	v_lshrrev_b64 v[40:41], s20, v[36:37]
	v_and_b32_e32 v34, s30, v40
	v_lshlrev_b32_e32 v34, 3, v34
	ds_read_b64 v[40:41], v34
	s_waitcnt lgkmcnt(0)
	v_lshlrev_b64 v[40:41], 3, v[40:41]
	v_add_co_u32_e32 v34, vcc, v22, v40
	v_addc_co_u32_e32 v38, vcc, v1, v41, vcc
	v_add_co_u32_e32 v40, vcc, 0x2000, v34
	v_addc_co_u32_e32 v41, vcc, 0, v38, vcc
	global_store_dwordx2 v[40:41], v[36:37], off
	s_branch .LBB1204_60
.LBB1204_65:
	s_mov_b64 s[2:3], 0
                                        ; implicit-def: $vgpr20_vgpr21
                                        ; implicit-def: $vgpr39
	s_cbranch_execnz .LBB1204_67
	s_branch .LBB1204_108
.LBB1204_66:
	s_add_i32 s29, s29, -1
	s_cmp_eq_u32 s29, s28
	s_cselect_b64 s[8:9], -1, 0
	s_and_b64 s[2:3], s[2:3], s[8:9]
	s_branch .LBB1204_108
.LBB1204_67:
	s_lshl_b32 s2, s28, 13
	s_mov_b32 s3, 0
	v_mbcnt_hi_u32_b32 v3, -1, v29
	s_lshl_b64 s[2:3], s[2:3], 3
	v_and_b32_e32 v1, 63, v3
	s_add_u32 s2, s24, s2
	v_lshlrev_b32_e32 v1, 3, v1
	v_add_co_u32_e32 v1, vcc, s2, v1
	s_load_dword s12, s[4:5], 0x58
	s_load_dword s2, s[4:5], 0x64
	s_addc_u32 s3, s25, s3
	v_mov_b32_e32 v4, s3
	v_lshlrev_b32_e32 v5, 6, v2
	s_add_u32 s3, s4, 0x58
	v_addc_co_u32_e32 v4, vcc, 0, v4, vcc
	v_and_b32_e32 v5, 0xf000, v5
	s_addc_u32 s4, s5, 0
	s_waitcnt lgkmcnt(0)
	s_lshr_b32 s5, s2, 16
	v_add_co_u32_e32 v20, vcc, v1, v5
	s_cmp_lt_u32 s6, s12
	v_addc_co_u32_e32 v21, vcc, 0, v4, vcc
	s_cselect_b32 s2, 12, 18
	global_load_dwordx2 v[4:5], v[20:21], off
	s_add_u32 s2, s3, s2
	v_mov_b32_e32 v18, 0
	s_addc_u32 s3, s4, 0
	global_load_ushort v23, v18, s[2:3]
	v_mul_u32_u24_e32 v6, 5, v2
	v_lshlrev_b32_e32 v22, 2, v6
	v_bfe_u32 v1, v0, 10, 10
	v_bfe_u32 v0, v0, 20, 10
	ds_write2_b32 v22, v18, v18 offset0:16 offset1:17
	ds_write2_b32 v22, v18, v18 offset0:18 offset1:19
	ds_write_b32 v22, v18 offset:80
	v_mad_u32_u24 v24, v0, s5, v1
	global_load_dwordx2 v[0:1], v[20:21], off offset:512
	global_load_dwordx2 v[6:7], v[20:21], off offset:1024
	global_load_dwordx2 v[8:9], v[20:21], off offset:1536
	global_load_dwordx2 v[10:11], v[20:21], off offset:2048
	global_load_dwordx2 v[12:13], v[20:21], off offset:2560
	global_load_dwordx2 v[14:15], v[20:21], off offset:3072
	global_load_dwordx2 v[16:17], v[20:21], off offset:3584
	s_lshl_b32 s2, -1, s21
	s_not_b32 s13, s2
	s_waitcnt lgkmcnt(0)
	s_barrier
	s_waitcnt lgkmcnt(0)
	; wave barrier
	s_waitcnt vmcnt(8)
	v_lshrrev_b64 v[20:21], s20, v[4:5]
	v_and_b32_e32 v25, s13, v20
	v_and_b32_e32 v27, 1, v25
	v_lshlrev_b32_e32 v19, 30, v25
	s_waitcnt vmcnt(7)
	v_mad_u64_u32 v[20:21], s[2:3], v24, v23, v[2:3]
	v_add_co_u32_e32 v21, vcc, -1, v27
	v_addc_co_u32_e64 v23, s[2:3], 0, -1, vcc
	v_cmp_ne_u32_e32 vcc, 0, v27
	v_cmp_gt_i64_e64 s[2:3], 0, v[18:19]
	v_not_b32_e32 v24, v19
	v_lshlrev_b32_e32 v19, 29, v25
	v_lshl_add_u32 v26, v25, 4, v25
	v_lshrrev_b32_e32 v34, 6, v20
	v_xor_b32_e32 v20, vcc_hi, v23
	v_xor_b32_e32 v21, vcc_lo, v21
	v_ashrrev_i32_e32 v24, 31, v24
	v_cmp_gt_i64_e32 vcc, 0, v[18:19]
	v_not_b32_e32 v27, v19
	v_lshlrev_b32_e32 v19, 28, v25
	v_add_lshl_u32 v23, v34, v26, 2
	v_and_b32_e32 v20, exec_hi, v20
	v_and_b32_e32 v21, exec_lo, v21
	v_xor_b32_e32 v26, s3, v24
	v_xor_b32_e32 v24, s2, v24
	v_ashrrev_i32_e32 v27, 31, v27
	v_cmp_gt_i64_e64 s[2:3], 0, v[18:19]
	v_not_b32_e32 v29, v19
	v_lshlrev_b32_e32 v19, 27, v25
	v_and_b32_e32 v20, v20, v26
	v_and_b32_e32 v21, v21, v24
	v_xor_b32_e32 v24, vcc_hi, v27
	v_xor_b32_e32 v26, vcc_lo, v27
	v_ashrrev_i32_e32 v27, 31, v29
	v_cmp_gt_i64_e32 vcc, 0, v[18:19]
	v_not_b32_e32 v19, v19
	v_and_b32_e32 v20, v20, v24
	v_and_b32_e32 v21, v21, v26
	v_xor_b32_e32 v24, s3, v27
	v_xor_b32_e32 v26, s2, v27
	v_ashrrev_i32_e32 v19, 31, v19
	v_and_b32_e32 v20, v20, v24
	v_and_b32_e32 v21, v21, v26
	v_xor_b32_e32 v24, vcc_hi, v19
	v_xor_b32_e32 v19, vcc_lo, v19
	v_and_b32_e32 v21, v21, v19
	v_lshlrev_b32_e32 v19, 26, v25
	v_cmp_gt_i64_e32 vcc, 0, v[18:19]
	v_not_b32_e32 v19, v19
	v_ashrrev_i32_e32 v19, 31, v19
	v_and_b32_e32 v20, v20, v24
	v_xor_b32_e32 v24, vcc_hi, v19
	v_xor_b32_e32 v19, vcc_lo, v19
	v_and_b32_e32 v21, v21, v19
	v_lshlrev_b32_e32 v19, 25, v25
	v_cmp_gt_i64_e32 vcc, 0, v[18:19]
	v_not_b32_e32 v19, v19
	v_ashrrev_i32_e32 v19, 31, v19
	v_and_b32_e32 v20, v20, v24
	v_xor_b32_e32 v24, vcc_hi, v19
	v_xor_b32_e32 v19, vcc_lo, v19
	v_and_b32_e32 v20, v20, v24
	v_and_b32_e32 v24, v21, v19
	v_lshlrev_b32_e32 v19, 24, v25
	v_cmp_gt_i64_e32 vcc, 0, v[18:19]
	v_not_b32_e32 v19, v19
	v_ashrrev_i32_e32 v19, 31, v19
	v_xor_b32_e32 v21, vcc_hi, v19
	v_xor_b32_e32 v19, vcc_lo, v19
	v_and_b32_e32 v21, v20, v21
	v_and_b32_e32 v20, v24, v19
	v_mbcnt_lo_u32_b32 v19, v20, 0
	v_mbcnt_hi_u32_b32 v26, v21, v19
	v_cmp_eq_u32_e32 vcc, 0, v26
	v_cmp_ne_u64_e64 s[2:3], 0, v[20:21]
	s_and_b64 s[4:5], s[2:3], vcc
	s_and_saveexec_b64 s[2:3], s[4:5]
	s_cbranch_execz .LBB1204_69
; %bb.68:
	v_bcnt_u32_b32 v19, v20, 0
	v_bcnt_u32_b32 v19, v21, v19
	ds_write_b32 v23, v19 offset:64
.LBB1204_69:
	s_or_b64 exec, exec, s[2:3]
	s_waitcnt vmcnt(6)
	v_lshrrev_b64 v[20:21], s20, v[0:1]
	v_and_b32_e32 v20, s13, v20
	v_lshl_add_u32 v19, v20, 4, v20
	v_add_lshl_u32 v24, v34, v19, 2
	v_and_b32_e32 v19, 1, v20
	v_add_co_u32_e32 v21, vcc, -1, v19
	v_addc_co_u32_e64 v25, s[2:3], 0, -1, vcc
	v_cmp_ne_u32_e32 vcc, 0, v19
	v_xor_b32_e32 v19, vcc_hi, v25
	v_and_b32_e32 v25, exec_hi, v19
	v_lshlrev_b32_e32 v19, 30, v20
	v_xor_b32_e32 v21, vcc_lo, v21
	v_cmp_gt_i64_e32 vcc, 0, v[18:19]
	v_not_b32_e32 v19, v19
	v_ashrrev_i32_e32 v19, 31, v19
	v_and_b32_e32 v21, exec_lo, v21
	v_xor_b32_e32 v29, vcc_hi, v19
	v_xor_b32_e32 v19, vcc_lo, v19
	v_and_b32_e32 v21, v21, v19
	v_lshlrev_b32_e32 v19, 29, v20
	v_cmp_gt_i64_e32 vcc, 0, v[18:19]
	v_not_b32_e32 v19, v19
	v_ashrrev_i32_e32 v19, 31, v19
	v_and_b32_e32 v25, v25, v29
	v_xor_b32_e32 v29, vcc_hi, v19
	v_xor_b32_e32 v19, vcc_lo, v19
	v_and_b32_e32 v21, v21, v19
	v_lshlrev_b32_e32 v19, 28, v20
	v_cmp_gt_i64_e32 vcc, 0, v[18:19]
	v_not_b32_e32 v19, v19
	v_ashrrev_i32_e32 v19, 31, v19
	v_and_b32_e32 v25, v25, v29
	;; [unrolled: 8-line block ×5, first 2 shown]
	v_xor_b32_e32 v29, vcc_hi, v19
	v_xor_b32_e32 v19, vcc_lo, v19
	v_and_b32_e32 v21, v21, v19
	v_lshlrev_b32_e32 v19, 24, v20
	v_cmp_gt_i64_e32 vcc, 0, v[18:19]
	v_not_b32_e32 v18, v19
	v_ashrrev_i32_e32 v18, 31, v18
	v_xor_b32_e32 v19, vcc_hi, v18
	v_xor_b32_e32 v18, vcc_lo, v18
	; wave barrier
	ds_read_b32 v27, v24 offset:64
	v_and_b32_e32 v25, v25, v29
	v_and_b32_e32 v18, v21, v18
	;; [unrolled: 1-line block ×3, first 2 shown]
	v_mbcnt_lo_u32_b32 v20, v18, 0
	v_mbcnt_hi_u32_b32 v29, v19, v20
	v_cmp_eq_u32_e32 vcc, 0, v29
	v_cmp_ne_u64_e64 s[2:3], 0, v[18:19]
	s_and_b64 s[4:5], s[2:3], vcc
	; wave barrier
	s_and_saveexec_b64 s[2:3], s[4:5]
	s_cbranch_execz .LBB1204_71
; %bb.70:
	v_bcnt_u32_b32 v18, v18, 0
	v_bcnt_u32_b32 v18, v19, v18
	s_waitcnt lgkmcnt(0)
	v_add_u32_e32 v18, v27, v18
	ds_write_b32 v24, v18 offset:64
.LBB1204_71:
	s_or_b64 exec, exec, s[2:3]
	s_waitcnt vmcnt(5)
	v_lshrrev_b64 v[18:19], s20, v[6:7]
	v_and_b32_e32 v20, s13, v18
	v_and_b32_e32 v19, 1, v20
	v_add_co_u32_e32 v21, vcc, -1, v19
	v_addc_co_u32_e64 v31, s[2:3], 0, -1, vcc
	v_cmp_ne_u32_e32 vcc, 0, v19
	v_lshl_add_u32 v18, v20, 4, v20
	v_xor_b32_e32 v19, vcc_hi, v31
	v_add_lshl_u32 v25, v34, v18, 2
	v_mov_b32_e32 v18, 0
	v_and_b32_e32 v31, exec_hi, v19
	v_lshlrev_b32_e32 v19, 30, v20
	v_xor_b32_e32 v21, vcc_lo, v21
	v_cmp_gt_i64_e32 vcc, 0, v[18:19]
	v_not_b32_e32 v19, v19
	v_ashrrev_i32_e32 v19, 31, v19
	v_and_b32_e32 v21, exec_lo, v21
	v_xor_b32_e32 v32, vcc_hi, v19
	v_xor_b32_e32 v19, vcc_lo, v19
	v_and_b32_e32 v21, v21, v19
	v_lshlrev_b32_e32 v19, 29, v20
	v_cmp_gt_i64_e32 vcc, 0, v[18:19]
	v_not_b32_e32 v19, v19
	v_ashrrev_i32_e32 v19, 31, v19
	v_and_b32_e32 v31, v31, v32
	v_xor_b32_e32 v32, vcc_hi, v19
	v_xor_b32_e32 v19, vcc_lo, v19
	v_and_b32_e32 v21, v21, v19
	v_lshlrev_b32_e32 v19, 28, v20
	v_cmp_gt_i64_e32 vcc, 0, v[18:19]
	v_not_b32_e32 v19, v19
	v_ashrrev_i32_e32 v19, 31, v19
	v_and_b32_e32 v31, v31, v32
	;; [unrolled: 8-line block ×5, first 2 shown]
	v_xor_b32_e32 v32, vcc_hi, v19
	v_xor_b32_e32 v19, vcc_lo, v19
	v_and_b32_e32 v31, v31, v32
	v_and_b32_e32 v32, v21, v19
	v_lshlrev_b32_e32 v19, 24, v20
	v_cmp_gt_i64_e32 vcc, 0, v[18:19]
	v_not_b32_e32 v19, v19
	v_ashrrev_i32_e32 v19, 31, v19
	v_xor_b32_e32 v20, vcc_hi, v19
	v_xor_b32_e32 v19, vcc_lo, v19
	; wave barrier
	ds_read_b32 v30, v25 offset:64
	v_and_b32_e32 v21, v31, v20
	v_and_b32_e32 v20, v32, v19
	v_mbcnt_lo_u32_b32 v19, v20, 0
	v_mbcnt_hi_u32_b32 v31, v21, v19
	v_cmp_eq_u32_e32 vcc, 0, v31
	v_cmp_ne_u64_e64 s[2:3], 0, v[20:21]
	s_and_b64 s[4:5], s[2:3], vcc
	; wave barrier
	s_and_saveexec_b64 s[2:3], s[4:5]
	s_cbranch_execz .LBB1204_73
; %bb.72:
	v_bcnt_u32_b32 v19, v20, 0
	v_bcnt_u32_b32 v19, v21, v19
	s_waitcnt lgkmcnt(0)
	v_add_u32_e32 v19, v30, v19
	ds_write_b32 v25, v19 offset:64
.LBB1204_73:
	s_or_b64 exec, exec, s[2:3]
	s_waitcnt vmcnt(4)
	v_lshrrev_b64 v[20:21], s20, v[8:9]
	v_and_b32_e32 v20, s13, v20
	v_lshl_add_u32 v19, v20, 4, v20
	v_add_lshl_u32 v37, v34, v19, 2
	v_and_b32_e32 v19, 1, v20
	v_add_co_u32_e32 v21, vcc, -1, v19
	v_addc_co_u32_e64 v33, s[2:3], 0, -1, vcc
	v_cmp_ne_u32_e32 vcc, 0, v19
	v_xor_b32_e32 v19, vcc_hi, v33
	v_and_b32_e32 v33, exec_hi, v19
	v_lshlrev_b32_e32 v19, 30, v20
	v_xor_b32_e32 v21, vcc_lo, v21
	v_cmp_gt_i64_e32 vcc, 0, v[18:19]
	v_not_b32_e32 v19, v19
	v_ashrrev_i32_e32 v19, 31, v19
	v_and_b32_e32 v21, exec_lo, v21
	v_xor_b32_e32 v35, vcc_hi, v19
	v_xor_b32_e32 v19, vcc_lo, v19
	v_and_b32_e32 v21, v21, v19
	v_lshlrev_b32_e32 v19, 29, v20
	v_cmp_gt_i64_e32 vcc, 0, v[18:19]
	v_not_b32_e32 v19, v19
	v_ashrrev_i32_e32 v19, 31, v19
	v_and_b32_e32 v33, v33, v35
	v_xor_b32_e32 v35, vcc_hi, v19
	v_xor_b32_e32 v19, vcc_lo, v19
	v_and_b32_e32 v21, v21, v19
	v_lshlrev_b32_e32 v19, 28, v20
	v_cmp_gt_i64_e32 vcc, 0, v[18:19]
	v_not_b32_e32 v19, v19
	v_ashrrev_i32_e32 v19, 31, v19
	v_and_b32_e32 v33, v33, v35
	;; [unrolled: 8-line block ×5, first 2 shown]
	v_xor_b32_e32 v35, vcc_hi, v19
	v_xor_b32_e32 v19, vcc_lo, v19
	v_and_b32_e32 v21, v21, v19
	v_lshlrev_b32_e32 v19, 24, v20
	v_cmp_gt_i64_e32 vcc, 0, v[18:19]
	v_not_b32_e32 v18, v19
	v_ashrrev_i32_e32 v18, 31, v18
	v_xor_b32_e32 v19, vcc_hi, v18
	v_xor_b32_e32 v18, vcc_lo, v18
	; wave barrier
	ds_read_b32 v32, v37 offset:64
	v_and_b32_e32 v33, v33, v35
	v_and_b32_e32 v18, v21, v18
	;; [unrolled: 1-line block ×3, first 2 shown]
	v_mbcnt_lo_u32_b32 v20, v18, 0
	v_mbcnt_hi_u32_b32 v33, v19, v20
	v_cmp_eq_u32_e32 vcc, 0, v33
	v_cmp_ne_u64_e64 s[2:3], 0, v[18:19]
	s_and_b64 s[4:5], s[2:3], vcc
	; wave barrier
	s_and_saveexec_b64 s[2:3], s[4:5]
	s_cbranch_execz .LBB1204_75
; %bb.74:
	v_bcnt_u32_b32 v18, v18, 0
	v_bcnt_u32_b32 v18, v19, v18
	s_waitcnt lgkmcnt(0)
	v_add_u32_e32 v18, v32, v18
	ds_write_b32 v37, v18 offset:64
.LBB1204_75:
	s_or_b64 exec, exec, s[2:3]
	s_waitcnt vmcnt(3)
	v_lshrrev_b64 v[18:19], s20, v[10:11]
	v_and_b32_e32 v20, s13, v18
	v_and_b32_e32 v19, 1, v20
	v_add_co_u32_e32 v21, vcc, -1, v19
	v_addc_co_u32_e64 v36, s[2:3], 0, -1, vcc
	v_cmp_ne_u32_e32 vcc, 0, v19
	v_lshl_add_u32 v18, v20, 4, v20
	v_xor_b32_e32 v19, vcc_hi, v36
	v_add_lshl_u32 v39, v34, v18, 2
	v_mov_b32_e32 v18, 0
	v_and_b32_e32 v36, exec_hi, v19
	v_lshlrev_b32_e32 v19, 30, v20
	v_xor_b32_e32 v21, vcc_lo, v21
	v_cmp_gt_i64_e32 vcc, 0, v[18:19]
	v_not_b32_e32 v19, v19
	v_ashrrev_i32_e32 v19, 31, v19
	v_and_b32_e32 v21, exec_lo, v21
	v_xor_b32_e32 v38, vcc_hi, v19
	v_xor_b32_e32 v19, vcc_lo, v19
	v_and_b32_e32 v21, v21, v19
	v_lshlrev_b32_e32 v19, 29, v20
	v_cmp_gt_i64_e32 vcc, 0, v[18:19]
	v_not_b32_e32 v19, v19
	v_ashrrev_i32_e32 v19, 31, v19
	v_and_b32_e32 v36, v36, v38
	v_xor_b32_e32 v38, vcc_hi, v19
	v_xor_b32_e32 v19, vcc_lo, v19
	v_and_b32_e32 v21, v21, v19
	v_lshlrev_b32_e32 v19, 28, v20
	v_cmp_gt_i64_e32 vcc, 0, v[18:19]
	v_not_b32_e32 v19, v19
	v_ashrrev_i32_e32 v19, 31, v19
	v_and_b32_e32 v36, v36, v38
	;; [unrolled: 8-line block ×5, first 2 shown]
	v_xor_b32_e32 v38, vcc_hi, v19
	v_xor_b32_e32 v19, vcc_lo, v19
	v_and_b32_e32 v36, v36, v38
	v_and_b32_e32 v38, v21, v19
	v_lshlrev_b32_e32 v19, 24, v20
	v_cmp_gt_i64_e32 vcc, 0, v[18:19]
	v_not_b32_e32 v19, v19
	v_ashrrev_i32_e32 v19, 31, v19
	v_xor_b32_e32 v20, vcc_hi, v19
	v_xor_b32_e32 v19, vcc_lo, v19
	; wave barrier
	ds_read_b32 v35, v39 offset:64
	v_and_b32_e32 v21, v36, v20
	v_and_b32_e32 v20, v38, v19
	v_mbcnt_lo_u32_b32 v19, v20, 0
	v_mbcnt_hi_u32_b32 v36, v21, v19
	v_cmp_eq_u32_e32 vcc, 0, v36
	v_cmp_ne_u64_e64 s[2:3], 0, v[20:21]
	s_and_b64 s[4:5], s[2:3], vcc
	; wave barrier
	s_and_saveexec_b64 s[2:3], s[4:5]
	s_cbranch_execz .LBB1204_77
; %bb.76:
	v_bcnt_u32_b32 v19, v20, 0
	v_bcnt_u32_b32 v19, v21, v19
	s_waitcnt lgkmcnt(0)
	v_add_u32_e32 v19, v35, v19
	ds_write_b32 v39, v19 offset:64
.LBB1204_77:
	s_or_b64 exec, exec, s[2:3]
	s_waitcnt vmcnt(2)
	v_lshrrev_b64 v[20:21], s20, v[12:13]
	v_and_b32_e32 v20, s13, v20
	v_lshl_add_u32 v19, v20, 4, v20
	v_add_lshl_u32 v43, v34, v19, 2
	v_and_b32_e32 v19, 1, v20
	v_add_co_u32_e32 v21, vcc, -1, v19
	v_addc_co_u32_e64 v40, s[2:3], 0, -1, vcc
	v_cmp_ne_u32_e32 vcc, 0, v19
	v_xor_b32_e32 v19, vcc_hi, v40
	v_and_b32_e32 v40, exec_hi, v19
	v_lshlrev_b32_e32 v19, 30, v20
	v_xor_b32_e32 v21, vcc_lo, v21
	v_cmp_gt_i64_e32 vcc, 0, v[18:19]
	v_not_b32_e32 v19, v19
	v_ashrrev_i32_e32 v19, 31, v19
	v_and_b32_e32 v21, exec_lo, v21
	v_xor_b32_e32 v41, vcc_hi, v19
	v_xor_b32_e32 v19, vcc_lo, v19
	v_and_b32_e32 v21, v21, v19
	v_lshlrev_b32_e32 v19, 29, v20
	v_cmp_gt_i64_e32 vcc, 0, v[18:19]
	v_not_b32_e32 v19, v19
	v_ashrrev_i32_e32 v19, 31, v19
	v_and_b32_e32 v40, v40, v41
	v_xor_b32_e32 v41, vcc_hi, v19
	v_xor_b32_e32 v19, vcc_lo, v19
	v_and_b32_e32 v21, v21, v19
	v_lshlrev_b32_e32 v19, 28, v20
	v_cmp_gt_i64_e32 vcc, 0, v[18:19]
	v_not_b32_e32 v19, v19
	v_ashrrev_i32_e32 v19, 31, v19
	v_and_b32_e32 v40, v40, v41
	;; [unrolled: 8-line block ×5, first 2 shown]
	v_xor_b32_e32 v41, vcc_hi, v19
	v_xor_b32_e32 v19, vcc_lo, v19
	v_and_b32_e32 v21, v21, v19
	v_lshlrev_b32_e32 v19, 24, v20
	v_cmp_gt_i64_e32 vcc, 0, v[18:19]
	v_not_b32_e32 v18, v19
	v_ashrrev_i32_e32 v18, 31, v18
	v_xor_b32_e32 v19, vcc_hi, v18
	v_xor_b32_e32 v18, vcc_lo, v18
	; wave barrier
	ds_read_b32 v38, v43 offset:64
	v_and_b32_e32 v40, v40, v41
	v_and_b32_e32 v18, v21, v18
	;; [unrolled: 1-line block ×3, first 2 shown]
	v_mbcnt_lo_u32_b32 v20, v18, 0
	v_mbcnt_hi_u32_b32 v40, v19, v20
	v_cmp_eq_u32_e32 vcc, 0, v40
	v_cmp_ne_u64_e64 s[2:3], 0, v[18:19]
	s_and_b64 s[4:5], s[2:3], vcc
	; wave barrier
	s_and_saveexec_b64 s[2:3], s[4:5]
	s_cbranch_execz .LBB1204_79
; %bb.78:
	v_bcnt_u32_b32 v18, v18, 0
	v_bcnt_u32_b32 v18, v19, v18
	s_waitcnt lgkmcnt(0)
	v_add_u32_e32 v18, v38, v18
	ds_write_b32 v43, v18 offset:64
.LBB1204_79:
	s_or_b64 exec, exec, s[2:3]
	s_waitcnt vmcnt(1)
	v_lshrrev_b64 v[18:19], s20, v[14:15]
	v_and_b32_e32 v20, s13, v18
	v_and_b32_e32 v19, 1, v20
	v_add_co_u32_e32 v21, vcc, -1, v19
	v_addc_co_u32_e64 v42, s[2:3], 0, -1, vcc
	v_cmp_ne_u32_e32 vcc, 0, v19
	v_lshl_add_u32 v18, v20, 4, v20
	v_xor_b32_e32 v19, vcc_hi, v42
	v_add_lshl_u32 v45, v34, v18, 2
	v_mov_b32_e32 v18, 0
	v_and_b32_e32 v42, exec_hi, v19
	v_lshlrev_b32_e32 v19, 30, v20
	v_xor_b32_e32 v21, vcc_lo, v21
	v_cmp_gt_i64_e32 vcc, 0, v[18:19]
	v_not_b32_e32 v19, v19
	v_ashrrev_i32_e32 v19, 31, v19
	v_and_b32_e32 v21, exec_lo, v21
	v_xor_b32_e32 v44, vcc_hi, v19
	v_xor_b32_e32 v19, vcc_lo, v19
	v_and_b32_e32 v21, v21, v19
	v_lshlrev_b32_e32 v19, 29, v20
	v_cmp_gt_i64_e32 vcc, 0, v[18:19]
	v_not_b32_e32 v19, v19
	v_ashrrev_i32_e32 v19, 31, v19
	v_and_b32_e32 v42, v42, v44
	v_xor_b32_e32 v44, vcc_hi, v19
	v_xor_b32_e32 v19, vcc_lo, v19
	v_and_b32_e32 v21, v21, v19
	v_lshlrev_b32_e32 v19, 28, v20
	v_cmp_gt_i64_e32 vcc, 0, v[18:19]
	v_not_b32_e32 v19, v19
	v_ashrrev_i32_e32 v19, 31, v19
	v_and_b32_e32 v42, v42, v44
	;; [unrolled: 8-line block ×5, first 2 shown]
	v_xor_b32_e32 v44, vcc_hi, v19
	v_xor_b32_e32 v19, vcc_lo, v19
	v_and_b32_e32 v42, v42, v44
	v_and_b32_e32 v44, v21, v19
	v_lshlrev_b32_e32 v19, 24, v20
	v_cmp_gt_i64_e32 vcc, 0, v[18:19]
	v_not_b32_e32 v19, v19
	v_ashrrev_i32_e32 v19, 31, v19
	v_xor_b32_e32 v20, vcc_hi, v19
	v_xor_b32_e32 v19, vcc_lo, v19
	; wave barrier
	ds_read_b32 v41, v45 offset:64
	v_and_b32_e32 v21, v42, v20
	v_and_b32_e32 v20, v44, v19
	v_mbcnt_lo_u32_b32 v19, v20, 0
	v_mbcnt_hi_u32_b32 v42, v21, v19
	v_cmp_eq_u32_e32 vcc, 0, v42
	v_cmp_ne_u64_e64 s[2:3], 0, v[20:21]
	s_and_b64 s[4:5], s[2:3], vcc
	; wave barrier
	s_and_saveexec_b64 s[2:3], s[4:5]
	s_cbranch_execz .LBB1204_81
; %bb.80:
	v_bcnt_u32_b32 v19, v20, 0
	v_bcnt_u32_b32 v19, v21, v19
	s_waitcnt lgkmcnt(0)
	v_add_u32_e32 v19, v41, v19
	ds_write_b32 v45, v19 offset:64
.LBB1204_81:
	s_or_b64 exec, exec, s[2:3]
	s_waitcnt vmcnt(0)
	v_lshrrev_b64 v[20:21], s20, v[16:17]
	v_and_b32_e32 v20, s13, v20
	v_lshl_add_u32 v19, v20, 4, v20
	v_add_lshl_u32 v46, v34, v19, 2
	v_and_b32_e32 v19, 1, v20
	v_add_co_u32_e32 v21, vcc, -1, v19
	v_addc_co_u32_e64 v44, s[2:3], 0, -1, vcc
	v_cmp_ne_u32_e32 vcc, 0, v19
	v_xor_b32_e32 v19, vcc_hi, v44
	v_and_b32_e32 v44, exec_hi, v19
	v_lshlrev_b32_e32 v19, 30, v20
	v_xor_b32_e32 v21, vcc_lo, v21
	v_cmp_gt_i64_e32 vcc, 0, v[18:19]
	v_not_b32_e32 v19, v19
	v_ashrrev_i32_e32 v19, 31, v19
	v_and_b32_e32 v21, exec_lo, v21
	v_xor_b32_e32 v48, vcc_hi, v19
	v_xor_b32_e32 v19, vcc_lo, v19
	v_and_b32_e32 v21, v21, v19
	v_lshlrev_b32_e32 v19, 29, v20
	v_cmp_gt_i64_e32 vcc, 0, v[18:19]
	v_not_b32_e32 v19, v19
	v_ashrrev_i32_e32 v19, 31, v19
	v_and_b32_e32 v44, v44, v48
	v_xor_b32_e32 v48, vcc_hi, v19
	v_xor_b32_e32 v19, vcc_lo, v19
	v_and_b32_e32 v21, v21, v19
	v_lshlrev_b32_e32 v19, 28, v20
	v_cmp_gt_i64_e32 vcc, 0, v[18:19]
	v_not_b32_e32 v19, v19
	v_ashrrev_i32_e32 v19, 31, v19
	v_and_b32_e32 v44, v44, v48
	;; [unrolled: 8-line block ×5, first 2 shown]
	v_xor_b32_e32 v48, vcc_hi, v19
	v_xor_b32_e32 v19, vcc_lo, v19
	v_and_b32_e32 v21, v21, v19
	v_lshlrev_b32_e32 v19, 24, v20
	v_cmp_gt_i64_e32 vcc, 0, v[18:19]
	v_not_b32_e32 v18, v19
	v_ashrrev_i32_e32 v18, 31, v18
	v_xor_b32_e32 v19, vcc_hi, v18
	v_xor_b32_e32 v18, vcc_lo, v18
	; wave barrier
	ds_read_b32 v34, v46 offset:64
	v_and_b32_e32 v44, v44, v48
	v_and_b32_e32 v18, v21, v18
	;; [unrolled: 1-line block ×3, first 2 shown]
	v_mbcnt_lo_u32_b32 v20, v18, 0
	v_mbcnt_hi_u32_b32 v44, v19, v20
	v_cmp_eq_u32_e32 vcc, 0, v44
	v_cmp_ne_u64_e64 s[2:3], 0, v[18:19]
	v_add_u32_e32 v47, 64, v22
	s_and_b64 s[4:5], s[2:3], vcc
	; wave barrier
	s_and_saveexec_b64 s[2:3], s[4:5]
	s_cbranch_execz .LBB1204_83
; %bb.82:
	v_bcnt_u32_b32 v18, v18, 0
	v_bcnt_u32_b32 v18, v19, v18
	s_waitcnt lgkmcnt(0)
	v_add_u32_e32 v18, v34, v18
	ds_write_b32 v46, v18 offset:64
.LBB1204_83:
	s_or_b64 exec, exec, s[2:3]
	; wave barrier
	s_waitcnt lgkmcnt(0)
	s_barrier
	ds_read2_b32 v[20:21], v22 offset0:16 offset1:17
	ds_read2_b32 v[18:19], v47 offset0:2 offset1:3
	ds_read_b32 v48, v47 offset:16
	v_cmp_lt_u32_e64 s[8:9], 31, v3
	s_waitcnt lgkmcnt(1)
	v_add3_u32 v49, v21, v20, v18
	s_waitcnt lgkmcnt(0)
	v_add3_u32 v48, v49, v19, v48
	v_and_b32_e32 v49, 15, v3
	v_cmp_eq_u32_e32 vcc, 0, v49
	v_mov_b32_dpp v50, v48 row_shr:1 row_mask:0xf bank_mask:0xf
	v_cndmask_b32_e64 v50, v50, 0, vcc
	v_add_u32_e32 v48, v50, v48
	v_cmp_lt_u32_e64 s[2:3], 1, v49
	v_cmp_lt_u32_e64 s[4:5], 3, v49
	v_mov_b32_dpp v50, v48 row_shr:2 row_mask:0xf bank_mask:0xf
	v_cndmask_b32_e64 v50, 0, v50, s[2:3]
	v_add_u32_e32 v48, v48, v50
	v_cmp_lt_u32_e64 s[6:7], 7, v49
	s_nop 0
	v_mov_b32_dpp v50, v48 row_shr:4 row_mask:0xf bank_mask:0xf
	v_cndmask_b32_e64 v50, 0, v50, s[4:5]
	v_add_u32_e32 v48, v48, v50
	s_nop 1
	v_mov_b32_dpp v50, v48 row_shr:8 row_mask:0xf bank_mask:0xf
	v_cndmask_b32_e64 v49, 0, v50, s[6:7]
	v_add_u32_e32 v48, v48, v49
	v_bfe_i32 v50, v3, 4, 1
	s_nop 0
	v_mov_b32_dpp v49, v48 row_bcast:15 row_mask:0xf bank_mask:0xf
	v_and_b32_e32 v49, v50, v49
	v_add_u32_e32 v48, v48, v49
	v_and_b32_e32 v50, 63, v2
	s_nop 0
	v_mov_b32_dpp v49, v48 row_bcast:31 row_mask:0xf bank_mask:0xf
	v_cndmask_b32_e64 v49, 0, v49, s[8:9]
	v_add_u32_e32 v48, v48, v49
	v_lshrrev_b32_e32 v49, 6, v2
	v_cmp_eq_u32_e64 s[8:9], 63, v50
	s_and_saveexec_b64 s[10:11], s[8:9]
	s_cbranch_execz .LBB1204_85
; %bb.84:
	v_lshlrev_b32_e32 v50, 2, v49
	ds_write_b32 v50, v48
.LBB1204_85:
	s_or_b64 exec, exec, s[10:11]
	v_cmp_gt_u32_e64 s[8:9], 16, v2
	s_waitcnt lgkmcnt(0)
	s_barrier
	s_and_saveexec_b64 s[10:11], s[8:9]
	s_cbranch_execz .LBB1204_87
; %bb.86:
	v_lshlrev_b32_e32 v50, 2, v2
	ds_read_b32 v51, v50
	s_waitcnt lgkmcnt(0)
	s_nop 0
	v_mov_b32_dpp v52, v51 row_shr:1 row_mask:0xf bank_mask:0xf
	v_cndmask_b32_e64 v52, v52, 0, vcc
	v_add_u32_e32 v51, v52, v51
	s_nop 1
	v_mov_b32_dpp v52, v51 row_shr:2 row_mask:0xf bank_mask:0xf
	v_cndmask_b32_e64 v52, 0, v52, s[2:3]
	v_add_u32_e32 v51, v51, v52
	s_nop 1
	v_mov_b32_dpp v52, v51 row_shr:4 row_mask:0xf bank_mask:0xf
	v_cndmask_b32_e64 v52, 0, v52, s[4:5]
	;; [unrolled: 4-line block ×3, first 2 shown]
	v_add_u32_e32 v51, v51, v52
	ds_write_b32 v50, v51
.LBB1204_87:
	s_or_b64 exec, exec, s[10:11]
	v_cmp_lt_u32_e32 vcc, 63, v2
	v_mov_b32_e32 v50, 0
	s_waitcnt lgkmcnt(0)
	s_barrier
	s_and_saveexec_b64 s[2:3], vcc
	s_cbranch_execz .LBB1204_89
; %bb.88:
	v_lshl_add_u32 v49, v49, 2, -4
	ds_read_b32 v50, v49
.LBB1204_89:
	s_or_b64 exec, exec, s[2:3]
	v_add_u32_e32 v49, -1, v3
	v_and_b32_e32 v51, 64, v3
	v_cmp_lt_i32_e32 vcc, v49, v51
	v_cndmask_b32_e32 v49, v49, v3, vcc
	s_waitcnt lgkmcnt(0)
	v_add_u32_e32 v48, v50, v48
	v_lshlrev_b32_e32 v49, 2, v49
	ds_bpermute_b32 v48, v49, v48
	v_cmp_eq_u32_e32 vcc, 0, v3
	s_movk_i32 s2, 0xff
	s_waitcnt lgkmcnt(0)
	v_cndmask_b32_e32 v3, v48, v50, vcc
	v_cndmask_b32_e64 v3, v3, 0, s[0:1]
	v_add_u32_e32 v20, v3, v20
	v_add_u32_e32 v21, v20, v21
	;; [unrolled: 1-line block ×4, first 2 shown]
	ds_write2_b32 v22, v3, v20 offset0:16 offset1:17
	ds_write2_b32 v47, v21, v18 offset0:2 offset1:3
	ds_write_b32 v47, v19 offset:16
	s_waitcnt lgkmcnt(0)
	s_barrier
	ds_read_b32 v50, v23 offset:64
	ds_read_b32 v47, v24 offset:64
	;; [unrolled: 1-line block ×8, first 2 shown]
	s_movk_i32 s0, 0x100
	v_cmp_lt_u32_e32 vcc, s2, v2
	v_cmp_gt_u32_e64 s[0:1], s0, v2
	v_pk_mov_b32 v[20:21], 0, 0
                                        ; implicit-def: $vgpr39
	s_and_saveexec_b64 s[4:5], s[0:1]
	s_cbranch_execz .LBB1204_93
; %bb.90:
	v_mul_u32_u24_e32 v3, 17, v2
	v_lshlrev_b32_e32 v18, 2, v3
	ds_read_b32 v20, v18 offset:64
	v_cmp_ne_u32_e64 s[2:3], s2, v2
	v_mov_b32_e32 v3, 0x2000
	s_and_saveexec_b64 s[6:7], s[2:3]
	s_cbranch_execz .LBB1204_92
; %bb.91:
	ds_read_b32 v3, v18 offset:132
.LBB1204_92:
	s_or_b64 exec, exec, s[6:7]
	s_waitcnt lgkmcnt(0)
	v_sub_u32_e32 v39, v3, v20
	v_mov_b32_e32 v21, 0
.LBB1204_93:
	s_or_b64 exec, exec, s[4:5]
	s_waitcnt lgkmcnt(0)
	s_barrier
	s_and_saveexec_b64 s[2:3], vcc
	s_xor_b64 s[2:3], exec, s[2:3]
; %bb.94:
	v_mov_b32_e32 v3, 0
; %bb.95:
	s_andn2_saveexec_b64 s[2:3], s[2:3]
	s_cbranch_execz .LBB1204_105
; %bb.96:
	v_lshl_or_b32 v18, s28, 8, v2
	v_mov_b32_e32 v19, 0
	v_lshlrev_b64 v[22:23], 2, v[18:19]
	v_mov_b32_e32 v3, s15
	v_add_co_u32_e32 v22, vcc, s14, v22
	v_addc_co_u32_e32 v23, vcc, v3, v23, vcc
	v_or_b32_e32 v18, 2.0, v39
	s_mov_b64 s[4:5], 0
	s_brev_b32 s10, 1
	s_mov_b32 s11, s28
	v_mov_b32_e32 v51, 0
	global_store_dword v[22:23], v18, off
                                        ; implicit-def: $sgpr6_sgpr7
	s_branch .LBB1204_99
.LBB1204_97:                            ;   in Loop: Header=BB1204_99 Depth=1
	s_or_b64 exec, exec, s[8:9]
.LBB1204_98:                            ;   in Loop: Header=BB1204_99 Depth=1
	s_or_b64 exec, exec, s[6:7]
	v_and_b32_e32 v24, 0x3fffffff, v52
	v_add_u32_e32 v51, v24, v51
	v_cmp_eq_u32_e64 s[6:7], s10, v18
	s_and_b64 s[8:9], exec, s[6:7]
	s_or_b64 s[4:5], s[8:9], s[4:5]
	s_andn2_b64 exec, exec, s[4:5]
	s_cbranch_execz .LBB1204_104
.LBB1204_99:                            ; =>This Loop Header: Depth=1
                                        ;     Child Loop BB1204_102 Depth 2
	s_or_b64 s[6:7], s[6:7], exec
	s_cmp_eq_u32 s11, 0
	s_cbranch_scc1 .LBB1204_103
; %bb.100:                              ;   in Loop: Header=BB1204_99 Depth=1
	s_add_i32 s11, s11, -1
	v_lshl_or_b32 v18, s11, 8, v2
	v_lshlrev_b64 v[24:25], 2, v[18:19]
	v_add_co_u32_e32 v24, vcc, s14, v24
	v_addc_co_u32_e32 v25, vcc, v3, v25, vcc
	global_load_dword v52, v[24:25], off glc
	s_waitcnt vmcnt(0)
	v_and_b32_e32 v18, -2.0, v52
	v_cmp_eq_u32_e32 vcc, 0, v18
	s_and_saveexec_b64 s[6:7], vcc
	s_cbranch_execz .LBB1204_98
; %bb.101:                              ;   in Loop: Header=BB1204_99 Depth=1
	s_mov_b64 s[8:9], 0
.LBB1204_102:                           ;   Parent Loop BB1204_99 Depth=1
                                        ; =>  This Inner Loop Header: Depth=2
	global_load_dword v52, v[24:25], off glc
	s_waitcnt vmcnt(0)
	v_and_b32_e32 v18, -2.0, v52
	v_cmp_ne_u32_e32 vcc, 0, v18
	s_or_b64 s[8:9], vcc, s[8:9]
	s_andn2_b64 exec, exec, s[8:9]
	s_cbranch_execnz .LBB1204_102
	s_branch .LBB1204_97
.LBB1204_103:                           ;   in Loop: Header=BB1204_99 Depth=1
                                        ; implicit-def: $sgpr11
	s_and_b64 s[8:9], exec, s[6:7]
	s_or_b64 s[4:5], s[8:9], s[4:5]
	s_andn2_b64 exec, exec, s[4:5]
	s_cbranch_execnz .LBB1204_99
.LBB1204_104:
	s_or_b64 exec, exec, s[4:5]
	v_add_u32_e32 v3, v51, v39
	v_or_b32_e32 v3, 0x80000000, v3
	global_store_dword v[22:23], v3, off
	global_load_dwordx2 v[18:19], v28, s[16:17]
	v_sub_co_u32_e32 v22, vcc, v51, v20
	v_subb_co_u32_e32 v23, vcc, 0, v21, vcc
	v_mov_b32_e32 v3, 0
	s_waitcnt vmcnt(0)
	v_add_co_u32_e32 v18, vcc, v22, v18
	v_addc_co_u32_e32 v19, vcc, v23, v19, vcc
	ds_write_b64 v28, v[18:19]
.LBB1204_105:
	s_or_b64 exec, exec, s[2:3]
	v_lshlrev_b64 v[18:19], 3, v[2:3]
	v_add3_u32 v27, v29, v47, v27
	v_mov_b32_e32 v29, s27
	v_add_co_u32_e32 v18, vcc, s26, v18
	v_add_u32_e32 v22, v50, v26
	v_add_u32_e32 v23, 0x800, v28
	v_add3_u32 v24, v44, v46, v34
	v_add3_u32 v25, v42, v45, v41
	;; [unrolled: 1-line block ×6, first 2 shown]
	v_addc_co_u32_e32 v19, vcc, v29, v19, vcc
	s_mov_b32 s2, 0
.LBB1204_106:                           ; =>This Inner Loop Header: Depth=1
	v_add_u32_e32 v29, s2, v22
	v_add_u32_e32 v36, s2, v34
	;; [unrolled: 1-line block ×8, first 2 shown]
	v_min_u32_e32 v29, 0x800, v29
	v_min_u32_e32 v36, 0x800, v36
	;; [unrolled: 1-line block ×8, first 2 shown]
	v_lshlrev_b32_e32 v29, 3, v29
	v_lshlrev_b32_e32 v36, 3, v36
	;; [unrolled: 1-line block ×8, first 2 shown]
	ds_write_b64 v29, v[4:5] offset:2048
	ds_write_b64 v31, v[0:1] offset:2048
	;; [unrolled: 1-line block ×8, first 2 shown]
	s_waitcnt lgkmcnt(0)
	s_barrier
	ds_read_b64 v[36:37], v28 offset:2048
	s_addk_i32 s2, 0xf800
	s_cmpk_lg_i32 s2, 0xe000
	s_waitcnt lgkmcnt(0)
	v_lshrrev_b64 v[40:41], s20, v[36:37]
	v_and_b32_e32 v29, s13, v40
	v_lshlrev_b32_e32 v29, 3, v29
	ds_read_b64 v[40:41], v29
	ds_read_b64 v[42:43], v23 offset:8192
	s_waitcnt lgkmcnt(1)
	v_lshlrev_b64 v[40:41], 3, v[40:41]
	s_waitcnt lgkmcnt(0)
	v_lshrrev_b64 v[44:45], s20, v[42:43]
	v_add_co_u32_e32 v40, vcc, v18, v40
	v_and_b32_e32 v29, s13, v44
	v_addc_co_u32_e32 v41, vcc, v19, v41, vcc
	v_lshlrev_b32_e32 v29, 3, v29
	global_store_dwordx2 v[40:41], v[36:37], off
	ds_read_b64 v[36:37], v29
	s_waitcnt lgkmcnt(0)
	v_lshlrev_b64 v[36:37], 3, v[36:37]
	v_add_co_u32_e32 v29, vcc, v18, v36
	v_addc_co_u32_e32 v31, vcc, v19, v37, vcc
	v_add_co_u32_e32 v36, vcc, 0x2000, v29
	v_addc_co_u32_e32 v37, vcc, 0, v31, vcc
	;; [unrolled: 2-line block ×3, first 2 shown]
	global_store_dwordx2 v[36:37], v[42:43], off
	s_barrier
	s_cbranch_scc1 .LBB1204_106
; %bb.107:
	s_add_i32 s12, s12, -1
	s_cmp_eq_u32 s12, s28
	s_cselect_b64 s[2:3], -1, 0
	s_and_b64 s[2:3], s[0:1], s[2:3]
.LBB1204_108:
	s_and_saveexec_b64 s[0:1], s[2:3]
	s_cbranch_execnz .LBB1204_110
; %bb.109:
	s_endpgm
.LBB1204_110:
	v_lshlrev_b64 v[0:1], 3, v[2:3]
	ds_read_b64 v[2:3], v28
	v_add_co_u32_e32 v4, vcc, v20, v39
	v_addc_co_u32_e32 v5, vcc, 0, v21, vcc
	v_mov_b32_e32 v6, s19
	v_add_co_u32_e32 v0, vcc, s18, v0
	v_addc_co_u32_e32 v1, vcc, v6, v1, vcc
	s_waitcnt lgkmcnt(0)
	v_add_co_u32_e32 v2, vcc, v4, v2
	v_addc_co_u32_e32 v3, vcc, v5, v3, vcc
	global_store_dwordx2 v[0:1], v[2:3], off
	s_endpgm
	.section	.rodata,"a",@progbits
	.p2align	6, 0x0
	.amdhsa_kernel _ZN7rocprim17ROCPRIM_400000_NS6detail17trampoline_kernelINS0_14default_configENS1_35radix_sort_onesweep_config_selectorIyNS0_10empty_typeEEEZZNS1_29radix_sort_onesweep_iterationIS3_Lb0EPyS8_PS5_S9_mNS0_19identity_decomposerENS1_16block_id_wrapperIjLb1EEEEE10hipError_tT1_PNSt15iterator_traitsISE_E10value_typeET2_T3_PNSF_ISK_E10value_typeET4_T5_PSP_SQ_PNS1_23onesweep_lookback_stateEbbT6_jjT7_P12ihipStream_tbENKUlT_T0_SE_SJ_E_clIS8_S8_S9_S9_EEDaSX_SY_SE_SJ_EUlSX_E_NS1_11comp_targetILNS1_3genE4ELNS1_11target_archE910ELNS1_3gpuE8ELNS1_3repE0EEENS1_47radix_sort_onesweep_sort_config_static_selectorELNS0_4arch9wavefront6targetE1EEEvSE_
		.amdhsa_group_segment_fixed_size 20552
		.amdhsa_private_segment_fixed_size 0
		.amdhsa_kernarg_size 344
		.amdhsa_user_sgpr_count 6
		.amdhsa_user_sgpr_private_segment_buffer 1
		.amdhsa_user_sgpr_dispatch_ptr 0
		.amdhsa_user_sgpr_queue_ptr 0
		.amdhsa_user_sgpr_kernarg_segment_ptr 1
		.amdhsa_user_sgpr_dispatch_id 0
		.amdhsa_user_sgpr_flat_scratch_init 0
		.amdhsa_user_sgpr_kernarg_preload_length 0
		.amdhsa_user_sgpr_kernarg_preload_offset 0
		.amdhsa_user_sgpr_private_segment_size 0
		.amdhsa_uses_dynamic_stack 0
		.amdhsa_system_sgpr_private_segment_wavefront_offset 0
		.amdhsa_system_sgpr_workgroup_id_x 1
		.amdhsa_system_sgpr_workgroup_id_y 0
		.amdhsa_system_sgpr_workgroup_id_z 0
		.amdhsa_system_sgpr_workgroup_info 0
		.amdhsa_system_vgpr_workitem_id 2
		.amdhsa_next_free_vgpr 55
		.amdhsa_next_free_sgpr 34
		.amdhsa_accum_offset 56
		.amdhsa_reserve_vcc 1
		.amdhsa_reserve_flat_scratch 0
		.amdhsa_float_round_mode_32 0
		.amdhsa_float_round_mode_16_64 0
		.amdhsa_float_denorm_mode_32 3
		.amdhsa_float_denorm_mode_16_64 3
		.amdhsa_dx10_clamp 1
		.amdhsa_ieee_mode 1
		.amdhsa_fp16_overflow 0
		.amdhsa_tg_split 0
		.amdhsa_exception_fp_ieee_invalid_op 0
		.amdhsa_exception_fp_denorm_src 0
		.amdhsa_exception_fp_ieee_div_zero 0
		.amdhsa_exception_fp_ieee_overflow 0
		.amdhsa_exception_fp_ieee_underflow 0
		.amdhsa_exception_fp_ieee_inexact 0
		.amdhsa_exception_int_div_zero 0
	.end_amdhsa_kernel
	.section	.text._ZN7rocprim17ROCPRIM_400000_NS6detail17trampoline_kernelINS0_14default_configENS1_35radix_sort_onesweep_config_selectorIyNS0_10empty_typeEEEZZNS1_29radix_sort_onesweep_iterationIS3_Lb0EPyS8_PS5_S9_mNS0_19identity_decomposerENS1_16block_id_wrapperIjLb1EEEEE10hipError_tT1_PNSt15iterator_traitsISE_E10value_typeET2_T3_PNSF_ISK_E10value_typeET4_T5_PSP_SQ_PNS1_23onesweep_lookback_stateEbbT6_jjT7_P12ihipStream_tbENKUlT_T0_SE_SJ_E_clIS8_S8_S9_S9_EEDaSX_SY_SE_SJ_EUlSX_E_NS1_11comp_targetILNS1_3genE4ELNS1_11target_archE910ELNS1_3gpuE8ELNS1_3repE0EEENS1_47radix_sort_onesweep_sort_config_static_selectorELNS0_4arch9wavefront6targetE1EEEvSE_,"axG",@progbits,_ZN7rocprim17ROCPRIM_400000_NS6detail17trampoline_kernelINS0_14default_configENS1_35radix_sort_onesweep_config_selectorIyNS0_10empty_typeEEEZZNS1_29radix_sort_onesweep_iterationIS3_Lb0EPyS8_PS5_S9_mNS0_19identity_decomposerENS1_16block_id_wrapperIjLb1EEEEE10hipError_tT1_PNSt15iterator_traitsISE_E10value_typeET2_T3_PNSF_ISK_E10value_typeET4_T5_PSP_SQ_PNS1_23onesweep_lookback_stateEbbT6_jjT7_P12ihipStream_tbENKUlT_T0_SE_SJ_E_clIS8_S8_S9_S9_EEDaSX_SY_SE_SJ_EUlSX_E_NS1_11comp_targetILNS1_3genE4ELNS1_11target_archE910ELNS1_3gpuE8ELNS1_3repE0EEENS1_47radix_sort_onesweep_sort_config_static_selectorELNS0_4arch9wavefront6targetE1EEEvSE_,comdat
.Lfunc_end1204:
	.size	_ZN7rocprim17ROCPRIM_400000_NS6detail17trampoline_kernelINS0_14default_configENS1_35radix_sort_onesweep_config_selectorIyNS0_10empty_typeEEEZZNS1_29radix_sort_onesweep_iterationIS3_Lb0EPyS8_PS5_S9_mNS0_19identity_decomposerENS1_16block_id_wrapperIjLb1EEEEE10hipError_tT1_PNSt15iterator_traitsISE_E10value_typeET2_T3_PNSF_ISK_E10value_typeET4_T5_PSP_SQ_PNS1_23onesweep_lookback_stateEbbT6_jjT7_P12ihipStream_tbENKUlT_T0_SE_SJ_E_clIS8_S8_S9_S9_EEDaSX_SY_SE_SJ_EUlSX_E_NS1_11comp_targetILNS1_3genE4ELNS1_11target_archE910ELNS1_3gpuE8ELNS1_3repE0EEENS1_47radix_sort_onesweep_sort_config_static_selectorELNS0_4arch9wavefront6targetE1EEEvSE_, .Lfunc_end1204-_ZN7rocprim17ROCPRIM_400000_NS6detail17trampoline_kernelINS0_14default_configENS1_35radix_sort_onesweep_config_selectorIyNS0_10empty_typeEEEZZNS1_29radix_sort_onesweep_iterationIS3_Lb0EPyS8_PS5_S9_mNS0_19identity_decomposerENS1_16block_id_wrapperIjLb1EEEEE10hipError_tT1_PNSt15iterator_traitsISE_E10value_typeET2_T3_PNSF_ISK_E10value_typeET4_T5_PSP_SQ_PNS1_23onesweep_lookback_stateEbbT6_jjT7_P12ihipStream_tbENKUlT_T0_SE_SJ_E_clIS8_S8_S9_S9_EEDaSX_SY_SE_SJ_EUlSX_E_NS1_11comp_targetILNS1_3genE4ELNS1_11target_archE910ELNS1_3gpuE8ELNS1_3repE0EEENS1_47radix_sort_onesweep_sort_config_static_selectorELNS0_4arch9wavefront6targetE1EEEvSE_
                                        ; -- End function
	.section	.AMDGPU.csdata,"",@progbits
; Kernel info:
; codeLenInByte = 10292
; NumSgprs: 38
; NumVgprs: 55
; NumAgprs: 0
; TotalNumVgprs: 55
; ScratchSize: 0
; MemoryBound: 0
; FloatMode: 240
; IeeeMode: 1
; LDSByteSize: 20552 bytes/workgroup (compile time only)
; SGPRBlocks: 4
; VGPRBlocks: 6
; NumSGPRsForWavesPerEU: 38
; NumVGPRsForWavesPerEU: 55
; AccumOffset: 56
; Occupancy: 8
; WaveLimiterHint : 1
; COMPUTE_PGM_RSRC2:SCRATCH_EN: 0
; COMPUTE_PGM_RSRC2:USER_SGPR: 6
; COMPUTE_PGM_RSRC2:TRAP_HANDLER: 0
; COMPUTE_PGM_RSRC2:TGID_X_EN: 1
; COMPUTE_PGM_RSRC2:TGID_Y_EN: 0
; COMPUTE_PGM_RSRC2:TGID_Z_EN: 0
; COMPUTE_PGM_RSRC2:TIDIG_COMP_CNT: 2
; COMPUTE_PGM_RSRC3_GFX90A:ACCUM_OFFSET: 13
; COMPUTE_PGM_RSRC3_GFX90A:TG_SPLIT: 0
	.section	.text._ZN7rocprim17ROCPRIM_400000_NS6detail17trampoline_kernelINS0_14default_configENS1_35radix_sort_onesweep_config_selectorIyNS0_10empty_typeEEEZZNS1_29radix_sort_onesweep_iterationIS3_Lb0EPyS8_PS5_S9_mNS0_19identity_decomposerENS1_16block_id_wrapperIjLb1EEEEE10hipError_tT1_PNSt15iterator_traitsISE_E10value_typeET2_T3_PNSF_ISK_E10value_typeET4_T5_PSP_SQ_PNS1_23onesweep_lookback_stateEbbT6_jjT7_P12ihipStream_tbENKUlT_T0_SE_SJ_E_clIS8_S8_S9_S9_EEDaSX_SY_SE_SJ_EUlSX_E_NS1_11comp_targetILNS1_3genE3ELNS1_11target_archE908ELNS1_3gpuE7ELNS1_3repE0EEENS1_47radix_sort_onesweep_sort_config_static_selectorELNS0_4arch9wavefront6targetE1EEEvSE_,"axG",@progbits,_ZN7rocprim17ROCPRIM_400000_NS6detail17trampoline_kernelINS0_14default_configENS1_35radix_sort_onesweep_config_selectorIyNS0_10empty_typeEEEZZNS1_29radix_sort_onesweep_iterationIS3_Lb0EPyS8_PS5_S9_mNS0_19identity_decomposerENS1_16block_id_wrapperIjLb1EEEEE10hipError_tT1_PNSt15iterator_traitsISE_E10value_typeET2_T3_PNSF_ISK_E10value_typeET4_T5_PSP_SQ_PNS1_23onesweep_lookback_stateEbbT6_jjT7_P12ihipStream_tbENKUlT_T0_SE_SJ_E_clIS8_S8_S9_S9_EEDaSX_SY_SE_SJ_EUlSX_E_NS1_11comp_targetILNS1_3genE3ELNS1_11target_archE908ELNS1_3gpuE7ELNS1_3repE0EEENS1_47radix_sort_onesweep_sort_config_static_selectorELNS0_4arch9wavefront6targetE1EEEvSE_,comdat
	.protected	_ZN7rocprim17ROCPRIM_400000_NS6detail17trampoline_kernelINS0_14default_configENS1_35radix_sort_onesweep_config_selectorIyNS0_10empty_typeEEEZZNS1_29radix_sort_onesweep_iterationIS3_Lb0EPyS8_PS5_S9_mNS0_19identity_decomposerENS1_16block_id_wrapperIjLb1EEEEE10hipError_tT1_PNSt15iterator_traitsISE_E10value_typeET2_T3_PNSF_ISK_E10value_typeET4_T5_PSP_SQ_PNS1_23onesweep_lookback_stateEbbT6_jjT7_P12ihipStream_tbENKUlT_T0_SE_SJ_E_clIS8_S8_S9_S9_EEDaSX_SY_SE_SJ_EUlSX_E_NS1_11comp_targetILNS1_3genE3ELNS1_11target_archE908ELNS1_3gpuE7ELNS1_3repE0EEENS1_47radix_sort_onesweep_sort_config_static_selectorELNS0_4arch9wavefront6targetE1EEEvSE_ ; -- Begin function _ZN7rocprim17ROCPRIM_400000_NS6detail17trampoline_kernelINS0_14default_configENS1_35radix_sort_onesweep_config_selectorIyNS0_10empty_typeEEEZZNS1_29radix_sort_onesweep_iterationIS3_Lb0EPyS8_PS5_S9_mNS0_19identity_decomposerENS1_16block_id_wrapperIjLb1EEEEE10hipError_tT1_PNSt15iterator_traitsISE_E10value_typeET2_T3_PNSF_ISK_E10value_typeET4_T5_PSP_SQ_PNS1_23onesweep_lookback_stateEbbT6_jjT7_P12ihipStream_tbENKUlT_T0_SE_SJ_E_clIS8_S8_S9_S9_EEDaSX_SY_SE_SJ_EUlSX_E_NS1_11comp_targetILNS1_3genE3ELNS1_11target_archE908ELNS1_3gpuE7ELNS1_3repE0EEENS1_47radix_sort_onesweep_sort_config_static_selectorELNS0_4arch9wavefront6targetE1EEEvSE_
	.globl	_ZN7rocprim17ROCPRIM_400000_NS6detail17trampoline_kernelINS0_14default_configENS1_35radix_sort_onesweep_config_selectorIyNS0_10empty_typeEEEZZNS1_29radix_sort_onesweep_iterationIS3_Lb0EPyS8_PS5_S9_mNS0_19identity_decomposerENS1_16block_id_wrapperIjLb1EEEEE10hipError_tT1_PNSt15iterator_traitsISE_E10value_typeET2_T3_PNSF_ISK_E10value_typeET4_T5_PSP_SQ_PNS1_23onesweep_lookback_stateEbbT6_jjT7_P12ihipStream_tbENKUlT_T0_SE_SJ_E_clIS8_S8_S9_S9_EEDaSX_SY_SE_SJ_EUlSX_E_NS1_11comp_targetILNS1_3genE3ELNS1_11target_archE908ELNS1_3gpuE7ELNS1_3repE0EEENS1_47radix_sort_onesweep_sort_config_static_selectorELNS0_4arch9wavefront6targetE1EEEvSE_
	.p2align	8
	.type	_ZN7rocprim17ROCPRIM_400000_NS6detail17trampoline_kernelINS0_14default_configENS1_35radix_sort_onesweep_config_selectorIyNS0_10empty_typeEEEZZNS1_29radix_sort_onesweep_iterationIS3_Lb0EPyS8_PS5_S9_mNS0_19identity_decomposerENS1_16block_id_wrapperIjLb1EEEEE10hipError_tT1_PNSt15iterator_traitsISE_E10value_typeET2_T3_PNSF_ISK_E10value_typeET4_T5_PSP_SQ_PNS1_23onesweep_lookback_stateEbbT6_jjT7_P12ihipStream_tbENKUlT_T0_SE_SJ_E_clIS8_S8_S9_S9_EEDaSX_SY_SE_SJ_EUlSX_E_NS1_11comp_targetILNS1_3genE3ELNS1_11target_archE908ELNS1_3gpuE7ELNS1_3repE0EEENS1_47radix_sort_onesweep_sort_config_static_selectorELNS0_4arch9wavefront6targetE1EEEvSE_,@function
_ZN7rocprim17ROCPRIM_400000_NS6detail17trampoline_kernelINS0_14default_configENS1_35radix_sort_onesweep_config_selectorIyNS0_10empty_typeEEEZZNS1_29radix_sort_onesweep_iterationIS3_Lb0EPyS8_PS5_S9_mNS0_19identity_decomposerENS1_16block_id_wrapperIjLb1EEEEE10hipError_tT1_PNSt15iterator_traitsISE_E10value_typeET2_T3_PNSF_ISK_E10value_typeET4_T5_PSP_SQ_PNS1_23onesweep_lookback_stateEbbT6_jjT7_P12ihipStream_tbENKUlT_T0_SE_SJ_E_clIS8_S8_S9_S9_EEDaSX_SY_SE_SJ_EUlSX_E_NS1_11comp_targetILNS1_3genE3ELNS1_11target_archE908ELNS1_3gpuE7ELNS1_3repE0EEENS1_47radix_sort_onesweep_sort_config_static_selectorELNS0_4arch9wavefront6targetE1EEEvSE_: ; @_ZN7rocprim17ROCPRIM_400000_NS6detail17trampoline_kernelINS0_14default_configENS1_35radix_sort_onesweep_config_selectorIyNS0_10empty_typeEEEZZNS1_29radix_sort_onesweep_iterationIS3_Lb0EPyS8_PS5_S9_mNS0_19identity_decomposerENS1_16block_id_wrapperIjLb1EEEEE10hipError_tT1_PNSt15iterator_traitsISE_E10value_typeET2_T3_PNSF_ISK_E10value_typeET4_T5_PSP_SQ_PNS1_23onesweep_lookback_stateEbbT6_jjT7_P12ihipStream_tbENKUlT_T0_SE_SJ_E_clIS8_S8_S9_S9_EEDaSX_SY_SE_SJ_EUlSX_E_NS1_11comp_targetILNS1_3genE3ELNS1_11target_archE908ELNS1_3gpuE7ELNS1_3repE0EEENS1_47radix_sort_onesweep_sort_config_static_selectorELNS0_4arch9wavefront6targetE1EEEvSE_
; %bb.0:
	.section	.rodata,"a",@progbits
	.p2align	6, 0x0
	.amdhsa_kernel _ZN7rocprim17ROCPRIM_400000_NS6detail17trampoline_kernelINS0_14default_configENS1_35radix_sort_onesweep_config_selectorIyNS0_10empty_typeEEEZZNS1_29radix_sort_onesweep_iterationIS3_Lb0EPyS8_PS5_S9_mNS0_19identity_decomposerENS1_16block_id_wrapperIjLb1EEEEE10hipError_tT1_PNSt15iterator_traitsISE_E10value_typeET2_T3_PNSF_ISK_E10value_typeET4_T5_PSP_SQ_PNS1_23onesweep_lookback_stateEbbT6_jjT7_P12ihipStream_tbENKUlT_T0_SE_SJ_E_clIS8_S8_S9_S9_EEDaSX_SY_SE_SJ_EUlSX_E_NS1_11comp_targetILNS1_3genE3ELNS1_11target_archE908ELNS1_3gpuE7ELNS1_3repE0EEENS1_47radix_sort_onesweep_sort_config_static_selectorELNS0_4arch9wavefront6targetE1EEEvSE_
		.amdhsa_group_segment_fixed_size 0
		.amdhsa_private_segment_fixed_size 0
		.amdhsa_kernarg_size 88
		.amdhsa_user_sgpr_count 6
		.amdhsa_user_sgpr_private_segment_buffer 1
		.amdhsa_user_sgpr_dispatch_ptr 0
		.amdhsa_user_sgpr_queue_ptr 0
		.amdhsa_user_sgpr_kernarg_segment_ptr 1
		.amdhsa_user_sgpr_dispatch_id 0
		.amdhsa_user_sgpr_flat_scratch_init 0
		.amdhsa_user_sgpr_kernarg_preload_length 0
		.amdhsa_user_sgpr_kernarg_preload_offset 0
		.amdhsa_user_sgpr_private_segment_size 0
		.amdhsa_uses_dynamic_stack 0
		.amdhsa_system_sgpr_private_segment_wavefront_offset 0
		.amdhsa_system_sgpr_workgroup_id_x 1
		.amdhsa_system_sgpr_workgroup_id_y 0
		.amdhsa_system_sgpr_workgroup_id_z 0
		.amdhsa_system_sgpr_workgroup_info 0
		.amdhsa_system_vgpr_workitem_id 0
		.amdhsa_next_free_vgpr 1
		.amdhsa_next_free_sgpr 0
		.amdhsa_accum_offset 4
		.amdhsa_reserve_vcc 0
		.amdhsa_reserve_flat_scratch 0
		.amdhsa_float_round_mode_32 0
		.amdhsa_float_round_mode_16_64 0
		.amdhsa_float_denorm_mode_32 3
		.amdhsa_float_denorm_mode_16_64 3
		.amdhsa_dx10_clamp 1
		.amdhsa_ieee_mode 1
		.amdhsa_fp16_overflow 0
		.amdhsa_tg_split 0
		.amdhsa_exception_fp_ieee_invalid_op 0
		.amdhsa_exception_fp_denorm_src 0
		.amdhsa_exception_fp_ieee_div_zero 0
		.amdhsa_exception_fp_ieee_overflow 0
		.amdhsa_exception_fp_ieee_underflow 0
		.amdhsa_exception_fp_ieee_inexact 0
		.amdhsa_exception_int_div_zero 0
	.end_amdhsa_kernel
	.section	.text._ZN7rocprim17ROCPRIM_400000_NS6detail17trampoline_kernelINS0_14default_configENS1_35radix_sort_onesweep_config_selectorIyNS0_10empty_typeEEEZZNS1_29radix_sort_onesweep_iterationIS3_Lb0EPyS8_PS5_S9_mNS0_19identity_decomposerENS1_16block_id_wrapperIjLb1EEEEE10hipError_tT1_PNSt15iterator_traitsISE_E10value_typeET2_T3_PNSF_ISK_E10value_typeET4_T5_PSP_SQ_PNS1_23onesweep_lookback_stateEbbT6_jjT7_P12ihipStream_tbENKUlT_T0_SE_SJ_E_clIS8_S8_S9_S9_EEDaSX_SY_SE_SJ_EUlSX_E_NS1_11comp_targetILNS1_3genE3ELNS1_11target_archE908ELNS1_3gpuE7ELNS1_3repE0EEENS1_47radix_sort_onesweep_sort_config_static_selectorELNS0_4arch9wavefront6targetE1EEEvSE_,"axG",@progbits,_ZN7rocprim17ROCPRIM_400000_NS6detail17trampoline_kernelINS0_14default_configENS1_35radix_sort_onesweep_config_selectorIyNS0_10empty_typeEEEZZNS1_29radix_sort_onesweep_iterationIS3_Lb0EPyS8_PS5_S9_mNS0_19identity_decomposerENS1_16block_id_wrapperIjLb1EEEEE10hipError_tT1_PNSt15iterator_traitsISE_E10value_typeET2_T3_PNSF_ISK_E10value_typeET4_T5_PSP_SQ_PNS1_23onesweep_lookback_stateEbbT6_jjT7_P12ihipStream_tbENKUlT_T0_SE_SJ_E_clIS8_S8_S9_S9_EEDaSX_SY_SE_SJ_EUlSX_E_NS1_11comp_targetILNS1_3genE3ELNS1_11target_archE908ELNS1_3gpuE7ELNS1_3repE0EEENS1_47radix_sort_onesweep_sort_config_static_selectorELNS0_4arch9wavefront6targetE1EEEvSE_,comdat
.Lfunc_end1205:
	.size	_ZN7rocprim17ROCPRIM_400000_NS6detail17trampoline_kernelINS0_14default_configENS1_35radix_sort_onesweep_config_selectorIyNS0_10empty_typeEEEZZNS1_29radix_sort_onesweep_iterationIS3_Lb0EPyS8_PS5_S9_mNS0_19identity_decomposerENS1_16block_id_wrapperIjLb1EEEEE10hipError_tT1_PNSt15iterator_traitsISE_E10value_typeET2_T3_PNSF_ISK_E10value_typeET4_T5_PSP_SQ_PNS1_23onesweep_lookback_stateEbbT6_jjT7_P12ihipStream_tbENKUlT_T0_SE_SJ_E_clIS8_S8_S9_S9_EEDaSX_SY_SE_SJ_EUlSX_E_NS1_11comp_targetILNS1_3genE3ELNS1_11target_archE908ELNS1_3gpuE7ELNS1_3repE0EEENS1_47radix_sort_onesweep_sort_config_static_selectorELNS0_4arch9wavefront6targetE1EEEvSE_, .Lfunc_end1205-_ZN7rocprim17ROCPRIM_400000_NS6detail17trampoline_kernelINS0_14default_configENS1_35radix_sort_onesweep_config_selectorIyNS0_10empty_typeEEEZZNS1_29radix_sort_onesweep_iterationIS3_Lb0EPyS8_PS5_S9_mNS0_19identity_decomposerENS1_16block_id_wrapperIjLb1EEEEE10hipError_tT1_PNSt15iterator_traitsISE_E10value_typeET2_T3_PNSF_ISK_E10value_typeET4_T5_PSP_SQ_PNS1_23onesweep_lookback_stateEbbT6_jjT7_P12ihipStream_tbENKUlT_T0_SE_SJ_E_clIS8_S8_S9_S9_EEDaSX_SY_SE_SJ_EUlSX_E_NS1_11comp_targetILNS1_3genE3ELNS1_11target_archE908ELNS1_3gpuE7ELNS1_3repE0EEENS1_47radix_sort_onesweep_sort_config_static_selectorELNS0_4arch9wavefront6targetE1EEEvSE_
                                        ; -- End function
	.section	.AMDGPU.csdata,"",@progbits
; Kernel info:
; codeLenInByte = 0
; NumSgprs: 4
; NumVgprs: 0
; NumAgprs: 0
; TotalNumVgprs: 0
; ScratchSize: 0
; MemoryBound: 0
; FloatMode: 240
; IeeeMode: 1
; LDSByteSize: 0 bytes/workgroup (compile time only)
; SGPRBlocks: 0
; VGPRBlocks: 0
; NumSGPRsForWavesPerEU: 4
; NumVGPRsForWavesPerEU: 1
; AccumOffset: 4
; Occupancy: 8
; WaveLimiterHint : 0
; COMPUTE_PGM_RSRC2:SCRATCH_EN: 0
; COMPUTE_PGM_RSRC2:USER_SGPR: 6
; COMPUTE_PGM_RSRC2:TRAP_HANDLER: 0
; COMPUTE_PGM_RSRC2:TGID_X_EN: 1
; COMPUTE_PGM_RSRC2:TGID_Y_EN: 0
; COMPUTE_PGM_RSRC2:TGID_Z_EN: 0
; COMPUTE_PGM_RSRC2:TIDIG_COMP_CNT: 0
; COMPUTE_PGM_RSRC3_GFX90A:ACCUM_OFFSET: 0
; COMPUTE_PGM_RSRC3_GFX90A:TG_SPLIT: 0
	.section	.text._ZN7rocprim17ROCPRIM_400000_NS6detail17trampoline_kernelINS0_14default_configENS1_35radix_sort_onesweep_config_selectorIyNS0_10empty_typeEEEZZNS1_29radix_sort_onesweep_iterationIS3_Lb0EPyS8_PS5_S9_mNS0_19identity_decomposerENS1_16block_id_wrapperIjLb1EEEEE10hipError_tT1_PNSt15iterator_traitsISE_E10value_typeET2_T3_PNSF_ISK_E10value_typeET4_T5_PSP_SQ_PNS1_23onesweep_lookback_stateEbbT6_jjT7_P12ihipStream_tbENKUlT_T0_SE_SJ_E_clIS8_S8_S9_S9_EEDaSX_SY_SE_SJ_EUlSX_E_NS1_11comp_targetILNS1_3genE10ELNS1_11target_archE1201ELNS1_3gpuE5ELNS1_3repE0EEENS1_47radix_sort_onesweep_sort_config_static_selectorELNS0_4arch9wavefront6targetE1EEEvSE_,"axG",@progbits,_ZN7rocprim17ROCPRIM_400000_NS6detail17trampoline_kernelINS0_14default_configENS1_35radix_sort_onesweep_config_selectorIyNS0_10empty_typeEEEZZNS1_29radix_sort_onesweep_iterationIS3_Lb0EPyS8_PS5_S9_mNS0_19identity_decomposerENS1_16block_id_wrapperIjLb1EEEEE10hipError_tT1_PNSt15iterator_traitsISE_E10value_typeET2_T3_PNSF_ISK_E10value_typeET4_T5_PSP_SQ_PNS1_23onesweep_lookback_stateEbbT6_jjT7_P12ihipStream_tbENKUlT_T0_SE_SJ_E_clIS8_S8_S9_S9_EEDaSX_SY_SE_SJ_EUlSX_E_NS1_11comp_targetILNS1_3genE10ELNS1_11target_archE1201ELNS1_3gpuE5ELNS1_3repE0EEENS1_47radix_sort_onesweep_sort_config_static_selectorELNS0_4arch9wavefront6targetE1EEEvSE_,comdat
	.protected	_ZN7rocprim17ROCPRIM_400000_NS6detail17trampoline_kernelINS0_14default_configENS1_35radix_sort_onesweep_config_selectorIyNS0_10empty_typeEEEZZNS1_29radix_sort_onesweep_iterationIS3_Lb0EPyS8_PS5_S9_mNS0_19identity_decomposerENS1_16block_id_wrapperIjLb1EEEEE10hipError_tT1_PNSt15iterator_traitsISE_E10value_typeET2_T3_PNSF_ISK_E10value_typeET4_T5_PSP_SQ_PNS1_23onesweep_lookback_stateEbbT6_jjT7_P12ihipStream_tbENKUlT_T0_SE_SJ_E_clIS8_S8_S9_S9_EEDaSX_SY_SE_SJ_EUlSX_E_NS1_11comp_targetILNS1_3genE10ELNS1_11target_archE1201ELNS1_3gpuE5ELNS1_3repE0EEENS1_47radix_sort_onesweep_sort_config_static_selectorELNS0_4arch9wavefront6targetE1EEEvSE_ ; -- Begin function _ZN7rocprim17ROCPRIM_400000_NS6detail17trampoline_kernelINS0_14default_configENS1_35radix_sort_onesweep_config_selectorIyNS0_10empty_typeEEEZZNS1_29radix_sort_onesweep_iterationIS3_Lb0EPyS8_PS5_S9_mNS0_19identity_decomposerENS1_16block_id_wrapperIjLb1EEEEE10hipError_tT1_PNSt15iterator_traitsISE_E10value_typeET2_T3_PNSF_ISK_E10value_typeET4_T5_PSP_SQ_PNS1_23onesweep_lookback_stateEbbT6_jjT7_P12ihipStream_tbENKUlT_T0_SE_SJ_E_clIS8_S8_S9_S9_EEDaSX_SY_SE_SJ_EUlSX_E_NS1_11comp_targetILNS1_3genE10ELNS1_11target_archE1201ELNS1_3gpuE5ELNS1_3repE0EEENS1_47radix_sort_onesweep_sort_config_static_selectorELNS0_4arch9wavefront6targetE1EEEvSE_
	.globl	_ZN7rocprim17ROCPRIM_400000_NS6detail17trampoline_kernelINS0_14default_configENS1_35radix_sort_onesweep_config_selectorIyNS0_10empty_typeEEEZZNS1_29radix_sort_onesweep_iterationIS3_Lb0EPyS8_PS5_S9_mNS0_19identity_decomposerENS1_16block_id_wrapperIjLb1EEEEE10hipError_tT1_PNSt15iterator_traitsISE_E10value_typeET2_T3_PNSF_ISK_E10value_typeET4_T5_PSP_SQ_PNS1_23onesweep_lookback_stateEbbT6_jjT7_P12ihipStream_tbENKUlT_T0_SE_SJ_E_clIS8_S8_S9_S9_EEDaSX_SY_SE_SJ_EUlSX_E_NS1_11comp_targetILNS1_3genE10ELNS1_11target_archE1201ELNS1_3gpuE5ELNS1_3repE0EEENS1_47radix_sort_onesweep_sort_config_static_selectorELNS0_4arch9wavefront6targetE1EEEvSE_
	.p2align	8
	.type	_ZN7rocprim17ROCPRIM_400000_NS6detail17trampoline_kernelINS0_14default_configENS1_35radix_sort_onesweep_config_selectorIyNS0_10empty_typeEEEZZNS1_29radix_sort_onesweep_iterationIS3_Lb0EPyS8_PS5_S9_mNS0_19identity_decomposerENS1_16block_id_wrapperIjLb1EEEEE10hipError_tT1_PNSt15iterator_traitsISE_E10value_typeET2_T3_PNSF_ISK_E10value_typeET4_T5_PSP_SQ_PNS1_23onesweep_lookback_stateEbbT6_jjT7_P12ihipStream_tbENKUlT_T0_SE_SJ_E_clIS8_S8_S9_S9_EEDaSX_SY_SE_SJ_EUlSX_E_NS1_11comp_targetILNS1_3genE10ELNS1_11target_archE1201ELNS1_3gpuE5ELNS1_3repE0EEENS1_47radix_sort_onesweep_sort_config_static_selectorELNS0_4arch9wavefront6targetE1EEEvSE_,@function
_ZN7rocprim17ROCPRIM_400000_NS6detail17trampoline_kernelINS0_14default_configENS1_35radix_sort_onesweep_config_selectorIyNS0_10empty_typeEEEZZNS1_29radix_sort_onesweep_iterationIS3_Lb0EPyS8_PS5_S9_mNS0_19identity_decomposerENS1_16block_id_wrapperIjLb1EEEEE10hipError_tT1_PNSt15iterator_traitsISE_E10value_typeET2_T3_PNSF_ISK_E10value_typeET4_T5_PSP_SQ_PNS1_23onesweep_lookback_stateEbbT6_jjT7_P12ihipStream_tbENKUlT_T0_SE_SJ_E_clIS8_S8_S9_S9_EEDaSX_SY_SE_SJ_EUlSX_E_NS1_11comp_targetILNS1_3genE10ELNS1_11target_archE1201ELNS1_3gpuE5ELNS1_3repE0EEENS1_47radix_sort_onesweep_sort_config_static_selectorELNS0_4arch9wavefront6targetE1EEEvSE_: ; @_ZN7rocprim17ROCPRIM_400000_NS6detail17trampoline_kernelINS0_14default_configENS1_35radix_sort_onesweep_config_selectorIyNS0_10empty_typeEEEZZNS1_29radix_sort_onesweep_iterationIS3_Lb0EPyS8_PS5_S9_mNS0_19identity_decomposerENS1_16block_id_wrapperIjLb1EEEEE10hipError_tT1_PNSt15iterator_traitsISE_E10value_typeET2_T3_PNSF_ISK_E10value_typeET4_T5_PSP_SQ_PNS1_23onesweep_lookback_stateEbbT6_jjT7_P12ihipStream_tbENKUlT_T0_SE_SJ_E_clIS8_S8_S9_S9_EEDaSX_SY_SE_SJ_EUlSX_E_NS1_11comp_targetILNS1_3genE10ELNS1_11target_archE1201ELNS1_3gpuE5ELNS1_3repE0EEENS1_47radix_sort_onesweep_sort_config_static_selectorELNS0_4arch9wavefront6targetE1EEEvSE_
; %bb.0:
	.section	.rodata,"a",@progbits
	.p2align	6, 0x0
	.amdhsa_kernel _ZN7rocprim17ROCPRIM_400000_NS6detail17trampoline_kernelINS0_14default_configENS1_35radix_sort_onesweep_config_selectorIyNS0_10empty_typeEEEZZNS1_29radix_sort_onesweep_iterationIS3_Lb0EPyS8_PS5_S9_mNS0_19identity_decomposerENS1_16block_id_wrapperIjLb1EEEEE10hipError_tT1_PNSt15iterator_traitsISE_E10value_typeET2_T3_PNSF_ISK_E10value_typeET4_T5_PSP_SQ_PNS1_23onesweep_lookback_stateEbbT6_jjT7_P12ihipStream_tbENKUlT_T0_SE_SJ_E_clIS8_S8_S9_S9_EEDaSX_SY_SE_SJ_EUlSX_E_NS1_11comp_targetILNS1_3genE10ELNS1_11target_archE1201ELNS1_3gpuE5ELNS1_3repE0EEENS1_47radix_sort_onesweep_sort_config_static_selectorELNS0_4arch9wavefront6targetE1EEEvSE_
		.amdhsa_group_segment_fixed_size 0
		.amdhsa_private_segment_fixed_size 0
		.amdhsa_kernarg_size 88
		.amdhsa_user_sgpr_count 6
		.amdhsa_user_sgpr_private_segment_buffer 1
		.amdhsa_user_sgpr_dispatch_ptr 0
		.amdhsa_user_sgpr_queue_ptr 0
		.amdhsa_user_sgpr_kernarg_segment_ptr 1
		.amdhsa_user_sgpr_dispatch_id 0
		.amdhsa_user_sgpr_flat_scratch_init 0
		.amdhsa_user_sgpr_kernarg_preload_length 0
		.amdhsa_user_sgpr_kernarg_preload_offset 0
		.amdhsa_user_sgpr_private_segment_size 0
		.amdhsa_uses_dynamic_stack 0
		.amdhsa_system_sgpr_private_segment_wavefront_offset 0
		.amdhsa_system_sgpr_workgroup_id_x 1
		.amdhsa_system_sgpr_workgroup_id_y 0
		.amdhsa_system_sgpr_workgroup_id_z 0
		.amdhsa_system_sgpr_workgroup_info 0
		.amdhsa_system_vgpr_workitem_id 0
		.amdhsa_next_free_vgpr 1
		.amdhsa_next_free_sgpr 0
		.amdhsa_accum_offset 4
		.amdhsa_reserve_vcc 0
		.amdhsa_reserve_flat_scratch 0
		.amdhsa_float_round_mode_32 0
		.amdhsa_float_round_mode_16_64 0
		.amdhsa_float_denorm_mode_32 3
		.amdhsa_float_denorm_mode_16_64 3
		.amdhsa_dx10_clamp 1
		.amdhsa_ieee_mode 1
		.amdhsa_fp16_overflow 0
		.amdhsa_tg_split 0
		.amdhsa_exception_fp_ieee_invalid_op 0
		.amdhsa_exception_fp_denorm_src 0
		.amdhsa_exception_fp_ieee_div_zero 0
		.amdhsa_exception_fp_ieee_overflow 0
		.amdhsa_exception_fp_ieee_underflow 0
		.amdhsa_exception_fp_ieee_inexact 0
		.amdhsa_exception_int_div_zero 0
	.end_amdhsa_kernel
	.section	.text._ZN7rocprim17ROCPRIM_400000_NS6detail17trampoline_kernelINS0_14default_configENS1_35radix_sort_onesweep_config_selectorIyNS0_10empty_typeEEEZZNS1_29radix_sort_onesweep_iterationIS3_Lb0EPyS8_PS5_S9_mNS0_19identity_decomposerENS1_16block_id_wrapperIjLb1EEEEE10hipError_tT1_PNSt15iterator_traitsISE_E10value_typeET2_T3_PNSF_ISK_E10value_typeET4_T5_PSP_SQ_PNS1_23onesweep_lookback_stateEbbT6_jjT7_P12ihipStream_tbENKUlT_T0_SE_SJ_E_clIS8_S8_S9_S9_EEDaSX_SY_SE_SJ_EUlSX_E_NS1_11comp_targetILNS1_3genE10ELNS1_11target_archE1201ELNS1_3gpuE5ELNS1_3repE0EEENS1_47radix_sort_onesweep_sort_config_static_selectorELNS0_4arch9wavefront6targetE1EEEvSE_,"axG",@progbits,_ZN7rocprim17ROCPRIM_400000_NS6detail17trampoline_kernelINS0_14default_configENS1_35radix_sort_onesweep_config_selectorIyNS0_10empty_typeEEEZZNS1_29radix_sort_onesweep_iterationIS3_Lb0EPyS8_PS5_S9_mNS0_19identity_decomposerENS1_16block_id_wrapperIjLb1EEEEE10hipError_tT1_PNSt15iterator_traitsISE_E10value_typeET2_T3_PNSF_ISK_E10value_typeET4_T5_PSP_SQ_PNS1_23onesweep_lookback_stateEbbT6_jjT7_P12ihipStream_tbENKUlT_T0_SE_SJ_E_clIS8_S8_S9_S9_EEDaSX_SY_SE_SJ_EUlSX_E_NS1_11comp_targetILNS1_3genE10ELNS1_11target_archE1201ELNS1_3gpuE5ELNS1_3repE0EEENS1_47radix_sort_onesweep_sort_config_static_selectorELNS0_4arch9wavefront6targetE1EEEvSE_,comdat
.Lfunc_end1206:
	.size	_ZN7rocprim17ROCPRIM_400000_NS6detail17trampoline_kernelINS0_14default_configENS1_35radix_sort_onesweep_config_selectorIyNS0_10empty_typeEEEZZNS1_29radix_sort_onesweep_iterationIS3_Lb0EPyS8_PS5_S9_mNS0_19identity_decomposerENS1_16block_id_wrapperIjLb1EEEEE10hipError_tT1_PNSt15iterator_traitsISE_E10value_typeET2_T3_PNSF_ISK_E10value_typeET4_T5_PSP_SQ_PNS1_23onesweep_lookback_stateEbbT6_jjT7_P12ihipStream_tbENKUlT_T0_SE_SJ_E_clIS8_S8_S9_S9_EEDaSX_SY_SE_SJ_EUlSX_E_NS1_11comp_targetILNS1_3genE10ELNS1_11target_archE1201ELNS1_3gpuE5ELNS1_3repE0EEENS1_47radix_sort_onesweep_sort_config_static_selectorELNS0_4arch9wavefront6targetE1EEEvSE_, .Lfunc_end1206-_ZN7rocprim17ROCPRIM_400000_NS6detail17trampoline_kernelINS0_14default_configENS1_35radix_sort_onesweep_config_selectorIyNS0_10empty_typeEEEZZNS1_29radix_sort_onesweep_iterationIS3_Lb0EPyS8_PS5_S9_mNS0_19identity_decomposerENS1_16block_id_wrapperIjLb1EEEEE10hipError_tT1_PNSt15iterator_traitsISE_E10value_typeET2_T3_PNSF_ISK_E10value_typeET4_T5_PSP_SQ_PNS1_23onesweep_lookback_stateEbbT6_jjT7_P12ihipStream_tbENKUlT_T0_SE_SJ_E_clIS8_S8_S9_S9_EEDaSX_SY_SE_SJ_EUlSX_E_NS1_11comp_targetILNS1_3genE10ELNS1_11target_archE1201ELNS1_3gpuE5ELNS1_3repE0EEENS1_47radix_sort_onesweep_sort_config_static_selectorELNS0_4arch9wavefront6targetE1EEEvSE_
                                        ; -- End function
	.section	.AMDGPU.csdata,"",@progbits
; Kernel info:
; codeLenInByte = 0
; NumSgprs: 4
; NumVgprs: 0
; NumAgprs: 0
; TotalNumVgprs: 0
; ScratchSize: 0
; MemoryBound: 0
; FloatMode: 240
; IeeeMode: 1
; LDSByteSize: 0 bytes/workgroup (compile time only)
; SGPRBlocks: 0
; VGPRBlocks: 0
; NumSGPRsForWavesPerEU: 4
; NumVGPRsForWavesPerEU: 1
; AccumOffset: 4
; Occupancy: 8
; WaveLimiterHint : 0
; COMPUTE_PGM_RSRC2:SCRATCH_EN: 0
; COMPUTE_PGM_RSRC2:USER_SGPR: 6
; COMPUTE_PGM_RSRC2:TRAP_HANDLER: 0
; COMPUTE_PGM_RSRC2:TGID_X_EN: 1
; COMPUTE_PGM_RSRC2:TGID_Y_EN: 0
; COMPUTE_PGM_RSRC2:TGID_Z_EN: 0
; COMPUTE_PGM_RSRC2:TIDIG_COMP_CNT: 0
; COMPUTE_PGM_RSRC3_GFX90A:ACCUM_OFFSET: 0
; COMPUTE_PGM_RSRC3_GFX90A:TG_SPLIT: 0
	.section	.text._ZN7rocprim17ROCPRIM_400000_NS6detail17trampoline_kernelINS0_14default_configENS1_35radix_sort_onesweep_config_selectorIyNS0_10empty_typeEEEZZNS1_29radix_sort_onesweep_iterationIS3_Lb0EPyS8_PS5_S9_mNS0_19identity_decomposerENS1_16block_id_wrapperIjLb1EEEEE10hipError_tT1_PNSt15iterator_traitsISE_E10value_typeET2_T3_PNSF_ISK_E10value_typeET4_T5_PSP_SQ_PNS1_23onesweep_lookback_stateEbbT6_jjT7_P12ihipStream_tbENKUlT_T0_SE_SJ_E_clIS8_S8_S9_S9_EEDaSX_SY_SE_SJ_EUlSX_E_NS1_11comp_targetILNS1_3genE9ELNS1_11target_archE1100ELNS1_3gpuE3ELNS1_3repE0EEENS1_47radix_sort_onesweep_sort_config_static_selectorELNS0_4arch9wavefront6targetE1EEEvSE_,"axG",@progbits,_ZN7rocprim17ROCPRIM_400000_NS6detail17trampoline_kernelINS0_14default_configENS1_35radix_sort_onesweep_config_selectorIyNS0_10empty_typeEEEZZNS1_29radix_sort_onesweep_iterationIS3_Lb0EPyS8_PS5_S9_mNS0_19identity_decomposerENS1_16block_id_wrapperIjLb1EEEEE10hipError_tT1_PNSt15iterator_traitsISE_E10value_typeET2_T3_PNSF_ISK_E10value_typeET4_T5_PSP_SQ_PNS1_23onesweep_lookback_stateEbbT6_jjT7_P12ihipStream_tbENKUlT_T0_SE_SJ_E_clIS8_S8_S9_S9_EEDaSX_SY_SE_SJ_EUlSX_E_NS1_11comp_targetILNS1_3genE9ELNS1_11target_archE1100ELNS1_3gpuE3ELNS1_3repE0EEENS1_47radix_sort_onesweep_sort_config_static_selectorELNS0_4arch9wavefront6targetE1EEEvSE_,comdat
	.protected	_ZN7rocprim17ROCPRIM_400000_NS6detail17trampoline_kernelINS0_14default_configENS1_35radix_sort_onesweep_config_selectorIyNS0_10empty_typeEEEZZNS1_29radix_sort_onesweep_iterationIS3_Lb0EPyS8_PS5_S9_mNS0_19identity_decomposerENS1_16block_id_wrapperIjLb1EEEEE10hipError_tT1_PNSt15iterator_traitsISE_E10value_typeET2_T3_PNSF_ISK_E10value_typeET4_T5_PSP_SQ_PNS1_23onesweep_lookback_stateEbbT6_jjT7_P12ihipStream_tbENKUlT_T0_SE_SJ_E_clIS8_S8_S9_S9_EEDaSX_SY_SE_SJ_EUlSX_E_NS1_11comp_targetILNS1_3genE9ELNS1_11target_archE1100ELNS1_3gpuE3ELNS1_3repE0EEENS1_47radix_sort_onesweep_sort_config_static_selectorELNS0_4arch9wavefront6targetE1EEEvSE_ ; -- Begin function _ZN7rocprim17ROCPRIM_400000_NS6detail17trampoline_kernelINS0_14default_configENS1_35radix_sort_onesweep_config_selectorIyNS0_10empty_typeEEEZZNS1_29radix_sort_onesweep_iterationIS3_Lb0EPyS8_PS5_S9_mNS0_19identity_decomposerENS1_16block_id_wrapperIjLb1EEEEE10hipError_tT1_PNSt15iterator_traitsISE_E10value_typeET2_T3_PNSF_ISK_E10value_typeET4_T5_PSP_SQ_PNS1_23onesweep_lookback_stateEbbT6_jjT7_P12ihipStream_tbENKUlT_T0_SE_SJ_E_clIS8_S8_S9_S9_EEDaSX_SY_SE_SJ_EUlSX_E_NS1_11comp_targetILNS1_3genE9ELNS1_11target_archE1100ELNS1_3gpuE3ELNS1_3repE0EEENS1_47radix_sort_onesweep_sort_config_static_selectorELNS0_4arch9wavefront6targetE1EEEvSE_
	.globl	_ZN7rocprim17ROCPRIM_400000_NS6detail17trampoline_kernelINS0_14default_configENS1_35radix_sort_onesweep_config_selectorIyNS0_10empty_typeEEEZZNS1_29radix_sort_onesweep_iterationIS3_Lb0EPyS8_PS5_S9_mNS0_19identity_decomposerENS1_16block_id_wrapperIjLb1EEEEE10hipError_tT1_PNSt15iterator_traitsISE_E10value_typeET2_T3_PNSF_ISK_E10value_typeET4_T5_PSP_SQ_PNS1_23onesweep_lookback_stateEbbT6_jjT7_P12ihipStream_tbENKUlT_T0_SE_SJ_E_clIS8_S8_S9_S9_EEDaSX_SY_SE_SJ_EUlSX_E_NS1_11comp_targetILNS1_3genE9ELNS1_11target_archE1100ELNS1_3gpuE3ELNS1_3repE0EEENS1_47radix_sort_onesweep_sort_config_static_selectorELNS0_4arch9wavefront6targetE1EEEvSE_
	.p2align	8
	.type	_ZN7rocprim17ROCPRIM_400000_NS6detail17trampoline_kernelINS0_14default_configENS1_35radix_sort_onesweep_config_selectorIyNS0_10empty_typeEEEZZNS1_29radix_sort_onesweep_iterationIS3_Lb0EPyS8_PS5_S9_mNS0_19identity_decomposerENS1_16block_id_wrapperIjLb1EEEEE10hipError_tT1_PNSt15iterator_traitsISE_E10value_typeET2_T3_PNSF_ISK_E10value_typeET4_T5_PSP_SQ_PNS1_23onesweep_lookback_stateEbbT6_jjT7_P12ihipStream_tbENKUlT_T0_SE_SJ_E_clIS8_S8_S9_S9_EEDaSX_SY_SE_SJ_EUlSX_E_NS1_11comp_targetILNS1_3genE9ELNS1_11target_archE1100ELNS1_3gpuE3ELNS1_3repE0EEENS1_47radix_sort_onesweep_sort_config_static_selectorELNS0_4arch9wavefront6targetE1EEEvSE_,@function
_ZN7rocprim17ROCPRIM_400000_NS6detail17trampoline_kernelINS0_14default_configENS1_35radix_sort_onesweep_config_selectorIyNS0_10empty_typeEEEZZNS1_29radix_sort_onesweep_iterationIS3_Lb0EPyS8_PS5_S9_mNS0_19identity_decomposerENS1_16block_id_wrapperIjLb1EEEEE10hipError_tT1_PNSt15iterator_traitsISE_E10value_typeET2_T3_PNSF_ISK_E10value_typeET4_T5_PSP_SQ_PNS1_23onesweep_lookback_stateEbbT6_jjT7_P12ihipStream_tbENKUlT_T0_SE_SJ_E_clIS8_S8_S9_S9_EEDaSX_SY_SE_SJ_EUlSX_E_NS1_11comp_targetILNS1_3genE9ELNS1_11target_archE1100ELNS1_3gpuE3ELNS1_3repE0EEENS1_47radix_sort_onesweep_sort_config_static_selectorELNS0_4arch9wavefront6targetE1EEEvSE_: ; @_ZN7rocprim17ROCPRIM_400000_NS6detail17trampoline_kernelINS0_14default_configENS1_35radix_sort_onesweep_config_selectorIyNS0_10empty_typeEEEZZNS1_29radix_sort_onesweep_iterationIS3_Lb0EPyS8_PS5_S9_mNS0_19identity_decomposerENS1_16block_id_wrapperIjLb1EEEEE10hipError_tT1_PNSt15iterator_traitsISE_E10value_typeET2_T3_PNSF_ISK_E10value_typeET4_T5_PSP_SQ_PNS1_23onesweep_lookback_stateEbbT6_jjT7_P12ihipStream_tbENKUlT_T0_SE_SJ_E_clIS8_S8_S9_S9_EEDaSX_SY_SE_SJ_EUlSX_E_NS1_11comp_targetILNS1_3genE9ELNS1_11target_archE1100ELNS1_3gpuE3ELNS1_3repE0EEENS1_47radix_sort_onesweep_sort_config_static_selectorELNS0_4arch9wavefront6targetE1EEEvSE_
; %bb.0:
	.section	.rodata,"a",@progbits
	.p2align	6, 0x0
	.amdhsa_kernel _ZN7rocprim17ROCPRIM_400000_NS6detail17trampoline_kernelINS0_14default_configENS1_35radix_sort_onesweep_config_selectorIyNS0_10empty_typeEEEZZNS1_29radix_sort_onesweep_iterationIS3_Lb0EPyS8_PS5_S9_mNS0_19identity_decomposerENS1_16block_id_wrapperIjLb1EEEEE10hipError_tT1_PNSt15iterator_traitsISE_E10value_typeET2_T3_PNSF_ISK_E10value_typeET4_T5_PSP_SQ_PNS1_23onesweep_lookback_stateEbbT6_jjT7_P12ihipStream_tbENKUlT_T0_SE_SJ_E_clIS8_S8_S9_S9_EEDaSX_SY_SE_SJ_EUlSX_E_NS1_11comp_targetILNS1_3genE9ELNS1_11target_archE1100ELNS1_3gpuE3ELNS1_3repE0EEENS1_47radix_sort_onesweep_sort_config_static_selectorELNS0_4arch9wavefront6targetE1EEEvSE_
		.amdhsa_group_segment_fixed_size 0
		.amdhsa_private_segment_fixed_size 0
		.amdhsa_kernarg_size 88
		.amdhsa_user_sgpr_count 6
		.amdhsa_user_sgpr_private_segment_buffer 1
		.amdhsa_user_sgpr_dispatch_ptr 0
		.amdhsa_user_sgpr_queue_ptr 0
		.amdhsa_user_sgpr_kernarg_segment_ptr 1
		.amdhsa_user_sgpr_dispatch_id 0
		.amdhsa_user_sgpr_flat_scratch_init 0
		.amdhsa_user_sgpr_kernarg_preload_length 0
		.amdhsa_user_sgpr_kernarg_preload_offset 0
		.amdhsa_user_sgpr_private_segment_size 0
		.amdhsa_uses_dynamic_stack 0
		.amdhsa_system_sgpr_private_segment_wavefront_offset 0
		.amdhsa_system_sgpr_workgroup_id_x 1
		.amdhsa_system_sgpr_workgroup_id_y 0
		.amdhsa_system_sgpr_workgroup_id_z 0
		.amdhsa_system_sgpr_workgroup_info 0
		.amdhsa_system_vgpr_workitem_id 0
		.amdhsa_next_free_vgpr 1
		.amdhsa_next_free_sgpr 0
		.amdhsa_accum_offset 4
		.amdhsa_reserve_vcc 0
		.amdhsa_reserve_flat_scratch 0
		.amdhsa_float_round_mode_32 0
		.amdhsa_float_round_mode_16_64 0
		.amdhsa_float_denorm_mode_32 3
		.amdhsa_float_denorm_mode_16_64 3
		.amdhsa_dx10_clamp 1
		.amdhsa_ieee_mode 1
		.amdhsa_fp16_overflow 0
		.amdhsa_tg_split 0
		.amdhsa_exception_fp_ieee_invalid_op 0
		.amdhsa_exception_fp_denorm_src 0
		.amdhsa_exception_fp_ieee_div_zero 0
		.amdhsa_exception_fp_ieee_overflow 0
		.amdhsa_exception_fp_ieee_underflow 0
		.amdhsa_exception_fp_ieee_inexact 0
		.amdhsa_exception_int_div_zero 0
	.end_amdhsa_kernel
	.section	.text._ZN7rocprim17ROCPRIM_400000_NS6detail17trampoline_kernelINS0_14default_configENS1_35radix_sort_onesweep_config_selectorIyNS0_10empty_typeEEEZZNS1_29radix_sort_onesweep_iterationIS3_Lb0EPyS8_PS5_S9_mNS0_19identity_decomposerENS1_16block_id_wrapperIjLb1EEEEE10hipError_tT1_PNSt15iterator_traitsISE_E10value_typeET2_T3_PNSF_ISK_E10value_typeET4_T5_PSP_SQ_PNS1_23onesweep_lookback_stateEbbT6_jjT7_P12ihipStream_tbENKUlT_T0_SE_SJ_E_clIS8_S8_S9_S9_EEDaSX_SY_SE_SJ_EUlSX_E_NS1_11comp_targetILNS1_3genE9ELNS1_11target_archE1100ELNS1_3gpuE3ELNS1_3repE0EEENS1_47radix_sort_onesweep_sort_config_static_selectorELNS0_4arch9wavefront6targetE1EEEvSE_,"axG",@progbits,_ZN7rocprim17ROCPRIM_400000_NS6detail17trampoline_kernelINS0_14default_configENS1_35radix_sort_onesweep_config_selectorIyNS0_10empty_typeEEEZZNS1_29radix_sort_onesweep_iterationIS3_Lb0EPyS8_PS5_S9_mNS0_19identity_decomposerENS1_16block_id_wrapperIjLb1EEEEE10hipError_tT1_PNSt15iterator_traitsISE_E10value_typeET2_T3_PNSF_ISK_E10value_typeET4_T5_PSP_SQ_PNS1_23onesweep_lookback_stateEbbT6_jjT7_P12ihipStream_tbENKUlT_T0_SE_SJ_E_clIS8_S8_S9_S9_EEDaSX_SY_SE_SJ_EUlSX_E_NS1_11comp_targetILNS1_3genE9ELNS1_11target_archE1100ELNS1_3gpuE3ELNS1_3repE0EEENS1_47radix_sort_onesweep_sort_config_static_selectorELNS0_4arch9wavefront6targetE1EEEvSE_,comdat
.Lfunc_end1207:
	.size	_ZN7rocprim17ROCPRIM_400000_NS6detail17trampoline_kernelINS0_14default_configENS1_35radix_sort_onesweep_config_selectorIyNS0_10empty_typeEEEZZNS1_29radix_sort_onesweep_iterationIS3_Lb0EPyS8_PS5_S9_mNS0_19identity_decomposerENS1_16block_id_wrapperIjLb1EEEEE10hipError_tT1_PNSt15iterator_traitsISE_E10value_typeET2_T3_PNSF_ISK_E10value_typeET4_T5_PSP_SQ_PNS1_23onesweep_lookback_stateEbbT6_jjT7_P12ihipStream_tbENKUlT_T0_SE_SJ_E_clIS8_S8_S9_S9_EEDaSX_SY_SE_SJ_EUlSX_E_NS1_11comp_targetILNS1_3genE9ELNS1_11target_archE1100ELNS1_3gpuE3ELNS1_3repE0EEENS1_47radix_sort_onesweep_sort_config_static_selectorELNS0_4arch9wavefront6targetE1EEEvSE_, .Lfunc_end1207-_ZN7rocprim17ROCPRIM_400000_NS6detail17trampoline_kernelINS0_14default_configENS1_35radix_sort_onesweep_config_selectorIyNS0_10empty_typeEEEZZNS1_29radix_sort_onesweep_iterationIS3_Lb0EPyS8_PS5_S9_mNS0_19identity_decomposerENS1_16block_id_wrapperIjLb1EEEEE10hipError_tT1_PNSt15iterator_traitsISE_E10value_typeET2_T3_PNSF_ISK_E10value_typeET4_T5_PSP_SQ_PNS1_23onesweep_lookback_stateEbbT6_jjT7_P12ihipStream_tbENKUlT_T0_SE_SJ_E_clIS8_S8_S9_S9_EEDaSX_SY_SE_SJ_EUlSX_E_NS1_11comp_targetILNS1_3genE9ELNS1_11target_archE1100ELNS1_3gpuE3ELNS1_3repE0EEENS1_47radix_sort_onesweep_sort_config_static_selectorELNS0_4arch9wavefront6targetE1EEEvSE_
                                        ; -- End function
	.section	.AMDGPU.csdata,"",@progbits
; Kernel info:
; codeLenInByte = 0
; NumSgprs: 4
; NumVgprs: 0
; NumAgprs: 0
; TotalNumVgprs: 0
; ScratchSize: 0
; MemoryBound: 0
; FloatMode: 240
; IeeeMode: 1
; LDSByteSize: 0 bytes/workgroup (compile time only)
; SGPRBlocks: 0
; VGPRBlocks: 0
; NumSGPRsForWavesPerEU: 4
; NumVGPRsForWavesPerEU: 1
; AccumOffset: 4
; Occupancy: 8
; WaveLimiterHint : 0
; COMPUTE_PGM_RSRC2:SCRATCH_EN: 0
; COMPUTE_PGM_RSRC2:USER_SGPR: 6
; COMPUTE_PGM_RSRC2:TRAP_HANDLER: 0
; COMPUTE_PGM_RSRC2:TGID_X_EN: 1
; COMPUTE_PGM_RSRC2:TGID_Y_EN: 0
; COMPUTE_PGM_RSRC2:TGID_Z_EN: 0
; COMPUTE_PGM_RSRC2:TIDIG_COMP_CNT: 0
; COMPUTE_PGM_RSRC3_GFX90A:ACCUM_OFFSET: 0
; COMPUTE_PGM_RSRC3_GFX90A:TG_SPLIT: 0
	.section	.text._ZN7rocprim17ROCPRIM_400000_NS6detail17trampoline_kernelINS0_14default_configENS1_35radix_sort_onesweep_config_selectorIyNS0_10empty_typeEEEZZNS1_29radix_sort_onesweep_iterationIS3_Lb0EPyS8_PS5_S9_mNS0_19identity_decomposerENS1_16block_id_wrapperIjLb1EEEEE10hipError_tT1_PNSt15iterator_traitsISE_E10value_typeET2_T3_PNSF_ISK_E10value_typeET4_T5_PSP_SQ_PNS1_23onesweep_lookback_stateEbbT6_jjT7_P12ihipStream_tbENKUlT_T0_SE_SJ_E_clIS8_S8_S9_S9_EEDaSX_SY_SE_SJ_EUlSX_E_NS1_11comp_targetILNS1_3genE8ELNS1_11target_archE1030ELNS1_3gpuE2ELNS1_3repE0EEENS1_47radix_sort_onesweep_sort_config_static_selectorELNS0_4arch9wavefront6targetE1EEEvSE_,"axG",@progbits,_ZN7rocprim17ROCPRIM_400000_NS6detail17trampoline_kernelINS0_14default_configENS1_35radix_sort_onesweep_config_selectorIyNS0_10empty_typeEEEZZNS1_29radix_sort_onesweep_iterationIS3_Lb0EPyS8_PS5_S9_mNS0_19identity_decomposerENS1_16block_id_wrapperIjLb1EEEEE10hipError_tT1_PNSt15iterator_traitsISE_E10value_typeET2_T3_PNSF_ISK_E10value_typeET4_T5_PSP_SQ_PNS1_23onesweep_lookback_stateEbbT6_jjT7_P12ihipStream_tbENKUlT_T0_SE_SJ_E_clIS8_S8_S9_S9_EEDaSX_SY_SE_SJ_EUlSX_E_NS1_11comp_targetILNS1_3genE8ELNS1_11target_archE1030ELNS1_3gpuE2ELNS1_3repE0EEENS1_47radix_sort_onesweep_sort_config_static_selectorELNS0_4arch9wavefront6targetE1EEEvSE_,comdat
	.protected	_ZN7rocprim17ROCPRIM_400000_NS6detail17trampoline_kernelINS0_14default_configENS1_35radix_sort_onesweep_config_selectorIyNS0_10empty_typeEEEZZNS1_29radix_sort_onesweep_iterationIS3_Lb0EPyS8_PS5_S9_mNS0_19identity_decomposerENS1_16block_id_wrapperIjLb1EEEEE10hipError_tT1_PNSt15iterator_traitsISE_E10value_typeET2_T3_PNSF_ISK_E10value_typeET4_T5_PSP_SQ_PNS1_23onesweep_lookback_stateEbbT6_jjT7_P12ihipStream_tbENKUlT_T0_SE_SJ_E_clIS8_S8_S9_S9_EEDaSX_SY_SE_SJ_EUlSX_E_NS1_11comp_targetILNS1_3genE8ELNS1_11target_archE1030ELNS1_3gpuE2ELNS1_3repE0EEENS1_47radix_sort_onesweep_sort_config_static_selectorELNS0_4arch9wavefront6targetE1EEEvSE_ ; -- Begin function _ZN7rocprim17ROCPRIM_400000_NS6detail17trampoline_kernelINS0_14default_configENS1_35radix_sort_onesweep_config_selectorIyNS0_10empty_typeEEEZZNS1_29radix_sort_onesweep_iterationIS3_Lb0EPyS8_PS5_S9_mNS0_19identity_decomposerENS1_16block_id_wrapperIjLb1EEEEE10hipError_tT1_PNSt15iterator_traitsISE_E10value_typeET2_T3_PNSF_ISK_E10value_typeET4_T5_PSP_SQ_PNS1_23onesweep_lookback_stateEbbT6_jjT7_P12ihipStream_tbENKUlT_T0_SE_SJ_E_clIS8_S8_S9_S9_EEDaSX_SY_SE_SJ_EUlSX_E_NS1_11comp_targetILNS1_3genE8ELNS1_11target_archE1030ELNS1_3gpuE2ELNS1_3repE0EEENS1_47radix_sort_onesweep_sort_config_static_selectorELNS0_4arch9wavefront6targetE1EEEvSE_
	.globl	_ZN7rocprim17ROCPRIM_400000_NS6detail17trampoline_kernelINS0_14default_configENS1_35radix_sort_onesweep_config_selectorIyNS0_10empty_typeEEEZZNS1_29radix_sort_onesweep_iterationIS3_Lb0EPyS8_PS5_S9_mNS0_19identity_decomposerENS1_16block_id_wrapperIjLb1EEEEE10hipError_tT1_PNSt15iterator_traitsISE_E10value_typeET2_T3_PNSF_ISK_E10value_typeET4_T5_PSP_SQ_PNS1_23onesweep_lookback_stateEbbT6_jjT7_P12ihipStream_tbENKUlT_T0_SE_SJ_E_clIS8_S8_S9_S9_EEDaSX_SY_SE_SJ_EUlSX_E_NS1_11comp_targetILNS1_3genE8ELNS1_11target_archE1030ELNS1_3gpuE2ELNS1_3repE0EEENS1_47radix_sort_onesweep_sort_config_static_selectorELNS0_4arch9wavefront6targetE1EEEvSE_
	.p2align	8
	.type	_ZN7rocprim17ROCPRIM_400000_NS6detail17trampoline_kernelINS0_14default_configENS1_35radix_sort_onesweep_config_selectorIyNS0_10empty_typeEEEZZNS1_29radix_sort_onesweep_iterationIS3_Lb0EPyS8_PS5_S9_mNS0_19identity_decomposerENS1_16block_id_wrapperIjLb1EEEEE10hipError_tT1_PNSt15iterator_traitsISE_E10value_typeET2_T3_PNSF_ISK_E10value_typeET4_T5_PSP_SQ_PNS1_23onesweep_lookback_stateEbbT6_jjT7_P12ihipStream_tbENKUlT_T0_SE_SJ_E_clIS8_S8_S9_S9_EEDaSX_SY_SE_SJ_EUlSX_E_NS1_11comp_targetILNS1_3genE8ELNS1_11target_archE1030ELNS1_3gpuE2ELNS1_3repE0EEENS1_47radix_sort_onesweep_sort_config_static_selectorELNS0_4arch9wavefront6targetE1EEEvSE_,@function
_ZN7rocprim17ROCPRIM_400000_NS6detail17trampoline_kernelINS0_14default_configENS1_35radix_sort_onesweep_config_selectorIyNS0_10empty_typeEEEZZNS1_29radix_sort_onesweep_iterationIS3_Lb0EPyS8_PS5_S9_mNS0_19identity_decomposerENS1_16block_id_wrapperIjLb1EEEEE10hipError_tT1_PNSt15iterator_traitsISE_E10value_typeET2_T3_PNSF_ISK_E10value_typeET4_T5_PSP_SQ_PNS1_23onesweep_lookback_stateEbbT6_jjT7_P12ihipStream_tbENKUlT_T0_SE_SJ_E_clIS8_S8_S9_S9_EEDaSX_SY_SE_SJ_EUlSX_E_NS1_11comp_targetILNS1_3genE8ELNS1_11target_archE1030ELNS1_3gpuE2ELNS1_3repE0EEENS1_47radix_sort_onesweep_sort_config_static_selectorELNS0_4arch9wavefront6targetE1EEEvSE_: ; @_ZN7rocprim17ROCPRIM_400000_NS6detail17trampoline_kernelINS0_14default_configENS1_35radix_sort_onesweep_config_selectorIyNS0_10empty_typeEEEZZNS1_29radix_sort_onesweep_iterationIS3_Lb0EPyS8_PS5_S9_mNS0_19identity_decomposerENS1_16block_id_wrapperIjLb1EEEEE10hipError_tT1_PNSt15iterator_traitsISE_E10value_typeET2_T3_PNSF_ISK_E10value_typeET4_T5_PSP_SQ_PNS1_23onesweep_lookback_stateEbbT6_jjT7_P12ihipStream_tbENKUlT_T0_SE_SJ_E_clIS8_S8_S9_S9_EEDaSX_SY_SE_SJ_EUlSX_E_NS1_11comp_targetILNS1_3genE8ELNS1_11target_archE1030ELNS1_3gpuE2ELNS1_3repE0EEENS1_47radix_sort_onesweep_sort_config_static_selectorELNS0_4arch9wavefront6targetE1EEEvSE_
; %bb.0:
	.section	.rodata,"a",@progbits
	.p2align	6, 0x0
	.amdhsa_kernel _ZN7rocprim17ROCPRIM_400000_NS6detail17trampoline_kernelINS0_14default_configENS1_35radix_sort_onesweep_config_selectorIyNS0_10empty_typeEEEZZNS1_29radix_sort_onesweep_iterationIS3_Lb0EPyS8_PS5_S9_mNS0_19identity_decomposerENS1_16block_id_wrapperIjLb1EEEEE10hipError_tT1_PNSt15iterator_traitsISE_E10value_typeET2_T3_PNSF_ISK_E10value_typeET4_T5_PSP_SQ_PNS1_23onesweep_lookback_stateEbbT6_jjT7_P12ihipStream_tbENKUlT_T0_SE_SJ_E_clIS8_S8_S9_S9_EEDaSX_SY_SE_SJ_EUlSX_E_NS1_11comp_targetILNS1_3genE8ELNS1_11target_archE1030ELNS1_3gpuE2ELNS1_3repE0EEENS1_47radix_sort_onesweep_sort_config_static_selectorELNS0_4arch9wavefront6targetE1EEEvSE_
		.amdhsa_group_segment_fixed_size 0
		.amdhsa_private_segment_fixed_size 0
		.amdhsa_kernarg_size 88
		.amdhsa_user_sgpr_count 6
		.amdhsa_user_sgpr_private_segment_buffer 1
		.amdhsa_user_sgpr_dispatch_ptr 0
		.amdhsa_user_sgpr_queue_ptr 0
		.amdhsa_user_sgpr_kernarg_segment_ptr 1
		.amdhsa_user_sgpr_dispatch_id 0
		.amdhsa_user_sgpr_flat_scratch_init 0
		.amdhsa_user_sgpr_kernarg_preload_length 0
		.amdhsa_user_sgpr_kernarg_preload_offset 0
		.amdhsa_user_sgpr_private_segment_size 0
		.amdhsa_uses_dynamic_stack 0
		.amdhsa_system_sgpr_private_segment_wavefront_offset 0
		.amdhsa_system_sgpr_workgroup_id_x 1
		.amdhsa_system_sgpr_workgroup_id_y 0
		.amdhsa_system_sgpr_workgroup_id_z 0
		.amdhsa_system_sgpr_workgroup_info 0
		.amdhsa_system_vgpr_workitem_id 0
		.amdhsa_next_free_vgpr 1
		.amdhsa_next_free_sgpr 0
		.amdhsa_accum_offset 4
		.amdhsa_reserve_vcc 0
		.amdhsa_reserve_flat_scratch 0
		.amdhsa_float_round_mode_32 0
		.amdhsa_float_round_mode_16_64 0
		.amdhsa_float_denorm_mode_32 3
		.amdhsa_float_denorm_mode_16_64 3
		.amdhsa_dx10_clamp 1
		.amdhsa_ieee_mode 1
		.amdhsa_fp16_overflow 0
		.amdhsa_tg_split 0
		.amdhsa_exception_fp_ieee_invalid_op 0
		.amdhsa_exception_fp_denorm_src 0
		.amdhsa_exception_fp_ieee_div_zero 0
		.amdhsa_exception_fp_ieee_overflow 0
		.amdhsa_exception_fp_ieee_underflow 0
		.amdhsa_exception_fp_ieee_inexact 0
		.amdhsa_exception_int_div_zero 0
	.end_amdhsa_kernel
	.section	.text._ZN7rocprim17ROCPRIM_400000_NS6detail17trampoline_kernelINS0_14default_configENS1_35radix_sort_onesweep_config_selectorIyNS0_10empty_typeEEEZZNS1_29radix_sort_onesweep_iterationIS3_Lb0EPyS8_PS5_S9_mNS0_19identity_decomposerENS1_16block_id_wrapperIjLb1EEEEE10hipError_tT1_PNSt15iterator_traitsISE_E10value_typeET2_T3_PNSF_ISK_E10value_typeET4_T5_PSP_SQ_PNS1_23onesweep_lookback_stateEbbT6_jjT7_P12ihipStream_tbENKUlT_T0_SE_SJ_E_clIS8_S8_S9_S9_EEDaSX_SY_SE_SJ_EUlSX_E_NS1_11comp_targetILNS1_3genE8ELNS1_11target_archE1030ELNS1_3gpuE2ELNS1_3repE0EEENS1_47radix_sort_onesweep_sort_config_static_selectorELNS0_4arch9wavefront6targetE1EEEvSE_,"axG",@progbits,_ZN7rocprim17ROCPRIM_400000_NS6detail17trampoline_kernelINS0_14default_configENS1_35radix_sort_onesweep_config_selectorIyNS0_10empty_typeEEEZZNS1_29radix_sort_onesweep_iterationIS3_Lb0EPyS8_PS5_S9_mNS0_19identity_decomposerENS1_16block_id_wrapperIjLb1EEEEE10hipError_tT1_PNSt15iterator_traitsISE_E10value_typeET2_T3_PNSF_ISK_E10value_typeET4_T5_PSP_SQ_PNS1_23onesweep_lookback_stateEbbT6_jjT7_P12ihipStream_tbENKUlT_T0_SE_SJ_E_clIS8_S8_S9_S9_EEDaSX_SY_SE_SJ_EUlSX_E_NS1_11comp_targetILNS1_3genE8ELNS1_11target_archE1030ELNS1_3gpuE2ELNS1_3repE0EEENS1_47radix_sort_onesweep_sort_config_static_selectorELNS0_4arch9wavefront6targetE1EEEvSE_,comdat
.Lfunc_end1208:
	.size	_ZN7rocprim17ROCPRIM_400000_NS6detail17trampoline_kernelINS0_14default_configENS1_35radix_sort_onesweep_config_selectorIyNS0_10empty_typeEEEZZNS1_29radix_sort_onesweep_iterationIS3_Lb0EPyS8_PS5_S9_mNS0_19identity_decomposerENS1_16block_id_wrapperIjLb1EEEEE10hipError_tT1_PNSt15iterator_traitsISE_E10value_typeET2_T3_PNSF_ISK_E10value_typeET4_T5_PSP_SQ_PNS1_23onesweep_lookback_stateEbbT6_jjT7_P12ihipStream_tbENKUlT_T0_SE_SJ_E_clIS8_S8_S9_S9_EEDaSX_SY_SE_SJ_EUlSX_E_NS1_11comp_targetILNS1_3genE8ELNS1_11target_archE1030ELNS1_3gpuE2ELNS1_3repE0EEENS1_47radix_sort_onesweep_sort_config_static_selectorELNS0_4arch9wavefront6targetE1EEEvSE_, .Lfunc_end1208-_ZN7rocprim17ROCPRIM_400000_NS6detail17trampoline_kernelINS0_14default_configENS1_35radix_sort_onesweep_config_selectorIyNS0_10empty_typeEEEZZNS1_29radix_sort_onesweep_iterationIS3_Lb0EPyS8_PS5_S9_mNS0_19identity_decomposerENS1_16block_id_wrapperIjLb1EEEEE10hipError_tT1_PNSt15iterator_traitsISE_E10value_typeET2_T3_PNSF_ISK_E10value_typeET4_T5_PSP_SQ_PNS1_23onesweep_lookback_stateEbbT6_jjT7_P12ihipStream_tbENKUlT_T0_SE_SJ_E_clIS8_S8_S9_S9_EEDaSX_SY_SE_SJ_EUlSX_E_NS1_11comp_targetILNS1_3genE8ELNS1_11target_archE1030ELNS1_3gpuE2ELNS1_3repE0EEENS1_47radix_sort_onesweep_sort_config_static_selectorELNS0_4arch9wavefront6targetE1EEEvSE_
                                        ; -- End function
	.section	.AMDGPU.csdata,"",@progbits
; Kernel info:
; codeLenInByte = 0
; NumSgprs: 4
; NumVgprs: 0
; NumAgprs: 0
; TotalNumVgprs: 0
; ScratchSize: 0
; MemoryBound: 0
; FloatMode: 240
; IeeeMode: 1
; LDSByteSize: 0 bytes/workgroup (compile time only)
; SGPRBlocks: 0
; VGPRBlocks: 0
; NumSGPRsForWavesPerEU: 4
; NumVGPRsForWavesPerEU: 1
; AccumOffset: 4
; Occupancy: 8
; WaveLimiterHint : 0
; COMPUTE_PGM_RSRC2:SCRATCH_EN: 0
; COMPUTE_PGM_RSRC2:USER_SGPR: 6
; COMPUTE_PGM_RSRC2:TRAP_HANDLER: 0
; COMPUTE_PGM_RSRC2:TGID_X_EN: 1
; COMPUTE_PGM_RSRC2:TGID_Y_EN: 0
; COMPUTE_PGM_RSRC2:TGID_Z_EN: 0
; COMPUTE_PGM_RSRC2:TIDIG_COMP_CNT: 0
; COMPUTE_PGM_RSRC3_GFX90A:ACCUM_OFFSET: 0
; COMPUTE_PGM_RSRC3_GFX90A:TG_SPLIT: 0
	.section	.text._ZN7rocprim17ROCPRIM_400000_NS6detail17trampoline_kernelINS0_14default_configENS1_35radix_sort_onesweep_config_selectorIyNS0_10empty_typeEEEZZNS1_29radix_sort_onesweep_iterationIS3_Lb0EPyS8_PS5_S9_mNS0_19identity_decomposerENS1_16block_id_wrapperIjLb0EEEEE10hipError_tT1_PNSt15iterator_traitsISE_E10value_typeET2_T3_PNSF_ISK_E10value_typeET4_T5_PSP_SQ_PNS1_23onesweep_lookback_stateEbbT6_jjT7_P12ihipStream_tbENKUlT_T0_SE_SJ_E_clIS8_S8_S9_S9_EEDaSX_SY_SE_SJ_EUlSX_E_NS1_11comp_targetILNS1_3genE0ELNS1_11target_archE4294967295ELNS1_3gpuE0ELNS1_3repE0EEENS1_47radix_sort_onesweep_sort_config_static_selectorELNS0_4arch9wavefront6targetE1EEEvSE_,"axG",@progbits,_ZN7rocprim17ROCPRIM_400000_NS6detail17trampoline_kernelINS0_14default_configENS1_35radix_sort_onesweep_config_selectorIyNS0_10empty_typeEEEZZNS1_29radix_sort_onesweep_iterationIS3_Lb0EPyS8_PS5_S9_mNS0_19identity_decomposerENS1_16block_id_wrapperIjLb0EEEEE10hipError_tT1_PNSt15iterator_traitsISE_E10value_typeET2_T3_PNSF_ISK_E10value_typeET4_T5_PSP_SQ_PNS1_23onesweep_lookback_stateEbbT6_jjT7_P12ihipStream_tbENKUlT_T0_SE_SJ_E_clIS8_S8_S9_S9_EEDaSX_SY_SE_SJ_EUlSX_E_NS1_11comp_targetILNS1_3genE0ELNS1_11target_archE4294967295ELNS1_3gpuE0ELNS1_3repE0EEENS1_47radix_sort_onesweep_sort_config_static_selectorELNS0_4arch9wavefront6targetE1EEEvSE_,comdat
	.protected	_ZN7rocprim17ROCPRIM_400000_NS6detail17trampoline_kernelINS0_14default_configENS1_35radix_sort_onesweep_config_selectorIyNS0_10empty_typeEEEZZNS1_29radix_sort_onesweep_iterationIS3_Lb0EPyS8_PS5_S9_mNS0_19identity_decomposerENS1_16block_id_wrapperIjLb0EEEEE10hipError_tT1_PNSt15iterator_traitsISE_E10value_typeET2_T3_PNSF_ISK_E10value_typeET4_T5_PSP_SQ_PNS1_23onesweep_lookback_stateEbbT6_jjT7_P12ihipStream_tbENKUlT_T0_SE_SJ_E_clIS8_S8_S9_S9_EEDaSX_SY_SE_SJ_EUlSX_E_NS1_11comp_targetILNS1_3genE0ELNS1_11target_archE4294967295ELNS1_3gpuE0ELNS1_3repE0EEENS1_47radix_sort_onesweep_sort_config_static_selectorELNS0_4arch9wavefront6targetE1EEEvSE_ ; -- Begin function _ZN7rocprim17ROCPRIM_400000_NS6detail17trampoline_kernelINS0_14default_configENS1_35radix_sort_onesweep_config_selectorIyNS0_10empty_typeEEEZZNS1_29radix_sort_onesweep_iterationIS3_Lb0EPyS8_PS5_S9_mNS0_19identity_decomposerENS1_16block_id_wrapperIjLb0EEEEE10hipError_tT1_PNSt15iterator_traitsISE_E10value_typeET2_T3_PNSF_ISK_E10value_typeET4_T5_PSP_SQ_PNS1_23onesweep_lookback_stateEbbT6_jjT7_P12ihipStream_tbENKUlT_T0_SE_SJ_E_clIS8_S8_S9_S9_EEDaSX_SY_SE_SJ_EUlSX_E_NS1_11comp_targetILNS1_3genE0ELNS1_11target_archE4294967295ELNS1_3gpuE0ELNS1_3repE0EEENS1_47radix_sort_onesweep_sort_config_static_selectorELNS0_4arch9wavefront6targetE1EEEvSE_
	.globl	_ZN7rocprim17ROCPRIM_400000_NS6detail17trampoline_kernelINS0_14default_configENS1_35radix_sort_onesweep_config_selectorIyNS0_10empty_typeEEEZZNS1_29radix_sort_onesweep_iterationIS3_Lb0EPyS8_PS5_S9_mNS0_19identity_decomposerENS1_16block_id_wrapperIjLb0EEEEE10hipError_tT1_PNSt15iterator_traitsISE_E10value_typeET2_T3_PNSF_ISK_E10value_typeET4_T5_PSP_SQ_PNS1_23onesweep_lookback_stateEbbT6_jjT7_P12ihipStream_tbENKUlT_T0_SE_SJ_E_clIS8_S8_S9_S9_EEDaSX_SY_SE_SJ_EUlSX_E_NS1_11comp_targetILNS1_3genE0ELNS1_11target_archE4294967295ELNS1_3gpuE0ELNS1_3repE0EEENS1_47radix_sort_onesweep_sort_config_static_selectorELNS0_4arch9wavefront6targetE1EEEvSE_
	.p2align	8
	.type	_ZN7rocprim17ROCPRIM_400000_NS6detail17trampoline_kernelINS0_14default_configENS1_35radix_sort_onesweep_config_selectorIyNS0_10empty_typeEEEZZNS1_29radix_sort_onesweep_iterationIS3_Lb0EPyS8_PS5_S9_mNS0_19identity_decomposerENS1_16block_id_wrapperIjLb0EEEEE10hipError_tT1_PNSt15iterator_traitsISE_E10value_typeET2_T3_PNSF_ISK_E10value_typeET4_T5_PSP_SQ_PNS1_23onesweep_lookback_stateEbbT6_jjT7_P12ihipStream_tbENKUlT_T0_SE_SJ_E_clIS8_S8_S9_S9_EEDaSX_SY_SE_SJ_EUlSX_E_NS1_11comp_targetILNS1_3genE0ELNS1_11target_archE4294967295ELNS1_3gpuE0ELNS1_3repE0EEENS1_47radix_sort_onesweep_sort_config_static_selectorELNS0_4arch9wavefront6targetE1EEEvSE_,@function
_ZN7rocprim17ROCPRIM_400000_NS6detail17trampoline_kernelINS0_14default_configENS1_35radix_sort_onesweep_config_selectorIyNS0_10empty_typeEEEZZNS1_29radix_sort_onesweep_iterationIS3_Lb0EPyS8_PS5_S9_mNS0_19identity_decomposerENS1_16block_id_wrapperIjLb0EEEEE10hipError_tT1_PNSt15iterator_traitsISE_E10value_typeET2_T3_PNSF_ISK_E10value_typeET4_T5_PSP_SQ_PNS1_23onesweep_lookback_stateEbbT6_jjT7_P12ihipStream_tbENKUlT_T0_SE_SJ_E_clIS8_S8_S9_S9_EEDaSX_SY_SE_SJ_EUlSX_E_NS1_11comp_targetILNS1_3genE0ELNS1_11target_archE4294967295ELNS1_3gpuE0ELNS1_3repE0EEENS1_47radix_sort_onesweep_sort_config_static_selectorELNS0_4arch9wavefront6targetE1EEEvSE_: ; @_ZN7rocprim17ROCPRIM_400000_NS6detail17trampoline_kernelINS0_14default_configENS1_35radix_sort_onesweep_config_selectorIyNS0_10empty_typeEEEZZNS1_29radix_sort_onesweep_iterationIS3_Lb0EPyS8_PS5_S9_mNS0_19identity_decomposerENS1_16block_id_wrapperIjLb0EEEEE10hipError_tT1_PNSt15iterator_traitsISE_E10value_typeET2_T3_PNSF_ISK_E10value_typeET4_T5_PSP_SQ_PNS1_23onesweep_lookback_stateEbbT6_jjT7_P12ihipStream_tbENKUlT_T0_SE_SJ_E_clIS8_S8_S9_S9_EEDaSX_SY_SE_SJ_EUlSX_E_NS1_11comp_targetILNS1_3genE0ELNS1_11target_archE4294967295ELNS1_3gpuE0ELNS1_3repE0EEENS1_47radix_sort_onesweep_sort_config_static_selectorELNS0_4arch9wavefront6targetE1EEEvSE_
; %bb.0:
	.section	.rodata,"a",@progbits
	.p2align	6, 0x0
	.amdhsa_kernel _ZN7rocprim17ROCPRIM_400000_NS6detail17trampoline_kernelINS0_14default_configENS1_35radix_sort_onesweep_config_selectorIyNS0_10empty_typeEEEZZNS1_29radix_sort_onesweep_iterationIS3_Lb0EPyS8_PS5_S9_mNS0_19identity_decomposerENS1_16block_id_wrapperIjLb0EEEEE10hipError_tT1_PNSt15iterator_traitsISE_E10value_typeET2_T3_PNSF_ISK_E10value_typeET4_T5_PSP_SQ_PNS1_23onesweep_lookback_stateEbbT6_jjT7_P12ihipStream_tbENKUlT_T0_SE_SJ_E_clIS8_S8_S9_S9_EEDaSX_SY_SE_SJ_EUlSX_E_NS1_11comp_targetILNS1_3genE0ELNS1_11target_archE4294967295ELNS1_3gpuE0ELNS1_3repE0EEENS1_47radix_sort_onesweep_sort_config_static_selectorELNS0_4arch9wavefront6targetE1EEEvSE_
		.amdhsa_group_segment_fixed_size 0
		.amdhsa_private_segment_fixed_size 0
		.amdhsa_kernarg_size 88
		.amdhsa_user_sgpr_count 6
		.amdhsa_user_sgpr_private_segment_buffer 1
		.amdhsa_user_sgpr_dispatch_ptr 0
		.amdhsa_user_sgpr_queue_ptr 0
		.amdhsa_user_sgpr_kernarg_segment_ptr 1
		.amdhsa_user_sgpr_dispatch_id 0
		.amdhsa_user_sgpr_flat_scratch_init 0
		.amdhsa_user_sgpr_kernarg_preload_length 0
		.amdhsa_user_sgpr_kernarg_preload_offset 0
		.amdhsa_user_sgpr_private_segment_size 0
		.amdhsa_uses_dynamic_stack 0
		.amdhsa_system_sgpr_private_segment_wavefront_offset 0
		.amdhsa_system_sgpr_workgroup_id_x 1
		.amdhsa_system_sgpr_workgroup_id_y 0
		.amdhsa_system_sgpr_workgroup_id_z 0
		.amdhsa_system_sgpr_workgroup_info 0
		.amdhsa_system_vgpr_workitem_id 0
		.amdhsa_next_free_vgpr 1
		.amdhsa_next_free_sgpr 0
		.amdhsa_accum_offset 4
		.amdhsa_reserve_vcc 0
		.amdhsa_reserve_flat_scratch 0
		.amdhsa_float_round_mode_32 0
		.amdhsa_float_round_mode_16_64 0
		.amdhsa_float_denorm_mode_32 3
		.amdhsa_float_denorm_mode_16_64 3
		.amdhsa_dx10_clamp 1
		.amdhsa_ieee_mode 1
		.amdhsa_fp16_overflow 0
		.amdhsa_tg_split 0
		.amdhsa_exception_fp_ieee_invalid_op 0
		.amdhsa_exception_fp_denorm_src 0
		.amdhsa_exception_fp_ieee_div_zero 0
		.amdhsa_exception_fp_ieee_overflow 0
		.amdhsa_exception_fp_ieee_underflow 0
		.amdhsa_exception_fp_ieee_inexact 0
		.amdhsa_exception_int_div_zero 0
	.end_amdhsa_kernel
	.section	.text._ZN7rocprim17ROCPRIM_400000_NS6detail17trampoline_kernelINS0_14default_configENS1_35radix_sort_onesweep_config_selectorIyNS0_10empty_typeEEEZZNS1_29radix_sort_onesweep_iterationIS3_Lb0EPyS8_PS5_S9_mNS0_19identity_decomposerENS1_16block_id_wrapperIjLb0EEEEE10hipError_tT1_PNSt15iterator_traitsISE_E10value_typeET2_T3_PNSF_ISK_E10value_typeET4_T5_PSP_SQ_PNS1_23onesweep_lookback_stateEbbT6_jjT7_P12ihipStream_tbENKUlT_T0_SE_SJ_E_clIS8_S8_S9_S9_EEDaSX_SY_SE_SJ_EUlSX_E_NS1_11comp_targetILNS1_3genE0ELNS1_11target_archE4294967295ELNS1_3gpuE0ELNS1_3repE0EEENS1_47radix_sort_onesweep_sort_config_static_selectorELNS0_4arch9wavefront6targetE1EEEvSE_,"axG",@progbits,_ZN7rocprim17ROCPRIM_400000_NS6detail17trampoline_kernelINS0_14default_configENS1_35radix_sort_onesweep_config_selectorIyNS0_10empty_typeEEEZZNS1_29radix_sort_onesweep_iterationIS3_Lb0EPyS8_PS5_S9_mNS0_19identity_decomposerENS1_16block_id_wrapperIjLb0EEEEE10hipError_tT1_PNSt15iterator_traitsISE_E10value_typeET2_T3_PNSF_ISK_E10value_typeET4_T5_PSP_SQ_PNS1_23onesweep_lookback_stateEbbT6_jjT7_P12ihipStream_tbENKUlT_T0_SE_SJ_E_clIS8_S8_S9_S9_EEDaSX_SY_SE_SJ_EUlSX_E_NS1_11comp_targetILNS1_3genE0ELNS1_11target_archE4294967295ELNS1_3gpuE0ELNS1_3repE0EEENS1_47radix_sort_onesweep_sort_config_static_selectorELNS0_4arch9wavefront6targetE1EEEvSE_,comdat
.Lfunc_end1209:
	.size	_ZN7rocprim17ROCPRIM_400000_NS6detail17trampoline_kernelINS0_14default_configENS1_35radix_sort_onesweep_config_selectorIyNS0_10empty_typeEEEZZNS1_29radix_sort_onesweep_iterationIS3_Lb0EPyS8_PS5_S9_mNS0_19identity_decomposerENS1_16block_id_wrapperIjLb0EEEEE10hipError_tT1_PNSt15iterator_traitsISE_E10value_typeET2_T3_PNSF_ISK_E10value_typeET4_T5_PSP_SQ_PNS1_23onesweep_lookback_stateEbbT6_jjT7_P12ihipStream_tbENKUlT_T0_SE_SJ_E_clIS8_S8_S9_S9_EEDaSX_SY_SE_SJ_EUlSX_E_NS1_11comp_targetILNS1_3genE0ELNS1_11target_archE4294967295ELNS1_3gpuE0ELNS1_3repE0EEENS1_47radix_sort_onesweep_sort_config_static_selectorELNS0_4arch9wavefront6targetE1EEEvSE_, .Lfunc_end1209-_ZN7rocprim17ROCPRIM_400000_NS6detail17trampoline_kernelINS0_14default_configENS1_35radix_sort_onesweep_config_selectorIyNS0_10empty_typeEEEZZNS1_29radix_sort_onesweep_iterationIS3_Lb0EPyS8_PS5_S9_mNS0_19identity_decomposerENS1_16block_id_wrapperIjLb0EEEEE10hipError_tT1_PNSt15iterator_traitsISE_E10value_typeET2_T3_PNSF_ISK_E10value_typeET4_T5_PSP_SQ_PNS1_23onesweep_lookback_stateEbbT6_jjT7_P12ihipStream_tbENKUlT_T0_SE_SJ_E_clIS8_S8_S9_S9_EEDaSX_SY_SE_SJ_EUlSX_E_NS1_11comp_targetILNS1_3genE0ELNS1_11target_archE4294967295ELNS1_3gpuE0ELNS1_3repE0EEENS1_47radix_sort_onesweep_sort_config_static_selectorELNS0_4arch9wavefront6targetE1EEEvSE_
                                        ; -- End function
	.section	.AMDGPU.csdata,"",@progbits
; Kernel info:
; codeLenInByte = 0
; NumSgprs: 4
; NumVgprs: 0
; NumAgprs: 0
; TotalNumVgprs: 0
; ScratchSize: 0
; MemoryBound: 0
; FloatMode: 240
; IeeeMode: 1
; LDSByteSize: 0 bytes/workgroup (compile time only)
; SGPRBlocks: 0
; VGPRBlocks: 0
; NumSGPRsForWavesPerEU: 4
; NumVGPRsForWavesPerEU: 1
; AccumOffset: 4
; Occupancy: 8
; WaveLimiterHint : 0
; COMPUTE_PGM_RSRC2:SCRATCH_EN: 0
; COMPUTE_PGM_RSRC2:USER_SGPR: 6
; COMPUTE_PGM_RSRC2:TRAP_HANDLER: 0
; COMPUTE_PGM_RSRC2:TGID_X_EN: 1
; COMPUTE_PGM_RSRC2:TGID_Y_EN: 0
; COMPUTE_PGM_RSRC2:TGID_Z_EN: 0
; COMPUTE_PGM_RSRC2:TIDIG_COMP_CNT: 0
; COMPUTE_PGM_RSRC3_GFX90A:ACCUM_OFFSET: 0
; COMPUTE_PGM_RSRC3_GFX90A:TG_SPLIT: 0
	.section	.text._ZN7rocprim17ROCPRIM_400000_NS6detail17trampoline_kernelINS0_14default_configENS1_35radix_sort_onesweep_config_selectorIyNS0_10empty_typeEEEZZNS1_29radix_sort_onesweep_iterationIS3_Lb0EPyS8_PS5_S9_mNS0_19identity_decomposerENS1_16block_id_wrapperIjLb0EEEEE10hipError_tT1_PNSt15iterator_traitsISE_E10value_typeET2_T3_PNSF_ISK_E10value_typeET4_T5_PSP_SQ_PNS1_23onesweep_lookback_stateEbbT6_jjT7_P12ihipStream_tbENKUlT_T0_SE_SJ_E_clIS8_S8_S9_S9_EEDaSX_SY_SE_SJ_EUlSX_E_NS1_11comp_targetILNS1_3genE6ELNS1_11target_archE950ELNS1_3gpuE13ELNS1_3repE0EEENS1_47radix_sort_onesweep_sort_config_static_selectorELNS0_4arch9wavefront6targetE1EEEvSE_,"axG",@progbits,_ZN7rocprim17ROCPRIM_400000_NS6detail17trampoline_kernelINS0_14default_configENS1_35radix_sort_onesweep_config_selectorIyNS0_10empty_typeEEEZZNS1_29radix_sort_onesweep_iterationIS3_Lb0EPyS8_PS5_S9_mNS0_19identity_decomposerENS1_16block_id_wrapperIjLb0EEEEE10hipError_tT1_PNSt15iterator_traitsISE_E10value_typeET2_T3_PNSF_ISK_E10value_typeET4_T5_PSP_SQ_PNS1_23onesweep_lookback_stateEbbT6_jjT7_P12ihipStream_tbENKUlT_T0_SE_SJ_E_clIS8_S8_S9_S9_EEDaSX_SY_SE_SJ_EUlSX_E_NS1_11comp_targetILNS1_3genE6ELNS1_11target_archE950ELNS1_3gpuE13ELNS1_3repE0EEENS1_47radix_sort_onesweep_sort_config_static_selectorELNS0_4arch9wavefront6targetE1EEEvSE_,comdat
	.protected	_ZN7rocprim17ROCPRIM_400000_NS6detail17trampoline_kernelINS0_14default_configENS1_35radix_sort_onesweep_config_selectorIyNS0_10empty_typeEEEZZNS1_29radix_sort_onesweep_iterationIS3_Lb0EPyS8_PS5_S9_mNS0_19identity_decomposerENS1_16block_id_wrapperIjLb0EEEEE10hipError_tT1_PNSt15iterator_traitsISE_E10value_typeET2_T3_PNSF_ISK_E10value_typeET4_T5_PSP_SQ_PNS1_23onesweep_lookback_stateEbbT6_jjT7_P12ihipStream_tbENKUlT_T0_SE_SJ_E_clIS8_S8_S9_S9_EEDaSX_SY_SE_SJ_EUlSX_E_NS1_11comp_targetILNS1_3genE6ELNS1_11target_archE950ELNS1_3gpuE13ELNS1_3repE0EEENS1_47radix_sort_onesweep_sort_config_static_selectorELNS0_4arch9wavefront6targetE1EEEvSE_ ; -- Begin function _ZN7rocprim17ROCPRIM_400000_NS6detail17trampoline_kernelINS0_14default_configENS1_35radix_sort_onesweep_config_selectorIyNS0_10empty_typeEEEZZNS1_29radix_sort_onesweep_iterationIS3_Lb0EPyS8_PS5_S9_mNS0_19identity_decomposerENS1_16block_id_wrapperIjLb0EEEEE10hipError_tT1_PNSt15iterator_traitsISE_E10value_typeET2_T3_PNSF_ISK_E10value_typeET4_T5_PSP_SQ_PNS1_23onesweep_lookback_stateEbbT6_jjT7_P12ihipStream_tbENKUlT_T0_SE_SJ_E_clIS8_S8_S9_S9_EEDaSX_SY_SE_SJ_EUlSX_E_NS1_11comp_targetILNS1_3genE6ELNS1_11target_archE950ELNS1_3gpuE13ELNS1_3repE0EEENS1_47radix_sort_onesweep_sort_config_static_selectorELNS0_4arch9wavefront6targetE1EEEvSE_
	.globl	_ZN7rocprim17ROCPRIM_400000_NS6detail17trampoline_kernelINS0_14default_configENS1_35radix_sort_onesweep_config_selectorIyNS0_10empty_typeEEEZZNS1_29radix_sort_onesweep_iterationIS3_Lb0EPyS8_PS5_S9_mNS0_19identity_decomposerENS1_16block_id_wrapperIjLb0EEEEE10hipError_tT1_PNSt15iterator_traitsISE_E10value_typeET2_T3_PNSF_ISK_E10value_typeET4_T5_PSP_SQ_PNS1_23onesweep_lookback_stateEbbT6_jjT7_P12ihipStream_tbENKUlT_T0_SE_SJ_E_clIS8_S8_S9_S9_EEDaSX_SY_SE_SJ_EUlSX_E_NS1_11comp_targetILNS1_3genE6ELNS1_11target_archE950ELNS1_3gpuE13ELNS1_3repE0EEENS1_47radix_sort_onesweep_sort_config_static_selectorELNS0_4arch9wavefront6targetE1EEEvSE_
	.p2align	8
	.type	_ZN7rocprim17ROCPRIM_400000_NS6detail17trampoline_kernelINS0_14default_configENS1_35radix_sort_onesweep_config_selectorIyNS0_10empty_typeEEEZZNS1_29radix_sort_onesweep_iterationIS3_Lb0EPyS8_PS5_S9_mNS0_19identity_decomposerENS1_16block_id_wrapperIjLb0EEEEE10hipError_tT1_PNSt15iterator_traitsISE_E10value_typeET2_T3_PNSF_ISK_E10value_typeET4_T5_PSP_SQ_PNS1_23onesweep_lookback_stateEbbT6_jjT7_P12ihipStream_tbENKUlT_T0_SE_SJ_E_clIS8_S8_S9_S9_EEDaSX_SY_SE_SJ_EUlSX_E_NS1_11comp_targetILNS1_3genE6ELNS1_11target_archE950ELNS1_3gpuE13ELNS1_3repE0EEENS1_47radix_sort_onesweep_sort_config_static_selectorELNS0_4arch9wavefront6targetE1EEEvSE_,@function
_ZN7rocprim17ROCPRIM_400000_NS6detail17trampoline_kernelINS0_14default_configENS1_35radix_sort_onesweep_config_selectorIyNS0_10empty_typeEEEZZNS1_29radix_sort_onesweep_iterationIS3_Lb0EPyS8_PS5_S9_mNS0_19identity_decomposerENS1_16block_id_wrapperIjLb0EEEEE10hipError_tT1_PNSt15iterator_traitsISE_E10value_typeET2_T3_PNSF_ISK_E10value_typeET4_T5_PSP_SQ_PNS1_23onesweep_lookback_stateEbbT6_jjT7_P12ihipStream_tbENKUlT_T0_SE_SJ_E_clIS8_S8_S9_S9_EEDaSX_SY_SE_SJ_EUlSX_E_NS1_11comp_targetILNS1_3genE6ELNS1_11target_archE950ELNS1_3gpuE13ELNS1_3repE0EEENS1_47radix_sort_onesweep_sort_config_static_selectorELNS0_4arch9wavefront6targetE1EEEvSE_: ; @_ZN7rocprim17ROCPRIM_400000_NS6detail17trampoline_kernelINS0_14default_configENS1_35radix_sort_onesweep_config_selectorIyNS0_10empty_typeEEEZZNS1_29radix_sort_onesweep_iterationIS3_Lb0EPyS8_PS5_S9_mNS0_19identity_decomposerENS1_16block_id_wrapperIjLb0EEEEE10hipError_tT1_PNSt15iterator_traitsISE_E10value_typeET2_T3_PNSF_ISK_E10value_typeET4_T5_PSP_SQ_PNS1_23onesweep_lookback_stateEbbT6_jjT7_P12ihipStream_tbENKUlT_T0_SE_SJ_E_clIS8_S8_S9_S9_EEDaSX_SY_SE_SJ_EUlSX_E_NS1_11comp_targetILNS1_3genE6ELNS1_11target_archE950ELNS1_3gpuE13ELNS1_3repE0EEENS1_47radix_sort_onesweep_sort_config_static_selectorELNS0_4arch9wavefront6targetE1EEEvSE_
; %bb.0:
	.section	.rodata,"a",@progbits
	.p2align	6, 0x0
	.amdhsa_kernel _ZN7rocprim17ROCPRIM_400000_NS6detail17trampoline_kernelINS0_14default_configENS1_35radix_sort_onesweep_config_selectorIyNS0_10empty_typeEEEZZNS1_29radix_sort_onesweep_iterationIS3_Lb0EPyS8_PS5_S9_mNS0_19identity_decomposerENS1_16block_id_wrapperIjLb0EEEEE10hipError_tT1_PNSt15iterator_traitsISE_E10value_typeET2_T3_PNSF_ISK_E10value_typeET4_T5_PSP_SQ_PNS1_23onesweep_lookback_stateEbbT6_jjT7_P12ihipStream_tbENKUlT_T0_SE_SJ_E_clIS8_S8_S9_S9_EEDaSX_SY_SE_SJ_EUlSX_E_NS1_11comp_targetILNS1_3genE6ELNS1_11target_archE950ELNS1_3gpuE13ELNS1_3repE0EEENS1_47radix_sort_onesweep_sort_config_static_selectorELNS0_4arch9wavefront6targetE1EEEvSE_
		.amdhsa_group_segment_fixed_size 0
		.amdhsa_private_segment_fixed_size 0
		.amdhsa_kernarg_size 88
		.amdhsa_user_sgpr_count 6
		.amdhsa_user_sgpr_private_segment_buffer 1
		.amdhsa_user_sgpr_dispatch_ptr 0
		.amdhsa_user_sgpr_queue_ptr 0
		.amdhsa_user_sgpr_kernarg_segment_ptr 1
		.amdhsa_user_sgpr_dispatch_id 0
		.amdhsa_user_sgpr_flat_scratch_init 0
		.amdhsa_user_sgpr_kernarg_preload_length 0
		.amdhsa_user_sgpr_kernarg_preload_offset 0
		.amdhsa_user_sgpr_private_segment_size 0
		.amdhsa_uses_dynamic_stack 0
		.amdhsa_system_sgpr_private_segment_wavefront_offset 0
		.amdhsa_system_sgpr_workgroup_id_x 1
		.amdhsa_system_sgpr_workgroup_id_y 0
		.amdhsa_system_sgpr_workgroup_id_z 0
		.amdhsa_system_sgpr_workgroup_info 0
		.amdhsa_system_vgpr_workitem_id 0
		.amdhsa_next_free_vgpr 1
		.amdhsa_next_free_sgpr 0
		.amdhsa_accum_offset 4
		.amdhsa_reserve_vcc 0
		.amdhsa_reserve_flat_scratch 0
		.amdhsa_float_round_mode_32 0
		.amdhsa_float_round_mode_16_64 0
		.amdhsa_float_denorm_mode_32 3
		.amdhsa_float_denorm_mode_16_64 3
		.amdhsa_dx10_clamp 1
		.amdhsa_ieee_mode 1
		.amdhsa_fp16_overflow 0
		.amdhsa_tg_split 0
		.amdhsa_exception_fp_ieee_invalid_op 0
		.amdhsa_exception_fp_denorm_src 0
		.amdhsa_exception_fp_ieee_div_zero 0
		.amdhsa_exception_fp_ieee_overflow 0
		.amdhsa_exception_fp_ieee_underflow 0
		.amdhsa_exception_fp_ieee_inexact 0
		.amdhsa_exception_int_div_zero 0
	.end_amdhsa_kernel
	.section	.text._ZN7rocprim17ROCPRIM_400000_NS6detail17trampoline_kernelINS0_14default_configENS1_35radix_sort_onesweep_config_selectorIyNS0_10empty_typeEEEZZNS1_29radix_sort_onesweep_iterationIS3_Lb0EPyS8_PS5_S9_mNS0_19identity_decomposerENS1_16block_id_wrapperIjLb0EEEEE10hipError_tT1_PNSt15iterator_traitsISE_E10value_typeET2_T3_PNSF_ISK_E10value_typeET4_T5_PSP_SQ_PNS1_23onesweep_lookback_stateEbbT6_jjT7_P12ihipStream_tbENKUlT_T0_SE_SJ_E_clIS8_S8_S9_S9_EEDaSX_SY_SE_SJ_EUlSX_E_NS1_11comp_targetILNS1_3genE6ELNS1_11target_archE950ELNS1_3gpuE13ELNS1_3repE0EEENS1_47radix_sort_onesweep_sort_config_static_selectorELNS0_4arch9wavefront6targetE1EEEvSE_,"axG",@progbits,_ZN7rocprim17ROCPRIM_400000_NS6detail17trampoline_kernelINS0_14default_configENS1_35radix_sort_onesweep_config_selectorIyNS0_10empty_typeEEEZZNS1_29radix_sort_onesweep_iterationIS3_Lb0EPyS8_PS5_S9_mNS0_19identity_decomposerENS1_16block_id_wrapperIjLb0EEEEE10hipError_tT1_PNSt15iterator_traitsISE_E10value_typeET2_T3_PNSF_ISK_E10value_typeET4_T5_PSP_SQ_PNS1_23onesweep_lookback_stateEbbT6_jjT7_P12ihipStream_tbENKUlT_T0_SE_SJ_E_clIS8_S8_S9_S9_EEDaSX_SY_SE_SJ_EUlSX_E_NS1_11comp_targetILNS1_3genE6ELNS1_11target_archE950ELNS1_3gpuE13ELNS1_3repE0EEENS1_47radix_sort_onesweep_sort_config_static_selectorELNS0_4arch9wavefront6targetE1EEEvSE_,comdat
.Lfunc_end1210:
	.size	_ZN7rocprim17ROCPRIM_400000_NS6detail17trampoline_kernelINS0_14default_configENS1_35radix_sort_onesweep_config_selectorIyNS0_10empty_typeEEEZZNS1_29radix_sort_onesweep_iterationIS3_Lb0EPyS8_PS5_S9_mNS0_19identity_decomposerENS1_16block_id_wrapperIjLb0EEEEE10hipError_tT1_PNSt15iterator_traitsISE_E10value_typeET2_T3_PNSF_ISK_E10value_typeET4_T5_PSP_SQ_PNS1_23onesweep_lookback_stateEbbT6_jjT7_P12ihipStream_tbENKUlT_T0_SE_SJ_E_clIS8_S8_S9_S9_EEDaSX_SY_SE_SJ_EUlSX_E_NS1_11comp_targetILNS1_3genE6ELNS1_11target_archE950ELNS1_3gpuE13ELNS1_3repE0EEENS1_47radix_sort_onesweep_sort_config_static_selectorELNS0_4arch9wavefront6targetE1EEEvSE_, .Lfunc_end1210-_ZN7rocprim17ROCPRIM_400000_NS6detail17trampoline_kernelINS0_14default_configENS1_35radix_sort_onesweep_config_selectorIyNS0_10empty_typeEEEZZNS1_29radix_sort_onesweep_iterationIS3_Lb0EPyS8_PS5_S9_mNS0_19identity_decomposerENS1_16block_id_wrapperIjLb0EEEEE10hipError_tT1_PNSt15iterator_traitsISE_E10value_typeET2_T3_PNSF_ISK_E10value_typeET4_T5_PSP_SQ_PNS1_23onesweep_lookback_stateEbbT6_jjT7_P12ihipStream_tbENKUlT_T0_SE_SJ_E_clIS8_S8_S9_S9_EEDaSX_SY_SE_SJ_EUlSX_E_NS1_11comp_targetILNS1_3genE6ELNS1_11target_archE950ELNS1_3gpuE13ELNS1_3repE0EEENS1_47radix_sort_onesweep_sort_config_static_selectorELNS0_4arch9wavefront6targetE1EEEvSE_
                                        ; -- End function
	.section	.AMDGPU.csdata,"",@progbits
; Kernel info:
; codeLenInByte = 0
; NumSgprs: 4
; NumVgprs: 0
; NumAgprs: 0
; TotalNumVgprs: 0
; ScratchSize: 0
; MemoryBound: 0
; FloatMode: 240
; IeeeMode: 1
; LDSByteSize: 0 bytes/workgroup (compile time only)
; SGPRBlocks: 0
; VGPRBlocks: 0
; NumSGPRsForWavesPerEU: 4
; NumVGPRsForWavesPerEU: 1
; AccumOffset: 4
; Occupancy: 8
; WaveLimiterHint : 0
; COMPUTE_PGM_RSRC2:SCRATCH_EN: 0
; COMPUTE_PGM_RSRC2:USER_SGPR: 6
; COMPUTE_PGM_RSRC2:TRAP_HANDLER: 0
; COMPUTE_PGM_RSRC2:TGID_X_EN: 1
; COMPUTE_PGM_RSRC2:TGID_Y_EN: 0
; COMPUTE_PGM_RSRC2:TGID_Z_EN: 0
; COMPUTE_PGM_RSRC2:TIDIG_COMP_CNT: 0
; COMPUTE_PGM_RSRC3_GFX90A:ACCUM_OFFSET: 0
; COMPUTE_PGM_RSRC3_GFX90A:TG_SPLIT: 0
	.section	.text._ZN7rocprim17ROCPRIM_400000_NS6detail17trampoline_kernelINS0_14default_configENS1_35radix_sort_onesweep_config_selectorIyNS0_10empty_typeEEEZZNS1_29radix_sort_onesweep_iterationIS3_Lb0EPyS8_PS5_S9_mNS0_19identity_decomposerENS1_16block_id_wrapperIjLb0EEEEE10hipError_tT1_PNSt15iterator_traitsISE_E10value_typeET2_T3_PNSF_ISK_E10value_typeET4_T5_PSP_SQ_PNS1_23onesweep_lookback_stateEbbT6_jjT7_P12ihipStream_tbENKUlT_T0_SE_SJ_E_clIS8_S8_S9_S9_EEDaSX_SY_SE_SJ_EUlSX_E_NS1_11comp_targetILNS1_3genE5ELNS1_11target_archE942ELNS1_3gpuE9ELNS1_3repE0EEENS1_47radix_sort_onesweep_sort_config_static_selectorELNS0_4arch9wavefront6targetE1EEEvSE_,"axG",@progbits,_ZN7rocprim17ROCPRIM_400000_NS6detail17trampoline_kernelINS0_14default_configENS1_35radix_sort_onesweep_config_selectorIyNS0_10empty_typeEEEZZNS1_29radix_sort_onesweep_iterationIS3_Lb0EPyS8_PS5_S9_mNS0_19identity_decomposerENS1_16block_id_wrapperIjLb0EEEEE10hipError_tT1_PNSt15iterator_traitsISE_E10value_typeET2_T3_PNSF_ISK_E10value_typeET4_T5_PSP_SQ_PNS1_23onesweep_lookback_stateEbbT6_jjT7_P12ihipStream_tbENKUlT_T0_SE_SJ_E_clIS8_S8_S9_S9_EEDaSX_SY_SE_SJ_EUlSX_E_NS1_11comp_targetILNS1_3genE5ELNS1_11target_archE942ELNS1_3gpuE9ELNS1_3repE0EEENS1_47radix_sort_onesweep_sort_config_static_selectorELNS0_4arch9wavefront6targetE1EEEvSE_,comdat
	.protected	_ZN7rocprim17ROCPRIM_400000_NS6detail17trampoline_kernelINS0_14default_configENS1_35radix_sort_onesweep_config_selectorIyNS0_10empty_typeEEEZZNS1_29radix_sort_onesweep_iterationIS3_Lb0EPyS8_PS5_S9_mNS0_19identity_decomposerENS1_16block_id_wrapperIjLb0EEEEE10hipError_tT1_PNSt15iterator_traitsISE_E10value_typeET2_T3_PNSF_ISK_E10value_typeET4_T5_PSP_SQ_PNS1_23onesweep_lookback_stateEbbT6_jjT7_P12ihipStream_tbENKUlT_T0_SE_SJ_E_clIS8_S8_S9_S9_EEDaSX_SY_SE_SJ_EUlSX_E_NS1_11comp_targetILNS1_3genE5ELNS1_11target_archE942ELNS1_3gpuE9ELNS1_3repE0EEENS1_47radix_sort_onesweep_sort_config_static_selectorELNS0_4arch9wavefront6targetE1EEEvSE_ ; -- Begin function _ZN7rocprim17ROCPRIM_400000_NS6detail17trampoline_kernelINS0_14default_configENS1_35radix_sort_onesweep_config_selectorIyNS0_10empty_typeEEEZZNS1_29radix_sort_onesweep_iterationIS3_Lb0EPyS8_PS5_S9_mNS0_19identity_decomposerENS1_16block_id_wrapperIjLb0EEEEE10hipError_tT1_PNSt15iterator_traitsISE_E10value_typeET2_T3_PNSF_ISK_E10value_typeET4_T5_PSP_SQ_PNS1_23onesweep_lookback_stateEbbT6_jjT7_P12ihipStream_tbENKUlT_T0_SE_SJ_E_clIS8_S8_S9_S9_EEDaSX_SY_SE_SJ_EUlSX_E_NS1_11comp_targetILNS1_3genE5ELNS1_11target_archE942ELNS1_3gpuE9ELNS1_3repE0EEENS1_47radix_sort_onesweep_sort_config_static_selectorELNS0_4arch9wavefront6targetE1EEEvSE_
	.globl	_ZN7rocprim17ROCPRIM_400000_NS6detail17trampoline_kernelINS0_14default_configENS1_35radix_sort_onesweep_config_selectorIyNS0_10empty_typeEEEZZNS1_29radix_sort_onesweep_iterationIS3_Lb0EPyS8_PS5_S9_mNS0_19identity_decomposerENS1_16block_id_wrapperIjLb0EEEEE10hipError_tT1_PNSt15iterator_traitsISE_E10value_typeET2_T3_PNSF_ISK_E10value_typeET4_T5_PSP_SQ_PNS1_23onesweep_lookback_stateEbbT6_jjT7_P12ihipStream_tbENKUlT_T0_SE_SJ_E_clIS8_S8_S9_S9_EEDaSX_SY_SE_SJ_EUlSX_E_NS1_11comp_targetILNS1_3genE5ELNS1_11target_archE942ELNS1_3gpuE9ELNS1_3repE0EEENS1_47radix_sort_onesweep_sort_config_static_selectorELNS0_4arch9wavefront6targetE1EEEvSE_
	.p2align	8
	.type	_ZN7rocprim17ROCPRIM_400000_NS6detail17trampoline_kernelINS0_14default_configENS1_35radix_sort_onesweep_config_selectorIyNS0_10empty_typeEEEZZNS1_29radix_sort_onesweep_iterationIS3_Lb0EPyS8_PS5_S9_mNS0_19identity_decomposerENS1_16block_id_wrapperIjLb0EEEEE10hipError_tT1_PNSt15iterator_traitsISE_E10value_typeET2_T3_PNSF_ISK_E10value_typeET4_T5_PSP_SQ_PNS1_23onesweep_lookback_stateEbbT6_jjT7_P12ihipStream_tbENKUlT_T0_SE_SJ_E_clIS8_S8_S9_S9_EEDaSX_SY_SE_SJ_EUlSX_E_NS1_11comp_targetILNS1_3genE5ELNS1_11target_archE942ELNS1_3gpuE9ELNS1_3repE0EEENS1_47radix_sort_onesweep_sort_config_static_selectorELNS0_4arch9wavefront6targetE1EEEvSE_,@function
_ZN7rocprim17ROCPRIM_400000_NS6detail17trampoline_kernelINS0_14default_configENS1_35radix_sort_onesweep_config_selectorIyNS0_10empty_typeEEEZZNS1_29radix_sort_onesweep_iterationIS3_Lb0EPyS8_PS5_S9_mNS0_19identity_decomposerENS1_16block_id_wrapperIjLb0EEEEE10hipError_tT1_PNSt15iterator_traitsISE_E10value_typeET2_T3_PNSF_ISK_E10value_typeET4_T5_PSP_SQ_PNS1_23onesweep_lookback_stateEbbT6_jjT7_P12ihipStream_tbENKUlT_T0_SE_SJ_E_clIS8_S8_S9_S9_EEDaSX_SY_SE_SJ_EUlSX_E_NS1_11comp_targetILNS1_3genE5ELNS1_11target_archE942ELNS1_3gpuE9ELNS1_3repE0EEENS1_47radix_sort_onesweep_sort_config_static_selectorELNS0_4arch9wavefront6targetE1EEEvSE_: ; @_ZN7rocprim17ROCPRIM_400000_NS6detail17trampoline_kernelINS0_14default_configENS1_35radix_sort_onesweep_config_selectorIyNS0_10empty_typeEEEZZNS1_29radix_sort_onesweep_iterationIS3_Lb0EPyS8_PS5_S9_mNS0_19identity_decomposerENS1_16block_id_wrapperIjLb0EEEEE10hipError_tT1_PNSt15iterator_traitsISE_E10value_typeET2_T3_PNSF_ISK_E10value_typeET4_T5_PSP_SQ_PNS1_23onesweep_lookback_stateEbbT6_jjT7_P12ihipStream_tbENKUlT_T0_SE_SJ_E_clIS8_S8_S9_S9_EEDaSX_SY_SE_SJ_EUlSX_E_NS1_11comp_targetILNS1_3genE5ELNS1_11target_archE942ELNS1_3gpuE9ELNS1_3repE0EEENS1_47radix_sort_onesweep_sort_config_static_selectorELNS0_4arch9wavefront6targetE1EEEvSE_
; %bb.0:
	.section	.rodata,"a",@progbits
	.p2align	6, 0x0
	.amdhsa_kernel _ZN7rocprim17ROCPRIM_400000_NS6detail17trampoline_kernelINS0_14default_configENS1_35radix_sort_onesweep_config_selectorIyNS0_10empty_typeEEEZZNS1_29radix_sort_onesweep_iterationIS3_Lb0EPyS8_PS5_S9_mNS0_19identity_decomposerENS1_16block_id_wrapperIjLb0EEEEE10hipError_tT1_PNSt15iterator_traitsISE_E10value_typeET2_T3_PNSF_ISK_E10value_typeET4_T5_PSP_SQ_PNS1_23onesweep_lookback_stateEbbT6_jjT7_P12ihipStream_tbENKUlT_T0_SE_SJ_E_clIS8_S8_S9_S9_EEDaSX_SY_SE_SJ_EUlSX_E_NS1_11comp_targetILNS1_3genE5ELNS1_11target_archE942ELNS1_3gpuE9ELNS1_3repE0EEENS1_47radix_sort_onesweep_sort_config_static_selectorELNS0_4arch9wavefront6targetE1EEEvSE_
		.amdhsa_group_segment_fixed_size 0
		.amdhsa_private_segment_fixed_size 0
		.amdhsa_kernarg_size 88
		.amdhsa_user_sgpr_count 6
		.amdhsa_user_sgpr_private_segment_buffer 1
		.amdhsa_user_sgpr_dispatch_ptr 0
		.amdhsa_user_sgpr_queue_ptr 0
		.amdhsa_user_sgpr_kernarg_segment_ptr 1
		.amdhsa_user_sgpr_dispatch_id 0
		.amdhsa_user_sgpr_flat_scratch_init 0
		.amdhsa_user_sgpr_kernarg_preload_length 0
		.amdhsa_user_sgpr_kernarg_preload_offset 0
		.amdhsa_user_sgpr_private_segment_size 0
		.amdhsa_uses_dynamic_stack 0
		.amdhsa_system_sgpr_private_segment_wavefront_offset 0
		.amdhsa_system_sgpr_workgroup_id_x 1
		.amdhsa_system_sgpr_workgroup_id_y 0
		.amdhsa_system_sgpr_workgroup_id_z 0
		.amdhsa_system_sgpr_workgroup_info 0
		.amdhsa_system_vgpr_workitem_id 0
		.amdhsa_next_free_vgpr 1
		.amdhsa_next_free_sgpr 0
		.amdhsa_accum_offset 4
		.amdhsa_reserve_vcc 0
		.amdhsa_reserve_flat_scratch 0
		.amdhsa_float_round_mode_32 0
		.amdhsa_float_round_mode_16_64 0
		.amdhsa_float_denorm_mode_32 3
		.amdhsa_float_denorm_mode_16_64 3
		.amdhsa_dx10_clamp 1
		.amdhsa_ieee_mode 1
		.amdhsa_fp16_overflow 0
		.amdhsa_tg_split 0
		.amdhsa_exception_fp_ieee_invalid_op 0
		.amdhsa_exception_fp_denorm_src 0
		.amdhsa_exception_fp_ieee_div_zero 0
		.amdhsa_exception_fp_ieee_overflow 0
		.amdhsa_exception_fp_ieee_underflow 0
		.amdhsa_exception_fp_ieee_inexact 0
		.amdhsa_exception_int_div_zero 0
	.end_amdhsa_kernel
	.section	.text._ZN7rocprim17ROCPRIM_400000_NS6detail17trampoline_kernelINS0_14default_configENS1_35radix_sort_onesweep_config_selectorIyNS0_10empty_typeEEEZZNS1_29radix_sort_onesweep_iterationIS3_Lb0EPyS8_PS5_S9_mNS0_19identity_decomposerENS1_16block_id_wrapperIjLb0EEEEE10hipError_tT1_PNSt15iterator_traitsISE_E10value_typeET2_T3_PNSF_ISK_E10value_typeET4_T5_PSP_SQ_PNS1_23onesweep_lookback_stateEbbT6_jjT7_P12ihipStream_tbENKUlT_T0_SE_SJ_E_clIS8_S8_S9_S9_EEDaSX_SY_SE_SJ_EUlSX_E_NS1_11comp_targetILNS1_3genE5ELNS1_11target_archE942ELNS1_3gpuE9ELNS1_3repE0EEENS1_47radix_sort_onesweep_sort_config_static_selectorELNS0_4arch9wavefront6targetE1EEEvSE_,"axG",@progbits,_ZN7rocprim17ROCPRIM_400000_NS6detail17trampoline_kernelINS0_14default_configENS1_35radix_sort_onesweep_config_selectorIyNS0_10empty_typeEEEZZNS1_29radix_sort_onesweep_iterationIS3_Lb0EPyS8_PS5_S9_mNS0_19identity_decomposerENS1_16block_id_wrapperIjLb0EEEEE10hipError_tT1_PNSt15iterator_traitsISE_E10value_typeET2_T3_PNSF_ISK_E10value_typeET4_T5_PSP_SQ_PNS1_23onesweep_lookback_stateEbbT6_jjT7_P12ihipStream_tbENKUlT_T0_SE_SJ_E_clIS8_S8_S9_S9_EEDaSX_SY_SE_SJ_EUlSX_E_NS1_11comp_targetILNS1_3genE5ELNS1_11target_archE942ELNS1_3gpuE9ELNS1_3repE0EEENS1_47radix_sort_onesweep_sort_config_static_selectorELNS0_4arch9wavefront6targetE1EEEvSE_,comdat
.Lfunc_end1211:
	.size	_ZN7rocprim17ROCPRIM_400000_NS6detail17trampoline_kernelINS0_14default_configENS1_35radix_sort_onesweep_config_selectorIyNS0_10empty_typeEEEZZNS1_29radix_sort_onesweep_iterationIS3_Lb0EPyS8_PS5_S9_mNS0_19identity_decomposerENS1_16block_id_wrapperIjLb0EEEEE10hipError_tT1_PNSt15iterator_traitsISE_E10value_typeET2_T3_PNSF_ISK_E10value_typeET4_T5_PSP_SQ_PNS1_23onesweep_lookback_stateEbbT6_jjT7_P12ihipStream_tbENKUlT_T0_SE_SJ_E_clIS8_S8_S9_S9_EEDaSX_SY_SE_SJ_EUlSX_E_NS1_11comp_targetILNS1_3genE5ELNS1_11target_archE942ELNS1_3gpuE9ELNS1_3repE0EEENS1_47radix_sort_onesweep_sort_config_static_selectorELNS0_4arch9wavefront6targetE1EEEvSE_, .Lfunc_end1211-_ZN7rocprim17ROCPRIM_400000_NS6detail17trampoline_kernelINS0_14default_configENS1_35radix_sort_onesweep_config_selectorIyNS0_10empty_typeEEEZZNS1_29radix_sort_onesweep_iterationIS3_Lb0EPyS8_PS5_S9_mNS0_19identity_decomposerENS1_16block_id_wrapperIjLb0EEEEE10hipError_tT1_PNSt15iterator_traitsISE_E10value_typeET2_T3_PNSF_ISK_E10value_typeET4_T5_PSP_SQ_PNS1_23onesweep_lookback_stateEbbT6_jjT7_P12ihipStream_tbENKUlT_T0_SE_SJ_E_clIS8_S8_S9_S9_EEDaSX_SY_SE_SJ_EUlSX_E_NS1_11comp_targetILNS1_3genE5ELNS1_11target_archE942ELNS1_3gpuE9ELNS1_3repE0EEENS1_47radix_sort_onesweep_sort_config_static_selectorELNS0_4arch9wavefront6targetE1EEEvSE_
                                        ; -- End function
	.section	.AMDGPU.csdata,"",@progbits
; Kernel info:
; codeLenInByte = 0
; NumSgprs: 4
; NumVgprs: 0
; NumAgprs: 0
; TotalNumVgprs: 0
; ScratchSize: 0
; MemoryBound: 0
; FloatMode: 240
; IeeeMode: 1
; LDSByteSize: 0 bytes/workgroup (compile time only)
; SGPRBlocks: 0
; VGPRBlocks: 0
; NumSGPRsForWavesPerEU: 4
; NumVGPRsForWavesPerEU: 1
; AccumOffset: 4
; Occupancy: 8
; WaveLimiterHint : 0
; COMPUTE_PGM_RSRC2:SCRATCH_EN: 0
; COMPUTE_PGM_RSRC2:USER_SGPR: 6
; COMPUTE_PGM_RSRC2:TRAP_HANDLER: 0
; COMPUTE_PGM_RSRC2:TGID_X_EN: 1
; COMPUTE_PGM_RSRC2:TGID_Y_EN: 0
; COMPUTE_PGM_RSRC2:TGID_Z_EN: 0
; COMPUTE_PGM_RSRC2:TIDIG_COMP_CNT: 0
; COMPUTE_PGM_RSRC3_GFX90A:ACCUM_OFFSET: 0
; COMPUTE_PGM_RSRC3_GFX90A:TG_SPLIT: 0
	.section	.text._ZN7rocprim17ROCPRIM_400000_NS6detail17trampoline_kernelINS0_14default_configENS1_35radix_sort_onesweep_config_selectorIyNS0_10empty_typeEEEZZNS1_29radix_sort_onesweep_iterationIS3_Lb0EPyS8_PS5_S9_mNS0_19identity_decomposerENS1_16block_id_wrapperIjLb0EEEEE10hipError_tT1_PNSt15iterator_traitsISE_E10value_typeET2_T3_PNSF_ISK_E10value_typeET4_T5_PSP_SQ_PNS1_23onesweep_lookback_stateEbbT6_jjT7_P12ihipStream_tbENKUlT_T0_SE_SJ_E_clIS8_S8_S9_S9_EEDaSX_SY_SE_SJ_EUlSX_E_NS1_11comp_targetILNS1_3genE2ELNS1_11target_archE906ELNS1_3gpuE6ELNS1_3repE0EEENS1_47radix_sort_onesweep_sort_config_static_selectorELNS0_4arch9wavefront6targetE1EEEvSE_,"axG",@progbits,_ZN7rocprim17ROCPRIM_400000_NS6detail17trampoline_kernelINS0_14default_configENS1_35radix_sort_onesweep_config_selectorIyNS0_10empty_typeEEEZZNS1_29radix_sort_onesweep_iterationIS3_Lb0EPyS8_PS5_S9_mNS0_19identity_decomposerENS1_16block_id_wrapperIjLb0EEEEE10hipError_tT1_PNSt15iterator_traitsISE_E10value_typeET2_T3_PNSF_ISK_E10value_typeET4_T5_PSP_SQ_PNS1_23onesweep_lookback_stateEbbT6_jjT7_P12ihipStream_tbENKUlT_T0_SE_SJ_E_clIS8_S8_S9_S9_EEDaSX_SY_SE_SJ_EUlSX_E_NS1_11comp_targetILNS1_3genE2ELNS1_11target_archE906ELNS1_3gpuE6ELNS1_3repE0EEENS1_47radix_sort_onesweep_sort_config_static_selectorELNS0_4arch9wavefront6targetE1EEEvSE_,comdat
	.protected	_ZN7rocprim17ROCPRIM_400000_NS6detail17trampoline_kernelINS0_14default_configENS1_35radix_sort_onesweep_config_selectorIyNS0_10empty_typeEEEZZNS1_29radix_sort_onesweep_iterationIS3_Lb0EPyS8_PS5_S9_mNS0_19identity_decomposerENS1_16block_id_wrapperIjLb0EEEEE10hipError_tT1_PNSt15iterator_traitsISE_E10value_typeET2_T3_PNSF_ISK_E10value_typeET4_T5_PSP_SQ_PNS1_23onesweep_lookback_stateEbbT6_jjT7_P12ihipStream_tbENKUlT_T0_SE_SJ_E_clIS8_S8_S9_S9_EEDaSX_SY_SE_SJ_EUlSX_E_NS1_11comp_targetILNS1_3genE2ELNS1_11target_archE906ELNS1_3gpuE6ELNS1_3repE0EEENS1_47radix_sort_onesweep_sort_config_static_selectorELNS0_4arch9wavefront6targetE1EEEvSE_ ; -- Begin function _ZN7rocprim17ROCPRIM_400000_NS6detail17trampoline_kernelINS0_14default_configENS1_35radix_sort_onesweep_config_selectorIyNS0_10empty_typeEEEZZNS1_29radix_sort_onesweep_iterationIS3_Lb0EPyS8_PS5_S9_mNS0_19identity_decomposerENS1_16block_id_wrapperIjLb0EEEEE10hipError_tT1_PNSt15iterator_traitsISE_E10value_typeET2_T3_PNSF_ISK_E10value_typeET4_T5_PSP_SQ_PNS1_23onesweep_lookback_stateEbbT6_jjT7_P12ihipStream_tbENKUlT_T0_SE_SJ_E_clIS8_S8_S9_S9_EEDaSX_SY_SE_SJ_EUlSX_E_NS1_11comp_targetILNS1_3genE2ELNS1_11target_archE906ELNS1_3gpuE6ELNS1_3repE0EEENS1_47radix_sort_onesweep_sort_config_static_selectorELNS0_4arch9wavefront6targetE1EEEvSE_
	.globl	_ZN7rocprim17ROCPRIM_400000_NS6detail17trampoline_kernelINS0_14default_configENS1_35radix_sort_onesweep_config_selectorIyNS0_10empty_typeEEEZZNS1_29radix_sort_onesweep_iterationIS3_Lb0EPyS8_PS5_S9_mNS0_19identity_decomposerENS1_16block_id_wrapperIjLb0EEEEE10hipError_tT1_PNSt15iterator_traitsISE_E10value_typeET2_T3_PNSF_ISK_E10value_typeET4_T5_PSP_SQ_PNS1_23onesweep_lookback_stateEbbT6_jjT7_P12ihipStream_tbENKUlT_T0_SE_SJ_E_clIS8_S8_S9_S9_EEDaSX_SY_SE_SJ_EUlSX_E_NS1_11comp_targetILNS1_3genE2ELNS1_11target_archE906ELNS1_3gpuE6ELNS1_3repE0EEENS1_47radix_sort_onesweep_sort_config_static_selectorELNS0_4arch9wavefront6targetE1EEEvSE_
	.p2align	8
	.type	_ZN7rocprim17ROCPRIM_400000_NS6detail17trampoline_kernelINS0_14default_configENS1_35radix_sort_onesweep_config_selectorIyNS0_10empty_typeEEEZZNS1_29radix_sort_onesweep_iterationIS3_Lb0EPyS8_PS5_S9_mNS0_19identity_decomposerENS1_16block_id_wrapperIjLb0EEEEE10hipError_tT1_PNSt15iterator_traitsISE_E10value_typeET2_T3_PNSF_ISK_E10value_typeET4_T5_PSP_SQ_PNS1_23onesweep_lookback_stateEbbT6_jjT7_P12ihipStream_tbENKUlT_T0_SE_SJ_E_clIS8_S8_S9_S9_EEDaSX_SY_SE_SJ_EUlSX_E_NS1_11comp_targetILNS1_3genE2ELNS1_11target_archE906ELNS1_3gpuE6ELNS1_3repE0EEENS1_47radix_sort_onesweep_sort_config_static_selectorELNS0_4arch9wavefront6targetE1EEEvSE_,@function
_ZN7rocprim17ROCPRIM_400000_NS6detail17trampoline_kernelINS0_14default_configENS1_35radix_sort_onesweep_config_selectorIyNS0_10empty_typeEEEZZNS1_29radix_sort_onesweep_iterationIS3_Lb0EPyS8_PS5_S9_mNS0_19identity_decomposerENS1_16block_id_wrapperIjLb0EEEEE10hipError_tT1_PNSt15iterator_traitsISE_E10value_typeET2_T3_PNSF_ISK_E10value_typeET4_T5_PSP_SQ_PNS1_23onesweep_lookback_stateEbbT6_jjT7_P12ihipStream_tbENKUlT_T0_SE_SJ_E_clIS8_S8_S9_S9_EEDaSX_SY_SE_SJ_EUlSX_E_NS1_11comp_targetILNS1_3genE2ELNS1_11target_archE906ELNS1_3gpuE6ELNS1_3repE0EEENS1_47radix_sort_onesweep_sort_config_static_selectorELNS0_4arch9wavefront6targetE1EEEvSE_: ; @_ZN7rocprim17ROCPRIM_400000_NS6detail17trampoline_kernelINS0_14default_configENS1_35radix_sort_onesweep_config_selectorIyNS0_10empty_typeEEEZZNS1_29radix_sort_onesweep_iterationIS3_Lb0EPyS8_PS5_S9_mNS0_19identity_decomposerENS1_16block_id_wrapperIjLb0EEEEE10hipError_tT1_PNSt15iterator_traitsISE_E10value_typeET2_T3_PNSF_ISK_E10value_typeET4_T5_PSP_SQ_PNS1_23onesweep_lookback_stateEbbT6_jjT7_P12ihipStream_tbENKUlT_T0_SE_SJ_E_clIS8_S8_S9_S9_EEDaSX_SY_SE_SJ_EUlSX_E_NS1_11comp_targetILNS1_3genE2ELNS1_11target_archE906ELNS1_3gpuE6ELNS1_3repE0EEENS1_47radix_sort_onesweep_sort_config_static_selectorELNS0_4arch9wavefront6targetE1EEEvSE_
; %bb.0:
	.section	.rodata,"a",@progbits
	.p2align	6, 0x0
	.amdhsa_kernel _ZN7rocprim17ROCPRIM_400000_NS6detail17trampoline_kernelINS0_14default_configENS1_35radix_sort_onesweep_config_selectorIyNS0_10empty_typeEEEZZNS1_29radix_sort_onesweep_iterationIS3_Lb0EPyS8_PS5_S9_mNS0_19identity_decomposerENS1_16block_id_wrapperIjLb0EEEEE10hipError_tT1_PNSt15iterator_traitsISE_E10value_typeET2_T3_PNSF_ISK_E10value_typeET4_T5_PSP_SQ_PNS1_23onesweep_lookback_stateEbbT6_jjT7_P12ihipStream_tbENKUlT_T0_SE_SJ_E_clIS8_S8_S9_S9_EEDaSX_SY_SE_SJ_EUlSX_E_NS1_11comp_targetILNS1_3genE2ELNS1_11target_archE906ELNS1_3gpuE6ELNS1_3repE0EEENS1_47radix_sort_onesweep_sort_config_static_selectorELNS0_4arch9wavefront6targetE1EEEvSE_
		.amdhsa_group_segment_fixed_size 0
		.amdhsa_private_segment_fixed_size 0
		.amdhsa_kernarg_size 88
		.amdhsa_user_sgpr_count 6
		.amdhsa_user_sgpr_private_segment_buffer 1
		.amdhsa_user_sgpr_dispatch_ptr 0
		.amdhsa_user_sgpr_queue_ptr 0
		.amdhsa_user_sgpr_kernarg_segment_ptr 1
		.amdhsa_user_sgpr_dispatch_id 0
		.amdhsa_user_sgpr_flat_scratch_init 0
		.amdhsa_user_sgpr_kernarg_preload_length 0
		.amdhsa_user_sgpr_kernarg_preload_offset 0
		.amdhsa_user_sgpr_private_segment_size 0
		.amdhsa_uses_dynamic_stack 0
		.amdhsa_system_sgpr_private_segment_wavefront_offset 0
		.amdhsa_system_sgpr_workgroup_id_x 1
		.amdhsa_system_sgpr_workgroup_id_y 0
		.amdhsa_system_sgpr_workgroup_id_z 0
		.amdhsa_system_sgpr_workgroup_info 0
		.amdhsa_system_vgpr_workitem_id 0
		.amdhsa_next_free_vgpr 1
		.amdhsa_next_free_sgpr 0
		.amdhsa_accum_offset 4
		.amdhsa_reserve_vcc 0
		.amdhsa_reserve_flat_scratch 0
		.amdhsa_float_round_mode_32 0
		.amdhsa_float_round_mode_16_64 0
		.amdhsa_float_denorm_mode_32 3
		.amdhsa_float_denorm_mode_16_64 3
		.amdhsa_dx10_clamp 1
		.amdhsa_ieee_mode 1
		.amdhsa_fp16_overflow 0
		.amdhsa_tg_split 0
		.amdhsa_exception_fp_ieee_invalid_op 0
		.amdhsa_exception_fp_denorm_src 0
		.amdhsa_exception_fp_ieee_div_zero 0
		.amdhsa_exception_fp_ieee_overflow 0
		.amdhsa_exception_fp_ieee_underflow 0
		.amdhsa_exception_fp_ieee_inexact 0
		.amdhsa_exception_int_div_zero 0
	.end_amdhsa_kernel
	.section	.text._ZN7rocprim17ROCPRIM_400000_NS6detail17trampoline_kernelINS0_14default_configENS1_35radix_sort_onesweep_config_selectorIyNS0_10empty_typeEEEZZNS1_29radix_sort_onesweep_iterationIS3_Lb0EPyS8_PS5_S9_mNS0_19identity_decomposerENS1_16block_id_wrapperIjLb0EEEEE10hipError_tT1_PNSt15iterator_traitsISE_E10value_typeET2_T3_PNSF_ISK_E10value_typeET4_T5_PSP_SQ_PNS1_23onesweep_lookback_stateEbbT6_jjT7_P12ihipStream_tbENKUlT_T0_SE_SJ_E_clIS8_S8_S9_S9_EEDaSX_SY_SE_SJ_EUlSX_E_NS1_11comp_targetILNS1_3genE2ELNS1_11target_archE906ELNS1_3gpuE6ELNS1_3repE0EEENS1_47radix_sort_onesweep_sort_config_static_selectorELNS0_4arch9wavefront6targetE1EEEvSE_,"axG",@progbits,_ZN7rocprim17ROCPRIM_400000_NS6detail17trampoline_kernelINS0_14default_configENS1_35radix_sort_onesweep_config_selectorIyNS0_10empty_typeEEEZZNS1_29radix_sort_onesweep_iterationIS3_Lb0EPyS8_PS5_S9_mNS0_19identity_decomposerENS1_16block_id_wrapperIjLb0EEEEE10hipError_tT1_PNSt15iterator_traitsISE_E10value_typeET2_T3_PNSF_ISK_E10value_typeET4_T5_PSP_SQ_PNS1_23onesweep_lookback_stateEbbT6_jjT7_P12ihipStream_tbENKUlT_T0_SE_SJ_E_clIS8_S8_S9_S9_EEDaSX_SY_SE_SJ_EUlSX_E_NS1_11comp_targetILNS1_3genE2ELNS1_11target_archE906ELNS1_3gpuE6ELNS1_3repE0EEENS1_47radix_sort_onesweep_sort_config_static_selectorELNS0_4arch9wavefront6targetE1EEEvSE_,comdat
.Lfunc_end1212:
	.size	_ZN7rocprim17ROCPRIM_400000_NS6detail17trampoline_kernelINS0_14default_configENS1_35radix_sort_onesweep_config_selectorIyNS0_10empty_typeEEEZZNS1_29radix_sort_onesweep_iterationIS3_Lb0EPyS8_PS5_S9_mNS0_19identity_decomposerENS1_16block_id_wrapperIjLb0EEEEE10hipError_tT1_PNSt15iterator_traitsISE_E10value_typeET2_T3_PNSF_ISK_E10value_typeET4_T5_PSP_SQ_PNS1_23onesweep_lookback_stateEbbT6_jjT7_P12ihipStream_tbENKUlT_T0_SE_SJ_E_clIS8_S8_S9_S9_EEDaSX_SY_SE_SJ_EUlSX_E_NS1_11comp_targetILNS1_3genE2ELNS1_11target_archE906ELNS1_3gpuE6ELNS1_3repE0EEENS1_47radix_sort_onesweep_sort_config_static_selectorELNS0_4arch9wavefront6targetE1EEEvSE_, .Lfunc_end1212-_ZN7rocprim17ROCPRIM_400000_NS6detail17trampoline_kernelINS0_14default_configENS1_35radix_sort_onesweep_config_selectorIyNS0_10empty_typeEEEZZNS1_29radix_sort_onesweep_iterationIS3_Lb0EPyS8_PS5_S9_mNS0_19identity_decomposerENS1_16block_id_wrapperIjLb0EEEEE10hipError_tT1_PNSt15iterator_traitsISE_E10value_typeET2_T3_PNSF_ISK_E10value_typeET4_T5_PSP_SQ_PNS1_23onesweep_lookback_stateEbbT6_jjT7_P12ihipStream_tbENKUlT_T0_SE_SJ_E_clIS8_S8_S9_S9_EEDaSX_SY_SE_SJ_EUlSX_E_NS1_11comp_targetILNS1_3genE2ELNS1_11target_archE906ELNS1_3gpuE6ELNS1_3repE0EEENS1_47radix_sort_onesweep_sort_config_static_selectorELNS0_4arch9wavefront6targetE1EEEvSE_
                                        ; -- End function
	.section	.AMDGPU.csdata,"",@progbits
; Kernel info:
; codeLenInByte = 0
; NumSgprs: 4
; NumVgprs: 0
; NumAgprs: 0
; TotalNumVgprs: 0
; ScratchSize: 0
; MemoryBound: 0
; FloatMode: 240
; IeeeMode: 1
; LDSByteSize: 0 bytes/workgroup (compile time only)
; SGPRBlocks: 0
; VGPRBlocks: 0
; NumSGPRsForWavesPerEU: 4
; NumVGPRsForWavesPerEU: 1
; AccumOffset: 4
; Occupancy: 8
; WaveLimiterHint : 0
; COMPUTE_PGM_RSRC2:SCRATCH_EN: 0
; COMPUTE_PGM_RSRC2:USER_SGPR: 6
; COMPUTE_PGM_RSRC2:TRAP_HANDLER: 0
; COMPUTE_PGM_RSRC2:TGID_X_EN: 1
; COMPUTE_PGM_RSRC2:TGID_Y_EN: 0
; COMPUTE_PGM_RSRC2:TGID_Z_EN: 0
; COMPUTE_PGM_RSRC2:TIDIG_COMP_CNT: 0
; COMPUTE_PGM_RSRC3_GFX90A:ACCUM_OFFSET: 0
; COMPUTE_PGM_RSRC3_GFX90A:TG_SPLIT: 0
	.section	.text._ZN7rocprim17ROCPRIM_400000_NS6detail17trampoline_kernelINS0_14default_configENS1_35radix_sort_onesweep_config_selectorIyNS0_10empty_typeEEEZZNS1_29radix_sort_onesweep_iterationIS3_Lb0EPyS8_PS5_S9_mNS0_19identity_decomposerENS1_16block_id_wrapperIjLb0EEEEE10hipError_tT1_PNSt15iterator_traitsISE_E10value_typeET2_T3_PNSF_ISK_E10value_typeET4_T5_PSP_SQ_PNS1_23onesweep_lookback_stateEbbT6_jjT7_P12ihipStream_tbENKUlT_T0_SE_SJ_E_clIS8_S8_S9_S9_EEDaSX_SY_SE_SJ_EUlSX_E_NS1_11comp_targetILNS1_3genE4ELNS1_11target_archE910ELNS1_3gpuE8ELNS1_3repE0EEENS1_47radix_sort_onesweep_sort_config_static_selectorELNS0_4arch9wavefront6targetE1EEEvSE_,"axG",@progbits,_ZN7rocprim17ROCPRIM_400000_NS6detail17trampoline_kernelINS0_14default_configENS1_35radix_sort_onesweep_config_selectorIyNS0_10empty_typeEEEZZNS1_29radix_sort_onesweep_iterationIS3_Lb0EPyS8_PS5_S9_mNS0_19identity_decomposerENS1_16block_id_wrapperIjLb0EEEEE10hipError_tT1_PNSt15iterator_traitsISE_E10value_typeET2_T3_PNSF_ISK_E10value_typeET4_T5_PSP_SQ_PNS1_23onesweep_lookback_stateEbbT6_jjT7_P12ihipStream_tbENKUlT_T0_SE_SJ_E_clIS8_S8_S9_S9_EEDaSX_SY_SE_SJ_EUlSX_E_NS1_11comp_targetILNS1_3genE4ELNS1_11target_archE910ELNS1_3gpuE8ELNS1_3repE0EEENS1_47radix_sort_onesweep_sort_config_static_selectorELNS0_4arch9wavefront6targetE1EEEvSE_,comdat
	.protected	_ZN7rocprim17ROCPRIM_400000_NS6detail17trampoline_kernelINS0_14default_configENS1_35radix_sort_onesweep_config_selectorIyNS0_10empty_typeEEEZZNS1_29radix_sort_onesweep_iterationIS3_Lb0EPyS8_PS5_S9_mNS0_19identity_decomposerENS1_16block_id_wrapperIjLb0EEEEE10hipError_tT1_PNSt15iterator_traitsISE_E10value_typeET2_T3_PNSF_ISK_E10value_typeET4_T5_PSP_SQ_PNS1_23onesweep_lookback_stateEbbT6_jjT7_P12ihipStream_tbENKUlT_T0_SE_SJ_E_clIS8_S8_S9_S9_EEDaSX_SY_SE_SJ_EUlSX_E_NS1_11comp_targetILNS1_3genE4ELNS1_11target_archE910ELNS1_3gpuE8ELNS1_3repE0EEENS1_47radix_sort_onesweep_sort_config_static_selectorELNS0_4arch9wavefront6targetE1EEEvSE_ ; -- Begin function _ZN7rocprim17ROCPRIM_400000_NS6detail17trampoline_kernelINS0_14default_configENS1_35radix_sort_onesweep_config_selectorIyNS0_10empty_typeEEEZZNS1_29radix_sort_onesweep_iterationIS3_Lb0EPyS8_PS5_S9_mNS0_19identity_decomposerENS1_16block_id_wrapperIjLb0EEEEE10hipError_tT1_PNSt15iterator_traitsISE_E10value_typeET2_T3_PNSF_ISK_E10value_typeET4_T5_PSP_SQ_PNS1_23onesweep_lookback_stateEbbT6_jjT7_P12ihipStream_tbENKUlT_T0_SE_SJ_E_clIS8_S8_S9_S9_EEDaSX_SY_SE_SJ_EUlSX_E_NS1_11comp_targetILNS1_3genE4ELNS1_11target_archE910ELNS1_3gpuE8ELNS1_3repE0EEENS1_47radix_sort_onesweep_sort_config_static_selectorELNS0_4arch9wavefront6targetE1EEEvSE_
	.globl	_ZN7rocprim17ROCPRIM_400000_NS6detail17trampoline_kernelINS0_14default_configENS1_35radix_sort_onesweep_config_selectorIyNS0_10empty_typeEEEZZNS1_29radix_sort_onesweep_iterationIS3_Lb0EPyS8_PS5_S9_mNS0_19identity_decomposerENS1_16block_id_wrapperIjLb0EEEEE10hipError_tT1_PNSt15iterator_traitsISE_E10value_typeET2_T3_PNSF_ISK_E10value_typeET4_T5_PSP_SQ_PNS1_23onesweep_lookback_stateEbbT6_jjT7_P12ihipStream_tbENKUlT_T0_SE_SJ_E_clIS8_S8_S9_S9_EEDaSX_SY_SE_SJ_EUlSX_E_NS1_11comp_targetILNS1_3genE4ELNS1_11target_archE910ELNS1_3gpuE8ELNS1_3repE0EEENS1_47radix_sort_onesweep_sort_config_static_selectorELNS0_4arch9wavefront6targetE1EEEvSE_
	.p2align	8
	.type	_ZN7rocprim17ROCPRIM_400000_NS6detail17trampoline_kernelINS0_14default_configENS1_35radix_sort_onesweep_config_selectorIyNS0_10empty_typeEEEZZNS1_29radix_sort_onesweep_iterationIS3_Lb0EPyS8_PS5_S9_mNS0_19identity_decomposerENS1_16block_id_wrapperIjLb0EEEEE10hipError_tT1_PNSt15iterator_traitsISE_E10value_typeET2_T3_PNSF_ISK_E10value_typeET4_T5_PSP_SQ_PNS1_23onesweep_lookback_stateEbbT6_jjT7_P12ihipStream_tbENKUlT_T0_SE_SJ_E_clIS8_S8_S9_S9_EEDaSX_SY_SE_SJ_EUlSX_E_NS1_11comp_targetILNS1_3genE4ELNS1_11target_archE910ELNS1_3gpuE8ELNS1_3repE0EEENS1_47radix_sort_onesweep_sort_config_static_selectorELNS0_4arch9wavefront6targetE1EEEvSE_,@function
_ZN7rocprim17ROCPRIM_400000_NS6detail17trampoline_kernelINS0_14default_configENS1_35radix_sort_onesweep_config_selectorIyNS0_10empty_typeEEEZZNS1_29radix_sort_onesweep_iterationIS3_Lb0EPyS8_PS5_S9_mNS0_19identity_decomposerENS1_16block_id_wrapperIjLb0EEEEE10hipError_tT1_PNSt15iterator_traitsISE_E10value_typeET2_T3_PNSF_ISK_E10value_typeET4_T5_PSP_SQ_PNS1_23onesweep_lookback_stateEbbT6_jjT7_P12ihipStream_tbENKUlT_T0_SE_SJ_E_clIS8_S8_S9_S9_EEDaSX_SY_SE_SJ_EUlSX_E_NS1_11comp_targetILNS1_3genE4ELNS1_11target_archE910ELNS1_3gpuE8ELNS1_3repE0EEENS1_47radix_sort_onesweep_sort_config_static_selectorELNS0_4arch9wavefront6targetE1EEEvSE_: ; @_ZN7rocprim17ROCPRIM_400000_NS6detail17trampoline_kernelINS0_14default_configENS1_35radix_sort_onesweep_config_selectorIyNS0_10empty_typeEEEZZNS1_29radix_sort_onesweep_iterationIS3_Lb0EPyS8_PS5_S9_mNS0_19identity_decomposerENS1_16block_id_wrapperIjLb0EEEEE10hipError_tT1_PNSt15iterator_traitsISE_E10value_typeET2_T3_PNSF_ISK_E10value_typeET4_T5_PSP_SQ_PNS1_23onesweep_lookback_stateEbbT6_jjT7_P12ihipStream_tbENKUlT_T0_SE_SJ_E_clIS8_S8_S9_S9_EEDaSX_SY_SE_SJ_EUlSX_E_NS1_11comp_targetILNS1_3genE4ELNS1_11target_archE910ELNS1_3gpuE8ELNS1_3repE0EEENS1_47radix_sort_onesweep_sort_config_static_selectorELNS0_4arch9wavefront6targetE1EEEvSE_
; %bb.0:
	s_load_dwordx2 s[24:25], s[4:5], 0x38
	s_load_dwordx4 s[16:19], s[4:5], 0x44
	s_load_dwordx4 s[20:23], s[4:5], 0x0
	;; [unrolled: 1-line block ×3, first 2 shown]
	v_mbcnt_lo_u32_b32 v28, -1, 0
	s_waitcnt lgkmcnt(0)
	s_cmp_ge_u32 s6, s18
	s_cbranch_scc0 .LBB1213_61
; %bb.1:
	s_load_dword s2, s[4:5], 0x20
	s_lshl_b32 s3, s18, 13
	s_lshl_b32 s0, s6, 13
	s_mov_b32 s1, 0
	s_lshl_b64 s[0:1], s[0:1], 3
	s_waitcnt lgkmcnt(0)
	s_sub_i32 s7, s2, s3
	v_mbcnt_hi_u32_b32 v1, -1, v28
	v_and_b32_e32 v2, 0x3ff, v0
	s_add_u32 s0, s20, s0
	v_and_b32_e32 v3, 63, v1
	s_addc_u32 s1, s21, s1
	v_lshlrev_b32_e32 v29, 3, v2
	v_lshlrev_b32_e32 v5, 3, v3
	v_and_b32_e32 v4, 0x1e00, v29
	v_mov_b32_e32 v6, s1
	v_add_co_u32_e32 v5, vcc, s0, v5
	v_addc_co_u32_e32 v6, vcc, 0, v6, vcc
	v_lshlrev_b32_e32 v7, 3, v4
	v_add_co_u32_e32 v20, vcc, v5, v7
	v_addc_co_u32_e32 v21, vcc, 0, v6, vcc
	v_or_b32_e32 v3, v3, v4
	v_pk_mov_b32 v[4:5], -1, -1
	v_cmp_gt_u32_e32 vcc, s7, v3
	v_pk_mov_b32 v[6:7], v[4:5], v[4:5] op_sel:[0,1]
	s_and_saveexec_b64 s[0:1], vcc
	s_cbranch_execz .LBB1213_3
; %bb.2:
	global_load_dwordx2 v[6:7], v[20:21], off
.LBB1213_3:
	s_or_b64 exec, exec, s[0:1]
	v_or_b32_e32 v8, 64, v3
	v_cmp_gt_u32_e32 vcc, s7, v8
	s_and_saveexec_b64 s[0:1], vcc
	s_cbranch_execz .LBB1213_5
; %bb.4:
	global_load_dwordx2 v[4:5], v[20:21], off offset:512
.LBB1213_5:
	s_or_b64 exec, exec, s[0:1]
	v_or_b32_e32 v8, 0x80, v3
	v_cmp_gt_u32_e32 vcc, s7, v8
	v_pk_mov_b32 v[8:9], -1, -1
	v_pk_mov_b32 v[10:11], v[8:9], v[8:9] op_sel:[0,1]
	s_and_saveexec_b64 s[0:1], vcc
	s_cbranch_execz .LBB1213_7
; %bb.6:
	global_load_dwordx2 v[10:11], v[20:21], off offset:1024
.LBB1213_7:
	s_or_b64 exec, exec, s[0:1]
	v_or_b32_e32 v12, 0xc0, v3
	v_cmp_gt_u32_e32 vcc, s7, v12
	s_and_saveexec_b64 s[0:1], vcc
	s_cbranch_execz .LBB1213_9
; %bb.8:
	global_load_dwordx2 v[8:9], v[20:21], off offset:1536
.LBB1213_9:
	s_or_b64 exec, exec, s[0:1]
	v_or_b32_e32 v12, 0x100, v3
	v_cmp_gt_u32_e32 vcc, s7, v12
	v_pk_mov_b32 v[12:13], -1, -1
	v_pk_mov_b32 v[14:15], v[12:13], v[12:13] op_sel:[0,1]
	s_and_saveexec_b64 s[0:1], vcc
	s_cbranch_execz .LBB1213_11
; %bb.10:
	global_load_dwordx2 v[14:15], v[20:21], off offset:2048
.LBB1213_11:
	;; [unrolled: 18-line block ×3, first 2 shown]
	s_or_b64 exec, exec, s[0:1]
	v_or_b32_e32 v3, 0x1c0, v3
	v_cmp_gt_u32_e32 vcc, s7, v3
	s_and_saveexec_b64 s[0:1], vcc
	s_cbranch_execz .LBB1213_17
; %bb.16:
	global_load_dwordx2 v[16:17], v[20:21], off offset:3584
.LBB1213_17:
	s_or_b64 exec, exec, s[0:1]
	s_load_dword s0, s[4:5], 0x64
	s_load_dword s26, s[4:5], 0x58
	s_add_u32 s1, s4, 0x58
	s_addc_u32 s2, s5, 0
	v_mov_b32_e32 v20, 0
	s_waitcnt lgkmcnt(0)
	s_lshr_b32 s3, s0, 16
	s_cmp_lt_u32 s6, s26
	s_cselect_b32 s0, 12, 18
	s_add_u32 s0, s1, s0
	s_addc_u32 s1, s2, 0
	global_load_ushort v24, v20, s[0:1]
	s_lshl_b32 s0, -1, s17
	s_waitcnt vmcnt(1)
	v_lshrrev_b64 v[22:23], s16, v[6:7]
	s_not_b32 s27, s0
	v_and_b32_e32 v22, s27, v22
	v_and_b32_e32 v26, 1, v22
	v_bfe_u32 v21, v0, 10, 10
	v_bfe_u32 v25, v0, 20, 10
	v_add_co_u32_e32 v27, vcc, -1, v26
	v_mad_u32_u24 v23, v25, s3, v21
	v_lshlrev_b32_e32 v21, 30, v22
	v_addc_co_u32_e64 v30, s[0:1], 0, -1, vcc
	v_cmp_ne_u32_e32 vcc, 0, v26
	v_cmp_gt_i64_e64 s[0:1], 0, v[20:21]
	v_not_b32_e32 v26, v21
	v_lshlrev_b32_e32 v21, 29, v22
	v_xor_b32_e32 v30, vcc_hi, v30
	v_xor_b32_e32 v27, vcc_lo, v27
	v_ashrrev_i32_e32 v26, 31, v26
	v_cmp_gt_i64_e32 vcc, 0, v[20:21]
	v_not_b32_e32 v31, v21
	v_lshlrev_b32_e32 v21, 28, v22
	v_and_b32_e32 v30, exec_hi, v30
	v_and_b32_e32 v27, exec_lo, v27
	v_xor_b32_e32 v32, s1, v26
	v_xor_b32_e32 v26, s0, v26
	v_ashrrev_i32_e32 v31, 31, v31
	v_cmp_gt_i64_e64 s[0:1], 0, v[20:21]
	v_not_b32_e32 v33, v21
	v_lshlrev_b32_e32 v21, 27, v22
	v_and_b32_e32 v30, v30, v32
	v_and_b32_e32 v26, v27, v26
	v_xor_b32_e32 v27, vcc_hi, v31
	v_xor_b32_e32 v31, vcc_lo, v31
	v_ashrrev_i32_e32 v32, 31, v33
	v_cmp_gt_i64_e32 vcc, 0, v[20:21]
	v_not_b32_e32 v33, v21
	v_lshlrev_b32_e32 v21, 26, v22
	v_and_b32_e32 v27, v30, v27
	v_and_b32_e32 v26, v26, v31
	v_xor_b32_e32 v30, s1, v32
	v_xor_b32_e32 v31, s0, v32
	v_ashrrev_i32_e32 v32, 31, v33
	v_cmp_gt_i64_e64 s[0:1], 0, v[20:21]
	v_not_b32_e32 v33, v21
	v_lshlrev_b32_e32 v21, 25, v22
	v_and_b32_e32 v27, v27, v30
	v_and_b32_e32 v26, v26, v31
	v_xor_b32_e32 v30, vcc_hi, v32
	v_xor_b32_e32 v31, vcc_lo, v32
	v_ashrrev_i32_e32 v32, 31, v33
	v_not_b32_e32 v33, v21
	v_mul_u32_u24_e32 v3, 5, v2
	v_lshl_add_u32 v25, v22, 4, v22
	v_cmp_gt_i64_e32 vcc, 0, v[20:21]
	v_lshlrev_b32_e32 v21, 24, v22
	v_and_b32_e32 v22, v27, v30
	v_and_b32_e32 v26, v26, v31
	v_xor_b32_e32 v27, s1, v32
	v_ashrrev_i32_e32 v31, 31, v33
	v_lshlrev_b32_e32 v3, 2, v3
	v_xor_b32_e32 v30, s0, v32
	v_cmp_gt_i64_e64 s[0:1], 0, v[20:21]
	v_not_b32_e32 v21, v21
	v_and_b32_e32 v22, v22, v27
	v_xor_b32_e32 v27, vcc_hi, v31
	v_and_b32_e32 v26, v26, v30
	v_xor_b32_e32 v30, vcc_lo, v31
	v_ashrrev_i32_e32 v21, 31, v21
	v_and_b32_e32 v31, v22, v27
	v_and_b32_e32 v26, v26, v30
	ds_write2_b32 v3, v20, v20 offset0:16 offset1:17
	ds_write2_b32 v3, v20, v20 offset0:18 offset1:19
	ds_write_b32 v3, v20 offset:80
	s_waitcnt lgkmcnt(0)
	s_barrier
	s_waitcnt lgkmcnt(0)
	; wave barrier
	s_waitcnt vmcnt(0)
	v_mad_u64_u32 v[22:23], s[2:3], v23, v24, v[2:3]
	v_lshrrev_b32_e32 v27, 6, v22
	v_xor_b32_e32 v22, s1, v21
	v_xor_b32_e32 v21, s0, v21
	v_and_b32_e32 v23, v31, v22
	v_and_b32_e32 v22, v26, v21
	v_mbcnt_lo_u32_b32 v21, v22, 0
	v_mbcnt_hi_u32_b32 v30, v23, v21
	v_cmp_eq_u32_e32 vcc, 0, v30
	v_cmp_ne_u64_e64 s[0:1], 0, v[22:23]
	v_add_lshl_u32 v24, v27, v25, 2
	s_and_b64 s[2:3], s[0:1], vcc
	s_and_saveexec_b64 s[0:1], s[2:3]
	s_cbranch_execz .LBB1213_19
; %bb.18:
	v_bcnt_u32_b32 v21, v22, 0
	v_bcnt_u32_b32 v21, v23, v21
	ds_write_b32 v24, v21 offset:64
.LBB1213_19:
	s_or_b64 exec, exec, s[0:1]
	v_lshrrev_b64 v[22:23], s16, v[4:5]
	v_and_b32_e32 v22, s27, v22
	v_lshl_add_u32 v21, v22, 4, v22
	v_add_lshl_u32 v25, v27, v21, 2
	v_and_b32_e32 v21, 1, v22
	v_add_co_u32_e32 v23, vcc, -1, v21
	v_addc_co_u32_e64 v26, s[0:1], 0, -1, vcc
	v_cmp_ne_u32_e32 vcc, 0, v21
	v_xor_b32_e32 v21, vcc_hi, v26
	v_and_b32_e32 v26, exec_hi, v21
	v_lshlrev_b32_e32 v21, 30, v22
	v_xor_b32_e32 v23, vcc_lo, v23
	v_cmp_gt_i64_e32 vcc, 0, v[20:21]
	v_not_b32_e32 v21, v21
	v_ashrrev_i32_e32 v21, 31, v21
	v_and_b32_e32 v23, exec_lo, v23
	v_xor_b32_e32 v32, vcc_hi, v21
	v_xor_b32_e32 v21, vcc_lo, v21
	v_and_b32_e32 v23, v23, v21
	v_lshlrev_b32_e32 v21, 29, v22
	v_cmp_gt_i64_e32 vcc, 0, v[20:21]
	v_not_b32_e32 v21, v21
	v_ashrrev_i32_e32 v21, 31, v21
	v_and_b32_e32 v26, v26, v32
	v_xor_b32_e32 v32, vcc_hi, v21
	v_xor_b32_e32 v21, vcc_lo, v21
	v_and_b32_e32 v23, v23, v21
	v_lshlrev_b32_e32 v21, 28, v22
	v_cmp_gt_i64_e32 vcc, 0, v[20:21]
	v_not_b32_e32 v21, v21
	v_ashrrev_i32_e32 v21, 31, v21
	v_and_b32_e32 v26, v26, v32
	;; [unrolled: 8-line block ×5, first 2 shown]
	v_xor_b32_e32 v32, vcc_hi, v21
	v_xor_b32_e32 v21, vcc_lo, v21
	v_and_b32_e32 v23, v23, v21
	v_lshlrev_b32_e32 v21, 24, v22
	v_cmp_gt_i64_e32 vcc, 0, v[20:21]
	v_not_b32_e32 v20, v21
	v_ashrrev_i32_e32 v20, 31, v20
	v_xor_b32_e32 v21, vcc_hi, v20
	v_xor_b32_e32 v20, vcc_lo, v20
	; wave barrier
	ds_read_b32 v31, v25 offset:64
	v_and_b32_e32 v26, v26, v32
	v_and_b32_e32 v20, v23, v20
	;; [unrolled: 1-line block ×3, first 2 shown]
	v_mbcnt_lo_u32_b32 v22, v20, 0
	v_mbcnt_hi_u32_b32 v32, v21, v22
	v_cmp_eq_u32_e32 vcc, 0, v32
	v_cmp_ne_u64_e64 s[0:1], 0, v[20:21]
	s_and_b64 s[2:3], s[0:1], vcc
	; wave barrier
	s_and_saveexec_b64 s[0:1], s[2:3]
	s_cbranch_execz .LBB1213_21
; %bb.20:
	v_bcnt_u32_b32 v20, v20, 0
	v_bcnt_u32_b32 v20, v21, v20
	s_waitcnt lgkmcnt(0)
	v_add_u32_e32 v20, v31, v20
	ds_write_b32 v25, v20 offset:64
.LBB1213_21:
	s_or_b64 exec, exec, s[0:1]
	v_lshrrev_b64 v[20:21], s16, v[10:11]
	v_and_b32_e32 v22, s27, v20
	v_and_b32_e32 v21, 1, v22
	v_add_co_u32_e32 v23, vcc, -1, v21
	v_addc_co_u32_e64 v34, s[0:1], 0, -1, vcc
	v_cmp_ne_u32_e32 vcc, 0, v21
	v_lshl_add_u32 v20, v22, 4, v22
	v_xor_b32_e32 v21, vcc_hi, v34
	v_add_lshl_u32 v26, v27, v20, 2
	v_mov_b32_e32 v20, 0
	v_and_b32_e32 v34, exec_hi, v21
	v_lshlrev_b32_e32 v21, 30, v22
	v_xor_b32_e32 v23, vcc_lo, v23
	v_cmp_gt_i64_e32 vcc, 0, v[20:21]
	v_not_b32_e32 v21, v21
	v_ashrrev_i32_e32 v21, 31, v21
	v_and_b32_e32 v23, exec_lo, v23
	v_xor_b32_e32 v35, vcc_hi, v21
	v_xor_b32_e32 v21, vcc_lo, v21
	v_and_b32_e32 v23, v23, v21
	v_lshlrev_b32_e32 v21, 29, v22
	v_cmp_gt_i64_e32 vcc, 0, v[20:21]
	v_not_b32_e32 v21, v21
	v_ashrrev_i32_e32 v21, 31, v21
	v_and_b32_e32 v34, v34, v35
	v_xor_b32_e32 v35, vcc_hi, v21
	v_xor_b32_e32 v21, vcc_lo, v21
	v_and_b32_e32 v23, v23, v21
	v_lshlrev_b32_e32 v21, 28, v22
	v_cmp_gt_i64_e32 vcc, 0, v[20:21]
	v_not_b32_e32 v21, v21
	v_ashrrev_i32_e32 v21, 31, v21
	v_and_b32_e32 v34, v34, v35
	;; [unrolled: 8-line block ×5, first 2 shown]
	v_xor_b32_e32 v35, vcc_hi, v21
	v_xor_b32_e32 v21, vcc_lo, v21
	v_and_b32_e32 v34, v34, v35
	v_and_b32_e32 v35, v23, v21
	v_lshlrev_b32_e32 v21, 24, v22
	v_cmp_gt_i64_e32 vcc, 0, v[20:21]
	v_not_b32_e32 v21, v21
	v_ashrrev_i32_e32 v21, 31, v21
	v_xor_b32_e32 v22, vcc_hi, v21
	v_xor_b32_e32 v21, vcc_lo, v21
	; wave barrier
	ds_read_b32 v33, v26 offset:64
	v_and_b32_e32 v23, v34, v22
	v_and_b32_e32 v22, v35, v21
	v_mbcnt_lo_u32_b32 v21, v22, 0
	v_mbcnt_hi_u32_b32 v34, v23, v21
	v_cmp_eq_u32_e32 vcc, 0, v34
	v_cmp_ne_u64_e64 s[0:1], 0, v[22:23]
	s_and_b64 s[2:3], s[0:1], vcc
	; wave barrier
	s_and_saveexec_b64 s[0:1], s[2:3]
	s_cbranch_execz .LBB1213_23
; %bb.22:
	v_bcnt_u32_b32 v21, v22, 0
	v_bcnt_u32_b32 v21, v23, v21
	s_waitcnt lgkmcnt(0)
	v_add_u32_e32 v21, v33, v21
	ds_write_b32 v26, v21 offset:64
.LBB1213_23:
	s_or_b64 exec, exec, s[0:1]
	v_lshrrev_b64 v[22:23], s16, v[8:9]
	v_and_b32_e32 v22, s27, v22
	v_lshl_add_u32 v21, v22, 4, v22
	v_add_lshl_u32 v38, v27, v21, 2
	v_and_b32_e32 v21, 1, v22
	v_add_co_u32_e32 v23, vcc, -1, v21
	v_addc_co_u32_e64 v36, s[0:1], 0, -1, vcc
	v_cmp_ne_u32_e32 vcc, 0, v21
	v_xor_b32_e32 v21, vcc_hi, v36
	v_and_b32_e32 v36, exec_hi, v21
	v_lshlrev_b32_e32 v21, 30, v22
	v_xor_b32_e32 v23, vcc_lo, v23
	v_cmp_gt_i64_e32 vcc, 0, v[20:21]
	v_not_b32_e32 v21, v21
	v_ashrrev_i32_e32 v21, 31, v21
	v_and_b32_e32 v23, exec_lo, v23
	v_xor_b32_e32 v37, vcc_hi, v21
	v_xor_b32_e32 v21, vcc_lo, v21
	v_and_b32_e32 v23, v23, v21
	v_lshlrev_b32_e32 v21, 29, v22
	v_cmp_gt_i64_e32 vcc, 0, v[20:21]
	v_not_b32_e32 v21, v21
	v_ashrrev_i32_e32 v21, 31, v21
	v_and_b32_e32 v36, v36, v37
	v_xor_b32_e32 v37, vcc_hi, v21
	v_xor_b32_e32 v21, vcc_lo, v21
	v_and_b32_e32 v23, v23, v21
	v_lshlrev_b32_e32 v21, 28, v22
	v_cmp_gt_i64_e32 vcc, 0, v[20:21]
	v_not_b32_e32 v21, v21
	v_ashrrev_i32_e32 v21, 31, v21
	v_and_b32_e32 v36, v36, v37
	;; [unrolled: 8-line block ×5, first 2 shown]
	v_xor_b32_e32 v37, vcc_hi, v21
	v_xor_b32_e32 v21, vcc_lo, v21
	v_and_b32_e32 v23, v23, v21
	v_lshlrev_b32_e32 v21, 24, v22
	v_cmp_gt_i64_e32 vcc, 0, v[20:21]
	v_not_b32_e32 v20, v21
	v_ashrrev_i32_e32 v20, 31, v20
	v_xor_b32_e32 v21, vcc_hi, v20
	v_xor_b32_e32 v20, vcc_lo, v20
	; wave barrier
	ds_read_b32 v35, v38 offset:64
	v_and_b32_e32 v36, v36, v37
	v_and_b32_e32 v20, v23, v20
	v_and_b32_e32 v21, v36, v21
	v_mbcnt_lo_u32_b32 v22, v20, 0
	v_mbcnt_hi_u32_b32 v36, v21, v22
	v_cmp_eq_u32_e32 vcc, 0, v36
	v_cmp_ne_u64_e64 s[0:1], 0, v[20:21]
	s_and_b64 s[2:3], s[0:1], vcc
	; wave barrier
	s_and_saveexec_b64 s[0:1], s[2:3]
	s_cbranch_execz .LBB1213_25
; %bb.24:
	v_bcnt_u32_b32 v20, v20, 0
	v_bcnt_u32_b32 v20, v21, v20
	s_waitcnt lgkmcnt(0)
	v_add_u32_e32 v20, v35, v20
	ds_write_b32 v38, v20 offset:64
.LBB1213_25:
	s_or_b64 exec, exec, s[0:1]
	v_lshrrev_b64 v[20:21], s16, v[14:15]
	v_and_b32_e32 v22, s27, v20
	v_and_b32_e32 v21, 1, v22
	v_add_co_u32_e32 v23, vcc, -1, v21
	v_addc_co_u32_e64 v39, s[0:1], 0, -1, vcc
	v_cmp_ne_u32_e32 vcc, 0, v21
	v_lshl_add_u32 v20, v22, 4, v22
	v_xor_b32_e32 v21, vcc_hi, v39
	v_add_lshl_u32 v42, v27, v20, 2
	v_mov_b32_e32 v20, 0
	v_and_b32_e32 v39, exec_hi, v21
	v_lshlrev_b32_e32 v21, 30, v22
	v_xor_b32_e32 v23, vcc_lo, v23
	v_cmp_gt_i64_e32 vcc, 0, v[20:21]
	v_not_b32_e32 v21, v21
	v_ashrrev_i32_e32 v21, 31, v21
	v_and_b32_e32 v23, exec_lo, v23
	v_xor_b32_e32 v40, vcc_hi, v21
	v_xor_b32_e32 v21, vcc_lo, v21
	v_and_b32_e32 v23, v23, v21
	v_lshlrev_b32_e32 v21, 29, v22
	v_cmp_gt_i64_e32 vcc, 0, v[20:21]
	v_not_b32_e32 v21, v21
	v_ashrrev_i32_e32 v21, 31, v21
	v_and_b32_e32 v39, v39, v40
	v_xor_b32_e32 v40, vcc_hi, v21
	v_xor_b32_e32 v21, vcc_lo, v21
	v_and_b32_e32 v23, v23, v21
	v_lshlrev_b32_e32 v21, 28, v22
	v_cmp_gt_i64_e32 vcc, 0, v[20:21]
	v_not_b32_e32 v21, v21
	v_ashrrev_i32_e32 v21, 31, v21
	v_and_b32_e32 v39, v39, v40
	;; [unrolled: 8-line block ×5, first 2 shown]
	v_xor_b32_e32 v40, vcc_hi, v21
	v_xor_b32_e32 v21, vcc_lo, v21
	v_and_b32_e32 v39, v39, v40
	v_and_b32_e32 v40, v23, v21
	v_lshlrev_b32_e32 v21, 24, v22
	v_cmp_gt_i64_e32 vcc, 0, v[20:21]
	v_not_b32_e32 v21, v21
	v_ashrrev_i32_e32 v21, 31, v21
	v_xor_b32_e32 v22, vcc_hi, v21
	v_xor_b32_e32 v21, vcc_lo, v21
	; wave barrier
	ds_read_b32 v37, v42 offset:64
	v_and_b32_e32 v23, v39, v22
	v_and_b32_e32 v22, v40, v21
	v_mbcnt_lo_u32_b32 v21, v22, 0
	v_mbcnt_hi_u32_b32 v39, v23, v21
	v_cmp_eq_u32_e32 vcc, 0, v39
	v_cmp_ne_u64_e64 s[0:1], 0, v[22:23]
	s_and_b64 s[2:3], s[0:1], vcc
	; wave barrier
	s_and_saveexec_b64 s[0:1], s[2:3]
	s_cbranch_execz .LBB1213_27
; %bb.26:
	v_bcnt_u32_b32 v21, v22, 0
	v_bcnt_u32_b32 v21, v23, v21
	s_waitcnt lgkmcnt(0)
	v_add_u32_e32 v21, v37, v21
	ds_write_b32 v42, v21 offset:64
.LBB1213_27:
	s_or_b64 exec, exec, s[0:1]
	v_lshrrev_b64 v[22:23], s16, v[12:13]
	v_and_b32_e32 v22, s27, v22
	v_lshl_add_u32 v21, v22, 4, v22
	v_add_lshl_u32 v45, v27, v21, 2
	v_and_b32_e32 v21, 1, v22
	v_add_co_u32_e32 v23, vcc, -1, v21
	v_addc_co_u32_e64 v41, s[0:1], 0, -1, vcc
	v_cmp_ne_u32_e32 vcc, 0, v21
	v_xor_b32_e32 v21, vcc_hi, v41
	v_and_b32_e32 v41, exec_hi, v21
	v_lshlrev_b32_e32 v21, 30, v22
	v_xor_b32_e32 v23, vcc_lo, v23
	v_cmp_gt_i64_e32 vcc, 0, v[20:21]
	v_not_b32_e32 v21, v21
	v_ashrrev_i32_e32 v21, 31, v21
	v_and_b32_e32 v23, exec_lo, v23
	v_xor_b32_e32 v43, vcc_hi, v21
	v_xor_b32_e32 v21, vcc_lo, v21
	v_and_b32_e32 v23, v23, v21
	v_lshlrev_b32_e32 v21, 29, v22
	v_cmp_gt_i64_e32 vcc, 0, v[20:21]
	v_not_b32_e32 v21, v21
	v_ashrrev_i32_e32 v21, 31, v21
	v_and_b32_e32 v41, v41, v43
	v_xor_b32_e32 v43, vcc_hi, v21
	v_xor_b32_e32 v21, vcc_lo, v21
	v_and_b32_e32 v23, v23, v21
	v_lshlrev_b32_e32 v21, 28, v22
	v_cmp_gt_i64_e32 vcc, 0, v[20:21]
	v_not_b32_e32 v21, v21
	v_ashrrev_i32_e32 v21, 31, v21
	v_and_b32_e32 v41, v41, v43
	;; [unrolled: 8-line block ×5, first 2 shown]
	v_xor_b32_e32 v43, vcc_hi, v21
	v_xor_b32_e32 v21, vcc_lo, v21
	v_and_b32_e32 v23, v23, v21
	v_lshlrev_b32_e32 v21, 24, v22
	v_cmp_gt_i64_e32 vcc, 0, v[20:21]
	v_not_b32_e32 v20, v21
	v_ashrrev_i32_e32 v20, 31, v20
	v_xor_b32_e32 v21, vcc_hi, v20
	v_xor_b32_e32 v20, vcc_lo, v20
	; wave barrier
	ds_read_b32 v40, v45 offset:64
	v_and_b32_e32 v41, v41, v43
	v_and_b32_e32 v20, v23, v20
	;; [unrolled: 1-line block ×3, first 2 shown]
	v_mbcnt_lo_u32_b32 v22, v20, 0
	v_mbcnt_hi_u32_b32 v41, v21, v22
	v_cmp_eq_u32_e32 vcc, 0, v41
	v_cmp_ne_u64_e64 s[0:1], 0, v[20:21]
	s_and_b64 s[2:3], s[0:1], vcc
	; wave barrier
	s_and_saveexec_b64 s[0:1], s[2:3]
	s_cbranch_execz .LBB1213_29
; %bb.28:
	v_bcnt_u32_b32 v20, v20, 0
	v_bcnt_u32_b32 v20, v21, v20
	s_waitcnt lgkmcnt(0)
	v_add_u32_e32 v20, v40, v20
	ds_write_b32 v45, v20 offset:64
.LBB1213_29:
	s_or_b64 exec, exec, s[0:1]
	v_lshrrev_b64 v[20:21], s16, v[18:19]
	v_and_b32_e32 v22, s27, v20
	v_and_b32_e32 v21, 1, v22
	v_add_co_u32_e32 v23, vcc, -1, v21
	v_addc_co_u32_e64 v44, s[0:1], 0, -1, vcc
	v_cmp_ne_u32_e32 vcc, 0, v21
	v_lshl_add_u32 v20, v22, 4, v22
	v_xor_b32_e32 v21, vcc_hi, v44
	v_add_lshl_u32 v48, v27, v20, 2
	v_mov_b32_e32 v20, 0
	v_and_b32_e32 v44, exec_hi, v21
	v_lshlrev_b32_e32 v21, 30, v22
	v_xor_b32_e32 v23, vcc_lo, v23
	v_cmp_gt_i64_e32 vcc, 0, v[20:21]
	v_not_b32_e32 v21, v21
	v_ashrrev_i32_e32 v21, 31, v21
	v_and_b32_e32 v23, exec_lo, v23
	v_xor_b32_e32 v46, vcc_hi, v21
	v_xor_b32_e32 v21, vcc_lo, v21
	v_and_b32_e32 v23, v23, v21
	v_lshlrev_b32_e32 v21, 29, v22
	v_cmp_gt_i64_e32 vcc, 0, v[20:21]
	v_not_b32_e32 v21, v21
	v_ashrrev_i32_e32 v21, 31, v21
	v_and_b32_e32 v44, v44, v46
	v_xor_b32_e32 v46, vcc_hi, v21
	v_xor_b32_e32 v21, vcc_lo, v21
	v_and_b32_e32 v23, v23, v21
	v_lshlrev_b32_e32 v21, 28, v22
	v_cmp_gt_i64_e32 vcc, 0, v[20:21]
	v_not_b32_e32 v21, v21
	v_ashrrev_i32_e32 v21, 31, v21
	v_and_b32_e32 v44, v44, v46
	;; [unrolled: 8-line block ×5, first 2 shown]
	v_xor_b32_e32 v46, vcc_hi, v21
	v_xor_b32_e32 v21, vcc_lo, v21
	v_and_b32_e32 v44, v44, v46
	v_and_b32_e32 v46, v23, v21
	v_lshlrev_b32_e32 v21, 24, v22
	v_cmp_gt_i64_e32 vcc, 0, v[20:21]
	v_not_b32_e32 v21, v21
	v_ashrrev_i32_e32 v21, 31, v21
	v_xor_b32_e32 v22, vcc_hi, v21
	v_xor_b32_e32 v21, vcc_lo, v21
	; wave barrier
	ds_read_b32 v43, v48 offset:64
	v_and_b32_e32 v23, v44, v22
	v_and_b32_e32 v22, v46, v21
	v_mbcnt_lo_u32_b32 v21, v22, 0
	v_mbcnt_hi_u32_b32 v44, v23, v21
	v_cmp_eq_u32_e32 vcc, 0, v44
	v_cmp_ne_u64_e64 s[0:1], 0, v[22:23]
	s_and_b64 s[2:3], s[0:1], vcc
	; wave barrier
	s_and_saveexec_b64 s[0:1], s[2:3]
	s_cbranch_execz .LBB1213_31
; %bb.30:
	v_bcnt_u32_b32 v21, v22, 0
	v_bcnt_u32_b32 v21, v23, v21
	s_waitcnt lgkmcnt(0)
	v_add_u32_e32 v21, v43, v21
	ds_write_b32 v48, v21 offset:64
.LBB1213_31:
	s_or_b64 exec, exec, s[0:1]
	v_lshrrev_b64 v[22:23], s16, v[16:17]
	v_and_b32_e32 v22, s27, v22
	v_lshl_add_u32 v21, v22, 4, v22
	v_add_lshl_u32 v27, v27, v21, 2
	v_and_b32_e32 v21, 1, v22
	v_add_co_u32_e32 v23, vcc, -1, v21
	v_addc_co_u32_e64 v47, s[0:1], 0, -1, vcc
	v_cmp_ne_u32_e32 vcc, 0, v21
	v_xor_b32_e32 v21, vcc_hi, v47
	v_and_b32_e32 v47, exec_hi, v21
	v_lshlrev_b32_e32 v21, 30, v22
	v_xor_b32_e32 v23, vcc_lo, v23
	v_cmp_gt_i64_e32 vcc, 0, v[20:21]
	v_not_b32_e32 v21, v21
	v_ashrrev_i32_e32 v21, 31, v21
	v_and_b32_e32 v23, exec_lo, v23
	v_xor_b32_e32 v50, vcc_hi, v21
	v_xor_b32_e32 v21, vcc_lo, v21
	v_and_b32_e32 v23, v23, v21
	v_lshlrev_b32_e32 v21, 29, v22
	v_cmp_gt_i64_e32 vcc, 0, v[20:21]
	v_not_b32_e32 v21, v21
	v_ashrrev_i32_e32 v21, 31, v21
	v_and_b32_e32 v47, v47, v50
	v_xor_b32_e32 v50, vcc_hi, v21
	v_xor_b32_e32 v21, vcc_lo, v21
	v_and_b32_e32 v23, v23, v21
	v_lshlrev_b32_e32 v21, 28, v22
	v_cmp_gt_i64_e32 vcc, 0, v[20:21]
	v_not_b32_e32 v21, v21
	v_ashrrev_i32_e32 v21, 31, v21
	v_and_b32_e32 v47, v47, v50
	;; [unrolled: 8-line block ×5, first 2 shown]
	v_xor_b32_e32 v50, vcc_hi, v21
	v_xor_b32_e32 v21, vcc_lo, v21
	v_and_b32_e32 v23, v23, v21
	v_lshlrev_b32_e32 v21, 24, v22
	v_cmp_gt_i64_e32 vcc, 0, v[20:21]
	v_not_b32_e32 v20, v21
	v_ashrrev_i32_e32 v20, 31, v20
	v_xor_b32_e32 v21, vcc_hi, v20
	v_xor_b32_e32 v20, vcc_lo, v20
	; wave barrier
	ds_read_b32 v46, v27 offset:64
	v_and_b32_e32 v47, v47, v50
	v_and_b32_e32 v20, v23, v20
	;; [unrolled: 1-line block ×3, first 2 shown]
	v_mbcnt_lo_u32_b32 v22, v20, 0
	v_mbcnt_hi_u32_b32 v47, v21, v22
	v_cmp_eq_u32_e32 vcc, 0, v47
	v_cmp_ne_u64_e64 s[0:1], 0, v[20:21]
	v_add_u32_e32 v49, 64, v3
	s_and_b64 s[2:3], s[0:1], vcc
	; wave barrier
	s_and_saveexec_b64 s[0:1], s[2:3]
	s_cbranch_execz .LBB1213_33
; %bb.32:
	v_bcnt_u32_b32 v20, v20, 0
	v_bcnt_u32_b32 v20, v21, v20
	s_waitcnt lgkmcnt(0)
	v_add_u32_e32 v20, v46, v20
	ds_write_b32 v27, v20 offset:64
.LBB1213_33:
	s_or_b64 exec, exec, s[0:1]
	; wave barrier
	s_waitcnt lgkmcnt(0)
	s_barrier
	ds_read2_b32 v[22:23], v3 offset0:16 offset1:17
	ds_read2_b32 v[20:21], v49 offset0:2 offset1:3
	ds_read_b32 v50, v49 offset:16
	v_cmp_lt_u32_e64 s[10:11], 31, v1
	s_waitcnt lgkmcnt(1)
	v_add3_u32 v51, v23, v22, v20
	s_waitcnt lgkmcnt(0)
	v_add3_u32 v50, v51, v21, v50
	v_and_b32_e32 v51, 15, v1
	v_cmp_eq_u32_e32 vcc, 0, v51
	v_mov_b32_dpp v52, v50 row_shr:1 row_mask:0xf bank_mask:0xf
	v_cndmask_b32_e64 v52, v52, 0, vcc
	v_add_u32_e32 v50, v52, v50
	v_cmp_lt_u32_e64 s[0:1], 1, v51
	v_cmp_lt_u32_e64 s[2:3], 3, v51
	v_mov_b32_dpp v52, v50 row_shr:2 row_mask:0xf bank_mask:0xf
	v_cndmask_b32_e64 v52, 0, v52, s[0:1]
	v_add_u32_e32 v50, v50, v52
	v_cmp_lt_u32_e64 s[8:9], 7, v51
	s_nop 0
	v_mov_b32_dpp v52, v50 row_shr:4 row_mask:0xf bank_mask:0xf
	v_cndmask_b32_e64 v52, 0, v52, s[2:3]
	v_add_u32_e32 v50, v50, v52
	s_nop 1
	v_mov_b32_dpp v52, v50 row_shr:8 row_mask:0xf bank_mask:0xf
	v_cndmask_b32_e64 v51, 0, v52, s[8:9]
	v_add_u32_e32 v50, v50, v51
	v_bfe_i32 v52, v1, 4, 1
	s_nop 0
	v_mov_b32_dpp v51, v50 row_bcast:15 row_mask:0xf bank_mask:0xf
	v_and_b32_e32 v51, v52, v51
	v_add_u32_e32 v50, v50, v51
	v_and_b32_e32 v52, 63, v2
	s_nop 0
	v_mov_b32_dpp v51, v50 row_bcast:31 row_mask:0xf bank_mask:0xf
	v_cndmask_b32_e64 v51, 0, v51, s[10:11]
	v_add_u32_e32 v50, v50, v51
	v_lshrrev_b32_e32 v51, 6, v2
	v_cmp_eq_u32_e64 s[10:11], 63, v52
	s_and_saveexec_b64 s[18:19], s[10:11]
	s_cbranch_execz .LBB1213_35
; %bb.34:
	v_lshlrev_b32_e32 v52, 2, v51
	ds_write_b32 v52, v50
.LBB1213_35:
	s_or_b64 exec, exec, s[18:19]
	v_cmp_gt_u32_e64 s[10:11], 16, v2
	s_waitcnt lgkmcnt(0)
	s_barrier
	s_and_saveexec_b64 s[18:19], s[10:11]
	s_cbranch_execz .LBB1213_37
; %bb.36:
	v_lshlrev_b32_e32 v52, 2, v2
	ds_read_b32 v53, v52
	s_waitcnt lgkmcnt(0)
	s_nop 0
	v_mov_b32_dpp v54, v53 row_shr:1 row_mask:0xf bank_mask:0xf
	v_cndmask_b32_e64 v54, v54, 0, vcc
	v_add_u32_e32 v53, v54, v53
	s_nop 1
	v_mov_b32_dpp v54, v53 row_shr:2 row_mask:0xf bank_mask:0xf
	v_cndmask_b32_e64 v54, 0, v54, s[0:1]
	v_add_u32_e32 v53, v53, v54
	s_nop 1
	v_mov_b32_dpp v54, v53 row_shr:4 row_mask:0xf bank_mask:0xf
	v_cndmask_b32_e64 v54, 0, v54, s[2:3]
	;; [unrolled: 4-line block ×3, first 2 shown]
	v_add_u32_e32 v53, v53, v54
	ds_write_b32 v52, v53
.LBB1213_37:
	s_or_b64 exec, exec, s[18:19]
	v_cmp_lt_u32_e32 vcc, 63, v2
	v_mov_b32_e32 v52, 0
	s_waitcnt lgkmcnt(0)
	s_barrier
	s_and_saveexec_b64 s[0:1], vcc
	s_cbranch_execz .LBB1213_39
; %bb.38:
	v_lshl_add_u32 v51, v51, 2, -4
	ds_read_b32 v52, v51
.LBB1213_39:
	s_or_b64 exec, exec, s[0:1]
	v_add_u32_e32 v51, -1, v1
	v_and_b32_e32 v53, 64, v1
	v_cmp_lt_i32_e32 vcc, v51, v53
	v_cndmask_b32_e32 v51, v51, v1, vcc
	s_waitcnt lgkmcnt(0)
	v_add_u32_e32 v50, v52, v50
	v_lshlrev_b32_e32 v51, 2, v51
	ds_bpermute_b32 v50, v51, v50
	v_cmp_eq_u32_e32 vcc, 0, v1
	s_movk_i32 s2, 0xff
	s_movk_i32 s0, 0x100
	v_cmp_gt_u32_e64 s[0:1], s0, v2
	s_waitcnt lgkmcnt(0)
	v_cndmask_b32_e32 v1, v50, v52, vcc
	v_cmp_ne_u32_e32 vcc, 0, v2
	v_cndmask_b32_e32 v1, 0, v1, vcc
	v_add_u32_e32 v22, v1, v22
	v_add_u32_e32 v23, v22, v23
	;; [unrolled: 1-line block ×4, first 2 shown]
	ds_write2_b32 v3, v1, v22 offset0:16 offset1:17
	ds_write2_b32 v49, v23, v20 offset0:2 offset1:3
	ds_write_b32 v49, v21 offset:16
	s_waitcnt lgkmcnt(0)
	s_barrier
	ds_read_b32 v51, v24 offset:64
	ds_read_b32 v1, v25 offset:64
	;; [unrolled: 1-line block ×8, first 2 shown]
	v_cmp_lt_u32_e32 vcc, s2, v2
	v_pk_mov_b32 v[20:21], 0, 0
                                        ; implicit-def: $vgpr38
	s_and_saveexec_b64 s[8:9], s[0:1]
	s_cbranch_execz .LBB1213_43
; %bb.40:
	v_mul_u32_u24_e32 v3, 17, v2
	v_lshlrev_b32_e32 v21, 2, v3
	ds_read_b32 v20, v21 offset:64
	v_cmp_ne_u32_e64 s[2:3], s2, v2
	v_mov_b32_e32 v3, 0x2000
	s_and_saveexec_b64 s[10:11], s[2:3]
	s_cbranch_execz .LBB1213_42
; %bb.41:
	ds_read_b32 v3, v21 offset:132
.LBB1213_42:
	s_or_b64 exec, exec, s[10:11]
	s_waitcnt lgkmcnt(0)
	v_sub_u32_e32 v38, v3, v20
	v_mov_b32_e32 v21, 0
.LBB1213_43:
	s_or_b64 exec, exec, s[8:9]
	s_waitcnt lgkmcnt(0)
	s_barrier
	s_and_saveexec_b64 s[2:3], vcc
	s_xor_b64 s[2:3], exec, s[2:3]
; %bb.44:
	v_mov_b32_e32 v3, 0
; %bb.45:
	s_andn2_saveexec_b64 s[2:3], s[2:3]
	s_cbranch_execz .LBB1213_55
; %bb.46:
	v_lshl_or_b32 v22, s6, 8, v2
	v_mov_b32_e32 v23, 0
	v_lshlrev_b64 v[24:25], 2, v[22:23]
	v_mov_b32_e32 v3, s25
	v_add_co_u32_e32 v24, vcc, s24, v24
	v_addc_co_u32_e32 v25, vcc, v3, v25, vcc
	v_or_b32_e32 v22, 2.0, v38
	s_mov_b64 s[8:9], 0
	s_brev_b32 s28, 1
	s_mov_b32 s29, s6
	v_mov_b32_e32 v53, 0
	global_store_dword v[24:25], v22, off
                                        ; implicit-def: $sgpr10_sgpr11
	s_branch .LBB1213_48
.LBB1213_47:                            ;   in Loop: Header=BB1213_48 Depth=1
	s_or_b64 exec, exec, s[10:11]
	v_and_b32_e32 v26, 0x3fffffff, v54
	v_add_u32_e32 v53, v26, v53
	v_cmp_eq_u32_e64 s[10:11], s28, v22
	s_and_b64 s[18:19], exec, s[10:11]
	s_or_b64 s[8:9], s[18:19], s[8:9]
	s_andn2_b64 exec, exec, s[8:9]
	s_cbranch_execz .LBB1213_54
.LBB1213_48:                            ; =>This Loop Header: Depth=1
                                        ;     Child Loop BB1213_51 Depth 2
	s_or_b64 s[10:11], s[10:11], exec
	s_cmp_eq_u32 s29, 0
	s_cbranch_scc1 .LBB1213_53
; %bb.49:                               ;   in Loop: Header=BB1213_48 Depth=1
	s_add_i32 s29, s29, -1
	v_lshl_or_b32 v22, s29, 8, v2
	v_lshlrev_b64 v[26:27], 2, v[22:23]
	v_add_co_u32_e32 v26, vcc, s24, v26
	v_addc_co_u32_e32 v27, vcc, v3, v27, vcc
	global_load_dword v54, v[26:27], off glc
	s_waitcnt vmcnt(0)
	v_and_b32_e32 v22, -2.0, v54
	v_cmp_eq_u32_e32 vcc, 0, v22
	s_and_saveexec_b64 s[10:11], vcc
	s_cbranch_execz .LBB1213_47
; %bb.50:                               ;   in Loop: Header=BB1213_48 Depth=1
	s_mov_b64 s[18:19], 0
.LBB1213_51:                            ;   Parent Loop BB1213_48 Depth=1
                                        ; =>  This Inner Loop Header: Depth=2
	global_load_dword v54, v[26:27], off glc
	s_waitcnt vmcnt(0)
	v_and_b32_e32 v22, -2.0, v54
	v_cmp_ne_u32_e32 vcc, 0, v22
	s_or_b64 s[18:19], vcc, s[18:19]
	s_andn2_b64 exec, exec, s[18:19]
	s_cbranch_execnz .LBB1213_51
; %bb.52:                               ;   in Loop: Header=BB1213_48 Depth=1
	s_or_b64 exec, exec, s[18:19]
	s_branch .LBB1213_47
.LBB1213_53:                            ;   in Loop: Header=BB1213_48 Depth=1
                                        ; implicit-def: $sgpr29
	s_and_b64 s[18:19], exec, s[10:11]
	s_or_b64 s[8:9], s[18:19], s[8:9]
	s_andn2_b64 exec, exec, s[8:9]
	s_cbranch_execnz .LBB1213_48
.LBB1213_54:
	s_or_b64 exec, exec, s[8:9]
	v_add_u32_e32 v3, v53, v38
	v_or_b32_e32 v3, 0x80000000, v3
	global_store_dword v[24:25], v3, off
	global_load_dwordx2 v[22:23], v29, s[12:13]
	v_sub_co_u32_e32 v24, vcc, v53, v20
	v_subb_co_u32_e32 v25, vcc, 0, v21, vcc
	v_mov_b32_e32 v3, 0
	s_waitcnt vmcnt(0)
	v_add_co_u32_e32 v22, vcc, v24, v22
	v_addc_co_u32_e32 v23, vcc, v25, v23, vcc
	ds_write_b64 v29, v[22:23]
.LBB1213_55:
	s_or_b64 exec, exec, s[2:3]
	v_add_u32_e32 v23, v51, v30
	v_add3_u32 v30, v39, v42, v37
	v_add3_u32 v35, v36, v50, v35
	v_lshlrev_b64 v[36:37], 3, v[2:3]
	v_add3_u32 v31, v32, v1, v31
	v_mov_b32_e32 v1, s23
	v_add_co_u32_e32 v22, vcc, s22, v36
	v_add_u32_e32 v24, 0x800, v29
	v_add3_u32 v25, v47, v52, v46
	v_add3_u32 v26, v44, v48, v43
	;; [unrolled: 1-line block ×4, first 2 shown]
	v_addc_co_u32_e32 v1, vcc, v1, v37, vcc
	s_mov_b32 s8, 0
	v_mov_b32_e32 v32, v2
	s_branch .LBB1213_57
.LBB1213_56:                            ;   in Loop: Header=BB1213_57 Depth=1
	s_or_b64 exec, exec, s[2:3]
	s_addk_i32 s8, 0xf800
	v_add_co_u32_e32 v22, vcc, 0x4000, v22
	v_addc_co_u32_e32 v1, vcc, 0, v1, vcc
	s_cmpk_eq_i32 s8, 0xe000
	v_add_u32_e32 v32, 0x800, v32
	s_barrier
	s_cbranch_scc1 .LBB1213_62
.LBB1213_57:                            ; =>This Inner Loop Header: Depth=1
	v_add_u32_e32 v34, s8, v23
	v_min_u32_e32 v34, 0x800, v34
	v_lshlrev_b32_e32 v34, 3, v34
	ds_write_b64 v34, v[6:7] offset:2048
	v_add_u32_e32 v34, s8, v31
	v_min_u32_e32 v34, 0x800, v34
	v_lshlrev_b32_e32 v34, 3, v34
	ds_write_b64 v34, v[4:5] offset:2048
	;; [unrolled: 4-line block ×7, first 2 shown]
	v_add_u32_e32 v34, s8, v25
	v_min_u32_e32 v34, 0x800, v34
	v_lshlrev_b32_e32 v34, 3, v34
	v_cmp_gt_u32_e32 vcc, s7, v32
	ds_write_b64 v34, v[16:17] offset:2048
	s_waitcnt lgkmcnt(0)
	s_barrier
	s_and_saveexec_b64 s[2:3], vcc
	s_cbranch_execz .LBB1213_59
; %bb.58:                               ;   in Loop: Header=BB1213_57 Depth=1
	ds_read_b64 v[36:37], v29 offset:2048
	s_waitcnt lgkmcnt(0)
	v_lshrrev_b64 v[40:41], s16, v[36:37]
	v_and_b32_e32 v34, s27, v40
	v_lshlrev_b32_e32 v34, 3, v34
	ds_read_b64 v[40:41], v34
	s_waitcnt lgkmcnt(0)
	v_lshlrev_b64 v[40:41], 3, v[40:41]
	v_add_co_u32_e32 v40, vcc, v22, v40
	v_addc_co_u32_e32 v41, vcc, v1, v41, vcc
	global_store_dwordx2 v[40:41], v[36:37], off
.LBB1213_59:                            ;   in Loop: Header=BB1213_57 Depth=1
	s_or_b64 exec, exec, s[2:3]
	v_add_u32_e32 v34, 0x400, v32
	v_cmp_gt_u32_e32 vcc, s7, v34
	s_and_saveexec_b64 s[2:3], vcc
	s_cbranch_execz .LBB1213_56
; %bb.60:                               ;   in Loop: Header=BB1213_57 Depth=1
	ds_read_b64 v[36:37], v24 offset:8192
	s_waitcnt lgkmcnt(0)
	v_lshrrev_b64 v[40:41], s16, v[36:37]
	v_and_b32_e32 v34, s27, v40
	v_lshlrev_b32_e32 v34, 3, v34
	ds_read_b64 v[40:41], v34
	s_waitcnt lgkmcnt(0)
	v_lshlrev_b64 v[40:41], 3, v[40:41]
	v_add_co_u32_e32 v34, vcc, v22, v40
	v_addc_co_u32_e32 v39, vcc, v1, v41, vcc
	v_add_co_u32_e32 v40, vcc, 0x2000, v34
	v_addc_co_u32_e32 v41, vcc, 0, v39, vcc
	global_store_dwordx2 v[40:41], v[36:37], off
	s_branch .LBB1213_56
.LBB1213_61:
	s_mov_b64 s[0:1], 0
                                        ; implicit-def: $vgpr2
                                        ; implicit-def: $vgpr20_vgpr21
                                        ; implicit-def: $vgpr38
	s_cbranch_execnz .LBB1213_63
	s_branch .LBB1213_104
.LBB1213_62:
	s_add_i32 s26, s26, -1
	s_cmp_eq_u32 s26, s6
	s_cselect_b64 s[2:3], -1, 0
	s_and_b64 s[0:1], s[0:1], s[2:3]
	s_branch .LBB1213_104
.LBB1213_63:
	s_lshl_b32 s0, s6, 13
	s_mov_b32 s1, 0
	v_mbcnt_hi_u32_b32 v3, -1, v28
	s_lshl_b64 s[0:1], s[0:1], 3
	v_and_b32_e32 v1, 63, v3
	s_add_u32 s0, s20, s0
	v_lshlrev_b32_e32 v1, 3, v1
	v_add_co_u32_e32 v1, vcc, s0, v1
	s_load_dword s7, s[4:5], 0x58
	s_load_dword s0, s[4:5], 0x64
	v_and_b32_e32 v2, 0x3ff, v0
	s_addc_u32 s1, s21, s1
	v_mov_b32_e32 v4, s1
	v_lshlrev_b32_e32 v5, 6, v2
	s_add_u32 s1, s4, 0x58
	v_addc_co_u32_e32 v4, vcc, 0, v4, vcc
	v_and_b32_e32 v5, 0xf000, v5
	s_addc_u32 s2, s5, 0
	s_waitcnt lgkmcnt(0)
	s_lshr_b32 s3, s0, 16
	v_add_co_u32_e32 v20, vcc, v1, v5
	s_cmp_lt_u32 s6, s7
	v_addc_co_u32_e32 v21, vcc, 0, v4, vcc
	s_cselect_b32 s0, 12, 18
	global_load_dwordx2 v[4:5], v[20:21], off
	s_add_u32 s0, s1, s0
	v_mov_b32_e32 v18, 0
	s_addc_u32 s1, s2, 0
	global_load_ushort v23, v18, s[0:1]
	v_mul_u32_u24_e32 v6, 5, v2
	v_lshlrev_b32_e32 v22, 2, v6
	v_bfe_u32 v1, v0, 10, 10
	v_bfe_u32 v0, v0, 20, 10
	ds_write2_b32 v22, v18, v18 offset0:16 offset1:17
	ds_write2_b32 v22, v18, v18 offset0:18 offset1:19
	ds_write_b32 v22, v18 offset:80
	v_mad_u32_u24 v24, v0, s3, v1
	global_load_dwordx2 v[0:1], v[20:21], off offset:512
	global_load_dwordx2 v[6:7], v[20:21], off offset:1024
	;; [unrolled: 1-line block ×7, first 2 shown]
	s_lshl_b32 s0, -1, s17
	s_not_b32 s17, s0
	s_waitcnt lgkmcnt(0)
	s_barrier
	s_waitcnt lgkmcnt(0)
	; wave barrier
	s_waitcnt vmcnt(8)
	v_lshrrev_b64 v[20:21], s16, v[4:5]
	v_and_b32_e32 v25, s17, v20
	v_and_b32_e32 v27, 1, v25
	v_lshlrev_b32_e32 v19, 30, v25
	s_waitcnt vmcnt(7)
	v_mad_u64_u32 v[20:21], s[0:1], v24, v23, v[2:3]
	v_add_co_u32_e32 v21, vcc, -1, v27
	v_addc_co_u32_e64 v23, s[0:1], 0, -1, vcc
	v_cmp_ne_u32_e32 vcc, 0, v27
	v_cmp_gt_i64_e64 s[0:1], 0, v[18:19]
	v_not_b32_e32 v24, v19
	v_lshlrev_b32_e32 v19, 29, v25
	v_lshl_add_u32 v26, v25, 4, v25
	v_lshrrev_b32_e32 v33, 6, v20
	v_xor_b32_e32 v20, vcc_hi, v23
	v_xor_b32_e32 v21, vcc_lo, v21
	v_ashrrev_i32_e32 v24, 31, v24
	v_cmp_gt_i64_e32 vcc, 0, v[18:19]
	v_not_b32_e32 v27, v19
	v_lshlrev_b32_e32 v19, 28, v25
	v_add_lshl_u32 v23, v33, v26, 2
	v_and_b32_e32 v20, exec_hi, v20
	v_and_b32_e32 v21, exec_lo, v21
	v_xor_b32_e32 v26, s1, v24
	v_xor_b32_e32 v24, s0, v24
	v_ashrrev_i32_e32 v27, 31, v27
	v_cmp_gt_i64_e64 s[0:1], 0, v[18:19]
	v_not_b32_e32 v28, v19
	v_lshlrev_b32_e32 v19, 27, v25
	v_and_b32_e32 v20, v20, v26
	v_and_b32_e32 v21, v21, v24
	v_xor_b32_e32 v24, vcc_hi, v27
	v_xor_b32_e32 v26, vcc_lo, v27
	v_ashrrev_i32_e32 v27, 31, v28
	v_cmp_gt_i64_e32 vcc, 0, v[18:19]
	v_not_b32_e32 v19, v19
	v_and_b32_e32 v20, v20, v24
	v_and_b32_e32 v21, v21, v26
	v_xor_b32_e32 v24, s1, v27
	v_xor_b32_e32 v26, s0, v27
	v_ashrrev_i32_e32 v19, 31, v19
	v_and_b32_e32 v20, v20, v24
	v_and_b32_e32 v21, v21, v26
	v_xor_b32_e32 v24, vcc_hi, v19
	v_xor_b32_e32 v19, vcc_lo, v19
	v_and_b32_e32 v21, v21, v19
	v_lshlrev_b32_e32 v19, 26, v25
	v_cmp_gt_i64_e32 vcc, 0, v[18:19]
	v_not_b32_e32 v19, v19
	v_ashrrev_i32_e32 v19, 31, v19
	v_and_b32_e32 v20, v20, v24
	v_xor_b32_e32 v24, vcc_hi, v19
	v_xor_b32_e32 v19, vcc_lo, v19
	v_and_b32_e32 v21, v21, v19
	v_lshlrev_b32_e32 v19, 25, v25
	v_cmp_gt_i64_e32 vcc, 0, v[18:19]
	v_not_b32_e32 v19, v19
	v_ashrrev_i32_e32 v19, 31, v19
	v_and_b32_e32 v20, v20, v24
	v_xor_b32_e32 v24, vcc_hi, v19
	v_xor_b32_e32 v19, vcc_lo, v19
	v_and_b32_e32 v20, v20, v24
	v_and_b32_e32 v24, v21, v19
	v_lshlrev_b32_e32 v19, 24, v25
	v_cmp_gt_i64_e32 vcc, 0, v[18:19]
	v_not_b32_e32 v19, v19
	v_ashrrev_i32_e32 v19, 31, v19
	v_xor_b32_e32 v21, vcc_hi, v19
	v_xor_b32_e32 v19, vcc_lo, v19
	v_and_b32_e32 v21, v20, v21
	v_and_b32_e32 v20, v24, v19
	v_mbcnt_lo_u32_b32 v19, v20, 0
	v_mbcnt_hi_u32_b32 v26, v21, v19
	v_cmp_eq_u32_e32 vcc, 0, v26
	v_cmp_ne_u64_e64 s[0:1], 0, v[20:21]
	s_and_b64 s[2:3], s[0:1], vcc
	s_and_saveexec_b64 s[0:1], s[2:3]
	s_cbranch_execz .LBB1213_65
; %bb.64:
	v_bcnt_u32_b32 v19, v20, 0
	v_bcnt_u32_b32 v19, v21, v19
	ds_write_b32 v23, v19 offset:64
.LBB1213_65:
	s_or_b64 exec, exec, s[0:1]
	s_waitcnt vmcnt(6)
	v_lshrrev_b64 v[20:21], s16, v[0:1]
	v_and_b32_e32 v20, s17, v20
	v_lshl_add_u32 v19, v20, 4, v20
	v_add_lshl_u32 v24, v33, v19, 2
	v_and_b32_e32 v19, 1, v20
	v_add_co_u32_e32 v21, vcc, -1, v19
	v_addc_co_u32_e64 v25, s[0:1], 0, -1, vcc
	v_cmp_ne_u32_e32 vcc, 0, v19
	v_xor_b32_e32 v19, vcc_hi, v25
	v_and_b32_e32 v25, exec_hi, v19
	v_lshlrev_b32_e32 v19, 30, v20
	v_xor_b32_e32 v21, vcc_lo, v21
	v_cmp_gt_i64_e32 vcc, 0, v[18:19]
	v_not_b32_e32 v19, v19
	v_ashrrev_i32_e32 v19, 31, v19
	v_and_b32_e32 v21, exec_lo, v21
	v_xor_b32_e32 v28, vcc_hi, v19
	v_xor_b32_e32 v19, vcc_lo, v19
	v_and_b32_e32 v21, v21, v19
	v_lshlrev_b32_e32 v19, 29, v20
	v_cmp_gt_i64_e32 vcc, 0, v[18:19]
	v_not_b32_e32 v19, v19
	v_ashrrev_i32_e32 v19, 31, v19
	v_and_b32_e32 v25, v25, v28
	v_xor_b32_e32 v28, vcc_hi, v19
	v_xor_b32_e32 v19, vcc_lo, v19
	v_and_b32_e32 v21, v21, v19
	v_lshlrev_b32_e32 v19, 28, v20
	v_cmp_gt_i64_e32 vcc, 0, v[18:19]
	v_not_b32_e32 v19, v19
	v_ashrrev_i32_e32 v19, 31, v19
	v_and_b32_e32 v25, v25, v28
	v_xor_b32_e32 v28, vcc_hi, v19
	v_xor_b32_e32 v19, vcc_lo, v19
	v_and_b32_e32 v21, v21, v19
	v_lshlrev_b32_e32 v19, 27, v20
	v_cmp_gt_i64_e32 vcc, 0, v[18:19]
	v_not_b32_e32 v19, v19
	v_ashrrev_i32_e32 v19, 31, v19
	v_and_b32_e32 v25, v25, v28
	v_xor_b32_e32 v28, vcc_hi, v19
	v_xor_b32_e32 v19, vcc_lo, v19
	v_and_b32_e32 v21, v21, v19
	v_lshlrev_b32_e32 v19, 26, v20
	v_cmp_gt_i64_e32 vcc, 0, v[18:19]
	v_not_b32_e32 v19, v19
	v_ashrrev_i32_e32 v19, 31, v19
	v_and_b32_e32 v25, v25, v28
	v_xor_b32_e32 v28, vcc_hi, v19
	v_xor_b32_e32 v19, vcc_lo, v19
	v_and_b32_e32 v21, v21, v19
	v_lshlrev_b32_e32 v19, 25, v20
	v_cmp_gt_i64_e32 vcc, 0, v[18:19]
	v_not_b32_e32 v19, v19
	v_ashrrev_i32_e32 v19, 31, v19
	v_and_b32_e32 v25, v25, v28
	v_xor_b32_e32 v28, vcc_hi, v19
	v_xor_b32_e32 v19, vcc_lo, v19
	v_and_b32_e32 v21, v21, v19
	v_lshlrev_b32_e32 v19, 24, v20
	v_cmp_gt_i64_e32 vcc, 0, v[18:19]
	v_not_b32_e32 v18, v19
	v_ashrrev_i32_e32 v18, 31, v18
	v_xor_b32_e32 v19, vcc_hi, v18
	v_xor_b32_e32 v18, vcc_lo, v18
	; wave barrier
	ds_read_b32 v27, v24 offset:64
	v_and_b32_e32 v25, v25, v28
	v_and_b32_e32 v18, v21, v18
	;; [unrolled: 1-line block ×3, first 2 shown]
	v_mbcnt_lo_u32_b32 v20, v18, 0
	v_mbcnt_hi_u32_b32 v28, v19, v20
	v_cmp_eq_u32_e32 vcc, 0, v28
	v_cmp_ne_u64_e64 s[0:1], 0, v[18:19]
	s_and_b64 s[2:3], s[0:1], vcc
	; wave barrier
	s_and_saveexec_b64 s[0:1], s[2:3]
	s_cbranch_execz .LBB1213_67
; %bb.66:
	v_bcnt_u32_b32 v18, v18, 0
	v_bcnt_u32_b32 v18, v19, v18
	s_waitcnt lgkmcnt(0)
	v_add_u32_e32 v18, v27, v18
	ds_write_b32 v24, v18 offset:64
.LBB1213_67:
	s_or_b64 exec, exec, s[0:1]
	s_waitcnt vmcnt(5)
	v_lshrrev_b64 v[18:19], s16, v[6:7]
	v_and_b32_e32 v20, s17, v18
	v_and_b32_e32 v19, 1, v20
	v_add_co_u32_e32 v21, vcc, -1, v19
	v_addc_co_u32_e64 v30, s[0:1], 0, -1, vcc
	v_cmp_ne_u32_e32 vcc, 0, v19
	v_lshl_add_u32 v18, v20, 4, v20
	v_xor_b32_e32 v19, vcc_hi, v30
	v_add_lshl_u32 v25, v33, v18, 2
	v_mov_b32_e32 v18, 0
	v_and_b32_e32 v30, exec_hi, v19
	v_lshlrev_b32_e32 v19, 30, v20
	v_xor_b32_e32 v21, vcc_lo, v21
	v_cmp_gt_i64_e32 vcc, 0, v[18:19]
	v_not_b32_e32 v19, v19
	v_ashrrev_i32_e32 v19, 31, v19
	v_and_b32_e32 v21, exec_lo, v21
	v_xor_b32_e32 v31, vcc_hi, v19
	v_xor_b32_e32 v19, vcc_lo, v19
	v_and_b32_e32 v21, v21, v19
	v_lshlrev_b32_e32 v19, 29, v20
	v_cmp_gt_i64_e32 vcc, 0, v[18:19]
	v_not_b32_e32 v19, v19
	v_ashrrev_i32_e32 v19, 31, v19
	v_and_b32_e32 v30, v30, v31
	v_xor_b32_e32 v31, vcc_hi, v19
	v_xor_b32_e32 v19, vcc_lo, v19
	v_and_b32_e32 v21, v21, v19
	v_lshlrev_b32_e32 v19, 28, v20
	v_cmp_gt_i64_e32 vcc, 0, v[18:19]
	v_not_b32_e32 v19, v19
	v_ashrrev_i32_e32 v19, 31, v19
	v_and_b32_e32 v30, v30, v31
	v_xor_b32_e32 v31, vcc_hi, v19
	v_xor_b32_e32 v19, vcc_lo, v19
	v_and_b32_e32 v21, v21, v19
	v_lshlrev_b32_e32 v19, 27, v20
	v_cmp_gt_i64_e32 vcc, 0, v[18:19]
	v_not_b32_e32 v19, v19
	v_ashrrev_i32_e32 v19, 31, v19
	v_and_b32_e32 v30, v30, v31
	v_xor_b32_e32 v31, vcc_hi, v19
	v_xor_b32_e32 v19, vcc_lo, v19
	v_and_b32_e32 v21, v21, v19
	v_lshlrev_b32_e32 v19, 26, v20
	v_cmp_gt_i64_e32 vcc, 0, v[18:19]
	v_not_b32_e32 v19, v19
	v_ashrrev_i32_e32 v19, 31, v19
	v_and_b32_e32 v30, v30, v31
	v_xor_b32_e32 v31, vcc_hi, v19
	v_xor_b32_e32 v19, vcc_lo, v19
	v_and_b32_e32 v21, v21, v19
	v_lshlrev_b32_e32 v19, 25, v20
	v_cmp_gt_i64_e32 vcc, 0, v[18:19]
	v_not_b32_e32 v19, v19
	v_ashrrev_i32_e32 v19, 31, v19
	v_and_b32_e32 v30, v30, v31
	v_xor_b32_e32 v31, vcc_hi, v19
	v_xor_b32_e32 v19, vcc_lo, v19
	v_and_b32_e32 v30, v30, v31
	v_and_b32_e32 v31, v21, v19
	v_lshlrev_b32_e32 v19, 24, v20
	v_cmp_gt_i64_e32 vcc, 0, v[18:19]
	v_not_b32_e32 v19, v19
	v_ashrrev_i32_e32 v19, 31, v19
	v_xor_b32_e32 v20, vcc_hi, v19
	v_xor_b32_e32 v19, vcc_lo, v19
	; wave barrier
	ds_read_b32 v29, v25 offset:64
	v_and_b32_e32 v21, v30, v20
	v_and_b32_e32 v20, v31, v19
	v_mbcnt_lo_u32_b32 v19, v20, 0
	v_mbcnt_hi_u32_b32 v30, v21, v19
	v_cmp_eq_u32_e32 vcc, 0, v30
	v_cmp_ne_u64_e64 s[0:1], 0, v[20:21]
	s_and_b64 s[2:3], s[0:1], vcc
	; wave barrier
	s_and_saveexec_b64 s[0:1], s[2:3]
	s_cbranch_execz .LBB1213_69
; %bb.68:
	v_bcnt_u32_b32 v19, v20, 0
	v_bcnt_u32_b32 v19, v21, v19
	s_waitcnt lgkmcnt(0)
	v_add_u32_e32 v19, v29, v19
	ds_write_b32 v25, v19 offset:64
.LBB1213_69:
	s_or_b64 exec, exec, s[0:1]
	s_waitcnt vmcnt(4)
	v_lshrrev_b64 v[20:21], s16, v[8:9]
	v_and_b32_e32 v20, s17, v20
	v_lshl_add_u32 v19, v20, 4, v20
	v_add_lshl_u32 v36, v33, v19, 2
	v_and_b32_e32 v19, 1, v20
	v_add_co_u32_e32 v21, vcc, -1, v19
	v_addc_co_u32_e64 v32, s[0:1], 0, -1, vcc
	v_cmp_ne_u32_e32 vcc, 0, v19
	v_xor_b32_e32 v19, vcc_hi, v32
	v_and_b32_e32 v32, exec_hi, v19
	v_lshlrev_b32_e32 v19, 30, v20
	v_xor_b32_e32 v21, vcc_lo, v21
	v_cmp_gt_i64_e32 vcc, 0, v[18:19]
	v_not_b32_e32 v19, v19
	v_ashrrev_i32_e32 v19, 31, v19
	v_and_b32_e32 v21, exec_lo, v21
	v_xor_b32_e32 v34, vcc_hi, v19
	v_xor_b32_e32 v19, vcc_lo, v19
	v_and_b32_e32 v21, v21, v19
	v_lshlrev_b32_e32 v19, 29, v20
	v_cmp_gt_i64_e32 vcc, 0, v[18:19]
	v_not_b32_e32 v19, v19
	v_ashrrev_i32_e32 v19, 31, v19
	v_and_b32_e32 v32, v32, v34
	v_xor_b32_e32 v34, vcc_hi, v19
	v_xor_b32_e32 v19, vcc_lo, v19
	v_and_b32_e32 v21, v21, v19
	v_lshlrev_b32_e32 v19, 28, v20
	v_cmp_gt_i64_e32 vcc, 0, v[18:19]
	v_not_b32_e32 v19, v19
	v_ashrrev_i32_e32 v19, 31, v19
	v_and_b32_e32 v32, v32, v34
	;; [unrolled: 8-line block ×5, first 2 shown]
	v_xor_b32_e32 v34, vcc_hi, v19
	v_xor_b32_e32 v19, vcc_lo, v19
	v_and_b32_e32 v21, v21, v19
	v_lshlrev_b32_e32 v19, 24, v20
	v_cmp_gt_i64_e32 vcc, 0, v[18:19]
	v_not_b32_e32 v18, v19
	v_ashrrev_i32_e32 v18, 31, v18
	v_xor_b32_e32 v19, vcc_hi, v18
	v_xor_b32_e32 v18, vcc_lo, v18
	; wave barrier
	ds_read_b32 v31, v36 offset:64
	v_and_b32_e32 v32, v32, v34
	v_and_b32_e32 v18, v21, v18
	;; [unrolled: 1-line block ×3, first 2 shown]
	v_mbcnt_lo_u32_b32 v20, v18, 0
	v_mbcnt_hi_u32_b32 v32, v19, v20
	v_cmp_eq_u32_e32 vcc, 0, v32
	v_cmp_ne_u64_e64 s[0:1], 0, v[18:19]
	s_and_b64 s[2:3], s[0:1], vcc
	; wave barrier
	s_and_saveexec_b64 s[0:1], s[2:3]
	s_cbranch_execz .LBB1213_71
; %bb.70:
	v_bcnt_u32_b32 v18, v18, 0
	v_bcnt_u32_b32 v18, v19, v18
	s_waitcnt lgkmcnt(0)
	v_add_u32_e32 v18, v31, v18
	ds_write_b32 v36, v18 offset:64
.LBB1213_71:
	s_or_b64 exec, exec, s[0:1]
	s_waitcnt vmcnt(3)
	v_lshrrev_b64 v[18:19], s16, v[10:11]
	v_and_b32_e32 v20, s17, v18
	v_and_b32_e32 v19, 1, v20
	v_add_co_u32_e32 v21, vcc, -1, v19
	v_addc_co_u32_e64 v35, s[0:1], 0, -1, vcc
	v_cmp_ne_u32_e32 vcc, 0, v19
	v_lshl_add_u32 v18, v20, 4, v20
	v_xor_b32_e32 v19, vcc_hi, v35
	v_add_lshl_u32 v38, v33, v18, 2
	v_mov_b32_e32 v18, 0
	v_and_b32_e32 v35, exec_hi, v19
	v_lshlrev_b32_e32 v19, 30, v20
	v_xor_b32_e32 v21, vcc_lo, v21
	v_cmp_gt_i64_e32 vcc, 0, v[18:19]
	v_not_b32_e32 v19, v19
	v_ashrrev_i32_e32 v19, 31, v19
	v_and_b32_e32 v21, exec_lo, v21
	v_xor_b32_e32 v37, vcc_hi, v19
	v_xor_b32_e32 v19, vcc_lo, v19
	v_and_b32_e32 v21, v21, v19
	v_lshlrev_b32_e32 v19, 29, v20
	v_cmp_gt_i64_e32 vcc, 0, v[18:19]
	v_not_b32_e32 v19, v19
	v_ashrrev_i32_e32 v19, 31, v19
	v_and_b32_e32 v35, v35, v37
	v_xor_b32_e32 v37, vcc_hi, v19
	v_xor_b32_e32 v19, vcc_lo, v19
	v_and_b32_e32 v21, v21, v19
	v_lshlrev_b32_e32 v19, 28, v20
	v_cmp_gt_i64_e32 vcc, 0, v[18:19]
	v_not_b32_e32 v19, v19
	v_ashrrev_i32_e32 v19, 31, v19
	v_and_b32_e32 v35, v35, v37
	;; [unrolled: 8-line block ×5, first 2 shown]
	v_xor_b32_e32 v37, vcc_hi, v19
	v_xor_b32_e32 v19, vcc_lo, v19
	v_and_b32_e32 v35, v35, v37
	v_and_b32_e32 v37, v21, v19
	v_lshlrev_b32_e32 v19, 24, v20
	v_cmp_gt_i64_e32 vcc, 0, v[18:19]
	v_not_b32_e32 v19, v19
	v_ashrrev_i32_e32 v19, 31, v19
	v_xor_b32_e32 v20, vcc_hi, v19
	v_xor_b32_e32 v19, vcc_lo, v19
	; wave barrier
	ds_read_b32 v34, v38 offset:64
	v_and_b32_e32 v21, v35, v20
	v_and_b32_e32 v20, v37, v19
	v_mbcnt_lo_u32_b32 v19, v20, 0
	v_mbcnt_hi_u32_b32 v35, v21, v19
	v_cmp_eq_u32_e32 vcc, 0, v35
	v_cmp_ne_u64_e64 s[0:1], 0, v[20:21]
	s_and_b64 s[2:3], s[0:1], vcc
	; wave barrier
	s_and_saveexec_b64 s[0:1], s[2:3]
	s_cbranch_execz .LBB1213_73
; %bb.72:
	v_bcnt_u32_b32 v19, v20, 0
	v_bcnt_u32_b32 v19, v21, v19
	s_waitcnt lgkmcnt(0)
	v_add_u32_e32 v19, v34, v19
	ds_write_b32 v38, v19 offset:64
.LBB1213_73:
	s_or_b64 exec, exec, s[0:1]
	s_waitcnt vmcnt(2)
	v_lshrrev_b64 v[20:21], s16, v[12:13]
	v_and_b32_e32 v20, s17, v20
	v_lshl_add_u32 v19, v20, 4, v20
	v_add_lshl_u32 v42, v33, v19, 2
	v_and_b32_e32 v19, 1, v20
	v_add_co_u32_e32 v21, vcc, -1, v19
	v_addc_co_u32_e64 v39, s[0:1], 0, -1, vcc
	v_cmp_ne_u32_e32 vcc, 0, v19
	v_xor_b32_e32 v19, vcc_hi, v39
	v_and_b32_e32 v39, exec_hi, v19
	v_lshlrev_b32_e32 v19, 30, v20
	v_xor_b32_e32 v21, vcc_lo, v21
	v_cmp_gt_i64_e32 vcc, 0, v[18:19]
	v_not_b32_e32 v19, v19
	v_ashrrev_i32_e32 v19, 31, v19
	v_and_b32_e32 v21, exec_lo, v21
	v_xor_b32_e32 v40, vcc_hi, v19
	v_xor_b32_e32 v19, vcc_lo, v19
	v_and_b32_e32 v21, v21, v19
	v_lshlrev_b32_e32 v19, 29, v20
	v_cmp_gt_i64_e32 vcc, 0, v[18:19]
	v_not_b32_e32 v19, v19
	v_ashrrev_i32_e32 v19, 31, v19
	v_and_b32_e32 v39, v39, v40
	v_xor_b32_e32 v40, vcc_hi, v19
	v_xor_b32_e32 v19, vcc_lo, v19
	v_and_b32_e32 v21, v21, v19
	v_lshlrev_b32_e32 v19, 28, v20
	v_cmp_gt_i64_e32 vcc, 0, v[18:19]
	v_not_b32_e32 v19, v19
	v_ashrrev_i32_e32 v19, 31, v19
	v_and_b32_e32 v39, v39, v40
	;; [unrolled: 8-line block ×5, first 2 shown]
	v_xor_b32_e32 v40, vcc_hi, v19
	v_xor_b32_e32 v19, vcc_lo, v19
	v_and_b32_e32 v21, v21, v19
	v_lshlrev_b32_e32 v19, 24, v20
	v_cmp_gt_i64_e32 vcc, 0, v[18:19]
	v_not_b32_e32 v18, v19
	v_ashrrev_i32_e32 v18, 31, v18
	v_xor_b32_e32 v19, vcc_hi, v18
	v_xor_b32_e32 v18, vcc_lo, v18
	; wave barrier
	ds_read_b32 v37, v42 offset:64
	v_and_b32_e32 v39, v39, v40
	v_and_b32_e32 v18, v21, v18
	;; [unrolled: 1-line block ×3, first 2 shown]
	v_mbcnt_lo_u32_b32 v20, v18, 0
	v_mbcnt_hi_u32_b32 v39, v19, v20
	v_cmp_eq_u32_e32 vcc, 0, v39
	v_cmp_ne_u64_e64 s[0:1], 0, v[18:19]
	s_and_b64 s[2:3], s[0:1], vcc
	; wave barrier
	s_and_saveexec_b64 s[0:1], s[2:3]
	s_cbranch_execz .LBB1213_75
; %bb.74:
	v_bcnt_u32_b32 v18, v18, 0
	v_bcnt_u32_b32 v18, v19, v18
	s_waitcnt lgkmcnt(0)
	v_add_u32_e32 v18, v37, v18
	ds_write_b32 v42, v18 offset:64
.LBB1213_75:
	s_or_b64 exec, exec, s[0:1]
	s_waitcnt vmcnt(1)
	v_lshrrev_b64 v[18:19], s16, v[14:15]
	v_and_b32_e32 v20, s17, v18
	v_and_b32_e32 v19, 1, v20
	v_add_co_u32_e32 v21, vcc, -1, v19
	v_addc_co_u32_e64 v41, s[0:1], 0, -1, vcc
	v_cmp_ne_u32_e32 vcc, 0, v19
	v_lshl_add_u32 v18, v20, 4, v20
	v_xor_b32_e32 v19, vcc_hi, v41
	v_add_lshl_u32 v44, v33, v18, 2
	v_mov_b32_e32 v18, 0
	v_and_b32_e32 v41, exec_hi, v19
	v_lshlrev_b32_e32 v19, 30, v20
	v_xor_b32_e32 v21, vcc_lo, v21
	v_cmp_gt_i64_e32 vcc, 0, v[18:19]
	v_not_b32_e32 v19, v19
	v_ashrrev_i32_e32 v19, 31, v19
	v_and_b32_e32 v21, exec_lo, v21
	v_xor_b32_e32 v43, vcc_hi, v19
	v_xor_b32_e32 v19, vcc_lo, v19
	v_and_b32_e32 v21, v21, v19
	v_lshlrev_b32_e32 v19, 29, v20
	v_cmp_gt_i64_e32 vcc, 0, v[18:19]
	v_not_b32_e32 v19, v19
	v_ashrrev_i32_e32 v19, 31, v19
	v_and_b32_e32 v41, v41, v43
	v_xor_b32_e32 v43, vcc_hi, v19
	v_xor_b32_e32 v19, vcc_lo, v19
	v_and_b32_e32 v21, v21, v19
	v_lshlrev_b32_e32 v19, 28, v20
	v_cmp_gt_i64_e32 vcc, 0, v[18:19]
	v_not_b32_e32 v19, v19
	v_ashrrev_i32_e32 v19, 31, v19
	v_and_b32_e32 v41, v41, v43
	;; [unrolled: 8-line block ×5, first 2 shown]
	v_xor_b32_e32 v43, vcc_hi, v19
	v_xor_b32_e32 v19, vcc_lo, v19
	v_and_b32_e32 v41, v41, v43
	v_and_b32_e32 v43, v21, v19
	v_lshlrev_b32_e32 v19, 24, v20
	v_cmp_gt_i64_e32 vcc, 0, v[18:19]
	v_not_b32_e32 v19, v19
	v_ashrrev_i32_e32 v19, 31, v19
	v_xor_b32_e32 v20, vcc_hi, v19
	v_xor_b32_e32 v19, vcc_lo, v19
	; wave barrier
	ds_read_b32 v40, v44 offset:64
	v_and_b32_e32 v21, v41, v20
	v_and_b32_e32 v20, v43, v19
	v_mbcnt_lo_u32_b32 v19, v20, 0
	v_mbcnt_hi_u32_b32 v41, v21, v19
	v_cmp_eq_u32_e32 vcc, 0, v41
	v_cmp_ne_u64_e64 s[0:1], 0, v[20:21]
	s_and_b64 s[2:3], s[0:1], vcc
	; wave barrier
	s_and_saveexec_b64 s[0:1], s[2:3]
	s_cbranch_execz .LBB1213_77
; %bb.76:
	v_bcnt_u32_b32 v19, v20, 0
	v_bcnt_u32_b32 v19, v21, v19
	s_waitcnt lgkmcnt(0)
	v_add_u32_e32 v19, v40, v19
	ds_write_b32 v44, v19 offset:64
.LBB1213_77:
	s_or_b64 exec, exec, s[0:1]
	s_waitcnt vmcnt(0)
	v_lshrrev_b64 v[20:21], s16, v[16:17]
	v_and_b32_e32 v20, s17, v20
	v_lshl_add_u32 v19, v20, 4, v20
	v_add_lshl_u32 v45, v33, v19, 2
	v_and_b32_e32 v19, 1, v20
	v_add_co_u32_e32 v21, vcc, -1, v19
	v_addc_co_u32_e64 v43, s[0:1], 0, -1, vcc
	v_cmp_ne_u32_e32 vcc, 0, v19
	v_xor_b32_e32 v19, vcc_hi, v43
	v_and_b32_e32 v43, exec_hi, v19
	v_lshlrev_b32_e32 v19, 30, v20
	v_xor_b32_e32 v21, vcc_lo, v21
	v_cmp_gt_i64_e32 vcc, 0, v[18:19]
	v_not_b32_e32 v19, v19
	v_ashrrev_i32_e32 v19, 31, v19
	v_and_b32_e32 v21, exec_lo, v21
	v_xor_b32_e32 v47, vcc_hi, v19
	v_xor_b32_e32 v19, vcc_lo, v19
	v_and_b32_e32 v21, v21, v19
	v_lshlrev_b32_e32 v19, 29, v20
	v_cmp_gt_i64_e32 vcc, 0, v[18:19]
	v_not_b32_e32 v19, v19
	v_ashrrev_i32_e32 v19, 31, v19
	v_and_b32_e32 v43, v43, v47
	v_xor_b32_e32 v47, vcc_hi, v19
	v_xor_b32_e32 v19, vcc_lo, v19
	v_and_b32_e32 v21, v21, v19
	v_lshlrev_b32_e32 v19, 28, v20
	v_cmp_gt_i64_e32 vcc, 0, v[18:19]
	v_not_b32_e32 v19, v19
	v_ashrrev_i32_e32 v19, 31, v19
	v_and_b32_e32 v43, v43, v47
	;; [unrolled: 8-line block ×5, first 2 shown]
	v_xor_b32_e32 v47, vcc_hi, v19
	v_xor_b32_e32 v19, vcc_lo, v19
	v_and_b32_e32 v21, v21, v19
	v_lshlrev_b32_e32 v19, 24, v20
	v_cmp_gt_i64_e32 vcc, 0, v[18:19]
	v_not_b32_e32 v18, v19
	v_ashrrev_i32_e32 v18, 31, v18
	v_xor_b32_e32 v19, vcc_hi, v18
	v_xor_b32_e32 v18, vcc_lo, v18
	; wave barrier
	ds_read_b32 v33, v45 offset:64
	v_and_b32_e32 v43, v43, v47
	v_and_b32_e32 v18, v21, v18
	;; [unrolled: 1-line block ×3, first 2 shown]
	v_mbcnt_lo_u32_b32 v20, v18, 0
	v_mbcnt_hi_u32_b32 v43, v19, v20
	v_cmp_eq_u32_e32 vcc, 0, v43
	v_cmp_ne_u64_e64 s[0:1], 0, v[18:19]
	v_add_u32_e32 v46, 64, v22
	s_and_b64 s[2:3], s[0:1], vcc
	; wave barrier
	s_and_saveexec_b64 s[0:1], s[2:3]
	s_cbranch_execz .LBB1213_79
; %bb.78:
	v_bcnt_u32_b32 v18, v18, 0
	v_bcnt_u32_b32 v18, v19, v18
	s_waitcnt lgkmcnt(0)
	v_add_u32_e32 v18, v33, v18
	ds_write_b32 v45, v18 offset:64
.LBB1213_79:
	s_or_b64 exec, exec, s[0:1]
	; wave barrier
	s_waitcnt lgkmcnt(0)
	s_barrier
	ds_read2_b32 v[20:21], v22 offset0:16 offset1:17
	ds_read2_b32 v[18:19], v46 offset0:2 offset1:3
	ds_read_b32 v47, v46 offset:16
	v_cmp_lt_u32_e64 s[8:9], 31, v3
	s_waitcnt lgkmcnt(1)
	v_add3_u32 v48, v21, v20, v18
	s_waitcnt lgkmcnt(0)
	v_add3_u32 v47, v48, v19, v47
	v_and_b32_e32 v48, 15, v3
	v_cmp_eq_u32_e32 vcc, 0, v48
	v_mov_b32_dpp v49, v47 row_shr:1 row_mask:0xf bank_mask:0xf
	v_cndmask_b32_e64 v49, v49, 0, vcc
	v_add_u32_e32 v47, v49, v47
	v_cmp_lt_u32_e64 s[0:1], 1, v48
	v_cmp_lt_u32_e64 s[2:3], 3, v48
	v_mov_b32_dpp v49, v47 row_shr:2 row_mask:0xf bank_mask:0xf
	v_cndmask_b32_e64 v49, 0, v49, s[0:1]
	v_add_u32_e32 v47, v47, v49
	v_cmp_lt_u32_e64 s[4:5], 7, v48
	s_nop 0
	v_mov_b32_dpp v49, v47 row_shr:4 row_mask:0xf bank_mask:0xf
	v_cndmask_b32_e64 v49, 0, v49, s[2:3]
	v_add_u32_e32 v47, v47, v49
	s_nop 1
	v_mov_b32_dpp v49, v47 row_shr:8 row_mask:0xf bank_mask:0xf
	v_cndmask_b32_e64 v48, 0, v49, s[4:5]
	v_add_u32_e32 v47, v47, v48
	v_bfe_i32 v49, v3, 4, 1
	s_nop 0
	v_mov_b32_dpp v48, v47 row_bcast:15 row_mask:0xf bank_mask:0xf
	v_and_b32_e32 v48, v49, v48
	v_add_u32_e32 v47, v47, v48
	v_and_b32_e32 v49, 63, v2
	s_nop 0
	v_mov_b32_dpp v48, v47 row_bcast:31 row_mask:0xf bank_mask:0xf
	v_cndmask_b32_e64 v48, 0, v48, s[8:9]
	v_add_u32_e32 v47, v47, v48
	v_lshrrev_b32_e32 v48, 6, v2
	v_cmp_eq_u32_e64 s[8:9], 63, v49
	s_and_saveexec_b64 s[10:11], s[8:9]
	s_cbranch_execz .LBB1213_81
; %bb.80:
	v_lshlrev_b32_e32 v49, 2, v48
	ds_write_b32 v49, v47
.LBB1213_81:
	s_or_b64 exec, exec, s[10:11]
	v_cmp_gt_u32_e64 s[8:9], 16, v2
	s_waitcnt lgkmcnt(0)
	s_barrier
	s_and_saveexec_b64 s[10:11], s[8:9]
	s_cbranch_execz .LBB1213_83
; %bb.82:
	v_lshlrev_b32_e32 v49, 2, v2
	ds_read_b32 v50, v49
	s_waitcnt lgkmcnt(0)
	s_nop 0
	v_mov_b32_dpp v51, v50 row_shr:1 row_mask:0xf bank_mask:0xf
	v_cndmask_b32_e64 v51, v51, 0, vcc
	v_add_u32_e32 v50, v51, v50
	s_nop 1
	v_mov_b32_dpp v51, v50 row_shr:2 row_mask:0xf bank_mask:0xf
	v_cndmask_b32_e64 v51, 0, v51, s[0:1]
	v_add_u32_e32 v50, v50, v51
	s_nop 1
	v_mov_b32_dpp v51, v50 row_shr:4 row_mask:0xf bank_mask:0xf
	v_cndmask_b32_e64 v51, 0, v51, s[2:3]
	;; [unrolled: 4-line block ×3, first 2 shown]
	v_add_u32_e32 v50, v50, v51
	ds_write_b32 v49, v50
.LBB1213_83:
	s_or_b64 exec, exec, s[10:11]
	v_cmp_lt_u32_e32 vcc, 63, v2
	v_mov_b32_e32 v49, 0
	s_waitcnt lgkmcnt(0)
	s_barrier
	s_and_saveexec_b64 s[0:1], vcc
	s_cbranch_execz .LBB1213_85
; %bb.84:
	v_lshl_add_u32 v48, v48, 2, -4
	ds_read_b32 v49, v48
.LBB1213_85:
	s_or_b64 exec, exec, s[0:1]
	v_add_u32_e32 v48, -1, v3
	v_and_b32_e32 v50, 64, v3
	v_cmp_lt_i32_e32 vcc, v48, v50
	v_cndmask_b32_e32 v48, v48, v3, vcc
	s_waitcnt lgkmcnt(0)
	v_add_u32_e32 v47, v49, v47
	v_lshlrev_b32_e32 v48, 2, v48
	ds_bpermute_b32 v47, v48, v47
	v_cmp_eq_u32_e32 vcc, 0, v3
	s_movk_i32 s2, 0xff
	s_movk_i32 s0, 0x100
	v_cmp_gt_u32_e64 s[0:1], s0, v2
	s_waitcnt lgkmcnt(0)
	v_cndmask_b32_e32 v3, v47, v49, vcc
	v_cmp_ne_u32_e32 vcc, 0, v2
	v_cndmask_b32_e32 v3, 0, v3, vcc
	v_add_u32_e32 v20, v3, v20
	v_add_u32_e32 v21, v20, v21
	;; [unrolled: 1-line block ×4, first 2 shown]
	ds_write2_b32 v22, v3, v20 offset0:16 offset1:17
	ds_write2_b32 v46, v21, v18 offset0:2 offset1:3
	ds_write_b32 v46, v19 offset:16
	s_waitcnt lgkmcnt(0)
	s_barrier
	ds_read_b32 v49, v23 offset:64
	ds_read_b32 v46, v24 offset:64
	;; [unrolled: 1-line block ×8, first 2 shown]
	v_cmp_lt_u32_e32 vcc, s2, v2
	v_pk_mov_b32 v[20:21], 0, 0
                                        ; implicit-def: $vgpr38
	s_and_saveexec_b64 s[4:5], s[0:1]
	s_cbranch_execz .LBB1213_89
; %bb.86:
	v_mul_u32_u24_e32 v3, 17, v2
	v_lshlrev_b32_e32 v18, 2, v3
	ds_read_b32 v20, v18 offset:64
	v_cmp_ne_u32_e64 s[2:3], s2, v2
	v_mov_b32_e32 v3, 0x2000
	s_and_saveexec_b64 s[8:9], s[2:3]
	s_cbranch_execz .LBB1213_88
; %bb.87:
	ds_read_b32 v3, v18 offset:132
.LBB1213_88:
	s_or_b64 exec, exec, s[8:9]
	s_waitcnt lgkmcnt(0)
	v_sub_u32_e32 v38, v3, v20
	v_mov_b32_e32 v21, 0
.LBB1213_89:
	s_or_b64 exec, exec, s[4:5]
	s_waitcnt lgkmcnt(0)
	s_barrier
	s_and_saveexec_b64 s[2:3], vcc
	s_xor_b64 s[2:3], exec, s[2:3]
; %bb.90:
	v_mov_b32_e32 v3, 0
; %bb.91:
	s_andn2_saveexec_b64 s[2:3], s[2:3]
	s_cbranch_execz .LBB1213_101
; %bb.92:
	v_lshl_or_b32 v18, s6, 8, v2
	v_mov_b32_e32 v19, 0
	v_lshlrev_b64 v[22:23], 2, v[18:19]
	v_mov_b32_e32 v3, s25
	v_add_co_u32_e32 v22, vcc, s24, v22
	v_addc_co_u32_e32 v23, vcc, v3, v23, vcc
	v_or_b32_e32 v18, 2.0, v38
	s_mov_b64 s[4:5], 0
	s_brev_b32 s18, 1
	s_mov_b32 s19, s6
	v_mov_b32_e32 v50, 0
	global_store_dword v[22:23], v18, off
                                        ; implicit-def: $sgpr8_sgpr9
	s_branch .LBB1213_95
.LBB1213_93:                            ;   in Loop: Header=BB1213_95 Depth=1
	s_or_b64 exec, exec, s[10:11]
.LBB1213_94:                            ;   in Loop: Header=BB1213_95 Depth=1
	s_or_b64 exec, exec, s[8:9]
	v_and_b32_e32 v24, 0x3fffffff, v51
	v_add_u32_e32 v50, v24, v50
	v_cmp_eq_u32_e64 s[8:9], s18, v18
	s_and_b64 s[10:11], exec, s[8:9]
	s_or_b64 s[4:5], s[10:11], s[4:5]
	s_andn2_b64 exec, exec, s[4:5]
	s_cbranch_execz .LBB1213_100
.LBB1213_95:                            ; =>This Loop Header: Depth=1
                                        ;     Child Loop BB1213_98 Depth 2
	s_or_b64 s[8:9], s[8:9], exec
	s_cmp_eq_u32 s19, 0
	s_cbranch_scc1 .LBB1213_99
; %bb.96:                               ;   in Loop: Header=BB1213_95 Depth=1
	s_add_i32 s19, s19, -1
	v_lshl_or_b32 v18, s19, 8, v2
	v_lshlrev_b64 v[24:25], 2, v[18:19]
	v_add_co_u32_e32 v24, vcc, s24, v24
	v_addc_co_u32_e32 v25, vcc, v3, v25, vcc
	global_load_dword v51, v[24:25], off glc
	s_waitcnt vmcnt(0)
	v_and_b32_e32 v18, -2.0, v51
	v_cmp_eq_u32_e32 vcc, 0, v18
	s_and_saveexec_b64 s[8:9], vcc
	s_cbranch_execz .LBB1213_94
; %bb.97:                               ;   in Loop: Header=BB1213_95 Depth=1
	s_mov_b64 s[10:11], 0
.LBB1213_98:                            ;   Parent Loop BB1213_95 Depth=1
                                        ; =>  This Inner Loop Header: Depth=2
	global_load_dword v51, v[24:25], off glc
	s_waitcnt vmcnt(0)
	v_and_b32_e32 v18, -2.0, v51
	v_cmp_ne_u32_e32 vcc, 0, v18
	s_or_b64 s[10:11], vcc, s[10:11]
	s_andn2_b64 exec, exec, s[10:11]
	s_cbranch_execnz .LBB1213_98
	s_branch .LBB1213_93
.LBB1213_99:                            ;   in Loop: Header=BB1213_95 Depth=1
                                        ; implicit-def: $sgpr19
	s_and_b64 s[10:11], exec, s[8:9]
	s_or_b64 s[4:5], s[10:11], s[4:5]
	s_andn2_b64 exec, exec, s[4:5]
	s_cbranch_execnz .LBB1213_95
.LBB1213_100:
	s_or_b64 exec, exec, s[4:5]
	v_add_u32_e32 v3, v50, v38
	v_or_b32_e32 v3, 0x80000000, v3
	global_store_dword v[22:23], v3, off
	v_lshlrev_b32_e32 v22, 3, v2
	global_load_dwordx2 v[18:19], v22, s[12:13]
	v_sub_co_u32_e32 v23, vcc, v50, v20
	v_subb_co_u32_e32 v24, vcc, 0, v21, vcc
	v_mov_b32_e32 v3, 0
	s_waitcnt vmcnt(0)
	v_add_co_u32_e32 v18, vcc, v23, v18
	v_addc_co_u32_e32 v19, vcc, v24, v19, vcc
	ds_write_b64 v22, v[18:19]
.LBB1213_101:
	s_or_b64 exec, exec, s[2:3]
	v_lshlrev_b64 v[18:19], 3, v[2:3]
	v_lshlrev_b32_e32 v23, 3, v2
	v_add3_u32 v27, v28, v46, v27
	v_mov_b32_e32 v28, s23
	v_add_co_u32_e32 v18, vcc, s22, v18
	v_add_u32_e32 v22, v49, v26
	v_add_u32_e32 v24, 0x800, v23
	v_add3_u32 v25, v43, v45, v33
	v_add3_u32 v26, v41, v44, v40
	;; [unrolled: 1-line block ×6, first 2 shown]
	v_addc_co_u32_e32 v19, vcc, v28, v19, vcc
	s_mov_b32 s2, 0
.LBB1213_102:                           ; =>This Inner Loop Header: Depth=1
	v_add_u32_e32 v28, s2, v22
	v_add_u32_e32 v36, s2, v34
	;; [unrolled: 1-line block ×8, first 2 shown]
	v_min_u32_e32 v28, 0x800, v28
	v_min_u32_e32 v36, 0x800, v36
	;; [unrolled: 1-line block ×8, first 2 shown]
	v_lshlrev_b32_e32 v28, 3, v28
	v_lshlrev_b32_e32 v36, 3, v36
	;; [unrolled: 1-line block ×8, first 2 shown]
	ds_write_b64 v28, v[4:5] offset:2048
	ds_write_b64 v30, v[0:1] offset:2048
	;; [unrolled: 1-line block ×8, first 2 shown]
	s_waitcnt lgkmcnt(0)
	s_barrier
	ds_read_b64 v[36:37], v23 offset:2048
	ds_read_b64 v[40:41], v24 offset:8192
	s_addk_i32 s2, 0xf800
	s_cmpk_lg_i32 s2, 0xe000
	s_waitcnt lgkmcnt(1)
	v_lshrrev_b64 v[42:43], s16, v[36:37]
	s_waitcnt lgkmcnt(0)
	v_lshrrev_b64 v[44:45], s16, v[40:41]
	v_and_b32_e32 v28, s17, v42
	v_and_b32_e32 v30, s17, v44
	v_lshlrev_b32_e32 v28, 3, v28
	v_lshlrev_b32_e32 v30, 3, v30
	ds_read_b64 v[42:43], v28
	ds_read_b64 v[44:45], v30
	s_waitcnt lgkmcnt(1)
	v_lshlrev_b64 v[42:43], 3, v[42:43]
	v_add_co_u32_e32 v42, vcc, v18, v42
	s_waitcnt lgkmcnt(0)
	v_lshlrev_b64 v[44:45], 3, v[44:45]
	v_addc_co_u32_e32 v43, vcc, v19, v43, vcc
	v_add_co_u32_e32 v28, vcc, v18, v44
	v_addc_co_u32_e32 v30, vcc, v19, v45, vcc
	global_store_dwordx2 v[42:43], v[36:37], off
	v_add_co_u32_e32 v36, vcc, 0x2000, v28
	v_addc_co_u32_e32 v37, vcc, 0, v30, vcc
	v_add_co_u32_e32 v18, vcc, 0x4000, v18
	v_addc_co_u32_e32 v19, vcc, 0, v19, vcc
	global_store_dwordx2 v[36:37], v[40:41], off
	s_barrier
	s_cbranch_scc1 .LBB1213_102
; %bb.103:
	s_add_i32 s7, s7, -1
	s_cmp_eq_u32 s7, s6
	s_cselect_b64 s[2:3], -1, 0
	s_and_b64 s[0:1], s[0:1], s[2:3]
.LBB1213_104:
	s_and_saveexec_b64 s[2:3], s[0:1]
	s_cbranch_execnz .LBB1213_106
; %bb.105:
	s_endpgm
.LBB1213_106:
	v_lshlrev_b32_e32 v6, 3, v2
	v_lshlrev_b64 v[0:1], 3, v[2:3]
	ds_read_b64 v[2:3], v6
	v_add_co_u32_e32 v4, vcc, v20, v38
	v_addc_co_u32_e32 v5, vcc, 0, v21, vcc
	v_mov_b32_e32 v7, s15
	v_add_co_u32_e32 v0, vcc, s14, v0
	v_addc_co_u32_e32 v1, vcc, v7, v1, vcc
	s_waitcnt lgkmcnt(0)
	v_add_co_u32_e32 v2, vcc, v4, v2
	v_addc_co_u32_e32 v3, vcc, v5, v3, vcc
	global_store_dwordx2 v[0:1], v[2:3], off
	s_endpgm
	.section	.rodata,"a",@progbits
	.p2align	6, 0x0
	.amdhsa_kernel _ZN7rocprim17ROCPRIM_400000_NS6detail17trampoline_kernelINS0_14default_configENS1_35radix_sort_onesweep_config_selectorIyNS0_10empty_typeEEEZZNS1_29radix_sort_onesweep_iterationIS3_Lb0EPyS8_PS5_S9_mNS0_19identity_decomposerENS1_16block_id_wrapperIjLb0EEEEE10hipError_tT1_PNSt15iterator_traitsISE_E10value_typeET2_T3_PNSF_ISK_E10value_typeET4_T5_PSP_SQ_PNS1_23onesweep_lookback_stateEbbT6_jjT7_P12ihipStream_tbENKUlT_T0_SE_SJ_E_clIS8_S8_S9_S9_EEDaSX_SY_SE_SJ_EUlSX_E_NS1_11comp_targetILNS1_3genE4ELNS1_11target_archE910ELNS1_3gpuE8ELNS1_3repE0EEENS1_47radix_sort_onesweep_sort_config_static_selectorELNS0_4arch9wavefront6targetE1EEEvSE_
		.amdhsa_group_segment_fixed_size 20552
		.amdhsa_private_segment_fixed_size 0
		.amdhsa_kernarg_size 344
		.amdhsa_user_sgpr_count 6
		.amdhsa_user_sgpr_private_segment_buffer 1
		.amdhsa_user_sgpr_dispatch_ptr 0
		.amdhsa_user_sgpr_queue_ptr 0
		.amdhsa_user_sgpr_kernarg_segment_ptr 1
		.amdhsa_user_sgpr_dispatch_id 0
		.amdhsa_user_sgpr_flat_scratch_init 0
		.amdhsa_user_sgpr_kernarg_preload_length 0
		.amdhsa_user_sgpr_kernarg_preload_offset 0
		.amdhsa_user_sgpr_private_segment_size 0
		.amdhsa_uses_dynamic_stack 0
		.amdhsa_system_sgpr_private_segment_wavefront_offset 0
		.amdhsa_system_sgpr_workgroup_id_x 1
		.amdhsa_system_sgpr_workgroup_id_y 0
		.amdhsa_system_sgpr_workgroup_id_z 0
		.amdhsa_system_sgpr_workgroup_info 0
		.amdhsa_system_vgpr_workitem_id 2
		.amdhsa_next_free_vgpr 55
		.amdhsa_next_free_sgpr 30
		.amdhsa_accum_offset 56
		.amdhsa_reserve_vcc 1
		.amdhsa_reserve_flat_scratch 0
		.amdhsa_float_round_mode_32 0
		.amdhsa_float_round_mode_16_64 0
		.amdhsa_float_denorm_mode_32 3
		.amdhsa_float_denorm_mode_16_64 3
		.amdhsa_dx10_clamp 1
		.amdhsa_ieee_mode 1
		.amdhsa_fp16_overflow 0
		.amdhsa_tg_split 0
		.amdhsa_exception_fp_ieee_invalid_op 0
		.amdhsa_exception_fp_denorm_src 0
		.amdhsa_exception_fp_ieee_div_zero 0
		.amdhsa_exception_fp_ieee_overflow 0
		.amdhsa_exception_fp_ieee_underflow 0
		.amdhsa_exception_fp_ieee_inexact 0
		.amdhsa_exception_int_div_zero 0
	.end_amdhsa_kernel
	.section	.text._ZN7rocprim17ROCPRIM_400000_NS6detail17trampoline_kernelINS0_14default_configENS1_35radix_sort_onesweep_config_selectorIyNS0_10empty_typeEEEZZNS1_29radix_sort_onesweep_iterationIS3_Lb0EPyS8_PS5_S9_mNS0_19identity_decomposerENS1_16block_id_wrapperIjLb0EEEEE10hipError_tT1_PNSt15iterator_traitsISE_E10value_typeET2_T3_PNSF_ISK_E10value_typeET4_T5_PSP_SQ_PNS1_23onesweep_lookback_stateEbbT6_jjT7_P12ihipStream_tbENKUlT_T0_SE_SJ_E_clIS8_S8_S9_S9_EEDaSX_SY_SE_SJ_EUlSX_E_NS1_11comp_targetILNS1_3genE4ELNS1_11target_archE910ELNS1_3gpuE8ELNS1_3repE0EEENS1_47radix_sort_onesweep_sort_config_static_selectorELNS0_4arch9wavefront6targetE1EEEvSE_,"axG",@progbits,_ZN7rocprim17ROCPRIM_400000_NS6detail17trampoline_kernelINS0_14default_configENS1_35radix_sort_onesweep_config_selectorIyNS0_10empty_typeEEEZZNS1_29radix_sort_onesweep_iterationIS3_Lb0EPyS8_PS5_S9_mNS0_19identity_decomposerENS1_16block_id_wrapperIjLb0EEEEE10hipError_tT1_PNSt15iterator_traitsISE_E10value_typeET2_T3_PNSF_ISK_E10value_typeET4_T5_PSP_SQ_PNS1_23onesweep_lookback_stateEbbT6_jjT7_P12ihipStream_tbENKUlT_T0_SE_SJ_E_clIS8_S8_S9_S9_EEDaSX_SY_SE_SJ_EUlSX_E_NS1_11comp_targetILNS1_3genE4ELNS1_11target_archE910ELNS1_3gpuE8ELNS1_3repE0EEENS1_47radix_sort_onesweep_sort_config_static_selectorELNS0_4arch9wavefront6targetE1EEEvSE_,comdat
.Lfunc_end1213:
	.size	_ZN7rocprim17ROCPRIM_400000_NS6detail17trampoline_kernelINS0_14default_configENS1_35radix_sort_onesweep_config_selectorIyNS0_10empty_typeEEEZZNS1_29radix_sort_onesweep_iterationIS3_Lb0EPyS8_PS5_S9_mNS0_19identity_decomposerENS1_16block_id_wrapperIjLb0EEEEE10hipError_tT1_PNSt15iterator_traitsISE_E10value_typeET2_T3_PNSF_ISK_E10value_typeET4_T5_PSP_SQ_PNS1_23onesweep_lookback_stateEbbT6_jjT7_P12ihipStream_tbENKUlT_T0_SE_SJ_E_clIS8_S8_S9_S9_EEDaSX_SY_SE_SJ_EUlSX_E_NS1_11comp_targetILNS1_3genE4ELNS1_11target_archE910ELNS1_3gpuE8ELNS1_3repE0EEENS1_47radix_sort_onesweep_sort_config_static_selectorELNS0_4arch9wavefront6targetE1EEEvSE_, .Lfunc_end1213-_ZN7rocprim17ROCPRIM_400000_NS6detail17trampoline_kernelINS0_14default_configENS1_35radix_sort_onesweep_config_selectorIyNS0_10empty_typeEEEZZNS1_29radix_sort_onesweep_iterationIS3_Lb0EPyS8_PS5_S9_mNS0_19identity_decomposerENS1_16block_id_wrapperIjLb0EEEEE10hipError_tT1_PNSt15iterator_traitsISE_E10value_typeET2_T3_PNSF_ISK_E10value_typeET4_T5_PSP_SQ_PNS1_23onesweep_lookback_stateEbbT6_jjT7_P12ihipStream_tbENKUlT_T0_SE_SJ_E_clIS8_S8_S9_S9_EEDaSX_SY_SE_SJ_EUlSX_E_NS1_11comp_targetILNS1_3genE4ELNS1_11target_archE910ELNS1_3gpuE8ELNS1_3repE0EEENS1_47radix_sort_onesweep_sort_config_static_selectorELNS0_4arch9wavefront6targetE1EEEvSE_
                                        ; -- End function
	.section	.AMDGPU.csdata,"",@progbits
; Kernel info:
; codeLenInByte = 10176
; NumSgprs: 34
; NumVgprs: 55
; NumAgprs: 0
; TotalNumVgprs: 55
; ScratchSize: 0
; MemoryBound: 0
; FloatMode: 240
; IeeeMode: 1
; LDSByteSize: 20552 bytes/workgroup (compile time only)
; SGPRBlocks: 4
; VGPRBlocks: 6
; NumSGPRsForWavesPerEU: 34
; NumVGPRsForWavesPerEU: 55
; AccumOffset: 56
; Occupancy: 8
; WaveLimiterHint : 1
; COMPUTE_PGM_RSRC2:SCRATCH_EN: 0
; COMPUTE_PGM_RSRC2:USER_SGPR: 6
; COMPUTE_PGM_RSRC2:TRAP_HANDLER: 0
; COMPUTE_PGM_RSRC2:TGID_X_EN: 1
; COMPUTE_PGM_RSRC2:TGID_Y_EN: 0
; COMPUTE_PGM_RSRC2:TGID_Z_EN: 0
; COMPUTE_PGM_RSRC2:TIDIG_COMP_CNT: 2
; COMPUTE_PGM_RSRC3_GFX90A:ACCUM_OFFSET: 13
; COMPUTE_PGM_RSRC3_GFX90A:TG_SPLIT: 0
	.section	.text._ZN7rocprim17ROCPRIM_400000_NS6detail17trampoline_kernelINS0_14default_configENS1_35radix_sort_onesweep_config_selectorIyNS0_10empty_typeEEEZZNS1_29radix_sort_onesweep_iterationIS3_Lb0EPyS8_PS5_S9_mNS0_19identity_decomposerENS1_16block_id_wrapperIjLb0EEEEE10hipError_tT1_PNSt15iterator_traitsISE_E10value_typeET2_T3_PNSF_ISK_E10value_typeET4_T5_PSP_SQ_PNS1_23onesweep_lookback_stateEbbT6_jjT7_P12ihipStream_tbENKUlT_T0_SE_SJ_E_clIS8_S8_S9_S9_EEDaSX_SY_SE_SJ_EUlSX_E_NS1_11comp_targetILNS1_3genE3ELNS1_11target_archE908ELNS1_3gpuE7ELNS1_3repE0EEENS1_47radix_sort_onesweep_sort_config_static_selectorELNS0_4arch9wavefront6targetE1EEEvSE_,"axG",@progbits,_ZN7rocprim17ROCPRIM_400000_NS6detail17trampoline_kernelINS0_14default_configENS1_35radix_sort_onesweep_config_selectorIyNS0_10empty_typeEEEZZNS1_29radix_sort_onesweep_iterationIS3_Lb0EPyS8_PS5_S9_mNS0_19identity_decomposerENS1_16block_id_wrapperIjLb0EEEEE10hipError_tT1_PNSt15iterator_traitsISE_E10value_typeET2_T3_PNSF_ISK_E10value_typeET4_T5_PSP_SQ_PNS1_23onesweep_lookback_stateEbbT6_jjT7_P12ihipStream_tbENKUlT_T0_SE_SJ_E_clIS8_S8_S9_S9_EEDaSX_SY_SE_SJ_EUlSX_E_NS1_11comp_targetILNS1_3genE3ELNS1_11target_archE908ELNS1_3gpuE7ELNS1_3repE0EEENS1_47radix_sort_onesweep_sort_config_static_selectorELNS0_4arch9wavefront6targetE1EEEvSE_,comdat
	.protected	_ZN7rocprim17ROCPRIM_400000_NS6detail17trampoline_kernelINS0_14default_configENS1_35radix_sort_onesweep_config_selectorIyNS0_10empty_typeEEEZZNS1_29radix_sort_onesweep_iterationIS3_Lb0EPyS8_PS5_S9_mNS0_19identity_decomposerENS1_16block_id_wrapperIjLb0EEEEE10hipError_tT1_PNSt15iterator_traitsISE_E10value_typeET2_T3_PNSF_ISK_E10value_typeET4_T5_PSP_SQ_PNS1_23onesweep_lookback_stateEbbT6_jjT7_P12ihipStream_tbENKUlT_T0_SE_SJ_E_clIS8_S8_S9_S9_EEDaSX_SY_SE_SJ_EUlSX_E_NS1_11comp_targetILNS1_3genE3ELNS1_11target_archE908ELNS1_3gpuE7ELNS1_3repE0EEENS1_47radix_sort_onesweep_sort_config_static_selectorELNS0_4arch9wavefront6targetE1EEEvSE_ ; -- Begin function _ZN7rocprim17ROCPRIM_400000_NS6detail17trampoline_kernelINS0_14default_configENS1_35radix_sort_onesweep_config_selectorIyNS0_10empty_typeEEEZZNS1_29radix_sort_onesweep_iterationIS3_Lb0EPyS8_PS5_S9_mNS0_19identity_decomposerENS1_16block_id_wrapperIjLb0EEEEE10hipError_tT1_PNSt15iterator_traitsISE_E10value_typeET2_T3_PNSF_ISK_E10value_typeET4_T5_PSP_SQ_PNS1_23onesweep_lookback_stateEbbT6_jjT7_P12ihipStream_tbENKUlT_T0_SE_SJ_E_clIS8_S8_S9_S9_EEDaSX_SY_SE_SJ_EUlSX_E_NS1_11comp_targetILNS1_3genE3ELNS1_11target_archE908ELNS1_3gpuE7ELNS1_3repE0EEENS1_47radix_sort_onesweep_sort_config_static_selectorELNS0_4arch9wavefront6targetE1EEEvSE_
	.globl	_ZN7rocprim17ROCPRIM_400000_NS6detail17trampoline_kernelINS0_14default_configENS1_35radix_sort_onesweep_config_selectorIyNS0_10empty_typeEEEZZNS1_29radix_sort_onesweep_iterationIS3_Lb0EPyS8_PS5_S9_mNS0_19identity_decomposerENS1_16block_id_wrapperIjLb0EEEEE10hipError_tT1_PNSt15iterator_traitsISE_E10value_typeET2_T3_PNSF_ISK_E10value_typeET4_T5_PSP_SQ_PNS1_23onesweep_lookback_stateEbbT6_jjT7_P12ihipStream_tbENKUlT_T0_SE_SJ_E_clIS8_S8_S9_S9_EEDaSX_SY_SE_SJ_EUlSX_E_NS1_11comp_targetILNS1_3genE3ELNS1_11target_archE908ELNS1_3gpuE7ELNS1_3repE0EEENS1_47radix_sort_onesweep_sort_config_static_selectorELNS0_4arch9wavefront6targetE1EEEvSE_
	.p2align	8
	.type	_ZN7rocprim17ROCPRIM_400000_NS6detail17trampoline_kernelINS0_14default_configENS1_35radix_sort_onesweep_config_selectorIyNS0_10empty_typeEEEZZNS1_29radix_sort_onesweep_iterationIS3_Lb0EPyS8_PS5_S9_mNS0_19identity_decomposerENS1_16block_id_wrapperIjLb0EEEEE10hipError_tT1_PNSt15iterator_traitsISE_E10value_typeET2_T3_PNSF_ISK_E10value_typeET4_T5_PSP_SQ_PNS1_23onesweep_lookback_stateEbbT6_jjT7_P12ihipStream_tbENKUlT_T0_SE_SJ_E_clIS8_S8_S9_S9_EEDaSX_SY_SE_SJ_EUlSX_E_NS1_11comp_targetILNS1_3genE3ELNS1_11target_archE908ELNS1_3gpuE7ELNS1_3repE0EEENS1_47radix_sort_onesweep_sort_config_static_selectorELNS0_4arch9wavefront6targetE1EEEvSE_,@function
_ZN7rocprim17ROCPRIM_400000_NS6detail17trampoline_kernelINS0_14default_configENS1_35radix_sort_onesweep_config_selectorIyNS0_10empty_typeEEEZZNS1_29radix_sort_onesweep_iterationIS3_Lb0EPyS8_PS5_S9_mNS0_19identity_decomposerENS1_16block_id_wrapperIjLb0EEEEE10hipError_tT1_PNSt15iterator_traitsISE_E10value_typeET2_T3_PNSF_ISK_E10value_typeET4_T5_PSP_SQ_PNS1_23onesweep_lookback_stateEbbT6_jjT7_P12ihipStream_tbENKUlT_T0_SE_SJ_E_clIS8_S8_S9_S9_EEDaSX_SY_SE_SJ_EUlSX_E_NS1_11comp_targetILNS1_3genE3ELNS1_11target_archE908ELNS1_3gpuE7ELNS1_3repE0EEENS1_47radix_sort_onesweep_sort_config_static_selectorELNS0_4arch9wavefront6targetE1EEEvSE_: ; @_ZN7rocprim17ROCPRIM_400000_NS6detail17trampoline_kernelINS0_14default_configENS1_35radix_sort_onesweep_config_selectorIyNS0_10empty_typeEEEZZNS1_29radix_sort_onesweep_iterationIS3_Lb0EPyS8_PS5_S9_mNS0_19identity_decomposerENS1_16block_id_wrapperIjLb0EEEEE10hipError_tT1_PNSt15iterator_traitsISE_E10value_typeET2_T3_PNSF_ISK_E10value_typeET4_T5_PSP_SQ_PNS1_23onesweep_lookback_stateEbbT6_jjT7_P12ihipStream_tbENKUlT_T0_SE_SJ_E_clIS8_S8_S9_S9_EEDaSX_SY_SE_SJ_EUlSX_E_NS1_11comp_targetILNS1_3genE3ELNS1_11target_archE908ELNS1_3gpuE7ELNS1_3repE0EEENS1_47radix_sort_onesweep_sort_config_static_selectorELNS0_4arch9wavefront6targetE1EEEvSE_
; %bb.0:
	.section	.rodata,"a",@progbits
	.p2align	6, 0x0
	.amdhsa_kernel _ZN7rocprim17ROCPRIM_400000_NS6detail17trampoline_kernelINS0_14default_configENS1_35radix_sort_onesweep_config_selectorIyNS0_10empty_typeEEEZZNS1_29radix_sort_onesweep_iterationIS3_Lb0EPyS8_PS5_S9_mNS0_19identity_decomposerENS1_16block_id_wrapperIjLb0EEEEE10hipError_tT1_PNSt15iterator_traitsISE_E10value_typeET2_T3_PNSF_ISK_E10value_typeET4_T5_PSP_SQ_PNS1_23onesweep_lookback_stateEbbT6_jjT7_P12ihipStream_tbENKUlT_T0_SE_SJ_E_clIS8_S8_S9_S9_EEDaSX_SY_SE_SJ_EUlSX_E_NS1_11comp_targetILNS1_3genE3ELNS1_11target_archE908ELNS1_3gpuE7ELNS1_3repE0EEENS1_47radix_sort_onesweep_sort_config_static_selectorELNS0_4arch9wavefront6targetE1EEEvSE_
		.amdhsa_group_segment_fixed_size 0
		.amdhsa_private_segment_fixed_size 0
		.amdhsa_kernarg_size 88
		.amdhsa_user_sgpr_count 6
		.amdhsa_user_sgpr_private_segment_buffer 1
		.amdhsa_user_sgpr_dispatch_ptr 0
		.amdhsa_user_sgpr_queue_ptr 0
		.amdhsa_user_sgpr_kernarg_segment_ptr 1
		.amdhsa_user_sgpr_dispatch_id 0
		.amdhsa_user_sgpr_flat_scratch_init 0
		.amdhsa_user_sgpr_kernarg_preload_length 0
		.amdhsa_user_sgpr_kernarg_preload_offset 0
		.amdhsa_user_sgpr_private_segment_size 0
		.amdhsa_uses_dynamic_stack 0
		.amdhsa_system_sgpr_private_segment_wavefront_offset 0
		.amdhsa_system_sgpr_workgroup_id_x 1
		.amdhsa_system_sgpr_workgroup_id_y 0
		.amdhsa_system_sgpr_workgroup_id_z 0
		.amdhsa_system_sgpr_workgroup_info 0
		.amdhsa_system_vgpr_workitem_id 0
		.amdhsa_next_free_vgpr 1
		.amdhsa_next_free_sgpr 0
		.amdhsa_accum_offset 4
		.amdhsa_reserve_vcc 0
		.amdhsa_reserve_flat_scratch 0
		.amdhsa_float_round_mode_32 0
		.amdhsa_float_round_mode_16_64 0
		.amdhsa_float_denorm_mode_32 3
		.amdhsa_float_denorm_mode_16_64 3
		.amdhsa_dx10_clamp 1
		.amdhsa_ieee_mode 1
		.amdhsa_fp16_overflow 0
		.amdhsa_tg_split 0
		.amdhsa_exception_fp_ieee_invalid_op 0
		.amdhsa_exception_fp_denorm_src 0
		.amdhsa_exception_fp_ieee_div_zero 0
		.amdhsa_exception_fp_ieee_overflow 0
		.amdhsa_exception_fp_ieee_underflow 0
		.amdhsa_exception_fp_ieee_inexact 0
		.amdhsa_exception_int_div_zero 0
	.end_amdhsa_kernel
	.section	.text._ZN7rocprim17ROCPRIM_400000_NS6detail17trampoline_kernelINS0_14default_configENS1_35radix_sort_onesweep_config_selectorIyNS0_10empty_typeEEEZZNS1_29radix_sort_onesweep_iterationIS3_Lb0EPyS8_PS5_S9_mNS0_19identity_decomposerENS1_16block_id_wrapperIjLb0EEEEE10hipError_tT1_PNSt15iterator_traitsISE_E10value_typeET2_T3_PNSF_ISK_E10value_typeET4_T5_PSP_SQ_PNS1_23onesweep_lookback_stateEbbT6_jjT7_P12ihipStream_tbENKUlT_T0_SE_SJ_E_clIS8_S8_S9_S9_EEDaSX_SY_SE_SJ_EUlSX_E_NS1_11comp_targetILNS1_3genE3ELNS1_11target_archE908ELNS1_3gpuE7ELNS1_3repE0EEENS1_47radix_sort_onesweep_sort_config_static_selectorELNS0_4arch9wavefront6targetE1EEEvSE_,"axG",@progbits,_ZN7rocprim17ROCPRIM_400000_NS6detail17trampoline_kernelINS0_14default_configENS1_35radix_sort_onesweep_config_selectorIyNS0_10empty_typeEEEZZNS1_29radix_sort_onesweep_iterationIS3_Lb0EPyS8_PS5_S9_mNS0_19identity_decomposerENS1_16block_id_wrapperIjLb0EEEEE10hipError_tT1_PNSt15iterator_traitsISE_E10value_typeET2_T3_PNSF_ISK_E10value_typeET4_T5_PSP_SQ_PNS1_23onesweep_lookback_stateEbbT6_jjT7_P12ihipStream_tbENKUlT_T0_SE_SJ_E_clIS8_S8_S9_S9_EEDaSX_SY_SE_SJ_EUlSX_E_NS1_11comp_targetILNS1_3genE3ELNS1_11target_archE908ELNS1_3gpuE7ELNS1_3repE0EEENS1_47radix_sort_onesweep_sort_config_static_selectorELNS0_4arch9wavefront6targetE1EEEvSE_,comdat
.Lfunc_end1214:
	.size	_ZN7rocprim17ROCPRIM_400000_NS6detail17trampoline_kernelINS0_14default_configENS1_35radix_sort_onesweep_config_selectorIyNS0_10empty_typeEEEZZNS1_29radix_sort_onesweep_iterationIS3_Lb0EPyS8_PS5_S9_mNS0_19identity_decomposerENS1_16block_id_wrapperIjLb0EEEEE10hipError_tT1_PNSt15iterator_traitsISE_E10value_typeET2_T3_PNSF_ISK_E10value_typeET4_T5_PSP_SQ_PNS1_23onesweep_lookback_stateEbbT6_jjT7_P12ihipStream_tbENKUlT_T0_SE_SJ_E_clIS8_S8_S9_S9_EEDaSX_SY_SE_SJ_EUlSX_E_NS1_11comp_targetILNS1_3genE3ELNS1_11target_archE908ELNS1_3gpuE7ELNS1_3repE0EEENS1_47radix_sort_onesweep_sort_config_static_selectorELNS0_4arch9wavefront6targetE1EEEvSE_, .Lfunc_end1214-_ZN7rocprim17ROCPRIM_400000_NS6detail17trampoline_kernelINS0_14default_configENS1_35radix_sort_onesweep_config_selectorIyNS0_10empty_typeEEEZZNS1_29radix_sort_onesweep_iterationIS3_Lb0EPyS8_PS5_S9_mNS0_19identity_decomposerENS1_16block_id_wrapperIjLb0EEEEE10hipError_tT1_PNSt15iterator_traitsISE_E10value_typeET2_T3_PNSF_ISK_E10value_typeET4_T5_PSP_SQ_PNS1_23onesweep_lookback_stateEbbT6_jjT7_P12ihipStream_tbENKUlT_T0_SE_SJ_E_clIS8_S8_S9_S9_EEDaSX_SY_SE_SJ_EUlSX_E_NS1_11comp_targetILNS1_3genE3ELNS1_11target_archE908ELNS1_3gpuE7ELNS1_3repE0EEENS1_47radix_sort_onesweep_sort_config_static_selectorELNS0_4arch9wavefront6targetE1EEEvSE_
                                        ; -- End function
	.section	.AMDGPU.csdata,"",@progbits
; Kernel info:
; codeLenInByte = 0
; NumSgprs: 4
; NumVgprs: 0
; NumAgprs: 0
; TotalNumVgprs: 0
; ScratchSize: 0
; MemoryBound: 0
; FloatMode: 240
; IeeeMode: 1
; LDSByteSize: 0 bytes/workgroup (compile time only)
; SGPRBlocks: 0
; VGPRBlocks: 0
; NumSGPRsForWavesPerEU: 4
; NumVGPRsForWavesPerEU: 1
; AccumOffset: 4
; Occupancy: 8
; WaveLimiterHint : 0
; COMPUTE_PGM_RSRC2:SCRATCH_EN: 0
; COMPUTE_PGM_RSRC2:USER_SGPR: 6
; COMPUTE_PGM_RSRC2:TRAP_HANDLER: 0
; COMPUTE_PGM_RSRC2:TGID_X_EN: 1
; COMPUTE_PGM_RSRC2:TGID_Y_EN: 0
; COMPUTE_PGM_RSRC2:TGID_Z_EN: 0
; COMPUTE_PGM_RSRC2:TIDIG_COMP_CNT: 0
; COMPUTE_PGM_RSRC3_GFX90A:ACCUM_OFFSET: 0
; COMPUTE_PGM_RSRC3_GFX90A:TG_SPLIT: 0
	.section	.text._ZN7rocprim17ROCPRIM_400000_NS6detail17trampoline_kernelINS0_14default_configENS1_35radix_sort_onesweep_config_selectorIyNS0_10empty_typeEEEZZNS1_29radix_sort_onesweep_iterationIS3_Lb0EPyS8_PS5_S9_mNS0_19identity_decomposerENS1_16block_id_wrapperIjLb0EEEEE10hipError_tT1_PNSt15iterator_traitsISE_E10value_typeET2_T3_PNSF_ISK_E10value_typeET4_T5_PSP_SQ_PNS1_23onesweep_lookback_stateEbbT6_jjT7_P12ihipStream_tbENKUlT_T0_SE_SJ_E_clIS8_S8_S9_S9_EEDaSX_SY_SE_SJ_EUlSX_E_NS1_11comp_targetILNS1_3genE10ELNS1_11target_archE1201ELNS1_3gpuE5ELNS1_3repE0EEENS1_47radix_sort_onesweep_sort_config_static_selectorELNS0_4arch9wavefront6targetE1EEEvSE_,"axG",@progbits,_ZN7rocprim17ROCPRIM_400000_NS6detail17trampoline_kernelINS0_14default_configENS1_35radix_sort_onesweep_config_selectorIyNS0_10empty_typeEEEZZNS1_29radix_sort_onesweep_iterationIS3_Lb0EPyS8_PS5_S9_mNS0_19identity_decomposerENS1_16block_id_wrapperIjLb0EEEEE10hipError_tT1_PNSt15iterator_traitsISE_E10value_typeET2_T3_PNSF_ISK_E10value_typeET4_T5_PSP_SQ_PNS1_23onesweep_lookback_stateEbbT6_jjT7_P12ihipStream_tbENKUlT_T0_SE_SJ_E_clIS8_S8_S9_S9_EEDaSX_SY_SE_SJ_EUlSX_E_NS1_11comp_targetILNS1_3genE10ELNS1_11target_archE1201ELNS1_3gpuE5ELNS1_3repE0EEENS1_47radix_sort_onesweep_sort_config_static_selectorELNS0_4arch9wavefront6targetE1EEEvSE_,comdat
	.protected	_ZN7rocprim17ROCPRIM_400000_NS6detail17trampoline_kernelINS0_14default_configENS1_35radix_sort_onesweep_config_selectorIyNS0_10empty_typeEEEZZNS1_29radix_sort_onesweep_iterationIS3_Lb0EPyS8_PS5_S9_mNS0_19identity_decomposerENS1_16block_id_wrapperIjLb0EEEEE10hipError_tT1_PNSt15iterator_traitsISE_E10value_typeET2_T3_PNSF_ISK_E10value_typeET4_T5_PSP_SQ_PNS1_23onesweep_lookback_stateEbbT6_jjT7_P12ihipStream_tbENKUlT_T0_SE_SJ_E_clIS8_S8_S9_S9_EEDaSX_SY_SE_SJ_EUlSX_E_NS1_11comp_targetILNS1_3genE10ELNS1_11target_archE1201ELNS1_3gpuE5ELNS1_3repE0EEENS1_47radix_sort_onesweep_sort_config_static_selectorELNS0_4arch9wavefront6targetE1EEEvSE_ ; -- Begin function _ZN7rocprim17ROCPRIM_400000_NS6detail17trampoline_kernelINS0_14default_configENS1_35radix_sort_onesweep_config_selectorIyNS0_10empty_typeEEEZZNS1_29radix_sort_onesweep_iterationIS3_Lb0EPyS8_PS5_S9_mNS0_19identity_decomposerENS1_16block_id_wrapperIjLb0EEEEE10hipError_tT1_PNSt15iterator_traitsISE_E10value_typeET2_T3_PNSF_ISK_E10value_typeET4_T5_PSP_SQ_PNS1_23onesweep_lookback_stateEbbT6_jjT7_P12ihipStream_tbENKUlT_T0_SE_SJ_E_clIS8_S8_S9_S9_EEDaSX_SY_SE_SJ_EUlSX_E_NS1_11comp_targetILNS1_3genE10ELNS1_11target_archE1201ELNS1_3gpuE5ELNS1_3repE0EEENS1_47radix_sort_onesweep_sort_config_static_selectorELNS0_4arch9wavefront6targetE1EEEvSE_
	.globl	_ZN7rocprim17ROCPRIM_400000_NS6detail17trampoline_kernelINS0_14default_configENS1_35radix_sort_onesweep_config_selectorIyNS0_10empty_typeEEEZZNS1_29radix_sort_onesweep_iterationIS3_Lb0EPyS8_PS5_S9_mNS0_19identity_decomposerENS1_16block_id_wrapperIjLb0EEEEE10hipError_tT1_PNSt15iterator_traitsISE_E10value_typeET2_T3_PNSF_ISK_E10value_typeET4_T5_PSP_SQ_PNS1_23onesweep_lookback_stateEbbT6_jjT7_P12ihipStream_tbENKUlT_T0_SE_SJ_E_clIS8_S8_S9_S9_EEDaSX_SY_SE_SJ_EUlSX_E_NS1_11comp_targetILNS1_3genE10ELNS1_11target_archE1201ELNS1_3gpuE5ELNS1_3repE0EEENS1_47radix_sort_onesweep_sort_config_static_selectorELNS0_4arch9wavefront6targetE1EEEvSE_
	.p2align	8
	.type	_ZN7rocprim17ROCPRIM_400000_NS6detail17trampoline_kernelINS0_14default_configENS1_35radix_sort_onesweep_config_selectorIyNS0_10empty_typeEEEZZNS1_29radix_sort_onesweep_iterationIS3_Lb0EPyS8_PS5_S9_mNS0_19identity_decomposerENS1_16block_id_wrapperIjLb0EEEEE10hipError_tT1_PNSt15iterator_traitsISE_E10value_typeET2_T3_PNSF_ISK_E10value_typeET4_T5_PSP_SQ_PNS1_23onesweep_lookback_stateEbbT6_jjT7_P12ihipStream_tbENKUlT_T0_SE_SJ_E_clIS8_S8_S9_S9_EEDaSX_SY_SE_SJ_EUlSX_E_NS1_11comp_targetILNS1_3genE10ELNS1_11target_archE1201ELNS1_3gpuE5ELNS1_3repE0EEENS1_47radix_sort_onesweep_sort_config_static_selectorELNS0_4arch9wavefront6targetE1EEEvSE_,@function
_ZN7rocprim17ROCPRIM_400000_NS6detail17trampoline_kernelINS0_14default_configENS1_35radix_sort_onesweep_config_selectorIyNS0_10empty_typeEEEZZNS1_29radix_sort_onesweep_iterationIS3_Lb0EPyS8_PS5_S9_mNS0_19identity_decomposerENS1_16block_id_wrapperIjLb0EEEEE10hipError_tT1_PNSt15iterator_traitsISE_E10value_typeET2_T3_PNSF_ISK_E10value_typeET4_T5_PSP_SQ_PNS1_23onesweep_lookback_stateEbbT6_jjT7_P12ihipStream_tbENKUlT_T0_SE_SJ_E_clIS8_S8_S9_S9_EEDaSX_SY_SE_SJ_EUlSX_E_NS1_11comp_targetILNS1_3genE10ELNS1_11target_archE1201ELNS1_3gpuE5ELNS1_3repE0EEENS1_47radix_sort_onesweep_sort_config_static_selectorELNS0_4arch9wavefront6targetE1EEEvSE_: ; @_ZN7rocprim17ROCPRIM_400000_NS6detail17trampoline_kernelINS0_14default_configENS1_35radix_sort_onesweep_config_selectorIyNS0_10empty_typeEEEZZNS1_29radix_sort_onesweep_iterationIS3_Lb0EPyS8_PS5_S9_mNS0_19identity_decomposerENS1_16block_id_wrapperIjLb0EEEEE10hipError_tT1_PNSt15iterator_traitsISE_E10value_typeET2_T3_PNSF_ISK_E10value_typeET4_T5_PSP_SQ_PNS1_23onesweep_lookback_stateEbbT6_jjT7_P12ihipStream_tbENKUlT_T0_SE_SJ_E_clIS8_S8_S9_S9_EEDaSX_SY_SE_SJ_EUlSX_E_NS1_11comp_targetILNS1_3genE10ELNS1_11target_archE1201ELNS1_3gpuE5ELNS1_3repE0EEENS1_47radix_sort_onesweep_sort_config_static_selectorELNS0_4arch9wavefront6targetE1EEEvSE_
; %bb.0:
	.section	.rodata,"a",@progbits
	.p2align	6, 0x0
	.amdhsa_kernel _ZN7rocprim17ROCPRIM_400000_NS6detail17trampoline_kernelINS0_14default_configENS1_35radix_sort_onesweep_config_selectorIyNS0_10empty_typeEEEZZNS1_29radix_sort_onesweep_iterationIS3_Lb0EPyS8_PS5_S9_mNS0_19identity_decomposerENS1_16block_id_wrapperIjLb0EEEEE10hipError_tT1_PNSt15iterator_traitsISE_E10value_typeET2_T3_PNSF_ISK_E10value_typeET4_T5_PSP_SQ_PNS1_23onesweep_lookback_stateEbbT6_jjT7_P12ihipStream_tbENKUlT_T0_SE_SJ_E_clIS8_S8_S9_S9_EEDaSX_SY_SE_SJ_EUlSX_E_NS1_11comp_targetILNS1_3genE10ELNS1_11target_archE1201ELNS1_3gpuE5ELNS1_3repE0EEENS1_47radix_sort_onesweep_sort_config_static_selectorELNS0_4arch9wavefront6targetE1EEEvSE_
		.amdhsa_group_segment_fixed_size 0
		.amdhsa_private_segment_fixed_size 0
		.amdhsa_kernarg_size 88
		.amdhsa_user_sgpr_count 6
		.amdhsa_user_sgpr_private_segment_buffer 1
		.amdhsa_user_sgpr_dispatch_ptr 0
		.amdhsa_user_sgpr_queue_ptr 0
		.amdhsa_user_sgpr_kernarg_segment_ptr 1
		.amdhsa_user_sgpr_dispatch_id 0
		.amdhsa_user_sgpr_flat_scratch_init 0
		.amdhsa_user_sgpr_kernarg_preload_length 0
		.amdhsa_user_sgpr_kernarg_preload_offset 0
		.amdhsa_user_sgpr_private_segment_size 0
		.amdhsa_uses_dynamic_stack 0
		.amdhsa_system_sgpr_private_segment_wavefront_offset 0
		.amdhsa_system_sgpr_workgroup_id_x 1
		.amdhsa_system_sgpr_workgroup_id_y 0
		.amdhsa_system_sgpr_workgroup_id_z 0
		.amdhsa_system_sgpr_workgroup_info 0
		.amdhsa_system_vgpr_workitem_id 0
		.amdhsa_next_free_vgpr 1
		.amdhsa_next_free_sgpr 0
		.amdhsa_accum_offset 4
		.amdhsa_reserve_vcc 0
		.amdhsa_reserve_flat_scratch 0
		.amdhsa_float_round_mode_32 0
		.amdhsa_float_round_mode_16_64 0
		.amdhsa_float_denorm_mode_32 3
		.amdhsa_float_denorm_mode_16_64 3
		.amdhsa_dx10_clamp 1
		.amdhsa_ieee_mode 1
		.amdhsa_fp16_overflow 0
		.amdhsa_tg_split 0
		.amdhsa_exception_fp_ieee_invalid_op 0
		.amdhsa_exception_fp_denorm_src 0
		.amdhsa_exception_fp_ieee_div_zero 0
		.amdhsa_exception_fp_ieee_overflow 0
		.amdhsa_exception_fp_ieee_underflow 0
		.amdhsa_exception_fp_ieee_inexact 0
		.amdhsa_exception_int_div_zero 0
	.end_amdhsa_kernel
	.section	.text._ZN7rocprim17ROCPRIM_400000_NS6detail17trampoline_kernelINS0_14default_configENS1_35radix_sort_onesweep_config_selectorIyNS0_10empty_typeEEEZZNS1_29radix_sort_onesweep_iterationIS3_Lb0EPyS8_PS5_S9_mNS0_19identity_decomposerENS1_16block_id_wrapperIjLb0EEEEE10hipError_tT1_PNSt15iterator_traitsISE_E10value_typeET2_T3_PNSF_ISK_E10value_typeET4_T5_PSP_SQ_PNS1_23onesweep_lookback_stateEbbT6_jjT7_P12ihipStream_tbENKUlT_T0_SE_SJ_E_clIS8_S8_S9_S9_EEDaSX_SY_SE_SJ_EUlSX_E_NS1_11comp_targetILNS1_3genE10ELNS1_11target_archE1201ELNS1_3gpuE5ELNS1_3repE0EEENS1_47radix_sort_onesweep_sort_config_static_selectorELNS0_4arch9wavefront6targetE1EEEvSE_,"axG",@progbits,_ZN7rocprim17ROCPRIM_400000_NS6detail17trampoline_kernelINS0_14default_configENS1_35radix_sort_onesweep_config_selectorIyNS0_10empty_typeEEEZZNS1_29radix_sort_onesweep_iterationIS3_Lb0EPyS8_PS5_S9_mNS0_19identity_decomposerENS1_16block_id_wrapperIjLb0EEEEE10hipError_tT1_PNSt15iterator_traitsISE_E10value_typeET2_T3_PNSF_ISK_E10value_typeET4_T5_PSP_SQ_PNS1_23onesweep_lookback_stateEbbT6_jjT7_P12ihipStream_tbENKUlT_T0_SE_SJ_E_clIS8_S8_S9_S9_EEDaSX_SY_SE_SJ_EUlSX_E_NS1_11comp_targetILNS1_3genE10ELNS1_11target_archE1201ELNS1_3gpuE5ELNS1_3repE0EEENS1_47radix_sort_onesweep_sort_config_static_selectorELNS0_4arch9wavefront6targetE1EEEvSE_,comdat
.Lfunc_end1215:
	.size	_ZN7rocprim17ROCPRIM_400000_NS6detail17trampoline_kernelINS0_14default_configENS1_35radix_sort_onesweep_config_selectorIyNS0_10empty_typeEEEZZNS1_29radix_sort_onesweep_iterationIS3_Lb0EPyS8_PS5_S9_mNS0_19identity_decomposerENS1_16block_id_wrapperIjLb0EEEEE10hipError_tT1_PNSt15iterator_traitsISE_E10value_typeET2_T3_PNSF_ISK_E10value_typeET4_T5_PSP_SQ_PNS1_23onesweep_lookback_stateEbbT6_jjT7_P12ihipStream_tbENKUlT_T0_SE_SJ_E_clIS8_S8_S9_S9_EEDaSX_SY_SE_SJ_EUlSX_E_NS1_11comp_targetILNS1_3genE10ELNS1_11target_archE1201ELNS1_3gpuE5ELNS1_3repE0EEENS1_47radix_sort_onesweep_sort_config_static_selectorELNS0_4arch9wavefront6targetE1EEEvSE_, .Lfunc_end1215-_ZN7rocprim17ROCPRIM_400000_NS6detail17trampoline_kernelINS0_14default_configENS1_35radix_sort_onesweep_config_selectorIyNS0_10empty_typeEEEZZNS1_29radix_sort_onesweep_iterationIS3_Lb0EPyS8_PS5_S9_mNS0_19identity_decomposerENS1_16block_id_wrapperIjLb0EEEEE10hipError_tT1_PNSt15iterator_traitsISE_E10value_typeET2_T3_PNSF_ISK_E10value_typeET4_T5_PSP_SQ_PNS1_23onesweep_lookback_stateEbbT6_jjT7_P12ihipStream_tbENKUlT_T0_SE_SJ_E_clIS8_S8_S9_S9_EEDaSX_SY_SE_SJ_EUlSX_E_NS1_11comp_targetILNS1_3genE10ELNS1_11target_archE1201ELNS1_3gpuE5ELNS1_3repE0EEENS1_47radix_sort_onesweep_sort_config_static_selectorELNS0_4arch9wavefront6targetE1EEEvSE_
                                        ; -- End function
	.section	.AMDGPU.csdata,"",@progbits
; Kernel info:
; codeLenInByte = 0
; NumSgprs: 4
; NumVgprs: 0
; NumAgprs: 0
; TotalNumVgprs: 0
; ScratchSize: 0
; MemoryBound: 0
; FloatMode: 240
; IeeeMode: 1
; LDSByteSize: 0 bytes/workgroup (compile time only)
; SGPRBlocks: 0
; VGPRBlocks: 0
; NumSGPRsForWavesPerEU: 4
; NumVGPRsForWavesPerEU: 1
; AccumOffset: 4
; Occupancy: 8
; WaveLimiterHint : 0
; COMPUTE_PGM_RSRC2:SCRATCH_EN: 0
; COMPUTE_PGM_RSRC2:USER_SGPR: 6
; COMPUTE_PGM_RSRC2:TRAP_HANDLER: 0
; COMPUTE_PGM_RSRC2:TGID_X_EN: 1
; COMPUTE_PGM_RSRC2:TGID_Y_EN: 0
; COMPUTE_PGM_RSRC2:TGID_Z_EN: 0
; COMPUTE_PGM_RSRC2:TIDIG_COMP_CNT: 0
; COMPUTE_PGM_RSRC3_GFX90A:ACCUM_OFFSET: 0
; COMPUTE_PGM_RSRC3_GFX90A:TG_SPLIT: 0
	.section	.text._ZN7rocprim17ROCPRIM_400000_NS6detail17trampoline_kernelINS0_14default_configENS1_35radix_sort_onesweep_config_selectorIyNS0_10empty_typeEEEZZNS1_29radix_sort_onesweep_iterationIS3_Lb0EPyS8_PS5_S9_mNS0_19identity_decomposerENS1_16block_id_wrapperIjLb0EEEEE10hipError_tT1_PNSt15iterator_traitsISE_E10value_typeET2_T3_PNSF_ISK_E10value_typeET4_T5_PSP_SQ_PNS1_23onesweep_lookback_stateEbbT6_jjT7_P12ihipStream_tbENKUlT_T0_SE_SJ_E_clIS8_S8_S9_S9_EEDaSX_SY_SE_SJ_EUlSX_E_NS1_11comp_targetILNS1_3genE9ELNS1_11target_archE1100ELNS1_3gpuE3ELNS1_3repE0EEENS1_47radix_sort_onesweep_sort_config_static_selectorELNS0_4arch9wavefront6targetE1EEEvSE_,"axG",@progbits,_ZN7rocprim17ROCPRIM_400000_NS6detail17trampoline_kernelINS0_14default_configENS1_35radix_sort_onesweep_config_selectorIyNS0_10empty_typeEEEZZNS1_29radix_sort_onesweep_iterationIS3_Lb0EPyS8_PS5_S9_mNS0_19identity_decomposerENS1_16block_id_wrapperIjLb0EEEEE10hipError_tT1_PNSt15iterator_traitsISE_E10value_typeET2_T3_PNSF_ISK_E10value_typeET4_T5_PSP_SQ_PNS1_23onesweep_lookback_stateEbbT6_jjT7_P12ihipStream_tbENKUlT_T0_SE_SJ_E_clIS8_S8_S9_S9_EEDaSX_SY_SE_SJ_EUlSX_E_NS1_11comp_targetILNS1_3genE9ELNS1_11target_archE1100ELNS1_3gpuE3ELNS1_3repE0EEENS1_47radix_sort_onesweep_sort_config_static_selectorELNS0_4arch9wavefront6targetE1EEEvSE_,comdat
	.protected	_ZN7rocprim17ROCPRIM_400000_NS6detail17trampoline_kernelINS0_14default_configENS1_35radix_sort_onesweep_config_selectorIyNS0_10empty_typeEEEZZNS1_29radix_sort_onesweep_iterationIS3_Lb0EPyS8_PS5_S9_mNS0_19identity_decomposerENS1_16block_id_wrapperIjLb0EEEEE10hipError_tT1_PNSt15iterator_traitsISE_E10value_typeET2_T3_PNSF_ISK_E10value_typeET4_T5_PSP_SQ_PNS1_23onesweep_lookback_stateEbbT6_jjT7_P12ihipStream_tbENKUlT_T0_SE_SJ_E_clIS8_S8_S9_S9_EEDaSX_SY_SE_SJ_EUlSX_E_NS1_11comp_targetILNS1_3genE9ELNS1_11target_archE1100ELNS1_3gpuE3ELNS1_3repE0EEENS1_47radix_sort_onesweep_sort_config_static_selectorELNS0_4arch9wavefront6targetE1EEEvSE_ ; -- Begin function _ZN7rocprim17ROCPRIM_400000_NS6detail17trampoline_kernelINS0_14default_configENS1_35radix_sort_onesweep_config_selectorIyNS0_10empty_typeEEEZZNS1_29radix_sort_onesweep_iterationIS3_Lb0EPyS8_PS5_S9_mNS0_19identity_decomposerENS1_16block_id_wrapperIjLb0EEEEE10hipError_tT1_PNSt15iterator_traitsISE_E10value_typeET2_T3_PNSF_ISK_E10value_typeET4_T5_PSP_SQ_PNS1_23onesweep_lookback_stateEbbT6_jjT7_P12ihipStream_tbENKUlT_T0_SE_SJ_E_clIS8_S8_S9_S9_EEDaSX_SY_SE_SJ_EUlSX_E_NS1_11comp_targetILNS1_3genE9ELNS1_11target_archE1100ELNS1_3gpuE3ELNS1_3repE0EEENS1_47radix_sort_onesweep_sort_config_static_selectorELNS0_4arch9wavefront6targetE1EEEvSE_
	.globl	_ZN7rocprim17ROCPRIM_400000_NS6detail17trampoline_kernelINS0_14default_configENS1_35radix_sort_onesweep_config_selectorIyNS0_10empty_typeEEEZZNS1_29radix_sort_onesweep_iterationIS3_Lb0EPyS8_PS5_S9_mNS0_19identity_decomposerENS1_16block_id_wrapperIjLb0EEEEE10hipError_tT1_PNSt15iterator_traitsISE_E10value_typeET2_T3_PNSF_ISK_E10value_typeET4_T5_PSP_SQ_PNS1_23onesweep_lookback_stateEbbT6_jjT7_P12ihipStream_tbENKUlT_T0_SE_SJ_E_clIS8_S8_S9_S9_EEDaSX_SY_SE_SJ_EUlSX_E_NS1_11comp_targetILNS1_3genE9ELNS1_11target_archE1100ELNS1_3gpuE3ELNS1_3repE0EEENS1_47radix_sort_onesweep_sort_config_static_selectorELNS0_4arch9wavefront6targetE1EEEvSE_
	.p2align	8
	.type	_ZN7rocprim17ROCPRIM_400000_NS6detail17trampoline_kernelINS0_14default_configENS1_35radix_sort_onesweep_config_selectorIyNS0_10empty_typeEEEZZNS1_29radix_sort_onesweep_iterationIS3_Lb0EPyS8_PS5_S9_mNS0_19identity_decomposerENS1_16block_id_wrapperIjLb0EEEEE10hipError_tT1_PNSt15iterator_traitsISE_E10value_typeET2_T3_PNSF_ISK_E10value_typeET4_T5_PSP_SQ_PNS1_23onesweep_lookback_stateEbbT6_jjT7_P12ihipStream_tbENKUlT_T0_SE_SJ_E_clIS8_S8_S9_S9_EEDaSX_SY_SE_SJ_EUlSX_E_NS1_11comp_targetILNS1_3genE9ELNS1_11target_archE1100ELNS1_3gpuE3ELNS1_3repE0EEENS1_47radix_sort_onesweep_sort_config_static_selectorELNS0_4arch9wavefront6targetE1EEEvSE_,@function
_ZN7rocprim17ROCPRIM_400000_NS6detail17trampoline_kernelINS0_14default_configENS1_35radix_sort_onesweep_config_selectorIyNS0_10empty_typeEEEZZNS1_29radix_sort_onesweep_iterationIS3_Lb0EPyS8_PS5_S9_mNS0_19identity_decomposerENS1_16block_id_wrapperIjLb0EEEEE10hipError_tT1_PNSt15iterator_traitsISE_E10value_typeET2_T3_PNSF_ISK_E10value_typeET4_T5_PSP_SQ_PNS1_23onesweep_lookback_stateEbbT6_jjT7_P12ihipStream_tbENKUlT_T0_SE_SJ_E_clIS8_S8_S9_S9_EEDaSX_SY_SE_SJ_EUlSX_E_NS1_11comp_targetILNS1_3genE9ELNS1_11target_archE1100ELNS1_3gpuE3ELNS1_3repE0EEENS1_47radix_sort_onesweep_sort_config_static_selectorELNS0_4arch9wavefront6targetE1EEEvSE_: ; @_ZN7rocprim17ROCPRIM_400000_NS6detail17trampoline_kernelINS0_14default_configENS1_35radix_sort_onesweep_config_selectorIyNS0_10empty_typeEEEZZNS1_29radix_sort_onesweep_iterationIS3_Lb0EPyS8_PS5_S9_mNS0_19identity_decomposerENS1_16block_id_wrapperIjLb0EEEEE10hipError_tT1_PNSt15iterator_traitsISE_E10value_typeET2_T3_PNSF_ISK_E10value_typeET4_T5_PSP_SQ_PNS1_23onesweep_lookback_stateEbbT6_jjT7_P12ihipStream_tbENKUlT_T0_SE_SJ_E_clIS8_S8_S9_S9_EEDaSX_SY_SE_SJ_EUlSX_E_NS1_11comp_targetILNS1_3genE9ELNS1_11target_archE1100ELNS1_3gpuE3ELNS1_3repE0EEENS1_47radix_sort_onesweep_sort_config_static_selectorELNS0_4arch9wavefront6targetE1EEEvSE_
; %bb.0:
	.section	.rodata,"a",@progbits
	.p2align	6, 0x0
	.amdhsa_kernel _ZN7rocprim17ROCPRIM_400000_NS6detail17trampoline_kernelINS0_14default_configENS1_35radix_sort_onesweep_config_selectorIyNS0_10empty_typeEEEZZNS1_29radix_sort_onesweep_iterationIS3_Lb0EPyS8_PS5_S9_mNS0_19identity_decomposerENS1_16block_id_wrapperIjLb0EEEEE10hipError_tT1_PNSt15iterator_traitsISE_E10value_typeET2_T3_PNSF_ISK_E10value_typeET4_T5_PSP_SQ_PNS1_23onesweep_lookback_stateEbbT6_jjT7_P12ihipStream_tbENKUlT_T0_SE_SJ_E_clIS8_S8_S9_S9_EEDaSX_SY_SE_SJ_EUlSX_E_NS1_11comp_targetILNS1_3genE9ELNS1_11target_archE1100ELNS1_3gpuE3ELNS1_3repE0EEENS1_47radix_sort_onesweep_sort_config_static_selectorELNS0_4arch9wavefront6targetE1EEEvSE_
		.amdhsa_group_segment_fixed_size 0
		.amdhsa_private_segment_fixed_size 0
		.amdhsa_kernarg_size 88
		.amdhsa_user_sgpr_count 6
		.amdhsa_user_sgpr_private_segment_buffer 1
		.amdhsa_user_sgpr_dispatch_ptr 0
		.amdhsa_user_sgpr_queue_ptr 0
		.amdhsa_user_sgpr_kernarg_segment_ptr 1
		.amdhsa_user_sgpr_dispatch_id 0
		.amdhsa_user_sgpr_flat_scratch_init 0
		.amdhsa_user_sgpr_kernarg_preload_length 0
		.amdhsa_user_sgpr_kernarg_preload_offset 0
		.amdhsa_user_sgpr_private_segment_size 0
		.amdhsa_uses_dynamic_stack 0
		.amdhsa_system_sgpr_private_segment_wavefront_offset 0
		.amdhsa_system_sgpr_workgroup_id_x 1
		.amdhsa_system_sgpr_workgroup_id_y 0
		.amdhsa_system_sgpr_workgroup_id_z 0
		.amdhsa_system_sgpr_workgroup_info 0
		.amdhsa_system_vgpr_workitem_id 0
		.amdhsa_next_free_vgpr 1
		.amdhsa_next_free_sgpr 0
		.amdhsa_accum_offset 4
		.amdhsa_reserve_vcc 0
		.amdhsa_reserve_flat_scratch 0
		.amdhsa_float_round_mode_32 0
		.amdhsa_float_round_mode_16_64 0
		.amdhsa_float_denorm_mode_32 3
		.amdhsa_float_denorm_mode_16_64 3
		.amdhsa_dx10_clamp 1
		.amdhsa_ieee_mode 1
		.amdhsa_fp16_overflow 0
		.amdhsa_tg_split 0
		.amdhsa_exception_fp_ieee_invalid_op 0
		.amdhsa_exception_fp_denorm_src 0
		.amdhsa_exception_fp_ieee_div_zero 0
		.amdhsa_exception_fp_ieee_overflow 0
		.amdhsa_exception_fp_ieee_underflow 0
		.amdhsa_exception_fp_ieee_inexact 0
		.amdhsa_exception_int_div_zero 0
	.end_amdhsa_kernel
	.section	.text._ZN7rocprim17ROCPRIM_400000_NS6detail17trampoline_kernelINS0_14default_configENS1_35radix_sort_onesweep_config_selectorIyNS0_10empty_typeEEEZZNS1_29radix_sort_onesweep_iterationIS3_Lb0EPyS8_PS5_S9_mNS0_19identity_decomposerENS1_16block_id_wrapperIjLb0EEEEE10hipError_tT1_PNSt15iterator_traitsISE_E10value_typeET2_T3_PNSF_ISK_E10value_typeET4_T5_PSP_SQ_PNS1_23onesweep_lookback_stateEbbT6_jjT7_P12ihipStream_tbENKUlT_T0_SE_SJ_E_clIS8_S8_S9_S9_EEDaSX_SY_SE_SJ_EUlSX_E_NS1_11comp_targetILNS1_3genE9ELNS1_11target_archE1100ELNS1_3gpuE3ELNS1_3repE0EEENS1_47radix_sort_onesweep_sort_config_static_selectorELNS0_4arch9wavefront6targetE1EEEvSE_,"axG",@progbits,_ZN7rocprim17ROCPRIM_400000_NS6detail17trampoline_kernelINS0_14default_configENS1_35radix_sort_onesweep_config_selectorIyNS0_10empty_typeEEEZZNS1_29radix_sort_onesweep_iterationIS3_Lb0EPyS8_PS5_S9_mNS0_19identity_decomposerENS1_16block_id_wrapperIjLb0EEEEE10hipError_tT1_PNSt15iterator_traitsISE_E10value_typeET2_T3_PNSF_ISK_E10value_typeET4_T5_PSP_SQ_PNS1_23onesweep_lookback_stateEbbT6_jjT7_P12ihipStream_tbENKUlT_T0_SE_SJ_E_clIS8_S8_S9_S9_EEDaSX_SY_SE_SJ_EUlSX_E_NS1_11comp_targetILNS1_3genE9ELNS1_11target_archE1100ELNS1_3gpuE3ELNS1_3repE0EEENS1_47radix_sort_onesweep_sort_config_static_selectorELNS0_4arch9wavefront6targetE1EEEvSE_,comdat
.Lfunc_end1216:
	.size	_ZN7rocprim17ROCPRIM_400000_NS6detail17trampoline_kernelINS0_14default_configENS1_35radix_sort_onesweep_config_selectorIyNS0_10empty_typeEEEZZNS1_29radix_sort_onesweep_iterationIS3_Lb0EPyS8_PS5_S9_mNS0_19identity_decomposerENS1_16block_id_wrapperIjLb0EEEEE10hipError_tT1_PNSt15iterator_traitsISE_E10value_typeET2_T3_PNSF_ISK_E10value_typeET4_T5_PSP_SQ_PNS1_23onesweep_lookback_stateEbbT6_jjT7_P12ihipStream_tbENKUlT_T0_SE_SJ_E_clIS8_S8_S9_S9_EEDaSX_SY_SE_SJ_EUlSX_E_NS1_11comp_targetILNS1_3genE9ELNS1_11target_archE1100ELNS1_3gpuE3ELNS1_3repE0EEENS1_47radix_sort_onesweep_sort_config_static_selectorELNS0_4arch9wavefront6targetE1EEEvSE_, .Lfunc_end1216-_ZN7rocprim17ROCPRIM_400000_NS6detail17trampoline_kernelINS0_14default_configENS1_35radix_sort_onesweep_config_selectorIyNS0_10empty_typeEEEZZNS1_29radix_sort_onesweep_iterationIS3_Lb0EPyS8_PS5_S9_mNS0_19identity_decomposerENS1_16block_id_wrapperIjLb0EEEEE10hipError_tT1_PNSt15iterator_traitsISE_E10value_typeET2_T3_PNSF_ISK_E10value_typeET4_T5_PSP_SQ_PNS1_23onesweep_lookback_stateEbbT6_jjT7_P12ihipStream_tbENKUlT_T0_SE_SJ_E_clIS8_S8_S9_S9_EEDaSX_SY_SE_SJ_EUlSX_E_NS1_11comp_targetILNS1_3genE9ELNS1_11target_archE1100ELNS1_3gpuE3ELNS1_3repE0EEENS1_47radix_sort_onesweep_sort_config_static_selectorELNS0_4arch9wavefront6targetE1EEEvSE_
                                        ; -- End function
	.section	.AMDGPU.csdata,"",@progbits
; Kernel info:
; codeLenInByte = 0
; NumSgprs: 4
; NumVgprs: 0
; NumAgprs: 0
; TotalNumVgprs: 0
; ScratchSize: 0
; MemoryBound: 0
; FloatMode: 240
; IeeeMode: 1
; LDSByteSize: 0 bytes/workgroup (compile time only)
; SGPRBlocks: 0
; VGPRBlocks: 0
; NumSGPRsForWavesPerEU: 4
; NumVGPRsForWavesPerEU: 1
; AccumOffset: 4
; Occupancy: 8
; WaveLimiterHint : 0
; COMPUTE_PGM_RSRC2:SCRATCH_EN: 0
; COMPUTE_PGM_RSRC2:USER_SGPR: 6
; COMPUTE_PGM_RSRC2:TRAP_HANDLER: 0
; COMPUTE_PGM_RSRC2:TGID_X_EN: 1
; COMPUTE_PGM_RSRC2:TGID_Y_EN: 0
; COMPUTE_PGM_RSRC2:TGID_Z_EN: 0
; COMPUTE_PGM_RSRC2:TIDIG_COMP_CNT: 0
; COMPUTE_PGM_RSRC3_GFX90A:ACCUM_OFFSET: 0
; COMPUTE_PGM_RSRC3_GFX90A:TG_SPLIT: 0
	.section	.text._ZN7rocprim17ROCPRIM_400000_NS6detail17trampoline_kernelINS0_14default_configENS1_35radix_sort_onesweep_config_selectorIyNS0_10empty_typeEEEZZNS1_29radix_sort_onesweep_iterationIS3_Lb0EPyS8_PS5_S9_mNS0_19identity_decomposerENS1_16block_id_wrapperIjLb0EEEEE10hipError_tT1_PNSt15iterator_traitsISE_E10value_typeET2_T3_PNSF_ISK_E10value_typeET4_T5_PSP_SQ_PNS1_23onesweep_lookback_stateEbbT6_jjT7_P12ihipStream_tbENKUlT_T0_SE_SJ_E_clIS8_S8_S9_S9_EEDaSX_SY_SE_SJ_EUlSX_E_NS1_11comp_targetILNS1_3genE8ELNS1_11target_archE1030ELNS1_3gpuE2ELNS1_3repE0EEENS1_47radix_sort_onesweep_sort_config_static_selectorELNS0_4arch9wavefront6targetE1EEEvSE_,"axG",@progbits,_ZN7rocprim17ROCPRIM_400000_NS6detail17trampoline_kernelINS0_14default_configENS1_35radix_sort_onesweep_config_selectorIyNS0_10empty_typeEEEZZNS1_29radix_sort_onesweep_iterationIS3_Lb0EPyS8_PS5_S9_mNS0_19identity_decomposerENS1_16block_id_wrapperIjLb0EEEEE10hipError_tT1_PNSt15iterator_traitsISE_E10value_typeET2_T3_PNSF_ISK_E10value_typeET4_T5_PSP_SQ_PNS1_23onesweep_lookback_stateEbbT6_jjT7_P12ihipStream_tbENKUlT_T0_SE_SJ_E_clIS8_S8_S9_S9_EEDaSX_SY_SE_SJ_EUlSX_E_NS1_11comp_targetILNS1_3genE8ELNS1_11target_archE1030ELNS1_3gpuE2ELNS1_3repE0EEENS1_47radix_sort_onesweep_sort_config_static_selectorELNS0_4arch9wavefront6targetE1EEEvSE_,comdat
	.protected	_ZN7rocprim17ROCPRIM_400000_NS6detail17trampoline_kernelINS0_14default_configENS1_35radix_sort_onesweep_config_selectorIyNS0_10empty_typeEEEZZNS1_29radix_sort_onesweep_iterationIS3_Lb0EPyS8_PS5_S9_mNS0_19identity_decomposerENS1_16block_id_wrapperIjLb0EEEEE10hipError_tT1_PNSt15iterator_traitsISE_E10value_typeET2_T3_PNSF_ISK_E10value_typeET4_T5_PSP_SQ_PNS1_23onesweep_lookback_stateEbbT6_jjT7_P12ihipStream_tbENKUlT_T0_SE_SJ_E_clIS8_S8_S9_S9_EEDaSX_SY_SE_SJ_EUlSX_E_NS1_11comp_targetILNS1_3genE8ELNS1_11target_archE1030ELNS1_3gpuE2ELNS1_3repE0EEENS1_47radix_sort_onesweep_sort_config_static_selectorELNS0_4arch9wavefront6targetE1EEEvSE_ ; -- Begin function _ZN7rocprim17ROCPRIM_400000_NS6detail17trampoline_kernelINS0_14default_configENS1_35radix_sort_onesweep_config_selectorIyNS0_10empty_typeEEEZZNS1_29radix_sort_onesweep_iterationIS3_Lb0EPyS8_PS5_S9_mNS0_19identity_decomposerENS1_16block_id_wrapperIjLb0EEEEE10hipError_tT1_PNSt15iterator_traitsISE_E10value_typeET2_T3_PNSF_ISK_E10value_typeET4_T5_PSP_SQ_PNS1_23onesweep_lookback_stateEbbT6_jjT7_P12ihipStream_tbENKUlT_T0_SE_SJ_E_clIS8_S8_S9_S9_EEDaSX_SY_SE_SJ_EUlSX_E_NS1_11comp_targetILNS1_3genE8ELNS1_11target_archE1030ELNS1_3gpuE2ELNS1_3repE0EEENS1_47radix_sort_onesweep_sort_config_static_selectorELNS0_4arch9wavefront6targetE1EEEvSE_
	.globl	_ZN7rocprim17ROCPRIM_400000_NS6detail17trampoline_kernelINS0_14default_configENS1_35radix_sort_onesweep_config_selectorIyNS0_10empty_typeEEEZZNS1_29radix_sort_onesweep_iterationIS3_Lb0EPyS8_PS5_S9_mNS0_19identity_decomposerENS1_16block_id_wrapperIjLb0EEEEE10hipError_tT1_PNSt15iterator_traitsISE_E10value_typeET2_T3_PNSF_ISK_E10value_typeET4_T5_PSP_SQ_PNS1_23onesweep_lookback_stateEbbT6_jjT7_P12ihipStream_tbENKUlT_T0_SE_SJ_E_clIS8_S8_S9_S9_EEDaSX_SY_SE_SJ_EUlSX_E_NS1_11comp_targetILNS1_3genE8ELNS1_11target_archE1030ELNS1_3gpuE2ELNS1_3repE0EEENS1_47radix_sort_onesweep_sort_config_static_selectorELNS0_4arch9wavefront6targetE1EEEvSE_
	.p2align	8
	.type	_ZN7rocprim17ROCPRIM_400000_NS6detail17trampoline_kernelINS0_14default_configENS1_35radix_sort_onesweep_config_selectorIyNS0_10empty_typeEEEZZNS1_29radix_sort_onesweep_iterationIS3_Lb0EPyS8_PS5_S9_mNS0_19identity_decomposerENS1_16block_id_wrapperIjLb0EEEEE10hipError_tT1_PNSt15iterator_traitsISE_E10value_typeET2_T3_PNSF_ISK_E10value_typeET4_T5_PSP_SQ_PNS1_23onesweep_lookback_stateEbbT6_jjT7_P12ihipStream_tbENKUlT_T0_SE_SJ_E_clIS8_S8_S9_S9_EEDaSX_SY_SE_SJ_EUlSX_E_NS1_11comp_targetILNS1_3genE8ELNS1_11target_archE1030ELNS1_3gpuE2ELNS1_3repE0EEENS1_47radix_sort_onesweep_sort_config_static_selectorELNS0_4arch9wavefront6targetE1EEEvSE_,@function
_ZN7rocprim17ROCPRIM_400000_NS6detail17trampoline_kernelINS0_14default_configENS1_35radix_sort_onesweep_config_selectorIyNS0_10empty_typeEEEZZNS1_29radix_sort_onesweep_iterationIS3_Lb0EPyS8_PS5_S9_mNS0_19identity_decomposerENS1_16block_id_wrapperIjLb0EEEEE10hipError_tT1_PNSt15iterator_traitsISE_E10value_typeET2_T3_PNSF_ISK_E10value_typeET4_T5_PSP_SQ_PNS1_23onesweep_lookback_stateEbbT6_jjT7_P12ihipStream_tbENKUlT_T0_SE_SJ_E_clIS8_S8_S9_S9_EEDaSX_SY_SE_SJ_EUlSX_E_NS1_11comp_targetILNS1_3genE8ELNS1_11target_archE1030ELNS1_3gpuE2ELNS1_3repE0EEENS1_47radix_sort_onesweep_sort_config_static_selectorELNS0_4arch9wavefront6targetE1EEEvSE_: ; @_ZN7rocprim17ROCPRIM_400000_NS6detail17trampoline_kernelINS0_14default_configENS1_35radix_sort_onesweep_config_selectorIyNS0_10empty_typeEEEZZNS1_29radix_sort_onesweep_iterationIS3_Lb0EPyS8_PS5_S9_mNS0_19identity_decomposerENS1_16block_id_wrapperIjLb0EEEEE10hipError_tT1_PNSt15iterator_traitsISE_E10value_typeET2_T3_PNSF_ISK_E10value_typeET4_T5_PSP_SQ_PNS1_23onesweep_lookback_stateEbbT6_jjT7_P12ihipStream_tbENKUlT_T0_SE_SJ_E_clIS8_S8_S9_S9_EEDaSX_SY_SE_SJ_EUlSX_E_NS1_11comp_targetILNS1_3genE8ELNS1_11target_archE1030ELNS1_3gpuE2ELNS1_3repE0EEENS1_47radix_sort_onesweep_sort_config_static_selectorELNS0_4arch9wavefront6targetE1EEEvSE_
; %bb.0:
	.section	.rodata,"a",@progbits
	.p2align	6, 0x0
	.amdhsa_kernel _ZN7rocprim17ROCPRIM_400000_NS6detail17trampoline_kernelINS0_14default_configENS1_35radix_sort_onesweep_config_selectorIyNS0_10empty_typeEEEZZNS1_29radix_sort_onesweep_iterationIS3_Lb0EPyS8_PS5_S9_mNS0_19identity_decomposerENS1_16block_id_wrapperIjLb0EEEEE10hipError_tT1_PNSt15iterator_traitsISE_E10value_typeET2_T3_PNSF_ISK_E10value_typeET4_T5_PSP_SQ_PNS1_23onesweep_lookback_stateEbbT6_jjT7_P12ihipStream_tbENKUlT_T0_SE_SJ_E_clIS8_S8_S9_S9_EEDaSX_SY_SE_SJ_EUlSX_E_NS1_11comp_targetILNS1_3genE8ELNS1_11target_archE1030ELNS1_3gpuE2ELNS1_3repE0EEENS1_47radix_sort_onesweep_sort_config_static_selectorELNS0_4arch9wavefront6targetE1EEEvSE_
		.amdhsa_group_segment_fixed_size 0
		.amdhsa_private_segment_fixed_size 0
		.amdhsa_kernarg_size 88
		.amdhsa_user_sgpr_count 6
		.amdhsa_user_sgpr_private_segment_buffer 1
		.amdhsa_user_sgpr_dispatch_ptr 0
		.amdhsa_user_sgpr_queue_ptr 0
		.amdhsa_user_sgpr_kernarg_segment_ptr 1
		.amdhsa_user_sgpr_dispatch_id 0
		.amdhsa_user_sgpr_flat_scratch_init 0
		.amdhsa_user_sgpr_kernarg_preload_length 0
		.amdhsa_user_sgpr_kernarg_preload_offset 0
		.amdhsa_user_sgpr_private_segment_size 0
		.amdhsa_uses_dynamic_stack 0
		.amdhsa_system_sgpr_private_segment_wavefront_offset 0
		.amdhsa_system_sgpr_workgroup_id_x 1
		.amdhsa_system_sgpr_workgroup_id_y 0
		.amdhsa_system_sgpr_workgroup_id_z 0
		.amdhsa_system_sgpr_workgroup_info 0
		.amdhsa_system_vgpr_workitem_id 0
		.amdhsa_next_free_vgpr 1
		.amdhsa_next_free_sgpr 0
		.amdhsa_accum_offset 4
		.amdhsa_reserve_vcc 0
		.amdhsa_reserve_flat_scratch 0
		.amdhsa_float_round_mode_32 0
		.amdhsa_float_round_mode_16_64 0
		.amdhsa_float_denorm_mode_32 3
		.amdhsa_float_denorm_mode_16_64 3
		.amdhsa_dx10_clamp 1
		.amdhsa_ieee_mode 1
		.amdhsa_fp16_overflow 0
		.amdhsa_tg_split 0
		.amdhsa_exception_fp_ieee_invalid_op 0
		.amdhsa_exception_fp_denorm_src 0
		.amdhsa_exception_fp_ieee_div_zero 0
		.amdhsa_exception_fp_ieee_overflow 0
		.amdhsa_exception_fp_ieee_underflow 0
		.amdhsa_exception_fp_ieee_inexact 0
		.amdhsa_exception_int_div_zero 0
	.end_amdhsa_kernel
	.section	.text._ZN7rocprim17ROCPRIM_400000_NS6detail17trampoline_kernelINS0_14default_configENS1_35radix_sort_onesweep_config_selectorIyNS0_10empty_typeEEEZZNS1_29radix_sort_onesweep_iterationIS3_Lb0EPyS8_PS5_S9_mNS0_19identity_decomposerENS1_16block_id_wrapperIjLb0EEEEE10hipError_tT1_PNSt15iterator_traitsISE_E10value_typeET2_T3_PNSF_ISK_E10value_typeET4_T5_PSP_SQ_PNS1_23onesweep_lookback_stateEbbT6_jjT7_P12ihipStream_tbENKUlT_T0_SE_SJ_E_clIS8_S8_S9_S9_EEDaSX_SY_SE_SJ_EUlSX_E_NS1_11comp_targetILNS1_3genE8ELNS1_11target_archE1030ELNS1_3gpuE2ELNS1_3repE0EEENS1_47radix_sort_onesweep_sort_config_static_selectorELNS0_4arch9wavefront6targetE1EEEvSE_,"axG",@progbits,_ZN7rocprim17ROCPRIM_400000_NS6detail17trampoline_kernelINS0_14default_configENS1_35radix_sort_onesweep_config_selectorIyNS0_10empty_typeEEEZZNS1_29radix_sort_onesweep_iterationIS3_Lb0EPyS8_PS5_S9_mNS0_19identity_decomposerENS1_16block_id_wrapperIjLb0EEEEE10hipError_tT1_PNSt15iterator_traitsISE_E10value_typeET2_T3_PNSF_ISK_E10value_typeET4_T5_PSP_SQ_PNS1_23onesweep_lookback_stateEbbT6_jjT7_P12ihipStream_tbENKUlT_T0_SE_SJ_E_clIS8_S8_S9_S9_EEDaSX_SY_SE_SJ_EUlSX_E_NS1_11comp_targetILNS1_3genE8ELNS1_11target_archE1030ELNS1_3gpuE2ELNS1_3repE0EEENS1_47radix_sort_onesweep_sort_config_static_selectorELNS0_4arch9wavefront6targetE1EEEvSE_,comdat
.Lfunc_end1217:
	.size	_ZN7rocprim17ROCPRIM_400000_NS6detail17trampoline_kernelINS0_14default_configENS1_35radix_sort_onesweep_config_selectorIyNS0_10empty_typeEEEZZNS1_29radix_sort_onesweep_iterationIS3_Lb0EPyS8_PS5_S9_mNS0_19identity_decomposerENS1_16block_id_wrapperIjLb0EEEEE10hipError_tT1_PNSt15iterator_traitsISE_E10value_typeET2_T3_PNSF_ISK_E10value_typeET4_T5_PSP_SQ_PNS1_23onesweep_lookback_stateEbbT6_jjT7_P12ihipStream_tbENKUlT_T0_SE_SJ_E_clIS8_S8_S9_S9_EEDaSX_SY_SE_SJ_EUlSX_E_NS1_11comp_targetILNS1_3genE8ELNS1_11target_archE1030ELNS1_3gpuE2ELNS1_3repE0EEENS1_47radix_sort_onesweep_sort_config_static_selectorELNS0_4arch9wavefront6targetE1EEEvSE_, .Lfunc_end1217-_ZN7rocprim17ROCPRIM_400000_NS6detail17trampoline_kernelINS0_14default_configENS1_35radix_sort_onesweep_config_selectorIyNS0_10empty_typeEEEZZNS1_29radix_sort_onesweep_iterationIS3_Lb0EPyS8_PS5_S9_mNS0_19identity_decomposerENS1_16block_id_wrapperIjLb0EEEEE10hipError_tT1_PNSt15iterator_traitsISE_E10value_typeET2_T3_PNSF_ISK_E10value_typeET4_T5_PSP_SQ_PNS1_23onesweep_lookback_stateEbbT6_jjT7_P12ihipStream_tbENKUlT_T0_SE_SJ_E_clIS8_S8_S9_S9_EEDaSX_SY_SE_SJ_EUlSX_E_NS1_11comp_targetILNS1_3genE8ELNS1_11target_archE1030ELNS1_3gpuE2ELNS1_3repE0EEENS1_47radix_sort_onesweep_sort_config_static_selectorELNS0_4arch9wavefront6targetE1EEEvSE_
                                        ; -- End function
	.section	.AMDGPU.csdata,"",@progbits
; Kernel info:
; codeLenInByte = 0
; NumSgprs: 4
; NumVgprs: 0
; NumAgprs: 0
; TotalNumVgprs: 0
; ScratchSize: 0
; MemoryBound: 0
; FloatMode: 240
; IeeeMode: 1
; LDSByteSize: 0 bytes/workgroup (compile time only)
; SGPRBlocks: 0
; VGPRBlocks: 0
; NumSGPRsForWavesPerEU: 4
; NumVGPRsForWavesPerEU: 1
; AccumOffset: 4
; Occupancy: 8
; WaveLimiterHint : 0
; COMPUTE_PGM_RSRC2:SCRATCH_EN: 0
; COMPUTE_PGM_RSRC2:USER_SGPR: 6
; COMPUTE_PGM_RSRC2:TRAP_HANDLER: 0
; COMPUTE_PGM_RSRC2:TGID_X_EN: 1
; COMPUTE_PGM_RSRC2:TGID_Y_EN: 0
; COMPUTE_PGM_RSRC2:TGID_Z_EN: 0
; COMPUTE_PGM_RSRC2:TIDIG_COMP_CNT: 0
; COMPUTE_PGM_RSRC3_GFX90A:ACCUM_OFFSET: 0
; COMPUTE_PGM_RSRC3_GFX90A:TG_SPLIT: 0
	.section	.text._ZN7rocprim17ROCPRIM_400000_NS6detail17trampoline_kernelINS0_13kernel_configILj256ELj4ELj4294967295EEENS1_37radix_sort_block_sort_config_selectorIfNS0_10empty_typeEEEZNS1_21radix_sort_block_sortIS4_Lb0EPfS9_PS6_SA_NS0_19identity_decomposerEEE10hipError_tT1_T2_T3_T4_jRjT5_jjP12ihipStream_tbEUlT_E_NS1_11comp_targetILNS1_3genE0ELNS1_11target_archE4294967295ELNS1_3gpuE0ELNS1_3repE0EEENS1_44radix_sort_block_sort_config_static_selectorELNS0_4arch9wavefront6targetE1EEEvSD_,"axG",@progbits,_ZN7rocprim17ROCPRIM_400000_NS6detail17trampoline_kernelINS0_13kernel_configILj256ELj4ELj4294967295EEENS1_37radix_sort_block_sort_config_selectorIfNS0_10empty_typeEEEZNS1_21radix_sort_block_sortIS4_Lb0EPfS9_PS6_SA_NS0_19identity_decomposerEEE10hipError_tT1_T2_T3_T4_jRjT5_jjP12ihipStream_tbEUlT_E_NS1_11comp_targetILNS1_3genE0ELNS1_11target_archE4294967295ELNS1_3gpuE0ELNS1_3repE0EEENS1_44radix_sort_block_sort_config_static_selectorELNS0_4arch9wavefront6targetE1EEEvSD_,comdat
	.protected	_ZN7rocprim17ROCPRIM_400000_NS6detail17trampoline_kernelINS0_13kernel_configILj256ELj4ELj4294967295EEENS1_37radix_sort_block_sort_config_selectorIfNS0_10empty_typeEEEZNS1_21radix_sort_block_sortIS4_Lb0EPfS9_PS6_SA_NS0_19identity_decomposerEEE10hipError_tT1_T2_T3_T4_jRjT5_jjP12ihipStream_tbEUlT_E_NS1_11comp_targetILNS1_3genE0ELNS1_11target_archE4294967295ELNS1_3gpuE0ELNS1_3repE0EEENS1_44radix_sort_block_sort_config_static_selectorELNS0_4arch9wavefront6targetE1EEEvSD_ ; -- Begin function _ZN7rocprim17ROCPRIM_400000_NS6detail17trampoline_kernelINS0_13kernel_configILj256ELj4ELj4294967295EEENS1_37radix_sort_block_sort_config_selectorIfNS0_10empty_typeEEEZNS1_21radix_sort_block_sortIS4_Lb0EPfS9_PS6_SA_NS0_19identity_decomposerEEE10hipError_tT1_T2_T3_T4_jRjT5_jjP12ihipStream_tbEUlT_E_NS1_11comp_targetILNS1_3genE0ELNS1_11target_archE4294967295ELNS1_3gpuE0ELNS1_3repE0EEENS1_44radix_sort_block_sort_config_static_selectorELNS0_4arch9wavefront6targetE1EEEvSD_
	.globl	_ZN7rocprim17ROCPRIM_400000_NS6detail17trampoline_kernelINS0_13kernel_configILj256ELj4ELj4294967295EEENS1_37radix_sort_block_sort_config_selectorIfNS0_10empty_typeEEEZNS1_21radix_sort_block_sortIS4_Lb0EPfS9_PS6_SA_NS0_19identity_decomposerEEE10hipError_tT1_T2_T3_T4_jRjT5_jjP12ihipStream_tbEUlT_E_NS1_11comp_targetILNS1_3genE0ELNS1_11target_archE4294967295ELNS1_3gpuE0ELNS1_3repE0EEENS1_44radix_sort_block_sort_config_static_selectorELNS0_4arch9wavefront6targetE1EEEvSD_
	.p2align	8
	.type	_ZN7rocprim17ROCPRIM_400000_NS6detail17trampoline_kernelINS0_13kernel_configILj256ELj4ELj4294967295EEENS1_37radix_sort_block_sort_config_selectorIfNS0_10empty_typeEEEZNS1_21radix_sort_block_sortIS4_Lb0EPfS9_PS6_SA_NS0_19identity_decomposerEEE10hipError_tT1_T2_T3_T4_jRjT5_jjP12ihipStream_tbEUlT_E_NS1_11comp_targetILNS1_3genE0ELNS1_11target_archE4294967295ELNS1_3gpuE0ELNS1_3repE0EEENS1_44radix_sort_block_sort_config_static_selectorELNS0_4arch9wavefront6targetE1EEEvSD_,@function
_ZN7rocprim17ROCPRIM_400000_NS6detail17trampoline_kernelINS0_13kernel_configILj256ELj4ELj4294967295EEENS1_37radix_sort_block_sort_config_selectorIfNS0_10empty_typeEEEZNS1_21radix_sort_block_sortIS4_Lb0EPfS9_PS6_SA_NS0_19identity_decomposerEEE10hipError_tT1_T2_T3_T4_jRjT5_jjP12ihipStream_tbEUlT_E_NS1_11comp_targetILNS1_3genE0ELNS1_11target_archE4294967295ELNS1_3gpuE0ELNS1_3repE0EEENS1_44radix_sort_block_sort_config_static_selectorELNS0_4arch9wavefront6targetE1EEEvSD_: ; @_ZN7rocprim17ROCPRIM_400000_NS6detail17trampoline_kernelINS0_13kernel_configILj256ELj4ELj4294967295EEENS1_37radix_sort_block_sort_config_selectorIfNS0_10empty_typeEEEZNS1_21radix_sort_block_sortIS4_Lb0EPfS9_PS6_SA_NS0_19identity_decomposerEEE10hipError_tT1_T2_T3_T4_jRjT5_jjP12ihipStream_tbEUlT_E_NS1_11comp_targetILNS1_3genE0ELNS1_11target_archE4294967295ELNS1_3gpuE0ELNS1_3repE0EEENS1_44radix_sort_block_sort_config_static_selectorELNS0_4arch9wavefront6targetE1EEEvSD_
; %bb.0:
	.section	.rodata,"a",@progbits
	.p2align	6, 0x0
	.amdhsa_kernel _ZN7rocprim17ROCPRIM_400000_NS6detail17trampoline_kernelINS0_13kernel_configILj256ELj4ELj4294967295EEENS1_37radix_sort_block_sort_config_selectorIfNS0_10empty_typeEEEZNS1_21radix_sort_block_sortIS4_Lb0EPfS9_PS6_SA_NS0_19identity_decomposerEEE10hipError_tT1_T2_T3_T4_jRjT5_jjP12ihipStream_tbEUlT_E_NS1_11comp_targetILNS1_3genE0ELNS1_11target_archE4294967295ELNS1_3gpuE0ELNS1_3repE0EEENS1_44radix_sort_block_sort_config_static_selectorELNS0_4arch9wavefront6targetE1EEEvSD_
		.amdhsa_group_segment_fixed_size 0
		.amdhsa_private_segment_fixed_size 0
		.amdhsa_kernarg_size 48
		.amdhsa_user_sgpr_count 6
		.amdhsa_user_sgpr_private_segment_buffer 1
		.amdhsa_user_sgpr_dispatch_ptr 0
		.amdhsa_user_sgpr_queue_ptr 0
		.amdhsa_user_sgpr_kernarg_segment_ptr 1
		.amdhsa_user_sgpr_dispatch_id 0
		.amdhsa_user_sgpr_flat_scratch_init 0
		.amdhsa_user_sgpr_kernarg_preload_length 0
		.amdhsa_user_sgpr_kernarg_preload_offset 0
		.amdhsa_user_sgpr_private_segment_size 0
		.amdhsa_uses_dynamic_stack 0
		.amdhsa_system_sgpr_private_segment_wavefront_offset 0
		.amdhsa_system_sgpr_workgroup_id_x 1
		.amdhsa_system_sgpr_workgroup_id_y 0
		.amdhsa_system_sgpr_workgroup_id_z 0
		.amdhsa_system_sgpr_workgroup_info 0
		.amdhsa_system_vgpr_workitem_id 0
		.amdhsa_next_free_vgpr 1
		.amdhsa_next_free_sgpr 0
		.amdhsa_accum_offset 4
		.amdhsa_reserve_vcc 0
		.amdhsa_reserve_flat_scratch 0
		.amdhsa_float_round_mode_32 0
		.amdhsa_float_round_mode_16_64 0
		.amdhsa_float_denorm_mode_32 3
		.amdhsa_float_denorm_mode_16_64 3
		.amdhsa_dx10_clamp 1
		.amdhsa_ieee_mode 1
		.amdhsa_fp16_overflow 0
		.amdhsa_tg_split 0
		.amdhsa_exception_fp_ieee_invalid_op 0
		.amdhsa_exception_fp_denorm_src 0
		.amdhsa_exception_fp_ieee_div_zero 0
		.amdhsa_exception_fp_ieee_overflow 0
		.amdhsa_exception_fp_ieee_underflow 0
		.amdhsa_exception_fp_ieee_inexact 0
		.amdhsa_exception_int_div_zero 0
	.end_amdhsa_kernel
	.section	.text._ZN7rocprim17ROCPRIM_400000_NS6detail17trampoline_kernelINS0_13kernel_configILj256ELj4ELj4294967295EEENS1_37radix_sort_block_sort_config_selectorIfNS0_10empty_typeEEEZNS1_21radix_sort_block_sortIS4_Lb0EPfS9_PS6_SA_NS0_19identity_decomposerEEE10hipError_tT1_T2_T3_T4_jRjT5_jjP12ihipStream_tbEUlT_E_NS1_11comp_targetILNS1_3genE0ELNS1_11target_archE4294967295ELNS1_3gpuE0ELNS1_3repE0EEENS1_44radix_sort_block_sort_config_static_selectorELNS0_4arch9wavefront6targetE1EEEvSD_,"axG",@progbits,_ZN7rocprim17ROCPRIM_400000_NS6detail17trampoline_kernelINS0_13kernel_configILj256ELj4ELj4294967295EEENS1_37radix_sort_block_sort_config_selectorIfNS0_10empty_typeEEEZNS1_21radix_sort_block_sortIS4_Lb0EPfS9_PS6_SA_NS0_19identity_decomposerEEE10hipError_tT1_T2_T3_T4_jRjT5_jjP12ihipStream_tbEUlT_E_NS1_11comp_targetILNS1_3genE0ELNS1_11target_archE4294967295ELNS1_3gpuE0ELNS1_3repE0EEENS1_44radix_sort_block_sort_config_static_selectorELNS0_4arch9wavefront6targetE1EEEvSD_,comdat
.Lfunc_end1218:
	.size	_ZN7rocprim17ROCPRIM_400000_NS6detail17trampoline_kernelINS0_13kernel_configILj256ELj4ELj4294967295EEENS1_37radix_sort_block_sort_config_selectorIfNS0_10empty_typeEEEZNS1_21radix_sort_block_sortIS4_Lb0EPfS9_PS6_SA_NS0_19identity_decomposerEEE10hipError_tT1_T2_T3_T4_jRjT5_jjP12ihipStream_tbEUlT_E_NS1_11comp_targetILNS1_3genE0ELNS1_11target_archE4294967295ELNS1_3gpuE0ELNS1_3repE0EEENS1_44radix_sort_block_sort_config_static_selectorELNS0_4arch9wavefront6targetE1EEEvSD_, .Lfunc_end1218-_ZN7rocprim17ROCPRIM_400000_NS6detail17trampoline_kernelINS0_13kernel_configILj256ELj4ELj4294967295EEENS1_37radix_sort_block_sort_config_selectorIfNS0_10empty_typeEEEZNS1_21radix_sort_block_sortIS4_Lb0EPfS9_PS6_SA_NS0_19identity_decomposerEEE10hipError_tT1_T2_T3_T4_jRjT5_jjP12ihipStream_tbEUlT_E_NS1_11comp_targetILNS1_3genE0ELNS1_11target_archE4294967295ELNS1_3gpuE0ELNS1_3repE0EEENS1_44radix_sort_block_sort_config_static_selectorELNS0_4arch9wavefront6targetE1EEEvSD_
                                        ; -- End function
	.section	.AMDGPU.csdata,"",@progbits
; Kernel info:
; codeLenInByte = 0
; NumSgprs: 4
; NumVgprs: 0
; NumAgprs: 0
; TotalNumVgprs: 0
; ScratchSize: 0
; MemoryBound: 0
; FloatMode: 240
; IeeeMode: 1
; LDSByteSize: 0 bytes/workgroup (compile time only)
; SGPRBlocks: 0
; VGPRBlocks: 0
; NumSGPRsForWavesPerEU: 4
; NumVGPRsForWavesPerEU: 1
; AccumOffset: 4
; Occupancy: 8
; WaveLimiterHint : 0
; COMPUTE_PGM_RSRC2:SCRATCH_EN: 0
; COMPUTE_PGM_RSRC2:USER_SGPR: 6
; COMPUTE_PGM_RSRC2:TRAP_HANDLER: 0
; COMPUTE_PGM_RSRC2:TGID_X_EN: 1
; COMPUTE_PGM_RSRC2:TGID_Y_EN: 0
; COMPUTE_PGM_RSRC2:TGID_Z_EN: 0
; COMPUTE_PGM_RSRC2:TIDIG_COMP_CNT: 0
; COMPUTE_PGM_RSRC3_GFX90A:ACCUM_OFFSET: 0
; COMPUTE_PGM_RSRC3_GFX90A:TG_SPLIT: 0
	.section	.text._ZN7rocprim17ROCPRIM_400000_NS6detail17trampoline_kernelINS0_13kernel_configILj256ELj4ELj4294967295EEENS1_37radix_sort_block_sort_config_selectorIfNS0_10empty_typeEEEZNS1_21radix_sort_block_sortIS4_Lb0EPfS9_PS6_SA_NS0_19identity_decomposerEEE10hipError_tT1_T2_T3_T4_jRjT5_jjP12ihipStream_tbEUlT_E_NS1_11comp_targetILNS1_3genE5ELNS1_11target_archE942ELNS1_3gpuE9ELNS1_3repE0EEENS1_44radix_sort_block_sort_config_static_selectorELNS0_4arch9wavefront6targetE1EEEvSD_,"axG",@progbits,_ZN7rocprim17ROCPRIM_400000_NS6detail17trampoline_kernelINS0_13kernel_configILj256ELj4ELj4294967295EEENS1_37radix_sort_block_sort_config_selectorIfNS0_10empty_typeEEEZNS1_21radix_sort_block_sortIS4_Lb0EPfS9_PS6_SA_NS0_19identity_decomposerEEE10hipError_tT1_T2_T3_T4_jRjT5_jjP12ihipStream_tbEUlT_E_NS1_11comp_targetILNS1_3genE5ELNS1_11target_archE942ELNS1_3gpuE9ELNS1_3repE0EEENS1_44radix_sort_block_sort_config_static_selectorELNS0_4arch9wavefront6targetE1EEEvSD_,comdat
	.protected	_ZN7rocprim17ROCPRIM_400000_NS6detail17trampoline_kernelINS0_13kernel_configILj256ELj4ELj4294967295EEENS1_37radix_sort_block_sort_config_selectorIfNS0_10empty_typeEEEZNS1_21radix_sort_block_sortIS4_Lb0EPfS9_PS6_SA_NS0_19identity_decomposerEEE10hipError_tT1_T2_T3_T4_jRjT5_jjP12ihipStream_tbEUlT_E_NS1_11comp_targetILNS1_3genE5ELNS1_11target_archE942ELNS1_3gpuE9ELNS1_3repE0EEENS1_44radix_sort_block_sort_config_static_selectorELNS0_4arch9wavefront6targetE1EEEvSD_ ; -- Begin function _ZN7rocprim17ROCPRIM_400000_NS6detail17trampoline_kernelINS0_13kernel_configILj256ELj4ELj4294967295EEENS1_37radix_sort_block_sort_config_selectorIfNS0_10empty_typeEEEZNS1_21radix_sort_block_sortIS4_Lb0EPfS9_PS6_SA_NS0_19identity_decomposerEEE10hipError_tT1_T2_T3_T4_jRjT5_jjP12ihipStream_tbEUlT_E_NS1_11comp_targetILNS1_3genE5ELNS1_11target_archE942ELNS1_3gpuE9ELNS1_3repE0EEENS1_44radix_sort_block_sort_config_static_selectorELNS0_4arch9wavefront6targetE1EEEvSD_
	.globl	_ZN7rocprim17ROCPRIM_400000_NS6detail17trampoline_kernelINS0_13kernel_configILj256ELj4ELj4294967295EEENS1_37radix_sort_block_sort_config_selectorIfNS0_10empty_typeEEEZNS1_21radix_sort_block_sortIS4_Lb0EPfS9_PS6_SA_NS0_19identity_decomposerEEE10hipError_tT1_T2_T3_T4_jRjT5_jjP12ihipStream_tbEUlT_E_NS1_11comp_targetILNS1_3genE5ELNS1_11target_archE942ELNS1_3gpuE9ELNS1_3repE0EEENS1_44radix_sort_block_sort_config_static_selectorELNS0_4arch9wavefront6targetE1EEEvSD_
	.p2align	8
	.type	_ZN7rocprim17ROCPRIM_400000_NS6detail17trampoline_kernelINS0_13kernel_configILj256ELj4ELj4294967295EEENS1_37radix_sort_block_sort_config_selectorIfNS0_10empty_typeEEEZNS1_21radix_sort_block_sortIS4_Lb0EPfS9_PS6_SA_NS0_19identity_decomposerEEE10hipError_tT1_T2_T3_T4_jRjT5_jjP12ihipStream_tbEUlT_E_NS1_11comp_targetILNS1_3genE5ELNS1_11target_archE942ELNS1_3gpuE9ELNS1_3repE0EEENS1_44radix_sort_block_sort_config_static_selectorELNS0_4arch9wavefront6targetE1EEEvSD_,@function
_ZN7rocprim17ROCPRIM_400000_NS6detail17trampoline_kernelINS0_13kernel_configILj256ELj4ELj4294967295EEENS1_37radix_sort_block_sort_config_selectorIfNS0_10empty_typeEEEZNS1_21radix_sort_block_sortIS4_Lb0EPfS9_PS6_SA_NS0_19identity_decomposerEEE10hipError_tT1_T2_T3_T4_jRjT5_jjP12ihipStream_tbEUlT_E_NS1_11comp_targetILNS1_3genE5ELNS1_11target_archE942ELNS1_3gpuE9ELNS1_3repE0EEENS1_44radix_sort_block_sort_config_static_selectorELNS0_4arch9wavefront6targetE1EEEvSD_: ; @_ZN7rocprim17ROCPRIM_400000_NS6detail17trampoline_kernelINS0_13kernel_configILj256ELj4ELj4294967295EEENS1_37radix_sort_block_sort_config_selectorIfNS0_10empty_typeEEEZNS1_21radix_sort_block_sortIS4_Lb0EPfS9_PS6_SA_NS0_19identity_decomposerEEE10hipError_tT1_T2_T3_T4_jRjT5_jjP12ihipStream_tbEUlT_E_NS1_11comp_targetILNS1_3genE5ELNS1_11target_archE942ELNS1_3gpuE9ELNS1_3repE0EEENS1_44radix_sort_block_sort_config_static_selectorELNS0_4arch9wavefront6targetE1EEEvSD_
; %bb.0:
	.section	.rodata,"a",@progbits
	.p2align	6, 0x0
	.amdhsa_kernel _ZN7rocprim17ROCPRIM_400000_NS6detail17trampoline_kernelINS0_13kernel_configILj256ELj4ELj4294967295EEENS1_37radix_sort_block_sort_config_selectorIfNS0_10empty_typeEEEZNS1_21radix_sort_block_sortIS4_Lb0EPfS9_PS6_SA_NS0_19identity_decomposerEEE10hipError_tT1_T2_T3_T4_jRjT5_jjP12ihipStream_tbEUlT_E_NS1_11comp_targetILNS1_3genE5ELNS1_11target_archE942ELNS1_3gpuE9ELNS1_3repE0EEENS1_44radix_sort_block_sort_config_static_selectorELNS0_4arch9wavefront6targetE1EEEvSD_
		.amdhsa_group_segment_fixed_size 0
		.amdhsa_private_segment_fixed_size 0
		.amdhsa_kernarg_size 48
		.amdhsa_user_sgpr_count 6
		.amdhsa_user_sgpr_private_segment_buffer 1
		.amdhsa_user_sgpr_dispatch_ptr 0
		.amdhsa_user_sgpr_queue_ptr 0
		.amdhsa_user_sgpr_kernarg_segment_ptr 1
		.amdhsa_user_sgpr_dispatch_id 0
		.amdhsa_user_sgpr_flat_scratch_init 0
		.amdhsa_user_sgpr_kernarg_preload_length 0
		.amdhsa_user_sgpr_kernarg_preload_offset 0
		.amdhsa_user_sgpr_private_segment_size 0
		.amdhsa_uses_dynamic_stack 0
		.amdhsa_system_sgpr_private_segment_wavefront_offset 0
		.amdhsa_system_sgpr_workgroup_id_x 1
		.amdhsa_system_sgpr_workgroup_id_y 0
		.amdhsa_system_sgpr_workgroup_id_z 0
		.amdhsa_system_sgpr_workgroup_info 0
		.amdhsa_system_vgpr_workitem_id 0
		.amdhsa_next_free_vgpr 1
		.amdhsa_next_free_sgpr 0
		.amdhsa_accum_offset 4
		.amdhsa_reserve_vcc 0
		.amdhsa_reserve_flat_scratch 0
		.amdhsa_float_round_mode_32 0
		.amdhsa_float_round_mode_16_64 0
		.amdhsa_float_denorm_mode_32 3
		.amdhsa_float_denorm_mode_16_64 3
		.amdhsa_dx10_clamp 1
		.amdhsa_ieee_mode 1
		.amdhsa_fp16_overflow 0
		.amdhsa_tg_split 0
		.amdhsa_exception_fp_ieee_invalid_op 0
		.amdhsa_exception_fp_denorm_src 0
		.amdhsa_exception_fp_ieee_div_zero 0
		.amdhsa_exception_fp_ieee_overflow 0
		.amdhsa_exception_fp_ieee_underflow 0
		.amdhsa_exception_fp_ieee_inexact 0
		.amdhsa_exception_int_div_zero 0
	.end_amdhsa_kernel
	.section	.text._ZN7rocprim17ROCPRIM_400000_NS6detail17trampoline_kernelINS0_13kernel_configILj256ELj4ELj4294967295EEENS1_37radix_sort_block_sort_config_selectorIfNS0_10empty_typeEEEZNS1_21radix_sort_block_sortIS4_Lb0EPfS9_PS6_SA_NS0_19identity_decomposerEEE10hipError_tT1_T2_T3_T4_jRjT5_jjP12ihipStream_tbEUlT_E_NS1_11comp_targetILNS1_3genE5ELNS1_11target_archE942ELNS1_3gpuE9ELNS1_3repE0EEENS1_44radix_sort_block_sort_config_static_selectorELNS0_4arch9wavefront6targetE1EEEvSD_,"axG",@progbits,_ZN7rocprim17ROCPRIM_400000_NS6detail17trampoline_kernelINS0_13kernel_configILj256ELj4ELj4294967295EEENS1_37radix_sort_block_sort_config_selectorIfNS0_10empty_typeEEEZNS1_21radix_sort_block_sortIS4_Lb0EPfS9_PS6_SA_NS0_19identity_decomposerEEE10hipError_tT1_T2_T3_T4_jRjT5_jjP12ihipStream_tbEUlT_E_NS1_11comp_targetILNS1_3genE5ELNS1_11target_archE942ELNS1_3gpuE9ELNS1_3repE0EEENS1_44radix_sort_block_sort_config_static_selectorELNS0_4arch9wavefront6targetE1EEEvSD_,comdat
.Lfunc_end1219:
	.size	_ZN7rocprim17ROCPRIM_400000_NS6detail17trampoline_kernelINS0_13kernel_configILj256ELj4ELj4294967295EEENS1_37radix_sort_block_sort_config_selectorIfNS0_10empty_typeEEEZNS1_21radix_sort_block_sortIS4_Lb0EPfS9_PS6_SA_NS0_19identity_decomposerEEE10hipError_tT1_T2_T3_T4_jRjT5_jjP12ihipStream_tbEUlT_E_NS1_11comp_targetILNS1_3genE5ELNS1_11target_archE942ELNS1_3gpuE9ELNS1_3repE0EEENS1_44radix_sort_block_sort_config_static_selectorELNS0_4arch9wavefront6targetE1EEEvSD_, .Lfunc_end1219-_ZN7rocprim17ROCPRIM_400000_NS6detail17trampoline_kernelINS0_13kernel_configILj256ELj4ELj4294967295EEENS1_37radix_sort_block_sort_config_selectorIfNS0_10empty_typeEEEZNS1_21radix_sort_block_sortIS4_Lb0EPfS9_PS6_SA_NS0_19identity_decomposerEEE10hipError_tT1_T2_T3_T4_jRjT5_jjP12ihipStream_tbEUlT_E_NS1_11comp_targetILNS1_3genE5ELNS1_11target_archE942ELNS1_3gpuE9ELNS1_3repE0EEENS1_44radix_sort_block_sort_config_static_selectorELNS0_4arch9wavefront6targetE1EEEvSD_
                                        ; -- End function
	.section	.AMDGPU.csdata,"",@progbits
; Kernel info:
; codeLenInByte = 0
; NumSgprs: 4
; NumVgprs: 0
; NumAgprs: 0
; TotalNumVgprs: 0
; ScratchSize: 0
; MemoryBound: 0
; FloatMode: 240
; IeeeMode: 1
; LDSByteSize: 0 bytes/workgroup (compile time only)
; SGPRBlocks: 0
; VGPRBlocks: 0
; NumSGPRsForWavesPerEU: 4
; NumVGPRsForWavesPerEU: 1
; AccumOffset: 4
; Occupancy: 8
; WaveLimiterHint : 0
; COMPUTE_PGM_RSRC2:SCRATCH_EN: 0
; COMPUTE_PGM_RSRC2:USER_SGPR: 6
; COMPUTE_PGM_RSRC2:TRAP_HANDLER: 0
; COMPUTE_PGM_RSRC2:TGID_X_EN: 1
; COMPUTE_PGM_RSRC2:TGID_Y_EN: 0
; COMPUTE_PGM_RSRC2:TGID_Z_EN: 0
; COMPUTE_PGM_RSRC2:TIDIG_COMP_CNT: 0
; COMPUTE_PGM_RSRC3_GFX90A:ACCUM_OFFSET: 0
; COMPUTE_PGM_RSRC3_GFX90A:TG_SPLIT: 0
	.section	.text._ZN7rocprim17ROCPRIM_400000_NS6detail17trampoline_kernelINS0_13kernel_configILj256ELj4ELj4294967295EEENS1_37radix_sort_block_sort_config_selectorIfNS0_10empty_typeEEEZNS1_21radix_sort_block_sortIS4_Lb0EPfS9_PS6_SA_NS0_19identity_decomposerEEE10hipError_tT1_T2_T3_T4_jRjT5_jjP12ihipStream_tbEUlT_E_NS1_11comp_targetILNS1_3genE4ELNS1_11target_archE910ELNS1_3gpuE8ELNS1_3repE0EEENS1_44radix_sort_block_sort_config_static_selectorELNS0_4arch9wavefront6targetE1EEEvSD_,"axG",@progbits,_ZN7rocprim17ROCPRIM_400000_NS6detail17trampoline_kernelINS0_13kernel_configILj256ELj4ELj4294967295EEENS1_37radix_sort_block_sort_config_selectorIfNS0_10empty_typeEEEZNS1_21radix_sort_block_sortIS4_Lb0EPfS9_PS6_SA_NS0_19identity_decomposerEEE10hipError_tT1_T2_T3_T4_jRjT5_jjP12ihipStream_tbEUlT_E_NS1_11comp_targetILNS1_3genE4ELNS1_11target_archE910ELNS1_3gpuE8ELNS1_3repE0EEENS1_44radix_sort_block_sort_config_static_selectorELNS0_4arch9wavefront6targetE1EEEvSD_,comdat
	.protected	_ZN7rocprim17ROCPRIM_400000_NS6detail17trampoline_kernelINS0_13kernel_configILj256ELj4ELj4294967295EEENS1_37radix_sort_block_sort_config_selectorIfNS0_10empty_typeEEEZNS1_21radix_sort_block_sortIS4_Lb0EPfS9_PS6_SA_NS0_19identity_decomposerEEE10hipError_tT1_T2_T3_T4_jRjT5_jjP12ihipStream_tbEUlT_E_NS1_11comp_targetILNS1_3genE4ELNS1_11target_archE910ELNS1_3gpuE8ELNS1_3repE0EEENS1_44radix_sort_block_sort_config_static_selectorELNS0_4arch9wavefront6targetE1EEEvSD_ ; -- Begin function _ZN7rocprim17ROCPRIM_400000_NS6detail17trampoline_kernelINS0_13kernel_configILj256ELj4ELj4294967295EEENS1_37radix_sort_block_sort_config_selectorIfNS0_10empty_typeEEEZNS1_21radix_sort_block_sortIS4_Lb0EPfS9_PS6_SA_NS0_19identity_decomposerEEE10hipError_tT1_T2_T3_T4_jRjT5_jjP12ihipStream_tbEUlT_E_NS1_11comp_targetILNS1_3genE4ELNS1_11target_archE910ELNS1_3gpuE8ELNS1_3repE0EEENS1_44radix_sort_block_sort_config_static_selectorELNS0_4arch9wavefront6targetE1EEEvSD_
	.globl	_ZN7rocprim17ROCPRIM_400000_NS6detail17trampoline_kernelINS0_13kernel_configILj256ELj4ELj4294967295EEENS1_37radix_sort_block_sort_config_selectorIfNS0_10empty_typeEEEZNS1_21radix_sort_block_sortIS4_Lb0EPfS9_PS6_SA_NS0_19identity_decomposerEEE10hipError_tT1_T2_T3_T4_jRjT5_jjP12ihipStream_tbEUlT_E_NS1_11comp_targetILNS1_3genE4ELNS1_11target_archE910ELNS1_3gpuE8ELNS1_3repE0EEENS1_44radix_sort_block_sort_config_static_selectorELNS0_4arch9wavefront6targetE1EEEvSD_
	.p2align	8
	.type	_ZN7rocprim17ROCPRIM_400000_NS6detail17trampoline_kernelINS0_13kernel_configILj256ELj4ELj4294967295EEENS1_37radix_sort_block_sort_config_selectorIfNS0_10empty_typeEEEZNS1_21radix_sort_block_sortIS4_Lb0EPfS9_PS6_SA_NS0_19identity_decomposerEEE10hipError_tT1_T2_T3_T4_jRjT5_jjP12ihipStream_tbEUlT_E_NS1_11comp_targetILNS1_3genE4ELNS1_11target_archE910ELNS1_3gpuE8ELNS1_3repE0EEENS1_44radix_sort_block_sort_config_static_selectorELNS0_4arch9wavefront6targetE1EEEvSD_,@function
_ZN7rocprim17ROCPRIM_400000_NS6detail17trampoline_kernelINS0_13kernel_configILj256ELj4ELj4294967295EEENS1_37radix_sort_block_sort_config_selectorIfNS0_10empty_typeEEEZNS1_21radix_sort_block_sortIS4_Lb0EPfS9_PS6_SA_NS0_19identity_decomposerEEE10hipError_tT1_T2_T3_T4_jRjT5_jjP12ihipStream_tbEUlT_E_NS1_11comp_targetILNS1_3genE4ELNS1_11target_archE910ELNS1_3gpuE8ELNS1_3repE0EEENS1_44radix_sort_block_sort_config_static_selectorELNS0_4arch9wavefront6targetE1EEEvSD_: ; @_ZN7rocprim17ROCPRIM_400000_NS6detail17trampoline_kernelINS0_13kernel_configILj256ELj4ELj4294967295EEENS1_37radix_sort_block_sort_config_selectorIfNS0_10empty_typeEEEZNS1_21radix_sort_block_sortIS4_Lb0EPfS9_PS6_SA_NS0_19identity_decomposerEEE10hipError_tT1_T2_T3_T4_jRjT5_jjP12ihipStream_tbEUlT_E_NS1_11comp_targetILNS1_3genE4ELNS1_11target_archE910ELNS1_3gpuE8ELNS1_3repE0EEENS1_44radix_sort_block_sort_config_static_selectorELNS0_4arch9wavefront6targetE1EEEvSD_
; %bb.0:
	s_load_dword s7, s[4:5], 0x20
	s_load_dwordx4 s[28:31], s[4:5], 0x0
	s_lshl_b32 s0, s6, 10
	s_mov_b32 s1, 0
	v_mbcnt_lo_u32_b32 v1, -1, 0
	s_waitcnt lgkmcnt(0)
	s_lshr_b32 s2, s7, 10
	s_cmp_lg_u32 s6, s2
	s_cselect_b64 s[34:35], -1, 0
	s_lshl_b64 s[36:37], s[0:1], 2
	v_mbcnt_hi_u32_b32 v1, -1, v1
	v_and_b32_e32 v6, 0x3ff, v0
	s_add_u32 s1, s28, s36
	v_and_b32_e32 v10, 63, v1
	s_addc_u32 s3, s29, s37
	v_lshlrev_b32_e32 v7, 2, v6
	v_lshlrev_b32_e32 v2, 2, v10
	v_and_b32_e32 v11, 0x300, v7
	v_mov_b32_e32 v3, s3
	v_add_co_u32_e32 v2, vcc, s1, v2
	v_addc_co_u32_e32 v3, vcc, 0, v3, vcc
	v_lshlrev_b32_e32 v4, 2, v11
	v_add_co_u32_e32 v8, vcc, v2, v4
	s_cmp_eq_u32 s6, s2
	v_addc_co_u32_e32 v9, vcc, 0, v3, vcc
	v_or_b32_e32 v12, v10, v11
	s_cbranch_scc1 .LBB1220_2
; %bb.1:
	global_load_dword v2, v[8:9], off
	global_load_dword v3, v[8:9], off offset:256
	global_load_dword v4, v[8:9], off offset:512
	;; [unrolled: 1-line block ×3, first 2 shown]
	v_or_b32_e32 v19, v10, v11
	v_or_b32_e32 v10, 64, v19
	;; [unrolled: 1-line block ×4, first 2 shown]
	s_load_dwordx2 s[28:29], s[4:5], 0x28
	s_sub_i32 s33, s7, s0
	s_cbranch_execz .LBB1220_3
	s_branch .LBB1220_12
.LBB1220_2:
                                        ; implicit-def: $vgpr2_vgpr3_vgpr4_vgpr5
                                        ; implicit-def: $vgpr19
                                        ; implicit-def: $vgpr10
                                        ; implicit-def: $vgpr11
                                        ; implicit-def: $vgpr22
	s_load_dwordx2 s[28:29], s[4:5], 0x28
	s_sub_i32 s33, s7, s0
.LBB1220_3:
	s_brev_b32 s0, -2
	s_mov_b32 s2, s0
	s_mov_b32 s3, s0
	s_mov_b32 s1, s0
	s_waitcnt vmcnt(0)
	v_pk_mov_b32 v[4:5], s[2:3], s[2:3] op_sel:[0,1]
	v_cmp_gt_u32_e32 vcc, s33, v12
	v_pk_mov_b32 v[2:3], s[0:1], s[0:1] op_sel:[0,1]
	s_and_saveexec_b64 s[0:1], vcc
	s_cbranch_execz .LBB1220_5
; %bb.4:
	global_load_dword v2, v[8:9], off
	v_bfrev_b32_e32 v3, -2
	v_mov_b32_e32 v4, v3
	v_mov_b32_e32 v5, v3
.LBB1220_5:
	s_or_b64 exec, exec, s[0:1]
	v_or_b32_e32 v10, 64, v12
	v_cmp_gt_u32_e32 vcc, s33, v10
	s_and_saveexec_b64 s[0:1], vcc
	s_cbranch_execz .LBB1220_7
; %bb.6:
	global_load_dword v3, v[8:9], off offset:256
.LBB1220_7:
	s_or_b64 exec, exec, s[0:1]
	v_or_b32_e32 v11, 0x80, v12
	v_cmp_gt_u32_e32 vcc, s33, v11
	s_and_saveexec_b64 s[0:1], vcc
	s_cbranch_execz .LBB1220_9
; %bb.8:
	global_load_dword v4, v[8:9], off offset:512
.LBB1220_9:
	s_or_b64 exec, exec, s[0:1]
	v_or_b32_e32 v22, 0xc0, v12
	v_cmp_gt_u32_e32 vcc, s33, v22
	s_and_saveexec_b64 s[0:1], vcc
	s_cbranch_execz .LBB1220_11
; %bb.10:
	global_load_dword v5, v[8:9], off offset:768
.LBB1220_11:
	s_or_b64 exec, exec, s[0:1]
	v_mov_b32_e32 v19, v12
.LBB1220_12:
	v_bfrev_b32_e32 v12, 1
	s_waitcnt vmcnt(0)
	v_cmp_lt_i32_e32 vcc, -1, v2
	s_load_dword s2, s[4:5], 0x3c
	v_cndmask_b32_e32 v8, -1, v12, vcc
	v_cmp_lt_i32_e32 vcc, -1, v3
	v_xor_b32_e32 v2, v8, v2
	v_cndmask_b32_e32 v8, -1, v12, vcc
	v_cmp_lt_i32_e32 vcc, -1, v4
	s_waitcnt lgkmcnt(0)
	s_add_i32 s38, s29, s28
	v_xor_b32_e32 v3, v8, v3
	v_cndmask_b32_e32 v8, -1, v12, vcc
	v_cmp_lt_i32_e32 vcc, -1, v5
	v_xor_b32_e32 v27, v8, v4
	v_cndmask_b32_e32 v4, -1, v12, vcc
	s_getpc_b64 s[0:1]
	s_add_u32 s0, s0, _ZN7rocprim17ROCPRIM_400000_NS16block_radix_sortIfLj256ELj4ENS0_10empty_typeELj1ELj1ELj0ELNS0_26block_radix_rank_algorithmE1ELNS0_18block_padding_hintE2ELNS0_4arch9wavefront6targetE1EE19radix_bits_per_passE@rel32@lo+4
	s_addc_u32 s1, s1, _ZN7rocprim17ROCPRIM_400000_NS16block_radix_sortIfLj256ELj4ENS0_10empty_typeELj1ELj1ELj0ELNS0_26block_radix_rank_algorithmE1ELNS0_18block_padding_hintE2ELNS0_4arch9wavefront6targetE1EE19radix_bits_per_passE@rel32@hi+12
	v_xor_b32_e32 v28, v4, v5
	s_load_dword s39, s[0:1], 0x0
	s_lshr_b32 s0, s2, 16
	v_bfe_u32 v4, v0, 10, 10
	v_bfe_u32 v0, v0, 20, 10
	s_and_b32 s1, s2, 0xffff
	v_mad_u32_u24 v0, v0, s0, v4
	v_mad_u64_u32 v[4:5], s[0:1], v0, s1, v[6:7]
	v_and_b32_e32 v0, 15, v1
	v_cmp_eq_u32_e64 s[0:1], 0, v0
	v_cmp_lt_u32_e64 s[2:3], 1, v0
	v_cmp_lt_u32_e64 s[4:5], 3, v0
	;; [unrolled: 1-line block ×3, first 2 shown]
	v_and_b32_e32 v0, 16, v1
	v_cmp_eq_u32_e64 s[8:9], 0, v0
	v_and_b32_e32 v0, 0x3c0, v6
	v_min_u32_e32 v0, 0xc0, v0
	v_or_b32_e32 v0, 63, v0
	v_lshrrev_b32_e32 v14, 6, v4
	v_cmp_eq_u32_e64 s[12:13], v0, v6
	v_add_u32_e32 v0, -1, v1
	v_and_b32_e32 v4, 64, v1
	v_cmp_lt_i32_e32 vcc, v0, v4
	v_cndmask_b32_e32 v0, v0, v1, vcc
	s_mov_b32 s26, 0
	v_lshlrev_b32_e32 v16, 2, v0
	v_lshrrev_b32_e32 v0, 4, v6
	v_and_b32_e32 v17, 60, v0
	v_and_b32_e32 v0, 3, v1
	s_mov_b32 s27, s26
	s_mov_b32 s40, s26
	;; [unrolled: 1-line block ×3, first 2 shown]
	v_lshlrev_b32_e32 v13, 2, v7
	v_cmp_lt_u32_e64 s[10:11], 31, v1
	v_cmp_gt_u32_e64 s[14:15], 4, v6
	v_cmp_lt_u32_e64 s[16:17], 63, v6
	v_cmp_eq_u32_e64 s[18:19], 0, v1
	v_cmp_eq_u32_e64 s[20:21], 0, v6
	v_mul_i32_i24_e32 v15, -12, v6
	v_cmp_eq_u32_e64 s[22:23], 0, v0
	v_cmp_lt_u32_e64 s[24:25], 1, v0
	v_add_u32_e32 v18, -4, v17
	v_lshlrev_b32_e32 v19, 2, v19
	v_lshlrev_b32_e32 v20, 2, v10
	;; [unrolled: 1-line block ×4, first 2 shown]
	v_pk_mov_b32 v[4:5], s[26:27], s[26:27] op_sel:[0,1]
	v_pk_mov_b32 v[8:9], s[40:41], s[40:41] op_sel:[0,1]
	s_brev_b32 s40, -2
	v_mov_b32_e32 v10, 0
	s_branch .LBB1220_14
.LBB1220_13:                            ;   in Loop: Header=BB1220_14 Depth=1
	s_barrier
	ds_write_b32 v0, v26
	ds_write_b32 v1, v25
	;; [unrolled: 1-line block ×4, first 2 shown]
	s_waitcnt lgkmcnt(0)
	s_barrier
	ds_read_b32 v2, v19
	ds_read_b32 v3, v20
	;; [unrolled: 1-line block ×4, first 2 shown]
	s_add_i32 s29, s29, -8
	s_waitcnt lgkmcnt(0)
	s_barrier
	s_cbranch_execz .LBB1220_30
.LBB1220_14:                            ; =>This Inner Loop Header: Depth=1
	v_mov_b32_e32 v26, v2
	s_waitcnt lgkmcnt(0)
	s_min_u32 s26, s39, s29
	v_cmp_ne_u32_e32 vcc, s40, v26
	s_lshl_b32 s26, -1, s26
	v_cndmask_b32_e32 v0, v12, v26, vcc
	s_not_b32 s41, s26
	v_lshrrev_b32_e32 v0, s28, v0
	v_and_b32_e32 v0, s41, v0
	v_lshl_add_u32 v1, v0, 2, v14
	v_mov_b32_e32 v24, v27
	v_lshl_add_u32 v27, v1, 2, 16
	v_and_b32_e32 v1, 1, v0
	v_add_co_u32_e32 v2, vcc, -1, v1
	v_mov_b32_e32 v25, v3
	v_addc_co_u32_e64 v3, s[26:27], 0, -1, vcc
	v_cmp_ne_u32_e32 vcc, 0, v1
	v_lshlrev_b32_e32 v11, 30, v0
	v_xor_b32_e32 v1, vcc_hi, v3
	v_not_b32_e32 v3, v11
	v_xor_b32_e32 v2, vcc_lo, v2
	v_cmp_gt_i64_e32 vcc, 0, v[10:11]
	v_ashrrev_i32_e32 v3, 31, v3
	v_and_b32_e32 v1, exec_hi, v1
	v_xor_b32_e32 v11, vcc_hi, v3
	v_and_b32_e32 v2, exec_lo, v2
	v_xor_b32_e32 v3, vcc_lo, v3
	v_and_b32_e32 v1, v1, v11
	v_lshlrev_b32_e32 v11, 29, v0
	v_and_b32_e32 v2, v2, v3
	v_not_b32_e32 v3, v11
	v_cmp_gt_i64_e32 vcc, 0, v[10:11]
	v_ashrrev_i32_e32 v3, 31, v3
	v_xor_b32_e32 v11, vcc_hi, v3
	v_xor_b32_e32 v3, vcc_lo, v3
	v_and_b32_e32 v1, v1, v11
	v_lshlrev_b32_e32 v11, 28, v0
	v_and_b32_e32 v2, v2, v3
	v_not_b32_e32 v3, v11
	v_cmp_gt_i64_e32 vcc, 0, v[10:11]
	v_ashrrev_i32_e32 v3, 31, v3
	v_xor_b32_e32 v11, vcc_hi, v3
	;; [unrolled: 8-line block ×5, first 2 shown]
	v_and_b32_e32 v1, v1, v11
	v_lshlrev_b32_e32 v11, 24, v0
	v_not_b32_e32 v0, v11
	v_xor_b32_e32 v3, vcc_lo, v3
	v_cmp_gt_i64_e32 vcc, 0, v[10:11]
	v_ashrrev_i32_e32 v0, 31, v0
	v_and_b32_e32 v2, v2, v3
	v_xor_b32_e32 v3, vcc_hi, v0
	v_xor_b32_e32 v0, vcc_lo, v0
	v_and_b32_e32 v0, v2, v0
	v_and_b32_e32 v1, v1, v3
	v_mbcnt_lo_u32_b32 v2, v0, 0
	v_mov_b32_e32 v23, v28
	v_mbcnt_hi_u32_b32 v28, v1, v2
	v_cmp_eq_u32_e32 vcc, 0, v28
	v_cmp_ne_u64_e64 s[26:27], 0, v[0:1]
	s_and_b64 s[42:43], s[26:27], vcc
	ds_write2_b64 v13, v[4:5], v[8:9] offset0:2 offset1:3
	s_waitcnt lgkmcnt(0)
	s_barrier
	s_waitcnt lgkmcnt(0)
	; wave barrier
	s_and_saveexec_b64 s[26:27], s[42:43]
	s_cbranch_execz .LBB1220_16
; %bb.15:                               ;   in Loop: Header=BB1220_14 Depth=1
	v_bcnt_u32_b32 v0, v0, 0
	v_bcnt_u32_b32 v0, v1, v0
	ds_write_b32 v27, v0
.LBB1220_16:                            ;   in Loop: Header=BB1220_14 Depth=1
	s_or_b64 exec, exec, s[26:27]
	v_cmp_ne_u32_e32 vcc, s40, v25
	v_cndmask_b32_e32 v0, v12, v25, vcc
	v_lshrrev_b32_e32 v0, s28, v0
	v_and_b32_e32 v0, s41, v0
	v_lshlrev_b32_e32 v1, 2, v0
	v_add_lshl_u32 v1, v1, v14, 2
	; wave barrier
	v_add_u32_e32 v30, 16, v1
	ds_read_b32 v29, v1 offset:16
	v_and_b32_e32 v1, 1, v0
	v_add_co_u32_e32 v2, vcc, -1, v1
	v_addc_co_u32_e64 v3, s[26:27], 0, -1, vcc
	v_cmp_ne_u32_e32 vcc, 0, v1
	v_lshlrev_b32_e32 v11, 30, v0
	v_xor_b32_e32 v1, vcc_hi, v3
	v_not_b32_e32 v3, v11
	v_xor_b32_e32 v2, vcc_lo, v2
	v_cmp_gt_i64_e32 vcc, 0, v[10:11]
	v_ashrrev_i32_e32 v3, 31, v3
	v_and_b32_e32 v1, exec_hi, v1
	v_xor_b32_e32 v11, vcc_hi, v3
	v_and_b32_e32 v2, exec_lo, v2
	v_xor_b32_e32 v3, vcc_lo, v3
	v_and_b32_e32 v1, v1, v11
	v_lshlrev_b32_e32 v11, 29, v0
	v_and_b32_e32 v2, v2, v3
	v_not_b32_e32 v3, v11
	v_cmp_gt_i64_e32 vcc, 0, v[10:11]
	v_ashrrev_i32_e32 v3, 31, v3
	v_xor_b32_e32 v11, vcc_hi, v3
	v_xor_b32_e32 v3, vcc_lo, v3
	v_and_b32_e32 v1, v1, v11
	v_lshlrev_b32_e32 v11, 28, v0
	v_and_b32_e32 v2, v2, v3
	v_not_b32_e32 v3, v11
	v_cmp_gt_i64_e32 vcc, 0, v[10:11]
	v_ashrrev_i32_e32 v3, 31, v3
	v_xor_b32_e32 v11, vcc_hi, v3
	;; [unrolled: 8-line block ×5, first 2 shown]
	v_and_b32_e32 v1, v1, v11
	v_lshlrev_b32_e32 v11, 24, v0
	v_not_b32_e32 v0, v11
	v_xor_b32_e32 v3, vcc_lo, v3
	v_cmp_gt_i64_e32 vcc, 0, v[10:11]
	v_ashrrev_i32_e32 v0, 31, v0
	v_and_b32_e32 v2, v2, v3
	v_xor_b32_e32 v3, vcc_hi, v0
	v_xor_b32_e32 v0, vcc_lo, v0
	v_and_b32_e32 v0, v2, v0
	v_and_b32_e32 v1, v1, v3
	v_mbcnt_lo_u32_b32 v2, v0, 0
	v_mbcnt_hi_u32_b32 v31, v1, v2
	v_cmp_eq_u32_e32 vcc, 0, v31
	v_cmp_ne_u64_e64 s[26:27], 0, v[0:1]
	s_and_b64 s[42:43], s[26:27], vcc
	; wave barrier
	s_and_saveexec_b64 s[26:27], s[42:43]
	s_cbranch_execz .LBB1220_18
; %bb.17:                               ;   in Loop: Header=BB1220_14 Depth=1
	v_bcnt_u32_b32 v0, v0, 0
	v_bcnt_u32_b32 v0, v1, v0
	s_waitcnt lgkmcnt(0)
	v_add_u32_e32 v0, v29, v0
	ds_write_b32 v30, v0
.LBB1220_18:                            ;   in Loop: Header=BB1220_14 Depth=1
	s_or_b64 exec, exec, s[26:27]
	v_cmp_ne_u32_e32 vcc, s40, v24
	v_cndmask_b32_e32 v0, v12, v24, vcc
	v_lshrrev_b32_e32 v0, s28, v0
	v_and_b32_e32 v0, s41, v0
	v_lshlrev_b32_e32 v1, 2, v0
	v_add_lshl_u32 v1, v1, v14, 2
	; wave barrier
	v_add_u32_e32 v33, 16, v1
	ds_read_b32 v32, v1 offset:16
	v_and_b32_e32 v1, 1, v0
	v_add_co_u32_e32 v2, vcc, -1, v1
	v_addc_co_u32_e64 v3, s[26:27], 0, -1, vcc
	v_cmp_ne_u32_e32 vcc, 0, v1
	v_lshlrev_b32_e32 v11, 30, v0
	v_xor_b32_e32 v1, vcc_hi, v3
	v_not_b32_e32 v3, v11
	v_xor_b32_e32 v2, vcc_lo, v2
	v_cmp_gt_i64_e32 vcc, 0, v[10:11]
	v_ashrrev_i32_e32 v3, 31, v3
	v_and_b32_e32 v1, exec_hi, v1
	v_xor_b32_e32 v11, vcc_hi, v3
	v_and_b32_e32 v2, exec_lo, v2
	v_xor_b32_e32 v3, vcc_lo, v3
	v_and_b32_e32 v1, v1, v11
	v_lshlrev_b32_e32 v11, 29, v0
	v_and_b32_e32 v2, v2, v3
	v_not_b32_e32 v3, v11
	v_cmp_gt_i64_e32 vcc, 0, v[10:11]
	v_ashrrev_i32_e32 v3, 31, v3
	v_xor_b32_e32 v11, vcc_hi, v3
	v_xor_b32_e32 v3, vcc_lo, v3
	v_and_b32_e32 v1, v1, v11
	v_lshlrev_b32_e32 v11, 28, v0
	v_and_b32_e32 v2, v2, v3
	v_not_b32_e32 v3, v11
	v_cmp_gt_i64_e32 vcc, 0, v[10:11]
	v_ashrrev_i32_e32 v3, 31, v3
	v_xor_b32_e32 v11, vcc_hi, v3
	v_xor_b32_e32 v3, vcc_lo, v3
	v_and_b32_e32 v1, v1, v11
	v_lshlrev_b32_e32 v11, 27, v0
	v_and_b32_e32 v2, v2, v3
	v_not_b32_e32 v3, v11
	v_cmp_gt_i64_e32 vcc, 0, v[10:11]
	v_ashrrev_i32_e32 v3, 31, v3
	v_xor_b32_e32 v11, vcc_hi, v3
	v_xor_b32_e32 v3, vcc_lo, v3
	v_and_b32_e32 v1, v1, v11
	v_lshlrev_b32_e32 v11, 26, v0
	v_and_b32_e32 v2, v2, v3
	v_not_b32_e32 v3, v11
	v_cmp_gt_i64_e32 vcc, 0, v[10:11]
	v_ashrrev_i32_e32 v3, 31, v3
	v_xor_b32_e32 v11, vcc_hi, v3
	v_xor_b32_e32 v3, vcc_lo, v3
	v_and_b32_e32 v1, v1, v11
	v_lshlrev_b32_e32 v11, 25, v0
	v_and_b32_e32 v2, v2, v3
	v_not_b32_e32 v3, v11
	v_cmp_gt_i64_e32 vcc, 0, v[10:11]
	v_ashrrev_i32_e32 v3, 31, v3
	v_xor_b32_e32 v11, vcc_hi, v3
	v_and_b32_e32 v1, v1, v11
	v_lshlrev_b32_e32 v11, 24, v0
	v_not_b32_e32 v0, v11
	v_xor_b32_e32 v3, vcc_lo, v3
	v_cmp_gt_i64_e32 vcc, 0, v[10:11]
	v_ashrrev_i32_e32 v0, 31, v0
	v_and_b32_e32 v2, v2, v3
	v_xor_b32_e32 v3, vcc_hi, v0
	v_xor_b32_e32 v0, vcc_lo, v0
	v_and_b32_e32 v0, v2, v0
	v_and_b32_e32 v1, v1, v3
	v_mbcnt_lo_u32_b32 v2, v0, 0
	v_mbcnt_hi_u32_b32 v34, v1, v2
	v_cmp_eq_u32_e32 vcc, 0, v34
	v_cmp_ne_u64_e64 s[26:27], 0, v[0:1]
	s_and_b64 s[42:43], s[26:27], vcc
	; wave barrier
	s_and_saveexec_b64 s[26:27], s[42:43]
	s_cbranch_execz .LBB1220_20
; %bb.19:                               ;   in Loop: Header=BB1220_14 Depth=1
	v_bcnt_u32_b32 v0, v0, 0
	v_bcnt_u32_b32 v0, v1, v0
	s_waitcnt lgkmcnt(0)
	v_add_u32_e32 v0, v32, v0
	ds_write_b32 v33, v0
.LBB1220_20:                            ;   in Loop: Header=BB1220_14 Depth=1
	s_or_b64 exec, exec, s[26:27]
	v_cmp_ne_u32_e32 vcc, s40, v23
	v_cndmask_b32_e32 v0, v12, v23, vcc
	v_lshrrev_b32_e32 v0, s28, v0
	v_and_b32_e32 v0, s41, v0
	v_lshlrev_b32_e32 v1, 2, v0
	v_add_lshl_u32 v1, v1, v14, 2
	; wave barrier
	v_add_u32_e32 v36, 16, v1
	ds_read_b32 v35, v1 offset:16
	v_and_b32_e32 v1, 1, v0
	v_add_co_u32_e32 v2, vcc, -1, v1
	v_addc_co_u32_e64 v3, s[26:27], 0, -1, vcc
	v_cmp_ne_u32_e32 vcc, 0, v1
	v_lshlrev_b32_e32 v11, 30, v0
	v_xor_b32_e32 v1, vcc_hi, v3
	v_not_b32_e32 v3, v11
	v_xor_b32_e32 v2, vcc_lo, v2
	v_cmp_gt_i64_e32 vcc, 0, v[10:11]
	v_ashrrev_i32_e32 v3, 31, v3
	v_and_b32_e32 v1, exec_hi, v1
	v_xor_b32_e32 v11, vcc_hi, v3
	v_and_b32_e32 v2, exec_lo, v2
	v_xor_b32_e32 v3, vcc_lo, v3
	v_and_b32_e32 v1, v1, v11
	v_lshlrev_b32_e32 v11, 29, v0
	v_and_b32_e32 v2, v2, v3
	v_not_b32_e32 v3, v11
	v_cmp_gt_i64_e32 vcc, 0, v[10:11]
	v_ashrrev_i32_e32 v3, 31, v3
	v_xor_b32_e32 v11, vcc_hi, v3
	v_xor_b32_e32 v3, vcc_lo, v3
	v_and_b32_e32 v1, v1, v11
	v_lshlrev_b32_e32 v11, 28, v0
	v_and_b32_e32 v2, v2, v3
	v_not_b32_e32 v3, v11
	v_cmp_gt_i64_e32 vcc, 0, v[10:11]
	v_ashrrev_i32_e32 v3, 31, v3
	v_xor_b32_e32 v11, vcc_hi, v3
	;; [unrolled: 8-line block ×5, first 2 shown]
	v_and_b32_e32 v1, v1, v11
	v_lshlrev_b32_e32 v11, 24, v0
	v_not_b32_e32 v0, v11
	v_xor_b32_e32 v3, vcc_lo, v3
	v_cmp_gt_i64_e32 vcc, 0, v[10:11]
	v_ashrrev_i32_e32 v0, 31, v0
	v_and_b32_e32 v2, v2, v3
	v_xor_b32_e32 v3, vcc_hi, v0
	v_xor_b32_e32 v0, vcc_lo, v0
	v_and_b32_e32 v0, v2, v0
	v_and_b32_e32 v1, v1, v3
	v_mbcnt_lo_u32_b32 v2, v0, 0
	v_mbcnt_hi_u32_b32 v11, v1, v2
	v_cmp_eq_u32_e32 vcc, 0, v11
	v_cmp_ne_u64_e64 s[26:27], 0, v[0:1]
	s_and_b64 s[42:43], s[26:27], vcc
	; wave barrier
	s_and_saveexec_b64 s[26:27], s[42:43]
	s_cbranch_execz .LBB1220_22
; %bb.21:                               ;   in Loop: Header=BB1220_14 Depth=1
	v_bcnt_u32_b32 v0, v0, 0
	v_bcnt_u32_b32 v0, v1, v0
	s_waitcnt lgkmcnt(0)
	v_add_u32_e32 v0, v35, v0
	ds_write_b32 v36, v0
.LBB1220_22:                            ;   in Loop: Header=BB1220_14 Depth=1
	s_or_b64 exec, exec, s[26:27]
	; wave barrier
	s_waitcnt lgkmcnt(0)
	s_barrier
	ds_read2_b64 v[0:3], v13 offset0:2 offset1:3
	s_waitcnt lgkmcnt(0)
	v_add_u32_e32 v37, v1, v0
	v_add3_u32 v3, v37, v2, v3
	s_nop 1
	v_mov_b32_dpp v37, v3 row_shr:1 row_mask:0xf bank_mask:0xf
	v_cndmask_b32_e64 v37, v37, 0, s[0:1]
	v_add_u32_e32 v3, v37, v3
	s_nop 1
	v_mov_b32_dpp v37, v3 row_shr:2 row_mask:0xf bank_mask:0xf
	v_cndmask_b32_e64 v37, 0, v37, s[2:3]
	v_add_u32_e32 v3, v3, v37
	;; [unrolled: 4-line block ×4, first 2 shown]
	s_nop 1
	v_mov_b32_dpp v37, v3 row_bcast:15 row_mask:0xf bank_mask:0xf
	v_cndmask_b32_e64 v37, v37, 0, s[8:9]
	v_add_u32_e32 v3, v3, v37
	s_nop 1
	v_mov_b32_dpp v37, v3 row_bcast:31 row_mask:0xf bank_mask:0xf
	v_cndmask_b32_e64 v37, 0, v37, s[10:11]
	v_add_u32_e32 v3, v3, v37
	s_and_saveexec_b64 s[26:27], s[12:13]
	s_cbranch_execz .LBB1220_24
; %bb.23:                               ;   in Loop: Header=BB1220_14 Depth=1
	ds_write_b32 v17, v3
.LBB1220_24:                            ;   in Loop: Header=BB1220_14 Depth=1
	s_or_b64 exec, exec, s[26:27]
	s_waitcnt lgkmcnt(0)
	s_barrier
	s_and_saveexec_b64 s[26:27], s[14:15]
	s_cbranch_execz .LBB1220_26
; %bb.25:                               ;   in Loop: Header=BB1220_14 Depth=1
	v_add_u32_e32 v37, v13, v15
	ds_read_b32 v38, v37
	s_waitcnt lgkmcnt(0)
	s_nop 0
	v_mov_b32_dpp v39, v38 row_shr:1 row_mask:0xf bank_mask:0xf
	v_cndmask_b32_e64 v39, v39, 0, s[22:23]
	v_add_u32_e32 v38, v39, v38
	s_nop 1
	v_mov_b32_dpp v39, v38 row_shr:2 row_mask:0xf bank_mask:0xf
	v_cndmask_b32_e64 v39, 0, v39, s[24:25]
	v_add_u32_e32 v38, v38, v39
	ds_write_b32 v37, v38
.LBB1220_26:                            ;   in Loop: Header=BB1220_14 Depth=1
	s_or_b64 exec, exec, s[26:27]
	v_mov_b32_e32 v37, 0
	s_waitcnt lgkmcnt(0)
	s_barrier
	s_and_saveexec_b64 s[26:27], s[16:17]
	s_cbranch_execz .LBB1220_28
; %bb.27:                               ;   in Loop: Header=BB1220_14 Depth=1
	ds_read_b32 v37, v18
.LBB1220_28:                            ;   in Loop: Header=BB1220_14 Depth=1
	s_or_b64 exec, exec, s[26:27]
	s_waitcnt lgkmcnt(0)
	v_add_u32_e32 v3, v37, v3
	ds_bpermute_b32 v3, v16, v3
	s_add_i32 s28, s28, 8
	s_cmp_ge_u32 s28, s38
	s_waitcnt lgkmcnt(0)
	v_cndmask_b32_e64 v3, v3, v37, s[18:19]
	v_cndmask_b32_e64 v38, v3, 0, s[20:21]
	v_add_u32_e32 v39, v38, v0
	v_add_u32_e32 v0, v39, v1
	;; [unrolled: 1-line block ×3, first 2 shown]
	ds_write2_b64 v13, v[38:39], v[0:1] offset0:2 offset1:3
	s_waitcnt lgkmcnt(0)
	s_barrier
	ds_read_b32 v0, v27
	ds_read_b32 v1, v30
	;; [unrolled: 1-line block ×4, first 2 shown]
	v_lshlrev_b32_e32 v27, 2, v28
	s_waitcnt lgkmcnt(3)
	v_lshl_add_u32 v0, v0, 2, v27
	v_lshlrev_b32_e32 v27, 2, v31
	v_lshlrev_b32_e32 v28, 2, v29
	s_waitcnt lgkmcnt(2)
	v_lshlrev_b32_e32 v1, 2, v1
	v_add3_u32 v1, v27, v28, v1
	v_lshlrev_b32_e32 v27, 2, v34
	v_lshlrev_b32_e32 v28, 2, v32
	s_waitcnt lgkmcnt(1)
	v_lshlrev_b32_e32 v2, 2, v2
	v_add3_u32 v29, v27, v28, v2
	;; [unrolled: 5-line block ×3, first 2 shown]
	s_cbranch_scc0 .LBB1220_13
; %bb.29:
                                        ; implicit-def: $vgpr28
                                        ; implicit-def: $vgpr27
                                        ; implicit-def: $vgpr3
                                        ; implicit-def: $vgpr2
                                        ; implicit-def: $sgpr28
.LBB1220_30:
	s_barrier
	ds_write_b32 v0, v26
	ds_write_b32 v1, v25
	;; [unrolled: 1-line block ×4, first 2 shown]
	v_add_u32_e32 v0, v13, v15
	s_waitcnt lgkmcnt(0)
	s_barrier
	ds_read_b32 v3, v0
	ds_read2st64_b32 v[0:1], v7 offset0:4 offset1:8
	ds_read_b32 v2, v7 offset:3072
	v_bfrev_b32_e32 v8, 1
	s_add_u32 s0, s30, s36
	s_waitcnt lgkmcnt(2)
	v_cmp_lt_i32_e32 vcc, -1, v3
	v_cndmask_b32_e64 v4, v8, -1, vcc
	s_waitcnt lgkmcnt(1)
	v_cmp_lt_i32_e32 vcc, -1, v0
	v_xor_b32_e32 v5, v4, v3
	v_cndmask_b32_e64 v3, v8, -1, vcc
	v_cmp_lt_i32_e32 vcc, -1, v1
	v_xor_b32_e32 v4, v3, v0
	v_cndmask_b32_e64 v0, v8, -1, vcc
	s_addc_u32 s1, s31, s37
	v_xor_b32_e32 v3, v0, v1
	v_mov_b32_e32 v1, s1
	v_add_co_u32_e64 v0, s[0:1], s0, v7
	s_andn2_b64 vcc, exec, s[34:35]
	v_addc_co_u32_e64 v1, s[0:1], 0, v1, s[0:1]
	s_cbranch_vccnz .LBB1220_32
; %bb.31:
	s_mov_b64 s[0:1], -1
	global_store_dword v[0:1], v5, off
	global_store_dword v[0:1], v4, off offset:1024
	global_store_dword v[0:1], v3, off offset:2048
	s_cbranch_execz .LBB1220_33
	s_branch .LBB1220_40
.LBB1220_32:
	s_mov_b64 s[0:1], 0
.LBB1220_33:
	v_cmp_gt_u32_e32 vcc, s33, v6
	s_and_saveexec_b64 s[0:1], vcc
	s_cbranch_execz .LBB1220_35
; %bb.34:
	global_store_dword v[0:1], v5, off
.LBB1220_35:
	s_or_b64 exec, exec, s[0:1]
	v_add_u32_e32 v5, 0x100, v6
	v_cmp_gt_u32_e32 vcc, s33, v5
	s_and_saveexec_b64 s[0:1], vcc
	s_cbranch_execz .LBB1220_37
; %bb.36:
	global_store_dword v[0:1], v4, off offset:1024
.LBB1220_37:
	s_or_b64 exec, exec, s[0:1]
	v_add_u32_e32 v4, 0x200, v6
	v_cmp_gt_u32_e32 vcc, s33, v4
	s_and_saveexec_b64 s[0:1], vcc
	s_cbranch_execz .LBB1220_39
; %bb.38:
	global_store_dword v[0:1], v3, off offset:2048
.LBB1220_39:
	s_or_b64 exec, exec, s[0:1]
	v_add_u32_e32 v3, 0x300, v6
	v_cmp_gt_u32_e64 s[0:1], s33, v3
.LBB1220_40:
	s_and_saveexec_b64 s[2:3], s[0:1]
	s_cbranch_execnz .LBB1220_42
; %bb.41:
	s_endpgm
.LBB1220_42:
	v_bfrev_b32_e32 v3, 1
	s_waitcnt lgkmcnt(0)
	v_cmp_lt_i32_e32 vcc, -1, v2
	v_cndmask_b32_e64 v3, v3, -1, vcc
	v_xor_b32_e32 v2, v3, v2
	global_store_dword v[0:1], v2, off offset:3072
	s_endpgm
	.section	.rodata,"a",@progbits
	.p2align	6, 0x0
	.amdhsa_kernel _ZN7rocprim17ROCPRIM_400000_NS6detail17trampoline_kernelINS0_13kernel_configILj256ELj4ELj4294967295EEENS1_37radix_sort_block_sort_config_selectorIfNS0_10empty_typeEEEZNS1_21radix_sort_block_sortIS4_Lb0EPfS9_PS6_SA_NS0_19identity_decomposerEEE10hipError_tT1_T2_T3_T4_jRjT5_jjP12ihipStream_tbEUlT_E_NS1_11comp_targetILNS1_3genE4ELNS1_11target_archE910ELNS1_3gpuE8ELNS1_3repE0EEENS1_44radix_sort_block_sort_config_static_selectorELNS0_4arch9wavefront6targetE1EEEvSD_
		.amdhsa_group_segment_fixed_size 4112
		.amdhsa_private_segment_fixed_size 0
		.amdhsa_kernarg_size 304
		.amdhsa_user_sgpr_count 6
		.amdhsa_user_sgpr_private_segment_buffer 1
		.amdhsa_user_sgpr_dispatch_ptr 0
		.amdhsa_user_sgpr_queue_ptr 0
		.amdhsa_user_sgpr_kernarg_segment_ptr 1
		.amdhsa_user_sgpr_dispatch_id 0
		.amdhsa_user_sgpr_flat_scratch_init 0
		.amdhsa_user_sgpr_kernarg_preload_length 0
		.amdhsa_user_sgpr_kernarg_preload_offset 0
		.amdhsa_user_sgpr_private_segment_size 0
		.amdhsa_uses_dynamic_stack 0
		.amdhsa_system_sgpr_private_segment_wavefront_offset 0
		.amdhsa_system_sgpr_workgroup_id_x 1
		.amdhsa_system_sgpr_workgroup_id_y 0
		.amdhsa_system_sgpr_workgroup_id_z 0
		.amdhsa_system_sgpr_workgroup_info 0
		.amdhsa_system_vgpr_workitem_id 2
		.amdhsa_next_free_vgpr 40
		.amdhsa_next_free_sgpr 44
		.amdhsa_accum_offset 40
		.amdhsa_reserve_vcc 1
		.amdhsa_reserve_flat_scratch 0
		.amdhsa_float_round_mode_32 0
		.amdhsa_float_round_mode_16_64 0
		.amdhsa_float_denorm_mode_32 3
		.amdhsa_float_denorm_mode_16_64 3
		.amdhsa_dx10_clamp 1
		.amdhsa_ieee_mode 1
		.amdhsa_fp16_overflow 0
		.amdhsa_tg_split 0
		.amdhsa_exception_fp_ieee_invalid_op 0
		.amdhsa_exception_fp_denorm_src 0
		.amdhsa_exception_fp_ieee_div_zero 0
		.amdhsa_exception_fp_ieee_overflow 0
		.amdhsa_exception_fp_ieee_underflow 0
		.amdhsa_exception_fp_ieee_inexact 0
		.amdhsa_exception_int_div_zero 0
	.end_amdhsa_kernel
	.section	.text._ZN7rocprim17ROCPRIM_400000_NS6detail17trampoline_kernelINS0_13kernel_configILj256ELj4ELj4294967295EEENS1_37radix_sort_block_sort_config_selectorIfNS0_10empty_typeEEEZNS1_21radix_sort_block_sortIS4_Lb0EPfS9_PS6_SA_NS0_19identity_decomposerEEE10hipError_tT1_T2_T3_T4_jRjT5_jjP12ihipStream_tbEUlT_E_NS1_11comp_targetILNS1_3genE4ELNS1_11target_archE910ELNS1_3gpuE8ELNS1_3repE0EEENS1_44radix_sort_block_sort_config_static_selectorELNS0_4arch9wavefront6targetE1EEEvSD_,"axG",@progbits,_ZN7rocprim17ROCPRIM_400000_NS6detail17trampoline_kernelINS0_13kernel_configILj256ELj4ELj4294967295EEENS1_37radix_sort_block_sort_config_selectorIfNS0_10empty_typeEEEZNS1_21radix_sort_block_sortIS4_Lb0EPfS9_PS6_SA_NS0_19identity_decomposerEEE10hipError_tT1_T2_T3_T4_jRjT5_jjP12ihipStream_tbEUlT_E_NS1_11comp_targetILNS1_3genE4ELNS1_11target_archE910ELNS1_3gpuE8ELNS1_3repE0EEENS1_44radix_sort_block_sort_config_static_selectorELNS0_4arch9wavefront6targetE1EEEvSD_,comdat
.Lfunc_end1220:
	.size	_ZN7rocprim17ROCPRIM_400000_NS6detail17trampoline_kernelINS0_13kernel_configILj256ELj4ELj4294967295EEENS1_37radix_sort_block_sort_config_selectorIfNS0_10empty_typeEEEZNS1_21radix_sort_block_sortIS4_Lb0EPfS9_PS6_SA_NS0_19identity_decomposerEEE10hipError_tT1_T2_T3_T4_jRjT5_jjP12ihipStream_tbEUlT_E_NS1_11comp_targetILNS1_3genE4ELNS1_11target_archE910ELNS1_3gpuE8ELNS1_3repE0EEENS1_44radix_sort_block_sort_config_static_selectorELNS0_4arch9wavefront6targetE1EEEvSD_, .Lfunc_end1220-_ZN7rocprim17ROCPRIM_400000_NS6detail17trampoline_kernelINS0_13kernel_configILj256ELj4ELj4294967295EEENS1_37radix_sort_block_sort_config_selectorIfNS0_10empty_typeEEEZNS1_21radix_sort_block_sortIS4_Lb0EPfS9_PS6_SA_NS0_19identity_decomposerEEE10hipError_tT1_T2_T3_T4_jRjT5_jjP12ihipStream_tbEUlT_E_NS1_11comp_targetILNS1_3genE4ELNS1_11target_archE910ELNS1_3gpuE8ELNS1_3repE0EEENS1_44radix_sort_block_sort_config_static_selectorELNS0_4arch9wavefront6targetE1EEEvSD_
                                        ; -- End function
	.section	.AMDGPU.csdata,"",@progbits
; Kernel info:
; codeLenInByte = 3280
; NumSgprs: 48
; NumVgprs: 40
; NumAgprs: 0
; TotalNumVgprs: 40
; ScratchSize: 0
; MemoryBound: 0
; FloatMode: 240
; IeeeMode: 1
; LDSByteSize: 4112 bytes/workgroup (compile time only)
; SGPRBlocks: 5
; VGPRBlocks: 4
; NumSGPRsForWavesPerEU: 48
; NumVGPRsForWavesPerEU: 40
; AccumOffset: 40
; Occupancy: 8
; WaveLimiterHint : 1
; COMPUTE_PGM_RSRC2:SCRATCH_EN: 0
; COMPUTE_PGM_RSRC2:USER_SGPR: 6
; COMPUTE_PGM_RSRC2:TRAP_HANDLER: 0
; COMPUTE_PGM_RSRC2:TGID_X_EN: 1
; COMPUTE_PGM_RSRC2:TGID_Y_EN: 0
; COMPUTE_PGM_RSRC2:TGID_Z_EN: 0
; COMPUTE_PGM_RSRC2:TIDIG_COMP_CNT: 2
; COMPUTE_PGM_RSRC3_GFX90A:ACCUM_OFFSET: 9
; COMPUTE_PGM_RSRC3_GFX90A:TG_SPLIT: 0
	.section	.text._ZN7rocprim17ROCPRIM_400000_NS6detail17trampoline_kernelINS0_13kernel_configILj256ELj4ELj4294967295EEENS1_37radix_sort_block_sort_config_selectorIfNS0_10empty_typeEEEZNS1_21radix_sort_block_sortIS4_Lb0EPfS9_PS6_SA_NS0_19identity_decomposerEEE10hipError_tT1_T2_T3_T4_jRjT5_jjP12ihipStream_tbEUlT_E_NS1_11comp_targetILNS1_3genE3ELNS1_11target_archE908ELNS1_3gpuE7ELNS1_3repE0EEENS1_44radix_sort_block_sort_config_static_selectorELNS0_4arch9wavefront6targetE1EEEvSD_,"axG",@progbits,_ZN7rocprim17ROCPRIM_400000_NS6detail17trampoline_kernelINS0_13kernel_configILj256ELj4ELj4294967295EEENS1_37radix_sort_block_sort_config_selectorIfNS0_10empty_typeEEEZNS1_21radix_sort_block_sortIS4_Lb0EPfS9_PS6_SA_NS0_19identity_decomposerEEE10hipError_tT1_T2_T3_T4_jRjT5_jjP12ihipStream_tbEUlT_E_NS1_11comp_targetILNS1_3genE3ELNS1_11target_archE908ELNS1_3gpuE7ELNS1_3repE0EEENS1_44radix_sort_block_sort_config_static_selectorELNS0_4arch9wavefront6targetE1EEEvSD_,comdat
	.protected	_ZN7rocprim17ROCPRIM_400000_NS6detail17trampoline_kernelINS0_13kernel_configILj256ELj4ELj4294967295EEENS1_37radix_sort_block_sort_config_selectorIfNS0_10empty_typeEEEZNS1_21radix_sort_block_sortIS4_Lb0EPfS9_PS6_SA_NS0_19identity_decomposerEEE10hipError_tT1_T2_T3_T4_jRjT5_jjP12ihipStream_tbEUlT_E_NS1_11comp_targetILNS1_3genE3ELNS1_11target_archE908ELNS1_3gpuE7ELNS1_3repE0EEENS1_44radix_sort_block_sort_config_static_selectorELNS0_4arch9wavefront6targetE1EEEvSD_ ; -- Begin function _ZN7rocprim17ROCPRIM_400000_NS6detail17trampoline_kernelINS0_13kernel_configILj256ELj4ELj4294967295EEENS1_37radix_sort_block_sort_config_selectorIfNS0_10empty_typeEEEZNS1_21radix_sort_block_sortIS4_Lb0EPfS9_PS6_SA_NS0_19identity_decomposerEEE10hipError_tT1_T2_T3_T4_jRjT5_jjP12ihipStream_tbEUlT_E_NS1_11comp_targetILNS1_3genE3ELNS1_11target_archE908ELNS1_3gpuE7ELNS1_3repE0EEENS1_44radix_sort_block_sort_config_static_selectorELNS0_4arch9wavefront6targetE1EEEvSD_
	.globl	_ZN7rocprim17ROCPRIM_400000_NS6detail17trampoline_kernelINS0_13kernel_configILj256ELj4ELj4294967295EEENS1_37radix_sort_block_sort_config_selectorIfNS0_10empty_typeEEEZNS1_21radix_sort_block_sortIS4_Lb0EPfS9_PS6_SA_NS0_19identity_decomposerEEE10hipError_tT1_T2_T3_T4_jRjT5_jjP12ihipStream_tbEUlT_E_NS1_11comp_targetILNS1_3genE3ELNS1_11target_archE908ELNS1_3gpuE7ELNS1_3repE0EEENS1_44radix_sort_block_sort_config_static_selectorELNS0_4arch9wavefront6targetE1EEEvSD_
	.p2align	8
	.type	_ZN7rocprim17ROCPRIM_400000_NS6detail17trampoline_kernelINS0_13kernel_configILj256ELj4ELj4294967295EEENS1_37radix_sort_block_sort_config_selectorIfNS0_10empty_typeEEEZNS1_21radix_sort_block_sortIS4_Lb0EPfS9_PS6_SA_NS0_19identity_decomposerEEE10hipError_tT1_T2_T3_T4_jRjT5_jjP12ihipStream_tbEUlT_E_NS1_11comp_targetILNS1_3genE3ELNS1_11target_archE908ELNS1_3gpuE7ELNS1_3repE0EEENS1_44radix_sort_block_sort_config_static_selectorELNS0_4arch9wavefront6targetE1EEEvSD_,@function
_ZN7rocprim17ROCPRIM_400000_NS6detail17trampoline_kernelINS0_13kernel_configILj256ELj4ELj4294967295EEENS1_37radix_sort_block_sort_config_selectorIfNS0_10empty_typeEEEZNS1_21radix_sort_block_sortIS4_Lb0EPfS9_PS6_SA_NS0_19identity_decomposerEEE10hipError_tT1_T2_T3_T4_jRjT5_jjP12ihipStream_tbEUlT_E_NS1_11comp_targetILNS1_3genE3ELNS1_11target_archE908ELNS1_3gpuE7ELNS1_3repE0EEENS1_44radix_sort_block_sort_config_static_selectorELNS0_4arch9wavefront6targetE1EEEvSD_: ; @_ZN7rocprim17ROCPRIM_400000_NS6detail17trampoline_kernelINS0_13kernel_configILj256ELj4ELj4294967295EEENS1_37radix_sort_block_sort_config_selectorIfNS0_10empty_typeEEEZNS1_21radix_sort_block_sortIS4_Lb0EPfS9_PS6_SA_NS0_19identity_decomposerEEE10hipError_tT1_T2_T3_T4_jRjT5_jjP12ihipStream_tbEUlT_E_NS1_11comp_targetILNS1_3genE3ELNS1_11target_archE908ELNS1_3gpuE7ELNS1_3repE0EEENS1_44radix_sort_block_sort_config_static_selectorELNS0_4arch9wavefront6targetE1EEEvSD_
; %bb.0:
	.section	.rodata,"a",@progbits
	.p2align	6, 0x0
	.amdhsa_kernel _ZN7rocprim17ROCPRIM_400000_NS6detail17trampoline_kernelINS0_13kernel_configILj256ELj4ELj4294967295EEENS1_37radix_sort_block_sort_config_selectorIfNS0_10empty_typeEEEZNS1_21radix_sort_block_sortIS4_Lb0EPfS9_PS6_SA_NS0_19identity_decomposerEEE10hipError_tT1_T2_T3_T4_jRjT5_jjP12ihipStream_tbEUlT_E_NS1_11comp_targetILNS1_3genE3ELNS1_11target_archE908ELNS1_3gpuE7ELNS1_3repE0EEENS1_44radix_sort_block_sort_config_static_selectorELNS0_4arch9wavefront6targetE1EEEvSD_
		.amdhsa_group_segment_fixed_size 0
		.amdhsa_private_segment_fixed_size 0
		.amdhsa_kernarg_size 48
		.amdhsa_user_sgpr_count 6
		.amdhsa_user_sgpr_private_segment_buffer 1
		.amdhsa_user_sgpr_dispatch_ptr 0
		.amdhsa_user_sgpr_queue_ptr 0
		.amdhsa_user_sgpr_kernarg_segment_ptr 1
		.amdhsa_user_sgpr_dispatch_id 0
		.amdhsa_user_sgpr_flat_scratch_init 0
		.amdhsa_user_sgpr_kernarg_preload_length 0
		.amdhsa_user_sgpr_kernarg_preload_offset 0
		.amdhsa_user_sgpr_private_segment_size 0
		.amdhsa_uses_dynamic_stack 0
		.amdhsa_system_sgpr_private_segment_wavefront_offset 0
		.amdhsa_system_sgpr_workgroup_id_x 1
		.amdhsa_system_sgpr_workgroup_id_y 0
		.amdhsa_system_sgpr_workgroup_id_z 0
		.amdhsa_system_sgpr_workgroup_info 0
		.amdhsa_system_vgpr_workitem_id 0
		.amdhsa_next_free_vgpr 1
		.amdhsa_next_free_sgpr 0
		.amdhsa_accum_offset 4
		.amdhsa_reserve_vcc 0
		.amdhsa_reserve_flat_scratch 0
		.amdhsa_float_round_mode_32 0
		.amdhsa_float_round_mode_16_64 0
		.amdhsa_float_denorm_mode_32 3
		.amdhsa_float_denorm_mode_16_64 3
		.amdhsa_dx10_clamp 1
		.amdhsa_ieee_mode 1
		.amdhsa_fp16_overflow 0
		.amdhsa_tg_split 0
		.amdhsa_exception_fp_ieee_invalid_op 0
		.amdhsa_exception_fp_denorm_src 0
		.amdhsa_exception_fp_ieee_div_zero 0
		.amdhsa_exception_fp_ieee_overflow 0
		.amdhsa_exception_fp_ieee_underflow 0
		.amdhsa_exception_fp_ieee_inexact 0
		.amdhsa_exception_int_div_zero 0
	.end_amdhsa_kernel
	.section	.text._ZN7rocprim17ROCPRIM_400000_NS6detail17trampoline_kernelINS0_13kernel_configILj256ELj4ELj4294967295EEENS1_37radix_sort_block_sort_config_selectorIfNS0_10empty_typeEEEZNS1_21radix_sort_block_sortIS4_Lb0EPfS9_PS6_SA_NS0_19identity_decomposerEEE10hipError_tT1_T2_T3_T4_jRjT5_jjP12ihipStream_tbEUlT_E_NS1_11comp_targetILNS1_3genE3ELNS1_11target_archE908ELNS1_3gpuE7ELNS1_3repE0EEENS1_44radix_sort_block_sort_config_static_selectorELNS0_4arch9wavefront6targetE1EEEvSD_,"axG",@progbits,_ZN7rocprim17ROCPRIM_400000_NS6detail17trampoline_kernelINS0_13kernel_configILj256ELj4ELj4294967295EEENS1_37radix_sort_block_sort_config_selectorIfNS0_10empty_typeEEEZNS1_21radix_sort_block_sortIS4_Lb0EPfS9_PS6_SA_NS0_19identity_decomposerEEE10hipError_tT1_T2_T3_T4_jRjT5_jjP12ihipStream_tbEUlT_E_NS1_11comp_targetILNS1_3genE3ELNS1_11target_archE908ELNS1_3gpuE7ELNS1_3repE0EEENS1_44radix_sort_block_sort_config_static_selectorELNS0_4arch9wavefront6targetE1EEEvSD_,comdat
.Lfunc_end1221:
	.size	_ZN7rocprim17ROCPRIM_400000_NS6detail17trampoline_kernelINS0_13kernel_configILj256ELj4ELj4294967295EEENS1_37radix_sort_block_sort_config_selectorIfNS0_10empty_typeEEEZNS1_21radix_sort_block_sortIS4_Lb0EPfS9_PS6_SA_NS0_19identity_decomposerEEE10hipError_tT1_T2_T3_T4_jRjT5_jjP12ihipStream_tbEUlT_E_NS1_11comp_targetILNS1_3genE3ELNS1_11target_archE908ELNS1_3gpuE7ELNS1_3repE0EEENS1_44radix_sort_block_sort_config_static_selectorELNS0_4arch9wavefront6targetE1EEEvSD_, .Lfunc_end1221-_ZN7rocprim17ROCPRIM_400000_NS6detail17trampoline_kernelINS0_13kernel_configILj256ELj4ELj4294967295EEENS1_37radix_sort_block_sort_config_selectorIfNS0_10empty_typeEEEZNS1_21radix_sort_block_sortIS4_Lb0EPfS9_PS6_SA_NS0_19identity_decomposerEEE10hipError_tT1_T2_T3_T4_jRjT5_jjP12ihipStream_tbEUlT_E_NS1_11comp_targetILNS1_3genE3ELNS1_11target_archE908ELNS1_3gpuE7ELNS1_3repE0EEENS1_44radix_sort_block_sort_config_static_selectorELNS0_4arch9wavefront6targetE1EEEvSD_
                                        ; -- End function
	.section	.AMDGPU.csdata,"",@progbits
; Kernel info:
; codeLenInByte = 0
; NumSgprs: 4
; NumVgprs: 0
; NumAgprs: 0
; TotalNumVgprs: 0
; ScratchSize: 0
; MemoryBound: 0
; FloatMode: 240
; IeeeMode: 1
; LDSByteSize: 0 bytes/workgroup (compile time only)
; SGPRBlocks: 0
; VGPRBlocks: 0
; NumSGPRsForWavesPerEU: 4
; NumVGPRsForWavesPerEU: 1
; AccumOffset: 4
; Occupancy: 8
; WaveLimiterHint : 0
; COMPUTE_PGM_RSRC2:SCRATCH_EN: 0
; COMPUTE_PGM_RSRC2:USER_SGPR: 6
; COMPUTE_PGM_RSRC2:TRAP_HANDLER: 0
; COMPUTE_PGM_RSRC2:TGID_X_EN: 1
; COMPUTE_PGM_RSRC2:TGID_Y_EN: 0
; COMPUTE_PGM_RSRC2:TGID_Z_EN: 0
; COMPUTE_PGM_RSRC2:TIDIG_COMP_CNT: 0
; COMPUTE_PGM_RSRC3_GFX90A:ACCUM_OFFSET: 0
; COMPUTE_PGM_RSRC3_GFX90A:TG_SPLIT: 0
	.section	.text._ZN7rocprim17ROCPRIM_400000_NS6detail17trampoline_kernelINS0_13kernel_configILj256ELj4ELj4294967295EEENS1_37radix_sort_block_sort_config_selectorIfNS0_10empty_typeEEEZNS1_21radix_sort_block_sortIS4_Lb0EPfS9_PS6_SA_NS0_19identity_decomposerEEE10hipError_tT1_T2_T3_T4_jRjT5_jjP12ihipStream_tbEUlT_E_NS1_11comp_targetILNS1_3genE2ELNS1_11target_archE906ELNS1_3gpuE6ELNS1_3repE0EEENS1_44radix_sort_block_sort_config_static_selectorELNS0_4arch9wavefront6targetE1EEEvSD_,"axG",@progbits,_ZN7rocprim17ROCPRIM_400000_NS6detail17trampoline_kernelINS0_13kernel_configILj256ELj4ELj4294967295EEENS1_37radix_sort_block_sort_config_selectorIfNS0_10empty_typeEEEZNS1_21radix_sort_block_sortIS4_Lb0EPfS9_PS6_SA_NS0_19identity_decomposerEEE10hipError_tT1_T2_T3_T4_jRjT5_jjP12ihipStream_tbEUlT_E_NS1_11comp_targetILNS1_3genE2ELNS1_11target_archE906ELNS1_3gpuE6ELNS1_3repE0EEENS1_44radix_sort_block_sort_config_static_selectorELNS0_4arch9wavefront6targetE1EEEvSD_,comdat
	.protected	_ZN7rocprim17ROCPRIM_400000_NS6detail17trampoline_kernelINS0_13kernel_configILj256ELj4ELj4294967295EEENS1_37radix_sort_block_sort_config_selectorIfNS0_10empty_typeEEEZNS1_21radix_sort_block_sortIS4_Lb0EPfS9_PS6_SA_NS0_19identity_decomposerEEE10hipError_tT1_T2_T3_T4_jRjT5_jjP12ihipStream_tbEUlT_E_NS1_11comp_targetILNS1_3genE2ELNS1_11target_archE906ELNS1_3gpuE6ELNS1_3repE0EEENS1_44radix_sort_block_sort_config_static_selectorELNS0_4arch9wavefront6targetE1EEEvSD_ ; -- Begin function _ZN7rocprim17ROCPRIM_400000_NS6detail17trampoline_kernelINS0_13kernel_configILj256ELj4ELj4294967295EEENS1_37radix_sort_block_sort_config_selectorIfNS0_10empty_typeEEEZNS1_21radix_sort_block_sortIS4_Lb0EPfS9_PS6_SA_NS0_19identity_decomposerEEE10hipError_tT1_T2_T3_T4_jRjT5_jjP12ihipStream_tbEUlT_E_NS1_11comp_targetILNS1_3genE2ELNS1_11target_archE906ELNS1_3gpuE6ELNS1_3repE0EEENS1_44radix_sort_block_sort_config_static_selectorELNS0_4arch9wavefront6targetE1EEEvSD_
	.globl	_ZN7rocprim17ROCPRIM_400000_NS6detail17trampoline_kernelINS0_13kernel_configILj256ELj4ELj4294967295EEENS1_37radix_sort_block_sort_config_selectorIfNS0_10empty_typeEEEZNS1_21radix_sort_block_sortIS4_Lb0EPfS9_PS6_SA_NS0_19identity_decomposerEEE10hipError_tT1_T2_T3_T4_jRjT5_jjP12ihipStream_tbEUlT_E_NS1_11comp_targetILNS1_3genE2ELNS1_11target_archE906ELNS1_3gpuE6ELNS1_3repE0EEENS1_44radix_sort_block_sort_config_static_selectorELNS0_4arch9wavefront6targetE1EEEvSD_
	.p2align	8
	.type	_ZN7rocprim17ROCPRIM_400000_NS6detail17trampoline_kernelINS0_13kernel_configILj256ELj4ELj4294967295EEENS1_37radix_sort_block_sort_config_selectorIfNS0_10empty_typeEEEZNS1_21radix_sort_block_sortIS4_Lb0EPfS9_PS6_SA_NS0_19identity_decomposerEEE10hipError_tT1_T2_T3_T4_jRjT5_jjP12ihipStream_tbEUlT_E_NS1_11comp_targetILNS1_3genE2ELNS1_11target_archE906ELNS1_3gpuE6ELNS1_3repE0EEENS1_44radix_sort_block_sort_config_static_selectorELNS0_4arch9wavefront6targetE1EEEvSD_,@function
_ZN7rocprim17ROCPRIM_400000_NS6detail17trampoline_kernelINS0_13kernel_configILj256ELj4ELj4294967295EEENS1_37radix_sort_block_sort_config_selectorIfNS0_10empty_typeEEEZNS1_21radix_sort_block_sortIS4_Lb0EPfS9_PS6_SA_NS0_19identity_decomposerEEE10hipError_tT1_T2_T3_T4_jRjT5_jjP12ihipStream_tbEUlT_E_NS1_11comp_targetILNS1_3genE2ELNS1_11target_archE906ELNS1_3gpuE6ELNS1_3repE0EEENS1_44radix_sort_block_sort_config_static_selectorELNS0_4arch9wavefront6targetE1EEEvSD_: ; @_ZN7rocprim17ROCPRIM_400000_NS6detail17trampoline_kernelINS0_13kernel_configILj256ELj4ELj4294967295EEENS1_37radix_sort_block_sort_config_selectorIfNS0_10empty_typeEEEZNS1_21radix_sort_block_sortIS4_Lb0EPfS9_PS6_SA_NS0_19identity_decomposerEEE10hipError_tT1_T2_T3_T4_jRjT5_jjP12ihipStream_tbEUlT_E_NS1_11comp_targetILNS1_3genE2ELNS1_11target_archE906ELNS1_3gpuE6ELNS1_3repE0EEENS1_44radix_sort_block_sort_config_static_selectorELNS0_4arch9wavefront6targetE1EEEvSD_
; %bb.0:
	.section	.rodata,"a",@progbits
	.p2align	6, 0x0
	.amdhsa_kernel _ZN7rocprim17ROCPRIM_400000_NS6detail17trampoline_kernelINS0_13kernel_configILj256ELj4ELj4294967295EEENS1_37radix_sort_block_sort_config_selectorIfNS0_10empty_typeEEEZNS1_21radix_sort_block_sortIS4_Lb0EPfS9_PS6_SA_NS0_19identity_decomposerEEE10hipError_tT1_T2_T3_T4_jRjT5_jjP12ihipStream_tbEUlT_E_NS1_11comp_targetILNS1_3genE2ELNS1_11target_archE906ELNS1_3gpuE6ELNS1_3repE0EEENS1_44radix_sort_block_sort_config_static_selectorELNS0_4arch9wavefront6targetE1EEEvSD_
		.amdhsa_group_segment_fixed_size 0
		.amdhsa_private_segment_fixed_size 0
		.amdhsa_kernarg_size 48
		.amdhsa_user_sgpr_count 6
		.amdhsa_user_sgpr_private_segment_buffer 1
		.amdhsa_user_sgpr_dispatch_ptr 0
		.amdhsa_user_sgpr_queue_ptr 0
		.amdhsa_user_sgpr_kernarg_segment_ptr 1
		.amdhsa_user_sgpr_dispatch_id 0
		.amdhsa_user_sgpr_flat_scratch_init 0
		.amdhsa_user_sgpr_kernarg_preload_length 0
		.amdhsa_user_sgpr_kernarg_preload_offset 0
		.amdhsa_user_sgpr_private_segment_size 0
		.amdhsa_uses_dynamic_stack 0
		.amdhsa_system_sgpr_private_segment_wavefront_offset 0
		.amdhsa_system_sgpr_workgroup_id_x 1
		.amdhsa_system_sgpr_workgroup_id_y 0
		.amdhsa_system_sgpr_workgroup_id_z 0
		.amdhsa_system_sgpr_workgroup_info 0
		.amdhsa_system_vgpr_workitem_id 0
		.amdhsa_next_free_vgpr 1
		.amdhsa_next_free_sgpr 0
		.amdhsa_accum_offset 4
		.amdhsa_reserve_vcc 0
		.amdhsa_reserve_flat_scratch 0
		.amdhsa_float_round_mode_32 0
		.amdhsa_float_round_mode_16_64 0
		.amdhsa_float_denorm_mode_32 3
		.amdhsa_float_denorm_mode_16_64 3
		.amdhsa_dx10_clamp 1
		.amdhsa_ieee_mode 1
		.amdhsa_fp16_overflow 0
		.amdhsa_tg_split 0
		.amdhsa_exception_fp_ieee_invalid_op 0
		.amdhsa_exception_fp_denorm_src 0
		.amdhsa_exception_fp_ieee_div_zero 0
		.amdhsa_exception_fp_ieee_overflow 0
		.amdhsa_exception_fp_ieee_underflow 0
		.amdhsa_exception_fp_ieee_inexact 0
		.amdhsa_exception_int_div_zero 0
	.end_amdhsa_kernel
	.section	.text._ZN7rocprim17ROCPRIM_400000_NS6detail17trampoline_kernelINS0_13kernel_configILj256ELj4ELj4294967295EEENS1_37radix_sort_block_sort_config_selectorIfNS0_10empty_typeEEEZNS1_21radix_sort_block_sortIS4_Lb0EPfS9_PS6_SA_NS0_19identity_decomposerEEE10hipError_tT1_T2_T3_T4_jRjT5_jjP12ihipStream_tbEUlT_E_NS1_11comp_targetILNS1_3genE2ELNS1_11target_archE906ELNS1_3gpuE6ELNS1_3repE0EEENS1_44radix_sort_block_sort_config_static_selectorELNS0_4arch9wavefront6targetE1EEEvSD_,"axG",@progbits,_ZN7rocprim17ROCPRIM_400000_NS6detail17trampoline_kernelINS0_13kernel_configILj256ELj4ELj4294967295EEENS1_37radix_sort_block_sort_config_selectorIfNS0_10empty_typeEEEZNS1_21radix_sort_block_sortIS4_Lb0EPfS9_PS6_SA_NS0_19identity_decomposerEEE10hipError_tT1_T2_T3_T4_jRjT5_jjP12ihipStream_tbEUlT_E_NS1_11comp_targetILNS1_3genE2ELNS1_11target_archE906ELNS1_3gpuE6ELNS1_3repE0EEENS1_44radix_sort_block_sort_config_static_selectorELNS0_4arch9wavefront6targetE1EEEvSD_,comdat
.Lfunc_end1222:
	.size	_ZN7rocprim17ROCPRIM_400000_NS6detail17trampoline_kernelINS0_13kernel_configILj256ELj4ELj4294967295EEENS1_37radix_sort_block_sort_config_selectorIfNS0_10empty_typeEEEZNS1_21radix_sort_block_sortIS4_Lb0EPfS9_PS6_SA_NS0_19identity_decomposerEEE10hipError_tT1_T2_T3_T4_jRjT5_jjP12ihipStream_tbEUlT_E_NS1_11comp_targetILNS1_3genE2ELNS1_11target_archE906ELNS1_3gpuE6ELNS1_3repE0EEENS1_44radix_sort_block_sort_config_static_selectorELNS0_4arch9wavefront6targetE1EEEvSD_, .Lfunc_end1222-_ZN7rocprim17ROCPRIM_400000_NS6detail17trampoline_kernelINS0_13kernel_configILj256ELj4ELj4294967295EEENS1_37radix_sort_block_sort_config_selectorIfNS0_10empty_typeEEEZNS1_21radix_sort_block_sortIS4_Lb0EPfS9_PS6_SA_NS0_19identity_decomposerEEE10hipError_tT1_T2_T3_T4_jRjT5_jjP12ihipStream_tbEUlT_E_NS1_11comp_targetILNS1_3genE2ELNS1_11target_archE906ELNS1_3gpuE6ELNS1_3repE0EEENS1_44radix_sort_block_sort_config_static_selectorELNS0_4arch9wavefront6targetE1EEEvSD_
                                        ; -- End function
	.section	.AMDGPU.csdata,"",@progbits
; Kernel info:
; codeLenInByte = 0
; NumSgprs: 4
; NumVgprs: 0
; NumAgprs: 0
; TotalNumVgprs: 0
; ScratchSize: 0
; MemoryBound: 0
; FloatMode: 240
; IeeeMode: 1
; LDSByteSize: 0 bytes/workgroup (compile time only)
; SGPRBlocks: 0
; VGPRBlocks: 0
; NumSGPRsForWavesPerEU: 4
; NumVGPRsForWavesPerEU: 1
; AccumOffset: 4
; Occupancy: 8
; WaveLimiterHint : 0
; COMPUTE_PGM_RSRC2:SCRATCH_EN: 0
; COMPUTE_PGM_RSRC2:USER_SGPR: 6
; COMPUTE_PGM_RSRC2:TRAP_HANDLER: 0
; COMPUTE_PGM_RSRC2:TGID_X_EN: 1
; COMPUTE_PGM_RSRC2:TGID_Y_EN: 0
; COMPUTE_PGM_RSRC2:TGID_Z_EN: 0
; COMPUTE_PGM_RSRC2:TIDIG_COMP_CNT: 0
; COMPUTE_PGM_RSRC3_GFX90A:ACCUM_OFFSET: 0
; COMPUTE_PGM_RSRC3_GFX90A:TG_SPLIT: 0
	.section	.text._ZN7rocprim17ROCPRIM_400000_NS6detail17trampoline_kernelINS0_13kernel_configILj256ELj4ELj4294967295EEENS1_37radix_sort_block_sort_config_selectorIfNS0_10empty_typeEEEZNS1_21radix_sort_block_sortIS4_Lb0EPfS9_PS6_SA_NS0_19identity_decomposerEEE10hipError_tT1_T2_T3_T4_jRjT5_jjP12ihipStream_tbEUlT_E_NS1_11comp_targetILNS1_3genE10ELNS1_11target_archE1201ELNS1_3gpuE5ELNS1_3repE0EEENS1_44radix_sort_block_sort_config_static_selectorELNS0_4arch9wavefront6targetE1EEEvSD_,"axG",@progbits,_ZN7rocprim17ROCPRIM_400000_NS6detail17trampoline_kernelINS0_13kernel_configILj256ELj4ELj4294967295EEENS1_37radix_sort_block_sort_config_selectorIfNS0_10empty_typeEEEZNS1_21radix_sort_block_sortIS4_Lb0EPfS9_PS6_SA_NS0_19identity_decomposerEEE10hipError_tT1_T2_T3_T4_jRjT5_jjP12ihipStream_tbEUlT_E_NS1_11comp_targetILNS1_3genE10ELNS1_11target_archE1201ELNS1_3gpuE5ELNS1_3repE0EEENS1_44radix_sort_block_sort_config_static_selectorELNS0_4arch9wavefront6targetE1EEEvSD_,comdat
	.protected	_ZN7rocprim17ROCPRIM_400000_NS6detail17trampoline_kernelINS0_13kernel_configILj256ELj4ELj4294967295EEENS1_37radix_sort_block_sort_config_selectorIfNS0_10empty_typeEEEZNS1_21radix_sort_block_sortIS4_Lb0EPfS9_PS6_SA_NS0_19identity_decomposerEEE10hipError_tT1_T2_T3_T4_jRjT5_jjP12ihipStream_tbEUlT_E_NS1_11comp_targetILNS1_3genE10ELNS1_11target_archE1201ELNS1_3gpuE5ELNS1_3repE0EEENS1_44radix_sort_block_sort_config_static_selectorELNS0_4arch9wavefront6targetE1EEEvSD_ ; -- Begin function _ZN7rocprim17ROCPRIM_400000_NS6detail17trampoline_kernelINS0_13kernel_configILj256ELj4ELj4294967295EEENS1_37radix_sort_block_sort_config_selectorIfNS0_10empty_typeEEEZNS1_21radix_sort_block_sortIS4_Lb0EPfS9_PS6_SA_NS0_19identity_decomposerEEE10hipError_tT1_T2_T3_T4_jRjT5_jjP12ihipStream_tbEUlT_E_NS1_11comp_targetILNS1_3genE10ELNS1_11target_archE1201ELNS1_3gpuE5ELNS1_3repE0EEENS1_44radix_sort_block_sort_config_static_selectorELNS0_4arch9wavefront6targetE1EEEvSD_
	.globl	_ZN7rocprim17ROCPRIM_400000_NS6detail17trampoline_kernelINS0_13kernel_configILj256ELj4ELj4294967295EEENS1_37radix_sort_block_sort_config_selectorIfNS0_10empty_typeEEEZNS1_21radix_sort_block_sortIS4_Lb0EPfS9_PS6_SA_NS0_19identity_decomposerEEE10hipError_tT1_T2_T3_T4_jRjT5_jjP12ihipStream_tbEUlT_E_NS1_11comp_targetILNS1_3genE10ELNS1_11target_archE1201ELNS1_3gpuE5ELNS1_3repE0EEENS1_44radix_sort_block_sort_config_static_selectorELNS0_4arch9wavefront6targetE1EEEvSD_
	.p2align	8
	.type	_ZN7rocprim17ROCPRIM_400000_NS6detail17trampoline_kernelINS0_13kernel_configILj256ELj4ELj4294967295EEENS1_37radix_sort_block_sort_config_selectorIfNS0_10empty_typeEEEZNS1_21radix_sort_block_sortIS4_Lb0EPfS9_PS6_SA_NS0_19identity_decomposerEEE10hipError_tT1_T2_T3_T4_jRjT5_jjP12ihipStream_tbEUlT_E_NS1_11comp_targetILNS1_3genE10ELNS1_11target_archE1201ELNS1_3gpuE5ELNS1_3repE0EEENS1_44radix_sort_block_sort_config_static_selectorELNS0_4arch9wavefront6targetE1EEEvSD_,@function
_ZN7rocprim17ROCPRIM_400000_NS6detail17trampoline_kernelINS0_13kernel_configILj256ELj4ELj4294967295EEENS1_37radix_sort_block_sort_config_selectorIfNS0_10empty_typeEEEZNS1_21radix_sort_block_sortIS4_Lb0EPfS9_PS6_SA_NS0_19identity_decomposerEEE10hipError_tT1_T2_T3_T4_jRjT5_jjP12ihipStream_tbEUlT_E_NS1_11comp_targetILNS1_3genE10ELNS1_11target_archE1201ELNS1_3gpuE5ELNS1_3repE0EEENS1_44radix_sort_block_sort_config_static_selectorELNS0_4arch9wavefront6targetE1EEEvSD_: ; @_ZN7rocprim17ROCPRIM_400000_NS6detail17trampoline_kernelINS0_13kernel_configILj256ELj4ELj4294967295EEENS1_37radix_sort_block_sort_config_selectorIfNS0_10empty_typeEEEZNS1_21radix_sort_block_sortIS4_Lb0EPfS9_PS6_SA_NS0_19identity_decomposerEEE10hipError_tT1_T2_T3_T4_jRjT5_jjP12ihipStream_tbEUlT_E_NS1_11comp_targetILNS1_3genE10ELNS1_11target_archE1201ELNS1_3gpuE5ELNS1_3repE0EEENS1_44radix_sort_block_sort_config_static_selectorELNS0_4arch9wavefront6targetE1EEEvSD_
; %bb.0:
	.section	.rodata,"a",@progbits
	.p2align	6, 0x0
	.amdhsa_kernel _ZN7rocprim17ROCPRIM_400000_NS6detail17trampoline_kernelINS0_13kernel_configILj256ELj4ELj4294967295EEENS1_37radix_sort_block_sort_config_selectorIfNS0_10empty_typeEEEZNS1_21radix_sort_block_sortIS4_Lb0EPfS9_PS6_SA_NS0_19identity_decomposerEEE10hipError_tT1_T2_T3_T4_jRjT5_jjP12ihipStream_tbEUlT_E_NS1_11comp_targetILNS1_3genE10ELNS1_11target_archE1201ELNS1_3gpuE5ELNS1_3repE0EEENS1_44radix_sort_block_sort_config_static_selectorELNS0_4arch9wavefront6targetE1EEEvSD_
		.amdhsa_group_segment_fixed_size 0
		.amdhsa_private_segment_fixed_size 0
		.amdhsa_kernarg_size 48
		.amdhsa_user_sgpr_count 6
		.amdhsa_user_sgpr_private_segment_buffer 1
		.amdhsa_user_sgpr_dispatch_ptr 0
		.amdhsa_user_sgpr_queue_ptr 0
		.amdhsa_user_sgpr_kernarg_segment_ptr 1
		.amdhsa_user_sgpr_dispatch_id 0
		.amdhsa_user_sgpr_flat_scratch_init 0
		.amdhsa_user_sgpr_kernarg_preload_length 0
		.amdhsa_user_sgpr_kernarg_preload_offset 0
		.amdhsa_user_sgpr_private_segment_size 0
		.amdhsa_uses_dynamic_stack 0
		.amdhsa_system_sgpr_private_segment_wavefront_offset 0
		.amdhsa_system_sgpr_workgroup_id_x 1
		.amdhsa_system_sgpr_workgroup_id_y 0
		.amdhsa_system_sgpr_workgroup_id_z 0
		.amdhsa_system_sgpr_workgroup_info 0
		.amdhsa_system_vgpr_workitem_id 0
		.amdhsa_next_free_vgpr 1
		.amdhsa_next_free_sgpr 0
		.amdhsa_accum_offset 4
		.amdhsa_reserve_vcc 0
		.amdhsa_reserve_flat_scratch 0
		.amdhsa_float_round_mode_32 0
		.amdhsa_float_round_mode_16_64 0
		.amdhsa_float_denorm_mode_32 3
		.amdhsa_float_denorm_mode_16_64 3
		.amdhsa_dx10_clamp 1
		.amdhsa_ieee_mode 1
		.amdhsa_fp16_overflow 0
		.amdhsa_tg_split 0
		.amdhsa_exception_fp_ieee_invalid_op 0
		.amdhsa_exception_fp_denorm_src 0
		.amdhsa_exception_fp_ieee_div_zero 0
		.amdhsa_exception_fp_ieee_overflow 0
		.amdhsa_exception_fp_ieee_underflow 0
		.amdhsa_exception_fp_ieee_inexact 0
		.amdhsa_exception_int_div_zero 0
	.end_amdhsa_kernel
	.section	.text._ZN7rocprim17ROCPRIM_400000_NS6detail17trampoline_kernelINS0_13kernel_configILj256ELj4ELj4294967295EEENS1_37radix_sort_block_sort_config_selectorIfNS0_10empty_typeEEEZNS1_21radix_sort_block_sortIS4_Lb0EPfS9_PS6_SA_NS0_19identity_decomposerEEE10hipError_tT1_T2_T3_T4_jRjT5_jjP12ihipStream_tbEUlT_E_NS1_11comp_targetILNS1_3genE10ELNS1_11target_archE1201ELNS1_3gpuE5ELNS1_3repE0EEENS1_44radix_sort_block_sort_config_static_selectorELNS0_4arch9wavefront6targetE1EEEvSD_,"axG",@progbits,_ZN7rocprim17ROCPRIM_400000_NS6detail17trampoline_kernelINS0_13kernel_configILj256ELj4ELj4294967295EEENS1_37radix_sort_block_sort_config_selectorIfNS0_10empty_typeEEEZNS1_21radix_sort_block_sortIS4_Lb0EPfS9_PS6_SA_NS0_19identity_decomposerEEE10hipError_tT1_T2_T3_T4_jRjT5_jjP12ihipStream_tbEUlT_E_NS1_11comp_targetILNS1_3genE10ELNS1_11target_archE1201ELNS1_3gpuE5ELNS1_3repE0EEENS1_44radix_sort_block_sort_config_static_selectorELNS0_4arch9wavefront6targetE1EEEvSD_,comdat
.Lfunc_end1223:
	.size	_ZN7rocprim17ROCPRIM_400000_NS6detail17trampoline_kernelINS0_13kernel_configILj256ELj4ELj4294967295EEENS1_37radix_sort_block_sort_config_selectorIfNS0_10empty_typeEEEZNS1_21radix_sort_block_sortIS4_Lb0EPfS9_PS6_SA_NS0_19identity_decomposerEEE10hipError_tT1_T2_T3_T4_jRjT5_jjP12ihipStream_tbEUlT_E_NS1_11comp_targetILNS1_3genE10ELNS1_11target_archE1201ELNS1_3gpuE5ELNS1_3repE0EEENS1_44radix_sort_block_sort_config_static_selectorELNS0_4arch9wavefront6targetE1EEEvSD_, .Lfunc_end1223-_ZN7rocprim17ROCPRIM_400000_NS6detail17trampoline_kernelINS0_13kernel_configILj256ELj4ELj4294967295EEENS1_37radix_sort_block_sort_config_selectorIfNS0_10empty_typeEEEZNS1_21radix_sort_block_sortIS4_Lb0EPfS9_PS6_SA_NS0_19identity_decomposerEEE10hipError_tT1_T2_T3_T4_jRjT5_jjP12ihipStream_tbEUlT_E_NS1_11comp_targetILNS1_3genE10ELNS1_11target_archE1201ELNS1_3gpuE5ELNS1_3repE0EEENS1_44radix_sort_block_sort_config_static_selectorELNS0_4arch9wavefront6targetE1EEEvSD_
                                        ; -- End function
	.section	.AMDGPU.csdata,"",@progbits
; Kernel info:
; codeLenInByte = 0
; NumSgprs: 4
; NumVgprs: 0
; NumAgprs: 0
; TotalNumVgprs: 0
; ScratchSize: 0
; MemoryBound: 0
; FloatMode: 240
; IeeeMode: 1
; LDSByteSize: 0 bytes/workgroup (compile time only)
; SGPRBlocks: 0
; VGPRBlocks: 0
; NumSGPRsForWavesPerEU: 4
; NumVGPRsForWavesPerEU: 1
; AccumOffset: 4
; Occupancy: 8
; WaveLimiterHint : 0
; COMPUTE_PGM_RSRC2:SCRATCH_EN: 0
; COMPUTE_PGM_RSRC2:USER_SGPR: 6
; COMPUTE_PGM_RSRC2:TRAP_HANDLER: 0
; COMPUTE_PGM_RSRC2:TGID_X_EN: 1
; COMPUTE_PGM_RSRC2:TGID_Y_EN: 0
; COMPUTE_PGM_RSRC2:TGID_Z_EN: 0
; COMPUTE_PGM_RSRC2:TIDIG_COMP_CNT: 0
; COMPUTE_PGM_RSRC3_GFX90A:ACCUM_OFFSET: 0
; COMPUTE_PGM_RSRC3_GFX90A:TG_SPLIT: 0
	.section	.text._ZN7rocprim17ROCPRIM_400000_NS6detail17trampoline_kernelINS0_13kernel_configILj256ELj4ELj4294967295EEENS1_37radix_sort_block_sort_config_selectorIfNS0_10empty_typeEEEZNS1_21radix_sort_block_sortIS4_Lb0EPfS9_PS6_SA_NS0_19identity_decomposerEEE10hipError_tT1_T2_T3_T4_jRjT5_jjP12ihipStream_tbEUlT_E_NS1_11comp_targetILNS1_3genE10ELNS1_11target_archE1200ELNS1_3gpuE4ELNS1_3repE0EEENS1_44radix_sort_block_sort_config_static_selectorELNS0_4arch9wavefront6targetE1EEEvSD_,"axG",@progbits,_ZN7rocprim17ROCPRIM_400000_NS6detail17trampoline_kernelINS0_13kernel_configILj256ELj4ELj4294967295EEENS1_37radix_sort_block_sort_config_selectorIfNS0_10empty_typeEEEZNS1_21radix_sort_block_sortIS4_Lb0EPfS9_PS6_SA_NS0_19identity_decomposerEEE10hipError_tT1_T2_T3_T4_jRjT5_jjP12ihipStream_tbEUlT_E_NS1_11comp_targetILNS1_3genE10ELNS1_11target_archE1200ELNS1_3gpuE4ELNS1_3repE0EEENS1_44radix_sort_block_sort_config_static_selectorELNS0_4arch9wavefront6targetE1EEEvSD_,comdat
	.protected	_ZN7rocprim17ROCPRIM_400000_NS6detail17trampoline_kernelINS0_13kernel_configILj256ELj4ELj4294967295EEENS1_37radix_sort_block_sort_config_selectorIfNS0_10empty_typeEEEZNS1_21radix_sort_block_sortIS4_Lb0EPfS9_PS6_SA_NS0_19identity_decomposerEEE10hipError_tT1_T2_T3_T4_jRjT5_jjP12ihipStream_tbEUlT_E_NS1_11comp_targetILNS1_3genE10ELNS1_11target_archE1200ELNS1_3gpuE4ELNS1_3repE0EEENS1_44radix_sort_block_sort_config_static_selectorELNS0_4arch9wavefront6targetE1EEEvSD_ ; -- Begin function _ZN7rocprim17ROCPRIM_400000_NS6detail17trampoline_kernelINS0_13kernel_configILj256ELj4ELj4294967295EEENS1_37radix_sort_block_sort_config_selectorIfNS0_10empty_typeEEEZNS1_21radix_sort_block_sortIS4_Lb0EPfS9_PS6_SA_NS0_19identity_decomposerEEE10hipError_tT1_T2_T3_T4_jRjT5_jjP12ihipStream_tbEUlT_E_NS1_11comp_targetILNS1_3genE10ELNS1_11target_archE1200ELNS1_3gpuE4ELNS1_3repE0EEENS1_44radix_sort_block_sort_config_static_selectorELNS0_4arch9wavefront6targetE1EEEvSD_
	.globl	_ZN7rocprim17ROCPRIM_400000_NS6detail17trampoline_kernelINS0_13kernel_configILj256ELj4ELj4294967295EEENS1_37radix_sort_block_sort_config_selectorIfNS0_10empty_typeEEEZNS1_21radix_sort_block_sortIS4_Lb0EPfS9_PS6_SA_NS0_19identity_decomposerEEE10hipError_tT1_T2_T3_T4_jRjT5_jjP12ihipStream_tbEUlT_E_NS1_11comp_targetILNS1_3genE10ELNS1_11target_archE1200ELNS1_3gpuE4ELNS1_3repE0EEENS1_44radix_sort_block_sort_config_static_selectorELNS0_4arch9wavefront6targetE1EEEvSD_
	.p2align	8
	.type	_ZN7rocprim17ROCPRIM_400000_NS6detail17trampoline_kernelINS0_13kernel_configILj256ELj4ELj4294967295EEENS1_37radix_sort_block_sort_config_selectorIfNS0_10empty_typeEEEZNS1_21radix_sort_block_sortIS4_Lb0EPfS9_PS6_SA_NS0_19identity_decomposerEEE10hipError_tT1_T2_T3_T4_jRjT5_jjP12ihipStream_tbEUlT_E_NS1_11comp_targetILNS1_3genE10ELNS1_11target_archE1200ELNS1_3gpuE4ELNS1_3repE0EEENS1_44radix_sort_block_sort_config_static_selectorELNS0_4arch9wavefront6targetE1EEEvSD_,@function
_ZN7rocprim17ROCPRIM_400000_NS6detail17trampoline_kernelINS0_13kernel_configILj256ELj4ELj4294967295EEENS1_37radix_sort_block_sort_config_selectorIfNS0_10empty_typeEEEZNS1_21radix_sort_block_sortIS4_Lb0EPfS9_PS6_SA_NS0_19identity_decomposerEEE10hipError_tT1_T2_T3_T4_jRjT5_jjP12ihipStream_tbEUlT_E_NS1_11comp_targetILNS1_3genE10ELNS1_11target_archE1200ELNS1_3gpuE4ELNS1_3repE0EEENS1_44radix_sort_block_sort_config_static_selectorELNS0_4arch9wavefront6targetE1EEEvSD_: ; @_ZN7rocprim17ROCPRIM_400000_NS6detail17trampoline_kernelINS0_13kernel_configILj256ELj4ELj4294967295EEENS1_37radix_sort_block_sort_config_selectorIfNS0_10empty_typeEEEZNS1_21radix_sort_block_sortIS4_Lb0EPfS9_PS6_SA_NS0_19identity_decomposerEEE10hipError_tT1_T2_T3_T4_jRjT5_jjP12ihipStream_tbEUlT_E_NS1_11comp_targetILNS1_3genE10ELNS1_11target_archE1200ELNS1_3gpuE4ELNS1_3repE0EEENS1_44radix_sort_block_sort_config_static_selectorELNS0_4arch9wavefront6targetE1EEEvSD_
; %bb.0:
	.section	.rodata,"a",@progbits
	.p2align	6, 0x0
	.amdhsa_kernel _ZN7rocprim17ROCPRIM_400000_NS6detail17trampoline_kernelINS0_13kernel_configILj256ELj4ELj4294967295EEENS1_37radix_sort_block_sort_config_selectorIfNS0_10empty_typeEEEZNS1_21radix_sort_block_sortIS4_Lb0EPfS9_PS6_SA_NS0_19identity_decomposerEEE10hipError_tT1_T2_T3_T4_jRjT5_jjP12ihipStream_tbEUlT_E_NS1_11comp_targetILNS1_3genE10ELNS1_11target_archE1200ELNS1_3gpuE4ELNS1_3repE0EEENS1_44radix_sort_block_sort_config_static_selectorELNS0_4arch9wavefront6targetE1EEEvSD_
		.amdhsa_group_segment_fixed_size 0
		.amdhsa_private_segment_fixed_size 0
		.amdhsa_kernarg_size 48
		.amdhsa_user_sgpr_count 6
		.amdhsa_user_sgpr_private_segment_buffer 1
		.amdhsa_user_sgpr_dispatch_ptr 0
		.amdhsa_user_sgpr_queue_ptr 0
		.amdhsa_user_sgpr_kernarg_segment_ptr 1
		.amdhsa_user_sgpr_dispatch_id 0
		.amdhsa_user_sgpr_flat_scratch_init 0
		.amdhsa_user_sgpr_kernarg_preload_length 0
		.amdhsa_user_sgpr_kernarg_preload_offset 0
		.amdhsa_user_sgpr_private_segment_size 0
		.amdhsa_uses_dynamic_stack 0
		.amdhsa_system_sgpr_private_segment_wavefront_offset 0
		.amdhsa_system_sgpr_workgroup_id_x 1
		.amdhsa_system_sgpr_workgroup_id_y 0
		.amdhsa_system_sgpr_workgroup_id_z 0
		.amdhsa_system_sgpr_workgroup_info 0
		.amdhsa_system_vgpr_workitem_id 0
		.amdhsa_next_free_vgpr 1
		.amdhsa_next_free_sgpr 0
		.amdhsa_accum_offset 4
		.amdhsa_reserve_vcc 0
		.amdhsa_reserve_flat_scratch 0
		.amdhsa_float_round_mode_32 0
		.amdhsa_float_round_mode_16_64 0
		.amdhsa_float_denorm_mode_32 3
		.amdhsa_float_denorm_mode_16_64 3
		.amdhsa_dx10_clamp 1
		.amdhsa_ieee_mode 1
		.amdhsa_fp16_overflow 0
		.amdhsa_tg_split 0
		.amdhsa_exception_fp_ieee_invalid_op 0
		.amdhsa_exception_fp_denorm_src 0
		.amdhsa_exception_fp_ieee_div_zero 0
		.amdhsa_exception_fp_ieee_overflow 0
		.amdhsa_exception_fp_ieee_underflow 0
		.amdhsa_exception_fp_ieee_inexact 0
		.amdhsa_exception_int_div_zero 0
	.end_amdhsa_kernel
	.section	.text._ZN7rocprim17ROCPRIM_400000_NS6detail17trampoline_kernelINS0_13kernel_configILj256ELj4ELj4294967295EEENS1_37radix_sort_block_sort_config_selectorIfNS0_10empty_typeEEEZNS1_21radix_sort_block_sortIS4_Lb0EPfS9_PS6_SA_NS0_19identity_decomposerEEE10hipError_tT1_T2_T3_T4_jRjT5_jjP12ihipStream_tbEUlT_E_NS1_11comp_targetILNS1_3genE10ELNS1_11target_archE1200ELNS1_3gpuE4ELNS1_3repE0EEENS1_44radix_sort_block_sort_config_static_selectorELNS0_4arch9wavefront6targetE1EEEvSD_,"axG",@progbits,_ZN7rocprim17ROCPRIM_400000_NS6detail17trampoline_kernelINS0_13kernel_configILj256ELj4ELj4294967295EEENS1_37radix_sort_block_sort_config_selectorIfNS0_10empty_typeEEEZNS1_21radix_sort_block_sortIS4_Lb0EPfS9_PS6_SA_NS0_19identity_decomposerEEE10hipError_tT1_T2_T3_T4_jRjT5_jjP12ihipStream_tbEUlT_E_NS1_11comp_targetILNS1_3genE10ELNS1_11target_archE1200ELNS1_3gpuE4ELNS1_3repE0EEENS1_44radix_sort_block_sort_config_static_selectorELNS0_4arch9wavefront6targetE1EEEvSD_,comdat
.Lfunc_end1224:
	.size	_ZN7rocprim17ROCPRIM_400000_NS6detail17trampoline_kernelINS0_13kernel_configILj256ELj4ELj4294967295EEENS1_37radix_sort_block_sort_config_selectorIfNS0_10empty_typeEEEZNS1_21radix_sort_block_sortIS4_Lb0EPfS9_PS6_SA_NS0_19identity_decomposerEEE10hipError_tT1_T2_T3_T4_jRjT5_jjP12ihipStream_tbEUlT_E_NS1_11comp_targetILNS1_3genE10ELNS1_11target_archE1200ELNS1_3gpuE4ELNS1_3repE0EEENS1_44radix_sort_block_sort_config_static_selectorELNS0_4arch9wavefront6targetE1EEEvSD_, .Lfunc_end1224-_ZN7rocprim17ROCPRIM_400000_NS6detail17trampoline_kernelINS0_13kernel_configILj256ELj4ELj4294967295EEENS1_37radix_sort_block_sort_config_selectorIfNS0_10empty_typeEEEZNS1_21radix_sort_block_sortIS4_Lb0EPfS9_PS6_SA_NS0_19identity_decomposerEEE10hipError_tT1_T2_T3_T4_jRjT5_jjP12ihipStream_tbEUlT_E_NS1_11comp_targetILNS1_3genE10ELNS1_11target_archE1200ELNS1_3gpuE4ELNS1_3repE0EEENS1_44radix_sort_block_sort_config_static_selectorELNS0_4arch9wavefront6targetE1EEEvSD_
                                        ; -- End function
	.section	.AMDGPU.csdata,"",@progbits
; Kernel info:
; codeLenInByte = 0
; NumSgprs: 4
; NumVgprs: 0
; NumAgprs: 0
; TotalNumVgprs: 0
; ScratchSize: 0
; MemoryBound: 0
; FloatMode: 240
; IeeeMode: 1
; LDSByteSize: 0 bytes/workgroup (compile time only)
; SGPRBlocks: 0
; VGPRBlocks: 0
; NumSGPRsForWavesPerEU: 4
; NumVGPRsForWavesPerEU: 1
; AccumOffset: 4
; Occupancy: 8
; WaveLimiterHint : 0
; COMPUTE_PGM_RSRC2:SCRATCH_EN: 0
; COMPUTE_PGM_RSRC2:USER_SGPR: 6
; COMPUTE_PGM_RSRC2:TRAP_HANDLER: 0
; COMPUTE_PGM_RSRC2:TGID_X_EN: 1
; COMPUTE_PGM_RSRC2:TGID_Y_EN: 0
; COMPUTE_PGM_RSRC2:TGID_Z_EN: 0
; COMPUTE_PGM_RSRC2:TIDIG_COMP_CNT: 0
; COMPUTE_PGM_RSRC3_GFX90A:ACCUM_OFFSET: 0
; COMPUTE_PGM_RSRC3_GFX90A:TG_SPLIT: 0
	.section	.text._ZN7rocprim17ROCPRIM_400000_NS6detail17trampoline_kernelINS0_13kernel_configILj256ELj4ELj4294967295EEENS1_37radix_sort_block_sort_config_selectorIfNS0_10empty_typeEEEZNS1_21radix_sort_block_sortIS4_Lb0EPfS9_PS6_SA_NS0_19identity_decomposerEEE10hipError_tT1_T2_T3_T4_jRjT5_jjP12ihipStream_tbEUlT_E_NS1_11comp_targetILNS1_3genE9ELNS1_11target_archE1100ELNS1_3gpuE3ELNS1_3repE0EEENS1_44radix_sort_block_sort_config_static_selectorELNS0_4arch9wavefront6targetE1EEEvSD_,"axG",@progbits,_ZN7rocprim17ROCPRIM_400000_NS6detail17trampoline_kernelINS0_13kernel_configILj256ELj4ELj4294967295EEENS1_37radix_sort_block_sort_config_selectorIfNS0_10empty_typeEEEZNS1_21radix_sort_block_sortIS4_Lb0EPfS9_PS6_SA_NS0_19identity_decomposerEEE10hipError_tT1_T2_T3_T4_jRjT5_jjP12ihipStream_tbEUlT_E_NS1_11comp_targetILNS1_3genE9ELNS1_11target_archE1100ELNS1_3gpuE3ELNS1_3repE0EEENS1_44radix_sort_block_sort_config_static_selectorELNS0_4arch9wavefront6targetE1EEEvSD_,comdat
	.protected	_ZN7rocprim17ROCPRIM_400000_NS6detail17trampoline_kernelINS0_13kernel_configILj256ELj4ELj4294967295EEENS1_37radix_sort_block_sort_config_selectorIfNS0_10empty_typeEEEZNS1_21radix_sort_block_sortIS4_Lb0EPfS9_PS6_SA_NS0_19identity_decomposerEEE10hipError_tT1_T2_T3_T4_jRjT5_jjP12ihipStream_tbEUlT_E_NS1_11comp_targetILNS1_3genE9ELNS1_11target_archE1100ELNS1_3gpuE3ELNS1_3repE0EEENS1_44radix_sort_block_sort_config_static_selectorELNS0_4arch9wavefront6targetE1EEEvSD_ ; -- Begin function _ZN7rocprim17ROCPRIM_400000_NS6detail17trampoline_kernelINS0_13kernel_configILj256ELj4ELj4294967295EEENS1_37radix_sort_block_sort_config_selectorIfNS0_10empty_typeEEEZNS1_21radix_sort_block_sortIS4_Lb0EPfS9_PS6_SA_NS0_19identity_decomposerEEE10hipError_tT1_T2_T3_T4_jRjT5_jjP12ihipStream_tbEUlT_E_NS1_11comp_targetILNS1_3genE9ELNS1_11target_archE1100ELNS1_3gpuE3ELNS1_3repE0EEENS1_44radix_sort_block_sort_config_static_selectorELNS0_4arch9wavefront6targetE1EEEvSD_
	.globl	_ZN7rocprim17ROCPRIM_400000_NS6detail17trampoline_kernelINS0_13kernel_configILj256ELj4ELj4294967295EEENS1_37radix_sort_block_sort_config_selectorIfNS0_10empty_typeEEEZNS1_21radix_sort_block_sortIS4_Lb0EPfS9_PS6_SA_NS0_19identity_decomposerEEE10hipError_tT1_T2_T3_T4_jRjT5_jjP12ihipStream_tbEUlT_E_NS1_11comp_targetILNS1_3genE9ELNS1_11target_archE1100ELNS1_3gpuE3ELNS1_3repE0EEENS1_44radix_sort_block_sort_config_static_selectorELNS0_4arch9wavefront6targetE1EEEvSD_
	.p2align	8
	.type	_ZN7rocprim17ROCPRIM_400000_NS6detail17trampoline_kernelINS0_13kernel_configILj256ELj4ELj4294967295EEENS1_37radix_sort_block_sort_config_selectorIfNS0_10empty_typeEEEZNS1_21radix_sort_block_sortIS4_Lb0EPfS9_PS6_SA_NS0_19identity_decomposerEEE10hipError_tT1_T2_T3_T4_jRjT5_jjP12ihipStream_tbEUlT_E_NS1_11comp_targetILNS1_3genE9ELNS1_11target_archE1100ELNS1_3gpuE3ELNS1_3repE0EEENS1_44radix_sort_block_sort_config_static_selectorELNS0_4arch9wavefront6targetE1EEEvSD_,@function
_ZN7rocprim17ROCPRIM_400000_NS6detail17trampoline_kernelINS0_13kernel_configILj256ELj4ELj4294967295EEENS1_37radix_sort_block_sort_config_selectorIfNS0_10empty_typeEEEZNS1_21radix_sort_block_sortIS4_Lb0EPfS9_PS6_SA_NS0_19identity_decomposerEEE10hipError_tT1_T2_T3_T4_jRjT5_jjP12ihipStream_tbEUlT_E_NS1_11comp_targetILNS1_3genE9ELNS1_11target_archE1100ELNS1_3gpuE3ELNS1_3repE0EEENS1_44radix_sort_block_sort_config_static_selectorELNS0_4arch9wavefront6targetE1EEEvSD_: ; @_ZN7rocprim17ROCPRIM_400000_NS6detail17trampoline_kernelINS0_13kernel_configILj256ELj4ELj4294967295EEENS1_37radix_sort_block_sort_config_selectorIfNS0_10empty_typeEEEZNS1_21radix_sort_block_sortIS4_Lb0EPfS9_PS6_SA_NS0_19identity_decomposerEEE10hipError_tT1_T2_T3_T4_jRjT5_jjP12ihipStream_tbEUlT_E_NS1_11comp_targetILNS1_3genE9ELNS1_11target_archE1100ELNS1_3gpuE3ELNS1_3repE0EEENS1_44radix_sort_block_sort_config_static_selectorELNS0_4arch9wavefront6targetE1EEEvSD_
; %bb.0:
	.section	.rodata,"a",@progbits
	.p2align	6, 0x0
	.amdhsa_kernel _ZN7rocprim17ROCPRIM_400000_NS6detail17trampoline_kernelINS0_13kernel_configILj256ELj4ELj4294967295EEENS1_37radix_sort_block_sort_config_selectorIfNS0_10empty_typeEEEZNS1_21radix_sort_block_sortIS4_Lb0EPfS9_PS6_SA_NS0_19identity_decomposerEEE10hipError_tT1_T2_T3_T4_jRjT5_jjP12ihipStream_tbEUlT_E_NS1_11comp_targetILNS1_3genE9ELNS1_11target_archE1100ELNS1_3gpuE3ELNS1_3repE0EEENS1_44radix_sort_block_sort_config_static_selectorELNS0_4arch9wavefront6targetE1EEEvSD_
		.amdhsa_group_segment_fixed_size 0
		.amdhsa_private_segment_fixed_size 0
		.amdhsa_kernarg_size 48
		.amdhsa_user_sgpr_count 6
		.amdhsa_user_sgpr_private_segment_buffer 1
		.amdhsa_user_sgpr_dispatch_ptr 0
		.amdhsa_user_sgpr_queue_ptr 0
		.amdhsa_user_sgpr_kernarg_segment_ptr 1
		.amdhsa_user_sgpr_dispatch_id 0
		.amdhsa_user_sgpr_flat_scratch_init 0
		.amdhsa_user_sgpr_kernarg_preload_length 0
		.amdhsa_user_sgpr_kernarg_preload_offset 0
		.amdhsa_user_sgpr_private_segment_size 0
		.amdhsa_uses_dynamic_stack 0
		.amdhsa_system_sgpr_private_segment_wavefront_offset 0
		.amdhsa_system_sgpr_workgroup_id_x 1
		.amdhsa_system_sgpr_workgroup_id_y 0
		.amdhsa_system_sgpr_workgroup_id_z 0
		.amdhsa_system_sgpr_workgroup_info 0
		.amdhsa_system_vgpr_workitem_id 0
		.amdhsa_next_free_vgpr 1
		.amdhsa_next_free_sgpr 0
		.amdhsa_accum_offset 4
		.amdhsa_reserve_vcc 0
		.amdhsa_reserve_flat_scratch 0
		.amdhsa_float_round_mode_32 0
		.amdhsa_float_round_mode_16_64 0
		.amdhsa_float_denorm_mode_32 3
		.amdhsa_float_denorm_mode_16_64 3
		.amdhsa_dx10_clamp 1
		.amdhsa_ieee_mode 1
		.amdhsa_fp16_overflow 0
		.amdhsa_tg_split 0
		.amdhsa_exception_fp_ieee_invalid_op 0
		.amdhsa_exception_fp_denorm_src 0
		.amdhsa_exception_fp_ieee_div_zero 0
		.amdhsa_exception_fp_ieee_overflow 0
		.amdhsa_exception_fp_ieee_underflow 0
		.amdhsa_exception_fp_ieee_inexact 0
		.amdhsa_exception_int_div_zero 0
	.end_amdhsa_kernel
	.section	.text._ZN7rocprim17ROCPRIM_400000_NS6detail17trampoline_kernelINS0_13kernel_configILj256ELj4ELj4294967295EEENS1_37radix_sort_block_sort_config_selectorIfNS0_10empty_typeEEEZNS1_21radix_sort_block_sortIS4_Lb0EPfS9_PS6_SA_NS0_19identity_decomposerEEE10hipError_tT1_T2_T3_T4_jRjT5_jjP12ihipStream_tbEUlT_E_NS1_11comp_targetILNS1_3genE9ELNS1_11target_archE1100ELNS1_3gpuE3ELNS1_3repE0EEENS1_44radix_sort_block_sort_config_static_selectorELNS0_4arch9wavefront6targetE1EEEvSD_,"axG",@progbits,_ZN7rocprim17ROCPRIM_400000_NS6detail17trampoline_kernelINS0_13kernel_configILj256ELj4ELj4294967295EEENS1_37radix_sort_block_sort_config_selectorIfNS0_10empty_typeEEEZNS1_21radix_sort_block_sortIS4_Lb0EPfS9_PS6_SA_NS0_19identity_decomposerEEE10hipError_tT1_T2_T3_T4_jRjT5_jjP12ihipStream_tbEUlT_E_NS1_11comp_targetILNS1_3genE9ELNS1_11target_archE1100ELNS1_3gpuE3ELNS1_3repE0EEENS1_44radix_sort_block_sort_config_static_selectorELNS0_4arch9wavefront6targetE1EEEvSD_,comdat
.Lfunc_end1225:
	.size	_ZN7rocprim17ROCPRIM_400000_NS6detail17trampoline_kernelINS0_13kernel_configILj256ELj4ELj4294967295EEENS1_37radix_sort_block_sort_config_selectorIfNS0_10empty_typeEEEZNS1_21radix_sort_block_sortIS4_Lb0EPfS9_PS6_SA_NS0_19identity_decomposerEEE10hipError_tT1_T2_T3_T4_jRjT5_jjP12ihipStream_tbEUlT_E_NS1_11comp_targetILNS1_3genE9ELNS1_11target_archE1100ELNS1_3gpuE3ELNS1_3repE0EEENS1_44radix_sort_block_sort_config_static_selectorELNS0_4arch9wavefront6targetE1EEEvSD_, .Lfunc_end1225-_ZN7rocprim17ROCPRIM_400000_NS6detail17trampoline_kernelINS0_13kernel_configILj256ELj4ELj4294967295EEENS1_37radix_sort_block_sort_config_selectorIfNS0_10empty_typeEEEZNS1_21radix_sort_block_sortIS4_Lb0EPfS9_PS6_SA_NS0_19identity_decomposerEEE10hipError_tT1_T2_T3_T4_jRjT5_jjP12ihipStream_tbEUlT_E_NS1_11comp_targetILNS1_3genE9ELNS1_11target_archE1100ELNS1_3gpuE3ELNS1_3repE0EEENS1_44radix_sort_block_sort_config_static_selectorELNS0_4arch9wavefront6targetE1EEEvSD_
                                        ; -- End function
	.section	.AMDGPU.csdata,"",@progbits
; Kernel info:
; codeLenInByte = 0
; NumSgprs: 4
; NumVgprs: 0
; NumAgprs: 0
; TotalNumVgprs: 0
; ScratchSize: 0
; MemoryBound: 0
; FloatMode: 240
; IeeeMode: 1
; LDSByteSize: 0 bytes/workgroup (compile time only)
; SGPRBlocks: 0
; VGPRBlocks: 0
; NumSGPRsForWavesPerEU: 4
; NumVGPRsForWavesPerEU: 1
; AccumOffset: 4
; Occupancy: 8
; WaveLimiterHint : 0
; COMPUTE_PGM_RSRC2:SCRATCH_EN: 0
; COMPUTE_PGM_RSRC2:USER_SGPR: 6
; COMPUTE_PGM_RSRC2:TRAP_HANDLER: 0
; COMPUTE_PGM_RSRC2:TGID_X_EN: 1
; COMPUTE_PGM_RSRC2:TGID_Y_EN: 0
; COMPUTE_PGM_RSRC2:TGID_Z_EN: 0
; COMPUTE_PGM_RSRC2:TIDIG_COMP_CNT: 0
; COMPUTE_PGM_RSRC3_GFX90A:ACCUM_OFFSET: 0
; COMPUTE_PGM_RSRC3_GFX90A:TG_SPLIT: 0
	.section	.text._ZN7rocprim17ROCPRIM_400000_NS6detail17trampoline_kernelINS0_13kernel_configILj256ELj4ELj4294967295EEENS1_37radix_sort_block_sort_config_selectorIfNS0_10empty_typeEEEZNS1_21radix_sort_block_sortIS4_Lb0EPfS9_PS6_SA_NS0_19identity_decomposerEEE10hipError_tT1_T2_T3_T4_jRjT5_jjP12ihipStream_tbEUlT_E_NS1_11comp_targetILNS1_3genE8ELNS1_11target_archE1030ELNS1_3gpuE2ELNS1_3repE0EEENS1_44radix_sort_block_sort_config_static_selectorELNS0_4arch9wavefront6targetE1EEEvSD_,"axG",@progbits,_ZN7rocprim17ROCPRIM_400000_NS6detail17trampoline_kernelINS0_13kernel_configILj256ELj4ELj4294967295EEENS1_37radix_sort_block_sort_config_selectorIfNS0_10empty_typeEEEZNS1_21radix_sort_block_sortIS4_Lb0EPfS9_PS6_SA_NS0_19identity_decomposerEEE10hipError_tT1_T2_T3_T4_jRjT5_jjP12ihipStream_tbEUlT_E_NS1_11comp_targetILNS1_3genE8ELNS1_11target_archE1030ELNS1_3gpuE2ELNS1_3repE0EEENS1_44radix_sort_block_sort_config_static_selectorELNS0_4arch9wavefront6targetE1EEEvSD_,comdat
	.protected	_ZN7rocprim17ROCPRIM_400000_NS6detail17trampoline_kernelINS0_13kernel_configILj256ELj4ELj4294967295EEENS1_37radix_sort_block_sort_config_selectorIfNS0_10empty_typeEEEZNS1_21radix_sort_block_sortIS4_Lb0EPfS9_PS6_SA_NS0_19identity_decomposerEEE10hipError_tT1_T2_T3_T4_jRjT5_jjP12ihipStream_tbEUlT_E_NS1_11comp_targetILNS1_3genE8ELNS1_11target_archE1030ELNS1_3gpuE2ELNS1_3repE0EEENS1_44radix_sort_block_sort_config_static_selectorELNS0_4arch9wavefront6targetE1EEEvSD_ ; -- Begin function _ZN7rocprim17ROCPRIM_400000_NS6detail17trampoline_kernelINS0_13kernel_configILj256ELj4ELj4294967295EEENS1_37radix_sort_block_sort_config_selectorIfNS0_10empty_typeEEEZNS1_21radix_sort_block_sortIS4_Lb0EPfS9_PS6_SA_NS0_19identity_decomposerEEE10hipError_tT1_T2_T3_T4_jRjT5_jjP12ihipStream_tbEUlT_E_NS1_11comp_targetILNS1_3genE8ELNS1_11target_archE1030ELNS1_3gpuE2ELNS1_3repE0EEENS1_44radix_sort_block_sort_config_static_selectorELNS0_4arch9wavefront6targetE1EEEvSD_
	.globl	_ZN7rocprim17ROCPRIM_400000_NS6detail17trampoline_kernelINS0_13kernel_configILj256ELj4ELj4294967295EEENS1_37radix_sort_block_sort_config_selectorIfNS0_10empty_typeEEEZNS1_21radix_sort_block_sortIS4_Lb0EPfS9_PS6_SA_NS0_19identity_decomposerEEE10hipError_tT1_T2_T3_T4_jRjT5_jjP12ihipStream_tbEUlT_E_NS1_11comp_targetILNS1_3genE8ELNS1_11target_archE1030ELNS1_3gpuE2ELNS1_3repE0EEENS1_44radix_sort_block_sort_config_static_selectorELNS0_4arch9wavefront6targetE1EEEvSD_
	.p2align	8
	.type	_ZN7rocprim17ROCPRIM_400000_NS6detail17trampoline_kernelINS0_13kernel_configILj256ELj4ELj4294967295EEENS1_37radix_sort_block_sort_config_selectorIfNS0_10empty_typeEEEZNS1_21radix_sort_block_sortIS4_Lb0EPfS9_PS6_SA_NS0_19identity_decomposerEEE10hipError_tT1_T2_T3_T4_jRjT5_jjP12ihipStream_tbEUlT_E_NS1_11comp_targetILNS1_3genE8ELNS1_11target_archE1030ELNS1_3gpuE2ELNS1_3repE0EEENS1_44radix_sort_block_sort_config_static_selectorELNS0_4arch9wavefront6targetE1EEEvSD_,@function
_ZN7rocprim17ROCPRIM_400000_NS6detail17trampoline_kernelINS0_13kernel_configILj256ELj4ELj4294967295EEENS1_37radix_sort_block_sort_config_selectorIfNS0_10empty_typeEEEZNS1_21radix_sort_block_sortIS4_Lb0EPfS9_PS6_SA_NS0_19identity_decomposerEEE10hipError_tT1_T2_T3_T4_jRjT5_jjP12ihipStream_tbEUlT_E_NS1_11comp_targetILNS1_3genE8ELNS1_11target_archE1030ELNS1_3gpuE2ELNS1_3repE0EEENS1_44radix_sort_block_sort_config_static_selectorELNS0_4arch9wavefront6targetE1EEEvSD_: ; @_ZN7rocprim17ROCPRIM_400000_NS6detail17trampoline_kernelINS0_13kernel_configILj256ELj4ELj4294967295EEENS1_37radix_sort_block_sort_config_selectorIfNS0_10empty_typeEEEZNS1_21radix_sort_block_sortIS4_Lb0EPfS9_PS6_SA_NS0_19identity_decomposerEEE10hipError_tT1_T2_T3_T4_jRjT5_jjP12ihipStream_tbEUlT_E_NS1_11comp_targetILNS1_3genE8ELNS1_11target_archE1030ELNS1_3gpuE2ELNS1_3repE0EEENS1_44radix_sort_block_sort_config_static_selectorELNS0_4arch9wavefront6targetE1EEEvSD_
; %bb.0:
	.section	.rodata,"a",@progbits
	.p2align	6, 0x0
	.amdhsa_kernel _ZN7rocprim17ROCPRIM_400000_NS6detail17trampoline_kernelINS0_13kernel_configILj256ELj4ELj4294967295EEENS1_37radix_sort_block_sort_config_selectorIfNS0_10empty_typeEEEZNS1_21radix_sort_block_sortIS4_Lb0EPfS9_PS6_SA_NS0_19identity_decomposerEEE10hipError_tT1_T2_T3_T4_jRjT5_jjP12ihipStream_tbEUlT_E_NS1_11comp_targetILNS1_3genE8ELNS1_11target_archE1030ELNS1_3gpuE2ELNS1_3repE0EEENS1_44radix_sort_block_sort_config_static_selectorELNS0_4arch9wavefront6targetE1EEEvSD_
		.amdhsa_group_segment_fixed_size 0
		.amdhsa_private_segment_fixed_size 0
		.amdhsa_kernarg_size 48
		.amdhsa_user_sgpr_count 6
		.amdhsa_user_sgpr_private_segment_buffer 1
		.amdhsa_user_sgpr_dispatch_ptr 0
		.amdhsa_user_sgpr_queue_ptr 0
		.amdhsa_user_sgpr_kernarg_segment_ptr 1
		.amdhsa_user_sgpr_dispatch_id 0
		.amdhsa_user_sgpr_flat_scratch_init 0
		.amdhsa_user_sgpr_kernarg_preload_length 0
		.amdhsa_user_sgpr_kernarg_preload_offset 0
		.amdhsa_user_sgpr_private_segment_size 0
		.amdhsa_uses_dynamic_stack 0
		.amdhsa_system_sgpr_private_segment_wavefront_offset 0
		.amdhsa_system_sgpr_workgroup_id_x 1
		.amdhsa_system_sgpr_workgroup_id_y 0
		.amdhsa_system_sgpr_workgroup_id_z 0
		.amdhsa_system_sgpr_workgroup_info 0
		.amdhsa_system_vgpr_workitem_id 0
		.amdhsa_next_free_vgpr 1
		.amdhsa_next_free_sgpr 0
		.amdhsa_accum_offset 4
		.amdhsa_reserve_vcc 0
		.amdhsa_reserve_flat_scratch 0
		.amdhsa_float_round_mode_32 0
		.amdhsa_float_round_mode_16_64 0
		.amdhsa_float_denorm_mode_32 3
		.amdhsa_float_denorm_mode_16_64 3
		.amdhsa_dx10_clamp 1
		.amdhsa_ieee_mode 1
		.amdhsa_fp16_overflow 0
		.amdhsa_tg_split 0
		.amdhsa_exception_fp_ieee_invalid_op 0
		.amdhsa_exception_fp_denorm_src 0
		.amdhsa_exception_fp_ieee_div_zero 0
		.amdhsa_exception_fp_ieee_overflow 0
		.amdhsa_exception_fp_ieee_underflow 0
		.amdhsa_exception_fp_ieee_inexact 0
		.amdhsa_exception_int_div_zero 0
	.end_amdhsa_kernel
	.section	.text._ZN7rocprim17ROCPRIM_400000_NS6detail17trampoline_kernelINS0_13kernel_configILj256ELj4ELj4294967295EEENS1_37radix_sort_block_sort_config_selectorIfNS0_10empty_typeEEEZNS1_21radix_sort_block_sortIS4_Lb0EPfS9_PS6_SA_NS0_19identity_decomposerEEE10hipError_tT1_T2_T3_T4_jRjT5_jjP12ihipStream_tbEUlT_E_NS1_11comp_targetILNS1_3genE8ELNS1_11target_archE1030ELNS1_3gpuE2ELNS1_3repE0EEENS1_44radix_sort_block_sort_config_static_selectorELNS0_4arch9wavefront6targetE1EEEvSD_,"axG",@progbits,_ZN7rocprim17ROCPRIM_400000_NS6detail17trampoline_kernelINS0_13kernel_configILj256ELj4ELj4294967295EEENS1_37radix_sort_block_sort_config_selectorIfNS0_10empty_typeEEEZNS1_21radix_sort_block_sortIS4_Lb0EPfS9_PS6_SA_NS0_19identity_decomposerEEE10hipError_tT1_T2_T3_T4_jRjT5_jjP12ihipStream_tbEUlT_E_NS1_11comp_targetILNS1_3genE8ELNS1_11target_archE1030ELNS1_3gpuE2ELNS1_3repE0EEENS1_44radix_sort_block_sort_config_static_selectorELNS0_4arch9wavefront6targetE1EEEvSD_,comdat
.Lfunc_end1226:
	.size	_ZN7rocprim17ROCPRIM_400000_NS6detail17trampoline_kernelINS0_13kernel_configILj256ELj4ELj4294967295EEENS1_37radix_sort_block_sort_config_selectorIfNS0_10empty_typeEEEZNS1_21radix_sort_block_sortIS4_Lb0EPfS9_PS6_SA_NS0_19identity_decomposerEEE10hipError_tT1_T2_T3_T4_jRjT5_jjP12ihipStream_tbEUlT_E_NS1_11comp_targetILNS1_3genE8ELNS1_11target_archE1030ELNS1_3gpuE2ELNS1_3repE0EEENS1_44radix_sort_block_sort_config_static_selectorELNS0_4arch9wavefront6targetE1EEEvSD_, .Lfunc_end1226-_ZN7rocprim17ROCPRIM_400000_NS6detail17trampoline_kernelINS0_13kernel_configILj256ELj4ELj4294967295EEENS1_37radix_sort_block_sort_config_selectorIfNS0_10empty_typeEEEZNS1_21radix_sort_block_sortIS4_Lb0EPfS9_PS6_SA_NS0_19identity_decomposerEEE10hipError_tT1_T2_T3_T4_jRjT5_jjP12ihipStream_tbEUlT_E_NS1_11comp_targetILNS1_3genE8ELNS1_11target_archE1030ELNS1_3gpuE2ELNS1_3repE0EEENS1_44radix_sort_block_sort_config_static_selectorELNS0_4arch9wavefront6targetE1EEEvSD_
                                        ; -- End function
	.section	.AMDGPU.csdata,"",@progbits
; Kernel info:
; codeLenInByte = 0
; NumSgprs: 4
; NumVgprs: 0
; NumAgprs: 0
; TotalNumVgprs: 0
; ScratchSize: 0
; MemoryBound: 0
; FloatMode: 240
; IeeeMode: 1
; LDSByteSize: 0 bytes/workgroup (compile time only)
; SGPRBlocks: 0
; VGPRBlocks: 0
; NumSGPRsForWavesPerEU: 4
; NumVGPRsForWavesPerEU: 1
; AccumOffset: 4
; Occupancy: 8
; WaveLimiterHint : 0
; COMPUTE_PGM_RSRC2:SCRATCH_EN: 0
; COMPUTE_PGM_RSRC2:USER_SGPR: 6
; COMPUTE_PGM_RSRC2:TRAP_HANDLER: 0
; COMPUTE_PGM_RSRC2:TGID_X_EN: 1
; COMPUTE_PGM_RSRC2:TGID_Y_EN: 0
; COMPUTE_PGM_RSRC2:TGID_Z_EN: 0
; COMPUTE_PGM_RSRC2:TIDIG_COMP_CNT: 0
; COMPUTE_PGM_RSRC3_GFX90A:ACCUM_OFFSET: 0
; COMPUTE_PGM_RSRC3_GFX90A:TG_SPLIT: 0
	.section	.text._ZN7rocprim17ROCPRIM_400000_NS6detail44device_merge_sort_compile_time_verifier_archINS1_11comp_targetILNS1_3genE0ELNS1_11target_archE4294967295ELNS1_3gpuE0ELNS1_3repE0EEES8_NS1_28merge_sort_block_sort_configILj256ELj4ELNS0_20block_sort_algorithmE0EEENS0_14default_configENS1_37merge_sort_block_sort_config_selectorIfNS0_10empty_typeEEENS1_38merge_sort_block_merge_config_selectorIfSE_EEEEvv,"axG",@progbits,_ZN7rocprim17ROCPRIM_400000_NS6detail44device_merge_sort_compile_time_verifier_archINS1_11comp_targetILNS1_3genE0ELNS1_11target_archE4294967295ELNS1_3gpuE0ELNS1_3repE0EEES8_NS1_28merge_sort_block_sort_configILj256ELj4ELNS0_20block_sort_algorithmE0EEENS0_14default_configENS1_37merge_sort_block_sort_config_selectorIfNS0_10empty_typeEEENS1_38merge_sort_block_merge_config_selectorIfSE_EEEEvv,comdat
	.protected	_ZN7rocprim17ROCPRIM_400000_NS6detail44device_merge_sort_compile_time_verifier_archINS1_11comp_targetILNS1_3genE0ELNS1_11target_archE4294967295ELNS1_3gpuE0ELNS1_3repE0EEES8_NS1_28merge_sort_block_sort_configILj256ELj4ELNS0_20block_sort_algorithmE0EEENS0_14default_configENS1_37merge_sort_block_sort_config_selectorIfNS0_10empty_typeEEENS1_38merge_sort_block_merge_config_selectorIfSE_EEEEvv ; -- Begin function _ZN7rocprim17ROCPRIM_400000_NS6detail44device_merge_sort_compile_time_verifier_archINS1_11comp_targetILNS1_3genE0ELNS1_11target_archE4294967295ELNS1_3gpuE0ELNS1_3repE0EEES8_NS1_28merge_sort_block_sort_configILj256ELj4ELNS0_20block_sort_algorithmE0EEENS0_14default_configENS1_37merge_sort_block_sort_config_selectorIfNS0_10empty_typeEEENS1_38merge_sort_block_merge_config_selectorIfSE_EEEEvv
	.globl	_ZN7rocprim17ROCPRIM_400000_NS6detail44device_merge_sort_compile_time_verifier_archINS1_11comp_targetILNS1_3genE0ELNS1_11target_archE4294967295ELNS1_3gpuE0ELNS1_3repE0EEES8_NS1_28merge_sort_block_sort_configILj256ELj4ELNS0_20block_sort_algorithmE0EEENS0_14default_configENS1_37merge_sort_block_sort_config_selectorIfNS0_10empty_typeEEENS1_38merge_sort_block_merge_config_selectorIfSE_EEEEvv
	.p2align	8
	.type	_ZN7rocprim17ROCPRIM_400000_NS6detail44device_merge_sort_compile_time_verifier_archINS1_11comp_targetILNS1_3genE0ELNS1_11target_archE4294967295ELNS1_3gpuE0ELNS1_3repE0EEES8_NS1_28merge_sort_block_sort_configILj256ELj4ELNS0_20block_sort_algorithmE0EEENS0_14default_configENS1_37merge_sort_block_sort_config_selectorIfNS0_10empty_typeEEENS1_38merge_sort_block_merge_config_selectorIfSE_EEEEvv,@function
_ZN7rocprim17ROCPRIM_400000_NS6detail44device_merge_sort_compile_time_verifier_archINS1_11comp_targetILNS1_3genE0ELNS1_11target_archE4294967295ELNS1_3gpuE0ELNS1_3repE0EEES8_NS1_28merge_sort_block_sort_configILj256ELj4ELNS0_20block_sort_algorithmE0EEENS0_14default_configENS1_37merge_sort_block_sort_config_selectorIfNS0_10empty_typeEEENS1_38merge_sort_block_merge_config_selectorIfSE_EEEEvv: ; @_ZN7rocprim17ROCPRIM_400000_NS6detail44device_merge_sort_compile_time_verifier_archINS1_11comp_targetILNS1_3genE0ELNS1_11target_archE4294967295ELNS1_3gpuE0ELNS1_3repE0EEES8_NS1_28merge_sort_block_sort_configILj256ELj4ELNS0_20block_sort_algorithmE0EEENS0_14default_configENS1_37merge_sort_block_sort_config_selectorIfNS0_10empty_typeEEENS1_38merge_sort_block_merge_config_selectorIfSE_EEEEvv
; %bb.0:
	s_endpgm
	.section	.rodata,"a",@progbits
	.p2align	6, 0x0
	.amdhsa_kernel _ZN7rocprim17ROCPRIM_400000_NS6detail44device_merge_sort_compile_time_verifier_archINS1_11comp_targetILNS1_3genE0ELNS1_11target_archE4294967295ELNS1_3gpuE0ELNS1_3repE0EEES8_NS1_28merge_sort_block_sort_configILj256ELj4ELNS0_20block_sort_algorithmE0EEENS0_14default_configENS1_37merge_sort_block_sort_config_selectorIfNS0_10empty_typeEEENS1_38merge_sort_block_merge_config_selectorIfSE_EEEEvv
		.amdhsa_group_segment_fixed_size 0
		.amdhsa_private_segment_fixed_size 0
		.amdhsa_kernarg_size 0
		.amdhsa_user_sgpr_count 4
		.amdhsa_user_sgpr_private_segment_buffer 1
		.amdhsa_user_sgpr_dispatch_ptr 0
		.amdhsa_user_sgpr_queue_ptr 0
		.amdhsa_user_sgpr_kernarg_segment_ptr 0
		.amdhsa_user_sgpr_dispatch_id 0
		.amdhsa_user_sgpr_flat_scratch_init 0
		.amdhsa_user_sgpr_kernarg_preload_length 0
		.amdhsa_user_sgpr_kernarg_preload_offset 0
		.amdhsa_user_sgpr_private_segment_size 0
		.amdhsa_uses_dynamic_stack 0
		.amdhsa_system_sgpr_private_segment_wavefront_offset 0
		.amdhsa_system_sgpr_workgroup_id_x 1
		.amdhsa_system_sgpr_workgroup_id_y 0
		.amdhsa_system_sgpr_workgroup_id_z 0
		.amdhsa_system_sgpr_workgroup_info 0
		.amdhsa_system_vgpr_workitem_id 0
		.amdhsa_next_free_vgpr 1
		.amdhsa_next_free_sgpr 0
		.amdhsa_accum_offset 4
		.amdhsa_reserve_vcc 0
		.amdhsa_reserve_flat_scratch 0
		.amdhsa_float_round_mode_32 0
		.amdhsa_float_round_mode_16_64 0
		.amdhsa_float_denorm_mode_32 3
		.amdhsa_float_denorm_mode_16_64 3
		.amdhsa_dx10_clamp 1
		.amdhsa_ieee_mode 1
		.amdhsa_fp16_overflow 0
		.amdhsa_tg_split 0
		.amdhsa_exception_fp_ieee_invalid_op 0
		.amdhsa_exception_fp_denorm_src 0
		.amdhsa_exception_fp_ieee_div_zero 0
		.amdhsa_exception_fp_ieee_overflow 0
		.amdhsa_exception_fp_ieee_underflow 0
		.amdhsa_exception_fp_ieee_inexact 0
		.amdhsa_exception_int_div_zero 0
	.end_amdhsa_kernel
	.section	.text._ZN7rocprim17ROCPRIM_400000_NS6detail44device_merge_sort_compile_time_verifier_archINS1_11comp_targetILNS1_3genE0ELNS1_11target_archE4294967295ELNS1_3gpuE0ELNS1_3repE0EEES8_NS1_28merge_sort_block_sort_configILj256ELj4ELNS0_20block_sort_algorithmE0EEENS0_14default_configENS1_37merge_sort_block_sort_config_selectorIfNS0_10empty_typeEEENS1_38merge_sort_block_merge_config_selectorIfSE_EEEEvv,"axG",@progbits,_ZN7rocprim17ROCPRIM_400000_NS6detail44device_merge_sort_compile_time_verifier_archINS1_11comp_targetILNS1_3genE0ELNS1_11target_archE4294967295ELNS1_3gpuE0ELNS1_3repE0EEES8_NS1_28merge_sort_block_sort_configILj256ELj4ELNS0_20block_sort_algorithmE0EEENS0_14default_configENS1_37merge_sort_block_sort_config_selectorIfNS0_10empty_typeEEENS1_38merge_sort_block_merge_config_selectorIfSE_EEEEvv,comdat
.Lfunc_end1227:
	.size	_ZN7rocprim17ROCPRIM_400000_NS6detail44device_merge_sort_compile_time_verifier_archINS1_11comp_targetILNS1_3genE0ELNS1_11target_archE4294967295ELNS1_3gpuE0ELNS1_3repE0EEES8_NS1_28merge_sort_block_sort_configILj256ELj4ELNS0_20block_sort_algorithmE0EEENS0_14default_configENS1_37merge_sort_block_sort_config_selectorIfNS0_10empty_typeEEENS1_38merge_sort_block_merge_config_selectorIfSE_EEEEvv, .Lfunc_end1227-_ZN7rocprim17ROCPRIM_400000_NS6detail44device_merge_sort_compile_time_verifier_archINS1_11comp_targetILNS1_3genE0ELNS1_11target_archE4294967295ELNS1_3gpuE0ELNS1_3repE0EEES8_NS1_28merge_sort_block_sort_configILj256ELj4ELNS0_20block_sort_algorithmE0EEENS0_14default_configENS1_37merge_sort_block_sort_config_selectorIfNS0_10empty_typeEEENS1_38merge_sort_block_merge_config_selectorIfSE_EEEEvv
                                        ; -- End function
	.section	.AMDGPU.csdata,"",@progbits
; Kernel info:
; codeLenInByte = 4
; NumSgprs: 4
; NumVgprs: 0
; NumAgprs: 0
; TotalNumVgprs: 0
; ScratchSize: 0
; MemoryBound: 0
; FloatMode: 240
; IeeeMode: 1
; LDSByteSize: 0 bytes/workgroup (compile time only)
; SGPRBlocks: 0
; VGPRBlocks: 0
; NumSGPRsForWavesPerEU: 4
; NumVGPRsForWavesPerEU: 1
; AccumOffset: 4
; Occupancy: 8
; WaveLimiterHint : 0
; COMPUTE_PGM_RSRC2:SCRATCH_EN: 0
; COMPUTE_PGM_RSRC2:USER_SGPR: 4
; COMPUTE_PGM_RSRC2:TRAP_HANDLER: 0
; COMPUTE_PGM_RSRC2:TGID_X_EN: 1
; COMPUTE_PGM_RSRC2:TGID_Y_EN: 0
; COMPUTE_PGM_RSRC2:TGID_Z_EN: 0
; COMPUTE_PGM_RSRC2:TIDIG_COMP_CNT: 0
; COMPUTE_PGM_RSRC3_GFX90A:ACCUM_OFFSET: 0
; COMPUTE_PGM_RSRC3_GFX90A:TG_SPLIT: 0
	.section	.text._ZN7rocprim17ROCPRIM_400000_NS6detail44device_merge_sort_compile_time_verifier_archINS1_11comp_targetILNS1_3genE5ELNS1_11target_archE942ELNS1_3gpuE9ELNS1_3repE0EEES8_NS1_28merge_sort_block_sort_configILj256ELj4ELNS0_20block_sort_algorithmE0EEENS0_14default_configENS1_37merge_sort_block_sort_config_selectorIfNS0_10empty_typeEEENS1_38merge_sort_block_merge_config_selectorIfSE_EEEEvv,"axG",@progbits,_ZN7rocprim17ROCPRIM_400000_NS6detail44device_merge_sort_compile_time_verifier_archINS1_11comp_targetILNS1_3genE5ELNS1_11target_archE942ELNS1_3gpuE9ELNS1_3repE0EEES8_NS1_28merge_sort_block_sort_configILj256ELj4ELNS0_20block_sort_algorithmE0EEENS0_14default_configENS1_37merge_sort_block_sort_config_selectorIfNS0_10empty_typeEEENS1_38merge_sort_block_merge_config_selectorIfSE_EEEEvv,comdat
	.protected	_ZN7rocprim17ROCPRIM_400000_NS6detail44device_merge_sort_compile_time_verifier_archINS1_11comp_targetILNS1_3genE5ELNS1_11target_archE942ELNS1_3gpuE9ELNS1_3repE0EEES8_NS1_28merge_sort_block_sort_configILj256ELj4ELNS0_20block_sort_algorithmE0EEENS0_14default_configENS1_37merge_sort_block_sort_config_selectorIfNS0_10empty_typeEEENS1_38merge_sort_block_merge_config_selectorIfSE_EEEEvv ; -- Begin function _ZN7rocprim17ROCPRIM_400000_NS6detail44device_merge_sort_compile_time_verifier_archINS1_11comp_targetILNS1_3genE5ELNS1_11target_archE942ELNS1_3gpuE9ELNS1_3repE0EEES8_NS1_28merge_sort_block_sort_configILj256ELj4ELNS0_20block_sort_algorithmE0EEENS0_14default_configENS1_37merge_sort_block_sort_config_selectorIfNS0_10empty_typeEEENS1_38merge_sort_block_merge_config_selectorIfSE_EEEEvv
	.globl	_ZN7rocprim17ROCPRIM_400000_NS6detail44device_merge_sort_compile_time_verifier_archINS1_11comp_targetILNS1_3genE5ELNS1_11target_archE942ELNS1_3gpuE9ELNS1_3repE0EEES8_NS1_28merge_sort_block_sort_configILj256ELj4ELNS0_20block_sort_algorithmE0EEENS0_14default_configENS1_37merge_sort_block_sort_config_selectorIfNS0_10empty_typeEEENS1_38merge_sort_block_merge_config_selectorIfSE_EEEEvv
	.p2align	8
	.type	_ZN7rocprim17ROCPRIM_400000_NS6detail44device_merge_sort_compile_time_verifier_archINS1_11comp_targetILNS1_3genE5ELNS1_11target_archE942ELNS1_3gpuE9ELNS1_3repE0EEES8_NS1_28merge_sort_block_sort_configILj256ELj4ELNS0_20block_sort_algorithmE0EEENS0_14default_configENS1_37merge_sort_block_sort_config_selectorIfNS0_10empty_typeEEENS1_38merge_sort_block_merge_config_selectorIfSE_EEEEvv,@function
_ZN7rocprim17ROCPRIM_400000_NS6detail44device_merge_sort_compile_time_verifier_archINS1_11comp_targetILNS1_3genE5ELNS1_11target_archE942ELNS1_3gpuE9ELNS1_3repE0EEES8_NS1_28merge_sort_block_sort_configILj256ELj4ELNS0_20block_sort_algorithmE0EEENS0_14default_configENS1_37merge_sort_block_sort_config_selectorIfNS0_10empty_typeEEENS1_38merge_sort_block_merge_config_selectorIfSE_EEEEvv: ; @_ZN7rocprim17ROCPRIM_400000_NS6detail44device_merge_sort_compile_time_verifier_archINS1_11comp_targetILNS1_3genE5ELNS1_11target_archE942ELNS1_3gpuE9ELNS1_3repE0EEES8_NS1_28merge_sort_block_sort_configILj256ELj4ELNS0_20block_sort_algorithmE0EEENS0_14default_configENS1_37merge_sort_block_sort_config_selectorIfNS0_10empty_typeEEENS1_38merge_sort_block_merge_config_selectorIfSE_EEEEvv
; %bb.0:
	s_endpgm
	.section	.rodata,"a",@progbits
	.p2align	6, 0x0
	.amdhsa_kernel _ZN7rocprim17ROCPRIM_400000_NS6detail44device_merge_sort_compile_time_verifier_archINS1_11comp_targetILNS1_3genE5ELNS1_11target_archE942ELNS1_3gpuE9ELNS1_3repE0EEES8_NS1_28merge_sort_block_sort_configILj256ELj4ELNS0_20block_sort_algorithmE0EEENS0_14default_configENS1_37merge_sort_block_sort_config_selectorIfNS0_10empty_typeEEENS1_38merge_sort_block_merge_config_selectorIfSE_EEEEvv
		.amdhsa_group_segment_fixed_size 0
		.amdhsa_private_segment_fixed_size 0
		.amdhsa_kernarg_size 0
		.amdhsa_user_sgpr_count 4
		.amdhsa_user_sgpr_private_segment_buffer 1
		.amdhsa_user_sgpr_dispatch_ptr 0
		.amdhsa_user_sgpr_queue_ptr 0
		.amdhsa_user_sgpr_kernarg_segment_ptr 0
		.amdhsa_user_sgpr_dispatch_id 0
		.amdhsa_user_sgpr_flat_scratch_init 0
		.amdhsa_user_sgpr_kernarg_preload_length 0
		.amdhsa_user_sgpr_kernarg_preload_offset 0
		.amdhsa_user_sgpr_private_segment_size 0
		.amdhsa_uses_dynamic_stack 0
		.amdhsa_system_sgpr_private_segment_wavefront_offset 0
		.amdhsa_system_sgpr_workgroup_id_x 1
		.amdhsa_system_sgpr_workgroup_id_y 0
		.amdhsa_system_sgpr_workgroup_id_z 0
		.amdhsa_system_sgpr_workgroup_info 0
		.amdhsa_system_vgpr_workitem_id 0
		.amdhsa_next_free_vgpr 1
		.amdhsa_next_free_sgpr 0
		.amdhsa_accum_offset 4
		.amdhsa_reserve_vcc 0
		.amdhsa_reserve_flat_scratch 0
		.amdhsa_float_round_mode_32 0
		.amdhsa_float_round_mode_16_64 0
		.amdhsa_float_denorm_mode_32 3
		.amdhsa_float_denorm_mode_16_64 3
		.amdhsa_dx10_clamp 1
		.amdhsa_ieee_mode 1
		.amdhsa_fp16_overflow 0
		.amdhsa_tg_split 0
		.amdhsa_exception_fp_ieee_invalid_op 0
		.amdhsa_exception_fp_denorm_src 0
		.amdhsa_exception_fp_ieee_div_zero 0
		.amdhsa_exception_fp_ieee_overflow 0
		.amdhsa_exception_fp_ieee_underflow 0
		.amdhsa_exception_fp_ieee_inexact 0
		.amdhsa_exception_int_div_zero 0
	.end_amdhsa_kernel
	.section	.text._ZN7rocprim17ROCPRIM_400000_NS6detail44device_merge_sort_compile_time_verifier_archINS1_11comp_targetILNS1_3genE5ELNS1_11target_archE942ELNS1_3gpuE9ELNS1_3repE0EEES8_NS1_28merge_sort_block_sort_configILj256ELj4ELNS0_20block_sort_algorithmE0EEENS0_14default_configENS1_37merge_sort_block_sort_config_selectorIfNS0_10empty_typeEEENS1_38merge_sort_block_merge_config_selectorIfSE_EEEEvv,"axG",@progbits,_ZN7rocprim17ROCPRIM_400000_NS6detail44device_merge_sort_compile_time_verifier_archINS1_11comp_targetILNS1_3genE5ELNS1_11target_archE942ELNS1_3gpuE9ELNS1_3repE0EEES8_NS1_28merge_sort_block_sort_configILj256ELj4ELNS0_20block_sort_algorithmE0EEENS0_14default_configENS1_37merge_sort_block_sort_config_selectorIfNS0_10empty_typeEEENS1_38merge_sort_block_merge_config_selectorIfSE_EEEEvv,comdat
.Lfunc_end1228:
	.size	_ZN7rocprim17ROCPRIM_400000_NS6detail44device_merge_sort_compile_time_verifier_archINS1_11comp_targetILNS1_3genE5ELNS1_11target_archE942ELNS1_3gpuE9ELNS1_3repE0EEES8_NS1_28merge_sort_block_sort_configILj256ELj4ELNS0_20block_sort_algorithmE0EEENS0_14default_configENS1_37merge_sort_block_sort_config_selectorIfNS0_10empty_typeEEENS1_38merge_sort_block_merge_config_selectorIfSE_EEEEvv, .Lfunc_end1228-_ZN7rocprim17ROCPRIM_400000_NS6detail44device_merge_sort_compile_time_verifier_archINS1_11comp_targetILNS1_3genE5ELNS1_11target_archE942ELNS1_3gpuE9ELNS1_3repE0EEES8_NS1_28merge_sort_block_sort_configILj256ELj4ELNS0_20block_sort_algorithmE0EEENS0_14default_configENS1_37merge_sort_block_sort_config_selectorIfNS0_10empty_typeEEENS1_38merge_sort_block_merge_config_selectorIfSE_EEEEvv
                                        ; -- End function
	.section	.AMDGPU.csdata,"",@progbits
; Kernel info:
; codeLenInByte = 4
; NumSgprs: 4
; NumVgprs: 0
; NumAgprs: 0
; TotalNumVgprs: 0
; ScratchSize: 0
; MemoryBound: 0
; FloatMode: 240
; IeeeMode: 1
; LDSByteSize: 0 bytes/workgroup (compile time only)
; SGPRBlocks: 0
; VGPRBlocks: 0
; NumSGPRsForWavesPerEU: 4
; NumVGPRsForWavesPerEU: 1
; AccumOffset: 4
; Occupancy: 8
; WaveLimiterHint : 0
; COMPUTE_PGM_RSRC2:SCRATCH_EN: 0
; COMPUTE_PGM_RSRC2:USER_SGPR: 4
; COMPUTE_PGM_RSRC2:TRAP_HANDLER: 0
; COMPUTE_PGM_RSRC2:TGID_X_EN: 1
; COMPUTE_PGM_RSRC2:TGID_Y_EN: 0
; COMPUTE_PGM_RSRC2:TGID_Z_EN: 0
; COMPUTE_PGM_RSRC2:TIDIG_COMP_CNT: 0
; COMPUTE_PGM_RSRC3_GFX90A:ACCUM_OFFSET: 0
; COMPUTE_PGM_RSRC3_GFX90A:TG_SPLIT: 0
	.section	.text._ZN7rocprim17ROCPRIM_400000_NS6detail44device_merge_sort_compile_time_verifier_archINS1_11comp_targetILNS1_3genE4ELNS1_11target_archE910ELNS1_3gpuE8ELNS1_3repE0EEES8_NS1_28merge_sort_block_sort_configILj256ELj4ELNS0_20block_sort_algorithmE0EEENS0_14default_configENS1_37merge_sort_block_sort_config_selectorIfNS0_10empty_typeEEENS1_38merge_sort_block_merge_config_selectorIfSE_EEEEvv,"axG",@progbits,_ZN7rocprim17ROCPRIM_400000_NS6detail44device_merge_sort_compile_time_verifier_archINS1_11comp_targetILNS1_3genE4ELNS1_11target_archE910ELNS1_3gpuE8ELNS1_3repE0EEES8_NS1_28merge_sort_block_sort_configILj256ELj4ELNS0_20block_sort_algorithmE0EEENS0_14default_configENS1_37merge_sort_block_sort_config_selectorIfNS0_10empty_typeEEENS1_38merge_sort_block_merge_config_selectorIfSE_EEEEvv,comdat
	.protected	_ZN7rocprim17ROCPRIM_400000_NS6detail44device_merge_sort_compile_time_verifier_archINS1_11comp_targetILNS1_3genE4ELNS1_11target_archE910ELNS1_3gpuE8ELNS1_3repE0EEES8_NS1_28merge_sort_block_sort_configILj256ELj4ELNS0_20block_sort_algorithmE0EEENS0_14default_configENS1_37merge_sort_block_sort_config_selectorIfNS0_10empty_typeEEENS1_38merge_sort_block_merge_config_selectorIfSE_EEEEvv ; -- Begin function _ZN7rocprim17ROCPRIM_400000_NS6detail44device_merge_sort_compile_time_verifier_archINS1_11comp_targetILNS1_3genE4ELNS1_11target_archE910ELNS1_3gpuE8ELNS1_3repE0EEES8_NS1_28merge_sort_block_sort_configILj256ELj4ELNS0_20block_sort_algorithmE0EEENS0_14default_configENS1_37merge_sort_block_sort_config_selectorIfNS0_10empty_typeEEENS1_38merge_sort_block_merge_config_selectorIfSE_EEEEvv
	.globl	_ZN7rocprim17ROCPRIM_400000_NS6detail44device_merge_sort_compile_time_verifier_archINS1_11comp_targetILNS1_3genE4ELNS1_11target_archE910ELNS1_3gpuE8ELNS1_3repE0EEES8_NS1_28merge_sort_block_sort_configILj256ELj4ELNS0_20block_sort_algorithmE0EEENS0_14default_configENS1_37merge_sort_block_sort_config_selectorIfNS0_10empty_typeEEENS1_38merge_sort_block_merge_config_selectorIfSE_EEEEvv
	.p2align	8
	.type	_ZN7rocprim17ROCPRIM_400000_NS6detail44device_merge_sort_compile_time_verifier_archINS1_11comp_targetILNS1_3genE4ELNS1_11target_archE910ELNS1_3gpuE8ELNS1_3repE0EEES8_NS1_28merge_sort_block_sort_configILj256ELj4ELNS0_20block_sort_algorithmE0EEENS0_14default_configENS1_37merge_sort_block_sort_config_selectorIfNS0_10empty_typeEEENS1_38merge_sort_block_merge_config_selectorIfSE_EEEEvv,@function
_ZN7rocprim17ROCPRIM_400000_NS6detail44device_merge_sort_compile_time_verifier_archINS1_11comp_targetILNS1_3genE4ELNS1_11target_archE910ELNS1_3gpuE8ELNS1_3repE0EEES8_NS1_28merge_sort_block_sort_configILj256ELj4ELNS0_20block_sort_algorithmE0EEENS0_14default_configENS1_37merge_sort_block_sort_config_selectorIfNS0_10empty_typeEEENS1_38merge_sort_block_merge_config_selectorIfSE_EEEEvv: ; @_ZN7rocprim17ROCPRIM_400000_NS6detail44device_merge_sort_compile_time_verifier_archINS1_11comp_targetILNS1_3genE4ELNS1_11target_archE910ELNS1_3gpuE8ELNS1_3repE0EEES8_NS1_28merge_sort_block_sort_configILj256ELj4ELNS0_20block_sort_algorithmE0EEENS0_14default_configENS1_37merge_sort_block_sort_config_selectorIfNS0_10empty_typeEEENS1_38merge_sort_block_merge_config_selectorIfSE_EEEEvv
; %bb.0:
	s_endpgm
	.section	.rodata,"a",@progbits
	.p2align	6, 0x0
	.amdhsa_kernel _ZN7rocprim17ROCPRIM_400000_NS6detail44device_merge_sort_compile_time_verifier_archINS1_11comp_targetILNS1_3genE4ELNS1_11target_archE910ELNS1_3gpuE8ELNS1_3repE0EEES8_NS1_28merge_sort_block_sort_configILj256ELj4ELNS0_20block_sort_algorithmE0EEENS0_14default_configENS1_37merge_sort_block_sort_config_selectorIfNS0_10empty_typeEEENS1_38merge_sort_block_merge_config_selectorIfSE_EEEEvv
		.amdhsa_group_segment_fixed_size 0
		.amdhsa_private_segment_fixed_size 0
		.amdhsa_kernarg_size 0
		.amdhsa_user_sgpr_count 4
		.amdhsa_user_sgpr_private_segment_buffer 1
		.amdhsa_user_sgpr_dispatch_ptr 0
		.amdhsa_user_sgpr_queue_ptr 0
		.amdhsa_user_sgpr_kernarg_segment_ptr 0
		.amdhsa_user_sgpr_dispatch_id 0
		.amdhsa_user_sgpr_flat_scratch_init 0
		.amdhsa_user_sgpr_kernarg_preload_length 0
		.amdhsa_user_sgpr_kernarg_preload_offset 0
		.amdhsa_user_sgpr_private_segment_size 0
		.amdhsa_uses_dynamic_stack 0
		.amdhsa_system_sgpr_private_segment_wavefront_offset 0
		.amdhsa_system_sgpr_workgroup_id_x 1
		.amdhsa_system_sgpr_workgroup_id_y 0
		.amdhsa_system_sgpr_workgroup_id_z 0
		.amdhsa_system_sgpr_workgroup_info 0
		.amdhsa_system_vgpr_workitem_id 0
		.amdhsa_next_free_vgpr 1
		.amdhsa_next_free_sgpr 0
		.amdhsa_accum_offset 4
		.amdhsa_reserve_vcc 0
		.amdhsa_reserve_flat_scratch 0
		.amdhsa_float_round_mode_32 0
		.amdhsa_float_round_mode_16_64 0
		.amdhsa_float_denorm_mode_32 3
		.amdhsa_float_denorm_mode_16_64 3
		.amdhsa_dx10_clamp 1
		.amdhsa_ieee_mode 1
		.amdhsa_fp16_overflow 0
		.amdhsa_tg_split 0
		.amdhsa_exception_fp_ieee_invalid_op 0
		.amdhsa_exception_fp_denorm_src 0
		.amdhsa_exception_fp_ieee_div_zero 0
		.amdhsa_exception_fp_ieee_overflow 0
		.amdhsa_exception_fp_ieee_underflow 0
		.amdhsa_exception_fp_ieee_inexact 0
		.amdhsa_exception_int_div_zero 0
	.end_amdhsa_kernel
	.section	.text._ZN7rocprim17ROCPRIM_400000_NS6detail44device_merge_sort_compile_time_verifier_archINS1_11comp_targetILNS1_3genE4ELNS1_11target_archE910ELNS1_3gpuE8ELNS1_3repE0EEES8_NS1_28merge_sort_block_sort_configILj256ELj4ELNS0_20block_sort_algorithmE0EEENS0_14default_configENS1_37merge_sort_block_sort_config_selectorIfNS0_10empty_typeEEENS1_38merge_sort_block_merge_config_selectorIfSE_EEEEvv,"axG",@progbits,_ZN7rocprim17ROCPRIM_400000_NS6detail44device_merge_sort_compile_time_verifier_archINS1_11comp_targetILNS1_3genE4ELNS1_11target_archE910ELNS1_3gpuE8ELNS1_3repE0EEES8_NS1_28merge_sort_block_sort_configILj256ELj4ELNS0_20block_sort_algorithmE0EEENS0_14default_configENS1_37merge_sort_block_sort_config_selectorIfNS0_10empty_typeEEENS1_38merge_sort_block_merge_config_selectorIfSE_EEEEvv,comdat
.Lfunc_end1229:
	.size	_ZN7rocprim17ROCPRIM_400000_NS6detail44device_merge_sort_compile_time_verifier_archINS1_11comp_targetILNS1_3genE4ELNS1_11target_archE910ELNS1_3gpuE8ELNS1_3repE0EEES8_NS1_28merge_sort_block_sort_configILj256ELj4ELNS0_20block_sort_algorithmE0EEENS0_14default_configENS1_37merge_sort_block_sort_config_selectorIfNS0_10empty_typeEEENS1_38merge_sort_block_merge_config_selectorIfSE_EEEEvv, .Lfunc_end1229-_ZN7rocprim17ROCPRIM_400000_NS6detail44device_merge_sort_compile_time_verifier_archINS1_11comp_targetILNS1_3genE4ELNS1_11target_archE910ELNS1_3gpuE8ELNS1_3repE0EEES8_NS1_28merge_sort_block_sort_configILj256ELj4ELNS0_20block_sort_algorithmE0EEENS0_14default_configENS1_37merge_sort_block_sort_config_selectorIfNS0_10empty_typeEEENS1_38merge_sort_block_merge_config_selectorIfSE_EEEEvv
                                        ; -- End function
	.section	.AMDGPU.csdata,"",@progbits
; Kernel info:
; codeLenInByte = 4
; NumSgprs: 4
; NumVgprs: 0
; NumAgprs: 0
; TotalNumVgprs: 0
; ScratchSize: 0
; MemoryBound: 0
; FloatMode: 240
; IeeeMode: 1
; LDSByteSize: 0 bytes/workgroup (compile time only)
; SGPRBlocks: 0
; VGPRBlocks: 0
; NumSGPRsForWavesPerEU: 4
; NumVGPRsForWavesPerEU: 1
; AccumOffset: 4
; Occupancy: 8
; WaveLimiterHint : 0
; COMPUTE_PGM_RSRC2:SCRATCH_EN: 0
; COMPUTE_PGM_RSRC2:USER_SGPR: 4
; COMPUTE_PGM_RSRC2:TRAP_HANDLER: 0
; COMPUTE_PGM_RSRC2:TGID_X_EN: 1
; COMPUTE_PGM_RSRC2:TGID_Y_EN: 0
; COMPUTE_PGM_RSRC2:TGID_Z_EN: 0
; COMPUTE_PGM_RSRC2:TIDIG_COMP_CNT: 0
; COMPUTE_PGM_RSRC3_GFX90A:ACCUM_OFFSET: 0
; COMPUTE_PGM_RSRC3_GFX90A:TG_SPLIT: 0
	.section	.text._ZN7rocprim17ROCPRIM_400000_NS6detail44device_merge_sort_compile_time_verifier_archINS1_11comp_targetILNS1_3genE3ELNS1_11target_archE908ELNS1_3gpuE7ELNS1_3repE0EEES8_NS1_28merge_sort_block_sort_configILj256ELj4ELNS0_20block_sort_algorithmE0EEENS0_14default_configENS1_37merge_sort_block_sort_config_selectorIfNS0_10empty_typeEEENS1_38merge_sort_block_merge_config_selectorIfSE_EEEEvv,"axG",@progbits,_ZN7rocprim17ROCPRIM_400000_NS6detail44device_merge_sort_compile_time_verifier_archINS1_11comp_targetILNS1_3genE3ELNS1_11target_archE908ELNS1_3gpuE7ELNS1_3repE0EEES8_NS1_28merge_sort_block_sort_configILj256ELj4ELNS0_20block_sort_algorithmE0EEENS0_14default_configENS1_37merge_sort_block_sort_config_selectorIfNS0_10empty_typeEEENS1_38merge_sort_block_merge_config_selectorIfSE_EEEEvv,comdat
	.protected	_ZN7rocprim17ROCPRIM_400000_NS6detail44device_merge_sort_compile_time_verifier_archINS1_11comp_targetILNS1_3genE3ELNS1_11target_archE908ELNS1_3gpuE7ELNS1_3repE0EEES8_NS1_28merge_sort_block_sort_configILj256ELj4ELNS0_20block_sort_algorithmE0EEENS0_14default_configENS1_37merge_sort_block_sort_config_selectorIfNS0_10empty_typeEEENS1_38merge_sort_block_merge_config_selectorIfSE_EEEEvv ; -- Begin function _ZN7rocprim17ROCPRIM_400000_NS6detail44device_merge_sort_compile_time_verifier_archINS1_11comp_targetILNS1_3genE3ELNS1_11target_archE908ELNS1_3gpuE7ELNS1_3repE0EEES8_NS1_28merge_sort_block_sort_configILj256ELj4ELNS0_20block_sort_algorithmE0EEENS0_14default_configENS1_37merge_sort_block_sort_config_selectorIfNS0_10empty_typeEEENS1_38merge_sort_block_merge_config_selectorIfSE_EEEEvv
	.globl	_ZN7rocprim17ROCPRIM_400000_NS6detail44device_merge_sort_compile_time_verifier_archINS1_11comp_targetILNS1_3genE3ELNS1_11target_archE908ELNS1_3gpuE7ELNS1_3repE0EEES8_NS1_28merge_sort_block_sort_configILj256ELj4ELNS0_20block_sort_algorithmE0EEENS0_14default_configENS1_37merge_sort_block_sort_config_selectorIfNS0_10empty_typeEEENS1_38merge_sort_block_merge_config_selectorIfSE_EEEEvv
	.p2align	8
	.type	_ZN7rocprim17ROCPRIM_400000_NS6detail44device_merge_sort_compile_time_verifier_archINS1_11comp_targetILNS1_3genE3ELNS1_11target_archE908ELNS1_3gpuE7ELNS1_3repE0EEES8_NS1_28merge_sort_block_sort_configILj256ELj4ELNS0_20block_sort_algorithmE0EEENS0_14default_configENS1_37merge_sort_block_sort_config_selectorIfNS0_10empty_typeEEENS1_38merge_sort_block_merge_config_selectorIfSE_EEEEvv,@function
_ZN7rocprim17ROCPRIM_400000_NS6detail44device_merge_sort_compile_time_verifier_archINS1_11comp_targetILNS1_3genE3ELNS1_11target_archE908ELNS1_3gpuE7ELNS1_3repE0EEES8_NS1_28merge_sort_block_sort_configILj256ELj4ELNS0_20block_sort_algorithmE0EEENS0_14default_configENS1_37merge_sort_block_sort_config_selectorIfNS0_10empty_typeEEENS1_38merge_sort_block_merge_config_selectorIfSE_EEEEvv: ; @_ZN7rocprim17ROCPRIM_400000_NS6detail44device_merge_sort_compile_time_verifier_archINS1_11comp_targetILNS1_3genE3ELNS1_11target_archE908ELNS1_3gpuE7ELNS1_3repE0EEES8_NS1_28merge_sort_block_sort_configILj256ELj4ELNS0_20block_sort_algorithmE0EEENS0_14default_configENS1_37merge_sort_block_sort_config_selectorIfNS0_10empty_typeEEENS1_38merge_sort_block_merge_config_selectorIfSE_EEEEvv
; %bb.0:
	s_endpgm
	.section	.rodata,"a",@progbits
	.p2align	6, 0x0
	.amdhsa_kernel _ZN7rocprim17ROCPRIM_400000_NS6detail44device_merge_sort_compile_time_verifier_archINS1_11comp_targetILNS1_3genE3ELNS1_11target_archE908ELNS1_3gpuE7ELNS1_3repE0EEES8_NS1_28merge_sort_block_sort_configILj256ELj4ELNS0_20block_sort_algorithmE0EEENS0_14default_configENS1_37merge_sort_block_sort_config_selectorIfNS0_10empty_typeEEENS1_38merge_sort_block_merge_config_selectorIfSE_EEEEvv
		.amdhsa_group_segment_fixed_size 0
		.amdhsa_private_segment_fixed_size 0
		.amdhsa_kernarg_size 0
		.amdhsa_user_sgpr_count 4
		.amdhsa_user_sgpr_private_segment_buffer 1
		.amdhsa_user_sgpr_dispatch_ptr 0
		.amdhsa_user_sgpr_queue_ptr 0
		.amdhsa_user_sgpr_kernarg_segment_ptr 0
		.amdhsa_user_sgpr_dispatch_id 0
		.amdhsa_user_sgpr_flat_scratch_init 0
		.amdhsa_user_sgpr_kernarg_preload_length 0
		.amdhsa_user_sgpr_kernarg_preload_offset 0
		.amdhsa_user_sgpr_private_segment_size 0
		.amdhsa_uses_dynamic_stack 0
		.amdhsa_system_sgpr_private_segment_wavefront_offset 0
		.amdhsa_system_sgpr_workgroup_id_x 1
		.amdhsa_system_sgpr_workgroup_id_y 0
		.amdhsa_system_sgpr_workgroup_id_z 0
		.amdhsa_system_sgpr_workgroup_info 0
		.amdhsa_system_vgpr_workitem_id 0
		.amdhsa_next_free_vgpr 1
		.amdhsa_next_free_sgpr 0
		.amdhsa_accum_offset 4
		.amdhsa_reserve_vcc 0
		.amdhsa_reserve_flat_scratch 0
		.amdhsa_float_round_mode_32 0
		.amdhsa_float_round_mode_16_64 0
		.amdhsa_float_denorm_mode_32 3
		.amdhsa_float_denorm_mode_16_64 3
		.amdhsa_dx10_clamp 1
		.amdhsa_ieee_mode 1
		.amdhsa_fp16_overflow 0
		.amdhsa_tg_split 0
		.amdhsa_exception_fp_ieee_invalid_op 0
		.amdhsa_exception_fp_denorm_src 0
		.amdhsa_exception_fp_ieee_div_zero 0
		.amdhsa_exception_fp_ieee_overflow 0
		.amdhsa_exception_fp_ieee_underflow 0
		.amdhsa_exception_fp_ieee_inexact 0
		.amdhsa_exception_int_div_zero 0
	.end_amdhsa_kernel
	.section	.text._ZN7rocprim17ROCPRIM_400000_NS6detail44device_merge_sort_compile_time_verifier_archINS1_11comp_targetILNS1_3genE3ELNS1_11target_archE908ELNS1_3gpuE7ELNS1_3repE0EEES8_NS1_28merge_sort_block_sort_configILj256ELj4ELNS0_20block_sort_algorithmE0EEENS0_14default_configENS1_37merge_sort_block_sort_config_selectorIfNS0_10empty_typeEEENS1_38merge_sort_block_merge_config_selectorIfSE_EEEEvv,"axG",@progbits,_ZN7rocprim17ROCPRIM_400000_NS6detail44device_merge_sort_compile_time_verifier_archINS1_11comp_targetILNS1_3genE3ELNS1_11target_archE908ELNS1_3gpuE7ELNS1_3repE0EEES8_NS1_28merge_sort_block_sort_configILj256ELj4ELNS0_20block_sort_algorithmE0EEENS0_14default_configENS1_37merge_sort_block_sort_config_selectorIfNS0_10empty_typeEEENS1_38merge_sort_block_merge_config_selectorIfSE_EEEEvv,comdat
.Lfunc_end1230:
	.size	_ZN7rocprim17ROCPRIM_400000_NS6detail44device_merge_sort_compile_time_verifier_archINS1_11comp_targetILNS1_3genE3ELNS1_11target_archE908ELNS1_3gpuE7ELNS1_3repE0EEES8_NS1_28merge_sort_block_sort_configILj256ELj4ELNS0_20block_sort_algorithmE0EEENS0_14default_configENS1_37merge_sort_block_sort_config_selectorIfNS0_10empty_typeEEENS1_38merge_sort_block_merge_config_selectorIfSE_EEEEvv, .Lfunc_end1230-_ZN7rocprim17ROCPRIM_400000_NS6detail44device_merge_sort_compile_time_verifier_archINS1_11comp_targetILNS1_3genE3ELNS1_11target_archE908ELNS1_3gpuE7ELNS1_3repE0EEES8_NS1_28merge_sort_block_sort_configILj256ELj4ELNS0_20block_sort_algorithmE0EEENS0_14default_configENS1_37merge_sort_block_sort_config_selectorIfNS0_10empty_typeEEENS1_38merge_sort_block_merge_config_selectorIfSE_EEEEvv
                                        ; -- End function
	.section	.AMDGPU.csdata,"",@progbits
; Kernel info:
; codeLenInByte = 4
; NumSgprs: 4
; NumVgprs: 0
; NumAgprs: 0
; TotalNumVgprs: 0
; ScratchSize: 0
; MemoryBound: 0
; FloatMode: 240
; IeeeMode: 1
; LDSByteSize: 0 bytes/workgroup (compile time only)
; SGPRBlocks: 0
; VGPRBlocks: 0
; NumSGPRsForWavesPerEU: 4
; NumVGPRsForWavesPerEU: 1
; AccumOffset: 4
; Occupancy: 8
; WaveLimiterHint : 0
; COMPUTE_PGM_RSRC2:SCRATCH_EN: 0
; COMPUTE_PGM_RSRC2:USER_SGPR: 4
; COMPUTE_PGM_RSRC2:TRAP_HANDLER: 0
; COMPUTE_PGM_RSRC2:TGID_X_EN: 1
; COMPUTE_PGM_RSRC2:TGID_Y_EN: 0
; COMPUTE_PGM_RSRC2:TGID_Z_EN: 0
; COMPUTE_PGM_RSRC2:TIDIG_COMP_CNT: 0
; COMPUTE_PGM_RSRC3_GFX90A:ACCUM_OFFSET: 0
; COMPUTE_PGM_RSRC3_GFX90A:TG_SPLIT: 0
	.section	.text._ZN7rocprim17ROCPRIM_400000_NS6detail44device_merge_sort_compile_time_verifier_archINS1_11comp_targetILNS1_3genE2ELNS1_11target_archE906ELNS1_3gpuE6ELNS1_3repE0EEES8_NS1_28merge_sort_block_sort_configILj256ELj4ELNS0_20block_sort_algorithmE0EEENS0_14default_configENS1_37merge_sort_block_sort_config_selectorIfNS0_10empty_typeEEENS1_38merge_sort_block_merge_config_selectorIfSE_EEEEvv,"axG",@progbits,_ZN7rocprim17ROCPRIM_400000_NS6detail44device_merge_sort_compile_time_verifier_archINS1_11comp_targetILNS1_3genE2ELNS1_11target_archE906ELNS1_3gpuE6ELNS1_3repE0EEES8_NS1_28merge_sort_block_sort_configILj256ELj4ELNS0_20block_sort_algorithmE0EEENS0_14default_configENS1_37merge_sort_block_sort_config_selectorIfNS0_10empty_typeEEENS1_38merge_sort_block_merge_config_selectorIfSE_EEEEvv,comdat
	.protected	_ZN7rocprim17ROCPRIM_400000_NS6detail44device_merge_sort_compile_time_verifier_archINS1_11comp_targetILNS1_3genE2ELNS1_11target_archE906ELNS1_3gpuE6ELNS1_3repE0EEES8_NS1_28merge_sort_block_sort_configILj256ELj4ELNS0_20block_sort_algorithmE0EEENS0_14default_configENS1_37merge_sort_block_sort_config_selectorIfNS0_10empty_typeEEENS1_38merge_sort_block_merge_config_selectorIfSE_EEEEvv ; -- Begin function _ZN7rocprim17ROCPRIM_400000_NS6detail44device_merge_sort_compile_time_verifier_archINS1_11comp_targetILNS1_3genE2ELNS1_11target_archE906ELNS1_3gpuE6ELNS1_3repE0EEES8_NS1_28merge_sort_block_sort_configILj256ELj4ELNS0_20block_sort_algorithmE0EEENS0_14default_configENS1_37merge_sort_block_sort_config_selectorIfNS0_10empty_typeEEENS1_38merge_sort_block_merge_config_selectorIfSE_EEEEvv
	.globl	_ZN7rocprim17ROCPRIM_400000_NS6detail44device_merge_sort_compile_time_verifier_archINS1_11comp_targetILNS1_3genE2ELNS1_11target_archE906ELNS1_3gpuE6ELNS1_3repE0EEES8_NS1_28merge_sort_block_sort_configILj256ELj4ELNS0_20block_sort_algorithmE0EEENS0_14default_configENS1_37merge_sort_block_sort_config_selectorIfNS0_10empty_typeEEENS1_38merge_sort_block_merge_config_selectorIfSE_EEEEvv
	.p2align	8
	.type	_ZN7rocprim17ROCPRIM_400000_NS6detail44device_merge_sort_compile_time_verifier_archINS1_11comp_targetILNS1_3genE2ELNS1_11target_archE906ELNS1_3gpuE6ELNS1_3repE0EEES8_NS1_28merge_sort_block_sort_configILj256ELj4ELNS0_20block_sort_algorithmE0EEENS0_14default_configENS1_37merge_sort_block_sort_config_selectorIfNS0_10empty_typeEEENS1_38merge_sort_block_merge_config_selectorIfSE_EEEEvv,@function
_ZN7rocprim17ROCPRIM_400000_NS6detail44device_merge_sort_compile_time_verifier_archINS1_11comp_targetILNS1_3genE2ELNS1_11target_archE906ELNS1_3gpuE6ELNS1_3repE0EEES8_NS1_28merge_sort_block_sort_configILj256ELj4ELNS0_20block_sort_algorithmE0EEENS0_14default_configENS1_37merge_sort_block_sort_config_selectorIfNS0_10empty_typeEEENS1_38merge_sort_block_merge_config_selectorIfSE_EEEEvv: ; @_ZN7rocprim17ROCPRIM_400000_NS6detail44device_merge_sort_compile_time_verifier_archINS1_11comp_targetILNS1_3genE2ELNS1_11target_archE906ELNS1_3gpuE6ELNS1_3repE0EEES8_NS1_28merge_sort_block_sort_configILj256ELj4ELNS0_20block_sort_algorithmE0EEENS0_14default_configENS1_37merge_sort_block_sort_config_selectorIfNS0_10empty_typeEEENS1_38merge_sort_block_merge_config_selectorIfSE_EEEEvv
; %bb.0:
	s_endpgm
	.section	.rodata,"a",@progbits
	.p2align	6, 0x0
	.amdhsa_kernel _ZN7rocprim17ROCPRIM_400000_NS6detail44device_merge_sort_compile_time_verifier_archINS1_11comp_targetILNS1_3genE2ELNS1_11target_archE906ELNS1_3gpuE6ELNS1_3repE0EEES8_NS1_28merge_sort_block_sort_configILj256ELj4ELNS0_20block_sort_algorithmE0EEENS0_14default_configENS1_37merge_sort_block_sort_config_selectorIfNS0_10empty_typeEEENS1_38merge_sort_block_merge_config_selectorIfSE_EEEEvv
		.amdhsa_group_segment_fixed_size 0
		.amdhsa_private_segment_fixed_size 0
		.amdhsa_kernarg_size 0
		.amdhsa_user_sgpr_count 4
		.amdhsa_user_sgpr_private_segment_buffer 1
		.amdhsa_user_sgpr_dispatch_ptr 0
		.amdhsa_user_sgpr_queue_ptr 0
		.amdhsa_user_sgpr_kernarg_segment_ptr 0
		.amdhsa_user_sgpr_dispatch_id 0
		.amdhsa_user_sgpr_flat_scratch_init 0
		.amdhsa_user_sgpr_kernarg_preload_length 0
		.amdhsa_user_sgpr_kernarg_preload_offset 0
		.amdhsa_user_sgpr_private_segment_size 0
		.amdhsa_uses_dynamic_stack 0
		.amdhsa_system_sgpr_private_segment_wavefront_offset 0
		.amdhsa_system_sgpr_workgroup_id_x 1
		.amdhsa_system_sgpr_workgroup_id_y 0
		.amdhsa_system_sgpr_workgroup_id_z 0
		.amdhsa_system_sgpr_workgroup_info 0
		.amdhsa_system_vgpr_workitem_id 0
		.amdhsa_next_free_vgpr 1
		.amdhsa_next_free_sgpr 0
		.amdhsa_accum_offset 4
		.amdhsa_reserve_vcc 0
		.amdhsa_reserve_flat_scratch 0
		.amdhsa_float_round_mode_32 0
		.amdhsa_float_round_mode_16_64 0
		.amdhsa_float_denorm_mode_32 3
		.amdhsa_float_denorm_mode_16_64 3
		.amdhsa_dx10_clamp 1
		.amdhsa_ieee_mode 1
		.amdhsa_fp16_overflow 0
		.amdhsa_tg_split 0
		.amdhsa_exception_fp_ieee_invalid_op 0
		.amdhsa_exception_fp_denorm_src 0
		.amdhsa_exception_fp_ieee_div_zero 0
		.amdhsa_exception_fp_ieee_overflow 0
		.amdhsa_exception_fp_ieee_underflow 0
		.amdhsa_exception_fp_ieee_inexact 0
		.amdhsa_exception_int_div_zero 0
	.end_amdhsa_kernel
	.section	.text._ZN7rocprim17ROCPRIM_400000_NS6detail44device_merge_sort_compile_time_verifier_archINS1_11comp_targetILNS1_3genE2ELNS1_11target_archE906ELNS1_3gpuE6ELNS1_3repE0EEES8_NS1_28merge_sort_block_sort_configILj256ELj4ELNS0_20block_sort_algorithmE0EEENS0_14default_configENS1_37merge_sort_block_sort_config_selectorIfNS0_10empty_typeEEENS1_38merge_sort_block_merge_config_selectorIfSE_EEEEvv,"axG",@progbits,_ZN7rocprim17ROCPRIM_400000_NS6detail44device_merge_sort_compile_time_verifier_archINS1_11comp_targetILNS1_3genE2ELNS1_11target_archE906ELNS1_3gpuE6ELNS1_3repE0EEES8_NS1_28merge_sort_block_sort_configILj256ELj4ELNS0_20block_sort_algorithmE0EEENS0_14default_configENS1_37merge_sort_block_sort_config_selectorIfNS0_10empty_typeEEENS1_38merge_sort_block_merge_config_selectorIfSE_EEEEvv,comdat
.Lfunc_end1231:
	.size	_ZN7rocprim17ROCPRIM_400000_NS6detail44device_merge_sort_compile_time_verifier_archINS1_11comp_targetILNS1_3genE2ELNS1_11target_archE906ELNS1_3gpuE6ELNS1_3repE0EEES8_NS1_28merge_sort_block_sort_configILj256ELj4ELNS0_20block_sort_algorithmE0EEENS0_14default_configENS1_37merge_sort_block_sort_config_selectorIfNS0_10empty_typeEEENS1_38merge_sort_block_merge_config_selectorIfSE_EEEEvv, .Lfunc_end1231-_ZN7rocprim17ROCPRIM_400000_NS6detail44device_merge_sort_compile_time_verifier_archINS1_11comp_targetILNS1_3genE2ELNS1_11target_archE906ELNS1_3gpuE6ELNS1_3repE0EEES8_NS1_28merge_sort_block_sort_configILj256ELj4ELNS0_20block_sort_algorithmE0EEENS0_14default_configENS1_37merge_sort_block_sort_config_selectorIfNS0_10empty_typeEEENS1_38merge_sort_block_merge_config_selectorIfSE_EEEEvv
                                        ; -- End function
	.section	.AMDGPU.csdata,"",@progbits
; Kernel info:
; codeLenInByte = 4
; NumSgprs: 4
; NumVgprs: 0
; NumAgprs: 0
; TotalNumVgprs: 0
; ScratchSize: 0
; MemoryBound: 0
; FloatMode: 240
; IeeeMode: 1
; LDSByteSize: 0 bytes/workgroup (compile time only)
; SGPRBlocks: 0
; VGPRBlocks: 0
; NumSGPRsForWavesPerEU: 4
; NumVGPRsForWavesPerEU: 1
; AccumOffset: 4
; Occupancy: 8
; WaveLimiterHint : 0
; COMPUTE_PGM_RSRC2:SCRATCH_EN: 0
; COMPUTE_PGM_RSRC2:USER_SGPR: 4
; COMPUTE_PGM_RSRC2:TRAP_HANDLER: 0
; COMPUTE_PGM_RSRC2:TGID_X_EN: 1
; COMPUTE_PGM_RSRC2:TGID_Y_EN: 0
; COMPUTE_PGM_RSRC2:TGID_Z_EN: 0
; COMPUTE_PGM_RSRC2:TIDIG_COMP_CNT: 0
; COMPUTE_PGM_RSRC3_GFX90A:ACCUM_OFFSET: 0
; COMPUTE_PGM_RSRC3_GFX90A:TG_SPLIT: 0
	.section	.text._ZN7rocprim17ROCPRIM_400000_NS6detail44device_merge_sort_compile_time_verifier_archINS1_11comp_targetILNS1_3genE10ELNS1_11target_archE1201ELNS1_3gpuE5ELNS1_3repE0EEES8_NS1_28merge_sort_block_sort_configILj256ELj4ELNS0_20block_sort_algorithmE0EEENS0_14default_configENS1_37merge_sort_block_sort_config_selectorIfNS0_10empty_typeEEENS1_38merge_sort_block_merge_config_selectorIfSE_EEEEvv,"axG",@progbits,_ZN7rocprim17ROCPRIM_400000_NS6detail44device_merge_sort_compile_time_verifier_archINS1_11comp_targetILNS1_3genE10ELNS1_11target_archE1201ELNS1_3gpuE5ELNS1_3repE0EEES8_NS1_28merge_sort_block_sort_configILj256ELj4ELNS0_20block_sort_algorithmE0EEENS0_14default_configENS1_37merge_sort_block_sort_config_selectorIfNS0_10empty_typeEEENS1_38merge_sort_block_merge_config_selectorIfSE_EEEEvv,comdat
	.protected	_ZN7rocprim17ROCPRIM_400000_NS6detail44device_merge_sort_compile_time_verifier_archINS1_11comp_targetILNS1_3genE10ELNS1_11target_archE1201ELNS1_3gpuE5ELNS1_3repE0EEES8_NS1_28merge_sort_block_sort_configILj256ELj4ELNS0_20block_sort_algorithmE0EEENS0_14default_configENS1_37merge_sort_block_sort_config_selectorIfNS0_10empty_typeEEENS1_38merge_sort_block_merge_config_selectorIfSE_EEEEvv ; -- Begin function _ZN7rocprim17ROCPRIM_400000_NS6detail44device_merge_sort_compile_time_verifier_archINS1_11comp_targetILNS1_3genE10ELNS1_11target_archE1201ELNS1_3gpuE5ELNS1_3repE0EEES8_NS1_28merge_sort_block_sort_configILj256ELj4ELNS0_20block_sort_algorithmE0EEENS0_14default_configENS1_37merge_sort_block_sort_config_selectorIfNS0_10empty_typeEEENS1_38merge_sort_block_merge_config_selectorIfSE_EEEEvv
	.globl	_ZN7rocprim17ROCPRIM_400000_NS6detail44device_merge_sort_compile_time_verifier_archINS1_11comp_targetILNS1_3genE10ELNS1_11target_archE1201ELNS1_3gpuE5ELNS1_3repE0EEES8_NS1_28merge_sort_block_sort_configILj256ELj4ELNS0_20block_sort_algorithmE0EEENS0_14default_configENS1_37merge_sort_block_sort_config_selectorIfNS0_10empty_typeEEENS1_38merge_sort_block_merge_config_selectorIfSE_EEEEvv
	.p2align	8
	.type	_ZN7rocprim17ROCPRIM_400000_NS6detail44device_merge_sort_compile_time_verifier_archINS1_11comp_targetILNS1_3genE10ELNS1_11target_archE1201ELNS1_3gpuE5ELNS1_3repE0EEES8_NS1_28merge_sort_block_sort_configILj256ELj4ELNS0_20block_sort_algorithmE0EEENS0_14default_configENS1_37merge_sort_block_sort_config_selectorIfNS0_10empty_typeEEENS1_38merge_sort_block_merge_config_selectorIfSE_EEEEvv,@function
_ZN7rocprim17ROCPRIM_400000_NS6detail44device_merge_sort_compile_time_verifier_archINS1_11comp_targetILNS1_3genE10ELNS1_11target_archE1201ELNS1_3gpuE5ELNS1_3repE0EEES8_NS1_28merge_sort_block_sort_configILj256ELj4ELNS0_20block_sort_algorithmE0EEENS0_14default_configENS1_37merge_sort_block_sort_config_selectorIfNS0_10empty_typeEEENS1_38merge_sort_block_merge_config_selectorIfSE_EEEEvv: ; @_ZN7rocprim17ROCPRIM_400000_NS6detail44device_merge_sort_compile_time_verifier_archINS1_11comp_targetILNS1_3genE10ELNS1_11target_archE1201ELNS1_3gpuE5ELNS1_3repE0EEES8_NS1_28merge_sort_block_sort_configILj256ELj4ELNS0_20block_sort_algorithmE0EEENS0_14default_configENS1_37merge_sort_block_sort_config_selectorIfNS0_10empty_typeEEENS1_38merge_sort_block_merge_config_selectorIfSE_EEEEvv
; %bb.0:
	s_endpgm
	.section	.rodata,"a",@progbits
	.p2align	6, 0x0
	.amdhsa_kernel _ZN7rocprim17ROCPRIM_400000_NS6detail44device_merge_sort_compile_time_verifier_archINS1_11comp_targetILNS1_3genE10ELNS1_11target_archE1201ELNS1_3gpuE5ELNS1_3repE0EEES8_NS1_28merge_sort_block_sort_configILj256ELj4ELNS0_20block_sort_algorithmE0EEENS0_14default_configENS1_37merge_sort_block_sort_config_selectorIfNS0_10empty_typeEEENS1_38merge_sort_block_merge_config_selectorIfSE_EEEEvv
		.amdhsa_group_segment_fixed_size 0
		.amdhsa_private_segment_fixed_size 0
		.amdhsa_kernarg_size 0
		.amdhsa_user_sgpr_count 4
		.amdhsa_user_sgpr_private_segment_buffer 1
		.amdhsa_user_sgpr_dispatch_ptr 0
		.amdhsa_user_sgpr_queue_ptr 0
		.amdhsa_user_sgpr_kernarg_segment_ptr 0
		.amdhsa_user_sgpr_dispatch_id 0
		.amdhsa_user_sgpr_flat_scratch_init 0
		.amdhsa_user_sgpr_kernarg_preload_length 0
		.amdhsa_user_sgpr_kernarg_preload_offset 0
		.amdhsa_user_sgpr_private_segment_size 0
		.amdhsa_uses_dynamic_stack 0
		.amdhsa_system_sgpr_private_segment_wavefront_offset 0
		.amdhsa_system_sgpr_workgroup_id_x 1
		.amdhsa_system_sgpr_workgroup_id_y 0
		.amdhsa_system_sgpr_workgroup_id_z 0
		.amdhsa_system_sgpr_workgroup_info 0
		.amdhsa_system_vgpr_workitem_id 0
		.amdhsa_next_free_vgpr 1
		.amdhsa_next_free_sgpr 0
		.amdhsa_accum_offset 4
		.amdhsa_reserve_vcc 0
		.amdhsa_reserve_flat_scratch 0
		.amdhsa_float_round_mode_32 0
		.amdhsa_float_round_mode_16_64 0
		.amdhsa_float_denorm_mode_32 3
		.amdhsa_float_denorm_mode_16_64 3
		.amdhsa_dx10_clamp 1
		.amdhsa_ieee_mode 1
		.amdhsa_fp16_overflow 0
		.amdhsa_tg_split 0
		.amdhsa_exception_fp_ieee_invalid_op 0
		.amdhsa_exception_fp_denorm_src 0
		.amdhsa_exception_fp_ieee_div_zero 0
		.amdhsa_exception_fp_ieee_overflow 0
		.amdhsa_exception_fp_ieee_underflow 0
		.amdhsa_exception_fp_ieee_inexact 0
		.amdhsa_exception_int_div_zero 0
	.end_amdhsa_kernel
	.section	.text._ZN7rocprim17ROCPRIM_400000_NS6detail44device_merge_sort_compile_time_verifier_archINS1_11comp_targetILNS1_3genE10ELNS1_11target_archE1201ELNS1_3gpuE5ELNS1_3repE0EEES8_NS1_28merge_sort_block_sort_configILj256ELj4ELNS0_20block_sort_algorithmE0EEENS0_14default_configENS1_37merge_sort_block_sort_config_selectorIfNS0_10empty_typeEEENS1_38merge_sort_block_merge_config_selectorIfSE_EEEEvv,"axG",@progbits,_ZN7rocprim17ROCPRIM_400000_NS6detail44device_merge_sort_compile_time_verifier_archINS1_11comp_targetILNS1_3genE10ELNS1_11target_archE1201ELNS1_3gpuE5ELNS1_3repE0EEES8_NS1_28merge_sort_block_sort_configILj256ELj4ELNS0_20block_sort_algorithmE0EEENS0_14default_configENS1_37merge_sort_block_sort_config_selectorIfNS0_10empty_typeEEENS1_38merge_sort_block_merge_config_selectorIfSE_EEEEvv,comdat
.Lfunc_end1232:
	.size	_ZN7rocprim17ROCPRIM_400000_NS6detail44device_merge_sort_compile_time_verifier_archINS1_11comp_targetILNS1_3genE10ELNS1_11target_archE1201ELNS1_3gpuE5ELNS1_3repE0EEES8_NS1_28merge_sort_block_sort_configILj256ELj4ELNS0_20block_sort_algorithmE0EEENS0_14default_configENS1_37merge_sort_block_sort_config_selectorIfNS0_10empty_typeEEENS1_38merge_sort_block_merge_config_selectorIfSE_EEEEvv, .Lfunc_end1232-_ZN7rocprim17ROCPRIM_400000_NS6detail44device_merge_sort_compile_time_verifier_archINS1_11comp_targetILNS1_3genE10ELNS1_11target_archE1201ELNS1_3gpuE5ELNS1_3repE0EEES8_NS1_28merge_sort_block_sort_configILj256ELj4ELNS0_20block_sort_algorithmE0EEENS0_14default_configENS1_37merge_sort_block_sort_config_selectorIfNS0_10empty_typeEEENS1_38merge_sort_block_merge_config_selectorIfSE_EEEEvv
                                        ; -- End function
	.section	.AMDGPU.csdata,"",@progbits
; Kernel info:
; codeLenInByte = 4
; NumSgprs: 4
; NumVgprs: 0
; NumAgprs: 0
; TotalNumVgprs: 0
; ScratchSize: 0
; MemoryBound: 0
; FloatMode: 240
; IeeeMode: 1
; LDSByteSize: 0 bytes/workgroup (compile time only)
; SGPRBlocks: 0
; VGPRBlocks: 0
; NumSGPRsForWavesPerEU: 4
; NumVGPRsForWavesPerEU: 1
; AccumOffset: 4
; Occupancy: 8
; WaveLimiterHint : 0
; COMPUTE_PGM_RSRC2:SCRATCH_EN: 0
; COMPUTE_PGM_RSRC2:USER_SGPR: 4
; COMPUTE_PGM_RSRC2:TRAP_HANDLER: 0
; COMPUTE_PGM_RSRC2:TGID_X_EN: 1
; COMPUTE_PGM_RSRC2:TGID_Y_EN: 0
; COMPUTE_PGM_RSRC2:TGID_Z_EN: 0
; COMPUTE_PGM_RSRC2:TIDIG_COMP_CNT: 0
; COMPUTE_PGM_RSRC3_GFX90A:ACCUM_OFFSET: 0
; COMPUTE_PGM_RSRC3_GFX90A:TG_SPLIT: 0
	.section	.text._ZN7rocprim17ROCPRIM_400000_NS6detail44device_merge_sort_compile_time_verifier_archINS1_11comp_targetILNS1_3genE10ELNS1_11target_archE1200ELNS1_3gpuE4ELNS1_3repE0EEENS3_ILS4_10ELS5_1201ELS6_5ELS7_0EEENS1_28merge_sort_block_sort_configILj256ELj4ELNS0_20block_sort_algorithmE0EEENS0_14default_configENS1_37merge_sort_block_sort_config_selectorIfNS0_10empty_typeEEENS1_38merge_sort_block_merge_config_selectorIfSF_EEEEvv,"axG",@progbits,_ZN7rocprim17ROCPRIM_400000_NS6detail44device_merge_sort_compile_time_verifier_archINS1_11comp_targetILNS1_3genE10ELNS1_11target_archE1200ELNS1_3gpuE4ELNS1_3repE0EEENS3_ILS4_10ELS5_1201ELS6_5ELS7_0EEENS1_28merge_sort_block_sort_configILj256ELj4ELNS0_20block_sort_algorithmE0EEENS0_14default_configENS1_37merge_sort_block_sort_config_selectorIfNS0_10empty_typeEEENS1_38merge_sort_block_merge_config_selectorIfSF_EEEEvv,comdat
	.protected	_ZN7rocprim17ROCPRIM_400000_NS6detail44device_merge_sort_compile_time_verifier_archINS1_11comp_targetILNS1_3genE10ELNS1_11target_archE1200ELNS1_3gpuE4ELNS1_3repE0EEENS3_ILS4_10ELS5_1201ELS6_5ELS7_0EEENS1_28merge_sort_block_sort_configILj256ELj4ELNS0_20block_sort_algorithmE0EEENS0_14default_configENS1_37merge_sort_block_sort_config_selectorIfNS0_10empty_typeEEENS1_38merge_sort_block_merge_config_selectorIfSF_EEEEvv ; -- Begin function _ZN7rocprim17ROCPRIM_400000_NS6detail44device_merge_sort_compile_time_verifier_archINS1_11comp_targetILNS1_3genE10ELNS1_11target_archE1200ELNS1_3gpuE4ELNS1_3repE0EEENS3_ILS4_10ELS5_1201ELS6_5ELS7_0EEENS1_28merge_sort_block_sort_configILj256ELj4ELNS0_20block_sort_algorithmE0EEENS0_14default_configENS1_37merge_sort_block_sort_config_selectorIfNS0_10empty_typeEEENS1_38merge_sort_block_merge_config_selectorIfSF_EEEEvv
	.globl	_ZN7rocprim17ROCPRIM_400000_NS6detail44device_merge_sort_compile_time_verifier_archINS1_11comp_targetILNS1_3genE10ELNS1_11target_archE1200ELNS1_3gpuE4ELNS1_3repE0EEENS3_ILS4_10ELS5_1201ELS6_5ELS7_0EEENS1_28merge_sort_block_sort_configILj256ELj4ELNS0_20block_sort_algorithmE0EEENS0_14default_configENS1_37merge_sort_block_sort_config_selectorIfNS0_10empty_typeEEENS1_38merge_sort_block_merge_config_selectorIfSF_EEEEvv
	.p2align	8
	.type	_ZN7rocprim17ROCPRIM_400000_NS6detail44device_merge_sort_compile_time_verifier_archINS1_11comp_targetILNS1_3genE10ELNS1_11target_archE1200ELNS1_3gpuE4ELNS1_3repE0EEENS3_ILS4_10ELS5_1201ELS6_5ELS7_0EEENS1_28merge_sort_block_sort_configILj256ELj4ELNS0_20block_sort_algorithmE0EEENS0_14default_configENS1_37merge_sort_block_sort_config_selectorIfNS0_10empty_typeEEENS1_38merge_sort_block_merge_config_selectorIfSF_EEEEvv,@function
_ZN7rocprim17ROCPRIM_400000_NS6detail44device_merge_sort_compile_time_verifier_archINS1_11comp_targetILNS1_3genE10ELNS1_11target_archE1200ELNS1_3gpuE4ELNS1_3repE0EEENS3_ILS4_10ELS5_1201ELS6_5ELS7_0EEENS1_28merge_sort_block_sort_configILj256ELj4ELNS0_20block_sort_algorithmE0EEENS0_14default_configENS1_37merge_sort_block_sort_config_selectorIfNS0_10empty_typeEEENS1_38merge_sort_block_merge_config_selectorIfSF_EEEEvv: ; @_ZN7rocprim17ROCPRIM_400000_NS6detail44device_merge_sort_compile_time_verifier_archINS1_11comp_targetILNS1_3genE10ELNS1_11target_archE1200ELNS1_3gpuE4ELNS1_3repE0EEENS3_ILS4_10ELS5_1201ELS6_5ELS7_0EEENS1_28merge_sort_block_sort_configILj256ELj4ELNS0_20block_sort_algorithmE0EEENS0_14default_configENS1_37merge_sort_block_sort_config_selectorIfNS0_10empty_typeEEENS1_38merge_sort_block_merge_config_selectorIfSF_EEEEvv
; %bb.0:
	s_endpgm
	.section	.rodata,"a",@progbits
	.p2align	6, 0x0
	.amdhsa_kernel _ZN7rocprim17ROCPRIM_400000_NS6detail44device_merge_sort_compile_time_verifier_archINS1_11comp_targetILNS1_3genE10ELNS1_11target_archE1200ELNS1_3gpuE4ELNS1_3repE0EEENS3_ILS4_10ELS5_1201ELS6_5ELS7_0EEENS1_28merge_sort_block_sort_configILj256ELj4ELNS0_20block_sort_algorithmE0EEENS0_14default_configENS1_37merge_sort_block_sort_config_selectorIfNS0_10empty_typeEEENS1_38merge_sort_block_merge_config_selectorIfSF_EEEEvv
		.amdhsa_group_segment_fixed_size 0
		.amdhsa_private_segment_fixed_size 0
		.amdhsa_kernarg_size 0
		.amdhsa_user_sgpr_count 4
		.amdhsa_user_sgpr_private_segment_buffer 1
		.amdhsa_user_sgpr_dispatch_ptr 0
		.amdhsa_user_sgpr_queue_ptr 0
		.amdhsa_user_sgpr_kernarg_segment_ptr 0
		.amdhsa_user_sgpr_dispatch_id 0
		.amdhsa_user_sgpr_flat_scratch_init 0
		.amdhsa_user_sgpr_kernarg_preload_length 0
		.amdhsa_user_sgpr_kernarg_preload_offset 0
		.amdhsa_user_sgpr_private_segment_size 0
		.amdhsa_uses_dynamic_stack 0
		.amdhsa_system_sgpr_private_segment_wavefront_offset 0
		.amdhsa_system_sgpr_workgroup_id_x 1
		.amdhsa_system_sgpr_workgroup_id_y 0
		.amdhsa_system_sgpr_workgroup_id_z 0
		.amdhsa_system_sgpr_workgroup_info 0
		.amdhsa_system_vgpr_workitem_id 0
		.amdhsa_next_free_vgpr 1
		.amdhsa_next_free_sgpr 0
		.amdhsa_accum_offset 4
		.amdhsa_reserve_vcc 0
		.amdhsa_reserve_flat_scratch 0
		.amdhsa_float_round_mode_32 0
		.amdhsa_float_round_mode_16_64 0
		.amdhsa_float_denorm_mode_32 3
		.amdhsa_float_denorm_mode_16_64 3
		.amdhsa_dx10_clamp 1
		.amdhsa_ieee_mode 1
		.amdhsa_fp16_overflow 0
		.amdhsa_tg_split 0
		.amdhsa_exception_fp_ieee_invalid_op 0
		.amdhsa_exception_fp_denorm_src 0
		.amdhsa_exception_fp_ieee_div_zero 0
		.amdhsa_exception_fp_ieee_overflow 0
		.amdhsa_exception_fp_ieee_underflow 0
		.amdhsa_exception_fp_ieee_inexact 0
		.amdhsa_exception_int_div_zero 0
	.end_amdhsa_kernel
	.section	.text._ZN7rocprim17ROCPRIM_400000_NS6detail44device_merge_sort_compile_time_verifier_archINS1_11comp_targetILNS1_3genE10ELNS1_11target_archE1200ELNS1_3gpuE4ELNS1_3repE0EEENS3_ILS4_10ELS5_1201ELS6_5ELS7_0EEENS1_28merge_sort_block_sort_configILj256ELj4ELNS0_20block_sort_algorithmE0EEENS0_14default_configENS1_37merge_sort_block_sort_config_selectorIfNS0_10empty_typeEEENS1_38merge_sort_block_merge_config_selectorIfSF_EEEEvv,"axG",@progbits,_ZN7rocprim17ROCPRIM_400000_NS6detail44device_merge_sort_compile_time_verifier_archINS1_11comp_targetILNS1_3genE10ELNS1_11target_archE1200ELNS1_3gpuE4ELNS1_3repE0EEENS3_ILS4_10ELS5_1201ELS6_5ELS7_0EEENS1_28merge_sort_block_sort_configILj256ELj4ELNS0_20block_sort_algorithmE0EEENS0_14default_configENS1_37merge_sort_block_sort_config_selectorIfNS0_10empty_typeEEENS1_38merge_sort_block_merge_config_selectorIfSF_EEEEvv,comdat
.Lfunc_end1233:
	.size	_ZN7rocprim17ROCPRIM_400000_NS6detail44device_merge_sort_compile_time_verifier_archINS1_11comp_targetILNS1_3genE10ELNS1_11target_archE1200ELNS1_3gpuE4ELNS1_3repE0EEENS3_ILS4_10ELS5_1201ELS6_5ELS7_0EEENS1_28merge_sort_block_sort_configILj256ELj4ELNS0_20block_sort_algorithmE0EEENS0_14default_configENS1_37merge_sort_block_sort_config_selectorIfNS0_10empty_typeEEENS1_38merge_sort_block_merge_config_selectorIfSF_EEEEvv, .Lfunc_end1233-_ZN7rocprim17ROCPRIM_400000_NS6detail44device_merge_sort_compile_time_verifier_archINS1_11comp_targetILNS1_3genE10ELNS1_11target_archE1200ELNS1_3gpuE4ELNS1_3repE0EEENS3_ILS4_10ELS5_1201ELS6_5ELS7_0EEENS1_28merge_sort_block_sort_configILj256ELj4ELNS0_20block_sort_algorithmE0EEENS0_14default_configENS1_37merge_sort_block_sort_config_selectorIfNS0_10empty_typeEEENS1_38merge_sort_block_merge_config_selectorIfSF_EEEEvv
                                        ; -- End function
	.section	.AMDGPU.csdata,"",@progbits
; Kernel info:
; codeLenInByte = 4
; NumSgprs: 4
; NumVgprs: 0
; NumAgprs: 0
; TotalNumVgprs: 0
; ScratchSize: 0
; MemoryBound: 0
; FloatMode: 240
; IeeeMode: 1
; LDSByteSize: 0 bytes/workgroup (compile time only)
; SGPRBlocks: 0
; VGPRBlocks: 0
; NumSGPRsForWavesPerEU: 4
; NumVGPRsForWavesPerEU: 1
; AccumOffset: 4
; Occupancy: 8
; WaveLimiterHint : 0
; COMPUTE_PGM_RSRC2:SCRATCH_EN: 0
; COMPUTE_PGM_RSRC2:USER_SGPR: 4
; COMPUTE_PGM_RSRC2:TRAP_HANDLER: 0
; COMPUTE_PGM_RSRC2:TGID_X_EN: 1
; COMPUTE_PGM_RSRC2:TGID_Y_EN: 0
; COMPUTE_PGM_RSRC2:TGID_Z_EN: 0
; COMPUTE_PGM_RSRC2:TIDIG_COMP_CNT: 0
; COMPUTE_PGM_RSRC3_GFX90A:ACCUM_OFFSET: 0
; COMPUTE_PGM_RSRC3_GFX90A:TG_SPLIT: 0
	.section	.text._ZN7rocprim17ROCPRIM_400000_NS6detail44device_merge_sort_compile_time_verifier_archINS1_11comp_targetILNS1_3genE9ELNS1_11target_archE1100ELNS1_3gpuE3ELNS1_3repE0EEES8_NS1_28merge_sort_block_sort_configILj256ELj4ELNS0_20block_sort_algorithmE0EEENS0_14default_configENS1_37merge_sort_block_sort_config_selectorIfNS0_10empty_typeEEENS1_38merge_sort_block_merge_config_selectorIfSE_EEEEvv,"axG",@progbits,_ZN7rocprim17ROCPRIM_400000_NS6detail44device_merge_sort_compile_time_verifier_archINS1_11comp_targetILNS1_3genE9ELNS1_11target_archE1100ELNS1_3gpuE3ELNS1_3repE0EEES8_NS1_28merge_sort_block_sort_configILj256ELj4ELNS0_20block_sort_algorithmE0EEENS0_14default_configENS1_37merge_sort_block_sort_config_selectorIfNS0_10empty_typeEEENS1_38merge_sort_block_merge_config_selectorIfSE_EEEEvv,comdat
	.protected	_ZN7rocprim17ROCPRIM_400000_NS6detail44device_merge_sort_compile_time_verifier_archINS1_11comp_targetILNS1_3genE9ELNS1_11target_archE1100ELNS1_3gpuE3ELNS1_3repE0EEES8_NS1_28merge_sort_block_sort_configILj256ELj4ELNS0_20block_sort_algorithmE0EEENS0_14default_configENS1_37merge_sort_block_sort_config_selectorIfNS0_10empty_typeEEENS1_38merge_sort_block_merge_config_selectorIfSE_EEEEvv ; -- Begin function _ZN7rocprim17ROCPRIM_400000_NS6detail44device_merge_sort_compile_time_verifier_archINS1_11comp_targetILNS1_3genE9ELNS1_11target_archE1100ELNS1_3gpuE3ELNS1_3repE0EEES8_NS1_28merge_sort_block_sort_configILj256ELj4ELNS0_20block_sort_algorithmE0EEENS0_14default_configENS1_37merge_sort_block_sort_config_selectorIfNS0_10empty_typeEEENS1_38merge_sort_block_merge_config_selectorIfSE_EEEEvv
	.globl	_ZN7rocprim17ROCPRIM_400000_NS6detail44device_merge_sort_compile_time_verifier_archINS1_11comp_targetILNS1_3genE9ELNS1_11target_archE1100ELNS1_3gpuE3ELNS1_3repE0EEES8_NS1_28merge_sort_block_sort_configILj256ELj4ELNS0_20block_sort_algorithmE0EEENS0_14default_configENS1_37merge_sort_block_sort_config_selectorIfNS0_10empty_typeEEENS1_38merge_sort_block_merge_config_selectorIfSE_EEEEvv
	.p2align	8
	.type	_ZN7rocprim17ROCPRIM_400000_NS6detail44device_merge_sort_compile_time_verifier_archINS1_11comp_targetILNS1_3genE9ELNS1_11target_archE1100ELNS1_3gpuE3ELNS1_3repE0EEES8_NS1_28merge_sort_block_sort_configILj256ELj4ELNS0_20block_sort_algorithmE0EEENS0_14default_configENS1_37merge_sort_block_sort_config_selectorIfNS0_10empty_typeEEENS1_38merge_sort_block_merge_config_selectorIfSE_EEEEvv,@function
_ZN7rocprim17ROCPRIM_400000_NS6detail44device_merge_sort_compile_time_verifier_archINS1_11comp_targetILNS1_3genE9ELNS1_11target_archE1100ELNS1_3gpuE3ELNS1_3repE0EEES8_NS1_28merge_sort_block_sort_configILj256ELj4ELNS0_20block_sort_algorithmE0EEENS0_14default_configENS1_37merge_sort_block_sort_config_selectorIfNS0_10empty_typeEEENS1_38merge_sort_block_merge_config_selectorIfSE_EEEEvv: ; @_ZN7rocprim17ROCPRIM_400000_NS6detail44device_merge_sort_compile_time_verifier_archINS1_11comp_targetILNS1_3genE9ELNS1_11target_archE1100ELNS1_3gpuE3ELNS1_3repE0EEES8_NS1_28merge_sort_block_sort_configILj256ELj4ELNS0_20block_sort_algorithmE0EEENS0_14default_configENS1_37merge_sort_block_sort_config_selectorIfNS0_10empty_typeEEENS1_38merge_sort_block_merge_config_selectorIfSE_EEEEvv
; %bb.0:
	s_endpgm
	.section	.rodata,"a",@progbits
	.p2align	6, 0x0
	.amdhsa_kernel _ZN7rocprim17ROCPRIM_400000_NS6detail44device_merge_sort_compile_time_verifier_archINS1_11comp_targetILNS1_3genE9ELNS1_11target_archE1100ELNS1_3gpuE3ELNS1_3repE0EEES8_NS1_28merge_sort_block_sort_configILj256ELj4ELNS0_20block_sort_algorithmE0EEENS0_14default_configENS1_37merge_sort_block_sort_config_selectorIfNS0_10empty_typeEEENS1_38merge_sort_block_merge_config_selectorIfSE_EEEEvv
		.amdhsa_group_segment_fixed_size 0
		.amdhsa_private_segment_fixed_size 0
		.amdhsa_kernarg_size 0
		.amdhsa_user_sgpr_count 4
		.amdhsa_user_sgpr_private_segment_buffer 1
		.amdhsa_user_sgpr_dispatch_ptr 0
		.amdhsa_user_sgpr_queue_ptr 0
		.amdhsa_user_sgpr_kernarg_segment_ptr 0
		.amdhsa_user_sgpr_dispatch_id 0
		.amdhsa_user_sgpr_flat_scratch_init 0
		.amdhsa_user_sgpr_kernarg_preload_length 0
		.amdhsa_user_sgpr_kernarg_preload_offset 0
		.amdhsa_user_sgpr_private_segment_size 0
		.amdhsa_uses_dynamic_stack 0
		.amdhsa_system_sgpr_private_segment_wavefront_offset 0
		.amdhsa_system_sgpr_workgroup_id_x 1
		.amdhsa_system_sgpr_workgroup_id_y 0
		.amdhsa_system_sgpr_workgroup_id_z 0
		.amdhsa_system_sgpr_workgroup_info 0
		.amdhsa_system_vgpr_workitem_id 0
		.amdhsa_next_free_vgpr 1
		.amdhsa_next_free_sgpr 0
		.amdhsa_accum_offset 4
		.amdhsa_reserve_vcc 0
		.amdhsa_reserve_flat_scratch 0
		.amdhsa_float_round_mode_32 0
		.amdhsa_float_round_mode_16_64 0
		.amdhsa_float_denorm_mode_32 3
		.amdhsa_float_denorm_mode_16_64 3
		.amdhsa_dx10_clamp 1
		.amdhsa_ieee_mode 1
		.amdhsa_fp16_overflow 0
		.amdhsa_tg_split 0
		.amdhsa_exception_fp_ieee_invalid_op 0
		.amdhsa_exception_fp_denorm_src 0
		.amdhsa_exception_fp_ieee_div_zero 0
		.amdhsa_exception_fp_ieee_overflow 0
		.amdhsa_exception_fp_ieee_underflow 0
		.amdhsa_exception_fp_ieee_inexact 0
		.amdhsa_exception_int_div_zero 0
	.end_amdhsa_kernel
	.section	.text._ZN7rocprim17ROCPRIM_400000_NS6detail44device_merge_sort_compile_time_verifier_archINS1_11comp_targetILNS1_3genE9ELNS1_11target_archE1100ELNS1_3gpuE3ELNS1_3repE0EEES8_NS1_28merge_sort_block_sort_configILj256ELj4ELNS0_20block_sort_algorithmE0EEENS0_14default_configENS1_37merge_sort_block_sort_config_selectorIfNS0_10empty_typeEEENS1_38merge_sort_block_merge_config_selectorIfSE_EEEEvv,"axG",@progbits,_ZN7rocprim17ROCPRIM_400000_NS6detail44device_merge_sort_compile_time_verifier_archINS1_11comp_targetILNS1_3genE9ELNS1_11target_archE1100ELNS1_3gpuE3ELNS1_3repE0EEES8_NS1_28merge_sort_block_sort_configILj256ELj4ELNS0_20block_sort_algorithmE0EEENS0_14default_configENS1_37merge_sort_block_sort_config_selectorIfNS0_10empty_typeEEENS1_38merge_sort_block_merge_config_selectorIfSE_EEEEvv,comdat
.Lfunc_end1234:
	.size	_ZN7rocprim17ROCPRIM_400000_NS6detail44device_merge_sort_compile_time_verifier_archINS1_11comp_targetILNS1_3genE9ELNS1_11target_archE1100ELNS1_3gpuE3ELNS1_3repE0EEES8_NS1_28merge_sort_block_sort_configILj256ELj4ELNS0_20block_sort_algorithmE0EEENS0_14default_configENS1_37merge_sort_block_sort_config_selectorIfNS0_10empty_typeEEENS1_38merge_sort_block_merge_config_selectorIfSE_EEEEvv, .Lfunc_end1234-_ZN7rocprim17ROCPRIM_400000_NS6detail44device_merge_sort_compile_time_verifier_archINS1_11comp_targetILNS1_3genE9ELNS1_11target_archE1100ELNS1_3gpuE3ELNS1_3repE0EEES8_NS1_28merge_sort_block_sort_configILj256ELj4ELNS0_20block_sort_algorithmE0EEENS0_14default_configENS1_37merge_sort_block_sort_config_selectorIfNS0_10empty_typeEEENS1_38merge_sort_block_merge_config_selectorIfSE_EEEEvv
                                        ; -- End function
	.section	.AMDGPU.csdata,"",@progbits
; Kernel info:
; codeLenInByte = 4
; NumSgprs: 4
; NumVgprs: 0
; NumAgprs: 0
; TotalNumVgprs: 0
; ScratchSize: 0
; MemoryBound: 0
; FloatMode: 240
; IeeeMode: 1
; LDSByteSize: 0 bytes/workgroup (compile time only)
; SGPRBlocks: 0
; VGPRBlocks: 0
; NumSGPRsForWavesPerEU: 4
; NumVGPRsForWavesPerEU: 1
; AccumOffset: 4
; Occupancy: 8
; WaveLimiterHint : 0
; COMPUTE_PGM_RSRC2:SCRATCH_EN: 0
; COMPUTE_PGM_RSRC2:USER_SGPR: 4
; COMPUTE_PGM_RSRC2:TRAP_HANDLER: 0
; COMPUTE_PGM_RSRC2:TGID_X_EN: 1
; COMPUTE_PGM_RSRC2:TGID_Y_EN: 0
; COMPUTE_PGM_RSRC2:TGID_Z_EN: 0
; COMPUTE_PGM_RSRC2:TIDIG_COMP_CNT: 0
; COMPUTE_PGM_RSRC3_GFX90A:ACCUM_OFFSET: 0
; COMPUTE_PGM_RSRC3_GFX90A:TG_SPLIT: 0
	.section	.text._ZN7rocprim17ROCPRIM_400000_NS6detail44device_merge_sort_compile_time_verifier_archINS1_11comp_targetILNS1_3genE8ELNS1_11target_archE1030ELNS1_3gpuE2ELNS1_3repE0EEES8_NS1_28merge_sort_block_sort_configILj256ELj4ELNS0_20block_sort_algorithmE0EEENS0_14default_configENS1_37merge_sort_block_sort_config_selectorIfNS0_10empty_typeEEENS1_38merge_sort_block_merge_config_selectorIfSE_EEEEvv,"axG",@progbits,_ZN7rocprim17ROCPRIM_400000_NS6detail44device_merge_sort_compile_time_verifier_archINS1_11comp_targetILNS1_3genE8ELNS1_11target_archE1030ELNS1_3gpuE2ELNS1_3repE0EEES8_NS1_28merge_sort_block_sort_configILj256ELj4ELNS0_20block_sort_algorithmE0EEENS0_14default_configENS1_37merge_sort_block_sort_config_selectorIfNS0_10empty_typeEEENS1_38merge_sort_block_merge_config_selectorIfSE_EEEEvv,comdat
	.protected	_ZN7rocprim17ROCPRIM_400000_NS6detail44device_merge_sort_compile_time_verifier_archINS1_11comp_targetILNS1_3genE8ELNS1_11target_archE1030ELNS1_3gpuE2ELNS1_3repE0EEES8_NS1_28merge_sort_block_sort_configILj256ELj4ELNS0_20block_sort_algorithmE0EEENS0_14default_configENS1_37merge_sort_block_sort_config_selectorIfNS0_10empty_typeEEENS1_38merge_sort_block_merge_config_selectorIfSE_EEEEvv ; -- Begin function _ZN7rocprim17ROCPRIM_400000_NS6detail44device_merge_sort_compile_time_verifier_archINS1_11comp_targetILNS1_3genE8ELNS1_11target_archE1030ELNS1_3gpuE2ELNS1_3repE0EEES8_NS1_28merge_sort_block_sort_configILj256ELj4ELNS0_20block_sort_algorithmE0EEENS0_14default_configENS1_37merge_sort_block_sort_config_selectorIfNS0_10empty_typeEEENS1_38merge_sort_block_merge_config_selectorIfSE_EEEEvv
	.globl	_ZN7rocprim17ROCPRIM_400000_NS6detail44device_merge_sort_compile_time_verifier_archINS1_11comp_targetILNS1_3genE8ELNS1_11target_archE1030ELNS1_3gpuE2ELNS1_3repE0EEES8_NS1_28merge_sort_block_sort_configILj256ELj4ELNS0_20block_sort_algorithmE0EEENS0_14default_configENS1_37merge_sort_block_sort_config_selectorIfNS0_10empty_typeEEENS1_38merge_sort_block_merge_config_selectorIfSE_EEEEvv
	.p2align	8
	.type	_ZN7rocprim17ROCPRIM_400000_NS6detail44device_merge_sort_compile_time_verifier_archINS1_11comp_targetILNS1_3genE8ELNS1_11target_archE1030ELNS1_3gpuE2ELNS1_3repE0EEES8_NS1_28merge_sort_block_sort_configILj256ELj4ELNS0_20block_sort_algorithmE0EEENS0_14default_configENS1_37merge_sort_block_sort_config_selectorIfNS0_10empty_typeEEENS1_38merge_sort_block_merge_config_selectorIfSE_EEEEvv,@function
_ZN7rocprim17ROCPRIM_400000_NS6detail44device_merge_sort_compile_time_verifier_archINS1_11comp_targetILNS1_3genE8ELNS1_11target_archE1030ELNS1_3gpuE2ELNS1_3repE0EEES8_NS1_28merge_sort_block_sort_configILj256ELj4ELNS0_20block_sort_algorithmE0EEENS0_14default_configENS1_37merge_sort_block_sort_config_selectorIfNS0_10empty_typeEEENS1_38merge_sort_block_merge_config_selectorIfSE_EEEEvv: ; @_ZN7rocprim17ROCPRIM_400000_NS6detail44device_merge_sort_compile_time_verifier_archINS1_11comp_targetILNS1_3genE8ELNS1_11target_archE1030ELNS1_3gpuE2ELNS1_3repE0EEES8_NS1_28merge_sort_block_sort_configILj256ELj4ELNS0_20block_sort_algorithmE0EEENS0_14default_configENS1_37merge_sort_block_sort_config_selectorIfNS0_10empty_typeEEENS1_38merge_sort_block_merge_config_selectorIfSE_EEEEvv
; %bb.0:
	s_endpgm
	.section	.rodata,"a",@progbits
	.p2align	6, 0x0
	.amdhsa_kernel _ZN7rocprim17ROCPRIM_400000_NS6detail44device_merge_sort_compile_time_verifier_archINS1_11comp_targetILNS1_3genE8ELNS1_11target_archE1030ELNS1_3gpuE2ELNS1_3repE0EEES8_NS1_28merge_sort_block_sort_configILj256ELj4ELNS0_20block_sort_algorithmE0EEENS0_14default_configENS1_37merge_sort_block_sort_config_selectorIfNS0_10empty_typeEEENS1_38merge_sort_block_merge_config_selectorIfSE_EEEEvv
		.amdhsa_group_segment_fixed_size 0
		.amdhsa_private_segment_fixed_size 0
		.amdhsa_kernarg_size 0
		.amdhsa_user_sgpr_count 4
		.amdhsa_user_sgpr_private_segment_buffer 1
		.amdhsa_user_sgpr_dispatch_ptr 0
		.amdhsa_user_sgpr_queue_ptr 0
		.amdhsa_user_sgpr_kernarg_segment_ptr 0
		.amdhsa_user_sgpr_dispatch_id 0
		.amdhsa_user_sgpr_flat_scratch_init 0
		.amdhsa_user_sgpr_kernarg_preload_length 0
		.amdhsa_user_sgpr_kernarg_preload_offset 0
		.amdhsa_user_sgpr_private_segment_size 0
		.amdhsa_uses_dynamic_stack 0
		.amdhsa_system_sgpr_private_segment_wavefront_offset 0
		.amdhsa_system_sgpr_workgroup_id_x 1
		.amdhsa_system_sgpr_workgroup_id_y 0
		.amdhsa_system_sgpr_workgroup_id_z 0
		.amdhsa_system_sgpr_workgroup_info 0
		.amdhsa_system_vgpr_workitem_id 0
		.amdhsa_next_free_vgpr 1
		.amdhsa_next_free_sgpr 0
		.amdhsa_accum_offset 4
		.amdhsa_reserve_vcc 0
		.amdhsa_reserve_flat_scratch 0
		.amdhsa_float_round_mode_32 0
		.amdhsa_float_round_mode_16_64 0
		.amdhsa_float_denorm_mode_32 3
		.amdhsa_float_denorm_mode_16_64 3
		.amdhsa_dx10_clamp 1
		.amdhsa_ieee_mode 1
		.amdhsa_fp16_overflow 0
		.amdhsa_tg_split 0
		.amdhsa_exception_fp_ieee_invalid_op 0
		.amdhsa_exception_fp_denorm_src 0
		.amdhsa_exception_fp_ieee_div_zero 0
		.amdhsa_exception_fp_ieee_overflow 0
		.amdhsa_exception_fp_ieee_underflow 0
		.amdhsa_exception_fp_ieee_inexact 0
		.amdhsa_exception_int_div_zero 0
	.end_amdhsa_kernel
	.section	.text._ZN7rocprim17ROCPRIM_400000_NS6detail44device_merge_sort_compile_time_verifier_archINS1_11comp_targetILNS1_3genE8ELNS1_11target_archE1030ELNS1_3gpuE2ELNS1_3repE0EEES8_NS1_28merge_sort_block_sort_configILj256ELj4ELNS0_20block_sort_algorithmE0EEENS0_14default_configENS1_37merge_sort_block_sort_config_selectorIfNS0_10empty_typeEEENS1_38merge_sort_block_merge_config_selectorIfSE_EEEEvv,"axG",@progbits,_ZN7rocprim17ROCPRIM_400000_NS6detail44device_merge_sort_compile_time_verifier_archINS1_11comp_targetILNS1_3genE8ELNS1_11target_archE1030ELNS1_3gpuE2ELNS1_3repE0EEES8_NS1_28merge_sort_block_sort_configILj256ELj4ELNS0_20block_sort_algorithmE0EEENS0_14default_configENS1_37merge_sort_block_sort_config_selectorIfNS0_10empty_typeEEENS1_38merge_sort_block_merge_config_selectorIfSE_EEEEvv,comdat
.Lfunc_end1235:
	.size	_ZN7rocprim17ROCPRIM_400000_NS6detail44device_merge_sort_compile_time_verifier_archINS1_11comp_targetILNS1_3genE8ELNS1_11target_archE1030ELNS1_3gpuE2ELNS1_3repE0EEES8_NS1_28merge_sort_block_sort_configILj256ELj4ELNS0_20block_sort_algorithmE0EEENS0_14default_configENS1_37merge_sort_block_sort_config_selectorIfNS0_10empty_typeEEENS1_38merge_sort_block_merge_config_selectorIfSE_EEEEvv, .Lfunc_end1235-_ZN7rocprim17ROCPRIM_400000_NS6detail44device_merge_sort_compile_time_verifier_archINS1_11comp_targetILNS1_3genE8ELNS1_11target_archE1030ELNS1_3gpuE2ELNS1_3repE0EEES8_NS1_28merge_sort_block_sort_configILj256ELj4ELNS0_20block_sort_algorithmE0EEENS0_14default_configENS1_37merge_sort_block_sort_config_selectorIfNS0_10empty_typeEEENS1_38merge_sort_block_merge_config_selectorIfSE_EEEEvv
                                        ; -- End function
	.section	.AMDGPU.csdata,"",@progbits
; Kernel info:
; codeLenInByte = 4
; NumSgprs: 4
; NumVgprs: 0
; NumAgprs: 0
; TotalNumVgprs: 0
; ScratchSize: 0
; MemoryBound: 0
; FloatMode: 240
; IeeeMode: 1
; LDSByteSize: 0 bytes/workgroup (compile time only)
; SGPRBlocks: 0
; VGPRBlocks: 0
; NumSGPRsForWavesPerEU: 4
; NumVGPRsForWavesPerEU: 1
; AccumOffset: 4
; Occupancy: 8
; WaveLimiterHint : 0
; COMPUTE_PGM_RSRC2:SCRATCH_EN: 0
; COMPUTE_PGM_RSRC2:USER_SGPR: 4
; COMPUTE_PGM_RSRC2:TRAP_HANDLER: 0
; COMPUTE_PGM_RSRC2:TGID_X_EN: 1
; COMPUTE_PGM_RSRC2:TGID_Y_EN: 0
; COMPUTE_PGM_RSRC2:TGID_Z_EN: 0
; COMPUTE_PGM_RSRC2:TIDIG_COMP_CNT: 0
; COMPUTE_PGM_RSRC3_GFX90A:ACCUM_OFFSET: 0
; COMPUTE_PGM_RSRC3_GFX90A:TG_SPLIT: 0
	.section	.text._ZN7rocprim17ROCPRIM_400000_NS6detail17trampoline_kernelINS0_14default_configENS1_38merge_sort_block_merge_config_selectorIfNS0_10empty_typeEEEZZNS1_27merge_sort_block_merge_implIS3_PfPS5_jNS1_19radix_merge_compareILb0ELb0EfNS0_19identity_decomposerEEEEE10hipError_tT0_T1_T2_jT3_P12ihipStream_tbPNSt15iterator_traitsISE_E10value_typeEPNSK_ISF_E10value_typeEPSG_NS1_7vsmem_tEENKUlT_SE_SF_SG_E_clIS8_S8_S9_S9_EESD_ST_SE_SF_SG_EUlST_E_NS1_11comp_targetILNS1_3genE0ELNS1_11target_archE4294967295ELNS1_3gpuE0ELNS1_3repE0EEENS1_48merge_mergepath_partition_config_static_selectorELNS0_4arch9wavefront6targetE1EEEvSF_,"axG",@progbits,_ZN7rocprim17ROCPRIM_400000_NS6detail17trampoline_kernelINS0_14default_configENS1_38merge_sort_block_merge_config_selectorIfNS0_10empty_typeEEEZZNS1_27merge_sort_block_merge_implIS3_PfPS5_jNS1_19radix_merge_compareILb0ELb0EfNS0_19identity_decomposerEEEEE10hipError_tT0_T1_T2_jT3_P12ihipStream_tbPNSt15iterator_traitsISE_E10value_typeEPNSK_ISF_E10value_typeEPSG_NS1_7vsmem_tEENKUlT_SE_SF_SG_E_clIS8_S8_S9_S9_EESD_ST_SE_SF_SG_EUlST_E_NS1_11comp_targetILNS1_3genE0ELNS1_11target_archE4294967295ELNS1_3gpuE0ELNS1_3repE0EEENS1_48merge_mergepath_partition_config_static_selectorELNS0_4arch9wavefront6targetE1EEEvSF_,comdat
	.protected	_ZN7rocprim17ROCPRIM_400000_NS6detail17trampoline_kernelINS0_14default_configENS1_38merge_sort_block_merge_config_selectorIfNS0_10empty_typeEEEZZNS1_27merge_sort_block_merge_implIS3_PfPS5_jNS1_19radix_merge_compareILb0ELb0EfNS0_19identity_decomposerEEEEE10hipError_tT0_T1_T2_jT3_P12ihipStream_tbPNSt15iterator_traitsISE_E10value_typeEPNSK_ISF_E10value_typeEPSG_NS1_7vsmem_tEENKUlT_SE_SF_SG_E_clIS8_S8_S9_S9_EESD_ST_SE_SF_SG_EUlST_E_NS1_11comp_targetILNS1_3genE0ELNS1_11target_archE4294967295ELNS1_3gpuE0ELNS1_3repE0EEENS1_48merge_mergepath_partition_config_static_selectorELNS0_4arch9wavefront6targetE1EEEvSF_ ; -- Begin function _ZN7rocprim17ROCPRIM_400000_NS6detail17trampoline_kernelINS0_14default_configENS1_38merge_sort_block_merge_config_selectorIfNS0_10empty_typeEEEZZNS1_27merge_sort_block_merge_implIS3_PfPS5_jNS1_19radix_merge_compareILb0ELb0EfNS0_19identity_decomposerEEEEE10hipError_tT0_T1_T2_jT3_P12ihipStream_tbPNSt15iterator_traitsISE_E10value_typeEPNSK_ISF_E10value_typeEPSG_NS1_7vsmem_tEENKUlT_SE_SF_SG_E_clIS8_S8_S9_S9_EESD_ST_SE_SF_SG_EUlST_E_NS1_11comp_targetILNS1_3genE0ELNS1_11target_archE4294967295ELNS1_3gpuE0ELNS1_3repE0EEENS1_48merge_mergepath_partition_config_static_selectorELNS0_4arch9wavefront6targetE1EEEvSF_
	.globl	_ZN7rocprim17ROCPRIM_400000_NS6detail17trampoline_kernelINS0_14default_configENS1_38merge_sort_block_merge_config_selectorIfNS0_10empty_typeEEEZZNS1_27merge_sort_block_merge_implIS3_PfPS5_jNS1_19radix_merge_compareILb0ELb0EfNS0_19identity_decomposerEEEEE10hipError_tT0_T1_T2_jT3_P12ihipStream_tbPNSt15iterator_traitsISE_E10value_typeEPNSK_ISF_E10value_typeEPSG_NS1_7vsmem_tEENKUlT_SE_SF_SG_E_clIS8_S8_S9_S9_EESD_ST_SE_SF_SG_EUlST_E_NS1_11comp_targetILNS1_3genE0ELNS1_11target_archE4294967295ELNS1_3gpuE0ELNS1_3repE0EEENS1_48merge_mergepath_partition_config_static_selectorELNS0_4arch9wavefront6targetE1EEEvSF_
	.p2align	8
	.type	_ZN7rocprim17ROCPRIM_400000_NS6detail17trampoline_kernelINS0_14default_configENS1_38merge_sort_block_merge_config_selectorIfNS0_10empty_typeEEEZZNS1_27merge_sort_block_merge_implIS3_PfPS5_jNS1_19radix_merge_compareILb0ELb0EfNS0_19identity_decomposerEEEEE10hipError_tT0_T1_T2_jT3_P12ihipStream_tbPNSt15iterator_traitsISE_E10value_typeEPNSK_ISF_E10value_typeEPSG_NS1_7vsmem_tEENKUlT_SE_SF_SG_E_clIS8_S8_S9_S9_EESD_ST_SE_SF_SG_EUlST_E_NS1_11comp_targetILNS1_3genE0ELNS1_11target_archE4294967295ELNS1_3gpuE0ELNS1_3repE0EEENS1_48merge_mergepath_partition_config_static_selectorELNS0_4arch9wavefront6targetE1EEEvSF_,@function
_ZN7rocprim17ROCPRIM_400000_NS6detail17trampoline_kernelINS0_14default_configENS1_38merge_sort_block_merge_config_selectorIfNS0_10empty_typeEEEZZNS1_27merge_sort_block_merge_implIS3_PfPS5_jNS1_19radix_merge_compareILb0ELb0EfNS0_19identity_decomposerEEEEE10hipError_tT0_T1_T2_jT3_P12ihipStream_tbPNSt15iterator_traitsISE_E10value_typeEPNSK_ISF_E10value_typeEPSG_NS1_7vsmem_tEENKUlT_SE_SF_SG_E_clIS8_S8_S9_S9_EESD_ST_SE_SF_SG_EUlST_E_NS1_11comp_targetILNS1_3genE0ELNS1_11target_archE4294967295ELNS1_3gpuE0ELNS1_3repE0EEENS1_48merge_mergepath_partition_config_static_selectorELNS0_4arch9wavefront6targetE1EEEvSF_: ; @_ZN7rocprim17ROCPRIM_400000_NS6detail17trampoline_kernelINS0_14default_configENS1_38merge_sort_block_merge_config_selectorIfNS0_10empty_typeEEEZZNS1_27merge_sort_block_merge_implIS3_PfPS5_jNS1_19radix_merge_compareILb0ELb0EfNS0_19identity_decomposerEEEEE10hipError_tT0_T1_T2_jT3_P12ihipStream_tbPNSt15iterator_traitsISE_E10value_typeEPNSK_ISF_E10value_typeEPSG_NS1_7vsmem_tEENKUlT_SE_SF_SG_E_clIS8_S8_S9_S9_EESD_ST_SE_SF_SG_EUlST_E_NS1_11comp_targetILNS1_3genE0ELNS1_11target_archE4294967295ELNS1_3gpuE0ELNS1_3repE0EEENS1_48merge_mergepath_partition_config_static_selectorELNS0_4arch9wavefront6targetE1EEEvSF_
; %bb.0:
	.section	.rodata,"a",@progbits
	.p2align	6, 0x0
	.amdhsa_kernel _ZN7rocprim17ROCPRIM_400000_NS6detail17trampoline_kernelINS0_14default_configENS1_38merge_sort_block_merge_config_selectorIfNS0_10empty_typeEEEZZNS1_27merge_sort_block_merge_implIS3_PfPS5_jNS1_19radix_merge_compareILb0ELb0EfNS0_19identity_decomposerEEEEE10hipError_tT0_T1_T2_jT3_P12ihipStream_tbPNSt15iterator_traitsISE_E10value_typeEPNSK_ISF_E10value_typeEPSG_NS1_7vsmem_tEENKUlT_SE_SF_SG_E_clIS8_S8_S9_S9_EESD_ST_SE_SF_SG_EUlST_E_NS1_11comp_targetILNS1_3genE0ELNS1_11target_archE4294967295ELNS1_3gpuE0ELNS1_3repE0EEENS1_48merge_mergepath_partition_config_static_selectorELNS0_4arch9wavefront6targetE1EEEvSF_
		.amdhsa_group_segment_fixed_size 0
		.amdhsa_private_segment_fixed_size 0
		.amdhsa_kernarg_size 40
		.amdhsa_user_sgpr_count 6
		.amdhsa_user_sgpr_private_segment_buffer 1
		.amdhsa_user_sgpr_dispatch_ptr 0
		.amdhsa_user_sgpr_queue_ptr 0
		.amdhsa_user_sgpr_kernarg_segment_ptr 1
		.amdhsa_user_sgpr_dispatch_id 0
		.amdhsa_user_sgpr_flat_scratch_init 0
		.amdhsa_user_sgpr_kernarg_preload_length 0
		.amdhsa_user_sgpr_kernarg_preload_offset 0
		.amdhsa_user_sgpr_private_segment_size 0
		.amdhsa_uses_dynamic_stack 0
		.amdhsa_system_sgpr_private_segment_wavefront_offset 0
		.amdhsa_system_sgpr_workgroup_id_x 1
		.amdhsa_system_sgpr_workgroup_id_y 0
		.amdhsa_system_sgpr_workgroup_id_z 0
		.amdhsa_system_sgpr_workgroup_info 0
		.amdhsa_system_vgpr_workitem_id 0
		.amdhsa_next_free_vgpr 1
		.amdhsa_next_free_sgpr 0
		.amdhsa_accum_offset 4
		.amdhsa_reserve_vcc 0
		.amdhsa_reserve_flat_scratch 0
		.amdhsa_float_round_mode_32 0
		.amdhsa_float_round_mode_16_64 0
		.amdhsa_float_denorm_mode_32 3
		.amdhsa_float_denorm_mode_16_64 3
		.amdhsa_dx10_clamp 1
		.amdhsa_ieee_mode 1
		.amdhsa_fp16_overflow 0
		.amdhsa_tg_split 0
		.amdhsa_exception_fp_ieee_invalid_op 0
		.amdhsa_exception_fp_denorm_src 0
		.amdhsa_exception_fp_ieee_div_zero 0
		.amdhsa_exception_fp_ieee_overflow 0
		.amdhsa_exception_fp_ieee_underflow 0
		.amdhsa_exception_fp_ieee_inexact 0
		.amdhsa_exception_int_div_zero 0
	.end_amdhsa_kernel
	.section	.text._ZN7rocprim17ROCPRIM_400000_NS6detail17trampoline_kernelINS0_14default_configENS1_38merge_sort_block_merge_config_selectorIfNS0_10empty_typeEEEZZNS1_27merge_sort_block_merge_implIS3_PfPS5_jNS1_19radix_merge_compareILb0ELb0EfNS0_19identity_decomposerEEEEE10hipError_tT0_T1_T2_jT3_P12ihipStream_tbPNSt15iterator_traitsISE_E10value_typeEPNSK_ISF_E10value_typeEPSG_NS1_7vsmem_tEENKUlT_SE_SF_SG_E_clIS8_S8_S9_S9_EESD_ST_SE_SF_SG_EUlST_E_NS1_11comp_targetILNS1_3genE0ELNS1_11target_archE4294967295ELNS1_3gpuE0ELNS1_3repE0EEENS1_48merge_mergepath_partition_config_static_selectorELNS0_4arch9wavefront6targetE1EEEvSF_,"axG",@progbits,_ZN7rocprim17ROCPRIM_400000_NS6detail17trampoline_kernelINS0_14default_configENS1_38merge_sort_block_merge_config_selectorIfNS0_10empty_typeEEEZZNS1_27merge_sort_block_merge_implIS3_PfPS5_jNS1_19radix_merge_compareILb0ELb0EfNS0_19identity_decomposerEEEEE10hipError_tT0_T1_T2_jT3_P12ihipStream_tbPNSt15iterator_traitsISE_E10value_typeEPNSK_ISF_E10value_typeEPSG_NS1_7vsmem_tEENKUlT_SE_SF_SG_E_clIS8_S8_S9_S9_EESD_ST_SE_SF_SG_EUlST_E_NS1_11comp_targetILNS1_3genE0ELNS1_11target_archE4294967295ELNS1_3gpuE0ELNS1_3repE0EEENS1_48merge_mergepath_partition_config_static_selectorELNS0_4arch9wavefront6targetE1EEEvSF_,comdat
.Lfunc_end1236:
	.size	_ZN7rocprim17ROCPRIM_400000_NS6detail17trampoline_kernelINS0_14default_configENS1_38merge_sort_block_merge_config_selectorIfNS0_10empty_typeEEEZZNS1_27merge_sort_block_merge_implIS3_PfPS5_jNS1_19radix_merge_compareILb0ELb0EfNS0_19identity_decomposerEEEEE10hipError_tT0_T1_T2_jT3_P12ihipStream_tbPNSt15iterator_traitsISE_E10value_typeEPNSK_ISF_E10value_typeEPSG_NS1_7vsmem_tEENKUlT_SE_SF_SG_E_clIS8_S8_S9_S9_EESD_ST_SE_SF_SG_EUlST_E_NS1_11comp_targetILNS1_3genE0ELNS1_11target_archE4294967295ELNS1_3gpuE0ELNS1_3repE0EEENS1_48merge_mergepath_partition_config_static_selectorELNS0_4arch9wavefront6targetE1EEEvSF_, .Lfunc_end1236-_ZN7rocprim17ROCPRIM_400000_NS6detail17trampoline_kernelINS0_14default_configENS1_38merge_sort_block_merge_config_selectorIfNS0_10empty_typeEEEZZNS1_27merge_sort_block_merge_implIS3_PfPS5_jNS1_19radix_merge_compareILb0ELb0EfNS0_19identity_decomposerEEEEE10hipError_tT0_T1_T2_jT3_P12ihipStream_tbPNSt15iterator_traitsISE_E10value_typeEPNSK_ISF_E10value_typeEPSG_NS1_7vsmem_tEENKUlT_SE_SF_SG_E_clIS8_S8_S9_S9_EESD_ST_SE_SF_SG_EUlST_E_NS1_11comp_targetILNS1_3genE0ELNS1_11target_archE4294967295ELNS1_3gpuE0ELNS1_3repE0EEENS1_48merge_mergepath_partition_config_static_selectorELNS0_4arch9wavefront6targetE1EEEvSF_
                                        ; -- End function
	.section	.AMDGPU.csdata,"",@progbits
; Kernel info:
; codeLenInByte = 0
; NumSgprs: 4
; NumVgprs: 0
; NumAgprs: 0
; TotalNumVgprs: 0
; ScratchSize: 0
; MemoryBound: 0
; FloatMode: 240
; IeeeMode: 1
; LDSByteSize: 0 bytes/workgroup (compile time only)
; SGPRBlocks: 0
; VGPRBlocks: 0
; NumSGPRsForWavesPerEU: 4
; NumVGPRsForWavesPerEU: 1
; AccumOffset: 4
; Occupancy: 8
; WaveLimiterHint : 0
; COMPUTE_PGM_RSRC2:SCRATCH_EN: 0
; COMPUTE_PGM_RSRC2:USER_SGPR: 6
; COMPUTE_PGM_RSRC2:TRAP_HANDLER: 0
; COMPUTE_PGM_RSRC2:TGID_X_EN: 1
; COMPUTE_PGM_RSRC2:TGID_Y_EN: 0
; COMPUTE_PGM_RSRC2:TGID_Z_EN: 0
; COMPUTE_PGM_RSRC2:TIDIG_COMP_CNT: 0
; COMPUTE_PGM_RSRC3_GFX90A:ACCUM_OFFSET: 0
; COMPUTE_PGM_RSRC3_GFX90A:TG_SPLIT: 0
	.section	.text._ZN7rocprim17ROCPRIM_400000_NS6detail17trampoline_kernelINS0_14default_configENS1_38merge_sort_block_merge_config_selectorIfNS0_10empty_typeEEEZZNS1_27merge_sort_block_merge_implIS3_PfPS5_jNS1_19radix_merge_compareILb0ELb0EfNS0_19identity_decomposerEEEEE10hipError_tT0_T1_T2_jT3_P12ihipStream_tbPNSt15iterator_traitsISE_E10value_typeEPNSK_ISF_E10value_typeEPSG_NS1_7vsmem_tEENKUlT_SE_SF_SG_E_clIS8_S8_S9_S9_EESD_ST_SE_SF_SG_EUlST_E_NS1_11comp_targetILNS1_3genE10ELNS1_11target_archE1201ELNS1_3gpuE5ELNS1_3repE0EEENS1_48merge_mergepath_partition_config_static_selectorELNS0_4arch9wavefront6targetE1EEEvSF_,"axG",@progbits,_ZN7rocprim17ROCPRIM_400000_NS6detail17trampoline_kernelINS0_14default_configENS1_38merge_sort_block_merge_config_selectorIfNS0_10empty_typeEEEZZNS1_27merge_sort_block_merge_implIS3_PfPS5_jNS1_19radix_merge_compareILb0ELb0EfNS0_19identity_decomposerEEEEE10hipError_tT0_T1_T2_jT3_P12ihipStream_tbPNSt15iterator_traitsISE_E10value_typeEPNSK_ISF_E10value_typeEPSG_NS1_7vsmem_tEENKUlT_SE_SF_SG_E_clIS8_S8_S9_S9_EESD_ST_SE_SF_SG_EUlST_E_NS1_11comp_targetILNS1_3genE10ELNS1_11target_archE1201ELNS1_3gpuE5ELNS1_3repE0EEENS1_48merge_mergepath_partition_config_static_selectorELNS0_4arch9wavefront6targetE1EEEvSF_,comdat
	.protected	_ZN7rocprim17ROCPRIM_400000_NS6detail17trampoline_kernelINS0_14default_configENS1_38merge_sort_block_merge_config_selectorIfNS0_10empty_typeEEEZZNS1_27merge_sort_block_merge_implIS3_PfPS5_jNS1_19radix_merge_compareILb0ELb0EfNS0_19identity_decomposerEEEEE10hipError_tT0_T1_T2_jT3_P12ihipStream_tbPNSt15iterator_traitsISE_E10value_typeEPNSK_ISF_E10value_typeEPSG_NS1_7vsmem_tEENKUlT_SE_SF_SG_E_clIS8_S8_S9_S9_EESD_ST_SE_SF_SG_EUlST_E_NS1_11comp_targetILNS1_3genE10ELNS1_11target_archE1201ELNS1_3gpuE5ELNS1_3repE0EEENS1_48merge_mergepath_partition_config_static_selectorELNS0_4arch9wavefront6targetE1EEEvSF_ ; -- Begin function _ZN7rocprim17ROCPRIM_400000_NS6detail17trampoline_kernelINS0_14default_configENS1_38merge_sort_block_merge_config_selectorIfNS0_10empty_typeEEEZZNS1_27merge_sort_block_merge_implIS3_PfPS5_jNS1_19radix_merge_compareILb0ELb0EfNS0_19identity_decomposerEEEEE10hipError_tT0_T1_T2_jT3_P12ihipStream_tbPNSt15iterator_traitsISE_E10value_typeEPNSK_ISF_E10value_typeEPSG_NS1_7vsmem_tEENKUlT_SE_SF_SG_E_clIS8_S8_S9_S9_EESD_ST_SE_SF_SG_EUlST_E_NS1_11comp_targetILNS1_3genE10ELNS1_11target_archE1201ELNS1_3gpuE5ELNS1_3repE0EEENS1_48merge_mergepath_partition_config_static_selectorELNS0_4arch9wavefront6targetE1EEEvSF_
	.globl	_ZN7rocprim17ROCPRIM_400000_NS6detail17trampoline_kernelINS0_14default_configENS1_38merge_sort_block_merge_config_selectorIfNS0_10empty_typeEEEZZNS1_27merge_sort_block_merge_implIS3_PfPS5_jNS1_19radix_merge_compareILb0ELb0EfNS0_19identity_decomposerEEEEE10hipError_tT0_T1_T2_jT3_P12ihipStream_tbPNSt15iterator_traitsISE_E10value_typeEPNSK_ISF_E10value_typeEPSG_NS1_7vsmem_tEENKUlT_SE_SF_SG_E_clIS8_S8_S9_S9_EESD_ST_SE_SF_SG_EUlST_E_NS1_11comp_targetILNS1_3genE10ELNS1_11target_archE1201ELNS1_3gpuE5ELNS1_3repE0EEENS1_48merge_mergepath_partition_config_static_selectorELNS0_4arch9wavefront6targetE1EEEvSF_
	.p2align	8
	.type	_ZN7rocprim17ROCPRIM_400000_NS6detail17trampoline_kernelINS0_14default_configENS1_38merge_sort_block_merge_config_selectorIfNS0_10empty_typeEEEZZNS1_27merge_sort_block_merge_implIS3_PfPS5_jNS1_19radix_merge_compareILb0ELb0EfNS0_19identity_decomposerEEEEE10hipError_tT0_T1_T2_jT3_P12ihipStream_tbPNSt15iterator_traitsISE_E10value_typeEPNSK_ISF_E10value_typeEPSG_NS1_7vsmem_tEENKUlT_SE_SF_SG_E_clIS8_S8_S9_S9_EESD_ST_SE_SF_SG_EUlST_E_NS1_11comp_targetILNS1_3genE10ELNS1_11target_archE1201ELNS1_3gpuE5ELNS1_3repE0EEENS1_48merge_mergepath_partition_config_static_selectorELNS0_4arch9wavefront6targetE1EEEvSF_,@function
_ZN7rocprim17ROCPRIM_400000_NS6detail17trampoline_kernelINS0_14default_configENS1_38merge_sort_block_merge_config_selectorIfNS0_10empty_typeEEEZZNS1_27merge_sort_block_merge_implIS3_PfPS5_jNS1_19radix_merge_compareILb0ELb0EfNS0_19identity_decomposerEEEEE10hipError_tT0_T1_T2_jT3_P12ihipStream_tbPNSt15iterator_traitsISE_E10value_typeEPNSK_ISF_E10value_typeEPSG_NS1_7vsmem_tEENKUlT_SE_SF_SG_E_clIS8_S8_S9_S9_EESD_ST_SE_SF_SG_EUlST_E_NS1_11comp_targetILNS1_3genE10ELNS1_11target_archE1201ELNS1_3gpuE5ELNS1_3repE0EEENS1_48merge_mergepath_partition_config_static_selectorELNS0_4arch9wavefront6targetE1EEEvSF_: ; @_ZN7rocprim17ROCPRIM_400000_NS6detail17trampoline_kernelINS0_14default_configENS1_38merge_sort_block_merge_config_selectorIfNS0_10empty_typeEEEZZNS1_27merge_sort_block_merge_implIS3_PfPS5_jNS1_19radix_merge_compareILb0ELb0EfNS0_19identity_decomposerEEEEE10hipError_tT0_T1_T2_jT3_P12ihipStream_tbPNSt15iterator_traitsISE_E10value_typeEPNSK_ISF_E10value_typeEPSG_NS1_7vsmem_tEENKUlT_SE_SF_SG_E_clIS8_S8_S9_S9_EESD_ST_SE_SF_SG_EUlST_E_NS1_11comp_targetILNS1_3genE10ELNS1_11target_archE1201ELNS1_3gpuE5ELNS1_3repE0EEENS1_48merge_mergepath_partition_config_static_selectorELNS0_4arch9wavefront6targetE1EEEvSF_
; %bb.0:
	.section	.rodata,"a",@progbits
	.p2align	6, 0x0
	.amdhsa_kernel _ZN7rocprim17ROCPRIM_400000_NS6detail17trampoline_kernelINS0_14default_configENS1_38merge_sort_block_merge_config_selectorIfNS0_10empty_typeEEEZZNS1_27merge_sort_block_merge_implIS3_PfPS5_jNS1_19radix_merge_compareILb0ELb0EfNS0_19identity_decomposerEEEEE10hipError_tT0_T1_T2_jT3_P12ihipStream_tbPNSt15iterator_traitsISE_E10value_typeEPNSK_ISF_E10value_typeEPSG_NS1_7vsmem_tEENKUlT_SE_SF_SG_E_clIS8_S8_S9_S9_EESD_ST_SE_SF_SG_EUlST_E_NS1_11comp_targetILNS1_3genE10ELNS1_11target_archE1201ELNS1_3gpuE5ELNS1_3repE0EEENS1_48merge_mergepath_partition_config_static_selectorELNS0_4arch9wavefront6targetE1EEEvSF_
		.amdhsa_group_segment_fixed_size 0
		.amdhsa_private_segment_fixed_size 0
		.amdhsa_kernarg_size 40
		.amdhsa_user_sgpr_count 6
		.amdhsa_user_sgpr_private_segment_buffer 1
		.amdhsa_user_sgpr_dispatch_ptr 0
		.amdhsa_user_sgpr_queue_ptr 0
		.amdhsa_user_sgpr_kernarg_segment_ptr 1
		.amdhsa_user_sgpr_dispatch_id 0
		.amdhsa_user_sgpr_flat_scratch_init 0
		.amdhsa_user_sgpr_kernarg_preload_length 0
		.amdhsa_user_sgpr_kernarg_preload_offset 0
		.amdhsa_user_sgpr_private_segment_size 0
		.amdhsa_uses_dynamic_stack 0
		.amdhsa_system_sgpr_private_segment_wavefront_offset 0
		.amdhsa_system_sgpr_workgroup_id_x 1
		.amdhsa_system_sgpr_workgroup_id_y 0
		.amdhsa_system_sgpr_workgroup_id_z 0
		.amdhsa_system_sgpr_workgroup_info 0
		.amdhsa_system_vgpr_workitem_id 0
		.amdhsa_next_free_vgpr 1
		.amdhsa_next_free_sgpr 0
		.amdhsa_accum_offset 4
		.amdhsa_reserve_vcc 0
		.amdhsa_reserve_flat_scratch 0
		.amdhsa_float_round_mode_32 0
		.amdhsa_float_round_mode_16_64 0
		.amdhsa_float_denorm_mode_32 3
		.amdhsa_float_denorm_mode_16_64 3
		.amdhsa_dx10_clamp 1
		.amdhsa_ieee_mode 1
		.amdhsa_fp16_overflow 0
		.amdhsa_tg_split 0
		.amdhsa_exception_fp_ieee_invalid_op 0
		.amdhsa_exception_fp_denorm_src 0
		.amdhsa_exception_fp_ieee_div_zero 0
		.amdhsa_exception_fp_ieee_overflow 0
		.amdhsa_exception_fp_ieee_underflow 0
		.amdhsa_exception_fp_ieee_inexact 0
		.amdhsa_exception_int_div_zero 0
	.end_amdhsa_kernel
	.section	.text._ZN7rocprim17ROCPRIM_400000_NS6detail17trampoline_kernelINS0_14default_configENS1_38merge_sort_block_merge_config_selectorIfNS0_10empty_typeEEEZZNS1_27merge_sort_block_merge_implIS3_PfPS5_jNS1_19radix_merge_compareILb0ELb0EfNS0_19identity_decomposerEEEEE10hipError_tT0_T1_T2_jT3_P12ihipStream_tbPNSt15iterator_traitsISE_E10value_typeEPNSK_ISF_E10value_typeEPSG_NS1_7vsmem_tEENKUlT_SE_SF_SG_E_clIS8_S8_S9_S9_EESD_ST_SE_SF_SG_EUlST_E_NS1_11comp_targetILNS1_3genE10ELNS1_11target_archE1201ELNS1_3gpuE5ELNS1_3repE0EEENS1_48merge_mergepath_partition_config_static_selectorELNS0_4arch9wavefront6targetE1EEEvSF_,"axG",@progbits,_ZN7rocprim17ROCPRIM_400000_NS6detail17trampoline_kernelINS0_14default_configENS1_38merge_sort_block_merge_config_selectorIfNS0_10empty_typeEEEZZNS1_27merge_sort_block_merge_implIS3_PfPS5_jNS1_19radix_merge_compareILb0ELb0EfNS0_19identity_decomposerEEEEE10hipError_tT0_T1_T2_jT3_P12ihipStream_tbPNSt15iterator_traitsISE_E10value_typeEPNSK_ISF_E10value_typeEPSG_NS1_7vsmem_tEENKUlT_SE_SF_SG_E_clIS8_S8_S9_S9_EESD_ST_SE_SF_SG_EUlST_E_NS1_11comp_targetILNS1_3genE10ELNS1_11target_archE1201ELNS1_3gpuE5ELNS1_3repE0EEENS1_48merge_mergepath_partition_config_static_selectorELNS0_4arch9wavefront6targetE1EEEvSF_,comdat
.Lfunc_end1237:
	.size	_ZN7rocprim17ROCPRIM_400000_NS6detail17trampoline_kernelINS0_14default_configENS1_38merge_sort_block_merge_config_selectorIfNS0_10empty_typeEEEZZNS1_27merge_sort_block_merge_implIS3_PfPS5_jNS1_19radix_merge_compareILb0ELb0EfNS0_19identity_decomposerEEEEE10hipError_tT0_T1_T2_jT3_P12ihipStream_tbPNSt15iterator_traitsISE_E10value_typeEPNSK_ISF_E10value_typeEPSG_NS1_7vsmem_tEENKUlT_SE_SF_SG_E_clIS8_S8_S9_S9_EESD_ST_SE_SF_SG_EUlST_E_NS1_11comp_targetILNS1_3genE10ELNS1_11target_archE1201ELNS1_3gpuE5ELNS1_3repE0EEENS1_48merge_mergepath_partition_config_static_selectorELNS0_4arch9wavefront6targetE1EEEvSF_, .Lfunc_end1237-_ZN7rocprim17ROCPRIM_400000_NS6detail17trampoline_kernelINS0_14default_configENS1_38merge_sort_block_merge_config_selectorIfNS0_10empty_typeEEEZZNS1_27merge_sort_block_merge_implIS3_PfPS5_jNS1_19radix_merge_compareILb0ELb0EfNS0_19identity_decomposerEEEEE10hipError_tT0_T1_T2_jT3_P12ihipStream_tbPNSt15iterator_traitsISE_E10value_typeEPNSK_ISF_E10value_typeEPSG_NS1_7vsmem_tEENKUlT_SE_SF_SG_E_clIS8_S8_S9_S9_EESD_ST_SE_SF_SG_EUlST_E_NS1_11comp_targetILNS1_3genE10ELNS1_11target_archE1201ELNS1_3gpuE5ELNS1_3repE0EEENS1_48merge_mergepath_partition_config_static_selectorELNS0_4arch9wavefront6targetE1EEEvSF_
                                        ; -- End function
	.section	.AMDGPU.csdata,"",@progbits
; Kernel info:
; codeLenInByte = 0
; NumSgprs: 4
; NumVgprs: 0
; NumAgprs: 0
; TotalNumVgprs: 0
; ScratchSize: 0
; MemoryBound: 0
; FloatMode: 240
; IeeeMode: 1
; LDSByteSize: 0 bytes/workgroup (compile time only)
; SGPRBlocks: 0
; VGPRBlocks: 0
; NumSGPRsForWavesPerEU: 4
; NumVGPRsForWavesPerEU: 1
; AccumOffset: 4
; Occupancy: 8
; WaveLimiterHint : 0
; COMPUTE_PGM_RSRC2:SCRATCH_EN: 0
; COMPUTE_PGM_RSRC2:USER_SGPR: 6
; COMPUTE_PGM_RSRC2:TRAP_HANDLER: 0
; COMPUTE_PGM_RSRC2:TGID_X_EN: 1
; COMPUTE_PGM_RSRC2:TGID_Y_EN: 0
; COMPUTE_PGM_RSRC2:TGID_Z_EN: 0
; COMPUTE_PGM_RSRC2:TIDIG_COMP_CNT: 0
; COMPUTE_PGM_RSRC3_GFX90A:ACCUM_OFFSET: 0
; COMPUTE_PGM_RSRC3_GFX90A:TG_SPLIT: 0
	.section	.text._ZN7rocprim17ROCPRIM_400000_NS6detail17trampoline_kernelINS0_14default_configENS1_38merge_sort_block_merge_config_selectorIfNS0_10empty_typeEEEZZNS1_27merge_sort_block_merge_implIS3_PfPS5_jNS1_19radix_merge_compareILb0ELb0EfNS0_19identity_decomposerEEEEE10hipError_tT0_T1_T2_jT3_P12ihipStream_tbPNSt15iterator_traitsISE_E10value_typeEPNSK_ISF_E10value_typeEPSG_NS1_7vsmem_tEENKUlT_SE_SF_SG_E_clIS8_S8_S9_S9_EESD_ST_SE_SF_SG_EUlST_E_NS1_11comp_targetILNS1_3genE5ELNS1_11target_archE942ELNS1_3gpuE9ELNS1_3repE0EEENS1_48merge_mergepath_partition_config_static_selectorELNS0_4arch9wavefront6targetE1EEEvSF_,"axG",@progbits,_ZN7rocprim17ROCPRIM_400000_NS6detail17trampoline_kernelINS0_14default_configENS1_38merge_sort_block_merge_config_selectorIfNS0_10empty_typeEEEZZNS1_27merge_sort_block_merge_implIS3_PfPS5_jNS1_19radix_merge_compareILb0ELb0EfNS0_19identity_decomposerEEEEE10hipError_tT0_T1_T2_jT3_P12ihipStream_tbPNSt15iterator_traitsISE_E10value_typeEPNSK_ISF_E10value_typeEPSG_NS1_7vsmem_tEENKUlT_SE_SF_SG_E_clIS8_S8_S9_S9_EESD_ST_SE_SF_SG_EUlST_E_NS1_11comp_targetILNS1_3genE5ELNS1_11target_archE942ELNS1_3gpuE9ELNS1_3repE0EEENS1_48merge_mergepath_partition_config_static_selectorELNS0_4arch9wavefront6targetE1EEEvSF_,comdat
	.protected	_ZN7rocprim17ROCPRIM_400000_NS6detail17trampoline_kernelINS0_14default_configENS1_38merge_sort_block_merge_config_selectorIfNS0_10empty_typeEEEZZNS1_27merge_sort_block_merge_implIS3_PfPS5_jNS1_19radix_merge_compareILb0ELb0EfNS0_19identity_decomposerEEEEE10hipError_tT0_T1_T2_jT3_P12ihipStream_tbPNSt15iterator_traitsISE_E10value_typeEPNSK_ISF_E10value_typeEPSG_NS1_7vsmem_tEENKUlT_SE_SF_SG_E_clIS8_S8_S9_S9_EESD_ST_SE_SF_SG_EUlST_E_NS1_11comp_targetILNS1_3genE5ELNS1_11target_archE942ELNS1_3gpuE9ELNS1_3repE0EEENS1_48merge_mergepath_partition_config_static_selectorELNS0_4arch9wavefront6targetE1EEEvSF_ ; -- Begin function _ZN7rocprim17ROCPRIM_400000_NS6detail17trampoline_kernelINS0_14default_configENS1_38merge_sort_block_merge_config_selectorIfNS0_10empty_typeEEEZZNS1_27merge_sort_block_merge_implIS3_PfPS5_jNS1_19radix_merge_compareILb0ELb0EfNS0_19identity_decomposerEEEEE10hipError_tT0_T1_T2_jT3_P12ihipStream_tbPNSt15iterator_traitsISE_E10value_typeEPNSK_ISF_E10value_typeEPSG_NS1_7vsmem_tEENKUlT_SE_SF_SG_E_clIS8_S8_S9_S9_EESD_ST_SE_SF_SG_EUlST_E_NS1_11comp_targetILNS1_3genE5ELNS1_11target_archE942ELNS1_3gpuE9ELNS1_3repE0EEENS1_48merge_mergepath_partition_config_static_selectorELNS0_4arch9wavefront6targetE1EEEvSF_
	.globl	_ZN7rocprim17ROCPRIM_400000_NS6detail17trampoline_kernelINS0_14default_configENS1_38merge_sort_block_merge_config_selectorIfNS0_10empty_typeEEEZZNS1_27merge_sort_block_merge_implIS3_PfPS5_jNS1_19radix_merge_compareILb0ELb0EfNS0_19identity_decomposerEEEEE10hipError_tT0_T1_T2_jT3_P12ihipStream_tbPNSt15iterator_traitsISE_E10value_typeEPNSK_ISF_E10value_typeEPSG_NS1_7vsmem_tEENKUlT_SE_SF_SG_E_clIS8_S8_S9_S9_EESD_ST_SE_SF_SG_EUlST_E_NS1_11comp_targetILNS1_3genE5ELNS1_11target_archE942ELNS1_3gpuE9ELNS1_3repE0EEENS1_48merge_mergepath_partition_config_static_selectorELNS0_4arch9wavefront6targetE1EEEvSF_
	.p2align	8
	.type	_ZN7rocprim17ROCPRIM_400000_NS6detail17trampoline_kernelINS0_14default_configENS1_38merge_sort_block_merge_config_selectorIfNS0_10empty_typeEEEZZNS1_27merge_sort_block_merge_implIS3_PfPS5_jNS1_19radix_merge_compareILb0ELb0EfNS0_19identity_decomposerEEEEE10hipError_tT0_T1_T2_jT3_P12ihipStream_tbPNSt15iterator_traitsISE_E10value_typeEPNSK_ISF_E10value_typeEPSG_NS1_7vsmem_tEENKUlT_SE_SF_SG_E_clIS8_S8_S9_S9_EESD_ST_SE_SF_SG_EUlST_E_NS1_11comp_targetILNS1_3genE5ELNS1_11target_archE942ELNS1_3gpuE9ELNS1_3repE0EEENS1_48merge_mergepath_partition_config_static_selectorELNS0_4arch9wavefront6targetE1EEEvSF_,@function
_ZN7rocprim17ROCPRIM_400000_NS6detail17trampoline_kernelINS0_14default_configENS1_38merge_sort_block_merge_config_selectorIfNS0_10empty_typeEEEZZNS1_27merge_sort_block_merge_implIS3_PfPS5_jNS1_19radix_merge_compareILb0ELb0EfNS0_19identity_decomposerEEEEE10hipError_tT0_T1_T2_jT3_P12ihipStream_tbPNSt15iterator_traitsISE_E10value_typeEPNSK_ISF_E10value_typeEPSG_NS1_7vsmem_tEENKUlT_SE_SF_SG_E_clIS8_S8_S9_S9_EESD_ST_SE_SF_SG_EUlST_E_NS1_11comp_targetILNS1_3genE5ELNS1_11target_archE942ELNS1_3gpuE9ELNS1_3repE0EEENS1_48merge_mergepath_partition_config_static_selectorELNS0_4arch9wavefront6targetE1EEEvSF_: ; @_ZN7rocprim17ROCPRIM_400000_NS6detail17trampoline_kernelINS0_14default_configENS1_38merge_sort_block_merge_config_selectorIfNS0_10empty_typeEEEZZNS1_27merge_sort_block_merge_implIS3_PfPS5_jNS1_19radix_merge_compareILb0ELb0EfNS0_19identity_decomposerEEEEE10hipError_tT0_T1_T2_jT3_P12ihipStream_tbPNSt15iterator_traitsISE_E10value_typeEPNSK_ISF_E10value_typeEPSG_NS1_7vsmem_tEENKUlT_SE_SF_SG_E_clIS8_S8_S9_S9_EESD_ST_SE_SF_SG_EUlST_E_NS1_11comp_targetILNS1_3genE5ELNS1_11target_archE942ELNS1_3gpuE9ELNS1_3repE0EEENS1_48merge_mergepath_partition_config_static_selectorELNS0_4arch9wavefront6targetE1EEEvSF_
; %bb.0:
	.section	.rodata,"a",@progbits
	.p2align	6, 0x0
	.amdhsa_kernel _ZN7rocprim17ROCPRIM_400000_NS6detail17trampoline_kernelINS0_14default_configENS1_38merge_sort_block_merge_config_selectorIfNS0_10empty_typeEEEZZNS1_27merge_sort_block_merge_implIS3_PfPS5_jNS1_19radix_merge_compareILb0ELb0EfNS0_19identity_decomposerEEEEE10hipError_tT0_T1_T2_jT3_P12ihipStream_tbPNSt15iterator_traitsISE_E10value_typeEPNSK_ISF_E10value_typeEPSG_NS1_7vsmem_tEENKUlT_SE_SF_SG_E_clIS8_S8_S9_S9_EESD_ST_SE_SF_SG_EUlST_E_NS1_11comp_targetILNS1_3genE5ELNS1_11target_archE942ELNS1_3gpuE9ELNS1_3repE0EEENS1_48merge_mergepath_partition_config_static_selectorELNS0_4arch9wavefront6targetE1EEEvSF_
		.amdhsa_group_segment_fixed_size 0
		.amdhsa_private_segment_fixed_size 0
		.amdhsa_kernarg_size 40
		.amdhsa_user_sgpr_count 6
		.amdhsa_user_sgpr_private_segment_buffer 1
		.amdhsa_user_sgpr_dispatch_ptr 0
		.amdhsa_user_sgpr_queue_ptr 0
		.amdhsa_user_sgpr_kernarg_segment_ptr 1
		.amdhsa_user_sgpr_dispatch_id 0
		.amdhsa_user_sgpr_flat_scratch_init 0
		.amdhsa_user_sgpr_kernarg_preload_length 0
		.amdhsa_user_sgpr_kernarg_preload_offset 0
		.amdhsa_user_sgpr_private_segment_size 0
		.amdhsa_uses_dynamic_stack 0
		.amdhsa_system_sgpr_private_segment_wavefront_offset 0
		.amdhsa_system_sgpr_workgroup_id_x 1
		.amdhsa_system_sgpr_workgroup_id_y 0
		.amdhsa_system_sgpr_workgroup_id_z 0
		.amdhsa_system_sgpr_workgroup_info 0
		.amdhsa_system_vgpr_workitem_id 0
		.amdhsa_next_free_vgpr 1
		.amdhsa_next_free_sgpr 0
		.amdhsa_accum_offset 4
		.amdhsa_reserve_vcc 0
		.amdhsa_reserve_flat_scratch 0
		.amdhsa_float_round_mode_32 0
		.amdhsa_float_round_mode_16_64 0
		.amdhsa_float_denorm_mode_32 3
		.amdhsa_float_denorm_mode_16_64 3
		.amdhsa_dx10_clamp 1
		.amdhsa_ieee_mode 1
		.amdhsa_fp16_overflow 0
		.amdhsa_tg_split 0
		.amdhsa_exception_fp_ieee_invalid_op 0
		.amdhsa_exception_fp_denorm_src 0
		.amdhsa_exception_fp_ieee_div_zero 0
		.amdhsa_exception_fp_ieee_overflow 0
		.amdhsa_exception_fp_ieee_underflow 0
		.amdhsa_exception_fp_ieee_inexact 0
		.amdhsa_exception_int_div_zero 0
	.end_amdhsa_kernel
	.section	.text._ZN7rocprim17ROCPRIM_400000_NS6detail17trampoline_kernelINS0_14default_configENS1_38merge_sort_block_merge_config_selectorIfNS0_10empty_typeEEEZZNS1_27merge_sort_block_merge_implIS3_PfPS5_jNS1_19radix_merge_compareILb0ELb0EfNS0_19identity_decomposerEEEEE10hipError_tT0_T1_T2_jT3_P12ihipStream_tbPNSt15iterator_traitsISE_E10value_typeEPNSK_ISF_E10value_typeEPSG_NS1_7vsmem_tEENKUlT_SE_SF_SG_E_clIS8_S8_S9_S9_EESD_ST_SE_SF_SG_EUlST_E_NS1_11comp_targetILNS1_3genE5ELNS1_11target_archE942ELNS1_3gpuE9ELNS1_3repE0EEENS1_48merge_mergepath_partition_config_static_selectorELNS0_4arch9wavefront6targetE1EEEvSF_,"axG",@progbits,_ZN7rocprim17ROCPRIM_400000_NS6detail17trampoline_kernelINS0_14default_configENS1_38merge_sort_block_merge_config_selectorIfNS0_10empty_typeEEEZZNS1_27merge_sort_block_merge_implIS3_PfPS5_jNS1_19radix_merge_compareILb0ELb0EfNS0_19identity_decomposerEEEEE10hipError_tT0_T1_T2_jT3_P12ihipStream_tbPNSt15iterator_traitsISE_E10value_typeEPNSK_ISF_E10value_typeEPSG_NS1_7vsmem_tEENKUlT_SE_SF_SG_E_clIS8_S8_S9_S9_EESD_ST_SE_SF_SG_EUlST_E_NS1_11comp_targetILNS1_3genE5ELNS1_11target_archE942ELNS1_3gpuE9ELNS1_3repE0EEENS1_48merge_mergepath_partition_config_static_selectorELNS0_4arch9wavefront6targetE1EEEvSF_,comdat
.Lfunc_end1238:
	.size	_ZN7rocprim17ROCPRIM_400000_NS6detail17trampoline_kernelINS0_14default_configENS1_38merge_sort_block_merge_config_selectorIfNS0_10empty_typeEEEZZNS1_27merge_sort_block_merge_implIS3_PfPS5_jNS1_19radix_merge_compareILb0ELb0EfNS0_19identity_decomposerEEEEE10hipError_tT0_T1_T2_jT3_P12ihipStream_tbPNSt15iterator_traitsISE_E10value_typeEPNSK_ISF_E10value_typeEPSG_NS1_7vsmem_tEENKUlT_SE_SF_SG_E_clIS8_S8_S9_S9_EESD_ST_SE_SF_SG_EUlST_E_NS1_11comp_targetILNS1_3genE5ELNS1_11target_archE942ELNS1_3gpuE9ELNS1_3repE0EEENS1_48merge_mergepath_partition_config_static_selectorELNS0_4arch9wavefront6targetE1EEEvSF_, .Lfunc_end1238-_ZN7rocprim17ROCPRIM_400000_NS6detail17trampoline_kernelINS0_14default_configENS1_38merge_sort_block_merge_config_selectorIfNS0_10empty_typeEEEZZNS1_27merge_sort_block_merge_implIS3_PfPS5_jNS1_19radix_merge_compareILb0ELb0EfNS0_19identity_decomposerEEEEE10hipError_tT0_T1_T2_jT3_P12ihipStream_tbPNSt15iterator_traitsISE_E10value_typeEPNSK_ISF_E10value_typeEPSG_NS1_7vsmem_tEENKUlT_SE_SF_SG_E_clIS8_S8_S9_S9_EESD_ST_SE_SF_SG_EUlST_E_NS1_11comp_targetILNS1_3genE5ELNS1_11target_archE942ELNS1_3gpuE9ELNS1_3repE0EEENS1_48merge_mergepath_partition_config_static_selectorELNS0_4arch9wavefront6targetE1EEEvSF_
                                        ; -- End function
	.section	.AMDGPU.csdata,"",@progbits
; Kernel info:
; codeLenInByte = 0
; NumSgprs: 4
; NumVgprs: 0
; NumAgprs: 0
; TotalNumVgprs: 0
; ScratchSize: 0
; MemoryBound: 0
; FloatMode: 240
; IeeeMode: 1
; LDSByteSize: 0 bytes/workgroup (compile time only)
; SGPRBlocks: 0
; VGPRBlocks: 0
; NumSGPRsForWavesPerEU: 4
; NumVGPRsForWavesPerEU: 1
; AccumOffset: 4
; Occupancy: 8
; WaveLimiterHint : 0
; COMPUTE_PGM_RSRC2:SCRATCH_EN: 0
; COMPUTE_PGM_RSRC2:USER_SGPR: 6
; COMPUTE_PGM_RSRC2:TRAP_HANDLER: 0
; COMPUTE_PGM_RSRC2:TGID_X_EN: 1
; COMPUTE_PGM_RSRC2:TGID_Y_EN: 0
; COMPUTE_PGM_RSRC2:TGID_Z_EN: 0
; COMPUTE_PGM_RSRC2:TIDIG_COMP_CNT: 0
; COMPUTE_PGM_RSRC3_GFX90A:ACCUM_OFFSET: 0
; COMPUTE_PGM_RSRC3_GFX90A:TG_SPLIT: 0
	.section	.text._ZN7rocprim17ROCPRIM_400000_NS6detail17trampoline_kernelINS0_14default_configENS1_38merge_sort_block_merge_config_selectorIfNS0_10empty_typeEEEZZNS1_27merge_sort_block_merge_implIS3_PfPS5_jNS1_19radix_merge_compareILb0ELb0EfNS0_19identity_decomposerEEEEE10hipError_tT0_T1_T2_jT3_P12ihipStream_tbPNSt15iterator_traitsISE_E10value_typeEPNSK_ISF_E10value_typeEPSG_NS1_7vsmem_tEENKUlT_SE_SF_SG_E_clIS8_S8_S9_S9_EESD_ST_SE_SF_SG_EUlST_E_NS1_11comp_targetILNS1_3genE4ELNS1_11target_archE910ELNS1_3gpuE8ELNS1_3repE0EEENS1_48merge_mergepath_partition_config_static_selectorELNS0_4arch9wavefront6targetE1EEEvSF_,"axG",@progbits,_ZN7rocprim17ROCPRIM_400000_NS6detail17trampoline_kernelINS0_14default_configENS1_38merge_sort_block_merge_config_selectorIfNS0_10empty_typeEEEZZNS1_27merge_sort_block_merge_implIS3_PfPS5_jNS1_19radix_merge_compareILb0ELb0EfNS0_19identity_decomposerEEEEE10hipError_tT0_T1_T2_jT3_P12ihipStream_tbPNSt15iterator_traitsISE_E10value_typeEPNSK_ISF_E10value_typeEPSG_NS1_7vsmem_tEENKUlT_SE_SF_SG_E_clIS8_S8_S9_S9_EESD_ST_SE_SF_SG_EUlST_E_NS1_11comp_targetILNS1_3genE4ELNS1_11target_archE910ELNS1_3gpuE8ELNS1_3repE0EEENS1_48merge_mergepath_partition_config_static_selectorELNS0_4arch9wavefront6targetE1EEEvSF_,comdat
	.protected	_ZN7rocprim17ROCPRIM_400000_NS6detail17trampoline_kernelINS0_14default_configENS1_38merge_sort_block_merge_config_selectorIfNS0_10empty_typeEEEZZNS1_27merge_sort_block_merge_implIS3_PfPS5_jNS1_19radix_merge_compareILb0ELb0EfNS0_19identity_decomposerEEEEE10hipError_tT0_T1_T2_jT3_P12ihipStream_tbPNSt15iterator_traitsISE_E10value_typeEPNSK_ISF_E10value_typeEPSG_NS1_7vsmem_tEENKUlT_SE_SF_SG_E_clIS8_S8_S9_S9_EESD_ST_SE_SF_SG_EUlST_E_NS1_11comp_targetILNS1_3genE4ELNS1_11target_archE910ELNS1_3gpuE8ELNS1_3repE0EEENS1_48merge_mergepath_partition_config_static_selectorELNS0_4arch9wavefront6targetE1EEEvSF_ ; -- Begin function _ZN7rocprim17ROCPRIM_400000_NS6detail17trampoline_kernelINS0_14default_configENS1_38merge_sort_block_merge_config_selectorIfNS0_10empty_typeEEEZZNS1_27merge_sort_block_merge_implIS3_PfPS5_jNS1_19radix_merge_compareILb0ELb0EfNS0_19identity_decomposerEEEEE10hipError_tT0_T1_T2_jT3_P12ihipStream_tbPNSt15iterator_traitsISE_E10value_typeEPNSK_ISF_E10value_typeEPSG_NS1_7vsmem_tEENKUlT_SE_SF_SG_E_clIS8_S8_S9_S9_EESD_ST_SE_SF_SG_EUlST_E_NS1_11comp_targetILNS1_3genE4ELNS1_11target_archE910ELNS1_3gpuE8ELNS1_3repE0EEENS1_48merge_mergepath_partition_config_static_selectorELNS0_4arch9wavefront6targetE1EEEvSF_
	.globl	_ZN7rocprim17ROCPRIM_400000_NS6detail17trampoline_kernelINS0_14default_configENS1_38merge_sort_block_merge_config_selectorIfNS0_10empty_typeEEEZZNS1_27merge_sort_block_merge_implIS3_PfPS5_jNS1_19radix_merge_compareILb0ELb0EfNS0_19identity_decomposerEEEEE10hipError_tT0_T1_T2_jT3_P12ihipStream_tbPNSt15iterator_traitsISE_E10value_typeEPNSK_ISF_E10value_typeEPSG_NS1_7vsmem_tEENKUlT_SE_SF_SG_E_clIS8_S8_S9_S9_EESD_ST_SE_SF_SG_EUlST_E_NS1_11comp_targetILNS1_3genE4ELNS1_11target_archE910ELNS1_3gpuE8ELNS1_3repE0EEENS1_48merge_mergepath_partition_config_static_selectorELNS0_4arch9wavefront6targetE1EEEvSF_
	.p2align	8
	.type	_ZN7rocprim17ROCPRIM_400000_NS6detail17trampoline_kernelINS0_14default_configENS1_38merge_sort_block_merge_config_selectorIfNS0_10empty_typeEEEZZNS1_27merge_sort_block_merge_implIS3_PfPS5_jNS1_19radix_merge_compareILb0ELb0EfNS0_19identity_decomposerEEEEE10hipError_tT0_T1_T2_jT3_P12ihipStream_tbPNSt15iterator_traitsISE_E10value_typeEPNSK_ISF_E10value_typeEPSG_NS1_7vsmem_tEENKUlT_SE_SF_SG_E_clIS8_S8_S9_S9_EESD_ST_SE_SF_SG_EUlST_E_NS1_11comp_targetILNS1_3genE4ELNS1_11target_archE910ELNS1_3gpuE8ELNS1_3repE0EEENS1_48merge_mergepath_partition_config_static_selectorELNS0_4arch9wavefront6targetE1EEEvSF_,@function
_ZN7rocprim17ROCPRIM_400000_NS6detail17trampoline_kernelINS0_14default_configENS1_38merge_sort_block_merge_config_selectorIfNS0_10empty_typeEEEZZNS1_27merge_sort_block_merge_implIS3_PfPS5_jNS1_19radix_merge_compareILb0ELb0EfNS0_19identity_decomposerEEEEE10hipError_tT0_T1_T2_jT3_P12ihipStream_tbPNSt15iterator_traitsISE_E10value_typeEPNSK_ISF_E10value_typeEPSG_NS1_7vsmem_tEENKUlT_SE_SF_SG_E_clIS8_S8_S9_S9_EESD_ST_SE_SF_SG_EUlST_E_NS1_11comp_targetILNS1_3genE4ELNS1_11target_archE910ELNS1_3gpuE8ELNS1_3repE0EEENS1_48merge_mergepath_partition_config_static_selectorELNS0_4arch9wavefront6targetE1EEEvSF_: ; @_ZN7rocprim17ROCPRIM_400000_NS6detail17trampoline_kernelINS0_14default_configENS1_38merge_sort_block_merge_config_selectorIfNS0_10empty_typeEEEZZNS1_27merge_sort_block_merge_implIS3_PfPS5_jNS1_19radix_merge_compareILb0ELb0EfNS0_19identity_decomposerEEEEE10hipError_tT0_T1_T2_jT3_P12ihipStream_tbPNSt15iterator_traitsISE_E10value_typeEPNSK_ISF_E10value_typeEPSG_NS1_7vsmem_tEENKUlT_SE_SF_SG_E_clIS8_S8_S9_S9_EESD_ST_SE_SF_SG_EUlST_E_NS1_11comp_targetILNS1_3genE4ELNS1_11target_archE910ELNS1_3gpuE8ELNS1_3repE0EEENS1_48merge_mergepath_partition_config_static_selectorELNS0_4arch9wavefront6targetE1EEEvSF_
; %bb.0:
	s_load_dword s0, s[4:5], 0x0
	v_lshl_or_b32 v0, s6, 7, v0
	s_waitcnt lgkmcnt(0)
	v_cmp_gt_u32_e32 vcc, s0, v0
	s_and_saveexec_b64 s[0:1], vcc
	s_cbranch_execz .LBB1239_6
; %bb.1:
	s_load_dwordx2 s[2:3], s[4:5], 0x4
	s_load_dwordx2 s[0:1], s[4:5], 0x20
	s_waitcnt lgkmcnt(0)
	s_lshr_b32 s6, s2, 9
	s_and_b32 s6, s6, 0x7ffffe
	s_add_i32 s7, s6, -1
	s_sub_i32 s6, 0, s6
	v_and_b32_e32 v1, s6, v0
	v_lshlrev_b32_e32 v1, 10, v1
	v_min_u32_e32 v2, s3, v1
	v_add_u32_e32 v1, s2, v1
	v_min_u32_e32 v4, s3, v1
	v_add_u32_e32 v1, s2, v4
	v_and_b32_e32 v3, s7, v0
	v_min_u32_e32 v1, s3, v1
	v_sub_u32_e32 v5, v1, v2
	v_lshlrev_b32_e32 v3, 10, v3
	v_min_u32_e32 v6, v5, v3
	v_sub_u32_e32 v3, v4, v2
	v_sub_u32_e32 v1, v1, v4
	v_sub_u32_e64 v1, v6, v1 clamp
	v_min_u32_e32 v7, v6, v3
	v_cmp_lt_u32_e32 vcc, v1, v7
	s_and_saveexec_b64 s[2:3], vcc
	s_cbranch_execz .LBB1239_5
; %bb.2:
	s_load_dwordx2 s[4:5], s[4:5], 0x10
	v_mov_b32_e32 v5, 0
	v_mov_b32_e32 v3, v5
	v_lshlrev_b64 v[8:9], 2, v[2:3]
	v_lshlrev_b64 v[10:11], 2, v[4:5]
	s_waitcnt lgkmcnt(0)
	v_mov_b32_e32 v12, s5
	v_add_co_u32_e32 v3, vcc, s4, v8
	v_addc_co_u32_e32 v8, vcc, v12, v9, vcc
	v_add_co_u32_e32 v9, vcc, s4, v10
	v_addc_co_u32_e32 v10, vcc, v12, v11, vcc
	s_mov_b64 s[4:5], 0
.LBB1239_3:                             ; =>This Inner Loop Header: Depth=1
	v_add_u32_e32 v4, v7, v1
	v_lshrrev_b32_e32 v4, 1, v4
	v_lshlrev_b64 v[14:15], 2, v[4:5]
	v_mov_b32_e32 v13, v5
	v_xad_u32 v12, v4, -1, v6
	v_add_co_u32_e32 v14, vcc, v3, v14
	v_addc_co_u32_e32 v15, vcc, v8, v15, vcc
	v_lshlrev_b64 v[12:13], 2, v[12:13]
	v_add_co_u32_e32 v12, vcc, v9, v12
	v_addc_co_u32_e32 v13, vcc, v10, v13, vcc
	global_load_dword v16, v[14:15], off
	global_load_dword v17, v[12:13], off
	v_add_u32_e32 v11, 1, v4
	s_waitcnt vmcnt(0)
	v_pk_add_f32 v[12:13], v[16:17], 0 op_sel_hi:[1,0]
	v_ashrrev_i32_e32 v14, 31, v13
	v_ashrrev_i32_e32 v15, 31, v12
	v_or_b32_e32 v15, 0x80000000, v15
	v_or_b32_e32 v14, 0x80000000, v14
	v_xor_b32_e32 v13, v14, v13
	v_xor_b32_e32 v12, v15, v12
	v_cmp_gt_u32_e32 vcc, v12, v13
	v_cndmask_b32_e32 v7, v7, v4, vcc
	v_cndmask_b32_e32 v1, v11, v1, vcc
	v_cmp_ge_u32_e32 vcc, v1, v7
	s_or_b64 s[4:5], vcc, s[4:5]
	s_andn2_b64 exec, exec, s[4:5]
	s_cbranch_execnz .LBB1239_3
; %bb.4:
	s_or_b64 exec, exec, s[4:5]
.LBB1239_5:
	s_or_b64 exec, exec, s[2:3]
	v_add_u32_e32 v2, v1, v2
	v_mov_b32_e32 v1, 0
	v_lshlrev_b64 v[0:1], 2, v[0:1]
	v_mov_b32_e32 v3, s1
	v_add_co_u32_e32 v0, vcc, s0, v0
	v_addc_co_u32_e32 v1, vcc, v3, v1, vcc
	global_store_dword v[0:1], v2, off
.LBB1239_6:
	s_endpgm
	.section	.rodata,"a",@progbits
	.p2align	6, 0x0
	.amdhsa_kernel _ZN7rocprim17ROCPRIM_400000_NS6detail17trampoline_kernelINS0_14default_configENS1_38merge_sort_block_merge_config_selectorIfNS0_10empty_typeEEEZZNS1_27merge_sort_block_merge_implIS3_PfPS5_jNS1_19radix_merge_compareILb0ELb0EfNS0_19identity_decomposerEEEEE10hipError_tT0_T1_T2_jT3_P12ihipStream_tbPNSt15iterator_traitsISE_E10value_typeEPNSK_ISF_E10value_typeEPSG_NS1_7vsmem_tEENKUlT_SE_SF_SG_E_clIS8_S8_S9_S9_EESD_ST_SE_SF_SG_EUlST_E_NS1_11comp_targetILNS1_3genE4ELNS1_11target_archE910ELNS1_3gpuE8ELNS1_3repE0EEENS1_48merge_mergepath_partition_config_static_selectorELNS0_4arch9wavefront6targetE1EEEvSF_
		.amdhsa_group_segment_fixed_size 0
		.amdhsa_private_segment_fixed_size 0
		.amdhsa_kernarg_size 40
		.amdhsa_user_sgpr_count 6
		.amdhsa_user_sgpr_private_segment_buffer 1
		.amdhsa_user_sgpr_dispatch_ptr 0
		.amdhsa_user_sgpr_queue_ptr 0
		.amdhsa_user_sgpr_kernarg_segment_ptr 1
		.amdhsa_user_sgpr_dispatch_id 0
		.amdhsa_user_sgpr_flat_scratch_init 0
		.amdhsa_user_sgpr_kernarg_preload_length 0
		.amdhsa_user_sgpr_kernarg_preload_offset 0
		.amdhsa_user_sgpr_private_segment_size 0
		.amdhsa_uses_dynamic_stack 0
		.amdhsa_system_sgpr_private_segment_wavefront_offset 0
		.amdhsa_system_sgpr_workgroup_id_x 1
		.amdhsa_system_sgpr_workgroup_id_y 0
		.amdhsa_system_sgpr_workgroup_id_z 0
		.amdhsa_system_sgpr_workgroup_info 0
		.amdhsa_system_vgpr_workitem_id 0
		.amdhsa_next_free_vgpr 18
		.amdhsa_next_free_sgpr 8
		.amdhsa_accum_offset 20
		.amdhsa_reserve_vcc 1
		.amdhsa_reserve_flat_scratch 0
		.amdhsa_float_round_mode_32 0
		.amdhsa_float_round_mode_16_64 0
		.amdhsa_float_denorm_mode_32 3
		.amdhsa_float_denorm_mode_16_64 3
		.amdhsa_dx10_clamp 1
		.amdhsa_ieee_mode 1
		.amdhsa_fp16_overflow 0
		.amdhsa_tg_split 0
		.amdhsa_exception_fp_ieee_invalid_op 0
		.amdhsa_exception_fp_denorm_src 0
		.amdhsa_exception_fp_ieee_div_zero 0
		.amdhsa_exception_fp_ieee_overflow 0
		.amdhsa_exception_fp_ieee_underflow 0
		.amdhsa_exception_fp_ieee_inexact 0
		.amdhsa_exception_int_div_zero 0
	.end_amdhsa_kernel
	.section	.text._ZN7rocprim17ROCPRIM_400000_NS6detail17trampoline_kernelINS0_14default_configENS1_38merge_sort_block_merge_config_selectorIfNS0_10empty_typeEEEZZNS1_27merge_sort_block_merge_implIS3_PfPS5_jNS1_19radix_merge_compareILb0ELb0EfNS0_19identity_decomposerEEEEE10hipError_tT0_T1_T2_jT3_P12ihipStream_tbPNSt15iterator_traitsISE_E10value_typeEPNSK_ISF_E10value_typeEPSG_NS1_7vsmem_tEENKUlT_SE_SF_SG_E_clIS8_S8_S9_S9_EESD_ST_SE_SF_SG_EUlST_E_NS1_11comp_targetILNS1_3genE4ELNS1_11target_archE910ELNS1_3gpuE8ELNS1_3repE0EEENS1_48merge_mergepath_partition_config_static_selectorELNS0_4arch9wavefront6targetE1EEEvSF_,"axG",@progbits,_ZN7rocprim17ROCPRIM_400000_NS6detail17trampoline_kernelINS0_14default_configENS1_38merge_sort_block_merge_config_selectorIfNS0_10empty_typeEEEZZNS1_27merge_sort_block_merge_implIS3_PfPS5_jNS1_19radix_merge_compareILb0ELb0EfNS0_19identity_decomposerEEEEE10hipError_tT0_T1_T2_jT3_P12ihipStream_tbPNSt15iterator_traitsISE_E10value_typeEPNSK_ISF_E10value_typeEPSG_NS1_7vsmem_tEENKUlT_SE_SF_SG_E_clIS8_S8_S9_S9_EESD_ST_SE_SF_SG_EUlST_E_NS1_11comp_targetILNS1_3genE4ELNS1_11target_archE910ELNS1_3gpuE8ELNS1_3repE0EEENS1_48merge_mergepath_partition_config_static_selectorELNS0_4arch9wavefront6targetE1EEEvSF_,comdat
.Lfunc_end1239:
	.size	_ZN7rocprim17ROCPRIM_400000_NS6detail17trampoline_kernelINS0_14default_configENS1_38merge_sort_block_merge_config_selectorIfNS0_10empty_typeEEEZZNS1_27merge_sort_block_merge_implIS3_PfPS5_jNS1_19radix_merge_compareILb0ELb0EfNS0_19identity_decomposerEEEEE10hipError_tT0_T1_T2_jT3_P12ihipStream_tbPNSt15iterator_traitsISE_E10value_typeEPNSK_ISF_E10value_typeEPSG_NS1_7vsmem_tEENKUlT_SE_SF_SG_E_clIS8_S8_S9_S9_EESD_ST_SE_SF_SG_EUlST_E_NS1_11comp_targetILNS1_3genE4ELNS1_11target_archE910ELNS1_3gpuE8ELNS1_3repE0EEENS1_48merge_mergepath_partition_config_static_selectorELNS0_4arch9wavefront6targetE1EEEvSF_, .Lfunc_end1239-_ZN7rocprim17ROCPRIM_400000_NS6detail17trampoline_kernelINS0_14default_configENS1_38merge_sort_block_merge_config_selectorIfNS0_10empty_typeEEEZZNS1_27merge_sort_block_merge_implIS3_PfPS5_jNS1_19radix_merge_compareILb0ELb0EfNS0_19identity_decomposerEEEEE10hipError_tT0_T1_T2_jT3_P12ihipStream_tbPNSt15iterator_traitsISE_E10value_typeEPNSK_ISF_E10value_typeEPSG_NS1_7vsmem_tEENKUlT_SE_SF_SG_E_clIS8_S8_S9_S9_EESD_ST_SE_SF_SG_EUlST_E_NS1_11comp_targetILNS1_3genE4ELNS1_11target_archE910ELNS1_3gpuE8ELNS1_3repE0EEENS1_48merge_mergepath_partition_config_static_selectorELNS0_4arch9wavefront6targetE1EEEvSF_
                                        ; -- End function
	.section	.AMDGPU.csdata,"",@progbits
; Kernel info:
; codeLenInByte = 400
; NumSgprs: 12
; NumVgprs: 18
; NumAgprs: 0
; TotalNumVgprs: 18
; ScratchSize: 0
; MemoryBound: 0
; FloatMode: 240
; IeeeMode: 1
; LDSByteSize: 0 bytes/workgroup (compile time only)
; SGPRBlocks: 1
; VGPRBlocks: 2
; NumSGPRsForWavesPerEU: 12
; NumVGPRsForWavesPerEU: 18
; AccumOffset: 20
; Occupancy: 8
; WaveLimiterHint : 0
; COMPUTE_PGM_RSRC2:SCRATCH_EN: 0
; COMPUTE_PGM_RSRC2:USER_SGPR: 6
; COMPUTE_PGM_RSRC2:TRAP_HANDLER: 0
; COMPUTE_PGM_RSRC2:TGID_X_EN: 1
; COMPUTE_PGM_RSRC2:TGID_Y_EN: 0
; COMPUTE_PGM_RSRC2:TGID_Z_EN: 0
; COMPUTE_PGM_RSRC2:TIDIG_COMP_CNT: 0
; COMPUTE_PGM_RSRC3_GFX90A:ACCUM_OFFSET: 4
; COMPUTE_PGM_RSRC3_GFX90A:TG_SPLIT: 0
	.section	.text._ZN7rocprim17ROCPRIM_400000_NS6detail17trampoline_kernelINS0_14default_configENS1_38merge_sort_block_merge_config_selectorIfNS0_10empty_typeEEEZZNS1_27merge_sort_block_merge_implIS3_PfPS5_jNS1_19radix_merge_compareILb0ELb0EfNS0_19identity_decomposerEEEEE10hipError_tT0_T1_T2_jT3_P12ihipStream_tbPNSt15iterator_traitsISE_E10value_typeEPNSK_ISF_E10value_typeEPSG_NS1_7vsmem_tEENKUlT_SE_SF_SG_E_clIS8_S8_S9_S9_EESD_ST_SE_SF_SG_EUlST_E_NS1_11comp_targetILNS1_3genE3ELNS1_11target_archE908ELNS1_3gpuE7ELNS1_3repE0EEENS1_48merge_mergepath_partition_config_static_selectorELNS0_4arch9wavefront6targetE1EEEvSF_,"axG",@progbits,_ZN7rocprim17ROCPRIM_400000_NS6detail17trampoline_kernelINS0_14default_configENS1_38merge_sort_block_merge_config_selectorIfNS0_10empty_typeEEEZZNS1_27merge_sort_block_merge_implIS3_PfPS5_jNS1_19radix_merge_compareILb0ELb0EfNS0_19identity_decomposerEEEEE10hipError_tT0_T1_T2_jT3_P12ihipStream_tbPNSt15iterator_traitsISE_E10value_typeEPNSK_ISF_E10value_typeEPSG_NS1_7vsmem_tEENKUlT_SE_SF_SG_E_clIS8_S8_S9_S9_EESD_ST_SE_SF_SG_EUlST_E_NS1_11comp_targetILNS1_3genE3ELNS1_11target_archE908ELNS1_3gpuE7ELNS1_3repE0EEENS1_48merge_mergepath_partition_config_static_selectorELNS0_4arch9wavefront6targetE1EEEvSF_,comdat
	.protected	_ZN7rocprim17ROCPRIM_400000_NS6detail17trampoline_kernelINS0_14default_configENS1_38merge_sort_block_merge_config_selectorIfNS0_10empty_typeEEEZZNS1_27merge_sort_block_merge_implIS3_PfPS5_jNS1_19radix_merge_compareILb0ELb0EfNS0_19identity_decomposerEEEEE10hipError_tT0_T1_T2_jT3_P12ihipStream_tbPNSt15iterator_traitsISE_E10value_typeEPNSK_ISF_E10value_typeEPSG_NS1_7vsmem_tEENKUlT_SE_SF_SG_E_clIS8_S8_S9_S9_EESD_ST_SE_SF_SG_EUlST_E_NS1_11comp_targetILNS1_3genE3ELNS1_11target_archE908ELNS1_3gpuE7ELNS1_3repE0EEENS1_48merge_mergepath_partition_config_static_selectorELNS0_4arch9wavefront6targetE1EEEvSF_ ; -- Begin function _ZN7rocprim17ROCPRIM_400000_NS6detail17trampoline_kernelINS0_14default_configENS1_38merge_sort_block_merge_config_selectorIfNS0_10empty_typeEEEZZNS1_27merge_sort_block_merge_implIS3_PfPS5_jNS1_19radix_merge_compareILb0ELb0EfNS0_19identity_decomposerEEEEE10hipError_tT0_T1_T2_jT3_P12ihipStream_tbPNSt15iterator_traitsISE_E10value_typeEPNSK_ISF_E10value_typeEPSG_NS1_7vsmem_tEENKUlT_SE_SF_SG_E_clIS8_S8_S9_S9_EESD_ST_SE_SF_SG_EUlST_E_NS1_11comp_targetILNS1_3genE3ELNS1_11target_archE908ELNS1_3gpuE7ELNS1_3repE0EEENS1_48merge_mergepath_partition_config_static_selectorELNS0_4arch9wavefront6targetE1EEEvSF_
	.globl	_ZN7rocprim17ROCPRIM_400000_NS6detail17trampoline_kernelINS0_14default_configENS1_38merge_sort_block_merge_config_selectorIfNS0_10empty_typeEEEZZNS1_27merge_sort_block_merge_implIS3_PfPS5_jNS1_19radix_merge_compareILb0ELb0EfNS0_19identity_decomposerEEEEE10hipError_tT0_T1_T2_jT3_P12ihipStream_tbPNSt15iterator_traitsISE_E10value_typeEPNSK_ISF_E10value_typeEPSG_NS1_7vsmem_tEENKUlT_SE_SF_SG_E_clIS8_S8_S9_S9_EESD_ST_SE_SF_SG_EUlST_E_NS1_11comp_targetILNS1_3genE3ELNS1_11target_archE908ELNS1_3gpuE7ELNS1_3repE0EEENS1_48merge_mergepath_partition_config_static_selectorELNS0_4arch9wavefront6targetE1EEEvSF_
	.p2align	8
	.type	_ZN7rocprim17ROCPRIM_400000_NS6detail17trampoline_kernelINS0_14default_configENS1_38merge_sort_block_merge_config_selectorIfNS0_10empty_typeEEEZZNS1_27merge_sort_block_merge_implIS3_PfPS5_jNS1_19radix_merge_compareILb0ELb0EfNS0_19identity_decomposerEEEEE10hipError_tT0_T1_T2_jT3_P12ihipStream_tbPNSt15iterator_traitsISE_E10value_typeEPNSK_ISF_E10value_typeEPSG_NS1_7vsmem_tEENKUlT_SE_SF_SG_E_clIS8_S8_S9_S9_EESD_ST_SE_SF_SG_EUlST_E_NS1_11comp_targetILNS1_3genE3ELNS1_11target_archE908ELNS1_3gpuE7ELNS1_3repE0EEENS1_48merge_mergepath_partition_config_static_selectorELNS0_4arch9wavefront6targetE1EEEvSF_,@function
_ZN7rocprim17ROCPRIM_400000_NS6detail17trampoline_kernelINS0_14default_configENS1_38merge_sort_block_merge_config_selectorIfNS0_10empty_typeEEEZZNS1_27merge_sort_block_merge_implIS3_PfPS5_jNS1_19radix_merge_compareILb0ELb0EfNS0_19identity_decomposerEEEEE10hipError_tT0_T1_T2_jT3_P12ihipStream_tbPNSt15iterator_traitsISE_E10value_typeEPNSK_ISF_E10value_typeEPSG_NS1_7vsmem_tEENKUlT_SE_SF_SG_E_clIS8_S8_S9_S9_EESD_ST_SE_SF_SG_EUlST_E_NS1_11comp_targetILNS1_3genE3ELNS1_11target_archE908ELNS1_3gpuE7ELNS1_3repE0EEENS1_48merge_mergepath_partition_config_static_selectorELNS0_4arch9wavefront6targetE1EEEvSF_: ; @_ZN7rocprim17ROCPRIM_400000_NS6detail17trampoline_kernelINS0_14default_configENS1_38merge_sort_block_merge_config_selectorIfNS0_10empty_typeEEEZZNS1_27merge_sort_block_merge_implIS3_PfPS5_jNS1_19radix_merge_compareILb0ELb0EfNS0_19identity_decomposerEEEEE10hipError_tT0_T1_T2_jT3_P12ihipStream_tbPNSt15iterator_traitsISE_E10value_typeEPNSK_ISF_E10value_typeEPSG_NS1_7vsmem_tEENKUlT_SE_SF_SG_E_clIS8_S8_S9_S9_EESD_ST_SE_SF_SG_EUlST_E_NS1_11comp_targetILNS1_3genE3ELNS1_11target_archE908ELNS1_3gpuE7ELNS1_3repE0EEENS1_48merge_mergepath_partition_config_static_selectorELNS0_4arch9wavefront6targetE1EEEvSF_
; %bb.0:
	.section	.rodata,"a",@progbits
	.p2align	6, 0x0
	.amdhsa_kernel _ZN7rocprim17ROCPRIM_400000_NS6detail17trampoline_kernelINS0_14default_configENS1_38merge_sort_block_merge_config_selectorIfNS0_10empty_typeEEEZZNS1_27merge_sort_block_merge_implIS3_PfPS5_jNS1_19radix_merge_compareILb0ELb0EfNS0_19identity_decomposerEEEEE10hipError_tT0_T1_T2_jT3_P12ihipStream_tbPNSt15iterator_traitsISE_E10value_typeEPNSK_ISF_E10value_typeEPSG_NS1_7vsmem_tEENKUlT_SE_SF_SG_E_clIS8_S8_S9_S9_EESD_ST_SE_SF_SG_EUlST_E_NS1_11comp_targetILNS1_3genE3ELNS1_11target_archE908ELNS1_3gpuE7ELNS1_3repE0EEENS1_48merge_mergepath_partition_config_static_selectorELNS0_4arch9wavefront6targetE1EEEvSF_
		.amdhsa_group_segment_fixed_size 0
		.amdhsa_private_segment_fixed_size 0
		.amdhsa_kernarg_size 40
		.amdhsa_user_sgpr_count 6
		.amdhsa_user_sgpr_private_segment_buffer 1
		.amdhsa_user_sgpr_dispatch_ptr 0
		.amdhsa_user_sgpr_queue_ptr 0
		.amdhsa_user_sgpr_kernarg_segment_ptr 1
		.amdhsa_user_sgpr_dispatch_id 0
		.amdhsa_user_sgpr_flat_scratch_init 0
		.amdhsa_user_sgpr_kernarg_preload_length 0
		.amdhsa_user_sgpr_kernarg_preload_offset 0
		.amdhsa_user_sgpr_private_segment_size 0
		.amdhsa_uses_dynamic_stack 0
		.amdhsa_system_sgpr_private_segment_wavefront_offset 0
		.amdhsa_system_sgpr_workgroup_id_x 1
		.amdhsa_system_sgpr_workgroup_id_y 0
		.amdhsa_system_sgpr_workgroup_id_z 0
		.amdhsa_system_sgpr_workgroup_info 0
		.amdhsa_system_vgpr_workitem_id 0
		.amdhsa_next_free_vgpr 1
		.amdhsa_next_free_sgpr 0
		.amdhsa_accum_offset 4
		.amdhsa_reserve_vcc 0
		.amdhsa_reserve_flat_scratch 0
		.amdhsa_float_round_mode_32 0
		.amdhsa_float_round_mode_16_64 0
		.amdhsa_float_denorm_mode_32 3
		.amdhsa_float_denorm_mode_16_64 3
		.amdhsa_dx10_clamp 1
		.amdhsa_ieee_mode 1
		.amdhsa_fp16_overflow 0
		.amdhsa_tg_split 0
		.amdhsa_exception_fp_ieee_invalid_op 0
		.amdhsa_exception_fp_denorm_src 0
		.amdhsa_exception_fp_ieee_div_zero 0
		.amdhsa_exception_fp_ieee_overflow 0
		.amdhsa_exception_fp_ieee_underflow 0
		.amdhsa_exception_fp_ieee_inexact 0
		.amdhsa_exception_int_div_zero 0
	.end_amdhsa_kernel
	.section	.text._ZN7rocprim17ROCPRIM_400000_NS6detail17trampoline_kernelINS0_14default_configENS1_38merge_sort_block_merge_config_selectorIfNS0_10empty_typeEEEZZNS1_27merge_sort_block_merge_implIS3_PfPS5_jNS1_19radix_merge_compareILb0ELb0EfNS0_19identity_decomposerEEEEE10hipError_tT0_T1_T2_jT3_P12ihipStream_tbPNSt15iterator_traitsISE_E10value_typeEPNSK_ISF_E10value_typeEPSG_NS1_7vsmem_tEENKUlT_SE_SF_SG_E_clIS8_S8_S9_S9_EESD_ST_SE_SF_SG_EUlST_E_NS1_11comp_targetILNS1_3genE3ELNS1_11target_archE908ELNS1_3gpuE7ELNS1_3repE0EEENS1_48merge_mergepath_partition_config_static_selectorELNS0_4arch9wavefront6targetE1EEEvSF_,"axG",@progbits,_ZN7rocprim17ROCPRIM_400000_NS6detail17trampoline_kernelINS0_14default_configENS1_38merge_sort_block_merge_config_selectorIfNS0_10empty_typeEEEZZNS1_27merge_sort_block_merge_implIS3_PfPS5_jNS1_19radix_merge_compareILb0ELb0EfNS0_19identity_decomposerEEEEE10hipError_tT0_T1_T2_jT3_P12ihipStream_tbPNSt15iterator_traitsISE_E10value_typeEPNSK_ISF_E10value_typeEPSG_NS1_7vsmem_tEENKUlT_SE_SF_SG_E_clIS8_S8_S9_S9_EESD_ST_SE_SF_SG_EUlST_E_NS1_11comp_targetILNS1_3genE3ELNS1_11target_archE908ELNS1_3gpuE7ELNS1_3repE0EEENS1_48merge_mergepath_partition_config_static_selectorELNS0_4arch9wavefront6targetE1EEEvSF_,comdat
.Lfunc_end1240:
	.size	_ZN7rocprim17ROCPRIM_400000_NS6detail17trampoline_kernelINS0_14default_configENS1_38merge_sort_block_merge_config_selectorIfNS0_10empty_typeEEEZZNS1_27merge_sort_block_merge_implIS3_PfPS5_jNS1_19radix_merge_compareILb0ELb0EfNS0_19identity_decomposerEEEEE10hipError_tT0_T1_T2_jT3_P12ihipStream_tbPNSt15iterator_traitsISE_E10value_typeEPNSK_ISF_E10value_typeEPSG_NS1_7vsmem_tEENKUlT_SE_SF_SG_E_clIS8_S8_S9_S9_EESD_ST_SE_SF_SG_EUlST_E_NS1_11comp_targetILNS1_3genE3ELNS1_11target_archE908ELNS1_3gpuE7ELNS1_3repE0EEENS1_48merge_mergepath_partition_config_static_selectorELNS0_4arch9wavefront6targetE1EEEvSF_, .Lfunc_end1240-_ZN7rocprim17ROCPRIM_400000_NS6detail17trampoline_kernelINS0_14default_configENS1_38merge_sort_block_merge_config_selectorIfNS0_10empty_typeEEEZZNS1_27merge_sort_block_merge_implIS3_PfPS5_jNS1_19radix_merge_compareILb0ELb0EfNS0_19identity_decomposerEEEEE10hipError_tT0_T1_T2_jT3_P12ihipStream_tbPNSt15iterator_traitsISE_E10value_typeEPNSK_ISF_E10value_typeEPSG_NS1_7vsmem_tEENKUlT_SE_SF_SG_E_clIS8_S8_S9_S9_EESD_ST_SE_SF_SG_EUlST_E_NS1_11comp_targetILNS1_3genE3ELNS1_11target_archE908ELNS1_3gpuE7ELNS1_3repE0EEENS1_48merge_mergepath_partition_config_static_selectorELNS0_4arch9wavefront6targetE1EEEvSF_
                                        ; -- End function
	.section	.AMDGPU.csdata,"",@progbits
; Kernel info:
; codeLenInByte = 0
; NumSgprs: 4
; NumVgprs: 0
; NumAgprs: 0
; TotalNumVgprs: 0
; ScratchSize: 0
; MemoryBound: 0
; FloatMode: 240
; IeeeMode: 1
; LDSByteSize: 0 bytes/workgroup (compile time only)
; SGPRBlocks: 0
; VGPRBlocks: 0
; NumSGPRsForWavesPerEU: 4
; NumVGPRsForWavesPerEU: 1
; AccumOffset: 4
; Occupancy: 8
; WaveLimiterHint : 0
; COMPUTE_PGM_RSRC2:SCRATCH_EN: 0
; COMPUTE_PGM_RSRC2:USER_SGPR: 6
; COMPUTE_PGM_RSRC2:TRAP_HANDLER: 0
; COMPUTE_PGM_RSRC2:TGID_X_EN: 1
; COMPUTE_PGM_RSRC2:TGID_Y_EN: 0
; COMPUTE_PGM_RSRC2:TGID_Z_EN: 0
; COMPUTE_PGM_RSRC2:TIDIG_COMP_CNT: 0
; COMPUTE_PGM_RSRC3_GFX90A:ACCUM_OFFSET: 0
; COMPUTE_PGM_RSRC3_GFX90A:TG_SPLIT: 0
	.section	.text._ZN7rocprim17ROCPRIM_400000_NS6detail17trampoline_kernelINS0_14default_configENS1_38merge_sort_block_merge_config_selectorIfNS0_10empty_typeEEEZZNS1_27merge_sort_block_merge_implIS3_PfPS5_jNS1_19radix_merge_compareILb0ELb0EfNS0_19identity_decomposerEEEEE10hipError_tT0_T1_T2_jT3_P12ihipStream_tbPNSt15iterator_traitsISE_E10value_typeEPNSK_ISF_E10value_typeEPSG_NS1_7vsmem_tEENKUlT_SE_SF_SG_E_clIS8_S8_S9_S9_EESD_ST_SE_SF_SG_EUlST_E_NS1_11comp_targetILNS1_3genE2ELNS1_11target_archE906ELNS1_3gpuE6ELNS1_3repE0EEENS1_48merge_mergepath_partition_config_static_selectorELNS0_4arch9wavefront6targetE1EEEvSF_,"axG",@progbits,_ZN7rocprim17ROCPRIM_400000_NS6detail17trampoline_kernelINS0_14default_configENS1_38merge_sort_block_merge_config_selectorIfNS0_10empty_typeEEEZZNS1_27merge_sort_block_merge_implIS3_PfPS5_jNS1_19radix_merge_compareILb0ELb0EfNS0_19identity_decomposerEEEEE10hipError_tT0_T1_T2_jT3_P12ihipStream_tbPNSt15iterator_traitsISE_E10value_typeEPNSK_ISF_E10value_typeEPSG_NS1_7vsmem_tEENKUlT_SE_SF_SG_E_clIS8_S8_S9_S9_EESD_ST_SE_SF_SG_EUlST_E_NS1_11comp_targetILNS1_3genE2ELNS1_11target_archE906ELNS1_3gpuE6ELNS1_3repE0EEENS1_48merge_mergepath_partition_config_static_selectorELNS0_4arch9wavefront6targetE1EEEvSF_,comdat
	.protected	_ZN7rocprim17ROCPRIM_400000_NS6detail17trampoline_kernelINS0_14default_configENS1_38merge_sort_block_merge_config_selectorIfNS0_10empty_typeEEEZZNS1_27merge_sort_block_merge_implIS3_PfPS5_jNS1_19radix_merge_compareILb0ELb0EfNS0_19identity_decomposerEEEEE10hipError_tT0_T1_T2_jT3_P12ihipStream_tbPNSt15iterator_traitsISE_E10value_typeEPNSK_ISF_E10value_typeEPSG_NS1_7vsmem_tEENKUlT_SE_SF_SG_E_clIS8_S8_S9_S9_EESD_ST_SE_SF_SG_EUlST_E_NS1_11comp_targetILNS1_3genE2ELNS1_11target_archE906ELNS1_3gpuE6ELNS1_3repE0EEENS1_48merge_mergepath_partition_config_static_selectorELNS0_4arch9wavefront6targetE1EEEvSF_ ; -- Begin function _ZN7rocprim17ROCPRIM_400000_NS6detail17trampoline_kernelINS0_14default_configENS1_38merge_sort_block_merge_config_selectorIfNS0_10empty_typeEEEZZNS1_27merge_sort_block_merge_implIS3_PfPS5_jNS1_19radix_merge_compareILb0ELb0EfNS0_19identity_decomposerEEEEE10hipError_tT0_T1_T2_jT3_P12ihipStream_tbPNSt15iterator_traitsISE_E10value_typeEPNSK_ISF_E10value_typeEPSG_NS1_7vsmem_tEENKUlT_SE_SF_SG_E_clIS8_S8_S9_S9_EESD_ST_SE_SF_SG_EUlST_E_NS1_11comp_targetILNS1_3genE2ELNS1_11target_archE906ELNS1_3gpuE6ELNS1_3repE0EEENS1_48merge_mergepath_partition_config_static_selectorELNS0_4arch9wavefront6targetE1EEEvSF_
	.globl	_ZN7rocprim17ROCPRIM_400000_NS6detail17trampoline_kernelINS0_14default_configENS1_38merge_sort_block_merge_config_selectorIfNS0_10empty_typeEEEZZNS1_27merge_sort_block_merge_implIS3_PfPS5_jNS1_19radix_merge_compareILb0ELb0EfNS0_19identity_decomposerEEEEE10hipError_tT0_T1_T2_jT3_P12ihipStream_tbPNSt15iterator_traitsISE_E10value_typeEPNSK_ISF_E10value_typeEPSG_NS1_7vsmem_tEENKUlT_SE_SF_SG_E_clIS8_S8_S9_S9_EESD_ST_SE_SF_SG_EUlST_E_NS1_11comp_targetILNS1_3genE2ELNS1_11target_archE906ELNS1_3gpuE6ELNS1_3repE0EEENS1_48merge_mergepath_partition_config_static_selectorELNS0_4arch9wavefront6targetE1EEEvSF_
	.p2align	8
	.type	_ZN7rocprim17ROCPRIM_400000_NS6detail17trampoline_kernelINS0_14default_configENS1_38merge_sort_block_merge_config_selectorIfNS0_10empty_typeEEEZZNS1_27merge_sort_block_merge_implIS3_PfPS5_jNS1_19radix_merge_compareILb0ELb0EfNS0_19identity_decomposerEEEEE10hipError_tT0_T1_T2_jT3_P12ihipStream_tbPNSt15iterator_traitsISE_E10value_typeEPNSK_ISF_E10value_typeEPSG_NS1_7vsmem_tEENKUlT_SE_SF_SG_E_clIS8_S8_S9_S9_EESD_ST_SE_SF_SG_EUlST_E_NS1_11comp_targetILNS1_3genE2ELNS1_11target_archE906ELNS1_3gpuE6ELNS1_3repE0EEENS1_48merge_mergepath_partition_config_static_selectorELNS0_4arch9wavefront6targetE1EEEvSF_,@function
_ZN7rocprim17ROCPRIM_400000_NS6detail17trampoline_kernelINS0_14default_configENS1_38merge_sort_block_merge_config_selectorIfNS0_10empty_typeEEEZZNS1_27merge_sort_block_merge_implIS3_PfPS5_jNS1_19radix_merge_compareILb0ELb0EfNS0_19identity_decomposerEEEEE10hipError_tT0_T1_T2_jT3_P12ihipStream_tbPNSt15iterator_traitsISE_E10value_typeEPNSK_ISF_E10value_typeEPSG_NS1_7vsmem_tEENKUlT_SE_SF_SG_E_clIS8_S8_S9_S9_EESD_ST_SE_SF_SG_EUlST_E_NS1_11comp_targetILNS1_3genE2ELNS1_11target_archE906ELNS1_3gpuE6ELNS1_3repE0EEENS1_48merge_mergepath_partition_config_static_selectorELNS0_4arch9wavefront6targetE1EEEvSF_: ; @_ZN7rocprim17ROCPRIM_400000_NS6detail17trampoline_kernelINS0_14default_configENS1_38merge_sort_block_merge_config_selectorIfNS0_10empty_typeEEEZZNS1_27merge_sort_block_merge_implIS3_PfPS5_jNS1_19radix_merge_compareILb0ELb0EfNS0_19identity_decomposerEEEEE10hipError_tT0_T1_T2_jT3_P12ihipStream_tbPNSt15iterator_traitsISE_E10value_typeEPNSK_ISF_E10value_typeEPSG_NS1_7vsmem_tEENKUlT_SE_SF_SG_E_clIS8_S8_S9_S9_EESD_ST_SE_SF_SG_EUlST_E_NS1_11comp_targetILNS1_3genE2ELNS1_11target_archE906ELNS1_3gpuE6ELNS1_3repE0EEENS1_48merge_mergepath_partition_config_static_selectorELNS0_4arch9wavefront6targetE1EEEvSF_
; %bb.0:
	.section	.rodata,"a",@progbits
	.p2align	6, 0x0
	.amdhsa_kernel _ZN7rocprim17ROCPRIM_400000_NS6detail17trampoline_kernelINS0_14default_configENS1_38merge_sort_block_merge_config_selectorIfNS0_10empty_typeEEEZZNS1_27merge_sort_block_merge_implIS3_PfPS5_jNS1_19radix_merge_compareILb0ELb0EfNS0_19identity_decomposerEEEEE10hipError_tT0_T1_T2_jT3_P12ihipStream_tbPNSt15iterator_traitsISE_E10value_typeEPNSK_ISF_E10value_typeEPSG_NS1_7vsmem_tEENKUlT_SE_SF_SG_E_clIS8_S8_S9_S9_EESD_ST_SE_SF_SG_EUlST_E_NS1_11comp_targetILNS1_3genE2ELNS1_11target_archE906ELNS1_3gpuE6ELNS1_3repE0EEENS1_48merge_mergepath_partition_config_static_selectorELNS0_4arch9wavefront6targetE1EEEvSF_
		.amdhsa_group_segment_fixed_size 0
		.amdhsa_private_segment_fixed_size 0
		.amdhsa_kernarg_size 40
		.amdhsa_user_sgpr_count 6
		.amdhsa_user_sgpr_private_segment_buffer 1
		.amdhsa_user_sgpr_dispatch_ptr 0
		.amdhsa_user_sgpr_queue_ptr 0
		.amdhsa_user_sgpr_kernarg_segment_ptr 1
		.amdhsa_user_sgpr_dispatch_id 0
		.amdhsa_user_sgpr_flat_scratch_init 0
		.amdhsa_user_sgpr_kernarg_preload_length 0
		.amdhsa_user_sgpr_kernarg_preload_offset 0
		.amdhsa_user_sgpr_private_segment_size 0
		.amdhsa_uses_dynamic_stack 0
		.amdhsa_system_sgpr_private_segment_wavefront_offset 0
		.amdhsa_system_sgpr_workgroup_id_x 1
		.amdhsa_system_sgpr_workgroup_id_y 0
		.amdhsa_system_sgpr_workgroup_id_z 0
		.amdhsa_system_sgpr_workgroup_info 0
		.amdhsa_system_vgpr_workitem_id 0
		.amdhsa_next_free_vgpr 1
		.amdhsa_next_free_sgpr 0
		.amdhsa_accum_offset 4
		.amdhsa_reserve_vcc 0
		.amdhsa_reserve_flat_scratch 0
		.amdhsa_float_round_mode_32 0
		.amdhsa_float_round_mode_16_64 0
		.amdhsa_float_denorm_mode_32 3
		.amdhsa_float_denorm_mode_16_64 3
		.amdhsa_dx10_clamp 1
		.amdhsa_ieee_mode 1
		.amdhsa_fp16_overflow 0
		.amdhsa_tg_split 0
		.amdhsa_exception_fp_ieee_invalid_op 0
		.amdhsa_exception_fp_denorm_src 0
		.amdhsa_exception_fp_ieee_div_zero 0
		.amdhsa_exception_fp_ieee_overflow 0
		.amdhsa_exception_fp_ieee_underflow 0
		.amdhsa_exception_fp_ieee_inexact 0
		.amdhsa_exception_int_div_zero 0
	.end_amdhsa_kernel
	.section	.text._ZN7rocprim17ROCPRIM_400000_NS6detail17trampoline_kernelINS0_14default_configENS1_38merge_sort_block_merge_config_selectorIfNS0_10empty_typeEEEZZNS1_27merge_sort_block_merge_implIS3_PfPS5_jNS1_19radix_merge_compareILb0ELb0EfNS0_19identity_decomposerEEEEE10hipError_tT0_T1_T2_jT3_P12ihipStream_tbPNSt15iterator_traitsISE_E10value_typeEPNSK_ISF_E10value_typeEPSG_NS1_7vsmem_tEENKUlT_SE_SF_SG_E_clIS8_S8_S9_S9_EESD_ST_SE_SF_SG_EUlST_E_NS1_11comp_targetILNS1_3genE2ELNS1_11target_archE906ELNS1_3gpuE6ELNS1_3repE0EEENS1_48merge_mergepath_partition_config_static_selectorELNS0_4arch9wavefront6targetE1EEEvSF_,"axG",@progbits,_ZN7rocprim17ROCPRIM_400000_NS6detail17trampoline_kernelINS0_14default_configENS1_38merge_sort_block_merge_config_selectorIfNS0_10empty_typeEEEZZNS1_27merge_sort_block_merge_implIS3_PfPS5_jNS1_19radix_merge_compareILb0ELb0EfNS0_19identity_decomposerEEEEE10hipError_tT0_T1_T2_jT3_P12ihipStream_tbPNSt15iterator_traitsISE_E10value_typeEPNSK_ISF_E10value_typeEPSG_NS1_7vsmem_tEENKUlT_SE_SF_SG_E_clIS8_S8_S9_S9_EESD_ST_SE_SF_SG_EUlST_E_NS1_11comp_targetILNS1_3genE2ELNS1_11target_archE906ELNS1_3gpuE6ELNS1_3repE0EEENS1_48merge_mergepath_partition_config_static_selectorELNS0_4arch9wavefront6targetE1EEEvSF_,comdat
.Lfunc_end1241:
	.size	_ZN7rocprim17ROCPRIM_400000_NS6detail17trampoline_kernelINS0_14default_configENS1_38merge_sort_block_merge_config_selectorIfNS0_10empty_typeEEEZZNS1_27merge_sort_block_merge_implIS3_PfPS5_jNS1_19radix_merge_compareILb0ELb0EfNS0_19identity_decomposerEEEEE10hipError_tT0_T1_T2_jT3_P12ihipStream_tbPNSt15iterator_traitsISE_E10value_typeEPNSK_ISF_E10value_typeEPSG_NS1_7vsmem_tEENKUlT_SE_SF_SG_E_clIS8_S8_S9_S9_EESD_ST_SE_SF_SG_EUlST_E_NS1_11comp_targetILNS1_3genE2ELNS1_11target_archE906ELNS1_3gpuE6ELNS1_3repE0EEENS1_48merge_mergepath_partition_config_static_selectorELNS0_4arch9wavefront6targetE1EEEvSF_, .Lfunc_end1241-_ZN7rocprim17ROCPRIM_400000_NS6detail17trampoline_kernelINS0_14default_configENS1_38merge_sort_block_merge_config_selectorIfNS0_10empty_typeEEEZZNS1_27merge_sort_block_merge_implIS3_PfPS5_jNS1_19radix_merge_compareILb0ELb0EfNS0_19identity_decomposerEEEEE10hipError_tT0_T1_T2_jT3_P12ihipStream_tbPNSt15iterator_traitsISE_E10value_typeEPNSK_ISF_E10value_typeEPSG_NS1_7vsmem_tEENKUlT_SE_SF_SG_E_clIS8_S8_S9_S9_EESD_ST_SE_SF_SG_EUlST_E_NS1_11comp_targetILNS1_3genE2ELNS1_11target_archE906ELNS1_3gpuE6ELNS1_3repE0EEENS1_48merge_mergepath_partition_config_static_selectorELNS0_4arch9wavefront6targetE1EEEvSF_
                                        ; -- End function
	.section	.AMDGPU.csdata,"",@progbits
; Kernel info:
; codeLenInByte = 0
; NumSgprs: 4
; NumVgprs: 0
; NumAgprs: 0
; TotalNumVgprs: 0
; ScratchSize: 0
; MemoryBound: 0
; FloatMode: 240
; IeeeMode: 1
; LDSByteSize: 0 bytes/workgroup (compile time only)
; SGPRBlocks: 0
; VGPRBlocks: 0
; NumSGPRsForWavesPerEU: 4
; NumVGPRsForWavesPerEU: 1
; AccumOffset: 4
; Occupancy: 8
; WaveLimiterHint : 0
; COMPUTE_PGM_RSRC2:SCRATCH_EN: 0
; COMPUTE_PGM_RSRC2:USER_SGPR: 6
; COMPUTE_PGM_RSRC2:TRAP_HANDLER: 0
; COMPUTE_PGM_RSRC2:TGID_X_EN: 1
; COMPUTE_PGM_RSRC2:TGID_Y_EN: 0
; COMPUTE_PGM_RSRC2:TGID_Z_EN: 0
; COMPUTE_PGM_RSRC2:TIDIG_COMP_CNT: 0
; COMPUTE_PGM_RSRC3_GFX90A:ACCUM_OFFSET: 0
; COMPUTE_PGM_RSRC3_GFX90A:TG_SPLIT: 0
	.section	.text._ZN7rocprim17ROCPRIM_400000_NS6detail17trampoline_kernelINS0_14default_configENS1_38merge_sort_block_merge_config_selectorIfNS0_10empty_typeEEEZZNS1_27merge_sort_block_merge_implIS3_PfPS5_jNS1_19radix_merge_compareILb0ELb0EfNS0_19identity_decomposerEEEEE10hipError_tT0_T1_T2_jT3_P12ihipStream_tbPNSt15iterator_traitsISE_E10value_typeEPNSK_ISF_E10value_typeEPSG_NS1_7vsmem_tEENKUlT_SE_SF_SG_E_clIS8_S8_S9_S9_EESD_ST_SE_SF_SG_EUlST_E_NS1_11comp_targetILNS1_3genE9ELNS1_11target_archE1100ELNS1_3gpuE3ELNS1_3repE0EEENS1_48merge_mergepath_partition_config_static_selectorELNS0_4arch9wavefront6targetE1EEEvSF_,"axG",@progbits,_ZN7rocprim17ROCPRIM_400000_NS6detail17trampoline_kernelINS0_14default_configENS1_38merge_sort_block_merge_config_selectorIfNS0_10empty_typeEEEZZNS1_27merge_sort_block_merge_implIS3_PfPS5_jNS1_19radix_merge_compareILb0ELb0EfNS0_19identity_decomposerEEEEE10hipError_tT0_T1_T2_jT3_P12ihipStream_tbPNSt15iterator_traitsISE_E10value_typeEPNSK_ISF_E10value_typeEPSG_NS1_7vsmem_tEENKUlT_SE_SF_SG_E_clIS8_S8_S9_S9_EESD_ST_SE_SF_SG_EUlST_E_NS1_11comp_targetILNS1_3genE9ELNS1_11target_archE1100ELNS1_3gpuE3ELNS1_3repE0EEENS1_48merge_mergepath_partition_config_static_selectorELNS0_4arch9wavefront6targetE1EEEvSF_,comdat
	.protected	_ZN7rocprim17ROCPRIM_400000_NS6detail17trampoline_kernelINS0_14default_configENS1_38merge_sort_block_merge_config_selectorIfNS0_10empty_typeEEEZZNS1_27merge_sort_block_merge_implIS3_PfPS5_jNS1_19radix_merge_compareILb0ELb0EfNS0_19identity_decomposerEEEEE10hipError_tT0_T1_T2_jT3_P12ihipStream_tbPNSt15iterator_traitsISE_E10value_typeEPNSK_ISF_E10value_typeEPSG_NS1_7vsmem_tEENKUlT_SE_SF_SG_E_clIS8_S8_S9_S9_EESD_ST_SE_SF_SG_EUlST_E_NS1_11comp_targetILNS1_3genE9ELNS1_11target_archE1100ELNS1_3gpuE3ELNS1_3repE0EEENS1_48merge_mergepath_partition_config_static_selectorELNS0_4arch9wavefront6targetE1EEEvSF_ ; -- Begin function _ZN7rocprim17ROCPRIM_400000_NS6detail17trampoline_kernelINS0_14default_configENS1_38merge_sort_block_merge_config_selectorIfNS0_10empty_typeEEEZZNS1_27merge_sort_block_merge_implIS3_PfPS5_jNS1_19radix_merge_compareILb0ELb0EfNS0_19identity_decomposerEEEEE10hipError_tT0_T1_T2_jT3_P12ihipStream_tbPNSt15iterator_traitsISE_E10value_typeEPNSK_ISF_E10value_typeEPSG_NS1_7vsmem_tEENKUlT_SE_SF_SG_E_clIS8_S8_S9_S9_EESD_ST_SE_SF_SG_EUlST_E_NS1_11comp_targetILNS1_3genE9ELNS1_11target_archE1100ELNS1_3gpuE3ELNS1_3repE0EEENS1_48merge_mergepath_partition_config_static_selectorELNS0_4arch9wavefront6targetE1EEEvSF_
	.globl	_ZN7rocprim17ROCPRIM_400000_NS6detail17trampoline_kernelINS0_14default_configENS1_38merge_sort_block_merge_config_selectorIfNS0_10empty_typeEEEZZNS1_27merge_sort_block_merge_implIS3_PfPS5_jNS1_19radix_merge_compareILb0ELb0EfNS0_19identity_decomposerEEEEE10hipError_tT0_T1_T2_jT3_P12ihipStream_tbPNSt15iterator_traitsISE_E10value_typeEPNSK_ISF_E10value_typeEPSG_NS1_7vsmem_tEENKUlT_SE_SF_SG_E_clIS8_S8_S9_S9_EESD_ST_SE_SF_SG_EUlST_E_NS1_11comp_targetILNS1_3genE9ELNS1_11target_archE1100ELNS1_3gpuE3ELNS1_3repE0EEENS1_48merge_mergepath_partition_config_static_selectorELNS0_4arch9wavefront6targetE1EEEvSF_
	.p2align	8
	.type	_ZN7rocprim17ROCPRIM_400000_NS6detail17trampoline_kernelINS0_14default_configENS1_38merge_sort_block_merge_config_selectorIfNS0_10empty_typeEEEZZNS1_27merge_sort_block_merge_implIS3_PfPS5_jNS1_19radix_merge_compareILb0ELb0EfNS0_19identity_decomposerEEEEE10hipError_tT0_T1_T2_jT3_P12ihipStream_tbPNSt15iterator_traitsISE_E10value_typeEPNSK_ISF_E10value_typeEPSG_NS1_7vsmem_tEENKUlT_SE_SF_SG_E_clIS8_S8_S9_S9_EESD_ST_SE_SF_SG_EUlST_E_NS1_11comp_targetILNS1_3genE9ELNS1_11target_archE1100ELNS1_3gpuE3ELNS1_3repE0EEENS1_48merge_mergepath_partition_config_static_selectorELNS0_4arch9wavefront6targetE1EEEvSF_,@function
_ZN7rocprim17ROCPRIM_400000_NS6detail17trampoline_kernelINS0_14default_configENS1_38merge_sort_block_merge_config_selectorIfNS0_10empty_typeEEEZZNS1_27merge_sort_block_merge_implIS3_PfPS5_jNS1_19radix_merge_compareILb0ELb0EfNS0_19identity_decomposerEEEEE10hipError_tT0_T1_T2_jT3_P12ihipStream_tbPNSt15iterator_traitsISE_E10value_typeEPNSK_ISF_E10value_typeEPSG_NS1_7vsmem_tEENKUlT_SE_SF_SG_E_clIS8_S8_S9_S9_EESD_ST_SE_SF_SG_EUlST_E_NS1_11comp_targetILNS1_3genE9ELNS1_11target_archE1100ELNS1_3gpuE3ELNS1_3repE0EEENS1_48merge_mergepath_partition_config_static_selectorELNS0_4arch9wavefront6targetE1EEEvSF_: ; @_ZN7rocprim17ROCPRIM_400000_NS6detail17trampoline_kernelINS0_14default_configENS1_38merge_sort_block_merge_config_selectorIfNS0_10empty_typeEEEZZNS1_27merge_sort_block_merge_implIS3_PfPS5_jNS1_19radix_merge_compareILb0ELb0EfNS0_19identity_decomposerEEEEE10hipError_tT0_T1_T2_jT3_P12ihipStream_tbPNSt15iterator_traitsISE_E10value_typeEPNSK_ISF_E10value_typeEPSG_NS1_7vsmem_tEENKUlT_SE_SF_SG_E_clIS8_S8_S9_S9_EESD_ST_SE_SF_SG_EUlST_E_NS1_11comp_targetILNS1_3genE9ELNS1_11target_archE1100ELNS1_3gpuE3ELNS1_3repE0EEENS1_48merge_mergepath_partition_config_static_selectorELNS0_4arch9wavefront6targetE1EEEvSF_
; %bb.0:
	.section	.rodata,"a",@progbits
	.p2align	6, 0x0
	.amdhsa_kernel _ZN7rocprim17ROCPRIM_400000_NS6detail17trampoline_kernelINS0_14default_configENS1_38merge_sort_block_merge_config_selectorIfNS0_10empty_typeEEEZZNS1_27merge_sort_block_merge_implIS3_PfPS5_jNS1_19radix_merge_compareILb0ELb0EfNS0_19identity_decomposerEEEEE10hipError_tT0_T1_T2_jT3_P12ihipStream_tbPNSt15iterator_traitsISE_E10value_typeEPNSK_ISF_E10value_typeEPSG_NS1_7vsmem_tEENKUlT_SE_SF_SG_E_clIS8_S8_S9_S9_EESD_ST_SE_SF_SG_EUlST_E_NS1_11comp_targetILNS1_3genE9ELNS1_11target_archE1100ELNS1_3gpuE3ELNS1_3repE0EEENS1_48merge_mergepath_partition_config_static_selectorELNS0_4arch9wavefront6targetE1EEEvSF_
		.amdhsa_group_segment_fixed_size 0
		.amdhsa_private_segment_fixed_size 0
		.amdhsa_kernarg_size 40
		.amdhsa_user_sgpr_count 6
		.amdhsa_user_sgpr_private_segment_buffer 1
		.amdhsa_user_sgpr_dispatch_ptr 0
		.amdhsa_user_sgpr_queue_ptr 0
		.amdhsa_user_sgpr_kernarg_segment_ptr 1
		.amdhsa_user_sgpr_dispatch_id 0
		.amdhsa_user_sgpr_flat_scratch_init 0
		.amdhsa_user_sgpr_kernarg_preload_length 0
		.amdhsa_user_sgpr_kernarg_preload_offset 0
		.amdhsa_user_sgpr_private_segment_size 0
		.amdhsa_uses_dynamic_stack 0
		.amdhsa_system_sgpr_private_segment_wavefront_offset 0
		.amdhsa_system_sgpr_workgroup_id_x 1
		.amdhsa_system_sgpr_workgroup_id_y 0
		.amdhsa_system_sgpr_workgroup_id_z 0
		.amdhsa_system_sgpr_workgroup_info 0
		.amdhsa_system_vgpr_workitem_id 0
		.amdhsa_next_free_vgpr 1
		.amdhsa_next_free_sgpr 0
		.amdhsa_accum_offset 4
		.amdhsa_reserve_vcc 0
		.amdhsa_reserve_flat_scratch 0
		.amdhsa_float_round_mode_32 0
		.amdhsa_float_round_mode_16_64 0
		.amdhsa_float_denorm_mode_32 3
		.amdhsa_float_denorm_mode_16_64 3
		.amdhsa_dx10_clamp 1
		.amdhsa_ieee_mode 1
		.amdhsa_fp16_overflow 0
		.amdhsa_tg_split 0
		.amdhsa_exception_fp_ieee_invalid_op 0
		.amdhsa_exception_fp_denorm_src 0
		.amdhsa_exception_fp_ieee_div_zero 0
		.amdhsa_exception_fp_ieee_overflow 0
		.amdhsa_exception_fp_ieee_underflow 0
		.amdhsa_exception_fp_ieee_inexact 0
		.amdhsa_exception_int_div_zero 0
	.end_amdhsa_kernel
	.section	.text._ZN7rocprim17ROCPRIM_400000_NS6detail17trampoline_kernelINS0_14default_configENS1_38merge_sort_block_merge_config_selectorIfNS0_10empty_typeEEEZZNS1_27merge_sort_block_merge_implIS3_PfPS5_jNS1_19radix_merge_compareILb0ELb0EfNS0_19identity_decomposerEEEEE10hipError_tT0_T1_T2_jT3_P12ihipStream_tbPNSt15iterator_traitsISE_E10value_typeEPNSK_ISF_E10value_typeEPSG_NS1_7vsmem_tEENKUlT_SE_SF_SG_E_clIS8_S8_S9_S9_EESD_ST_SE_SF_SG_EUlST_E_NS1_11comp_targetILNS1_3genE9ELNS1_11target_archE1100ELNS1_3gpuE3ELNS1_3repE0EEENS1_48merge_mergepath_partition_config_static_selectorELNS0_4arch9wavefront6targetE1EEEvSF_,"axG",@progbits,_ZN7rocprim17ROCPRIM_400000_NS6detail17trampoline_kernelINS0_14default_configENS1_38merge_sort_block_merge_config_selectorIfNS0_10empty_typeEEEZZNS1_27merge_sort_block_merge_implIS3_PfPS5_jNS1_19radix_merge_compareILb0ELb0EfNS0_19identity_decomposerEEEEE10hipError_tT0_T1_T2_jT3_P12ihipStream_tbPNSt15iterator_traitsISE_E10value_typeEPNSK_ISF_E10value_typeEPSG_NS1_7vsmem_tEENKUlT_SE_SF_SG_E_clIS8_S8_S9_S9_EESD_ST_SE_SF_SG_EUlST_E_NS1_11comp_targetILNS1_3genE9ELNS1_11target_archE1100ELNS1_3gpuE3ELNS1_3repE0EEENS1_48merge_mergepath_partition_config_static_selectorELNS0_4arch9wavefront6targetE1EEEvSF_,comdat
.Lfunc_end1242:
	.size	_ZN7rocprim17ROCPRIM_400000_NS6detail17trampoline_kernelINS0_14default_configENS1_38merge_sort_block_merge_config_selectorIfNS0_10empty_typeEEEZZNS1_27merge_sort_block_merge_implIS3_PfPS5_jNS1_19radix_merge_compareILb0ELb0EfNS0_19identity_decomposerEEEEE10hipError_tT0_T1_T2_jT3_P12ihipStream_tbPNSt15iterator_traitsISE_E10value_typeEPNSK_ISF_E10value_typeEPSG_NS1_7vsmem_tEENKUlT_SE_SF_SG_E_clIS8_S8_S9_S9_EESD_ST_SE_SF_SG_EUlST_E_NS1_11comp_targetILNS1_3genE9ELNS1_11target_archE1100ELNS1_3gpuE3ELNS1_3repE0EEENS1_48merge_mergepath_partition_config_static_selectorELNS0_4arch9wavefront6targetE1EEEvSF_, .Lfunc_end1242-_ZN7rocprim17ROCPRIM_400000_NS6detail17trampoline_kernelINS0_14default_configENS1_38merge_sort_block_merge_config_selectorIfNS0_10empty_typeEEEZZNS1_27merge_sort_block_merge_implIS3_PfPS5_jNS1_19radix_merge_compareILb0ELb0EfNS0_19identity_decomposerEEEEE10hipError_tT0_T1_T2_jT3_P12ihipStream_tbPNSt15iterator_traitsISE_E10value_typeEPNSK_ISF_E10value_typeEPSG_NS1_7vsmem_tEENKUlT_SE_SF_SG_E_clIS8_S8_S9_S9_EESD_ST_SE_SF_SG_EUlST_E_NS1_11comp_targetILNS1_3genE9ELNS1_11target_archE1100ELNS1_3gpuE3ELNS1_3repE0EEENS1_48merge_mergepath_partition_config_static_selectorELNS0_4arch9wavefront6targetE1EEEvSF_
                                        ; -- End function
	.section	.AMDGPU.csdata,"",@progbits
; Kernel info:
; codeLenInByte = 0
; NumSgprs: 4
; NumVgprs: 0
; NumAgprs: 0
; TotalNumVgprs: 0
; ScratchSize: 0
; MemoryBound: 0
; FloatMode: 240
; IeeeMode: 1
; LDSByteSize: 0 bytes/workgroup (compile time only)
; SGPRBlocks: 0
; VGPRBlocks: 0
; NumSGPRsForWavesPerEU: 4
; NumVGPRsForWavesPerEU: 1
; AccumOffset: 4
; Occupancy: 8
; WaveLimiterHint : 0
; COMPUTE_PGM_RSRC2:SCRATCH_EN: 0
; COMPUTE_PGM_RSRC2:USER_SGPR: 6
; COMPUTE_PGM_RSRC2:TRAP_HANDLER: 0
; COMPUTE_PGM_RSRC2:TGID_X_EN: 1
; COMPUTE_PGM_RSRC2:TGID_Y_EN: 0
; COMPUTE_PGM_RSRC2:TGID_Z_EN: 0
; COMPUTE_PGM_RSRC2:TIDIG_COMP_CNT: 0
; COMPUTE_PGM_RSRC3_GFX90A:ACCUM_OFFSET: 0
; COMPUTE_PGM_RSRC3_GFX90A:TG_SPLIT: 0
	.section	.text._ZN7rocprim17ROCPRIM_400000_NS6detail17trampoline_kernelINS0_14default_configENS1_38merge_sort_block_merge_config_selectorIfNS0_10empty_typeEEEZZNS1_27merge_sort_block_merge_implIS3_PfPS5_jNS1_19radix_merge_compareILb0ELb0EfNS0_19identity_decomposerEEEEE10hipError_tT0_T1_T2_jT3_P12ihipStream_tbPNSt15iterator_traitsISE_E10value_typeEPNSK_ISF_E10value_typeEPSG_NS1_7vsmem_tEENKUlT_SE_SF_SG_E_clIS8_S8_S9_S9_EESD_ST_SE_SF_SG_EUlST_E_NS1_11comp_targetILNS1_3genE8ELNS1_11target_archE1030ELNS1_3gpuE2ELNS1_3repE0EEENS1_48merge_mergepath_partition_config_static_selectorELNS0_4arch9wavefront6targetE1EEEvSF_,"axG",@progbits,_ZN7rocprim17ROCPRIM_400000_NS6detail17trampoline_kernelINS0_14default_configENS1_38merge_sort_block_merge_config_selectorIfNS0_10empty_typeEEEZZNS1_27merge_sort_block_merge_implIS3_PfPS5_jNS1_19radix_merge_compareILb0ELb0EfNS0_19identity_decomposerEEEEE10hipError_tT0_T1_T2_jT3_P12ihipStream_tbPNSt15iterator_traitsISE_E10value_typeEPNSK_ISF_E10value_typeEPSG_NS1_7vsmem_tEENKUlT_SE_SF_SG_E_clIS8_S8_S9_S9_EESD_ST_SE_SF_SG_EUlST_E_NS1_11comp_targetILNS1_3genE8ELNS1_11target_archE1030ELNS1_3gpuE2ELNS1_3repE0EEENS1_48merge_mergepath_partition_config_static_selectorELNS0_4arch9wavefront6targetE1EEEvSF_,comdat
	.protected	_ZN7rocprim17ROCPRIM_400000_NS6detail17trampoline_kernelINS0_14default_configENS1_38merge_sort_block_merge_config_selectorIfNS0_10empty_typeEEEZZNS1_27merge_sort_block_merge_implIS3_PfPS5_jNS1_19radix_merge_compareILb0ELb0EfNS0_19identity_decomposerEEEEE10hipError_tT0_T1_T2_jT3_P12ihipStream_tbPNSt15iterator_traitsISE_E10value_typeEPNSK_ISF_E10value_typeEPSG_NS1_7vsmem_tEENKUlT_SE_SF_SG_E_clIS8_S8_S9_S9_EESD_ST_SE_SF_SG_EUlST_E_NS1_11comp_targetILNS1_3genE8ELNS1_11target_archE1030ELNS1_3gpuE2ELNS1_3repE0EEENS1_48merge_mergepath_partition_config_static_selectorELNS0_4arch9wavefront6targetE1EEEvSF_ ; -- Begin function _ZN7rocprim17ROCPRIM_400000_NS6detail17trampoline_kernelINS0_14default_configENS1_38merge_sort_block_merge_config_selectorIfNS0_10empty_typeEEEZZNS1_27merge_sort_block_merge_implIS3_PfPS5_jNS1_19radix_merge_compareILb0ELb0EfNS0_19identity_decomposerEEEEE10hipError_tT0_T1_T2_jT3_P12ihipStream_tbPNSt15iterator_traitsISE_E10value_typeEPNSK_ISF_E10value_typeEPSG_NS1_7vsmem_tEENKUlT_SE_SF_SG_E_clIS8_S8_S9_S9_EESD_ST_SE_SF_SG_EUlST_E_NS1_11comp_targetILNS1_3genE8ELNS1_11target_archE1030ELNS1_3gpuE2ELNS1_3repE0EEENS1_48merge_mergepath_partition_config_static_selectorELNS0_4arch9wavefront6targetE1EEEvSF_
	.globl	_ZN7rocprim17ROCPRIM_400000_NS6detail17trampoline_kernelINS0_14default_configENS1_38merge_sort_block_merge_config_selectorIfNS0_10empty_typeEEEZZNS1_27merge_sort_block_merge_implIS3_PfPS5_jNS1_19radix_merge_compareILb0ELb0EfNS0_19identity_decomposerEEEEE10hipError_tT0_T1_T2_jT3_P12ihipStream_tbPNSt15iterator_traitsISE_E10value_typeEPNSK_ISF_E10value_typeEPSG_NS1_7vsmem_tEENKUlT_SE_SF_SG_E_clIS8_S8_S9_S9_EESD_ST_SE_SF_SG_EUlST_E_NS1_11comp_targetILNS1_3genE8ELNS1_11target_archE1030ELNS1_3gpuE2ELNS1_3repE0EEENS1_48merge_mergepath_partition_config_static_selectorELNS0_4arch9wavefront6targetE1EEEvSF_
	.p2align	8
	.type	_ZN7rocprim17ROCPRIM_400000_NS6detail17trampoline_kernelINS0_14default_configENS1_38merge_sort_block_merge_config_selectorIfNS0_10empty_typeEEEZZNS1_27merge_sort_block_merge_implIS3_PfPS5_jNS1_19radix_merge_compareILb0ELb0EfNS0_19identity_decomposerEEEEE10hipError_tT0_T1_T2_jT3_P12ihipStream_tbPNSt15iterator_traitsISE_E10value_typeEPNSK_ISF_E10value_typeEPSG_NS1_7vsmem_tEENKUlT_SE_SF_SG_E_clIS8_S8_S9_S9_EESD_ST_SE_SF_SG_EUlST_E_NS1_11comp_targetILNS1_3genE8ELNS1_11target_archE1030ELNS1_3gpuE2ELNS1_3repE0EEENS1_48merge_mergepath_partition_config_static_selectorELNS0_4arch9wavefront6targetE1EEEvSF_,@function
_ZN7rocprim17ROCPRIM_400000_NS6detail17trampoline_kernelINS0_14default_configENS1_38merge_sort_block_merge_config_selectorIfNS0_10empty_typeEEEZZNS1_27merge_sort_block_merge_implIS3_PfPS5_jNS1_19radix_merge_compareILb0ELb0EfNS0_19identity_decomposerEEEEE10hipError_tT0_T1_T2_jT3_P12ihipStream_tbPNSt15iterator_traitsISE_E10value_typeEPNSK_ISF_E10value_typeEPSG_NS1_7vsmem_tEENKUlT_SE_SF_SG_E_clIS8_S8_S9_S9_EESD_ST_SE_SF_SG_EUlST_E_NS1_11comp_targetILNS1_3genE8ELNS1_11target_archE1030ELNS1_3gpuE2ELNS1_3repE0EEENS1_48merge_mergepath_partition_config_static_selectorELNS0_4arch9wavefront6targetE1EEEvSF_: ; @_ZN7rocprim17ROCPRIM_400000_NS6detail17trampoline_kernelINS0_14default_configENS1_38merge_sort_block_merge_config_selectorIfNS0_10empty_typeEEEZZNS1_27merge_sort_block_merge_implIS3_PfPS5_jNS1_19radix_merge_compareILb0ELb0EfNS0_19identity_decomposerEEEEE10hipError_tT0_T1_T2_jT3_P12ihipStream_tbPNSt15iterator_traitsISE_E10value_typeEPNSK_ISF_E10value_typeEPSG_NS1_7vsmem_tEENKUlT_SE_SF_SG_E_clIS8_S8_S9_S9_EESD_ST_SE_SF_SG_EUlST_E_NS1_11comp_targetILNS1_3genE8ELNS1_11target_archE1030ELNS1_3gpuE2ELNS1_3repE0EEENS1_48merge_mergepath_partition_config_static_selectorELNS0_4arch9wavefront6targetE1EEEvSF_
; %bb.0:
	.section	.rodata,"a",@progbits
	.p2align	6, 0x0
	.amdhsa_kernel _ZN7rocprim17ROCPRIM_400000_NS6detail17trampoline_kernelINS0_14default_configENS1_38merge_sort_block_merge_config_selectorIfNS0_10empty_typeEEEZZNS1_27merge_sort_block_merge_implIS3_PfPS5_jNS1_19radix_merge_compareILb0ELb0EfNS0_19identity_decomposerEEEEE10hipError_tT0_T1_T2_jT3_P12ihipStream_tbPNSt15iterator_traitsISE_E10value_typeEPNSK_ISF_E10value_typeEPSG_NS1_7vsmem_tEENKUlT_SE_SF_SG_E_clIS8_S8_S9_S9_EESD_ST_SE_SF_SG_EUlST_E_NS1_11comp_targetILNS1_3genE8ELNS1_11target_archE1030ELNS1_3gpuE2ELNS1_3repE0EEENS1_48merge_mergepath_partition_config_static_selectorELNS0_4arch9wavefront6targetE1EEEvSF_
		.amdhsa_group_segment_fixed_size 0
		.amdhsa_private_segment_fixed_size 0
		.amdhsa_kernarg_size 40
		.amdhsa_user_sgpr_count 6
		.amdhsa_user_sgpr_private_segment_buffer 1
		.amdhsa_user_sgpr_dispatch_ptr 0
		.amdhsa_user_sgpr_queue_ptr 0
		.amdhsa_user_sgpr_kernarg_segment_ptr 1
		.amdhsa_user_sgpr_dispatch_id 0
		.amdhsa_user_sgpr_flat_scratch_init 0
		.amdhsa_user_sgpr_kernarg_preload_length 0
		.amdhsa_user_sgpr_kernarg_preload_offset 0
		.amdhsa_user_sgpr_private_segment_size 0
		.amdhsa_uses_dynamic_stack 0
		.amdhsa_system_sgpr_private_segment_wavefront_offset 0
		.amdhsa_system_sgpr_workgroup_id_x 1
		.amdhsa_system_sgpr_workgroup_id_y 0
		.amdhsa_system_sgpr_workgroup_id_z 0
		.amdhsa_system_sgpr_workgroup_info 0
		.amdhsa_system_vgpr_workitem_id 0
		.amdhsa_next_free_vgpr 1
		.amdhsa_next_free_sgpr 0
		.amdhsa_accum_offset 4
		.amdhsa_reserve_vcc 0
		.amdhsa_reserve_flat_scratch 0
		.amdhsa_float_round_mode_32 0
		.amdhsa_float_round_mode_16_64 0
		.amdhsa_float_denorm_mode_32 3
		.amdhsa_float_denorm_mode_16_64 3
		.amdhsa_dx10_clamp 1
		.amdhsa_ieee_mode 1
		.amdhsa_fp16_overflow 0
		.amdhsa_tg_split 0
		.amdhsa_exception_fp_ieee_invalid_op 0
		.amdhsa_exception_fp_denorm_src 0
		.amdhsa_exception_fp_ieee_div_zero 0
		.amdhsa_exception_fp_ieee_overflow 0
		.amdhsa_exception_fp_ieee_underflow 0
		.amdhsa_exception_fp_ieee_inexact 0
		.amdhsa_exception_int_div_zero 0
	.end_amdhsa_kernel
	.section	.text._ZN7rocprim17ROCPRIM_400000_NS6detail17trampoline_kernelINS0_14default_configENS1_38merge_sort_block_merge_config_selectorIfNS0_10empty_typeEEEZZNS1_27merge_sort_block_merge_implIS3_PfPS5_jNS1_19radix_merge_compareILb0ELb0EfNS0_19identity_decomposerEEEEE10hipError_tT0_T1_T2_jT3_P12ihipStream_tbPNSt15iterator_traitsISE_E10value_typeEPNSK_ISF_E10value_typeEPSG_NS1_7vsmem_tEENKUlT_SE_SF_SG_E_clIS8_S8_S9_S9_EESD_ST_SE_SF_SG_EUlST_E_NS1_11comp_targetILNS1_3genE8ELNS1_11target_archE1030ELNS1_3gpuE2ELNS1_3repE0EEENS1_48merge_mergepath_partition_config_static_selectorELNS0_4arch9wavefront6targetE1EEEvSF_,"axG",@progbits,_ZN7rocprim17ROCPRIM_400000_NS6detail17trampoline_kernelINS0_14default_configENS1_38merge_sort_block_merge_config_selectorIfNS0_10empty_typeEEEZZNS1_27merge_sort_block_merge_implIS3_PfPS5_jNS1_19radix_merge_compareILb0ELb0EfNS0_19identity_decomposerEEEEE10hipError_tT0_T1_T2_jT3_P12ihipStream_tbPNSt15iterator_traitsISE_E10value_typeEPNSK_ISF_E10value_typeEPSG_NS1_7vsmem_tEENKUlT_SE_SF_SG_E_clIS8_S8_S9_S9_EESD_ST_SE_SF_SG_EUlST_E_NS1_11comp_targetILNS1_3genE8ELNS1_11target_archE1030ELNS1_3gpuE2ELNS1_3repE0EEENS1_48merge_mergepath_partition_config_static_selectorELNS0_4arch9wavefront6targetE1EEEvSF_,comdat
.Lfunc_end1243:
	.size	_ZN7rocprim17ROCPRIM_400000_NS6detail17trampoline_kernelINS0_14default_configENS1_38merge_sort_block_merge_config_selectorIfNS0_10empty_typeEEEZZNS1_27merge_sort_block_merge_implIS3_PfPS5_jNS1_19radix_merge_compareILb0ELb0EfNS0_19identity_decomposerEEEEE10hipError_tT0_T1_T2_jT3_P12ihipStream_tbPNSt15iterator_traitsISE_E10value_typeEPNSK_ISF_E10value_typeEPSG_NS1_7vsmem_tEENKUlT_SE_SF_SG_E_clIS8_S8_S9_S9_EESD_ST_SE_SF_SG_EUlST_E_NS1_11comp_targetILNS1_3genE8ELNS1_11target_archE1030ELNS1_3gpuE2ELNS1_3repE0EEENS1_48merge_mergepath_partition_config_static_selectorELNS0_4arch9wavefront6targetE1EEEvSF_, .Lfunc_end1243-_ZN7rocprim17ROCPRIM_400000_NS6detail17trampoline_kernelINS0_14default_configENS1_38merge_sort_block_merge_config_selectorIfNS0_10empty_typeEEEZZNS1_27merge_sort_block_merge_implIS3_PfPS5_jNS1_19radix_merge_compareILb0ELb0EfNS0_19identity_decomposerEEEEE10hipError_tT0_T1_T2_jT3_P12ihipStream_tbPNSt15iterator_traitsISE_E10value_typeEPNSK_ISF_E10value_typeEPSG_NS1_7vsmem_tEENKUlT_SE_SF_SG_E_clIS8_S8_S9_S9_EESD_ST_SE_SF_SG_EUlST_E_NS1_11comp_targetILNS1_3genE8ELNS1_11target_archE1030ELNS1_3gpuE2ELNS1_3repE0EEENS1_48merge_mergepath_partition_config_static_selectorELNS0_4arch9wavefront6targetE1EEEvSF_
                                        ; -- End function
	.section	.AMDGPU.csdata,"",@progbits
; Kernel info:
; codeLenInByte = 0
; NumSgprs: 4
; NumVgprs: 0
; NumAgprs: 0
; TotalNumVgprs: 0
; ScratchSize: 0
; MemoryBound: 0
; FloatMode: 240
; IeeeMode: 1
; LDSByteSize: 0 bytes/workgroup (compile time only)
; SGPRBlocks: 0
; VGPRBlocks: 0
; NumSGPRsForWavesPerEU: 4
; NumVGPRsForWavesPerEU: 1
; AccumOffset: 4
; Occupancy: 8
; WaveLimiterHint : 0
; COMPUTE_PGM_RSRC2:SCRATCH_EN: 0
; COMPUTE_PGM_RSRC2:USER_SGPR: 6
; COMPUTE_PGM_RSRC2:TRAP_HANDLER: 0
; COMPUTE_PGM_RSRC2:TGID_X_EN: 1
; COMPUTE_PGM_RSRC2:TGID_Y_EN: 0
; COMPUTE_PGM_RSRC2:TGID_Z_EN: 0
; COMPUTE_PGM_RSRC2:TIDIG_COMP_CNT: 0
; COMPUTE_PGM_RSRC3_GFX90A:ACCUM_OFFSET: 0
; COMPUTE_PGM_RSRC3_GFX90A:TG_SPLIT: 0
	.section	.text._ZN7rocprim17ROCPRIM_400000_NS6detail17trampoline_kernelINS0_14default_configENS1_38merge_sort_block_merge_config_selectorIfNS0_10empty_typeEEEZZNS1_27merge_sort_block_merge_implIS3_PfPS5_jNS1_19radix_merge_compareILb0ELb0EfNS0_19identity_decomposerEEEEE10hipError_tT0_T1_T2_jT3_P12ihipStream_tbPNSt15iterator_traitsISE_E10value_typeEPNSK_ISF_E10value_typeEPSG_NS1_7vsmem_tEENKUlT_SE_SF_SG_E_clIS8_S8_S9_S9_EESD_ST_SE_SF_SG_EUlST_E0_NS1_11comp_targetILNS1_3genE0ELNS1_11target_archE4294967295ELNS1_3gpuE0ELNS1_3repE0EEENS1_38merge_mergepath_config_static_selectorELNS0_4arch9wavefront6targetE1EEEvSF_,"axG",@progbits,_ZN7rocprim17ROCPRIM_400000_NS6detail17trampoline_kernelINS0_14default_configENS1_38merge_sort_block_merge_config_selectorIfNS0_10empty_typeEEEZZNS1_27merge_sort_block_merge_implIS3_PfPS5_jNS1_19radix_merge_compareILb0ELb0EfNS0_19identity_decomposerEEEEE10hipError_tT0_T1_T2_jT3_P12ihipStream_tbPNSt15iterator_traitsISE_E10value_typeEPNSK_ISF_E10value_typeEPSG_NS1_7vsmem_tEENKUlT_SE_SF_SG_E_clIS8_S8_S9_S9_EESD_ST_SE_SF_SG_EUlST_E0_NS1_11comp_targetILNS1_3genE0ELNS1_11target_archE4294967295ELNS1_3gpuE0ELNS1_3repE0EEENS1_38merge_mergepath_config_static_selectorELNS0_4arch9wavefront6targetE1EEEvSF_,comdat
	.protected	_ZN7rocprim17ROCPRIM_400000_NS6detail17trampoline_kernelINS0_14default_configENS1_38merge_sort_block_merge_config_selectorIfNS0_10empty_typeEEEZZNS1_27merge_sort_block_merge_implIS3_PfPS5_jNS1_19radix_merge_compareILb0ELb0EfNS0_19identity_decomposerEEEEE10hipError_tT0_T1_T2_jT3_P12ihipStream_tbPNSt15iterator_traitsISE_E10value_typeEPNSK_ISF_E10value_typeEPSG_NS1_7vsmem_tEENKUlT_SE_SF_SG_E_clIS8_S8_S9_S9_EESD_ST_SE_SF_SG_EUlST_E0_NS1_11comp_targetILNS1_3genE0ELNS1_11target_archE4294967295ELNS1_3gpuE0ELNS1_3repE0EEENS1_38merge_mergepath_config_static_selectorELNS0_4arch9wavefront6targetE1EEEvSF_ ; -- Begin function _ZN7rocprim17ROCPRIM_400000_NS6detail17trampoline_kernelINS0_14default_configENS1_38merge_sort_block_merge_config_selectorIfNS0_10empty_typeEEEZZNS1_27merge_sort_block_merge_implIS3_PfPS5_jNS1_19radix_merge_compareILb0ELb0EfNS0_19identity_decomposerEEEEE10hipError_tT0_T1_T2_jT3_P12ihipStream_tbPNSt15iterator_traitsISE_E10value_typeEPNSK_ISF_E10value_typeEPSG_NS1_7vsmem_tEENKUlT_SE_SF_SG_E_clIS8_S8_S9_S9_EESD_ST_SE_SF_SG_EUlST_E0_NS1_11comp_targetILNS1_3genE0ELNS1_11target_archE4294967295ELNS1_3gpuE0ELNS1_3repE0EEENS1_38merge_mergepath_config_static_selectorELNS0_4arch9wavefront6targetE1EEEvSF_
	.globl	_ZN7rocprim17ROCPRIM_400000_NS6detail17trampoline_kernelINS0_14default_configENS1_38merge_sort_block_merge_config_selectorIfNS0_10empty_typeEEEZZNS1_27merge_sort_block_merge_implIS3_PfPS5_jNS1_19radix_merge_compareILb0ELb0EfNS0_19identity_decomposerEEEEE10hipError_tT0_T1_T2_jT3_P12ihipStream_tbPNSt15iterator_traitsISE_E10value_typeEPNSK_ISF_E10value_typeEPSG_NS1_7vsmem_tEENKUlT_SE_SF_SG_E_clIS8_S8_S9_S9_EESD_ST_SE_SF_SG_EUlST_E0_NS1_11comp_targetILNS1_3genE0ELNS1_11target_archE4294967295ELNS1_3gpuE0ELNS1_3repE0EEENS1_38merge_mergepath_config_static_selectorELNS0_4arch9wavefront6targetE1EEEvSF_
	.p2align	8
	.type	_ZN7rocprim17ROCPRIM_400000_NS6detail17trampoline_kernelINS0_14default_configENS1_38merge_sort_block_merge_config_selectorIfNS0_10empty_typeEEEZZNS1_27merge_sort_block_merge_implIS3_PfPS5_jNS1_19radix_merge_compareILb0ELb0EfNS0_19identity_decomposerEEEEE10hipError_tT0_T1_T2_jT3_P12ihipStream_tbPNSt15iterator_traitsISE_E10value_typeEPNSK_ISF_E10value_typeEPSG_NS1_7vsmem_tEENKUlT_SE_SF_SG_E_clIS8_S8_S9_S9_EESD_ST_SE_SF_SG_EUlST_E0_NS1_11comp_targetILNS1_3genE0ELNS1_11target_archE4294967295ELNS1_3gpuE0ELNS1_3repE0EEENS1_38merge_mergepath_config_static_selectorELNS0_4arch9wavefront6targetE1EEEvSF_,@function
_ZN7rocprim17ROCPRIM_400000_NS6detail17trampoline_kernelINS0_14default_configENS1_38merge_sort_block_merge_config_selectorIfNS0_10empty_typeEEEZZNS1_27merge_sort_block_merge_implIS3_PfPS5_jNS1_19radix_merge_compareILb0ELb0EfNS0_19identity_decomposerEEEEE10hipError_tT0_T1_T2_jT3_P12ihipStream_tbPNSt15iterator_traitsISE_E10value_typeEPNSK_ISF_E10value_typeEPSG_NS1_7vsmem_tEENKUlT_SE_SF_SG_E_clIS8_S8_S9_S9_EESD_ST_SE_SF_SG_EUlST_E0_NS1_11comp_targetILNS1_3genE0ELNS1_11target_archE4294967295ELNS1_3gpuE0ELNS1_3repE0EEENS1_38merge_mergepath_config_static_selectorELNS0_4arch9wavefront6targetE1EEEvSF_: ; @_ZN7rocprim17ROCPRIM_400000_NS6detail17trampoline_kernelINS0_14default_configENS1_38merge_sort_block_merge_config_selectorIfNS0_10empty_typeEEEZZNS1_27merge_sort_block_merge_implIS3_PfPS5_jNS1_19radix_merge_compareILb0ELb0EfNS0_19identity_decomposerEEEEE10hipError_tT0_T1_T2_jT3_P12ihipStream_tbPNSt15iterator_traitsISE_E10value_typeEPNSK_ISF_E10value_typeEPSG_NS1_7vsmem_tEENKUlT_SE_SF_SG_E_clIS8_S8_S9_S9_EESD_ST_SE_SF_SG_EUlST_E0_NS1_11comp_targetILNS1_3genE0ELNS1_11target_archE4294967295ELNS1_3gpuE0ELNS1_3repE0EEENS1_38merge_mergepath_config_static_selectorELNS0_4arch9wavefront6targetE1EEEvSF_
; %bb.0:
	.section	.rodata,"a",@progbits
	.p2align	6, 0x0
	.amdhsa_kernel _ZN7rocprim17ROCPRIM_400000_NS6detail17trampoline_kernelINS0_14default_configENS1_38merge_sort_block_merge_config_selectorIfNS0_10empty_typeEEEZZNS1_27merge_sort_block_merge_implIS3_PfPS5_jNS1_19radix_merge_compareILb0ELb0EfNS0_19identity_decomposerEEEEE10hipError_tT0_T1_T2_jT3_P12ihipStream_tbPNSt15iterator_traitsISE_E10value_typeEPNSK_ISF_E10value_typeEPSG_NS1_7vsmem_tEENKUlT_SE_SF_SG_E_clIS8_S8_S9_S9_EESD_ST_SE_SF_SG_EUlST_E0_NS1_11comp_targetILNS1_3genE0ELNS1_11target_archE4294967295ELNS1_3gpuE0ELNS1_3repE0EEENS1_38merge_mergepath_config_static_selectorELNS0_4arch9wavefront6targetE1EEEvSF_
		.amdhsa_group_segment_fixed_size 0
		.amdhsa_private_segment_fixed_size 0
		.amdhsa_kernarg_size 64
		.amdhsa_user_sgpr_count 6
		.amdhsa_user_sgpr_private_segment_buffer 1
		.amdhsa_user_sgpr_dispatch_ptr 0
		.amdhsa_user_sgpr_queue_ptr 0
		.amdhsa_user_sgpr_kernarg_segment_ptr 1
		.amdhsa_user_sgpr_dispatch_id 0
		.amdhsa_user_sgpr_flat_scratch_init 0
		.amdhsa_user_sgpr_kernarg_preload_length 0
		.amdhsa_user_sgpr_kernarg_preload_offset 0
		.amdhsa_user_sgpr_private_segment_size 0
		.amdhsa_uses_dynamic_stack 0
		.amdhsa_system_sgpr_private_segment_wavefront_offset 0
		.amdhsa_system_sgpr_workgroup_id_x 1
		.amdhsa_system_sgpr_workgroup_id_y 0
		.amdhsa_system_sgpr_workgroup_id_z 0
		.amdhsa_system_sgpr_workgroup_info 0
		.amdhsa_system_vgpr_workitem_id 0
		.amdhsa_next_free_vgpr 1
		.amdhsa_next_free_sgpr 0
		.amdhsa_accum_offset 4
		.amdhsa_reserve_vcc 0
		.amdhsa_reserve_flat_scratch 0
		.amdhsa_float_round_mode_32 0
		.amdhsa_float_round_mode_16_64 0
		.amdhsa_float_denorm_mode_32 3
		.amdhsa_float_denorm_mode_16_64 3
		.amdhsa_dx10_clamp 1
		.amdhsa_ieee_mode 1
		.amdhsa_fp16_overflow 0
		.amdhsa_tg_split 0
		.amdhsa_exception_fp_ieee_invalid_op 0
		.amdhsa_exception_fp_denorm_src 0
		.amdhsa_exception_fp_ieee_div_zero 0
		.amdhsa_exception_fp_ieee_overflow 0
		.amdhsa_exception_fp_ieee_underflow 0
		.amdhsa_exception_fp_ieee_inexact 0
		.amdhsa_exception_int_div_zero 0
	.end_amdhsa_kernel
	.section	.text._ZN7rocprim17ROCPRIM_400000_NS6detail17trampoline_kernelINS0_14default_configENS1_38merge_sort_block_merge_config_selectorIfNS0_10empty_typeEEEZZNS1_27merge_sort_block_merge_implIS3_PfPS5_jNS1_19radix_merge_compareILb0ELb0EfNS0_19identity_decomposerEEEEE10hipError_tT0_T1_T2_jT3_P12ihipStream_tbPNSt15iterator_traitsISE_E10value_typeEPNSK_ISF_E10value_typeEPSG_NS1_7vsmem_tEENKUlT_SE_SF_SG_E_clIS8_S8_S9_S9_EESD_ST_SE_SF_SG_EUlST_E0_NS1_11comp_targetILNS1_3genE0ELNS1_11target_archE4294967295ELNS1_3gpuE0ELNS1_3repE0EEENS1_38merge_mergepath_config_static_selectorELNS0_4arch9wavefront6targetE1EEEvSF_,"axG",@progbits,_ZN7rocprim17ROCPRIM_400000_NS6detail17trampoline_kernelINS0_14default_configENS1_38merge_sort_block_merge_config_selectorIfNS0_10empty_typeEEEZZNS1_27merge_sort_block_merge_implIS3_PfPS5_jNS1_19radix_merge_compareILb0ELb0EfNS0_19identity_decomposerEEEEE10hipError_tT0_T1_T2_jT3_P12ihipStream_tbPNSt15iterator_traitsISE_E10value_typeEPNSK_ISF_E10value_typeEPSG_NS1_7vsmem_tEENKUlT_SE_SF_SG_E_clIS8_S8_S9_S9_EESD_ST_SE_SF_SG_EUlST_E0_NS1_11comp_targetILNS1_3genE0ELNS1_11target_archE4294967295ELNS1_3gpuE0ELNS1_3repE0EEENS1_38merge_mergepath_config_static_selectorELNS0_4arch9wavefront6targetE1EEEvSF_,comdat
.Lfunc_end1244:
	.size	_ZN7rocprim17ROCPRIM_400000_NS6detail17trampoline_kernelINS0_14default_configENS1_38merge_sort_block_merge_config_selectorIfNS0_10empty_typeEEEZZNS1_27merge_sort_block_merge_implIS3_PfPS5_jNS1_19radix_merge_compareILb0ELb0EfNS0_19identity_decomposerEEEEE10hipError_tT0_T1_T2_jT3_P12ihipStream_tbPNSt15iterator_traitsISE_E10value_typeEPNSK_ISF_E10value_typeEPSG_NS1_7vsmem_tEENKUlT_SE_SF_SG_E_clIS8_S8_S9_S9_EESD_ST_SE_SF_SG_EUlST_E0_NS1_11comp_targetILNS1_3genE0ELNS1_11target_archE4294967295ELNS1_3gpuE0ELNS1_3repE0EEENS1_38merge_mergepath_config_static_selectorELNS0_4arch9wavefront6targetE1EEEvSF_, .Lfunc_end1244-_ZN7rocprim17ROCPRIM_400000_NS6detail17trampoline_kernelINS0_14default_configENS1_38merge_sort_block_merge_config_selectorIfNS0_10empty_typeEEEZZNS1_27merge_sort_block_merge_implIS3_PfPS5_jNS1_19radix_merge_compareILb0ELb0EfNS0_19identity_decomposerEEEEE10hipError_tT0_T1_T2_jT3_P12ihipStream_tbPNSt15iterator_traitsISE_E10value_typeEPNSK_ISF_E10value_typeEPSG_NS1_7vsmem_tEENKUlT_SE_SF_SG_E_clIS8_S8_S9_S9_EESD_ST_SE_SF_SG_EUlST_E0_NS1_11comp_targetILNS1_3genE0ELNS1_11target_archE4294967295ELNS1_3gpuE0ELNS1_3repE0EEENS1_38merge_mergepath_config_static_selectorELNS0_4arch9wavefront6targetE1EEEvSF_
                                        ; -- End function
	.section	.AMDGPU.csdata,"",@progbits
; Kernel info:
; codeLenInByte = 0
; NumSgprs: 4
; NumVgprs: 0
; NumAgprs: 0
; TotalNumVgprs: 0
; ScratchSize: 0
; MemoryBound: 0
; FloatMode: 240
; IeeeMode: 1
; LDSByteSize: 0 bytes/workgroup (compile time only)
; SGPRBlocks: 0
; VGPRBlocks: 0
; NumSGPRsForWavesPerEU: 4
; NumVGPRsForWavesPerEU: 1
; AccumOffset: 4
; Occupancy: 8
; WaveLimiterHint : 0
; COMPUTE_PGM_RSRC2:SCRATCH_EN: 0
; COMPUTE_PGM_RSRC2:USER_SGPR: 6
; COMPUTE_PGM_RSRC2:TRAP_HANDLER: 0
; COMPUTE_PGM_RSRC2:TGID_X_EN: 1
; COMPUTE_PGM_RSRC2:TGID_Y_EN: 0
; COMPUTE_PGM_RSRC2:TGID_Z_EN: 0
; COMPUTE_PGM_RSRC2:TIDIG_COMP_CNT: 0
; COMPUTE_PGM_RSRC3_GFX90A:ACCUM_OFFSET: 0
; COMPUTE_PGM_RSRC3_GFX90A:TG_SPLIT: 0
	.section	.text._ZN7rocprim17ROCPRIM_400000_NS6detail17trampoline_kernelINS0_14default_configENS1_38merge_sort_block_merge_config_selectorIfNS0_10empty_typeEEEZZNS1_27merge_sort_block_merge_implIS3_PfPS5_jNS1_19radix_merge_compareILb0ELb0EfNS0_19identity_decomposerEEEEE10hipError_tT0_T1_T2_jT3_P12ihipStream_tbPNSt15iterator_traitsISE_E10value_typeEPNSK_ISF_E10value_typeEPSG_NS1_7vsmem_tEENKUlT_SE_SF_SG_E_clIS8_S8_S9_S9_EESD_ST_SE_SF_SG_EUlST_E0_NS1_11comp_targetILNS1_3genE10ELNS1_11target_archE1201ELNS1_3gpuE5ELNS1_3repE0EEENS1_38merge_mergepath_config_static_selectorELNS0_4arch9wavefront6targetE1EEEvSF_,"axG",@progbits,_ZN7rocprim17ROCPRIM_400000_NS6detail17trampoline_kernelINS0_14default_configENS1_38merge_sort_block_merge_config_selectorIfNS0_10empty_typeEEEZZNS1_27merge_sort_block_merge_implIS3_PfPS5_jNS1_19radix_merge_compareILb0ELb0EfNS0_19identity_decomposerEEEEE10hipError_tT0_T1_T2_jT3_P12ihipStream_tbPNSt15iterator_traitsISE_E10value_typeEPNSK_ISF_E10value_typeEPSG_NS1_7vsmem_tEENKUlT_SE_SF_SG_E_clIS8_S8_S9_S9_EESD_ST_SE_SF_SG_EUlST_E0_NS1_11comp_targetILNS1_3genE10ELNS1_11target_archE1201ELNS1_3gpuE5ELNS1_3repE0EEENS1_38merge_mergepath_config_static_selectorELNS0_4arch9wavefront6targetE1EEEvSF_,comdat
	.protected	_ZN7rocprim17ROCPRIM_400000_NS6detail17trampoline_kernelINS0_14default_configENS1_38merge_sort_block_merge_config_selectorIfNS0_10empty_typeEEEZZNS1_27merge_sort_block_merge_implIS3_PfPS5_jNS1_19radix_merge_compareILb0ELb0EfNS0_19identity_decomposerEEEEE10hipError_tT0_T1_T2_jT3_P12ihipStream_tbPNSt15iterator_traitsISE_E10value_typeEPNSK_ISF_E10value_typeEPSG_NS1_7vsmem_tEENKUlT_SE_SF_SG_E_clIS8_S8_S9_S9_EESD_ST_SE_SF_SG_EUlST_E0_NS1_11comp_targetILNS1_3genE10ELNS1_11target_archE1201ELNS1_3gpuE5ELNS1_3repE0EEENS1_38merge_mergepath_config_static_selectorELNS0_4arch9wavefront6targetE1EEEvSF_ ; -- Begin function _ZN7rocprim17ROCPRIM_400000_NS6detail17trampoline_kernelINS0_14default_configENS1_38merge_sort_block_merge_config_selectorIfNS0_10empty_typeEEEZZNS1_27merge_sort_block_merge_implIS3_PfPS5_jNS1_19radix_merge_compareILb0ELb0EfNS0_19identity_decomposerEEEEE10hipError_tT0_T1_T2_jT3_P12ihipStream_tbPNSt15iterator_traitsISE_E10value_typeEPNSK_ISF_E10value_typeEPSG_NS1_7vsmem_tEENKUlT_SE_SF_SG_E_clIS8_S8_S9_S9_EESD_ST_SE_SF_SG_EUlST_E0_NS1_11comp_targetILNS1_3genE10ELNS1_11target_archE1201ELNS1_3gpuE5ELNS1_3repE0EEENS1_38merge_mergepath_config_static_selectorELNS0_4arch9wavefront6targetE1EEEvSF_
	.globl	_ZN7rocprim17ROCPRIM_400000_NS6detail17trampoline_kernelINS0_14default_configENS1_38merge_sort_block_merge_config_selectorIfNS0_10empty_typeEEEZZNS1_27merge_sort_block_merge_implIS3_PfPS5_jNS1_19radix_merge_compareILb0ELb0EfNS0_19identity_decomposerEEEEE10hipError_tT0_T1_T2_jT3_P12ihipStream_tbPNSt15iterator_traitsISE_E10value_typeEPNSK_ISF_E10value_typeEPSG_NS1_7vsmem_tEENKUlT_SE_SF_SG_E_clIS8_S8_S9_S9_EESD_ST_SE_SF_SG_EUlST_E0_NS1_11comp_targetILNS1_3genE10ELNS1_11target_archE1201ELNS1_3gpuE5ELNS1_3repE0EEENS1_38merge_mergepath_config_static_selectorELNS0_4arch9wavefront6targetE1EEEvSF_
	.p2align	8
	.type	_ZN7rocprim17ROCPRIM_400000_NS6detail17trampoline_kernelINS0_14default_configENS1_38merge_sort_block_merge_config_selectorIfNS0_10empty_typeEEEZZNS1_27merge_sort_block_merge_implIS3_PfPS5_jNS1_19radix_merge_compareILb0ELb0EfNS0_19identity_decomposerEEEEE10hipError_tT0_T1_T2_jT3_P12ihipStream_tbPNSt15iterator_traitsISE_E10value_typeEPNSK_ISF_E10value_typeEPSG_NS1_7vsmem_tEENKUlT_SE_SF_SG_E_clIS8_S8_S9_S9_EESD_ST_SE_SF_SG_EUlST_E0_NS1_11comp_targetILNS1_3genE10ELNS1_11target_archE1201ELNS1_3gpuE5ELNS1_3repE0EEENS1_38merge_mergepath_config_static_selectorELNS0_4arch9wavefront6targetE1EEEvSF_,@function
_ZN7rocprim17ROCPRIM_400000_NS6detail17trampoline_kernelINS0_14default_configENS1_38merge_sort_block_merge_config_selectorIfNS0_10empty_typeEEEZZNS1_27merge_sort_block_merge_implIS3_PfPS5_jNS1_19radix_merge_compareILb0ELb0EfNS0_19identity_decomposerEEEEE10hipError_tT0_T1_T2_jT3_P12ihipStream_tbPNSt15iterator_traitsISE_E10value_typeEPNSK_ISF_E10value_typeEPSG_NS1_7vsmem_tEENKUlT_SE_SF_SG_E_clIS8_S8_S9_S9_EESD_ST_SE_SF_SG_EUlST_E0_NS1_11comp_targetILNS1_3genE10ELNS1_11target_archE1201ELNS1_3gpuE5ELNS1_3repE0EEENS1_38merge_mergepath_config_static_selectorELNS0_4arch9wavefront6targetE1EEEvSF_: ; @_ZN7rocprim17ROCPRIM_400000_NS6detail17trampoline_kernelINS0_14default_configENS1_38merge_sort_block_merge_config_selectorIfNS0_10empty_typeEEEZZNS1_27merge_sort_block_merge_implIS3_PfPS5_jNS1_19radix_merge_compareILb0ELb0EfNS0_19identity_decomposerEEEEE10hipError_tT0_T1_T2_jT3_P12ihipStream_tbPNSt15iterator_traitsISE_E10value_typeEPNSK_ISF_E10value_typeEPSG_NS1_7vsmem_tEENKUlT_SE_SF_SG_E_clIS8_S8_S9_S9_EESD_ST_SE_SF_SG_EUlST_E0_NS1_11comp_targetILNS1_3genE10ELNS1_11target_archE1201ELNS1_3gpuE5ELNS1_3repE0EEENS1_38merge_mergepath_config_static_selectorELNS0_4arch9wavefront6targetE1EEEvSF_
; %bb.0:
	.section	.rodata,"a",@progbits
	.p2align	6, 0x0
	.amdhsa_kernel _ZN7rocprim17ROCPRIM_400000_NS6detail17trampoline_kernelINS0_14default_configENS1_38merge_sort_block_merge_config_selectorIfNS0_10empty_typeEEEZZNS1_27merge_sort_block_merge_implIS3_PfPS5_jNS1_19radix_merge_compareILb0ELb0EfNS0_19identity_decomposerEEEEE10hipError_tT0_T1_T2_jT3_P12ihipStream_tbPNSt15iterator_traitsISE_E10value_typeEPNSK_ISF_E10value_typeEPSG_NS1_7vsmem_tEENKUlT_SE_SF_SG_E_clIS8_S8_S9_S9_EESD_ST_SE_SF_SG_EUlST_E0_NS1_11comp_targetILNS1_3genE10ELNS1_11target_archE1201ELNS1_3gpuE5ELNS1_3repE0EEENS1_38merge_mergepath_config_static_selectorELNS0_4arch9wavefront6targetE1EEEvSF_
		.amdhsa_group_segment_fixed_size 0
		.amdhsa_private_segment_fixed_size 0
		.amdhsa_kernarg_size 64
		.amdhsa_user_sgpr_count 6
		.amdhsa_user_sgpr_private_segment_buffer 1
		.amdhsa_user_sgpr_dispatch_ptr 0
		.amdhsa_user_sgpr_queue_ptr 0
		.amdhsa_user_sgpr_kernarg_segment_ptr 1
		.amdhsa_user_sgpr_dispatch_id 0
		.amdhsa_user_sgpr_flat_scratch_init 0
		.amdhsa_user_sgpr_kernarg_preload_length 0
		.amdhsa_user_sgpr_kernarg_preload_offset 0
		.amdhsa_user_sgpr_private_segment_size 0
		.amdhsa_uses_dynamic_stack 0
		.amdhsa_system_sgpr_private_segment_wavefront_offset 0
		.amdhsa_system_sgpr_workgroup_id_x 1
		.amdhsa_system_sgpr_workgroup_id_y 0
		.amdhsa_system_sgpr_workgroup_id_z 0
		.amdhsa_system_sgpr_workgroup_info 0
		.amdhsa_system_vgpr_workitem_id 0
		.amdhsa_next_free_vgpr 1
		.amdhsa_next_free_sgpr 0
		.amdhsa_accum_offset 4
		.amdhsa_reserve_vcc 0
		.amdhsa_reserve_flat_scratch 0
		.amdhsa_float_round_mode_32 0
		.amdhsa_float_round_mode_16_64 0
		.amdhsa_float_denorm_mode_32 3
		.amdhsa_float_denorm_mode_16_64 3
		.amdhsa_dx10_clamp 1
		.amdhsa_ieee_mode 1
		.amdhsa_fp16_overflow 0
		.amdhsa_tg_split 0
		.amdhsa_exception_fp_ieee_invalid_op 0
		.amdhsa_exception_fp_denorm_src 0
		.amdhsa_exception_fp_ieee_div_zero 0
		.amdhsa_exception_fp_ieee_overflow 0
		.amdhsa_exception_fp_ieee_underflow 0
		.amdhsa_exception_fp_ieee_inexact 0
		.amdhsa_exception_int_div_zero 0
	.end_amdhsa_kernel
	.section	.text._ZN7rocprim17ROCPRIM_400000_NS6detail17trampoline_kernelINS0_14default_configENS1_38merge_sort_block_merge_config_selectorIfNS0_10empty_typeEEEZZNS1_27merge_sort_block_merge_implIS3_PfPS5_jNS1_19radix_merge_compareILb0ELb0EfNS0_19identity_decomposerEEEEE10hipError_tT0_T1_T2_jT3_P12ihipStream_tbPNSt15iterator_traitsISE_E10value_typeEPNSK_ISF_E10value_typeEPSG_NS1_7vsmem_tEENKUlT_SE_SF_SG_E_clIS8_S8_S9_S9_EESD_ST_SE_SF_SG_EUlST_E0_NS1_11comp_targetILNS1_3genE10ELNS1_11target_archE1201ELNS1_3gpuE5ELNS1_3repE0EEENS1_38merge_mergepath_config_static_selectorELNS0_4arch9wavefront6targetE1EEEvSF_,"axG",@progbits,_ZN7rocprim17ROCPRIM_400000_NS6detail17trampoline_kernelINS0_14default_configENS1_38merge_sort_block_merge_config_selectorIfNS0_10empty_typeEEEZZNS1_27merge_sort_block_merge_implIS3_PfPS5_jNS1_19radix_merge_compareILb0ELb0EfNS0_19identity_decomposerEEEEE10hipError_tT0_T1_T2_jT3_P12ihipStream_tbPNSt15iterator_traitsISE_E10value_typeEPNSK_ISF_E10value_typeEPSG_NS1_7vsmem_tEENKUlT_SE_SF_SG_E_clIS8_S8_S9_S9_EESD_ST_SE_SF_SG_EUlST_E0_NS1_11comp_targetILNS1_3genE10ELNS1_11target_archE1201ELNS1_3gpuE5ELNS1_3repE0EEENS1_38merge_mergepath_config_static_selectorELNS0_4arch9wavefront6targetE1EEEvSF_,comdat
.Lfunc_end1245:
	.size	_ZN7rocprim17ROCPRIM_400000_NS6detail17trampoline_kernelINS0_14default_configENS1_38merge_sort_block_merge_config_selectorIfNS0_10empty_typeEEEZZNS1_27merge_sort_block_merge_implIS3_PfPS5_jNS1_19radix_merge_compareILb0ELb0EfNS0_19identity_decomposerEEEEE10hipError_tT0_T1_T2_jT3_P12ihipStream_tbPNSt15iterator_traitsISE_E10value_typeEPNSK_ISF_E10value_typeEPSG_NS1_7vsmem_tEENKUlT_SE_SF_SG_E_clIS8_S8_S9_S9_EESD_ST_SE_SF_SG_EUlST_E0_NS1_11comp_targetILNS1_3genE10ELNS1_11target_archE1201ELNS1_3gpuE5ELNS1_3repE0EEENS1_38merge_mergepath_config_static_selectorELNS0_4arch9wavefront6targetE1EEEvSF_, .Lfunc_end1245-_ZN7rocprim17ROCPRIM_400000_NS6detail17trampoline_kernelINS0_14default_configENS1_38merge_sort_block_merge_config_selectorIfNS0_10empty_typeEEEZZNS1_27merge_sort_block_merge_implIS3_PfPS5_jNS1_19radix_merge_compareILb0ELb0EfNS0_19identity_decomposerEEEEE10hipError_tT0_T1_T2_jT3_P12ihipStream_tbPNSt15iterator_traitsISE_E10value_typeEPNSK_ISF_E10value_typeEPSG_NS1_7vsmem_tEENKUlT_SE_SF_SG_E_clIS8_S8_S9_S9_EESD_ST_SE_SF_SG_EUlST_E0_NS1_11comp_targetILNS1_3genE10ELNS1_11target_archE1201ELNS1_3gpuE5ELNS1_3repE0EEENS1_38merge_mergepath_config_static_selectorELNS0_4arch9wavefront6targetE1EEEvSF_
                                        ; -- End function
	.section	.AMDGPU.csdata,"",@progbits
; Kernel info:
; codeLenInByte = 0
; NumSgprs: 4
; NumVgprs: 0
; NumAgprs: 0
; TotalNumVgprs: 0
; ScratchSize: 0
; MemoryBound: 0
; FloatMode: 240
; IeeeMode: 1
; LDSByteSize: 0 bytes/workgroup (compile time only)
; SGPRBlocks: 0
; VGPRBlocks: 0
; NumSGPRsForWavesPerEU: 4
; NumVGPRsForWavesPerEU: 1
; AccumOffset: 4
; Occupancy: 8
; WaveLimiterHint : 0
; COMPUTE_PGM_RSRC2:SCRATCH_EN: 0
; COMPUTE_PGM_RSRC2:USER_SGPR: 6
; COMPUTE_PGM_RSRC2:TRAP_HANDLER: 0
; COMPUTE_PGM_RSRC2:TGID_X_EN: 1
; COMPUTE_PGM_RSRC2:TGID_Y_EN: 0
; COMPUTE_PGM_RSRC2:TGID_Z_EN: 0
; COMPUTE_PGM_RSRC2:TIDIG_COMP_CNT: 0
; COMPUTE_PGM_RSRC3_GFX90A:ACCUM_OFFSET: 0
; COMPUTE_PGM_RSRC3_GFX90A:TG_SPLIT: 0
	.section	.text._ZN7rocprim17ROCPRIM_400000_NS6detail17trampoline_kernelINS0_14default_configENS1_38merge_sort_block_merge_config_selectorIfNS0_10empty_typeEEEZZNS1_27merge_sort_block_merge_implIS3_PfPS5_jNS1_19radix_merge_compareILb0ELb0EfNS0_19identity_decomposerEEEEE10hipError_tT0_T1_T2_jT3_P12ihipStream_tbPNSt15iterator_traitsISE_E10value_typeEPNSK_ISF_E10value_typeEPSG_NS1_7vsmem_tEENKUlT_SE_SF_SG_E_clIS8_S8_S9_S9_EESD_ST_SE_SF_SG_EUlST_E0_NS1_11comp_targetILNS1_3genE5ELNS1_11target_archE942ELNS1_3gpuE9ELNS1_3repE0EEENS1_38merge_mergepath_config_static_selectorELNS0_4arch9wavefront6targetE1EEEvSF_,"axG",@progbits,_ZN7rocprim17ROCPRIM_400000_NS6detail17trampoline_kernelINS0_14default_configENS1_38merge_sort_block_merge_config_selectorIfNS0_10empty_typeEEEZZNS1_27merge_sort_block_merge_implIS3_PfPS5_jNS1_19radix_merge_compareILb0ELb0EfNS0_19identity_decomposerEEEEE10hipError_tT0_T1_T2_jT3_P12ihipStream_tbPNSt15iterator_traitsISE_E10value_typeEPNSK_ISF_E10value_typeEPSG_NS1_7vsmem_tEENKUlT_SE_SF_SG_E_clIS8_S8_S9_S9_EESD_ST_SE_SF_SG_EUlST_E0_NS1_11comp_targetILNS1_3genE5ELNS1_11target_archE942ELNS1_3gpuE9ELNS1_3repE0EEENS1_38merge_mergepath_config_static_selectorELNS0_4arch9wavefront6targetE1EEEvSF_,comdat
	.protected	_ZN7rocprim17ROCPRIM_400000_NS6detail17trampoline_kernelINS0_14default_configENS1_38merge_sort_block_merge_config_selectorIfNS0_10empty_typeEEEZZNS1_27merge_sort_block_merge_implIS3_PfPS5_jNS1_19radix_merge_compareILb0ELb0EfNS0_19identity_decomposerEEEEE10hipError_tT0_T1_T2_jT3_P12ihipStream_tbPNSt15iterator_traitsISE_E10value_typeEPNSK_ISF_E10value_typeEPSG_NS1_7vsmem_tEENKUlT_SE_SF_SG_E_clIS8_S8_S9_S9_EESD_ST_SE_SF_SG_EUlST_E0_NS1_11comp_targetILNS1_3genE5ELNS1_11target_archE942ELNS1_3gpuE9ELNS1_3repE0EEENS1_38merge_mergepath_config_static_selectorELNS0_4arch9wavefront6targetE1EEEvSF_ ; -- Begin function _ZN7rocprim17ROCPRIM_400000_NS6detail17trampoline_kernelINS0_14default_configENS1_38merge_sort_block_merge_config_selectorIfNS0_10empty_typeEEEZZNS1_27merge_sort_block_merge_implIS3_PfPS5_jNS1_19radix_merge_compareILb0ELb0EfNS0_19identity_decomposerEEEEE10hipError_tT0_T1_T2_jT3_P12ihipStream_tbPNSt15iterator_traitsISE_E10value_typeEPNSK_ISF_E10value_typeEPSG_NS1_7vsmem_tEENKUlT_SE_SF_SG_E_clIS8_S8_S9_S9_EESD_ST_SE_SF_SG_EUlST_E0_NS1_11comp_targetILNS1_3genE5ELNS1_11target_archE942ELNS1_3gpuE9ELNS1_3repE0EEENS1_38merge_mergepath_config_static_selectorELNS0_4arch9wavefront6targetE1EEEvSF_
	.globl	_ZN7rocprim17ROCPRIM_400000_NS6detail17trampoline_kernelINS0_14default_configENS1_38merge_sort_block_merge_config_selectorIfNS0_10empty_typeEEEZZNS1_27merge_sort_block_merge_implIS3_PfPS5_jNS1_19radix_merge_compareILb0ELb0EfNS0_19identity_decomposerEEEEE10hipError_tT0_T1_T2_jT3_P12ihipStream_tbPNSt15iterator_traitsISE_E10value_typeEPNSK_ISF_E10value_typeEPSG_NS1_7vsmem_tEENKUlT_SE_SF_SG_E_clIS8_S8_S9_S9_EESD_ST_SE_SF_SG_EUlST_E0_NS1_11comp_targetILNS1_3genE5ELNS1_11target_archE942ELNS1_3gpuE9ELNS1_3repE0EEENS1_38merge_mergepath_config_static_selectorELNS0_4arch9wavefront6targetE1EEEvSF_
	.p2align	8
	.type	_ZN7rocprim17ROCPRIM_400000_NS6detail17trampoline_kernelINS0_14default_configENS1_38merge_sort_block_merge_config_selectorIfNS0_10empty_typeEEEZZNS1_27merge_sort_block_merge_implIS3_PfPS5_jNS1_19radix_merge_compareILb0ELb0EfNS0_19identity_decomposerEEEEE10hipError_tT0_T1_T2_jT3_P12ihipStream_tbPNSt15iterator_traitsISE_E10value_typeEPNSK_ISF_E10value_typeEPSG_NS1_7vsmem_tEENKUlT_SE_SF_SG_E_clIS8_S8_S9_S9_EESD_ST_SE_SF_SG_EUlST_E0_NS1_11comp_targetILNS1_3genE5ELNS1_11target_archE942ELNS1_3gpuE9ELNS1_3repE0EEENS1_38merge_mergepath_config_static_selectorELNS0_4arch9wavefront6targetE1EEEvSF_,@function
_ZN7rocprim17ROCPRIM_400000_NS6detail17trampoline_kernelINS0_14default_configENS1_38merge_sort_block_merge_config_selectorIfNS0_10empty_typeEEEZZNS1_27merge_sort_block_merge_implIS3_PfPS5_jNS1_19radix_merge_compareILb0ELb0EfNS0_19identity_decomposerEEEEE10hipError_tT0_T1_T2_jT3_P12ihipStream_tbPNSt15iterator_traitsISE_E10value_typeEPNSK_ISF_E10value_typeEPSG_NS1_7vsmem_tEENKUlT_SE_SF_SG_E_clIS8_S8_S9_S9_EESD_ST_SE_SF_SG_EUlST_E0_NS1_11comp_targetILNS1_3genE5ELNS1_11target_archE942ELNS1_3gpuE9ELNS1_3repE0EEENS1_38merge_mergepath_config_static_selectorELNS0_4arch9wavefront6targetE1EEEvSF_: ; @_ZN7rocprim17ROCPRIM_400000_NS6detail17trampoline_kernelINS0_14default_configENS1_38merge_sort_block_merge_config_selectorIfNS0_10empty_typeEEEZZNS1_27merge_sort_block_merge_implIS3_PfPS5_jNS1_19radix_merge_compareILb0ELb0EfNS0_19identity_decomposerEEEEE10hipError_tT0_T1_T2_jT3_P12ihipStream_tbPNSt15iterator_traitsISE_E10value_typeEPNSK_ISF_E10value_typeEPSG_NS1_7vsmem_tEENKUlT_SE_SF_SG_E_clIS8_S8_S9_S9_EESD_ST_SE_SF_SG_EUlST_E0_NS1_11comp_targetILNS1_3genE5ELNS1_11target_archE942ELNS1_3gpuE9ELNS1_3repE0EEENS1_38merge_mergepath_config_static_selectorELNS0_4arch9wavefront6targetE1EEEvSF_
; %bb.0:
	.section	.rodata,"a",@progbits
	.p2align	6, 0x0
	.amdhsa_kernel _ZN7rocprim17ROCPRIM_400000_NS6detail17trampoline_kernelINS0_14default_configENS1_38merge_sort_block_merge_config_selectorIfNS0_10empty_typeEEEZZNS1_27merge_sort_block_merge_implIS3_PfPS5_jNS1_19radix_merge_compareILb0ELb0EfNS0_19identity_decomposerEEEEE10hipError_tT0_T1_T2_jT3_P12ihipStream_tbPNSt15iterator_traitsISE_E10value_typeEPNSK_ISF_E10value_typeEPSG_NS1_7vsmem_tEENKUlT_SE_SF_SG_E_clIS8_S8_S9_S9_EESD_ST_SE_SF_SG_EUlST_E0_NS1_11comp_targetILNS1_3genE5ELNS1_11target_archE942ELNS1_3gpuE9ELNS1_3repE0EEENS1_38merge_mergepath_config_static_selectorELNS0_4arch9wavefront6targetE1EEEvSF_
		.amdhsa_group_segment_fixed_size 0
		.amdhsa_private_segment_fixed_size 0
		.amdhsa_kernarg_size 64
		.amdhsa_user_sgpr_count 6
		.amdhsa_user_sgpr_private_segment_buffer 1
		.amdhsa_user_sgpr_dispatch_ptr 0
		.amdhsa_user_sgpr_queue_ptr 0
		.amdhsa_user_sgpr_kernarg_segment_ptr 1
		.amdhsa_user_sgpr_dispatch_id 0
		.amdhsa_user_sgpr_flat_scratch_init 0
		.amdhsa_user_sgpr_kernarg_preload_length 0
		.amdhsa_user_sgpr_kernarg_preload_offset 0
		.amdhsa_user_sgpr_private_segment_size 0
		.amdhsa_uses_dynamic_stack 0
		.amdhsa_system_sgpr_private_segment_wavefront_offset 0
		.amdhsa_system_sgpr_workgroup_id_x 1
		.amdhsa_system_sgpr_workgroup_id_y 0
		.amdhsa_system_sgpr_workgroup_id_z 0
		.amdhsa_system_sgpr_workgroup_info 0
		.amdhsa_system_vgpr_workitem_id 0
		.amdhsa_next_free_vgpr 1
		.amdhsa_next_free_sgpr 0
		.amdhsa_accum_offset 4
		.amdhsa_reserve_vcc 0
		.amdhsa_reserve_flat_scratch 0
		.amdhsa_float_round_mode_32 0
		.amdhsa_float_round_mode_16_64 0
		.amdhsa_float_denorm_mode_32 3
		.amdhsa_float_denorm_mode_16_64 3
		.amdhsa_dx10_clamp 1
		.amdhsa_ieee_mode 1
		.amdhsa_fp16_overflow 0
		.amdhsa_tg_split 0
		.amdhsa_exception_fp_ieee_invalid_op 0
		.amdhsa_exception_fp_denorm_src 0
		.amdhsa_exception_fp_ieee_div_zero 0
		.amdhsa_exception_fp_ieee_overflow 0
		.amdhsa_exception_fp_ieee_underflow 0
		.amdhsa_exception_fp_ieee_inexact 0
		.amdhsa_exception_int_div_zero 0
	.end_amdhsa_kernel
	.section	.text._ZN7rocprim17ROCPRIM_400000_NS6detail17trampoline_kernelINS0_14default_configENS1_38merge_sort_block_merge_config_selectorIfNS0_10empty_typeEEEZZNS1_27merge_sort_block_merge_implIS3_PfPS5_jNS1_19radix_merge_compareILb0ELb0EfNS0_19identity_decomposerEEEEE10hipError_tT0_T1_T2_jT3_P12ihipStream_tbPNSt15iterator_traitsISE_E10value_typeEPNSK_ISF_E10value_typeEPSG_NS1_7vsmem_tEENKUlT_SE_SF_SG_E_clIS8_S8_S9_S9_EESD_ST_SE_SF_SG_EUlST_E0_NS1_11comp_targetILNS1_3genE5ELNS1_11target_archE942ELNS1_3gpuE9ELNS1_3repE0EEENS1_38merge_mergepath_config_static_selectorELNS0_4arch9wavefront6targetE1EEEvSF_,"axG",@progbits,_ZN7rocprim17ROCPRIM_400000_NS6detail17trampoline_kernelINS0_14default_configENS1_38merge_sort_block_merge_config_selectorIfNS0_10empty_typeEEEZZNS1_27merge_sort_block_merge_implIS3_PfPS5_jNS1_19radix_merge_compareILb0ELb0EfNS0_19identity_decomposerEEEEE10hipError_tT0_T1_T2_jT3_P12ihipStream_tbPNSt15iterator_traitsISE_E10value_typeEPNSK_ISF_E10value_typeEPSG_NS1_7vsmem_tEENKUlT_SE_SF_SG_E_clIS8_S8_S9_S9_EESD_ST_SE_SF_SG_EUlST_E0_NS1_11comp_targetILNS1_3genE5ELNS1_11target_archE942ELNS1_3gpuE9ELNS1_3repE0EEENS1_38merge_mergepath_config_static_selectorELNS0_4arch9wavefront6targetE1EEEvSF_,comdat
.Lfunc_end1246:
	.size	_ZN7rocprim17ROCPRIM_400000_NS6detail17trampoline_kernelINS0_14default_configENS1_38merge_sort_block_merge_config_selectorIfNS0_10empty_typeEEEZZNS1_27merge_sort_block_merge_implIS3_PfPS5_jNS1_19radix_merge_compareILb0ELb0EfNS0_19identity_decomposerEEEEE10hipError_tT0_T1_T2_jT3_P12ihipStream_tbPNSt15iterator_traitsISE_E10value_typeEPNSK_ISF_E10value_typeEPSG_NS1_7vsmem_tEENKUlT_SE_SF_SG_E_clIS8_S8_S9_S9_EESD_ST_SE_SF_SG_EUlST_E0_NS1_11comp_targetILNS1_3genE5ELNS1_11target_archE942ELNS1_3gpuE9ELNS1_3repE0EEENS1_38merge_mergepath_config_static_selectorELNS0_4arch9wavefront6targetE1EEEvSF_, .Lfunc_end1246-_ZN7rocprim17ROCPRIM_400000_NS6detail17trampoline_kernelINS0_14default_configENS1_38merge_sort_block_merge_config_selectorIfNS0_10empty_typeEEEZZNS1_27merge_sort_block_merge_implIS3_PfPS5_jNS1_19radix_merge_compareILb0ELb0EfNS0_19identity_decomposerEEEEE10hipError_tT0_T1_T2_jT3_P12ihipStream_tbPNSt15iterator_traitsISE_E10value_typeEPNSK_ISF_E10value_typeEPSG_NS1_7vsmem_tEENKUlT_SE_SF_SG_E_clIS8_S8_S9_S9_EESD_ST_SE_SF_SG_EUlST_E0_NS1_11comp_targetILNS1_3genE5ELNS1_11target_archE942ELNS1_3gpuE9ELNS1_3repE0EEENS1_38merge_mergepath_config_static_selectorELNS0_4arch9wavefront6targetE1EEEvSF_
                                        ; -- End function
	.section	.AMDGPU.csdata,"",@progbits
; Kernel info:
; codeLenInByte = 0
; NumSgprs: 4
; NumVgprs: 0
; NumAgprs: 0
; TotalNumVgprs: 0
; ScratchSize: 0
; MemoryBound: 0
; FloatMode: 240
; IeeeMode: 1
; LDSByteSize: 0 bytes/workgroup (compile time only)
; SGPRBlocks: 0
; VGPRBlocks: 0
; NumSGPRsForWavesPerEU: 4
; NumVGPRsForWavesPerEU: 1
; AccumOffset: 4
; Occupancy: 8
; WaveLimiterHint : 0
; COMPUTE_PGM_RSRC2:SCRATCH_EN: 0
; COMPUTE_PGM_RSRC2:USER_SGPR: 6
; COMPUTE_PGM_RSRC2:TRAP_HANDLER: 0
; COMPUTE_PGM_RSRC2:TGID_X_EN: 1
; COMPUTE_PGM_RSRC2:TGID_Y_EN: 0
; COMPUTE_PGM_RSRC2:TGID_Z_EN: 0
; COMPUTE_PGM_RSRC2:TIDIG_COMP_CNT: 0
; COMPUTE_PGM_RSRC3_GFX90A:ACCUM_OFFSET: 0
; COMPUTE_PGM_RSRC3_GFX90A:TG_SPLIT: 0
	.section	.text._ZN7rocprim17ROCPRIM_400000_NS6detail17trampoline_kernelINS0_14default_configENS1_38merge_sort_block_merge_config_selectorIfNS0_10empty_typeEEEZZNS1_27merge_sort_block_merge_implIS3_PfPS5_jNS1_19radix_merge_compareILb0ELb0EfNS0_19identity_decomposerEEEEE10hipError_tT0_T1_T2_jT3_P12ihipStream_tbPNSt15iterator_traitsISE_E10value_typeEPNSK_ISF_E10value_typeEPSG_NS1_7vsmem_tEENKUlT_SE_SF_SG_E_clIS8_S8_S9_S9_EESD_ST_SE_SF_SG_EUlST_E0_NS1_11comp_targetILNS1_3genE4ELNS1_11target_archE910ELNS1_3gpuE8ELNS1_3repE0EEENS1_38merge_mergepath_config_static_selectorELNS0_4arch9wavefront6targetE1EEEvSF_,"axG",@progbits,_ZN7rocprim17ROCPRIM_400000_NS6detail17trampoline_kernelINS0_14default_configENS1_38merge_sort_block_merge_config_selectorIfNS0_10empty_typeEEEZZNS1_27merge_sort_block_merge_implIS3_PfPS5_jNS1_19radix_merge_compareILb0ELb0EfNS0_19identity_decomposerEEEEE10hipError_tT0_T1_T2_jT3_P12ihipStream_tbPNSt15iterator_traitsISE_E10value_typeEPNSK_ISF_E10value_typeEPSG_NS1_7vsmem_tEENKUlT_SE_SF_SG_E_clIS8_S8_S9_S9_EESD_ST_SE_SF_SG_EUlST_E0_NS1_11comp_targetILNS1_3genE4ELNS1_11target_archE910ELNS1_3gpuE8ELNS1_3repE0EEENS1_38merge_mergepath_config_static_selectorELNS0_4arch9wavefront6targetE1EEEvSF_,comdat
	.protected	_ZN7rocprim17ROCPRIM_400000_NS6detail17trampoline_kernelINS0_14default_configENS1_38merge_sort_block_merge_config_selectorIfNS0_10empty_typeEEEZZNS1_27merge_sort_block_merge_implIS3_PfPS5_jNS1_19radix_merge_compareILb0ELb0EfNS0_19identity_decomposerEEEEE10hipError_tT0_T1_T2_jT3_P12ihipStream_tbPNSt15iterator_traitsISE_E10value_typeEPNSK_ISF_E10value_typeEPSG_NS1_7vsmem_tEENKUlT_SE_SF_SG_E_clIS8_S8_S9_S9_EESD_ST_SE_SF_SG_EUlST_E0_NS1_11comp_targetILNS1_3genE4ELNS1_11target_archE910ELNS1_3gpuE8ELNS1_3repE0EEENS1_38merge_mergepath_config_static_selectorELNS0_4arch9wavefront6targetE1EEEvSF_ ; -- Begin function _ZN7rocprim17ROCPRIM_400000_NS6detail17trampoline_kernelINS0_14default_configENS1_38merge_sort_block_merge_config_selectorIfNS0_10empty_typeEEEZZNS1_27merge_sort_block_merge_implIS3_PfPS5_jNS1_19radix_merge_compareILb0ELb0EfNS0_19identity_decomposerEEEEE10hipError_tT0_T1_T2_jT3_P12ihipStream_tbPNSt15iterator_traitsISE_E10value_typeEPNSK_ISF_E10value_typeEPSG_NS1_7vsmem_tEENKUlT_SE_SF_SG_E_clIS8_S8_S9_S9_EESD_ST_SE_SF_SG_EUlST_E0_NS1_11comp_targetILNS1_3genE4ELNS1_11target_archE910ELNS1_3gpuE8ELNS1_3repE0EEENS1_38merge_mergepath_config_static_selectorELNS0_4arch9wavefront6targetE1EEEvSF_
	.globl	_ZN7rocprim17ROCPRIM_400000_NS6detail17trampoline_kernelINS0_14default_configENS1_38merge_sort_block_merge_config_selectorIfNS0_10empty_typeEEEZZNS1_27merge_sort_block_merge_implIS3_PfPS5_jNS1_19radix_merge_compareILb0ELb0EfNS0_19identity_decomposerEEEEE10hipError_tT0_T1_T2_jT3_P12ihipStream_tbPNSt15iterator_traitsISE_E10value_typeEPNSK_ISF_E10value_typeEPSG_NS1_7vsmem_tEENKUlT_SE_SF_SG_E_clIS8_S8_S9_S9_EESD_ST_SE_SF_SG_EUlST_E0_NS1_11comp_targetILNS1_3genE4ELNS1_11target_archE910ELNS1_3gpuE8ELNS1_3repE0EEENS1_38merge_mergepath_config_static_selectorELNS0_4arch9wavefront6targetE1EEEvSF_
	.p2align	8
	.type	_ZN7rocprim17ROCPRIM_400000_NS6detail17trampoline_kernelINS0_14default_configENS1_38merge_sort_block_merge_config_selectorIfNS0_10empty_typeEEEZZNS1_27merge_sort_block_merge_implIS3_PfPS5_jNS1_19radix_merge_compareILb0ELb0EfNS0_19identity_decomposerEEEEE10hipError_tT0_T1_T2_jT3_P12ihipStream_tbPNSt15iterator_traitsISE_E10value_typeEPNSK_ISF_E10value_typeEPSG_NS1_7vsmem_tEENKUlT_SE_SF_SG_E_clIS8_S8_S9_S9_EESD_ST_SE_SF_SG_EUlST_E0_NS1_11comp_targetILNS1_3genE4ELNS1_11target_archE910ELNS1_3gpuE8ELNS1_3repE0EEENS1_38merge_mergepath_config_static_selectorELNS0_4arch9wavefront6targetE1EEEvSF_,@function
_ZN7rocprim17ROCPRIM_400000_NS6detail17trampoline_kernelINS0_14default_configENS1_38merge_sort_block_merge_config_selectorIfNS0_10empty_typeEEEZZNS1_27merge_sort_block_merge_implIS3_PfPS5_jNS1_19radix_merge_compareILb0ELb0EfNS0_19identity_decomposerEEEEE10hipError_tT0_T1_T2_jT3_P12ihipStream_tbPNSt15iterator_traitsISE_E10value_typeEPNSK_ISF_E10value_typeEPSG_NS1_7vsmem_tEENKUlT_SE_SF_SG_E_clIS8_S8_S9_S9_EESD_ST_SE_SF_SG_EUlST_E0_NS1_11comp_targetILNS1_3genE4ELNS1_11target_archE910ELNS1_3gpuE8ELNS1_3repE0EEENS1_38merge_mergepath_config_static_selectorELNS0_4arch9wavefront6targetE1EEEvSF_: ; @_ZN7rocprim17ROCPRIM_400000_NS6detail17trampoline_kernelINS0_14default_configENS1_38merge_sort_block_merge_config_selectorIfNS0_10empty_typeEEEZZNS1_27merge_sort_block_merge_implIS3_PfPS5_jNS1_19radix_merge_compareILb0ELb0EfNS0_19identity_decomposerEEEEE10hipError_tT0_T1_T2_jT3_P12ihipStream_tbPNSt15iterator_traitsISE_E10value_typeEPNSK_ISF_E10value_typeEPSG_NS1_7vsmem_tEENKUlT_SE_SF_SG_E_clIS8_S8_S9_S9_EESD_ST_SE_SF_SG_EUlST_E0_NS1_11comp_targetILNS1_3genE4ELNS1_11target_archE910ELNS1_3gpuE8ELNS1_3repE0EEENS1_38merge_mergepath_config_static_selectorELNS0_4arch9wavefront6targetE1EEEvSF_
; %bb.0:
	s_load_dwordx2 s[14:15], s[4:5], 0x40
	s_load_dword s2, s[4:5], 0x30
	s_add_u32 s0, s4, 64
	s_addc_u32 s1, s5, 0
	s_waitcnt lgkmcnt(0)
	s_mul_i32 s3, s15, s8
	s_add_i32 s3, s3, s7
	s_mul_i32 s3, s3, s14
	s_add_i32 s12, s3, s6
	s_cmp_ge_u32 s12, s2
	s_cbranch_scc1 .LBB1247_73
; %bb.1:
	s_load_dwordx2 s[2:3], s[4:5], 0x28
	s_load_dwordx2 s[8:9], s[4:5], 0x38
	;; [unrolled: 1-line block ×3, first 2 shown]
	s_mov_b32 s13, 0
	s_mov_b32 s23, s13
	s_waitcnt lgkmcnt(0)
	s_lshr_b32 s7, s2, 10
	s_cmp_lg_u32 s12, s7
	s_cselect_b64 s[10:11], -1, 0
	s_lshl_b64 s[16:17], s[12:13], 2
	s_add_u32 s8, s8, s16
	s_addc_u32 s9, s9, s17
	s_load_dwordx2 s[16:17], s[8:9], 0x0
	s_lshr_b32 s8, s3, 9
	s_and_b32 s8, s8, 0x7ffffe
	s_sub_i32 s9, 0, s8
	s_and_b32 s15, s12, s9
	s_lshl_b32 s18, s15, 10
	s_lshl_b32 s8, s12, 10
	;; [unrolled: 1-line block ×3, first 2 shown]
	s_sub_i32 s19, s8, s18
	s_add_i32 s15, s15, s3
	s_add_i32 s19, s15, s19
	s_waitcnt lgkmcnt(0)
	s_sub_i32 s22, s19, s16
	s_sub_i32 s19, s19, s17
	;; [unrolled: 1-line block ×3, first 2 shown]
	s_min_u32 s22, s2, s22
	s_addk_i32 s19, 0x400
	s_or_b32 s9, s12, s9
	s_min_u32 s18, s2, s15
	s_add_i32 s15, s15, s3
	s_cmp_eq_u32 s9, -1
	s_cselect_b32 s3, s15, s19
	s_cselect_b32 s9, s18, s17
	s_min_u32 s15, s3, s2
	s_mov_b32 s17, s13
	s_sub_i32 s3, s9, s16
	s_sub_i32 s15, s15, s22
	s_lshl_b64 s[18:19], s[16:17], 2
	s_add_u32 s17, s20, s18
	s_addc_u32 s18, s21, s19
	s_lshl_b64 s[22:23], s[22:23], 2
	s_add_u32 s13, s20, s22
	s_addc_u32 s16, s21, s23
	s_cmp_lt_u32 s6, s14
	v_mov_b32_e32 v15, 0
	s_cselect_b32 s6, 12, 18
	global_load_dword v1, v15, s[0:1] offset:14
	s_add_u32 s0, s0, s6
	s_addc_u32 s1, s1, 0
	global_load_ushort v2, v15, s[0:1]
	s_cmp_eq_u32 s12, s7
	s_waitcnt vmcnt(1)
	v_lshrrev_b32_e32 v3, 16, v1
	v_and_b32_e32 v1, 0xffff, v1
	v_mul_lo_u32 v1, v1, v3
	s_waitcnt vmcnt(0)
	v_mul_lo_u32 v16, v1, v2
	v_add_u32_e32 v12, v16, v0
	v_lshlrev_b32_e32 v1, 2, v0
	v_add_u32_e32 v10, v12, v16
	s_cbranch_scc1 .LBB1247_3
; %bb.2:
	v_mov_b32_e32 v2, s18
	v_add_co_u32_e32 v4, vcc, s17, v1
	v_subrev_u32_e32 v14, s3, v0
	v_addc_co_u32_e32 v5, vcc, 0, v2, vcc
	v_lshlrev_b64 v[2:3], 2, v[14:15]
	v_mov_b32_e32 v6, s16
	v_add_co_u32_e32 v2, vcc, s13, v2
	v_addc_co_u32_e32 v3, vcc, v6, v3, vcc
	v_cmp_gt_u32_e32 vcc, s3, v0
	v_mov_b32_e32 v13, v15
	v_cndmask_b32_e32 v3, v3, v5, vcc
	v_cndmask_b32_e32 v2, v2, v4, vcc
	v_lshlrev_b64 v[4:5], 2, v[12:13]
	global_load_dword v2, v[2:3], off
	v_mov_b32_e32 v3, s18
	v_add_co_u32_e32 v6, vcc, s17, v4
	v_subrev_u32_e32 v14, s3, v12
	v_addc_co_u32_e32 v3, vcc, v3, v5, vcc
	v_lshlrev_b64 v[4:5], 2, v[14:15]
	v_mov_b32_e32 v7, s16
	v_add_co_u32_e32 v4, vcc, s13, v4
	v_addc_co_u32_e32 v5, vcc, v7, v5, vcc
	v_cmp_gt_u32_e32 vcc, s3, v12
	v_cndmask_b32_e32 v5, v5, v3, vcc
	v_cndmask_b32_e32 v4, v4, v6, vcc
	v_mov_b32_e32 v11, v15
	global_load_dword v3, v[4:5], off
	v_lshlrev_b64 v[4:5], 2, v[10:11]
	v_mov_b32_e32 v6, s18
	v_add_co_u32_e32 v7, vcc, s17, v4
	v_subrev_u32_e32 v14, s3, v10
	v_addc_co_u32_e32 v6, vcc, v6, v5, vcc
	v_lshlrev_b64 v[4:5], 2, v[14:15]
	v_mov_b32_e32 v8, s16
	v_add_co_u32_e32 v4, vcc, s13, v4
	v_addc_co_u32_e32 v5, vcc, v8, v5, vcc
	v_cmp_gt_u32_e32 vcc, s3, v10
	v_add_u32_e32 v14, v10, v16
	v_cndmask_b32_e32 v5, v5, v6, vcc
	v_cndmask_b32_e32 v4, v4, v7, vcc
	v_lshlrev_b64 v[6:7], 2, v[14:15]
	global_load_dword v4, v[4:5], off
	v_mov_b32_e32 v5, s18
	v_add_co_u32_e32 v8, vcc, s17, v6
	v_addc_co_u32_e32 v5, vcc, v5, v7, vcc
	v_subrev_u32_e32 v6, s3, v14
	v_mov_b32_e32 v7, v15
	v_lshlrev_b64 v[6:7], 2, v[6:7]
	v_mov_b32_e32 v9, s16
	v_add_co_u32_e32 v6, vcc, s13, v6
	v_addc_co_u32_e32 v7, vcc, v9, v7, vcc
	v_cmp_gt_u32_e32 vcc, s3, v14
	v_cndmask_b32_e32 v7, v7, v5, vcc
	v_cndmask_b32_e32 v6, v6, v8, vcc
	v_add_u32_e32 v14, v14, v16
	global_load_dword v5, v[6:7], off
	v_lshlrev_b64 v[6:7], 2, v[14:15]
	v_mov_b32_e32 v8, s18
	v_add_co_u32_e32 v9, vcc, s17, v6
	v_addc_co_u32_e32 v8, vcc, v8, v7, vcc
	v_subrev_u32_e32 v6, s3, v14
	v_mov_b32_e32 v7, v15
	v_lshlrev_b64 v[6:7], 2, v[6:7]
	v_mov_b32_e32 v11, s16
	v_add_co_u32_e32 v6, vcc, s13, v6
	v_addc_co_u32_e32 v7, vcc, v11, v7, vcc
	v_cmp_gt_u32_e32 vcc, s3, v14
	v_add_u32_e32 v14, v14, v16
	v_cndmask_b32_e32 v7, v7, v8, vcc
	v_cndmask_b32_e32 v6, v6, v9, vcc
	v_lshlrev_b64 v[8:9], 2, v[14:15]
	global_load_dword v6, v[6:7], off
	v_mov_b32_e32 v7, s18
	v_add_co_u32_e32 v11, vcc, s17, v8
	v_addc_co_u32_e32 v7, vcc, v7, v9, vcc
	v_subrev_u32_e32 v8, s3, v14
	v_mov_b32_e32 v9, v15
	v_lshlrev_b64 v[8:9], 2, v[8:9]
	v_mov_b32_e32 v13, s16
	v_add_co_u32_e32 v8, vcc, s13, v8
	v_addc_co_u32_e32 v9, vcc, v13, v9, vcc
	v_cmp_gt_u32_e32 vcc, s3, v14
	v_cndmask_b32_e32 v9, v9, v7, vcc
	v_cndmask_b32_e32 v8, v8, v11, vcc
	v_add_u32_e32 v14, v14, v16
	global_load_dword v7, v[8:9], off
	v_lshlrev_b64 v[8:9], 2, v[14:15]
	v_mov_b32_e32 v11, s18
	v_add_co_u32_e32 v13, vcc, s17, v8
	v_addc_co_u32_e32 v11, vcc, v11, v9, vcc
	v_subrev_u32_e32 v8, s3, v14
	v_mov_b32_e32 v9, v15
	v_lshlrev_b64 v[8:9], 2, v[8:9]
	v_mov_b32_e32 v17, s16
	v_add_co_u32_e32 v8, vcc, s13, v8
	v_addc_co_u32_e32 v9, vcc, v17, v9, vcc
	v_cmp_gt_u32_e32 vcc, s3, v14
	v_add_u32_e32 v14, v14, v16
	v_cndmask_b32_e32 v9, v9, v11, vcc
	v_cndmask_b32_e32 v8, v8, v13, vcc
	v_lshlrev_b64 v[18:19], 2, v[14:15]
	global_load_dword v8, v[8:9], off
	v_mov_b32_e32 v9, s18
	v_add_co_u32_e32 v11, vcc, s17, v18
	v_addc_co_u32_e32 v9, vcc, v9, v19, vcc
	v_cmp_gt_u32_e32 vcc, s3, v14
	v_subrev_u32_e32 v14, s3, v14
	v_lshlrev_b64 v[14:15], 2, v[14:15]
	v_mov_b32_e32 v13, s16
	v_add_co_u32_e64 v14, s[0:1], s13, v14
	v_addc_co_u32_e64 v13, s[0:1], v13, v15, s[0:1]
	v_cndmask_b32_e32 v15, v13, v9, vcc
	v_cndmask_b32_e32 v14, v14, v11, vcc
	global_load_dword v9, v[14:15], off
	s_add_i32 s9, s15, s3
	s_load_dwordx2 s[4:5], s[4:5], 0x10
	s_cbranch_execz .LBB1247_4
	s_branch .LBB1247_19
.LBB1247_3:
                                        ; implicit-def: $vgpr2_vgpr3_vgpr4_vgpr5_vgpr6_vgpr7_vgpr8_vgpr9
                                        ; implicit-def: $sgpr9
	s_load_dwordx2 s[4:5], s[4:5], 0x10
.LBB1247_4:
	s_add_i32 s9, s15, s3
	v_cmp_gt_u32_e32 vcc, s9, v0
                                        ; implicit-def: $vgpr2_vgpr3_vgpr4_vgpr5_vgpr6_vgpr7_vgpr8_vgpr9
	s_and_saveexec_b64 s[0:1], vcc
	s_cbranch_execnz .LBB1247_74
; %bb.5:
	s_or_b64 exec, exec, s[0:1]
	v_cmp_gt_u32_e32 vcc, s9, v12
	s_and_saveexec_b64 s[6:7], vcc
	s_cbranch_execnz .LBB1247_75
.LBB1247_6:
	s_or_b64 exec, exec, s[6:7]
	v_cmp_gt_u32_e32 vcc, s9, v10
	s_and_saveexec_b64 s[0:1], vcc
	s_cbranch_execz .LBB1247_8
.LBB1247_7:
	v_mov_b32_e32 v11, 0
	v_lshlrev_b64 v[12:13], 2, v[10:11]
	s_waitcnt vmcnt(5)
	v_mov_b32_e32 v4, s18
	v_add_co_u32_e32 v14, vcc, s17, v12
	v_addc_co_u32_e32 v4, vcc, v4, v13, vcc
	v_subrev_u32_e32 v12, s3, v10
	v_mov_b32_e32 v13, v11
	v_lshlrev_b64 v[12:13], 2, v[12:13]
	v_mov_b32_e32 v11, s16
	v_add_co_u32_e32 v12, vcc, s13, v12
	v_addc_co_u32_e32 v11, vcc, v11, v13, vcc
	v_cmp_gt_u32_e32 vcc, s3, v10
	v_cndmask_b32_e32 v13, v11, v4, vcc
	v_cndmask_b32_e32 v12, v12, v14, vcc
	global_load_dword v4, v[12:13], off
.LBB1247_8:
	s_or_b64 exec, exec, s[0:1]
	v_add_u32_e32 v10, v10, v16
	v_cmp_gt_u32_e32 vcc, s9, v10
	s_and_saveexec_b64 s[0:1], vcc
	s_cbranch_execz .LBB1247_10
; %bb.9:
	v_mov_b32_e32 v11, 0
	v_lshlrev_b64 v[12:13], 2, v[10:11]
	s_waitcnt vmcnt(4)
	v_mov_b32_e32 v5, s18
	v_add_co_u32_e32 v14, vcc, s17, v12
	v_addc_co_u32_e32 v5, vcc, v5, v13, vcc
	v_subrev_u32_e32 v12, s3, v10
	v_mov_b32_e32 v13, v11
	v_lshlrev_b64 v[12:13], 2, v[12:13]
	v_mov_b32_e32 v11, s16
	v_add_co_u32_e32 v12, vcc, s13, v12
	v_addc_co_u32_e32 v11, vcc, v11, v13, vcc
	v_cmp_gt_u32_e32 vcc, s3, v10
	v_cndmask_b32_e32 v13, v11, v5, vcc
	v_cndmask_b32_e32 v12, v12, v14, vcc
	global_load_dword v5, v[12:13], off
.LBB1247_10:
	s_or_b64 exec, exec, s[0:1]
	v_add_u32_e32 v10, v10, v16
	v_cmp_gt_u32_e32 vcc, s9, v10
	s_and_saveexec_b64 s[0:1], vcc
	s_cbranch_execz .LBB1247_12
; %bb.11:
	v_mov_b32_e32 v11, 0
	v_lshlrev_b64 v[12:13], 2, v[10:11]
	s_waitcnt vmcnt(3)
	v_mov_b32_e32 v6, s18
	v_add_co_u32_e32 v14, vcc, s17, v12
	v_addc_co_u32_e32 v6, vcc, v6, v13, vcc
	v_subrev_u32_e32 v12, s3, v10
	v_mov_b32_e32 v13, v11
	v_lshlrev_b64 v[12:13], 2, v[12:13]
	v_mov_b32_e32 v11, s16
	v_add_co_u32_e32 v12, vcc, s13, v12
	v_addc_co_u32_e32 v11, vcc, v11, v13, vcc
	v_cmp_gt_u32_e32 vcc, s3, v10
	v_cndmask_b32_e32 v13, v11, v6, vcc
	v_cndmask_b32_e32 v12, v12, v14, vcc
	global_load_dword v6, v[12:13], off
.LBB1247_12:
	;; [unrolled: 23-line block ×4, first 2 shown]
	s_or_b64 exec, exec, s[0:1]
	v_add_u32_e32 v10, v10, v16
	v_cmp_gt_u32_e32 vcc, s9, v10
	s_and_saveexec_b64 s[6:7], vcc
	s_cbranch_execz .LBB1247_18
; %bb.17:
	v_mov_b32_e32 v11, 0
	v_lshlrev_b64 v[12:13], 2, v[10:11]
	s_waitcnt vmcnt(0)
	v_mov_b32_e32 v9, s18
	v_add_co_u32_e32 v12, vcc, s17, v12
	v_addc_co_u32_e32 v9, vcc, v9, v13, vcc
	v_cmp_gt_u32_e32 vcc, s3, v10
	v_subrev_u32_e32 v10, s3, v10
	v_lshlrev_b64 v[10:11], 2, v[10:11]
	v_mov_b32_e32 v13, s16
	v_add_co_u32_e64 v10, s[0:1], s13, v10
	v_addc_co_u32_e64 v11, s[0:1], v13, v11, s[0:1]
	v_cndmask_b32_e32 v11, v11, v9, vcc
	v_cndmask_b32_e32 v10, v10, v12, vcc
	global_load_dword v9, v[10:11], off
.LBB1247_18:
	s_or_b64 exec, exec, s[6:7]
.LBB1247_19:
	v_lshlrev_b32_e32 v10, 3, v0
	v_min_u32_e32 v12, s9, v10
	v_sub_u32_e64 v11, v12, s15 clamp
	v_min_u32_e32 v13, s3, v12
	v_cmp_lt_u32_e32 vcc, v11, v13
	s_waitcnt vmcnt(0)
	ds_write2st64_b32 v1, v2, v3 offset1:2
	ds_write2st64_b32 v1, v4, v5 offset0:4 offset1:6
	ds_write2st64_b32 v1, v6, v7 offset0:8 offset1:10
	;; [unrolled: 1-line block ×3, first 2 shown]
	s_waitcnt lgkmcnt(0)
	s_barrier
	s_and_saveexec_b64 s[0:1], vcc
	s_cbranch_execz .LBB1247_23
; %bb.20:
	v_lshlrev_b32_e32 v14, 2, v12
	v_lshl_add_u32 v14, s3, 2, v14
	s_mov_b64 s[6:7], 0
.LBB1247_21:                            ; =>This Inner Loop Header: Depth=1
	v_add_u32_e32 v15, v13, v11
	v_lshrrev_b32_e32 v15, 1, v15
	v_not_b32_e32 v16, v15
	v_lshlrev_b32_e32 v17, 2, v15
	v_lshl_add_u32 v19, v16, 2, v14
	ds_read_b32 v16, v17
	ds_read_b32 v17, v19
	v_add_u32_e32 v18, 1, v15
	s_waitcnt lgkmcnt(0)
	v_pk_add_f32 v[16:17], v[16:17], 0 op_sel_hi:[1,0]
	v_ashrrev_i32_e32 v19, 31, v17
	v_ashrrev_i32_e32 v20, 31, v16
	v_or_b32_e32 v20, 0x80000000, v20
	v_or_b32_e32 v19, 0x80000000, v19
	v_xor_b32_e32 v17, v19, v17
	v_xor_b32_e32 v16, v20, v16
	v_cmp_gt_u32_e32 vcc, v16, v17
	v_cndmask_b32_e32 v13, v13, v15, vcc
	v_cndmask_b32_e32 v11, v18, v11, vcc
	v_cmp_ge_u32_e32 vcc, v11, v13
	s_or_b64 s[6:7], vcc, s[6:7]
	s_andn2_b64 exec, exec, s[6:7]
	s_cbranch_execnz .LBB1247_21
; %bb.22:
	s_or_b64 exec, exec, s[6:7]
.LBB1247_23:
	s_or_b64 exec, exec, s[0:1]
	v_sub_u32_e32 v12, v12, v11
	v_add_u32_e32 v12, s3, v12
	v_cmp_ge_u32_e32 vcc, s3, v11
	v_cmp_ge_u32_e64 s[0:1], s9, v12
	s_or_b64 s[0:1], vcc, s[0:1]
	s_and_saveexec_b64 s[6:7], s[0:1]
	s_xor_b64 s[6:7], exec, s[6:7]
	s_cbranch_execz .LBB1247_59
; %bb.24:
	v_cmp_le_u32_e32 vcc, s3, v11
	v_cmp_gt_u32_e64 s[0:1], s3, v11
                                        ; implicit-def: $vgpr8
	s_and_saveexec_b64 s[12:13], s[0:1]
	s_cbranch_execz .LBB1247_26
; %bb.25:
	v_lshlrev_b32_e32 v2, 2, v11
	ds_read_b32 v8, v2
.LBB1247_26:
	s_or_b64 exec, exec, s[12:13]
	v_cmp_le_u32_e64 s[12:13], s9, v12
	v_cmp_gt_u32_e64 s[0:1], s9, v12
	s_and_saveexec_b64 s[14:15], s[0:1]
	s_cbranch_execz .LBB1247_28
; %bb.27:
	v_lshlrev_b32_e32 v2, 2, v12
	ds_read_b32 v9, v2
.LBB1247_28:
	s_or_b64 exec, exec, s[14:15]
	s_or_b64 s[14:15], vcc, s[12:13]
	s_mov_b64 s[0:1], -1
	s_xor_b64 s[16:17], s[14:15], -1
	s_and_saveexec_b64 s[14:15], s[16:17]
	s_cbranch_execz .LBB1247_30
; %bb.29:
	s_waitcnt lgkmcnt(0)
	v_pk_add_f32 v[2:3], v[8:9], 0 op_sel_hi:[1,0]
	v_ashrrev_i32_e32 v4, 31, v3
	v_ashrrev_i32_e32 v5, 31, v2
	v_or_b32_e32 v5, 0x80000000, v5
	v_or_b32_e32 v4, 0x80000000, v4
	v_xor_b32_e32 v3, v4, v3
	v_xor_b32_e32 v2, v5, v2
	v_cmp_le_u32_e32 vcc, v2, v3
	s_andn2_b64 s[12:13], s[12:13], exec
	s_and_b64 s[16:17], vcc, exec
	s_or_b64 s[12:13], s[12:13], s[16:17]
.LBB1247_30:
	s_or_b64 exec, exec, s[14:15]
	v_mov_b32_e32 v3, s9
	v_mov_b32_e32 v4, s3
	v_cndmask_b32_e64 v2, v12, v11, s[12:13]
	v_cndmask_b32_e64 v3, v3, v4, s[12:13]
	v_add_u32_e32 v4, 1, v2
	v_add_u32_e32 v2, -1, v3
	v_min_u32_e32 v2, v4, v2
	v_lshlrev_b32_e32 v2, 2, v2
	ds_read_b32 v3, v2
	v_cndmask_b32_e64 v5, v4, v12, s[12:13]
	v_cndmask_b32_e64 v7, v11, v4, s[12:13]
	v_cmp_gt_u32_e32 vcc, s9, v5
	s_waitcnt lgkmcnt(0)
	v_cndmask_b32_e64 v2, v3, v9, s[12:13]
	v_cndmask_b32_e64 v3, v8, v3, s[12:13]
	s_and_saveexec_b64 s[14:15], vcc
	s_cbranch_execz .LBB1247_34
; %bb.31:
	v_cmp_gt_u32_e32 vcc, s3, v7
	s_mov_b64 s[16:17], 0
	s_and_saveexec_b64 s[0:1], vcc
; %bb.32:
	v_add_f32_e32 v4, 0, v3
	v_ashrrev_i32_e32 v11, 31, v4
	v_add_f32_e32 v6, 0, v2
	v_or_b32_e32 v11, 0x80000000, v11
	v_xor_b32_e32 v4, v11, v4
	v_ashrrev_i32_e32 v11, 31, v6
	v_or_b32_e32 v11, 0x80000000, v11
	v_xor_b32_e32 v6, v11, v6
	v_cmp_le_u32_e32 vcc, v4, v6
	s_and_b64 s[16:17], vcc, exec
; %bb.33:
	s_or_b64 exec, exec, s[0:1]
	s_orn2_b64 s[0:1], s[16:17], exec
.LBB1247_34:
	s_or_b64 exec, exec, s[14:15]
	v_mov_b32_e32 v6, s9
	v_mov_b32_e32 v11, s3
	v_cndmask_b32_e64 v4, v5, v7, s[0:1]
	v_cndmask_b32_e64 v6, v6, v11, s[0:1]
	v_add_u32_e32 v12, 1, v4
	v_add_u32_e32 v4, -1, v6
	v_min_u32_e32 v4, v12, v4
	v_lshlrev_b32_e32 v4, 2, v4
	ds_read_b32 v6, v4
	v_cndmask_b32_e64 v7, v7, v12, s[0:1]
	s_mov_b64 s[16:17], -1
	s_mov_b64 s[14:15], -1
	s_waitcnt lgkmcnt(0)
	v_cndmask_b32_e64 v4, v6, v2, s[0:1]
	v_cndmask_b32_e64 v11, v3, v6, s[0:1]
	;; [unrolled: 1-line block ×3, first 2 shown]
	v_cmp_gt_u32_e32 vcc, s9, v6
	s_and_saveexec_b64 s[18:19], vcc
	s_cbranch_execz .LBB1247_38
; %bb.35:
	v_cmp_gt_u32_e32 vcc, s3, v7
	s_mov_b64 s[20:21], 0
	s_and_saveexec_b64 s[14:15], vcc
; %bb.36:
	v_add_f32_e32 v5, 0, v11
	v_ashrrev_i32_e32 v13, 31, v5
	v_add_f32_e32 v12, 0, v4
	v_or_b32_e32 v13, 0x80000000, v13
	v_xor_b32_e32 v5, v13, v5
	v_ashrrev_i32_e32 v13, 31, v12
	v_or_b32_e32 v13, 0x80000000, v13
	v_xor_b32_e32 v12, v13, v12
	v_cmp_le_u32_e32 vcc, v5, v12
	s_and_b64 s[20:21], vcc, exec
; %bb.37:
	s_or_b64 exec, exec, s[14:15]
	s_orn2_b64 s[14:15], s[20:21], exec
.LBB1247_38:
	s_or_b64 exec, exec, s[18:19]
	v_mov_b32_e32 v12, s9
	v_mov_b32_e32 v13, s3
	v_cndmask_b32_e64 v5, v6, v7, s[14:15]
	v_cndmask_b32_e64 v12, v12, v13, s[14:15]
	v_add_u32_e32 v13, 1, v5
	v_add_u32_e32 v5, -1, v12
	v_min_u32_e32 v5, v13, v5
	v_lshlrev_b32_e32 v5, 2, v5
	ds_read_b32 v12, v5
	v_cndmask_b32_e64 v14, v13, v6, s[14:15]
	v_cndmask_b32_e64 v7, v7, v13, s[14:15]
	v_cmp_gt_u32_e32 vcc, s9, v14
	s_waitcnt lgkmcnt(0)
	v_cndmask_b32_e64 v5, v12, v4, s[14:15]
	v_cndmask_b32_e64 v12, v11, v12, s[14:15]
	s_and_saveexec_b64 s[18:19], vcc
	s_cbranch_execz .LBB1247_42
; %bb.39:
	v_cmp_gt_u32_e32 vcc, s3, v7
	s_mov_b64 s[20:21], 0
	s_and_saveexec_b64 s[16:17], vcc
; %bb.40:
	v_add_f32_e32 v6, 0, v12
	v_ashrrev_i32_e32 v15, 31, v6
	v_add_f32_e32 v13, 0, v5
	v_or_b32_e32 v15, 0x80000000, v15
	v_xor_b32_e32 v6, v15, v6
	v_ashrrev_i32_e32 v15, 31, v13
	v_or_b32_e32 v15, 0x80000000, v15
	v_xor_b32_e32 v13, v15, v13
	v_cmp_le_u32_e32 vcc, v6, v13
	s_and_b64 s[20:21], vcc, exec
; %bb.41:
	s_or_b64 exec, exec, s[16:17]
	s_orn2_b64 s[16:17], s[20:21], exec
.LBB1247_42:
	s_or_b64 exec, exec, s[18:19]
	v_mov_b32_e32 v13, s9
	v_mov_b32_e32 v15, s3
	v_cndmask_b32_e64 v6, v14, v7, s[16:17]
	v_cndmask_b32_e64 v13, v13, v15, s[16:17]
	v_add_u32_e32 v15, 1, v6
	v_add_u32_e32 v6, -1, v13
	v_min_u32_e32 v6, v15, v6
	v_lshlrev_b32_e32 v6, 2, v6
	ds_read_b32 v13, v6
	v_cndmask_b32_e64 v14, v15, v14, s[16:17]
	v_cndmask_b32_e64 v15, v7, v15, s[16:17]
	v_cmp_gt_u32_e32 vcc, s9, v14
	s_mov_b64 s[20:21], -1
	s_waitcnt lgkmcnt(0)
	v_cndmask_b32_e64 v6, v13, v5, s[16:17]
	v_cndmask_b32_e64 v13, v12, v13, s[16:17]
	s_mov_b64 s[18:19], -1
	s_and_saveexec_b64 s[22:23], vcc
	s_cbranch_execz .LBB1247_46
; %bb.43:
	v_cmp_gt_u32_e32 vcc, s3, v15
	s_mov_b64 s[24:25], 0
	s_and_saveexec_b64 s[18:19], vcc
; %bb.44:
	v_add_f32_e32 v7, 0, v13
	v_ashrrev_i32_e32 v17, 31, v7
	v_add_f32_e32 v16, 0, v6
	v_or_b32_e32 v17, 0x80000000, v17
	v_xor_b32_e32 v7, v17, v7
	v_ashrrev_i32_e32 v17, 31, v16
	v_or_b32_e32 v17, 0x80000000, v17
	v_xor_b32_e32 v16, v17, v16
	v_cmp_le_u32_e32 vcc, v7, v16
	s_and_b64 s[24:25], vcc, exec
; %bb.45:
	s_or_b64 exec, exec, s[18:19]
	s_orn2_b64 s[18:19], s[24:25], exec
.LBB1247_46:
	s_or_b64 exec, exec, s[22:23]
	v_mov_b32_e32 v16, s9
	v_mov_b32_e32 v17, s3
	v_cndmask_b32_e64 v7, v14, v15, s[18:19]
	v_cndmask_b32_e64 v16, v16, v17, s[18:19]
	v_add_u32_e32 v18, 1, v7
	v_add_u32_e32 v7, -1, v16
	v_min_u32_e32 v7, v18, v7
	v_lshlrev_b32_e32 v7, 2, v7
	ds_read_b32 v16, v7
	v_cndmask_b32_e64 v17, v18, v14, s[18:19]
	v_cndmask_b32_e64 v19, v15, v18, s[18:19]
	v_cmp_gt_u32_e32 vcc, s9, v17
	s_waitcnt lgkmcnt(0)
	v_cndmask_b32_e64 v7, v16, v6, s[18:19]
	v_cndmask_b32_e64 v16, v13, v16, s[18:19]
	s_and_saveexec_b64 s[22:23], vcc
	s_cbranch_execz .LBB1247_50
; %bb.47:
	v_cmp_gt_u32_e32 vcc, s3, v19
	s_mov_b64 s[24:25], 0
	s_and_saveexec_b64 s[20:21], vcc
; %bb.48:
	v_add_f32_e32 v14, 0, v16
	v_ashrrev_i32_e32 v18, 31, v14
	v_add_f32_e32 v15, 0, v7
	v_or_b32_e32 v18, 0x80000000, v18
	v_xor_b32_e32 v14, v18, v14
	v_ashrrev_i32_e32 v18, 31, v15
	v_or_b32_e32 v18, 0x80000000, v18
	v_xor_b32_e32 v15, v18, v15
	v_cmp_le_u32_e32 vcc, v14, v15
	s_and_b64 s[24:25], vcc, exec
; %bb.49:
	s_or_b64 exec, exec, s[20:21]
	s_orn2_b64 s[20:21], s[24:25], exec
.LBB1247_50:
	s_or_b64 exec, exec, s[22:23]
	v_mov_b32_e32 v15, s9
	v_mov_b32_e32 v18, s3
	v_cndmask_b32_e64 v14, v17, v19, s[20:21]
	v_cndmask_b32_e64 v15, v15, v18, s[20:21]
	v_add_u32_e32 v20, 1, v14
	v_add_u32_e32 v14, -1, v15
	v_min_u32_e32 v14, v20, v14
	v_lshlrev_b32_e32 v14, 2, v14
	ds_read_b32 v15, v14
	v_cndmask_b32_e64 v18, v20, v17, s[20:21]
	v_cndmask_b32_e64 v17, v19, v20, s[20:21]
	v_cmp_gt_u32_e32 vcc, s9, v18
	s_mov_b64 s[22:23], -1
	s_waitcnt lgkmcnt(0)
	v_cndmask_b32_e64 v14, v15, v7, s[20:21]
	v_cndmask_b32_e64 v15, v16, v15, s[20:21]
	s_and_saveexec_b64 s[24:25], vcc
	s_cbranch_execz .LBB1247_54
; %bb.51:
	v_cmp_gt_u32_e32 vcc, s3, v17
	s_mov_b64 s[26:27], 0
	s_and_saveexec_b64 s[22:23], vcc
; %bb.52:
	v_add_f32_e32 v19, 0, v15
	v_ashrrev_i32_e32 v21, 31, v19
	v_add_f32_e32 v20, 0, v14
	v_or_b32_e32 v21, 0x80000000, v21
	v_xor_b32_e32 v19, v21, v19
	v_ashrrev_i32_e32 v21, 31, v20
	v_or_b32_e32 v21, 0x80000000, v21
	v_xor_b32_e32 v20, v21, v20
	v_cmp_le_u32_e32 vcc, v19, v20
	s_and_b64 s[26:27], vcc, exec
; %bb.53:
	s_or_b64 exec, exec, s[22:23]
	s_orn2_b64 s[22:23], s[26:27], exec
.LBB1247_54:
	s_or_b64 exec, exec, s[24:25]
	v_cndmask_b32_e64 v7, v7, v16, s[20:21]
	v_mov_b32_e32 v16, s9
	v_mov_b32_e32 v19, s3
	v_cndmask_b32_e64 v6, v6, v13, s[18:19]
	v_cndmask_b32_e64 v13, v18, v17, s[22:23]
	;; [unrolled: 1-line block ×3, first 2 shown]
	v_add_u32_e32 v13, 1, v13
	v_add_u32_e32 v16, -1, v16
	v_min_u32_e32 v16, v13, v16
	v_lshlrev_b32_e32 v16, 2, v16
	ds_read_b32 v16, v16
	v_cndmask_b32_e64 v3, v2, v3, s[0:1]
	v_cndmask_b32_e64 v2, v9, v8, s[12:13]
	;; [unrolled: 1-line block ×5, first 2 shown]
	s_waitcnt lgkmcnt(0)
	v_cndmask_b32_e64 v9, v15, v16, s[22:23]
	v_cmp_gt_u32_e32 vcc, s9, v8
	s_and_saveexec_b64 s[0:1], vcc
	s_cbranch_execz .LBB1247_58
; %bb.55:
	v_cndmask_b32_e64 v11, v17, v13, s[22:23]
	v_cndmask_b32_e64 v8, v16, v14, s[22:23]
	v_cmp_gt_u32_e32 vcc, s3, v11
	s_and_saveexec_b64 s[12:13], vcc
; %bb.56:
	v_add_f32_e32 v11, 0, v9
	v_ashrrev_i32_e32 v13, 31, v11
	v_add_f32_e32 v12, 0, v8
	v_or_b32_e32 v13, 0x80000000, v13
	v_xor_b32_e32 v11, v13, v11
	v_ashrrev_i32_e32 v13, 31, v12
	v_or_b32_e32 v13, 0x80000000, v13
	v_xor_b32_e32 v12, v13, v12
	v_cmp_gt_u32_e32 vcc, v11, v12
	v_cndmask_b32_e32 v8, v9, v8, vcc
; %bb.57:
	s_or_b64 exec, exec, s[12:13]
	v_mov_b32_e32 v9, v8
.LBB1247_58:
	s_or_b64 exec, exec, s[0:1]
	v_cndmask_b32_e64 v8, v14, v15, s[22:23]
.LBB1247_59:
	s_andn2_saveexec_b64 s[0:1], s[6:7]
	s_or_b64 exec, exec, s[0:1]
	v_and_b32_e32 v11, 0x7c, v0
	v_lshl_add_u32 v10, v10, 2, v11
	s_barrier
	s_barrier
	ds_write2_b32 v10, v2, v3 offset1:1
	ds_write2_b32 v10, v4, v5 offset0:2 offset1:3
	ds_write2_b32 v10, v6, v7 offset0:4 offset1:5
	;; [unrolled: 1-line block ×3, first 2 shown]
	v_lshrrev_b32_e32 v2, 3, v0
	v_and_b32_e32 v2, 12, v2
	v_or_b32_e32 v10, 0x80, v0
	v_add_u32_e32 v11, v1, v2
	v_lshrrev_b32_e32 v2, 3, v10
	v_and_b32_e32 v2, 28, v2
	v_or_b32_e32 v9, 0x100, v0
	v_add_u32_e32 v12, v1, v2
	;; [unrolled: 4-line block ×5, first 2 shown]
	v_lshrrev_b32_e32 v2, 3, v6
	v_and_b32_e32 v2, 0x5c, v2
	v_or_b32_e32 v5, 0x300, v0
	s_mov_b32 s9, 0
	v_add_u32_e32 v16, v1, v2
	v_lshrrev_b32_e32 v2, 3, v5
	s_lshl_b64 s[0:1], s[8:9], 2
	v_and_b32_e32 v2, 0x6c, v2
	v_or_b32_e32 v4, 0x380, v0
	s_add_u32 s0, s4, s0
	v_add_u32_e32 v17, v1, v2
	v_lshrrev_b32_e32 v2, 3, v4
	s_addc_u32 s1, s5, s1
	v_and_b32_e32 v2, 0x7c, v2
	v_add_u32_e32 v18, v1, v2
	v_mov_b32_e32 v3, s1
	v_add_co_u32_e32 v2, vcc, s0, v1
	v_addc_co_u32_e32 v3, vcc, 0, v3, vcc
	s_and_b64 vcc, exec, s[10:11]
	s_waitcnt lgkmcnt(0)
	s_cbranch_vccz .LBB1247_61
; %bb.60:
	s_barrier
	ds_read_b32 v19, v11
	ds_read_b32 v20, v12 offset:512
	ds_read_b32 v21, v13 offset:1024
	;; [unrolled: 1-line block ×7, first 2 shown]
	s_waitcnt lgkmcnt(7)
	global_store_dword v[2:3], v19, off
	s_waitcnt lgkmcnt(6)
	global_store_dword v[2:3], v20, off offset:512
	s_waitcnt lgkmcnt(5)
	global_store_dword v[2:3], v21, off offset:1024
	;; [unrolled: 2-line block ×6, first 2 shown]
	s_mov_b64 s[0:1], -1
	s_cbranch_execz .LBB1247_62
	s_branch .LBB1247_71
.LBB1247_61:
	s_mov_b64 s[0:1], 0
                                        ; implicit-def: $vgpr1
.LBB1247_62:
	s_barrier
	s_waitcnt lgkmcnt(0)
	ds_read_b32 v21, v12 offset:512
	ds_read_b32 v20, v13 offset:1024
	;; [unrolled: 1-line block ×7, first 2 shown]
	s_sub_i32 s2, s2, s8
	v_cmp_gt_u32_e32 vcc, s2, v0
	s_and_saveexec_b64 s[0:1], vcc
	s_cbranch_execnz .LBB1247_76
; %bb.63:
	s_or_b64 exec, exec, s[0:1]
	v_cmp_gt_u32_e32 vcc, s2, v10
	s_and_saveexec_b64 s[0:1], vcc
	s_cbranch_execnz .LBB1247_77
.LBB1247_64:
	s_or_b64 exec, exec, s[0:1]
	v_cmp_gt_u32_e32 vcc, s2, v9
	s_and_saveexec_b64 s[0:1], vcc
	s_cbranch_execnz .LBB1247_78
.LBB1247_65:
	s_or_b64 exec, exec, s[0:1]
	v_cmp_gt_u32_e32 vcc, s2, v8
	s_and_saveexec_b64 s[0:1], vcc
	s_cbranch_execnz .LBB1247_79
.LBB1247_66:
	s_or_b64 exec, exec, s[0:1]
	v_cmp_gt_u32_e32 vcc, s2, v7
	s_and_saveexec_b64 s[0:1], vcc
	s_cbranch_execnz .LBB1247_80
.LBB1247_67:
	s_or_b64 exec, exec, s[0:1]
	v_cmp_gt_u32_e32 vcc, s2, v6
	s_and_saveexec_b64 s[0:1], vcc
	s_cbranch_execnz .LBB1247_81
.LBB1247_68:
	s_or_b64 exec, exec, s[0:1]
	v_cmp_gt_u32_e32 vcc, s2, v5
	s_and_saveexec_b64 s[0:1], vcc
	s_cbranch_execz .LBB1247_70
.LBB1247_69:
	s_waitcnt lgkmcnt(1)
	global_store_dword v[2:3], v12, off offset:3072
.LBB1247_70:
	s_or_b64 exec, exec, s[0:1]
	v_cmp_gt_u32_e64 s[0:1], s2, v4
.LBB1247_71:
	s_and_saveexec_b64 s[2:3], s[0:1]
	s_cbranch_execz .LBB1247_73
; %bb.72:
	s_waitcnt lgkmcnt(0)
	global_store_dword v[2:3], v1, off offset:3584
.LBB1247_73:
	s_endpgm
.LBB1247_74:
	s_waitcnt vmcnt(7)
	v_mov_b32_e32 v2, s18
	s_waitcnt vmcnt(5)
	v_add_co_u32_e32 v4, vcc, s17, v1
	v_mov_b32_e32 v3, 0
	s_waitcnt vmcnt(4)
	v_addc_co_u32_e32 v5, vcc, 0, v2, vcc
	v_subrev_u32_e32 v2, s3, v0
	v_lshlrev_b64 v[2:3], 2, v[2:3]
	s_waitcnt vmcnt(3)
	v_mov_b32_e32 v6, s16
	v_add_co_u32_e32 v2, vcc, s13, v2
	v_addc_co_u32_e32 v3, vcc, v6, v3, vcc
	v_cmp_gt_u32_e32 vcc, s3, v0
	v_cndmask_b32_e32 v3, v3, v5, vcc
	v_cndmask_b32_e32 v2, v2, v4, vcc
	global_load_dword v2, v[2:3], off
	s_or_b64 exec, exec, s[0:1]
	v_cmp_gt_u32_e32 vcc, s9, v12
	s_and_saveexec_b64 s[6:7], vcc
	s_cbranch_execz .LBB1247_6
.LBB1247_75:
	v_mov_b32_e32 v13, 0
	v_lshlrev_b64 v[14:15], 2, v[12:13]
	s_waitcnt vmcnt(6)
	v_mov_b32_e32 v3, s18
	v_add_co_u32_e32 v11, vcc, s17, v14
	v_addc_co_u32_e32 v3, vcc, v3, v15, vcc
	v_cmp_gt_u32_e32 vcc, s3, v12
	v_subrev_u32_e32 v12, s3, v12
	v_lshlrev_b64 v[12:13], 2, v[12:13]
	v_mov_b32_e32 v14, s16
	v_add_co_u32_e64 v12, s[0:1], s13, v12
	v_addc_co_u32_e64 v13, s[0:1], v14, v13, s[0:1]
	v_cndmask_b32_e32 v13, v13, v3, vcc
	v_cndmask_b32_e32 v12, v12, v11, vcc
	global_load_dword v3, v[12:13], off
	s_or_b64 exec, exec, s[6:7]
	v_cmp_gt_u32_e32 vcc, s9, v10
	s_and_saveexec_b64 s[0:1], vcc
	s_cbranch_execnz .LBB1247_7
	s_branch .LBB1247_8
.LBB1247_76:
	ds_read_b32 v0, v11
	s_waitcnt lgkmcnt(0)
	global_store_dword v[2:3], v0, off
	s_or_b64 exec, exec, s[0:1]
	v_cmp_gt_u32_e32 vcc, s2, v10
	s_and_saveexec_b64 s[0:1], vcc
	s_cbranch_execz .LBB1247_64
.LBB1247_77:
	s_waitcnt lgkmcnt(6)
	global_store_dword v[2:3], v21, off offset:512
	s_or_b64 exec, exec, s[0:1]
	v_cmp_gt_u32_e32 vcc, s2, v9
	s_and_saveexec_b64 s[0:1], vcc
	s_cbranch_execz .LBB1247_65
.LBB1247_78:
	s_waitcnt lgkmcnt(5)
	global_store_dword v[2:3], v20, off offset:1024
	s_or_b64 exec, exec, s[0:1]
	v_cmp_gt_u32_e32 vcc, s2, v8
	s_and_saveexec_b64 s[0:1], vcc
	s_cbranch_execz .LBB1247_66
.LBB1247_79:
	s_waitcnt lgkmcnt(4)
	global_store_dword v[2:3], v19, off offset:1536
	s_or_b64 exec, exec, s[0:1]
	v_cmp_gt_u32_e32 vcc, s2, v7
	s_and_saveexec_b64 s[0:1], vcc
	s_cbranch_execz .LBB1247_67
.LBB1247_80:
	s_waitcnt lgkmcnt(3)
	global_store_dword v[2:3], v14, off offset:2048
	s_or_b64 exec, exec, s[0:1]
	v_cmp_gt_u32_e32 vcc, s2, v6
	s_and_saveexec_b64 s[0:1], vcc
	s_cbranch_execz .LBB1247_68
.LBB1247_81:
	s_waitcnt lgkmcnt(2)
	global_store_dword v[2:3], v13, off offset:2560
	s_or_b64 exec, exec, s[0:1]
	v_cmp_gt_u32_e32 vcc, s2, v5
	s_and_saveexec_b64 s[0:1], vcc
	s_cbranch_execnz .LBB1247_69
	s_branch .LBB1247_70
	.section	.rodata,"a",@progbits
	.p2align	6, 0x0
	.amdhsa_kernel _ZN7rocprim17ROCPRIM_400000_NS6detail17trampoline_kernelINS0_14default_configENS1_38merge_sort_block_merge_config_selectorIfNS0_10empty_typeEEEZZNS1_27merge_sort_block_merge_implIS3_PfPS5_jNS1_19radix_merge_compareILb0ELb0EfNS0_19identity_decomposerEEEEE10hipError_tT0_T1_T2_jT3_P12ihipStream_tbPNSt15iterator_traitsISE_E10value_typeEPNSK_ISF_E10value_typeEPSG_NS1_7vsmem_tEENKUlT_SE_SF_SG_E_clIS8_S8_S9_S9_EESD_ST_SE_SF_SG_EUlST_E0_NS1_11comp_targetILNS1_3genE4ELNS1_11target_archE910ELNS1_3gpuE8ELNS1_3repE0EEENS1_38merge_mergepath_config_static_selectorELNS0_4arch9wavefront6targetE1EEEvSF_
		.amdhsa_group_segment_fixed_size 4224
		.amdhsa_private_segment_fixed_size 0
		.amdhsa_kernarg_size 320
		.amdhsa_user_sgpr_count 6
		.amdhsa_user_sgpr_private_segment_buffer 1
		.amdhsa_user_sgpr_dispatch_ptr 0
		.amdhsa_user_sgpr_queue_ptr 0
		.amdhsa_user_sgpr_kernarg_segment_ptr 1
		.amdhsa_user_sgpr_dispatch_id 0
		.amdhsa_user_sgpr_flat_scratch_init 0
		.amdhsa_user_sgpr_kernarg_preload_length 0
		.amdhsa_user_sgpr_kernarg_preload_offset 0
		.amdhsa_user_sgpr_private_segment_size 0
		.amdhsa_uses_dynamic_stack 0
		.amdhsa_system_sgpr_private_segment_wavefront_offset 0
		.amdhsa_system_sgpr_workgroup_id_x 1
		.amdhsa_system_sgpr_workgroup_id_y 1
		.amdhsa_system_sgpr_workgroup_id_z 1
		.amdhsa_system_sgpr_workgroup_info 0
		.amdhsa_system_vgpr_workitem_id 0
		.amdhsa_next_free_vgpr 26
		.amdhsa_next_free_sgpr 28
		.amdhsa_accum_offset 28
		.amdhsa_reserve_vcc 1
		.amdhsa_reserve_flat_scratch 0
		.amdhsa_float_round_mode_32 0
		.amdhsa_float_round_mode_16_64 0
		.amdhsa_float_denorm_mode_32 3
		.amdhsa_float_denorm_mode_16_64 3
		.amdhsa_dx10_clamp 1
		.amdhsa_ieee_mode 1
		.amdhsa_fp16_overflow 0
		.amdhsa_tg_split 0
		.amdhsa_exception_fp_ieee_invalid_op 0
		.amdhsa_exception_fp_denorm_src 0
		.amdhsa_exception_fp_ieee_div_zero 0
		.amdhsa_exception_fp_ieee_overflow 0
		.amdhsa_exception_fp_ieee_underflow 0
		.amdhsa_exception_fp_ieee_inexact 0
		.amdhsa_exception_int_div_zero 0
	.end_amdhsa_kernel
	.section	.text._ZN7rocprim17ROCPRIM_400000_NS6detail17trampoline_kernelINS0_14default_configENS1_38merge_sort_block_merge_config_selectorIfNS0_10empty_typeEEEZZNS1_27merge_sort_block_merge_implIS3_PfPS5_jNS1_19radix_merge_compareILb0ELb0EfNS0_19identity_decomposerEEEEE10hipError_tT0_T1_T2_jT3_P12ihipStream_tbPNSt15iterator_traitsISE_E10value_typeEPNSK_ISF_E10value_typeEPSG_NS1_7vsmem_tEENKUlT_SE_SF_SG_E_clIS8_S8_S9_S9_EESD_ST_SE_SF_SG_EUlST_E0_NS1_11comp_targetILNS1_3genE4ELNS1_11target_archE910ELNS1_3gpuE8ELNS1_3repE0EEENS1_38merge_mergepath_config_static_selectorELNS0_4arch9wavefront6targetE1EEEvSF_,"axG",@progbits,_ZN7rocprim17ROCPRIM_400000_NS6detail17trampoline_kernelINS0_14default_configENS1_38merge_sort_block_merge_config_selectorIfNS0_10empty_typeEEEZZNS1_27merge_sort_block_merge_implIS3_PfPS5_jNS1_19radix_merge_compareILb0ELb0EfNS0_19identity_decomposerEEEEE10hipError_tT0_T1_T2_jT3_P12ihipStream_tbPNSt15iterator_traitsISE_E10value_typeEPNSK_ISF_E10value_typeEPSG_NS1_7vsmem_tEENKUlT_SE_SF_SG_E_clIS8_S8_S9_S9_EESD_ST_SE_SF_SG_EUlST_E0_NS1_11comp_targetILNS1_3genE4ELNS1_11target_archE910ELNS1_3gpuE8ELNS1_3repE0EEENS1_38merge_mergepath_config_static_selectorELNS0_4arch9wavefront6targetE1EEEvSF_,comdat
.Lfunc_end1247:
	.size	_ZN7rocprim17ROCPRIM_400000_NS6detail17trampoline_kernelINS0_14default_configENS1_38merge_sort_block_merge_config_selectorIfNS0_10empty_typeEEEZZNS1_27merge_sort_block_merge_implIS3_PfPS5_jNS1_19radix_merge_compareILb0ELb0EfNS0_19identity_decomposerEEEEE10hipError_tT0_T1_T2_jT3_P12ihipStream_tbPNSt15iterator_traitsISE_E10value_typeEPNSK_ISF_E10value_typeEPSG_NS1_7vsmem_tEENKUlT_SE_SF_SG_E_clIS8_S8_S9_S9_EESD_ST_SE_SF_SG_EUlST_E0_NS1_11comp_targetILNS1_3genE4ELNS1_11target_archE910ELNS1_3gpuE8ELNS1_3repE0EEENS1_38merge_mergepath_config_static_selectorELNS0_4arch9wavefront6targetE1EEEvSF_, .Lfunc_end1247-_ZN7rocprim17ROCPRIM_400000_NS6detail17trampoline_kernelINS0_14default_configENS1_38merge_sort_block_merge_config_selectorIfNS0_10empty_typeEEEZZNS1_27merge_sort_block_merge_implIS3_PfPS5_jNS1_19radix_merge_compareILb0ELb0EfNS0_19identity_decomposerEEEEE10hipError_tT0_T1_T2_jT3_P12ihipStream_tbPNSt15iterator_traitsISE_E10value_typeEPNSK_ISF_E10value_typeEPSG_NS1_7vsmem_tEENKUlT_SE_SF_SG_E_clIS8_S8_S9_S9_EESD_ST_SE_SF_SG_EUlST_E0_NS1_11comp_targetILNS1_3genE4ELNS1_11target_archE910ELNS1_3gpuE8ELNS1_3repE0EEENS1_38merge_mergepath_config_static_selectorELNS0_4arch9wavefront6targetE1EEEvSF_
                                        ; -- End function
	.section	.AMDGPU.csdata,"",@progbits
; Kernel info:
; codeLenInByte = 4236
; NumSgprs: 32
; NumVgprs: 26
; NumAgprs: 0
; TotalNumVgprs: 26
; ScratchSize: 0
; MemoryBound: 0
; FloatMode: 240
; IeeeMode: 1
; LDSByteSize: 4224 bytes/workgroup (compile time only)
; SGPRBlocks: 3
; VGPRBlocks: 3
; NumSGPRsForWavesPerEU: 32
; NumVGPRsForWavesPerEU: 26
; AccumOffset: 28
; Occupancy: 8
; WaveLimiterHint : 1
; COMPUTE_PGM_RSRC2:SCRATCH_EN: 0
; COMPUTE_PGM_RSRC2:USER_SGPR: 6
; COMPUTE_PGM_RSRC2:TRAP_HANDLER: 0
; COMPUTE_PGM_RSRC2:TGID_X_EN: 1
; COMPUTE_PGM_RSRC2:TGID_Y_EN: 1
; COMPUTE_PGM_RSRC2:TGID_Z_EN: 1
; COMPUTE_PGM_RSRC2:TIDIG_COMP_CNT: 0
; COMPUTE_PGM_RSRC3_GFX90A:ACCUM_OFFSET: 6
; COMPUTE_PGM_RSRC3_GFX90A:TG_SPLIT: 0
	.section	.text._ZN7rocprim17ROCPRIM_400000_NS6detail17trampoline_kernelINS0_14default_configENS1_38merge_sort_block_merge_config_selectorIfNS0_10empty_typeEEEZZNS1_27merge_sort_block_merge_implIS3_PfPS5_jNS1_19radix_merge_compareILb0ELb0EfNS0_19identity_decomposerEEEEE10hipError_tT0_T1_T2_jT3_P12ihipStream_tbPNSt15iterator_traitsISE_E10value_typeEPNSK_ISF_E10value_typeEPSG_NS1_7vsmem_tEENKUlT_SE_SF_SG_E_clIS8_S8_S9_S9_EESD_ST_SE_SF_SG_EUlST_E0_NS1_11comp_targetILNS1_3genE3ELNS1_11target_archE908ELNS1_3gpuE7ELNS1_3repE0EEENS1_38merge_mergepath_config_static_selectorELNS0_4arch9wavefront6targetE1EEEvSF_,"axG",@progbits,_ZN7rocprim17ROCPRIM_400000_NS6detail17trampoline_kernelINS0_14default_configENS1_38merge_sort_block_merge_config_selectorIfNS0_10empty_typeEEEZZNS1_27merge_sort_block_merge_implIS3_PfPS5_jNS1_19radix_merge_compareILb0ELb0EfNS0_19identity_decomposerEEEEE10hipError_tT0_T1_T2_jT3_P12ihipStream_tbPNSt15iterator_traitsISE_E10value_typeEPNSK_ISF_E10value_typeEPSG_NS1_7vsmem_tEENKUlT_SE_SF_SG_E_clIS8_S8_S9_S9_EESD_ST_SE_SF_SG_EUlST_E0_NS1_11comp_targetILNS1_3genE3ELNS1_11target_archE908ELNS1_3gpuE7ELNS1_3repE0EEENS1_38merge_mergepath_config_static_selectorELNS0_4arch9wavefront6targetE1EEEvSF_,comdat
	.protected	_ZN7rocprim17ROCPRIM_400000_NS6detail17trampoline_kernelINS0_14default_configENS1_38merge_sort_block_merge_config_selectorIfNS0_10empty_typeEEEZZNS1_27merge_sort_block_merge_implIS3_PfPS5_jNS1_19radix_merge_compareILb0ELb0EfNS0_19identity_decomposerEEEEE10hipError_tT0_T1_T2_jT3_P12ihipStream_tbPNSt15iterator_traitsISE_E10value_typeEPNSK_ISF_E10value_typeEPSG_NS1_7vsmem_tEENKUlT_SE_SF_SG_E_clIS8_S8_S9_S9_EESD_ST_SE_SF_SG_EUlST_E0_NS1_11comp_targetILNS1_3genE3ELNS1_11target_archE908ELNS1_3gpuE7ELNS1_3repE0EEENS1_38merge_mergepath_config_static_selectorELNS0_4arch9wavefront6targetE1EEEvSF_ ; -- Begin function _ZN7rocprim17ROCPRIM_400000_NS6detail17trampoline_kernelINS0_14default_configENS1_38merge_sort_block_merge_config_selectorIfNS0_10empty_typeEEEZZNS1_27merge_sort_block_merge_implIS3_PfPS5_jNS1_19radix_merge_compareILb0ELb0EfNS0_19identity_decomposerEEEEE10hipError_tT0_T1_T2_jT3_P12ihipStream_tbPNSt15iterator_traitsISE_E10value_typeEPNSK_ISF_E10value_typeEPSG_NS1_7vsmem_tEENKUlT_SE_SF_SG_E_clIS8_S8_S9_S9_EESD_ST_SE_SF_SG_EUlST_E0_NS1_11comp_targetILNS1_3genE3ELNS1_11target_archE908ELNS1_3gpuE7ELNS1_3repE0EEENS1_38merge_mergepath_config_static_selectorELNS0_4arch9wavefront6targetE1EEEvSF_
	.globl	_ZN7rocprim17ROCPRIM_400000_NS6detail17trampoline_kernelINS0_14default_configENS1_38merge_sort_block_merge_config_selectorIfNS0_10empty_typeEEEZZNS1_27merge_sort_block_merge_implIS3_PfPS5_jNS1_19radix_merge_compareILb0ELb0EfNS0_19identity_decomposerEEEEE10hipError_tT0_T1_T2_jT3_P12ihipStream_tbPNSt15iterator_traitsISE_E10value_typeEPNSK_ISF_E10value_typeEPSG_NS1_7vsmem_tEENKUlT_SE_SF_SG_E_clIS8_S8_S9_S9_EESD_ST_SE_SF_SG_EUlST_E0_NS1_11comp_targetILNS1_3genE3ELNS1_11target_archE908ELNS1_3gpuE7ELNS1_3repE0EEENS1_38merge_mergepath_config_static_selectorELNS0_4arch9wavefront6targetE1EEEvSF_
	.p2align	8
	.type	_ZN7rocprim17ROCPRIM_400000_NS6detail17trampoline_kernelINS0_14default_configENS1_38merge_sort_block_merge_config_selectorIfNS0_10empty_typeEEEZZNS1_27merge_sort_block_merge_implIS3_PfPS5_jNS1_19radix_merge_compareILb0ELb0EfNS0_19identity_decomposerEEEEE10hipError_tT0_T1_T2_jT3_P12ihipStream_tbPNSt15iterator_traitsISE_E10value_typeEPNSK_ISF_E10value_typeEPSG_NS1_7vsmem_tEENKUlT_SE_SF_SG_E_clIS8_S8_S9_S9_EESD_ST_SE_SF_SG_EUlST_E0_NS1_11comp_targetILNS1_3genE3ELNS1_11target_archE908ELNS1_3gpuE7ELNS1_3repE0EEENS1_38merge_mergepath_config_static_selectorELNS0_4arch9wavefront6targetE1EEEvSF_,@function
_ZN7rocprim17ROCPRIM_400000_NS6detail17trampoline_kernelINS0_14default_configENS1_38merge_sort_block_merge_config_selectorIfNS0_10empty_typeEEEZZNS1_27merge_sort_block_merge_implIS3_PfPS5_jNS1_19radix_merge_compareILb0ELb0EfNS0_19identity_decomposerEEEEE10hipError_tT0_T1_T2_jT3_P12ihipStream_tbPNSt15iterator_traitsISE_E10value_typeEPNSK_ISF_E10value_typeEPSG_NS1_7vsmem_tEENKUlT_SE_SF_SG_E_clIS8_S8_S9_S9_EESD_ST_SE_SF_SG_EUlST_E0_NS1_11comp_targetILNS1_3genE3ELNS1_11target_archE908ELNS1_3gpuE7ELNS1_3repE0EEENS1_38merge_mergepath_config_static_selectorELNS0_4arch9wavefront6targetE1EEEvSF_: ; @_ZN7rocprim17ROCPRIM_400000_NS6detail17trampoline_kernelINS0_14default_configENS1_38merge_sort_block_merge_config_selectorIfNS0_10empty_typeEEEZZNS1_27merge_sort_block_merge_implIS3_PfPS5_jNS1_19radix_merge_compareILb0ELb0EfNS0_19identity_decomposerEEEEE10hipError_tT0_T1_T2_jT3_P12ihipStream_tbPNSt15iterator_traitsISE_E10value_typeEPNSK_ISF_E10value_typeEPSG_NS1_7vsmem_tEENKUlT_SE_SF_SG_E_clIS8_S8_S9_S9_EESD_ST_SE_SF_SG_EUlST_E0_NS1_11comp_targetILNS1_3genE3ELNS1_11target_archE908ELNS1_3gpuE7ELNS1_3repE0EEENS1_38merge_mergepath_config_static_selectorELNS0_4arch9wavefront6targetE1EEEvSF_
; %bb.0:
	.section	.rodata,"a",@progbits
	.p2align	6, 0x0
	.amdhsa_kernel _ZN7rocprim17ROCPRIM_400000_NS6detail17trampoline_kernelINS0_14default_configENS1_38merge_sort_block_merge_config_selectorIfNS0_10empty_typeEEEZZNS1_27merge_sort_block_merge_implIS3_PfPS5_jNS1_19radix_merge_compareILb0ELb0EfNS0_19identity_decomposerEEEEE10hipError_tT0_T1_T2_jT3_P12ihipStream_tbPNSt15iterator_traitsISE_E10value_typeEPNSK_ISF_E10value_typeEPSG_NS1_7vsmem_tEENKUlT_SE_SF_SG_E_clIS8_S8_S9_S9_EESD_ST_SE_SF_SG_EUlST_E0_NS1_11comp_targetILNS1_3genE3ELNS1_11target_archE908ELNS1_3gpuE7ELNS1_3repE0EEENS1_38merge_mergepath_config_static_selectorELNS0_4arch9wavefront6targetE1EEEvSF_
		.amdhsa_group_segment_fixed_size 0
		.amdhsa_private_segment_fixed_size 0
		.amdhsa_kernarg_size 64
		.amdhsa_user_sgpr_count 6
		.amdhsa_user_sgpr_private_segment_buffer 1
		.amdhsa_user_sgpr_dispatch_ptr 0
		.amdhsa_user_sgpr_queue_ptr 0
		.amdhsa_user_sgpr_kernarg_segment_ptr 1
		.amdhsa_user_sgpr_dispatch_id 0
		.amdhsa_user_sgpr_flat_scratch_init 0
		.amdhsa_user_sgpr_kernarg_preload_length 0
		.amdhsa_user_sgpr_kernarg_preload_offset 0
		.amdhsa_user_sgpr_private_segment_size 0
		.amdhsa_uses_dynamic_stack 0
		.amdhsa_system_sgpr_private_segment_wavefront_offset 0
		.amdhsa_system_sgpr_workgroup_id_x 1
		.amdhsa_system_sgpr_workgroup_id_y 0
		.amdhsa_system_sgpr_workgroup_id_z 0
		.amdhsa_system_sgpr_workgroup_info 0
		.amdhsa_system_vgpr_workitem_id 0
		.amdhsa_next_free_vgpr 1
		.amdhsa_next_free_sgpr 0
		.amdhsa_accum_offset 4
		.amdhsa_reserve_vcc 0
		.amdhsa_reserve_flat_scratch 0
		.amdhsa_float_round_mode_32 0
		.amdhsa_float_round_mode_16_64 0
		.amdhsa_float_denorm_mode_32 3
		.amdhsa_float_denorm_mode_16_64 3
		.amdhsa_dx10_clamp 1
		.amdhsa_ieee_mode 1
		.amdhsa_fp16_overflow 0
		.amdhsa_tg_split 0
		.amdhsa_exception_fp_ieee_invalid_op 0
		.amdhsa_exception_fp_denorm_src 0
		.amdhsa_exception_fp_ieee_div_zero 0
		.amdhsa_exception_fp_ieee_overflow 0
		.amdhsa_exception_fp_ieee_underflow 0
		.amdhsa_exception_fp_ieee_inexact 0
		.amdhsa_exception_int_div_zero 0
	.end_amdhsa_kernel
	.section	.text._ZN7rocprim17ROCPRIM_400000_NS6detail17trampoline_kernelINS0_14default_configENS1_38merge_sort_block_merge_config_selectorIfNS0_10empty_typeEEEZZNS1_27merge_sort_block_merge_implIS3_PfPS5_jNS1_19radix_merge_compareILb0ELb0EfNS0_19identity_decomposerEEEEE10hipError_tT0_T1_T2_jT3_P12ihipStream_tbPNSt15iterator_traitsISE_E10value_typeEPNSK_ISF_E10value_typeEPSG_NS1_7vsmem_tEENKUlT_SE_SF_SG_E_clIS8_S8_S9_S9_EESD_ST_SE_SF_SG_EUlST_E0_NS1_11comp_targetILNS1_3genE3ELNS1_11target_archE908ELNS1_3gpuE7ELNS1_3repE0EEENS1_38merge_mergepath_config_static_selectorELNS0_4arch9wavefront6targetE1EEEvSF_,"axG",@progbits,_ZN7rocprim17ROCPRIM_400000_NS6detail17trampoline_kernelINS0_14default_configENS1_38merge_sort_block_merge_config_selectorIfNS0_10empty_typeEEEZZNS1_27merge_sort_block_merge_implIS3_PfPS5_jNS1_19radix_merge_compareILb0ELb0EfNS0_19identity_decomposerEEEEE10hipError_tT0_T1_T2_jT3_P12ihipStream_tbPNSt15iterator_traitsISE_E10value_typeEPNSK_ISF_E10value_typeEPSG_NS1_7vsmem_tEENKUlT_SE_SF_SG_E_clIS8_S8_S9_S9_EESD_ST_SE_SF_SG_EUlST_E0_NS1_11comp_targetILNS1_3genE3ELNS1_11target_archE908ELNS1_3gpuE7ELNS1_3repE0EEENS1_38merge_mergepath_config_static_selectorELNS0_4arch9wavefront6targetE1EEEvSF_,comdat
.Lfunc_end1248:
	.size	_ZN7rocprim17ROCPRIM_400000_NS6detail17trampoline_kernelINS0_14default_configENS1_38merge_sort_block_merge_config_selectorIfNS0_10empty_typeEEEZZNS1_27merge_sort_block_merge_implIS3_PfPS5_jNS1_19radix_merge_compareILb0ELb0EfNS0_19identity_decomposerEEEEE10hipError_tT0_T1_T2_jT3_P12ihipStream_tbPNSt15iterator_traitsISE_E10value_typeEPNSK_ISF_E10value_typeEPSG_NS1_7vsmem_tEENKUlT_SE_SF_SG_E_clIS8_S8_S9_S9_EESD_ST_SE_SF_SG_EUlST_E0_NS1_11comp_targetILNS1_3genE3ELNS1_11target_archE908ELNS1_3gpuE7ELNS1_3repE0EEENS1_38merge_mergepath_config_static_selectorELNS0_4arch9wavefront6targetE1EEEvSF_, .Lfunc_end1248-_ZN7rocprim17ROCPRIM_400000_NS6detail17trampoline_kernelINS0_14default_configENS1_38merge_sort_block_merge_config_selectorIfNS0_10empty_typeEEEZZNS1_27merge_sort_block_merge_implIS3_PfPS5_jNS1_19radix_merge_compareILb0ELb0EfNS0_19identity_decomposerEEEEE10hipError_tT0_T1_T2_jT3_P12ihipStream_tbPNSt15iterator_traitsISE_E10value_typeEPNSK_ISF_E10value_typeEPSG_NS1_7vsmem_tEENKUlT_SE_SF_SG_E_clIS8_S8_S9_S9_EESD_ST_SE_SF_SG_EUlST_E0_NS1_11comp_targetILNS1_3genE3ELNS1_11target_archE908ELNS1_3gpuE7ELNS1_3repE0EEENS1_38merge_mergepath_config_static_selectorELNS0_4arch9wavefront6targetE1EEEvSF_
                                        ; -- End function
	.section	.AMDGPU.csdata,"",@progbits
; Kernel info:
; codeLenInByte = 0
; NumSgprs: 4
; NumVgprs: 0
; NumAgprs: 0
; TotalNumVgprs: 0
; ScratchSize: 0
; MemoryBound: 0
; FloatMode: 240
; IeeeMode: 1
; LDSByteSize: 0 bytes/workgroup (compile time only)
; SGPRBlocks: 0
; VGPRBlocks: 0
; NumSGPRsForWavesPerEU: 4
; NumVGPRsForWavesPerEU: 1
; AccumOffset: 4
; Occupancy: 8
; WaveLimiterHint : 0
; COMPUTE_PGM_RSRC2:SCRATCH_EN: 0
; COMPUTE_PGM_RSRC2:USER_SGPR: 6
; COMPUTE_PGM_RSRC2:TRAP_HANDLER: 0
; COMPUTE_PGM_RSRC2:TGID_X_EN: 1
; COMPUTE_PGM_RSRC2:TGID_Y_EN: 0
; COMPUTE_PGM_RSRC2:TGID_Z_EN: 0
; COMPUTE_PGM_RSRC2:TIDIG_COMP_CNT: 0
; COMPUTE_PGM_RSRC3_GFX90A:ACCUM_OFFSET: 0
; COMPUTE_PGM_RSRC3_GFX90A:TG_SPLIT: 0
	.section	.text._ZN7rocprim17ROCPRIM_400000_NS6detail17trampoline_kernelINS0_14default_configENS1_38merge_sort_block_merge_config_selectorIfNS0_10empty_typeEEEZZNS1_27merge_sort_block_merge_implIS3_PfPS5_jNS1_19radix_merge_compareILb0ELb0EfNS0_19identity_decomposerEEEEE10hipError_tT0_T1_T2_jT3_P12ihipStream_tbPNSt15iterator_traitsISE_E10value_typeEPNSK_ISF_E10value_typeEPSG_NS1_7vsmem_tEENKUlT_SE_SF_SG_E_clIS8_S8_S9_S9_EESD_ST_SE_SF_SG_EUlST_E0_NS1_11comp_targetILNS1_3genE2ELNS1_11target_archE906ELNS1_3gpuE6ELNS1_3repE0EEENS1_38merge_mergepath_config_static_selectorELNS0_4arch9wavefront6targetE1EEEvSF_,"axG",@progbits,_ZN7rocprim17ROCPRIM_400000_NS6detail17trampoline_kernelINS0_14default_configENS1_38merge_sort_block_merge_config_selectorIfNS0_10empty_typeEEEZZNS1_27merge_sort_block_merge_implIS3_PfPS5_jNS1_19radix_merge_compareILb0ELb0EfNS0_19identity_decomposerEEEEE10hipError_tT0_T1_T2_jT3_P12ihipStream_tbPNSt15iterator_traitsISE_E10value_typeEPNSK_ISF_E10value_typeEPSG_NS1_7vsmem_tEENKUlT_SE_SF_SG_E_clIS8_S8_S9_S9_EESD_ST_SE_SF_SG_EUlST_E0_NS1_11comp_targetILNS1_3genE2ELNS1_11target_archE906ELNS1_3gpuE6ELNS1_3repE0EEENS1_38merge_mergepath_config_static_selectorELNS0_4arch9wavefront6targetE1EEEvSF_,comdat
	.protected	_ZN7rocprim17ROCPRIM_400000_NS6detail17trampoline_kernelINS0_14default_configENS1_38merge_sort_block_merge_config_selectorIfNS0_10empty_typeEEEZZNS1_27merge_sort_block_merge_implIS3_PfPS5_jNS1_19radix_merge_compareILb0ELb0EfNS0_19identity_decomposerEEEEE10hipError_tT0_T1_T2_jT3_P12ihipStream_tbPNSt15iterator_traitsISE_E10value_typeEPNSK_ISF_E10value_typeEPSG_NS1_7vsmem_tEENKUlT_SE_SF_SG_E_clIS8_S8_S9_S9_EESD_ST_SE_SF_SG_EUlST_E0_NS1_11comp_targetILNS1_3genE2ELNS1_11target_archE906ELNS1_3gpuE6ELNS1_3repE0EEENS1_38merge_mergepath_config_static_selectorELNS0_4arch9wavefront6targetE1EEEvSF_ ; -- Begin function _ZN7rocprim17ROCPRIM_400000_NS6detail17trampoline_kernelINS0_14default_configENS1_38merge_sort_block_merge_config_selectorIfNS0_10empty_typeEEEZZNS1_27merge_sort_block_merge_implIS3_PfPS5_jNS1_19radix_merge_compareILb0ELb0EfNS0_19identity_decomposerEEEEE10hipError_tT0_T1_T2_jT3_P12ihipStream_tbPNSt15iterator_traitsISE_E10value_typeEPNSK_ISF_E10value_typeEPSG_NS1_7vsmem_tEENKUlT_SE_SF_SG_E_clIS8_S8_S9_S9_EESD_ST_SE_SF_SG_EUlST_E0_NS1_11comp_targetILNS1_3genE2ELNS1_11target_archE906ELNS1_3gpuE6ELNS1_3repE0EEENS1_38merge_mergepath_config_static_selectorELNS0_4arch9wavefront6targetE1EEEvSF_
	.globl	_ZN7rocprim17ROCPRIM_400000_NS6detail17trampoline_kernelINS0_14default_configENS1_38merge_sort_block_merge_config_selectorIfNS0_10empty_typeEEEZZNS1_27merge_sort_block_merge_implIS3_PfPS5_jNS1_19radix_merge_compareILb0ELb0EfNS0_19identity_decomposerEEEEE10hipError_tT0_T1_T2_jT3_P12ihipStream_tbPNSt15iterator_traitsISE_E10value_typeEPNSK_ISF_E10value_typeEPSG_NS1_7vsmem_tEENKUlT_SE_SF_SG_E_clIS8_S8_S9_S9_EESD_ST_SE_SF_SG_EUlST_E0_NS1_11comp_targetILNS1_3genE2ELNS1_11target_archE906ELNS1_3gpuE6ELNS1_3repE0EEENS1_38merge_mergepath_config_static_selectorELNS0_4arch9wavefront6targetE1EEEvSF_
	.p2align	8
	.type	_ZN7rocprim17ROCPRIM_400000_NS6detail17trampoline_kernelINS0_14default_configENS1_38merge_sort_block_merge_config_selectorIfNS0_10empty_typeEEEZZNS1_27merge_sort_block_merge_implIS3_PfPS5_jNS1_19radix_merge_compareILb0ELb0EfNS0_19identity_decomposerEEEEE10hipError_tT0_T1_T2_jT3_P12ihipStream_tbPNSt15iterator_traitsISE_E10value_typeEPNSK_ISF_E10value_typeEPSG_NS1_7vsmem_tEENKUlT_SE_SF_SG_E_clIS8_S8_S9_S9_EESD_ST_SE_SF_SG_EUlST_E0_NS1_11comp_targetILNS1_3genE2ELNS1_11target_archE906ELNS1_3gpuE6ELNS1_3repE0EEENS1_38merge_mergepath_config_static_selectorELNS0_4arch9wavefront6targetE1EEEvSF_,@function
_ZN7rocprim17ROCPRIM_400000_NS6detail17trampoline_kernelINS0_14default_configENS1_38merge_sort_block_merge_config_selectorIfNS0_10empty_typeEEEZZNS1_27merge_sort_block_merge_implIS3_PfPS5_jNS1_19radix_merge_compareILb0ELb0EfNS0_19identity_decomposerEEEEE10hipError_tT0_T1_T2_jT3_P12ihipStream_tbPNSt15iterator_traitsISE_E10value_typeEPNSK_ISF_E10value_typeEPSG_NS1_7vsmem_tEENKUlT_SE_SF_SG_E_clIS8_S8_S9_S9_EESD_ST_SE_SF_SG_EUlST_E0_NS1_11comp_targetILNS1_3genE2ELNS1_11target_archE906ELNS1_3gpuE6ELNS1_3repE0EEENS1_38merge_mergepath_config_static_selectorELNS0_4arch9wavefront6targetE1EEEvSF_: ; @_ZN7rocprim17ROCPRIM_400000_NS6detail17trampoline_kernelINS0_14default_configENS1_38merge_sort_block_merge_config_selectorIfNS0_10empty_typeEEEZZNS1_27merge_sort_block_merge_implIS3_PfPS5_jNS1_19radix_merge_compareILb0ELb0EfNS0_19identity_decomposerEEEEE10hipError_tT0_T1_T2_jT3_P12ihipStream_tbPNSt15iterator_traitsISE_E10value_typeEPNSK_ISF_E10value_typeEPSG_NS1_7vsmem_tEENKUlT_SE_SF_SG_E_clIS8_S8_S9_S9_EESD_ST_SE_SF_SG_EUlST_E0_NS1_11comp_targetILNS1_3genE2ELNS1_11target_archE906ELNS1_3gpuE6ELNS1_3repE0EEENS1_38merge_mergepath_config_static_selectorELNS0_4arch9wavefront6targetE1EEEvSF_
; %bb.0:
	.section	.rodata,"a",@progbits
	.p2align	6, 0x0
	.amdhsa_kernel _ZN7rocprim17ROCPRIM_400000_NS6detail17trampoline_kernelINS0_14default_configENS1_38merge_sort_block_merge_config_selectorIfNS0_10empty_typeEEEZZNS1_27merge_sort_block_merge_implIS3_PfPS5_jNS1_19radix_merge_compareILb0ELb0EfNS0_19identity_decomposerEEEEE10hipError_tT0_T1_T2_jT3_P12ihipStream_tbPNSt15iterator_traitsISE_E10value_typeEPNSK_ISF_E10value_typeEPSG_NS1_7vsmem_tEENKUlT_SE_SF_SG_E_clIS8_S8_S9_S9_EESD_ST_SE_SF_SG_EUlST_E0_NS1_11comp_targetILNS1_3genE2ELNS1_11target_archE906ELNS1_3gpuE6ELNS1_3repE0EEENS1_38merge_mergepath_config_static_selectorELNS0_4arch9wavefront6targetE1EEEvSF_
		.amdhsa_group_segment_fixed_size 0
		.amdhsa_private_segment_fixed_size 0
		.amdhsa_kernarg_size 64
		.amdhsa_user_sgpr_count 6
		.amdhsa_user_sgpr_private_segment_buffer 1
		.amdhsa_user_sgpr_dispatch_ptr 0
		.amdhsa_user_sgpr_queue_ptr 0
		.amdhsa_user_sgpr_kernarg_segment_ptr 1
		.amdhsa_user_sgpr_dispatch_id 0
		.amdhsa_user_sgpr_flat_scratch_init 0
		.amdhsa_user_sgpr_kernarg_preload_length 0
		.amdhsa_user_sgpr_kernarg_preload_offset 0
		.amdhsa_user_sgpr_private_segment_size 0
		.amdhsa_uses_dynamic_stack 0
		.amdhsa_system_sgpr_private_segment_wavefront_offset 0
		.amdhsa_system_sgpr_workgroup_id_x 1
		.amdhsa_system_sgpr_workgroup_id_y 0
		.amdhsa_system_sgpr_workgroup_id_z 0
		.amdhsa_system_sgpr_workgroup_info 0
		.amdhsa_system_vgpr_workitem_id 0
		.amdhsa_next_free_vgpr 1
		.amdhsa_next_free_sgpr 0
		.amdhsa_accum_offset 4
		.amdhsa_reserve_vcc 0
		.amdhsa_reserve_flat_scratch 0
		.amdhsa_float_round_mode_32 0
		.amdhsa_float_round_mode_16_64 0
		.amdhsa_float_denorm_mode_32 3
		.amdhsa_float_denorm_mode_16_64 3
		.amdhsa_dx10_clamp 1
		.amdhsa_ieee_mode 1
		.amdhsa_fp16_overflow 0
		.amdhsa_tg_split 0
		.amdhsa_exception_fp_ieee_invalid_op 0
		.amdhsa_exception_fp_denorm_src 0
		.amdhsa_exception_fp_ieee_div_zero 0
		.amdhsa_exception_fp_ieee_overflow 0
		.amdhsa_exception_fp_ieee_underflow 0
		.amdhsa_exception_fp_ieee_inexact 0
		.amdhsa_exception_int_div_zero 0
	.end_amdhsa_kernel
	.section	.text._ZN7rocprim17ROCPRIM_400000_NS6detail17trampoline_kernelINS0_14default_configENS1_38merge_sort_block_merge_config_selectorIfNS0_10empty_typeEEEZZNS1_27merge_sort_block_merge_implIS3_PfPS5_jNS1_19radix_merge_compareILb0ELb0EfNS0_19identity_decomposerEEEEE10hipError_tT0_T1_T2_jT3_P12ihipStream_tbPNSt15iterator_traitsISE_E10value_typeEPNSK_ISF_E10value_typeEPSG_NS1_7vsmem_tEENKUlT_SE_SF_SG_E_clIS8_S8_S9_S9_EESD_ST_SE_SF_SG_EUlST_E0_NS1_11comp_targetILNS1_3genE2ELNS1_11target_archE906ELNS1_3gpuE6ELNS1_3repE0EEENS1_38merge_mergepath_config_static_selectorELNS0_4arch9wavefront6targetE1EEEvSF_,"axG",@progbits,_ZN7rocprim17ROCPRIM_400000_NS6detail17trampoline_kernelINS0_14default_configENS1_38merge_sort_block_merge_config_selectorIfNS0_10empty_typeEEEZZNS1_27merge_sort_block_merge_implIS3_PfPS5_jNS1_19radix_merge_compareILb0ELb0EfNS0_19identity_decomposerEEEEE10hipError_tT0_T1_T2_jT3_P12ihipStream_tbPNSt15iterator_traitsISE_E10value_typeEPNSK_ISF_E10value_typeEPSG_NS1_7vsmem_tEENKUlT_SE_SF_SG_E_clIS8_S8_S9_S9_EESD_ST_SE_SF_SG_EUlST_E0_NS1_11comp_targetILNS1_3genE2ELNS1_11target_archE906ELNS1_3gpuE6ELNS1_3repE0EEENS1_38merge_mergepath_config_static_selectorELNS0_4arch9wavefront6targetE1EEEvSF_,comdat
.Lfunc_end1249:
	.size	_ZN7rocprim17ROCPRIM_400000_NS6detail17trampoline_kernelINS0_14default_configENS1_38merge_sort_block_merge_config_selectorIfNS0_10empty_typeEEEZZNS1_27merge_sort_block_merge_implIS3_PfPS5_jNS1_19radix_merge_compareILb0ELb0EfNS0_19identity_decomposerEEEEE10hipError_tT0_T1_T2_jT3_P12ihipStream_tbPNSt15iterator_traitsISE_E10value_typeEPNSK_ISF_E10value_typeEPSG_NS1_7vsmem_tEENKUlT_SE_SF_SG_E_clIS8_S8_S9_S9_EESD_ST_SE_SF_SG_EUlST_E0_NS1_11comp_targetILNS1_3genE2ELNS1_11target_archE906ELNS1_3gpuE6ELNS1_3repE0EEENS1_38merge_mergepath_config_static_selectorELNS0_4arch9wavefront6targetE1EEEvSF_, .Lfunc_end1249-_ZN7rocprim17ROCPRIM_400000_NS6detail17trampoline_kernelINS0_14default_configENS1_38merge_sort_block_merge_config_selectorIfNS0_10empty_typeEEEZZNS1_27merge_sort_block_merge_implIS3_PfPS5_jNS1_19radix_merge_compareILb0ELb0EfNS0_19identity_decomposerEEEEE10hipError_tT0_T1_T2_jT3_P12ihipStream_tbPNSt15iterator_traitsISE_E10value_typeEPNSK_ISF_E10value_typeEPSG_NS1_7vsmem_tEENKUlT_SE_SF_SG_E_clIS8_S8_S9_S9_EESD_ST_SE_SF_SG_EUlST_E0_NS1_11comp_targetILNS1_3genE2ELNS1_11target_archE906ELNS1_3gpuE6ELNS1_3repE0EEENS1_38merge_mergepath_config_static_selectorELNS0_4arch9wavefront6targetE1EEEvSF_
                                        ; -- End function
	.section	.AMDGPU.csdata,"",@progbits
; Kernel info:
; codeLenInByte = 0
; NumSgprs: 4
; NumVgprs: 0
; NumAgprs: 0
; TotalNumVgprs: 0
; ScratchSize: 0
; MemoryBound: 0
; FloatMode: 240
; IeeeMode: 1
; LDSByteSize: 0 bytes/workgroup (compile time only)
; SGPRBlocks: 0
; VGPRBlocks: 0
; NumSGPRsForWavesPerEU: 4
; NumVGPRsForWavesPerEU: 1
; AccumOffset: 4
; Occupancy: 8
; WaveLimiterHint : 0
; COMPUTE_PGM_RSRC2:SCRATCH_EN: 0
; COMPUTE_PGM_RSRC2:USER_SGPR: 6
; COMPUTE_PGM_RSRC2:TRAP_HANDLER: 0
; COMPUTE_PGM_RSRC2:TGID_X_EN: 1
; COMPUTE_PGM_RSRC2:TGID_Y_EN: 0
; COMPUTE_PGM_RSRC2:TGID_Z_EN: 0
; COMPUTE_PGM_RSRC2:TIDIG_COMP_CNT: 0
; COMPUTE_PGM_RSRC3_GFX90A:ACCUM_OFFSET: 0
; COMPUTE_PGM_RSRC3_GFX90A:TG_SPLIT: 0
	.section	.text._ZN7rocprim17ROCPRIM_400000_NS6detail17trampoline_kernelINS0_14default_configENS1_38merge_sort_block_merge_config_selectorIfNS0_10empty_typeEEEZZNS1_27merge_sort_block_merge_implIS3_PfPS5_jNS1_19radix_merge_compareILb0ELb0EfNS0_19identity_decomposerEEEEE10hipError_tT0_T1_T2_jT3_P12ihipStream_tbPNSt15iterator_traitsISE_E10value_typeEPNSK_ISF_E10value_typeEPSG_NS1_7vsmem_tEENKUlT_SE_SF_SG_E_clIS8_S8_S9_S9_EESD_ST_SE_SF_SG_EUlST_E0_NS1_11comp_targetILNS1_3genE9ELNS1_11target_archE1100ELNS1_3gpuE3ELNS1_3repE0EEENS1_38merge_mergepath_config_static_selectorELNS0_4arch9wavefront6targetE1EEEvSF_,"axG",@progbits,_ZN7rocprim17ROCPRIM_400000_NS6detail17trampoline_kernelINS0_14default_configENS1_38merge_sort_block_merge_config_selectorIfNS0_10empty_typeEEEZZNS1_27merge_sort_block_merge_implIS3_PfPS5_jNS1_19radix_merge_compareILb0ELb0EfNS0_19identity_decomposerEEEEE10hipError_tT0_T1_T2_jT3_P12ihipStream_tbPNSt15iterator_traitsISE_E10value_typeEPNSK_ISF_E10value_typeEPSG_NS1_7vsmem_tEENKUlT_SE_SF_SG_E_clIS8_S8_S9_S9_EESD_ST_SE_SF_SG_EUlST_E0_NS1_11comp_targetILNS1_3genE9ELNS1_11target_archE1100ELNS1_3gpuE3ELNS1_3repE0EEENS1_38merge_mergepath_config_static_selectorELNS0_4arch9wavefront6targetE1EEEvSF_,comdat
	.protected	_ZN7rocprim17ROCPRIM_400000_NS6detail17trampoline_kernelINS0_14default_configENS1_38merge_sort_block_merge_config_selectorIfNS0_10empty_typeEEEZZNS1_27merge_sort_block_merge_implIS3_PfPS5_jNS1_19radix_merge_compareILb0ELb0EfNS0_19identity_decomposerEEEEE10hipError_tT0_T1_T2_jT3_P12ihipStream_tbPNSt15iterator_traitsISE_E10value_typeEPNSK_ISF_E10value_typeEPSG_NS1_7vsmem_tEENKUlT_SE_SF_SG_E_clIS8_S8_S9_S9_EESD_ST_SE_SF_SG_EUlST_E0_NS1_11comp_targetILNS1_3genE9ELNS1_11target_archE1100ELNS1_3gpuE3ELNS1_3repE0EEENS1_38merge_mergepath_config_static_selectorELNS0_4arch9wavefront6targetE1EEEvSF_ ; -- Begin function _ZN7rocprim17ROCPRIM_400000_NS6detail17trampoline_kernelINS0_14default_configENS1_38merge_sort_block_merge_config_selectorIfNS0_10empty_typeEEEZZNS1_27merge_sort_block_merge_implIS3_PfPS5_jNS1_19radix_merge_compareILb0ELb0EfNS0_19identity_decomposerEEEEE10hipError_tT0_T1_T2_jT3_P12ihipStream_tbPNSt15iterator_traitsISE_E10value_typeEPNSK_ISF_E10value_typeEPSG_NS1_7vsmem_tEENKUlT_SE_SF_SG_E_clIS8_S8_S9_S9_EESD_ST_SE_SF_SG_EUlST_E0_NS1_11comp_targetILNS1_3genE9ELNS1_11target_archE1100ELNS1_3gpuE3ELNS1_3repE0EEENS1_38merge_mergepath_config_static_selectorELNS0_4arch9wavefront6targetE1EEEvSF_
	.globl	_ZN7rocprim17ROCPRIM_400000_NS6detail17trampoline_kernelINS0_14default_configENS1_38merge_sort_block_merge_config_selectorIfNS0_10empty_typeEEEZZNS1_27merge_sort_block_merge_implIS3_PfPS5_jNS1_19radix_merge_compareILb0ELb0EfNS0_19identity_decomposerEEEEE10hipError_tT0_T1_T2_jT3_P12ihipStream_tbPNSt15iterator_traitsISE_E10value_typeEPNSK_ISF_E10value_typeEPSG_NS1_7vsmem_tEENKUlT_SE_SF_SG_E_clIS8_S8_S9_S9_EESD_ST_SE_SF_SG_EUlST_E0_NS1_11comp_targetILNS1_3genE9ELNS1_11target_archE1100ELNS1_3gpuE3ELNS1_3repE0EEENS1_38merge_mergepath_config_static_selectorELNS0_4arch9wavefront6targetE1EEEvSF_
	.p2align	8
	.type	_ZN7rocprim17ROCPRIM_400000_NS6detail17trampoline_kernelINS0_14default_configENS1_38merge_sort_block_merge_config_selectorIfNS0_10empty_typeEEEZZNS1_27merge_sort_block_merge_implIS3_PfPS5_jNS1_19radix_merge_compareILb0ELb0EfNS0_19identity_decomposerEEEEE10hipError_tT0_T1_T2_jT3_P12ihipStream_tbPNSt15iterator_traitsISE_E10value_typeEPNSK_ISF_E10value_typeEPSG_NS1_7vsmem_tEENKUlT_SE_SF_SG_E_clIS8_S8_S9_S9_EESD_ST_SE_SF_SG_EUlST_E0_NS1_11comp_targetILNS1_3genE9ELNS1_11target_archE1100ELNS1_3gpuE3ELNS1_3repE0EEENS1_38merge_mergepath_config_static_selectorELNS0_4arch9wavefront6targetE1EEEvSF_,@function
_ZN7rocprim17ROCPRIM_400000_NS6detail17trampoline_kernelINS0_14default_configENS1_38merge_sort_block_merge_config_selectorIfNS0_10empty_typeEEEZZNS1_27merge_sort_block_merge_implIS3_PfPS5_jNS1_19radix_merge_compareILb0ELb0EfNS0_19identity_decomposerEEEEE10hipError_tT0_T1_T2_jT3_P12ihipStream_tbPNSt15iterator_traitsISE_E10value_typeEPNSK_ISF_E10value_typeEPSG_NS1_7vsmem_tEENKUlT_SE_SF_SG_E_clIS8_S8_S9_S9_EESD_ST_SE_SF_SG_EUlST_E0_NS1_11comp_targetILNS1_3genE9ELNS1_11target_archE1100ELNS1_3gpuE3ELNS1_3repE0EEENS1_38merge_mergepath_config_static_selectorELNS0_4arch9wavefront6targetE1EEEvSF_: ; @_ZN7rocprim17ROCPRIM_400000_NS6detail17trampoline_kernelINS0_14default_configENS1_38merge_sort_block_merge_config_selectorIfNS0_10empty_typeEEEZZNS1_27merge_sort_block_merge_implIS3_PfPS5_jNS1_19radix_merge_compareILb0ELb0EfNS0_19identity_decomposerEEEEE10hipError_tT0_T1_T2_jT3_P12ihipStream_tbPNSt15iterator_traitsISE_E10value_typeEPNSK_ISF_E10value_typeEPSG_NS1_7vsmem_tEENKUlT_SE_SF_SG_E_clIS8_S8_S9_S9_EESD_ST_SE_SF_SG_EUlST_E0_NS1_11comp_targetILNS1_3genE9ELNS1_11target_archE1100ELNS1_3gpuE3ELNS1_3repE0EEENS1_38merge_mergepath_config_static_selectorELNS0_4arch9wavefront6targetE1EEEvSF_
; %bb.0:
	.section	.rodata,"a",@progbits
	.p2align	6, 0x0
	.amdhsa_kernel _ZN7rocprim17ROCPRIM_400000_NS6detail17trampoline_kernelINS0_14default_configENS1_38merge_sort_block_merge_config_selectorIfNS0_10empty_typeEEEZZNS1_27merge_sort_block_merge_implIS3_PfPS5_jNS1_19radix_merge_compareILb0ELb0EfNS0_19identity_decomposerEEEEE10hipError_tT0_T1_T2_jT3_P12ihipStream_tbPNSt15iterator_traitsISE_E10value_typeEPNSK_ISF_E10value_typeEPSG_NS1_7vsmem_tEENKUlT_SE_SF_SG_E_clIS8_S8_S9_S9_EESD_ST_SE_SF_SG_EUlST_E0_NS1_11comp_targetILNS1_3genE9ELNS1_11target_archE1100ELNS1_3gpuE3ELNS1_3repE0EEENS1_38merge_mergepath_config_static_selectorELNS0_4arch9wavefront6targetE1EEEvSF_
		.amdhsa_group_segment_fixed_size 0
		.amdhsa_private_segment_fixed_size 0
		.amdhsa_kernarg_size 64
		.amdhsa_user_sgpr_count 6
		.amdhsa_user_sgpr_private_segment_buffer 1
		.amdhsa_user_sgpr_dispatch_ptr 0
		.amdhsa_user_sgpr_queue_ptr 0
		.amdhsa_user_sgpr_kernarg_segment_ptr 1
		.amdhsa_user_sgpr_dispatch_id 0
		.amdhsa_user_sgpr_flat_scratch_init 0
		.amdhsa_user_sgpr_kernarg_preload_length 0
		.amdhsa_user_sgpr_kernarg_preload_offset 0
		.amdhsa_user_sgpr_private_segment_size 0
		.amdhsa_uses_dynamic_stack 0
		.amdhsa_system_sgpr_private_segment_wavefront_offset 0
		.amdhsa_system_sgpr_workgroup_id_x 1
		.amdhsa_system_sgpr_workgroup_id_y 0
		.amdhsa_system_sgpr_workgroup_id_z 0
		.amdhsa_system_sgpr_workgroup_info 0
		.amdhsa_system_vgpr_workitem_id 0
		.amdhsa_next_free_vgpr 1
		.amdhsa_next_free_sgpr 0
		.amdhsa_accum_offset 4
		.amdhsa_reserve_vcc 0
		.amdhsa_reserve_flat_scratch 0
		.amdhsa_float_round_mode_32 0
		.amdhsa_float_round_mode_16_64 0
		.amdhsa_float_denorm_mode_32 3
		.amdhsa_float_denorm_mode_16_64 3
		.amdhsa_dx10_clamp 1
		.amdhsa_ieee_mode 1
		.amdhsa_fp16_overflow 0
		.amdhsa_tg_split 0
		.amdhsa_exception_fp_ieee_invalid_op 0
		.amdhsa_exception_fp_denorm_src 0
		.amdhsa_exception_fp_ieee_div_zero 0
		.amdhsa_exception_fp_ieee_overflow 0
		.amdhsa_exception_fp_ieee_underflow 0
		.amdhsa_exception_fp_ieee_inexact 0
		.amdhsa_exception_int_div_zero 0
	.end_amdhsa_kernel
	.section	.text._ZN7rocprim17ROCPRIM_400000_NS6detail17trampoline_kernelINS0_14default_configENS1_38merge_sort_block_merge_config_selectorIfNS0_10empty_typeEEEZZNS1_27merge_sort_block_merge_implIS3_PfPS5_jNS1_19radix_merge_compareILb0ELb0EfNS0_19identity_decomposerEEEEE10hipError_tT0_T1_T2_jT3_P12ihipStream_tbPNSt15iterator_traitsISE_E10value_typeEPNSK_ISF_E10value_typeEPSG_NS1_7vsmem_tEENKUlT_SE_SF_SG_E_clIS8_S8_S9_S9_EESD_ST_SE_SF_SG_EUlST_E0_NS1_11comp_targetILNS1_3genE9ELNS1_11target_archE1100ELNS1_3gpuE3ELNS1_3repE0EEENS1_38merge_mergepath_config_static_selectorELNS0_4arch9wavefront6targetE1EEEvSF_,"axG",@progbits,_ZN7rocprim17ROCPRIM_400000_NS6detail17trampoline_kernelINS0_14default_configENS1_38merge_sort_block_merge_config_selectorIfNS0_10empty_typeEEEZZNS1_27merge_sort_block_merge_implIS3_PfPS5_jNS1_19radix_merge_compareILb0ELb0EfNS0_19identity_decomposerEEEEE10hipError_tT0_T1_T2_jT3_P12ihipStream_tbPNSt15iterator_traitsISE_E10value_typeEPNSK_ISF_E10value_typeEPSG_NS1_7vsmem_tEENKUlT_SE_SF_SG_E_clIS8_S8_S9_S9_EESD_ST_SE_SF_SG_EUlST_E0_NS1_11comp_targetILNS1_3genE9ELNS1_11target_archE1100ELNS1_3gpuE3ELNS1_3repE0EEENS1_38merge_mergepath_config_static_selectorELNS0_4arch9wavefront6targetE1EEEvSF_,comdat
.Lfunc_end1250:
	.size	_ZN7rocprim17ROCPRIM_400000_NS6detail17trampoline_kernelINS0_14default_configENS1_38merge_sort_block_merge_config_selectorIfNS0_10empty_typeEEEZZNS1_27merge_sort_block_merge_implIS3_PfPS5_jNS1_19radix_merge_compareILb0ELb0EfNS0_19identity_decomposerEEEEE10hipError_tT0_T1_T2_jT3_P12ihipStream_tbPNSt15iterator_traitsISE_E10value_typeEPNSK_ISF_E10value_typeEPSG_NS1_7vsmem_tEENKUlT_SE_SF_SG_E_clIS8_S8_S9_S9_EESD_ST_SE_SF_SG_EUlST_E0_NS1_11comp_targetILNS1_3genE9ELNS1_11target_archE1100ELNS1_3gpuE3ELNS1_3repE0EEENS1_38merge_mergepath_config_static_selectorELNS0_4arch9wavefront6targetE1EEEvSF_, .Lfunc_end1250-_ZN7rocprim17ROCPRIM_400000_NS6detail17trampoline_kernelINS0_14default_configENS1_38merge_sort_block_merge_config_selectorIfNS0_10empty_typeEEEZZNS1_27merge_sort_block_merge_implIS3_PfPS5_jNS1_19radix_merge_compareILb0ELb0EfNS0_19identity_decomposerEEEEE10hipError_tT0_T1_T2_jT3_P12ihipStream_tbPNSt15iterator_traitsISE_E10value_typeEPNSK_ISF_E10value_typeEPSG_NS1_7vsmem_tEENKUlT_SE_SF_SG_E_clIS8_S8_S9_S9_EESD_ST_SE_SF_SG_EUlST_E0_NS1_11comp_targetILNS1_3genE9ELNS1_11target_archE1100ELNS1_3gpuE3ELNS1_3repE0EEENS1_38merge_mergepath_config_static_selectorELNS0_4arch9wavefront6targetE1EEEvSF_
                                        ; -- End function
	.section	.AMDGPU.csdata,"",@progbits
; Kernel info:
; codeLenInByte = 0
; NumSgprs: 4
; NumVgprs: 0
; NumAgprs: 0
; TotalNumVgprs: 0
; ScratchSize: 0
; MemoryBound: 0
; FloatMode: 240
; IeeeMode: 1
; LDSByteSize: 0 bytes/workgroup (compile time only)
; SGPRBlocks: 0
; VGPRBlocks: 0
; NumSGPRsForWavesPerEU: 4
; NumVGPRsForWavesPerEU: 1
; AccumOffset: 4
; Occupancy: 8
; WaveLimiterHint : 0
; COMPUTE_PGM_RSRC2:SCRATCH_EN: 0
; COMPUTE_PGM_RSRC2:USER_SGPR: 6
; COMPUTE_PGM_RSRC2:TRAP_HANDLER: 0
; COMPUTE_PGM_RSRC2:TGID_X_EN: 1
; COMPUTE_PGM_RSRC2:TGID_Y_EN: 0
; COMPUTE_PGM_RSRC2:TGID_Z_EN: 0
; COMPUTE_PGM_RSRC2:TIDIG_COMP_CNT: 0
; COMPUTE_PGM_RSRC3_GFX90A:ACCUM_OFFSET: 0
; COMPUTE_PGM_RSRC3_GFX90A:TG_SPLIT: 0
	.section	.text._ZN7rocprim17ROCPRIM_400000_NS6detail17trampoline_kernelINS0_14default_configENS1_38merge_sort_block_merge_config_selectorIfNS0_10empty_typeEEEZZNS1_27merge_sort_block_merge_implIS3_PfPS5_jNS1_19radix_merge_compareILb0ELb0EfNS0_19identity_decomposerEEEEE10hipError_tT0_T1_T2_jT3_P12ihipStream_tbPNSt15iterator_traitsISE_E10value_typeEPNSK_ISF_E10value_typeEPSG_NS1_7vsmem_tEENKUlT_SE_SF_SG_E_clIS8_S8_S9_S9_EESD_ST_SE_SF_SG_EUlST_E0_NS1_11comp_targetILNS1_3genE8ELNS1_11target_archE1030ELNS1_3gpuE2ELNS1_3repE0EEENS1_38merge_mergepath_config_static_selectorELNS0_4arch9wavefront6targetE1EEEvSF_,"axG",@progbits,_ZN7rocprim17ROCPRIM_400000_NS6detail17trampoline_kernelINS0_14default_configENS1_38merge_sort_block_merge_config_selectorIfNS0_10empty_typeEEEZZNS1_27merge_sort_block_merge_implIS3_PfPS5_jNS1_19radix_merge_compareILb0ELb0EfNS0_19identity_decomposerEEEEE10hipError_tT0_T1_T2_jT3_P12ihipStream_tbPNSt15iterator_traitsISE_E10value_typeEPNSK_ISF_E10value_typeEPSG_NS1_7vsmem_tEENKUlT_SE_SF_SG_E_clIS8_S8_S9_S9_EESD_ST_SE_SF_SG_EUlST_E0_NS1_11comp_targetILNS1_3genE8ELNS1_11target_archE1030ELNS1_3gpuE2ELNS1_3repE0EEENS1_38merge_mergepath_config_static_selectorELNS0_4arch9wavefront6targetE1EEEvSF_,comdat
	.protected	_ZN7rocprim17ROCPRIM_400000_NS6detail17trampoline_kernelINS0_14default_configENS1_38merge_sort_block_merge_config_selectorIfNS0_10empty_typeEEEZZNS1_27merge_sort_block_merge_implIS3_PfPS5_jNS1_19radix_merge_compareILb0ELb0EfNS0_19identity_decomposerEEEEE10hipError_tT0_T1_T2_jT3_P12ihipStream_tbPNSt15iterator_traitsISE_E10value_typeEPNSK_ISF_E10value_typeEPSG_NS1_7vsmem_tEENKUlT_SE_SF_SG_E_clIS8_S8_S9_S9_EESD_ST_SE_SF_SG_EUlST_E0_NS1_11comp_targetILNS1_3genE8ELNS1_11target_archE1030ELNS1_3gpuE2ELNS1_3repE0EEENS1_38merge_mergepath_config_static_selectorELNS0_4arch9wavefront6targetE1EEEvSF_ ; -- Begin function _ZN7rocprim17ROCPRIM_400000_NS6detail17trampoline_kernelINS0_14default_configENS1_38merge_sort_block_merge_config_selectorIfNS0_10empty_typeEEEZZNS1_27merge_sort_block_merge_implIS3_PfPS5_jNS1_19radix_merge_compareILb0ELb0EfNS0_19identity_decomposerEEEEE10hipError_tT0_T1_T2_jT3_P12ihipStream_tbPNSt15iterator_traitsISE_E10value_typeEPNSK_ISF_E10value_typeEPSG_NS1_7vsmem_tEENKUlT_SE_SF_SG_E_clIS8_S8_S9_S9_EESD_ST_SE_SF_SG_EUlST_E0_NS1_11comp_targetILNS1_3genE8ELNS1_11target_archE1030ELNS1_3gpuE2ELNS1_3repE0EEENS1_38merge_mergepath_config_static_selectorELNS0_4arch9wavefront6targetE1EEEvSF_
	.globl	_ZN7rocprim17ROCPRIM_400000_NS6detail17trampoline_kernelINS0_14default_configENS1_38merge_sort_block_merge_config_selectorIfNS0_10empty_typeEEEZZNS1_27merge_sort_block_merge_implIS3_PfPS5_jNS1_19radix_merge_compareILb0ELb0EfNS0_19identity_decomposerEEEEE10hipError_tT0_T1_T2_jT3_P12ihipStream_tbPNSt15iterator_traitsISE_E10value_typeEPNSK_ISF_E10value_typeEPSG_NS1_7vsmem_tEENKUlT_SE_SF_SG_E_clIS8_S8_S9_S9_EESD_ST_SE_SF_SG_EUlST_E0_NS1_11comp_targetILNS1_3genE8ELNS1_11target_archE1030ELNS1_3gpuE2ELNS1_3repE0EEENS1_38merge_mergepath_config_static_selectorELNS0_4arch9wavefront6targetE1EEEvSF_
	.p2align	8
	.type	_ZN7rocprim17ROCPRIM_400000_NS6detail17trampoline_kernelINS0_14default_configENS1_38merge_sort_block_merge_config_selectorIfNS0_10empty_typeEEEZZNS1_27merge_sort_block_merge_implIS3_PfPS5_jNS1_19radix_merge_compareILb0ELb0EfNS0_19identity_decomposerEEEEE10hipError_tT0_T1_T2_jT3_P12ihipStream_tbPNSt15iterator_traitsISE_E10value_typeEPNSK_ISF_E10value_typeEPSG_NS1_7vsmem_tEENKUlT_SE_SF_SG_E_clIS8_S8_S9_S9_EESD_ST_SE_SF_SG_EUlST_E0_NS1_11comp_targetILNS1_3genE8ELNS1_11target_archE1030ELNS1_3gpuE2ELNS1_3repE0EEENS1_38merge_mergepath_config_static_selectorELNS0_4arch9wavefront6targetE1EEEvSF_,@function
_ZN7rocprim17ROCPRIM_400000_NS6detail17trampoline_kernelINS0_14default_configENS1_38merge_sort_block_merge_config_selectorIfNS0_10empty_typeEEEZZNS1_27merge_sort_block_merge_implIS3_PfPS5_jNS1_19radix_merge_compareILb0ELb0EfNS0_19identity_decomposerEEEEE10hipError_tT0_T1_T2_jT3_P12ihipStream_tbPNSt15iterator_traitsISE_E10value_typeEPNSK_ISF_E10value_typeEPSG_NS1_7vsmem_tEENKUlT_SE_SF_SG_E_clIS8_S8_S9_S9_EESD_ST_SE_SF_SG_EUlST_E0_NS1_11comp_targetILNS1_3genE8ELNS1_11target_archE1030ELNS1_3gpuE2ELNS1_3repE0EEENS1_38merge_mergepath_config_static_selectorELNS0_4arch9wavefront6targetE1EEEvSF_: ; @_ZN7rocprim17ROCPRIM_400000_NS6detail17trampoline_kernelINS0_14default_configENS1_38merge_sort_block_merge_config_selectorIfNS0_10empty_typeEEEZZNS1_27merge_sort_block_merge_implIS3_PfPS5_jNS1_19radix_merge_compareILb0ELb0EfNS0_19identity_decomposerEEEEE10hipError_tT0_T1_T2_jT3_P12ihipStream_tbPNSt15iterator_traitsISE_E10value_typeEPNSK_ISF_E10value_typeEPSG_NS1_7vsmem_tEENKUlT_SE_SF_SG_E_clIS8_S8_S9_S9_EESD_ST_SE_SF_SG_EUlST_E0_NS1_11comp_targetILNS1_3genE8ELNS1_11target_archE1030ELNS1_3gpuE2ELNS1_3repE0EEENS1_38merge_mergepath_config_static_selectorELNS0_4arch9wavefront6targetE1EEEvSF_
; %bb.0:
	.section	.rodata,"a",@progbits
	.p2align	6, 0x0
	.amdhsa_kernel _ZN7rocprim17ROCPRIM_400000_NS6detail17trampoline_kernelINS0_14default_configENS1_38merge_sort_block_merge_config_selectorIfNS0_10empty_typeEEEZZNS1_27merge_sort_block_merge_implIS3_PfPS5_jNS1_19radix_merge_compareILb0ELb0EfNS0_19identity_decomposerEEEEE10hipError_tT0_T1_T2_jT3_P12ihipStream_tbPNSt15iterator_traitsISE_E10value_typeEPNSK_ISF_E10value_typeEPSG_NS1_7vsmem_tEENKUlT_SE_SF_SG_E_clIS8_S8_S9_S9_EESD_ST_SE_SF_SG_EUlST_E0_NS1_11comp_targetILNS1_3genE8ELNS1_11target_archE1030ELNS1_3gpuE2ELNS1_3repE0EEENS1_38merge_mergepath_config_static_selectorELNS0_4arch9wavefront6targetE1EEEvSF_
		.amdhsa_group_segment_fixed_size 0
		.amdhsa_private_segment_fixed_size 0
		.amdhsa_kernarg_size 64
		.amdhsa_user_sgpr_count 6
		.amdhsa_user_sgpr_private_segment_buffer 1
		.amdhsa_user_sgpr_dispatch_ptr 0
		.amdhsa_user_sgpr_queue_ptr 0
		.amdhsa_user_sgpr_kernarg_segment_ptr 1
		.amdhsa_user_sgpr_dispatch_id 0
		.amdhsa_user_sgpr_flat_scratch_init 0
		.amdhsa_user_sgpr_kernarg_preload_length 0
		.amdhsa_user_sgpr_kernarg_preload_offset 0
		.amdhsa_user_sgpr_private_segment_size 0
		.amdhsa_uses_dynamic_stack 0
		.amdhsa_system_sgpr_private_segment_wavefront_offset 0
		.amdhsa_system_sgpr_workgroup_id_x 1
		.amdhsa_system_sgpr_workgroup_id_y 0
		.amdhsa_system_sgpr_workgroup_id_z 0
		.amdhsa_system_sgpr_workgroup_info 0
		.amdhsa_system_vgpr_workitem_id 0
		.amdhsa_next_free_vgpr 1
		.amdhsa_next_free_sgpr 0
		.amdhsa_accum_offset 4
		.amdhsa_reserve_vcc 0
		.amdhsa_reserve_flat_scratch 0
		.amdhsa_float_round_mode_32 0
		.amdhsa_float_round_mode_16_64 0
		.amdhsa_float_denorm_mode_32 3
		.amdhsa_float_denorm_mode_16_64 3
		.amdhsa_dx10_clamp 1
		.amdhsa_ieee_mode 1
		.amdhsa_fp16_overflow 0
		.amdhsa_tg_split 0
		.amdhsa_exception_fp_ieee_invalid_op 0
		.amdhsa_exception_fp_denorm_src 0
		.amdhsa_exception_fp_ieee_div_zero 0
		.amdhsa_exception_fp_ieee_overflow 0
		.amdhsa_exception_fp_ieee_underflow 0
		.amdhsa_exception_fp_ieee_inexact 0
		.amdhsa_exception_int_div_zero 0
	.end_amdhsa_kernel
	.section	.text._ZN7rocprim17ROCPRIM_400000_NS6detail17trampoline_kernelINS0_14default_configENS1_38merge_sort_block_merge_config_selectorIfNS0_10empty_typeEEEZZNS1_27merge_sort_block_merge_implIS3_PfPS5_jNS1_19radix_merge_compareILb0ELb0EfNS0_19identity_decomposerEEEEE10hipError_tT0_T1_T2_jT3_P12ihipStream_tbPNSt15iterator_traitsISE_E10value_typeEPNSK_ISF_E10value_typeEPSG_NS1_7vsmem_tEENKUlT_SE_SF_SG_E_clIS8_S8_S9_S9_EESD_ST_SE_SF_SG_EUlST_E0_NS1_11comp_targetILNS1_3genE8ELNS1_11target_archE1030ELNS1_3gpuE2ELNS1_3repE0EEENS1_38merge_mergepath_config_static_selectorELNS0_4arch9wavefront6targetE1EEEvSF_,"axG",@progbits,_ZN7rocprim17ROCPRIM_400000_NS6detail17trampoline_kernelINS0_14default_configENS1_38merge_sort_block_merge_config_selectorIfNS0_10empty_typeEEEZZNS1_27merge_sort_block_merge_implIS3_PfPS5_jNS1_19radix_merge_compareILb0ELb0EfNS0_19identity_decomposerEEEEE10hipError_tT0_T1_T2_jT3_P12ihipStream_tbPNSt15iterator_traitsISE_E10value_typeEPNSK_ISF_E10value_typeEPSG_NS1_7vsmem_tEENKUlT_SE_SF_SG_E_clIS8_S8_S9_S9_EESD_ST_SE_SF_SG_EUlST_E0_NS1_11comp_targetILNS1_3genE8ELNS1_11target_archE1030ELNS1_3gpuE2ELNS1_3repE0EEENS1_38merge_mergepath_config_static_selectorELNS0_4arch9wavefront6targetE1EEEvSF_,comdat
.Lfunc_end1251:
	.size	_ZN7rocprim17ROCPRIM_400000_NS6detail17trampoline_kernelINS0_14default_configENS1_38merge_sort_block_merge_config_selectorIfNS0_10empty_typeEEEZZNS1_27merge_sort_block_merge_implIS3_PfPS5_jNS1_19radix_merge_compareILb0ELb0EfNS0_19identity_decomposerEEEEE10hipError_tT0_T1_T2_jT3_P12ihipStream_tbPNSt15iterator_traitsISE_E10value_typeEPNSK_ISF_E10value_typeEPSG_NS1_7vsmem_tEENKUlT_SE_SF_SG_E_clIS8_S8_S9_S9_EESD_ST_SE_SF_SG_EUlST_E0_NS1_11comp_targetILNS1_3genE8ELNS1_11target_archE1030ELNS1_3gpuE2ELNS1_3repE0EEENS1_38merge_mergepath_config_static_selectorELNS0_4arch9wavefront6targetE1EEEvSF_, .Lfunc_end1251-_ZN7rocprim17ROCPRIM_400000_NS6detail17trampoline_kernelINS0_14default_configENS1_38merge_sort_block_merge_config_selectorIfNS0_10empty_typeEEEZZNS1_27merge_sort_block_merge_implIS3_PfPS5_jNS1_19radix_merge_compareILb0ELb0EfNS0_19identity_decomposerEEEEE10hipError_tT0_T1_T2_jT3_P12ihipStream_tbPNSt15iterator_traitsISE_E10value_typeEPNSK_ISF_E10value_typeEPSG_NS1_7vsmem_tEENKUlT_SE_SF_SG_E_clIS8_S8_S9_S9_EESD_ST_SE_SF_SG_EUlST_E0_NS1_11comp_targetILNS1_3genE8ELNS1_11target_archE1030ELNS1_3gpuE2ELNS1_3repE0EEENS1_38merge_mergepath_config_static_selectorELNS0_4arch9wavefront6targetE1EEEvSF_
                                        ; -- End function
	.section	.AMDGPU.csdata,"",@progbits
; Kernel info:
; codeLenInByte = 0
; NumSgprs: 4
; NumVgprs: 0
; NumAgprs: 0
; TotalNumVgprs: 0
; ScratchSize: 0
; MemoryBound: 0
; FloatMode: 240
; IeeeMode: 1
; LDSByteSize: 0 bytes/workgroup (compile time only)
; SGPRBlocks: 0
; VGPRBlocks: 0
; NumSGPRsForWavesPerEU: 4
; NumVGPRsForWavesPerEU: 1
; AccumOffset: 4
; Occupancy: 8
; WaveLimiterHint : 0
; COMPUTE_PGM_RSRC2:SCRATCH_EN: 0
; COMPUTE_PGM_RSRC2:USER_SGPR: 6
; COMPUTE_PGM_RSRC2:TRAP_HANDLER: 0
; COMPUTE_PGM_RSRC2:TGID_X_EN: 1
; COMPUTE_PGM_RSRC2:TGID_Y_EN: 0
; COMPUTE_PGM_RSRC2:TGID_Z_EN: 0
; COMPUTE_PGM_RSRC2:TIDIG_COMP_CNT: 0
; COMPUTE_PGM_RSRC3_GFX90A:ACCUM_OFFSET: 0
; COMPUTE_PGM_RSRC3_GFX90A:TG_SPLIT: 0
	.section	.text._ZN7rocprim17ROCPRIM_400000_NS6detail17trampoline_kernelINS0_14default_configENS1_38merge_sort_block_merge_config_selectorIfNS0_10empty_typeEEEZZNS1_27merge_sort_block_merge_implIS3_PfPS5_jNS1_19radix_merge_compareILb0ELb0EfNS0_19identity_decomposerEEEEE10hipError_tT0_T1_T2_jT3_P12ihipStream_tbPNSt15iterator_traitsISE_E10value_typeEPNSK_ISF_E10value_typeEPSG_NS1_7vsmem_tEENKUlT_SE_SF_SG_E_clIS8_S8_S9_S9_EESD_ST_SE_SF_SG_EUlST_E1_NS1_11comp_targetILNS1_3genE0ELNS1_11target_archE4294967295ELNS1_3gpuE0ELNS1_3repE0EEENS1_36merge_oddeven_config_static_selectorELNS0_4arch9wavefront6targetE1EEEvSF_,"axG",@progbits,_ZN7rocprim17ROCPRIM_400000_NS6detail17trampoline_kernelINS0_14default_configENS1_38merge_sort_block_merge_config_selectorIfNS0_10empty_typeEEEZZNS1_27merge_sort_block_merge_implIS3_PfPS5_jNS1_19radix_merge_compareILb0ELb0EfNS0_19identity_decomposerEEEEE10hipError_tT0_T1_T2_jT3_P12ihipStream_tbPNSt15iterator_traitsISE_E10value_typeEPNSK_ISF_E10value_typeEPSG_NS1_7vsmem_tEENKUlT_SE_SF_SG_E_clIS8_S8_S9_S9_EESD_ST_SE_SF_SG_EUlST_E1_NS1_11comp_targetILNS1_3genE0ELNS1_11target_archE4294967295ELNS1_3gpuE0ELNS1_3repE0EEENS1_36merge_oddeven_config_static_selectorELNS0_4arch9wavefront6targetE1EEEvSF_,comdat
	.protected	_ZN7rocprim17ROCPRIM_400000_NS6detail17trampoline_kernelINS0_14default_configENS1_38merge_sort_block_merge_config_selectorIfNS0_10empty_typeEEEZZNS1_27merge_sort_block_merge_implIS3_PfPS5_jNS1_19radix_merge_compareILb0ELb0EfNS0_19identity_decomposerEEEEE10hipError_tT0_T1_T2_jT3_P12ihipStream_tbPNSt15iterator_traitsISE_E10value_typeEPNSK_ISF_E10value_typeEPSG_NS1_7vsmem_tEENKUlT_SE_SF_SG_E_clIS8_S8_S9_S9_EESD_ST_SE_SF_SG_EUlST_E1_NS1_11comp_targetILNS1_3genE0ELNS1_11target_archE4294967295ELNS1_3gpuE0ELNS1_3repE0EEENS1_36merge_oddeven_config_static_selectorELNS0_4arch9wavefront6targetE1EEEvSF_ ; -- Begin function _ZN7rocprim17ROCPRIM_400000_NS6detail17trampoline_kernelINS0_14default_configENS1_38merge_sort_block_merge_config_selectorIfNS0_10empty_typeEEEZZNS1_27merge_sort_block_merge_implIS3_PfPS5_jNS1_19radix_merge_compareILb0ELb0EfNS0_19identity_decomposerEEEEE10hipError_tT0_T1_T2_jT3_P12ihipStream_tbPNSt15iterator_traitsISE_E10value_typeEPNSK_ISF_E10value_typeEPSG_NS1_7vsmem_tEENKUlT_SE_SF_SG_E_clIS8_S8_S9_S9_EESD_ST_SE_SF_SG_EUlST_E1_NS1_11comp_targetILNS1_3genE0ELNS1_11target_archE4294967295ELNS1_3gpuE0ELNS1_3repE0EEENS1_36merge_oddeven_config_static_selectorELNS0_4arch9wavefront6targetE1EEEvSF_
	.globl	_ZN7rocprim17ROCPRIM_400000_NS6detail17trampoline_kernelINS0_14default_configENS1_38merge_sort_block_merge_config_selectorIfNS0_10empty_typeEEEZZNS1_27merge_sort_block_merge_implIS3_PfPS5_jNS1_19radix_merge_compareILb0ELb0EfNS0_19identity_decomposerEEEEE10hipError_tT0_T1_T2_jT3_P12ihipStream_tbPNSt15iterator_traitsISE_E10value_typeEPNSK_ISF_E10value_typeEPSG_NS1_7vsmem_tEENKUlT_SE_SF_SG_E_clIS8_S8_S9_S9_EESD_ST_SE_SF_SG_EUlST_E1_NS1_11comp_targetILNS1_3genE0ELNS1_11target_archE4294967295ELNS1_3gpuE0ELNS1_3repE0EEENS1_36merge_oddeven_config_static_selectorELNS0_4arch9wavefront6targetE1EEEvSF_
	.p2align	8
	.type	_ZN7rocprim17ROCPRIM_400000_NS6detail17trampoline_kernelINS0_14default_configENS1_38merge_sort_block_merge_config_selectorIfNS0_10empty_typeEEEZZNS1_27merge_sort_block_merge_implIS3_PfPS5_jNS1_19radix_merge_compareILb0ELb0EfNS0_19identity_decomposerEEEEE10hipError_tT0_T1_T2_jT3_P12ihipStream_tbPNSt15iterator_traitsISE_E10value_typeEPNSK_ISF_E10value_typeEPSG_NS1_7vsmem_tEENKUlT_SE_SF_SG_E_clIS8_S8_S9_S9_EESD_ST_SE_SF_SG_EUlST_E1_NS1_11comp_targetILNS1_3genE0ELNS1_11target_archE4294967295ELNS1_3gpuE0ELNS1_3repE0EEENS1_36merge_oddeven_config_static_selectorELNS0_4arch9wavefront6targetE1EEEvSF_,@function
_ZN7rocprim17ROCPRIM_400000_NS6detail17trampoline_kernelINS0_14default_configENS1_38merge_sort_block_merge_config_selectorIfNS0_10empty_typeEEEZZNS1_27merge_sort_block_merge_implIS3_PfPS5_jNS1_19radix_merge_compareILb0ELb0EfNS0_19identity_decomposerEEEEE10hipError_tT0_T1_T2_jT3_P12ihipStream_tbPNSt15iterator_traitsISE_E10value_typeEPNSK_ISF_E10value_typeEPSG_NS1_7vsmem_tEENKUlT_SE_SF_SG_E_clIS8_S8_S9_S9_EESD_ST_SE_SF_SG_EUlST_E1_NS1_11comp_targetILNS1_3genE0ELNS1_11target_archE4294967295ELNS1_3gpuE0ELNS1_3repE0EEENS1_36merge_oddeven_config_static_selectorELNS0_4arch9wavefront6targetE1EEEvSF_: ; @_ZN7rocprim17ROCPRIM_400000_NS6detail17trampoline_kernelINS0_14default_configENS1_38merge_sort_block_merge_config_selectorIfNS0_10empty_typeEEEZZNS1_27merge_sort_block_merge_implIS3_PfPS5_jNS1_19radix_merge_compareILb0ELb0EfNS0_19identity_decomposerEEEEE10hipError_tT0_T1_T2_jT3_P12ihipStream_tbPNSt15iterator_traitsISE_E10value_typeEPNSK_ISF_E10value_typeEPSG_NS1_7vsmem_tEENKUlT_SE_SF_SG_E_clIS8_S8_S9_S9_EESD_ST_SE_SF_SG_EUlST_E1_NS1_11comp_targetILNS1_3genE0ELNS1_11target_archE4294967295ELNS1_3gpuE0ELNS1_3repE0EEENS1_36merge_oddeven_config_static_selectorELNS0_4arch9wavefront6targetE1EEEvSF_
; %bb.0:
	.section	.rodata,"a",@progbits
	.p2align	6, 0x0
	.amdhsa_kernel _ZN7rocprim17ROCPRIM_400000_NS6detail17trampoline_kernelINS0_14default_configENS1_38merge_sort_block_merge_config_selectorIfNS0_10empty_typeEEEZZNS1_27merge_sort_block_merge_implIS3_PfPS5_jNS1_19radix_merge_compareILb0ELb0EfNS0_19identity_decomposerEEEEE10hipError_tT0_T1_T2_jT3_P12ihipStream_tbPNSt15iterator_traitsISE_E10value_typeEPNSK_ISF_E10value_typeEPSG_NS1_7vsmem_tEENKUlT_SE_SF_SG_E_clIS8_S8_S9_S9_EESD_ST_SE_SF_SG_EUlST_E1_NS1_11comp_targetILNS1_3genE0ELNS1_11target_archE4294967295ELNS1_3gpuE0ELNS1_3repE0EEENS1_36merge_oddeven_config_static_selectorELNS0_4arch9wavefront6targetE1EEEvSF_
		.amdhsa_group_segment_fixed_size 0
		.amdhsa_private_segment_fixed_size 0
		.amdhsa_kernarg_size 48
		.amdhsa_user_sgpr_count 6
		.amdhsa_user_sgpr_private_segment_buffer 1
		.amdhsa_user_sgpr_dispatch_ptr 0
		.amdhsa_user_sgpr_queue_ptr 0
		.amdhsa_user_sgpr_kernarg_segment_ptr 1
		.amdhsa_user_sgpr_dispatch_id 0
		.amdhsa_user_sgpr_flat_scratch_init 0
		.amdhsa_user_sgpr_kernarg_preload_length 0
		.amdhsa_user_sgpr_kernarg_preload_offset 0
		.amdhsa_user_sgpr_private_segment_size 0
		.amdhsa_uses_dynamic_stack 0
		.amdhsa_system_sgpr_private_segment_wavefront_offset 0
		.amdhsa_system_sgpr_workgroup_id_x 1
		.amdhsa_system_sgpr_workgroup_id_y 0
		.amdhsa_system_sgpr_workgroup_id_z 0
		.amdhsa_system_sgpr_workgroup_info 0
		.amdhsa_system_vgpr_workitem_id 0
		.amdhsa_next_free_vgpr 1
		.amdhsa_next_free_sgpr 0
		.amdhsa_accum_offset 4
		.amdhsa_reserve_vcc 0
		.amdhsa_reserve_flat_scratch 0
		.amdhsa_float_round_mode_32 0
		.amdhsa_float_round_mode_16_64 0
		.amdhsa_float_denorm_mode_32 3
		.amdhsa_float_denorm_mode_16_64 3
		.amdhsa_dx10_clamp 1
		.amdhsa_ieee_mode 1
		.amdhsa_fp16_overflow 0
		.amdhsa_tg_split 0
		.amdhsa_exception_fp_ieee_invalid_op 0
		.amdhsa_exception_fp_denorm_src 0
		.amdhsa_exception_fp_ieee_div_zero 0
		.amdhsa_exception_fp_ieee_overflow 0
		.amdhsa_exception_fp_ieee_underflow 0
		.amdhsa_exception_fp_ieee_inexact 0
		.amdhsa_exception_int_div_zero 0
	.end_amdhsa_kernel
	.section	.text._ZN7rocprim17ROCPRIM_400000_NS6detail17trampoline_kernelINS0_14default_configENS1_38merge_sort_block_merge_config_selectorIfNS0_10empty_typeEEEZZNS1_27merge_sort_block_merge_implIS3_PfPS5_jNS1_19radix_merge_compareILb0ELb0EfNS0_19identity_decomposerEEEEE10hipError_tT0_T1_T2_jT3_P12ihipStream_tbPNSt15iterator_traitsISE_E10value_typeEPNSK_ISF_E10value_typeEPSG_NS1_7vsmem_tEENKUlT_SE_SF_SG_E_clIS8_S8_S9_S9_EESD_ST_SE_SF_SG_EUlST_E1_NS1_11comp_targetILNS1_3genE0ELNS1_11target_archE4294967295ELNS1_3gpuE0ELNS1_3repE0EEENS1_36merge_oddeven_config_static_selectorELNS0_4arch9wavefront6targetE1EEEvSF_,"axG",@progbits,_ZN7rocprim17ROCPRIM_400000_NS6detail17trampoline_kernelINS0_14default_configENS1_38merge_sort_block_merge_config_selectorIfNS0_10empty_typeEEEZZNS1_27merge_sort_block_merge_implIS3_PfPS5_jNS1_19radix_merge_compareILb0ELb0EfNS0_19identity_decomposerEEEEE10hipError_tT0_T1_T2_jT3_P12ihipStream_tbPNSt15iterator_traitsISE_E10value_typeEPNSK_ISF_E10value_typeEPSG_NS1_7vsmem_tEENKUlT_SE_SF_SG_E_clIS8_S8_S9_S9_EESD_ST_SE_SF_SG_EUlST_E1_NS1_11comp_targetILNS1_3genE0ELNS1_11target_archE4294967295ELNS1_3gpuE0ELNS1_3repE0EEENS1_36merge_oddeven_config_static_selectorELNS0_4arch9wavefront6targetE1EEEvSF_,comdat
.Lfunc_end1252:
	.size	_ZN7rocprim17ROCPRIM_400000_NS6detail17trampoline_kernelINS0_14default_configENS1_38merge_sort_block_merge_config_selectorIfNS0_10empty_typeEEEZZNS1_27merge_sort_block_merge_implIS3_PfPS5_jNS1_19radix_merge_compareILb0ELb0EfNS0_19identity_decomposerEEEEE10hipError_tT0_T1_T2_jT3_P12ihipStream_tbPNSt15iterator_traitsISE_E10value_typeEPNSK_ISF_E10value_typeEPSG_NS1_7vsmem_tEENKUlT_SE_SF_SG_E_clIS8_S8_S9_S9_EESD_ST_SE_SF_SG_EUlST_E1_NS1_11comp_targetILNS1_3genE0ELNS1_11target_archE4294967295ELNS1_3gpuE0ELNS1_3repE0EEENS1_36merge_oddeven_config_static_selectorELNS0_4arch9wavefront6targetE1EEEvSF_, .Lfunc_end1252-_ZN7rocprim17ROCPRIM_400000_NS6detail17trampoline_kernelINS0_14default_configENS1_38merge_sort_block_merge_config_selectorIfNS0_10empty_typeEEEZZNS1_27merge_sort_block_merge_implIS3_PfPS5_jNS1_19radix_merge_compareILb0ELb0EfNS0_19identity_decomposerEEEEE10hipError_tT0_T1_T2_jT3_P12ihipStream_tbPNSt15iterator_traitsISE_E10value_typeEPNSK_ISF_E10value_typeEPSG_NS1_7vsmem_tEENKUlT_SE_SF_SG_E_clIS8_S8_S9_S9_EESD_ST_SE_SF_SG_EUlST_E1_NS1_11comp_targetILNS1_3genE0ELNS1_11target_archE4294967295ELNS1_3gpuE0ELNS1_3repE0EEENS1_36merge_oddeven_config_static_selectorELNS0_4arch9wavefront6targetE1EEEvSF_
                                        ; -- End function
	.section	.AMDGPU.csdata,"",@progbits
; Kernel info:
; codeLenInByte = 0
; NumSgprs: 4
; NumVgprs: 0
; NumAgprs: 0
; TotalNumVgprs: 0
; ScratchSize: 0
; MemoryBound: 0
; FloatMode: 240
; IeeeMode: 1
; LDSByteSize: 0 bytes/workgroup (compile time only)
; SGPRBlocks: 0
; VGPRBlocks: 0
; NumSGPRsForWavesPerEU: 4
; NumVGPRsForWavesPerEU: 1
; AccumOffset: 4
; Occupancy: 8
; WaveLimiterHint : 0
; COMPUTE_PGM_RSRC2:SCRATCH_EN: 0
; COMPUTE_PGM_RSRC2:USER_SGPR: 6
; COMPUTE_PGM_RSRC2:TRAP_HANDLER: 0
; COMPUTE_PGM_RSRC2:TGID_X_EN: 1
; COMPUTE_PGM_RSRC2:TGID_Y_EN: 0
; COMPUTE_PGM_RSRC2:TGID_Z_EN: 0
; COMPUTE_PGM_RSRC2:TIDIG_COMP_CNT: 0
; COMPUTE_PGM_RSRC3_GFX90A:ACCUM_OFFSET: 0
; COMPUTE_PGM_RSRC3_GFX90A:TG_SPLIT: 0
	.section	.text._ZN7rocprim17ROCPRIM_400000_NS6detail17trampoline_kernelINS0_14default_configENS1_38merge_sort_block_merge_config_selectorIfNS0_10empty_typeEEEZZNS1_27merge_sort_block_merge_implIS3_PfPS5_jNS1_19radix_merge_compareILb0ELb0EfNS0_19identity_decomposerEEEEE10hipError_tT0_T1_T2_jT3_P12ihipStream_tbPNSt15iterator_traitsISE_E10value_typeEPNSK_ISF_E10value_typeEPSG_NS1_7vsmem_tEENKUlT_SE_SF_SG_E_clIS8_S8_S9_S9_EESD_ST_SE_SF_SG_EUlST_E1_NS1_11comp_targetILNS1_3genE10ELNS1_11target_archE1201ELNS1_3gpuE5ELNS1_3repE0EEENS1_36merge_oddeven_config_static_selectorELNS0_4arch9wavefront6targetE1EEEvSF_,"axG",@progbits,_ZN7rocprim17ROCPRIM_400000_NS6detail17trampoline_kernelINS0_14default_configENS1_38merge_sort_block_merge_config_selectorIfNS0_10empty_typeEEEZZNS1_27merge_sort_block_merge_implIS3_PfPS5_jNS1_19radix_merge_compareILb0ELb0EfNS0_19identity_decomposerEEEEE10hipError_tT0_T1_T2_jT3_P12ihipStream_tbPNSt15iterator_traitsISE_E10value_typeEPNSK_ISF_E10value_typeEPSG_NS1_7vsmem_tEENKUlT_SE_SF_SG_E_clIS8_S8_S9_S9_EESD_ST_SE_SF_SG_EUlST_E1_NS1_11comp_targetILNS1_3genE10ELNS1_11target_archE1201ELNS1_3gpuE5ELNS1_3repE0EEENS1_36merge_oddeven_config_static_selectorELNS0_4arch9wavefront6targetE1EEEvSF_,comdat
	.protected	_ZN7rocprim17ROCPRIM_400000_NS6detail17trampoline_kernelINS0_14default_configENS1_38merge_sort_block_merge_config_selectorIfNS0_10empty_typeEEEZZNS1_27merge_sort_block_merge_implIS3_PfPS5_jNS1_19radix_merge_compareILb0ELb0EfNS0_19identity_decomposerEEEEE10hipError_tT0_T1_T2_jT3_P12ihipStream_tbPNSt15iterator_traitsISE_E10value_typeEPNSK_ISF_E10value_typeEPSG_NS1_7vsmem_tEENKUlT_SE_SF_SG_E_clIS8_S8_S9_S9_EESD_ST_SE_SF_SG_EUlST_E1_NS1_11comp_targetILNS1_3genE10ELNS1_11target_archE1201ELNS1_3gpuE5ELNS1_3repE0EEENS1_36merge_oddeven_config_static_selectorELNS0_4arch9wavefront6targetE1EEEvSF_ ; -- Begin function _ZN7rocprim17ROCPRIM_400000_NS6detail17trampoline_kernelINS0_14default_configENS1_38merge_sort_block_merge_config_selectorIfNS0_10empty_typeEEEZZNS1_27merge_sort_block_merge_implIS3_PfPS5_jNS1_19radix_merge_compareILb0ELb0EfNS0_19identity_decomposerEEEEE10hipError_tT0_T1_T2_jT3_P12ihipStream_tbPNSt15iterator_traitsISE_E10value_typeEPNSK_ISF_E10value_typeEPSG_NS1_7vsmem_tEENKUlT_SE_SF_SG_E_clIS8_S8_S9_S9_EESD_ST_SE_SF_SG_EUlST_E1_NS1_11comp_targetILNS1_3genE10ELNS1_11target_archE1201ELNS1_3gpuE5ELNS1_3repE0EEENS1_36merge_oddeven_config_static_selectorELNS0_4arch9wavefront6targetE1EEEvSF_
	.globl	_ZN7rocprim17ROCPRIM_400000_NS6detail17trampoline_kernelINS0_14default_configENS1_38merge_sort_block_merge_config_selectorIfNS0_10empty_typeEEEZZNS1_27merge_sort_block_merge_implIS3_PfPS5_jNS1_19radix_merge_compareILb0ELb0EfNS0_19identity_decomposerEEEEE10hipError_tT0_T1_T2_jT3_P12ihipStream_tbPNSt15iterator_traitsISE_E10value_typeEPNSK_ISF_E10value_typeEPSG_NS1_7vsmem_tEENKUlT_SE_SF_SG_E_clIS8_S8_S9_S9_EESD_ST_SE_SF_SG_EUlST_E1_NS1_11comp_targetILNS1_3genE10ELNS1_11target_archE1201ELNS1_3gpuE5ELNS1_3repE0EEENS1_36merge_oddeven_config_static_selectorELNS0_4arch9wavefront6targetE1EEEvSF_
	.p2align	8
	.type	_ZN7rocprim17ROCPRIM_400000_NS6detail17trampoline_kernelINS0_14default_configENS1_38merge_sort_block_merge_config_selectorIfNS0_10empty_typeEEEZZNS1_27merge_sort_block_merge_implIS3_PfPS5_jNS1_19radix_merge_compareILb0ELb0EfNS0_19identity_decomposerEEEEE10hipError_tT0_T1_T2_jT3_P12ihipStream_tbPNSt15iterator_traitsISE_E10value_typeEPNSK_ISF_E10value_typeEPSG_NS1_7vsmem_tEENKUlT_SE_SF_SG_E_clIS8_S8_S9_S9_EESD_ST_SE_SF_SG_EUlST_E1_NS1_11comp_targetILNS1_3genE10ELNS1_11target_archE1201ELNS1_3gpuE5ELNS1_3repE0EEENS1_36merge_oddeven_config_static_selectorELNS0_4arch9wavefront6targetE1EEEvSF_,@function
_ZN7rocprim17ROCPRIM_400000_NS6detail17trampoline_kernelINS0_14default_configENS1_38merge_sort_block_merge_config_selectorIfNS0_10empty_typeEEEZZNS1_27merge_sort_block_merge_implIS3_PfPS5_jNS1_19radix_merge_compareILb0ELb0EfNS0_19identity_decomposerEEEEE10hipError_tT0_T1_T2_jT3_P12ihipStream_tbPNSt15iterator_traitsISE_E10value_typeEPNSK_ISF_E10value_typeEPSG_NS1_7vsmem_tEENKUlT_SE_SF_SG_E_clIS8_S8_S9_S9_EESD_ST_SE_SF_SG_EUlST_E1_NS1_11comp_targetILNS1_3genE10ELNS1_11target_archE1201ELNS1_3gpuE5ELNS1_3repE0EEENS1_36merge_oddeven_config_static_selectorELNS0_4arch9wavefront6targetE1EEEvSF_: ; @_ZN7rocprim17ROCPRIM_400000_NS6detail17trampoline_kernelINS0_14default_configENS1_38merge_sort_block_merge_config_selectorIfNS0_10empty_typeEEEZZNS1_27merge_sort_block_merge_implIS3_PfPS5_jNS1_19radix_merge_compareILb0ELb0EfNS0_19identity_decomposerEEEEE10hipError_tT0_T1_T2_jT3_P12ihipStream_tbPNSt15iterator_traitsISE_E10value_typeEPNSK_ISF_E10value_typeEPSG_NS1_7vsmem_tEENKUlT_SE_SF_SG_E_clIS8_S8_S9_S9_EESD_ST_SE_SF_SG_EUlST_E1_NS1_11comp_targetILNS1_3genE10ELNS1_11target_archE1201ELNS1_3gpuE5ELNS1_3repE0EEENS1_36merge_oddeven_config_static_selectorELNS0_4arch9wavefront6targetE1EEEvSF_
; %bb.0:
	.section	.rodata,"a",@progbits
	.p2align	6, 0x0
	.amdhsa_kernel _ZN7rocprim17ROCPRIM_400000_NS6detail17trampoline_kernelINS0_14default_configENS1_38merge_sort_block_merge_config_selectorIfNS0_10empty_typeEEEZZNS1_27merge_sort_block_merge_implIS3_PfPS5_jNS1_19radix_merge_compareILb0ELb0EfNS0_19identity_decomposerEEEEE10hipError_tT0_T1_T2_jT3_P12ihipStream_tbPNSt15iterator_traitsISE_E10value_typeEPNSK_ISF_E10value_typeEPSG_NS1_7vsmem_tEENKUlT_SE_SF_SG_E_clIS8_S8_S9_S9_EESD_ST_SE_SF_SG_EUlST_E1_NS1_11comp_targetILNS1_3genE10ELNS1_11target_archE1201ELNS1_3gpuE5ELNS1_3repE0EEENS1_36merge_oddeven_config_static_selectorELNS0_4arch9wavefront6targetE1EEEvSF_
		.amdhsa_group_segment_fixed_size 0
		.amdhsa_private_segment_fixed_size 0
		.amdhsa_kernarg_size 48
		.amdhsa_user_sgpr_count 6
		.amdhsa_user_sgpr_private_segment_buffer 1
		.amdhsa_user_sgpr_dispatch_ptr 0
		.amdhsa_user_sgpr_queue_ptr 0
		.amdhsa_user_sgpr_kernarg_segment_ptr 1
		.amdhsa_user_sgpr_dispatch_id 0
		.amdhsa_user_sgpr_flat_scratch_init 0
		.amdhsa_user_sgpr_kernarg_preload_length 0
		.amdhsa_user_sgpr_kernarg_preload_offset 0
		.amdhsa_user_sgpr_private_segment_size 0
		.amdhsa_uses_dynamic_stack 0
		.amdhsa_system_sgpr_private_segment_wavefront_offset 0
		.amdhsa_system_sgpr_workgroup_id_x 1
		.amdhsa_system_sgpr_workgroup_id_y 0
		.amdhsa_system_sgpr_workgroup_id_z 0
		.amdhsa_system_sgpr_workgroup_info 0
		.amdhsa_system_vgpr_workitem_id 0
		.amdhsa_next_free_vgpr 1
		.amdhsa_next_free_sgpr 0
		.amdhsa_accum_offset 4
		.amdhsa_reserve_vcc 0
		.amdhsa_reserve_flat_scratch 0
		.amdhsa_float_round_mode_32 0
		.amdhsa_float_round_mode_16_64 0
		.amdhsa_float_denorm_mode_32 3
		.amdhsa_float_denorm_mode_16_64 3
		.amdhsa_dx10_clamp 1
		.amdhsa_ieee_mode 1
		.amdhsa_fp16_overflow 0
		.amdhsa_tg_split 0
		.amdhsa_exception_fp_ieee_invalid_op 0
		.amdhsa_exception_fp_denorm_src 0
		.amdhsa_exception_fp_ieee_div_zero 0
		.amdhsa_exception_fp_ieee_overflow 0
		.amdhsa_exception_fp_ieee_underflow 0
		.amdhsa_exception_fp_ieee_inexact 0
		.amdhsa_exception_int_div_zero 0
	.end_amdhsa_kernel
	.section	.text._ZN7rocprim17ROCPRIM_400000_NS6detail17trampoline_kernelINS0_14default_configENS1_38merge_sort_block_merge_config_selectorIfNS0_10empty_typeEEEZZNS1_27merge_sort_block_merge_implIS3_PfPS5_jNS1_19radix_merge_compareILb0ELb0EfNS0_19identity_decomposerEEEEE10hipError_tT0_T1_T2_jT3_P12ihipStream_tbPNSt15iterator_traitsISE_E10value_typeEPNSK_ISF_E10value_typeEPSG_NS1_7vsmem_tEENKUlT_SE_SF_SG_E_clIS8_S8_S9_S9_EESD_ST_SE_SF_SG_EUlST_E1_NS1_11comp_targetILNS1_3genE10ELNS1_11target_archE1201ELNS1_3gpuE5ELNS1_3repE0EEENS1_36merge_oddeven_config_static_selectorELNS0_4arch9wavefront6targetE1EEEvSF_,"axG",@progbits,_ZN7rocprim17ROCPRIM_400000_NS6detail17trampoline_kernelINS0_14default_configENS1_38merge_sort_block_merge_config_selectorIfNS0_10empty_typeEEEZZNS1_27merge_sort_block_merge_implIS3_PfPS5_jNS1_19radix_merge_compareILb0ELb0EfNS0_19identity_decomposerEEEEE10hipError_tT0_T1_T2_jT3_P12ihipStream_tbPNSt15iterator_traitsISE_E10value_typeEPNSK_ISF_E10value_typeEPSG_NS1_7vsmem_tEENKUlT_SE_SF_SG_E_clIS8_S8_S9_S9_EESD_ST_SE_SF_SG_EUlST_E1_NS1_11comp_targetILNS1_3genE10ELNS1_11target_archE1201ELNS1_3gpuE5ELNS1_3repE0EEENS1_36merge_oddeven_config_static_selectorELNS0_4arch9wavefront6targetE1EEEvSF_,comdat
.Lfunc_end1253:
	.size	_ZN7rocprim17ROCPRIM_400000_NS6detail17trampoline_kernelINS0_14default_configENS1_38merge_sort_block_merge_config_selectorIfNS0_10empty_typeEEEZZNS1_27merge_sort_block_merge_implIS3_PfPS5_jNS1_19radix_merge_compareILb0ELb0EfNS0_19identity_decomposerEEEEE10hipError_tT0_T1_T2_jT3_P12ihipStream_tbPNSt15iterator_traitsISE_E10value_typeEPNSK_ISF_E10value_typeEPSG_NS1_7vsmem_tEENKUlT_SE_SF_SG_E_clIS8_S8_S9_S9_EESD_ST_SE_SF_SG_EUlST_E1_NS1_11comp_targetILNS1_3genE10ELNS1_11target_archE1201ELNS1_3gpuE5ELNS1_3repE0EEENS1_36merge_oddeven_config_static_selectorELNS0_4arch9wavefront6targetE1EEEvSF_, .Lfunc_end1253-_ZN7rocprim17ROCPRIM_400000_NS6detail17trampoline_kernelINS0_14default_configENS1_38merge_sort_block_merge_config_selectorIfNS0_10empty_typeEEEZZNS1_27merge_sort_block_merge_implIS3_PfPS5_jNS1_19radix_merge_compareILb0ELb0EfNS0_19identity_decomposerEEEEE10hipError_tT0_T1_T2_jT3_P12ihipStream_tbPNSt15iterator_traitsISE_E10value_typeEPNSK_ISF_E10value_typeEPSG_NS1_7vsmem_tEENKUlT_SE_SF_SG_E_clIS8_S8_S9_S9_EESD_ST_SE_SF_SG_EUlST_E1_NS1_11comp_targetILNS1_3genE10ELNS1_11target_archE1201ELNS1_3gpuE5ELNS1_3repE0EEENS1_36merge_oddeven_config_static_selectorELNS0_4arch9wavefront6targetE1EEEvSF_
                                        ; -- End function
	.section	.AMDGPU.csdata,"",@progbits
; Kernel info:
; codeLenInByte = 0
; NumSgprs: 4
; NumVgprs: 0
; NumAgprs: 0
; TotalNumVgprs: 0
; ScratchSize: 0
; MemoryBound: 0
; FloatMode: 240
; IeeeMode: 1
; LDSByteSize: 0 bytes/workgroup (compile time only)
; SGPRBlocks: 0
; VGPRBlocks: 0
; NumSGPRsForWavesPerEU: 4
; NumVGPRsForWavesPerEU: 1
; AccumOffset: 4
; Occupancy: 8
; WaveLimiterHint : 0
; COMPUTE_PGM_RSRC2:SCRATCH_EN: 0
; COMPUTE_PGM_RSRC2:USER_SGPR: 6
; COMPUTE_PGM_RSRC2:TRAP_HANDLER: 0
; COMPUTE_PGM_RSRC2:TGID_X_EN: 1
; COMPUTE_PGM_RSRC2:TGID_Y_EN: 0
; COMPUTE_PGM_RSRC2:TGID_Z_EN: 0
; COMPUTE_PGM_RSRC2:TIDIG_COMP_CNT: 0
; COMPUTE_PGM_RSRC3_GFX90A:ACCUM_OFFSET: 0
; COMPUTE_PGM_RSRC3_GFX90A:TG_SPLIT: 0
	.section	.text._ZN7rocprim17ROCPRIM_400000_NS6detail17trampoline_kernelINS0_14default_configENS1_38merge_sort_block_merge_config_selectorIfNS0_10empty_typeEEEZZNS1_27merge_sort_block_merge_implIS3_PfPS5_jNS1_19radix_merge_compareILb0ELb0EfNS0_19identity_decomposerEEEEE10hipError_tT0_T1_T2_jT3_P12ihipStream_tbPNSt15iterator_traitsISE_E10value_typeEPNSK_ISF_E10value_typeEPSG_NS1_7vsmem_tEENKUlT_SE_SF_SG_E_clIS8_S8_S9_S9_EESD_ST_SE_SF_SG_EUlST_E1_NS1_11comp_targetILNS1_3genE5ELNS1_11target_archE942ELNS1_3gpuE9ELNS1_3repE0EEENS1_36merge_oddeven_config_static_selectorELNS0_4arch9wavefront6targetE1EEEvSF_,"axG",@progbits,_ZN7rocprim17ROCPRIM_400000_NS6detail17trampoline_kernelINS0_14default_configENS1_38merge_sort_block_merge_config_selectorIfNS0_10empty_typeEEEZZNS1_27merge_sort_block_merge_implIS3_PfPS5_jNS1_19radix_merge_compareILb0ELb0EfNS0_19identity_decomposerEEEEE10hipError_tT0_T1_T2_jT3_P12ihipStream_tbPNSt15iterator_traitsISE_E10value_typeEPNSK_ISF_E10value_typeEPSG_NS1_7vsmem_tEENKUlT_SE_SF_SG_E_clIS8_S8_S9_S9_EESD_ST_SE_SF_SG_EUlST_E1_NS1_11comp_targetILNS1_3genE5ELNS1_11target_archE942ELNS1_3gpuE9ELNS1_3repE0EEENS1_36merge_oddeven_config_static_selectorELNS0_4arch9wavefront6targetE1EEEvSF_,comdat
	.protected	_ZN7rocprim17ROCPRIM_400000_NS6detail17trampoline_kernelINS0_14default_configENS1_38merge_sort_block_merge_config_selectorIfNS0_10empty_typeEEEZZNS1_27merge_sort_block_merge_implIS3_PfPS5_jNS1_19radix_merge_compareILb0ELb0EfNS0_19identity_decomposerEEEEE10hipError_tT0_T1_T2_jT3_P12ihipStream_tbPNSt15iterator_traitsISE_E10value_typeEPNSK_ISF_E10value_typeEPSG_NS1_7vsmem_tEENKUlT_SE_SF_SG_E_clIS8_S8_S9_S9_EESD_ST_SE_SF_SG_EUlST_E1_NS1_11comp_targetILNS1_3genE5ELNS1_11target_archE942ELNS1_3gpuE9ELNS1_3repE0EEENS1_36merge_oddeven_config_static_selectorELNS0_4arch9wavefront6targetE1EEEvSF_ ; -- Begin function _ZN7rocprim17ROCPRIM_400000_NS6detail17trampoline_kernelINS0_14default_configENS1_38merge_sort_block_merge_config_selectorIfNS0_10empty_typeEEEZZNS1_27merge_sort_block_merge_implIS3_PfPS5_jNS1_19radix_merge_compareILb0ELb0EfNS0_19identity_decomposerEEEEE10hipError_tT0_T1_T2_jT3_P12ihipStream_tbPNSt15iterator_traitsISE_E10value_typeEPNSK_ISF_E10value_typeEPSG_NS1_7vsmem_tEENKUlT_SE_SF_SG_E_clIS8_S8_S9_S9_EESD_ST_SE_SF_SG_EUlST_E1_NS1_11comp_targetILNS1_3genE5ELNS1_11target_archE942ELNS1_3gpuE9ELNS1_3repE0EEENS1_36merge_oddeven_config_static_selectorELNS0_4arch9wavefront6targetE1EEEvSF_
	.globl	_ZN7rocprim17ROCPRIM_400000_NS6detail17trampoline_kernelINS0_14default_configENS1_38merge_sort_block_merge_config_selectorIfNS0_10empty_typeEEEZZNS1_27merge_sort_block_merge_implIS3_PfPS5_jNS1_19radix_merge_compareILb0ELb0EfNS0_19identity_decomposerEEEEE10hipError_tT0_T1_T2_jT3_P12ihipStream_tbPNSt15iterator_traitsISE_E10value_typeEPNSK_ISF_E10value_typeEPSG_NS1_7vsmem_tEENKUlT_SE_SF_SG_E_clIS8_S8_S9_S9_EESD_ST_SE_SF_SG_EUlST_E1_NS1_11comp_targetILNS1_3genE5ELNS1_11target_archE942ELNS1_3gpuE9ELNS1_3repE0EEENS1_36merge_oddeven_config_static_selectorELNS0_4arch9wavefront6targetE1EEEvSF_
	.p2align	8
	.type	_ZN7rocprim17ROCPRIM_400000_NS6detail17trampoline_kernelINS0_14default_configENS1_38merge_sort_block_merge_config_selectorIfNS0_10empty_typeEEEZZNS1_27merge_sort_block_merge_implIS3_PfPS5_jNS1_19radix_merge_compareILb0ELb0EfNS0_19identity_decomposerEEEEE10hipError_tT0_T1_T2_jT3_P12ihipStream_tbPNSt15iterator_traitsISE_E10value_typeEPNSK_ISF_E10value_typeEPSG_NS1_7vsmem_tEENKUlT_SE_SF_SG_E_clIS8_S8_S9_S9_EESD_ST_SE_SF_SG_EUlST_E1_NS1_11comp_targetILNS1_3genE5ELNS1_11target_archE942ELNS1_3gpuE9ELNS1_3repE0EEENS1_36merge_oddeven_config_static_selectorELNS0_4arch9wavefront6targetE1EEEvSF_,@function
_ZN7rocprim17ROCPRIM_400000_NS6detail17trampoline_kernelINS0_14default_configENS1_38merge_sort_block_merge_config_selectorIfNS0_10empty_typeEEEZZNS1_27merge_sort_block_merge_implIS3_PfPS5_jNS1_19radix_merge_compareILb0ELb0EfNS0_19identity_decomposerEEEEE10hipError_tT0_T1_T2_jT3_P12ihipStream_tbPNSt15iterator_traitsISE_E10value_typeEPNSK_ISF_E10value_typeEPSG_NS1_7vsmem_tEENKUlT_SE_SF_SG_E_clIS8_S8_S9_S9_EESD_ST_SE_SF_SG_EUlST_E1_NS1_11comp_targetILNS1_3genE5ELNS1_11target_archE942ELNS1_3gpuE9ELNS1_3repE0EEENS1_36merge_oddeven_config_static_selectorELNS0_4arch9wavefront6targetE1EEEvSF_: ; @_ZN7rocprim17ROCPRIM_400000_NS6detail17trampoline_kernelINS0_14default_configENS1_38merge_sort_block_merge_config_selectorIfNS0_10empty_typeEEEZZNS1_27merge_sort_block_merge_implIS3_PfPS5_jNS1_19radix_merge_compareILb0ELb0EfNS0_19identity_decomposerEEEEE10hipError_tT0_T1_T2_jT3_P12ihipStream_tbPNSt15iterator_traitsISE_E10value_typeEPNSK_ISF_E10value_typeEPSG_NS1_7vsmem_tEENKUlT_SE_SF_SG_E_clIS8_S8_S9_S9_EESD_ST_SE_SF_SG_EUlST_E1_NS1_11comp_targetILNS1_3genE5ELNS1_11target_archE942ELNS1_3gpuE9ELNS1_3repE0EEENS1_36merge_oddeven_config_static_selectorELNS0_4arch9wavefront6targetE1EEEvSF_
; %bb.0:
	.section	.rodata,"a",@progbits
	.p2align	6, 0x0
	.amdhsa_kernel _ZN7rocprim17ROCPRIM_400000_NS6detail17trampoline_kernelINS0_14default_configENS1_38merge_sort_block_merge_config_selectorIfNS0_10empty_typeEEEZZNS1_27merge_sort_block_merge_implIS3_PfPS5_jNS1_19radix_merge_compareILb0ELb0EfNS0_19identity_decomposerEEEEE10hipError_tT0_T1_T2_jT3_P12ihipStream_tbPNSt15iterator_traitsISE_E10value_typeEPNSK_ISF_E10value_typeEPSG_NS1_7vsmem_tEENKUlT_SE_SF_SG_E_clIS8_S8_S9_S9_EESD_ST_SE_SF_SG_EUlST_E1_NS1_11comp_targetILNS1_3genE5ELNS1_11target_archE942ELNS1_3gpuE9ELNS1_3repE0EEENS1_36merge_oddeven_config_static_selectorELNS0_4arch9wavefront6targetE1EEEvSF_
		.amdhsa_group_segment_fixed_size 0
		.amdhsa_private_segment_fixed_size 0
		.amdhsa_kernarg_size 48
		.amdhsa_user_sgpr_count 6
		.amdhsa_user_sgpr_private_segment_buffer 1
		.amdhsa_user_sgpr_dispatch_ptr 0
		.amdhsa_user_sgpr_queue_ptr 0
		.amdhsa_user_sgpr_kernarg_segment_ptr 1
		.amdhsa_user_sgpr_dispatch_id 0
		.amdhsa_user_sgpr_flat_scratch_init 0
		.amdhsa_user_sgpr_kernarg_preload_length 0
		.amdhsa_user_sgpr_kernarg_preload_offset 0
		.amdhsa_user_sgpr_private_segment_size 0
		.amdhsa_uses_dynamic_stack 0
		.amdhsa_system_sgpr_private_segment_wavefront_offset 0
		.amdhsa_system_sgpr_workgroup_id_x 1
		.amdhsa_system_sgpr_workgroup_id_y 0
		.amdhsa_system_sgpr_workgroup_id_z 0
		.amdhsa_system_sgpr_workgroup_info 0
		.amdhsa_system_vgpr_workitem_id 0
		.amdhsa_next_free_vgpr 1
		.amdhsa_next_free_sgpr 0
		.amdhsa_accum_offset 4
		.amdhsa_reserve_vcc 0
		.amdhsa_reserve_flat_scratch 0
		.amdhsa_float_round_mode_32 0
		.amdhsa_float_round_mode_16_64 0
		.amdhsa_float_denorm_mode_32 3
		.amdhsa_float_denorm_mode_16_64 3
		.amdhsa_dx10_clamp 1
		.amdhsa_ieee_mode 1
		.amdhsa_fp16_overflow 0
		.amdhsa_tg_split 0
		.amdhsa_exception_fp_ieee_invalid_op 0
		.amdhsa_exception_fp_denorm_src 0
		.amdhsa_exception_fp_ieee_div_zero 0
		.amdhsa_exception_fp_ieee_overflow 0
		.amdhsa_exception_fp_ieee_underflow 0
		.amdhsa_exception_fp_ieee_inexact 0
		.amdhsa_exception_int_div_zero 0
	.end_amdhsa_kernel
	.section	.text._ZN7rocprim17ROCPRIM_400000_NS6detail17trampoline_kernelINS0_14default_configENS1_38merge_sort_block_merge_config_selectorIfNS0_10empty_typeEEEZZNS1_27merge_sort_block_merge_implIS3_PfPS5_jNS1_19radix_merge_compareILb0ELb0EfNS0_19identity_decomposerEEEEE10hipError_tT0_T1_T2_jT3_P12ihipStream_tbPNSt15iterator_traitsISE_E10value_typeEPNSK_ISF_E10value_typeEPSG_NS1_7vsmem_tEENKUlT_SE_SF_SG_E_clIS8_S8_S9_S9_EESD_ST_SE_SF_SG_EUlST_E1_NS1_11comp_targetILNS1_3genE5ELNS1_11target_archE942ELNS1_3gpuE9ELNS1_3repE0EEENS1_36merge_oddeven_config_static_selectorELNS0_4arch9wavefront6targetE1EEEvSF_,"axG",@progbits,_ZN7rocprim17ROCPRIM_400000_NS6detail17trampoline_kernelINS0_14default_configENS1_38merge_sort_block_merge_config_selectorIfNS0_10empty_typeEEEZZNS1_27merge_sort_block_merge_implIS3_PfPS5_jNS1_19radix_merge_compareILb0ELb0EfNS0_19identity_decomposerEEEEE10hipError_tT0_T1_T2_jT3_P12ihipStream_tbPNSt15iterator_traitsISE_E10value_typeEPNSK_ISF_E10value_typeEPSG_NS1_7vsmem_tEENKUlT_SE_SF_SG_E_clIS8_S8_S9_S9_EESD_ST_SE_SF_SG_EUlST_E1_NS1_11comp_targetILNS1_3genE5ELNS1_11target_archE942ELNS1_3gpuE9ELNS1_3repE0EEENS1_36merge_oddeven_config_static_selectorELNS0_4arch9wavefront6targetE1EEEvSF_,comdat
.Lfunc_end1254:
	.size	_ZN7rocprim17ROCPRIM_400000_NS6detail17trampoline_kernelINS0_14default_configENS1_38merge_sort_block_merge_config_selectorIfNS0_10empty_typeEEEZZNS1_27merge_sort_block_merge_implIS3_PfPS5_jNS1_19radix_merge_compareILb0ELb0EfNS0_19identity_decomposerEEEEE10hipError_tT0_T1_T2_jT3_P12ihipStream_tbPNSt15iterator_traitsISE_E10value_typeEPNSK_ISF_E10value_typeEPSG_NS1_7vsmem_tEENKUlT_SE_SF_SG_E_clIS8_S8_S9_S9_EESD_ST_SE_SF_SG_EUlST_E1_NS1_11comp_targetILNS1_3genE5ELNS1_11target_archE942ELNS1_3gpuE9ELNS1_3repE0EEENS1_36merge_oddeven_config_static_selectorELNS0_4arch9wavefront6targetE1EEEvSF_, .Lfunc_end1254-_ZN7rocprim17ROCPRIM_400000_NS6detail17trampoline_kernelINS0_14default_configENS1_38merge_sort_block_merge_config_selectorIfNS0_10empty_typeEEEZZNS1_27merge_sort_block_merge_implIS3_PfPS5_jNS1_19radix_merge_compareILb0ELb0EfNS0_19identity_decomposerEEEEE10hipError_tT0_T1_T2_jT3_P12ihipStream_tbPNSt15iterator_traitsISE_E10value_typeEPNSK_ISF_E10value_typeEPSG_NS1_7vsmem_tEENKUlT_SE_SF_SG_E_clIS8_S8_S9_S9_EESD_ST_SE_SF_SG_EUlST_E1_NS1_11comp_targetILNS1_3genE5ELNS1_11target_archE942ELNS1_3gpuE9ELNS1_3repE0EEENS1_36merge_oddeven_config_static_selectorELNS0_4arch9wavefront6targetE1EEEvSF_
                                        ; -- End function
	.section	.AMDGPU.csdata,"",@progbits
; Kernel info:
; codeLenInByte = 0
; NumSgprs: 4
; NumVgprs: 0
; NumAgprs: 0
; TotalNumVgprs: 0
; ScratchSize: 0
; MemoryBound: 0
; FloatMode: 240
; IeeeMode: 1
; LDSByteSize: 0 bytes/workgroup (compile time only)
; SGPRBlocks: 0
; VGPRBlocks: 0
; NumSGPRsForWavesPerEU: 4
; NumVGPRsForWavesPerEU: 1
; AccumOffset: 4
; Occupancy: 8
; WaveLimiterHint : 0
; COMPUTE_PGM_RSRC2:SCRATCH_EN: 0
; COMPUTE_PGM_RSRC2:USER_SGPR: 6
; COMPUTE_PGM_RSRC2:TRAP_HANDLER: 0
; COMPUTE_PGM_RSRC2:TGID_X_EN: 1
; COMPUTE_PGM_RSRC2:TGID_Y_EN: 0
; COMPUTE_PGM_RSRC2:TGID_Z_EN: 0
; COMPUTE_PGM_RSRC2:TIDIG_COMP_CNT: 0
; COMPUTE_PGM_RSRC3_GFX90A:ACCUM_OFFSET: 0
; COMPUTE_PGM_RSRC3_GFX90A:TG_SPLIT: 0
	.section	.text._ZN7rocprim17ROCPRIM_400000_NS6detail17trampoline_kernelINS0_14default_configENS1_38merge_sort_block_merge_config_selectorIfNS0_10empty_typeEEEZZNS1_27merge_sort_block_merge_implIS3_PfPS5_jNS1_19radix_merge_compareILb0ELb0EfNS0_19identity_decomposerEEEEE10hipError_tT0_T1_T2_jT3_P12ihipStream_tbPNSt15iterator_traitsISE_E10value_typeEPNSK_ISF_E10value_typeEPSG_NS1_7vsmem_tEENKUlT_SE_SF_SG_E_clIS8_S8_S9_S9_EESD_ST_SE_SF_SG_EUlST_E1_NS1_11comp_targetILNS1_3genE4ELNS1_11target_archE910ELNS1_3gpuE8ELNS1_3repE0EEENS1_36merge_oddeven_config_static_selectorELNS0_4arch9wavefront6targetE1EEEvSF_,"axG",@progbits,_ZN7rocprim17ROCPRIM_400000_NS6detail17trampoline_kernelINS0_14default_configENS1_38merge_sort_block_merge_config_selectorIfNS0_10empty_typeEEEZZNS1_27merge_sort_block_merge_implIS3_PfPS5_jNS1_19radix_merge_compareILb0ELb0EfNS0_19identity_decomposerEEEEE10hipError_tT0_T1_T2_jT3_P12ihipStream_tbPNSt15iterator_traitsISE_E10value_typeEPNSK_ISF_E10value_typeEPSG_NS1_7vsmem_tEENKUlT_SE_SF_SG_E_clIS8_S8_S9_S9_EESD_ST_SE_SF_SG_EUlST_E1_NS1_11comp_targetILNS1_3genE4ELNS1_11target_archE910ELNS1_3gpuE8ELNS1_3repE0EEENS1_36merge_oddeven_config_static_selectorELNS0_4arch9wavefront6targetE1EEEvSF_,comdat
	.protected	_ZN7rocprim17ROCPRIM_400000_NS6detail17trampoline_kernelINS0_14default_configENS1_38merge_sort_block_merge_config_selectorIfNS0_10empty_typeEEEZZNS1_27merge_sort_block_merge_implIS3_PfPS5_jNS1_19radix_merge_compareILb0ELb0EfNS0_19identity_decomposerEEEEE10hipError_tT0_T1_T2_jT3_P12ihipStream_tbPNSt15iterator_traitsISE_E10value_typeEPNSK_ISF_E10value_typeEPSG_NS1_7vsmem_tEENKUlT_SE_SF_SG_E_clIS8_S8_S9_S9_EESD_ST_SE_SF_SG_EUlST_E1_NS1_11comp_targetILNS1_3genE4ELNS1_11target_archE910ELNS1_3gpuE8ELNS1_3repE0EEENS1_36merge_oddeven_config_static_selectorELNS0_4arch9wavefront6targetE1EEEvSF_ ; -- Begin function _ZN7rocprim17ROCPRIM_400000_NS6detail17trampoline_kernelINS0_14default_configENS1_38merge_sort_block_merge_config_selectorIfNS0_10empty_typeEEEZZNS1_27merge_sort_block_merge_implIS3_PfPS5_jNS1_19radix_merge_compareILb0ELb0EfNS0_19identity_decomposerEEEEE10hipError_tT0_T1_T2_jT3_P12ihipStream_tbPNSt15iterator_traitsISE_E10value_typeEPNSK_ISF_E10value_typeEPSG_NS1_7vsmem_tEENKUlT_SE_SF_SG_E_clIS8_S8_S9_S9_EESD_ST_SE_SF_SG_EUlST_E1_NS1_11comp_targetILNS1_3genE4ELNS1_11target_archE910ELNS1_3gpuE8ELNS1_3repE0EEENS1_36merge_oddeven_config_static_selectorELNS0_4arch9wavefront6targetE1EEEvSF_
	.globl	_ZN7rocprim17ROCPRIM_400000_NS6detail17trampoline_kernelINS0_14default_configENS1_38merge_sort_block_merge_config_selectorIfNS0_10empty_typeEEEZZNS1_27merge_sort_block_merge_implIS3_PfPS5_jNS1_19radix_merge_compareILb0ELb0EfNS0_19identity_decomposerEEEEE10hipError_tT0_T1_T2_jT3_P12ihipStream_tbPNSt15iterator_traitsISE_E10value_typeEPNSK_ISF_E10value_typeEPSG_NS1_7vsmem_tEENKUlT_SE_SF_SG_E_clIS8_S8_S9_S9_EESD_ST_SE_SF_SG_EUlST_E1_NS1_11comp_targetILNS1_3genE4ELNS1_11target_archE910ELNS1_3gpuE8ELNS1_3repE0EEENS1_36merge_oddeven_config_static_selectorELNS0_4arch9wavefront6targetE1EEEvSF_
	.p2align	8
	.type	_ZN7rocprim17ROCPRIM_400000_NS6detail17trampoline_kernelINS0_14default_configENS1_38merge_sort_block_merge_config_selectorIfNS0_10empty_typeEEEZZNS1_27merge_sort_block_merge_implIS3_PfPS5_jNS1_19radix_merge_compareILb0ELb0EfNS0_19identity_decomposerEEEEE10hipError_tT0_T1_T2_jT3_P12ihipStream_tbPNSt15iterator_traitsISE_E10value_typeEPNSK_ISF_E10value_typeEPSG_NS1_7vsmem_tEENKUlT_SE_SF_SG_E_clIS8_S8_S9_S9_EESD_ST_SE_SF_SG_EUlST_E1_NS1_11comp_targetILNS1_3genE4ELNS1_11target_archE910ELNS1_3gpuE8ELNS1_3repE0EEENS1_36merge_oddeven_config_static_selectorELNS0_4arch9wavefront6targetE1EEEvSF_,@function
_ZN7rocprim17ROCPRIM_400000_NS6detail17trampoline_kernelINS0_14default_configENS1_38merge_sort_block_merge_config_selectorIfNS0_10empty_typeEEEZZNS1_27merge_sort_block_merge_implIS3_PfPS5_jNS1_19radix_merge_compareILb0ELb0EfNS0_19identity_decomposerEEEEE10hipError_tT0_T1_T2_jT3_P12ihipStream_tbPNSt15iterator_traitsISE_E10value_typeEPNSK_ISF_E10value_typeEPSG_NS1_7vsmem_tEENKUlT_SE_SF_SG_E_clIS8_S8_S9_S9_EESD_ST_SE_SF_SG_EUlST_E1_NS1_11comp_targetILNS1_3genE4ELNS1_11target_archE910ELNS1_3gpuE8ELNS1_3repE0EEENS1_36merge_oddeven_config_static_selectorELNS0_4arch9wavefront6targetE1EEEvSF_: ; @_ZN7rocprim17ROCPRIM_400000_NS6detail17trampoline_kernelINS0_14default_configENS1_38merge_sort_block_merge_config_selectorIfNS0_10empty_typeEEEZZNS1_27merge_sort_block_merge_implIS3_PfPS5_jNS1_19radix_merge_compareILb0ELb0EfNS0_19identity_decomposerEEEEE10hipError_tT0_T1_T2_jT3_P12ihipStream_tbPNSt15iterator_traitsISE_E10value_typeEPNSK_ISF_E10value_typeEPSG_NS1_7vsmem_tEENKUlT_SE_SF_SG_E_clIS8_S8_S9_S9_EESD_ST_SE_SF_SG_EUlST_E1_NS1_11comp_targetILNS1_3genE4ELNS1_11target_archE910ELNS1_3gpuE8ELNS1_3repE0EEENS1_36merge_oddeven_config_static_selectorELNS0_4arch9wavefront6targetE1EEEvSF_
; %bb.0:
	s_load_dword s18, s[4:5], 0x20
	s_waitcnt lgkmcnt(0)
	s_lshr_b32 s0, s18, 8
	s_cmp_lg_u32 s6, s0
	s_cselect_b64 s[14:15], -1, 0
	s_cmp_eq_u32 s6, s0
	s_cselect_b64 s[12:13], -1, 0
	s_lshl_b32 s16, s6, 8
	s_sub_i32 s0, s18, s16
	v_cmp_gt_u32_e64 s[2:3], s0, v0
	s_or_b64 s[0:1], s[14:15], s[2:3]
	s_and_saveexec_b64 s[8:9], s[0:1]
	s_cbranch_execz .LBB1255_20
; %bb.1:
	s_load_dwordx4 s[8:11], s[4:5], 0x0
	s_load_dword s19, s[4:5], 0x24
	s_mov_b32 s17, 0
	s_lshl_b64 s[0:1], s[16:17], 2
	v_lshlrev_b32_e32 v1, 2, v0
	s_waitcnt lgkmcnt(0)
	s_add_u32 s0, s8, s0
	s_addc_u32 s1, s9, s1
	global_load_dword v2, v1, s[0:1]
	s_lshr_b32 s0, s19, 8
	s_sub_i32 s1, 0, s0
	s_and_b32 s1, s6, s1
	s_and_b32 s0, s1, s0
	s_lshl_b32 s20, s1, 8
	s_sub_i32 s6, 0, s19
	s_cmp_eq_u32 s0, 0
	s_cselect_b64 s[0:1], -1, 0
	s_and_b64 s[4:5], s[0:1], exec
	s_cselect_b32 s17, s19, s6
	s_add_i32 s17, s17, s20
	s_cmp_lt_u32 s17, s18
	v_add_u32_e32 v0, s16, v0
	s_cbranch_scc1 .LBB1255_3
; %bb.2:
	v_cmp_gt_u32_e32 vcc, s18, v0
	s_or_b64 s[4:5], vcc, s[14:15]
	s_and_b64 s[4:5], s[4:5], exec
	s_cbranch_execz .LBB1255_4
	s_branch .LBB1255_18
.LBB1255_3:
	s_mov_b64 s[4:5], 0
.LBB1255_4:
	s_min_u32 s14, s17, s18
	s_add_i32 s6, s14, s19
	s_min_u32 s15, s6, s18
	s_min_u32 s6, s20, s14
	s_add_i32 s20, s20, s14
	v_subrev_u32_e32 v0, s20, v0
	v_add_u32_e32 v3, s6, v0
	s_and_b64 vcc, exec, s[12:13]
	s_cbranch_vccz .LBB1255_12
; %bb.5:
                                        ; implicit-def: $vgpr0
	s_and_saveexec_b64 s[6:7], s[2:3]
	s_cbranch_execz .LBB1255_11
; %bb.6:
	s_cmp_ge_u32 s17, s15
	v_mov_b32_e32 v4, s14
	s_cbranch_scc1 .LBB1255_10
; %bb.7:
	s_waitcnt vmcnt(0)
	v_add_f32_e32 v0, 0, v2
	v_ashrrev_i32_e32 v1, 31, v0
	v_or_b32_e32 v1, 0x80000000, v1
	v_xor_b32_e32 v5, v1, v0
	s_mov_b64 s[2:3], 0
	v_mov_b32_e32 v6, s15
	v_mov_b32_e32 v4, s14
	;; [unrolled: 1-line block ×4, first 2 shown]
.LBB1255_8:                             ; =>This Inner Loop Header: Depth=1
	v_add_u32_e32 v0, v4, v6
	v_lshrrev_b32_e32 v0, 1, v0
	v_lshlrev_b64 v[8:9], 2, v[0:1]
	v_add_co_u32_e32 v8, vcc, s8, v8
	v_addc_co_u32_e32 v9, vcc, v7, v9, vcc
	global_load_dword v8, v[8:9], off
	v_add_u32_e32 v9, 1, v0
	s_waitcnt vmcnt(0)
	v_add_f32_e32 v8, 0, v8
	v_ashrrev_i32_e32 v10, 31, v8
	v_or_b32_e32 v10, 0x80000000, v10
	v_xor_b32_e32 v8, v10, v8
	v_cmp_gt_u32_e32 vcc, v5, v8
	v_cndmask_b32_e64 v10, 0, 1, vcc
	v_cmp_le_u32_e32 vcc, v8, v5
	v_cndmask_b32_e64 v8, 0, 1, vcc
	v_cndmask_b32_e64 v8, v8, v10, s[0:1]
	v_and_b32_e32 v8, 1, v8
	v_cmp_eq_u32_e32 vcc, 1, v8
	v_cndmask_b32_e32 v6, v0, v6, vcc
	v_cndmask_b32_e32 v4, v4, v9, vcc
	v_cmp_ge_u32_e32 vcc, v4, v6
	s_or_b64 s[2:3], vcc, s[2:3]
	s_andn2_b64 exec, exec, s[2:3]
	s_cbranch_execnz .LBB1255_8
; %bb.9:
	s_or_b64 exec, exec, s[2:3]
.LBB1255_10:
	v_add_u32_e32 v0, v4, v3
	s_or_b64 s[4:5], s[4:5], exec
.LBB1255_11:
	s_or_b64 exec, exec, s[6:7]
	s_branch .LBB1255_18
.LBB1255_12:
                                        ; implicit-def: $vgpr0
	s_cbranch_execz .LBB1255_18
; %bb.13:
	s_cmp_ge_u32 s17, s15
	v_mov_b32_e32 v4, s14
	s_cbranch_scc1 .LBB1255_17
; %bb.14:
	s_waitcnt vmcnt(0)
	v_add_f32_e32 v0, 0, v2
	v_ashrrev_i32_e32 v1, 31, v0
	v_or_b32_e32 v1, 0x80000000, v1
	v_xor_b32_e32 v5, v1, v0
	s_mov_b64 s[2:3], 0
	v_mov_b32_e32 v6, s15
	v_mov_b32_e32 v4, s14
	;; [unrolled: 1-line block ×4, first 2 shown]
.LBB1255_15:                            ; =>This Inner Loop Header: Depth=1
	v_add_u32_e32 v0, v4, v6
	v_lshrrev_b32_e32 v0, 1, v0
	v_lshlrev_b64 v[8:9], 2, v[0:1]
	v_add_co_u32_e32 v8, vcc, s8, v8
	v_addc_co_u32_e32 v9, vcc, v7, v9, vcc
	global_load_dword v8, v[8:9], off
	v_add_u32_e32 v9, 1, v0
	s_waitcnt vmcnt(0)
	v_add_f32_e32 v8, 0, v8
	v_ashrrev_i32_e32 v10, 31, v8
	v_or_b32_e32 v10, 0x80000000, v10
	v_xor_b32_e32 v8, v10, v8
	v_cmp_gt_u32_e32 vcc, v5, v8
	v_cndmask_b32_e64 v10, 0, 1, vcc
	v_cmp_le_u32_e32 vcc, v8, v5
	v_cndmask_b32_e64 v8, 0, 1, vcc
	v_cndmask_b32_e64 v8, v8, v10, s[0:1]
	v_and_b32_e32 v8, 1, v8
	v_cmp_eq_u32_e32 vcc, 1, v8
	v_cndmask_b32_e32 v6, v0, v6, vcc
	v_cndmask_b32_e32 v4, v4, v9, vcc
	v_cmp_ge_u32_e32 vcc, v4, v6
	s_or_b64 s[2:3], vcc, s[2:3]
	s_andn2_b64 exec, exec, s[2:3]
	s_cbranch_execnz .LBB1255_15
; %bb.16:
	s_or_b64 exec, exec, s[2:3]
.LBB1255_17:
	v_add_u32_e32 v0, v4, v3
	s_mov_b64 s[4:5], -1
.LBB1255_18:
	s_and_b64 exec, exec, s[4:5]
	s_cbranch_execz .LBB1255_20
; %bb.19:
	v_mov_b32_e32 v1, 0
	v_lshlrev_b64 v[0:1], 2, v[0:1]
	v_mov_b32_e32 v3, s11
	v_add_co_u32_e32 v0, vcc, s10, v0
	v_addc_co_u32_e32 v1, vcc, v3, v1, vcc
	s_waitcnt vmcnt(0)
	global_store_dword v[0:1], v2, off
.LBB1255_20:
	s_endpgm
	.section	.rodata,"a",@progbits
	.p2align	6, 0x0
	.amdhsa_kernel _ZN7rocprim17ROCPRIM_400000_NS6detail17trampoline_kernelINS0_14default_configENS1_38merge_sort_block_merge_config_selectorIfNS0_10empty_typeEEEZZNS1_27merge_sort_block_merge_implIS3_PfPS5_jNS1_19radix_merge_compareILb0ELb0EfNS0_19identity_decomposerEEEEE10hipError_tT0_T1_T2_jT3_P12ihipStream_tbPNSt15iterator_traitsISE_E10value_typeEPNSK_ISF_E10value_typeEPSG_NS1_7vsmem_tEENKUlT_SE_SF_SG_E_clIS8_S8_S9_S9_EESD_ST_SE_SF_SG_EUlST_E1_NS1_11comp_targetILNS1_3genE4ELNS1_11target_archE910ELNS1_3gpuE8ELNS1_3repE0EEENS1_36merge_oddeven_config_static_selectorELNS0_4arch9wavefront6targetE1EEEvSF_
		.amdhsa_group_segment_fixed_size 0
		.amdhsa_private_segment_fixed_size 0
		.amdhsa_kernarg_size 48
		.amdhsa_user_sgpr_count 6
		.amdhsa_user_sgpr_private_segment_buffer 1
		.amdhsa_user_sgpr_dispatch_ptr 0
		.amdhsa_user_sgpr_queue_ptr 0
		.amdhsa_user_sgpr_kernarg_segment_ptr 1
		.amdhsa_user_sgpr_dispatch_id 0
		.amdhsa_user_sgpr_flat_scratch_init 0
		.amdhsa_user_sgpr_kernarg_preload_length 0
		.amdhsa_user_sgpr_kernarg_preload_offset 0
		.amdhsa_user_sgpr_private_segment_size 0
		.amdhsa_uses_dynamic_stack 0
		.amdhsa_system_sgpr_private_segment_wavefront_offset 0
		.amdhsa_system_sgpr_workgroup_id_x 1
		.amdhsa_system_sgpr_workgroup_id_y 0
		.amdhsa_system_sgpr_workgroup_id_z 0
		.amdhsa_system_sgpr_workgroup_info 0
		.amdhsa_system_vgpr_workitem_id 0
		.amdhsa_next_free_vgpr 11
		.amdhsa_next_free_sgpr 21
		.amdhsa_accum_offset 12
		.amdhsa_reserve_vcc 1
		.amdhsa_reserve_flat_scratch 0
		.amdhsa_float_round_mode_32 0
		.amdhsa_float_round_mode_16_64 0
		.amdhsa_float_denorm_mode_32 3
		.amdhsa_float_denorm_mode_16_64 3
		.amdhsa_dx10_clamp 1
		.amdhsa_ieee_mode 1
		.amdhsa_fp16_overflow 0
		.amdhsa_tg_split 0
		.amdhsa_exception_fp_ieee_invalid_op 0
		.amdhsa_exception_fp_denorm_src 0
		.amdhsa_exception_fp_ieee_div_zero 0
		.amdhsa_exception_fp_ieee_overflow 0
		.amdhsa_exception_fp_ieee_underflow 0
		.amdhsa_exception_fp_ieee_inexact 0
		.amdhsa_exception_int_div_zero 0
	.end_amdhsa_kernel
	.section	.text._ZN7rocprim17ROCPRIM_400000_NS6detail17trampoline_kernelINS0_14default_configENS1_38merge_sort_block_merge_config_selectorIfNS0_10empty_typeEEEZZNS1_27merge_sort_block_merge_implIS3_PfPS5_jNS1_19radix_merge_compareILb0ELb0EfNS0_19identity_decomposerEEEEE10hipError_tT0_T1_T2_jT3_P12ihipStream_tbPNSt15iterator_traitsISE_E10value_typeEPNSK_ISF_E10value_typeEPSG_NS1_7vsmem_tEENKUlT_SE_SF_SG_E_clIS8_S8_S9_S9_EESD_ST_SE_SF_SG_EUlST_E1_NS1_11comp_targetILNS1_3genE4ELNS1_11target_archE910ELNS1_3gpuE8ELNS1_3repE0EEENS1_36merge_oddeven_config_static_selectorELNS0_4arch9wavefront6targetE1EEEvSF_,"axG",@progbits,_ZN7rocprim17ROCPRIM_400000_NS6detail17trampoline_kernelINS0_14default_configENS1_38merge_sort_block_merge_config_selectorIfNS0_10empty_typeEEEZZNS1_27merge_sort_block_merge_implIS3_PfPS5_jNS1_19radix_merge_compareILb0ELb0EfNS0_19identity_decomposerEEEEE10hipError_tT0_T1_T2_jT3_P12ihipStream_tbPNSt15iterator_traitsISE_E10value_typeEPNSK_ISF_E10value_typeEPSG_NS1_7vsmem_tEENKUlT_SE_SF_SG_E_clIS8_S8_S9_S9_EESD_ST_SE_SF_SG_EUlST_E1_NS1_11comp_targetILNS1_3genE4ELNS1_11target_archE910ELNS1_3gpuE8ELNS1_3repE0EEENS1_36merge_oddeven_config_static_selectorELNS0_4arch9wavefront6targetE1EEEvSF_,comdat
.Lfunc_end1255:
	.size	_ZN7rocprim17ROCPRIM_400000_NS6detail17trampoline_kernelINS0_14default_configENS1_38merge_sort_block_merge_config_selectorIfNS0_10empty_typeEEEZZNS1_27merge_sort_block_merge_implIS3_PfPS5_jNS1_19radix_merge_compareILb0ELb0EfNS0_19identity_decomposerEEEEE10hipError_tT0_T1_T2_jT3_P12ihipStream_tbPNSt15iterator_traitsISE_E10value_typeEPNSK_ISF_E10value_typeEPSG_NS1_7vsmem_tEENKUlT_SE_SF_SG_E_clIS8_S8_S9_S9_EESD_ST_SE_SF_SG_EUlST_E1_NS1_11comp_targetILNS1_3genE4ELNS1_11target_archE910ELNS1_3gpuE8ELNS1_3repE0EEENS1_36merge_oddeven_config_static_selectorELNS0_4arch9wavefront6targetE1EEEvSF_, .Lfunc_end1255-_ZN7rocprim17ROCPRIM_400000_NS6detail17trampoline_kernelINS0_14default_configENS1_38merge_sort_block_merge_config_selectorIfNS0_10empty_typeEEEZZNS1_27merge_sort_block_merge_implIS3_PfPS5_jNS1_19radix_merge_compareILb0ELb0EfNS0_19identity_decomposerEEEEE10hipError_tT0_T1_T2_jT3_P12ihipStream_tbPNSt15iterator_traitsISE_E10value_typeEPNSK_ISF_E10value_typeEPSG_NS1_7vsmem_tEENKUlT_SE_SF_SG_E_clIS8_S8_S9_S9_EESD_ST_SE_SF_SG_EUlST_E1_NS1_11comp_targetILNS1_3genE4ELNS1_11target_archE910ELNS1_3gpuE8ELNS1_3repE0EEENS1_36merge_oddeven_config_static_selectorELNS0_4arch9wavefront6targetE1EEEvSF_
                                        ; -- End function
	.section	.AMDGPU.csdata,"",@progbits
; Kernel info:
; codeLenInByte = 676
; NumSgprs: 25
; NumVgprs: 11
; NumAgprs: 0
; TotalNumVgprs: 11
; ScratchSize: 0
; MemoryBound: 0
; FloatMode: 240
; IeeeMode: 1
; LDSByteSize: 0 bytes/workgroup (compile time only)
; SGPRBlocks: 3
; VGPRBlocks: 1
; NumSGPRsForWavesPerEU: 25
; NumVGPRsForWavesPerEU: 11
; AccumOffset: 12
; Occupancy: 8
; WaveLimiterHint : 0
; COMPUTE_PGM_RSRC2:SCRATCH_EN: 0
; COMPUTE_PGM_RSRC2:USER_SGPR: 6
; COMPUTE_PGM_RSRC2:TRAP_HANDLER: 0
; COMPUTE_PGM_RSRC2:TGID_X_EN: 1
; COMPUTE_PGM_RSRC2:TGID_Y_EN: 0
; COMPUTE_PGM_RSRC2:TGID_Z_EN: 0
; COMPUTE_PGM_RSRC2:TIDIG_COMP_CNT: 0
; COMPUTE_PGM_RSRC3_GFX90A:ACCUM_OFFSET: 2
; COMPUTE_PGM_RSRC3_GFX90A:TG_SPLIT: 0
	.section	.text._ZN7rocprim17ROCPRIM_400000_NS6detail17trampoline_kernelINS0_14default_configENS1_38merge_sort_block_merge_config_selectorIfNS0_10empty_typeEEEZZNS1_27merge_sort_block_merge_implIS3_PfPS5_jNS1_19radix_merge_compareILb0ELb0EfNS0_19identity_decomposerEEEEE10hipError_tT0_T1_T2_jT3_P12ihipStream_tbPNSt15iterator_traitsISE_E10value_typeEPNSK_ISF_E10value_typeEPSG_NS1_7vsmem_tEENKUlT_SE_SF_SG_E_clIS8_S8_S9_S9_EESD_ST_SE_SF_SG_EUlST_E1_NS1_11comp_targetILNS1_3genE3ELNS1_11target_archE908ELNS1_3gpuE7ELNS1_3repE0EEENS1_36merge_oddeven_config_static_selectorELNS0_4arch9wavefront6targetE1EEEvSF_,"axG",@progbits,_ZN7rocprim17ROCPRIM_400000_NS6detail17trampoline_kernelINS0_14default_configENS1_38merge_sort_block_merge_config_selectorIfNS0_10empty_typeEEEZZNS1_27merge_sort_block_merge_implIS3_PfPS5_jNS1_19radix_merge_compareILb0ELb0EfNS0_19identity_decomposerEEEEE10hipError_tT0_T1_T2_jT3_P12ihipStream_tbPNSt15iterator_traitsISE_E10value_typeEPNSK_ISF_E10value_typeEPSG_NS1_7vsmem_tEENKUlT_SE_SF_SG_E_clIS8_S8_S9_S9_EESD_ST_SE_SF_SG_EUlST_E1_NS1_11comp_targetILNS1_3genE3ELNS1_11target_archE908ELNS1_3gpuE7ELNS1_3repE0EEENS1_36merge_oddeven_config_static_selectorELNS0_4arch9wavefront6targetE1EEEvSF_,comdat
	.protected	_ZN7rocprim17ROCPRIM_400000_NS6detail17trampoline_kernelINS0_14default_configENS1_38merge_sort_block_merge_config_selectorIfNS0_10empty_typeEEEZZNS1_27merge_sort_block_merge_implIS3_PfPS5_jNS1_19radix_merge_compareILb0ELb0EfNS0_19identity_decomposerEEEEE10hipError_tT0_T1_T2_jT3_P12ihipStream_tbPNSt15iterator_traitsISE_E10value_typeEPNSK_ISF_E10value_typeEPSG_NS1_7vsmem_tEENKUlT_SE_SF_SG_E_clIS8_S8_S9_S9_EESD_ST_SE_SF_SG_EUlST_E1_NS1_11comp_targetILNS1_3genE3ELNS1_11target_archE908ELNS1_3gpuE7ELNS1_3repE0EEENS1_36merge_oddeven_config_static_selectorELNS0_4arch9wavefront6targetE1EEEvSF_ ; -- Begin function _ZN7rocprim17ROCPRIM_400000_NS6detail17trampoline_kernelINS0_14default_configENS1_38merge_sort_block_merge_config_selectorIfNS0_10empty_typeEEEZZNS1_27merge_sort_block_merge_implIS3_PfPS5_jNS1_19radix_merge_compareILb0ELb0EfNS0_19identity_decomposerEEEEE10hipError_tT0_T1_T2_jT3_P12ihipStream_tbPNSt15iterator_traitsISE_E10value_typeEPNSK_ISF_E10value_typeEPSG_NS1_7vsmem_tEENKUlT_SE_SF_SG_E_clIS8_S8_S9_S9_EESD_ST_SE_SF_SG_EUlST_E1_NS1_11comp_targetILNS1_3genE3ELNS1_11target_archE908ELNS1_3gpuE7ELNS1_3repE0EEENS1_36merge_oddeven_config_static_selectorELNS0_4arch9wavefront6targetE1EEEvSF_
	.globl	_ZN7rocprim17ROCPRIM_400000_NS6detail17trampoline_kernelINS0_14default_configENS1_38merge_sort_block_merge_config_selectorIfNS0_10empty_typeEEEZZNS1_27merge_sort_block_merge_implIS3_PfPS5_jNS1_19radix_merge_compareILb0ELb0EfNS0_19identity_decomposerEEEEE10hipError_tT0_T1_T2_jT3_P12ihipStream_tbPNSt15iterator_traitsISE_E10value_typeEPNSK_ISF_E10value_typeEPSG_NS1_7vsmem_tEENKUlT_SE_SF_SG_E_clIS8_S8_S9_S9_EESD_ST_SE_SF_SG_EUlST_E1_NS1_11comp_targetILNS1_3genE3ELNS1_11target_archE908ELNS1_3gpuE7ELNS1_3repE0EEENS1_36merge_oddeven_config_static_selectorELNS0_4arch9wavefront6targetE1EEEvSF_
	.p2align	8
	.type	_ZN7rocprim17ROCPRIM_400000_NS6detail17trampoline_kernelINS0_14default_configENS1_38merge_sort_block_merge_config_selectorIfNS0_10empty_typeEEEZZNS1_27merge_sort_block_merge_implIS3_PfPS5_jNS1_19radix_merge_compareILb0ELb0EfNS0_19identity_decomposerEEEEE10hipError_tT0_T1_T2_jT3_P12ihipStream_tbPNSt15iterator_traitsISE_E10value_typeEPNSK_ISF_E10value_typeEPSG_NS1_7vsmem_tEENKUlT_SE_SF_SG_E_clIS8_S8_S9_S9_EESD_ST_SE_SF_SG_EUlST_E1_NS1_11comp_targetILNS1_3genE3ELNS1_11target_archE908ELNS1_3gpuE7ELNS1_3repE0EEENS1_36merge_oddeven_config_static_selectorELNS0_4arch9wavefront6targetE1EEEvSF_,@function
_ZN7rocprim17ROCPRIM_400000_NS6detail17trampoline_kernelINS0_14default_configENS1_38merge_sort_block_merge_config_selectorIfNS0_10empty_typeEEEZZNS1_27merge_sort_block_merge_implIS3_PfPS5_jNS1_19radix_merge_compareILb0ELb0EfNS0_19identity_decomposerEEEEE10hipError_tT0_T1_T2_jT3_P12ihipStream_tbPNSt15iterator_traitsISE_E10value_typeEPNSK_ISF_E10value_typeEPSG_NS1_7vsmem_tEENKUlT_SE_SF_SG_E_clIS8_S8_S9_S9_EESD_ST_SE_SF_SG_EUlST_E1_NS1_11comp_targetILNS1_3genE3ELNS1_11target_archE908ELNS1_3gpuE7ELNS1_3repE0EEENS1_36merge_oddeven_config_static_selectorELNS0_4arch9wavefront6targetE1EEEvSF_: ; @_ZN7rocprim17ROCPRIM_400000_NS6detail17trampoline_kernelINS0_14default_configENS1_38merge_sort_block_merge_config_selectorIfNS0_10empty_typeEEEZZNS1_27merge_sort_block_merge_implIS3_PfPS5_jNS1_19radix_merge_compareILb0ELb0EfNS0_19identity_decomposerEEEEE10hipError_tT0_T1_T2_jT3_P12ihipStream_tbPNSt15iterator_traitsISE_E10value_typeEPNSK_ISF_E10value_typeEPSG_NS1_7vsmem_tEENKUlT_SE_SF_SG_E_clIS8_S8_S9_S9_EESD_ST_SE_SF_SG_EUlST_E1_NS1_11comp_targetILNS1_3genE3ELNS1_11target_archE908ELNS1_3gpuE7ELNS1_3repE0EEENS1_36merge_oddeven_config_static_selectorELNS0_4arch9wavefront6targetE1EEEvSF_
; %bb.0:
	.section	.rodata,"a",@progbits
	.p2align	6, 0x0
	.amdhsa_kernel _ZN7rocprim17ROCPRIM_400000_NS6detail17trampoline_kernelINS0_14default_configENS1_38merge_sort_block_merge_config_selectorIfNS0_10empty_typeEEEZZNS1_27merge_sort_block_merge_implIS3_PfPS5_jNS1_19radix_merge_compareILb0ELb0EfNS0_19identity_decomposerEEEEE10hipError_tT0_T1_T2_jT3_P12ihipStream_tbPNSt15iterator_traitsISE_E10value_typeEPNSK_ISF_E10value_typeEPSG_NS1_7vsmem_tEENKUlT_SE_SF_SG_E_clIS8_S8_S9_S9_EESD_ST_SE_SF_SG_EUlST_E1_NS1_11comp_targetILNS1_3genE3ELNS1_11target_archE908ELNS1_3gpuE7ELNS1_3repE0EEENS1_36merge_oddeven_config_static_selectorELNS0_4arch9wavefront6targetE1EEEvSF_
		.amdhsa_group_segment_fixed_size 0
		.amdhsa_private_segment_fixed_size 0
		.amdhsa_kernarg_size 48
		.amdhsa_user_sgpr_count 6
		.amdhsa_user_sgpr_private_segment_buffer 1
		.amdhsa_user_sgpr_dispatch_ptr 0
		.amdhsa_user_sgpr_queue_ptr 0
		.amdhsa_user_sgpr_kernarg_segment_ptr 1
		.amdhsa_user_sgpr_dispatch_id 0
		.amdhsa_user_sgpr_flat_scratch_init 0
		.amdhsa_user_sgpr_kernarg_preload_length 0
		.amdhsa_user_sgpr_kernarg_preload_offset 0
		.amdhsa_user_sgpr_private_segment_size 0
		.amdhsa_uses_dynamic_stack 0
		.amdhsa_system_sgpr_private_segment_wavefront_offset 0
		.amdhsa_system_sgpr_workgroup_id_x 1
		.amdhsa_system_sgpr_workgroup_id_y 0
		.amdhsa_system_sgpr_workgroup_id_z 0
		.amdhsa_system_sgpr_workgroup_info 0
		.amdhsa_system_vgpr_workitem_id 0
		.amdhsa_next_free_vgpr 1
		.amdhsa_next_free_sgpr 0
		.amdhsa_accum_offset 4
		.amdhsa_reserve_vcc 0
		.amdhsa_reserve_flat_scratch 0
		.amdhsa_float_round_mode_32 0
		.amdhsa_float_round_mode_16_64 0
		.amdhsa_float_denorm_mode_32 3
		.amdhsa_float_denorm_mode_16_64 3
		.amdhsa_dx10_clamp 1
		.amdhsa_ieee_mode 1
		.amdhsa_fp16_overflow 0
		.amdhsa_tg_split 0
		.amdhsa_exception_fp_ieee_invalid_op 0
		.amdhsa_exception_fp_denorm_src 0
		.amdhsa_exception_fp_ieee_div_zero 0
		.amdhsa_exception_fp_ieee_overflow 0
		.amdhsa_exception_fp_ieee_underflow 0
		.amdhsa_exception_fp_ieee_inexact 0
		.amdhsa_exception_int_div_zero 0
	.end_amdhsa_kernel
	.section	.text._ZN7rocprim17ROCPRIM_400000_NS6detail17trampoline_kernelINS0_14default_configENS1_38merge_sort_block_merge_config_selectorIfNS0_10empty_typeEEEZZNS1_27merge_sort_block_merge_implIS3_PfPS5_jNS1_19radix_merge_compareILb0ELb0EfNS0_19identity_decomposerEEEEE10hipError_tT0_T1_T2_jT3_P12ihipStream_tbPNSt15iterator_traitsISE_E10value_typeEPNSK_ISF_E10value_typeEPSG_NS1_7vsmem_tEENKUlT_SE_SF_SG_E_clIS8_S8_S9_S9_EESD_ST_SE_SF_SG_EUlST_E1_NS1_11comp_targetILNS1_3genE3ELNS1_11target_archE908ELNS1_3gpuE7ELNS1_3repE0EEENS1_36merge_oddeven_config_static_selectorELNS0_4arch9wavefront6targetE1EEEvSF_,"axG",@progbits,_ZN7rocprim17ROCPRIM_400000_NS6detail17trampoline_kernelINS0_14default_configENS1_38merge_sort_block_merge_config_selectorIfNS0_10empty_typeEEEZZNS1_27merge_sort_block_merge_implIS3_PfPS5_jNS1_19radix_merge_compareILb0ELb0EfNS0_19identity_decomposerEEEEE10hipError_tT0_T1_T2_jT3_P12ihipStream_tbPNSt15iterator_traitsISE_E10value_typeEPNSK_ISF_E10value_typeEPSG_NS1_7vsmem_tEENKUlT_SE_SF_SG_E_clIS8_S8_S9_S9_EESD_ST_SE_SF_SG_EUlST_E1_NS1_11comp_targetILNS1_3genE3ELNS1_11target_archE908ELNS1_3gpuE7ELNS1_3repE0EEENS1_36merge_oddeven_config_static_selectorELNS0_4arch9wavefront6targetE1EEEvSF_,comdat
.Lfunc_end1256:
	.size	_ZN7rocprim17ROCPRIM_400000_NS6detail17trampoline_kernelINS0_14default_configENS1_38merge_sort_block_merge_config_selectorIfNS0_10empty_typeEEEZZNS1_27merge_sort_block_merge_implIS3_PfPS5_jNS1_19radix_merge_compareILb0ELb0EfNS0_19identity_decomposerEEEEE10hipError_tT0_T1_T2_jT3_P12ihipStream_tbPNSt15iterator_traitsISE_E10value_typeEPNSK_ISF_E10value_typeEPSG_NS1_7vsmem_tEENKUlT_SE_SF_SG_E_clIS8_S8_S9_S9_EESD_ST_SE_SF_SG_EUlST_E1_NS1_11comp_targetILNS1_3genE3ELNS1_11target_archE908ELNS1_3gpuE7ELNS1_3repE0EEENS1_36merge_oddeven_config_static_selectorELNS0_4arch9wavefront6targetE1EEEvSF_, .Lfunc_end1256-_ZN7rocprim17ROCPRIM_400000_NS6detail17trampoline_kernelINS0_14default_configENS1_38merge_sort_block_merge_config_selectorIfNS0_10empty_typeEEEZZNS1_27merge_sort_block_merge_implIS3_PfPS5_jNS1_19radix_merge_compareILb0ELb0EfNS0_19identity_decomposerEEEEE10hipError_tT0_T1_T2_jT3_P12ihipStream_tbPNSt15iterator_traitsISE_E10value_typeEPNSK_ISF_E10value_typeEPSG_NS1_7vsmem_tEENKUlT_SE_SF_SG_E_clIS8_S8_S9_S9_EESD_ST_SE_SF_SG_EUlST_E1_NS1_11comp_targetILNS1_3genE3ELNS1_11target_archE908ELNS1_3gpuE7ELNS1_3repE0EEENS1_36merge_oddeven_config_static_selectorELNS0_4arch9wavefront6targetE1EEEvSF_
                                        ; -- End function
	.section	.AMDGPU.csdata,"",@progbits
; Kernel info:
; codeLenInByte = 0
; NumSgprs: 4
; NumVgprs: 0
; NumAgprs: 0
; TotalNumVgprs: 0
; ScratchSize: 0
; MemoryBound: 0
; FloatMode: 240
; IeeeMode: 1
; LDSByteSize: 0 bytes/workgroup (compile time only)
; SGPRBlocks: 0
; VGPRBlocks: 0
; NumSGPRsForWavesPerEU: 4
; NumVGPRsForWavesPerEU: 1
; AccumOffset: 4
; Occupancy: 8
; WaveLimiterHint : 0
; COMPUTE_PGM_RSRC2:SCRATCH_EN: 0
; COMPUTE_PGM_RSRC2:USER_SGPR: 6
; COMPUTE_PGM_RSRC2:TRAP_HANDLER: 0
; COMPUTE_PGM_RSRC2:TGID_X_EN: 1
; COMPUTE_PGM_RSRC2:TGID_Y_EN: 0
; COMPUTE_PGM_RSRC2:TGID_Z_EN: 0
; COMPUTE_PGM_RSRC2:TIDIG_COMP_CNT: 0
; COMPUTE_PGM_RSRC3_GFX90A:ACCUM_OFFSET: 0
; COMPUTE_PGM_RSRC3_GFX90A:TG_SPLIT: 0
	.section	.text._ZN7rocprim17ROCPRIM_400000_NS6detail17trampoline_kernelINS0_14default_configENS1_38merge_sort_block_merge_config_selectorIfNS0_10empty_typeEEEZZNS1_27merge_sort_block_merge_implIS3_PfPS5_jNS1_19radix_merge_compareILb0ELb0EfNS0_19identity_decomposerEEEEE10hipError_tT0_T1_T2_jT3_P12ihipStream_tbPNSt15iterator_traitsISE_E10value_typeEPNSK_ISF_E10value_typeEPSG_NS1_7vsmem_tEENKUlT_SE_SF_SG_E_clIS8_S8_S9_S9_EESD_ST_SE_SF_SG_EUlST_E1_NS1_11comp_targetILNS1_3genE2ELNS1_11target_archE906ELNS1_3gpuE6ELNS1_3repE0EEENS1_36merge_oddeven_config_static_selectorELNS0_4arch9wavefront6targetE1EEEvSF_,"axG",@progbits,_ZN7rocprim17ROCPRIM_400000_NS6detail17trampoline_kernelINS0_14default_configENS1_38merge_sort_block_merge_config_selectorIfNS0_10empty_typeEEEZZNS1_27merge_sort_block_merge_implIS3_PfPS5_jNS1_19radix_merge_compareILb0ELb0EfNS0_19identity_decomposerEEEEE10hipError_tT0_T1_T2_jT3_P12ihipStream_tbPNSt15iterator_traitsISE_E10value_typeEPNSK_ISF_E10value_typeEPSG_NS1_7vsmem_tEENKUlT_SE_SF_SG_E_clIS8_S8_S9_S9_EESD_ST_SE_SF_SG_EUlST_E1_NS1_11comp_targetILNS1_3genE2ELNS1_11target_archE906ELNS1_3gpuE6ELNS1_3repE0EEENS1_36merge_oddeven_config_static_selectorELNS0_4arch9wavefront6targetE1EEEvSF_,comdat
	.protected	_ZN7rocprim17ROCPRIM_400000_NS6detail17trampoline_kernelINS0_14default_configENS1_38merge_sort_block_merge_config_selectorIfNS0_10empty_typeEEEZZNS1_27merge_sort_block_merge_implIS3_PfPS5_jNS1_19radix_merge_compareILb0ELb0EfNS0_19identity_decomposerEEEEE10hipError_tT0_T1_T2_jT3_P12ihipStream_tbPNSt15iterator_traitsISE_E10value_typeEPNSK_ISF_E10value_typeEPSG_NS1_7vsmem_tEENKUlT_SE_SF_SG_E_clIS8_S8_S9_S9_EESD_ST_SE_SF_SG_EUlST_E1_NS1_11comp_targetILNS1_3genE2ELNS1_11target_archE906ELNS1_3gpuE6ELNS1_3repE0EEENS1_36merge_oddeven_config_static_selectorELNS0_4arch9wavefront6targetE1EEEvSF_ ; -- Begin function _ZN7rocprim17ROCPRIM_400000_NS6detail17trampoline_kernelINS0_14default_configENS1_38merge_sort_block_merge_config_selectorIfNS0_10empty_typeEEEZZNS1_27merge_sort_block_merge_implIS3_PfPS5_jNS1_19radix_merge_compareILb0ELb0EfNS0_19identity_decomposerEEEEE10hipError_tT0_T1_T2_jT3_P12ihipStream_tbPNSt15iterator_traitsISE_E10value_typeEPNSK_ISF_E10value_typeEPSG_NS1_7vsmem_tEENKUlT_SE_SF_SG_E_clIS8_S8_S9_S9_EESD_ST_SE_SF_SG_EUlST_E1_NS1_11comp_targetILNS1_3genE2ELNS1_11target_archE906ELNS1_3gpuE6ELNS1_3repE0EEENS1_36merge_oddeven_config_static_selectorELNS0_4arch9wavefront6targetE1EEEvSF_
	.globl	_ZN7rocprim17ROCPRIM_400000_NS6detail17trampoline_kernelINS0_14default_configENS1_38merge_sort_block_merge_config_selectorIfNS0_10empty_typeEEEZZNS1_27merge_sort_block_merge_implIS3_PfPS5_jNS1_19radix_merge_compareILb0ELb0EfNS0_19identity_decomposerEEEEE10hipError_tT0_T1_T2_jT3_P12ihipStream_tbPNSt15iterator_traitsISE_E10value_typeEPNSK_ISF_E10value_typeEPSG_NS1_7vsmem_tEENKUlT_SE_SF_SG_E_clIS8_S8_S9_S9_EESD_ST_SE_SF_SG_EUlST_E1_NS1_11comp_targetILNS1_3genE2ELNS1_11target_archE906ELNS1_3gpuE6ELNS1_3repE0EEENS1_36merge_oddeven_config_static_selectorELNS0_4arch9wavefront6targetE1EEEvSF_
	.p2align	8
	.type	_ZN7rocprim17ROCPRIM_400000_NS6detail17trampoline_kernelINS0_14default_configENS1_38merge_sort_block_merge_config_selectorIfNS0_10empty_typeEEEZZNS1_27merge_sort_block_merge_implIS3_PfPS5_jNS1_19radix_merge_compareILb0ELb0EfNS0_19identity_decomposerEEEEE10hipError_tT0_T1_T2_jT3_P12ihipStream_tbPNSt15iterator_traitsISE_E10value_typeEPNSK_ISF_E10value_typeEPSG_NS1_7vsmem_tEENKUlT_SE_SF_SG_E_clIS8_S8_S9_S9_EESD_ST_SE_SF_SG_EUlST_E1_NS1_11comp_targetILNS1_3genE2ELNS1_11target_archE906ELNS1_3gpuE6ELNS1_3repE0EEENS1_36merge_oddeven_config_static_selectorELNS0_4arch9wavefront6targetE1EEEvSF_,@function
_ZN7rocprim17ROCPRIM_400000_NS6detail17trampoline_kernelINS0_14default_configENS1_38merge_sort_block_merge_config_selectorIfNS0_10empty_typeEEEZZNS1_27merge_sort_block_merge_implIS3_PfPS5_jNS1_19radix_merge_compareILb0ELb0EfNS0_19identity_decomposerEEEEE10hipError_tT0_T1_T2_jT3_P12ihipStream_tbPNSt15iterator_traitsISE_E10value_typeEPNSK_ISF_E10value_typeEPSG_NS1_7vsmem_tEENKUlT_SE_SF_SG_E_clIS8_S8_S9_S9_EESD_ST_SE_SF_SG_EUlST_E1_NS1_11comp_targetILNS1_3genE2ELNS1_11target_archE906ELNS1_3gpuE6ELNS1_3repE0EEENS1_36merge_oddeven_config_static_selectorELNS0_4arch9wavefront6targetE1EEEvSF_: ; @_ZN7rocprim17ROCPRIM_400000_NS6detail17trampoline_kernelINS0_14default_configENS1_38merge_sort_block_merge_config_selectorIfNS0_10empty_typeEEEZZNS1_27merge_sort_block_merge_implIS3_PfPS5_jNS1_19radix_merge_compareILb0ELb0EfNS0_19identity_decomposerEEEEE10hipError_tT0_T1_T2_jT3_P12ihipStream_tbPNSt15iterator_traitsISE_E10value_typeEPNSK_ISF_E10value_typeEPSG_NS1_7vsmem_tEENKUlT_SE_SF_SG_E_clIS8_S8_S9_S9_EESD_ST_SE_SF_SG_EUlST_E1_NS1_11comp_targetILNS1_3genE2ELNS1_11target_archE906ELNS1_3gpuE6ELNS1_3repE0EEENS1_36merge_oddeven_config_static_selectorELNS0_4arch9wavefront6targetE1EEEvSF_
; %bb.0:
	.section	.rodata,"a",@progbits
	.p2align	6, 0x0
	.amdhsa_kernel _ZN7rocprim17ROCPRIM_400000_NS6detail17trampoline_kernelINS0_14default_configENS1_38merge_sort_block_merge_config_selectorIfNS0_10empty_typeEEEZZNS1_27merge_sort_block_merge_implIS3_PfPS5_jNS1_19radix_merge_compareILb0ELb0EfNS0_19identity_decomposerEEEEE10hipError_tT0_T1_T2_jT3_P12ihipStream_tbPNSt15iterator_traitsISE_E10value_typeEPNSK_ISF_E10value_typeEPSG_NS1_7vsmem_tEENKUlT_SE_SF_SG_E_clIS8_S8_S9_S9_EESD_ST_SE_SF_SG_EUlST_E1_NS1_11comp_targetILNS1_3genE2ELNS1_11target_archE906ELNS1_3gpuE6ELNS1_3repE0EEENS1_36merge_oddeven_config_static_selectorELNS0_4arch9wavefront6targetE1EEEvSF_
		.amdhsa_group_segment_fixed_size 0
		.amdhsa_private_segment_fixed_size 0
		.amdhsa_kernarg_size 48
		.amdhsa_user_sgpr_count 6
		.amdhsa_user_sgpr_private_segment_buffer 1
		.amdhsa_user_sgpr_dispatch_ptr 0
		.amdhsa_user_sgpr_queue_ptr 0
		.amdhsa_user_sgpr_kernarg_segment_ptr 1
		.amdhsa_user_sgpr_dispatch_id 0
		.amdhsa_user_sgpr_flat_scratch_init 0
		.amdhsa_user_sgpr_kernarg_preload_length 0
		.amdhsa_user_sgpr_kernarg_preload_offset 0
		.amdhsa_user_sgpr_private_segment_size 0
		.amdhsa_uses_dynamic_stack 0
		.amdhsa_system_sgpr_private_segment_wavefront_offset 0
		.amdhsa_system_sgpr_workgroup_id_x 1
		.amdhsa_system_sgpr_workgroup_id_y 0
		.amdhsa_system_sgpr_workgroup_id_z 0
		.amdhsa_system_sgpr_workgroup_info 0
		.amdhsa_system_vgpr_workitem_id 0
		.amdhsa_next_free_vgpr 1
		.amdhsa_next_free_sgpr 0
		.amdhsa_accum_offset 4
		.amdhsa_reserve_vcc 0
		.amdhsa_reserve_flat_scratch 0
		.amdhsa_float_round_mode_32 0
		.amdhsa_float_round_mode_16_64 0
		.amdhsa_float_denorm_mode_32 3
		.amdhsa_float_denorm_mode_16_64 3
		.amdhsa_dx10_clamp 1
		.amdhsa_ieee_mode 1
		.amdhsa_fp16_overflow 0
		.amdhsa_tg_split 0
		.amdhsa_exception_fp_ieee_invalid_op 0
		.amdhsa_exception_fp_denorm_src 0
		.amdhsa_exception_fp_ieee_div_zero 0
		.amdhsa_exception_fp_ieee_overflow 0
		.amdhsa_exception_fp_ieee_underflow 0
		.amdhsa_exception_fp_ieee_inexact 0
		.amdhsa_exception_int_div_zero 0
	.end_amdhsa_kernel
	.section	.text._ZN7rocprim17ROCPRIM_400000_NS6detail17trampoline_kernelINS0_14default_configENS1_38merge_sort_block_merge_config_selectorIfNS0_10empty_typeEEEZZNS1_27merge_sort_block_merge_implIS3_PfPS5_jNS1_19radix_merge_compareILb0ELb0EfNS0_19identity_decomposerEEEEE10hipError_tT0_T1_T2_jT3_P12ihipStream_tbPNSt15iterator_traitsISE_E10value_typeEPNSK_ISF_E10value_typeEPSG_NS1_7vsmem_tEENKUlT_SE_SF_SG_E_clIS8_S8_S9_S9_EESD_ST_SE_SF_SG_EUlST_E1_NS1_11comp_targetILNS1_3genE2ELNS1_11target_archE906ELNS1_3gpuE6ELNS1_3repE0EEENS1_36merge_oddeven_config_static_selectorELNS0_4arch9wavefront6targetE1EEEvSF_,"axG",@progbits,_ZN7rocprim17ROCPRIM_400000_NS6detail17trampoline_kernelINS0_14default_configENS1_38merge_sort_block_merge_config_selectorIfNS0_10empty_typeEEEZZNS1_27merge_sort_block_merge_implIS3_PfPS5_jNS1_19radix_merge_compareILb0ELb0EfNS0_19identity_decomposerEEEEE10hipError_tT0_T1_T2_jT3_P12ihipStream_tbPNSt15iterator_traitsISE_E10value_typeEPNSK_ISF_E10value_typeEPSG_NS1_7vsmem_tEENKUlT_SE_SF_SG_E_clIS8_S8_S9_S9_EESD_ST_SE_SF_SG_EUlST_E1_NS1_11comp_targetILNS1_3genE2ELNS1_11target_archE906ELNS1_3gpuE6ELNS1_3repE0EEENS1_36merge_oddeven_config_static_selectorELNS0_4arch9wavefront6targetE1EEEvSF_,comdat
.Lfunc_end1257:
	.size	_ZN7rocprim17ROCPRIM_400000_NS6detail17trampoline_kernelINS0_14default_configENS1_38merge_sort_block_merge_config_selectorIfNS0_10empty_typeEEEZZNS1_27merge_sort_block_merge_implIS3_PfPS5_jNS1_19radix_merge_compareILb0ELb0EfNS0_19identity_decomposerEEEEE10hipError_tT0_T1_T2_jT3_P12ihipStream_tbPNSt15iterator_traitsISE_E10value_typeEPNSK_ISF_E10value_typeEPSG_NS1_7vsmem_tEENKUlT_SE_SF_SG_E_clIS8_S8_S9_S9_EESD_ST_SE_SF_SG_EUlST_E1_NS1_11comp_targetILNS1_3genE2ELNS1_11target_archE906ELNS1_3gpuE6ELNS1_3repE0EEENS1_36merge_oddeven_config_static_selectorELNS0_4arch9wavefront6targetE1EEEvSF_, .Lfunc_end1257-_ZN7rocprim17ROCPRIM_400000_NS6detail17trampoline_kernelINS0_14default_configENS1_38merge_sort_block_merge_config_selectorIfNS0_10empty_typeEEEZZNS1_27merge_sort_block_merge_implIS3_PfPS5_jNS1_19radix_merge_compareILb0ELb0EfNS0_19identity_decomposerEEEEE10hipError_tT0_T1_T2_jT3_P12ihipStream_tbPNSt15iterator_traitsISE_E10value_typeEPNSK_ISF_E10value_typeEPSG_NS1_7vsmem_tEENKUlT_SE_SF_SG_E_clIS8_S8_S9_S9_EESD_ST_SE_SF_SG_EUlST_E1_NS1_11comp_targetILNS1_3genE2ELNS1_11target_archE906ELNS1_3gpuE6ELNS1_3repE0EEENS1_36merge_oddeven_config_static_selectorELNS0_4arch9wavefront6targetE1EEEvSF_
                                        ; -- End function
	.section	.AMDGPU.csdata,"",@progbits
; Kernel info:
; codeLenInByte = 0
; NumSgprs: 4
; NumVgprs: 0
; NumAgprs: 0
; TotalNumVgprs: 0
; ScratchSize: 0
; MemoryBound: 0
; FloatMode: 240
; IeeeMode: 1
; LDSByteSize: 0 bytes/workgroup (compile time only)
; SGPRBlocks: 0
; VGPRBlocks: 0
; NumSGPRsForWavesPerEU: 4
; NumVGPRsForWavesPerEU: 1
; AccumOffset: 4
; Occupancy: 8
; WaveLimiterHint : 0
; COMPUTE_PGM_RSRC2:SCRATCH_EN: 0
; COMPUTE_PGM_RSRC2:USER_SGPR: 6
; COMPUTE_PGM_RSRC2:TRAP_HANDLER: 0
; COMPUTE_PGM_RSRC2:TGID_X_EN: 1
; COMPUTE_PGM_RSRC2:TGID_Y_EN: 0
; COMPUTE_PGM_RSRC2:TGID_Z_EN: 0
; COMPUTE_PGM_RSRC2:TIDIG_COMP_CNT: 0
; COMPUTE_PGM_RSRC3_GFX90A:ACCUM_OFFSET: 0
; COMPUTE_PGM_RSRC3_GFX90A:TG_SPLIT: 0
	.section	.text._ZN7rocprim17ROCPRIM_400000_NS6detail17trampoline_kernelINS0_14default_configENS1_38merge_sort_block_merge_config_selectorIfNS0_10empty_typeEEEZZNS1_27merge_sort_block_merge_implIS3_PfPS5_jNS1_19radix_merge_compareILb0ELb0EfNS0_19identity_decomposerEEEEE10hipError_tT0_T1_T2_jT3_P12ihipStream_tbPNSt15iterator_traitsISE_E10value_typeEPNSK_ISF_E10value_typeEPSG_NS1_7vsmem_tEENKUlT_SE_SF_SG_E_clIS8_S8_S9_S9_EESD_ST_SE_SF_SG_EUlST_E1_NS1_11comp_targetILNS1_3genE9ELNS1_11target_archE1100ELNS1_3gpuE3ELNS1_3repE0EEENS1_36merge_oddeven_config_static_selectorELNS0_4arch9wavefront6targetE1EEEvSF_,"axG",@progbits,_ZN7rocprim17ROCPRIM_400000_NS6detail17trampoline_kernelINS0_14default_configENS1_38merge_sort_block_merge_config_selectorIfNS0_10empty_typeEEEZZNS1_27merge_sort_block_merge_implIS3_PfPS5_jNS1_19radix_merge_compareILb0ELb0EfNS0_19identity_decomposerEEEEE10hipError_tT0_T1_T2_jT3_P12ihipStream_tbPNSt15iterator_traitsISE_E10value_typeEPNSK_ISF_E10value_typeEPSG_NS1_7vsmem_tEENKUlT_SE_SF_SG_E_clIS8_S8_S9_S9_EESD_ST_SE_SF_SG_EUlST_E1_NS1_11comp_targetILNS1_3genE9ELNS1_11target_archE1100ELNS1_3gpuE3ELNS1_3repE0EEENS1_36merge_oddeven_config_static_selectorELNS0_4arch9wavefront6targetE1EEEvSF_,comdat
	.protected	_ZN7rocprim17ROCPRIM_400000_NS6detail17trampoline_kernelINS0_14default_configENS1_38merge_sort_block_merge_config_selectorIfNS0_10empty_typeEEEZZNS1_27merge_sort_block_merge_implIS3_PfPS5_jNS1_19radix_merge_compareILb0ELb0EfNS0_19identity_decomposerEEEEE10hipError_tT0_T1_T2_jT3_P12ihipStream_tbPNSt15iterator_traitsISE_E10value_typeEPNSK_ISF_E10value_typeEPSG_NS1_7vsmem_tEENKUlT_SE_SF_SG_E_clIS8_S8_S9_S9_EESD_ST_SE_SF_SG_EUlST_E1_NS1_11comp_targetILNS1_3genE9ELNS1_11target_archE1100ELNS1_3gpuE3ELNS1_3repE0EEENS1_36merge_oddeven_config_static_selectorELNS0_4arch9wavefront6targetE1EEEvSF_ ; -- Begin function _ZN7rocprim17ROCPRIM_400000_NS6detail17trampoline_kernelINS0_14default_configENS1_38merge_sort_block_merge_config_selectorIfNS0_10empty_typeEEEZZNS1_27merge_sort_block_merge_implIS3_PfPS5_jNS1_19radix_merge_compareILb0ELb0EfNS0_19identity_decomposerEEEEE10hipError_tT0_T1_T2_jT3_P12ihipStream_tbPNSt15iterator_traitsISE_E10value_typeEPNSK_ISF_E10value_typeEPSG_NS1_7vsmem_tEENKUlT_SE_SF_SG_E_clIS8_S8_S9_S9_EESD_ST_SE_SF_SG_EUlST_E1_NS1_11comp_targetILNS1_3genE9ELNS1_11target_archE1100ELNS1_3gpuE3ELNS1_3repE0EEENS1_36merge_oddeven_config_static_selectorELNS0_4arch9wavefront6targetE1EEEvSF_
	.globl	_ZN7rocprim17ROCPRIM_400000_NS6detail17trampoline_kernelINS0_14default_configENS1_38merge_sort_block_merge_config_selectorIfNS0_10empty_typeEEEZZNS1_27merge_sort_block_merge_implIS3_PfPS5_jNS1_19radix_merge_compareILb0ELb0EfNS0_19identity_decomposerEEEEE10hipError_tT0_T1_T2_jT3_P12ihipStream_tbPNSt15iterator_traitsISE_E10value_typeEPNSK_ISF_E10value_typeEPSG_NS1_7vsmem_tEENKUlT_SE_SF_SG_E_clIS8_S8_S9_S9_EESD_ST_SE_SF_SG_EUlST_E1_NS1_11comp_targetILNS1_3genE9ELNS1_11target_archE1100ELNS1_3gpuE3ELNS1_3repE0EEENS1_36merge_oddeven_config_static_selectorELNS0_4arch9wavefront6targetE1EEEvSF_
	.p2align	8
	.type	_ZN7rocprim17ROCPRIM_400000_NS6detail17trampoline_kernelINS0_14default_configENS1_38merge_sort_block_merge_config_selectorIfNS0_10empty_typeEEEZZNS1_27merge_sort_block_merge_implIS3_PfPS5_jNS1_19radix_merge_compareILb0ELb0EfNS0_19identity_decomposerEEEEE10hipError_tT0_T1_T2_jT3_P12ihipStream_tbPNSt15iterator_traitsISE_E10value_typeEPNSK_ISF_E10value_typeEPSG_NS1_7vsmem_tEENKUlT_SE_SF_SG_E_clIS8_S8_S9_S9_EESD_ST_SE_SF_SG_EUlST_E1_NS1_11comp_targetILNS1_3genE9ELNS1_11target_archE1100ELNS1_3gpuE3ELNS1_3repE0EEENS1_36merge_oddeven_config_static_selectorELNS0_4arch9wavefront6targetE1EEEvSF_,@function
_ZN7rocprim17ROCPRIM_400000_NS6detail17trampoline_kernelINS0_14default_configENS1_38merge_sort_block_merge_config_selectorIfNS0_10empty_typeEEEZZNS1_27merge_sort_block_merge_implIS3_PfPS5_jNS1_19radix_merge_compareILb0ELb0EfNS0_19identity_decomposerEEEEE10hipError_tT0_T1_T2_jT3_P12ihipStream_tbPNSt15iterator_traitsISE_E10value_typeEPNSK_ISF_E10value_typeEPSG_NS1_7vsmem_tEENKUlT_SE_SF_SG_E_clIS8_S8_S9_S9_EESD_ST_SE_SF_SG_EUlST_E1_NS1_11comp_targetILNS1_3genE9ELNS1_11target_archE1100ELNS1_3gpuE3ELNS1_3repE0EEENS1_36merge_oddeven_config_static_selectorELNS0_4arch9wavefront6targetE1EEEvSF_: ; @_ZN7rocprim17ROCPRIM_400000_NS6detail17trampoline_kernelINS0_14default_configENS1_38merge_sort_block_merge_config_selectorIfNS0_10empty_typeEEEZZNS1_27merge_sort_block_merge_implIS3_PfPS5_jNS1_19radix_merge_compareILb0ELb0EfNS0_19identity_decomposerEEEEE10hipError_tT0_T1_T2_jT3_P12ihipStream_tbPNSt15iterator_traitsISE_E10value_typeEPNSK_ISF_E10value_typeEPSG_NS1_7vsmem_tEENKUlT_SE_SF_SG_E_clIS8_S8_S9_S9_EESD_ST_SE_SF_SG_EUlST_E1_NS1_11comp_targetILNS1_3genE9ELNS1_11target_archE1100ELNS1_3gpuE3ELNS1_3repE0EEENS1_36merge_oddeven_config_static_selectorELNS0_4arch9wavefront6targetE1EEEvSF_
; %bb.0:
	.section	.rodata,"a",@progbits
	.p2align	6, 0x0
	.amdhsa_kernel _ZN7rocprim17ROCPRIM_400000_NS6detail17trampoline_kernelINS0_14default_configENS1_38merge_sort_block_merge_config_selectorIfNS0_10empty_typeEEEZZNS1_27merge_sort_block_merge_implIS3_PfPS5_jNS1_19radix_merge_compareILb0ELb0EfNS0_19identity_decomposerEEEEE10hipError_tT0_T1_T2_jT3_P12ihipStream_tbPNSt15iterator_traitsISE_E10value_typeEPNSK_ISF_E10value_typeEPSG_NS1_7vsmem_tEENKUlT_SE_SF_SG_E_clIS8_S8_S9_S9_EESD_ST_SE_SF_SG_EUlST_E1_NS1_11comp_targetILNS1_3genE9ELNS1_11target_archE1100ELNS1_3gpuE3ELNS1_3repE0EEENS1_36merge_oddeven_config_static_selectorELNS0_4arch9wavefront6targetE1EEEvSF_
		.amdhsa_group_segment_fixed_size 0
		.amdhsa_private_segment_fixed_size 0
		.amdhsa_kernarg_size 48
		.amdhsa_user_sgpr_count 6
		.amdhsa_user_sgpr_private_segment_buffer 1
		.amdhsa_user_sgpr_dispatch_ptr 0
		.amdhsa_user_sgpr_queue_ptr 0
		.amdhsa_user_sgpr_kernarg_segment_ptr 1
		.amdhsa_user_sgpr_dispatch_id 0
		.amdhsa_user_sgpr_flat_scratch_init 0
		.amdhsa_user_sgpr_kernarg_preload_length 0
		.amdhsa_user_sgpr_kernarg_preload_offset 0
		.amdhsa_user_sgpr_private_segment_size 0
		.amdhsa_uses_dynamic_stack 0
		.amdhsa_system_sgpr_private_segment_wavefront_offset 0
		.amdhsa_system_sgpr_workgroup_id_x 1
		.amdhsa_system_sgpr_workgroup_id_y 0
		.amdhsa_system_sgpr_workgroup_id_z 0
		.amdhsa_system_sgpr_workgroup_info 0
		.amdhsa_system_vgpr_workitem_id 0
		.amdhsa_next_free_vgpr 1
		.amdhsa_next_free_sgpr 0
		.amdhsa_accum_offset 4
		.amdhsa_reserve_vcc 0
		.amdhsa_reserve_flat_scratch 0
		.amdhsa_float_round_mode_32 0
		.amdhsa_float_round_mode_16_64 0
		.amdhsa_float_denorm_mode_32 3
		.amdhsa_float_denorm_mode_16_64 3
		.amdhsa_dx10_clamp 1
		.amdhsa_ieee_mode 1
		.amdhsa_fp16_overflow 0
		.amdhsa_tg_split 0
		.amdhsa_exception_fp_ieee_invalid_op 0
		.amdhsa_exception_fp_denorm_src 0
		.amdhsa_exception_fp_ieee_div_zero 0
		.amdhsa_exception_fp_ieee_overflow 0
		.amdhsa_exception_fp_ieee_underflow 0
		.amdhsa_exception_fp_ieee_inexact 0
		.amdhsa_exception_int_div_zero 0
	.end_amdhsa_kernel
	.section	.text._ZN7rocprim17ROCPRIM_400000_NS6detail17trampoline_kernelINS0_14default_configENS1_38merge_sort_block_merge_config_selectorIfNS0_10empty_typeEEEZZNS1_27merge_sort_block_merge_implIS3_PfPS5_jNS1_19radix_merge_compareILb0ELb0EfNS0_19identity_decomposerEEEEE10hipError_tT0_T1_T2_jT3_P12ihipStream_tbPNSt15iterator_traitsISE_E10value_typeEPNSK_ISF_E10value_typeEPSG_NS1_7vsmem_tEENKUlT_SE_SF_SG_E_clIS8_S8_S9_S9_EESD_ST_SE_SF_SG_EUlST_E1_NS1_11comp_targetILNS1_3genE9ELNS1_11target_archE1100ELNS1_3gpuE3ELNS1_3repE0EEENS1_36merge_oddeven_config_static_selectorELNS0_4arch9wavefront6targetE1EEEvSF_,"axG",@progbits,_ZN7rocprim17ROCPRIM_400000_NS6detail17trampoline_kernelINS0_14default_configENS1_38merge_sort_block_merge_config_selectorIfNS0_10empty_typeEEEZZNS1_27merge_sort_block_merge_implIS3_PfPS5_jNS1_19radix_merge_compareILb0ELb0EfNS0_19identity_decomposerEEEEE10hipError_tT0_T1_T2_jT3_P12ihipStream_tbPNSt15iterator_traitsISE_E10value_typeEPNSK_ISF_E10value_typeEPSG_NS1_7vsmem_tEENKUlT_SE_SF_SG_E_clIS8_S8_S9_S9_EESD_ST_SE_SF_SG_EUlST_E1_NS1_11comp_targetILNS1_3genE9ELNS1_11target_archE1100ELNS1_3gpuE3ELNS1_3repE0EEENS1_36merge_oddeven_config_static_selectorELNS0_4arch9wavefront6targetE1EEEvSF_,comdat
.Lfunc_end1258:
	.size	_ZN7rocprim17ROCPRIM_400000_NS6detail17trampoline_kernelINS0_14default_configENS1_38merge_sort_block_merge_config_selectorIfNS0_10empty_typeEEEZZNS1_27merge_sort_block_merge_implIS3_PfPS5_jNS1_19radix_merge_compareILb0ELb0EfNS0_19identity_decomposerEEEEE10hipError_tT0_T1_T2_jT3_P12ihipStream_tbPNSt15iterator_traitsISE_E10value_typeEPNSK_ISF_E10value_typeEPSG_NS1_7vsmem_tEENKUlT_SE_SF_SG_E_clIS8_S8_S9_S9_EESD_ST_SE_SF_SG_EUlST_E1_NS1_11comp_targetILNS1_3genE9ELNS1_11target_archE1100ELNS1_3gpuE3ELNS1_3repE0EEENS1_36merge_oddeven_config_static_selectorELNS0_4arch9wavefront6targetE1EEEvSF_, .Lfunc_end1258-_ZN7rocprim17ROCPRIM_400000_NS6detail17trampoline_kernelINS0_14default_configENS1_38merge_sort_block_merge_config_selectorIfNS0_10empty_typeEEEZZNS1_27merge_sort_block_merge_implIS3_PfPS5_jNS1_19radix_merge_compareILb0ELb0EfNS0_19identity_decomposerEEEEE10hipError_tT0_T1_T2_jT3_P12ihipStream_tbPNSt15iterator_traitsISE_E10value_typeEPNSK_ISF_E10value_typeEPSG_NS1_7vsmem_tEENKUlT_SE_SF_SG_E_clIS8_S8_S9_S9_EESD_ST_SE_SF_SG_EUlST_E1_NS1_11comp_targetILNS1_3genE9ELNS1_11target_archE1100ELNS1_3gpuE3ELNS1_3repE0EEENS1_36merge_oddeven_config_static_selectorELNS0_4arch9wavefront6targetE1EEEvSF_
                                        ; -- End function
	.section	.AMDGPU.csdata,"",@progbits
; Kernel info:
; codeLenInByte = 0
; NumSgprs: 4
; NumVgprs: 0
; NumAgprs: 0
; TotalNumVgprs: 0
; ScratchSize: 0
; MemoryBound: 0
; FloatMode: 240
; IeeeMode: 1
; LDSByteSize: 0 bytes/workgroup (compile time only)
; SGPRBlocks: 0
; VGPRBlocks: 0
; NumSGPRsForWavesPerEU: 4
; NumVGPRsForWavesPerEU: 1
; AccumOffset: 4
; Occupancy: 8
; WaveLimiterHint : 0
; COMPUTE_PGM_RSRC2:SCRATCH_EN: 0
; COMPUTE_PGM_RSRC2:USER_SGPR: 6
; COMPUTE_PGM_RSRC2:TRAP_HANDLER: 0
; COMPUTE_PGM_RSRC2:TGID_X_EN: 1
; COMPUTE_PGM_RSRC2:TGID_Y_EN: 0
; COMPUTE_PGM_RSRC2:TGID_Z_EN: 0
; COMPUTE_PGM_RSRC2:TIDIG_COMP_CNT: 0
; COMPUTE_PGM_RSRC3_GFX90A:ACCUM_OFFSET: 0
; COMPUTE_PGM_RSRC3_GFX90A:TG_SPLIT: 0
	.section	.text._ZN7rocprim17ROCPRIM_400000_NS6detail17trampoline_kernelINS0_14default_configENS1_38merge_sort_block_merge_config_selectorIfNS0_10empty_typeEEEZZNS1_27merge_sort_block_merge_implIS3_PfPS5_jNS1_19radix_merge_compareILb0ELb0EfNS0_19identity_decomposerEEEEE10hipError_tT0_T1_T2_jT3_P12ihipStream_tbPNSt15iterator_traitsISE_E10value_typeEPNSK_ISF_E10value_typeEPSG_NS1_7vsmem_tEENKUlT_SE_SF_SG_E_clIS8_S8_S9_S9_EESD_ST_SE_SF_SG_EUlST_E1_NS1_11comp_targetILNS1_3genE8ELNS1_11target_archE1030ELNS1_3gpuE2ELNS1_3repE0EEENS1_36merge_oddeven_config_static_selectorELNS0_4arch9wavefront6targetE1EEEvSF_,"axG",@progbits,_ZN7rocprim17ROCPRIM_400000_NS6detail17trampoline_kernelINS0_14default_configENS1_38merge_sort_block_merge_config_selectorIfNS0_10empty_typeEEEZZNS1_27merge_sort_block_merge_implIS3_PfPS5_jNS1_19radix_merge_compareILb0ELb0EfNS0_19identity_decomposerEEEEE10hipError_tT0_T1_T2_jT3_P12ihipStream_tbPNSt15iterator_traitsISE_E10value_typeEPNSK_ISF_E10value_typeEPSG_NS1_7vsmem_tEENKUlT_SE_SF_SG_E_clIS8_S8_S9_S9_EESD_ST_SE_SF_SG_EUlST_E1_NS1_11comp_targetILNS1_3genE8ELNS1_11target_archE1030ELNS1_3gpuE2ELNS1_3repE0EEENS1_36merge_oddeven_config_static_selectorELNS0_4arch9wavefront6targetE1EEEvSF_,comdat
	.protected	_ZN7rocprim17ROCPRIM_400000_NS6detail17trampoline_kernelINS0_14default_configENS1_38merge_sort_block_merge_config_selectorIfNS0_10empty_typeEEEZZNS1_27merge_sort_block_merge_implIS3_PfPS5_jNS1_19radix_merge_compareILb0ELb0EfNS0_19identity_decomposerEEEEE10hipError_tT0_T1_T2_jT3_P12ihipStream_tbPNSt15iterator_traitsISE_E10value_typeEPNSK_ISF_E10value_typeEPSG_NS1_7vsmem_tEENKUlT_SE_SF_SG_E_clIS8_S8_S9_S9_EESD_ST_SE_SF_SG_EUlST_E1_NS1_11comp_targetILNS1_3genE8ELNS1_11target_archE1030ELNS1_3gpuE2ELNS1_3repE0EEENS1_36merge_oddeven_config_static_selectorELNS0_4arch9wavefront6targetE1EEEvSF_ ; -- Begin function _ZN7rocprim17ROCPRIM_400000_NS6detail17trampoline_kernelINS0_14default_configENS1_38merge_sort_block_merge_config_selectorIfNS0_10empty_typeEEEZZNS1_27merge_sort_block_merge_implIS3_PfPS5_jNS1_19radix_merge_compareILb0ELb0EfNS0_19identity_decomposerEEEEE10hipError_tT0_T1_T2_jT3_P12ihipStream_tbPNSt15iterator_traitsISE_E10value_typeEPNSK_ISF_E10value_typeEPSG_NS1_7vsmem_tEENKUlT_SE_SF_SG_E_clIS8_S8_S9_S9_EESD_ST_SE_SF_SG_EUlST_E1_NS1_11comp_targetILNS1_3genE8ELNS1_11target_archE1030ELNS1_3gpuE2ELNS1_3repE0EEENS1_36merge_oddeven_config_static_selectorELNS0_4arch9wavefront6targetE1EEEvSF_
	.globl	_ZN7rocprim17ROCPRIM_400000_NS6detail17trampoline_kernelINS0_14default_configENS1_38merge_sort_block_merge_config_selectorIfNS0_10empty_typeEEEZZNS1_27merge_sort_block_merge_implIS3_PfPS5_jNS1_19radix_merge_compareILb0ELb0EfNS0_19identity_decomposerEEEEE10hipError_tT0_T1_T2_jT3_P12ihipStream_tbPNSt15iterator_traitsISE_E10value_typeEPNSK_ISF_E10value_typeEPSG_NS1_7vsmem_tEENKUlT_SE_SF_SG_E_clIS8_S8_S9_S9_EESD_ST_SE_SF_SG_EUlST_E1_NS1_11comp_targetILNS1_3genE8ELNS1_11target_archE1030ELNS1_3gpuE2ELNS1_3repE0EEENS1_36merge_oddeven_config_static_selectorELNS0_4arch9wavefront6targetE1EEEvSF_
	.p2align	8
	.type	_ZN7rocprim17ROCPRIM_400000_NS6detail17trampoline_kernelINS0_14default_configENS1_38merge_sort_block_merge_config_selectorIfNS0_10empty_typeEEEZZNS1_27merge_sort_block_merge_implIS3_PfPS5_jNS1_19radix_merge_compareILb0ELb0EfNS0_19identity_decomposerEEEEE10hipError_tT0_T1_T2_jT3_P12ihipStream_tbPNSt15iterator_traitsISE_E10value_typeEPNSK_ISF_E10value_typeEPSG_NS1_7vsmem_tEENKUlT_SE_SF_SG_E_clIS8_S8_S9_S9_EESD_ST_SE_SF_SG_EUlST_E1_NS1_11comp_targetILNS1_3genE8ELNS1_11target_archE1030ELNS1_3gpuE2ELNS1_3repE0EEENS1_36merge_oddeven_config_static_selectorELNS0_4arch9wavefront6targetE1EEEvSF_,@function
_ZN7rocprim17ROCPRIM_400000_NS6detail17trampoline_kernelINS0_14default_configENS1_38merge_sort_block_merge_config_selectorIfNS0_10empty_typeEEEZZNS1_27merge_sort_block_merge_implIS3_PfPS5_jNS1_19radix_merge_compareILb0ELb0EfNS0_19identity_decomposerEEEEE10hipError_tT0_T1_T2_jT3_P12ihipStream_tbPNSt15iterator_traitsISE_E10value_typeEPNSK_ISF_E10value_typeEPSG_NS1_7vsmem_tEENKUlT_SE_SF_SG_E_clIS8_S8_S9_S9_EESD_ST_SE_SF_SG_EUlST_E1_NS1_11comp_targetILNS1_3genE8ELNS1_11target_archE1030ELNS1_3gpuE2ELNS1_3repE0EEENS1_36merge_oddeven_config_static_selectorELNS0_4arch9wavefront6targetE1EEEvSF_: ; @_ZN7rocprim17ROCPRIM_400000_NS6detail17trampoline_kernelINS0_14default_configENS1_38merge_sort_block_merge_config_selectorIfNS0_10empty_typeEEEZZNS1_27merge_sort_block_merge_implIS3_PfPS5_jNS1_19radix_merge_compareILb0ELb0EfNS0_19identity_decomposerEEEEE10hipError_tT0_T1_T2_jT3_P12ihipStream_tbPNSt15iterator_traitsISE_E10value_typeEPNSK_ISF_E10value_typeEPSG_NS1_7vsmem_tEENKUlT_SE_SF_SG_E_clIS8_S8_S9_S9_EESD_ST_SE_SF_SG_EUlST_E1_NS1_11comp_targetILNS1_3genE8ELNS1_11target_archE1030ELNS1_3gpuE2ELNS1_3repE0EEENS1_36merge_oddeven_config_static_selectorELNS0_4arch9wavefront6targetE1EEEvSF_
; %bb.0:
	.section	.rodata,"a",@progbits
	.p2align	6, 0x0
	.amdhsa_kernel _ZN7rocprim17ROCPRIM_400000_NS6detail17trampoline_kernelINS0_14default_configENS1_38merge_sort_block_merge_config_selectorIfNS0_10empty_typeEEEZZNS1_27merge_sort_block_merge_implIS3_PfPS5_jNS1_19radix_merge_compareILb0ELb0EfNS0_19identity_decomposerEEEEE10hipError_tT0_T1_T2_jT3_P12ihipStream_tbPNSt15iterator_traitsISE_E10value_typeEPNSK_ISF_E10value_typeEPSG_NS1_7vsmem_tEENKUlT_SE_SF_SG_E_clIS8_S8_S9_S9_EESD_ST_SE_SF_SG_EUlST_E1_NS1_11comp_targetILNS1_3genE8ELNS1_11target_archE1030ELNS1_3gpuE2ELNS1_3repE0EEENS1_36merge_oddeven_config_static_selectorELNS0_4arch9wavefront6targetE1EEEvSF_
		.amdhsa_group_segment_fixed_size 0
		.amdhsa_private_segment_fixed_size 0
		.amdhsa_kernarg_size 48
		.amdhsa_user_sgpr_count 6
		.amdhsa_user_sgpr_private_segment_buffer 1
		.amdhsa_user_sgpr_dispatch_ptr 0
		.amdhsa_user_sgpr_queue_ptr 0
		.amdhsa_user_sgpr_kernarg_segment_ptr 1
		.amdhsa_user_sgpr_dispatch_id 0
		.amdhsa_user_sgpr_flat_scratch_init 0
		.amdhsa_user_sgpr_kernarg_preload_length 0
		.amdhsa_user_sgpr_kernarg_preload_offset 0
		.amdhsa_user_sgpr_private_segment_size 0
		.amdhsa_uses_dynamic_stack 0
		.amdhsa_system_sgpr_private_segment_wavefront_offset 0
		.amdhsa_system_sgpr_workgroup_id_x 1
		.amdhsa_system_sgpr_workgroup_id_y 0
		.amdhsa_system_sgpr_workgroup_id_z 0
		.amdhsa_system_sgpr_workgroup_info 0
		.amdhsa_system_vgpr_workitem_id 0
		.amdhsa_next_free_vgpr 1
		.amdhsa_next_free_sgpr 0
		.amdhsa_accum_offset 4
		.amdhsa_reserve_vcc 0
		.amdhsa_reserve_flat_scratch 0
		.amdhsa_float_round_mode_32 0
		.amdhsa_float_round_mode_16_64 0
		.amdhsa_float_denorm_mode_32 3
		.amdhsa_float_denorm_mode_16_64 3
		.amdhsa_dx10_clamp 1
		.amdhsa_ieee_mode 1
		.amdhsa_fp16_overflow 0
		.amdhsa_tg_split 0
		.amdhsa_exception_fp_ieee_invalid_op 0
		.amdhsa_exception_fp_denorm_src 0
		.amdhsa_exception_fp_ieee_div_zero 0
		.amdhsa_exception_fp_ieee_overflow 0
		.amdhsa_exception_fp_ieee_underflow 0
		.amdhsa_exception_fp_ieee_inexact 0
		.amdhsa_exception_int_div_zero 0
	.end_amdhsa_kernel
	.section	.text._ZN7rocprim17ROCPRIM_400000_NS6detail17trampoline_kernelINS0_14default_configENS1_38merge_sort_block_merge_config_selectorIfNS0_10empty_typeEEEZZNS1_27merge_sort_block_merge_implIS3_PfPS5_jNS1_19radix_merge_compareILb0ELb0EfNS0_19identity_decomposerEEEEE10hipError_tT0_T1_T2_jT3_P12ihipStream_tbPNSt15iterator_traitsISE_E10value_typeEPNSK_ISF_E10value_typeEPSG_NS1_7vsmem_tEENKUlT_SE_SF_SG_E_clIS8_S8_S9_S9_EESD_ST_SE_SF_SG_EUlST_E1_NS1_11comp_targetILNS1_3genE8ELNS1_11target_archE1030ELNS1_3gpuE2ELNS1_3repE0EEENS1_36merge_oddeven_config_static_selectorELNS0_4arch9wavefront6targetE1EEEvSF_,"axG",@progbits,_ZN7rocprim17ROCPRIM_400000_NS6detail17trampoline_kernelINS0_14default_configENS1_38merge_sort_block_merge_config_selectorIfNS0_10empty_typeEEEZZNS1_27merge_sort_block_merge_implIS3_PfPS5_jNS1_19radix_merge_compareILb0ELb0EfNS0_19identity_decomposerEEEEE10hipError_tT0_T1_T2_jT3_P12ihipStream_tbPNSt15iterator_traitsISE_E10value_typeEPNSK_ISF_E10value_typeEPSG_NS1_7vsmem_tEENKUlT_SE_SF_SG_E_clIS8_S8_S9_S9_EESD_ST_SE_SF_SG_EUlST_E1_NS1_11comp_targetILNS1_3genE8ELNS1_11target_archE1030ELNS1_3gpuE2ELNS1_3repE0EEENS1_36merge_oddeven_config_static_selectorELNS0_4arch9wavefront6targetE1EEEvSF_,comdat
.Lfunc_end1259:
	.size	_ZN7rocprim17ROCPRIM_400000_NS6detail17trampoline_kernelINS0_14default_configENS1_38merge_sort_block_merge_config_selectorIfNS0_10empty_typeEEEZZNS1_27merge_sort_block_merge_implIS3_PfPS5_jNS1_19radix_merge_compareILb0ELb0EfNS0_19identity_decomposerEEEEE10hipError_tT0_T1_T2_jT3_P12ihipStream_tbPNSt15iterator_traitsISE_E10value_typeEPNSK_ISF_E10value_typeEPSG_NS1_7vsmem_tEENKUlT_SE_SF_SG_E_clIS8_S8_S9_S9_EESD_ST_SE_SF_SG_EUlST_E1_NS1_11comp_targetILNS1_3genE8ELNS1_11target_archE1030ELNS1_3gpuE2ELNS1_3repE0EEENS1_36merge_oddeven_config_static_selectorELNS0_4arch9wavefront6targetE1EEEvSF_, .Lfunc_end1259-_ZN7rocprim17ROCPRIM_400000_NS6detail17trampoline_kernelINS0_14default_configENS1_38merge_sort_block_merge_config_selectorIfNS0_10empty_typeEEEZZNS1_27merge_sort_block_merge_implIS3_PfPS5_jNS1_19radix_merge_compareILb0ELb0EfNS0_19identity_decomposerEEEEE10hipError_tT0_T1_T2_jT3_P12ihipStream_tbPNSt15iterator_traitsISE_E10value_typeEPNSK_ISF_E10value_typeEPSG_NS1_7vsmem_tEENKUlT_SE_SF_SG_E_clIS8_S8_S9_S9_EESD_ST_SE_SF_SG_EUlST_E1_NS1_11comp_targetILNS1_3genE8ELNS1_11target_archE1030ELNS1_3gpuE2ELNS1_3repE0EEENS1_36merge_oddeven_config_static_selectorELNS0_4arch9wavefront6targetE1EEEvSF_
                                        ; -- End function
	.section	.AMDGPU.csdata,"",@progbits
; Kernel info:
; codeLenInByte = 0
; NumSgprs: 4
; NumVgprs: 0
; NumAgprs: 0
; TotalNumVgprs: 0
; ScratchSize: 0
; MemoryBound: 0
; FloatMode: 240
; IeeeMode: 1
; LDSByteSize: 0 bytes/workgroup (compile time only)
; SGPRBlocks: 0
; VGPRBlocks: 0
; NumSGPRsForWavesPerEU: 4
; NumVGPRsForWavesPerEU: 1
; AccumOffset: 4
; Occupancy: 8
; WaveLimiterHint : 0
; COMPUTE_PGM_RSRC2:SCRATCH_EN: 0
; COMPUTE_PGM_RSRC2:USER_SGPR: 6
; COMPUTE_PGM_RSRC2:TRAP_HANDLER: 0
; COMPUTE_PGM_RSRC2:TGID_X_EN: 1
; COMPUTE_PGM_RSRC2:TGID_Y_EN: 0
; COMPUTE_PGM_RSRC2:TGID_Z_EN: 0
; COMPUTE_PGM_RSRC2:TIDIG_COMP_CNT: 0
; COMPUTE_PGM_RSRC3_GFX90A:ACCUM_OFFSET: 0
; COMPUTE_PGM_RSRC3_GFX90A:TG_SPLIT: 0
	.section	.text._ZN7rocprim17ROCPRIM_400000_NS6detail17trampoline_kernelINS0_14default_configENS1_25transform_config_selectorIfLb1EEEZNS1_14transform_implILb1ES3_S5_PfS7_NS0_8identityIfEEEE10hipError_tT2_T3_mT4_P12ihipStream_tbEUlT_E_NS1_11comp_targetILNS1_3genE0ELNS1_11target_archE4294967295ELNS1_3gpuE0ELNS1_3repE0EEENS1_30default_config_static_selectorELNS0_4arch9wavefront6targetE1EEEvT1_,"axG",@progbits,_ZN7rocprim17ROCPRIM_400000_NS6detail17trampoline_kernelINS0_14default_configENS1_25transform_config_selectorIfLb1EEEZNS1_14transform_implILb1ES3_S5_PfS7_NS0_8identityIfEEEE10hipError_tT2_T3_mT4_P12ihipStream_tbEUlT_E_NS1_11comp_targetILNS1_3genE0ELNS1_11target_archE4294967295ELNS1_3gpuE0ELNS1_3repE0EEENS1_30default_config_static_selectorELNS0_4arch9wavefront6targetE1EEEvT1_,comdat
	.protected	_ZN7rocprim17ROCPRIM_400000_NS6detail17trampoline_kernelINS0_14default_configENS1_25transform_config_selectorIfLb1EEEZNS1_14transform_implILb1ES3_S5_PfS7_NS0_8identityIfEEEE10hipError_tT2_T3_mT4_P12ihipStream_tbEUlT_E_NS1_11comp_targetILNS1_3genE0ELNS1_11target_archE4294967295ELNS1_3gpuE0ELNS1_3repE0EEENS1_30default_config_static_selectorELNS0_4arch9wavefront6targetE1EEEvT1_ ; -- Begin function _ZN7rocprim17ROCPRIM_400000_NS6detail17trampoline_kernelINS0_14default_configENS1_25transform_config_selectorIfLb1EEEZNS1_14transform_implILb1ES3_S5_PfS7_NS0_8identityIfEEEE10hipError_tT2_T3_mT4_P12ihipStream_tbEUlT_E_NS1_11comp_targetILNS1_3genE0ELNS1_11target_archE4294967295ELNS1_3gpuE0ELNS1_3repE0EEENS1_30default_config_static_selectorELNS0_4arch9wavefront6targetE1EEEvT1_
	.globl	_ZN7rocprim17ROCPRIM_400000_NS6detail17trampoline_kernelINS0_14default_configENS1_25transform_config_selectorIfLb1EEEZNS1_14transform_implILb1ES3_S5_PfS7_NS0_8identityIfEEEE10hipError_tT2_T3_mT4_P12ihipStream_tbEUlT_E_NS1_11comp_targetILNS1_3genE0ELNS1_11target_archE4294967295ELNS1_3gpuE0ELNS1_3repE0EEENS1_30default_config_static_selectorELNS0_4arch9wavefront6targetE1EEEvT1_
	.p2align	8
	.type	_ZN7rocprim17ROCPRIM_400000_NS6detail17trampoline_kernelINS0_14default_configENS1_25transform_config_selectorIfLb1EEEZNS1_14transform_implILb1ES3_S5_PfS7_NS0_8identityIfEEEE10hipError_tT2_T3_mT4_P12ihipStream_tbEUlT_E_NS1_11comp_targetILNS1_3genE0ELNS1_11target_archE4294967295ELNS1_3gpuE0ELNS1_3repE0EEENS1_30default_config_static_selectorELNS0_4arch9wavefront6targetE1EEEvT1_,@function
_ZN7rocprim17ROCPRIM_400000_NS6detail17trampoline_kernelINS0_14default_configENS1_25transform_config_selectorIfLb1EEEZNS1_14transform_implILb1ES3_S5_PfS7_NS0_8identityIfEEEE10hipError_tT2_T3_mT4_P12ihipStream_tbEUlT_E_NS1_11comp_targetILNS1_3genE0ELNS1_11target_archE4294967295ELNS1_3gpuE0ELNS1_3repE0EEENS1_30default_config_static_selectorELNS0_4arch9wavefront6targetE1EEEvT1_: ; @_ZN7rocprim17ROCPRIM_400000_NS6detail17trampoline_kernelINS0_14default_configENS1_25transform_config_selectorIfLb1EEEZNS1_14transform_implILb1ES3_S5_PfS7_NS0_8identityIfEEEE10hipError_tT2_T3_mT4_P12ihipStream_tbEUlT_E_NS1_11comp_targetILNS1_3genE0ELNS1_11target_archE4294967295ELNS1_3gpuE0ELNS1_3repE0EEENS1_30default_config_static_selectorELNS0_4arch9wavefront6targetE1EEEvT1_
; %bb.0:
	.section	.rodata,"a",@progbits
	.p2align	6, 0x0
	.amdhsa_kernel _ZN7rocprim17ROCPRIM_400000_NS6detail17trampoline_kernelINS0_14default_configENS1_25transform_config_selectorIfLb1EEEZNS1_14transform_implILb1ES3_S5_PfS7_NS0_8identityIfEEEE10hipError_tT2_T3_mT4_P12ihipStream_tbEUlT_E_NS1_11comp_targetILNS1_3genE0ELNS1_11target_archE4294967295ELNS1_3gpuE0ELNS1_3repE0EEENS1_30default_config_static_selectorELNS0_4arch9wavefront6targetE1EEEvT1_
		.amdhsa_group_segment_fixed_size 0
		.amdhsa_private_segment_fixed_size 0
		.amdhsa_kernarg_size 40
		.amdhsa_user_sgpr_count 6
		.amdhsa_user_sgpr_private_segment_buffer 1
		.amdhsa_user_sgpr_dispatch_ptr 0
		.amdhsa_user_sgpr_queue_ptr 0
		.amdhsa_user_sgpr_kernarg_segment_ptr 1
		.amdhsa_user_sgpr_dispatch_id 0
		.amdhsa_user_sgpr_flat_scratch_init 0
		.amdhsa_user_sgpr_kernarg_preload_length 0
		.amdhsa_user_sgpr_kernarg_preload_offset 0
		.amdhsa_user_sgpr_private_segment_size 0
		.amdhsa_uses_dynamic_stack 0
		.amdhsa_system_sgpr_private_segment_wavefront_offset 0
		.amdhsa_system_sgpr_workgroup_id_x 1
		.amdhsa_system_sgpr_workgroup_id_y 0
		.amdhsa_system_sgpr_workgroup_id_z 0
		.amdhsa_system_sgpr_workgroup_info 0
		.amdhsa_system_vgpr_workitem_id 0
		.amdhsa_next_free_vgpr 1
		.amdhsa_next_free_sgpr 0
		.amdhsa_accum_offset 4
		.amdhsa_reserve_vcc 0
		.amdhsa_reserve_flat_scratch 0
		.amdhsa_float_round_mode_32 0
		.amdhsa_float_round_mode_16_64 0
		.amdhsa_float_denorm_mode_32 3
		.amdhsa_float_denorm_mode_16_64 3
		.amdhsa_dx10_clamp 1
		.amdhsa_ieee_mode 1
		.amdhsa_fp16_overflow 0
		.amdhsa_tg_split 0
		.amdhsa_exception_fp_ieee_invalid_op 0
		.amdhsa_exception_fp_denorm_src 0
		.amdhsa_exception_fp_ieee_div_zero 0
		.amdhsa_exception_fp_ieee_overflow 0
		.amdhsa_exception_fp_ieee_underflow 0
		.amdhsa_exception_fp_ieee_inexact 0
		.amdhsa_exception_int_div_zero 0
	.end_amdhsa_kernel
	.section	.text._ZN7rocprim17ROCPRIM_400000_NS6detail17trampoline_kernelINS0_14default_configENS1_25transform_config_selectorIfLb1EEEZNS1_14transform_implILb1ES3_S5_PfS7_NS0_8identityIfEEEE10hipError_tT2_T3_mT4_P12ihipStream_tbEUlT_E_NS1_11comp_targetILNS1_3genE0ELNS1_11target_archE4294967295ELNS1_3gpuE0ELNS1_3repE0EEENS1_30default_config_static_selectorELNS0_4arch9wavefront6targetE1EEEvT1_,"axG",@progbits,_ZN7rocprim17ROCPRIM_400000_NS6detail17trampoline_kernelINS0_14default_configENS1_25transform_config_selectorIfLb1EEEZNS1_14transform_implILb1ES3_S5_PfS7_NS0_8identityIfEEEE10hipError_tT2_T3_mT4_P12ihipStream_tbEUlT_E_NS1_11comp_targetILNS1_3genE0ELNS1_11target_archE4294967295ELNS1_3gpuE0ELNS1_3repE0EEENS1_30default_config_static_selectorELNS0_4arch9wavefront6targetE1EEEvT1_,comdat
.Lfunc_end1260:
	.size	_ZN7rocprim17ROCPRIM_400000_NS6detail17trampoline_kernelINS0_14default_configENS1_25transform_config_selectorIfLb1EEEZNS1_14transform_implILb1ES3_S5_PfS7_NS0_8identityIfEEEE10hipError_tT2_T3_mT4_P12ihipStream_tbEUlT_E_NS1_11comp_targetILNS1_3genE0ELNS1_11target_archE4294967295ELNS1_3gpuE0ELNS1_3repE0EEENS1_30default_config_static_selectorELNS0_4arch9wavefront6targetE1EEEvT1_, .Lfunc_end1260-_ZN7rocprim17ROCPRIM_400000_NS6detail17trampoline_kernelINS0_14default_configENS1_25transform_config_selectorIfLb1EEEZNS1_14transform_implILb1ES3_S5_PfS7_NS0_8identityIfEEEE10hipError_tT2_T3_mT4_P12ihipStream_tbEUlT_E_NS1_11comp_targetILNS1_3genE0ELNS1_11target_archE4294967295ELNS1_3gpuE0ELNS1_3repE0EEENS1_30default_config_static_selectorELNS0_4arch9wavefront6targetE1EEEvT1_
                                        ; -- End function
	.section	.AMDGPU.csdata,"",@progbits
; Kernel info:
; codeLenInByte = 0
; NumSgprs: 4
; NumVgprs: 0
; NumAgprs: 0
; TotalNumVgprs: 0
; ScratchSize: 0
; MemoryBound: 0
; FloatMode: 240
; IeeeMode: 1
; LDSByteSize: 0 bytes/workgroup (compile time only)
; SGPRBlocks: 0
; VGPRBlocks: 0
; NumSGPRsForWavesPerEU: 4
; NumVGPRsForWavesPerEU: 1
; AccumOffset: 4
; Occupancy: 8
; WaveLimiterHint : 0
; COMPUTE_PGM_RSRC2:SCRATCH_EN: 0
; COMPUTE_PGM_RSRC2:USER_SGPR: 6
; COMPUTE_PGM_RSRC2:TRAP_HANDLER: 0
; COMPUTE_PGM_RSRC2:TGID_X_EN: 1
; COMPUTE_PGM_RSRC2:TGID_Y_EN: 0
; COMPUTE_PGM_RSRC2:TGID_Z_EN: 0
; COMPUTE_PGM_RSRC2:TIDIG_COMP_CNT: 0
; COMPUTE_PGM_RSRC3_GFX90A:ACCUM_OFFSET: 0
; COMPUTE_PGM_RSRC3_GFX90A:TG_SPLIT: 0
	.section	.text._ZN7rocprim17ROCPRIM_400000_NS6detail17trampoline_kernelINS0_14default_configENS1_25transform_config_selectorIfLb1EEEZNS1_14transform_implILb1ES3_S5_PfS7_NS0_8identityIfEEEE10hipError_tT2_T3_mT4_P12ihipStream_tbEUlT_E_NS1_11comp_targetILNS1_3genE10ELNS1_11target_archE1201ELNS1_3gpuE5ELNS1_3repE0EEENS1_30default_config_static_selectorELNS0_4arch9wavefront6targetE1EEEvT1_,"axG",@progbits,_ZN7rocprim17ROCPRIM_400000_NS6detail17trampoline_kernelINS0_14default_configENS1_25transform_config_selectorIfLb1EEEZNS1_14transform_implILb1ES3_S5_PfS7_NS0_8identityIfEEEE10hipError_tT2_T3_mT4_P12ihipStream_tbEUlT_E_NS1_11comp_targetILNS1_3genE10ELNS1_11target_archE1201ELNS1_3gpuE5ELNS1_3repE0EEENS1_30default_config_static_selectorELNS0_4arch9wavefront6targetE1EEEvT1_,comdat
	.protected	_ZN7rocprim17ROCPRIM_400000_NS6detail17trampoline_kernelINS0_14default_configENS1_25transform_config_selectorIfLb1EEEZNS1_14transform_implILb1ES3_S5_PfS7_NS0_8identityIfEEEE10hipError_tT2_T3_mT4_P12ihipStream_tbEUlT_E_NS1_11comp_targetILNS1_3genE10ELNS1_11target_archE1201ELNS1_3gpuE5ELNS1_3repE0EEENS1_30default_config_static_selectorELNS0_4arch9wavefront6targetE1EEEvT1_ ; -- Begin function _ZN7rocprim17ROCPRIM_400000_NS6detail17trampoline_kernelINS0_14default_configENS1_25transform_config_selectorIfLb1EEEZNS1_14transform_implILb1ES3_S5_PfS7_NS0_8identityIfEEEE10hipError_tT2_T3_mT4_P12ihipStream_tbEUlT_E_NS1_11comp_targetILNS1_3genE10ELNS1_11target_archE1201ELNS1_3gpuE5ELNS1_3repE0EEENS1_30default_config_static_selectorELNS0_4arch9wavefront6targetE1EEEvT1_
	.globl	_ZN7rocprim17ROCPRIM_400000_NS6detail17trampoline_kernelINS0_14default_configENS1_25transform_config_selectorIfLb1EEEZNS1_14transform_implILb1ES3_S5_PfS7_NS0_8identityIfEEEE10hipError_tT2_T3_mT4_P12ihipStream_tbEUlT_E_NS1_11comp_targetILNS1_3genE10ELNS1_11target_archE1201ELNS1_3gpuE5ELNS1_3repE0EEENS1_30default_config_static_selectorELNS0_4arch9wavefront6targetE1EEEvT1_
	.p2align	8
	.type	_ZN7rocprim17ROCPRIM_400000_NS6detail17trampoline_kernelINS0_14default_configENS1_25transform_config_selectorIfLb1EEEZNS1_14transform_implILb1ES3_S5_PfS7_NS0_8identityIfEEEE10hipError_tT2_T3_mT4_P12ihipStream_tbEUlT_E_NS1_11comp_targetILNS1_3genE10ELNS1_11target_archE1201ELNS1_3gpuE5ELNS1_3repE0EEENS1_30default_config_static_selectorELNS0_4arch9wavefront6targetE1EEEvT1_,@function
_ZN7rocprim17ROCPRIM_400000_NS6detail17trampoline_kernelINS0_14default_configENS1_25transform_config_selectorIfLb1EEEZNS1_14transform_implILb1ES3_S5_PfS7_NS0_8identityIfEEEE10hipError_tT2_T3_mT4_P12ihipStream_tbEUlT_E_NS1_11comp_targetILNS1_3genE10ELNS1_11target_archE1201ELNS1_3gpuE5ELNS1_3repE0EEENS1_30default_config_static_selectorELNS0_4arch9wavefront6targetE1EEEvT1_: ; @_ZN7rocprim17ROCPRIM_400000_NS6detail17trampoline_kernelINS0_14default_configENS1_25transform_config_selectorIfLb1EEEZNS1_14transform_implILb1ES3_S5_PfS7_NS0_8identityIfEEEE10hipError_tT2_T3_mT4_P12ihipStream_tbEUlT_E_NS1_11comp_targetILNS1_3genE10ELNS1_11target_archE1201ELNS1_3gpuE5ELNS1_3repE0EEENS1_30default_config_static_selectorELNS0_4arch9wavefront6targetE1EEEvT1_
; %bb.0:
	.section	.rodata,"a",@progbits
	.p2align	6, 0x0
	.amdhsa_kernel _ZN7rocprim17ROCPRIM_400000_NS6detail17trampoline_kernelINS0_14default_configENS1_25transform_config_selectorIfLb1EEEZNS1_14transform_implILb1ES3_S5_PfS7_NS0_8identityIfEEEE10hipError_tT2_T3_mT4_P12ihipStream_tbEUlT_E_NS1_11comp_targetILNS1_3genE10ELNS1_11target_archE1201ELNS1_3gpuE5ELNS1_3repE0EEENS1_30default_config_static_selectorELNS0_4arch9wavefront6targetE1EEEvT1_
		.amdhsa_group_segment_fixed_size 0
		.amdhsa_private_segment_fixed_size 0
		.amdhsa_kernarg_size 40
		.amdhsa_user_sgpr_count 6
		.amdhsa_user_sgpr_private_segment_buffer 1
		.amdhsa_user_sgpr_dispatch_ptr 0
		.amdhsa_user_sgpr_queue_ptr 0
		.amdhsa_user_sgpr_kernarg_segment_ptr 1
		.amdhsa_user_sgpr_dispatch_id 0
		.amdhsa_user_sgpr_flat_scratch_init 0
		.amdhsa_user_sgpr_kernarg_preload_length 0
		.amdhsa_user_sgpr_kernarg_preload_offset 0
		.amdhsa_user_sgpr_private_segment_size 0
		.amdhsa_uses_dynamic_stack 0
		.amdhsa_system_sgpr_private_segment_wavefront_offset 0
		.amdhsa_system_sgpr_workgroup_id_x 1
		.amdhsa_system_sgpr_workgroup_id_y 0
		.amdhsa_system_sgpr_workgroup_id_z 0
		.amdhsa_system_sgpr_workgroup_info 0
		.amdhsa_system_vgpr_workitem_id 0
		.amdhsa_next_free_vgpr 1
		.amdhsa_next_free_sgpr 0
		.amdhsa_accum_offset 4
		.amdhsa_reserve_vcc 0
		.amdhsa_reserve_flat_scratch 0
		.amdhsa_float_round_mode_32 0
		.amdhsa_float_round_mode_16_64 0
		.amdhsa_float_denorm_mode_32 3
		.amdhsa_float_denorm_mode_16_64 3
		.amdhsa_dx10_clamp 1
		.amdhsa_ieee_mode 1
		.amdhsa_fp16_overflow 0
		.amdhsa_tg_split 0
		.amdhsa_exception_fp_ieee_invalid_op 0
		.amdhsa_exception_fp_denorm_src 0
		.amdhsa_exception_fp_ieee_div_zero 0
		.amdhsa_exception_fp_ieee_overflow 0
		.amdhsa_exception_fp_ieee_underflow 0
		.amdhsa_exception_fp_ieee_inexact 0
		.amdhsa_exception_int_div_zero 0
	.end_amdhsa_kernel
	.section	.text._ZN7rocprim17ROCPRIM_400000_NS6detail17trampoline_kernelINS0_14default_configENS1_25transform_config_selectorIfLb1EEEZNS1_14transform_implILb1ES3_S5_PfS7_NS0_8identityIfEEEE10hipError_tT2_T3_mT4_P12ihipStream_tbEUlT_E_NS1_11comp_targetILNS1_3genE10ELNS1_11target_archE1201ELNS1_3gpuE5ELNS1_3repE0EEENS1_30default_config_static_selectorELNS0_4arch9wavefront6targetE1EEEvT1_,"axG",@progbits,_ZN7rocprim17ROCPRIM_400000_NS6detail17trampoline_kernelINS0_14default_configENS1_25transform_config_selectorIfLb1EEEZNS1_14transform_implILb1ES3_S5_PfS7_NS0_8identityIfEEEE10hipError_tT2_T3_mT4_P12ihipStream_tbEUlT_E_NS1_11comp_targetILNS1_3genE10ELNS1_11target_archE1201ELNS1_3gpuE5ELNS1_3repE0EEENS1_30default_config_static_selectorELNS0_4arch9wavefront6targetE1EEEvT1_,comdat
.Lfunc_end1261:
	.size	_ZN7rocprim17ROCPRIM_400000_NS6detail17trampoline_kernelINS0_14default_configENS1_25transform_config_selectorIfLb1EEEZNS1_14transform_implILb1ES3_S5_PfS7_NS0_8identityIfEEEE10hipError_tT2_T3_mT4_P12ihipStream_tbEUlT_E_NS1_11comp_targetILNS1_3genE10ELNS1_11target_archE1201ELNS1_3gpuE5ELNS1_3repE0EEENS1_30default_config_static_selectorELNS0_4arch9wavefront6targetE1EEEvT1_, .Lfunc_end1261-_ZN7rocprim17ROCPRIM_400000_NS6detail17trampoline_kernelINS0_14default_configENS1_25transform_config_selectorIfLb1EEEZNS1_14transform_implILb1ES3_S5_PfS7_NS0_8identityIfEEEE10hipError_tT2_T3_mT4_P12ihipStream_tbEUlT_E_NS1_11comp_targetILNS1_3genE10ELNS1_11target_archE1201ELNS1_3gpuE5ELNS1_3repE0EEENS1_30default_config_static_selectorELNS0_4arch9wavefront6targetE1EEEvT1_
                                        ; -- End function
	.section	.AMDGPU.csdata,"",@progbits
; Kernel info:
; codeLenInByte = 0
; NumSgprs: 4
; NumVgprs: 0
; NumAgprs: 0
; TotalNumVgprs: 0
; ScratchSize: 0
; MemoryBound: 0
; FloatMode: 240
; IeeeMode: 1
; LDSByteSize: 0 bytes/workgroup (compile time only)
; SGPRBlocks: 0
; VGPRBlocks: 0
; NumSGPRsForWavesPerEU: 4
; NumVGPRsForWavesPerEU: 1
; AccumOffset: 4
; Occupancy: 8
; WaveLimiterHint : 0
; COMPUTE_PGM_RSRC2:SCRATCH_EN: 0
; COMPUTE_PGM_RSRC2:USER_SGPR: 6
; COMPUTE_PGM_RSRC2:TRAP_HANDLER: 0
; COMPUTE_PGM_RSRC2:TGID_X_EN: 1
; COMPUTE_PGM_RSRC2:TGID_Y_EN: 0
; COMPUTE_PGM_RSRC2:TGID_Z_EN: 0
; COMPUTE_PGM_RSRC2:TIDIG_COMP_CNT: 0
; COMPUTE_PGM_RSRC3_GFX90A:ACCUM_OFFSET: 0
; COMPUTE_PGM_RSRC3_GFX90A:TG_SPLIT: 0
	.section	.text._ZN7rocprim17ROCPRIM_400000_NS6detail17trampoline_kernelINS0_14default_configENS1_25transform_config_selectorIfLb1EEEZNS1_14transform_implILb1ES3_S5_PfS7_NS0_8identityIfEEEE10hipError_tT2_T3_mT4_P12ihipStream_tbEUlT_E_NS1_11comp_targetILNS1_3genE5ELNS1_11target_archE942ELNS1_3gpuE9ELNS1_3repE0EEENS1_30default_config_static_selectorELNS0_4arch9wavefront6targetE1EEEvT1_,"axG",@progbits,_ZN7rocprim17ROCPRIM_400000_NS6detail17trampoline_kernelINS0_14default_configENS1_25transform_config_selectorIfLb1EEEZNS1_14transform_implILb1ES3_S5_PfS7_NS0_8identityIfEEEE10hipError_tT2_T3_mT4_P12ihipStream_tbEUlT_E_NS1_11comp_targetILNS1_3genE5ELNS1_11target_archE942ELNS1_3gpuE9ELNS1_3repE0EEENS1_30default_config_static_selectorELNS0_4arch9wavefront6targetE1EEEvT1_,comdat
	.protected	_ZN7rocprim17ROCPRIM_400000_NS6detail17trampoline_kernelINS0_14default_configENS1_25transform_config_selectorIfLb1EEEZNS1_14transform_implILb1ES3_S5_PfS7_NS0_8identityIfEEEE10hipError_tT2_T3_mT4_P12ihipStream_tbEUlT_E_NS1_11comp_targetILNS1_3genE5ELNS1_11target_archE942ELNS1_3gpuE9ELNS1_3repE0EEENS1_30default_config_static_selectorELNS0_4arch9wavefront6targetE1EEEvT1_ ; -- Begin function _ZN7rocprim17ROCPRIM_400000_NS6detail17trampoline_kernelINS0_14default_configENS1_25transform_config_selectorIfLb1EEEZNS1_14transform_implILb1ES3_S5_PfS7_NS0_8identityIfEEEE10hipError_tT2_T3_mT4_P12ihipStream_tbEUlT_E_NS1_11comp_targetILNS1_3genE5ELNS1_11target_archE942ELNS1_3gpuE9ELNS1_3repE0EEENS1_30default_config_static_selectorELNS0_4arch9wavefront6targetE1EEEvT1_
	.globl	_ZN7rocprim17ROCPRIM_400000_NS6detail17trampoline_kernelINS0_14default_configENS1_25transform_config_selectorIfLb1EEEZNS1_14transform_implILb1ES3_S5_PfS7_NS0_8identityIfEEEE10hipError_tT2_T3_mT4_P12ihipStream_tbEUlT_E_NS1_11comp_targetILNS1_3genE5ELNS1_11target_archE942ELNS1_3gpuE9ELNS1_3repE0EEENS1_30default_config_static_selectorELNS0_4arch9wavefront6targetE1EEEvT1_
	.p2align	8
	.type	_ZN7rocprim17ROCPRIM_400000_NS6detail17trampoline_kernelINS0_14default_configENS1_25transform_config_selectorIfLb1EEEZNS1_14transform_implILb1ES3_S5_PfS7_NS0_8identityIfEEEE10hipError_tT2_T3_mT4_P12ihipStream_tbEUlT_E_NS1_11comp_targetILNS1_3genE5ELNS1_11target_archE942ELNS1_3gpuE9ELNS1_3repE0EEENS1_30default_config_static_selectorELNS0_4arch9wavefront6targetE1EEEvT1_,@function
_ZN7rocprim17ROCPRIM_400000_NS6detail17trampoline_kernelINS0_14default_configENS1_25transform_config_selectorIfLb1EEEZNS1_14transform_implILb1ES3_S5_PfS7_NS0_8identityIfEEEE10hipError_tT2_T3_mT4_P12ihipStream_tbEUlT_E_NS1_11comp_targetILNS1_3genE5ELNS1_11target_archE942ELNS1_3gpuE9ELNS1_3repE0EEENS1_30default_config_static_selectorELNS0_4arch9wavefront6targetE1EEEvT1_: ; @_ZN7rocprim17ROCPRIM_400000_NS6detail17trampoline_kernelINS0_14default_configENS1_25transform_config_selectorIfLb1EEEZNS1_14transform_implILb1ES3_S5_PfS7_NS0_8identityIfEEEE10hipError_tT2_T3_mT4_P12ihipStream_tbEUlT_E_NS1_11comp_targetILNS1_3genE5ELNS1_11target_archE942ELNS1_3gpuE9ELNS1_3repE0EEENS1_30default_config_static_selectorELNS0_4arch9wavefront6targetE1EEEvT1_
; %bb.0:
	.section	.rodata,"a",@progbits
	.p2align	6, 0x0
	.amdhsa_kernel _ZN7rocprim17ROCPRIM_400000_NS6detail17trampoline_kernelINS0_14default_configENS1_25transform_config_selectorIfLb1EEEZNS1_14transform_implILb1ES3_S5_PfS7_NS0_8identityIfEEEE10hipError_tT2_T3_mT4_P12ihipStream_tbEUlT_E_NS1_11comp_targetILNS1_3genE5ELNS1_11target_archE942ELNS1_3gpuE9ELNS1_3repE0EEENS1_30default_config_static_selectorELNS0_4arch9wavefront6targetE1EEEvT1_
		.amdhsa_group_segment_fixed_size 0
		.amdhsa_private_segment_fixed_size 0
		.amdhsa_kernarg_size 40
		.amdhsa_user_sgpr_count 6
		.amdhsa_user_sgpr_private_segment_buffer 1
		.amdhsa_user_sgpr_dispatch_ptr 0
		.amdhsa_user_sgpr_queue_ptr 0
		.amdhsa_user_sgpr_kernarg_segment_ptr 1
		.amdhsa_user_sgpr_dispatch_id 0
		.amdhsa_user_sgpr_flat_scratch_init 0
		.amdhsa_user_sgpr_kernarg_preload_length 0
		.amdhsa_user_sgpr_kernarg_preload_offset 0
		.amdhsa_user_sgpr_private_segment_size 0
		.amdhsa_uses_dynamic_stack 0
		.amdhsa_system_sgpr_private_segment_wavefront_offset 0
		.amdhsa_system_sgpr_workgroup_id_x 1
		.amdhsa_system_sgpr_workgroup_id_y 0
		.amdhsa_system_sgpr_workgroup_id_z 0
		.amdhsa_system_sgpr_workgroup_info 0
		.amdhsa_system_vgpr_workitem_id 0
		.amdhsa_next_free_vgpr 1
		.amdhsa_next_free_sgpr 0
		.amdhsa_accum_offset 4
		.amdhsa_reserve_vcc 0
		.amdhsa_reserve_flat_scratch 0
		.amdhsa_float_round_mode_32 0
		.amdhsa_float_round_mode_16_64 0
		.amdhsa_float_denorm_mode_32 3
		.amdhsa_float_denorm_mode_16_64 3
		.amdhsa_dx10_clamp 1
		.amdhsa_ieee_mode 1
		.amdhsa_fp16_overflow 0
		.amdhsa_tg_split 0
		.amdhsa_exception_fp_ieee_invalid_op 0
		.amdhsa_exception_fp_denorm_src 0
		.amdhsa_exception_fp_ieee_div_zero 0
		.amdhsa_exception_fp_ieee_overflow 0
		.amdhsa_exception_fp_ieee_underflow 0
		.amdhsa_exception_fp_ieee_inexact 0
		.amdhsa_exception_int_div_zero 0
	.end_amdhsa_kernel
	.section	.text._ZN7rocprim17ROCPRIM_400000_NS6detail17trampoline_kernelINS0_14default_configENS1_25transform_config_selectorIfLb1EEEZNS1_14transform_implILb1ES3_S5_PfS7_NS0_8identityIfEEEE10hipError_tT2_T3_mT4_P12ihipStream_tbEUlT_E_NS1_11comp_targetILNS1_3genE5ELNS1_11target_archE942ELNS1_3gpuE9ELNS1_3repE0EEENS1_30default_config_static_selectorELNS0_4arch9wavefront6targetE1EEEvT1_,"axG",@progbits,_ZN7rocprim17ROCPRIM_400000_NS6detail17trampoline_kernelINS0_14default_configENS1_25transform_config_selectorIfLb1EEEZNS1_14transform_implILb1ES3_S5_PfS7_NS0_8identityIfEEEE10hipError_tT2_T3_mT4_P12ihipStream_tbEUlT_E_NS1_11comp_targetILNS1_3genE5ELNS1_11target_archE942ELNS1_3gpuE9ELNS1_3repE0EEENS1_30default_config_static_selectorELNS0_4arch9wavefront6targetE1EEEvT1_,comdat
.Lfunc_end1262:
	.size	_ZN7rocprim17ROCPRIM_400000_NS6detail17trampoline_kernelINS0_14default_configENS1_25transform_config_selectorIfLb1EEEZNS1_14transform_implILb1ES3_S5_PfS7_NS0_8identityIfEEEE10hipError_tT2_T3_mT4_P12ihipStream_tbEUlT_E_NS1_11comp_targetILNS1_3genE5ELNS1_11target_archE942ELNS1_3gpuE9ELNS1_3repE0EEENS1_30default_config_static_selectorELNS0_4arch9wavefront6targetE1EEEvT1_, .Lfunc_end1262-_ZN7rocprim17ROCPRIM_400000_NS6detail17trampoline_kernelINS0_14default_configENS1_25transform_config_selectorIfLb1EEEZNS1_14transform_implILb1ES3_S5_PfS7_NS0_8identityIfEEEE10hipError_tT2_T3_mT4_P12ihipStream_tbEUlT_E_NS1_11comp_targetILNS1_3genE5ELNS1_11target_archE942ELNS1_3gpuE9ELNS1_3repE0EEENS1_30default_config_static_selectorELNS0_4arch9wavefront6targetE1EEEvT1_
                                        ; -- End function
	.section	.AMDGPU.csdata,"",@progbits
; Kernel info:
; codeLenInByte = 0
; NumSgprs: 4
; NumVgprs: 0
; NumAgprs: 0
; TotalNumVgprs: 0
; ScratchSize: 0
; MemoryBound: 0
; FloatMode: 240
; IeeeMode: 1
; LDSByteSize: 0 bytes/workgroup (compile time only)
; SGPRBlocks: 0
; VGPRBlocks: 0
; NumSGPRsForWavesPerEU: 4
; NumVGPRsForWavesPerEU: 1
; AccumOffset: 4
; Occupancy: 8
; WaveLimiterHint : 0
; COMPUTE_PGM_RSRC2:SCRATCH_EN: 0
; COMPUTE_PGM_RSRC2:USER_SGPR: 6
; COMPUTE_PGM_RSRC2:TRAP_HANDLER: 0
; COMPUTE_PGM_RSRC2:TGID_X_EN: 1
; COMPUTE_PGM_RSRC2:TGID_Y_EN: 0
; COMPUTE_PGM_RSRC2:TGID_Z_EN: 0
; COMPUTE_PGM_RSRC2:TIDIG_COMP_CNT: 0
; COMPUTE_PGM_RSRC3_GFX90A:ACCUM_OFFSET: 0
; COMPUTE_PGM_RSRC3_GFX90A:TG_SPLIT: 0
	.section	.text._ZN7rocprim17ROCPRIM_400000_NS6detail17trampoline_kernelINS0_14default_configENS1_25transform_config_selectorIfLb1EEEZNS1_14transform_implILb1ES3_S5_PfS7_NS0_8identityIfEEEE10hipError_tT2_T3_mT4_P12ihipStream_tbEUlT_E_NS1_11comp_targetILNS1_3genE4ELNS1_11target_archE910ELNS1_3gpuE8ELNS1_3repE0EEENS1_30default_config_static_selectorELNS0_4arch9wavefront6targetE1EEEvT1_,"axG",@progbits,_ZN7rocprim17ROCPRIM_400000_NS6detail17trampoline_kernelINS0_14default_configENS1_25transform_config_selectorIfLb1EEEZNS1_14transform_implILb1ES3_S5_PfS7_NS0_8identityIfEEEE10hipError_tT2_T3_mT4_P12ihipStream_tbEUlT_E_NS1_11comp_targetILNS1_3genE4ELNS1_11target_archE910ELNS1_3gpuE8ELNS1_3repE0EEENS1_30default_config_static_selectorELNS0_4arch9wavefront6targetE1EEEvT1_,comdat
	.protected	_ZN7rocprim17ROCPRIM_400000_NS6detail17trampoline_kernelINS0_14default_configENS1_25transform_config_selectorIfLb1EEEZNS1_14transform_implILb1ES3_S5_PfS7_NS0_8identityIfEEEE10hipError_tT2_T3_mT4_P12ihipStream_tbEUlT_E_NS1_11comp_targetILNS1_3genE4ELNS1_11target_archE910ELNS1_3gpuE8ELNS1_3repE0EEENS1_30default_config_static_selectorELNS0_4arch9wavefront6targetE1EEEvT1_ ; -- Begin function _ZN7rocprim17ROCPRIM_400000_NS6detail17trampoline_kernelINS0_14default_configENS1_25transform_config_selectorIfLb1EEEZNS1_14transform_implILb1ES3_S5_PfS7_NS0_8identityIfEEEE10hipError_tT2_T3_mT4_P12ihipStream_tbEUlT_E_NS1_11comp_targetILNS1_3genE4ELNS1_11target_archE910ELNS1_3gpuE8ELNS1_3repE0EEENS1_30default_config_static_selectorELNS0_4arch9wavefront6targetE1EEEvT1_
	.globl	_ZN7rocprim17ROCPRIM_400000_NS6detail17trampoline_kernelINS0_14default_configENS1_25transform_config_selectorIfLb1EEEZNS1_14transform_implILb1ES3_S5_PfS7_NS0_8identityIfEEEE10hipError_tT2_T3_mT4_P12ihipStream_tbEUlT_E_NS1_11comp_targetILNS1_3genE4ELNS1_11target_archE910ELNS1_3gpuE8ELNS1_3repE0EEENS1_30default_config_static_selectorELNS0_4arch9wavefront6targetE1EEEvT1_
	.p2align	8
	.type	_ZN7rocprim17ROCPRIM_400000_NS6detail17trampoline_kernelINS0_14default_configENS1_25transform_config_selectorIfLb1EEEZNS1_14transform_implILb1ES3_S5_PfS7_NS0_8identityIfEEEE10hipError_tT2_T3_mT4_P12ihipStream_tbEUlT_E_NS1_11comp_targetILNS1_3genE4ELNS1_11target_archE910ELNS1_3gpuE8ELNS1_3repE0EEENS1_30default_config_static_selectorELNS0_4arch9wavefront6targetE1EEEvT1_,@function
_ZN7rocprim17ROCPRIM_400000_NS6detail17trampoline_kernelINS0_14default_configENS1_25transform_config_selectorIfLb1EEEZNS1_14transform_implILb1ES3_S5_PfS7_NS0_8identityIfEEEE10hipError_tT2_T3_mT4_P12ihipStream_tbEUlT_E_NS1_11comp_targetILNS1_3genE4ELNS1_11target_archE910ELNS1_3gpuE8ELNS1_3repE0EEENS1_30default_config_static_selectorELNS0_4arch9wavefront6targetE1EEEvT1_: ; @_ZN7rocprim17ROCPRIM_400000_NS6detail17trampoline_kernelINS0_14default_configENS1_25transform_config_selectorIfLb1EEEZNS1_14transform_implILb1ES3_S5_PfS7_NS0_8identityIfEEEE10hipError_tT2_T3_mT4_P12ihipStream_tbEUlT_E_NS1_11comp_targetILNS1_3genE4ELNS1_11target_archE910ELNS1_3gpuE8ELNS1_3repE0EEENS1_30default_config_static_selectorELNS0_4arch9wavefront6targetE1EEEvT1_
; %bb.0:
	s_load_dwordx8 s[8:15], s[4:5], 0x0
	s_load_dword s2, s[4:5], 0x28
	s_waitcnt lgkmcnt(0)
	s_lshl_b64 s[0:1], s[10:11], 2
	s_add_u32 s3, s8, s0
	s_addc_u32 s4, s9, s1
	s_add_u32 s13, s14, s0
	s_addc_u32 s14, s15, s1
	s_lshl_b32 s0, s6, 12
	s_mov_b32 s1, 0
	s_add_i32 s2, s2, -1
	s_lshl_b64 s[8:9], s[0:1], 2
	s_add_u32 s10, s3, s8
	s_addc_u32 s11, s4, s9
	s_cmp_lg_u32 s6, s2
	s_mov_b64 s[2:3], -1
	s_cbranch_scc0 .LBB1263_2
; %bb.1:
	v_lshlrev_b32_e32 v1, 4, v0
	global_load_dwordx4 v[2:5], v1, s[10:11]
	s_add_u32 s2, s13, s8
	s_addc_u32 s3, s14, s9
	s_waitcnt vmcnt(0)
	global_store_dwordx4 v1, v[2:5], s[2:3]
	s_mov_b64 s[2:3], 0
.LBB1263_2:
	s_andn2_b64 vcc, exec, s[2:3]
	s_cbranch_vccnz .LBB1263_16
; %bb.3:
	s_sub_i32 s6, s12, s0
	v_cmp_gt_u32_e32 vcc, s6, v0
	v_lshlrev_b32_e32 v1, 2, v0
                                        ; implicit-def: $vgpr2_vgpr3_vgpr4_vgpr5
	s_and_saveexec_b64 s[0:1], vcc
	s_cbranch_execz .LBB1263_5
; %bb.4:
	global_load_dword v2, v1, s[10:11]
.LBB1263_5:
	s_or_b64 exec, exec, s[0:1]
	v_or_b32_e32 v6, 0x400, v0
	v_cmp_gt_u32_e64 s[4:5], s6, v6
	s_and_saveexec_b64 s[0:1], s[4:5]
	s_cbranch_execz .LBB1263_7
; %bb.6:
	v_lshlrev_b32_e32 v3, 2, v6
	global_load_dword v3, v3, s[10:11]
.LBB1263_7:
	s_or_b64 exec, exec, s[0:1]
	v_or_b32_e32 v6, 0x800, v0
	v_cmp_gt_u32_e64 s[0:1], s6, v6
	s_and_saveexec_b64 s[2:3], s[0:1]
	s_cbranch_execz .LBB1263_9
; %bb.8:
	v_lshlrev_b32_e32 v4, 2, v6
	global_load_dword v4, v4, s[10:11]
.LBB1263_9:
	;; [unrolled: 9-line block ×3, first 2 shown]
	s_or_b64 exec, exec, s[6:7]
	s_add_u32 s6, s13, s8
	s_addc_u32 s7, s14, s9
	v_mov_b32_e32 v6, s7
	v_add_co_u32_e64 v0, s[6:7], s6, v1
	v_addc_co_u32_e64 v1, s[6:7], 0, v6, s[6:7]
	s_and_saveexec_b64 s[6:7], vcc
	s_cbranch_execnz .LBB1263_17
; %bb.12:
	s_or_b64 exec, exec, s[6:7]
	s_and_saveexec_b64 s[6:7], s[4:5]
	s_cbranch_execnz .LBB1263_18
.LBB1263_13:
	s_or_b64 exec, exec, s[6:7]
	s_and_saveexec_b64 s[4:5], s[0:1]
	s_cbranch_execnz .LBB1263_19
.LBB1263_14:
	s_or_b64 exec, exec, s[4:5]
	s_and_saveexec_b64 s[0:1], s[2:3]
	s_cbranch_execz .LBB1263_16
.LBB1263_15:
	v_add_co_u32_e32 v0, vcc, 0x3000, v0
	s_waitcnt vmcnt(0)
	v_cndmask_b32_e64 v2, v5, v5, s[2:3]
	v_addc_co_u32_e32 v1, vcc, 0, v1, vcc
	global_store_dword v[0:1], v2, off
.LBB1263_16:
	s_endpgm
.LBB1263_17:
	s_waitcnt vmcnt(0)
	global_store_dword v[0:1], v2, off
	s_or_b64 exec, exec, s[6:7]
	s_and_saveexec_b64 s[6:7], s[4:5]
	s_cbranch_execz .LBB1263_13
.LBB1263_18:
	v_add_co_u32_e32 v6, vcc, 0x1000, v0
	v_addc_co_u32_e32 v7, vcc, 0, v1, vcc
	s_waitcnt vmcnt(0)
	global_store_dword v[6:7], v3, off
	s_or_b64 exec, exec, s[6:7]
	s_and_saveexec_b64 s[4:5], s[0:1]
	s_cbranch_execz .LBB1263_14
.LBB1263_19:
	s_waitcnt vmcnt(0)
	v_add_co_u32_e32 v2, vcc, 0x2000, v0
	v_cndmask_b32_e64 v4, v4, v4, s[0:1]
	v_addc_co_u32_e32 v3, vcc, 0, v1, vcc
	global_store_dword v[2:3], v4, off
	s_or_b64 exec, exec, s[4:5]
	s_and_saveexec_b64 s[0:1], s[2:3]
	s_cbranch_execnz .LBB1263_15
	s_branch .LBB1263_16
	.section	.rodata,"a",@progbits
	.p2align	6, 0x0
	.amdhsa_kernel _ZN7rocprim17ROCPRIM_400000_NS6detail17trampoline_kernelINS0_14default_configENS1_25transform_config_selectorIfLb1EEEZNS1_14transform_implILb1ES3_S5_PfS7_NS0_8identityIfEEEE10hipError_tT2_T3_mT4_P12ihipStream_tbEUlT_E_NS1_11comp_targetILNS1_3genE4ELNS1_11target_archE910ELNS1_3gpuE8ELNS1_3repE0EEENS1_30default_config_static_selectorELNS0_4arch9wavefront6targetE1EEEvT1_
		.amdhsa_group_segment_fixed_size 0
		.amdhsa_private_segment_fixed_size 0
		.amdhsa_kernarg_size 296
		.amdhsa_user_sgpr_count 6
		.amdhsa_user_sgpr_private_segment_buffer 1
		.amdhsa_user_sgpr_dispatch_ptr 0
		.amdhsa_user_sgpr_queue_ptr 0
		.amdhsa_user_sgpr_kernarg_segment_ptr 1
		.amdhsa_user_sgpr_dispatch_id 0
		.amdhsa_user_sgpr_flat_scratch_init 0
		.amdhsa_user_sgpr_kernarg_preload_length 0
		.amdhsa_user_sgpr_kernarg_preload_offset 0
		.amdhsa_user_sgpr_private_segment_size 0
		.amdhsa_uses_dynamic_stack 0
		.amdhsa_system_sgpr_private_segment_wavefront_offset 0
		.amdhsa_system_sgpr_workgroup_id_x 1
		.amdhsa_system_sgpr_workgroup_id_y 0
		.amdhsa_system_sgpr_workgroup_id_z 0
		.amdhsa_system_sgpr_workgroup_info 0
		.amdhsa_system_vgpr_workitem_id 0
		.amdhsa_next_free_vgpr 8
		.amdhsa_next_free_sgpr 16
		.amdhsa_accum_offset 8
		.amdhsa_reserve_vcc 1
		.amdhsa_reserve_flat_scratch 0
		.amdhsa_float_round_mode_32 0
		.amdhsa_float_round_mode_16_64 0
		.amdhsa_float_denorm_mode_32 3
		.amdhsa_float_denorm_mode_16_64 3
		.amdhsa_dx10_clamp 1
		.amdhsa_ieee_mode 1
		.amdhsa_fp16_overflow 0
		.amdhsa_tg_split 0
		.amdhsa_exception_fp_ieee_invalid_op 0
		.amdhsa_exception_fp_denorm_src 0
		.amdhsa_exception_fp_ieee_div_zero 0
		.amdhsa_exception_fp_ieee_overflow 0
		.amdhsa_exception_fp_ieee_underflow 0
		.amdhsa_exception_fp_ieee_inexact 0
		.amdhsa_exception_int_div_zero 0
	.end_amdhsa_kernel
	.section	.text._ZN7rocprim17ROCPRIM_400000_NS6detail17trampoline_kernelINS0_14default_configENS1_25transform_config_selectorIfLb1EEEZNS1_14transform_implILb1ES3_S5_PfS7_NS0_8identityIfEEEE10hipError_tT2_T3_mT4_P12ihipStream_tbEUlT_E_NS1_11comp_targetILNS1_3genE4ELNS1_11target_archE910ELNS1_3gpuE8ELNS1_3repE0EEENS1_30default_config_static_selectorELNS0_4arch9wavefront6targetE1EEEvT1_,"axG",@progbits,_ZN7rocprim17ROCPRIM_400000_NS6detail17trampoline_kernelINS0_14default_configENS1_25transform_config_selectorIfLb1EEEZNS1_14transform_implILb1ES3_S5_PfS7_NS0_8identityIfEEEE10hipError_tT2_T3_mT4_P12ihipStream_tbEUlT_E_NS1_11comp_targetILNS1_3genE4ELNS1_11target_archE910ELNS1_3gpuE8ELNS1_3repE0EEENS1_30default_config_static_selectorELNS0_4arch9wavefront6targetE1EEEvT1_,comdat
.Lfunc_end1263:
	.size	_ZN7rocprim17ROCPRIM_400000_NS6detail17trampoline_kernelINS0_14default_configENS1_25transform_config_selectorIfLb1EEEZNS1_14transform_implILb1ES3_S5_PfS7_NS0_8identityIfEEEE10hipError_tT2_T3_mT4_P12ihipStream_tbEUlT_E_NS1_11comp_targetILNS1_3genE4ELNS1_11target_archE910ELNS1_3gpuE8ELNS1_3repE0EEENS1_30default_config_static_selectorELNS0_4arch9wavefront6targetE1EEEvT1_, .Lfunc_end1263-_ZN7rocprim17ROCPRIM_400000_NS6detail17trampoline_kernelINS0_14default_configENS1_25transform_config_selectorIfLb1EEEZNS1_14transform_implILb1ES3_S5_PfS7_NS0_8identityIfEEEE10hipError_tT2_T3_mT4_P12ihipStream_tbEUlT_E_NS1_11comp_targetILNS1_3genE4ELNS1_11target_archE910ELNS1_3gpuE8ELNS1_3repE0EEENS1_30default_config_static_selectorELNS0_4arch9wavefront6targetE1EEEvT1_
                                        ; -- End function
	.section	.AMDGPU.csdata,"",@progbits
; Kernel info:
; codeLenInByte = 488
; NumSgprs: 20
; NumVgprs: 8
; NumAgprs: 0
; TotalNumVgprs: 8
; ScratchSize: 0
; MemoryBound: 1
; FloatMode: 240
; IeeeMode: 1
; LDSByteSize: 0 bytes/workgroup (compile time only)
; SGPRBlocks: 2
; VGPRBlocks: 0
; NumSGPRsForWavesPerEU: 20
; NumVGPRsForWavesPerEU: 8
; AccumOffset: 8
; Occupancy: 8
; WaveLimiterHint : 0
; COMPUTE_PGM_RSRC2:SCRATCH_EN: 0
; COMPUTE_PGM_RSRC2:USER_SGPR: 6
; COMPUTE_PGM_RSRC2:TRAP_HANDLER: 0
; COMPUTE_PGM_RSRC2:TGID_X_EN: 1
; COMPUTE_PGM_RSRC2:TGID_Y_EN: 0
; COMPUTE_PGM_RSRC2:TGID_Z_EN: 0
; COMPUTE_PGM_RSRC2:TIDIG_COMP_CNT: 0
; COMPUTE_PGM_RSRC3_GFX90A:ACCUM_OFFSET: 1
; COMPUTE_PGM_RSRC3_GFX90A:TG_SPLIT: 0
	.section	.text._ZN7rocprim17ROCPRIM_400000_NS6detail17trampoline_kernelINS0_14default_configENS1_25transform_config_selectorIfLb1EEEZNS1_14transform_implILb1ES3_S5_PfS7_NS0_8identityIfEEEE10hipError_tT2_T3_mT4_P12ihipStream_tbEUlT_E_NS1_11comp_targetILNS1_3genE3ELNS1_11target_archE908ELNS1_3gpuE7ELNS1_3repE0EEENS1_30default_config_static_selectorELNS0_4arch9wavefront6targetE1EEEvT1_,"axG",@progbits,_ZN7rocprim17ROCPRIM_400000_NS6detail17trampoline_kernelINS0_14default_configENS1_25transform_config_selectorIfLb1EEEZNS1_14transform_implILb1ES3_S5_PfS7_NS0_8identityIfEEEE10hipError_tT2_T3_mT4_P12ihipStream_tbEUlT_E_NS1_11comp_targetILNS1_3genE3ELNS1_11target_archE908ELNS1_3gpuE7ELNS1_3repE0EEENS1_30default_config_static_selectorELNS0_4arch9wavefront6targetE1EEEvT1_,comdat
	.protected	_ZN7rocprim17ROCPRIM_400000_NS6detail17trampoline_kernelINS0_14default_configENS1_25transform_config_selectorIfLb1EEEZNS1_14transform_implILb1ES3_S5_PfS7_NS0_8identityIfEEEE10hipError_tT2_T3_mT4_P12ihipStream_tbEUlT_E_NS1_11comp_targetILNS1_3genE3ELNS1_11target_archE908ELNS1_3gpuE7ELNS1_3repE0EEENS1_30default_config_static_selectorELNS0_4arch9wavefront6targetE1EEEvT1_ ; -- Begin function _ZN7rocprim17ROCPRIM_400000_NS6detail17trampoline_kernelINS0_14default_configENS1_25transform_config_selectorIfLb1EEEZNS1_14transform_implILb1ES3_S5_PfS7_NS0_8identityIfEEEE10hipError_tT2_T3_mT4_P12ihipStream_tbEUlT_E_NS1_11comp_targetILNS1_3genE3ELNS1_11target_archE908ELNS1_3gpuE7ELNS1_3repE0EEENS1_30default_config_static_selectorELNS0_4arch9wavefront6targetE1EEEvT1_
	.globl	_ZN7rocprim17ROCPRIM_400000_NS6detail17trampoline_kernelINS0_14default_configENS1_25transform_config_selectorIfLb1EEEZNS1_14transform_implILb1ES3_S5_PfS7_NS0_8identityIfEEEE10hipError_tT2_T3_mT4_P12ihipStream_tbEUlT_E_NS1_11comp_targetILNS1_3genE3ELNS1_11target_archE908ELNS1_3gpuE7ELNS1_3repE0EEENS1_30default_config_static_selectorELNS0_4arch9wavefront6targetE1EEEvT1_
	.p2align	8
	.type	_ZN7rocprim17ROCPRIM_400000_NS6detail17trampoline_kernelINS0_14default_configENS1_25transform_config_selectorIfLb1EEEZNS1_14transform_implILb1ES3_S5_PfS7_NS0_8identityIfEEEE10hipError_tT2_T3_mT4_P12ihipStream_tbEUlT_E_NS1_11comp_targetILNS1_3genE3ELNS1_11target_archE908ELNS1_3gpuE7ELNS1_3repE0EEENS1_30default_config_static_selectorELNS0_4arch9wavefront6targetE1EEEvT1_,@function
_ZN7rocprim17ROCPRIM_400000_NS6detail17trampoline_kernelINS0_14default_configENS1_25transform_config_selectorIfLb1EEEZNS1_14transform_implILb1ES3_S5_PfS7_NS0_8identityIfEEEE10hipError_tT2_T3_mT4_P12ihipStream_tbEUlT_E_NS1_11comp_targetILNS1_3genE3ELNS1_11target_archE908ELNS1_3gpuE7ELNS1_3repE0EEENS1_30default_config_static_selectorELNS0_4arch9wavefront6targetE1EEEvT1_: ; @_ZN7rocprim17ROCPRIM_400000_NS6detail17trampoline_kernelINS0_14default_configENS1_25transform_config_selectorIfLb1EEEZNS1_14transform_implILb1ES3_S5_PfS7_NS0_8identityIfEEEE10hipError_tT2_T3_mT4_P12ihipStream_tbEUlT_E_NS1_11comp_targetILNS1_3genE3ELNS1_11target_archE908ELNS1_3gpuE7ELNS1_3repE0EEENS1_30default_config_static_selectorELNS0_4arch9wavefront6targetE1EEEvT1_
; %bb.0:
	.section	.rodata,"a",@progbits
	.p2align	6, 0x0
	.amdhsa_kernel _ZN7rocprim17ROCPRIM_400000_NS6detail17trampoline_kernelINS0_14default_configENS1_25transform_config_selectorIfLb1EEEZNS1_14transform_implILb1ES3_S5_PfS7_NS0_8identityIfEEEE10hipError_tT2_T3_mT4_P12ihipStream_tbEUlT_E_NS1_11comp_targetILNS1_3genE3ELNS1_11target_archE908ELNS1_3gpuE7ELNS1_3repE0EEENS1_30default_config_static_selectorELNS0_4arch9wavefront6targetE1EEEvT1_
		.amdhsa_group_segment_fixed_size 0
		.amdhsa_private_segment_fixed_size 0
		.amdhsa_kernarg_size 40
		.amdhsa_user_sgpr_count 6
		.amdhsa_user_sgpr_private_segment_buffer 1
		.amdhsa_user_sgpr_dispatch_ptr 0
		.amdhsa_user_sgpr_queue_ptr 0
		.amdhsa_user_sgpr_kernarg_segment_ptr 1
		.amdhsa_user_sgpr_dispatch_id 0
		.amdhsa_user_sgpr_flat_scratch_init 0
		.amdhsa_user_sgpr_kernarg_preload_length 0
		.amdhsa_user_sgpr_kernarg_preload_offset 0
		.amdhsa_user_sgpr_private_segment_size 0
		.amdhsa_uses_dynamic_stack 0
		.amdhsa_system_sgpr_private_segment_wavefront_offset 0
		.amdhsa_system_sgpr_workgroup_id_x 1
		.amdhsa_system_sgpr_workgroup_id_y 0
		.amdhsa_system_sgpr_workgroup_id_z 0
		.amdhsa_system_sgpr_workgroup_info 0
		.amdhsa_system_vgpr_workitem_id 0
		.amdhsa_next_free_vgpr 1
		.amdhsa_next_free_sgpr 0
		.amdhsa_accum_offset 4
		.amdhsa_reserve_vcc 0
		.amdhsa_reserve_flat_scratch 0
		.amdhsa_float_round_mode_32 0
		.amdhsa_float_round_mode_16_64 0
		.amdhsa_float_denorm_mode_32 3
		.amdhsa_float_denorm_mode_16_64 3
		.amdhsa_dx10_clamp 1
		.amdhsa_ieee_mode 1
		.amdhsa_fp16_overflow 0
		.amdhsa_tg_split 0
		.amdhsa_exception_fp_ieee_invalid_op 0
		.amdhsa_exception_fp_denorm_src 0
		.amdhsa_exception_fp_ieee_div_zero 0
		.amdhsa_exception_fp_ieee_overflow 0
		.amdhsa_exception_fp_ieee_underflow 0
		.amdhsa_exception_fp_ieee_inexact 0
		.amdhsa_exception_int_div_zero 0
	.end_amdhsa_kernel
	.section	.text._ZN7rocprim17ROCPRIM_400000_NS6detail17trampoline_kernelINS0_14default_configENS1_25transform_config_selectorIfLb1EEEZNS1_14transform_implILb1ES3_S5_PfS7_NS0_8identityIfEEEE10hipError_tT2_T3_mT4_P12ihipStream_tbEUlT_E_NS1_11comp_targetILNS1_3genE3ELNS1_11target_archE908ELNS1_3gpuE7ELNS1_3repE0EEENS1_30default_config_static_selectorELNS0_4arch9wavefront6targetE1EEEvT1_,"axG",@progbits,_ZN7rocprim17ROCPRIM_400000_NS6detail17trampoline_kernelINS0_14default_configENS1_25transform_config_selectorIfLb1EEEZNS1_14transform_implILb1ES3_S5_PfS7_NS0_8identityIfEEEE10hipError_tT2_T3_mT4_P12ihipStream_tbEUlT_E_NS1_11comp_targetILNS1_3genE3ELNS1_11target_archE908ELNS1_3gpuE7ELNS1_3repE0EEENS1_30default_config_static_selectorELNS0_4arch9wavefront6targetE1EEEvT1_,comdat
.Lfunc_end1264:
	.size	_ZN7rocprim17ROCPRIM_400000_NS6detail17trampoline_kernelINS0_14default_configENS1_25transform_config_selectorIfLb1EEEZNS1_14transform_implILb1ES3_S5_PfS7_NS0_8identityIfEEEE10hipError_tT2_T3_mT4_P12ihipStream_tbEUlT_E_NS1_11comp_targetILNS1_3genE3ELNS1_11target_archE908ELNS1_3gpuE7ELNS1_3repE0EEENS1_30default_config_static_selectorELNS0_4arch9wavefront6targetE1EEEvT1_, .Lfunc_end1264-_ZN7rocprim17ROCPRIM_400000_NS6detail17trampoline_kernelINS0_14default_configENS1_25transform_config_selectorIfLb1EEEZNS1_14transform_implILb1ES3_S5_PfS7_NS0_8identityIfEEEE10hipError_tT2_T3_mT4_P12ihipStream_tbEUlT_E_NS1_11comp_targetILNS1_3genE3ELNS1_11target_archE908ELNS1_3gpuE7ELNS1_3repE0EEENS1_30default_config_static_selectorELNS0_4arch9wavefront6targetE1EEEvT1_
                                        ; -- End function
	.section	.AMDGPU.csdata,"",@progbits
; Kernel info:
; codeLenInByte = 0
; NumSgprs: 4
; NumVgprs: 0
; NumAgprs: 0
; TotalNumVgprs: 0
; ScratchSize: 0
; MemoryBound: 0
; FloatMode: 240
; IeeeMode: 1
; LDSByteSize: 0 bytes/workgroup (compile time only)
; SGPRBlocks: 0
; VGPRBlocks: 0
; NumSGPRsForWavesPerEU: 4
; NumVGPRsForWavesPerEU: 1
; AccumOffset: 4
; Occupancy: 8
; WaveLimiterHint : 0
; COMPUTE_PGM_RSRC2:SCRATCH_EN: 0
; COMPUTE_PGM_RSRC2:USER_SGPR: 6
; COMPUTE_PGM_RSRC2:TRAP_HANDLER: 0
; COMPUTE_PGM_RSRC2:TGID_X_EN: 1
; COMPUTE_PGM_RSRC2:TGID_Y_EN: 0
; COMPUTE_PGM_RSRC2:TGID_Z_EN: 0
; COMPUTE_PGM_RSRC2:TIDIG_COMP_CNT: 0
; COMPUTE_PGM_RSRC3_GFX90A:ACCUM_OFFSET: 0
; COMPUTE_PGM_RSRC3_GFX90A:TG_SPLIT: 0
	.section	.text._ZN7rocprim17ROCPRIM_400000_NS6detail17trampoline_kernelINS0_14default_configENS1_25transform_config_selectorIfLb1EEEZNS1_14transform_implILb1ES3_S5_PfS7_NS0_8identityIfEEEE10hipError_tT2_T3_mT4_P12ihipStream_tbEUlT_E_NS1_11comp_targetILNS1_3genE2ELNS1_11target_archE906ELNS1_3gpuE6ELNS1_3repE0EEENS1_30default_config_static_selectorELNS0_4arch9wavefront6targetE1EEEvT1_,"axG",@progbits,_ZN7rocprim17ROCPRIM_400000_NS6detail17trampoline_kernelINS0_14default_configENS1_25transform_config_selectorIfLb1EEEZNS1_14transform_implILb1ES3_S5_PfS7_NS0_8identityIfEEEE10hipError_tT2_T3_mT4_P12ihipStream_tbEUlT_E_NS1_11comp_targetILNS1_3genE2ELNS1_11target_archE906ELNS1_3gpuE6ELNS1_3repE0EEENS1_30default_config_static_selectorELNS0_4arch9wavefront6targetE1EEEvT1_,comdat
	.protected	_ZN7rocprim17ROCPRIM_400000_NS6detail17trampoline_kernelINS0_14default_configENS1_25transform_config_selectorIfLb1EEEZNS1_14transform_implILb1ES3_S5_PfS7_NS0_8identityIfEEEE10hipError_tT2_T3_mT4_P12ihipStream_tbEUlT_E_NS1_11comp_targetILNS1_3genE2ELNS1_11target_archE906ELNS1_3gpuE6ELNS1_3repE0EEENS1_30default_config_static_selectorELNS0_4arch9wavefront6targetE1EEEvT1_ ; -- Begin function _ZN7rocprim17ROCPRIM_400000_NS6detail17trampoline_kernelINS0_14default_configENS1_25transform_config_selectorIfLb1EEEZNS1_14transform_implILb1ES3_S5_PfS7_NS0_8identityIfEEEE10hipError_tT2_T3_mT4_P12ihipStream_tbEUlT_E_NS1_11comp_targetILNS1_3genE2ELNS1_11target_archE906ELNS1_3gpuE6ELNS1_3repE0EEENS1_30default_config_static_selectorELNS0_4arch9wavefront6targetE1EEEvT1_
	.globl	_ZN7rocprim17ROCPRIM_400000_NS6detail17trampoline_kernelINS0_14default_configENS1_25transform_config_selectorIfLb1EEEZNS1_14transform_implILb1ES3_S5_PfS7_NS0_8identityIfEEEE10hipError_tT2_T3_mT4_P12ihipStream_tbEUlT_E_NS1_11comp_targetILNS1_3genE2ELNS1_11target_archE906ELNS1_3gpuE6ELNS1_3repE0EEENS1_30default_config_static_selectorELNS0_4arch9wavefront6targetE1EEEvT1_
	.p2align	8
	.type	_ZN7rocprim17ROCPRIM_400000_NS6detail17trampoline_kernelINS0_14default_configENS1_25transform_config_selectorIfLb1EEEZNS1_14transform_implILb1ES3_S5_PfS7_NS0_8identityIfEEEE10hipError_tT2_T3_mT4_P12ihipStream_tbEUlT_E_NS1_11comp_targetILNS1_3genE2ELNS1_11target_archE906ELNS1_3gpuE6ELNS1_3repE0EEENS1_30default_config_static_selectorELNS0_4arch9wavefront6targetE1EEEvT1_,@function
_ZN7rocprim17ROCPRIM_400000_NS6detail17trampoline_kernelINS0_14default_configENS1_25transform_config_selectorIfLb1EEEZNS1_14transform_implILb1ES3_S5_PfS7_NS0_8identityIfEEEE10hipError_tT2_T3_mT4_P12ihipStream_tbEUlT_E_NS1_11comp_targetILNS1_3genE2ELNS1_11target_archE906ELNS1_3gpuE6ELNS1_3repE0EEENS1_30default_config_static_selectorELNS0_4arch9wavefront6targetE1EEEvT1_: ; @_ZN7rocprim17ROCPRIM_400000_NS6detail17trampoline_kernelINS0_14default_configENS1_25transform_config_selectorIfLb1EEEZNS1_14transform_implILb1ES3_S5_PfS7_NS0_8identityIfEEEE10hipError_tT2_T3_mT4_P12ihipStream_tbEUlT_E_NS1_11comp_targetILNS1_3genE2ELNS1_11target_archE906ELNS1_3gpuE6ELNS1_3repE0EEENS1_30default_config_static_selectorELNS0_4arch9wavefront6targetE1EEEvT1_
; %bb.0:
	.section	.rodata,"a",@progbits
	.p2align	6, 0x0
	.amdhsa_kernel _ZN7rocprim17ROCPRIM_400000_NS6detail17trampoline_kernelINS0_14default_configENS1_25transform_config_selectorIfLb1EEEZNS1_14transform_implILb1ES3_S5_PfS7_NS0_8identityIfEEEE10hipError_tT2_T3_mT4_P12ihipStream_tbEUlT_E_NS1_11comp_targetILNS1_3genE2ELNS1_11target_archE906ELNS1_3gpuE6ELNS1_3repE0EEENS1_30default_config_static_selectorELNS0_4arch9wavefront6targetE1EEEvT1_
		.amdhsa_group_segment_fixed_size 0
		.amdhsa_private_segment_fixed_size 0
		.amdhsa_kernarg_size 40
		.amdhsa_user_sgpr_count 6
		.amdhsa_user_sgpr_private_segment_buffer 1
		.amdhsa_user_sgpr_dispatch_ptr 0
		.amdhsa_user_sgpr_queue_ptr 0
		.amdhsa_user_sgpr_kernarg_segment_ptr 1
		.amdhsa_user_sgpr_dispatch_id 0
		.amdhsa_user_sgpr_flat_scratch_init 0
		.amdhsa_user_sgpr_kernarg_preload_length 0
		.amdhsa_user_sgpr_kernarg_preload_offset 0
		.amdhsa_user_sgpr_private_segment_size 0
		.amdhsa_uses_dynamic_stack 0
		.amdhsa_system_sgpr_private_segment_wavefront_offset 0
		.amdhsa_system_sgpr_workgroup_id_x 1
		.amdhsa_system_sgpr_workgroup_id_y 0
		.amdhsa_system_sgpr_workgroup_id_z 0
		.amdhsa_system_sgpr_workgroup_info 0
		.amdhsa_system_vgpr_workitem_id 0
		.amdhsa_next_free_vgpr 1
		.amdhsa_next_free_sgpr 0
		.amdhsa_accum_offset 4
		.amdhsa_reserve_vcc 0
		.amdhsa_reserve_flat_scratch 0
		.amdhsa_float_round_mode_32 0
		.amdhsa_float_round_mode_16_64 0
		.amdhsa_float_denorm_mode_32 3
		.amdhsa_float_denorm_mode_16_64 3
		.amdhsa_dx10_clamp 1
		.amdhsa_ieee_mode 1
		.amdhsa_fp16_overflow 0
		.amdhsa_tg_split 0
		.amdhsa_exception_fp_ieee_invalid_op 0
		.amdhsa_exception_fp_denorm_src 0
		.amdhsa_exception_fp_ieee_div_zero 0
		.amdhsa_exception_fp_ieee_overflow 0
		.amdhsa_exception_fp_ieee_underflow 0
		.amdhsa_exception_fp_ieee_inexact 0
		.amdhsa_exception_int_div_zero 0
	.end_amdhsa_kernel
	.section	.text._ZN7rocprim17ROCPRIM_400000_NS6detail17trampoline_kernelINS0_14default_configENS1_25transform_config_selectorIfLb1EEEZNS1_14transform_implILb1ES3_S5_PfS7_NS0_8identityIfEEEE10hipError_tT2_T3_mT4_P12ihipStream_tbEUlT_E_NS1_11comp_targetILNS1_3genE2ELNS1_11target_archE906ELNS1_3gpuE6ELNS1_3repE0EEENS1_30default_config_static_selectorELNS0_4arch9wavefront6targetE1EEEvT1_,"axG",@progbits,_ZN7rocprim17ROCPRIM_400000_NS6detail17trampoline_kernelINS0_14default_configENS1_25transform_config_selectorIfLb1EEEZNS1_14transform_implILb1ES3_S5_PfS7_NS0_8identityIfEEEE10hipError_tT2_T3_mT4_P12ihipStream_tbEUlT_E_NS1_11comp_targetILNS1_3genE2ELNS1_11target_archE906ELNS1_3gpuE6ELNS1_3repE0EEENS1_30default_config_static_selectorELNS0_4arch9wavefront6targetE1EEEvT1_,comdat
.Lfunc_end1265:
	.size	_ZN7rocprim17ROCPRIM_400000_NS6detail17trampoline_kernelINS0_14default_configENS1_25transform_config_selectorIfLb1EEEZNS1_14transform_implILb1ES3_S5_PfS7_NS0_8identityIfEEEE10hipError_tT2_T3_mT4_P12ihipStream_tbEUlT_E_NS1_11comp_targetILNS1_3genE2ELNS1_11target_archE906ELNS1_3gpuE6ELNS1_3repE0EEENS1_30default_config_static_selectorELNS0_4arch9wavefront6targetE1EEEvT1_, .Lfunc_end1265-_ZN7rocprim17ROCPRIM_400000_NS6detail17trampoline_kernelINS0_14default_configENS1_25transform_config_selectorIfLb1EEEZNS1_14transform_implILb1ES3_S5_PfS7_NS0_8identityIfEEEE10hipError_tT2_T3_mT4_P12ihipStream_tbEUlT_E_NS1_11comp_targetILNS1_3genE2ELNS1_11target_archE906ELNS1_3gpuE6ELNS1_3repE0EEENS1_30default_config_static_selectorELNS0_4arch9wavefront6targetE1EEEvT1_
                                        ; -- End function
	.section	.AMDGPU.csdata,"",@progbits
; Kernel info:
; codeLenInByte = 0
; NumSgprs: 4
; NumVgprs: 0
; NumAgprs: 0
; TotalNumVgprs: 0
; ScratchSize: 0
; MemoryBound: 0
; FloatMode: 240
; IeeeMode: 1
; LDSByteSize: 0 bytes/workgroup (compile time only)
; SGPRBlocks: 0
; VGPRBlocks: 0
; NumSGPRsForWavesPerEU: 4
; NumVGPRsForWavesPerEU: 1
; AccumOffset: 4
; Occupancy: 8
; WaveLimiterHint : 0
; COMPUTE_PGM_RSRC2:SCRATCH_EN: 0
; COMPUTE_PGM_RSRC2:USER_SGPR: 6
; COMPUTE_PGM_RSRC2:TRAP_HANDLER: 0
; COMPUTE_PGM_RSRC2:TGID_X_EN: 1
; COMPUTE_PGM_RSRC2:TGID_Y_EN: 0
; COMPUTE_PGM_RSRC2:TGID_Z_EN: 0
; COMPUTE_PGM_RSRC2:TIDIG_COMP_CNT: 0
; COMPUTE_PGM_RSRC3_GFX90A:ACCUM_OFFSET: 0
; COMPUTE_PGM_RSRC3_GFX90A:TG_SPLIT: 0
	.section	.text._ZN7rocprim17ROCPRIM_400000_NS6detail17trampoline_kernelINS0_14default_configENS1_25transform_config_selectorIfLb1EEEZNS1_14transform_implILb1ES3_S5_PfS7_NS0_8identityIfEEEE10hipError_tT2_T3_mT4_P12ihipStream_tbEUlT_E_NS1_11comp_targetILNS1_3genE9ELNS1_11target_archE1100ELNS1_3gpuE3ELNS1_3repE0EEENS1_30default_config_static_selectorELNS0_4arch9wavefront6targetE1EEEvT1_,"axG",@progbits,_ZN7rocprim17ROCPRIM_400000_NS6detail17trampoline_kernelINS0_14default_configENS1_25transform_config_selectorIfLb1EEEZNS1_14transform_implILb1ES3_S5_PfS7_NS0_8identityIfEEEE10hipError_tT2_T3_mT4_P12ihipStream_tbEUlT_E_NS1_11comp_targetILNS1_3genE9ELNS1_11target_archE1100ELNS1_3gpuE3ELNS1_3repE0EEENS1_30default_config_static_selectorELNS0_4arch9wavefront6targetE1EEEvT1_,comdat
	.protected	_ZN7rocprim17ROCPRIM_400000_NS6detail17trampoline_kernelINS0_14default_configENS1_25transform_config_selectorIfLb1EEEZNS1_14transform_implILb1ES3_S5_PfS7_NS0_8identityIfEEEE10hipError_tT2_T3_mT4_P12ihipStream_tbEUlT_E_NS1_11comp_targetILNS1_3genE9ELNS1_11target_archE1100ELNS1_3gpuE3ELNS1_3repE0EEENS1_30default_config_static_selectorELNS0_4arch9wavefront6targetE1EEEvT1_ ; -- Begin function _ZN7rocprim17ROCPRIM_400000_NS6detail17trampoline_kernelINS0_14default_configENS1_25transform_config_selectorIfLb1EEEZNS1_14transform_implILb1ES3_S5_PfS7_NS0_8identityIfEEEE10hipError_tT2_T3_mT4_P12ihipStream_tbEUlT_E_NS1_11comp_targetILNS1_3genE9ELNS1_11target_archE1100ELNS1_3gpuE3ELNS1_3repE0EEENS1_30default_config_static_selectorELNS0_4arch9wavefront6targetE1EEEvT1_
	.globl	_ZN7rocprim17ROCPRIM_400000_NS6detail17trampoline_kernelINS0_14default_configENS1_25transform_config_selectorIfLb1EEEZNS1_14transform_implILb1ES3_S5_PfS7_NS0_8identityIfEEEE10hipError_tT2_T3_mT4_P12ihipStream_tbEUlT_E_NS1_11comp_targetILNS1_3genE9ELNS1_11target_archE1100ELNS1_3gpuE3ELNS1_3repE0EEENS1_30default_config_static_selectorELNS0_4arch9wavefront6targetE1EEEvT1_
	.p2align	8
	.type	_ZN7rocprim17ROCPRIM_400000_NS6detail17trampoline_kernelINS0_14default_configENS1_25transform_config_selectorIfLb1EEEZNS1_14transform_implILb1ES3_S5_PfS7_NS0_8identityIfEEEE10hipError_tT2_T3_mT4_P12ihipStream_tbEUlT_E_NS1_11comp_targetILNS1_3genE9ELNS1_11target_archE1100ELNS1_3gpuE3ELNS1_3repE0EEENS1_30default_config_static_selectorELNS0_4arch9wavefront6targetE1EEEvT1_,@function
_ZN7rocprim17ROCPRIM_400000_NS6detail17trampoline_kernelINS0_14default_configENS1_25transform_config_selectorIfLb1EEEZNS1_14transform_implILb1ES3_S5_PfS7_NS0_8identityIfEEEE10hipError_tT2_T3_mT4_P12ihipStream_tbEUlT_E_NS1_11comp_targetILNS1_3genE9ELNS1_11target_archE1100ELNS1_3gpuE3ELNS1_3repE0EEENS1_30default_config_static_selectorELNS0_4arch9wavefront6targetE1EEEvT1_: ; @_ZN7rocprim17ROCPRIM_400000_NS6detail17trampoline_kernelINS0_14default_configENS1_25transform_config_selectorIfLb1EEEZNS1_14transform_implILb1ES3_S5_PfS7_NS0_8identityIfEEEE10hipError_tT2_T3_mT4_P12ihipStream_tbEUlT_E_NS1_11comp_targetILNS1_3genE9ELNS1_11target_archE1100ELNS1_3gpuE3ELNS1_3repE0EEENS1_30default_config_static_selectorELNS0_4arch9wavefront6targetE1EEEvT1_
; %bb.0:
	.section	.rodata,"a",@progbits
	.p2align	6, 0x0
	.amdhsa_kernel _ZN7rocprim17ROCPRIM_400000_NS6detail17trampoline_kernelINS0_14default_configENS1_25transform_config_selectorIfLb1EEEZNS1_14transform_implILb1ES3_S5_PfS7_NS0_8identityIfEEEE10hipError_tT2_T3_mT4_P12ihipStream_tbEUlT_E_NS1_11comp_targetILNS1_3genE9ELNS1_11target_archE1100ELNS1_3gpuE3ELNS1_3repE0EEENS1_30default_config_static_selectorELNS0_4arch9wavefront6targetE1EEEvT1_
		.amdhsa_group_segment_fixed_size 0
		.amdhsa_private_segment_fixed_size 0
		.amdhsa_kernarg_size 40
		.amdhsa_user_sgpr_count 6
		.amdhsa_user_sgpr_private_segment_buffer 1
		.amdhsa_user_sgpr_dispatch_ptr 0
		.amdhsa_user_sgpr_queue_ptr 0
		.amdhsa_user_sgpr_kernarg_segment_ptr 1
		.amdhsa_user_sgpr_dispatch_id 0
		.amdhsa_user_sgpr_flat_scratch_init 0
		.amdhsa_user_sgpr_kernarg_preload_length 0
		.amdhsa_user_sgpr_kernarg_preload_offset 0
		.amdhsa_user_sgpr_private_segment_size 0
		.amdhsa_uses_dynamic_stack 0
		.amdhsa_system_sgpr_private_segment_wavefront_offset 0
		.amdhsa_system_sgpr_workgroup_id_x 1
		.amdhsa_system_sgpr_workgroup_id_y 0
		.amdhsa_system_sgpr_workgroup_id_z 0
		.amdhsa_system_sgpr_workgroup_info 0
		.amdhsa_system_vgpr_workitem_id 0
		.amdhsa_next_free_vgpr 1
		.amdhsa_next_free_sgpr 0
		.amdhsa_accum_offset 4
		.amdhsa_reserve_vcc 0
		.amdhsa_reserve_flat_scratch 0
		.amdhsa_float_round_mode_32 0
		.amdhsa_float_round_mode_16_64 0
		.amdhsa_float_denorm_mode_32 3
		.amdhsa_float_denorm_mode_16_64 3
		.amdhsa_dx10_clamp 1
		.amdhsa_ieee_mode 1
		.amdhsa_fp16_overflow 0
		.amdhsa_tg_split 0
		.amdhsa_exception_fp_ieee_invalid_op 0
		.amdhsa_exception_fp_denorm_src 0
		.amdhsa_exception_fp_ieee_div_zero 0
		.amdhsa_exception_fp_ieee_overflow 0
		.amdhsa_exception_fp_ieee_underflow 0
		.amdhsa_exception_fp_ieee_inexact 0
		.amdhsa_exception_int_div_zero 0
	.end_amdhsa_kernel
	.section	.text._ZN7rocprim17ROCPRIM_400000_NS6detail17trampoline_kernelINS0_14default_configENS1_25transform_config_selectorIfLb1EEEZNS1_14transform_implILb1ES3_S5_PfS7_NS0_8identityIfEEEE10hipError_tT2_T3_mT4_P12ihipStream_tbEUlT_E_NS1_11comp_targetILNS1_3genE9ELNS1_11target_archE1100ELNS1_3gpuE3ELNS1_3repE0EEENS1_30default_config_static_selectorELNS0_4arch9wavefront6targetE1EEEvT1_,"axG",@progbits,_ZN7rocprim17ROCPRIM_400000_NS6detail17trampoline_kernelINS0_14default_configENS1_25transform_config_selectorIfLb1EEEZNS1_14transform_implILb1ES3_S5_PfS7_NS0_8identityIfEEEE10hipError_tT2_T3_mT4_P12ihipStream_tbEUlT_E_NS1_11comp_targetILNS1_3genE9ELNS1_11target_archE1100ELNS1_3gpuE3ELNS1_3repE0EEENS1_30default_config_static_selectorELNS0_4arch9wavefront6targetE1EEEvT1_,comdat
.Lfunc_end1266:
	.size	_ZN7rocprim17ROCPRIM_400000_NS6detail17trampoline_kernelINS0_14default_configENS1_25transform_config_selectorIfLb1EEEZNS1_14transform_implILb1ES3_S5_PfS7_NS0_8identityIfEEEE10hipError_tT2_T3_mT4_P12ihipStream_tbEUlT_E_NS1_11comp_targetILNS1_3genE9ELNS1_11target_archE1100ELNS1_3gpuE3ELNS1_3repE0EEENS1_30default_config_static_selectorELNS0_4arch9wavefront6targetE1EEEvT1_, .Lfunc_end1266-_ZN7rocprim17ROCPRIM_400000_NS6detail17trampoline_kernelINS0_14default_configENS1_25transform_config_selectorIfLb1EEEZNS1_14transform_implILb1ES3_S5_PfS7_NS0_8identityIfEEEE10hipError_tT2_T3_mT4_P12ihipStream_tbEUlT_E_NS1_11comp_targetILNS1_3genE9ELNS1_11target_archE1100ELNS1_3gpuE3ELNS1_3repE0EEENS1_30default_config_static_selectorELNS0_4arch9wavefront6targetE1EEEvT1_
                                        ; -- End function
	.section	.AMDGPU.csdata,"",@progbits
; Kernel info:
; codeLenInByte = 0
; NumSgprs: 4
; NumVgprs: 0
; NumAgprs: 0
; TotalNumVgprs: 0
; ScratchSize: 0
; MemoryBound: 0
; FloatMode: 240
; IeeeMode: 1
; LDSByteSize: 0 bytes/workgroup (compile time only)
; SGPRBlocks: 0
; VGPRBlocks: 0
; NumSGPRsForWavesPerEU: 4
; NumVGPRsForWavesPerEU: 1
; AccumOffset: 4
; Occupancy: 8
; WaveLimiterHint : 0
; COMPUTE_PGM_RSRC2:SCRATCH_EN: 0
; COMPUTE_PGM_RSRC2:USER_SGPR: 6
; COMPUTE_PGM_RSRC2:TRAP_HANDLER: 0
; COMPUTE_PGM_RSRC2:TGID_X_EN: 1
; COMPUTE_PGM_RSRC2:TGID_Y_EN: 0
; COMPUTE_PGM_RSRC2:TGID_Z_EN: 0
; COMPUTE_PGM_RSRC2:TIDIG_COMP_CNT: 0
; COMPUTE_PGM_RSRC3_GFX90A:ACCUM_OFFSET: 0
; COMPUTE_PGM_RSRC3_GFX90A:TG_SPLIT: 0
	.section	.text._ZN7rocprim17ROCPRIM_400000_NS6detail17trampoline_kernelINS0_14default_configENS1_25transform_config_selectorIfLb1EEEZNS1_14transform_implILb1ES3_S5_PfS7_NS0_8identityIfEEEE10hipError_tT2_T3_mT4_P12ihipStream_tbEUlT_E_NS1_11comp_targetILNS1_3genE8ELNS1_11target_archE1030ELNS1_3gpuE2ELNS1_3repE0EEENS1_30default_config_static_selectorELNS0_4arch9wavefront6targetE1EEEvT1_,"axG",@progbits,_ZN7rocprim17ROCPRIM_400000_NS6detail17trampoline_kernelINS0_14default_configENS1_25transform_config_selectorIfLb1EEEZNS1_14transform_implILb1ES3_S5_PfS7_NS0_8identityIfEEEE10hipError_tT2_T3_mT4_P12ihipStream_tbEUlT_E_NS1_11comp_targetILNS1_3genE8ELNS1_11target_archE1030ELNS1_3gpuE2ELNS1_3repE0EEENS1_30default_config_static_selectorELNS0_4arch9wavefront6targetE1EEEvT1_,comdat
	.protected	_ZN7rocprim17ROCPRIM_400000_NS6detail17trampoline_kernelINS0_14default_configENS1_25transform_config_selectorIfLb1EEEZNS1_14transform_implILb1ES3_S5_PfS7_NS0_8identityIfEEEE10hipError_tT2_T3_mT4_P12ihipStream_tbEUlT_E_NS1_11comp_targetILNS1_3genE8ELNS1_11target_archE1030ELNS1_3gpuE2ELNS1_3repE0EEENS1_30default_config_static_selectorELNS0_4arch9wavefront6targetE1EEEvT1_ ; -- Begin function _ZN7rocprim17ROCPRIM_400000_NS6detail17trampoline_kernelINS0_14default_configENS1_25transform_config_selectorIfLb1EEEZNS1_14transform_implILb1ES3_S5_PfS7_NS0_8identityIfEEEE10hipError_tT2_T3_mT4_P12ihipStream_tbEUlT_E_NS1_11comp_targetILNS1_3genE8ELNS1_11target_archE1030ELNS1_3gpuE2ELNS1_3repE0EEENS1_30default_config_static_selectorELNS0_4arch9wavefront6targetE1EEEvT1_
	.globl	_ZN7rocprim17ROCPRIM_400000_NS6detail17trampoline_kernelINS0_14default_configENS1_25transform_config_selectorIfLb1EEEZNS1_14transform_implILb1ES3_S5_PfS7_NS0_8identityIfEEEE10hipError_tT2_T3_mT4_P12ihipStream_tbEUlT_E_NS1_11comp_targetILNS1_3genE8ELNS1_11target_archE1030ELNS1_3gpuE2ELNS1_3repE0EEENS1_30default_config_static_selectorELNS0_4arch9wavefront6targetE1EEEvT1_
	.p2align	8
	.type	_ZN7rocprim17ROCPRIM_400000_NS6detail17trampoline_kernelINS0_14default_configENS1_25transform_config_selectorIfLb1EEEZNS1_14transform_implILb1ES3_S5_PfS7_NS0_8identityIfEEEE10hipError_tT2_T3_mT4_P12ihipStream_tbEUlT_E_NS1_11comp_targetILNS1_3genE8ELNS1_11target_archE1030ELNS1_3gpuE2ELNS1_3repE0EEENS1_30default_config_static_selectorELNS0_4arch9wavefront6targetE1EEEvT1_,@function
_ZN7rocprim17ROCPRIM_400000_NS6detail17trampoline_kernelINS0_14default_configENS1_25transform_config_selectorIfLb1EEEZNS1_14transform_implILb1ES3_S5_PfS7_NS0_8identityIfEEEE10hipError_tT2_T3_mT4_P12ihipStream_tbEUlT_E_NS1_11comp_targetILNS1_3genE8ELNS1_11target_archE1030ELNS1_3gpuE2ELNS1_3repE0EEENS1_30default_config_static_selectorELNS0_4arch9wavefront6targetE1EEEvT1_: ; @_ZN7rocprim17ROCPRIM_400000_NS6detail17trampoline_kernelINS0_14default_configENS1_25transform_config_selectorIfLb1EEEZNS1_14transform_implILb1ES3_S5_PfS7_NS0_8identityIfEEEE10hipError_tT2_T3_mT4_P12ihipStream_tbEUlT_E_NS1_11comp_targetILNS1_3genE8ELNS1_11target_archE1030ELNS1_3gpuE2ELNS1_3repE0EEENS1_30default_config_static_selectorELNS0_4arch9wavefront6targetE1EEEvT1_
; %bb.0:
	.section	.rodata,"a",@progbits
	.p2align	6, 0x0
	.amdhsa_kernel _ZN7rocprim17ROCPRIM_400000_NS6detail17trampoline_kernelINS0_14default_configENS1_25transform_config_selectorIfLb1EEEZNS1_14transform_implILb1ES3_S5_PfS7_NS0_8identityIfEEEE10hipError_tT2_T3_mT4_P12ihipStream_tbEUlT_E_NS1_11comp_targetILNS1_3genE8ELNS1_11target_archE1030ELNS1_3gpuE2ELNS1_3repE0EEENS1_30default_config_static_selectorELNS0_4arch9wavefront6targetE1EEEvT1_
		.amdhsa_group_segment_fixed_size 0
		.amdhsa_private_segment_fixed_size 0
		.amdhsa_kernarg_size 40
		.amdhsa_user_sgpr_count 6
		.amdhsa_user_sgpr_private_segment_buffer 1
		.amdhsa_user_sgpr_dispatch_ptr 0
		.amdhsa_user_sgpr_queue_ptr 0
		.amdhsa_user_sgpr_kernarg_segment_ptr 1
		.amdhsa_user_sgpr_dispatch_id 0
		.amdhsa_user_sgpr_flat_scratch_init 0
		.amdhsa_user_sgpr_kernarg_preload_length 0
		.amdhsa_user_sgpr_kernarg_preload_offset 0
		.amdhsa_user_sgpr_private_segment_size 0
		.amdhsa_uses_dynamic_stack 0
		.amdhsa_system_sgpr_private_segment_wavefront_offset 0
		.amdhsa_system_sgpr_workgroup_id_x 1
		.amdhsa_system_sgpr_workgroup_id_y 0
		.amdhsa_system_sgpr_workgroup_id_z 0
		.amdhsa_system_sgpr_workgroup_info 0
		.amdhsa_system_vgpr_workitem_id 0
		.amdhsa_next_free_vgpr 1
		.amdhsa_next_free_sgpr 0
		.amdhsa_accum_offset 4
		.amdhsa_reserve_vcc 0
		.amdhsa_reserve_flat_scratch 0
		.amdhsa_float_round_mode_32 0
		.amdhsa_float_round_mode_16_64 0
		.amdhsa_float_denorm_mode_32 3
		.amdhsa_float_denorm_mode_16_64 3
		.amdhsa_dx10_clamp 1
		.amdhsa_ieee_mode 1
		.amdhsa_fp16_overflow 0
		.amdhsa_tg_split 0
		.amdhsa_exception_fp_ieee_invalid_op 0
		.amdhsa_exception_fp_denorm_src 0
		.amdhsa_exception_fp_ieee_div_zero 0
		.amdhsa_exception_fp_ieee_overflow 0
		.amdhsa_exception_fp_ieee_underflow 0
		.amdhsa_exception_fp_ieee_inexact 0
		.amdhsa_exception_int_div_zero 0
	.end_amdhsa_kernel
	.section	.text._ZN7rocprim17ROCPRIM_400000_NS6detail17trampoline_kernelINS0_14default_configENS1_25transform_config_selectorIfLb1EEEZNS1_14transform_implILb1ES3_S5_PfS7_NS0_8identityIfEEEE10hipError_tT2_T3_mT4_P12ihipStream_tbEUlT_E_NS1_11comp_targetILNS1_3genE8ELNS1_11target_archE1030ELNS1_3gpuE2ELNS1_3repE0EEENS1_30default_config_static_selectorELNS0_4arch9wavefront6targetE1EEEvT1_,"axG",@progbits,_ZN7rocprim17ROCPRIM_400000_NS6detail17trampoline_kernelINS0_14default_configENS1_25transform_config_selectorIfLb1EEEZNS1_14transform_implILb1ES3_S5_PfS7_NS0_8identityIfEEEE10hipError_tT2_T3_mT4_P12ihipStream_tbEUlT_E_NS1_11comp_targetILNS1_3genE8ELNS1_11target_archE1030ELNS1_3gpuE2ELNS1_3repE0EEENS1_30default_config_static_selectorELNS0_4arch9wavefront6targetE1EEEvT1_,comdat
.Lfunc_end1267:
	.size	_ZN7rocprim17ROCPRIM_400000_NS6detail17trampoline_kernelINS0_14default_configENS1_25transform_config_selectorIfLb1EEEZNS1_14transform_implILb1ES3_S5_PfS7_NS0_8identityIfEEEE10hipError_tT2_T3_mT4_P12ihipStream_tbEUlT_E_NS1_11comp_targetILNS1_3genE8ELNS1_11target_archE1030ELNS1_3gpuE2ELNS1_3repE0EEENS1_30default_config_static_selectorELNS0_4arch9wavefront6targetE1EEEvT1_, .Lfunc_end1267-_ZN7rocprim17ROCPRIM_400000_NS6detail17trampoline_kernelINS0_14default_configENS1_25transform_config_selectorIfLb1EEEZNS1_14transform_implILb1ES3_S5_PfS7_NS0_8identityIfEEEE10hipError_tT2_T3_mT4_P12ihipStream_tbEUlT_E_NS1_11comp_targetILNS1_3genE8ELNS1_11target_archE1030ELNS1_3gpuE2ELNS1_3repE0EEENS1_30default_config_static_selectorELNS0_4arch9wavefront6targetE1EEEvT1_
                                        ; -- End function
	.section	.AMDGPU.csdata,"",@progbits
; Kernel info:
; codeLenInByte = 0
; NumSgprs: 4
; NumVgprs: 0
; NumAgprs: 0
; TotalNumVgprs: 0
; ScratchSize: 0
; MemoryBound: 0
; FloatMode: 240
; IeeeMode: 1
; LDSByteSize: 0 bytes/workgroup (compile time only)
; SGPRBlocks: 0
; VGPRBlocks: 0
; NumSGPRsForWavesPerEU: 4
; NumVGPRsForWavesPerEU: 1
; AccumOffset: 4
; Occupancy: 8
; WaveLimiterHint : 0
; COMPUTE_PGM_RSRC2:SCRATCH_EN: 0
; COMPUTE_PGM_RSRC2:USER_SGPR: 6
; COMPUTE_PGM_RSRC2:TRAP_HANDLER: 0
; COMPUTE_PGM_RSRC2:TGID_X_EN: 1
; COMPUTE_PGM_RSRC2:TGID_Y_EN: 0
; COMPUTE_PGM_RSRC2:TGID_Z_EN: 0
; COMPUTE_PGM_RSRC2:TIDIG_COMP_CNT: 0
; COMPUTE_PGM_RSRC3_GFX90A:ACCUM_OFFSET: 0
; COMPUTE_PGM_RSRC3_GFX90A:TG_SPLIT: 0
	.section	.text._ZN7rocprim17ROCPRIM_400000_NS6detail17trampoline_kernelINS0_14default_configENS1_35radix_sort_onesweep_config_selectorIfNS0_10empty_typeEEEZNS1_34radix_sort_onesweep_global_offsetsIS3_Lb0EPfPS5_mNS0_19identity_decomposerEEE10hipError_tT1_T2_PT3_SE_jT4_jjP12ihipStream_tbEUlT_E_NS1_11comp_targetILNS1_3genE0ELNS1_11target_archE4294967295ELNS1_3gpuE0ELNS1_3repE0EEENS1_52radix_sort_onesweep_histogram_config_static_selectorELNS0_4arch9wavefront6targetE1EEEvSC_,"axG",@progbits,_ZN7rocprim17ROCPRIM_400000_NS6detail17trampoline_kernelINS0_14default_configENS1_35radix_sort_onesweep_config_selectorIfNS0_10empty_typeEEEZNS1_34radix_sort_onesweep_global_offsetsIS3_Lb0EPfPS5_mNS0_19identity_decomposerEEE10hipError_tT1_T2_PT3_SE_jT4_jjP12ihipStream_tbEUlT_E_NS1_11comp_targetILNS1_3genE0ELNS1_11target_archE4294967295ELNS1_3gpuE0ELNS1_3repE0EEENS1_52radix_sort_onesweep_histogram_config_static_selectorELNS0_4arch9wavefront6targetE1EEEvSC_,comdat
	.protected	_ZN7rocprim17ROCPRIM_400000_NS6detail17trampoline_kernelINS0_14default_configENS1_35radix_sort_onesweep_config_selectorIfNS0_10empty_typeEEEZNS1_34radix_sort_onesweep_global_offsetsIS3_Lb0EPfPS5_mNS0_19identity_decomposerEEE10hipError_tT1_T2_PT3_SE_jT4_jjP12ihipStream_tbEUlT_E_NS1_11comp_targetILNS1_3genE0ELNS1_11target_archE4294967295ELNS1_3gpuE0ELNS1_3repE0EEENS1_52radix_sort_onesweep_histogram_config_static_selectorELNS0_4arch9wavefront6targetE1EEEvSC_ ; -- Begin function _ZN7rocprim17ROCPRIM_400000_NS6detail17trampoline_kernelINS0_14default_configENS1_35radix_sort_onesweep_config_selectorIfNS0_10empty_typeEEEZNS1_34radix_sort_onesweep_global_offsetsIS3_Lb0EPfPS5_mNS0_19identity_decomposerEEE10hipError_tT1_T2_PT3_SE_jT4_jjP12ihipStream_tbEUlT_E_NS1_11comp_targetILNS1_3genE0ELNS1_11target_archE4294967295ELNS1_3gpuE0ELNS1_3repE0EEENS1_52radix_sort_onesweep_histogram_config_static_selectorELNS0_4arch9wavefront6targetE1EEEvSC_
	.globl	_ZN7rocprim17ROCPRIM_400000_NS6detail17trampoline_kernelINS0_14default_configENS1_35radix_sort_onesweep_config_selectorIfNS0_10empty_typeEEEZNS1_34radix_sort_onesweep_global_offsetsIS3_Lb0EPfPS5_mNS0_19identity_decomposerEEE10hipError_tT1_T2_PT3_SE_jT4_jjP12ihipStream_tbEUlT_E_NS1_11comp_targetILNS1_3genE0ELNS1_11target_archE4294967295ELNS1_3gpuE0ELNS1_3repE0EEENS1_52radix_sort_onesweep_histogram_config_static_selectorELNS0_4arch9wavefront6targetE1EEEvSC_
	.p2align	8
	.type	_ZN7rocprim17ROCPRIM_400000_NS6detail17trampoline_kernelINS0_14default_configENS1_35radix_sort_onesweep_config_selectorIfNS0_10empty_typeEEEZNS1_34radix_sort_onesweep_global_offsetsIS3_Lb0EPfPS5_mNS0_19identity_decomposerEEE10hipError_tT1_T2_PT3_SE_jT4_jjP12ihipStream_tbEUlT_E_NS1_11comp_targetILNS1_3genE0ELNS1_11target_archE4294967295ELNS1_3gpuE0ELNS1_3repE0EEENS1_52radix_sort_onesweep_histogram_config_static_selectorELNS0_4arch9wavefront6targetE1EEEvSC_,@function
_ZN7rocprim17ROCPRIM_400000_NS6detail17trampoline_kernelINS0_14default_configENS1_35radix_sort_onesweep_config_selectorIfNS0_10empty_typeEEEZNS1_34radix_sort_onesweep_global_offsetsIS3_Lb0EPfPS5_mNS0_19identity_decomposerEEE10hipError_tT1_T2_PT3_SE_jT4_jjP12ihipStream_tbEUlT_E_NS1_11comp_targetILNS1_3genE0ELNS1_11target_archE4294967295ELNS1_3gpuE0ELNS1_3repE0EEENS1_52radix_sort_onesweep_histogram_config_static_selectorELNS0_4arch9wavefront6targetE1EEEvSC_: ; @_ZN7rocprim17ROCPRIM_400000_NS6detail17trampoline_kernelINS0_14default_configENS1_35radix_sort_onesweep_config_selectorIfNS0_10empty_typeEEEZNS1_34radix_sort_onesweep_global_offsetsIS3_Lb0EPfPS5_mNS0_19identity_decomposerEEE10hipError_tT1_T2_PT3_SE_jT4_jjP12ihipStream_tbEUlT_E_NS1_11comp_targetILNS1_3genE0ELNS1_11target_archE4294967295ELNS1_3gpuE0ELNS1_3repE0EEENS1_52radix_sort_onesweep_histogram_config_static_selectorELNS0_4arch9wavefront6targetE1EEEvSC_
; %bb.0:
	.section	.rodata,"a",@progbits
	.p2align	6, 0x0
	.amdhsa_kernel _ZN7rocprim17ROCPRIM_400000_NS6detail17trampoline_kernelINS0_14default_configENS1_35radix_sort_onesweep_config_selectorIfNS0_10empty_typeEEEZNS1_34radix_sort_onesweep_global_offsetsIS3_Lb0EPfPS5_mNS0_19identity_decomposerEEE10hipError_tT1_T2_PT3_SE_jT4_jjP12ihipStream_tbEUlT_E_NS1_11comp_targetILNS1_3genE0ELNS1_11target_archE4294967295ELNS1_3gpuE0ELNS1_3repE0EEENS1_52radix_sort_onesweep_histogram_config_static_selectorELNS0_4arch9wavefront6targetE1EEEvSC_
		.amdhsa_group_segment_fixed_size 0
		.amdhsa_private_segment_fixed_size 0
		.amdhsa_kernarg_size 48
		.amdhsa_user_sgpr_count 6
		.amdhsa_user_sgpr_private_segment_buffer 1
		.amdhsa_user_sgpr_dispatch_ptr 0
		.amdhsa_user_sgpr_queue_ptr 0
		.amdhsa_user_sgpr_kernarg_segment_ptr 1
		.amdhsa_user_sgpr_dispatch_id 0
		.amdhsa_user_sgpr_flat_scratch_init 0
		.amdhsa_user_sgpr_kernarg_preload_length 0
		.amdhsa_user_sgpr_kernarg_preload_offset 0
		.amdhsa_user_sgpr_private_segment_size 0
		.amdhsa_uses_dynamic_stack 0
		.amdhsa_system_sgpr_private_segment_wavefront_offset 0
		.amdhsa_system_sgpr_workgroup_id_x 1
		.amdhsa_system_sgpr_workgroup_id_y 0
		.amdhsa_system_sgpr_workgroup_id_z 0
		.amdhsa_system_sgpr_workgroup_info 0
		.amdhsa_system_vgpr_workitem_id 0
		.amdhsa_next_free_vgpr 1
		.amdhsa_next_free_sgpr 0
		.amdhsa_accum_offset 4
		.amdhsa_reserve_vcc 0
		.amdhsa_reserve_flat_scratch 0
		.amdhsa_float_round_mode_32 0
		.amdhsa_float_round_mode_16_64 0
		.amdhsa_float_denorm_mode_32 3
		.amdhsa_float_denorm_mode_16_64 3
		.amdhsa_dx10_clamp 1
		.amdhsa_ieee_mode 1
		.amdhsa_fp16_overflow 0
		.amdhsa_tg_split 0
		.amdhsa_exception_fp_ieee_invalid_op 0
		.amdhsa_exception_fp_denorm_src 0
		.amdhsa_exception_fp_ieee_div_zero 0
		.amdhsa_exception_fp_ieee_overflow 0
		.amdhsa_exception_fp_ieee_underflow 0
		.amdhsa_exception_fp_ieee_inexact 0
		.amdhsa_exception_int_div_zero 0
	.end_amdhsa_kernel
	.section	.text._ZN7rocprim17ROCPRIM_400000_NS6detail17trampoline_kernelINS0_14default_configENS1_35radix_sort_onesweep_config_selectorIfNS0_10empty_typeEEEZNS1_34radix_sort_onesweep_global_offsetsIS3_Lb0EPfPS5_mNS0_19identity_decomposerEEE10hipError_tT1_T2_PT3_SE_jT4_jjP12ihipStream_tbEUlT_E_NS1_11comp_targetILNS1_3genE0ELNS1_11target_archE4294967295ELNS1_3gpuE0ELNS1_3repE0EEENS1_52radix_sort_onesweep_histogram_config_static_selectorELNS0_4arch9wavefront6targetE1EEEvSC_,"axG",@progbits,_ZN7rocprim17ROCPRIM_400000_NS6detail17trampoline_kernelINS0_14default_configENS1_35radix_sort_onesweep_config_selectorIfNS0_10empty_typeEEEZNS1_34radix_sort_onesweep_global_offsetsIS3_Lb0EPfPS5_mNS0_19identity_decomposerEEE10hipError_tT1_T2_PT3_SE_jT4_jjP12ihipStream_tbEUlT_E_NS1_11comp_targetILNS1_3genE0ELNS1_11target_archE4294967295ELNS1_3gpuE0ELNS1_3repE0EEENS1_52radix_sort_onesweep_histogram_config_static_selectorELNS0_4arch9wavefront6targetE1EEEvSC_,comdat
.Lfunc_end1268:
	.size	_ZN7rocprim17ROCPRIM_400000_NS6detail17trampoline_kernelINS0_14default_configENS1_35radix_sort_onesweep_config_selectorIfNS0_10empty_typeEEEZNS1_34radix_sort_onesweep_global_offsetsIS3_Lb0EPfPS5_mNS0_19identity_decomposerEEE10hipError_tT1_T2_PT3_SE_jT4_jjP12ihipStream_tbEUlT_E_NS1_11comp_targetILNS1_3genE0ELNS1_11target_archE4294967295ELNS1_3gpuE0ELNS1_3repE0EEENS1_52radix_sort_onesweep_histogram_config_static_selectorELNS0_4arch9wavefront6targetE1EEEvSC_, .Lfunc_end1268-_ZN7rocprim17ROCPRIM_400000_NS6detail17trampoline_kernelINS0_14default_configENS1_35radix_sort_onesweep_config_selectorIfNS0_10empty_typeEEEZNS1_34radix_sort_onesweep_global_offsetsIS3_Lb0EPfPS5_mNS0_19identity_decomposerEEE10hipError_tT1_T2_PT3_SE_jT4_jjP12ihipStream_tbEUlT_E_NS1_11comp_targetILNS1_3genE0ELNS1_11target_archE4294967295ELNS1_3gpuE0ELNS1_3repE0EEENS1_52radix_sort_onesweep_histogram_config_static_selectorELNS0_4arch9wavefront6targetE1EEEvSC_
                                        ; -- End function
	.section	.AMDGPU.csdata,"",@progbits
; Kernel info:
; codeLenInByte = 0
; NumSgprs: 4
; NumVgprs: 0
; NumAgprs: 0
; TotalNumVgprs: 0
; ScratchSize: 0
; MemoryBound: 0
; FloatMode: 240
; IeeeMode: 1
; LDSByteSize: 0 bytes/workgroup (compile time only)
; SGPRBlocks: 0
; VGPRBlocks: 0
; NumSGPRsForWavesPerEU: 4
; NumVGPRsForWavesPerEU: 1
; AccumOffset: 4
; Occupancy: 8
; WaveLimiterHint : 0
; COMPUTE_PGM_RSRC2:SCRATCH_EN: 0
; COMPUTE_PGM_RSRC2:USER_SGPR: 6
; COMPUTE_PGM_RSRC2:TRAP_HANDLER: 0
; COMPUTE_PGM_RSRC2:TGID_X_EN: 1
; COMPUTE_PGM_RSRC2:TGID_Y_EN: 0
; COMPUTE_PGM_RSRC2:TGID_Z_EN: 0
; COMPUTE_PGM_RSRC2:TIDIG_COMP_CNT: 0
; COMPUTE_PGM_RSRC3_GFX90A:ACCUM_OFFSET: 0
; COMPUTE_PGM_RSRC3_GFX90A:TG_SPLIT: 0
	.section	.text._ZN7rocprim17ROCPRIM_400000_NS6detail17trampoline_kernelINS0_14default_configENS1_35radix_sort_onesweep_config_selectorIfNS0_10empty_typeEEEZNS1_34radix_sort_onesweep_global_offsetsIS3_Lb0EPfPS5_mNS0_19identity_decomposerEEE10hipError_tT1_T2_PT3_SE_jT4_jjP12ihipStream_tbEUlT_E_NS1_11comp_targetILNS1_3genE6ELNS1_11target_archE950ELNS1_3gpuE13ELNS1_3repE0EEENS1_52radix_sort_onesweep_histogram_config_static_selectorELNS0_4arch9wavefront6targetE1EEEvSC_,"axG",@progbits,_ZN7rocprim17ROCPRIM_400000_NS6detail17trampoline_kernelINS0_14default_configENS1_35radix_sort_onesweep_config_selectorIfNS0_10empty_typeEEEZNS1_34radix_sort_onesweep_global_offsetsIS3_Lb0EPfPS5_mNS0_19identity_decomposerEEE10hipError_tT1_T2_PT3_SE_jT4_jjP12ihipStream_tbEUlT_E_NS1_11comp_targetILNS1_3genE6ELNS1_11target_archE950ELNS1_3gpuE13ELNS1_3repE0EEENS1_52radix_sort_onesweep_histogram_config_static_selectorELNS0_4arch9wavefront6targetE1EEEvSC_,comdat
	.protected	_ZN7rocprim17ROCPRIM_400000_NS6detail17trampoline_kernelINS0_14default_configENS1_35radix_sort_onesweep_config_selectorIfNS0_10empty_typeEEEZNS1_34radix_sort_onesweep_global_offsetsIS3_Lb0EPfPS5_mNS0_19identity_decomposerEEE10hipError_tT1_T2_PT3_SE_jT4_jjP12ihipStream_tbEUlT_E_NS1_11comp_targetILNS1_3genE6ELNS1_11target_archE950ELNS1_3gpuE13ELNS1_3repE0EEENS1_52radix_sort_onesweep_histogram_config_static_selectorELNS0_4arch9wavefront6targetE1EEEvSC_ ; -- Begin function _ZN7rocprim17ROCPRIM_400000_NS6detail17trampoline_kernelINS0_14default_configENS1_35radix_sort_onesweep_config_selectorIfNS0_10empty_typeEEEZNS1_34radix_sort_onesweep_global_offsetsIS3_Lb0EPfPS5_mNS0_19identity_decomposerEEE10hipError_tT1_T2_PT3_SE_jT4_jjP12ihipStream_tbEUlT_E_NS1_11comp_targetILNS1_3genE6ELNS1_11target_archE950ELNS1_3gpuE13ELNS1_3repE0EEENS1_52radix_sort_onesweep_histogram_config_static_selectorELNS0_4arch9wavefront6targetE1EEEvSC_
	.globl	_ZN7rocprim17ROCPRIM_400000_NS6detail17trampoline_kernelINS0_14default_configENS1_35radix_sort_onesweep_config_selectorIfNS0_10empty_typeEEEZNS1_34radix_sort_onesweep_global_offsetsIS3_Lb0EPfPS5_mNS0_19identity_decomposerEEE10hipError_tT1_T2_PT3_SE_jT4_jjP12ihipStream_tbEUlT_E_NS1_11comp_targetILNS1_3genE6ELNS1_11target_archE950ELNS1_3gpuE13ELNS1_3repE0EEENS1_52radix_sort_onesweep_histogram_config_static_selectorELNS0_4arch9wavefront6targetE1EEEvSC_
	.p2align	8
	.type	_ZN7rocprim17ROCPRIM_400000_NS6detail17trampoline_kernelINS0_14default_configENS1_35radix_sort_onesweep_config_selectorIfNS0_10empty_typeEEEZNS1_34radix_sort_onesweep_global_offsetsIS3_Lb0EPfPS5_mNS0_19identity_decomposerEEE10hipError_tT1_T2_PT3_SE_jT4_jjP12ihipStream_tbEUlT_E_NS1_11comp_targetILNS1_3genE6ELNS1_11target_archE950ELNS1_3gpuE13ELNS1_3repE0EEENS1_52radix_sort_onesweep_histogram_config_static_selectorELNS0_4arch9wavefront6targetE1EEEvSC_,@function
_ZN7rocprim17ROCPRIM_400000_NS6detail17trampoline_kernelINS0_14default_configENS1_35radix_sort_onesweep_config_selectorIfNS0_10empty_typeEEEZNS1_34radix_sort_onesweep_global_offsetsIS3_Lb0EPfPS5_mNS0_19identity_decomposerEEE10hipError_tT1_T2_PT3_SE_jT4_jjP12ihipStream_tbEUlT_E_NS1_11comp_targetILNS1_3genE6ELNS1_11target_archE950ELNS1_3gpuE13ELNS1_3repE0EEENS1_52radix_sort_onesweep_histogram_config_static_selectorELNS0_4arch9wavefront6targetE1EEEvSC_: ; @_ZN7rocprim17ROCPRIM_400000_NS6detail17trampoline_kernelINS0_14default_configENS1_35radix_sort_onesweep_config_selectorIfNS0_10empty_typeEEEZNS1_34radix_sort_onesweep_global_offsetsIS3_Lb0EPfPS5_mNS0_19identity_decomposerEEE10hipError_tT1_T2_PT3_SE_jT4_jjP12ihipStream_tbEUlT_E_NS1_11comp_targetILNS1_3genE6ELNS1_11target_archE950ELNS1_3gpuE13ELNS1_3repE0EEENS1_52radix_sort_onesweep_histogram_config_static_selectorELNS0_4arch9wavefront6targetE1EEEvSC_
; %bb.0:
	.section	.rodata,"a",@progbits
	.p2align	6, 0x0
	.amdhsa_kernel _ZN7rocprim17ROCPRIM_400000_NS6detail17trampoline_kernelINS0_14default_configENS1_35radix_sort_onesweep_config_selectorIfNS0_10empty_typeEEEZNS1_34radix_sort_onesweep_global_offsetsIS3_Lb0EPfPS5_mNS0_19identity_decomposerEEE10hipError_tT1_T2_PT3_SE_jT4_jjP12ihipStream_tbEUlT_E_NS1_11comp_targetILNS1_3genE6ELNS1_11target_archE950ELNS1_3gpuE13ELNS1_3repE0EEENS1_52radix_sort_onesweep_histogram_config_static_selectorELNS0_4arch9wavefront6targetE1EEEvSC_
		.amdhsa_group_segment_fixed_size 0
		.amdhsa_private_segment_fixed_size 0
		.amdhsa_kernarg_size 48
		.amdhsa_user_sgpr_count 6
		.amdhsa_user_sgpr_private_segment_buffer 1
		.amdhsa_user_sgpr_dispatch_ptr 0
		.amdhsa_user_sgpr_queue_ptr 0
		.amdhsa_user_sgpr_kernarg_segment_ptr 1
		.amdhsa_user_sgpr_dispatch_id 0
		.amdhsa_user_sgpr_flat_scratch_init 0
		.amdhsa_user_sgpr_kernarg_preload_length 0
		.amdhsa_user_sgpr_kernarg_preload_offset 0
		.amdhsa_user_sgpr_private_segment_size 0
		.amdhsa_uses_dynamic_stack 0
		.amdhsa_system_sgpr_private_segment_wavefront_offset 0
		.amdhsa_system_sgpr_workgroup_id_x 1
		.amdhsa_system_sgpr_workgroup_id_y 0
		.amdhsa_system_sgpr_workgroup_id_z 0
		.amdhsa_system_sgpr_workgroup_info 0
		.amdhsa_system_vgpr_workitem_id 0
		.amdhsa_next_free_vgpr 1
		.amdhsa_next_free_sgpr 0
		.amdhsa_accum_offset 4
		.amdhsa_reserve_vcc 0
		.amdhsa_reserve_flat_scratch 0
		.amdhsa_float_round_mode_32 0
		.amdhsa_float_round_mode_16_64 0
		.amdhsa_float_denorm_mode_32 3
		.amdhsa_float_denorm_mode_16_64 3
		.amdhsa_dx10_clamp 1
		.amdhsa_ieee_mode 1
		.amdhsa_fp16_overflow 0
		.amdhsa_tg_split 0
		.amdhsa_exception_fp_ieee_invalid_op 0
		.amdhsa_exception_fp_denorm_src 0
		.amdhsa_exception_fp_ieee_div_zero 0
		.amdhsa_exception_fp_ieee_overflow 0
		.amdhsa_exception_fp_ieee_underflow 0
		.amdhsa_exception_fp_ieee_inexact 0
		.amdhsa_exception_int_div_zero 0
	.end_amdhsa_kernel
	.section	.text._ZN7rocprim17ROCPRIM_400000_NS6detail17trampoline_kernelINS0_14default_configENS1_35radix_sort_onesweep_config_selectorIfNS0_10empty_typeEEEZNS1_34radix_sort_onesweep_global_offsetsIS3_Lb0EPfPS5_mNS0_19identity_decomposerEEE10hipError_tT1_T2_PT3_SE_jT4_jjP12ihipStream_tbEUlT_E_NS1_11comp_targetILNS1_3genE6ELNS1_11target_archE950ELNS1_3gpuE13ELNS1_3repE0EEENS1_52radix_sort_onesweep_histogram_config_static_selectorELNS0_4arch9wavefront6targetE1EEEvSC_,"axG",@progbits,_ZN7rocprim17ROCPRIM_400000_NS6detail17trampoline_kernelINS0_14default_configENS1_35radix_sort_onesweep_config_selectorIfNS0_10empty_typeEEEZNS1_34radix_sort_onesweep_global_offsetsIS3_Lb0EPfPS5_mNS0_19identity_decomposerEEE10hipError_tT1_T2_PT3_SE_jT4_jjP12ihipStream_tbEUlT_E_NS1_11comp_targetILNS1_3genE6ELNS1_11target_archE950ELNS1_3gpuE13ELNS1_3repE0EEENS1_52radix_sort_onesweep_histogram_config_static_selectorELNS0_4arch9wavefront6targetE1EEEvSC_,comdat
.Lfunc_end1269:
	.size	_ZN7rocprim17ROCPRIM_400000_NS6detail17trampoline_kernelINS0_14default_configENS1_35radix_sort_onesweep_config_selectorIfNS0_10empty_typeEEEZNS1_34radix_sort_onesweep_global_offsetsIS3_Lb0EPfPS5_mNS0_19identity_decomposerEEE10hipError_tT1_T2_PT3_SE_jT4_jjP12ihipStream_tbEUlT_E_NS1_11comp_targetILNS1_3genE6ELNS1_11target_archE950ELNS1_3gpuE13ELNS1_3repE0EEENS1_52radix_sort_onesweep_histogram_config_static_selectorELNS0_4arch9wavefront6targetE1EEEvSC_, .Lfunc_end1269-_ZN7rocprim17ROCPRIM_400000_NS6detail17trampoline_kernelINS0_14default_configENS1_35radix_sort_onesweep_config_selectorIfNS0_10empty_typeEEEZNS1_34radix_sort_onesweep_global_offsetsIS3_Lb0EPfPS5_mNS0_19identity_decomposerEEE10hipError_tT1_T2_PT3_SE_jT4_jjP12ihipStream_tbEUlT_E_NS1_11comp_targetILNS1_3genE6ELNS1_11target_archE950ELNS1_3gpuE13ELNS1_3repE0EEENS1_52radix_sort_onesweep_histogram_config_static_selectorELNS0_4arch9wavefront6targetE1EEEvSC_
                                        ; -- End function
	.section	.AMDGPU.csdata,"",@progbits
; Kernel info:
; codeLenInByte = 0
; NumSgprs: 4
; NumVgprs: 0
; NumAgprs: 0
; TotalNumVgprs: 0
; ScratchSize: 0
; MemoryBound: 0
; FloatMode: 240
; IeeeMode: 1
; LDSByteSize: 0 bytes/workgroup (compile time only)
; SGPRBlocks: 0
; VGPRBlocks: 0
; NumSGPRsForWavesPerEU: 4
; NumVGPRsForWavesPerEU: 1
; AccumOffset: 4
; Occupancy: 8
; WaveLimiterHint : 0
; COMPUTE_PGM_RSRC2:SCRATCH_EN: 0
; COMPUTE_PGM_RSRC2:USER_SGPR: 6
; COMPUTE_PGM_RSRC2:TRAP_HANDLER: 0
; COMPUTE_PGM_RSRC2:TGID_X_EN: 1
; COMPUTE_PGM_RSRC2:TGID_Y_EN: 0
; COMPUTE_PGM_RSRC2:TGID_Z_EN: 0
; COMPUTE_PGM_RSRC2:TIDIG_COMP_CNT: 0
; COMPUTE_PGM_RSRC3_GFX90A:ACCUM_OFFSET: 0
; COMPUTE_PGM_RSRC3_GFX90A:TG_SPLIT: 0
	.section	.text._ZN7rocprim17ROCPRIM_400000_NS6detail17trampoline_kernelINS0_14default_configENS1_35radix_sort_onesweep_config_selectorIfNS0_10empty_typeEEEZNS1_34radix_sort_onesweep_global_offsetsIS3_Lb0EPfPS5_mNS0_19identity_decomposerEEE10hipError_tT1_T2_PT3_SE_jT4_jjP12ihipStream_tbEUlT_E_NS1_11comp_targetILNS1_3genE5ELNS1_11target_archE942ELNS1_3gpuE9ELNS1_3repE0EEENS1_52radix_sort_onesweep_histogram_config_static_selectorELNS0_4arch9wavefront6targetE1EEEvSC_,"axG",@progbits,_ZN7rocprim17ROCPRIM_400000_NS6detail17trampoline_kernelINS0_14default_configENS1_35radix_sort_onesweep_config_selectorIfNS0_10empty_typeEEEZNS1_34radix_sort_onesweep_global_offsetsIS3_Lb0EPfPS5_mNS0_19identity_decomposerEEE10hipError_tT1_T2_PT3_SE_jT4_jjP12ihipStream_tbEUlT_E_NS1_11comp_targetILNS1_3genE5ELNS1_11target_archE942ELNS1_3gpuE9ELNS1_3repE0EEENS1_52radix_sort_onesweep_histogram_config_static_selectorELNS0_4arch9wavefront6targetE1EEEvSC_,comdat
	.protected	_ZN7rocprim17ROCPRIM_400000_NS6detail17trampoline_kernelINS0_14default_configENS1_35radix_sort_onesweep_config_selectorIfNS0_10empty_typeEEEZNS1_34radix_sort_onesweep_global_offsetsIS3_Lb0EPfPS5_mNS0_19identity_decomposerEEE10hipError_tT1_T2_PT3_SE_jT4_jjP12ihipStream_tbEUlT_E_NS1_11comp_targetILNS1_3genE5ELNS1_11target_archE942ELNS1_3gpuE9ELNS1_3repE0EEENS1_52radix_sort_onesweep_histogram_config_static_selectorELNS0_4arch9wavefront6targetE1EEEvSC_ ; -- Begin function _ZN7rocprim17ROCPRIM_400000_NS6detail17trampoline_kernelINS0_14default_configENS1_35radix_sort_onesweep_config_selectorIfNS0_10empty_typeEEEZNS1_34radix_sort_onesweep_global_offsetsIS3_Lb0EPfPS5_mNS0_19identity_decomposerEEE10hipError_tT1_T2_PT3_SE_jT4_jjP12ihipStream_tbEUlT_E_NS1_11comp_targetILNS1_3genE5ELNS1_11target_archE942ELNS1_3gpuE9ELNS1_3repE0EEENS1_52radix_sort_onesweep_histogram_config_static_selectorELNS0_4arch9wavefront6targetE1EEEvSC_
	.globl	_ZN7rocprim17ROCPRIM_400000_NS6detail17trampoline_kernelINS0_14default_configENS1_35radix_sort_onesweep_config_selectorIfNS0_10empty_typeEEEZNS1_34radix_sort_onesweep_global_offsetsIS3_Lb0EPfPS5_mNS0_19identity_decomposerEEE10hipError_tT1_T2_PT3_SE_jT4_jjP12ihipStream_tbEUlT_E_NS1_11comp_targetILNS1_3genE5ELNS1_11target_archE942ELNS1_3gpuE9ELNS1_3repE0EEENS1_52radix_sort_onesweep_histogram_config_static_selectorELNS0_4arch9wavefront6targetE1EEEvSC_
	.p2align	8
	.type	_ZN7rocprim17ROCPRIM_400000_NS6detail17trampoline_kernelINS0_14default_configENS1_35radix_sort_onesweep_config_selectorIfNS0_10empty_typeEEEZNS1_34radix_sort_onesweep_global_offsetsIS3_Lb0EPfPS5_mNS0_19identity_decomposerEEE10hipError_tT1_T2_PT3_SE_jT4_jjP12ihipStream_tbEUlT_E_NS1_11comp_targetILNS1_3genE5ELNS1_11target_archE942ELNS1_3gpuE9ELNS1_3repE0EEENS1_52radix_sort_onesweep_histogram_config_static_selectorELNS0_4arch9wavefront6targetE1EEEvSC_,@function
_ZN7rocprim17ROCPRIM_400000_NS6detail17trampoline_kernelINS0_14default_configENS1_35radix_sort_onesweep_config_selectorIfNS0_10empty_typeEEEZNS1_34radix_sort_onesweep_global_offsetsIS3_Lb0EPfPS5_mNS0_19identity_decomposerEEE10hipError_tT1_T2_PT3_SE_jT4_jjP12ihipStream_tbEUlT_E_NS1_11comp_targetILNS1_3genE5ELNS1_11target_archE942ELNS1_3gpuE9ELNS1_3repE0EEENS1_52radix_sort_onesweep_histogram_config_static_selectorELNS0_4arch9wavefront6targetE1EEEvSC_: ; @_ZN7rocprim17ROCPRIM_400000_NS6detail17trampoline_kernelINS0_14default_configENS1_35radix_sort_onesweep_config_selectorIfNS0_10empty_typeEEEZNS1_34radix_sort_onesweep_global_offsetsIS3_Lb0EPfPS5_mNS0_19identity_decomposerEEE10hipError_tT1_T2_PT3_SE_jT4_jjP12ihipStream_tbEUlT_E_NS1_11comp_targetILNS1_3genE5ELNS1_11target_archE942ELNS1_3gpuE9ELNS1_3repE0EEENS1_52radix_sort_onesweep_histogram_config_static_selectorELNS0_4arch9wavefront6targetE1EEEvSC_
; %bb.0:
	.section	.rodata,"a",@progbits
	.p2align	6, 0x0
	.amdhsa_kernel _ZN7rocprim17ROCPRIM_400000_NS6detail17trampoline_kernelINS0_14default_configENS1_35radix_sort_onesweep_config_selectorIfNS0_10empty_typeEEEZNS1_34radix_sort_onesweep_global_offsetsIS3_Lb0EPfPS5_mNS0_19identity_decomposerEEE10hipError_tT1_T2_PT3_SE_jT4_jjP12ihipStream_tbEUlT_E_NS1_11comp_targetILNS1_3genE5ELNS1_11target_archE942ELNS1_3gpuE9ELNS1_3repE0EEENS1_52radix_sort_onesweep_histogram_config_static_selectorELNS0_4arch9wavefront6targetE1EEEvSC_
		.amdhsa_group_segment_fixed_size 0
		.amdhsa_private_segment_fixed_size 0
		.amdhsa_kernarg_size 48
		.amdhsa_user_sgpr_count 6
		.amdhsa_user_sgpr_private_segment_buffer 1
		.amdhsa_user_sgpr_dispatch_ptr 0
		.amdhsa_user_sgpr_queue_ptr 0
		.amdhsa_user_sgpr_kernarg_segment_ptr 1
		.amdhsa_user_sgpr_dispatch_id 0
		.amdhsa_user_sgpr_flat_scratch_init 0
		.amdhsa_user_sgpr_kernarg_preload_length 0
		.amdhsa_user_sgpr_kernarg_preload_offset 0
		.amdhsa_user_sgpr_private_segment_size 0
		.amdhsa_uses_dynamic_stack 0
		.amdhsa_system_sgpr_private_segment_wavefront_offset 0
		.amdhsa_system_sgpr_workgroup_id_x 1
		.amdhsa_system_sgpr_workgroup_id_y 0
		.amdhsa_system_sgpr_workgroup_id_z 0
		.amdhsa_system_sgpr_workgroup_info 0
		.amdhsa_system_vgpr_workitem_id 0
		.amdhsa_next_free_vgpr 1
		.amdhsa_next_free_sgpr 0
		.amdhsa_accum_offset 4
		.amdhsa_reserve_vcc 0
		.amdhsa_reserve_flat_scratch 0
		.amdhsa_float_round_mode_32 0
		.amdhsa_float_round_mode_16_64 0
		.amdhsa_float_denorm_mode_32 3
		.amdhsa_float_denorm_mode_16_64 3
		.amdhsa_dx10_clamp 1
		.amdhsa_ieee_mode 1
		.amdhsa_fp16_overflow 0
		.amdhsa_tg_split 0
		.amdhsa_exception_fp_ieee_invalid_op 0
		.amdhsa_exception_fp_denorm_src 0
		.amdhsa_exception_fp_ieee_div_zero 0
		.amdhsa_exception_fp_ieee_overflow 0
		.amdhsa_exception_fp_ieee_underflow 0
		.amdhsa_exception_fp_ieee_inexact 0
		.amdhsa_exception_int_div_zero 0
	.end_amdhsa_kernel
	.section	.text._ZN7rocprim17ROCPRIM_400000_NS6detail17trampoline_kernelINS0_14default_configENS1_35radix_sort_onesweep_config_selectorIfNS0_10empty_typeEEEZNS1_34radix_sort_onesweep_global_offsetsIS3_Lb0EPfPS5_mNS0_19identity_decomposerEEE10hipError_tT1_T2_PT3_SE_jT4_jjP12ihipStream_tbEUlT_E_NS1_11comp_targetILNS1_3genE5ELNS1_11target_archE942ELNS1_3gpuE9ELNS1_3repE0EEENS1_52radix_sort_onesweep_histogram_config_static_selectorELNS0_4arch9wavefront6targetE1EEEvSC_,"axG",@progbits,_ZN7rocprim17ROCPRIM_400000_NS6detail17trampoline_kernelINS0_14default_configENS1_35radix_sort_onesweep_config_selectorIfNS0_10empty_typeEEEZNS1_34radix_sort_onesweep_global_offsetsIS3_Lb0EPfPS5_mNS0_19identity_decomposerEEE10hipError_tT1_T2_PT3_SE_jT4_jjP12ihipStream_tbEUlT_E_NS1_11comp_targetILNS1_3genE5ELNS1_11target_archE942ELNS1_3gpuE9ELNS1_3repE0EEENS1_52radix_sort_onesweep_histogram_config_static_selectorELNS0_4arch9wavefront6targetE1EEEvSC_,comdat
.Lfunc_end1270:
	.size	_ZN7rocprim17ROCPRIM_400000_NS6detail17trampoline_kernelINS0_14default_configENS1_35radix_sort_onesweep_config_selectorIfNS0_10empty_typeEEEZNS1_34radix_sort_onesweep_global_offsetsIS3_Lb0EPfPS5_mNS0_19identity_decomposerEEE10hipError_tT1_T2_PT3_SE_jT4_jjP12ihipStream_tbEUlT_E_NS1_11comp_targetILNS1_3genE5ELNS1_11target_archE942ELNS1_3gpuE9ELNS1_3repE0EEENS1_52radix_sort_onesweep_histogram_config_static_selectorELNS0_4arch9wavefront6targetE1EEEvSC_, .Lfunc_end1270-_ZN7rocprim17ROCPRIM_400000_NS6detail17trampoline_kernelINS0_14default_configENS1_35radix_sort_onesweep_config_selectorIfNS0_10empty_typeEEEZNS1_34radix_sort_onesweep_global_offsetsIS3_Lb0EPfPS5_mNS0_19identity_decomposerEEE10hipError_tT1_T2_PT3_SE_jT4_jjP12ihipStream_tbEUlT_E_NS1_11comp_targetILNS1_3genE5ELNS1_11target_archE942ELNS1_3gpuE9ELNS1_3repE0EEENS1_52radix_sort_onesweep_histogram_config_static_selectorELNS0_4arch9wavefront6targetE1EEEvSC_
                                        ; -- End function
	.section	.AMDGPU.csdata,"",@progbits
; Kernel info:
; codeLenInByte = 0
; NumSgprs: 4
; NumVgprs: 0
; NumAgprs: 0
; TotalNumVgprs: 0
; ScratchSize: 0
; MemoryBound: 0
; FloatMode: 240
; IeeeMode: 1
; LDSByteSize: 0 bytes/workgroup (compile time only)
; SGPRBlocks: 0
; VGPRBlocks: 0
; NumSGPRsForWavesPerEU: 4
; NumVGPRsForWavesPerEU: 1
; AccumOffset: 4
; Occupancy: 8
; WaveLimiterHint : 0
; COMPUTE_PGM_RSRC2:SCRATCH_EN: 0
; COMPUTE_PGM_RSRC2:USER_SGPR: 6
; COMPUTE_PGM_RSRC2:TRAP_HANDLER: 0
; COMPUTE_PGM_RSRC2:TGID_X_EN: 1
; COMPUTE_PGM_RSRC2:TGID_Y_EN: 0
; COMPUTE_PGM_RSRC2:TGID_Z_EN: 0
; COMPUTE_PGM_RSRC2:TIDIG_COMP_CNT: 0
; COMPUTE_PGM_RSRC3_GFX90A:ACCUM_OFFSET: 0
; COMPUTE_PGM_RSRC3_GFX90A:TG_SPLIT: 0
	.section	.text._ZN7rocprim17ROCPRIM_400000_NS6detail17trampoline_kernelINS0_14default_configENS1_35radix_sort_onesweep_config_selectorIfNS0_10empty_typeEEEZNS1_34radix_sort_onesweep_global_offsetsIS3_Lb0EPfPS5_mNS0_19identity_decomposerEEE10hipError_tT1_T2_PT3_SE_jT4_jjP12ihipStream_tbEUlT_E_NS1_11comp_targetILNS1_3genE2ELNS1_11target_archE906ELNS1_3gpuE6ELNS1_3repE0EEENS1_52radix_sort_onesweep_histogram_config_static_selectorELNS0_4arch9wavefront6targetE1EEEvSC_,"axG",@progbits,_ZN7rocprim17ROCPRIM_400000_NS6detail17trampoline_kernelINS0_14default_configENS1_35radix_sort_onesweep_config_selectorIfNS0_10empty_typeEEEZNS1_34radix_sort_onesweep_global_offsetsIS3_Lb0EPfPS5_mNS0_19identity_decomposerEEE10hipError_tT1_T2_PT3_SE_jT4_jjP12ihipStream_tbEUlT_E_NS1_11comp_targetILNS1_3genE2ELNS1_11target_archE906ELNS1_3gpuE6ELNS1_3repE0EEENS1_52radix_sort_onesweep_histogram_config_static_selectorELNS0_4arch9wavefront6targetE1EEEvSC_,comdat
	.protected	_ZN7rocprim17ROCPRIM_400000_NS6detail17trampoline_kernelINS0_14default_configENS1_35radix_sort_onesweep_config_selectorIfNS0_10empty_typeEEEZNS1_34radix_sort_onesweep_global_offsetsIS3_Lb0EPfPS5_mNS0_19identity_decomposerEEE10hipError_tT1_T2_PT3_SE_jT4_jjP12ihipStream_tbEUlT_E_NS1_11comp_targetILNS1_3genE2ELNS1_11target_archE906ELNS1_3gpuE6ELNS1_3repE0EEENS1_52radix_sort_onesweep_histogram_config_static_selectorELNS0_4arch9wavefront6targetE1EEEvSC_ ; -- Begin function _ZN7rocprim17ROCPRIM_400000_NS6detail17trampoline_kernelINS0_14default_configENS1_35radix_sort_onesweep_config_selectorIfNS0_10empty_typeEEEZNS1_34radix_sort_onesweep_global_offsetsIS3_Lb0EPfPS5_mNS0_19identity_decomposerEEE10hipError_tT1_T2_PT3_SE_jT4_jjP12ihipStream_tbEUlT_E_NS1_11comp_targetILNS1_3genE2ELNS1_11target_archE906ELNS1_3gpuE6ELNS1_3repE0EEENS1_52radix_sort_onesweep_histogram_config_static_selectorELNS0_4arch9wavefront6targetE1EEEvSC_
	.globl	_ZN7rocprim17ROCPRIM_400000_NS6detail17trampoline_kernelINS0_14default_configENS1_35radix_sort_onesweep_config_selectorIfNS0_10empty_typeEEEZNS1_34radix_sort_onesweep_global_offsetsIS3_Lb0EPfPS5_mNS0_19identity_decomposerEEE10hipError_tT1_T2_PT3_SE_jT4_jjP12ihipStream_tbEUlT_E_NS1_11comp_targetILNS1_3genE2ELNS1_11target_archE906ELNS1_3gpuE6ELNS1_3repE0EEENS1_52radix_sort_onesweep_histogram_config_static_selectorELNS0_4arch9wavefront6targetE1EEEvSC_
	.p2align	8
	.type	_ZN7rocprim17ROCPRIM_400000_NS6detail17trampoline_kernelINS0_14default_configENS1_35radix_sort_onesweep_config_selectorIfNS0_10empty_typeEEEZNS1_34radix_sort_onesweep_global_offsetsIS3_Lb0EPfPS5_mNS0_19identity_decomposerEEE10hipError_tT1_T2_PT3_SE_jT4_jjP12ihipStream_tbEUlT_E_NS1_11comp_targetILNS1_3genE2ELNS1_11target_archE906ELNS1_3gpuE6ELNS1_3repE0EEENS1_52radix_sort_onesweep_histogram_config_static_selectorELNS0_4arch9wavefront6targetE1EEEvSC_,@function
_ZN7rocprim17ROCPRIM_400000_NS6detail17trampoline_kernelINS0_14default_configENS1_35radix_sort_onesweep_config_selectorIfNS0_10empty_typeEEEZNS1_34radix_sort_onesweep_global_offsetsIS3_Lb0EPfPS5_mNS0_19identity_decomposerEEE10hipError_tT1_T2_PT3_SE_jT4_jjP12ihipStream_tbEUlT_E_NS1_11comp_targetILNS1_3genE2ELNS1_11target_archE906ELNS1_3gpuE6ELNS1_3repE0EEENS1_52radix_sort_onesweep_histogram_config_static_selectorELNS0_4arch9wavefront6targetE1EEEvSC_: ; @_ZN7rocprim17ROCPRIM_400000_NS6detail17trampoline_kernelINS0_14default_configENS1_35radix_sort_onesweep_config_selectorIfNS0_10empty_typeEEEZNS1_34radix_sort_onesweep_global_offsetsIS3_Lb0EPfPS5_mNS0_19identity_decomposerEEE10hipError_tT1_T2_PT3_SE_jT4_jjP12ihipStream_tbEUlT_E_NS1_11comp_targetILNS1_3genE2ELNS1_11target_archE906ELNS1_3gpuE6ELNS1_3repE0EEENS1_52radix_sort_onesweep_histogram_config_static_selectorELNS0_4arch9wavefront6targetE1EEEvSC_
; %bb.0:
	.section	.rodata,"a",@progbits
	.p2align	6, 0x0
	.amdhsa_kernel _ZN7rocprim17ROCPRIM_400000_NS6detail17trampoline_kernelINS0_14default_configENS1_35radix_sort_onesweep_config_selectorIfNS0_10empty_typeEEEZNS1_34radix_sort_onesweep_global_offsetsIS3_Lb0EPfPS5_mNS0_19identity_decomposerEEE10hipError_tT1_T2_PT3_SE_jT4_jjP12ihipStream_tbEUlT_E_NS1_11comp_targetILNS1_3genE2ELNS1_11target_archE906ELNS1_3gpuE6ELNS1_3repE0EEENS1_52radix_sort_onesweep_histogram_config_static_selectorELNS0_4arch9wavefront6targetE1EEEvSC_
		.amdhsa_group_segment_fixed_size 0
		.amdhsa_private_segment_fixed_size 0
		.amdhsa_kernarg_size 48
		.amdhsa_user_sgpr_count 6
		.amdhsa_user_sgpr_private_segment_buffer 1
		.amdhsa_user_sgpr_dispatch_ptr 0
		.amdhsa_user_sgpr_queue_ptr 0
		.amdhsa_user_sgpr_kernarg_segment_ptr 1
		.amdhsa_user_sgpr_dispatch_id 0
		.amdhsa_user_sgpr_flat_scratch_init 0
		.amdhsa_user_sgpr_kernarg_preload_length 0
		.amdhsa_user_sgpr_kernarg_preload_offset 0
		.amdhsa_user_sgpr_private_segment_size 0
		.amdhsa_uses_dynamic_stack 0
		.amdhsa_system_sgpr_private_segment_wavefront_offset 0
		.amdhsa_system_sgpr_workgroup_id_x 1
		.amdhsa_system_sgpr_workgroup_id_y 0
		.amdhsa_system_sgpr_workgroup_id_z 0
		.amdhsa_system_sgpr_workgroup_info 0
		.amdhsa_system_vgpr_workitem_id 0
		.amdhsa_next_free_vgpr 1
		.amdhsa_next_free_sgpr 0
		.amdhsa_accum_offset 4
		.amdhsa_reserve_vcc 0
		.amdhsa_reserve_flat_scratch 0
		.amdhsa_float_round_mode_32 0
		.amdhsa_float_round_mode_16_64 0
		.amdhsa_float_denorm_mode_32 3
		.amdhsa_float_denorm_mode_16_64 3
		.amdhsa_dx10_clamp 1
		.amdhsa_ieee_mode 1
		.amdhsa_fp16_overflow 0
		.amdhsa_tg_split 0
		.amdhsa_exception_fp_ieee_invalid_op 0
		.amdhsa_exception_fp_denorm_src 0
		.amdhsa_exception_fp_ieee_div_zero 0
		.amdhsa_exception_fp_ieee_overflow 0
		.amdhsa_exception_fp_ieee_underflow 0
		.amdhsa_exception_fp_ieee_inexact 0
		.amdhsa_exception_int_div_zero 0
	.end_amdhsa_kernel
	.section	.text._ZN7rocprim17ROCPRIM_400000_NS6detail17trampoline_kernelINS0_14default_configENS1_35radix_sort_onesweep_config_selectorIfNS0_10empty_typeEEEZNS1_34radix_sort_onesweep_global_offsetsIS3_Lb0EPfPS5_mNS0_19identity_decomposerEEE10hipError_tT1_T2_PT3_SE_jT4_jjP12ihipStream_tbEUlT_E_NS1_11comp_targetILNS1_3genE2ELNS1_11target_archE906ELNS1_3gpuE6ELNS1_3repE0EEENS1_52radix_sort_onesweep_histogram_config_static_selectorELNS0_4arch9wavefront6targetE1EEEvSC_,"axG",@progbits,_ZN7rocprim17ROCPRIM_400000_NS6detail17trampoline_kernelINS0_14default_configENS1_35radix_sort_onesweep_config_selectorIfNS0_10empty_typeEEEZNS1_34radix_sort_onesweep_global_offsetsIS3_Lb0EPfPS5_mNS0_19identity_decomposerEEE10hipError_tT1_T2_PT3_SE_jT4_jjP12ihipStream_tbEUlT_E_NS1_11comp_targetILNS1_3genE2ELNS1_11target_archE906ELNS1_3gpuE6ELNS1_3repE0EEENS1_52radix_sort_onesweep_histogram_config_static_selectorELNS0_4arch9wavefront6targetE1EEEvSC_,comdat
.Lfunc_end1271:
	.size	_ZN7rocprim17ROCPRIM_400000_NS6detail17trampoline_kernelINS0_14default_configENS1_35radix_sort_onesweep_config_selectorIfNS0_10empty_typeEEEZNS1_34radix_sort_onesweep_global_offsetsIS3_Lb0EPfPS5_mNS0_19identity_decomposerEEE10hipError_tT1_T2_PT3_SE_jT4_jjP12ihipStream_tbEUlT_E_NS1_11comp_targetILNS1_3genE2ELNS1_11target_archE906ELNS1_3gpuE6ELNS1_3repE0EEENS1_52radix_sort_onesweep_histogram_config_static_selectorELNS0_4arch9wavefront6targetE1EEEvSC_, .Lfunc_end1271-_ZN7rocprim17ROCPRIM_400000_NS6detail17trampoline_kernelINS0_14default_configENS1_35radix_sort_onesweep_config_selectorIfNS0_10empty_typeEEEZNS1_34radix_sort_onesweep_global_offsetsIS3_Lb0EPfPS5_mNS0_19identity_decomposerEEE10hipError_tT1_T2_PT3_SE_jT4_jjP12ihipStream_tbEUlT_E_NS1_11comp_targetILNS1_3genE2ELNS1_11target_archE906ELNS1_3gpuE6ELNS1_3repE0EEENS1_52radix_sort_onesweep_histogram_config_static_selectorELNS0_4arch9wavefront6targetE1EEEvSC_
                                        ; -- End function
	.section	.AMDGPU.csdata,"",@progbits
; Kernel info:
; codeLenInByte = 0
; NumSgprs: 4
; NumVgprs: 0
; NumAgprs: 0
; TotalNumVgprs: 0
; ScratchSize: 0
; MemoryBound: 0
; FloatMode: 240
; IeeeMode: 1
; LDSByteSize: 0 bytes/workgroup (compile time only)
; SGPRBlocks: 0
; VGPRBlocks: 0
; NumSGPRsForWavesPerEU: 4
; NumVGPRsForWavesPerEU: 1
; AccumOffset: 4
; Occupancy: 8
; WaveLimiterHint : 0
; COMPUTE_PGM_RSRC2:SCRATCH_EN: 0
; COMPUTE_PGM_RSRC2:USER_SGPR: 6
; COMPUTE_PGM_RSRC2:TRAP_HANDLER: 0
; COMPUTE_PGM_RSRC2:TGID_X_EN: 1
; COMPUTE_PGM_RSRC2:TGID_Y_EN: 0
; COMPUTE_PGM_RSRC2:TGID_Z_EN: 0
; COMPUTE_PGM_RSRC2:TIDIG_COMP_CNT: 0
; COMPUTE_PGM_RSRC3_GFX90A:ACCUM_OFFSET: 0
; COMPUTE_PGM_RSRC3_GFX90A:TG_SPLIT: 0
	.section	.text._ZN7rocprim17ROCPRIM_400000_NS6detail17trampoline_kernelINS0_14default_configENS1_35radix_sort_onesweep_config_selectorIfNS0_10empty_typeEEEZNS1_34radix_sort_onesweep_global_offsetsIS3_Lb0EPfPS5_mNS0_19identity_decomposerEEE10hipError_tT1_T2_PT3_SE_jT4_jjP12ihipStream_tbEUlT_E_NS1_11comp_targetILNS1_3genE4ELNS1_11target_archE910ELNS1_3gpuE8ELNS1_3repE0EEENS1_52radix_sort_onesweep_histogram_config_static_selectorELNS0_4arch9wavefront6targetE1EEEvSC_,"axG",@progbits,_ZN7rocprim17ROCPRIM_400000_NS6detail17trampoline_kernelINS0_14default_configENS1_35radix_sort_onesweep_config_selectorIfNS0_10empty_typeEEEZNS1_34radix_sort_onesweep_global_offsetsIS3_Lb0EPfPS5_mNS0_19identity_decomposerEEE10hipError_tT1_T2_PT3_SE_jT4_jjP12ihipStream_tbEUlT_E_NS1_11comp_targetILNS1_3genE4ELNS1_11target_archE910ELNS1_3gpuE8ELNS1_3repE0EEENS1_52radix_sort_onesweep_histogram_config_static_selectorELNS0_4arch9wavefront6targetE1EEEvSC_,comdat
	.protected	_ZN7rocprim17ROCPRIM_400000_NS6detail17trampoline_kernelINS0_14default_configENS1_35radix_sort_onesweep_config_selectorIfNS0_10empty_typeEEEZNS1_34radix_sort_onesweep_global_offsetsIS3_Lb0EPfPS5_mNS0_19identity_decomposerEEE10hipError_tT1_T2_PT3_SE_jT4_jjP12ihipStream_tbEUlT_E_NS1_11comp_targetILNS1_3genE4ELNS1_11target_archE910ELNS1_3gpuE8ELNS1_3repE0EEENS1_52radix_sort_onesweep_histogram_config_static_selectorELNS0_4arch9wavefront6targetE1EEEvSC_ ; -- Begin function _ZN7rocprim17ROCPRIM_400000_NS6detail17trampoline_kernelINS0_14default_configENS1_35radix_sort_onesweep_config_selectorIfNS0_10empty_typeEEEZNS1_34radix_sort_onesweep_global_offsetsIS3_Lb0EPfPS5_mNS0_19identity_decomposerEEE10hipError_tT1_T2_PT3_SE_jT4_jjP12ihipStream_tbEUlT_E_NS1_11comp_targetILNS1_3genE4ELNS1_11target_archE910ELNS1_3gpuE8ELNS1_3repE0EEENS1_52radix_sort_onesweep_histogram_config_static_selectorELNS0_4arch9wavefront6targetE1EEEvSC_
	.globl	_ZN7rocprim17ROCPRIM_400000_NS6detail17trampoline_kernelINS0_14default_configENS1_35radix_sort_onesweep_config_selectorIfNS0_10empty_typeEEEZNS1_34radix_sort_onesweep_global_offsetsIS3_Lb0EPfPS5_mNS0_19identity_decomposerEEE10hipError_tT1_T2_PT3_SE_jT4_jjP12ihipStream_tbEUlT_E_NS1_11comp_targetILNS1_3genE4ELNS1_11target_archE910ELNS1_3gpuE8ELNS1_3repE0EEENS1_52radix_sort_onesweep_histogram_config_static_selectorELNS0_4arch9wavefront6targetE1EEEvSC_
	.p2align	8
	.type	_ZN7rocprim17ROCPRIM_400000_NS6detail17trampoline_kernelINS0_14default_configENS1_35radix_sort_onesweep_config_selectorIfNS0_10empty_typeEEEZNS1_34radix_sort_onesweep_global_offsetsIS3_Lb0EPfPS5_mNS0_19identity_decomposerEEE10hipError_tT1_T2_PT3_SE_jT4_jjP12ihipStream_tbEUlT_E_NS1_11comp_targetILNS1_3genE4ELNS1_11target_archE910ELNS1_3gpuE8ELNS1_3repE0EEENS1_52radix_sort_onesweep_histogram_config_static_selectorELNS0_4arch9wavefront6targetE1EEEvSC_,@function
_ZN7rocprim17ROCPRIM_400000_NS6detail17trampoline_kernelINS0_14default_configENS1_35radix_sort_onesweep_config_selectorIfNS0_10empty_typeEEEZNS1_34radix_sort_onesweep_global_offsetsIS3_Lb0EPfPS5_mNS0_19identity_decomposerEEE10hipError_tT1_T2_PT3_SE_jT4_jjP12ihipStream_tbEUlT_E_NS1_11comp_targetILNS1_3genE4ELNS1_11target_archE910ELNS1_3gpuE8ELNS1_3repE0EEENS1_52radix_sort_onesweep_histogram_config_static_selectorELNS0_4arch9wavefront6targetE1EEEvSC_: ; @_ZN7rocprim17ROCPRIM_400000_NS6detail17trampoline_kernelINS0_14default_configENS1_35radix_sort_onesweep_config_selectorIfNS0_10empty_typeEEEZNS1_34radix_sort_onesweep_global_offsetsIS3_Lb0EPfPS5_mNS0_19identity_decomposerEEE10hipError_tT1_T2_PT3_SE_jT4_jjP12ihipStream_tbEUlT_E_NS1_11comp_targetILNS1_3genE4ELNS1_11target_archE910ELNS1_3gpuE8ELNS1_3repE0EEENS1_52radix_sort_onesweep_histogram_config_static_selectorELNS0_4arch9wavefront6targetE1EEEvSC_
; %bb.0:
	s_load_dwordx2 s[10:11], s[4:5], 0x18
	s_load_dwordx4 s[0:3], s[4:5], 0x0
	s_load_dwordx2 s[8:9], s[4:5], 0x24
	v_mov_b32_e32 v2, s6
	v_mov_b32_e32 v3, 0
	s_mul_hi_u32 s7, s6, 0xc000
	s_mul_i32 s6, s6, 0xc000
	s_waitcnt lgkmcnt(0)
	v_cmp_le_u64_e32 vcc, s[10:11], v[2:3]
	s_add_u32 s6, s0, s6
	s_addc_u32 s7, s1, s7
	s_mov_b64 s[0:1], -1
	s_cbranch_vccz .LBB1272_235
; %bb.1:
	s_load_dword s16, s[4:5], 0x10
	s_mul_i32 s0, s10, 0xffffd000
                                        ; implicit-def: $vgpr24
	s_waitcnt lgkmcnt(0)
	s_add_i32 s16, s16, s0
	v_cmp_gt_u32_e32 vcc, s16, v0
	s_and_saveexec_b64 s[0:1], vcc
	s_cbranch_execz .LBB1272_3
; %bb.2:
	v_lshlrev_b32_e32 v1, 2, v0
	global_load_dword v24, v1, s[6:7]
.LBB1272_3:
	s_or_b64 exec, exec, s[0:1]
	v_or_b32_e32 v22, 0x400, v0
	v_cmp_gt_u32_e32 vcc, s16, v22
                                        ; implicit-def: $vgpr23
	s_and_saveexec_b64 s[0:1], vcc
	s_cbranch_execz .LBB1272_5
; %bb.4:
	v_lshlrev_b32_e32 v1, 2, v22
	global_load_dword v23, v1, s[6:7]
.LBB1272_5:
	s_or_b64 exec, exec, s[0:1]
	v_or_b32_e32 v20, 0x800, v0
	v_cmp_gt_u32_e32 vcc, s16, v20
                                        ; implicit-def: $vgpr21
	s_and_saveexec_b64 s[0:1], vcc
	s_cbranch_execz .LBB1272_7
; %bb.6:
	v_lshlrev_b32_e32 v1, 2, v20
	global_load_dword v21, v1, s[6:7]
.LBB1272_7:
	s_or_b64 exec, exec, s[0:1]
	v_or_b32_e32 v18, 0xc00, v0
	v_cmp_gt_u32_e32 vcc, s16, v18
                                        ; implicit-def: $vgpr19
	s_and_saveexec_b64 s[0:1], vcc
	s_cbranch_execz .LBB1272_9
; %bb.8:
	v_lshlrev_b32_e32 v1, 2, v18
	global_load_dword v19, v1, s[6:7]
.LBB1272_9:
	s_or_b64 exec, exec, s[0:1]
	v_or_b32_e32 v16, 0x1000, v0
	v_cmp_gt_u32_e32 vcc, s16, v16
                                        ; implicit-def: $vgpr17
	s_and_saveexec_b64 s[0:1], vcc
	s_cbranch_execz .LBB1272_11
; %bb.10:
	v_lshlrev_b32_e32 v1, 2, v16
	global_load_dword v17, v1, s[6:7]
.LBB1272_11:
	s_or_b64 exec, exec, s[0:1]
	v_or_b32_e32 v14, 0x1400, v0
	v_cmp_gt_u32_e32 vcc, s16, v14
                                        ; implicit-def: $vgpr15
	s_and_saveexec_b64 s[0:1], vcc
	s_cbranch_execz .LBB1272_13
; %bb.12:
	v_lshlrev_b32_e32 v1, 2, v14
	global_load_dword v15, v1, s[6:7]
.LBB1272_13:
	s_or_b64 exec, exec, s[0:1]
	v_or_b32_e32 v12, 0x1800, v0
	v_cmp_gt_u32_e32 vcc, s16, v12
                                        ; implicit-def: $vgpr13
	s_and_saveexec_b64 s[0:1], vcc
	s_cbranch_execz .LBB1272_15
; %bb.14:
	v_lshlrev_b32_e32 v1, 2, v12
	global_load_dword v13, v1, s[6:7]
.LBB1272_15:
	s_or_b64 exec, exec, s[0:1]
	v_or_b32_e32 v10, 0x1c00, v0
	v_cmp_gt_u32_e32 vcc, s16, v10
                                        ; implicit-def: $vgpr11
	s_and_saveexec_b64 s[0:1], vcc
	s_cbranch_execz .LBB1272_17
; %bb.16:
	v_lshlrev_b32_e32 v1, 2, v10
	global_load_dword v11, v1, s[6:7]
.LBB1272_17:
	s_or_b64 exec, exec, s[0:1]
	v_or_b32_e32 v8, 0x2000, v0
	v_cmp_gt_u32_e32 vcc, s16, v8
                                        ; implicit-def: $vgpr9
	s_and_saveexec_b64 s[0:1], vcc
	s_cbranch_execz .LBB1272_19
; %bb.18:
	v_lshlrev_b32_e32 v1, 2, v8
	global_load_dword v9, v1, s[6:7]
.LBB1272_19:
	s_or_b64 exec, exec, s[0:1]
	v_or_b32_e32 v6, 0x2400, v0
	v_cmp_gt_u32_e32 vcc, s16, v6
                                        ; implicit-def: $vgpr7
	s_and_saveexec_b64 s[0:1], vcc
	s_cbranch_execz .LBB1272_21
; %bb.20:
	v_lshlrev_b32_e32 v1, 2, v6
	global_load_dword v7, v1, s[6:7]
.LBB1272_21:
	s_or_b64 exec, exec, s[0:1]
	v_or_b32_e32 v4, 0x2800, v0
	v_cmp_gt_u32_e32 vcc, s16, v4
                                        ; implicit-def: $vgpr5
	s_and_saveexec_b64 s[0:1], vcc
	s_cbranch_execz .LBB1272_23
; %bb.22:
	v_lshlrev_b32_e32 v1, 2, v4
	global_load_dword v5, v1, s[6:7]
.LBB1272_23:
	s_or_b64 exec, exec, s[0:1]
	v_or_b32_e32 v2, 0x2c00, v0
	v_cmp_gt_u32_e32 vcc, s16, v2
                                        ; implicit-def: $vgpr3
	s_and_saveexec_b64 s[0:1], vcc
	s_cbranch_execz .LBB1272_25
; %bb.24:
	v_lshlrev_b32_e32 v1, 2, v2
	global_load_dword v3, v1, s[6:7]
.LBB1272_25:
	s_or_b64 exec, exec, s[0:1]
	v_lshlrev_b32_e32 v25, 2, v0
	v_mov_b32_e32 v26, 0
	s_cmp_le_u32 s9, s8
	ds_write2st64_b32 v25, v26, v26 offset1:16
	ds_write2st64_b32 v25, v26, v26 offset0:32 offset1:48
	v_bfrev_b32_e32 v25, 1
	s_waitcnt vmcnt(0)
	v_cmp_lt_i32_e32 vcc, -1, v24
	s_cselect_b64 s[4:5], -1, 0
	v_cndmask_b32_e32 v26, -1, v25, vcc
	v_cmp_le_u32_e32 vcc, s16, v0
	s_and_b64 s[0:1], s[4:5], exec
	s_cselect_b32 s17, 8, 10
	s_or_b64 s[0:1], s[4:5], vcc
	v_and_b32_e32 v1, 3, v0
	v_xor_b32_e32 v24, v26, v24
	s_xor_b64 s[0:1], s[0:1], -1
	v_mov_b32_e32 v26, s17
	s_waitcnt lgkmcnt(0)
	s_barrier
	s_and_saveexec_b64 s[10:11], s[0:1]
	s_cbranch_execz .LBB1272_27
; %bb.26:
	s_sub_i32 s0, s9, s8
	s_min_u32 s12, s0, 8
	s_brev_b32 s0, -2
	v_cmp_ne_u32_e64 s[0:1], s0, v24
	v_cndmask_b32_e64 v25, v25, v24, s[0:1]
	v_lshrrev_b32_e32 v25, s8, v25
	v_bfe_u32 v25, v25, 0, s12
	v_lshlrev_b32_e32 v26, 2, v1
	v_lshl_or_b32 v25, v25, 4, v26
	v_mov_b32_e32 v26, 1
	ds_add_u32 v25, v26
	v_mov_b32_e32 v26, 0
.LBB1272_27:
	s_or_b64 exec, exec, s[10:11]
	v_cmp_gt_i32_e64 s[0:1], 10, v26
	s_mov_b64 s[12:13], -1
	s_and_saveexec_b64 s[10:11], s[0:1]
; %bb.28:
	v_cmp_eq_u32_e64 s[0:1], 0, v26
	s_orn2_b64 s[12:13], s[0:1], exec
; %bb.29:
	s_or_b64 exec, exec, s[10:11]
	s_and_saveexec_b64 s[10:11], s[12:13]
	s_cbranch_execz .LBB1272_42
; %bb.30:
	s_add_i32 s14, s8, 8
	s_cmp_le_u32 s9, s14
	s_cselect_b64 s[0:1], -1, 0
	s_and_b64 s[12:13], s[0:1], exec
	s_cselect_b32 s12, 8, 10
	s_or_b64 s[0:1], s[0:1], vcc
	s_xor_b64 s[0:1], s[0:1], -1
	v_mov_b32_e32 v25, s12
	s_and_saveexec_b64 s[12:13], s[0:1]
	s_cbranch_execz .LBB1272_32
; %bb.31:
	s_sub_i32 s0, s9, s14
	s_min_u32 s15, s0, 8
	s_brev_b32 s0, -2
	v_bfrev_b32_e32 v25, 1
	v_cmp_ne_u32_e64 s[0:1], s0, v24
	v_cndmask_b32_e64 v25, v25, v24, s[0:1]
	v_lshrrev_b32_e32 v25, s14, v25
	v_bfe_u32 v25, v25, 0, s15
	v_lshlrev_b32_e32 v26, 2, v1
	v_lshl_or_b32 v25, v25, 4, v26
	v_mov_b32_e32 v26, 1
	ds_add_u32 v25, v26 offset:4096
	v_mov_b32_e32 v25, 0
.LBB1272_32:
	s_or_b64 exec, exec, s[12:13]
	v_cmp_gt_i32_e64 s[0:1], 10, v25
	s_mov_b64 s[12:13], -1
	s_and_saveexec_b64 s[14:15], s[0:1]
; %bb.33:
	v_cmp_eq_u32_e64 s[0:1], 0, v25
	s_orn2_b64 s[12:13], s[0:1], exec
; %bb.34:
	s_or_b64 exec, exec, s[14:15]
	s_and_b64 exec, exec, s[12:13]
	s_cbranch_execz .LBB1272_42
; %bb.35:
	s_add_i32 s14, s8, 16
	s_cmp_le_u32 s9, s14
	s_cselect_b64 s[0:1], -1, 0
	s_and_b64 s[12:13], s[0:1], exec
	s_cselect_b32 s12, 8, 10
	s_or_b64 s[0:1], s[0:1], vcc
	s_xor_b64 s[0:1], s[0:1], -1
	v_mov_b32_e32 v25, s12
	s_and_saveexec_b64 s[12:13], s[0:1]
	s_cbranch_execz .LBB1272_37
; %bb.36:
	s_sub_i32 s0, s9, s14
	s_min_u32 s15, s0, 8
	s_brev_b32 s0, -2
	v_bfrev_b32_e32 v25, 1
	v_cmp_ne_u32_e64 s[0:1], s0, v24
	v_cndmask_b32_e64 v25, v25, v24, s[0:1]
	v_lshrrev_b32_e32 v25, s14, v25
	v_bfe_u32 v25, v25, 0, s15
	v_lshlrev_b32_e32 v26, 2, v1
	v_lshl_or_b32 v25, v25, 4, v26
	v_mov_b32_e32 v26, 1
	ds_add_u32 v25, v26 offset:8192
	v_mov_b32_e32 v25, 0
.LBB1272_37:
	s_or_b64 exec, exec, s[12:13]
	v_cmp_gt_i32_e64 s[0:1], 10, v25
	s_mov_b64 s[12:13], -1
	s_and_saveexec_b64 s[14:15], s[0:1]
; %bb.38:
	v_cmp_eq_u32_e64 s[0:1], 0, v25
	s_orn2_b64 s[12:13], s[0:1], exec
; %bb.39:
	s_or_b64 exec, exec, s[14:15]
	s_and_b64 exec, exec, s[12:13]
	s_cbranch_execz .LBB1272_42
; %bb.40:
	s_add_i32 s0, s8, 24
	s_cmp_gt_u32 s9, s0
	s_cselect_b64 s[12:13], -1, 0
	s_xor_b64 s[14:15], vcc, -1
	s_and_b64 s[12:13], s[12:13], s[14:15]
	s_and_b64 exec, exec, s[12:13]
	s_cbranch_execz .LBB1272_42
; %bb.41:
	s_brev_b32 s12, -2
	v_bfrev_b32_e32 v25, 1
	v_cmp_ne_u32_e32 vcc, s12, v24
	s_sub_i32 s1, s9, s0
	v_cndmask_b32_e32 v24, v25, v24, vcc
	s_min_u32 s1, s1, 8
	v_lshrrev_b32_e32 v24, s0, v24
	v_bfe_u32 v24, v24, 0, s1
	v_lshlrev_b32_e32 v25, 2, v1
	v_lshl_or_b32 v24, v24, 4, v25
	v_mov_b32_e32 v25, 1
	ds_add_u32 v24, v25 offset:12288
.LBB1272_42:
	s_or_b64 exec, exec, s[10:11]
	v_bfrev_b32_e32 v24, 1
	v_cmp_lt_i32_e32 vcc, -1, v23
	v_cndmask_b32_e32 v25, -1, v24, vcc
	v_cmp_le_u32_e32 vcc, s16, v22
	s_or_b64 s[0:1], s[4:5], vcc
	v_xor_b32_e32 v23, v25, v23
	s_xor_b64 s[0:1], s[0:1], -1
	v_mov_b32_e32 v22, s17
	s_and_saveexec_b64 s[10:11], s[0:1]
	s_cbranch_execz .LBB1272_44
; %bb.43:
	s_sub_i32 s0, s9, s8
	s_min_u32 s12, s0, 8
	s_brev_b32 s0, -2
	v_cmp_ne_u32_e64 s[0:1], s0, v23
	v_cndmask_b32_e64 v22, v24, v23, s[0:1]
	v_lshrrev_b32_e32 v22, s8, v22
	v_bfe_u32 v22, v22, 0, s12
	v_lshlrev_b32_e32 v24, 2, v1
	v_lshl_or_b32 v22, v22, 4, v24
	v_mov_b32_e32 v24, 1
	ds_add_u32 v22, v24
	v_mov_b32_e32 v22, 0
.LBB1272_44:
	s_or_b64 exec, exec, s[10:11]
	v_cmp_gt_i32_e64 s[0:1], 10, v22
	s_mov_b64 s[12:13], -1
	s_and_saveexec_b64 s[10:11], s[0:1]
; %bb.45:
	v_cmp_eq_u32_e64 s[0:1], 0, v22
	s_orn2_b64 s[12:13], s[0:1], exec
; %bb.46:
	s_or_b64 exec, exec, s[10:11]
	s_and_saveexec_b64 s[10:11], s[12:13]
	s_cbranch_execz .LBB1272_59
; %bb.47:
	s_add_i32 s14, s8, 8
	s_cmp_le_u32 s9, s14
	s_cselect_b64 s[0:1], -1, 0
	s_and_b64 s[12:13], s[0:1], exec
	s_cselect_b32 s12, 8, 10
	s_or_b64 s[0:1], s[0:1], vcc
	s_xor_b64 s[0:1], s[0:1], -1
	v_mov_b32_e32 v22, s12
	s_and_saveexec_b64 s[12:13], s[0:1]
	s_cbranch_execz .LBB1272_49
; %bb.48:
	s_sub_i32 s0, s9, s14
	s_min_u32 s15, s0, 8
	s_brev_b32 s0, -2
	v_bfrev_b32_e32 v22, 1
	v_cmp_ne_u32_e64 s[0:1], s0, v23
	v_cndmask_b32_e64 v22, v22, v23, s[0:1]
	v_lshrrev_b32_e32 v22, s14, v22
	v_bfe_u32 v22, v22, 0, s15
	v_lshlrev_b32_e32 v24, 2, v1
	v_lshl_or_b32 v22, v22, 4, v24
	v_mov_b32_e32 v24, 1
	ds_add_u32 v22, v24 offset:4096
	v_mov_b32_e32 v22, 0
.LBB1272_49:
	s_or_b64 exec, exec, s[12:13]
	v_cmp_gt_i32_e64 s[0:1], 10, v22
	s_mov_b64 s[12:13], -1
	s_and_saveexec_b64 s[14:15], s[0:1]
; %bb.50:
	v_cmp_eq_u32_e64 s[0:1], 0, v22
	s_orn2_b64 s[12:13], s[0:1], exec
; %bb.51:
	s_or_b64 exec, exec, s[14:15]
	s_and_b64 exec, exec, s[12:13]
	s_cbranch_execz .LBB1272_59
; %bb.52:
	s_add_i32 s14, s8, 16
	s_cmp_le_u32 s9, s14
	s_cselect_b64 s[0:1], -1, 0
	s_and_b64 s[12:13], s[0:1], exec
	s_cselect_b32 s12, 8, 10
	s_or_b64 s[0:1], s[0:1], vcc
	s_xor_b64 s[0:1], s[0:1], -1
	v_mov_b32_e32 v22, s12
	s_and_saveexec_b64 s[12:13], s[0:1]
	s_cbranch_execz .LBB1272_54
; %bb.53:
	s_sub_i32 s0, s9, s14
	s_min_u32 s15, s0, 8
	s_brev_b32 s0, -2
	v_bfrev_b32_e32 v22, 1
	v_cmp_ne_u32_e64 s[0:1], s0, v23
	v_cndmask_b32_e64 v22, v22, v23, s[0:1]
	v_lshrrev_b32_e32 v22, s14, v22
	v_bfe_u32 v22, v22, 0, s15
	v_lshlrev_b32_e32 v24, 2, v1
	v_lshl_or_b32 v22, v22, 4, v24
	v_mov_b32_e32 v24, 1
	ds_add_u32 v22, v24 offset:8192
	v_mov_b32_e32 v22, 0
.LBB1272_54:
	s_or_b64 exec, exec, s[12:13]
	v_cmp_gt_i32_e64 s[0:1], 10, v22
	s_mov_b64 s[12:13], -1
	s_and_saveexec_b64 s[14:15], s[0:1]
; %bb.55:
	v_cmp_eq_u32_e64 s[0:1], 0, v22
	s_orn2_b64 s[12:13], s[0:1], exec
; %bb.56:
	s_or_b64 exec, exec, s[14:15]
	s_and_b64 exec, exec, s[12:13]
	s_cbranch_execz .LBB1272_59
; %bb.57:
	s_add_i32 s0, s8, 24
	s_cmp_gt_u32 s9, s0
	s_cselect_b64 s[12:13], -1, 0
	s_xor_b64 s[14:15], vcc, -1
	s_and_b64 s[12:13], s[12:13], s[14:15]
	s_and_b64 exec, exec, s[12:13]
	s_cbranch_execz .LBB1272_59
; %bb.58:
	s_brev_b32 s12, -2
	v_bfrev_b32_e32 v22, 1
	v_cmp_ne_u32_e32 vcc, s12, v23
	s_sub_i32 s1, s9, s0
	v_cndmask_b32_e32 v22, v22, v23, vcc
	s_min_u32 s1, s1, 8
	v_lshrrev_b32_e32 v22, s0, v22
	v_bfe_u32 v22, v22, 0, s1
	v_lshlrev_b32_e32 v23, 2, v1
	v_lshl_or_b32 v22, v22, 4, v23
	v_mov_b32_e32 v23, 1
	ds_add_u32 v22, v23 offset:12288
.LBB1272_59:
	s_or_b64 exec, exec, s[10:11]
	v_bfrev_b32_e32 v22, 1
	v_cmp_lt_i32_e32 vcc, -1, v21
	v_cndmask_b32_e32 v23, -1, v22, vcc
	v_cmp_le_u32_e32 vcc, s16, v20
	s_or_b64 s[0:1], s[4:5], vcc
	v_xor_b32_e32 v21, v23, v21
	s_xor_b64 s[0:1], s[0:1], -1
	v_mov_b32_e32 v20, s17
	s_and_saveexec_b64 s[10:11], s[0:1]
	s_cbranch_execz .LBB1272_61
; %bb.60:
	s_sub_i32 s0, s9, s8
	s_min_u32 s12, s0, 8
	s_brev_b32 s0, -2
	v_cmp_ne_u32_e64 s[0:1], s0, v21
	v_cndmask_b32_e64 v20, v22, v21, s[0:1]
	v_lshrrev_b32_e32 v20, s8, v20
	v_bfe_u32 v20, v20, 0, s12
	v_lshlrev_b32_e32 v22, 2, v1
	v_lshl_or_b32 v20, v20, 4, v22
	v_mov_b32_e32 v22, 1
	ds_add_u32 v20, v22
	v_mov_b32_e32 v20, 0
.LBB1272_61:
	s_or_b64 exec, exec, s[10:11]
	v_cmp_gt_i32_e64 s[0:1], 10, v20
	s_mov_b64 s[12:13], -1
	s_and_saveexec_b64 s[10:11], s[0:1]
; %bb.62:
	v_cmp_eq_u32_e64 s[0:1], 0, v20
	s_orn2_b64 s[12:13], s[0:1], exec
; %bb.63:
	s_or_b64 exec, exec, s[10:11]
	s_and_saveexec_b64 s[10:11], s[12:13]
	s_cbranch_execz .LBB1272_76
; %bb.64:
	s_add_i32 s14, s8, 8
	s_cmp_le_u32 s9, s14
	s_cselect_b64 s[0:1], -1, 0
	s_and_b64 s[12:13], s[0:1], exec
	s_cselect_b32 s12, 8, 10
	s_or_b64 s[0:1], s[0:1], vcc
	s_xor_b64 s[0:1], s[0:1], -1
	v_mov_b32_e32 v20, s12
	s_and_saveexec_b64 s[12:13], s[0:1]
	s_cbranch_execz .LBB1272_66
; %bb.65:
	s_sub_i32 s0, s9, s14
	s_min_u32 s15, s0, 8
	s_brev_b32 s0, -2
	v_bfrev_b32_e32 v20, 1
	v_cmp_ne_u32_e64 s[0:1], s0, v21
	v_cndmask_b32_e64 v20, v20, v21, s[0:1]
	v_lshrrev_b32_e32 v20, s14, v20
	v_bfe_u32 v20, v20, 0, s15
	v_lshlrev_b32_e32 v22, 2, v1
	v_lshl_or_b32 v20, v20, 4, v22
	v_mov_b32_e32 v22, 1
	ds_add_u32 v20, v22 offset:4096
	v_mov_b32_e32 v20, 0
.LBB1272_66:
	s_or_b64 exec, exec, s[12:13]
	v_cmp_gt_i32_e64 s[0:1], 10, v20
	s_mov_b64 s[12:13], -1
	s_and_saveexec_b64 s[14:15], s[0:1]
; %bb.67:
	v_cmp_eq_u32_e64 s[0:1], 0, v20
	s_orn2_b64 s[12:13], s[0:1], exec
; %bb.68:
	s_or_b64 exec, exec, s[14:15]
	s_and_b64 exec, exec, s[12:13]
	s_cbranch_execz .LBB1272_76
; %bb.69:
	s_add_i32 s14, s8, 16
	s_cmp_le_u32 s9, s14
	s_cselect_b64 s[0:1], -1, 0
	s_and_b64 s[12:13], s[0:1], exec
	s_cselect_b32 s12, 8, 10
	s_or_b64 s[0:1], s[0:1], vcc
	s_xor_b64 s[0:1], s[0:1], -1
	v_mov_b32_e32 v20, s12
	s_and_saveexec_b64 s[12:13], s[0:1]
	s_cbranch_execz .LBB1272_71
; %bb.70:
	s_sub_i32 s0, s9, s14
	s_min_u32 s15, s0, 8
	s_brev_b32 s0, -2
	v_bfrev_b32_e32 v20, 1
	v_cmp_ne_u32_e64 s[0:1], s0, v21
	v_cndmask_b32_e64 v20, v20, v21, s[0:1]
	v_lshrrev_b32_e32 v20, s14, v20
	v_bfe_u32 v20, v20, 0, s15
	v_lshlrev_b32_e32 v22, 2, v1
	v_lshl_or_b32 v20, v20, 4, v22
	v_mov_b32_e32 v22, 1
	ds_add_u32 v20, v22 offset:8192
	v_mov_b32_e32 v20, 0
.LBB1272_71:
	s_or_b64 exec, exec, s[12:13]
	v_cmp_gt_i32_e64 s[0:1], 10, v20
	s_mov_b64 s[12:13], -1
	s_and_saveexec_b64 s[14:15], s[0:1]
; %bb.72:
	v_cmp_eq_u32_e64 s[0:1], 0, v20
	s_orn2_b64 s[12:13], s[0:1], exec
; %bb.73:
	s_or_b64 exec, exec, s[14:15]
	s_and_b64 exec, exec, s[12:13]
	s_cbranch_execz .LBB1272_76
; %bb.74:
	s_add_i32 s0, s8, 24
	s_cmp_gt_u32 s9, s0
	s_cselect_b64 s[12:13], -1, 0
	s_xor_b64 s[14:15], vcc, -1
	s_and_b64 s[12:13], s[12:13], s[14:15]
	s_and_b64 exec, exec, s[12:13]
	s_cbranch_execz .LBB1272_76
; %bb.75:
	s_brev_b32 s12, -2
	v_bfrev_b32_e32 v20, 1
	v_cmp_ne_u32_e32 vcc, s12, v21
	s_sub_i32 s1, s9, s0
	v_cndmask_b32_e32 v20, v20, v21, vcc
	s_min_u32 s1, s1, 8
	v_lshrrev_b32_e32 v20, s0, v20
	v_bfe_u32 v20, v20, 0, s1
	v_lshlrev_b32_e32 v21, 2, v1
	v_lshl_or_b32 v20, v20, 4, v21
	v_mov_b32_e32 v21, 1
	ds_add_u32 v20, v21 offset:12288
.LBB1272_76:
	s_or_b64 exec, exec, s[10:11]
	v_bfrev_b32_e32 v20, 1
	v_cmp_lt_i32_e32 vcc, -1, v19
	v_cndmask_b32_e32 v21, -1, v20, vcc
	v_cmp_le_u32_e32 vcc, s16, v18
	s_or_b64 s[0:1], s[4:5], vcc
	v_xor_b32_e32 v19, v21, v19
	s_xor_b64 s[0:1], s[0:1], -1
	v_mov_b32_e32 v18, s17
	s_and_saveexec_b64 s[10:11], s[0:1]
	s_cbranch_execz .LBB1272_78
; %bb.77:
	s_sub_i32 s0, s9, s8
	s_min_u32 s12, s0, 8
	s_brev_b32 s0, -2
	v_cmp_ne_u32_e64 s[0:1], s0, v19
	v_cndmask_b32_e64 v18, v20, v19, s[0:1]
	v_lshrrev_b32_e32 v18, s8, v18
	v_bfe_u32 v18, v18, 0, s12
	v_lshlrev_b32_e32 v20, 2, v1
	v_lshl_or_b32 v18, v18, 4, v20
	v_mov_b32_e32 v20, 1
	ds_add_u32 v18, v20
	v_mov_b32_e32 v18, 0
.LBB1272_78:
	s_or_b64 exec, exec, s[10:11]
	v_cmp_gt_i32_e64 s[0:1], 10, v18
	s_mov_b64 s[12:13], -1
	s_and_saveexec_b64 s[10:11], s[0:1]
; %bb.79:
	v_cmp_eq_u32_e64 s[0:1], 0, v18
	s_orn2_b64 s[12:13], s[0:1], exec
; %bb.80:
	s_or_b64 exec, exec, s[10:11]
	s_and_saveexec_b64 s[10:11], s[12:13]
	s_cbranch_execz .LBB1272_93
; %bb.81:
	s_add_i32 s14, s8, 8
	s_cmp_le_u32 s9, s14
	s_cselect_b64 s[0:1], -1, 0
	s_and_b64 s[12:13], s[0:1], exec
	s_cselect_b32 s12, 8, 10
	s_or_b64 s[0:1], s[0:1], vcc
	s_xor_b64 s[0:1], s[0:1], -1
	v_mov_b32_e32 v18, s12
	s_and_saveexec_b64 s[12:13], s[0:1]
	s_cbranch_execz .LBB1272_83
; %bb.82:
	s_sub_i32 s0, s9, s14
	s_min_u32 s15, s0, 8
	s_brev_b32 s0, -2
	v_bfrev_b32_e32 v18, 1
	v_cmp_ne_u32_e64 s[0:1], s0, v19
	v_cndmask_b32_e64 v18, v18, v19, s[0:1]
	v_lshrrev_b32_e32 v18, s14, v18
	v_bfe_u32 v18, v18, 0, s15
	v_lshlrev_b32_e32 v20, 2, v1
	v_lshl_or_b32 v18, v18, 4, v20
	v_mov_b32_e32 v20, 1
	ds_add_u32 v18, v20 offset:4096
	v_mov_b32_e32 v18, 0
.LBB1272_83:
	s_or_b64 exec, exec, s[12:13]
	v_cmp_gt_i32_e64 s[0:1], 10, v18
	s_mov_b64 s[12:13], -1
	s_and_saveexec_b64 s[14:15], s[0:1]
; %bb.84:
	v_cmp_eq_u32_e64 s[0:1], 0, v18
	s_orn2_b64 s[12:13], s[0:1], exec
; %bb.85:
	s_or_b64 exec, exec, s[14:15]
	s_and_b64 exec, exec, s[12:13]
	s_cbranch_execz .LBB1272_93
; %bb.86:
	s_add_i32 s14, s8, 16
	s_cmp_le_u32 s9, s14
	s_cselect_b64 s[0:1], -1, 0
	s_and_b64 s[12:13], s[0:1], exec
	s_cselect_b32 s12, 8, 10
	s_or_b64 s[0:1], s[0:1], vcc
	s_xor_b64 s[0:1], s[0:1], -1
	v_mov_b32_e32 v18, s12
	s_and_saveexec_b64 s[12:13], s[0:1]
	s_cbranch_execz .LBB1272_88
; %bb.87:
	s_sub_i32 s0, s9, s14
	s_min_u32 s15, s0, 8
	s_brev_b32 s0, -2
	v_bfrev_b32_e32 v18, 1
	v_cmp_ne_u32_e64 s[0:1], s0, v19
	v_cndmask_b32_e64 v18, v18, v19, s[0:1]
	v_lshrrev_b32_e32 v18, s14, v18
	v_bfe_u32 v18, v18, 0, s15
	v_lshlrev_b32_e32 v20, 2, v1
	v_lshl_or_b32 v18, v18, 4, v20
	v_mov_b32_e32 v20, 1
	ds_add_u32 v18, v20 offset:8192
	v_mov_b32_e32 v18, 0
.LBB1272_88:
	s_or_b64 exec, exec, s[12:13]
	v_cmp_gt_i32_e64 s[0:1], 10, v18
	s_mov_b64 s[12:13], -1
	s_and_saveexec_b64 s[14:15], s[0:1]
; %bb.89:
	v_cmp_eq_u32_e64 s[0:1], 0, v18
	s_orn2_b64 s[12:13], s[0:1], exec
; %bb.90:
	s_or_b64 exec, exec, s[14:15]
	s_and_b64 exec, exec, s[12:13]
	s_cbranch_execz .LBB1272_93
; %bb.91:
	s_add_i32 s0, s8, 24
	s_cmp_gt_u32 s9, s0
	s_cselect_b64 s[12:13], -1, 0
	s_xor_b64 s[14:15], vcc, -1
	s_and_b64 s[12:13], s[12:13], s[14:15]
	s_and_b64 exec, exec, s[12:13]
	s_cbranch_execz .LBB1272_93
; %bb.92:
	s_brev_b32 s12, -2
	v_bfrev_b32_e32 v18, 1
	v_cmp_ne_u32_e32 vcc, s12, v19
	s_sub_i32 s1, s9, s0
	v_cndmask_b32_e32 v18, v18, v19, vcc
	s_min_u32 s1, s1, 8
	v_lshrrev_b32_e32 v18, s0, v18
	v_bfe_u32 v18, v18, 0, s1
	v_lshlrev_b32_e32 v19, 2, v1
	v_lshl_or_b32 v18, v18, 4, v19
	v_mov_b32_e32 v19, 1
	ds_add_u32 v18, v19 offset:12288
.LBB1272_93:
	s_or_b64 exec, exec, s[10:11]
	v_bfrev_b32_e32 v18, 1
	v_cmp_lt_i32_e32 vcc, -1, v17
	v_cndmask_b32_e32 v19, -1, v18, vcc
	v_cmp_le_u32_e32 vcc, s16, v16
	s_or_b64 s[0:1], s[4:5], vcc
	v_xor_b32_e32 v17, v19, v17
	s_xor_b64 s[0:1], s[0:1], -1
	v_mov_b32_e32 v16, s17
	s_and_saveexec_b64 s[10:11], s[0:1]
	s_cbranch_execz .LBB1272_95
; %bb.94:
	s_sub_i32 s0, s9, s8
	s_min_u32 s12, s0, 8
	s_brev_b32 s0, -2
	v_cmp_ne_u32_e64 s[0:1], s0, v17
	v_cndmask_b32_e64 v16, v18, v17, s[0:1]
	v_lshrrev_b32_e32 v16, s8, v16
	v_bfe_u32 v16, v16, 0, s12
	v_lshlrev_b32_e32 v18, 2, v1
	v_lshl_or_b32 v16, v16, 4, v18
	v_mov_b32_e32 v18, 1
	ds_add_u32 v16, v18
	v_mov_b32_e32 v16, 0
.LBB1272_95:
	s_or_b64 exec, exec, s[10:11]
	v_cmp_gt_i32_e64 s[0:1], 10, v16
	s_mov_b64 s[12:13], -1
	s_and_saveexec_b64 s[10:11], s[0:1]
; %bb.96:
	v_cmp_eq_u32_e64 s[0:1], 0, v16
	s_orn2_b64 s[12:13], s[0:1], exec
; %bb.97:
	s_or_b64 exec, exec, s[10:11]
	s_and_saveexec_b64 s[10:11], s[12:13]
	s_cbranch_execz .LBB1272_110
; %bb.98:
	s_add_i32 s14, s8, 8
	s_cmp_le_u32 s9, s14
	s_cselect_b64 s[0:1], -1, 0
	s_and_b64 s[12:13], s[0:1], exec
	s_cselect_b32 s12, 8, 10
	s_or_b64 s[0:1], s[0:1], vcc
	s_xor_b64 s[0:1], s[0:1], -1
	v_mov_b32_e32 v16, s12
	s_and_saveexec_b64 s[12:13], s[0:1]
	s_cbranch_execz .LBB1272_100
; %bb.99:
	s_sub_i32 s0, s9, s14
	s_min_u32 s15, s0, 8
	s_brev_b32 s0, -2
	v_bfrev_b32_e32 v16, 1
	v_cmp_ne_u32_e64 s[0:1], s0, v17
	v_cndmask_b32_e64 v16, v16, v17, s[0:1]
	v_lshrrev_b32_e32 v16, s14, v16
	v_bfe_u32 v16, v16, 0, s15
	v_lshlrev_b32_e32 v18, 2, v1
	v_lshl_or_b32 v16, v16, 4, v18
	v_mov_b32_e32 v18, 1
	ds_add_u32 v16, v18 offset:4096
	v_mov_b32_e32 v16, 0
.LBB1272_100:
	s_or_b64 exec, exec, s[12:13]
	v_cmp_gt_i32_e64 s[0:1], 10, v16
	s_mov_b64 s[12:13], -1
	s_and_saveexec_b64 s[14:15], s[0:1]
; %bb.101:
	v_cmp_eq_u32_e64 s[0:1], 0, v16
	s_orn2_b64 s[12:13], s[0:1], exec
; %bb.102:
	s_or_b64 exec, exec, s[14:15]
	s_and_b64 exec, exec, s[12:13]
	s_cbranch_execz .LBB1272_110
; %bb.103:
	s_add_i32 s14, s8, 16
	s_cmp_le_u32 s9, s14
	s_cselect_b64 s[0:1], -1, 0
	s_and_b64 s[12:13], s[0:1], exec
	s_cselect_b32 s12, 8, 10
	s_or_b64 s[0:1], s[0:1], vcc
	s_xor_b64 s[0:1], s[0:1], -1
	v_mov_b32_e32 v16, s12
	s_and_saveexec_b64 s[12:13], s[0:1]
	s_cbranch_execz .LBB1272_105
; %bb.104:
	s_sub_i32 s0, s9, s14
	s_min_u32 s15, s0, 8
	s_brev_b32 s0, -2
	v_bfrev_b32_e32 v16, 1
	v_cmp_ne_u32_e64 s[0:1], s0, v17
	v_cndmask_b32_e64 v16, v16, v17, s[0:1]
	v_lshrrev_b32_e32 v16, s14, v16
	v_bfe_u32 v16, v16, 0, s15
	v_lshlrev_b32_e32 v18, 2, v1
	v_lshl_or_b32 v16, v16, 4, v18
	v_mov_b32_e32 v18, 1
	ds_add_u32 v16, v18 offset:8192
	v_mov_b32_e32 v16, 0
.LBB1272_105:
	s_or_b64 exec, exec, s[12:13]
	v_cmp_gt_i32_e64 s[0:1], 10, v16
	s_mov_b64 s[12:13], -1
	s_and_saveexec_b64 s[14:15], s[0:1]
; %bb.106:
	v_cmp_eq_u32_e64 s[0:1], 0, v16
	s_orn2_b64 s[12:13], s[0:1], exec
; %bb.107:
	s_or_b64 exec, exec, s[14:15]
	s_and_b64 exec, exec, s[12:13]
	s_cbranch_execz .LBB1272_110
; %bb.108:
	s_add_i32 s0, s8, 24
	s_cmp_gt_u32 s9, s0
	s_cselect_b64 s[12:13], -1, 0
	s_xor_b64 s[14:15], vcc, -1
	s_and_b64 s[12:13], s[12:13], s[14:15]
	s_and_b64 exec, exec, s[12:13]
	s_cbranch_execz .LBB1272_110
; %bb.109:
	s_brev_b32 s12, -2
	v_bfrev_b32_e32 v16, 1
	v_cmp_ne_u32_e32 vcc, s12, v17
	s_sub_i32 s1, s9, s0
	v_cndmask_b32_e32 v16, v16, v17, vcc
	s_min_u32 s1, s1, 8
	v_lshrrev_b32_e32 v16, s0, v16
	v_bfe_u32 v16, v16, 0, s1
	v_lshlrev_b32_e32 v17, 2, v1
	v_lshl_or_b32 v16, v16, 4, v17
	v_mov_b32_e32 v17, 1
	ds_add_u32 v16, v17 offset:12288
.LBB1272_110:
	s_or_b64 exec, exec, s[10:11]
	v_bfrev_b32_e32 v16, 1
	v_cmp_lt_i32_e32 vcc, -1, v15
	v_cndmask_b32_e32 v17, -1, v16, vcc
	v_cmp_le_u32_e32 vcc, s16, v14
	s_or_b64 s[0:1], s[4:5], vcc
	v_xor_b32_e32 v15, v17, v15
	s_xor_b64 s[0:1], s[0:1], -1
	v_mov_b32_e32 v14, s17
	s_and_saveexec_b64 s[10:11], s[0:1]
	s_cbranch_execz .LBB1272_112
; %bb.111:
	s_sub_i32 s0, s9, s8
	s_min_u32 s12, s0, 8
	s_brev_b32 s0, -2
	v_cmp_ne_u32_e64 s[0:1], s0, v15
	v_cndmask_b32_e64 v14, v16, v15, s[0:1]
	v_lshrrev_b32_e32 v14, s8, v14
	v_bfe_u32 v14, v14, 0, s12
	v_lshlrev_b32_e32 v16, 2, v1
	v_lshl_or_b32 v14, v14, 4, v16
	v_mov_b32_e32 v16, 1
	ds_add_u32 v14, v16
	v_mov_b32_e32 v14, 0
.LBB1272_112:
	s_or_b64 exec, exec, s[10:11]
	v_cmp_gt_i32_e64 s[0:1], 10, v14
	s_mov_b64 s[12:13], -1
	s_and_saveexec_b64 s[10:11], s[0:1]
; %bb.113:
	v_cmp_eq_u32_e64 s[0:1], 0, v14
	s_orn2_b64 s[12:13], s[0:1], exec
; %bb.114:
	s_or_b64 exec, exec, s[10:11]
	s_and_saveexec_b64 s[10:11], s[12:13]
	s_cbranch_execz .LBB1272_127
; %bb.115:
	s_add_i32 s14, s8, 8
	s_cmp_le_u32 s9, s14
	s_cselect_b64 s[0:1], -1, 0
	s_and_b64 s[12:13], s[0:1], exec
	s_cselect_b32 s12, 8, 10
	s_or_b64 s[0:1], s[0:1], vcc
	s_xor_b64 s[0:1], s[0:1], -1
	v_mov_b32_e32 v14, s12
	s_and_saveexec_b64 s[12:13], s[0:1]
	s_cbranch_execz .LBB1272_117
; %bb.116:
	s_sub_i32 s0, s9, s14
	s_min_u32 s15, s0, 8
	s_brev_b32 s0, -2
	v_bfrev_b32_e32 v14, 1
	v_cmp_ne_u32_e64 s[0:1], s0, v15
	v_cndmask_b32_e64 v14, v14, v15, s[0:1]
	v_lshrrev_b32_e32 v14, s14, v14
	v_bfe_u32 v14, v14, 0, s15
	v_lshlrev_b32_e32 v16, 2, v1
	v_lshl_or_b32 v14, v14, 4, v16
	v_mov_b32_e32 v16, 1
	ds_add_u32 v14, v16 offset:4096
	v_mov_b32_e32 v14, 0
.LBB1272_117:
	s_or_b64 exec, exec, s[12:13]
	v_cmp_gt_i32_e64 s[0:1], 10, v14
	s_mov_b64 s[12:13], -1
	s_and_saveexec_b64 s[14:15], s[0:1]
; %bb.118:
	v_cmp_eq_u32_e64 s[0:1], 0, v14
	s_orn2_b64 s[12:13], s[0:1], exec
; %bb.119:
	s_or_b64 exec, exec, s[14:15]
	s_and_b64 exec, exec, s[12:13]
	s_cbranch_execz .LBB1272_127
; %bb.120:
	s_add_i32 s14, s8, 16
	s_cmp_le_u32 s9, s14
	s_cselect_b64 s[0:1], -1, 0
	s_and_b64 s[12:13], s[0:1], exec
	s_cselect_b32 s12, 8, 10
	s_or_b64 s[0:1], s[0:1], vcc
	s_xor_b64 s[0:1], s[0:1], -1
	v_mov_b32_e32 v14, s12
	s_and_saveexec_b64 s[12:13], s[0:1]
	s_cbranch_execz .LBB1272_122
; %bb.121:
	s_sub_i32 s0, s9, s14
	s_min_u32 s15, s0, 8
	s_brev_b32 s0, -2
	v_bfrev_b32_e32 v14, 1
	v_cmp_ne_u32_e64 s[0:1], s0, v15
	v_cndmask_b32_e64 v14, v14, v15, s[0:1]
	v_lshrrev_b32_e32 v14, s14, v14
	v_bfe_u32 v14, v14, 0, s15
	v_lshlrev_b32_e32 v16, 2, v1
	v_lshl_or_b32 v14, v14, 4, v16
	v_mov_b32_e32 v16, 1
	ds_add_u32 v14, v16 offset:8192
	v_mov_b32_e32 v14, 0
.LBB1272_122:
	s_or_b64 exec, exec, s[12:13]
	v_cmp_gt_i32_e64 s[0:1], 10, v14
	s_mov_b64 s[12:13], -1
	s_and_saveexec_b64 s[14:15], s[0:1]
; %bb.123:
	v_cmp_eq_u32_e64 s[0:1], 0, v14
	s_orn2_b64 s[12:13], s[0:1], exec
; %bb.124:
	s_or_b64 exec, exec, s[14:15]
	s_and_b64 exec, exec, s[12:13]
	s_cbranch_execz .LBB1272_127
; %bb.125:
	s_add_i32 s0, s8, 24
	s_cmp_gt_u32 s9, s0
	s_cselect_b64 s[12:13], -1, 0
	s_xor_b64 s[14:15], vcc, -1
	s_and_b64 s[12:13], s[12:13], s[14:15]
	s_and_b64 exec, exec, s[12:13]
	s_cbranch_execz .LBB1272_127
; %bb.126:
	s_brev_b32 s12, -2
	v_bfrev_b32_e32 v14, 1
	v_cmp_ne_u32_e32 vcc, s12, v15
	s_sub_i32 s1, s9, s0
	v_cndmask_b32_e32 v14, v14, v15, vcc
	s_min_u32 s1, s1, 8
	v_lshrrev_b32_e32 v14, s0, v14
	v_bfe_u32 v14, v14, 0, s1
	v_lshlrev_b32_e32 v15, 2, v1
	v_lshl_or_b32 v14, v14, 4, v15
	v_mov_b32_e32 v15, 1
	ds_add_u32 v14, v15 offset:12288
.LBB1272_127:
	s_or_b64 exec, exec, s[10:11]
	v_bfrev_b32_e32 v14, 1
	v_cmp_lt_i32_e32 vcc, -1, v13
	v_cndmask_b32_e32 v15, -1, v14, vcc
	v_cmp_le_u32_e32 vcc, s16, v12
	s_or_b64 s[0:1], s[4:5], vcc
	v_xor_b32_e32 v13, v15, v13
	s_xor_b64 s[0:1], s[0:1], -1
	v_mov_b32_e32 v12, s17
	s_and_saveexec_b64 s[10:11], s[0:1]
	s_cbranch_execz .LBB1272_129
; %bb.128:
	s_sub_i32 s0, s9, s8
	s_min_u32 s12, s0, 8
	s_brev_b32 s0, -2
	v_cmp_ne_u32_e64 s[0:1], s0, v13
	v_cndmask_b32_e64 v12, v14, v13, s[0:1]
	v_lshrrev_b32_e32 v12, s8, v12
	v_bfe_u32 v12, v12, 0, s12
	v_lshlrev_b32_e32 v14, 2, v1
	v_lshl_or_b32 v12, v12, 4, v14
	v_mov_b32_e32 v14, 1
	ds_add_u32 v12, v14
	v_mov_b32_e32 v12, 0
.LBB1272_129:
	s_or_b64 exec, exec, s[10:11]
	v_cmp_gt_i32_e64 s[0:1], 10, v12
	s_mov_b64 s[12:13], -1
	s_and_saveexec_b64 s[10:11], s[0:1]
; %bb.130:
	v_cmp_eq_u32_e64 s[0:1], 0, v12
	s_orn2_b64 s[12:13], s[0:1], exec
; %bb.131:
	s_or_b64 exec, exec, s[10:11]
	s_and_saveexec_b64 s[10:11], s[12:13]
	s_cbranch_execz .LBB1272_144
; %bb.132:
	s_add_i32 s14, s8, 8
	s_cmp_le_u32 s9, s14
	s_cselect_b64 s[0:1], -1, 0
	s_and_b64 s[12:13], s[0:1], exec
	s_cselect_b32 s12, 8, 10
	s_or_b64 s[0:1], s[0:1], vcc
	s_xor_b64 s[0:1], s[0:1], -1
	v_mov_b32_e32 v12, s12
	s_and_saveexec_b64 s[12:13], s[0:1]
	s_cbranch_execz .LBB1272_134
; %bb.133:
	s_sub_i32 s0, s9, s14
	s_min_u32 s15, s0, 8
	s_brev_b32 s0, -2
	v_bfrev_b32_e32 v12, 1
	v_cmp_ne_u32_e64 s[0:1], s0, v13
	v_cndmask_b32_e64 v12, v12, v13, s[0:1]
	v_lshrrev_b32_e32 v12, s14, v12
	v_bfe_u32 v12, v12, 0, s15
	v_lshlrev_b32_e32 v14, 2, v1
	v_lshl_or_b32 v12, v12, 4, v14
	v_mov_b32_e32 v14, 1
	ds_add_u32 v12, v14 offset:4096
	v_mov_b32_e32 v12, 0
.LBB1272_134:
	s_or_b64 exec, exec, s[12:13]
	v_cmp_gt_i32_e64 s[0:1], 10, v12
	s_mov_b64 s[12:13], -1
	s_and_saveexec_b64 s[14:15], s[0:1]
; %bb.135:
	v_cmp_eq_u32_e64 s[0:1], 0, v12
	s_orn2_b64 s[12:13], s[0:1], exec
; %bb.136:
	s_or_b64 exec, exec, s[14:15]
	s_and_b64 exec, exec, s[12:13]
	s_cbranch_execz .LBB1272_144
; %bb.137:
	s_add_i32 s14, s8, 16
	s_cmp_le_u32 s9, s14
	s_cselect_b64 s[0:1], -1, 0
	s_and_b64 s[12:13], s[0:1], exec
	s_cselect_b32 s12, 8, 10
	s_or_b64 s[0:1], s[0:1], vcc
	s_xor_b64 s[0:1], s[0:1], -1
	v_mov_b32_e32 v12, s12
	s_and_saveexec_b64 s[12:13], s[0:1]
	s_cbranch_execz .LBB1272_139
; %bb.138:
	s_sub_i32 s0, s9, s14
	s_min_u32 s15, s0, 8
	s_brev_b32 s0, -2
	v_bfrev_b32_e32 v12, 1
	v_cmp_ne_u32_e64 s[0:1], s0, v13
	v_cndmask_b32_e64 v12, v12, v13, s[0:1]
	v_lshrrev_b32_e32 v12, s14, v12
	v_bfe_u32 v12, v12, 0, s15
	v_lshlrev_b32_e32 v14, 2, v1
	v_lshl_or_b32 v12, v12, 4, v14
	v_mov_b32_e32 v14, 1
	ds_add_u32 v12, v14 offset:8192
	v_mov_b32_e32 v12, 0
.LBB1272_139:
	s_or_b64 exec, exec, s[12:13]
	v_cmp_gt_i32_e64 s[0:1], 10, v12
	s_mov_b64 s[12:13], -1
	s_and_saveexec_b64 s[14:15], s[0:1]
; %bb.140:
	v_cmp_eq_u32_e64 s[0:1], 0, v12
	s_orn2_b64 s[12:13], s[0:1], exec
; %bb.141:
	s_or_b64 exec, exec, s[14:15]
	s_and_b64 exec, exec, s[12:13]
	s_cbranch_execz .LBB1272_144
; %bb.142:
	s_add_i32 s0, s8, 24
	s_cmp_gt_u32 s9, s0
	s_cselect_b64 s[12:13], -1, 0
	s_xor_b64 s[14:15], vcc, -1
	s_and_b64 s[12:13], s[12:13], s[14:15]
	s_and_b64 exec, exec, s[12:13]
	s_cbranch_execz .LBB1272_144
; %bb.143:
	s_brev_b32 s12, -2
	v_bfrev_b32_e32 v12, 1
	v_cmp_ne_u32_e32 vcc, s12, v13
	s_sub_i32 s1, s9, s0
	v_cndmask_b32_e32 v12, v12, v13, vcc
	s_min_u32 s1, s1, 8
	v_lshrrev_b32_e32 v12, s0, v12
	v_bfe_u32 v12, v12, 0, s1
	v_lshlrev_b32_e32 v13, 2, v1
	v_lshl_or_b32 v12, v12, 4, v13
	v_mov_b32_e32 v13, 1
	ds_add_u32 v12, v13 offset:12288
.LBB1272_144:
	s_or_b64 exec, exec, s[10:11]
	v_bfrev_b32_e32 v12, 1
	v_cmp_lt_i32_e32 vcc, -1, v11
	v_cndmask_b32_e32 v13, -1, v12, vcc
	v_cmp_le_u32_e32 vcc, s16, v10
	s_or_b64 s[0:1], s[4:5], vcc
	v_xor_b32_e32 v11, v13, v11
	s_xor_b64 s[0:1], s[0:1], -1
	v_mov_b32_e32 v10, s17
	s_and_saveexec_b64 s[10:11], s[0:1]
	s_cbranch_execz .LBB1272_146
; %bb.145:
	s_sub_i32 s0, s9, s8
	s_min_u32 s12, s0, 8
	s_brev_b32 s0, -2
	v_cmp_ne_u32_e64 s[0:1], s0, v11
	v_cndmask_b32_e64 v10, v12, v11, s[0:1]
	v_lshrrev_b32_e32 v10, s8, v10
	v_bfe_u32 v10, v10, 0, s12
	v_lshlrev_b32_e32 v12, 2, v1
	v_lshl_or_b32 v10, v10, 4, v12
	v_mov_b32_e32 v12, 1
	ds_add_u32 v10, v12
	v_mov_b32_e32 v10, 0
.LBB1272_146:
	s_or_b64 exec, exec, s[10:11]
	v_cmp_gt_i32_e64 s[0:1], 10, v10
	s_mov_b64 s[12:13], -1
	s_and_saveexec_b64 s[10:11], s[0:1]
; %bb.147:
	v_cmp_eq_u32_e64 s[0:1], 0, v10
	s_orn2_b64 s[12:13], s[0:1], exec
; %bb.148:
	s_or_b64 exec, exec, s[10:11]
	s_and_saveexec_b64 s[10:11], s[12:13]
	s_cbranch_execz .LBB1272_161
; %bb.149:
	s_add_i32 s14, s8, 8
	s_cmp_le_u32 s9, s14
	s_cselect_b64 s[0:1], -1, 0
	s_and_b64 s[12:13], s[0:1], exec
	s_cselect_b32 s12, 8, 10
	s_or_b64 s[0:1], s[0:1], vcc
	s_xor_b64 s[0:1], s[0:1], -1
	v_mov_b32_e32 v10, s12
	s_and_saveexec_b64 s[12:13], s[0:1]
	s_cbranch_execz .LBB1272_151
; %bb.150:
	s_sub_i32 s0, s9, s14
	s_min_u32 s15, s0, 8
	s_brev_b32 s0, -2
	v_bfrev_b32_e32 v10, 1
	v_cmp_ne_u32_e64 s[0:1], s0, v11
	v_cndmask_b32_e64 v10, v10, v11, s[0:1]
	v_lshrrev_b32_e32 v10, s14, v10
	v_bfe_u32 v10, v10, 0, s15
	v_lshlrev_b32_e32 v12, 2, v1
	v_lshl_or_b32 v10, v10, 4, v12
	v_mov_b32_e32 v12, 1
	ds_add_u32 v10, v12 offset:4096
	v_mov_b32_e32 v10, 0
.LBB1272_151:
	s_or_b64 exec, exec, s[12:13]
	v_cmp_gt_i32_e64 s[0:1], 10, v10
	s_mov_b64 s[12:13], -1
	s_and_saveexec_b64 s[14:15], s[0:1]
; %bb.152:
	v_cmp_eq_u32_e64 s[0:1], 0, v10
	s_orn2_b64 s[12:13], s[0:1], exec
; %bb.153:
	s_or_b64 exec, exec, s[14:15]
	s_and_b64 exec, exec, s[12:13]
	s_cbranch_execz .LBB1272_161
; %bb.154:
	s_add_i32 s14, s8, 16
	s_cmp_le_u32 s9, s14
	s_cselect_b64 s[0:1], -1, 0
	s_and_b64 s[12:13], s[0:1], exec
	s_cselect_b32 s12, 8, 10
	s_or_b64 s[0:1], s[0:1], vcc
	s_xor_b64 s[0:1], s[0:1], -1
	v_mov_b32_e32 v10, s12
	s_and_saveexec_b64 s[12:13], s[0:1]
	s_cbranch_execz .LBB1272_156
; %bb.155:
	s_sub_i32 s0, s9, s14
	s_min_u32 s15, s0, 8
	s_brev_b32 s0, -2
	v_bfrev_b32_e32 v10, 1
	v_cmp_ne_u32_e64 s[0:1], s0, v11
	v_cndmask_b32_e64 v10, v10, v11, s[0:1]
	v_lshrrev_b32_e32 v10, s14, v10
	v_bfe_u32 v10, v10, 0, s15
	v_lshlrev_b32_e32 v12, 2, v1
	v_lshl_or_b32 v10, v10, 4, v12
	v_mov_b32_e32 v12, 1
	ds_add_u32 v10, v12 offset:8192
	v_mov_b32_e32 v10, 0
.LBB1272_156:
	s_or_b64 exec, exec, s[12:13]
	v_cmp_gt_i32_e64 s[0:1], 10, v10
	s_mov_b64 s[12:13], -1
	s_and_saveexec_b64 s[14:15], s[0:1]
; %bb.157:
	v_cmp_eq_u32_e64 s[0:1], 0, v10
	s_orn2_b64 s[12:13], s[0:1], exec
; %bb.158:
	s_or_b64 exec, exec, s[14:15]
	s_and_b64 exec, exec, s[12:13]
	s_cbranch_execz .LBB1272_161
; %bb.159:
	s_add_i32 s0, s8, 24
	s_cmp_gt_u32 s9, s0
	s_cselect_b64 s[12:13], -1, 0
	s_xor_b64 s[14:15], vcc, -1
	s_and_b64 s[12:13], s[12:13], s[14:15]
	s_and_b64 exec, exec, s[12:13]
	s_cbranch_execz .LBB1272_161
; %bb.160:
	s_brev_b32 s12, -2
	v_bfrev_b32_e32 v10, 1
	v_cmp_ne_u32_e32 vcc, s12, v11
	s_sub_i32 s1, s9, s0
	v_cndmask_b32_e32 v10, v10, v11, vcc
	s_min_u32 s1, s1, 8
	v_lshrrev_b32_e32 v10, s0, v10
	v_bfe_u32 v10, v10, 0, s1
	v_lshlrev_b32_e32 v11, 2, v1
	v_lshl_or_b32 v10, v10, 4, v11
	v_mov_b32_e32 v11, 1
	ds_add_u32 v10, v11 offset:12288
.LBB1272_161:
	s_or_b64 exec, exec, s[10:11]
	v_bfrev_b32_e32 v10, 1
	v_cmp_lt_i32_e32 vcc, -1, v9
	v_cndmask_b32_e32 v11, -1, v10, vcc
	v_cmp_le_u32_e32 vcc, s16, v8
	s_or_b64 s[0:1], s[4:5], vcc
	v_xor_b32_e32 v9, v11, v9
	s_xor_b64 s[0:1], s[0:1], -1
	v_mov_b32_e32 v8, s17
	s_and_saveexec_b64 s[10:11], s[0:1]
	s_cbranch_execz .LBB1272_163
; %bb.162:
	s_sub_i32 s0, s9, s8
	s_min_u32 s12, s0, 8
	s_brev_b32 s0, -2
	v_cmp_ne_u32_e64 s[0:1], s0, v9
	v_cndmask_b32_e64 v8, v10, v9, s[0:1]
	v_lshrrev_b32_e32 v8, s8, v8
	v_bfe_u32 v8, v8, 0, s12
	v_lshlrev_b32_e32 v10, 2, v1
	v_lshl_or_b32 v8, v8, 4, v10
	v_mov_b32_e32 v10, 1
	ds_add_u32 v8, v10
	v_mov_b32_e32 v8, 0
.LBB1272_163:
	s_or_b64 exec, exec, s[10:11]
	v_cmp_gt_i32_e64 s[0:1], 10, v8
	s_mov_b64 s[12:13], -1
	s_and_saveexec_b64 s[10:11], s[0:1]
; %bb.164:
	v_cmp_eq_u32_e64 s[0:1], 0, v8
	s_orn2_b64 s[12:13], s[0:1], exec
; %bb.165:
	s_or_b64 exec, exec, s[10:11]
	s_and_saveexec_b64 s[10:11], s[12:13]
	s_cbranch_execz .LBB1272_178
; %bb.166:
	s_add_i32 s14, s8, 8
	s_cmp_le_u32 s9, s14
	s_cselect_b64 s[0:1], -1, 0
	s_and_b64 s[12:13], s[0:1], exec
	s_cselect_b32 s12, 8, 10
	s_or_b64 s[0:1], s[0:1], vcc
	s_xor_b64 s[0:1], s[0:1], -1
	v_mov_b32_e32 v8, s12
	s_and_saveexec_b64 s[12:13], s[0:1]
	s_cbranch_execz .LBB1272_168
; %bb.167:
	s_sub_i32 s0, s9, s14
	s_min_u32 s15, s0, 8
	s_brev_b32 s0, -2
	v_bfrev_b32_e32 v8, 1
	v_cmp_ne_u32_e64 s[0:1], s0, v9
	v_cndmask_b32_e64 v8, v8, v9, s[0:1]
	v_lshrrev_b32_e32 v8, s14, v8
	v_bfe_u32 v8, v8, 0, s15
	v_lshlrev_b32_e32 v10, 2, v1
	v_lshl_or_b32 v8, v8, 4, v10
	v_mov_b32_e32 v10, 1
	ds_add_u32 v8, v10 offset:4096
	v_mov_b32_e32 v8, 0
.LBB1272_168:
	s_or_b64 exec, exec, s[12:13]
	v_cmp_gt_i32_e64 s[0:1], 10, v8
	s_mov_b64 s[12:13], -1
	s_and_saveexec_b64 s[14:15], s[0:1]
; %bb.169:
	v_cmp_eq_u32_e64 s[0:1], 0, v8
	s_orn2_b64 s[12:13], s[0:1], exec
; %bb.170:
	s_or_b64 exec, exec, s[14:15]
	s_and_b64 exec, exec, s[12:13]
	s_cbranch_execz .LBB1272_178
; %bb.171:
	s_add_i32 s14, s8, 16
	s_cmp_le_u32 s9, s14
	s_cselect_b64 s[0:1], -1, 0
	s_and_b64 s[12:13], s[0:1], exec
	s_cselect_b32 s12, 8, 10
	s_or_b64 s[0:1], s[0:1], vcc
	s_xor_b64 s[0:1], s[0:1], -1
	v_mov_b32_e32 v8, s12
	s_and_saveexec_b64 s[12:13], s[0:1]
	s_cbranch_execz .LBB1272_173
; %bb.172:
	s_sub_i32 s0, s9, s14
	s_min_u32 s15, s0, 8
	s_brev_b32 s0, -2
	v_bfrev_b32_e32 v8, 1
	v_cmp_ne_u32_e64 s[0:1], s0, v9
	v_cndmask_b32_e64 v8, v8, v9, s[0:1]
	v_lshrrev_b32_e32 v8, s14, v8
	v_bfe_u32 v8, v8, 0, s15
	v_lshlrev_b32_e32 v10, 2, v1
	v_lshl_or_b32 v8, v8, 4, v10
	v_mov_b32_e32 v10, 1
	ds_add_u32 v8, v10 offset:8192
	v_mov_b32_e32 v8, 0
.LBB1272_173:
	s_or_b64 exec, exec, s[12:13]
	v_cmp_gt_i32_e64 s[0:1], 10, v8
	s_mov_b64 s[12:13], -1
	s_and_saveexec_b64 s[14:15], s[0:1]
; %bb.174:
	v_cmp_eq_u32_e64 s[0:1], 0, v8
	s_orn2_b64 s[12:13], s[0:1], exec
; %bb.175:
	s_or_b64 exec, exec, s[14:15]
	s_and_b64 exec, exec, s[12:13]
	s_cbranch_execz .LBB1272_178
; %bb.176:
	s_add_i32 s0, s8, 24
	s_cmp_gt_u32 s9, s0
	s_cselect_b64 s[12:13], -1, 0
	s_xor_b64 s[14:15], vcc, -1
	s_and_b64 s[12:13], s[12:13], s[14:15]
	s_and_b64 exec, exec, s[12:13]
	s_cbranch_execz .LBB1272_178
; %bb.177:
	s_brev_b32 s12, -2
	v_bfrev_b32_e32 v8, 1
	v_cmp_ne_u32_e32 vcc, s12, v9
	s_sub_i32 s1, s9, s0
	v_cndmask_b32_e32 v8, v8, v9, vcc
	s_min_u32 s1, s1, 8
	v_lshrrev_b32_e32 v8, s0, v8
	v_bfe_u32 v8, v8, 0, s1
	v_lshlrev_b32_e32 v9, 2, v1
	v_lshl_or_b32 v8, v8, 4, v9
	v_mov_b32_e32 v9, 1
	ds_add_u32 v8, v9 offset:12288
.LBB1272_178:
	s_or_b64 exec, exec, s[10:11]
	v_bfrev_b32_e32 v8, 1
	v_cmp_lt_i32_e32 vcc, -1, v7
	v_cndmask_b32_e32 v9, -1, v8, vcc
	v_cmp_le_u32_e32 vcc, s16, v6
	s_or_b64 s[0:1], s[4:5], vcc
	v_xor_b32_e32 v7, v9, v7
	s_xor_b64 s[0:1], s[0:1], -1
	v_mov_b32_e32 v6, s17
	s_and_saveexec_b64 s[10:11], s[0:1]
	s_cbranch_execz .LBB1272_180
; %bb.179:
	s_sub_i32 s0, s9, s8
	s_min_u32 s12, s0, 8
	s_brev_b32 s0, -2
	v_cmp_ne_u32_e64 s[0:1], s0, v7
	v_cndmask_b32_e64 v6, v8, v7, s[0:1]
	v_lshrrev_b32_e32 v6, s8, v6
	v_bfe_u32 v6, v6, 0, s12
	v_lshlrev_b32_e32 v8, 2, v1
	v_lshl_or_b32 v6, v6, 4, v8
	v_mov_b32_e32 v8, 1
	ds_add_u32 v6, v8
	v_mov_b32_e32 v6, 0
.LBB1272_180:
	s_or_b64 exec, exec, s[10:11]
	v_cmp_gt_i32_e64 s[0:1], 10, v6
	s_mov_b64 s[12:13], -1
	s_and_saveexec_b64 s[10:11], s[0:1]
; %bb.181:
	v_cmp_eq_u32_e64 s[0:1], 0, v6
	s_orn2_b64 s[12:13], s[0:1], exec
; %bb.182:
	s_or_b64 exec, exec, s[10:11]
	s_and_saveexec_b64 s[10:11], s[12:13]
	s_cbranch_execz .LBB1272_195
; %bb.183:
	s_add_i32 s14, s8, 8
	s_cmp_le_u32 s9, s14
	s_cselect_b64 s[0:1], -1, 0
	s_and_b64 s[12:13], s[0:1], exec
	s_cselect_b32 s12, 8, 10
	s_or_b64 s[0:1], s[0:1], vcc
	s_xor_b64 s[0:1], s[0:1], -1
	v_mov_b32_e32 v6, s12
	s_and_saveexec_b64 s[12:13], s[0:1]
	s_cbranch_execz .LBB1272_185
; %bb.184:
	s_sub_i32 s0, s9, s14
	s_min_u32 s15, s0, 8
	s_brev_b32 s0, -2
	v_bfrev_b32_e32 v6, 1
	v_cmp_ne_u32_e64 s[0:1], s0, v7
	v_cndmask_b32_e64 v6, v6, v7, s[0:1]
	v_lshrrev_b32_e32 v6, s14, v6
	v_bfe_u32 v6, v6, 0, s15
	v_lshlrev_b32_e32 v8, 2, v1
	v_lshl_or_b32 v6, v6, 4, v8
	v_mov_b32_e32 v8, 1
	ds_add_u32 v6, v8 offset:4096
	v_mov_b32_e32 v6, 0
.LBB1272_185:
	s_or_b64 exec, exec, s[12:13]
	v_cmp_gt_i32_e64 s[0:1], 10, v6
	s_mov_b64 s[12:13], -1
	s_and_saveexec_b64 s[14:15], s[0:1]
; %bb.186:
	v_cmp_eq_u32_e64 s[0:1], 0, v6
	s_orn2_b64 s[12:13], s[0:1], exec
; %bb.187:
	s_or_b64 exec, exec, s[14:15]
	s_and_b64 exec, exec, s[12:13]
	s_cbranch_execz .LBB1272_195
; %bb.188:
	s_add_i32 s14, s8, 16
	s_cmp_le_u32 s9, s14
	s_cselect_b64 s[0:1], -1, 0
	s_and_b64 s[12:13], s[0:1], exec
	s_cselect_b32 s12, 8, 10
	s_or_b64 s[0:1], s[0:1], vcc
	s_xor_b64 s[0:1], s[0:1], -1
	v_mov_b32_e32 v6, s12
	s_and_saveexec_b64 s[12:13], s[0:1]
	s_cbranch_execz .LBB1272_190
; %bb.189:
	s_sub_i32 s0, s9, s14
	s_min_u32 s15, s0, 8
	s_brev_b32 s0, -2
	v_bfrev_b32_e32 v6, 1
	v_cmp_ne_u32_e64 s[0:1], s0, v7
	v_cndmask_b32_e64 v6, v6, v7, s[0:1]
	v_lshrrev_b32_e32 v6, s14, v6
	v_bfe_u32 v6, v6, 0, s15
	v_lshlrev_b32_e32 v8, 2, v1
	v_lshl_or_b32 v6, v6, 4, v8
	v_mov_b32_e32 v8, 1
	ds_add_u32 v6, v8 offset:8192
	v_mov_b32_e32 v6, 0
.LBB1272_190:
	s_or_b64 exec, exec, s[12:13]
	v_cmp_gt_i32_e64 s[0:1], 10, v6
	s_mov_b64 s[12:13], -1
	s_and_saveexec_b64 s[14:15], s[0:1]
; %bb.191:
	v_cmp_eq_u32_e64 s[0:1], 0, v6
	s_orn2_b64 s[12:13], s[0:1], exec
; %bb.192:
	s_or_b64 exec, exec, s[14:15]
	s_and_b64 exec, exec, s[12:13]
	s_cbranch_execz .LBB1272_195
; %bb.193:
	s_add_i32 s0, s8, 24
	s_cmp_gt_u32 s9, s0
	s_cselect_b64 s[12:13], -1, 0
	s_xor_b64 s[14:15], vcc, -1
	s_and_b64 s[12:13], s[12:13], s[14:15]
	s_and_b64 exec, exec, s[12:13]
	s_cbranch_execz .LBB1272_195
; %bb.194:
	s_brev_b32 s12, -2
	v_bfrev_b32_e32 v6, 1
	v_cmp_ne_u32_e32 vcc, s12, v7
	s_sub_i32 s1, s9, s0
	v_cndmask_b32_e32 v6, v6, v7, vcc
	s_min_u32 s1, s1, 8
	v_lshrrev_b32_e32 v6, s0, v6
	v_bfe_u32 v6, v6, 0, s1
	v_lshlrev_b32_e32 v7, 2, v1
	v_lshl_or_b32 v6, v6, 4, v7
	v_mov_b32_e32 v7, 1
	ds_add_u32 v6, v7 offset:12288
.LBB1272_195:
	s_or_b64 exec, exec, s[10:11]
	v_bfrev_b32_e32 v6, 1
	v_cmp_lt_i32_e32 vcc, -1, v5
	v_cndmask_b32_e32 v7, -1, v6, vcc
	v_cmp_le_u32_e32 vcc, s16, v4
	s_or_b64 s[0:1], s[4:5], vcc
	v_xor_b32_e32 v5, v7, v5
	s_xor_b64 s[0:1], s[0:1], -1
	v_mov_b32_e32 v4, s17
	s_and_saveexec_b64 s[10:11], s[0:1]
	s_cbranch_execz .LBB1272_197
; %bb.196:
	s_sub_i32 s0, s9, s8
	s_min_u32 s12, s0, 8
	s_brev_b32 s0, -2
	v_cmp_ne_u32_e64 s[0:1], s0, v5
	v_cndmask_b32_e64 v4, v6, v5, s[0:1]
	v_lshrrev_b32_e32 v4, s8, v4
	v_bfe_u32 v4, v4, 0, s12
	v_lshlrev_b32_e32 v6, 2, v1
	v_lshl_or_b32 v4, v4, 4, v6
	v_mov_b32_e32 v6, 1
	ds_add_u32 v4, v6
	v_mov_b32_e32 v4, 0
.LBB1272_197:
	s_or_b64 exec, exec, s[10:11]
	v_cmp_gt_i32_e64 s[0:1], 10, v4
	s_mov_b64 s[12:13], -1
	s_and_saveexec_b64 s[10:11], s[0:1]
; %bb.198:
	v_cmp_eq_u32_e64 s[0:1], 0, v4
	s_orn2_b64 s[12:13], s[0:1], exec
; %bb.199:
	s_or_b64 exec, exec, s[10:11]
	s_and_saveexec_b64 s[10:11], s[12:13]
	s_cbranch_execz .LBB1272_212
; %bb.200:
	s_add_i32 s14, s8, 8
	s_cmp_le_u32 s9, s14
	s_cselect_b64 s[0:1], -1, 0
	s_and_b64 s[12:13], s[0:1], exec
	s_cselect_b32 s12, 8, 10
	s_or_b64 s[0:1], s[0:1], vcc
	s_xor_b64 s[0:1], s[0:1], -1
	v_mov_b32_e32 v4, s12
	s_and_saveexec_b64 s[12:13], s[0:1]
	s_cbranch_execz .LBB1272_202
; %bb.201:
	s_sub_i32 s0, s9, s14
	s_min_u32 s15, s0, 8
	s_brev_b32 s0, -2
	v_bfrev_b32_e32 v4, 1
	v_cmp_ne_u32_e64 s[0:1], s0, v5
	v_cndmask_b32_e64 v4, v4, v5, s[0:1]
	v_lshrrev_b32_e32 v4, s14, v4
	v_bfe_u32 v4, v4, 0, s15
	v_lshlrev_b32_e32 v6, 2, v1
	v_lshl_or_b32 v4, v4, 4, v6
	v_mov_b32_e32 v6, 1
	ds_add_u32 v4, v6 offset:4096
	v_mov_b32_e32 v4, 0
.LBB1272_202:
	s_or_b64 exec, exec, s[12:13]
	v_cmp_gt_i32_e64 s[0:1], 10, v4
	s_mov_b64 s[12:13], -1
	s_and_saveexec_b64 s[14:15], s[0:1]
; %bb.203:
	v_cmp_eq_u32_e64 s[0:1], 0, v4
	s_orn2_b64 s[12:13], s[0:1], exec
; %bb.204:
	s_or_b64 exec, exec, s[14:15]
	s_and_b64 exec, exec, s[12:13]
	s_cbranch_execz .LBB1272_212
; %bb.205:
	s_add_i32 s14, s8, 16
	s_cmp_le_u32 s9, s14
	s_cselect_b64 s[0:1], -1, 0
	s_and_b64 s[12:13], s[0:1], exec
	s_cselect_b32 s12, 8, 10
	s_or_b64 s[0:1], s[0:1], vcc
	s_xor_b64 s[0:1], s[0:1], -1
	v_mov_b32_e32 v4, s12
	s_and_saveexec_b64 s[12:13], s[0:1]
	s_cbranch_execz .LBB1272_207
; %bb.206:
	s_sub_i32 s0, s9, s14
	s_min_u32 s15, s0, 8
	s_brev_b32 s0, -2
	v_bfrev_b32_e32 v4, 1
	v_cmp_ne_u32_e64 s[0:1], s0, v5
	v_cndmask_b32_e64 v4, v4, v5, s[0:1]
	v_lshrrev_b32_e32 v4, s14, v4
	v_bfe_u32 v4, v4, 0, s15
	v_lshlrev_b32_e32 v6, 2, v1
	v_lshl_or_b32 v4, v4, 4, v6
	v_mov_b32_e32 v6, 1
	ds_add_u32 v4, v6 offset:8192
	v_mov_b32_e32 v4, 0
.LBB1272_207:
	s_or_b64 exec, exec, s[12:13]
	v_cmp_gt_i32_e64 s[0:1], 10, v4
	s_mov_b64 s[12:13], -1
	s_and_saveexec_b64 s[14:15], s[0:1]
; %bb.208:
	v_cmp_eq_u32_e64 s[0:1], 0, v4
	s_orn2_b64 s[12:13], s[0:1], exec
; %bb.209:
	s_or_b64 exec, exec, s[14:15]
	s_and_b64 exec, exec, s[12:13]
	s_cbranch_execz .LBB1272_212
; %bb.210:
	s_add_i32 s0, s8, 24
	s_cmp_gt_u32 s9, s0
	s_cselect_b64 s[12:13], -1, 0
	s_xor_b64 s[14:15], vcc, -1
	s_and_b64 s[12:13], s[12:13], s[14:15]
	s_and_b64 exec, exec, s[12:13]
	s_cbranch_execz .LBB1272_212
; %bb.211:
	s_brev_b32 s12, -2
	v_bfrev_b32_e32 v4, 1
	v_cmp_ne_u32_e32 vcc, s12, v5
	s_sub_i32 s1, s9, s0
	v_cndmask_b32_e32 v4, v4, v5, vcc
	s_min_u32 s1, s1, 8
	v_lshrrev_b32_e32 v4, s0, v4
	v_bfe_u32 v4, v4, 0, s1
	v_lshlrev_b32_e32 v5, 2, v1
	v_lshl_or_b32 v4, v4, 4, v5
	v_mov_b32_e32 v5, 1
	ds_add_u32 v4, v5 offset:12288
.LBB1272_212:
	s_or_b64 exec, exec, s[10:11]
	v_bfrev_b32_e32 v4, 1
	v_cmp_lt_i32_e32 vcc, -1, v3
	v_cndmask_b32_e32 v5, -1, v4, vcc
	v_cmp_le_u32_e32 vcc, s16, v2
	s_or_b64 s[0:1], s[4:5], vcc
	v_xor_b32_e32 v3, v5, v3
	s_xor_b64 s[0:1], s[0:1], -1
	v_mov_b32_e32 v2, s17
	s_and_saveexec_b64 s[4:5], s[0:1]
	s_cbranch_execz .LBB1272_214
; %bb.213:
	s_sub_i32 s0, s9, s8
	s_min_u32 s10, s0, 8
	s_brev_b32 s0, -2
	v_cmp_ne_u32_e64 s[0:1], s0, v3
	v_cndmask_b32_e64 v2, v4, v3, s[0:1]
	v_lshrrev_b32_e32 v2, s8, v2
	v_bfe_u32 v2, v2, 0, s10
	v_lshlrev_b32_e32 v4, 2, v1
	v_lshl_or_b32 v2, v2, 4, v4
	v_mov_b32_e32 v4, 1
	ds_add_u32 v2, v4
	v_mov_b32_e32 v2, 0
.LBB1272_214:
	s_or_b64 exec, exec, s[4:5]
	v_cmp_gt_i32_e64 s[0:1], 10, v2
	s_mov_b64 s[10:11], -1
	s_and_saveexec_b64 s[4:5], s[0:1]
; %bb.215:
	v_cmp_eq_u32_e64 s[0:1], 0, v2
	s_orn2_b64 s[10:11], s[0:1], exec
; %bb.216:
	s_or_b64 exec, exec, s[4:5]
	s_and_saveexec_b64 s[4:5], s[10:11]
	s_cbranch_execz .LBB1272_229
; %bb.217:
	s_add_i32 s12, s8, 8
	s_cmp_le_u32 s9, s12
	s_cselect_b64 s[0:1], -1, 0
	s_and_b64 s[10:11], s[0:1], exec
	s_cselect_b32 s10, 8, 10
	s_or_b64 s[0:1], s[0:1], vcc
	s_xor_b64 s[0:1], s[0:1], -1
	v_mov_b32_e32 v2, s10
	s_and_saveexec_b64 s[10:11], s[0:1]
	s_cbranch_execz .LBB1272_219
; %bb.218:
	s_sub_i32 s0, s9, s12
	s_min_u32 s13, s0, 8
	s_brev_b32 s0, -2
	v_bfrev_b32_e32 v2, 1
	v_cmp_ne_u32_e64 s[0:1], s0, v3
	v_cndmask_b32_e64 v2, v2, v3, s[0:1]
	v_lshrrev_b32_e32 v2, s12, v2
	v_bfe_u32 v2, v2, 0, s13
	v_lshlrev_b32_e32 v4, 2, v1
	v_lshl_or_b32 v2, v2, 4, v4
	v_mov_b32_e32 v4, 1
	ds_add_u32 v2, v4 offset:4096
	v_mov_b32_e32 v2, 0
.LBB1272_219:
	s_or_b64 exec, exec, s[10:11]
	v_cmp_gt_i32_e64 s[0:1], 10, v2
	s_mov_b64 s[10:11], -1
	s_and_saveexec_b64 s[12:13], s[0:1]
; %bb.220:
	v_cmp_eq_u32_e64 s[0:1], 0, v2
	s_orn2_b64 s[10:11], s[0:1], exec
; %bb.221:
	s_or_b64 exec, exec, s[12:13]
	s_and_b64 exec, exec, s[10:11]
	s_cbranch_execz .LBB1272_229
; %bb.222:
	s_add_i32 s12, s8, 16
	s_cmp_le_u32 s9, s12
	s_cselect_b64 s[0:1], -1, 0
	s_and_b64 s[10:11], s[0:1], exec
	s_cselect_b32 s10, 8, 10
	s_or_b64 s[0:1], s[0:1], vcc
	s_xor_b64 s[0:1], s[0:1], -1
	v_mov_b32_e32 v2, s10
	s_and_saveexec_b64 s[10:11], s[0:1]
	s_cbranch_execz .LBB1272_224
; %bb.223:
	s_sub_i32 s0, s9, s12
	s_min_u32 s13, s0, 8
	s_brev_b32 s0, -2
	v_bfrev_b32_e32 v2, 1
	v_cmp_ne_u32_e64 s[0:1], s0, v3
	v_cndmask_b32_e64 v2, v2, v3, s[0:1]
	v_lshrrev_b32_e32 v2, s12, v2
	v_bfe_u32 v2, v2, 0, s13
	v_lshlrev_b32_e32 v4, 2, v1
	v_lshl_or_b32 v2, v2, 4, v4
	v_mov_b32_e32 v4, 1
	ds_add_u32 v2, v4 offset:8192
	v_mov_b32_e32 v2, 0
.LBB1272_224:
	s_or_b64 exec, exec, s[10:11]
	v_cmp_gt_i32_e64 s[0:1], 10, v2
	s_mov_b64 s[10:11], -1
	s_and_saveexec_b64 s[12:13], s[0:1]
; %bb.225:
	v_cmp_eq_u32_e64 s[0:1], 0, v2
	s_orn2_b64 s[10:11], s[0:1], exec
; %bb.226:
	s_or_b64 exec, exec, s[12:13]
	s_and_b64 exec, exec, s[10:11]
	s_cbranch_execz .LBB1272_229
; %bb.227:
	s_add_i32 s0, s8, 24
	s_cmp_gt_u32 s9, s0
	s_cselect_b64 s[10:11], -1, 0
	s_xor_b64 s[12:13], vcc, -1
	s_and_b64 s[10:11], s[10:11], s[12:13]
	s_and_b64 exec, exec, s[10:11]
	s_cbranch_execz .LBB1272_229
; %bb.228:
	s_brev_b32 s10, -2
	v_bfrev_b32_e32 v2, 1
	v_cmp_ne_u32_e32 vcc, s10, v3
	s_sub_i32 s1, s9, s0
	v_cndmask_b32_e32 v2, v2, v3, vcc
	s_min_u32 s1, s1, 8
	v_lshrrev_b32_e32 v2, s0, v2
	v_bfe_u32 v2, v2, 0, s1
	v_lshlrev_b32_e32 v1, 2, v1
	v_lshl_or_b32 v1, v2, 4, v1
	v_mov_b32_e32 v2, 1
	ds_add_u32 v1, v2 offset:12288
.LBB1272_229:
	s_or_b64 exec, exec, s[4:5]
	s_cmp_gt_u32 s9, s8
	s_waitcnt lgkmcnt(0)
	s_barrier
	s_cbranch_scc0 .LBB1272_234
; %bb.230:
	s_movk_i32 s0, 0x100
	v_cmp_gt_u32_e32 vcc, s0, v0
	v_lshlrev_b32_e32 v1, 4, v0
	v_mov_b32_e32 v3, 0
	v_mov_b32_e32 v2, v0
	s_mov_b32 s10, s8
	s_branch .LBB1272_232
.LBB1272_231:                           ;   in Loop: Header=BB1272_232 Depth=1
	s_or_b64 exec, exec, s[4:5]
	s_add_i32 s10, s10, 8
	v_add_u32_e32 v2, 0x100, v2
	s_cmp_lt_u32 s10, s9
	v_add_u32_e32 v1, 0x1000, v1
	s_cbranch_scc0 .LBB1272_234
.LBB1272_232:                           ; =>This Inner Loop Header: Depth=1
	s_and_saveexec_b64 s[4:5], vcc
	s_cbranch_execz .LBB1272_231
; %bb.233:                              ;   in Loop: Header=BB1272_232 Depth=1
	ds_read2_b32 v[4:5], v1 offset1:1
	ds_read2_b32 v[6:7], v1 offset0:2 offset1:3
	v_lshlrev_b64 v[8:9], 3, v[2:3]
	v_mov_b32_e32 v10, s3
	s_waitcnt lgkmcnt(1)
	v_add_u32_e32 v4, v5, v4
	s_waitcnt lgkmcnt(0)
	v_add3_u32 v4, v4, v6, v7
	v_add_co_u32_e64 v6, s[0:1], s2, v8
	v_addc_co_u32_e64 v7, s[0:1], v10, v9, s[0:1]
	v_mov_b32_e32 v5, v3
	global_atomic_add_x2 v[6:7], v[4:5], off
	s_branch .LBB1272_231
.LBB1272_234:
	s_mov_b64 s[0:1], 0
.LBB1272_235:
	s_and_b64 vcc, exec, s[0:1]
	s_cbranch_vccz .LBB1272_295
; %bb.236:
	v_lshlrev_b32_e32 v4, 2, v0
	v_mov_b32_e32 v1, s7
	v_add_co_u32_e32 v13, vcc, s6, v4
	v_addc_co_u32_e32 v1, vcc, 0, v1, vcc
	v_add_co_u32_e32 v2, vcc, 0x1000, v13
	v_addc_co_u32_e32 v3, vcc, 0, v1, vcc
	;; [unrolled: 2-line block ×8, first 2 shown]
	global_load_dword v12, v4, s[6:7]
	global_load_dword v11, v[2:3], off
	global_load_dword v10, v[14:15], off
	;; [unrolled: 1-line block ×7, first 2 shown]
	v_add_co_u32_e32 v2, vcc, 0x8000, v13
	v_addc_co_u32_e32 v3, vcc, 0, v1, vcc
	v_add_co_u32_e32 v18, vcc, 0x9000, v13
	v_addc_co_u32_e32 v19, vcc, 0, v1, vcc
	;; [unrolled: 2-line block ×4, first 2 shown]
	global_load_dword v16, v[2:3], off
	global_load_dword v15, v[18:19], off
	;; [unrolled: 1-line block ×4, first 2 shown]
	s_cmp_eq_u32 s8, 0
	s_cselect_b64 s[0:1], -1, 0
	s_cmp_eq_u32 s9, 32
	s_cselect_b64 s[4:5], -1, 0
	s_and_b64 s[4:5], s[0:1], s[4:5]
	s_mov_b64 s[0:1], -1
	s_and_b64 vcc, exec, s[4:5]
	s_cbranch_vccnz .LBB1272_292
; %bb.237:
	s_cmp_gt_u32 s9, s8
	s_cselect_b64 s[4:5], -1, 0
	v_mov_b32_e32 v1, 0
	s_and_b64 vcc, exec, s[4:5]
	ds_write2st64_b32 v4, v1, v1 offset1:16
	ds_write2st64_b32 v4, v1, v1 offset0:32 offset1:48
	s_waitcnt lgkmcnt(0)
	s_barrier
	s_cbranch_vccz .LBB1272_286
; %bb.238:
	s_sub_i32 s0, s9, s8
	v_bfrev_b32_e32 v2, 1
	s_waitcnt vmcnt(11)
	v_cmp_lt_i32_e32 vcc, -1, v12
	s_min_u32 s0, s0, 8
	v_cndmask_b32_e32 v3, -1, v2, vcc
	s_lshl_b32 s0, -1, s0
	v_xor_b32_e32 v3, v3, v12
	s_not_b32 s10, s0
	s_brev_b32 s0, -2
	v_cmp_ne_u32_e32 vcc, s0, v3
	v_cndmask_b32_e32 v17, v2, v3, vcc
	v_and_b32_e32 v1, 3, v0
	v_lshrrev_b32_e32 v3, s8, v17
	v_and_b32_e32 v3, s10, v3
	v_lshlrev_b32_e32 v1, 2, v1
	v_lshl_or_b32 v18, v3, 4, v1
	v_mov_b32_e32 v3, 1
	ds_add_u32 v18, v3
	s_add_i32 s11, s8, 8
	s_cmp_gt_u32 s9, s11
	s_cselect_b64 s[6:7], -1, 0
	s_cmp_le_u32 s9, s11
	s_cbranch_scc1 .LBB1272_242
; %bb.239:
	s_sub_i32 s1, s9, s11
	s_min_u32 s1, s1, 8
	v_lshrrev_b32_e32 v18, s11, v17
	v_bfe_u32 v18, v18, 0, s1
	v_lshl_or_b32 v18, v18, 4, v1
	ds_add_u32 v18, v3 offset:4096
	s_add_i32 s1, s8, 16
	s_cmp_le_u32 s9, s1
	s_cbranch_scc1 .LBB1272_242
; %bb.240:
	s_sub_i32 s12, s9, s1
	s_min_u32 s12, s12, 8
	v_lshrrev_b32_e32 v18, s1, v17
	v_bfe_u32 v18, v18, 0, s12
	v_lshl_or_b32 v19, v18, 4, v1
	v_mov_b32_e32 v18, 1
	ds_add_u32 v19, v18 offset:8192
	s_add_i32 s1, s8, 24
	s_cmp_le_u32 s9, s1
	s_cbranch_scc1 .LBB1272_242
; %bb.241:
	s_sub_i32 s12, s9, s1
	s_min_u32 s12, s12, 8
	v_lshrrev_b32_e32 v17, s1, v17
	v_bfe_u32 v17, v17, 0, s12
	v_lshl_or_b32 v17, v17, 4, v1
	ds_add_u32 v17, v18 offset:12288
.LBB1272_242:
	s_waitcnt vmcnt(10)
	v_cmp_lt_i32_e32 vcc, -1, v11
	v_cndmask_b32_e32 v17, -1, v2, vcc
	v_xor_b32_e32 v17, v17, v11
	v_cmp_ne_u32_e32 vcc, s0, v17
	v_cndmask_b32_e32 v2, v2, v17, vcc
	v_lshrrev_b32_e32 v17, s8, v2
	v_and_b32_e32 v17, s10, v17
	v_lshl_or_b32 v17, v17, 4, v1
	ds_add_u32 v17, v3
	v_cndmask_b32_e64 v3, 0, 1, s[6:7]
	v_cmp_ne_u32_e64 s[0:1], 1, v3
	s_andn2_b64 vcc, exec, s[6:7]
	s_cbranch_vccnz .LBB1272_246
; %bb.243:
	s_sub_i32 s6, s9, s11
	s_min_u32 s6, s6, 8
	v_lshrrev_b32_e32 v3, s11, v2
	v_bfe_u32 v3, v3, 0, s6
	v_lshl_or_b32 v17, v3, 4, v1
	v_mov_b32_e32 v3, 1
	ds_add_u32 v17, v3 offset:4096
	s_add_i32 s6, s8, 16
	s_cmp_le_u32 s9, s6
	s_cbranch_scc1 .LBB1272_246
; %bb.244:
	s_sub_i32 s7, s9, s6
	s_min_u32 s7, s7, 8
	v_lshrrev_b32_e32 v17, s6, v2
	v_bfe_u32 v17, v17, 0, s7
	v_lshl_or_b32 v17, v17, 4, v1
	ds_add_u32 v17, v3 offset:8192
	s_add_i32 s6, s8, 24
	s_cmp_le_u32 s9, s6
	s_cbranch_scc1 .LBB1272_246
; %bb.245:
	s_sub_i32 s7, s9, s6
	s_min_u32 s7, s7, 8
	v_lshrrev_b32_e32 v2, s6, v2
	v_bfe_u32 v2, v2, 0, s7
	v_lshl_or_b32 v2, v2, 4, v1
	v_mov_b32_e32 v3, 1
	ds_add_u32 v2, v3 offset:12288
.LBB1272_246:
	v_bfrev_b32_e32 v2, 1
	s_waitcnt vmcnt(9)
	v_cmp_lt_i32_e32 vcc, -1, v10
	v_cndmask_b32_e32 v3, -1, v2, vcc
	v_xor_b32_e32 v3, v3, v10
	s_brev_b32 s6, -2
	v_cmp_ne_u32_e32 vcc, s6, v3
	v_cndmask_b32_e32 v17, v2, v3, vcc
	v_lshrrev_b32_e32 v3, s8, v17
	v_and_b32_e32 v3, s10, v3
	v_lshl_or_b32 v18, v3, 4, v1
	v_mov_b32_e32 v3, 1
	ds_add_u32 v18, v3
	s_and_b64 vcc, exec, s[0:1]
	s_cbranch_vccnz .LBB1272_250
; %bb.247:
	s_sub_i32 s7, s9, s11
	s_min_u32 s7, s7, 8
	v_lshrrev_b32_e32 v18, s11, v17
	v_bfe_u32 v18, v18, 0, s7
	v_lshl_or_b32 v18, v18, 4, v1
	ds_add_u32 v18, v3 offset:4096
	s_add_i32 s7, s8, 16
	s_cmp_le_u32 s9, s7
	s_cbranch_scc1 .LBB1272_250
; %bb.248:
	s_sub_i32 s12, s9, s7
	s_min_u32 s12, s12, 8
	v_lshrrev_b32_e32 v18, s7, v17
	v_bfe_u32 v18, v18, 0, s12
	v_lshl_or_b32 v18, v18, 4, v1
	ds_add_u32 v18, v3 offset:8192
	s_add_i32 s7, s8, 24
	s_cmp_le_u32 s9, s7
	s_cbranch_scc1 .LBB1272_250
; %bb.249:
	s_sub_i32 s12, s9, s7
	s_min_u32 s12, s12, 8
	v_lshrrev_b32_e32 v17, s7, v17
	v_bfe_u32 v17, v17, 0, s12
	v_lshl_or_b32 v17, v17, 4, v1
	v_mov_b32_e32 v18, 1
	ds_add_u32 v17, v18 offset:12288
.LBB1272_250:
	s_waitcnt vmcnt(8)
	v_cmp_lt_i32_e32 vcc, -1, v9
	v_cndmask_b32_e32 v17, -1, v2, vcc
	v_xor_b32_e32 v17, v17, v9
	v_cmp_ne_u32_e32 vcc, s6, v17
	v_cndmask_b32_e32 v2, v2, v17, vcc
	v_lshrrev_b32_e32 v17, s8, v2
	v_and_b32_e32 v17, s10, v17
	v_lshl_or_b32 v17, v17, 4, v1
	ds_add_u32 v17, v3
	s_and_b64 vcc, exec, s[0:1]
	s_cbranch_vccnz .LBB1272_254
; %bb.251:
	s_sub_i32 s6, s9, s11
	s_min_u32 s6, s6, 8
	v_lshrrev_b32_e32 v3, s11, v2
	v_bfe_u32 v3, v3, 0, s6
	v_lshl_or_b32 v17, v3, 4, v1
	v_mov_b32_e32 v3, 1
	ds_add_u32 v17, v3 offset:4096
	s_add_i32 s6, s8, 16
	s_cmp_le_u32 s9, s6
	s_cbranch_scc1 .LBB1272_254
; %bb.252:
	s_sub_i32 s7, s9, s6
	s_min_u32 s7, s7, 8
	v_lshrrev_b32_e32 v17, s6, v2
	v_bfe_u32 v17, v17, 0, s7
	v_lshl_or_b32 v17, v17, 4, v1
	ds_add_u32 v17, v3 offset:8192
	s_add_i32 s6, s8, 24
	s_cmp_le_u32 s9, s6
	s_cbranch_scc1 .LBB1272_254
; %bb.253:
	s_sub_i32 s7, s9, s6
	s_min_u32 s7, s7, 8
	v_lshrrev_b32_e32 v2, s6, v2
	v_bfe_u32 v2, v2, 0, s7
	v_lshl_or_b32 v2, v2, 4, v1
	v_mov_b32_e32 v3, 1
	ds_add_u32 v2, v3 offset:12288
.LBB1272_254:
	v_bfrev_b32_e32 v2, 1
	s_waitcnt vmcnt(7)
	v_cmp_lt_i32_e32 vcc, -1, v8
	v_cndmask_b32_e32 v3, -1, v2, vcc
	v_xor_b32_e32 v3, v3, v8
	s_brev_b32 s6, -2
	v_cmp_ne_u32_e32 vcc, s6, v3
	v_cndmask_b32_e32 v17, v2, v3, vcc
	v_lshrrev_b32_e32 v3, s8, v17
	v_and_b32_e32 v3, s10, v3
	v_lshl_or_b32 v18, v3, 4, v1
	v_mov_b32_e32 v3, 1
	ds_add_u32 v18, v3
	s_and_b64 vcc, exec, s[0:1]
	s_cbranch_vccnz .LBB1272_258
; %bb.255:
	s_sub_i32 s7, s9, s11
	s_min_u32 s7, s7, 8
	v_lshrrev_b32_e32 v18, s11, v17
	v_bfe_u32 v18, v18, 0, s7
	v_lshl_or_b32 v18, v18, 4, v1
	ds_add_u32 v18, v3 offset:4096
	s_add_i32 s7, s8, 16
	s_cmp_le_u32 s9, s7
	s_cbranch_scc1 .LBB1272_258
; %bb.256:
	s_sub_i32 s12, s9, s7
	s_min_u32 s12, s12, 8
	v_lshrrev_b32_e32 v18, s7, v17
	v_bfe_u32 v18, v18, 0, s12
	v_lshl_or_b32 v18, v18, 4, v1
	ds_add_u32 v18, v3 offset:8192
	s_add_i32 s7, s8, 24
	s_cmp_le_u32 s9, s7
	s_cbranch_scc1 .LBB1272_258
; %bb.257:
	s_sub_i32 s12, s9, s7
	s_min_u32 s12, s12, 8
	v_lshrrev_b32_e32 v17, s7, v17
	v_bfe_u32 v17, v17, 0, s12
	v_lshl_or_b32 v17, v17, 4, v1
	v_mov_b32_e32 v18, 1
	ds_add_u32 v17, v18 offset:12288
.LBB1272_258:
	s_waitcnt vmcnt(6)
	v_cmp_lt_i32_e32 vcc, -1, v7
	v_cndmask_b32_e32 v17, -1, v2, vcc
	v_xor_b32_e32 v17, v17, v7
	v_cmp_ne_u32_e32 vcc, s6, v17
	v_cndmask_b32_e32 v2, v2, v17, vcc
	v_lshrrev_b32_e32 v17, s8, v2
	v_and_b32_e32 v17, s10, v17
	v_lshl_or_b32 v17, v17, 4, v1
	ds_add_u32 v17, v3
	s_and_b64 vcc, exec, s[0:1]
	s_cbranch_vccnz .LBB1272_262
; %bb.259:
	s_sub_i32 s6, s9, s11
	s_min_u32 s6, s6, 8
	v_lshrrev_b32_e32 v3, s11, v2
	v_bfe_u32 v3, v3, 0, s6
	v_lshl_or_b32 v17, v3, 4, v1
	v_mov_b32_e32 v3, 1
	ds_add_u32 v17, v3 offset:4096
	s_add_i32 s6, s8, 16
	s_cmp_le_u32 s9, s6
	s_cbranch_scc1 .LBB1272_262
; %bb.260:
	s_sub_i32 s7, s9, s6
	s_min_u32 s7, s7, 8
	v_lshrrev_b32_e32 v17, s6, v2
	v_bfe_u32 v17, v17, 0, s7
	v_lshl_or_b32 v17, v17, 4, v1
	ds_add_u32 v17, v3 offset:8192
	s_add_i32 s6, s8, 24
	s_cmp_le_u32 s9, s6
	s_cbranch_scc1 .LBB1272_262
; %bb.261:
	s_sub_i32 s7, s9, s6
	s_min_u32 s7, s7, 8
	v_lshrrev_b32_e32 v2, s6, v2
	v_bfe_u32 v2, v2, 0, s7
	v_lshl_or_b32 v2, v2, 4, v1
	v_mov_b32_e32 v3, 1
	ds_add_u32 v2, v3 offset:12288
.LBB1272_262:
	v_bfrev_b32_e32 v2, 1
	s_waitcnt vmcnt(5)
	v_cmp_lt_i32_e32 vcc, -1, v5
	v_cndmask_b32_e32 v3, -1, v2, vcc
	v_xor_b32_e32 v3, v3, v5
	s_brev_b32 s6, -2
	v_cmp_ne_u32_e32 vcc, s6, v3
	v_cndmask_b32_e32 v17, v2, v3, vcc
	v_lshrrev_b32_e32 v3, s8, v17
	v_and_b32_e32 v3, s10, v3
	v_lshl_or_b32 v18, v3, 4, v1
	v_mov_b32_e32 v3, 1
	ds_add_u32 v18, v3
	s_and_b64 vcc, exec, s[0:1]
	s_cbranch_vccnz .LBB1272_266
; %bb.263:
	s_sub_i32 s7, s9, s11
	s_min_u32 s7, s7, 8
	v_lshrrev_b32_e32 v18, s11, v17
	v_bfe_u32 v18, v18, 0, s7
	v_lshl_or_b32 v18, v18, 4, v1
	ds_add_u32 v18, v3 offset:4096
	s_add_i32 s7, s8, 16
	s_cmp_le_u32 s9, s7
	s_cbranch_scc1 .LBB1272_266
; %bb.264:
	s_sub_i32 s12, s9, s7
	s_min_u32 s12, s12, 8
	v_lshrrev_b32_e32 v18, s7, v17
	v_bfe_u32 v18, v18, 0, s12
	v_lshl_or_b32 v18, v18, 4, v1
	ds_add_u32 v18, v3 offset:8192
	s_add_i32 s7, s8, 24
	s_cmp_le_u32 s9, s7
	s_cbranch_scc1 .LBB1272_266
; %bb.265:
	s_sub_i32 s12, s9, s7
	s_min_u32 s12, s12, 8
	v_lshrrev_b32_e32 v17, s7, v17
	v_bfe_u32 v17, v17, 0, s12
	v_lshl_or_b32 v17, v17, 4, v1
	v_mov_b32_e32 v18, 1
	ds_add_u32 v17, v18 offset:12288
.LBB1272_266:
	s_waitcnt vmcnt(4)
	v_cmp_lt_i32_e32 vcc, -1, v6
	v_cndmask_b32_e32 v17, -1, v2, vcc
	v_xor_b32_e32 v17, v17, v6
	v_cmp_ne_u32_e32 vcc, s6, v17
	v_cndmask_b32_e32 v2, v2, v17, vcc
	v_lshrrev_b32_e32 v17, s8, v2
	v_and_b32_e32 v17, s10, v17
	v_lshl_or_b32 v17, v17, 4, v1
	ds_add_u32 v17, v3
	s_and_b64 vcc, exec, s[0:1]
	s_cbranch_vccnz .LBB1272_270
; %bb.267:
	s_sub_i32 s6, s9, s11
	s_min_u32 s6, s6, 8
	v_lshrrev_b32_e32 v3, s11, v2
	v_bfe_u32 v3, v3, 0, s6
	v_lshl_or_b32 v17, v3, 4, v1
	v_mov_b32_e32 v3, 1
	ds_add_u32 v17, v3 offset:4096
	s_add_i32 s6, s8, 16
	s_cmp_le_u32 s9, s6
	s_cbranch_scc1 .LBB1272_270
; %bb.268:
	s_sub_i32 s7, s9, s6
	s_min_u32 s7, s7, 8
	v_lshrrev_b32_e32 v17, s6, v2
	v_bfe_u32 v17, v17, 0, s7
	v_lshl_or_b32 v17, v17, 4, v1
	ds_add_u32 v17, v3 offset:8192
	s_add_i32 s6, s8, 24
	s_cmp_le_u32 s9, s6
	s_cbranch_scc1 .LBB1272_270
; %bb.269:
	s_sub_i32 s7, s9, s6
	s_min_u32 s7, s7, 8
	v_lshrrev_b32_e32 v2, s6, v2
	v_bfe_u32 v2, v2, 0, s7
	v_lshl_or_b32 v2, v2, 4, v1
	v_mov_b32_e32 v3, 1
	ds_add_u32 v2, v3 offset:12288
.LBB1272_270:
	v_bfrev_b32_e32 v2, 1
	s_waitcnt vmcnt(3)
	v_cmp_lt_i32_e32 vcc, -1, v16
	v_cndmask_b32_e32 v3, -1, v2, vcc
	v_xor_b32_e32 v3, v3, v16
	s_brev_b32 s6, -2
	v_cmp_ne_u32_e32 vcc, s6, v3
	v_cndmask_b32_e32 v17, v2, v3, vcc
	v_lshrrev_b32_e32 v3, s8, v17
	v_and_b32_e32 v3, s10, v3
	v_lshl_or_b32 v18, v3, 4, v1
	v_mov_b32_e32 v3, 1
	ds_add_u32 v18, v3
	s_and_b64 vcc, exec, s[0:1]
	s_cbranch_vccnz .LBB1272_274
; %bb.271:
	s_sub_i32 s7, s9, s11
	s_min_u32 s7, s7, 8
	v_lshrrev_b32_e32 v18, s11, v17
	v_bfe_u32 v18, v18, 0, s7
	v_lshl_or_b32 v18, v18, 4, v1
	ds_add_u32 v18, v3 offset:4096
	s_add_i32 s7, s8, 16
	s_cmp_le_u32 s9, s7
	s_cbranch_scc1 .LBB1272_274
; %bb.272:
	s_sub_i32 s12, s9, s7
	s_min_u32 s12, s12, 8
	v_lshrrev_b32_e32 v18, s7, v17
	v_bfe_u32 v18, v18, 0, s12
	v_lshl_or_b32 v18, v18, 4, v1
	ds_add_u32 v18, v3 offset:8192
	s_add_i32 s7, s8, 24
	s_cmp_le_u32 s9, s7
	s_cbranch_scc1 .LBB1272_274
; %bb.273:
	s_sub_i32 s12, s9, s7
	s_min_u32 s12, s12, 8
	v_lshrrev_b32_e32 v17, s7, v17
	v_bfe_u32 v17, v17, 0, s12
	v_lshl_or_b32 v17, v17, 4, v1
	v_mov_b32_e32 v18, 1
	ds_add_u32 v17, v18 offset:12288
.LBB1272_274:
	s_waitcnt vmcnt(2)
	v_cmp_lt_i32_e32 vcc, -1, v15
	v_cndmask_b32_e32 v17, -1, v2, vcc
	v_xor_b32_e32 v17, v17, v15
	v_cmp_ne_u32_e32 vcc, s6, v17
	v_cndmask_b32_e32 v2, v2, v17, vcc
	v_lshrrev_b32_e32 v17, s8, v2
	v_and_b32_e32 v17, s10, v17
	v_lshl_or_b32 v17, v17, 4, v1
	ds_add_u32 v17, v3
	s_and_b64 vcc, exec, s[0:1]
	s_cbranch_vccnz .LBB1272_278
; %bb.275:
	s_sub_i32 s6, s9, s11
	s_min_u32 s6, s6, 8
	v_lshrrev_b32_e32 v3, s11, v2
	v_bfe_u32 v3, v3, 0, s6
	v_lshl_or_b32 v17, v3, 4, v1
	v_mov_b32_e32 v3, 1
	ds_add_u32 v17, v3 offset:4096
	s_add_i32 s6, s8, 16
	s_cmp_le_u32 s9, s6
	s_cbranch_scc1 .LBB1272_278
; %bb.276:
	s_sub_i32 s7, s9, s6
	s_min_u32 s7, s7, 8
	v_lshrrev_b32_e32 v17, s6, v2
	v_bfe_u32 v17, v17, 0, s7
	v_lshl_or_b32 v17, v17, 4, v1
	ds_add_u32 v17, v3 offset:8192
	s_add_i32 s6, s8, 24
	s_cmp_le_u32 s9, s6
	s_cbranch_scc1 .LBB1272_278
; %bb.277:
	s_sub_i32 s7, s9, s6
	s_min_u32 s7, s7, 8
	v_lshrrev_b32_e32 v2, s6, v2
	v_bfe_u32 v2, v2, 0, s7
	v_lshl_or_b32 v2, v2, 4, v1
	v_mov_b32_e32 v3, 1
	ds_add_u32 v2, v3 offset:12288
.LBB1272_278:
	v_bfrev_b32_e32 v2, 1
	s_waitcnt vmcnt(1)
	v_cmp_lt_i32_e32 vcc, -1, v13
	v_cndmask_b32_e32 v3, -1, v2, vcc
	v_xor_b32_e32 v3, v3, v13
	s_brev_b32 s6, -2
	v_cmp_ne_u32_e32 vcc, s6, v3
	v_cndmask_b32_e32 v17, v2, v3, vcc
	v_lshrrev_b32_e32 v3, s8, v17
	v_and_b32_e32 v3, s10, v3
	v_lshl_or_b32 v18, v3, 4, v1
	v_mov_b32_e32 v3, 1
	ds_add_u32 v18, v3
	s_and_b64 vcc, exec, s[0:1]
	s_cbranch_vccnz .LBB1272_282
; %bb.279:
	s_sub_i32 s7, s9, s11
	s_min_u32 s7, s7, 8
	v_lshrrev_b32_e32 v18, s11, v17
	v_bfe_u32 v18, v18, 0, s7
	v_lshl_or_b32 v18, v18, 4, v1
	ds_add_u32 v18, v3 offset:4096
	s_add_i32 s7, s8, 16
	s_cmp_le_u32 s9, s7
	s_cbranch_scc1 .LBB1272_282
; %bb.280:
	s_sub_i32 s12, s9, s7
	s_min_u32 s12, s12, 8
	v_lshrrev_b32_e32 v18, s7, v17
	v_bfe_u32 v18, v18, 0, s12
	v_lshl_or_b32 v18, v18, 4, v1
	ds_add_u32 v18, v3 offset:8192
	s_add_i32 s7, s8, 24
	s_cmp_le_u32 s9, s7
	s_cbranch_scc1 .LBB1272_282
; %bb.281:
	s_sub_i32 s12, s9, s7
	s_min_u32 s12, s12, 8
	v_lshrrev_b32_e32 v17, s7, v17
	v_bfe_u32 v17, v17, 0, s12
	v_lshl_or_b32 v17, v17, 4, v1
	v_mov_b32_e32 v18, 1
	ds_add_u32 v17, v18 offset:12288
.LBB1272_282:
	s_waitcnt vmcnt(0)
	v_cmp_lt_i32_e32 vcc, -1, v14
	v_cndmask_b32_e32 v17, -1, v2, vcc
	v_xor_b32_e32 v17, v17, v14
	v_cmp_ne_u32_e32 vcc, s6, v17
	v_cndmask_b32_e32 v2, v2, v17, vcc
	v_lshrrev_b32_e32 v17, s8, v2
	v_and_b32_e32 v17, s10, v17
	v_lshl_or_b32 v17, v17, 4, v1
	ds_add_u32 v17, v3
	s_and_b64 vcc, exec, s[0:1]
	s_cbranch_vccnz .LBB1272_286
; %bb.283:
	s_sub_i32 s0, s9, s11
	s_min_u32 s0, s0, 8
	v_lshrrev_b32_e32 v3, s11, v2
	v_bfe_u32 v3, v3, 0, s0
	v_lshl_or_b32 v17, v3, 4, v1
	v_mov_b32_e32 v3, 1
	ds_add_u32 v17, v3 offset:4096
	s_add_i32 s0, s8, 16
	s_cmp_le_u32 s9, s0
	s_cbranch_scc1 .LBB1272_286
; %bb.284:
	s_sub_i32 s1, s9, s0
	s_min_u32 s1, s1, 8
	v_lshrrev_b32_e32 v17, s0, v2
	v_bfe_u32 v17, v17, 0, s1
	v_lshl_or_b32 v17, v17, 4, v1
	ds_add_u32 v17, v3 offset:8192
	s_add_i32 s0, s8, 24
	s_cmp_le_u32 s9, s0
	s_cbranch_scc1 .LBB1272_286
; %bb.285:
	s_sub_i32 s1, s9, s0
	s_min_u32 s1, s1, 8
	v_lshrrev_b32_e32 v2, s0, v2
	v_bfe_u32 v2, v2, 0, s1
	v_lshl_or_b32 v1, v2, 4, v1
	v_mov_b32_e32 v2, 1
	ds_add_u32 v1, v2 offset:12288
.LBB1272_286:
	s_and_b64 vcc, exec, s[4:5]
	s_waitcnt lgkmcnt(0)
	s_barrier
	s_cbranch_vccz .LBB1272_291
; %bb.287:
	s_movk_i32 s0, 0x100
	v_cmp_gt_u32_e32 vcc, s0, v0
	v_lshlrev_b32_e32 v1, 4, v0
	v_mov_b32_e32 v3, 0
	v_mov_b32_e32 v2, v0
	s_branch .LBB1272_289
.LBB1272_288:                           ;   in Loop: Header=BB1272_289 Depth=1
	s_or_b64 exec, exec, s[4:5]
	s_add_i32 s8, s8, 8
	v_add_u32_e32 v2, 0x100, v2
	s_cmp_ge_u32 s8, s9
	v_add_u32_e32 v1, 0x1000, v1
	s_cbranch_scc1 .LBB1272_291
.LBB1272_289:                           ; =>This Inner Loop Header: Depth=1
	s_and_saveexec_b64 s[4:5], vcc
	s_cbranch_execz .LBB1272_288
; %bb.290:                              ;   in Loop: Header=BB1272_289 Depth=1
	ds_read2_b32 v[18:19], v1 offset1:1
	ds_read2_b32 v[20:21], v1 offset0:2 offset1:3
	v_lshlrev_b64 v[22:23], 3, v[2:3]
	v_mov_b32_e32 v17, s3
	s_waitcnt lgkmcnt(1)
	v_add_u32_e32 v18, v19, v18
	s_waitcnt lgkmcnt(0)
	v_add3_u32 v18, v18, v20, v21
	v_add_co_u32_e64 v20, s[0:1], s2, v22
	v_addc_co_u32_e64 v21, s[0:1], v17, v23, s[0:1]
	v_mov_b32_e32 v19, v3
	global_atomic_add_x2 v[20:21], v[18:19], off
	s_branch .LBB1272_288
.LBB1272_291:
	s_mov_b64 s[0:1], 0
.LBB1272_292:
	s_and_b64 vcc, exec, s[0:1]
	s_cbranch_vccz .LBB1272_295
; %bb.293:
	v_bfrev_b32_e32 v2, 1
	s_waitcnt vmcnt(11)
	v_cmp_lt_i32_e32 vcc, -1, v12
	v_mov_b32_e32 v1, 0
	v_cndmask_b32_e32 v3, -1, v2, vcc
	s_waitcnt vmcnt(10)
	v_cmp_lt_i32_e32 vcc, -1, v11
	ds_write2st64_b32 v4, v1, v1 offset1:16
	ds_write2st64_b32 v4, v1, v1 offset0:32 offset1:48
	v_cndmask_b32_e32 v4, -1, v2, vcc
	s_waitcnt vmcnt(9)
	v_cmp_lt_i32_e32 vcc, -1, v10
	v_xor_b32_e32 v4, v4, v11
	v_cndmask_b32_e32 v11, -1, v2, vcc
	s_waitcnt vmcnt(8)
	v_cmp_lt_i32_e32 vcc, -1, v9
	v_xor_b32_e32 v10, v11, v10
	;; [unrolled: 4-line block ×9, first 2 shown]
	v_cndmask_b32_e32 v15, -1, v2, vcc
	s_waitcnt vmcnt(0)
	v_cmp_lt_i32_e32 vcc, -1, v14
	s_brev_b32 s0, -2
	v_xor_b32_e32 v13, v15, v13
	v_cndmask_b32_e32 v15, -1, v2, vcc
	v_cmp_ne_u32_e32 vcc, s0, v3
	v_cndmask_b32_e32 v3, v2, v3, vcc
	v_xor_b32_e32 v11, v11, v16
	v_xor_b32_e32 v14, v15, v14
	v_and_b32_e32 v15, 3, v0
	v_lshlrev_b32_e32 v16, 2, v3
	s_movk_i32 s1, 0x3fc
	v_and_or_b32 v16, v16, s1, v15
	v_lshlrev_b32_e32 v16, 2, v16
	v_mov_b32_e32 v17, 1
	s_waitcnt lgkmcnt(0)
	s_barrier
	ds_add_u32 v16, v17
	v_bfe_u32 v16, v3, 8, 8
	v_lshl_or_b32 v16, v16, 2, v15
	v_lshlrev_b32_e32 v16, 2, v16
	ds_add_u32 v16, v17 offset:4096
	v_bfe_u32 v16, v3, 16, 8
	v_lshl_or_b32 v16, v16, 2, v15
	v_lshrrev_b32_e32 v3, 24, v3
	v_lshlrev_b32_e32 v16, 2, v16
	v_lshl_or_b32 v3, v3, 2, v15
	ds_add_u32 v16, v17 offset:8192
	v_lshlrev_b32_e32 v3, 2, v3
	v_cmp_ne_u32_e32 vcc, s0, v4
	ds_add_u32 v3, v17 offset:12288
	v_cndmask_b32_e32 v3, v2, v4, vcc
	v_lshlrev_b32_e32 v4, 2, v3
	v_and_or_b32 v4, v4, s1, v15
	v_lshlrev_b32_e32 v4, 2, v4
	ds_add_u32 v4, v17
	v_bfe_u32 v4, v3, 8, 8
	v_lshl_or_b32 v4, v4, 2, v15
	v_lshlrev_b32_e32 v4, 2, v4
	ds_add_u32 v4, v17 offset:4096
	v_bfe_u32 v4, v3, 16, 8
	v_lshl_or_b32 v4, v4, 2, v15
	v_lshrrev_b32_e32 v3, 24, v3
	v_lshlrev_b32_e32 v4, 2, v4
	v_lshl_or_b32 v3, v3, 2, v15
	ds_add_u32 v4, v17 offset:8192
	v_lshlrev_b32_e32 v3, 2, v3
	v_cmp_ne_u32_e32 vcc, s0, v10
	ds_add_u32 v3, v17 offset:12288
	v_cndmask_b32_e32 v3, v2, v10, vcc
	v_lshlrev_b32_e32 v4, 2, v3
	v_and_or_b32 v4, v4, s1, v15
	v_lshlrev_b32_e32 v4, 2, v4
	;; [unrolled: 18-line block ×10, first 2 shown]
	ds_add_u32 v4, v17
	v_bfe_u32 v4, v3, 8, 8
	v_lshl_or_b32 v4, v4, 2, v15
	v_lshlrev_b32_e32 v4, 2, v4
	ds_add_u32 v4, v17 offset:4096
	v_bfe_u32 v4, v3, 16, 8
	v_lshl_or_b32 v4, v4, 2, v15
	v_lshrrev_b32_e32 v3, 24, v3
	v_lshlrev_b32_e32 v4, 2, v4
	v_lshl_or_b32 v3, v3, 2, v15
	v_cmp_ne_u32_e32 vcc, s0, v14
	ds_add_u32 v4, v17 offset:8192
	v_lshlrev_b32_e32 v3, 2, v3
	v_cndmask_b32_e32 v2, v2, v14, vcc
	ds_add_u32 v3, v17 offset:12288
	v_lshlrev_b32_e32 v3, 2, v2
	v_and_or_b32 v3, v3, s1, v15
	v_lshlrev_b32_e32 v3, 2, v3
	ds_add_u32 v3, v17
	v_bfe_u32 v3, v2, 8, 8
	v_lshl_or_b32 v3, v3, 2, v15
	v_lshlrev_b32_e32 v3, 2, v3
	ds_add_u32 v3, v17 offset:4096
	v_bfe_u32 v3, v2, 16, 8
	v_lshl_or_b32 v3, v3, 2, v15
	v_lshrrev_b32_e32 v2, 24, v2
	v_lshlrev_b32_e32 v3, 2, v3
	v_lshl_or_b32 v2, v2, 2, v15
	ds_add_u32 v3, v17 offset:8192
	v_lshlrev_b32_e32 v2, 2, v2
	ds_add_u32 v2, v17 offset:12288
	s_movk_i32 s0, 0x100
	v_cmp_gt_u32_e32 vcc, s0, v0
	s_waitcnt lgkmcnt(0)
	s_barrier
	s_and_saveexec_b64 s[0:1], vcc
	s_cbranch_execz .LBB1272_295
; %bb.294:
	v_lshlrev_b32_e32 v6, 4, v0
	ds_read2_b32 v[2:3], v6 offset1:1
	ds_read2_b32 v[4:5], v6 offset0:2 offset1:3
	v_lshlrev_b32_e32 v7, 3, v0
	v_add_u32_e32 v8, 0x1000, v6
	v_add_u32_e32 v9, 0x1008, v6
	s_waitcnt lgkmcnt(1)
	v_add_u32_e32 v0, v3, v2
	s_waitcnt lgkmcnt(0)
	v_add3_u32 v0, v0, v4, v5
	global_atomic_add_x2 v7, v[0:1], s[2:3]
	ds_read2_b32 v[2:3], v8 offset1:1
	ds_read2_b32 v[4:5], v9 offset1:1
	v_add_u32_e32 v8, 0x2000, v6
	v_add_u32_e32 v9, 0x2008, v6
	s_waitcnt lgkmcnt(1)
	v_add_u32_e32 v0, v3, v2
	s_waitcnt lgkmcnt(0)
	v_add3_u32 v0, v0, v4, v5
	global_atomic_add_x2 v7, v[0:1], s[2:3] offset:2048
	ds_read2_b32 v[2:3], v8 offset1:1
	ds_read2_b32 v[4:5], v9 offset1:1
	v_or_b32_e32 v8, 0x1000, v7
	v_add_u32_e32 v9, 0x3000, v6
	v_add_u32_e32 v6, 0x3008, v6
	s_waitcnt lgkmcnt(1)
	v_add_u32_e32 v0, v3, v2
	s_waitcnt lgkmcnt(0)
	v_add3_u32 v0, v0, v4, v5
	global_atomic_add_x2 v8, v[0:1], s[2:3]
	ds_read2_b32 v[2:3], v9 offset1:1
	ds_read2_b32 v[4:5], v6 offset1:1
	s_waitcnt lgkmcnt(1)
	v_add_u32_e32 v0, v3, v2
	s_waitcnt lgkmcnt(0)
	v_add3_u32 v0, v0, v4, v5
	v_or_b32_e32 v2, 0x1800, v7
	global_atomic_add_x2 v2, v[0:1], s[2:3]
.LBB1272_295:
	s_endpgm
	.section	.rodata,"a",@progbits
	.p2align	6, 0x0
	.amdhsa_kernel _ZN7rocprim17ROCPRIM_400000_NS6detail17trampoline_kernelINS0_14default_configENS1_35radix_sort_onesweep_config_selectorIfNS0_10empty_typeEEEZNS1_34radix_sort_onesweep_global_offsetsIS3_Lb0EPfPS5_mNS0_19identity_decomposerEEE10hipError_tT1_T2_PT3_SE_jT4_jjP12ihipStream_tbEUlT_E_NS1_11comp_targetILNS1_3genE4ELNS1_11target_archE910ELNS1_3gpuE8ELNS1_3repE0EEENS1_52radix_sort_onesweep_histogram_config_static_selectorELNS0_4arch9wavefront6targetE1EEEvSC_
		.amdhsa_group_segment_fixed_size 16384
		.amdhsa_private_segment_fixed_size 0
		.amdhsa_kernarg_size 48
		.amdhsa_user_sgpr_count 6
		.amdhsa_user_sgpr_private_segment_buffer 1
		.amdhsa_user_sgpr_dispatch_ptr 0
		.amdhsa_user_sgpr_queue_ptr 0
		.amdhsa_user_sgpr_kernarg_segment_ptr 1
		.amdhsa_user_sgpr_dispatch_id 0
		.amdhsa_user_sgpr_flat_scratch_init 0
		.amdhsa_user_sgpr_kernarg_preload_length 0
		.amdhsa_user_sgpr_kernarg_preload_offset 0
		.amdhsa_user_sgpr_private_segment_size 0
		.amdhsa_uses_dynamic_stack 0
		.amdhsa_system_sgpr_private_segment_wavefront_offset 0
		.amdhsa_system_sgpr_workgroup_id_x 1
		.amdhsa_system_sgpr_workgroup_id_y 0
		.amdhsa_system_sgpr_workgroup_id_z 0
		.amdhsa_system_sgpr_workgroup_info 0
		.amdhsa_system_vgpr_workitem_id 0
		.amdhsa_next_free_vgpr 27
		.amdhsa_next_free_sgpr 18
		.amdhsa_accum_offset 28
		.amdhsa_reserve_vcc 1
		.amdhsa_reserve_flat_scratch 0
		.amdhsa_float_round_mode_32 0
		.amdhsa_float_round_mode_16_64 0
		.amdhsa_float_denorm_mode_32 3
		.amdhsa_float_denorm_mode_16_64 3
		.amdhsa_dx10_clamp 1
		.amdhsa_ieee_mode 1
		.amdhsa_fp16_overflow 0
		.amdhsa_tg_split 0
		.amdhsa_exception_fp_ieee_invalid_op 0
		.amdhsa_exception_fp_denorm_src 0
		.amdhsa_exception_fp_ieee_div_zero 0
		.amdhsa_exception_fp_ieee_overflow 0
		.amdhsa_exception_fp_ieee_underflow 0
		.amdhsa_exception_fp_ieee_inexact 0
		.amdhsa_exception_int_div_zero 0
	.end_amdhsa_kernel
	.section	.text._ZN7rocprim17ROCPRIM_400000_NS6detail17trampoline_kernelINS0_14default_configENS1_35radix_sort_onesweep_config_selectorIfNS0_10empty_typeEEEZNS1_34radix_sort_onesweep_global_offsetsIS3_Lb0EPfPS5_mNS0_19identity_decomposerEEE10hipError_tT1_T2_PT3_SE_jT4_jjP12ihipStream_tbEUlT_E_NS1_11comp_targetILNS1_3genE4ELNS1_11target_archE910ELNS1_3gpuE8ELNS1_3repE0EEENS1_52radix_sort_onesweep_histogram_config_static_selectorELNS0_4arch9wavefront6targetE1EEEvSC_,"axG",@progbits,_ZN7rocprim17ROCPRIM_400000_NS6detail17trampoline_kernelINS0_14default_configENS1_35radix_sort_onesweep_config_selectorIfNS0_10empty_typeEEEZNS1_34radix_sort_onesweep_global_offsetsIS3_Lb0EPfPS5_mNS0_19identity_decomposerEEE10hipError_tT1_T2_PT3_SE_jT4_jjP12ihipStream_tbEUlT_E_NS1_11comp_targetILNS1_3genE4ELNS1_11target_archE910ELNS1_3gpuE8ELNS1_3repE0EEENS1_52radix_sort_onesweep_histogram_config_static_selectorELNS0_4arch9wavefront6targetE1EEEvSC_,comdat
.Lfunc_end1272:
	.size	_ZN7rocprim17ROCPRIM_400000_NS6detail17trampoline_kernelINS0_14default_configENS1_35radix_sort_onesweep_config_selectorIfNS0_10empty_typeEEEZNS1_34radix_sort_onesweep_global_offsetsIS3_Lb0EPfPS5_mNS0_19identity_decomposerEEE10hipError_tT1_T2_PT3_SE_jT4_jjP12ihipStream_tbEUlT_E_NS1_11comp_targetILNS1_3genE4ELNS1_11target_archE910ELNS1_3gpuE8ELNS1_3repE0EEENS1_52radix_sort_onesweep_histogram_config_static_selectorELNS0_4arch9wavefront6targetE1EEEvSC_, .Lfunc_end1272-_ZN7rocprim17ROCPRIM_400000_NS6detail17trampoline_kernelINS0_14default_configENS1_35radix_sort_onesweep_config_selectorIfNS0_10empty_typeEEEZNS1_34radix_sort_onesweep_global_offsetsIS3_Lb0EPfPS5_mNS0_19identity_decomposerEEE10hipError_tT1_T2_PT3_SE_jT4_jjP12ihipStream_tbEUlT_E_NS1_11comp_targetILNS1_3genE4ELNS1_11target_archE910ELNS1_3gpuE8ELNS1_3repE0EEENS1_52radix_sort_onesweep_histogram_config_static_selectorELNS0_4arch9wavefront6targetE1EEEvSC_
                                        ; -- End function
	.section	.AMDGPU.csdata,"",@progbits
; Kernel info:
; codeLenInByte = 12228
; NumSgprs: 22
; NumVgprs: 27
; NumAgprs: 0
; TotalNumVgprs: 27
; ScratchSize: 0
; MemoryBound: 0
; FloatMode: 240
; IeeeMode: 1
; LDSByteSize: 16384 bytes/workgroup (compile time only)
; SGPRBlocks: 2
; VGPRBlocks: 3
; NumSGPRsForWavesPerEU: 22
; NumVGPRsForWavesPerEU: 27
; AccumOffset: 28
; Occupancy: 8
; WaveLimiterHint : 1
; COMPUTE_PGM_RSRC2:SCRATCH_EN: 0
; COMPUTE_PGM_RSRC2:USER_SGPR: 6
; COMPUTE_PGM_RSRC2:TRAP_HANDLER: 0
; COMPUTE_PGM_RSRC2:TGID_X_EN: 1
; COMPUTE_PGM_RSRC2:TGID_Y_EN: 0
; COMPUTE_PGM_RSRC2:TGID_Z_EN: 0
; COMPUTE_PGM_RSRC2:TIDIG_COMP_CNT: 0
; COMPUTE_PGM_RSRC3_GFX90A:ACCUM_OFFSET: 6
; COMPUTE_PGM_RSRC3_GFX90A:TG_SPLIT: 0
	.section	.text._ZN7rocprim17ROCPRIM_400000_NS6detail17trampoline_kernelINS0_14default_configENS1_35radix_sort_onesweep_config_selectorIfNS0_10empty_typeEEEZNS1_34radix_sort_onesweep_global_offsetsIS3_Lb0EPfPS5_mNS0_19identity_decomposerEEE10hipError_tT1_T2_PT3_SE_jT4_jjP12ihipStream_tbEUlT_E_NS1_11comp_targetILNS1_3genE3ELNS1_11target_archE908ELNS1_3gpuE7ELNS1_3repE0EEENS1_52radix_sort_onesweep_histogram_config_static_selectorELNS0_4arch9wavefront6targetE1EEEvSC_,"axG",@progbits,_ZN7rocprim17ROCPRIM_400000_NS6detail17trampoline_kernelINS0_14default_configENS1_35radix_sort_onesweep_config_selectorIfNS0_10empty_typeEEEZNS1_34radix_sort_onesweep_global_offsetsIS3_Lb0EPfPS5_mNS0_19identity_decomposerEEE10hipError_tT1_T2_PT3_SE_jT4_jjP12ihipStream_tbEUlT_E_NS1_11comp_targetILNS1_3genE3ELNS1_11target_archE908ELNS1_3gpuE7ELNS1_3repE0EEENS1_52radix_sort_onesweep_histogram_config_static_selectorELNS0_4arch9wavefront6targetE1EEEvSC_,comdat
	.protected	_ZN7rocprim17ROCPRIM_400000_NS6detail17trampoline_kernelINS0_14default_configENS1_35radix_sort_onesweep_config_selectorIfNS0_10empty_typeEEEZNS1_34radix_sort_onesweep_global_offsetsIS3_Lb0EPfPS5_mNS0_19identity_decomposerEEE10hipError_tT1_T2_PT3_SE_jT4_jjP12ihipStream_tbEUlT_E_NS1_11comp_targetILNS1_3genE3ELNS1_11target_archE908ELNS1_3gpuE7ELNS1_3repE0EEENS1_52radix_sort_onesweep_histogram_config_static_selectorELNS0_4arch9wavefront6targetE1EEEvSC_ ; -- Begin function _ZN7rocprim17ROCPRIM_400000_NS6detail17trampoline_kernelINS0_14default_configENS1_35radix_sort_onesweep_config_selectorIfNS0_10empty_typeEEEZNS1_34radix_sort_onesweep_global_offsetsIS3_Lb0EPfPS5_mNS0_19identity_decomposerEEE10hipError_tT1_T2_PT3_SE_jT4_jjP12ihipStream_tbEUlT_E_NS1_11comp_targetILNS1_3genE3ELNS1_11target_archE908ELNS1_3gpuE7ELNS1_3repE0EEENS1_52radix_sort_onesweep_histogram_config_static_selectorELNS0_4arch9wavefront6targetE1EEEvSC_
	.globl	_ZN7rocprim17ROCPRIM_400000_NS6detail17trampoline_kernelINS0_14default_configENS1_35radix_sort_onesweep_config_selectorIfNS0_10empty_typeEEEZNS1_34radix_sort_onesweep_global_offsetsIS3_Lb0EPfPS5_mNS0_19identity_decomposerEEE10hipError_tT1_T2_PT3_SE_jT4_jjP12ihipStream_tbEUlT_E_NS1_11comp_targetILNS1_3genE3ELNS1_11target_archE908ELNS1_3gpuE7ELNS1_3repE0EEENS1_52radix_sort_onesweep_histogram_config_static_selectorELNS0_4arch9wavefront6targetE1EEEvSC_
	.p2align	8
	.type	_ZN7rocprim17ROCPRIM_400000_NS6detail17trampoline_kernelINS0_14default_configENS1_35radix_sort_onesweep_config_selectorIfNS0_10empty_typeEEEZNS1_34radix_sort_onesweep_global_offsetsIS3_Lb0EPfPS5_mNS0_19identity_decomposerEEE10hipError_tT1_T2_PT3_SE_jT4_jjP12ihipStream_tbEUlT_E_NS1_11comp_targetILNS1_3genE3ELNS1_11target_archE908ELNS1_3gpuE7ELNS1_3repE0EEENS1_52radix_sort_onesweep_histogram_config_static_selectorELNS0_4arch9wavefront6targetE1EEEvSC_,@function
_ZN7rocprim17ROCPRIM_400000_NS6detail17trampoline_kernelINS0_14default_configENS1_35radix_sort_onesweep_config_selectorIfNS0_10empty_typeEEEZNS1_34radix_sort_onesweep_global_offsetsIS3_Lb0EPfPS5_mNS0_19identity_decomposerEEE10hipError_tT1_T2_PT3_SE_jT4_jjP12ihipStream_tbEUlT_E_NS1_11comp_targetILNS1_3genE3ELNS1_11target_archE908ELNS1_3gpuE7ELNS1_3repE0EEENS1_52radix_sort_onesweep_histogram_config_static_selectorELNS0_4arch9wavefront6targetE1EEEvSC_: ; @_ZN7rocprim17ROCPRIM_400000_NS6detail17trampoline_kernelINS0_14default_configENS1_35radix_sort_onesweep_config_selectorIfNS0_10empty_typeEEEZNS1_34radix_sort_onesweep_global_offsetsIS3_Lb0EPfPS5_mNS0_19identity_decomposerEEE10hipError_tT1_T2_PT3_SE_jT4_jjP12ihipStream_tbEUlT_E_NS1_11comp_targetILNS1_3genE3ELNS1_11target_archE908ELNS1_3gpuE7ELNS1_3repE0EEENS1_52radix_sort_onesweep_histogram_config_static_selectorELNS0_4arch9wavefront6targetE1EEEvSC_
; %bb.0:
	.section	.rodata,"a",@progbits
	.p2align	6, 0x0
	.amdhsa_kernel _ZN7rocprim17ROCPRIM_400000_NS6detail17trampoline_kernelINS0_14default_configENS1_35radix_sort_onesweep_config_selectorIfNS0_10empty_typeEEEZNS1_34radix_sort_onesweep_global_offsetsIS3_Lb0EPfPS5_mNS0_19identity_decomposerEEE10hipError_tT1_T2_PT3_SE_jT4_jjP12ihipStream_tbEUlT_E_NS1_11comp_targetILNS1_3genE3ELNS1_11target_archE908ELNS1_3gpuE7ELNS1_3repE0EEENS1_52radix_sort_onesweep_histogram_config_static_selectorELNS0_4arch9wavefront6targetE1EEEvSC_
		.amdhsa_group_segment_fixed_size 0
		.amdhsa_private_segment_fixed_size 0
		.amdhsa_kernarg_size 48
		.amdhsa_user_sgpr_count 6
		.amdhsa_user_sgpr_private_segment_buffer 1
		.amdhsa_user_sgpr_dispatch_ptr 0
		.amdhsa_user_sgpr_queue_ptr 0
		.amdhsa_user_sgpr_kernarg_segment_ptr 1
		.amdhsa_user_sgpr_dispatch_id 0
		.amdhsa_user_sgpr_flat_scratch_init 0
		.amdhsa_user_sgpr_kernarg_preload_length 0
		.amdhsa_user_sgpr_kernarg_preload_offset 0
		.amdhsa_user_sgpr_private_segment_size 0
		.amdhsa_uses_dynamic_stack 0
		.amdhsa_system_sgpr_private_segment_wavefront_offset 0
		.amdhsa_system_sgpr_workgroup_id_x 1
		.amdhsa_system_sgpr_workgroup_id_y 0
		.amdhsa_system_sgpr_workgroup_id_z 0
		.amdhsa_system_sgpr_workgroup_info 0
		.amdhsa_system_vgpr_workitem_id 0
		.amdhsa_next_free_vgpr 1
		.amdhsa_next_free_sgpr 0
		.amdhsa_accum_offset 4
		.amdhsa_reserve_vcc 0
		.amdhsa_reserve_flat_scratch 0
		.amdhsa_float_round_mode_32 0
		.amdhsa_float_round_mode_16_64 0
		.amdhsa_float_denorm_mode_32 3
		.amdhsa_float_denorm_mode_16_64 3
		.amdhsa_dx10_clamp 1
		.amdhsa_ieee_mode 1
		.amdhsa_fp16_overflow 0
		.amdhsa_tg_split 0
		.amdhsa_exception_fp_ieee_invalid_op 0
		.amdhsa_exception_fp_denorm_src 0
		.amdhsa_exception_fp_ieee_div_zero 0
		.amdhsa_exception_fp_ieee_overflow 0
		.amdhsa_exception_fp_ieee_underflow 0
		.amdhsa_exception_fp_ieee_inexact 0
		.amdhsa_exception_int_div_zero 0
	.end_amdhsa_kernel
	.section	.text._ZN7rocprim17ROCPRIM_400000_NS6detail17trampoline_kernelINS0_14default_configENS1_35radix_sort_onesweep_config_selectorIfNS0_10empty_typeEEEZNS1_34radix_sort_onesweep_global_offsetsIS3_Lb0EPfPS5_mNS0_19identity_decomposerEEE10hipError_tT1_T2_PT3_SE_jT4_jjP12ihipStream_tbEUlT_E_NS1_11comp_targetILNS1_3genE3ELNS1_11target_archE908ELNS1_3gpuE7ELNS1_3repE0EEENS1_52radix_sort_onesweep_histogram_config_static_selectorELNS0_4arch9wavefront6targetE1EEEvSC_,"axG",@progbits,_ZN7rocprim17ROCPRIM_400000_NS6detail17trampoline_kernelINS0_14default_configENS1_35radix_sort_onesweep_config_selectorIfNS0_10empty_typeEEEZNS1_34radix_sort_onesweep_global_offsetsIS3_Lb0EPfPS5_mNS0_19identity_decomposerEEE10hipError_tT1_T2_PT3_SE_jT4_jjP12ihipStream_tbEUlT_E_NS1_11comp_targetILNS1_3genE3ELNS1_11target_archE908ELNS1_3gpuE7ELNS1_3repE0EEENS1_52radix_sort_onesweep_histogram_config_static_selectorELNS0_4arch9wavefront6targetE1EEEvSC_,comdat
.Lfunc_end1273:
	.size	_ZN7rocprim17ROCPRIM_400000_NS6detail17trampoline_kernelINS0_14default_configENS1_35radix_sort_onesweep_config_selectorIfNS0_10empty_typeEEEZNS1_34radix_sort_onesweep_global_offsetsIS3_Lb0EPfPS5_mNS0_19identity_decomposerEEE10hipError_tT1_T2_PT3_SE_jT4_jjP12ihipStream_tbEUlT_E_NS1_11comp_targetILNS1_3genE3ELNS1_11target_archE908ELNS1_3gpuE7ELNS1_3repE0EEENS1_52radix_sort_onesweep_histogram_config_static_selectorELNS0_4arch9wavefront6targetE1EEEvSC_, .Lfunc_end1273-_ZN7rocprim17ROCPRIM_400000_NS6detail17trampoline_kernelINS0_14default_configENS1_35radix_sort_onesweep_config_selectorIfNS0_10empty_typeEEEZNS1_34radix_sort_onesweep_global_offsetsIS3_Lb0EPfPS5_mNS0_19identity_decomposerEEE10hipError_tT1_T2_PT3_SE_jT4_jjP12ihipStream_tbEUlT_E_NS1_11comp_targetILNS1_3genE3ELNS1_11target_archE908ELNS1_3gpuE7ELNS1_3repE0EEENS1_52radix_sort_onesweep_histogram_config_static_selectorELNS0_4arch9wavefront6targetE1EEEvSC_
                                        ; -- End function
	.section	.AMDGPU.csdata,"",@progbits
; Kernel info:
; codeLenInByte = 0
; NumSgprs: 4
; NumVgprs: 0
; NumAgprs: 0
; TotalNumVgprs: 0
; ScratchSize: 0
; MemoryBound: 0
; FloatMode: 240
; IeeeMode: 1
; LDSByteSize: 0 bytes/workgroup (compile time only)
; SGPRBlocks: 0
; VGPRBlocks: 0
; NumSGPRsForWavesPerEU: 4
; NumVGPRsForWavesPerEU: 1
; AccumOffset: 4
; Occupancy: 8
; WaveLimiterHint : 0
; COMPUTE_PGM_RSRC2:SCRATCH_EN: 0
; COMPUTE_PGM_RSRC2:USER_SGPR: 6
; COMPUTE_PGM_RSRC2:TRAP_HANDLER: 0
; COMPUTE_PGM_RSRC2:TGID_X_EN: 1
; COMPUTE_PGM_RSRC2:TGID_Y_EN: 0
; COMPUTE_PGM_RSRC2:TGID_Z_EN: 0
; COMPUTE_PGM_RSRC2:TIDIG_COMP_CNT: 0
; COMPUTE_PGM_RSRC3_GFX90A:ACCUM_OFFSET: 0
; COMPUTE_PGM_RSRC3_GFX90A:TG_SPLIT: 0
	.section	.text._ZN7rocprim17ROCPRIM_400000_NS6detail17trampoline_kernelINS0_14default_configENS1_35radix_sort_onesweep_config_selectorIfNS0_10empty_typeEEEZNS1_34radix_sort_onesweep_global_offsetsIS3_Lb0EPfPS5_mNS0_19identity_decomposerEEE10hipError_tT1_T2_PT3_SE_jT4_jjP12ihipStream_tbEUlT_E_NS1_11comp_targetILNS1_3genE10ELNS1_11target_archE1201ELNS1_3gpuE5ELNS1_3repE0EEENS1_52radix_sort_onesweep_histogram_config_static_selectorELNS0_4arch9wavefront6targetE1EEEvSC_,"axG",@progbits,_ZN7rocprim17ROCPRIM_400000_NS6detail17trampoline_kernelINS0_14default_configENS1_35radix_sort_onesweep_config_selectorIfNS0_10empty_typeEEEZNS1_34radix_sort_onesweep_global_offsetsIS3_Lb0EPfPS5_mNS0_19identity_decomposerEEE10hipError_tT1_T2_PT3_SE_jT4_jjP12ihipStream_tbEUlT_E_NS1_11comp_targetILNS1_3genE10ELNS1_11target_archE1201ELNS1_3gpuE5ELNS1_3repE0EEENS1_52radix_sort_onesweep_histogram_config_static_selectorELNS0_4arch9wavefront6targetE1EEEvSC_,comdat
	.protected	_ZN7rocprim17ROCPRIM_400000_NS6detail17trampoline_kernelINS0_14default_configENS1_35radix_sort_onesweep_config_selectorIfNS0_10empty_typeEEEZNS1_34radix_sort_onesweep_global_offsetsIS3_Lb0EPfPS5_mNS0_19identity_decomposerEEE10hipError_tT1_T2_PT3_SE_jT4_jjP12ihipStream_tbEUlT_E_NS1_11comp_targetILNS1_3genE10ELNS1_11target_archE1201ELNS1_3gpuE5ELNS1_3repE0EEENS1_52radix_sort_onesweep_histogram_config_static_selectorELNS0_4arch9wavefront6targetE1EEEvSC_ ; -- Begin function _ZN7rocprim17ROCPRIM_400000_NS6detail17trampoline_kernelINS0_14default_configENS1_35radix_sort_onesweep_config_selectorIfNS0_10empty_typeEEEZNS1_34radix_sort_onesweep_global_offsetsIS3_Lb0EPfPS5_mNS0_19identity_decomposerEEE10hipError_tT1_T2_PT3_SE_jT4_jjP12ihipStream_tbEUlT_E_NS1_11comp_targetILNS1_3genE10ELNS1_11target_archE1201ELNS1_3gpuE5ELNS1_3repE0EEENS1_52radix_sort_onesweep_histogram_config_static_selectorELNS0_4arch9wavefront6targetE1EEEvSC_
	.globl	_ZN7rocprim17ROCPRIM_400000_NS6detail17trampoline_kernelINS0_14default_configENS1_35radix_sort_onesweep_config_selectorIfNS0_10empty_typeEEEZNS1_34radix_sort_onesweep_global_offsetsIS3_Lb0EPfPS5_mNS0_19identity_decomposerEEE10hipError_tT1_T2_PT3_SE_jT4_jjP12ihipStream_tbEUlT_E_NS1_11comp_targetILNS1_3genE10ELNS1_11target_archE1201ELNS1_3gpuE5ELNS1_3repE0EEENS1_52radix_sort_onesweep_histogram_config_static_selectorELNS0_4arch9wavefront6targetE1EEEvSC_
	.p2align	8
	.type	_ZN7rocprim17ROCPRIM_400000_NS6detail17trampoline_kernelINS0_14default_configENS1_35radix_sort_onesweep_config_selectorIfNS0_10empty_typeEEEZNS1_34radix_sort_onesweep_global_offsetsIS3_Lb0EPfPS5_mNS0_19identity_decomposerEEE10hipError_tT1_T2_PT3_SE_jT4_jjP12ihipStream_tbEUlT_E_NS1_11comp_targetILNS1_3genE10ELNS1_11target_archE1201ELNS1_3gpuE5ELNS1_3repE0EEENS1_52radix_sort_onesweep_histogram_config_static_selectorELNS0_4arch9wavefront6targetE1EEEvSC_,@function
_ZN7rocprim17ROCPRIM_400000_NS6detail17trampoline_kernelINS0_14default_configENS1_35radix_sort_onesweep_config_selectorIfNS0_10empty_typeEEEZNS1_34radix_sort_onesweep_global_offsetsIS3_Lb0EPfPS5_mNS0_19identity_decomposerEEE10hipError_tT1_T2_PT3_SE_jT4_jjP12ihipStream_tbEUlT_E_NS1_11comp_targetILNS1_3genE10ELNS1_11target_archE1201ELNS1_3gpuE5ELNS1_3repE0EEENS1_52radix_sort_onesweep_histogram_config_static_selectorELNS0_4arch9wavefront6targetE1EEEvSC_: ; @_ZN7rocprim17ROCPRIM_400000_NS6detail17trampoline_kernelINS0_14default_configENS1_35radix_sort_onesweep_config_selectorIfNS0_10empty_typeEEEZNS1_34radix_sort_onesweep_global_offsetsIS3_Lb0EPfPS5_mNS0_19identity_decomposerEEE10hipError_tT1_T2_PT3_SE_jT4_jjP12ihipStream_tbEUlT_E_NS1_11comp_targetILNS1_3genE10ELNS1_11target_archE1201ELNS1_3gpuE5ELNS1_3repE0EEENS1_52radix_sort_onesweep_histogram_config_static_selectorELNS0_4arch9wavefront6targetE1EEEvSC_
; %bb.0:
	.section	.rodata,"a",@progbits
	.p2align	6, 0x0
	.amdhsa_kernel _ZN7rocprim17ROCPRIM_400000_NS6detail17trampoline_kernelINS0_14default_configENS1_35radix_sort_onesweep_config_selectorIfNS0_10empty_typeEEEZNS1_34radix_sort_onesweep_global_offsetsIS3_Lb0EPfPS5_mNS0_19identity_decomposerEEE10hipError_tT1_T2_PT3_SE_jT4_jjP12ihipStream_tbEUlT_E_NS1_11comp_targetILNS1_3genE10ELNS1_11target_archE1201ELNS1_3gpuE5ELNS1_3repE0EEENS1_52radix_sort_onesweep_histogram_config_static_selectorELNS0_4arch9wavefront6targetE1EEEvSC_
		.amdhsa_group_segment_fixed_size 0
		.amdhsa_private_segment_fixed_size 0
		.amdhsa_kernarg_size 48
		.amdhsa_user_sgpr_count 6
		.amdhsa_user_sgpr_private_segment_buffer 1
		.amdhsa_user_sgpr_dispatch_ptr 0
		.amdhsa_user_sgpr_queue_ptr 0
		.amdhsa_user_sgpr_kernarg_segment_ptr 1
		.amdhsa_user_sgpr_dispatch_id 0
		.amdhsa_user_sgpr_flat_scratch_init 0
		.amdhsa_user_sgpr_kernarg_preload_length 0
		.amdhsa_user_sgpr_kernarg_preload_offset 0
		.amdhsa_user_sgpr_private_segment_size 0
		.amdhsa_uses_dynamic_stack 0
		.amdhsa_system_sgpr_private_segment_wavefront_offset 0
		.amdhsa_system_sgpr_workgroup_id_x 1
		.amdhsa_system_sgpr_workgroup_id_y 0
		.amdhsa_system_sgpr_workgroup_id_z 0
		.amdhsa_system_sgpr_workgroup_info 0
		.amdhsa_system_vgpr_workitem_id 0
		.amdhsa_next_free_vgpr 1
		.amdhsa_next_free_sgpr 0
		.amdhsa_accum_offset 4
		.amdhsa_reserve_vcc 0
		.amdhsa_reserve_flat_scratch 0
		.amdhsa_float_round_mode_32 0
		.amdhsa_float_round_mode_16_64 0
		.amdhsa_float_denorm_mode_32 3
		.amdhsa_float_denorm_mode_16_64 3
		.amdhsa_dx10_clamp 1
		.amdhsa_ieee_mode 1
		.amdhsa_fp16_overflow 0
		.amdhsa_tg_split 0
		.amdhsa_exception_fp_ieee_invalid_op 0
		.amdhsa_exception_fp_denorm_src 0
		.amdhsa_exception_fp_ieee_div_zero 0
		.amdhsa_exception_fp_ieee_overflow 0
		.amdhsa_exception_fp_ieee_underflow 0
		.amdhsa_exception_fp_ieee_inexact 0
		.amdhsa_exception_int_div_zero 0
	.end_amdhsa_kernel
	.section	.text._ZN7rocprim17ROCPRIM_400000_NS6detail17trampoline_kernelINS0_14default_configENS1_35radix_sort_onesweep_config_selectorIfNS0_10empty_typeEEEZNS1_34radix_sort_onesweep_global_offsetsIS3_Lb0EPfPS5_mNS0_19identity_decomposerEEE10hipError_tT1_T2_PT3_SE_jT4_jjP12ihipStream_tbEUlT_E_NS1_11comp_targetILNS1_3genE10ELNS1_11target_archE1201ELNS1_3gpuE5ELNS1_3repE0EEENS1_52radix_sort_onesweep_histogram_config_static_selectorELNS0_4arch9wavefront6targetE1EEEvSC_,"axG",@progbits,_ZN7rocprim17ROCPRIM_400000_NS6detail17trampoline_kernelINS0_14default_configENS1_35radix_sort_onesweep_config_selectorIfNS0_10empty_typeEEEZNS1_34radix_sort_onesweep_global_offsetsIS3_Lb0EPfPS5_mNS0_19identity_decomposerEEE10hipError_tT1_T2_PT3_SE_jT4_jjP12ihipStream_tbEUlT_E_NS1_11comp_targetILNS1_3genE10ELNS1_11target_archE1201ELNS1_3gpuE5ELNS1_3repE0EEENS1_52radix_sort_onesweep_histogram_config_static_selectorELNS0_4arch9wavefront6targetE1EEEvSC_,comdat
.Lfunc_end1274:
	.size	_ZN7rocprim17ROCPRIM_400000_NS6detail17trampoline_kernelINS0_14default_configENS1_35radix_sort_onesweep_config_selectorIfNS0_10empty_typeEEEZNS1_34radix_sort_onesweep_global_offsetsIS3_Lb0EPfPS5_mNS0_19identity_decomposerEEE10hipError_tT1_T2_PT3_SE_jT4_jjP12ihipStream_tbEUlT_E_NS1_11comp_targetILNS1_3genE10ELNS1_11target_archE1201ELNS1_3gpuE5ELNS1_3repE0EEENS1_52radix_sort_onesweep_histogram_config_static_selectorELNS0_4arch9wavefront6targetE1EEEvSC_, .Lfunc_end1274-_ZN7rocprim17ROCPRIM_400000_NS6detail17trampoline_kernelINS0_14default_configENS1_35radix_sort_onesweep_config_selectorIfNS0_10empty_typeEEEZNS1_34radix_sort_onesweep_global_offsetsIS3_Lb0EPfPS5_mNS0_19identity_decomposerEEE10hipError_tT1_T2_PT3_SE_jT4_jjP12ihipStream_tbEUlT_E_NS1_11comp_targetILNS1_3genE10ELNS1_11target_archE1201ELNS1_3gpuE5ELNS1_3repE0EEENS1_52radix_sort_onesweep_histogram_config_static_selectorELNS0_4arch9wavefront6targetE1EEEvSC_
                                        ; -- End function
	.section	.AMDGPU.csdata,"",@progbits
; Kernel info:
; codeLenInByte = 0
; NumSgprs: 4
; NumVgprs: 0
; NumAgprs: 0
; TotalNumVgprs: 0
; ScratchSize: 0
; MemoryBound: 0
; FloatMode: 240
; IeeeMode: 1
; LDSByteSize: 0 bytes/workgroup (compile time only)
; SGPRBlocks: 0
; VGPRBlocks: 0
; NumSGPRsForWavesPerEU: 4
; NumVGPRsForWavesPerEU: 1
; AccumOffset: 4
; Occupancy: 8
; WaveLimiterHint : 0
; COMPUTE_PGM_RSRC2:SCRATCH_EN: 0
; COMPUTE_PGM_RSRC2:USER_SGPR: 6
; COMPUTE_PGM_RSRC2:TRAP_HANDLER: 0
; COMPUTE_PGM_RSRC2:TGID_X_EN: 1
; COMPUTE_PGM_RSRC2:TGID_Y_EN: 0
; COMPUTE_PGM_RSRC2:TGID_Z_EN: 0
; COMPUTE_PGM_RSRC2:TIDIG_COMP_CNT: 0
; COMPUTE_PGM_RSRC3_GFX90A:ACCUM_OFFSET: 0
; COMPUTE_PGM_RSRC3_GFX90A:TG_SPLIT: 0
	.section	.text._ZN7rocprim17ROCPRIM_400000_NS6detail17trampoline_kernelINS0_14default_configENS1_35radix_sort_onesweep_config_selectorIfNS0_10empty_typeEEEZNS1_34radix_sort_onesweep_global_offsetsIS3_Lb0EPfPS5_mNS0_19identity_decomposerEEE10hipError_tT1_T2_PT3_SE_jT4_jjP12ihipStream_tbEUlT_E_NS1_11comp_targetILNS1_3genE9ELNS1_11target_archE1100ELNS1_3gpuE3ELNS1_3repE0EEENS1_52radix_sort_onesweep_histogram_config_static_selectorELNS0_4arch9wavefront6targetE1EEEvSC_,"axG",@progbits,_ZN7rocprim17ROCPRIM_400000_NS6detail17trampoline_kernelINS0_14default_configENS1_35radix_sort_onesweep_config_selectorIfNS0_10empty_typeEEEZNS1_34radix_sort_onesweep_global_offsetsIS3_Lb0EPfPS5_mNS0_19identity_decomposerEEE10hipError_tT1_T2_PT3_SE_jT4_jjP12ihipStream_tbEUlT_E_NS1_11comp_targetILNS1_3genE9ELNS1_11target_archE1100ELNS1_3gpuE3ELNS1_3repE0EEENS1_52radix_sort_onesweep_histogram_config_static_selectorELNS0_4arch9wavefront6targetE1EEEvSC_,comdat
	.protected	_ZN7rocprim17ROCPRIM_400000_NS6detail17trampoline_kernelINS0_14default_configENS1_35radix_sort_onesweep_config_selectorIfNS0_10empty_typeEEEZNS1_34radix_sort_onesweep_global_offsetsIS3_Lb0EPfPS5_mNS0_19identity_decomposerEEE10hipError_tT1_T2_PT3_SE_jT4_jjP12ihipStream_tbEUlT_E_NS1_11comp_targetILNS1_3genE9ELNS1_11target_archE1100ELNS1_3gpuE3ELNS1_3repE0EEENS1_52radix_sort_onesweep_histogram_config_static_selectorELNS0_4arch9wavefront6targetE1EEEvSC_ ; -- Begin function _ZN7rocprim17ROCPRIM_400000_NS6detail17trampoline_kernelINS0_14default_configENS1_35radix_sort_onesweep_config_selectorIfNS0_10empty_typeEEEZNS1_34radix_sort_onesweep_global_offsetsIS3_Lb0EPfPS5_mNS0_19identity_decomposerEEE10hipError_tT1_T2_PT3_SE_jT4_jjP12ihipStream_tbEUlT_E_NS1_11comp_targetILNS1_3genE9ELNS1_11target_archE1100ELNS1_3gpuE3ELNS1_3repE0EEENS1_52radix_sort_onesweep_histogram_config_static_selectorELNS0_4arch9wavefront6targetE1EEEvSC_
	.globl	_ZN7rocprim17ROCPRIM_400000_NS6detail17trampoline_kernelINS0_14default_configENS1_35radix_sort_onesweep_config_selectorIfNS0_10empty_typeEEEZNS1_34radix_sort_onesweep_global_offsetsIS3_Lb0EPfPS5_mNS0_19identity_decomposerEEE10hipError_tT1_T2_PT3_SE_jT4_jjP12ihipStream_tbEUlT_E_NS1_11comp_targetILNS1_3genE9ELNS1_11target_archE1100ELNS1_3gpuE3ELNS1_3repE0EEENS1_52radix_sort_onesweep_histogram_config_static_selectorELNS0_4arch9wavefront6targetE1EEEvSC_
	.p2align	8
	.type	_ZN7rocprim17ROCPRIM_400000_NS6detail17trampoline_kernelINS0_14default_configENS1_35radix_sort_onesweep_config_selectorIfNS0_10empty_typeEEEZNS1_34radix_sort_onesweep_global_offsetsIS3_Lb0EPfPS5_mNS0_19identity_decomposerEEE10hipError_tT1_T2_PT3_SE_jT4_jjP12ihipStream_tbEUlT_E_NS1_11comp_targetILNS1_3genE9ELNS1_11target_archE1100ELNS1_3gpuE3ELNS1_3repE0EEENS1_52radix_sort_onesweep_histogram_config_static_selectorELNS0_4arch9wavefront6targetE1EEEvSC_,@function
_ZN7rocprim17ROCPRIM_400000_NS6detail17trampoline_kernelINS0_14default_configENS1_35radix_sort_onesweep_config_selectorIfNS0_10empty_typeEEEZNS1_34radix_sort_onesweep_global_offsetsIS3_Lb0EPfPS5_mNS0_19identity_decomposerEEE10hipError_tT1_T2_PT3_SE_jT4_jjP12ihipStream_tbEUlT_E_NS1_11comp_targetILNS1_3genE9ELNS1_11target_archE1100ELNS1_3gpuE3ELNS1_3repE0EEENS1_52radix_sort_onesweep_histogram_config_static_selectorELNS0_4arch9wavefront6targetE1EEEvSC_: ; @_ZN7rocprim17ROCPRIM_400000_NS6detail17trampoline_kernelINS0_14default_configENS1_35radix_sort_onesweep_config_selectorIfNS0_10empty_typeEEEZNS1_34radix_sort_onesweep_global_offsetsIS3_Lb0EPfPS5_mNS0_19identity_decomposerEEE10hipError_tT1_T2_PT3_SE_jT4_jjP12ihipStream_tbEUlT_E_NS1_11comp_targetILNS1_3genE9ELNS1_11target_archE1100ELNS1_3gpuE3ELNS1_3repE0EEENS1_52radix_sort_onesweep_histogram_config_static_selectorELNS0_4arch9wavefront6targetE1EEEvSC_
; %bb.0:
	.section	.rodata,"a",@progbits
	.p2align	6, 0x0
	.amdhsa_kernel _ZN7rocprim17ROCPRIM_400000_NS6detail17trampoline_kernelINS0_14default_configENS1_35radix_sort_onesweep_config_selectorIfNS0_10empty_typeEEEZNS1_34radix_sort_onesweep_global_offsetsIS3_Lb0EPfPS5_mNS0_19identity_decomposerEEE10hipError_tT1_T2_PT3_SE_jT4_jjP12ihipStream_tbEUlT_E_NS1_11comp_targetILNS1_3genE9ELNS1_11target_archE1100ELNS1_3gpuE3ELNS1_3repE0EEENS1_52radix_sort_onesweep_histogram_config_static_selectorELNS0_4arch9wavefront6targetE1EEEvSC_
		.amdhsa_group_segment_fixed_size 0
		.amdhsa_private_segment_fixed_size 0
		.amdhsa_kernarg_size 48
		.amdhsa_user_sgpr_count 6
		.amdhsa_user_sgpr_private_segment_buffer 1
		.amdhsa_user_sgpr_dispatch_ptr 0
		.amdhsa_user_sgpr_queue_ptr 0
		.amdhsa_user_sgpr_kernarg_segment_ptr 1
		.amdhsa_user_sgpr_dispatch_id 0
		.amdhsa_user_sgpr_flat_scratch_init 0
		.amdhsa_user_sgpr_kernarg_preload_length 0
		.amdhsa_user_sgpr_kernarg_preload_offset 0
		.amdhsa_user_sgpr_private_segment_size 0
		.amdhsa_uses_dynamic_stack 0
		.amdhsa_system_sgpr_private_segment_wavefront_offset 0
		.amdhsa_system_sgpr_workgroup_id_x 1
		.amdhsa_system_sgpr_workgroup_id_y 0
		.amdhsa_system_sgpr_workgroup_id_z 0
		.amdhsa_system_sgpr_workgroup_info 0
		.amdhsa_system_vgpr_workitem_id 0
		.amdhsa_next_free_vgpr 1
		.amdhsa_next_free_sgpr 0
		.amdhsa_accum_offset 4
		.amdhsa_reserve_vcc 0
		.amdhsa_reserve_flat_scratch 0
		.amdhsa_float_round_mode_32 0
		.amdhsa_float_round_mode_16_64 0
		.amdhsa_float_denorm_mode_32 3
		.amdhsa_float_denorm_mode_16_64 3
		.amdhsa_dx10_clamp 1
		.amdhsa_ieee_mode 1
		.amdhsa_fp16_overflow 0
		.amdhsa_tg_split 0
		.amdhsa_exception_fp_ieee_invalid_op 0
		.amdhsa_exception_fp_denorm_src 0
		.amdhsa_exception_fp_ieee_div_zero 0
		.amdhsa_exception_fp_ieee_overflow 0
		.amdhsa_exception_fp_ieee_underflow 0
		.amdhsa_exception_fp_ieee_inexact 0
		.amdhsa_exception_int_div_zero 0
	.end_amdhsa_kernel
	.section	.text._ZN7rocprim17ROCPRIM_400000_NS6detail17trampoline_kernelINS0_14default_configENS1_35radix_sort_onesweep_config_selectorIfNS0_10empty_typeEEEZNS1_34radix_sort_onesweep_global_offsetsIS3_Lb0EPfPS5_mNS0_19identity_decomposerEEE10hipError_tT1_T2_PT3_SE_jT4_jjP12ihipStream_tbEUlT_E_NS1_11comp_targetILNS1_3genE9ELNS1_11target_archE1100ELNS1_3gpuE3ELNS1_3repE0EEENS1_52radix_sort_onesweep_histogram_config_static_selectorELNS0_4arch9wavefront6targetE1EEEvSC_,"axG",@progbits,_ZN7rocprim17ROCPRIM_400000_NS6detail17trampoline_kernelINS0_14default_configENS1_35radix_sort_onesweep_config_selectorIfNS0_10empty_typeEEEZNS1_34radix_sort_onesweep_global_offsetsIS3_Lb0EPfPS5_mNS0_19identity_decomposerEEE10hipError_tT1_T2_PT3_SE_jT4_jjP12ihipStream_tbEUlT_E_NS1_11comp_targetILNS1_3genE9ELNS1_11target_archE1100ELNS1_3gpuE3ELNS1_3repE0EEENS1_52radix_sort_onesweep_histogram_config_static_selectorELNS0_4arch9wavefront6targetE1EEEvSC_,comdat
.Lfunc_end1275:
	.size	_ZN7rocprim17ROCPRIM_400000_NS6detail17trampoline_kernelINS0_14default_configENS1_35radix_sort_onesweep_config_selectorIfNS0_10empty_typeEEEZNS1_34radix_sort_onesweep_global_offsetsIS3_Lb0EPfPS5_mNS0_19identity_decomposerEEE10hipError_tT1_T2_PT3_SE_jT4_jjP12ihipStream_tbEUlT_E_NS1_11comp_targetILNS1_3genE9ELNS1_11target_archE1100ELNS1_3gpuE3ELNS1_3repE0EEENS1_52radix_sort_onesweep_histogram_config_static_selectorELNS0_4arch9wavefront6targetE1EEEvSC_, .Lfunc_end1275-_ZN7rocprim17ROCPRIM_400000_NS6detail17trampoline_kernelINS0_14default_configENS1_35radix_sort_onesweep_config_selectorIfNS0_10empty_typeEEEZNS1_34radix_sort_onesweep_global_offsetsIS3_Lb0EPfPS5_mNS0_19identity_decomposerEEE10hipError_tT1_T2_PT3_SE_jT4_jjP12ihipStream_tbEUlT_E_NS1_11comp_targetILNS1_3genE9ELNS1_11target_archE1100ELNS1_3gpuE3ELNS1_3repE0EEENS1_52radix_sort_onesweep_histogram_config_static_selectorELNS0_4arch9wavefront6targetE1EEEvSC_
                                        ; -- End function
	.section	.AMDGPU.csdata,"",@progbits
; Kernel info:
; codeLenInByte = 0
; NumSgprs: 4
; NumVgprs: 0
; NumAgprs: 0
; TotalNumVgprs: 0
; ScratchSize: 0
; MemoryBound: 0
; FloatMode: 240
; IeeeMode: 1
; LDSByteSize: 0 bytes/workgroup (compile time only)
; SGPRBlocks: 0
; VGPRBlocks: 0
; NumSGPRsForWavesPerEU: 4
; NumVGPRsForWavesPerEU: 1
; AccumOffset: 4
; Occupancy: 8
; WaveLimiterHint : 0
; COMPUTE_PGM_RSRC2:SCRATCH_EN: 0
; COMPUTE_PGM_RSRC2:USER_SGPR: 6
; COMPUTE_PGM_RSRC2:TRAP_HANDLER: 0
; COMPUTE_PGM_RSRC2:TGID_X_EN: 1
; COMPUTE_PGM_RSRC2:TGID_Y_EN: 0
; COMPUTE_PGM_RSRC2:TGID_Z_EN: 0
; COMPUTE_PGM_RSRC2:TIDIG_COMP_CNT: 0
; COMPUTE_PGM_RSRC3_GFX90A:ACCUM_OFFSET: 0
; COMPUTE_PGM_RSRC3_GFX90A:TG_SPLIT: 0
	.section	.text._ZN7rocprim17ROCPRIM_400000_NS6detail17trampoline_kernelINS0_14default_configENS1_35radix_sort_onesweep_config_selectorIfNS0_10empty_typeEEEZNS1_34radix_sort_onesweep_global_offsetsIS3_Lb0EPfPS5_mNS0_19identity_decomposerEEE10hipError_tT1_T2_PT3_SE_jT4_jjP12ihipStream_tbEUlT_E_NS1_11comp_targetILNS1_3genE8ELNS1_11target_archE1030ELNS1_3gpuE2ELNS1_3repE0EEENS1_52radix_sort_onesweep_histogram_config_static_selectorELNS0_4arch9wavefront6targetE1EEEvSC_,"axG",@progbits,_ZN7rocprim17ROCPRIM_400000_NS6detail17trampoline_kernelINS0_14default_configENS1_35radix_sort_onesweep_config_selectorIfNS0_10empty_typeEEEZNS1_34radix_sort_onesweep_global_offsetsIS3_Lb0EPfPS5_mNS0_19identity_decomposerEEE10hipError_tT1_T2_PT3_SE_jT4_jjP12ihipStream_tbEUlT_E_NS1_11comp_targetILNS1_3genE8ELNS1_11target_archE1030ELNS1_3gpuE2ELNS1_3repE0EEENS1_52radix_sort_onesweep_histogram_config_static_selectorELNS0_4arch9wavefront6targetE1EEEvSC_,comdat
	.protected	_ZN7rocprim17ROCPRIM_400000_NS6detail17trampoline_kernelINS0_14default_configENS1_35radix_sort_onesweep_config_selectorIfNS0_10empty_typeEEEZNS1_34radix_sort_onesweep_global_offsetsIS3_Lb0EPfPS5_mNS0_19identity_decomposerEEE10hipError_tT1_T2_PT3_SE_jT4_jjP12ihipStream_tbEUlT_E_NS1_11comp_targetILNS1_3genE8ELNS1_11target_archE1030ELNS1_3gpuE2ELNS1_3repE0EEENS1_52radix_sort_onesweep_histogram_config_static_selectorELNS0_4arch9wavefront6targetE1EEEvSC_ ; -- Begin function _ZN7rocprim17ROCPRIM_400000_NS6detail17trampoline_kernelINS0_14default_configENS1_35radix_sort_onesweep_config_selectorIfNS0_10empty_typeEEEZNS1_34radix_sort_onesweep_global_offsetsIS3_Lb0EPfPS5_mNS0_19identity_decomposerEEE10hipError_tT1_T2_PT3_SE_jT4_jjP12ihipStream_tbEUlT_E_NS1_11comp_targetILNS1_3genE8ELNS1_11target_archE1030ELNS1_3gpuE2ELNS1_3repE0EEENS1_52radix_sort_onesweep_histogram_config_static_selectorELNS0_4arch9wavefront6targetE1EEEvSC_
	.globl	_ZN7rocprim17ROCPRIM_400000_NS6detail17trampoline_kernelINS0_14default_configENS1_35radix_sort_onesweep_config_selectorIfNS0_10empty_typeEEEZNS1_34radix_sort_onesweep_global_offsetsIS3_Lb0EPfPS5_mNS0_19identity_decomposerEEE10hipError_tT1_T2_PT3_SE_jT4_jjP12ihipStream_tbEUlT_E_NS1_11comp_targetILNS1_3genE8ELNS1_11target_archE1030ELNS1_3gpuE2ELNS1_3repE0EEENS1_52radix_sort_onesweep_histogram_config_static_selectorELNS0_4arch9wavefront6targetE1EEEvSC_
	.p2align	8
	.type	_ZN7rocprim17ROCPRIM_400000_NS6detail17trampoline_kernelINS0_14default_configENS1_35radix_sort_onesweep_config_selectorIfNS0_10empty_typeEEEZNS1_34radix_sort_onesweep_global_offsetsIS3_Lb0EPfPS5_mNS0_19identity_decomposerEEE10hipError_tT1_T2_PT3_SE_jT4_jjP12ihipStream_tbEUlT_E_NS1_11comp_targetILNS1_3genE8ELNS1_11target_archE1030ELNS1_3gpuE2ELNS1_3repE0EEENS1_52radix_sort_onesweep_histogram_config_static_selectorELNS0_4arch9wavefront6targetE1EEEvSC_,@function
_ZN7rocprim17ROCPRIM_400000_NS6detail17trampoline_kernelINS0_14default_configENS1_35radix_sort_onesweep_config_selectorIfNS0_10empty_typeEEEZNS1_34radix_sort_onesweep_global_offsetsIS3_Lb0EPfPS5_mNS0_19identity_decomposerEEE10hipError_tT1_T2_PT3_SE_jT4_jjP12ihipStream_tbEUlT_E_NS1_11comp_targetILNS1_3genE8ELNS1_11target_archE1030ELNS1_3gpuE2ELNS1_3repE0EEENS1_52radix_sort_onesweep_histogram_config_static_selectorELNS0_4arch9wavefront6targetE1EEEvSC_: ; @_ZN7rocprim17ROCPRIM_400000_NS6detail17trampoline_kernelINS0_14default_configENS1_35radix_sort_onesweep_config_selectorIfNS0_10empty_typeEEEZNS1_34radix_sort_onesweep_global_offsetsIS3_Lb0EPfPS5_mNS0_19identity_decomposerEEE10hipError_tT1_T2_PT3_SE_jT4_jjP12ihipStream_tbEUlT_E_NS1_11comp_targetILNS1_3genE8ELNS1_11target_archE1030ELNS1_3gpuE2ELNS1_3repE0EEENS1_52radix_sort_onesweep_histogram_config_static_selectorELNS0_4arch9wavefront6targetE1EEEvSC_
; %bb.0:
	.section	.rodata,"a",@progbits
	.p2align	6, 0x0
	.amdhsa_kernel _ZN7rocprim17ROCPRIM_400000_NS6detail17trampoline_kernelINS0_14default_configENS1_35radix_sort_onesweep_config_selectorIfNS0_10empty_typeEEEZNS1_34radix_sort_onesweep_global_offsetsIS3_Lb0EPfPS5_mNS0_19identity_decomposerEEE10hipError_tT1_T2_PT3_SE_jT4_jjP12ihipStream_tbEUlT_E_NS1_11comp_targetILNS1_3genE8ELNS1_11target_archE1030ELNS1_3gpuE2ELNS1_3repE0EEENS1_52radix_sort_onesweep_histogram_config_static_selectorELNS0_4arch9wavefront6targetE1EEEvSC_
		.amdhsa_group_segment_fixed_size 0
		.amdhsa_private_segment_fixed_size 0
		.amdhsa_kernarg_size 48
		.amdhsa_user_sgpr_count 6
		.amdhsa_user_sgpr_private_segment_buffer 1
		.amdhsa_user_sgpr_dispatch_ptr 0
		.amdhsa_user_sgpr_queue_ptr 0
		.amdhsa_user_sgpr_kernarg_segment_ptr 1
		.amdhsa_user_sgpr_dispatch_id 0
		.amdhsa_user_sgpr_flat_scratch_init 0
		.amdhsa_user_sgpr_kernarg_preload_length 0
		.amdhsa_user_sgpr_kernarg_preload_offset 0
		.amdhsa_user_sgpr_private_segment_size 0
		.amdhsa_uses_dynamic_stack 0
		.amdhsa_system_sgpr_private_segment_wavefront_offset 0
		.amdhsa_system_sgpr_workgroup_id_x 1
		.amdhsa_system_sgpr_workgroup_id_y 0
		.amdhsa_system_sgpr_workgroup_id_z 0
		.amdhsa_system_sgpr_workgroup_info 0
		.amdhsa_system_vgpr_workitem_id 0
		.amdhsa_next_free_vgpr 1
		.amdhsa_next_free_sgpr 0
		.amdhsa_accum_offset 4
		.amdhsa_reserve_vcc 0
		.amdhsa_reserve_flat_scratch 0
		.amdhsa_float_round_mode_32 0
		.amdhsa_float_round_mode_16_64 0
		.amdhsa_float_denorm_mode_32 3
		.amdhsa_float_denorm_mode_16_64 3
		.amdhsa_dx10_clamp 1
		.amdhsa_ieee_mode 1
		.amdhsa_fp16_overflow 0
		.amdhsa_tg_split 0
		.amdhsa_exception_fp_ieee_invalid_op 0
		.amdhsa_exception_fp_denorm_src 0
		.amdhsa_exception_fp_ieee_div_zero 0
		.amdhsa_exception_fp_ieee_overflow 0
		.amdhsa_exception_fp_ieee_underflow 0
		.amdhsa_exception_fp_ieee_inexact 0
		.amdhsa_exception_int_div_zero 0
	.end_amdhsa_kernel
	.section	.text._ZN7rocprim17ROCPRIM_400000_NS6detail17trampoline_kernelINS0_14default_configENS1_35radix_sort_onesweep_config_selectorIfNS0_10empty_typeEEEZNS1_34radix_sort_onesweep_global_offsetsIS3_Lb0EPfPS5_mNS0_19identity_decomposerEEE10hipError_tT1_T2_PT3_SE_jT4_jjP12ihipStream_tbEUlT_E_NS1_11comp_targetILNS1_3genE8ELNS1_11target_archE1030ELNS1_3gpuE2ELNS1_3repE0EEENS1_52radix_sort_onesweep_histogram_config_static_selectorELNS0_4arch9wavefront6targetE1EEEvSC_,"axG",@progbits,_ZN7rocprim17ROCPRIM_400000_NS6detail17trampoline_kernelINS0_14default_configENS1_35radix_sort_onesweep_config_selectorIfNS0_10empty_typeEEEZNS1_34radix_sort_onesweep_global_offsetsIS3_Lb0EPfPS5_mNS0_19identity_decomposerEEE10hipError_tT1_T2_PT3_SE_jT4_jjP12ihipStream_tbEUlT_E_NS1_11comp_targetILNS1_3genE8ELNS1_11target_archE1030ELNS1_3gpuE2ELNS1_3repE0EEENS1_52radix_sort_onesweep_histogram_config_static_selectorELNS0_4arch9wavefront6targetE1EEEvSC_,comdat
.Lfunc_end1276:
	.size	_ZN7rocprim17ROCPRIM_400000_NS6detail17trampoline_kernelINS0_14default_configENS1_35radix_sort_onesweep_config_selectorIfNS0_10empty_typeEEEZNS1_34radix_sort_onesweep_global_offsetsIS3_Lb0EPfPS5_mNS0_19identity_decomposerEEE10hipError_tT1_T2_PT3_SE_jT4_jjP12ihipStream_tbEUlT_E_NS1_11comp_targetILNS1_3genE8ELNS1_11target_archE1030ELNS1_3gpuE2ELNS1_3repE0EEENS1_52radix_sort_onesweep_histogram_config_static_selectorELNS0_4arch9wavefront6targetE1EEEvSC_, .Lfunc_end1276-_ZN7rocprim17ROCPRIM_400000_NS6detail17trampoline_kernelINS0_14default_configENS1_35radix_sort_onesweep_config_selectorIfNS0_10empty_typeEEEZNS1_34radix_sort_onesweep_global_offsetsIS3_Lb0EPfPS5_mNS0_19identity_decomposerEEE10hipError_tT1_T2_PT3_SE_jT4_jjP12ihipStream_tbEUlT_E_NS1_11comp_targetILNS1_3genE8ELNS1_11target_archE1030ELNS1_3gpuE2ELNS1_3repE0EEENS1_52radix_sort_onesweep_histogram_config_static_selectorELNS0_4arch9wavefront6targetE1EEEvSC_
                                        ; -- End function
	.section	.AMDGPU.csdata,"",@progbits
; Kernel info:
; codeLenInByte = 0
; NumSgprs: 4
; NumVgprs: 0
; NumAgprs: 0
; TotalNumVgprs: 0
; ScratchSize: 0
; MemoryBound: 0
; FloatMode: 240
; IeeeMode: 1
; LDSByteSize: 0 bytes/workgroup (compile time only)
; SGPRBlocks: 0
; VGPRBlocks: 0
; NumSGPRsForWavesPerEU: 4
; NumVGPRsForWavesPerEU: 1
; AccumOffset: 4
; Occupancy: 8
; WaveLimiterHint : 0
; COMPUTE_PGM_RSRC2:SCRATCH_EN: 0
; COMPUTE_PGM_RSRC2:USER_SGPR: 6
; COMPUTE_PGM_RSRC2:TRAP_HANDLER: 0
; COMPUTE_PGM_RSRC2:TGID_X_EN: 1
; COMPUTE_PGM_RSRC2:TGID_Y_EN: 0
; COMPUTE_PGM_RSRC2:TGID_Z_EN: 0
; COMPUTE_PGM_RSRC2:TIDIG_COMP_CNT: 0
; COMPUTE_PGM_RSRC3_GFX90A:ACCUM_OFFSET: 0
; COMPUTE_PGM_RSRC3_GFX90A:TG_SPLIT: 0
	.section	.text._ZN7rocprim17ROCPRIM_400000_NS6detail17trampoline_kernelINS0_14default_configENS1_35radix_sort_onesweep_config_selectorIfNS0_10empty_typeEEEZNS1_34radix_sort_onesweep_global_offsetsIS3_Lb0EPfPS5_mNS0_19identity_decomposerEEE10hipError_tT1_T2_PT3_SE_jT4_jjP12ihipStream_tbEUlT_E0_NS1_11comp_targetILNS1_3genE0ELNS1_11target_archE4294967295ELNS1_3gpuE0ELNS1_3repE0EEENS1_52radix_sort_onesweep_histogram_config_static_selectorELNS0_4arch9wavefront6targetE1EEEvSC_,"axG",@progbits,_ZN7rocprim17ROCPRIM_400000_NS6detail17trampoline_kernelINS0_14default_configENS1_35radix_sort_onesweep_config_selectorIfNS0_10empty_typeEEEZNS1_34radix_sort_onesweep_global_offsetsIS3_Lb0EPfPS5_mNS0_19identity_decomposerEEE10hipError_tT1_T2_PT3_SE_jT4_jjP12ihipStream_tbEUlT_E0_NS1_11comp_targetILNS1_3genE0ELNS1_11target_archE4294967295ELNS1_3gpuE0ELNS1_3repE0EEENS1_52radix_sort_onesweep_histogram_config_static_selectorELNS0_4arch9wavefront6targetE1EEEvSC_,comdat
	.protected	_ZN7rocprim17ROCPRIM_400000_NS6detail17trampoline_kernelINS0_14default_configENS1_35radix_sort_onesweep_config_selectorIfNS0_10empty_typeEEEZNS1_34radix_sort_onesweep_global_offsetsIS3_Lb0EPfPS5_mNS0_19identity_decomposerEEE10hipError_tT1_T2_PT3_SE_jT4_jjP12ihipStream_tbEUlT_E0_NS1_11comp_targetILNS1_3genE0ELNS1_11target_archE4294967295ELNS1_3gpuE0ELNS1_3repE0EEENS1_52radix_sort_onesweep_histogram_config_static_selectorELNS0_4arch9wavefront6targetE1EEEvSC_ ; -- Begin function _ZN7rocprim17ROCPRIM_400000_NS6detail17trampoline_kernelINS0_14default_configENS1_35radix_sort_onesweep_config_selectorIfNS0_10empty_typeEEEZNS1_34radix_sort_onesweep_global_offsetsIS3_Lb0EPfPS5_mNS0_19identity_decomposerEEE10hipError_tT1_T2_PT3_SE_jT4_jjP12ihipStream_tbEUlT_E0_NS1_11comp_targetILNS1_3genE0ELNS1_11target_archE4294967295ELNS1_3gpuE0ELNS1_3repE0EEENS1_52radix_sort_onesweep_histogram_config_static_selectorELNS0_4arch9wavefront6targetE1EEEvSC_
	.globl	_ZN7rocprim17ROCPRIM_400000_NS6detail17trampoline_kernelINS0_14default_configENS1_35radix_sort_onesweep_config_selectorIfNS0_10empty_typeEEEZNS1_34radix_sort_onesweep_global_offsetsIS3_Lb0EPfPS5_mNS0_19identity_decomposerEEE10hipError_tT1_T2_PT3_SE_jT4_jjP12ihipStream_tbEUlT_E0_NS1_11comp_targetILNS1_3genE0ELNS1_11target_archE4294967295ELNS1_3gpuE0ELNS1_3repE0EEENS1_52radix_sort_onesweep_histogram_config_static_selectorELNS0_4arch9wavefront6targetE1EEEvSC_
	.p2align	8
	.type	_ZN7rocprim17ROCPRIM_400000_NS6detail17trampoline_kernelINS0_14default_configENS1_35radix_sort_onesweep_config_selectorIfNS0_10empty_typeEEEZNS1_34radix_sort_onesweep_global_offsetsIS3_Lb0EPfPS5_mNS0_19identity_decomposerEEE10hipError_tT1_T2_PT3_SE_jT4_jjP12ihipStream_tbEUlT_E0_NS1_11comp_targetILNS1_3genE0ELNS1_11target_archE4294967295ELNS1_3gpuE0ELNS1_3repE0EEENS1_52radix_sort_onesweep_histogram_config_static_selectorELNS0_4arch9wavefront6targetE1EEEvSC_,@function
_ZN7rocprim17ROCPRIM_400000_NS6detail17trampoline_kernelINS0_14default_configENS1_35radix_sort_onesweep_config_selectorIfNS0_10empty_typeEEEZNS1_34radix_sort_onesweep_global_offsetsIS3_Lb0EPfPS5_mNS0_19identity_decomposerEEE10hipError_tT1_T2_PT3_SE_jT4_jjP12ihipStream_tbEUlT_E0_NS1_11comp_targetILNS1_3genE0ELNS1_11target_archE4294967295ELNS1_3gpuE0ELNS1_3repE0EEENS1_52radix_sort_onesweep_histogram_config_static_selectorELNS0_4arch9wavefront6targetE1EEEvSC_: ; @_ZN7rocprim17ROCPRIM_400000_NS6detail17trampoline_kernelINS0_14default_configENS1_35radix_sort_onesweep_config_selectorIfNS0_10empty_typeEEEZNS1_34radix_sort_onesweep_global_offsetsIS3_Lb0EPfPS5_mNS0_19identity_decomposerEEE10hipError_tT1_T2_PT3_SE_jT4_jjP12ihipStream_tbEUlT_E0_NS1_11comp_targetILNS1_3genE0ELNS1_11target_archE4294967295ELNS1_3gpuE0ELNS1_3repE0EEENS1_52radix_sort_onesweep_histogram_config_static_selectorELNS0_4arch9wavefront6targetE1EEEvSC_
; %bb.0:
	.section	.rodata,"a",@progbits
	.p2align	6, 0x0
	.amdhsa_kernel _ZN7rocprim17ROCPRIM_400000_NS6detail17trampoline_kernelINS0_14default_configENS1_35radix_sort_onesweep_config_selectorIfNS0_10empty_typeEEEZNS1_34radix_sort_onesweep_global_offsetsIS3_Lb0EPfPS5_mNS0_19identity_decomposerEEE10hipError_tT1_T2_PT3_SE_jT4_jjP12ihipStream_tbEUlT_E0_NS1_11comp_targetILNS1_3genE0ELNS1_11target_archE4294967295ELNS1_3gpuE0ELNS1_3repE0EEENS1_52radix_sort_onesweep_histogram_config_static_selectorELNS0_4arch9wavefront6targetE1EEEvSC_
		.amdhsa_group_segment_fixed_size 0
		.amdhsa_private_segment_fixed_size 0
		.amdhsa_kernarg_size 8
		.amdhsa_user_sgpr_count 6
		.amdhsa_user_sgpr_private_segment_buffer 1
		.amdhsa_user_sgpr_dispatch_ptr 0
		.amdhsa_user_sgpr_queue_ptr 0
		.amdhsa_user_sgpr_kernarg_segment_ptr 1
		.amdhsa_user_sgpr_dispatch_id 0
		.amdhsa_user_sgpr_flat_scratch_init 0
		.amdhsa_user_sgpr_kernarg_preload_length 0
		.amdhsa_user_sgpr_kernarg_preload_offset 0
		.amdhsa_user_sgpr_private_segment_size 0
		.amdhsa_uses_dynamic_stack 0
		.amdhsa_system_sgpr_private_segment_wavefront_offset 0
		.amdhsa_system_sgpr_workgroup_id_x 1
		.amdhsa_system_sgpr_workgroup_id_y 0
		.amdhsa_system_sgpr_workgroup_id_z 0
		.amdhsa_system_sgpr_workgroup_info 0
		.amdhsa_system_vgpr_workitem_id 0
		.amdhsa_next_free_vgpr 1
		.amdhsa_next_free_sgpr 0
		.amdhsa_accum_offset 4
		.amdhsa_reserve_vcc 0
		.amdhsa_reserve_flat_scratch 0
		.amdhsa_float_round_mode_32 0
		.amdhsa_float_round_mode_16_64 0
		.amdhsa_float_denorm_mode_32 3
		.amdhsa_float_denorm_mode_16_64 3
		.amdhsa_dx10_clamp 1
		.amdhsa_ieee_mode 1
		.amdhsa_fp16_overflow 0
		.amdhsa_tg_split 0
		.amdhsa_exception_fp_ieee_invalid_op 0
		.amdhsa_exception_fp_denorm_src 0
		.amdhsa_exception_fp_ieee_div_zero 0
		.amdhsa_exception_fp_ieee_overflow 0
		.amdhsa_exception_fp_ieee_underflow 0
		.amdhsa_exception_fp_ieee_inexact 0
		.amdhsa_exception_int_div_zero 0
	.end_amdhsa_kernel
	.section	.text._ZN7rocprim17ROCPRIM_400000_NS6detail17trampoline_kernelINS0_14default_configENS1_35radix_sort_onesweep_config_selectorIfNS0_10empty_typeEEEZNS1_34radix_sort_onesweep_global_offsetsIS3_Lb0EPfPS5_mNS0_19identity_decomposerEEE10hipError_tT1_T2_PT3_SE_jT4_jjP12ihipStream_tbEUlT_E0_NS1_11comp_targetILNS1_3genE0ELNS1_11target_archE4294967295ELNS1_3gpuE0ELNS1_3repE0EEENS1_52radix_sort_onesweep_histogram_config_static_selectorELNS0_4arch9wavefront6targetE1EEEvSC_,"axG",@progbits,_ZN7rocprim17ROCPRIM_400000_NS6detail17trampoline_kernelINS0_14default_configENS1_35radix_sort_onesweep_config_selectorIfNS0_10empty_typeEEEZNS1_34radix_sort_onesweep_global_offsetsIS3_Lb0EPfPS5_mNS0_19identity_decomposerEEE10hipError_tT1_T2_PT3_SE_jT4_jjP12ihipStream_tbEUlT_E0_NS1_11comp_targetILNS1_3genE0ELNS1_11target_archE4294967295ELNS1_3gpuE0ELNS1_3repE0EEENS1_52radix_sort_onesweep_histogram_config_static_selectorELNS0_4arch9wavefront6targetE1EEEvSC_,comdat
.Lfunc_end1277:
	.size	_ZN7rocprim17ROCPRIM_400000_NS6detail17trampoline_kernelINS0_14default_configENS1_35radix_sort_onesweep_config_selectorIfNS0_10empty_typeEEEZNS1_34radix_sort_onesweep_global_offsetsIS3_Lb0EPfPS5_mNS0_19identity_decomposerEEE10hipError_tT1_T2_PT3_SE_jT4_jjP12ihipStream_tbEUlT_E0_NS1_11comp_targetILNS1_3genE0ELNS1_11target_archE4294967295ELNS1_3gpuE0ELNS1_3repE0EEENS1_52radix_sort_onesweep_histogram_config_static_selectorELNS0_4arch9wavefront6targetE1EEEvSC_, .Lfunc_end1277-_ZN7rocprim17ROCPRIM_400000_NS6detail17trampoline_kernelINS0_14default_configENS1_35radix_sort_onesweep_config_selectorIfNS0_10empty_typeEEEZNS1_34radix_sort_onesweep_global_offsetsIS3_Lb0EPfPS5_mNS0_19identity_decomposerEEE10hipError_tT1_T2_PT3_SE_jT4_jjP12ihipStream_tbEUlT_E0_NS1_11comp_targetILNS1_3genE0ELNS1_11target_archE4294967295ELNS1_3gpuE0ELNS1_3repE0EEENS1_52radix_sort_onesweep_histogram_config_static_selectorELNS0_4arch9wavefront6targetE1EEEvSC_
                                        ; -- End function
	.section	.AMDGPU.csdata,"",@progbits
; Kernel info:
; codeLenInByte = 0
; NumSgprs: 4
; NumVgprs: 0
; NumAgprs: 0
; TotalNumVgprs: 0
; ScratchSize: 0
; MemoryBound: 0
; FloatMode: 240
; IeeeMode: 1
; LDSByteSize: 0 bytes/workgroup (compile time only)
; SGPRBlocks: 0
; VGPRBlocks: 0
; NumSGPRsForWavesPerEU: 4
; NumVGPRsForWavesPerEU: 1
; AccumOffset: 4
; Occupancy: 8
; WaveLimiterHint : 0
; COMPUTE_PGM_RSRC2:SCRATCH_EN: 0
; COMPUTE_PGM_RSRC2:USER_SGPR: 6
; COMPUTE_PGM_RSRC2:TRAP_HANDLER: 0
; COMPUTE_PGM_RSRC2:TGID_X_EN: 1
; COMPUTE_PGM_RSRC2:TGID_Y_EN: 0
; COMPUTE_PGM_RSRC2:TGID_Z_EN: 0
; COMPUTE_PGM_RSRC2:TIDIG_COMP_CNT: 0
; COMPUTE_PGM_RSRC3_GFX90A:ACCUM_OFFSET: 0
; COMPUTE_PGM_RSRC3_GFX90A:TG_SPLIT: 0
	.section	.text._ZN7rocprim17ROCPRIM_400000_NS6detail17trampoline_kernelINS0_14default_configENS1_35radix_sort_onesweep_config_selectorIfNS0_10empty_typeEEEZNS1_34radix_sort_onesweep_global_offsetsIS3_Lb0EPfPS5_mNS0_19identity_decomposerEEE10hipError_tT1_T2_PT3_SE_jT4_jjP12ihipStream_tbEUlT_E0_NS1_11comp_targetILNS1_3genE6ELNS1_11target_archE950ELNS1_3gpuE13ELNS1_3repE0EEENS1_52radix_sort_onesweep_histogram_config_static_selectorELNS0_4arch9wavefront6targetE1EEEvSC_,"axG",@progbits,_ZN7rocprim17ROCPRIM_400000_NS6detail17trampoline_kernelINS0_14default_configENS1_35radix_sort_onesweep_config_selectorIfNS0_10empty_typeEEEZNS1_34radix_sort_onesweep_global_offsetsIS3_Lb0EPfPS5_mNS0_19identity_decomposerEEE10hipError_tT1_T2_PT3_SE_jT4_jjP12ihipStream_tbEUlT_E0_NS1_11comp_targetILNS1_3genE6ELNS1_11target_archE950ELNS1_3gpuE13ELNS1_3repE0EEENS1_52radix_sort_onesweep_histogram_config_static_selectorELNS0_4arch9wavefront6targetE1EEEvSC_,comdat
	.protected	_ZN7rocprim17ROCPRIM_400000_NS6detail17trampoline_kernelINS0_14default_configENS1_35radix_sort_onesweep_config_selectorIfNS0_10empty_typeEEEZNS1_34radix_sort_onesweep_global_offsetsIS3_Lb0EPfPS5_mNS0_19identity_decomposerEEE10hipError_tT1_T2_PT3_SE_jT4_jjP12ihipStream_tbEUlT_E0_NS1_11comp_targetILNS1_3genE6ELNS1_11target_archE950ELNS1_3gpuE13ELNS1_3repE0EEENS1_52radix_sort_onesweep_histogram_config_static_selectorELNS0_4arch9wavefront6targetE1EEEvSC_ ; -- Begin function _ZN7rocprim17ROCPRIM_400000_NS6detail17trampoline_kernelINS0_14default_configENS1_35radix_sort_onesweep_config_selectorIfNS0_10empty_typeEEEZNS1_34radix_sort_onesweep_global_offsetsIS3_Lb0EPfPS5_mNS0_19identity_decomposerEEE10hipError_tT1_T2_PT3_SE_jT4_jjP12ihipStream_tbEUlT_E0_NS1_11comp_targetILNS1_3genE6ELNS1_11target_archE950ELNS1_3gpuE13ELNS1_3repE0EEENS1_52radix_sort_onesweep_histogram_config_static_selectorELNS0_4arch9wavefront6targetE1EEEvSC_
	.globl	_ZN7rocprim17ROCPRIM_400000_NS6detail17trampoline_kernelINS0_14default_configENS1_35radix_sort_onesweep_config_selectorIfNS0_10empty_typeEEEZNS1_34radix_sort_onesweep_global_offsetsIS3_Lb0EPfPS5_mNS0_19identity_decomposerEEE10hipError_tT1_T2_PT3_SE_jT4_jjP12ihipStream_tbEUlT_E0_NS1_11comp_targetILNS1_3genE6ELNS1_11target_archE950ELNS1_3gpuE13ELNS1_3repE0EEENS1_52radix_sort_onesweep_histogram_config_static_selectorELNS0_4arch9wavefront6targetE1EEEvSC_
	.p2align	8
	.type	_ZN7rocprim17ROCPRIM_400000_NS6detail17trampoline_kernelINS0_14default_configENS1_35radix_sort_onesweep_config_selectorIfNS0_10empty_typeEEEZNS1_34radix_sort_onesweep_global_offsetsIS3_Lb0EPfPS5_mNS0_19identity_decomposerEEE10hipError_tT1_T2_PT3_SE_jT4_jjP12ihipStream_tbEUlT_E0_NS1_11comp_targetILNS1_3genE6ELNS1_11target_archE950ELNS1_3gpuE13ELNS1_3repE0EEENS1_52radix_sort_onesweep_histogram_config_static_selectorELNS0_4arch9wavefront6targetE1EEEvSC_,@function
_ZN7rocprim17ROCPRIM_400000_NS6detail17trampoline_kernelINS0_14default_configENS1_35radix_sort_onesweep_config_selectorIfNS0_10empty_typeEEEZNS1_34radix_sort_onesweep_global_offsetsIS3_Lb0EPfPS5_mNS0_19identity_decomposerEEE10hipError_tT1_T2_PT3_SE_jT4_jjP12ihipStream_tbEUlT_E0_NS1_11comp_targetILNS1_3genE6ELNS1_11target_archE950ELNS1_3gpuE13ELNS1_3repE0EEENS1_52radix_sort_onesweep_histogram_config_static_selectorELNS0_4arch9wavefront6targetE1EEEvSC_: ; @_ZN7rocprim17ROCPRIM_400000_NS6detail17trampoline_kernelINS0_14default_configENS1_35radix_sort_onesweep_config_selectorIfNS0_10empty_typeEEEZNS1_34radix_sort_onesweep_global_offsetsIS3_Lb0EPfPS5_mNS0_19identity_decomposerEEE10hipError_tT1_T2_PT3_SE_jT4_jjP12ihipStream_tbEUlT_E0_NS1_11comp_targetILNS1_3genE6ELNS1_11target_archE950ELNS1_3gpuE13ELNS1_3repE0EEENS1_52radix_sort_onesweep_histogram_config_static_selectorELNS0_4arch9wavefront6targetE1EEEvSC_
; %bb.0:
	.section	.rodata,"a",@progbits
	.p2align	6, 0x0
	.amdhsa_kernel _ZN7rocprim17ROCPRIM_400000_NS6detail17trampoline_kernelINS0_14default_configENS1_35radix_sort_onesweep_config_selectorIfNS0_10empty_typeEEEZNS1_34radix_sort_onesweep_global_offsetsIS3_Lb0EPfPS5_mNS0_19identity_decomposerEEE10hipError_tT1_T2_PT3_SE_jT4_jjP12ihipStream_tbEUlT_E0_NS1_11comp_targetILNS1_3genE6ELNS1_11target_archE950ELNS1_3gpuE13ELNS1_3repE0EEENS1_52radix_sort_onesweep_histogram_config_static_selectorELNS0_4arch9wavefront6targetE1EEEvSC_
		.amdhsa_group_segment_fixed_size 0
		.amdhsa_private_segment_fixed_size 0
		.amdhsa_kernarg_size 8
		.amdhsa_user_sgpr_count 6
		.amdhsa_user_sgpr_private_segment_buffer 1
		.amdhsa_user_sgpr_dispatch_ptr 0
		.amdhsa_user_sgpr_queue_ptr 0
		.amdhsa_user_sgpr_kernarg_segment_ptr 1
		.amdhsa_user_sgpr_dispatch_id 0
		.amdhsa_user_sgpr_flat_scratch_init 0
		.amdhsa_user_sgpr_kernarg_preload_length 0
		.amdhsa_user_sgpr_kernarg_preload_offset 0
		.amdhsa_user_sgpr_private_segment_size 0
		.amdhsa_uses_dynamic_stack 0
		.amdhsa_system_sgpr_private_segment_wavefront_offset 0
		.amdhsa_system_sgpr_workgroup_id_x 1
		.amdhsa_system_sgpr_workgroup_id_y 0
		.amdhsa_system_sgpr_workgroup_id_z 0
		.amdhsa_system_sgpr_workgroup_info 0
		.amdhsa_system_vgpr_workitem_id 0
		.amdhsa_next_free_vgpr 1
		.amdhsa_next_free_sgpr 0
		.amdhsa_accum_offset 4
		.amdhsa_reserve_vcc 0
		.amdhsa_reserve_flat_scratch 0
		.amdhsa_float_round_mode_32 0
		.amdhsa_float_round_mode_16_64 0
		.amdhsa_float_denorm_mode_32 3
		.amdhsa_float_denorm_mode_16_64 3
		.amdhsa_dx10_clamp 1
		.amdhsa_ieee_mode 1
		.amdhsa_fp16_overflow 0
		.amdhsa_tg_split 0
		.amdhsa_exception_fp_ieee_invalid_op 0
		.amdhsa_exception_fp_denorm_src 0
		.amdhsa_exception_fp_ieee_div_zero 0
		.amdhsa_exception_fp_ieee_overflow 0
		.amdhsa_exception_fp_ieee_underflow 0
		.amdhsa_exception_fp_ieee_inexact 0
		.amdhsa_exception_int_div_zero 0
	.end_amdhsa_kernel
	.section	.text._ZN7rocprim17ROCPRIM_400000_NS6detail17trampoline_kernelINS0_14default_configENS1_35radix_sort_onesweep_config_selectorIfNS0_10empty_typeEEEZNS1_34radix_sort_onesweep_global_offsetsIS3_Lb0EPfPS5_mNS0_19identity_decomposerEEE10hipError_tT1_T2_PT3_SE_jT4_jjP12ihipStream_tbEUlT_E0_NS1_11comp_targetILNS1_3genE6ELNS1_11target_archE950ELNS1_3gpuE13ELNS1_3repE0EEENS1_52radix_sort_onesweep_histogram_config_static_selectorELNS0_4arch9wavefront6targetE1EEEvSC_,"axG",@progbits,_ZN7rocprim17ROCPRIM_400000_NS6detail17trampoline_kernelINS0_14default_configENS1_35radix_sort_onesweep_config_selectorIfNS0_10empty_typeEEEZNS1_34radix_sort_onesweep_global_offsetsIS3_Lb0EPfPS5_mNS0_19identity_decomposerEEE10hipError_tT1_T2_PT3_SE_jT4_jjP12ihipStream_tbEUlT_E0_NS1_11comp_targetILNS1_3genE6ELNS1_11target_archE950ELNS1_3gpuE13ELNS1_3repE0EEENS1_52radix_sort_onesweep_histogram_config_static_selectorELNS0_4arch9wavefront6targetE1EEEvSC_,comdat
.Lfunc_end1278:
	.size	_ZN7rocprim17ROCPRIM_400000_NS6detail17trampoline_kernelINS0_14default_configENS1_35radix_sort_onesweep_config_selectorIfNS0_10empty_typeEEEZNS1_34radix_sort_onesweep_global_offsetsIS3_Lb0EPfPS5_mNS0_19identity_decomposerEEE10hipError_tT1_T2_PT3_SE_jT4_jjP12ihipStream_tbEUlT_E0_NS1_11comp_targetILNS1_3genE6ELNS1_11target_archE950ELNS1_3gpuE13ELNS1_3repE0EEENS1_52radix_sort_onesweep_histogram_config_static_selectorELNS0_4arch9wavefront6targetE1EEEvSC_, .Lfunc_end1278-_ZN7rocprim17ROCPRIM_400000_NS6detail17trampoline_kernelINS0_14default_configENS1_35radix_sort_onesweep_config_selectorIfNS0_10empty_typeEEEZNS1_34radix_sort_onesweep_global_offsetsIS3_Lb0EPfPS5_mNS0_19identity_decomposerEEE10hipError_tT1_T2_PT3_SE_jT4_jjP12ihipStream_tbEUlT_E0_NS1_11comp_targetILNS1_3genE6ELNS1_11target_archE950ELNS1_3gpuE13ELNS1_3repE0EEENS1_52radix_sort_onesweep_histogram_config_static_selectorELNS0_4arch9wavefront6targetE1EEEvSC_
                                        ; -- End function
	.section	.AMDGPU.csdata,"",@progbits
; Kernel info:
; codeLenInByte = 0
; NumSgprs: 4
; NumVgprs: 0
; NumAgprs: 0
; TotalNumVgprs: 0
; ScratchSize: 0
; MemoryBound: 0
; FloatMode: 240
; IeeeMode: 1
; LDSByteSize: 0 bytes/workgroup (compile time only)
; SGPRBlocks: 0
; VGPRBlocks: 0
; NumSGPRsForWavesPerEU: 4
; NumVGPRsForWavesPerEU: 1
; AccumOffset: 4
; Occupancy: 8
; WaveLimiterHint : 0
; COMPUTE_PGM_RSRC2:SCRATCH_EN: 0
; COMPUTE_PGM_RSRC2:USER_SGPR: 6
; COMPUTE_PGM_RSRC2:TRAP_HANDLER: 0
; COMPUTE_PGM_RSRC2:TGID_X_EN: 1
; COMPUTE_PGM_RSRC2:TGID_Y_EN: 0
; COMPUTE_PGM_RSRC2:TGID_Z_EN: 0
; COMPUTE_PGM_RSRC2:TIDIG_COMP_CNT: 0
; COMPUTE_PGM_RSRC3_GFX90A:ACCUM_OFFSET: 0
; COMPUTE_PGM_RSRC3_GFX90A:TG_SPLIT: 0
	.section	.text._ZN7rocprim17ROCPRIM_400000_NS6detail17trampoline_kernelINS0_14default_configENS1_35radix_sort_onesweep_config_selectorIfNS0_10empty_typeEEEZNS1_34radix_sort_onesweep_global_offsetsIS3_Lb0EPfPS5_mNS0_19identity_decomposerEEE10hipError_tT1_T2_PT3_SE_jT4_jjP12ihipStream_tbEUlT_E0_NS1_11comp_targetILNS1_3genE5ELNS1_11target_archE942ELNS1_3gpuE9ELNS1_3repE0EEENS1_52radix_sort_onesweep_histogram_config_static_selectorELNS0_4arch9wavefront6targetE1EEEvSC_,"axG",@progbits,_ZN7rocprim17ROCPRIM_400000_NS6detail17trampoline_kernelINS0_14default_configENS1_35radix_sort_onesweep_config_selectorIfNS0_10empty_typeEEEZNS1_34radix_sort_onesweep_global_offsetsIS3_Lb0EPfPS5_mNS0_19identity_decomposerEEE10hipError_tT1_T2_PT3_SE_jT4_jjP12ihipStream_tbEUlT_E0_NS1_11comp_targetILNS1_3genE5ELNS1_11target_archE942ELNS1_3gpuE9ELNS1_3repE0EEENS1_52radix_sort_onesweep_histogram_config_static_selectorELNS0_4arch9wavefront6targetE1EEEvSC_,comdat
	.protected	_ZN7rocprim17ROCPRIM_400000_NS6detail17trampoline_kernelINS0_14default_configENS1_35radix_sort_onesweep_config_selectorIfNS0_10empty_typeEEEZNS1_34radix_sort_onesweep_global_offsetsIS3_Lb0EPfPS5_mNS0_19identity_decomposerEEE10hipError_tT1_T2_PT3_SE_jT4_jjP12ihipStream_tbEUlT_E0_NS1_11comp_targetILNS1_3genE5ELNS1_11target_archE942ELNS1_3gpuE9ELNS1_3repE0EEENS1_52radix_sort_onesweep_histogram_config_static_selectorELNS0_4arch9wavefront6targetE1EEEvSC_ ; -- Begin function _ZN7rocprim17ROCPRIM_400000_NS6detail17trampoline_kernelINS0_14default_configENS1_35radix_sort_onesweep_config_selectorIfNS0_10empty_typeEEEZNS1_34radix_sort_onesweep_global_offsetsIS3_Lb0EPfPS5_mNS0_19identity_decomposerEEE10hipError_tT1_T2_PT3_SE_jT4_jjP12ihipStream_tbEUlT_E0_NS1_11comp_targetILNS1_3genE5ELNS1_11target_archE942ELNS1_3gpuE9ELNS1_3repE0EEENS1_52radix_sort_onesweep_histogram_config_static_selectorELNS0_4arch9wavefront6targetE1EEEvSC_
	.globl	_ZN7rocprim17ROCPRIM_400000_NS6detail17trampoline_kernelINS0_14default_configENS1_35radix_sort_onesweep_config_selectorIfNS0_10empty_typeEEEZNS1_34radix_sort_onesweep_global_offsetsIS3_Lb0EPfPS5_mNS0_19identity_decomposerEEE10hipError_tT1_T2_PT3_SE_jT4_jjP12ihipStream_tbEUlT_E0_NS1_11comp_targetILNS1_3genE5ELNS1_11target_archE942ELNS1_3gpuE9ELNS1_3repE0EEENS1_52radix_sort_onesweep_histogram_config_static_selectorELNS0_4arch9wavefront6targetE1EEEvSC_
	.p2align	8
	.type	_ZN7rocprim17ROCPRIM_400000_NS6detail17trampoline_kernelINS0_14default_configENS1_35radix_sort_onesweep_config_selectorIfNS0_10empty_typeEEEZNS1_34radix_sort_onesweep_global_offsetsIS3_Lb0EPfPS5_mNS0_19identity_decomposerEEE10hipError_tT1_T2_PT3_SE_jT4_jjP12ihipStream_tbEUlT_E0_NS1_11comp_targetILNS1_3genE5ELNS1_11target_archE942ELNS1_3gpuE9ELNS1_3repE0EEENS1_52radix_sort_onesweep_histogram_config_static_selectorELNS0_4arch9wavefront6targetE1EEEvSC_,@function
_ZN7rocprim17ROCPRIM_400000_NS6detail17trampoline_kernelINS0_14default_configENS1_35radix_sort_onesweep_config_selectorIfNS0_10empty_typeEEEZNS1_34radix_sort_onesweep_global_offsetsIS3_Lb0EPfPS5_mNS0_19identity_decomposerEEE10hipError_tT1_T2_PT3_SE_jT4_jjP12ihipStream_tbEUlT_E0_NS1_11comp_targetILNS1_3genE5ELNS1_11target_archE942ELNS1_3gpuE9ELNS1_3repE0EEENS1_52radix_sort_onesweep_histogram_config_static_selectorELNS0_4arch9wavefront6targetE1EEEvSC_: ; @_ZN7rocprim17ROCPRIM_400000_NS6detail17trampoline_kernelINS0_14default_configENS1_35radix_sort_onesweep_config_selectorIfNS0_10empty_typeEEEZNS1_34radix_sort_onesweep_global_offsetsIS3_Lb0EPfPS5_mNS0_19identity_decomposerEEE10hipError_tT1_T2_PT3_SE_jT4_jjP12ihipStream_tbEUlT_E0_NS1_11comp_targetILNS1_3genE5ELNS1_11target_archE942ELNS1_3gpuE9ELNS1_3repE0EEENS1_52radix_sort_onesweep_histogram_config_static_selectorELNS0_4arch9wavefront6targetE1EEEvSC_
; %bb.0:
	.section	.rodata,"a",@progbits
	.p2align	6, 0x0
	.amdhsa_kernel _ZN7rocprim17ROCPRIM_400000_NS6detail17trampoline_kernelINS0_14default_configENS1_35radix_sort_onesweep_config_selectorIfNS0_10empty_typeEEEZNS1_34radix_sort_onesweep_global_offsetsIS3_Lb0EPfPS5_mNS0_19identity_decomposerEEE10hipError_tT1_T2_PT3_SE_jT4_jjP12ihipStream_tbEUlT_E0_NS1_11comp_targetILNS1_3genE5ELNS1_11target_archE942ELNS1_3gpuE9ELNS1_3repE0EEENS1_52radix_sort_onesweep_histogram_config_static_selectorELNS0_4arch9wavefront6targetE1EEEvSC_
		.amdhsa_group_segment_fixed_size 0
		.amdhsa_private_segment_fixed_size 0
		.amdhsa_kernarg_size 8
		.amdhsa_user_sgpr_count 6
		.amdhsa_user_sgpr_private_segment_buffer 1
		.amdhsa_user_sgpr_dispatch_ptr 0
		.amdhsa_user_sgpr_queue_ptr 0
		.amdhsa_user_sgpr_kernarg_segment_ptr 1
		.amdhsa_user_sgpr_dispatch_id 0
		.amdhsa_user_sgpr_flat_scratch_init 0
		.amdhsa_user_sgpr_kernarg_preload_length 0
		.amdhsa_user_sgpr_kernarg_preload_offset 0
		.amdhsa_user_sgpr_private_segment_size 0
		.amdhsa_uses_dynamic_stack 0
		.amdhsa_system_sgpr_private_segment_wavefront_offset 0
		.amdhsa_system_sgpr_workgroup_id_x 1
		.amdhsa_system_sgpr_workgroup_id_y 0
		.amdhsa_system_sgpr_workgroup_id_z 0
		.amdhsa_system_sgpr_workgroup_info 0
		.amdhsa_system_vgpr_workitem_id 0
		.amdhsa_next_free_vgpr 1
		.amdhsa_next_free_sgpr 0
		.amdhsa_accum_offset 4
		.amdhsa_reserve_vcc 0
		.amdhsa_reserve_flat_scratch 0
		.amdhsa_float_round_mode_32 0
		.amdhsa_float_round_mode_16_64 0
		.amdhsa_float_denorm_mode_32 3
		.amdhsa_float_denorm_mode_16_64 3
		.amdhsa_dx10_clamp 1
		.amdhsa_ieee_mode 1
		.amdhsa_fp16_overflow 0
		.amdhsa_tg_split 0
		.amdhsa_exception_fp_ieee_invalid_op 0
		.amdhsa_exception_fp_denorm_src 0
		.amdhsa_exception_fp_ieee_div_zero 0
		.amdhsa_exception_fp_ieee_overflow 0
		.amdhsa_exception_fp_ieee_underflow 0
		.amdhsa_exception_fp_ieee_inexact 0
		.amdhsa_exception_int_div_zero 0
	.end_amdhsa_kernel
	.section	.text._ZN7rocprim17ROCPRIM_400000_NS6detail17trampoline_kernelINS0_14default_configENS1_35radix_sort_onesweep_config_selectorIfNS0_10empty_typeEEEZNS1_34radix_sort_onesweep_global_offsetsIS3_Lb0EPfPS5_mNS0_19identity_decomposerEEE10hipError_tT1_T2_PT3_SE_jT4_jjP12ihipStream_tbEUlT_E0_NS1_11comp_targetILNS1_3genE5ELNS1_11target_archE942ELNS1_3gpuE9ELNS1_3repE0EEENS1_52radix_sort_onesweep_histogram_config_static_selectorELNS0_4arch9wavefront6targetE1EEEvSC_,"axG",@progbits,_ZN7rocprim17ROCPRIM_400000_NS6detail17trampoline_kernelINS0_14default_configENS1_35radix_sort_onesweep_config_selectorIfNS0_10empty_typeEEEZNS1_34radix_sort_onesweep_global_offsetsIS3_Lb0EPfPS5_mNS0_19identity_decomposerEEE10hipError_tT1_T2_PT3_SE_jT4_jjP12ihipStream_tbEUlT_E0_NS1_11comp_targetILNS1_3genE5ELNS1_11target_archE942ELNS1_3gpuE9ELNS1_3repE0EEENS1_52radix_sort_onesweep_histogram_config_static_selectorELNS0_4arch9wavefront6targetE1EEEvSC_,comdat
.Lfunc_end1279:
	.size	_ZN7rocprim17ROCPRIM_400000_NS6detail17trampoline_kernelINS0_14default_configENS1_35radix_sort_onesweep_config_selectorIfNS0_10empty_typeEEEZNS1_34radix_sort_onesweep_global_offsetsIS3_Lb0EPfPS5_mNS0_19identity_decomposerEEE10hipError_tT1_T2_PT3_SE_jT4_jjP12ihipStream_tbEUlT_E0_NS1_11comp_targetILNS1_3genE5ELNS1_11target_archE942ELNS1_3gpuE9ELNS1_3repE0EEENS1_52radix_sort_onesweep_histogram_config_static_selectorELNS0_4arch9wavefront6targetE1EEEvSC_, .Lfunc_end1279-_ZN7rocprim17ROCPRIM_400000_NS6detail17trampoline_kernelINS0_14default_configENS1_35radix_sort_onesweep_config_selectorIfNS0_10empty_typeEEEZNS1_34radix_sort_onesweep_global_offsetsIS3_Lb0EPfPS5_mNS0_19identity_decomposerEEE10hipError_tT1_T2_PT3_SE_jT4_jjP12ihipStream_tbEUlT_E0_NS1_11comp_targetILNS1_3genE5ELNS1_11target_archE942ELNS1_3gpuE9ELNS1_3repE0EEENS1_52radix_sort_onesweep_histogram_config_static_selectorELNS0_4arch9wavefront6targetE1EEEvSC_
                                        ; -- End function
	.section	.AMDGPU.csdata,"",@progbits
; Kernel info:
; codeLenInByte = 0
; NumSgprs: 4
; NumVgprs: 0
; NumAgprs: 0
; TotalNumVgprs: 0
; ScratchSize: 0
; MemoryBound: 0
; FloatMode: 240
; IeeeMode: 1
; LDSByteSize: 0 bytes/workgroup (compile time only)
; SGPRBlocks: 0
; VGPRBlocks: 0
; NumSGPRsForWavesPerEU: 4
; NumVGPRsForWavesPerEU: 1
; AccumOffset: 4
; Occupancy: 8
; WaveLimiterHint : 0
; COMPUTE_PGM_RSRC2:SCRATCH_EN: 0
; COMPUTE_PGM_RSRC2:USER_SGPR: 6
; COMPUTE_PGM_RSRC2:TRAP_HANDLER: 0
; COMPUTE_PGM_RSRC2:TGID_X_EN: 1
; COMPUTE_PGM_RSRC2:TGID_Y_EN: 0
; COMPUTE_PGM_RSRC2:TGID_Z_EN: 0
; COMPUTE_PGM_RSRC2:TIDIG_COMP_CNT: 0
; COMPUTE_PGM_RSRC3_GFX90A:ACCUM_OFFSET: 0
; COMPUTE_PGM_RSRC3_GFX90A:TG_SPLIT: 0
	.section	.text._ZN7rocprim17ROCPRIM_400000_NS6detail17trampoline_kernelINS0_14default_configENS1_35radix_sort_onesweep_config_selectorIfNS0_10empty_typeEEEZNS1_34radix_sort_onesweep_global_offsetsIS3_Lb0EPfPS5_mNS0_19identity_decomposerEEE10hipError_tT1_T2_PT3_SE_jT4_jjP12ihipStream_tbEUlT_E0_NS1_11comp_targetILNS1_3genE2ELNS1_11target_archE906ELNS1_3gpuE6ELNS1_3repE0EEENS1_52radix_sort_onesweep_histogram_config_static_selectorELNS0_4arch9wavefront6targetE1EEEvSC_,"axG",@progbits,_ZN7rocprim17ROCPRIM_400000_NS6detail17trampoline_kernelINS0_14default_configENS1_35radix_sort_onesweep_config_selectorIfNS0_10empty_typeEEEZNS1_34radix_sort_onesweep_global_offsetsIS3_Lb0EPfPS5_mNS0_19identity_decomposerEEE10hipError_tT1_T2_PT3_SE_jT4_jjP12ihipStream_tbEUlT_E0_NS1_11comp_targetILNS1_3genE2ELNS1_11target_archE906ELNS1_3gpuE6ELNS1_3repE0EEENS1_52radix_sort_onesweep_histogram_config_static_selectorELNS0_4arch9wavefront6targetE1EEEvSC_,comdat
	.protected	_ZN7rocprim17ROCPRIM_400000_NS6detail17trampoline_kernelINS0_14default_configENS1_35radix_sort_onesweep_config_selectorIfNS0_10empty_typeEEEZNS1_34radix_sort_onesweep_global_offsetsIS3_Lb0EPfPS5_mNS0_19identity_decomposerEEE10hipError_tT1_T2_PT3_SE_jT4_jjP12ihipStream_tbEUlT_E0_NS1_11comp_targetILNS1_3genE2ELNS1_11target_archE906ELNS1_3gpuE6ELNS1_3repE0EEENS1_52radix_sort_onesweep_histogram_config_static_selectorELNS0_4arch9wavefront6targetE1EEEvSC_ ; -- Begin function _ZN7rocprim17ROCPRIM_400000_NS6detail17trampoline_kernelINS0_14default_configENS1_35radix_sort_onesweep_config_selectorIfNS0_10empty_typeEEEZNS1_34radix_sort_onesweep_global_offsetsIS3_Lb0EPfPS5_mNS0_19identity_decomposerEEE10hipError_tT1_T2_PT3_SE_jT4_jjP12ihipStream_tbEUlT_E0_NS1_11comp_targetILNS1_3genE2ELNS1_11target_archE906ELNS1_3gpuE6ELNS1_3repE0EEENS1_52radix_sort_onesweep_histogram_config_static_selectorELNS0_4arch9wavefront6targetE1EEEvSC_
	.globl	_ZN7rocprim17ROCPRIM_400000_NS6detail17trampoline_kernelINS0_14default_configENS1_35radix_sort_onesweep_config_selectorIfNS0_10empty_typeEEEZNS1_34radix_sort_onesweep_global_offsetsIS3_Lb0EPfPS5_mNS0_19identity_decomposerEEE10hipError_tT1_T2_PT3_SE_jT4_jjP12ihipStream_tbEUlT_E0_NS1_11comp_targetILNS1_3genE2ELNS1_11target_archE906ELNS1_3gpuE6ELNS1_3repE0EEENS1_52radix_sort_onesweep_histogram_config_static_selectorELNS0_4arch9wavefront6targetE1EEEvSC_
	.p2align	8
	.type	_ZN7rocprim17ROCPRIM_400000_NS6detail17trampoline_kernelINS0_14default_configENS1_35radix_sort_onesweep_config_selectorIfNS0_10empty_typeEEEZNS1_34radix_sort_onesweep_global_offsetsIS3_Lb0EPfPS5_mNS0_19identity_decomposerEEE10hipError_tT1_T2_PT3_SE_jT4_jjP12ihipStream_tbEUlT_E0_NS1_11comp_targetILNS1_3genE2ELNS1_11target_archE906ELNS1_3gpuE6ELNS1_3repE0EEENS1_52radix_sort_onesweep_histogram_config_static_selectorELNS0_4arch9wavefront6targetE1EEEvSC_,@function
_ZN7rocprim17ROCPRIM_400000_NS6detail17trampoline_kernelINS0_14default_configENS1_35radix_sort_onesweep_config_selectorIfNS0_10empty_typeEEEZNS1_34radix_sort_onesweep_global_offsetsIS3_Lb0EPfPS5_mNS0_19identity_decomposerEEE10hipError_tT1_T2_PT3_SE_jT4_jjP12ihipStream_tbEUlT_E0_NS1_11comp_targetILNS1_3genE2ELNS1_11target_archE906ELNS1_3gpuE6ELNS1_3repE0EEENS1_52radix_sort_onesweep_histogram_config_static_selectorELNS0_4arch9wavefront6targetE1EEEvSC_: ; @_ZN7rocprim17ROCPRIM_400000_NS6detail17trampoline_kernelINS0_14default_configENS1_35radix_sort_onesweep_config_selectorIfNS0_10empty_typeEEEZNS1_34radix_sort_onesweep_global_offsetsIS3_Lb0EPfPS5_mNS0_19identity_decomposerEEE10hipError_tT1_T2_PT3_SE_jT4_jjP12ihipStream_tbEUlT_E0_NS1_11comp_targetILNS1_3genE2ELNS1_11target_archE906ELNS1_3gpuE6ELNS1_3repE0EEENS1_52radix_sort_onesweep_histogram_config_static_selectorELNS0_4arch9wavefront6targetE1EEEvSC_
; %bb.0:
	.section	.rodata,"a",@progbits
	.p2align	6, 0x0
	.amdhsa_kernel _ZN7rocprim17ROCPRIM_400000_NS6detail17trampoline_kernelINS0_14default_configENS1_35radix_sort_onesweep_config_selectorIfNS0_10empty_typeEEEZNS1_34radix_sort_onesweep_global_offsetsIS3_Lb0EPfPS5_mNS0_19identity_decomposerEEE10hipError_tT1_T2_PT3_SE_jT4_jjP12ihipStream_tbEUlT_E0_NS1_11comp_targetILNS1_3genE2ELNS1_11target_archE906ELNS1_3gpuE6ELNS1_3repE0EEENS1_52radix_sort_onesweep_histogram_config_static_selectorELNS0_4arch9wavefront6targetE1EEEvSC_
		.amdhsa_group_segment_fixed_size 0
		.amdhsa_private_segment_fixed_size 0
		.amdhsa_kernarg_size 8
		.amdhsa_user_sgpr_count 6
		.amdhsa_user_sgpr_private_segment_buffer 1
		.amdhsa_user_sgpr_dispatch_ptr 0
		.amdhsa_user_sgpr_queue_ptr 0
		.amdhsa_user_sgpr_kernarg_segment_ptr 1
		.amdhsa_user_sgpr_dispatch_id 0
		.amdhsa_user_sgpr_flat_scratch_init 0
		.amdhsa_user_sgpr_kernarg_preload_length 0
		.amdhsa_user_sgpr_kernarg_preload_offset 0
		.amdhsa_user_sgpr_private_segment_size 0
		.amdhsa_uses_dynamic_stack 0
		.amdhsa_system_sgpr_private_segment_wavefront_offset 0
		.amdhsa_system_sgpr_workgroup_id_x 1
		.amdhsa_system_sgpr_workgroup_id_y 0
		.amdhsa_system_sgpr_workgroup_id_z 0
		.amdhsa_system_sgpr_workgroup_info 0
		.amdhsa_system_vgpr_workitem_id 0
		.amdhsa_next_free_vgpr 1
		.amdhsa_next_free_sgpr 0
		.amdhsa_accum_offset 4
		.amdhsa_reserve_vcc 0
		.amdhsa_reserve_flat_scratch 0
		.amdhsa_float_round_mode_32 0
		.amdhsa_float_round_mode_16_64 0
		.amdhsa_float_denorm_mode_32 3
		.amdhsa_float_denorm_mode_16_64 3
		.amdhsa_dx10_clamp 1
		.amdhsa_ieee_mode 1
		.amdhsa_fp16_overflow 0
		.amdhsa_tg_split 0
		.amdhsa_exception_fp_ieee_invalid_op 0
		.amdhsa_exception_fp_denorm_src 0
		.amdhsa_exception_fp_ieee_div_zero 0
		.amdhsa_exception_fp_ieee_overflow 0
		.amdhsa_exception_fp_ieee_underflow 0
		.amdhsa_exception_fp_ieee_inexact 0
		.amdhsa_exception_int_div_zero 0
	.end_amdhsa_kernel
	.section	.text._ZN7rocprim17ROCPRIM_400000_NS6detail17trampoline_kernelINS0_14default_configENS1_35radix_sort_onesweep_config_selectorIfNS0_10empty_typeEEEZNS1_34radix_sort_onesweep_global_offsetsIS3_Lb0EPfPS5_mNS0_19identity_decomposerEEE10hipError_tT1_T2_PT3_SE_jT4_jjP12ihipStream_tbEUlT_E0_NS1_11comp_targetILNS1_3genE2ELNS1_11target_archE906ELNS1_3gpuE6ELNS1_3repE0EEENS1_52radix_sort_onesweep_histogram_config_static_selectorELNS0_4arch9wavefront6targetE1EEEvSC_,"axG",@progbits,_ZN7rocprim17ROCPRIM_400000_NS6detail17trampoline_kernelINS0_14default_configENS1_35radix_sort_onesweep_config_selectorIfNS0_10empty_typeEEEZNS1_34radix_sort_onesweep_global_offsetsIS3_Lb0EPfPS5_mNS0_19identity_decomposerEEE10hipError_tT1_T2_PT3_SE_jT4_jjP12ihipStream_tbEUlT_E0_NS1_11comp_targetILNS1_3genE2ELNS1_11target_archE906ELNS1_3gpuE6ELNS1_3repE0EEENS1_52radix_sort_onesweep_histogram_config_static_selectorELNS0_4arch9wavefront6targetE1EEEvSC_,comdat
.Lfunc_end1280:
	.size	_ZN7rocprim17ROCPRIM_400000_NS6detail17trampoline_kernelINS0_14default_configENS1_35radix_sort_onesweep_config_selectorIfNS0_10empty_typeEEEZNS1_34radix_sort_onesweep_global_offsetsIS3_Lb0EPfPS5_mNS0_19identity_decomposerEEE10hipError_tT1_T2_PT3_SE_jT4_jjP12ihipStream_tbEUlT_E0_NS1_11comp_targetILNS1_3genE2ELNS1_11target_archE906ELNS1_3gpuE6ELNS1_3repE0EEENS1_52radix_sort_onesweep_histogram_config_static_selectorELNS0_4arch9wavefront6targetE1EEEvSC_, .Lfunc_end1280-_ZN7rocprim17ROCPRIM_400000_NS6detail17trampoline_kernelINS0_14default_configENS1_35radix_sort_onesweep_config_selectorIfNS0_10empty_typeEEEZNS1_34radix_sort_onesweep_global_offsetsIS3_Lb0EPfPS5_mNS0_19identity_decomposerEEE10hipError_tT1_T2_PT3_SE_jT4_jjP12ihipStream_tbEUlT_E0_NS1_11comp_targetILNS1_3genE2ELNS1_11target_archE906ELNS1_3gpuE6ELNS1_3repE0EEENS1_52radix_sort_onesweep_histogram_config_static_selectorELNS0_4arch9wavefront6targetE1EEEvSC_
                                        ; -- End function
	.section	.AMDGPU.csdata,"",@progbits
; Kernel info:
; codeLenInByte = 0
; NumSgprs: 4
; NumVgprs: 0
; NumAgprs: 0
; TotalNumVgprs: 0
; ScratchSize: 0
; MemoryBound: 0
; FloatMode: 240
; IeeeMode: 1
; LDSByteSize: 0 bytes/workgroup (compile time only)
; SGPRBlocks: 0
; VGPRBlocks: 0
; NumSGPRsForWavesPerEU: 4
; NumVGPRsForWavesPerEU: 1
; AccumOffset: 4
; Occupancy: 8
; WaveLimiterHint : 0
; COMPUTE_PGM_RSRC2:SCRATCH_EN: 0
; COMPUTE_PGM_RSRC2:USER_SGPR: 6
; COMPUTE_PGM_RSRC2:TRAP_HANDLER: 0
; COMPUTE_PGM_RSRC2:TGID_X_EN: 1
; COMPUTE_PGM_RSRC2:TGID_Y_EN: 0
; COMPUTE_PGM_RSRC2:TGID_Z_EN: 0
; COMPUTE_PGM_RSRC2:TIDIG_COMP_CNT: 0
; COMPUTE_PGM_RSRC3_GFX90A:ACCUM_OFFSET: 0
; COMPUTE_PGM_RSRC3_GFX90A:TG_SPLIT: 0
	.section	.text._ZN7rocprim17ROCPRIM_400000_NS6detail17trampoline_kernelINS0_14default_configENS1_35radix_sort_onesweep_config_selectorIfNS0_10empty_typeEEEZNS1_34radix_sort_onesweep_global_offsetsIS3_Lb0EPfPS5_mNS0_19identity_decomposerEEE10hipError_tT1_T2_PT3_SE_jT4_jjP12ihipStream_tbEUlT_E0_NS1_11comp_targetILNS1_3genE4ELNS1_11target_archE910ELNS1_3gpuE8ELNS1_3repE0EEENS1_52radix_sort_onesweep_histogram_config_static_selectorELNS0_4arch9wavefront6targetE1EEEvSC_,"axG",@progbits,_ZN7rocprim17ROCPRIM_400000_NS6detail17trampoline_kernelINS0_14default_configENS1_35radix_sort_onesweep_config_selectorIfNS0_10empty_typeEEEZNS1_34radix_sort_onesweep_global_offsetsIS3_Lb0EPfPS5_mNS0_19identity_decomposerEEE10hipError_tT1_T2_PT3_SE_jT4_jjP12ihipStream_tbEUlT_E0_NS1_11comp_targetILNS1_3genE4ELNS1_11target_archE910ELNS1_3gpuE8ELNS1_3repE0EEENS1_52radix_sort_onesweep_histogram_config_static_selectorELNS0_4arch9wavefront6targetE1EEEvSC_,comdat
	.protected	_ZN7rocprim17ROCPRIM_400000_NS6detail17trampoline_kernelINS0_14default_configENS1_35radix_sort_onesweep_config_selectorIfNS0_10empty_typeEEEZNS1_34radix_sort_onesweep_global_offsetsIS3_Lb0EPfPS5_mNS0_19identity_decomposerEEE10hipError_tT1_T2_PT3_SE_jT4_jjP12ihipStream_tbEUlT_E0_NS1_11comp_targetILNS1_3genE4ELNS1_11target_archE910ELNS1_3gpuE8ELNS1_3repE0EEENS1_52radix_sort_onesweep_histogram_config_static_selectorELNS0_4arch9wavefront6targetE1EEEvSC_ ; -- Begin function _ZN7rocprim17ROCPRIM_400000_NS6detail17trampoline_kernelINS0_14default_configENS1_35radix_sort_onesweep_config_selectorIfNS0_10empty_typeEEEZNS1_34radix_sort_onesweep_global_offsetsIS3_Lb0EPfPS5_mNS0_19identity_decomposerEEE10hipError_tT1_T2_PT3_SE_jT4_jjP12ihipStream_tbEUlT_E0_NS1_11comp_targetILNS1_3genE4ELNS1_11target_archE910ELNS1_3gpuE8ELNS1_3repE0EEENS1_52radix_sort_onesweep_histogram_config_static_selectorELNS0_4arch9wavefront6targetE1EEEvSC_
	.globl	_ZN7rocprim17ROCPRIM_400000_NS6detail17trampoline_kernelINS0_14default_configENS1_35radix_sort_onesweep_config_selectorIfNS0_10empty_typeEEEZNS1_34radix_sort_onesweep_global_offsetsIS3_Lb0EPfPS5_mNS0_19identity_decomposerEEE10hipError_tT1_T2_PT3_SE_jT4_jjP12ihipStream_tbEUlT_E0_NS1_11comp_targetILNS1_3genE4ELNS1_11target_archE910ELNS1_3gpuE8ELNS1_3repE0EEENS1_52radix_sort_onesweep_histogram_config_static_selectorELNS0_4arch9wavefront6targetE1EEEvSC_
	.p2align	8
	.type	_ZN7rocprim17ROCPRIM_400000_NS6detail17trampoline_kernelINS0_14default_configENS1_35radix_sort_onesweep_config_selectorIfNS0_10empty_typeEEEZNS1_34radix_sort_onesweep_global_offsetsIS3_Lb0EPfPS5_mNS0_19identity_decomposerEEE10hipError_tT1_T2_PT3_SE_jT4_jjP12ihipStream_tbEUlT_E0_NS1_11comp_targetILNS1_3genE4ELNS1_11target_archE910ELNS1_3gpuE8ELNS1_3repE0EEENS1_52radix_sort_onesweep_histogram_config_static_selectorELNS0_4arch9wavefront6targetE1EEEvSC_,@function
_ZN7rocprim17ROCPRIM_400000_NS6detail17trampoline_kernelINS0_14default_configENS1_35radix_sort_onesweep_config_selectorIfNS0_10empty_typeEEEZNS1_34radix_sort_onesweep_global_offsetsIS3_Lb0EPfPS5_mNS0_19identity_decomposerEEE10hipError_tT1_T2_PT3_SE_jT4_jjP12ihipStream_tbEUlT_E0_NS1_11comp_targetILNS1_3genE4ELNS1_11target_archE910ELNS1_3gpuE8ELNS1_3repE0EEENS1_52radix_sort_onesweep_histogram_config_static_selectorELNS0_4arch9wavefront6targetE1EEEvSC_: ; @_ZN7rocprim17ROCPRIM_400000_NS6detail17trampoline_kernelINS0_14default_configENS1_35radix_sort_onesweep_config_selectorIfNS0_10empty_typeEEEZNS1_34radix_sort_onesweep_global_offsetsIS3_Lb0EPfPS5_mNS0_19identity_decomposerEEE10hipError_tT1_T2_PT3_SE_jT4_jjP12ihipStream_tbEUlT_E0_NS1_11comp_targetILNS1_3genE4ELNS1_11target_archE910ELNS1_3gpuE8ELNS1_3repE0EEENS1_52radix_sort_onesweep_histogram_config_static_selectorELNS0_4arch9wavefront6targetE1EEEvSC_
; %bb.0:
	s_load_dwordx2 s[0:1], s[4:5], 0x0
	s_lshl_b32 s2, s6, 8
	s_mov_b32 s3, 0
	s_lshl_b64 s[2:3], s[2:3], 3
	v_lshlrev_b32_e32 v5, 3, v0
	s_waitcnt lgkmcnt(0)
	s_add_u32 s14, s0, s2
	s_movk_i32 s0, 0x100
	s_addc_u32 s15, s1, s3
	v_cmp_gt_u32_e32 vcc, s0, v0
                                        ; implicit-def: $vgpr2_vgpr3
	s_and_saveexec_b64 s[0:1], vcc
	s_cbranch_execz .LBB1281_2
; %bb.1:
	global_load_dwordx2 v[2:3], v5, s[14:15]
.LBB1281_2:
	s_or_b64 exec, exec, s[0:1]
	s_waitcnt vmcnt(0)
	v_mov_b32_dpp v4, v2 row_shr:1 row_mask:0xf bank_mask:0xf
	v_add_co_u32_e64 v4, s[0:1], v2, v4
	v_mbcnt_lo_u32_b32 v1, -1, 0
	v_addc_co_u32_e64 v8, s[0:1], 0, v3, s[0:1]
	v_mbcnt_hi_u32_b32 v6, -1, v1
	v_mov_b32_dpp v7, v3 row_shr:1 row_mask:0xf bank_mask:0xf
	v_add_co_u32_e64 v9, s[0:1], 0, v4
	v_and_b32_e32 v1, 15, v6
	v_addc_co_u32_e64 v7, s[0:1], v7, v8, s[0:1]
	v_cmp_eq_u32_e64 s[0:1], 0, v1
	v_cndmask_b32_e64 v4, v4, v2, s[0:1]
	v_cndmask_b32_e64 v7, v7, v3, s[0:1]
	v_cndmask_b32_e64 v8, v9, v2, s[0:1]
	v_mov_b32_dpp v9, v4 row_shr:2 row_mask:0xf bank_mask:0xf
	v_mov_b32_dpp v10, v7 row_shr:2 row_mask:0xf bank_mask:0xf
	v_add_co_u32_e64 v9, s[2:3], v9, v8
	v_cmp_lt_u32_e64 s[4:5], 1, v1
	v_addc_co_u32_e64 v10, s[2:3], v10, v7, s[2:3]
	v_cndmask_b32_e64 v4, v4, v9, s[4:5]
	v_cndmask_b32_e64 v7, v7, v10, s[4:5]
	v_cndmask_b32_e64 v8, v8, v9, s[4:5]
	v_mov_b32_dpp v9, v4 row_shr:4 row_mask:0xf bank_mask:0xf
	v_mov_b32_dpp v10, v7 row_shr:4 row_mask:0xf bank_mask:0xf
	v_add_co_u32_e64 v9, s[2:3], v9, v8
	v_cmp_lt_u32_e64 s[6:7], 3, v1
	v_addc_co_u32_e64 v10, s[2:3], v10, v7, s[2:3]
	;; [unrolled: 8-line block ×3, first 2 shown]
	v_cndmask_b32_e64 v11, v4, v9, s[8:9]
	v_cndmask_b32_e64 v1, v7, v10, s[8:9]
	;; [unrolled: 1-line block ×3, first 2 shown]
	v_mov_b32_dpp v7, v11 row_bcast:15 row_mask:0xf bank_mask:0xf
	v_mov_b32_dpp v8, v1 row_bcast:15 row_mask:0xf bank_mask:0xf
	v_and_b32_e32 v10, 16, v6
	v_add_co_u32_e64 v7, s[2:3], v7, v4
	v_addc_co_u32_e64 v9, s[2:3], v8, v1, s[2:3]
	v_cmp_eq_u32_e64 s[10:11], 0, v10
	v_cndmask_b32_e64 v10, v9, v1, s[10:11]
	v_cndmask_b32_e64 v8, v7, v11, s[10:11]
	v_cmp_eq_u32_e64 s[2:3], 0, v6
	v_mov_b32_dpp v10, v10 row_bcast:31 row_mask:0xf bank_mask:0xf
	v_mov_b32_dpp v8, v8 row_bcast:31 row_mask:0xf bank_mask:0xf
	v_cmp_ne_u32_e64 s[12:13], 0, v6
	s_and_saveexec_b64 s[16:17], s[12:13]
; %bb.3:
	v_cndmask_b32_e64 v1, v9, v1, s[10:11]
	v_cndmask_b32_e64 v2, v7, v4, s[10:11]
	v_cmp_lt_u32_e64 s[10:11], 31, v6
	v_cndmask_b32_e64 v4, 0, v8, s[10:11]
	v_cndmask_b32_e64 v3, 0, v10, s[10:11]
	v_add_co_u32_e64 v2, s[10:11], v4, v2
	v_addc_co_u32_e64 v3, s[10:11], v3, v1, s[10:11]
; %bb.4:
	s_or_b64 exec, exec, s[16:17]
	v_and_b32_e32 v1, 63, v0
	v_lshrrev_b32_e32 v4, 6, v0
	v_cmp_eq_u32_e64 s[10:11], 63, v1
	s_and_saveexec_b64 s[12:13], s[10:11]
	s_cbranch_execz .LBB1281_6
; %bb.5:
	v_lshlrev_b32_e32 v1, 3, v4
	ds_write_b64 v1, v[2:3]
.LBB1281_6:
	s_or_b64 exec, exec, s[12:13]
	v_cmp_gt_u32_e64 s[10:11], 16, v0
	s_waitcnt lgkmcnt(0)
	s_barrier
	s_and_saveexec_b64 s[12:13], s[10:11]
	s_cbranch_execz .LBB1281_8
; %bb.7:
	ds_read_b64 v[8:9], v5
	s_waitcnt lgkmcnt(0)
	s_nop 0
	v_mov_b32_dpp v1, v8 row_shr:1 row_mask:0xf bank_mask:0xf
	v_add_co_u32_e64 v1, s[10:11], v8, v1
	v_addc_co_u32_e64 v10, s[10:11], 0, v9, s[10:11]
	v_mov_b32_dpp v7, v9 row_shr:1 row_mask:0xf bank_mask:0xf
	v_add_co_u32_e64 v11, s[10:11], 0, v1
	v_addc_co_u32_e64 v7, s[10:11], v7, v10, s[10:11]
	v_cndmask_b32_e64 v1, v1, v8, s[0:1]
	v_cndmask_b32_e64 v7, v7, v9, s[0:1]
	v_cndmask_b32_e64 v10, v11, v8, s[0:1]
	v_mov_b32_dpp v11, v1 row_shr:2 row_mask:0xf bank_mask:0xf
	v_mov_b32_dpp v12, v7 row_shr:2 row_mask:0xf bank_mask:0xf
	v_add_co_u32_e64 v11, s[10:11], v11, v10
	v_addc_co_u32_e64 v12, s[10:11], v12, v7, s[10:11]
	v_cndmask_b32_e64 v1, v1, v11, s[4:5]
	v_cndmask_b32_e64 v7, v7, v12, s[4:5]
	v_cndmask_b32_e64 v10, v10, v11, s[4:5]
	v_mov_b32_dpp v11, v1 row_shr:4 row_mask:0xf bank_mask:0xf
	;; [unrolled: 7-line block ×3, first 2 shown]
	v_mov_b32_dpp v12, v7 row_shr:8 row_mask:0xf bank_mask:0xf
	v_cndmask_b32_e64 v1, 0, v1, s[8:9]
	v_cndmask_b32_e64 v11, 0, v12, s[8:9]
	v_add_co_u32_e64 v1, s[4:5], v1, v10
	v_addc_co_u32_e64 v7, s[4:5], v11, v7, s[4:5]
	v_cndmask_b32_e64 v9, v7, v9, s[0:1]
	v_cndmask_b32_e64 v8, v1, v8, s[0:1]
	ds_write_b64 v5, v[8:9]
.LBB1281_8:
	s_or_b64 exec, exec, s[12:13]
	v_cmp_lt_u32_e64 s[0:1], 63, v0
	v_pk_mov_b32 v[0:1], 0, 0
	s_waitcnt lgkmcnt(0)
	s_barrier
	s_and_saveexec_b64 s[4:5], s[0:1]
	s_cbranch_execz .LBB1281_10
; %bb.9:
	v_lshl_add_u32 v0, v4, 3, -8
	ds_read_b64 v[0:1], v0
.LBB1281_10:
	s_or_b64 exec, exec, s[4:5]
	s_waitcnt lgkmcnt(0)
	v_add_co_u32_e64 v2, s[0:1], v0, v2
	v_addc_co_u32_e64 v3, s[0:1], v1, v3, s[0:1]
	v_add_u32_e32 v4, -1, v6
	v_and_b32_e32 v7, 64, v6
	v_cmp_lt_i32_e64 s[0:1], v4, v7
	v_cndmask_b32_e64 v4, v4, v6, s[0:1]
	v_lshlrev_b32_e32 v4, 2, v4
	ds_bpermute_b32 v2, v4, v2
	ds_bpermute_b32 v3, v4, v3
	s_and_saveexec_b64 s[0:1], vcc
	s_cbranch_execz .LBB1281_12
; %bb.11:
	s_waitcnt lgkmcnt(0)
	v_cndmask_b32_e64 v1, v3, v1, s[2:3]
	v_cndmask_b32_e64 v0, v2, v0, s[2:3]
	global_store_dwordx2 v5, v[0:1], s[14:15]
.LBB1281_12:
	s_endpgm
	.section	.rodata,"a",@progbits
	.p2align	6, 0x0
	.amdhsa_kernel _ZN7rocprim17ROCPRIM_400000_NS6detail17trampoline_kernelINS0_14default_configENS1_35radix_sort_onesweep_config_selectorIfNS0_10empty_typeEEEZNS1_34radix_sort_onesweep_global_offsetsIS3_Lb0EPfPS5_mNS0_19identity_decomposerEEE10hipError_tT1_T2_PT3_SE_jT4_jjP12ihipStream_tbEUlT_E0_NS1_11comp_targetILNS1_3genE4ELNS1_11target_archE910ELNS1_3gpuE8ELNS1_3repE0EEENS1_52radix_sort_onesweep_histogram_config_static_selectorELNS0_4arch9wavefront6targetE1EEEvSC_
		.amdhsa_group_segment_fixed_size 128
		.amdhsa_private_segment_fixed_size 0
		.amdhsa_kernarg_size 8
		.amdhsa_user_sgpr_count 6
		.amdhsa_user_sgpr_private_segment_buffer 1
		.amdhsa_user_sgpr_dispatch_ptr 0
		.amdhsa_user_sgpr_queue_ptr 0
		.amdhsa_user_sgpr_kernarg_segment_ptr 1
		.amdhsa_user_sgpr_dispatch_id 0
		.amdhsa_user_sgpr_flat_scratch_init 0
		.amdhsa_user_sgpr_kernarg_preload_length 0
		.amdhsa_user_sgpr_kernarg_preload_offset 0
		.amdhsa_user_sgpr_private_segment_size 0
		.amdhsa_uses_dynamic_stack 0
		.amdhsa_system_sgpr_private_segment_wavefront_offset 0
		.amdhsa_system_sgpr_workgroup_id_x 1
		.amdhsa_system_sgpr_workgroup_id_y 0
		.amdhsa_system_sgpr_workgroup_id_z 0
		.amdhsa_system_sgpr_workgroup_info 0
		.amdhsa_system_vgpr_workitem_id 0
		.amdhsa_next_free_vgpr 13
		.amdhsa_next_free_sgpr 18
		.amdhsa_accum_offset 16
		.amdhsa_reserve_vcc 1
		.amdhsa_reserve_flat_scratch 0
		.amdhsa_float_round_mode_32 0
		.amdhsa_float_round_mode_16_64 0
		.amdhsa_float_denorm_mode_32 3
		.amdhsa_float_denorm_mode_16_64 3
		.amdhsa_dx10_clamp 1
		.amdhsa_ieee_mode 1
		.amdhsa_fp16_overflow 0
		.amdhsa_tg_split 0
		.amdhsa_exception_fp_ieee_invalid_op 0
		.amdhsa_exception_fp_denorm_src 0
		.amdhsa_exception_fp_ieee_div_zero 0
		.amdhsa_exception_fp_ieee_overflow 0
		.amdhsa_exception_fp_ieee_underflow 0
		.amdhsa_exception_fp_ieee_inexact 0
		.amdhsa_exception_int_div_zero 0
	.end_amdhsa_kernel
	.section	.text._ZN7rocprim17ROCPRIM_400000_NS6detail17trampoline_kernelINS0_14default_configENS1_35radix_sort_onesweep_config_selectorIfNS0_10empty_typeEEEZNS1_34radix_sort_onesweep_global_offsetsIS3_Lb0EPfPS5_mNS0_19identity_decomposerEEE10hipError_tT1_T2_PT3_SE_jT4_jjP12ihipStream_tbEUlT_E0_NS1_11comp_targetILNS1_3genE4ELNS1_11target_archE910ELNS1_3gpuE8ELNS1_3repE0EEENS1_52radix_sort_onesweep_histogram_config_static_selectorELNS0_4arch9wavefront6targetE1EEEvSC_,"axG",@progbits,_ZN7rocprim17ROCPRIM_400000_NS6detail17trampoline_kernelINS0_14default_configENS1_35radix_sort_onesweep_config_selectorIfNS0_10empty_typeEEEZNS1_34radix_sort_onesweep_global_offsetsIS3_Lb0EPfPS5_mNS0_19identity_decomposerEEE10hipError_tT1_T2_PT3_SE_jT4_jjP12ihipStream_tbEUlT_E0_NS1_11comp_targetILNS1_3genE4ELNS1_11target_archE910ELNS1_3gpuE8ELNS1_3repE0EEENS1_52radix_sort_onesweep_histogram_config_static_selectorELNS0_4arch9wavefront6targetE1EEEvSC_,comdat
.Lfunc_end1281:
	.size	_ZN7rocprim17ROCPRIM_400000_NS6detail17trampoline_kernelINS0_14default_configENS1_35radix_sort_onesweep_config_selectorIfNS0_10empty_typeEEEZNS1_34radix_sort_onesweep_global_offsetsIS3_Lb0EPfPS5_mNS0_19identity_decomposerEEE10hipError_tT1_T2_PT3_SE_jT4_jjP12ihipStream_tbEUlT_E0_NS1_11comp_targetILNS1_3genE4ELNS1_11target_archE910ELNS1_3gpuE8ELNS1_3repE0EEENS1_52radix_sort_onesweep_histogram_config_static_selectorELNS0_4arch9wavefront6targetE1EEEvSC_, .Lfunc_end1281-_ZN7rocprim17ROCPRIM_400000_NS6detail17trampoline_kernelINS0_14default_configENS1_35radix_sort_onesweep_config_selectorIfNS0_10empty_typeEEEZNS1_34radix_sort_onesweep_global_offsetsIS3_Lb0EPfPS5_mNS0_19identity_decomposerEEE10hipError_tT1_T2_PT3_SE_jT4_jjP12ihipStream_tbEUlT_E0_NS1_11comp_targetILNS1_3genE4ELNS1_11target_archE910ELNS1_3gpuE8ELNS1_3repE0EEENS1_52radix_sort_onesweep_histogram_config_static_selectorELNS0_4arch9wavefront6targetE1EEEvSC_
                                        ; -- End function
	.section	.AMDGPU.csdata,"",@progbits
; Kernel info:
; codeLenInByte = 1012
; NumSgprs: 22
; NumVgprs: 13
; NumAgprs: 0
; TotalNumVgprs: 13
; ScratchSize: 0
; MemoryBound: 0
; FloatMode: 240
; IeeeMode: 1
; LDSByteSize: 128 bytes/workgroup (compile time only)
; SGPRBlocks: 2
; VGPRBlocks: 1
; NumSGPRsForWavesPerEU: 22
; NumVGPRsForWavesPerEU: 13
; AccumOffset: 16
; Occupancy: 8
; WaveLimiterHint : 0
; COMPUTE_PGM_RSRC2:SCRATCH_EN: 0
; COMPUTE_PGM_RSRC2:USER_SGPR: 6
; COMPUTE_PGM_RSRC2:TRAP_HANDLER: 0
; COMPUTE_PGM_RSRC2:TGID_X_EN: 1
; COMPUTE_PGM_RSRC2:TGID_Y_EN: 0
; COMPUTE_PGM_RSRC2:TGID_Z_EN: 0
; COMPUTE_PGM_RSRC2:TIDIG_COMP_CNT: 0
; COMPUTE_PGM_RSRC3_GFX90A:ACCUM_OFFSET: 3
; COMPUTE_PGM_RSRC3_GFX90A:TG_SPLIT: 0
	.section	.text._ZN7rocprim17ROCPRIM_400000_NS6detail17trampoline_kernelINS0_14default_configENS1_35radix_sort_onesweep_config_selectorIfNS0_10empty_typeEEEZNS1_34radix_sort_onesweep_global_offsetsIS3_Lb0EPfPS5_mNS0_19identity_decomposerEEE10hipError_tT1_T2_PT3_SE_jT4_jjP12ihipStream_tbEUlT_E0_NS1_11comp_targetILNS1_3genE3ELNS1_11target_archE908ELNS1_3gpuE7ELNS1_3repE0EEENS1_52radix_sort_onesweep_histogram_config_static_selectorELNS0_4arch9wavefront6targetE1EEEvSC_,"axG",@progbits,_ZN7rocprim17ROCPRIM_400000_NS6detail17trampoline_kernelINS0_14default_configENS1_35radix_sort_onesweep_config_selectorIfNS0_10empty_typeEEEZNS1_34radix_sort_onesweep_global_offsetsIS3_Lb0EPfPS5_mNS0_19identity_decomposerEEE10hipError_tT1_T2_PT3_SE_jT4_jjP12ihipStream_tbEUlT_E0_NS1_11comp_targetILNS1_3genE3ELNS1_11target_archE908ELNS1_3gpuE7ELNS1_3repE0EEENS1_52radix_sort_onesweep_histogram_config_static_selectorELNS0_4arch9wavefront6targetE1EEEvSC_,comdat
	.protected	_ZN7rocprim17ROCPRIM_400000_NS6detail17trampoline_kernelINS0_14default_configENS1_35radix_sort_onesweep_config_selectorIfNS0_10empty_typeEEEZNS1_34radix_sort_onesweep_global_offsetsIS3_Lb0EPfPS5_mNS0_19identity_decomposerEEE10hipError_tT1_T2_PT3_SE_jT4_jjP12ihipStream_tbEUlT_E0_NS1_11comp_targetILNS1_3genE3ELNS1_11target_archE908ELNS1_3gpuE7ELNS1_3repE0EEENS1_52radix_sort_onesweep_histogram_config_static_selectorELNS0_4arch9wavefront6targetE1EEEvSC_ ; -- Begin function _ZN7rocprim17ROCPRIM_400000_NS6detail17trampoline_kernelINS0_14default_configENS1_35radix_sort_onesweep_config_selectorIfNS0_10empty_typeEEEZNS1_34radix_sort_onesweep_global_offsetsIS3_Lb0EPfPS5_mNS0_19identity_decomposerEEE10hipError_tT1_T2_PT3_SE_jT4_jjP12ihipStream_tbEUlT_E0_NS1_11comp_targetILNS1_3genE3ELNS1_11target_archE908ELNS1_3gpuE7ELNS1_3repE0EEENS1_52radix_sort_onesweep_histogram_config_static_selectorELNS0_4arch9wavefront6targetE1EEEvSC_
	.globl	_ZN7rocprim17ROCPRIM_400000_NS6detail17trampoline_kernelINS0_14default_configENS1_35radix_sort_onesweep_config_selectorIfNS0_10empty_typeEEEZNS1_34radix_sort_onesweep_global_offsetsIS3_Lb0EPfPS5_mNS0_19identity_decomposerEEE10hipError_tT1_T2_PT3_SE_jT4_jjP12ihipStream_tbEUlT_E0_NS1_11comp_targetILNS1_3genE3ELNS1_11target_archE908ELNS1_3gpuE7ELNS1_3repE0EEENS1_52radix_sort_onesweep_histogram_config_static_selectorELNS0_4arch9wavefront6targetE1EEEvSC_
	.p2align	8
	.type	_ZN7rocprim17ROCPRIM_400000_NS6detail17trampoline_kernelINS0_14default_configENS1_35radix_sort_onesweep_config_selectorIfNS0_10empty_typeEEEZNS1_34radix_sort_onesweep_global_offsetsIS3_Lb0EPfPS5_mNS0_19identity_decomposerEEE10hipError_tT1_T2_PT3_SE_jT4_jjP12ihipStream_tbEUlT_E0_NS1_11comp_targetILNS1_3genE3ELNS1_11target_archE908ELNS1_3gpuE7ELNS1_3repE0EEENS1_52radix_sort_onesweep_histogram_config_static_selectorELNS0_4arch9wavefront6targetE1EEEvSC_,@function
_ZN7rocprim17ROCPRIM_400000_NS6detail17trampoline_kernelINS0_14default_configENS1_35radix_sort_onesweep_config_selectorIfNS0_10empty_typeEEEZNS1_34radix_sort_onesweep_global_offsetsIS3_Lb0EPfPS5_mNS0_19identity_decomposerEEE10hipError_tT1_T2_PT3_SE_jT4_jjP12ihipStream_tbEUlT_E0_NS1_11comp_targetILNS1_3genE3ELNS1_11target_archE908ELNS1_3gpuE7ELNS1_3repE0EEENS1_52radix_sort_onesweep_histogram_config_static_selectorELNS0_4arch9wavefront6targetE1EEEvSC_: ; @_ZN7rocprim17ROCPRIM_400000_NS6detail17trampoline_kernelINS0_14default_configENS1_35radix_sort_onesweep_config_selectorIfNS0_10empty_typeEEEZNS1_34radix_sort_onesweep_global_offsetsIS3_Lb0EPfPS5_mNS0_19identity_decomposerEEE10hipError_tT1_T2_PT3_SE_jT4_jjP12ihipStream_tbEUlT_E0_NS1_11comp_targetILNS1_3genE3ELNS1_11target_archE908ELNS1_3gpuE7ELNS1_3repE0EEENS1_52radix_sort_onesweep_histogram_config_static_selectorELNS0_4arch9wavefront6targetE1EEEvSC_
; %bb.0:
	.section	.rodata,"a",@progbits
	.p2align	6, 0x0
	.amdhsa_kernel _ZN7rocprim17ROCPRIM_400000_NS6detail17trampoline_kernelINS0_14default_configENS1_35radix_sort_onesweep_config_selectorIfNS0_10empty_typeEEEZNS1_34radix_sort_onesweep_global_offsetsIS3_Lb0EPfPS5_mNS0_19identity_decomposerEEE10hipError_tT1_T2_PT3_SE_jT4_jjP12ihipStream_tbEUlT_E0_NS1_11comp_targetILNS1_3genE3ELNS1_11target_archE908ELNS1_3gpuE7ELNS1_3repE0EEENS1_52radix_sort_onesweep_histogram_config_static_selectorELNS0_4arch9wavefront6targetE1EEEvSC_
		.amdhsa_group_segment_fixed_size 0
		.amdhsa_private_segment_fixed_size 0
		.amdhsa_kernarg_size 8
		.amdhsa_user_sgpr_count 6
		.amdhsa_user_sgpr_private_segment_buffer 1
		.amdhsa_user_sgpr_dispatch_ptr 0
		.amdhsa_user_sgpr_queue_ptr 0
		.amdhsa_user_sgpr_kernarg_segment_ptr 1
		.amdhsa_user_sgpr_dispatch_id 0
		.amdhsa_user_sgpr_flat_scratch_init 0
		.amdhsa_user_sgpr_kernarg_preload_length 0
		.amdhsa_user_sgpr_kernarg_preload_offset 0
		.amdhsa_user_sgpr_private_segment_size 0
		.amdhsa_uses_dynamic_stack 0
		.amdhsa_system_sgpr_private_segment_wavefront_offset 0
		.amdhsa_system_sgpr_workgroup_id_x 1
		.amdhsa_system_sgpr_workgroup_id_y 0
		.amdhsa_system_sgpr_workgroup_id_z 0
		.amdhsa_system_sgpr_workgroup_info 0
		.amdhsa_system_vgpr_workitem_id 0
		.amdhsa_next_free_vgpr 1
		.amdhsa_next_free_sgpr 0
		.amdhsa_accum_offset 4
		.amdhsa_reserve_vcc 0
		.amdhsa_reserve_flat_scratch 0
		.amdhsa_float_round_mode_32 0
		.amdhsa_float_round_mode_16_64 0
		.amdhsa_float_denorm_mode_32 3
		.amdhsa_float_denorm_mode_16_64 3
		.amdhsa_dx10_clamp 1
		.amdhsa_ieee_mode 1
		.amdhsa_fp16_overflow 0
		.amdhsa_tg_split 0
		.amdhsa_exception_fp_ieee_invalid_op 0
		.amdhsa_exception_fp_denorm_src 0
		.amdhsa_exception_fp_ieee_div_zero 0
		.amdhsa_exception_fp_ieee_overflow 0
		.amdhsa_exception_fp_ieee_underflow 0
		.amdhsa_exception_fp_ieee_inexact 0
		.amdhsa_exception_int_div_zero 0
	.end_amdhsa_kernel
	.section	.text._ZN7rocprim17ROCPRIM_400000_NS6detail17trampoline_kernelINS0_14default_configENS1_35radix_sort_onesweep_config_selectorIfNS0_10empty_typeEEEZNS1_34radix_sort_onesweep_global_offsetsIS3_Lb0EPfPS5_mNS0_19identity_decomposerEEE10hipError_tT1_T2_PT3_SE_jT4_jjP12ihipStream_tbEUlT_E0_NS1_11comp_targetILNS1_3genE3ELNS1_11target_archE908ELNS1_3gpuE7ELNS1_3repE0EEENS1_52radix_sort_onesweep_histogram_config_static_selectorELNS0_4arch9wavefront6targetE1EEEvSC_,"axG",@progbits,_ZN7rocprim17ROCPRIM_400000_NS6detail17trampoline_kernelINS0_14default_configENS1_35radix_sort_onesweep_config_selectorIfNS0_10empty_typeEEEZNS1_34radix_sort_onesweep_global_offsetsIS3_Lb0EPfPS5_mNS0_19identity_decomposerEEE10hipError_tT1_T2_PT3_SE_jT4_jjP12ihipStream_tbEUlT_E0_NS1_11comp_targetILNS1_3genE3ELNS1_11target_archE908ELNS1_3gpuE7ELNS1_3repE0EEENS1_52radix_sort_onesweep_histogram_config_static_selectorELNS0_4arch9wavefront6targetE1EEEvSC_,comdat
.Lfunc_end1282:
	.size	_ZN7rocprim17ROCPRIM_400000_NS6detail17trampoline_kernelINS0_14default_configENS1_35radix_sort_onesweep_config_selectorIfNS0_10empty_typeEEEZNS1_34radix_sort_onesweep_global_offsetsIS3_Lb0EPfPS5_mNS0_19identity_decomposerEEE10hipError_tT1_T2_PT3_SE_jT4_jjP12ihipStream_tbEUlT_E0_NS1_11comp_targetILNS1_3genE3ELNS1_11target_archE908ELNS1_3gpuE7ELNS1_3repE0EEENS1_52radix_sort_onesweep_histogram_config_static_selectorELNS0_4arch9wavefront6targetE1EEEvSC_, .Lfunc_end1282-_ZN7rocprim17ROCPRIM_400000_NS6detail17trampoline_kernelINS0_14default_configENS1_35radix_sort_onesweep_config_selectorIfNS0_10empty_typeEEEZNS1_34radix_sort_onesweep_global_offsetsIS3_Lb0EPfPS5_mNS0_19identity_decomposerEEE10hipError_tT1_T2_PT3_SE_jT4_jjP12ihipStream_tbEUlT_E0_NS1_11comp_targetILNS1_3genE3ELNS1_11target_archE908ELNS1_3gpuE7ELNS1_3repE0EEENS1_52radix_sort_onesweep_histogram_config_static_selectorELNS0_4arch9wavefront6targetE1EEEvSC_
                                        ; -- End function
	.section	.AMDGPU.csdata,"",@progbits
; Kernel info:
; codeLenInByte = 0
; NumSgprs: 4
; NumVgprs: 0
; NumAgprs: 0
; TotalNumVgprs: 0
; ScratchSize: 0
; MemoryBound: 0
; FloatMode: 240
; IeeeMode: 1
; LDSByteSize: 0 bytes/workgroup (compile time only)
; SGPRBlocks: 0
; VGPRBlocks: 0
; NumSGPRsForWavesPerEU: 4
; NumVGPRsForWavesPerEU: 1
; AccumOffset: 4
; Occupancy: 8
; WaveLimiterHint : 0
; COMPUTE_PGM_RSRC2:SCRATCH_EN: 0
; COMPUTE_PGM_RSRC2:USER_SGPR: 6
; COMPUTE_PGM_RSRC2:TRAP_HANDLER: 0
; COMPUTE_PGM_RSRC2:TGID_X_EN: 1
; COMPUTE_PGM_RSRC2:TGID_Y_EN: 0
; COMPUTE_PGM_RSRC2:TGID_Z_EN: 0
; COMPUTE_PGM_RSRC2:TIDIG_COMP_CNT: 0
; COMPUTE_PGM_RSRC3_GFX90A:ACCUM_OFFSET: 0
; COMPUTE_PGM_RSRC3_GFX90A:TG_SPLIT: 0
	.section	.text._ZN7rocprim17ROCPRIM_400000_NS6detail17trampoline_kernelINS0_14default_configENS1_35radix_sort_onesweep_config_selectorIfNS0_10empty_typeEEEZNS1_34radix_sort_onesweep_global_offsetsIS3_Lb0EPfPS5_mNS0_19identity_decomposerEEE10hipError_tT1_T2_PT3_SE_jT4_jjP12ihipStream_tbEUlT_E0_NS1_11comp_targetILNS1_3genE10ELNS1_11target_archE1201ELNS1_3gpuE5ELNS1_3repE0EEENS1_52radix_sort_onesweep_histogram_config_static_selectorELNS0_4arch9wavefront6targetE1EEEvSC_,"axG",@progbits,_ZN7rocprim17ROCPRIM_400000_NS6detail17trampoline_kernelINS0_14default_configENS1_35radix_sort_onesweep_config_selectorIfNS0_10empty_typeEEEZNS1_34radix_sort_onesweep_global_offsetsIS3_Lb0EPfPS5_mNS0_19identity_decomposerEEE10hipError_tT1_T2_PT3_SE_jT4_jjP12ihipStream_tbEUlT_E0_NS1_11comp_targetILNS1_3genE10ELNS1_11target_archE1201ELNS1_3gpuE5ELNS1_3repE0EEENS1_52radix_sort_onesweep_histogram_config_static_selectorELNS0_4arch9wavefront6targetE1EEEvSC_,comdat
	.protected	_ZN7rocprim17ROCPRIM_400000_NS6detail17trampoline_kernelINS0_14default_configENS1_35radix_sort_onesweep_config_selectorIfNS0_10empty_typeEEEZNS1_34radix_sort_onesweep_global_offsetsIS3_Lb0EPfPS5_mNS0_19identity_decomposerEEE10hipError_tT1_T2_PT3_SE_jT4_jjP12ihipStream_tbEUlT_E0_NS1_11comp_targetILNS1_3genE10ELNS1_11target_archE1201ELNS1_3gpuE5ELNS1_3repE0EEENS1_52radix_sort_onesweep_histogram_config_static_selectorELNS0_4arch9wavefront6targetE1EEEvSC_ ; -- Begin function _ZN7rocprim17ROCPRIM_400000_NS6detail17trampoline_kernelINS0_14default_configENS1_35radix_sort_onesweep_config_selectorIfNS0_10empty_typeEEEZNS1_34radix_sort_onesweep_global_offsetsIS3_Lb0EPfPS5_mNS0_19identity_decomposerEEE10hipError_tT1_T2_PT3_SE_jT4_jjP12ihipStream_tbEUlT_E0_NS1_11comp_targetILNS1_3genE10ELNS1_11target_archE1201ELNS1_3gpuE5ELNS1_3repE0EEENS1_52radix_sort_onesweep_histogram_config_static_selectorELNS0_4arch9wavefront6targetE1EEEvSC_
	.globl	_ZN7rocprim17ROCPRIM_400000_NS6detail17trampoline_kernelINS0_14default_configENS1_35radix_sort_onesweep_config_selectorIfNS0_10empty_typeEEEZNS1_34radix_sort_onesweep_global_offsetsIS3_Lb0EPfPS5_mNS0_19identity_decomposerEEE10hipError_tT1_T2_PT3_SE_jT4_jjP12ihipStream_tbEUlT_E0_NS1_11comp_targetILNS1_3genE10ELNS1_11target_archE1201ELNS1_3gpuE5ELNS1_3repE0EEENS1_52radix_sort_onesweep_histogram_config_static_selectorELNS0_4arch9wavefront6targetE1EEEvSC_
	.p2align	8
	.type	_ZN7rocprim17ROCPRIM_400000_NS6detail17trampoline_kernelINS0_14default_configENS1_35radix_sort_onesweep_config_selectorIfNS0_10empty_typeEEEZNS1_34radix_sort_onesweep_global_offsetsIS3_Lb0EPfPS5_mNS0_19identity_decomposerEEE10hipError_tT1_T2_PT3_SE_jT4_jjP12ihipStream_tbEUlT_E0_NS1_11comp_targetILNS1_3genE10ELNS1_11target_archE1201ELNS1_3gpuE5ELNS1_3repE0EEENS1_52radix_sort_onesweep_histogram_config_static_selectorELNS0_4arch9wavefront6targetE1EEEvSC_,@function
_ZN7rocprim17ROCPRIM_400000_NS6detail17trampoline_kernelINS0_14default_configENS1_35radix_sort_onesweep_config_selectorIfNS0_10empty_typeEEEZNS1_34radix_sort_onesweep_global_offsetsIS3_Lb0EPfPS5_mNS0_19identity_decomposerEEE10hipError_tT1_T2_PT3_SE_jT4_jjP12ihipStream_tbEUlT_E0_NS1_11comp_targetILNS1_3genE10ELNS1_11target_archE1201ELNS1_3gpuE5ELNS1_3repE0EEENS1_52radix_sort_onesweep_histogram_config_static_selectorELNS0_4arch9wavefront6targetE1EEEvSC_: ; @_ZN7rocprim17ROCPRIM_400000_NS6detail17trampoline_kernelINS0_14default_configENS1_35radix_sort_onesweep_config_selectorIfNS0_10empty_typeEEEZNS1_34radix_sort_onesweep_global_offsetsIS3_Lb0EPfPS5_mNS0_19identity_decomposerEEE10hipError_tT1_T2_PT3_SE_jT4_jjP12ihipStream_tbEUlT_E0_NS1_11comp_targetILNS1_3genE10ELNS1_11target_archE1201ELNS1_3gpuE5ELNS1_3repE0EEENS1_52radix_sort_onesweep_histogram_config_static_selectorELNS0_4arch9wavefront6targetE1EEEvSC_
; %bb.0:
	.section	.rodata,"a",@progbits
	.p2align	6, 0x0
	.amdhsa_kernel _ZN7rocprim17ROCPRIM_400000_NS6detail17trampoline_kernelINS0_14default_configENS1_35radix_sort_onesweep_config_selectorIfNS0_10empty_typeEEEZNS1_34radix_sort_onesweep_global_offsetsIS3_Lb0EPfPS5_mNS0_19identity_decomposerEEE10hipError_tT1_T2_PT3_SE_jT4_jjP12ihipStream_tbEUlT_E0_NS1_11comp_targetILNS1_3genE10ELNS1_11target_archE1201ELNS1_3gpuE5ELNS1_3repE0EEENS1_52radix_sort_onesweep_histogram_config_static_selectorELNS0_4arch9wavefront6targetE1EEEvSC_
		.amdhsa_group_segment_fixed_size 0
		.amdhsa_private_segment_fixed_size 0
		.amdhsa_kernarg_size 8
		.amdhsa_user_sgpr_count 6
		.amdhsa_user_sgpr_private_segment_buffer 1
		.amdhsa_user_sgpr_dispatch_ptr 0
		.amdhsa_user_sgpr_queue_ptr 0
		.amdhsa_user_sgpr_kernarg_segment_ptr 1
		.amdhsa_user_sgpr_dispatch_id 0
		.amdhsa_user_sgpr_flat_scratch_init 0
		.amdhsa_user_sgpr_kernarg_preload_length 0
		.amdhsa_user_sgpr_kernarg_preload_offset 0
		.amdhsa_user_sgpr_private_segment_size 0
		.amdhsa_uses_dynamic_stack 0
		.amdhsa_system_sgpr_private_segment_wavefront_offset 0
		.amdhsa_system_sgpr_workgroup_id_x 1
		.amdhsa_system_sgpr_workgroup_id_y 0
		.amdhsa_system_sgpr_workgroup_id_z 0
		.amdhsa_system_sgpr_workgroup_info 0
		.amdhsa_system_vgpr_workitem_id 0
		.amdhsa_next_free_vgpr 1
		.amdhsa_next_free_sgpr 0
		.amdhsa_accum_offset 4
		.amdhsa_reserve_vcc 0
		.amdhsa_reserve_flat_scratch 0
		.amdhsa_float_round_mode_32 0
		.amdhsa_float_round_mode_16_64 0
		.amdhsa_float_denorm_mode_32 3
		.amdhsa_float_denorm_mode_16_64 3
		.amdhsa_dx10_clamp 1
		.amdhsa_ieee_mode 1
		.amdhsa_fp16_overflow 0
		.amdhsa_tg_split 0
		.amdhsa_exception_fp_ieee_invalid_op 0
		.amdhsa_exception_fp_denorm_src 0
		.amdhsa_exception_fp_ieee_div_zero 0
		.amdhsa_exception_fp_ieee_overflow 0
		.amdhsa_exception_fp_ieee_underflow 0
		.amdhsa_exception_fp_ieee_inexact 0
		.amdhsa_exception_int_div_zero 0
	.end_amdhsa_kernel
	.section	.text._ZN7rocprim17ROCPRIM_400000_NS6detail17trampoline_kernelINS0_14default_configENS1_35radix_sort_onesweep_config_selectorIfNS0_10empty_typeEEEZNS1_34radix_sort_onesweep_global_offsetsIS3_Lb0EPfPS5_mNS0_19identity_decomposerEEE10hipError_tT1_T2_PT3_SE_jT4_jjP12ihipStream_tbEUlT_E0_NS1_11comp_targetILNS1_3genE10ELNS1_11target_archE1201ELNS1_3gpuE5ELNS1_3repE0EEENS1_52radix_sort_onesweep_histogram_config_static_selectorELNS0_4arch9wavefront6targetE1EEEvSC_,"axG",@progbits,_ZN7rocprim17ROCPRIM_400000_NS6detail17trampoline_kernelINS0_14default_configENS1_35radix_sort_onesweep_config_selectorIfNS0_10empty_typeEEEZNS1_34radix_sort_onesweep_global_offsetsIS3_Lb0EPfPS5_mNS0_19identity_decomposerEEE10hipError_tT1_T2_PT3_SE_jT4_jjP12ihipStream_tbEUlT_E0_NS1_11comp_targetILNS1_3genE10ELNS1_11target_archE1201ELNS1_3gpuE5ELNS1_3repE0EEENS1_52radix_sort_onesweep_histogram_config_static_selectorELNS0_4arch9wavefront6targetE1EEEvSC_,comdat
.Lfunc_end1283:
	.size	_ZN7rocprim17ROCPRIM_400000_NS6detail17trampoline_kernelINS0_14default_configENS1_35radix_sort_onesweep_config_selectorIfNS0_10empty_typeEEEZNS1_34radix_sort_onesweep_global_offsetsIS3_Lb0EPfPS5_mNS0_19identity_decomposerEEE10hipError_tT1_T2_PT3_SE_jT4_jjP12ihipStream_tbEUlT_E0_NS1_11comp_targetILNS1_3genE10ELNS1_11target_archE1201ELNS1_3gpuE5ELNS1_3repE0EEENS1_52radix_sort_onesweep_histogram_config_static_selectorELNS0_4arch9wavefront6targetE1EEEvSC_, .Lfunc_end1283-_ZN7rocprim17ROCPRIM_400000_NS6detail17trampoline_kernelINS0_14default_configENS1_35radix_sort_onesweep_config_selectorIfNS0_10empty_typeEEEZNS1_34radix_sort_onesweep_global_offsetsIS3_Lb0EPfPS5_mNS0_19identity_decomposerEEE10hipError_tT1_T2_PT3_SE_jT4_jjP12ihipStream_tbEUlT_E0_NS1_11comp_targetILNS1_3genE10ELNS1_11target_archE1201ELNS1_3gpuE5ELNS1_3repE0EEENS1_52radix_sort_onesweep_histogram_config_static_selectorELNS0_4arch9wavefront6targetE1EEEvSC_
                                        ; -- End function
	.section	.AMDGPU.csdata,"",@progbits
; Kernel info:
; codeLenInByte = 0
; NumSgprs: 4
; NumVgprs: 0
; NumAgprs: 0
; TotalNumVgprs: 0
; ScratchSize: 0
; MemoryBound: 0
; FloatMode: 240
; IeeeMode: 1
; LDSByteSize: 0 bytes/workgroup (compile time only)
; SGPRBlocks: 0
; VGPRBlocks: 0
; NumSGPRsForWavesPerEU: 4
; NumVGPRsForWavesPerEU: 1
; AccumOffset: 4
; Occupancy: 8
; WaveLimiterHint : 0
; COMPUTE_PGM_RSRC2:SCRATCH_EN: 0
; COMPUTE_PGM_RSRC2:USER_SGPR: 6
; COMPUTE_PGM_RSRC2:TRAP_HANDLER: 0
; COMPUTE_PGM_RSRC2:TGID_X_EN: 1
; COMPUTE_PGM_RSRC2:TGID_Y_EN: 0
; COMPUTE_PGM_RSRC2:TGID_Z_EN: 0
; COMPUTE_PGM_RSRC2:TIDIG_COMP_CNT: 0
; COMPUTE_PGM_RSRC3_GFX90A:ACCUM_OFFSET: 0
; COMPUTE_PGM_RSRC3_GFX90A:TG_SPLIT: 0
	.section	.text._ZN7rocprim17ROCPRIM_400000_NS6detail17trampoline_kernelINS0_14default_configENS1_35radix_sort_onesweep_config_selectorIfNS0_10empty_typeEEEZNS1_34radix_sort_onesweep_global_offsetsIS3_Lb0EPfPS5_mNS0_19identity_decomposerEEE10hipError_tT1_T2_PT3_SE_jT4_jjP12ihipStream_tbEUlT_E0_NS1_11comp_targetILNS1_3genE9ELNS1_11target_archE1100ELNS1_3gpuE3ELNS1_3repE0EEENS1_52radix_sort_onesweep_histogram_config_static_selectorELNS0_4arch9wavefront6targetE1EEEvSC_,"axG",@progbits,_ZN7rocprim17ROCPRIM_400000_NS6detail17trampoline_kernelINS0_14default_configENS1_35radix_sort_onesweep_config_selectorIfNS0_10empty_typeEEEZNS1_34radix_sort_onesweep_global_offsetsIS3_Lb0EPfPS5_mNS0_19identity_decomposerEEE10hipError_tT1_T2_PT3_SE_jT4_jjP12ihipStream_tbEUlT_E0_NS1_11comp_targetILNS1_3genE9ELNS1_11target_archE1100ELNS1_3gpuE3ELNS1_3repE0EEENS1_52radix_sort_onesweep_histogram_config_static_selectorELNS0_4arch9wavefront6targetE1EEEvSC_,comdat
	.protected	_ZN7rocprim17ROCPRIM_400000_NS6detail17trampoline_kernelINS0_14default_configENS1_35radix_sort_onesweep_config_selectorIfNS0_10empty_typeEEEZNS1_34radix_sort_onesweep_global_offsetsIS3_Lb0EPfPS5_mNS0_19identity_decomposerEEE10hipError_tT1_T2_PT3_SE_jT4_jjP12ihipStream_tbEUlT_E0_NS1_11comp_targetILNS1_3genE9ELNS1_11target_archE1100ELNS1_3gpuE3ELNS1_3repE0EEENS1_52radix_sort_onesweep_histogram_config_static_selectorELNS0_4arch9wavefront6targetE1EEEvSC_ ; -- Begin function _ZN7rocprim17ROCPRIM_400000_NS6detail17trampoline_kernelINS0_14default_configENS1_35radix_sort_onesweep_config_selectorIfNS0_10empty_typeEEEZNS1_34radix_sort_onesweep_global_offsetsIS3_Lb0EPfPS5_mNS0_19identity_decomposerEEE10hipError_tT1_T2_PT3_SE_jT4_jjP12ihipStream_tbEUlT_E0_NS1_11comp_targetILNS1_3genE9ELNS1_11target_archE1100ELNS1_3gpuE3ELNS1_3repE0EEENS1_52radix_sort_onesweep_histogram_config_static_selectorELNS0_4arch9wavefront6targetE1EEEvSC_
	.globl	_ZN7rocprim17ROCPRIM_400000_NS6detail17trampoline_kernelINS0_14default_configENS1_35radix_sort_onesweep_config_selectorIfNS0_10empty_typeEEEZNS1_34radix_sort_onesweep_global_offsetsIS3_Lb0EPfPS5_mNS0_19identity_decomposerEEE10hipError_tT1_T2_PT3_SE_jT4_jjP12ihipStream_tbEUlT_E0_NS1_11comp_targetILNS1_3genE9ELNS1_11target_archE1100ELNS1_3gpuE3ELNS1_3repE0EEENS1_52radix_sort_onesweep_histogram_config_static_selectorELNS0_4arch9wavefront6targetE1EEEvSC_
	.p2align	8
	.type	_ZN7rocprim17ROCPRIM_400000_NS6detail17trampoline_kernelINS0_14default_configENS1_35radix_sort_onesweep_config_selectorIfNS0_10empty_typeEEEZNS1_34radix_sort_onesweep_global_offsetsIS3_Lb0EPfPS5_mNS0_19identity_decomposerEEE10hipError_tT1_T2_PT3_SE_jT4_jjP12ihipStream_tbEUlT_E0_NS1_11comp_targetILNS1_3genE9ELNS1_11target_archE1100ELNS1_3gpuE3ELNS1_3repE0EEENS1_52radix_sort_onesweep_histogram_config_static_selectorELNS0_4arch9wavefront6targetE1EEEvSC_,@function
_ZN7rocprim17ROCPRIM_400000_NS6detail17trampoline_kernelINS0_14default_configENS1_35radix_sort_onesweep_config_selectorIfNS0_10empty_typeEEEZNS1_34radix_sort_onesweep_global_offsetsIS3_Lb0EPfPS5_mNS0_19identity_decomposerEEE10hipError_tT1_T2_PT3_SE_jT4_jjP12ihipStream_tbEUlT_E0_NS1_11comp_targetILNS1_3genE9ELNS1_11target_archE1100ELNS1_3gpuE3ELNS1_3repE0EEENS1_52radix_sort_onesweep_histogram_config_static_selectorELNS0_4arch9wavefront6targetE1EEEvSC_: ; @_ZN7rocprim17ROCPRIM_400000_NS6detail17trampoline_kernelINS0_14default_configENS1_35radix_sort_onesweep_config_selectorIfNS0_10empty_typeEEEZNS1_34radix_sort_onesweep_global_offsetsIS3_Lb0EPfPS5_mNS0_19identity_decomposerEEE10hipError_tT1_T2_PT3_SE_jT4_jjP12ihipStream_tbEUlT_E0_NS1_11comp_targetILNS1_3genE9ELNS1_11target_archE1100ELNS1_3gpuE3ELNS1_3repE0EEENS1_52radix_sort_onesweep_histogram_config_static_selectorELNS0_4arch9wavefront6targetE1EEEvSC_
; %bb.0:
	.section	.rodata,"a",@progbits
	.p2align	6, 0x0
	.amdhsa_kernel _ZN7rocprim17ROCPRIM_400000_NS6detail17trampoline_kernelINS0_14default_configENS1_35radix_sort_onesweep_config_selectorIfNS0_10empty_typeEEEZNS1_34radix_sort_onesweep_global_offsetsIS3_Lb0EPfPS5_mNS0_19identity_decomposerEEE10hipError_tT1_T2_PT3_SE_jT4_jjP12ihipStream_tbEUlT_E0_NS1_11comp_targetILNS1_3genE9ELNS1_11target_archE1100ELNS1_3gpuE3ELNS1_3repE0EEENS1_52radix_sort_onesweep_histogram_config_static_selectorELNS0_4arch9wavefront6targetE1EEEvSC_
		.amdhsa_group_segment_fixed_size 0
		.amdhsa_private_segment_fixed_size 0
		.amdhsa_kernarg_size 8
		.amdhsa_user_sgpr_count 6
		.amdhsa_user_sgpr_private_segment_buffer 1
		.amdhsa_user_sgpr_dispatch_ptr 0
		.amdhsa_user_sgpr_queue_ptr 0
		.amdhsa_user_sgpr_kernarg_segment_ptr 1
		.amdhsa_user_sgpr_dispatch_id 0
		.amdhsa_user_sgpr_flat_scratch_init 0
		.amdhsa_user_sgpr_kernarg_preload_length 0
		.amdhsa_user_sgpr_kernarg_preload_offset 0
		.amdhsa_user_sgpr_private_segment_size 0
		.amdhsa_uses_dynamic_stack 0
		.amdhsa_system_sgpr_private_segment_wavefront_offset 0
		.amdhsa_system_sgpr_workgroup_id_x 1
		.amdhsa_system_sgpr_workgroup_id_y 0
		.amdhsa_system_sgpr_workgroup_id_z 0
		.amdhsa_system_sgpr_workgroup_info 0
		.amdhsa_system_vgpr_workitem_id 0
		.amdhsa_next_free_vgpr 1
		.amdhsa_next_free_sgpr 0
		.amdhsa_accum_offset 4
		.amdhsa_reserve_vcc 0
		.amdhsa_reserve_flat_scratch 0
		.amdhsa_float_round_mode_32 0
		.amdhsa_float_round_mode_16_64 0
		.amdhsa_float_denorm_mode_32 3
		.amdhsa_float_denorm_mode_16_64 3
		.amdhsa_dx10_clamp 1
		.amdhsa_ieee_mode 1
		.amdhsa_fp16_overflow 0
		.amdhsa_tg_split 0
		.amdhsa_exception_fp_ieee_invalid_op 0
		.amdhsa_exception_fp_denorm_src 0
		.amdhsa_exception_fp_ieee_div_zero 0
		.amdhsa_exception_fp_ieee_overflow 0
		.amdhsa_exception_fp_ieee_underflow 0
		.amdhsa_exception_fp_ieee_inexact 0
		.amdhsa_exception_int_div_zero 0
	.end_amdhsa_kernel
	.section	.text._ZN7rocprim17ROCPRIM_400000_NS6detail17trampoline_kernelINS0_14default_configENS1_35radix_sort_onesweep_config_selectorIfNS0_10empty_typeEEEZNS1_34radix_sort_onesweep_global_offsetsIS3_Lb0EPfPS5_mNS0_19identity_decomposerEEE10hipError_tT1_T2_PT3_SE_jT4_jjP12ihipStream_tbEUlT_E0_NS1_11comp_targetILNS1_3genE9ELNS1_11target_archE1100ELNS1_3gpuE3ELNS1_3repE0EEENS1_52radix_sort_onesweep_histogram_config_static_selectorELNS0_4arch9wavefront6targetE1EEEvSC_,"axG",@progbits,_ZN7rocprim17ROCPRIM_400000_NS6detail17trampoline_kernelINS0_14default_configENS1_35radix_sort_onesweep_config_selectorIfNS0_10empty_typeEEEZNS1_34radix_sort_onesweep_global_offsetsIS3_Lb0EPfPS5_mNS0_19identity_decomposerEEE10hipError_tT1_T2_PT3_SE_jT4_jjP12ihipStream_tbEUlT_E0_NS1_11comp_targetILNS1_3genE9ELNS1_11target_archE1100ELNS1_3gpuE3ELNS1_3repE0EEENS1_52radix_sort_onesweep_histogram_config_static_selectorELNS0_4arch9wavefront6targetE1EEEvSC_,comdat
.Lfunc_end1284:
	.size	_ZN7rocprim17ROCPRIM_400000_NS6detail17trampoline_kernelINS0_14default_configENS1_35radix_sort_onesweep_config_selectorIfNS0_10empty_typeEEEZNS1_34radix_sort_onesweep_global_offsetsIS3_Lb0EPfPS5_mNS0_19identity_decomposerEEE10hipError_tT1_T2_PT3_SE_jT4_jjP12ihipStream_tbEUlT_E0_NS1_11comp_targetILNS1_3genE9ELNS1_11target_archE1100ELNS1_3gpuE3ELNS1_3repE0EEENS1_52radix_sort_onesweep_histogram_config_static_selectorELNS0_4arch9wavefront6targetE1EEEvSC_, .Lfunc_end1284-_ZN7rocprim17ROCPRIM_400000_NS6detail17trampoline_kernelINS0_14default_configENS1_35radix_sort_onesweep_config_selectorIfNS0_10empty_typeEEEZNS1_34radix_sort_onesweep_global_offsetsIS3_Lb0EPfPS5_mNS0_19identity_decomposerEEE10hipError_tT1_T2_PT3_SE_jT4_jjP12ihipStream_tbEUlT_E0_NS1_11comp_targetILNS1_3genE9ELNS1_11target_archE1100ELNS1_3gpuE3ELNS1_3repE0EEENS1_52radix_sort_onesweep_histogram_config_static_selectorELNS0_4arch9wavefront6targetE1EEEvSC_
                                        ; -- End function
	.section	.AMDGPU.csdata,"",@progbits
; Kernel info:
; codeLenInByte = 0
; NumSgprs: 4
; NumVgprs: 0
; NumAgprs: 0
; TotalNumVgprs: 0
; ScratchSize: 0
; MemoryBound: 0
; FloatMode: 240
; IeeeMode: 1
; LDSByteSize: 0 bytes/workgroup (compile time only)
; SGPRBlocks: 0
; VGPRBlocks: 0
; NumSGPRsForWavesPerEU: 4
; NumVGPRsForWavesPerEU: 1
; AccumOffset: 4
; Occupancy: 8
; WaveLimiterHint : 0
; COMPUTE_PGM_RSRC2:SCRATCH_EN: 0
; COMPUTE_PGM_RSRC2:USER_SGPR: 6
; COMPUTE_PGM_RSRC2:TRAP_HANDLER: 0
; COMPUTE_PGM_RSRC2:TGID_X_EN: 1
; COMPUTE_PGM_RSRC2:TGID_Y_EN: 0
; COMPUTE_PGM_RSRC2:TGID_Z_EN: 0
; COMPUTE_PGM_RSRC2:TIDIG_COMP_CNT: 0
; COMPUTE_PGM_RSRC3_GFX90A:ACCUM_OFFSET: 0
; COMPUTE_PGM_RSRC3_GFX90A:TG_SPLIT: 0
	.section	.text._ZN7rocprim17ROCPRIM_400000_NS6detail17trampoline_kernelINS0_14default_configENS1_35radix_sort_onesweep_config_selectorIfNS0_10empty_typeEEEZNS1_34radix_sort_onesweep_global_offsetsIS3_Lb0EPfPS5_mNS0_19identity_decomposerEEE10hipError_tT1_T2_PT3_SE_jT4_jjP12ihipStream_tbEUlT_E0_NS1_11comp_targetILNS1_3genE8ELNS1_11target_archE1030ELNS1_3gpuE2ELNS1_3repE0EEENS1_52radix_sort_onesweep_histogram_config_static_selectorELNS0_4arch9wavefront6targetE1EEEvSC_,"axG",@progbits,_ZN7rocprim17ROCPRIM_400000_NS6detail17trampoline_kernelINS0_14default_configENS1_35radix_sort_onesweep_config_selectorIfNS0_10empty_typeEEEZNS1_34radix_sort_onesweep_global_offsetsIS3_Lb0EPfPS5_mNS0_19identity_decomposerEEE10hipError_tT1_T2_PT3_SE_jT4_jjP12ihipStream_tbEUlT_E0_NS1_11comp_targetILNS1_3genE8ELNS1_11target_archE1030ELNS1_3gpuE2ELNS1_3repE0EEENS1_52radix_sort_onesweep_histogram_config_static_selectorELNS0_4arch9wavefront6targetE1EEEvSC_,comdat
	.protected	_ZN7rocprim17ROCPRIM_400000_NS6detail17trampoline_kernelINS0_14default_configENS1_35radix_sort_onesweep_config_selectorIfNS0_10empty_typeEEEZNS1_34radix_sort_onesweep_global_offsetsIS3_Lb0EPfPS5_mNS0_19identity_decomposerEEE10hipError_tT1_T2_PT3_SE_jT4_jjP12ihipStream_tbEUlT_E0_NS1_11comp_targetILNS1_3genE8ELNS1_11target_archE1030ELNS1_3gpuE2ELNS1_3repE0EEENS1_52radix_sort_onesweep_histogram_config_static_selectorELNS0_4arch9wavefront6targetE1EEEvSC_ ; -- Begin function _ZN7rocprim17ROCPRIM_400000_NS6detail17trampoline_kernelINS0_14default_configENS1_35radix_sort_onesweep_config_selectorIfNS0_10empty_typeEEEZNS1_34radix_sort_onesweep_global_offsetsIS3_Lb0EPfPS5_mNS0_19identity_decomposerEEE10hipError_tT1_T2_PT3_SE_jT4_jjP12ihipStream_tbEUlT_E0_NS1_11comp_targetILNS1_3genE8ELNS1_11target_archE1030ELNS1_3gpuE2ELNS1_3repE0EEENS1_52radix_sort_onesweep_histogram_config_static_selectorELNS0_4arch9wavefront6targetE1EEEvSC_
	.globl	_ZN7rocprim17ROCPRIM_400000_NS6detail17trampoline_kernelINS0_14default_configENS1_35radix_sort_onesweep_config_selectorIfNS0_10empty_typeEEEZNS1_34radix_sort_onesweep_global_offsetsIS3_Lb0EPfPS5_mNS0_19identity_decomposerEEE10hipError_tT1_T2_PT3_SE_jT4_jjP12ihipStream_tbEUlT_E0_NS1_11comp_targetILNS1_3genE8ELNS1_11target_archE1030ELNS1_3gpuE2ELNS1_3repE0EEENS1_52radix_sort_onesweep_histogram_config_static_selectorELNS0_4arch9wavefront6targetE1EEEvSC_
	.p2align	8
	.type	_ZN7rocprim17ROCPRIM_400000_NS6detail17trampoline_kernelINS0_14default_configENS1_35radix_sort_onesweep_config_selectorIfNS0_10empty_typeEEEZNS1_34radix_sort_onesweep_global_offsetsIS3_Lb0EPfPS5_mNS0_19identity_decomposerEEE10hipError_tT1_T2_PT3_SE_jT4_jjP12ihipStream_tbEUlT_E0_NS1_11comp_targetILNS1_3genE8ELNS1_11target_archE1030ELNS1_3gpuE2ELNS1_3repE0EEENS1_52radix_sort_onesweep_histogram_config_static_selectorELNS0_4arch9wavefront6targetE1EEEvSC_,@function
_ZN7rocprim17ROCPRIM_400000_NS6detail17trampoline_kernelINS0_14default_configENS1_35radix_sort_onesweep_config_selectorIfNS0_10empty_typeEEEZNS1_34radix_sort_onesweep_global_offsetsIS3_Lb0EPfPS5_mNS0_19identity_decomposerEEE10hipError_tT1_T2_PT3_SE_jT4_jjP12ihipStream_tbEUlT_E0_NS1_11comp_targetILNS1_3genE8ELNS1_11target_archE1030ELNS1_3gpuE2ELNS1_3repE0EEENS1_52radix_sort_onesweep_histogram_config_static_selectorELNS0_4arch9wavefront6targetE1EEEvSC_: ; @_ZN7rocprim17ROCPRIM_400000_NS6detail17trampoline_kernelINS0_14default_configENS1_35radix_sort_onesweep_config_selectorIfNS0_10empty_typeEEEZNS1_34radix_sort_onesweep_global_offsetsIS3_Lb0EPfPS5_mNS0_19identity_decomposerEEE10hipError_tT1_T2_PT3_SE_jT4_jjP12ihipStream_tbEUlT_E0_NS1_11comp_targetILNS1_3genE8ELNS1_11target_archE1030ELNS1_3gpuE2ELNS1_3repE0EEENS1_52radix_sort_onesweep_histogram_config_static_selectorELNS0_4arch9wavefront6targetE1EEEvSC_
; %bb.0:
	.section	.rodata,"a",@progbits
	.p2align	6, 0x0
	.amdhsa_kernel _ZN7rocprim17ROCPRIM_400000_NS6detail17trampoline_kernelINS0_14default_configENS1_35radix_sort_onesweep_config_selectorIfNS0_10empty_typeEEEZNS1_34radix_sort_onesweep_global_offsetsIS3_Lb0EPfPS5_mNS0_19identity_decomposerEEE10hipError_tT1_T2_PT3_SE_jT4_jjP12ihipStream_tbEUlT_E0_NS1_11comp_targetILNS1_3genE8ELNS1_11target_archE1030ELNS1_3gpuE2ELNS1_3repE0EEENS1_52radix_sort_onesweep_histogram_config_static_selectorELNS0_4arch9wavefront6targetE1EEEvSC_
		.amdhsa_group_segment_fixed_size 0
		.amdhsa_private_segment_fixed_size 0
		.amdhsa_kernarg_size 8
		.amdhsa_user_sgpr_count 6
		.amdhsa_user_sgpr_private_segment_buffer 1
		.amdhsa_user_sgpr_dispatch_ptr 0
		.amdhsa_user_sgpr_queue_ptr 0
		.amdhsa_user_sgpr_kernarg_segment_ptr 1
		.amdhsa_user_sgpr_dispatch_id 0
		.amdhsa_user_sgpr_flat_scratch_init 0
		.amdhsa_user_sgpr_kernarg_preload_length 0
		.amdhsa_user_sgpr_kernarg_preload_offset 0
		.amdhsa_user_sgpr_private_segment_size 0
		.amdhsa_uses_dynamic_stack 0
		.amdhsa_system_sgpr_private_segment_wavefront_offset 0
		.amdhsa_system_sgpr_workgroup_id_x 1
		.amdhsa_system_sgpr_workgroup_id_y 0
		.amdhsa_system_sgpr_workgroup_id_z 0
		.amdhsa_system_sgpr_workgroup_info 0
		.amdhsa_system_vgpr_workitem_id 0
		.amdhsa_next_free_vgpr 1
		.amdhsa_next_free_sgpr 0
		.amdhsa_accum_offset 4
		.amdhsa_reserve_vcc 0
		.amdhsa_reserve_flat_scratch 0
		.amdhsa_float_round_mode_32 0
		.amdhsa_float_round_mode_16_64 0
		.amdhsa_float_denorm_mode_32 3
		.amdhsa_float_denorm_mode_16_64 3
		.amdhsa_dx10_clamp 1
		.amdhsa_ieee_mode 1
		.amdhsa_fp16_overflow 0
		.amdhsa_tg_split 0
		.amdhsa_exception_fp_ieee_invalid_op 0
		.amdhsa_exception_fp_denorm_src 0
		.amdhsa_exception_fp_ieee_div_zero 0
		.amdhsa_exception_fp_ieee_overflow 0
		.amdhsa_exception_fp_ieee_underflow 0
		.amdhsa_exception_fp_ieee_inexact 0
		.amdhsa_exception_int_div_zero 0
	.end_amdhsa_kernel
	.section	.text._ZN7rocprim17ROCPRIM_400000_NS6detail17trampoline_kernelINS0_14default_configENS1_35radix_sort_onesweep_config_selectorIfNS0_10empty_typeEEEZNS1_34radix_sort_onesweep_global_offsetsIS3_Lb0EPfPS5_mNS0_19identity_decomposerEEE10hipError_tT1_T2_PT3_SE_jT4_jjP12ihipStream_tbEUlT_E0_NS1_11comp_targetILNS1_3genE8ELNS1_11target_archE1030ELNS1_3gpuE2ELNS1_3repE0EEENS1_52radix_sort_onesweep_histogram_config_static_selectorELNS0_4arch9wavefront6targetE1EEEvSC_,"axG",@progbits,_ZN7rocprim17ROCPRIM_400000_NS6detail17trampoline_kernelINS0_14default_configENS1_35radix_sort_onesweep_config_selectorIfNS0_10empty_typeEEEZNS1_34radix_sort_onesweep_global_offsetsIS3_Lb0EPfPS5_mNS0_19identity_decomposerEEE10hipError_tT1_T2_PT3_SE_jT4_jjP12ihipStream_tbEUlT_E0_NS1_11comp_targetILNS1_3genE8ELNS1_11target_archE1030ELNS1_3gpuE2ELNS1_3repE0EEENS1_52radix_sort_onesweep_histogram_config_static_selectorELNS0_4arch9wavefront6targetE1EEEvSC_,comdat
.Lfunc_end1285:
	.size	_ZN7rocprim17ROCPRIM_400000_NS6detail17trampoline_kernelINS0_14default_configENS1_35radix_sort_onesweep_config_selectorIfNS0_10empty_typeEEEZNS1_34radix_sort_onesweep_global_offsetsIS3_Lb0EPfPS5_mNS0_19identity_decomposerEEE10hipError_tT1_T2_PT3_SE_jT4_jjP12ihipStream_tbEUlT_E0_NS1_11comp_targetILNS1_3genE8ELNS1_11target_archE1030ELNS1_3gpuE2ELNS1_3repE0EEENS1_52radix_sort_onesweep_histogram_config_static_selectorELNS0_4arch9wavefront6targetE1EEEvSC_, .Lfunc_end1285-_ZN7rocprim17ROCPRIM_400000_NS6detail17trampoline_kernelINS0_14default_configENS1_35radix_sort_onesweep_config_selectorIfNS0_10empty_typeEEEZNS1_34radix_sort_onesweep_global_offsetsIS3_Lb0EPfPS5_mNS0_19identity_decomposerEEE10hipError_tT1_T2_PT3_SE_jT4_jjP12ihipStream_tbEUlT_E0_NS1_11comp_targetILNS1_3genE8ELNS1_11target_archE1030ELNS1_3gpuE2ELNS1_3repE0EEENS1_52radix_sort_onesweep_histogram_config_static_selectorELNS0_4arch9wavefront6targetE1EEEvSC_
                                        ; -- End function
	.section	.AMDGPU.csdata,"",@progbits
; Kernel info:
; codeLenInByte = 0
; NumSgprs: 4
; NumVgprs: 0
; NumAgprs: 0
; TotalNumVgprs: 0
; ScratchSize: 0
; MemoryBound: 0
; FloatMode: 240
; IeeeMode: 1
; LDSByteSize: 0 bytes/workgroup (compile time only)
; SGPRBlocks: 0
; VGPRBlocks: 0
; NumSGPRsForWavesPerEU: 4
; NumVGPRsForWavesPerEU: 1
; AccumOffset: 4
; Occupancy: 8
; WaveLimiterHint : 0
; COMPUTE_PGM_RSRC2:SCRATCH_EN: 0
; COMPUTE_PGM_RSRC2:USER_SGPR: 6
; COMPUTE_PGM_RSRC2:TRAP_HANDLER: 0
; COMPUTE_PGM_RSRC2:TGID_X_EN: 1
; COMPUTE_PGM_RSRC2:TGID_Y_EN: 0
; COMPUTE_PGM_RSRC2:TGID_Z_EN: 0
; COMPUTE_PGM_RSRC2:TIDIG_COMP_CNT: 0
; COMPUTE_PGM_RSRC3_GFX90A:ACCUM_OFFSET: 0
; COMPUTE_PGM_RSRC3_GFX90A:TG_SPLIT: 0
	.section	.text._ZN7rocprim17ROCPRIM_400000_NS6detail17trampoline_kernelINS0_14default_configENS1_35radix_sort_onesweep_config_selectorIfNS0_10empty_typeEEEZZNS1_29radix_sort_onesweep_iterationIS3_Lb0EPfS8_PS5_S9_mNS0_19identity_decomposerENS1_16block_id_wrapperIjLb1EEEEE10hipError_tT1_PNSt15iterator_traitsISE_E10value_typeET2_T3_PNSF_ISK_E10value_typeET4_T5_PSP_SQ_PNS1_23onesweep_lookback_stateEbbT6_jjT7_P12ihipStream_tbENKUlT_T0_SE_SJ_E_clIS8_S8_S9_S9_EEDaSX_SY_SE_SJ_EUlSX_E_NS1_11comp_targetILNS1_3genE0ELNS1_11target_archE4294967295ELNS1_3gpuE0ELNS1_3repE0EEENS1_47radix_sort_onesweep_sort_config_static_selectorELNS0_4arch9wavefront6targetE1EEEvSE_,"axG",@progbits,_ZN7rocprim17ROCPRIM_400000_NS6detail17trampoline_kernelINS0_14default_configENS1_35radix_sort_onesweep_config_selectorIfNS0_10empty_typeEEEZZNS1_29radix_sort_onesweep_iterationIS3_Lb0EPfS8_PS5_S9_mNS0_19identity_decomposerENS1_16block_id_wrapperIjLb1EEEEE10hipError_tT1_PNSt15iterator_traitsISE_E10value_typeET2_T3_PNSF_ISK_E10value_typeET4_T5_PSP_SQ_PNS1_23onesweep_lookback_stateEbbT6_jjT7_P12ihipStream_tbENKUlT_T0_SE_SJ_E_clIS8_S8_S9_S9_EEDaSX_SY_SE_SJ_EUlSX_E_NS1_11comp_targetILNS1_3genE0ELNS1_11target_archE4294967295ELNS1_3gpuE0ELNS1_3repE0EEENS1_47radix_sort_onesweep_sort_config_static_selectorELNS0_4arch9wavefront6targetE1EEEvSE_,comdat
	.protected	_ZN7rocprim17ROCPRIM_400000_NS6detail17trampoline_kernelINS0_14default_configENS1_35radix_sort_onesweep_config_selectorIfNS0_10empty_typeEEEZZNS1_29radix_sort_onesweep_iterationIS3_Lb0EPfS8_PS5_S9_mNS0_19identity_decomposerENS1_16block_id_wrapperIjLb1EEEEE10hipError_tT1_PNSt15iterator_traitsISE_E10value_typeET2_T3_PNSF_ISK_E10value_typeET4_T5_PSP_SQ_PNS1_23onesweep_lookback_stateEbbT6_jjT7_P12ihipStream_tbENKUlT_T0_SE_SJ_E_clIS8_S8_S9_S9_EEDaSX_SY_SE_SJ_EUlSX_E_NS1_11comp_targetILNS1_3genE0ELNS1_11target_archE4294967295ELNS1_3gpuE0ELNS1_3repE0EEENS1_47radix_sort_onesweep_sort_config_static_selectorELNS0_4arch9wavefront6targetE1EEEvSE_ ; -- Begin function _ZN7rocprim17ROCPRIM_400000_NS6detail17trampoline_kernelINS0_14default_configENS1_35radix_sort_onesweep_config_selectorIfNS0_10empty_typeEEEZZNS1_29radix_sort_onesweep_iterationIS3_Lb0EPfS8_PS5_S9_mNS0_19identity_decomposerENS1_16block_id_wrapperIjLb1EEEEE10hipError_tT1_PNSt15iterator_traitsISE_E10value_typeET2_T3_PNSF_ISK_E10value_typeET4_T5_PSP_SQ_PNS1_23onesweep_lookback_stateEbbT6_jjT7_P12ihipStream_tbENKUlT_T0_SE_SJ_E_clIS8_S8_S9_S9_EEDaSX_SY_SE_SJ_EUlSX_E_NS1_11comp_targetILNS1_3genE0ELNS1_11target_archE4294967295ELNS1_3gpuE0ELNS1_3repE0EEENS1_47radix_sort_onesweep_sort_config_static_selectorELNS0_4arch9wavefront6targetE1EEEvSE_
	.globl	_ZN7rocprim17ROCPRIM_400000_NS6detail17trampoline_kernelINS0_14default_configENS1_35radix_sort_onesweep_config_selectorIfNS0_10empty_typeEEEZZNS1_29radix_sort_onesweep_iterationIS3_Lb0EPfS8_PS5_S9_mNS0_19identity_decomposerENS1_16block_id_wrapperIjLb1EEEEE10hipError_tT1_PNSt15iterator_traitsISE_E10value_typeET2_T3_PNSF_ISK_E10value_typeET4_T5_PSP_SQ_PNS1_23onesweep_lookback_stateEbbT6_jjT7_P12ihipStream_tbENKUlT_T0_SE_SJ_E_clIS8_S8_S9_S9_EEDaSX_SY_SE_SJ_EUlSX_E_NS1_11comp_targetILNS1_3genE0ELNS1_11target_archE4294967295ELNS1_3gpuE0ELNS1_3repE0EEENS1_47radix_sort_onesweep_sort_config_static_selectorELNS0_4arch9wavefront6targetE1EEEvSE_
	.p2align	8
	.type	_ZN7rocprim17ROCPRIM_400000_NS6detail17trampoline_kernelINS0_14default_configENS1_35radix_sort_onesweep_config_selectorIfNS0_10empty_typeEEEZZNS1_29radix_sort_onesweep_iterationIS3_Lb0EPfS8_PS5_S9_mNS0_19identity_decomposerENS1_16block_id_wrapperIjLb1EEEEE10hipError_tT1_PNSt15iterator_traitsISE_E10value_typeET2_T3_PNSF_ISK_E10value_typeET4_T5_PSP_SQ_PNS1_23onesweep_lookback_stateEbbT6_jjT7_P12ihipStream_tbENKUlT_T0_SE_SJ_E_clIS8_S8_S9_S9_EEDaSX_SY_SE_SJ_EUlSX_E_NS1_11comp_targetILNS1_3genE0ELNS1_11target_archE4294967295ELNS1_3gpuE0ELNS1_3repE0EEENS1_47radix_sort_onesweep_sort_config_static_selectorELNS0_4arch9wavefront6targetE1EEEvSE_,@function
_ZN7rocprim17ROCPRIM_400000_NS6detail17trampoline_kernelINS0_14default_configENS1_35radix_sort_onesweep_config_selectorIfNS0_10empty_typeEEEZZNS1_29radix_sort_onesweep_iterationIS3_Lb0EPfS8_PS5_S9_mNS0_19identity_decomposerENS1_16block_id_wrapperIjLb1EEEEE10hipError_tT1_PNSt15iterator_traitsISE_E10value_typeET2_T3_PNSF_ISK_E10value_typeET4_T5_PSP_SQ_PNS1_23onesweep_lookback_stateEbbT6_jjT7_P12ihipStream_tbENKUlT_T0_SE_SJ_E_clIS8_S8_S9_S9_EEDaSX_SY_SE_SJ_EUlSX_E_NS1_11comp_targetILNS1_3genE0ELNS1_11target_archE4294967295ELNS1_3gpuE0ELNS1_3repE0EEENS1_47radix_sort_onesweep_sort_config_static_selectorELNS0_4arch9wavefront6targetE1EEEvSE_: ; @_ZN7rocprim17ROCPRIM_400000_NS6detail17trampoline_kernelINS0_14default_configENS1_35radix_sort_onesweep_config_selectorIfNS0_10empty_typeEEEZZNS1_29radix_sort_onesweep_iterationIS3_Lb0EPfS8_PS5_S9_mNS0_19identity_decomposerENS1_16block_id_wrapperIjLb1EEEEE10hipError_tT1_PNSt15iterator_traitsISE_E10value_typeET2_T3_PNSF_ISK_E10value_typeET4_T5_PSP_SQ_PNS1_23onesweep_lookback_stateEbbT6_jjT7_P12ihipStream_tbENKUlT_T0_SE_SJ_E_clIS8_S8_S9_S9_EEDaSX_SY_SE_SJ_EUlSX_E_NS1_11comp_targetILNS1_3genE0ELNS1_11target_archE4294967295ELNS1_3gpuE0ELNS1_3repE0EEENS1_47radix_sort_onesweep_sort_config_static_selectorELNS0_4arch9wavefront6targetE1EEEvSE_
; %bb.0:
	.section	.rodata,"a",@progbits
	.p2align	6, 0x0
	.amdhsa_kernel _ZN7rocprim17ROCPRIM_400000_NS6detail17trampoline_kernelINS0_14default_configENS1_35radix_sort_onesweep_config_selectorIfNS0_10empty_typeEEEZZNS1_29radix_sort_onesweep_iterationIS3_Lb0EPfS8_PS5_S9_mNS0_19identity_decomposerENS1_16block_id_wrapperIjLb1EEEEE10hipError_tT1_PNSt15iterator_traitsISE_E10value_typeET2_T3_PNSF_ISK_E10value_typeET4_T5_PSP_SQ_PNS1_23onesweep_lookback_stateEbbT6_jjT7_P12ihipStream_tbENKUlT_T0_SE_SJ_E_clIS8_S8_S9_S9_EEDaSX_SY_SE_SJ_EUlSX_E_NS1_11comp_targetILNS1_3genE0ELNS1_11target_archE4294967295ELNS1_3gpuE0ELNS1_3repE0EEENS1_47radix_sort_onesweep_sort_config_static_selectorELNS0_4arch9wavefront6targetE1EEEvSE_
		.amdhsa_group_segment_fixed_size 0
		.amdhsa_private_segment_fixed_size 0
		.amdhsa_kernarg_size 88
		.amdhsa_user_sgpr_count 6
		.amdhsa_user_sgpr_private_segment_buffer 1
		.amdhsa_user_sgpr_dispatch_ptr 0
		.amdhsa_user_sgpr_queue_ptr 0
		.amdhsa_user_sgpr_kernarg_segment_ptr 1
		.amdhsa_user_sgpr_dispatch_id 0
		.amdhsa_user_sgpr_flat_scratch_init 0
		.amdhsa_user_sgpr_kernarg_preload_length 0
		.amdhsa_user_sgpr_kernarg_preload_offset 0
		.amdhsa_user_sgpr_private_segment_size 0
		.amdhsa_uses_dynamic_stack 0
		.amdhsa_system_sgpr_private_segment_wavefront_offset 0
		.amdhsa_system_sgpr_workgroup_id_x 1
		.amdhsa_system_sgpr_workgroup_id_y 0
		.amdhsa_system_sgpr_workgroup_id_z 0
		.amdhsa_system_sgpr_workgroup_info 0
		.amdhsa_system_vgpr_workitem_id 0
		.amdhsa_next_free_vgpr 1
		.amdhsa_next_free_sgpr 0
		.amdhsa_accum_offset 4
		.amdhsa_reserve_vcc 0
		.amdhsa_reserve_flat_scratch 0
		.amdhsa_float_round_mode_32 0
		.amdhsa_float_round_mode_16_64 0
		.amdhsa_float_denorm_mode_32 3
		.amdhsa_float_denorm_mode_16_64 3
		.amdhsa_dx10_clamp 1
		.amdhsa_ieee_mode 1
		.amdhsa_fp16_overflow 0
		.amdhsa_tg_split 0
		.amdhsa_exception_fp_ieee_invalid_op 0
		.amdhsa_exception_fp_denorm_src 0
		.amdhsa_exception_fp_ieee_div_zero 0
		.amdhsa_exception_fp_ieee_overflow 0
		.amdhsa_exception_fp_ieee_underflow 0
		.amdhsa_exception_fp_ieee_inexact 0
		.amdhsa_exception_int_div_zero 0
	.end_amdhsa_kernel
	.section	.text._ZN7rocprim17ROCPRIM_400000_NS6detail17trampoline_kernelINS0_14default_configENS1_35radix_sort_onesweep_config_selectorIfNS0_10empty_typeEEEZZNS1_29radix_sort_onesweep_iterationIS3_Lb0EPfS8_PS5_S9_mNS0_19identity_decomposerENS1_16block_id_wrapperIjLb1EEEEE10hipError_tT1_PNSt15iterator_traitsISE_E10value_typeET2_T3_PNSF_ISK_E10value_typeET4_T5_PSP_SQ_PNS1_23onesweep_lookback_stateEbbT6_jjT7_P12ihipStream_tbENKUlT_T0_SE_SJ_E_clIS8_S8_S9_S9_EEDaSX_SY_SE_SJ_EUlSX_E_NS1_11comp_targetILNS1_3genE0ELNS1_11target_archE4294967295ELNS1_3gpuE0ELNS1_3repE0EEENS1_47radix_sort_onesweep_sort_config_static_selectorELNS0_4arch9wavefront6targetE1EEEvSE_,"axG",@progbits,_ZN7rocprim17ROCPRIM_400000_NS6detail17trampoline_kernelINS0_14default_configENS1_35radix_sort_onesweep_config_selectorIfNS0_10empty_typeEEEZZNS1_29radix_sort_onesweep_iterationIS3_Lb0EPfS8_PS5_S9_mNS0_19identity_decomposerENS1_16block_id_wrapperIjLb1EEEEE10hipError_tT1_PNSt15iterator_traitsISE_E10value_typeET2_T3_PNSF_ISK_E10value_typeET4_T5_PSP_SQ_PNS1_23onesweep_lookback_stateEbbT6_jjT7_P12ihipStream_tbENKUlT_T0_SE_SJ_E_clIS8_S8_S9_S9_EEDaSX_SY_SE_SJ_EUlSX_E_NS1_11comp_targetILNS1_3genE0ELNS1_11target_archE4294967295ELNS1_3gpuE0ELNS1_3repE0EEENS1_47radix_sort_onesweep_sort_config_static_selectorELNS0_4arch9wavefront6targetE1EEEvSE_,comdat
.Lfunc_end1286:
	.size	_ZN7rocprim17ROCPRIM_400000_NS6detail17trampoline_kernelINS0_14default_configENS1_35radix_sort_onesweep_config_selectorIfNS0_10empty_typeEEEZZNS1_29radix_sort_onesweep_iterationIS3_Lb0EPfS8_PS5_S9_mNS0_19identity_decomposerENS1_16block_id_wrapperIjLb1EEEEE10hipError_tT1_PNSt15iterator_traitsISE_E10value_typeET2_T3_PNSF_ISK_E10value_typeET4_T5_PSP_SQ_PNS1_23onesweep_lookback_stateEbbT6_jjT7_P12ihipStream_tbENKUlT_T0_SE_SJ_E_clIS8_S8_S9_S9_EEDaSX_SY_SE_SJ_EUlSX_E_NS1_11comp_targetILNS1_3genE0ELNS1_11target_archE4294967295ELNS1_3gpuE0ELNS1_3repE0EEENS1_47radix_sort_onesweep_sort_config_static_selectorELNS0_4arch9wavefront6targetE1EEEvSE_, .Lfunc_end1286-_ZN7rocprim17ROCPRIM_400000_NS6detail17trampoline_kernelINS0_14default_configENS1_35radix_sort_onesweep_config_selectorIfNS0_10empty_typeEEEZZNS1_29radix_sort_onesweep_iterationIS3_Lb0EPfS8_PS5_S9_mNS0_19identity_decomposerENS1_16block_id_wrapperIjLb1EEEEE10hipError_tT1_PNSt15iterator_traitsISE_E10value_typeET2_T3_PNSF_ISK_E10value_typeET4_T5_PSP_SQ_PNS1_23onesweep_lookback_stateEbbT6_jjT7_P12ihipStream_tbENKUlT_T0_SE_SJ_E_clIS8_S8_S9_S9_EEDaSX_SY_SE_SJ_EUlSX_E_NS1_11comp_targetILNS1_3genE0ELNS1_11target_archE4294967295ELNS1_3gpuE0ELNS1_3repE0EEENS1_47radix_sort_onesweep_sort_config_static_selectorELNS0_4arch9wavefront6targetE1EEEvSE_
                                        ; -- End function
	.section	.AMDGPU.csdata,"",@progbits
; Kernel info:
; codeLenInByte = 0
; NumSgprs: 4
; NumVgprs: 0
; NumAgprs: 0
; TotalNumVgprs: 0
; ScratchSize: 0
; MemoryBound: 0
; FloatMode: 240
; IeeeMode: 1
; LDSByteSize: 0 bytes/workgroup (compile time only)
; SGPRBlocks: 0
; VGPRBlocks: 0
; NumSGPRsForWavesPerEU: 4
; NumVGPRsForWavesPerEU: 1
; AccumOffset: 4
; Occupancy: 8
; WaveLimiterHint : 0
; COMPUTE_PGM_RSRC2:SCRATCH_EN: 0
; COMPUTE_PGM_RSRC2:USER_SGPR: 6
; COMPUTE_PGM_RSRC2:TRAP_HANDLER: 0
; COMPUTE_PGM_RSRC2:TGID_X_EN: 1
; COMPUTE_PGM_RSRC2:TGID_Y_EN: 0
; COMPUTE_PGM_RSRC2:TGID_Z_EN: 0
; COMPUTE_PGM_RSRC2:TIDIG_COMP_CNT: 0
; COMPUTE_PGM_RSRC3_GFX90A:ACCUM_OFFSET: 0
; COMPUTE_PGM_RSRC3_GFX90A:TG_SPLIT: 0
	.section	.text._ZN7rocprim17ROCPRIM_400000_NS6detail17trampoline_kernelINS0_14default_configENS1_35radix_sort_onesweep_config_selectorIfNS0_10empty_typeEEEZZNS1_29radix_sort_onesweep_iterationIS3_Lb0EPfS8_PS5_S9_mNS0_19identity_decomposerENS1_16block_id_wrapperIjLb1EEEEE10hipError_tT1_PNSt15iterator_traitsISE_E10value_typeET2_T3_PNSF_ISK_E10value_typeET4_T5_PSP_SQ_PNS1_23onesweep_lookback_stateEbbT6_jjT7_P12ihipStream_tbENKUlT_T0_SE_SJ_E_clIS8_S8_S9_S9_EEDaSX_SY_SE_SJ_EUlSX_E_NS1_11comp_targetILNS1_3genE6ELNS1_11target_archE950ELNS1_3gpuE13ELNS1_3repE0EEENS1_47radix_sort_onesweep_sort_config_static_selectorELNS0_4arch9wavefront6targetE1EEEvSE_,"axG",@progbits,_ZN7rocprim17ROCPRIM_400000_NS6detail17trampoline_kernelINS0_14default_configENS1_35radix_sort_onesweep_config_selectorIfNS0_10empty_typeEEEZZNS1_29radix_sort_onesweep_iterationIS3_Lb0EPfS8_PS5_S9_mNS0_19identity_decomposerENS1_16block_id_wrapperIjLb1EEEEE10hipError_tT1_PNSt15iterator_traitsISE_E10value_typeET2_T3_PNSF_ISK_E10value_typeET4_T5_PSP_SQ_PNS1_23onesweep_lookback_stateEbbT6_jjT7_P12ihipStream_tbENKUlT_T0_SE_SJ_E_clIS8_S8_S9_S9_EEDaSX_SY_SE_SJ_EUlSX_E_NS1_11comp_targetILNS1_3genE6ELNS1_11target_archE950ELNS1_3gpuE13ELNS1_3repE0EEENS1_47radix_sort_onesweep_sort_config_static_selectorELNS0_4arch9wavefront6targetE1EEEvSE_,comdat
	.protected	_ZN7rocprim17ROCPRIM_400000_NS6detail17trampoline_kernelINS0_14default_configENS1_35radix_sort_onesweep_config_selectorIfNS0_10empty_typeEEEZZNS1_29radix_sort_onesweep_iterationIS3_Lb0EPfS8_PS5_S9_mNS0_19identity_decomposerENS1_16block_id_wrapperIjLb1EEEEE10hipError_tT1_PNSt15iterator_traitsISE_E10value_typeET2_T3_PNSF_ISK_E10value_typeET4_T5_PSP_SQ_PNS1_23onesweep_lookback_stateEbbT6_jjT7_P12ihipStream_tbENKUlT_T0_SE_SJ_E_clIS8_S8_S9_S9_EEDaSX_SY_SE_SJ_EUlSX_E_NS1_11comp_targetILNS1_3genE6ELNS1_11target_archE950ELNS1_3gpuE13ELNS1_3repE0EEENS1_47radix_sort_onesweep_sort_config_static_selectorELNS0_4arch9wavefront6targetE1EEEvSE_ ; -- Begin function _ZN7rocprim17ROCPRIM_400000_NS6detail17trampoline_kernelINS0_14default_configENS1_35radix_sort_onesweep_config_selectorIfNS0_10empty_typeEEEZZNS1_29radix_sort_onesweep_iterationIS3_Lb0EPfS8_PS5_S9_mNS0_19identity_decomposerENS1_16block_id_wrapperIjLb1EEEEE10hipError_tT1_PNSt15iterator_traitsISE_E10value_typeET2_T3_PNSF_ISK_E10value_typeET4_T5_PSP_SQ_PNS1_23onesweep_lookback_stateEbbT6_jjT7_P12ihipStream_tbENKUlT_T0_SE_SJ_E_clIS8_S8_S9_S9_EEDaSX_SY_SE_SJ_EUlSX_E_NS1_11comp_targetILNS1_3genE6ELNS1_11target_archE950ELNS1_3gpuE13ELNS1_3repE0EEENS1_47radix_sort_onesweep_sort_config_static_selectorELNS0_4arch9wavefront6targetE1EEEvSE_
	.globl	_ZN7rocprim17ROCPRIM_400000_NS6detail17trampoline_kernelINS0_14default_configENS1_35radix_sort_onesweep_config_selectorIfNS0_10empty_typeEEEZZNS1_29radix_sort_onesweep_iterationIS3_Lb0EPfS8_PS5_S9_mNS0_19identity_decomposerENS1_16block_id_wrapperIjLb1EEEEE10hipError_tT1_PNSt15iterator_traitsISE_E10value_typeET2_T3_PNSF_ISK_E10value_typeET4_T5_PSP_SQ_PNS1_23onesweep_lookback_stateEbbT6_jjT7_P12ihipStream_tbENKUlT_T0_SE_SJ_E_clIS8_S8_S9_S9_EEDaSX_SY_SE_SJ_EUlSX_E_NS1_11comp_targetILNS1_3genE6ELNS1_11target_archE950ELNS1_3gpuE13ELNS1_3repE0EEENS1_47radix_sort_onesweep_sort_config_static_selectorELNS0_4arch9wavefront6targetE1EEEvSE_
	.p2align	8
	.type	_ZN7rocprim17ROCPRIM_400000_NS6detail17trampoline_kernelINS0_14default_configENS1_35radix_sort_onesweep_config_selectorIfNS0_10empty_typeEEEZZNS1_29radix_sort_onesweep_iterationIS3_Lb0EPfS8_PS5_S9_mNS0_19identity_decomposerENS1_16block_id_wrapperIjLb1EEEEE10hipError_tT1_PNSt15iterator_traitsISE_E10value_typeET2_T3_PNSF_ISK_E10value_typeET4_T5_PSP_SQ_PNS1_23onesweep_lookback_stateEbbT6_jjT7_P12ihipStream_tbENKUlT_T0_SE_SJ_E_clIS8_S8_S9_S9_EEDaSX_SY_SE_SJ_EUlSX_E_NS1_11comp_targetILNS1_3genE6ELNS1_11target_archE950ELNS1_3gpuE13ELNS1_3repE0EEENS1_47radix_sort_onesweep_sort_config_static_selectorELNS0_4arch9wavefront6targetE1EEEvSE_,@function
_ZN7rocprim17ROCPRIM_400000_NS6detail17trampoline_kernelINS0_14default_configENS1_35radix_sort_onesweep_config_selectorIfNS0_10empty_typeEEEZZNS1_29radix_sort_onesweep_iterationIS3_Lb0EPfS8_PS5_S9_mNS0_19identity_decomposerENS1_16block_id_wrapperIjLb1EEEEE10hipError_tT1_PNSt15iterator_traitsISE_E10value_typeET2_T3_PNSF_ISK_E10value_typeET4_T5_PSP_SQ_PNS1_23onesweep_lookback_stateEbbT6_jjT7_P12ihipStream_tbENKUlT_T0_SE_SJ_E_clIS8_S8_S9_S9_EEDaSX_SY_SE_SJ_EUlSX_E_NS1_11comp_targetILNS1_3genE6ELNS1_11target_archE950ELNS1_3gpuE13ELNS1_3repE0EEENS1_47radix_sort_onesweep_sort_config_static_selectorELNS0_4arch9wavefront6targetE1EEEvSE_: ; @_ZN7rocprim17ROCPRIM_400000_NS6detail17trampoline_kernelINS0_14default_configENS1_35radix_sort_onesweep_config_selectorIfNS0_10empty_typeEEEZZNS1_29radix_sort_onesweep_iterationIS3_Lb0EPfS8_PS5_S9_mNS0_19identity_decomposerENS1_16block_id_wrapperIjLb1EEEEE10hipError_tT1_PNSt15iterator_traitsISE_E10value_typeET2_T3_PNSF_ISK_E10value_typeET4_T5_PSP_SQ_PNS1_23onesweep_lookback_stateEbbT6_jjT7_P12ihipStream_tbENKUlT_T0_SE_SJ_E_clIS8_S8_S9_S9_EEDaSX_SY_SE_SJ_EUlSX_E_NS1_11comp_targetILNS1_3genE6ELNS1_11target_archE950ELNS1_3gpuE13ELNS1_3repE0EEENS1_47radix_sort_onesweep_sort_config_static_selectorELNS0_4arch9wavefront6targetE1EEEvSE_
; %bb.0:
	.section	.rodata,"a",@progbits
	.p2align	6, 0x0
	.amdhsa_kernel _ZN7rocprim17ROCPRIM_400000_NS6detail17trampoline_kernelINS0_14default_configENS1_35radix_sort_onesweep_config_selectorIfNS0_10empty_typeEEEZZNS1_29radix_sort_onesweep_iterationIS3_Lb0EPfS8_PS5_S9_mNS0_19identity_decomposerENS1_16block_id_wrapperIjLb1EEEEE10hipError_tT1_PNSt15iterator_traitsISE_E10value_typeET2_T3_PNSF_ISK_E10value_typeET4_T5_PSP_SQ_PNS1_23onesweep_lookback_stateEbbT6_jjT7_P12ihipStream_tbENKUlT_T0_SE_SJ_E_clIS8_S8_S9_S9_EEDaSX_SY_SE_SJ_EUlSX_E_NS1_11comp_targetILNS1_3genE6ELNS1_11target_archE950ELNS1_3gpuE13ELNS1_3repE0EEENS1_47radix_sort_onesweep_sort_config_static_selectorELNS0_4arch9wavefront6targetE1EEEvSE_
		.amdhsa_group_segment_fixed_size 0
		.amdhsa_private_segment_fixed_size 0
		.amdhsa_kernarg_size 88
		.amdhsa_user_sgpr_count 6
		.amdhsa_user_sgpr_private_segment_buffer 1
		.amdhsa_user_sgpr_dispatch_ptr 0
		.amdhsa_user_sgpr_queue_ptr 0
		.amdhsa_user_sgpr_kernarg_segment_ptr 1
		.amdhsa_user_sgpr_dispatch_id 0
		.amdhsa_user_sgpr_flat_scratch_init 0
		.amdhsa_user_sgpr_kernarg_preload_length 0
		.amdhsa_user_sgpr_kernarg_preload_offset 0
		.amdhsa_user_sgpr_private_segment_size 0
		.amdhsa_uses_dynamic_stack 0
		.amdhsa_system_sgpr_private_segment_wavefront_offset 0
		.amdhsa_system_sgpr_workgroup_id_x 1
		.amdhsa_system_sgpr_workgroup_id_y 0
		.amdhsa_system_sgpr_workgroup_id_z 0
		.amdhsa_system_sgpr_workgroup_info 0
		.amdhsa_system_vgpr_workitem_id 0
		.amdhsa_next_free_vgpr 1
		.amdhsa_next_free_sgpr 0
		.amdhsa_accum_offset 4
		.amdhsa_reserve_vcc 0
		.amdhsa_reserve_flat_scratch 0
		.amdhsa_float_round_mode_32 0
		.amdhsa_float_round_mode_16_64 0
		.amdhsa_float_denorm_mode_32 3
		.amdhsa_float_denorm_mode_16_64 3
		.amdhsa_dx10_clamp 1
		.amdhsa_ieee_mode 1
		.amdhsa_fp16_overflow 0
		.amdhsa_tg_split 0
		.amdhsa_exception_fp_ieee_invalid_op 0
		.amdhsa_exception_fp_denorm_src 0
		.amdhsa_exception_fp_ieee_div_zero 0
		.amdhsa_exception_fp_ieee_overflow 0
		.amdhsa_exception_fp_ieee_underflow 0
		.amdhsa_exception_fp_ieee_inexact 0
		.amdhsa_exception_int_div_zero 0
	.end_amdhsa_kernel
	.section	.text._ZN7rocprim17ROCPRIM_400000_NS6detail17trampoline_kernelINS0_14default_configENS1_35radix_sort_onesweep_config_selectorIfNS0_10empty_typeEEEZZNS1_29radix_sort_onesweep_iterationIS3_Lb0EPfS8_PS5_S9_mNS0_19identity_decomposerENS1_16block_id_wrapperIjLb1EEEEE10hipError_tT1_PNSt15iterator_traitsISE_E10value_typeET2_T3_PNSF_ISK_E10value_typeET4_T5_PSP_SQ_PNS1_23onesweep_lookback_stateEbbT6_jjT7_P12ihipStream_tbENKUlT_T0_SE_SJ_E_clIS8_S8_S9_S9_EEDaSX_SY_SE_SJ_EUlSX_E_NS1_11comp_targetILNS1_3genE6ELNS1_11target_archE950ELNS1_3gpuE13ELNS1_3repE0EEENS1_47radix_sort_onesweep_sort_config_static_selectorELNS0_4arch9wavefront6targetE1EEEvSE_,"axG",@progbits,_ZN7rocprim17ROCPRIM_400000_NS6detail17trampoline_kernelINS0_14default_configENS1_35radix_sort_onesweep_config_selectorIfNS0_10empty_typeEEEZZNS1_29radix_sort_onesweep_iterationIS3_Lb0EPfS8_PS5_S9_mNS0_19identity_decomposerENS1_16block_id_wrapperIjLb1EEEEE10hipError_tT1_PNSt15iterator_traitsISE_E10value_typeET2_T3_PNSF_ISK_E10value_typeET4_T5_PSP_SQ_PNS1_23onesweep_lookback_stateEbbT6_jjT7_P12ihipStream_tbENKUlT_T0_SE_SJ_E_clIS8_S8_S9_S9_EEDaSX_SY_SE_SJ_EUlSX_E_NS1_11comp_targetILNS1_3genE6ELNS1_11target_archE950ELNS1_3gpuE13ELNS1_3repE0EEENS1_47radix_sort_onesweep_sort_config_static_selectorELNS0_4arch9wavefront6targetE1EEEvSE_,comdat
.Lfunc_end1287:
	.size	_ZN7rocprim17ROCPRIM_400000_NS6detail17trampoline_kernelINS0_14default_configENS1_35radix_sort_onesweep_config_selectorIfNS0_10empty_typeEEEZZNS1_29radix_sort_onesweep_iterationIS3_Lb0EPfS8_PS5_S9_mNS0_19identity_decomposerENS1_16block_id_wrapperIjLb1EEEEE10hipError_tT1_PNSt15iterator_traitsISE_E10value_typeET2_T3_PNSF_ISK_E10value_typeET4_T5_PSP_SQ_PNS1_23onesweep_lookback_stateEbbT6_jjT7_P12ihipStream_tbENKUlT_T0_SE_SJ_E_clIS8_S8_S9_S9_EEDaSX_SY_SE_SJ_EUlSX_E_NS1_11comp_targetILNS1_3genE6ELNS1_11target_archE950ELNS1_3gpuE13ELNS1_3repE0EEENS1_47radix_sort_onesweep_sort_config_static_selectorELNS0_4arch9wavefront6targetE1EEEvSE_, .Lfunc_end1287-_ZN7rocprim17ROCPRIM_400000_NS6detail17trampoline_kernelINS0_14default_configENS1_35radix_sort_onesweep_config_selectorIfNS0_10empty_typeEEEZZNS1_29radix_sort_onesweep_iterationIS3_Lb0EPfS8_PS5_S9_mNS0_19identity_decomposerENS1_16block_id_wrapperIjLb1EEEEE10hipError_tT1_PNSt15iterator_traitsISE_E10value_typeET2_T3_PNSF_ISK_E10value_typeET4_T5_PSP_SQ_PNS1_23onesweep_lookback_stateEbbT6_jjT7_P12ihipStream_tbENKUlT_T0_SE_SJ_E_clIS8_S8_S9_S9_EEDaSX_SY_SE_SJ_EUlSX_E_NS1_11comp_targetILNS1_3genE6ELNS1_11target_archE950ELNS1_3gpuE13ELNS1_3repE0EEENS1_47radix_sort_onesweep_sort_config_static_selectorELNS0_4arch9wavefront6targetE1EEEvSE_
                                        ; -- End function
	.section	.AMDGPU.csdata,"",@progbits
; Kernel info:
; codeLenInByte = 0
; NumSgprs: 4
; NumVgprs: 0
; NumAgprs: 0
; TotalNumVgprs: 0
; ScratchSize: 0
; MemoryBound: 0
; FloatMode: 240
; IeeeMode: 1
; LDSByteSize: 0 bytes/workgroup (compile time only)
; SGPRBlocks: 0
; VGPRBlocks: 0
; NumSGPRsForWavesPerEU: 4
; NumVGPRsForWavesPerEU: 1
; AccumOffset: 4
; Occupancy: 8
; WaveLimiterHint : 0
; COMPUTE_PGM_RSRC2:SCRATCH_EN: 0
; COMPUTE_PGM_RSRC2:USER_SGPR: 6
; COMPUTE_PGM_RSRC2:TRAP_HANDLER: 0
; COMPUTE_PGM_RSRC2:TGID_X_EN: 1
; COMPUTE_PGM_RSRC2:TGID_Y_EN: 0
; COMPUTE_PGM_RSRC2:TGID_Z_EN: 0
; COMPUTE_PGM_RSRC2:TIDIG_COMP_CNT: 0
; COMPUTE_PGM_RSRC3_GFX90A:ACCUM_OFFSET: 0
; COMPUTE_PGM_RSRC3_GFX90A:TG_SPLIT: 0
	.section	.text._ZN7rocprim17ROCPRIM_400000_NS6detail17trampoline_kernelINS0_14default_configENS1_35radix_sort_onesweep_config_selectorIfNS0_10empty_typeEEEZZNS1_29radix_sort_onesweep_iterationIS3_Lb0EPfS8_PS5_S9_mNS0_19identity_decomposerENS1_16block_id_wrapperIjLb1EEEEE10hipError_tT1_PNSt15iterator_traitsISE_E10value_typeET2_T3_PNSF_ISK_E10value_typeET4_T5_PSP_SQ_PNS1_23onesweep_lookback_stateEbbT6_jjT7_P12ihipStream_tbENKUlT_T0_SE_SJ_E_clIS8_S8_S9_S9_EEDaSX_SY_SE_SJ_EUlSX_E_NS1_11comp_targetILNS1_3genE5ELNS1_11target_archE942ELNS1_3gpuE9ELNS1_3repE0EEENS1_47radix_sort_onesweep_sort_config_static_selectorELNS0_4arch9wavefront6targetE1EEEvSE_,"axG",@progbits,_ZN7rocprim17ROCPRIM_400000_NS6detail17trampoline_kernelINS0_14default_configENS1_35radix_sort_onesweep_config_selectorIfNS0_10empty_typeEEEZZNS1_29radix_sort_onesweep_iterationIS3_Lb0EPfS8_PS5_S9_mNS0_19identity_decomposerENS1_16block_id_wrapperIjLb1EEEEE10hipError_tT1_PNSt15iterator_traitsISE_E10value_typeET2_T3_PNSF_ISK_E10value_typeET4_T5_PSP_SQ_PNS1_23onesweep_lookback_stateEbbT6_jjT7_P12ihipStream_tbENKUlT_T0_SE_SJ_E_clIS8_S8_S9_S9_EEDaSX_SY_SE_SJ_EUlSX_E_NS1_11comp_targetILNS1_3genE5ELNS1_11target_archE942ELNS1_3gpuE9ELNS1_3repE0EEENS1_47radix_sort_onesweep_sort_config_static_selectorELNS0_4arch9wavefront6targetE1EEEvSE_,comdat
	.protected	_ZN7rocprim17ROCPRIM_400000_NS6detail17trampoline_kernelINS0_14default_configENS1_35radix_sort_onesweep_config_selectorIfNS0_10empty_typeEEEZZNS1_29radix_sort_onesweep_iterationIS3_Lb0EPfS8_PS5_S9_mNS0_19identity_decomposerENS1_16block_id_wrapperIjLb1EEEEE10hipError_tT1_PNSt15iterator_traitsISE_E10value_typeET2_T3_PNSF_ISK_E10value_typeET4_T5_PSP_SQ_PNS1_23onesweep_lookback_stateEbbT6_jjT7_P12ihipStream_tbENKUlT_T0_SE_SJ_E_clIS8_S8_S9_S9_EEDaSX_SY_SE_SJ_EUlSX_E_NS1_11comp_targetILNS1_3genE5ELNS1_11target_archE942ELNS1_3gpuE9ELNS1_3repE0EEENS1_47radix_sort_onesweep_sort_config_static_selectorELNS0_4arch9wavefront6targetE1EEEvSE_ ; -- Begin function _ZN7rocprim17ROCPRIM_400000_NS6detail17trampoline_kernelINS0_14default_configENS1_35radix_sort_onesweep_config_selectorIfNS0_10empty_typeEEEZZNS1_29radix_sort_onesweep_iterationIS3_Lb0EPfS8_PS5_S9_mNS0_19identity_decomposerENS1_16block_id_wrapperIjLb1EEEEE10hipError_tT1_PNSt15iterator_traitsISE_E10value_typeET2_T3_PNSF_ISK_E10value_typeET4_T5_PSP_SQ_PNS1_23onesweep_lookback_stateEbbT6_jjT7_P12ihipStream_tbENKUlT_T0_SE_SJ_E_clIS8_S8_S9_S9_EEDaSX_SY_SE_SJ_EUlSX_E_NS1_11comp_targetILNS1_3genE5ELNS1_11target_archE942ELNS1_3gpuE9ELNS1_3repE0EEENS1_47radix_sort_onesweep_sort_config_static_selectorELNS0_4arch9wavefront6targetE1EEEvSE_
	.globl	_ZN7rocprim17ROCPRIM_400000_NS6detail17trampoline_kernelINS0_14default_configENS1_35radix_sort_onesweep_config_selectorIfNS0_10empty_typeEEEZZNS1_29radix_sort_onesweep_iterationIS3_Lb0EPfS8_PS5_S9_mNS0_19identity_decomposerENS1_16block_id_wrapperIjLb1EEEEE10hipError_tT1_PNSt15iterator_traitsISE_E10value_typeET2_T3_PNSF_ISK_E10value_typeET4_T5_PSP_SQ_PNS1_23onesweep_lookback_stateEbbT6_jjT7_P12ihipStream_tbENKUlT_T0_SE_SJ_E_clIS8_S8_S9_S9_EEDaSX_SY_SE_SJ_EUlSX_E_NS1_11comp_targetILNS1_3genE5ELNS1_11target_archE942ELNS1_3gpuE9ELNS1_3repE0EEENS1_47radix_sort_onesweep_sort_config_static_selectorELNS0_4arch9wavefront6targetE1EEEvSE_
	.p2align	8
	.type	_ZN7rocprim17ROCPRIM_400000_NS6detail17trampoline_kernelINS0_14default_configENS1_35radix_sort_onesweep_config_selectorIfNS0_10empty_typeEEEZZNS1_29radix_sort_onesweep_iterationIS3_Lb0EPfS8_PS5_S9_mNS0_19identity_decomposerENS1_16block_id_wrapperIjLb1EEEEE10hipError_tT1_PNSt15iterator_traitsISE_E10value_typeET2_T3_PNSF_ISK_E10value_typeET4_T5_PSP_SQ_PNS1_23onesweep_lookback_stateEbbT6_jjT7_P12ihipStream_tbENKUlT_T0_SE_SJ_E_clIS8_S8_S9_S9_EEDaSX_SY_SE_SJ_EUlSX_E_NS1_11comp_targetILNS1_3genE5ELNS1_11target_archE942ELNS1_3gpuE9ELNS1_3repE0EEENS1_47radix_sort_onesweep_sort_config_static_selectorELNS0_4arch9wavefront6targetE1EEEvSE_,@function
_ZN7rocprim17ROCPRIM_400000_NS6detail17trampoline_kernelINS0_14default_configENS1_35radix_sort_onesweep_config_selectorIfNS0_10empty_typeEEEZZNS1_29radix_sort_onesweep_iterationIS3_Lb0EPfS8_PS5_S9_mNS0_19identity_decomposerENS1_16block_id_wrapperIjLb1EEEEE10hipError_tT1_PNSt15iterator_traitsISE_E10value_typeET2_T3_PNSF_ISK_E10value_typeET4_T5_PSP_SQ_PNS1_23onesweep_lookback_stateEbbT6_jjT7_P12ihipStream_tbENKUlT_T0_SE_SJ_E_clIS8_S8_S9_S9_EEDaSX_SY_SE_SJ_EUlSX_E_NS1_11comp_targetILNS1_3genE5ELNS1_11target_archE942ELNS1_3gpuE9ELNS1_3repE0EEENS1_47radix_sort_onesweep_sort_config_static_selectorELNS0_4arch9wavefront6targetE1EEEvSE_: ; @_ZN7rocprim17ROCPRIM_400000_NS6detail17trampoline_kernelINS0_14default_configENS1_35radix_sort_onesweep_config_selectorIfNS0_10empty_typeEEEZZNS1_29radix_sort_onesweep_iterationIS3_Lb0EPfS8_PS5_S9_mNS0_19identity_decomposerENS1_16block_id_wrapperIjLb1EEEEE10hipError_tT1_PNSt15iterator_traitsISE_E10value_typeET2_T3_PNSF_ISK_E10value_typeET4_T5_PSP_SQ_PNS1_23onesweep_lookback_stateEbbT6_jjT7_P12ihipStream_tbENKUlT_T0_SE_SJ_E_clIS8_S8_S9_S9_EEDaSX_SY_SE_SJ_EUlSX_E_NS1_11comp_targetILNS1_3genE5ELNS1_11target_archE942ELNS1_3gpuE9ELNS1_3repE0EEENS1_47radix_sort_onesweep_sort_config_static_selectorELNS0_4arch9wavefront6targetE1EEEvSE_
; %bb.0:
	.section	.rodata,"a",@progbits
	.p2align	6, 0x0
	.amdhsa_kernel _ZN7rocprim17ROCPRIM_400000_NS6detail17trampoline_kernelINS0_14default_configENS1_35radix_sort_onesweep_config_selectorIfNS0_10empty_typeEEEZZNS1_29radix_sort_onesweep_iterationIS3_Lb0EPfS8_PS5_S9_mNS0_19identity_decomposerENS1_16block_id_wrapperIjLb1EEEEE10hipError_tT1_PNSt15iterator_traitsISE_E10value_typeET2_T3_PNSF_ISK_E10value_typeET4_T5_PSP_SQ_PNS1_23onesweep_lookback_stateEbbT6_jjT7_P12ihipStream_tbENKUlT_T0_SE_SJ_E_clIS8_S8_S9_S9_EEDaSX_SY_SE_SJ_EUlSX_E_NS1_11comp_targetILNS1_3genE5ELNS1_11target_archE942ELNS1_3gpuE9ELNS1_3repE0EEENS1_47radix_sort_onesweep_sort_config_static_selectorELNS0_4arch9wavefront6targetE1EEEvSE_
		.amdhsa_group_segment_fixed_size 0
		.amdhsa_private_segment_fixed_size 0
		.amdhsa_kernarg_size 88
		.amdhsa_user_sgpr_count 6
		.amdhsa_user_sgpr_private_segment_buffer 1
		.amdhsa_user_sgpr_dispatch_ptr 0
		.amdhsa_user_sgpr_queue_ptr 0
		.amdhsa_user_sgpr_kernarg_segment_ptr 1
		.amdhsa_user_sgpr_dispatch_id 0
		.amdhsa_user_sgpr_flat_scratch_init 0
		.amdhsa_user_sgpr_kernarg_preload_length 0
		.amdhsa_user_sgpr_kernarg_preload_offset 0
		.amdhsa_user_sgpr_private_segment_size 0
		.amdhsa_uses_dynamic_stack 0
		.amdhsa_system_sgpr_private_segment_wavefront_offset 0
		.amdhsa_system_sgpr_workgroup_id_x 1
		.amdhsa_system_sgpr_workgroup_id_y 0
		.amdhsa_system_sgpr_workgroup_id_z 0
		.amdhsa_system_sgpr_workgroup_info 0
		.amdhsa_system_vgpr_workitem_id 0
		.amdhsa_next_free_vgpr 1
		.amdhsa_next_free_sgpr 0
		.amdhsa_accum_offset 4
		.amdhsa_reserve_vcc 0
		.amdhsa_reserve_flat_scratch 0
		.amdhsa_float_round_mode_32 0
		.amdhsa_float_round_mode_16_64 0
		.amdhsa_float_denorm_mode_32 3
		.amdhsa_float_denorm_mode_16_64 3
		.amdhsa_dx10_clamp 1
		.amdhsa_ieee_mode 1
		.amdhsa_fp16_overflow 0
		.amdhsa_tg_split 0
		.amdhsa_exception_fp_ieee_invalid_op 0
		.amdhsa_exception_fp_denorm_src 0
		.amdhsa_exception_fp_ieee_div_zero 0
		.amdhsa_exception_fp_ieee_overflow 0
		.amdhsa_exception_fp_ieee_underflow 0
		.amdhsa_exception_fp_ieee_inexact 0
		.amdhsa_exception_int_div_zero 0
	.end_amdhsa_kernel
	.section	.text._ZN7rocprim17ROCPRIM_400000_NS6detail17trampoline_kernelINS0_14default_configENS1_35radix_sort_onesweep_config_selectorIfNS0_10empty_typeEEEZZNS1_29radix_sort_onesweep_iterationIS3_Lb0EPfS8_PS5_S9_mNS0_19identity_decomposerENS1_16block_id_wrapperIjLb1EEEEE10hipError_tT1_PNSt15iterator_traitsISE_E10value_typeET2_T3_PNSF_ISK_E10value_typeET4_T5_PSP_SQ_PNS1_23onesweep_lookback_stateEbbT6_jjT7_P12ihipStream_tbENKUlT_T0_SE_SJ_E_clIS8_S8_S9_S9_EEDaSX_SY_SE_SJ_EUlSX_E_NS1_11comp_targetILNS1_3genE5ELNS1_11target_archE942ELNS1_3gpuE9ELNS1_3repE0EEENS1_47radix_sort_onesweep_sort_config_static_selectorELNS0_4arch9wavefront6targetE1EEEvSE_,"axG",@progbits,_ZN7rocprim17ROCPRIM_400000_NS6detail17trampoline_kernelINS0_14default_configENS1_35radix_sort_onesweep_config_selectorIfNS0_10empty_typeEEEZZNS1_29radix_sort_onesweep_iterationIS3_Lb0EPfS8_PS5_S9_mNS0_19identity_decomposerENS1_16block_id_wrapperIjLb1EEEEE10hipError_tT1_PNSt15iterator_traitsISE_E10value_typeET2_T3_PNSF_ISK_E10value_typeET4_T5_PSP_SQ_PNS1_23onesweep_lookback_stateEbbT6_jjT7_P12ihipStream_tbENKUlT_T0_SE_SJ_E_clIS8_S8_S9_S9_EEDaSX_SY_SE_SJ_EUlSX_E_NS1_11comp_targetILNS1_3genE5ELNS1_11target_archE942ELNS1_3gpuE9ELNS1_3repE0EEENS1_47radix_sort_onesweep_sort_config_static_selectorELNS0_4arch9wavefront6targetE1EEEvSE_,comdat
.Lfunc_end1288:
	.size	_ZN7rocprim17ROCPRIM_400000_NS6detail17trampoline_kernelINS0_14default_configENS1_35radix_sort_onesweep_config_selectorIfNS0_10empty_typeEEEZZNS1_29radix_sort_onesweep_iterationIS3_Lb0EPfS8_PS5_S9_mNS0_19identity_decomposerENS1_16block_id_wrapperIjLb1EEEEE10hipError_tT1_PNSt15iterator_traitsISE_E10value_typeET2_T3_PNSF_ISK_E10value_typeET4_T5_PSP_SQ_PNS1_23onesweep_lookback_stateEbbT6_jjT7_P12ihipStream_tbENKUlT_T0_SE_SJ_E_clIS8_S8_S9_S9_EEDaSX_SY_SE_SJ_EUlSX_E_NS1_11comp_targetILNS1_3genE5ELNS1_11target_archE942ELNS1_3gpuE9ELNS1_3repE0EEENS1_47radix_sort_onesweep_sort_config_static_selectorELNS0_4arch9wavefront6targetE1EEEvSE_, .Lfunc_end1288-_ZN7rocprim17ROCPRIM_400000_NS6detail17trampoline_kernelINS0_14default_configENS1_35radix_sort_onesweep_config_selectorIfNS0_10empty_typeEEEZZNS1_29radix_sort_onesweep_iterationIS3_Lb0EPfS8_PS5_S9_mNS0_19identity_decomposerENS1_16block_id_wrapperIjLb1EEEEE10hipError_tT1_PNSt15iterator_traitsISE_E10value_typeET2_T3_PNSF_ISK_E10value_typeET4_T5_PSP_SQ_PNS1_23onesweep_lookback_stateEbbT6_jjT7_P12ihipStream_tbENKUlT_T0_SE_SJ_E_clIS8_S8_S9_S9_EEDaSX_SY_SE_SJ_EUlSX_E_NS1_11comp_targetILNS1_3genE5ELNS1_11target_archE942ELNS1_3gpuE9ELNS1_3repE0EEENS1_47radix_sort_onesweep_sort_config_static_selectorELNS0_4arch9wavefront6targetE1EEEvSE_
                                        ; -- End function
	.section	.AMDGPU.csdata,"",@progbits
; Kernel info:
; codeLenInByte = 0
; NumSgprs: 4
; NumVgprs: 0
; NumAgprs: 0
; TotalNumVgprs: 0
; ScratchSize: 0
; MemoryBound: 0
; FloatMode: 240
; IeeeMode: 1
; LDSByteSize: 0 bytes/workgroup (compile time only)
; SGPRBlocks: 0
; VGPRBlocks: 0
; NumSGPRsForWavesPerEU: 4
; NumVGPRsForWavesPerEU: 1
; AccumOffset: 4
; Occupancy: 8
; WaveLimiterHint : 0
; COMPUTE_PGM_RSRC2:SCRATCH_EN: 0
; COMPUTE_PGM_RSRC2:USER_SGPR: 6
; COMPUTE_PGM_RSRC2:TRAP_HANDLER: 0
; COMPUTE_PGM_RSRC2:TGID_X_EN: 1
; COMPUTE_PGM_RSRC2:TGID_Y_EN: 0
; COMPUTE_PGM_RSRC2:TGID_Z_EN: 0
; COMPUTE_PGM_RSRC2:TIDIG_COMP_CNT: 0
; COMPUTE_PGM_RSRC3_GFX90A:ACCUM_OFFSET: 0
; COMPUTE_PGM_RSRC3_GFX90A:TG_SPLIT: 0
	.section	.text._ZN7rocprim17ROCPRIM_400000_NS6detail17trampoline_kernelINS0_14default_configENS1_35radix_sort_onesweep_config_selectorIfNS0_10empty_typeEEEZZNS1_29radix_sort_onesweep_iterationIS3_Lb0EPfS8_PS5_S9_mNS0_19identity_decomposerENS1_16block_id_wrapperIjLb1EEEEE10hipError_tT1_PNSt15iterator_traitsISE_E10value_typeET2_T3_PNSF_ISK_E10value_typeET4_T5_PSP_SQ_PNS1_23onesweep_lookback_stateEbbT6_jjT7_P12ihipStream_tbENKUlT_T0_SE_SJ_E_clIS8_S8_S9_S9_EEDaSX_SY_SE_SJ_EUlSX_E_NS1_11comp_targetILNS1_3genE2ELNS1_11target_archE906ELNS1_3gpuE6ELNS1_3repE0EEENS1_47radix_sort_onesweep_sort_config_static_selectorELNS0_4arch9wavefront6targetE1EEEvSE_,"axG",@progbits,_ZN7rocprim17ROCPRIM_400000_NS6detail17trampoline_kernelINS0_14default_configENS1_35radix_sort_onesweep_config_selectorIfNS0_10empty_typeEEEZZNS1_29radix_sort_onesweep_iterationIS3_Lb0EPfS8_PS5_S9_mNS0_19identity_decomposerENS1_16block_id_wrapperIjLb1EEEEE10hipError_tT1_PNSt15iterator_traitsISE_E10value_typeET2_T3_PNSF_ISK_E10value_typeET4_T5_PSP_SQ_PNS1_23onesweep_lookback_stateEbbT6_jjT7_P12ihipStream_tbENKUlT_T0_SE_SJ_E_clIS8_S8_S9_S9_EEDaSX_SY_SE_SJ_EUlSX_E_NS1_11comp_targetILNS1_3genE2ELNS1_11target_archE906ELNS1_3gpuE6ELNS1_3repE0EEENS1_47radix_sort_onesweep_sort_config_static_selectorELNS0_4arch9wavefront6targetE1EEEvSE_,comdat
	.protected	_ZN7rocprim17ROCPRIM_400000_NS6detail17trampoline_kernelINS0_14default_configENS1_35radix_sort_onesweep_config_selectorIfNS0_10empty_typeEEEZZNS1_29radix_sort_onesweep_iterationIS3_Lb0EPfS8_PS5_S9_mNS0_19identity_decomposerENS1_16block_id_wrapperIjLb1EEEEE10hipError_tT1_PNSt15iterator_traitsISE_E10value_typeET2_T3_PNSF_ISK_E10value_typeET4_T5_PSP_SQ_PNS1_23onesweep_lookback_stateEbbT6_jjT7_P12ihipStream_tbENKUlT_T0_SE_SJ_E_clIS8_S8_S9_S9_EEDaSX_SY_SE_SJ_EUlSX_E_NS1_11comp_targetILNS1_3genE2ELNS1_11target_archE906ELNS1_3gpuE6ELNS1_3repE0EEENS1_47radix_sort_onesweep_sort_config_static_selectorELNS0_4arch9wavefront6targetE1EEEvSE_ ; -- Begin function _ZN7rocprim17ROCPRIM_400000_NS6detail17trampoline_kernelINS0_14default_configENS1_35radix_sort_onesweep_config_selectorIfNS0_10empty_typeEEEZZNS1_29radix_sort_onesweep_iterationIS3_Lb0EPfS8_PS5_S9_mNS0_19identity_decomposerENS1_16block_id_wrapperIjLb1EEEEE10hipError_tT1_PNSt15iterator_traitsISE_E10value_typeET2_T3_PNSF_ISK_E10value_typeET4_T5_PSP_SQ_PNS1_23onesweep_lookback_stateEbbT6_jjT7_P12ihipStream_tbENKUlT_T0_SE_SJ_E_clIS8_S8_S9_S9_EEDaSX_SY_SE_SJ_EUlSX_E_NS1_11comp_targetILNS1_3genE2ELNS1_11target_archE906ELNS1_3gpuE6ELNS1_3repE0EEENS1_47radix_sort_onesweep_sort_config_static_selectorELNS0_4arch9wavefront6targetE1EEEvSE_
	.globl	_ZN7rocprim17ROCPRIM_400000_NS6detail17trampoline_kernelINS0_14default_configENS1_35radix_sort_onesweep_config_selectorIfNS0_10empty_typeEEEZZNS1_29radix_sort_onesweep_iterationIS3_Lb0EPfS8_PS5_S9_mNS0_19identity_decomposerENS1_16block_id_wrapperIjLb1EEEEE10hipError_tT1_PNSt15iterator_traitsISE_E10value_typeET2_T3_PNSF_ISK_E10value_typeET4_T5_PSP_SQ_PNS1_23onesweep_lookback_stateEbbT6_jjT7_P12ihipStream_tbENKUlT_T0_SE_SJ_E_clIS8_S8_S9_S9_EEDaSX_SY_SE_SJ_EUlSX_E_NS1_11comp_targetILNS1_3genE2ELNS1_11target_archE906ELNS1_3gpuE6ELNS1_3repE0EEENS1_47radix_sort_onesweep_sort_config_static_selectorELNS0_4arch9wavefront6targetE1EEEvSE_
	.p2align	8
	.type	_ZN7rocprim17ROCPRIM_400000_NS6detail17trampoline_kernelINS0_14default_configENS1_35radix_sort_onesweep_config_selectorIfNS0_10empty_typeEEEZZNS1_29radix_sort_onesweep_iterationIS3_Lb0EPfS8_PS5_S9_mNS0_19identity_decomposerENS1_16block_id_wrapperIjLb1EEEEE10hipError_tT1_PNSt15iterator_traitsISE_E10value_typeET2_T3_PNSF_ISK_E10value_typeET4_T5_PSP_SQ_PNS1_23onesweep_lookback_stateEbbT6_jjT7_P12ihipStream_tbENKUlT_T0_SE_SJ_E_clIS8_S8_S9_S9_EEDaSX_SY_SE_SJ_EUlSX_E_NS1_11comp_targetILNS1_3genE2ELNS1_11target_archE906ELNS1_3gpuE6ELNS1_3repE0EEENS1_47radix_sort_onesweep_sort_config_static_selectorELNS0_4arch9wavefront6targetE1EEEvSE_,@function
_ZN7rocprim17ROCPRIM_400000_NS6detail17trampoline_kernelINS0_14default_configENS1_35radix_sort_onesweep_config_selectorIfNS0_10empty_typeEEEZZNS1_29radix_sort_onesweep_iterationIS3_Lb0EPfS8_PS5_S9_mNS0_19identity_decomposerENS1_16block_id_wrapperIjLb1EEEEE10hipError_tT1_PNSt15iterator_traitsISE_E10value_typeET2_T3_PNSF_ISK_E10value_typeET4_T5_PSP_SQ_PNS1_23onesweep_lookback_stateEbbT6_jjT7_P12ihipStream_tbENKUlT_T0_SE_SJ_E_clIS8_S8_S9_S9_EEDaSX_SY_SE_SJ_EUlSX_E_NS1_11comp_targetILNS1_3genE2ELNS1_11target_archE906ELNS1_3gpuE6ELNS1_3repE0EEENS1_47radix_sort_onesweep_sort_config_static_selectorELNS0_4arch9wavefront6targetE1EEEvSE_: ; @_ZN7rocprim17ROCPRIM_400000_NS6detail17trampoline_kernelINS0_14default_configENS1_35radix_sort_onesweep_config_selectorIfNS0_10empty_typeEEEZZNS1_29radix_sort_onesweep_iterationIS3_Lb0EPfS8_PS5_S9_mNS0_19identity_decomposerENS1_16block_id_wrapperIjLb1EEEEE10hipError_tT1_PNSt15iterator_traitsISE_E10value_typeET2_T3_PNSF_ISK_E10value_typeET4_T5_PSP_SQ_PNS1_23onesweep_lookback_stateEbbT6_jjT7_P12ihipStream_tbENKUlT_T0_SE_SJ_E_clIS8_S8_S9_S9_EEDaSX_SY_SE_SJ_EUlSX_E_NS1_11comp_targetILNS1_3genE2ELNS1_11target_archE906ELNS1_3gpuE6ELNS1_3repE0EEENS1_47radix_sort_onesweep_sort_config_static_selectorELNS0_4arch9wavefront6targetE1EEEvSE_
; %bb.0:
	.section	.rodata,"a",@progbits
	.p2align	6, 0x0
	.amdhsa_kernel _ZN7rocprim17ROCPRIM_400000_NS6detail17trampoline_kernelINS0_14default_configENS1_35radix_sort_onesweep_config_selectorIfNS0_10empty_typeEEEZZNS1_29radix_sort_onesweep_iterationIS3_Lb0EPfS8_PS5_S9_mNS0_19identity_decomposerENS1_16block_id_wrapperIjLb1EEEEE10hipError_tT1_PNSt15iterator_traitsISE_E10value_typeET2_T3_PNSF_ISK_E10value_typeET4_T5_PSP_SQ_PNS1_23onesweep_lookback_stateEbbT6_jjT7_P12ihipStream_tbENKUlT_T0_SE_SJ_E_clIS8_S8_S9_S9_EEDaSX_SY_SE_SJ_EUlSX_E_NS1_11comp_targetILNS1_3genE2ELNS1_11target_archE906ELNS1_3gpuE6ELNS1_3repE0EEENS1_47radix_sort_onesweep_sort_config_static_selectorELNS0_4arch9wavefront6targetE1EEEvSE_
		.amdhsa_group_segment_fixed_size 0
		.amdhsa_private_segment_fixed_size 0
		.amdhsa_kernarg_size 88
		.amdhsa_user_sgpr_count 6
		.amdhsa_user_sgpr_private_segment_buffer 1
		.amdhsa_user_sgpr_dispatch_ptr 0
		.amdhsa_user_sgpr_queue_ptr 0
		.amdhsa_user_sgpr_kernarg_segment_ptr 1
		.amdhsa_user_sgpr_dispatch_id 0
		.amdhsa_user_sgpr_flat_scratch_init 0
		.amdhsa_user_sgpr_kernarg_preload_length 0
		.amdhsa_user_sgpr_kernarg_preload_offset 0
		.amdhsa_user_sgpr_private_segment_size 0
		.amdhsa_uses_dynamic_stack 0
		.amdhsa_system_sgpr_private_segment_wavefront_offset 0
		.amdhsa_system_sgpr_workgroup_id_x 1
		.amdhsa_system_sgpr_workgroup_id_y 0
		.amdhsa_system_sgpr_workgroup_id_z 0
		.amdhsa_system_sgpr_workgroup_info 0
		.amdhsa_system_vgpr_workitem_id 0
		.amdhsa_next_free_vgpr 1
		.amdhsa_next_free_sgpr 0
		.amdhsa_accum_offset 4
		.amdhsa_reserve_vcc 0
		.amdhsa_reserve_flat_scratch 0
		.amdhsa_float_round_mode_32 0
		.amdhsa_float_round_mode_16_64 0
		.amdhsa_float_denorm_mode_32 3
		.amdhsa_float_denorm_mode_16_64 3
		.amdhsa_dx10_clamp 1
		.amdhsa_ieee_mode 1
		.amdhsa_fp16_overflow 0
		.amdhsa_tg_split 0
		.amdhsa_exception_fp_ieee_invalid_op 0
		.amdhsa_exception_fp_denorm_src 0
		.amdhsa_exception_fp_ieee_div_zero 0
		.amdhsa_exception_fp_ieee_overflow 0
		.amdhsa_exception_fp_ieee_underflow 0
		.amdhsa_exception_fp_ieee_inexact 0
		.amdhsa_exception_int_div_zero 0
	.end_amdhsa_kernel
	.section	.text._ZN7rocprim17ROCPRIM_400000_NS6detail17trampoline_kernelINS0_14default_configENS1_35radix_sort_onesweep_config_selectorIfNS0_10empty_typeEEEZZNS1_29radix_sort_onesweep_iterationIS3_Lb0EPfS8_PS5_S9_mNS0_19identity_decomposerENS1_16block_id_wrapperIjLb1EEEEE10hipError_tT1_PNSt15iterator_traitsISE_E10value_typeET2_T3_PNSF_ISK_E10value_typeET4_T5_PSP_SQ_PNS1_23onesweep_lookback_stateEbbT6_jjT7_P12ihipStream_tbENKUlT_T0_SE_SJ_E_clIS8_S8_S9_S9_EEDaSX_SY_SE_SJ_EUlSX_E_NS1_11comp_targetILNS1_3genE2ELNS1_11target_archE906ELNS1_3gpuE6ELNS1_3repE0EEENS1_47radix_sort_onesweep_sort_config_static_selectorELNS0_4arch9wavefront6targetE1EEEvSE_,"axG",@progbits,_ZN7rocprim17ROCPRIM_400000_NS6detail17trampoline_kernelINS0_14default_configENS1_35radix_sort_onesweep_config_selectorIfNS0_10empty_typeEEEZZNS1_29radix_sort_onesweep_iterationIS3_Lb0EPfS8_PS5_S9_mNS0_19identity_decomposerENS1_16block_id_wrapperIjLb1EEEEE10hipError_tT1_PNSt15iterator_traitsISE_E10value_typeET2_T3_PNSF_ISK_E10value_typeET4_T5_PSP_SQ_PNS1_23onesweep_lookback_stateEbbT6_jjT7_P12ihipStream_tbENKUlT_T0_SE_SJ_E_clIS8_S8_S9_S9_EEDaSX_SY_SE_SJ_EUlSX_E_NS1_11comp_targetILNS1_3genE2ELNS1_11target_archE906ELNS1_3gpuE6ELNS1_3repE0EEENS1_47radix_sort_onesweep_sort_config_static_selectorELNS0_4arch9wavefront6targetE1EEEvSE_,comdat
.Lfunc_end1289:
	.size	_ZN7rocprim17ROCPRIM_400000_NS6detail17trampoline_kernelINS0_14default_configENS1_35radix_sort_onesweep_config_selectorIfNS0_10empty_typeEEEZZNS1_29radix_sort_onesweep_iterationIS3_Lb0EPfS8_PS5_S9_mNS0_19identity_decomposerENS1_16block_id_wrapperIjLb1EEEEE10hipError_tT1_PNSt15iterator_traitsISE_E10value_typeET2_T3_PNSF_ISK_E10value_typeET4_T5_PSP_SQ_PNS1_23onesweep_lookback_stateEbbT6_jjT7_P12ihipStream_tbENKUlT_T0_SE_SJ_E_clIS8_S8_S9_S9_EEDaSX_SY_SE_SJ_EUlSX_E_NS1_11comp_targetILNS1_3genE2ELNS1_11target_archE906ELNS1_3gpuE6ELNS1_3repE0EEENS1_47radix_sort_onesweep_sort_config_static_selectorELNS0_4arch9wavefront6targetE1EEEvSE_, .Lfunc_end1289-_ZN7rocprim17ROCPRIM_400000_NS6detail17trampoline_kernelINS0_14default_configENS1_35radix_sort_onesweep_config_selectorIfNS0_10empty_typeEEEZZNS1_29radix_sort_onesweep_iterationIS3_Lb0EPfS8_PS5_S9_mNS0_19identity_decomposerENS1_16block_id_wrapperIjLb1EEEEE10hipError_tT1_PNSt15iterator_traitsISE_E10value_typeET2_T3_PNSF_ISK_E10value_typeET4_T5_PSP_SQ_PNS1_23onesweep_lookback_stateEbbT6_jjT7_P12ihipStream_tbENKUlT_T0_SE_SJ_E_clIS8_S8_S9_S9_EEDaSX_SY_SE_SJ_EUlSX_E_NS1_11comp_targetILNS1_3genE2ELNS1_11target_archE906ELNS1_3gpuE6ELNS1_3repE0EEENS1_47radix_sort_onesweep_sort_config_static_selectorELNS0_4arch9wavefront6targetE1EEEvSE_
                                        ; -- End function
	.section	.AMDGPU.csdata,"",@progbits
; Kernel info:
; codeLenInByte = 0
; NumSgprs: 4
; NumVgprs: 0
; NumAgprs: 0
; TotalNumVgprs: 0
; ScratchSize: 0
; MemoryBound: 0
; FloatMode: 240
; IeeeMode: 1
; LDSByteSize: 0 bytes/workgroup (compile time only)
; SGPRBlocks: 0
; VGPRBlocks: 0
; NumSGPRsForWavesPerEU: 4
; NumVGPRsForWavesPerEU: 1
; AccumOffset: 4
; Occupancy: 8
; WaveLimiterHint : 0
; COMPUTE_PGM_RSRC2:SCRATCH_EN: 0
; COMPUTE_PGM_RSRC2:USER_SGPR: 6
; COMPUTE_PGM_RSRC2:TRAP_HANDLER: 0
; COMPUTE_PGM_RSRC2:TGID_X_EN: 1
; COMPUTE_PGM_RSRC2:TGID_Y_EN: 0
; COMPUTE_PGM_RSRC2:TGID_Z_EN: 0
; COMPUTE_PGM_RSRC2:TIDIG_COMP_CNT: 0
; COMPUTE_PGM_RSRC3_GFX90A:ACCUM_OFFSET: 0
; COMPUTE_PGM_RSRC3_GFX90A:TG_SPLIT: 0
	.section	.text._ZN7rocprim17ROCPRIM_400000_NS6detail17trampoline_kernelINS0_14default_configENS1_35radix_sort_onesweep_config_selectorIfNS0_10empty_typeEEEZZNS1_29radix_sort_onesweep_iterationIS3_Lb0EPfS8_PS5_S9_mNS0_19identity_decomposerENS1_16block_id_wrapperIjLb1EEEEE10hipError_tT1_PNSt15iterator_traitsISE_E10value_typeET2_T3_PNSF_ISK_E10value_typeET4_T5_PSP_SQ_PNS1_23onesweep_lookback_stateEbbT6_jjT7_P12ihipStream_tbENKUlT_T0_SE_SJ_E_clIS8_S8_S9_S9_EEDaSX_SY_SE_SJ_EUlSX_E_NS1_11comp_targetILNS1_3genE4ELNS1_11target_archE910ELNS1_3gpuE8ELNS1_3repE0EEENS1_47radix_sort_onesweep_sort_config_static_selectorELNS0_4arch9wavefront6targetE1EEEvSE_,"axG",@progbits,_ZN7rocprim17ROCPRIM_400000_NS6detail17trampoline_kernelINS0_14default_configENS1_35radix_sort_onesweep_config_selectorIfNS0_10empty_typeEEEZZNS1_29radix_sort_onesweep_iterationIS3_Lb0EPfS8_PS5_S9_mNS0_19identity_decomposerENS1_16block_id_wrapperIjLb1EEEEE10hipError_tT1_PNSt15iterator_traitsISE_E10value_typeET2_T3_PNSF_ISK_E10value_typeET4_T5_PSP_SQ_PNS1_23onesweep_lookback_stateEbbT6_jjT7_P12ihipStream_tbENKUlT_T0_SE_SJ_E_clIS8_S8_S9_S9_EEDaSX_SY_SE_SJ_EUlSX_E_NS1_11comp_targetILNS1_3genE4ELNS1_11target_archE910ELNS1_3gpuE8ELNS1_3repE0EEENS1_47radix_sort_onesweep_sort_config_static_selectorELNS0_4arch9wavefront6targetE1EEEvSE_,comdat
	.protected	_ZN7rocprim17ROCPRIM_400000_NS6detail17trampoline_kernelINS0_14default_configENS1_35radix_sort_onesweep_config_selectorIfNS0_10empty_typeEEEZZNS1_29radix_sort_onesweep_iterationIS3_Lb0EPfS8_PS5_S9_mNS0_19identity_decomposerENS1_16block_id_wrapperIjLb1EEEEE10hipError_tT1_PNSt15iterator_traitsISE_E10value_typeET2_T3_PNSF_ISK_E10value_typeET4_T5_PSP_SQ_PNS1_23onesweep_lookback_stateEbbT6_jjT7_P12ihipStream_tbENKUlT_T0_SE_SJ_E_clIS8_S8_S9_S9_EEDaSX_SY_SE_SJ_EUlSX_E_NS1_11comp_targetILNS1_3genE4ELNS1_11target_archE910ELNS1_3gpuE8ELNS1_3repE0EEENS1_47radix_sort_onesweep_sort_config_static_selectorELNS0_4arch9wavefront6targetE1EEEvSE_ ; -- Begin function _ZN7rocprim17ROCPRIM_400000_NS6detail17trampoline_kernelINS0_14default_configENS1_35radix_sort_onesweep_config_selectorIfNS0_10empty_typeEEEZZNS1_29radix_sort_onesweep_iterationIS3_Lb0EPfS8_PS5_S9_mNS0_19identity_decomposerENS1_16block_id_wrapperIjLb1EEEEE10hipError_tT1_PNSt15iterator_traitsISE_E10value_typeET2_T3_PNSF_ISK_E10value_typeET4_T5_PSP_SQ_PNS1_23onesweep_lookback_stateEbbT6_jjT7_P12ihipStream_tbENKUlT_T0_SE_SJ_E_clIS8_S8_S9_S9_EEDaSX_SY_SE_SJ_EUlSX_E_NS1_11comp_targetILNS1_3genE4ELNS1_11target_archE910ELNS1_3gpuE8ELNS1_3repE0EEENS1_47radix_sort_onesweep_sort_config_static_selectorELNS0_4arch9wavefront6targetE1EEEvSE_
	.globl	_ZN7rocprim17ROCPRIM_400000_NS6detail17trampoline_kernelINS0_14default_configENS1_35radix_sort_onesweep_config_selectorIfNS0_10empty_typeEEEZZNS1_29radix_sort_onesweep_iterationIS3_Lb0EPfS8_PS5_S9_mNS0_19identity_decomposerENS1_16block_id_wrapperIjLb1EEEEE10hipError_tT1_PNSt15iterator_traitsISE_E10value_typeET2_T3_PNSF_ISK_E10value_typeET4_T5_PSP_SQ_PNS1_23onesweep_lookback_stateEbbT6_jjT7_P12ihipStream_tbENKUlT_T0_SE_SJ_E_clIS8_S8_S9_S9_EEDaSX_SY_SE_SJ_EUlSX_E_NS1_11comp_targetILNS1_3genE4ELNS1_11target_archE910ELNS1_3gpuE8ELNS1_3repE0EEENS1_47radix_sort_onesweep_sort_config_static_selectorELNS0_4arch9wavefront6targetE1EEEvSE_
	.p2align	8
	.type	_ZN7rocprim17ROCPRIM_400000_NS6detail17trampoline_kernelINS0_14default_configENS1_35radix_sort_onesweep_config_selectorIfNS0_10empty_typeEEEZZNS1_29radix_sort_onesweep_iterationIS3_Lb0EPfS8_PS5_S9_mNS0_19identity_decomposerENS1_16block_id_wrapperIjLb1EEEEE10hipError_tT1_PNSt15iterator_traitsISE_E10value_typeET2_T3_PNSF_ISK_E10value_typeET4_T5_PSP_SQ_PNS1_23onesweep_lookback_stateEbbT6_jjT7_P12ihipStream_tbENKUlT_T0_SE_SJ_E_clIS8_S8_S9_S9_EEDaSX_SY_SE_SJ_EUlSX_E_NS1_11comp_targetILNS1_3genE4ELNS1_11target_archE910ELNS1_3gpuE8ELNS1_3repE0EEENS1_47radix_sort_onesweep_sort_config_static_selectorELNS0_4arch9wavefront6targetE1EEEvSE_,@function
_ZN7rocprim17ROCPRIM_400000_NS6detail17trampoline_kernelINS0_14default_configENS1_35radix_sort_onesweep_config_selectorIfNS0_10empty_typeEEEZZNS1_29radix_sort_onesweep_iterationIS3_Lb0EPfS8_PS5_S9_mNS0_19identity_decomposerENS1_16block_id_wrapperIjLb1EEEEE10hipError_tT1_PNSt15iterator_traitsISE_E10value_typeET2_T3_PNSF_ISK_E10value_typeET4_T5_PSP_SQ_PNS1_23onesweep_lookback_stateEbbT6_jjT7_P12ihipStream_tbENKUlT_T0_SE_SJ_E_clIS8_S8_S9_S9_EEDaSX_SY_SE_SJ_EUlSX_E_NS1_11comp_targetILNS1_3genE4ELNS1_11target_archE910ELNS1_3gpuE8ELNS1_3repE0EEENS1_47radix_sort_onesweep_sort_config_static_selectorELNS0_4arch9wavefront6targetE1EEEvSE_: ; @_ZN7rocprim17ROCPRIM_400000_NS6detail17trampoline_kernelINS0_14default_configENS1_35radix_sort_onesweep_config_selectorIfNS0_10empty_typeEEEZZNS1_29radix_sort_onesweep_iterationIS3_Lb0EPfS8_PS5_S9_mNS0_19identity_decomposerENS1_16block_id_wrapperIjLb1EEEEE10hipError_tT1_PNSt15iterator_traitsISE_E10value_typeET2_T3_PNSF_ISK_E10value_typeET4_T5_PSP_SQ_PNS1_23onesweep_lookback_stateEbbT6_jjT7_P12ihipStream_tbENKUlT_T0_SE_SJ_E_clIS8_S8_S9_S9_EEDaSX_SY_SE_SJ_EUlSX_E_NS1_11comp_targetILNS1_3genE4ELNS1_11target_archE910ELNS1_3gpuE8ELNS1_3repE0EEENS1_47radix_sort_onesweep_sort_config_static_selectorELNS0_4arch9wavefront6targetE1EEEvSE_
; %bb.0:
	s_load_dwordx4 s[16:19], s[4:5], 0x28
	s_load_dwordx2 s[14:15], s[4:5], 0x38
	s_load_dwordx4 s[20:23], s[4:5], 0x44
	v_and_b32_e32 v2, 0x3ff, v0
	v_cmp_eq_u32_e64 s[0:1], 0, v2
	s_and_saveexec_b64 s[2:3], s[0:1]
	s_cbranch_execz .LBB1290_4
; %bb.1:
	s_mov_b64 s[10:11], exec
	v_mbcnt_lo_u32_b32 v1, s10, 0
	v_mbcnt_hi_u32_b32 v1, s11, v1
	v_cmp_eq_u32_e32 vcc, 0, v1
                                        ; implicit-def: $vgpr3
	s_and_saveexec_b64 s[8:9], vcc
	s_cbranch_execz .LBB1290_3
; %bb.2:
	s_load_dwordx2 s[12:13], s[4:5], 0x50
	s_bcnt1_i32_b64 s7, s[10:11]
	v_mov_b32_e32 v3, 0
	v_mov_b32_e32 v4, s7
	s_waitcnt lgkmcnt(0)
	global_atomic_add v3, v3, v4, s[12:13] glc
.LBB1290_3:
	s_or_b64 exec, exec, s[8:9]
	s_waitcnt vmcnt(0)
	v_readfirstlane_b32 s7, v3
	v_add_u32_e32 v1, s7, v1
	v_mov_b32_e32 v3, 0
	ds_write_b32 v3, v1 offset:20544
.LBB1290_4:
	s_or_b64 exec, exec, s[2:3]
	v_mov_b32_e32 v1, 0
	s_load_dwordx4 s[24:27], s[4:5], 0x0
	s_load_dword s2, s[4:5], 0x20
	s_waitcnt lgkmcnt(0)
	s_barrier
	ds_read_b32 v1, v1 offset:20544
	v_mbcnt_lo_u32_b32 v12, -1, 0
	s_waitcnt lgkmcnt(0)
	s_barrier
	v_readfirstlane_b32 s30, v1
	v_cmp_le_u32_e32 vcc, s22, v1
	s_mul_i32 s28, s30, 0x3000
	s_cbranch_vccz .LBB1290_85
; %bb.5:
	s_mul_i32 s7, s22, 0xffffd000
	s_mov_b32 s29, 0
	s_add_i32 s7, s7, s2
	s_lshl_b64 s[2:3], s[28:29], 2
	v_mbcnt_hi_u32_b32 v1, -1, v12
	s_add_u32 s2, s24, s2
	v_and_b32_e32 v3, 63, v1
	v_and_b32_e32 v4, 0x3c0, v2
	s_addc_u32 s3, s25, s3
	v_mul_u32_u24_e32 v6, 12, v4
	v_lshlrev_b32_e32 v4, 2, v3
	v_mov_b32_e32 v5, s3
	v_add_co_u32_e32 v4, vcc, s2, v4
	v_addc_co_u32_e32 v5, vcc, 0, v5, vcc
	v_lshlrev_b32_e32 v7, 2, v6
	v_add_co_u32_e32 v4, vcc, v4, v7
	v_addc_co_u32_e32 v5, vcc, 0, v5, vcc
	v_or_b32_e32 v3, v3, v6
	v_cmp_gt_u32_e32 vcc, s7, v3
	v_bfrev_b32_e32 v10, -2
	v_bfrev_b32_e32 v6, -2
	s_and_saveexec_b64 s[2:3], vcc
	s_cbranch_execz .LBB1290_7
; %bb.6:
	global_load_dword v6, v[4:5], off
.LBB1290_7:
	s_or_b64 exec, exec, s[2:3]
	v_or_b32_e32 v7, 64, v3
	v_cmp_gt_u32_e32 vcc, s7, v7
	s_and_saveexec_b64 s[2:3], vcc
	s_cbranch_execz .LBB1290_9
; %bb.8:
	global_load_dword v10, v[4:5], off offset:256
.LBB1290_9:
	s_or_b64 exec, exec, s[2:3]
	v_or_b32_e32 v7, 0x80, v3
	v_cmp_gt_u32_e32 vcc, s7, v7
	v_bfrev_b32_e32 v18, -2
	v_bfrev_b32_e32 v15, -2
	s_and_saveexec_b64 s[2:3], vcc
	s_cbranch_execz .LBB1290_11
; %bb.10:
	global_load_dword v15, v[4:5], off offset:512
.LBB1290_11:
	s_or_b64 exec, exec, s[2:3]
	v_or_b32_e32 v7, 0xc0, v3
	v_cmp_gt_u32_e32 vcc, s7, v7
	s_and_saveexec_b64 s[2:3], vcc
	s_cbranch_execz .LBB1290_13
; %bb.12:
	global_load_dword v18, v[4:5], off offset:768
.LBB1290_13:
	s_or_b64 exec, exec, s[2:3]
	v_add_u32_e32 v7, 0x100, v3
	v_cmp_gt_u32_e32 vcc, s7, v7
	v_bfrev_b32_e32 v24, -2
	v_bfrev_b32_e32 v21, -2
	s_and_saveexec_b64 s[2:3], vcc
	s_cbranch_execz .LBB1290_15
; %bb.14:
	global_load_dword v21, v[4:5], off offset:1024
.LBB1290_15:
	s_or_b64 exec, exec, s[2:3]
	v_add_u32_e32 v7, 0x140, v3
	v_cmp_gt_u32_e32 vcc, s7, v7
	s_and_saveexec_b64 s[2:3], vcc
	s_cbranch_execz .LBB1290_17
; %bb.16:
	global_load_dword v24, v[4:5], off offset:1280
.LBB1290_17:
	s_or_b64 exec, exec, s[2:3]
	v_add_u32_e32 v7, 0x180, v3
	v_cmp_gt_u32_e32 vcc, s7, v7
	v_bfrev_b32_e32 v34, -2
	v_bfrev_b32_e32 v28, -2
	s_and_saveexec_b64 s[2:3], vcc
	s_cbranch_execz .LBB1290_19
; %bb.18:
	global_load_dword v28, v[4:5], off offset:1536
.LBB1290_19:
	s_or_b64 exec, exec, s[2:3]
	v_add_u32_e32 v7, 0x1c0, v3
	;; [unrolled: 18-line block ×4, first 2 shown]
	v_cmp_gt_u32_e32 vcc, s7, v3
	s_and_saveexec_b64 s[2:3], vcc
	s_cbranch_execz .LBB1290_29
; %bb.28:
	global_load_dword v9, v[4:5], off offset:2816
.LBB1290_29:
	s_or_b64 exec, exec, s[2:3]
	s_load_dword s2, s[4:5], 0x64
	s_load_dword s29, s[4:5], 0x58
	s_add_u32 s3, s4, 0x58
	s_addc_u32 s8, s5, 0
	v_mov_b32_e32 v4, 0
	s_waitcnt lgkmcnt(0)
	s_lshr_b32 s9, s2, 16
	s_cmp_lt_u32 s6, s29
	s_cselect_b32 s2, 12, 18
	s_add_u32 s2, s3, s2
	s_addc_u32 s3, s8, 0
	global_load_ushort v7, v4, s[2:3]
	v_bfrev_b32_e32 v17, 1
	s_waitcnt vmcnt(1)
	v_cmp_lt_i32_e32 vcc, -1, v6
	v_cndmask_b32_e32 v13, -1, v17, vcc
	s_brev_b32 s8, -2
	v_xor_b32_e32 v13, v13, v6
	v_cmp_ne_u32_e32 vcc, s8, v13
	v_cndmask_b32_e32 v6, v17, v13, vcc
	s_lshl_b32 s2, -1, s21
	v_lshrrev_b32_e32 v6, s20, v6
	s_not_b32 s31, s2
	v_and_b32_e32 v14, s31, v6
	v_and_b32_e32 v6, 1, v14
	v_bfe_u32 v5, v0, 10, 10
	v_bfe_u32 v8, v0, 20, 10
	v_add_co_u32_e32 v19, vcc, -1, v6
	v_mad_u32_u24 v8, v8, s9, v5
	v_lshlrev_b32_e32 v5, 30, v14
	v_addc_co_u32_e64 v20, s[2:3], 0, -1, vcc
	v_cmp_ne_u32_e32 vcc, 0, v6
	v_cmp_gt_i64_e64 s[2:3], 0, v[4:5]
	v_not_b32_e32 v6, v5
	v_lshlrev_b32_e32 v5, 29, v14
	v_xor_b32_e32 v20, vcc_hi, v20
	v_xor_b32_e32 v19, vcc_lo, v19
	v_ashrrev_i32_e32 v6, 31, v6
	v_cmp_gt_i64_e32 vcc, 0, v[4:5]
	v_not_b32_e32 v22, v5
	v_lshlrev_b32_e32 v5, 28, v14
	v_and_b32_e32 v20, exec_hi, v20
	v_and_b32_e32 v19, exec_lo, v19
	v_xor_b32_e32 v23, s3, v6
	v_xor_b32_e32 v6, s2, v6
	v_ashrrev_i32_e32 v22, 31, v22
	v_cmp_gt_i64_e64 s[2:3], 0, v[4:5]
	v_not_b32_e32 v25, v5
	v_lshlrev_b32_e32 v5, 27, v14
	v_and_b32_e32 v20, v20, v23
	v_and_b32_e32 v6, v19, v6
	v_xor_b32_e32 v19, vcc_hi, v22
	v_xor_b32_e32 v22, vcc_lo, v22
	v_ashrrev_i32_e32 v23, 31, v25
	v_cmp_gt_i64_e32 vcc, 0, v[4:5]
	v_not_b32_e32 v25, v5
	v_lshlrev_b32_e32 v5, 26, v14
	v_and_b32_e32 v19, v20, v19
	v_and_b32_e32 v6, v6, v22
	v_xor_b32_e32 v20, s3, v23
	v_xor_b32_e32 v22, s2, v23
	v_ashrrev_i32_e32 v23, 31, v25
	v_not_b32_e32 v25, v5
	v_mul_u32_u24_e32 v3, 5, v2
	v_cmp_gt_i64_e64 s[2:3], 0, v[4:5]
	v_lshlrev_b32_e32 v5, 25, v14
	v_and_b32_e32 v19, v19, v20
	v_and_b32_e32 v6, v6, v22
	v_xor_b32_e32 v20, vcc_hi, v23
	v_xor_b32_e32 v22, vcc_lo, v23
	v_ashrrev_i32_e32 v23, 31, v25
	v_lshlrev_b32_e32 v3, 2, v3
	v_cmp_gt_i64_e32 vcc, 0, v[4:5]
	v_not_b32_e32 v5, v5
	v_and_b32_e32 v19, v19, v20
	v_and_b32_e32 v6, v6, v22
	v_xor_b32_e32 v20, s3, v23
	v_xor_b32_e32 v22, s2, v23
	v_ashrrev_i32_e32 v5, 31, v5
	v_and_b32_e32 v19, v19, v20
	v_and_b32_e32 v20, v6, v22
	v_lshl_add_u32 v16, v14, 4, v14
	v_xor_b32_e32 v22, vcc_hi, v5
	v_xor_b32_e32 v5, vcc_lo, v5
	ds_write2_b32 v3, v4, v4 offset0:16 offset1:17
	ds_write2_b32 v3, v4, v4 offset0:18 offset1:19
	ds_write_b32 v3, v4 offset:80
	s_waitcnt lgkmcnt(0)
	s_barrier
	s_waitcnt lgkmcnt(0)
	; wave barrier
	s_waitcnt vmcnt(0)
	v_mad_u64_u32 v[6:7], s[2:3], v8, v7, v[2:3]
	v_lshrrev_b32_e32 v29, 6, v6
	v_add_lshl_u32 v8, v29, v16, 2
	v_and_b32_e32 v16, v20, v5
	v_lshlrev_b32_e32 v5, 24, v14
	v_cmp_gt_i64_e32 vcc, 0, v[4:5]
	v_not_b32_e32 v5, v5
	v_ashrrev_i32_e32 v5, 31, v5
	v_and_b32_e32 v6, v19, v22
	v_xor_b32_e32 v7, vcc_hi, v5
	v_xor_b32_e32 v5, vcc_lo, v5
	v_and_b32_e32 v7, v6, v7
	v_and_b32_e32 v6, v16, v5
	v_mbcnt_lo_u32_b32 v5, v6, 0
	v_mbcnt_hi_u32_b32 v16, v7, v5
	v_cmp_eq_u32_e32 vcc, 0, v16
	v_cmp_ne_u64_e64 s[2:3], 0, v[6:7]
	s_and_b64 s[10:11], s[2:3], vcc
	s_and_saveexec_b64 s[2:3], s[10:11]
	s_cbranch_execz .LBB1290_31
; %bb.30:
	v_bcnt_u32_b32 v5, v6, 0
	v_bcnt_u32_b32 v5, v7, v5
	ds_write_b32 v8, v5 offset:64
.LBB1290_31:
	s_or_b64 exec, exec, s[2:3]
	v_cmp_lt_i32_e32 vcc, -1, v10
	v_cndmask_b32_e32 v5, -1, v17, vcc
	v_xor_b32_e32 v14, v5, v10
	v_cmp_ne_u32_e32 vcc, s8, v14
	v_cndmask_b32_e32 v5, v17, v14, vcc
	v_lshrrev_b32_e32 v5, s20, v5
	v_and_b32_e32 v6, s31, v5
	v_lshl_add_u32 v5, v6, 4, v6
	v_add_lshl_u32 v10, v29, v5, 2
	v_and_b32_e32 v5, 1, v6
	v_add_co_u32_e32 v7, vcc, -1, v5
	v_addc_co_u32_e64 v19, s[2:3], 0, -1, vcc
	v_cmp_ne_u32_e32 vcc, 0, v5
	v_xor_b32_e32 v5, vcc_hi, v19
	v_and_b32_e32 v19, exec_hi, v5
	v_lshlrev_b32_e32 v5, 30, v6
	v_xor_b32_e32 v7, vcc_lo, v7
	v_cmp_gt_i64_e32 vcc, 0, v[4:5]
	v_not_b32_e32 v5, v5
	v_ashrrev_i32_e32 v5, 31, v5
	v_and_b32_e32 v7, exec_lo, v7
	v_xor_b32_e32 v20, vcc_hi, v5
	v_xor_b32_e32 v5, vcc_lo, v5
	v_and_b32_e32 v7, v7, v5
	v_lshlrev_b32_e32 v5, 29, v6
	v_cmp_gt_i64_e32 vcc, 0, v[4:5]
	v_not_b32_e32 v5, v5
	v_ashrrev_i32_e32 v5, 31, v5
	v_and_b32_e32 v19, v19, v20
	v_xor_b32_e32 v20, vcc_hi, v5
	v_xor_b32_e32 v5, vcc_lo, v5
	v_and_b32_e32 v7, v7, v5
	v_lshlrev_b32_e32 v5, 28, v6
	v_cmp_gt_i64_e32 vcc, 0, v[4:5]
	v_not_b32_e32 v5, v5
	v_ashrrev_i32_e32 v5, 31, v5
	v_and_b32_e32 v19, v19, v20
	;; [unrolled: 8-line block ×5, first 2 shown]
	v_xor_b32_e32 v20, vcc_hi, v5
	v_xor_b32_e32 v5, vcc_lo, v5
	v_and_b32_e32 v7, v7, v5
	v_lshlrev_b32_e32 v5, 24, v6
	v_cmp_gt_i64_e32 vcc, 0, v[4:5]
	v_not_b32_e32 v4, v5
	v_ashrrev_i32_e32 v4, 31, v4
	v_xor_b32_e32 v5, vcc_hi, v4
	v_xor_b32_e32 v4, vcc_lo, v4
	; wave barrier
	ds_read_b32 v17, v10 offset:64
	v_and_b32_e32 v19, v19, v20
	v_and_b32_e32 v4, v7, v4
	;; [unrolled: 1-line block ×3, first 2 shown]
	v_mbcnt_lo_u32_b32 v6, v4, 0
	v_mbcnt_hi_u32_b32 v19, v5, v6
	v_cmp_eq_u32_e32 vcc, 0, v19
	v_cmp_ne_u64_e64 s[2:3], 0, v[4:5]
	s_and_b64 s[8:9], s[2:3], vcc
	; wave barrier
	s_and_saveexec_b64 s[2:3], s[8:9]
	s_cbranch_execz .LBB1290_33
; %bb.32:
	v_bcnt_u32_b32 v4, v4, 0
	v_bcnt_u32_b32 v4, v5, v4
	s_waitcnt lgkmcnt(0)
	v_add_u32_e32 v4, v17, v4
	ds_write_b32 v10, v4 offset:64
.LBB1290_33:
	s_or_b64 exec, exec, s[2:3]
	v_bfrev_b32_e32 v23, 1
	v_cmp_lt_i32_e32 vcc, -1, v15
	v_cndmask_b32_e32 v4, -1, v23, vcc
	v_xor_b32_e32 v15, v4, v15
	s_brev_b32 s8, -2
	v_cmp_ne_u32_e32 vcc, s8, v15
	v_cndmask_b32_e32 v4, v23, v15, vcc
	v_lshrrev_b32_e32 v4, s20, v4
	v_and_b32_e32 v6, s31, v4
	v_and_b32_e32 v5, 1, v6
	v_add_co_u32_e32 v7, vcc, -1, v5
	v_addc_co_u32_e64 v22, s[2:3], 0, -1, vcc
	v_cmp_ne_u32_e32 vcc, 0, v5
	v_lshl_add_u32 v4, v6, 4, v6
	v_xor_b32_e32 v5, vcc_hi, v22
	v_add_lshl_u32 v26, v29, v4, 2
	v_mov_b32_e32 v4, 0
	v_and_b32_e32 v22, exec_hi, v5
	v_lshlrev_b32_e32 v5, 30, v6
	v_xor_b32_e32 v7, vcc_lo, v7
	v_cmp_gt_i64_e32 vcc, 0, v[4:5]
	v_not_b32_e32 v5, v5
	v_ashrrev_i32_e32 v5, 31, v5
	v_and_b32_e32 v7, exec_lo, v7
	v_xor_b32_e32 v25, vcc_hi, v5
	v_xor_b32_e32 v5, vcc_lo, v5
	v_and_b32_e32 v7, v7, v5
	v_lshlrev_b32_e32 v5, 29, v6
	v_cmp_gt_i64_e32 vcc, 0, v[4:5]
	v_not_b32_e32 v5, v5
	v_ashrrev_i32_e32 v5, 31, v5
	v_and_b32_e32 v22, v22, v25
	v_xor_b32_e32 v25, vcc_hi, v5
	v_xor_b32_e32 v5, vcc_lo, v5
	v_and_b32_e32 v7, v7, v5
	v_lshlrev_b32_e32 v5, 28, v6
	v_cmp_gt_i64_e32 vcc, 0, v[4:5]
	v_not_b32_e32 v5, v5
	v_ashrrev_i32_e32 v5, 31, v5
	v_and_b32_e32 v22, v22, v25
	;; [unrolled: 8-line block ×5, first 2 shown]
	v_xor_b32_e32 v25, vcc_hi, v5
	v_xor_b32_e32 v5, vcc_lo, v5
	v_and_b32_e32 v22, v22, v25
	v_and_b32_e32 v25, v7, v5
	v_lshlrev_b32_e32 v5, 24, v6
	v_cmp_gt_i64_e32 vcc, 0, v[4:5]
	v_not_b32_e32 v5, v5
	v_ashrrev_i32_e32 v5, 31, v5
	v_xor_b32_e32 v6, vcc_hi, v5
	v_xor_b32_e32 v5, vcc_lo, v5
	; wave barrier
	ds_read_b32 v20, v26 offset:64
	v_and_b32_e32 v7, v22, v6
	v_and_b32_e32 v6, v25, v5
	v_mbcnt_lo_u32_b32 v5, v6, 0
	v_mbcnt_hi_u32_b32 v22, v7, v5
	v_cmp_eq_u32_e32 vcc, 0, v22
	v_cmp_ne_u64_e64 s[2:3], 0, v[6:7]
	s_and_b64 s[10:11], s[2:3], vcc
	; wave barrier
	s_and_saveexec_b64 s[2:3], s[10:11]
	s_cbranch_execz .LBB1290_35
; %bb.34:
	v_bcnt_u32_b32 v5, v6, 0
	v_bcnt_u32_b32 v5, v7, v5
	s_waitcnt lgkmcnt(0)
	v_add_u32_e32 v5, v20, v5
	ds_write_b32 v26, v5 offset:64
.LBB1290_35:
	s_or_b64 exec, exec, s[2:3]
	v_cmp_lt_i32_e32 vcc, -1, v18
	v_cndmask_b32_e32 v5, -1, v23, vcc
	v_xor_b32_e32 v18, v5, v18
	v_cmp_ne_u32_e32 vcc, s8, v18
	v_cndmask_b32_e32 v5, v23, v18, vcc
	v_lshrrev_b32_e32 v5, s20, v5
	v_and_b32_e32 v6, s31, v5
	v_lshl_add_u32 v5, v6, 4, v6
	v_add_lshl_u32 v32, v29, v5, 2
	v_and_b32_e32 v5, 1, v6
	v_add_co_u32_e32 v7, vcc, -1, v5
	v_addc_co_u32_e64 v25, s[2:3], 0, -1, vcc
	v_cmp_ne_u32_e32 vcc, 0, v5
	v_xor_b32_e32 v5, vcc_hi, v25
	v_and_b32_e32 v25, exec_hi, v5
	v_lshlrev_b32_e32 v5, 30, v6
	v_xor_b32_e32 v7, vcc_lo, v7
	v_cmp_gt_i64_e32 vcc, 0, v[4:5]
	v_not_b32_e32 v5, v5
	v_ashrrev_i32_e32 v5, 31, v5
	v_and_b32_e32 v7, exec_lo, v7
	v_xor_b32_e32 v27, vcc_hi, v5
	v_xor_b32_e32 v5, vcc_lo, v5
	v_and_b32_e32 v7, v7, v5
	v_lshlrev_b32_e32 v5, 29, v6
	v_cmp_gt_i64_e32 vcc, 0, v[4:5]
	v_not_b32_e32 v5, v5
	v_ashrrev_i32_e32 v5, 31, v5
	v_and_b32_e32 v25, v25, v27
	v_xor_b32_e32 v27, vcc_hi, v5
	v_xor_b32_e32 v5, vcc_lo, v5
	v_and_b32_e32 v7, v7, v5
	v_lshlrev_b32_e32 v5, 28, v6
	v_cmp_gt_i64_e32 vcc, 0, v[4:5]
	v_not_b32_e32 v5, v5
	v_ashrrev_i32_e32 v5, 31, v5
	v_and_b32_e32 v25, v25, v27
	;; [unrolled: 8-line block ×5, first 2 shown]
	v_xor_b32_e32 v27, vcc_hi, v5
	v_xor_b32_e32 v5, vcc_lo, v5
	v_and_b32_e32 v7, v7, v5
	v_lshlrev_b32_e32 v5, 24, v6
	v_cmp_gt_i64_e32 vcc, 0, v[4:5]
	v_not_b32_e32 v4, v5
	v_ashrrev_i32_e32 v4, 31, v4
	v_xor_b32_e32 v5, vcc_hi, v4
	v_xor_b32_e32 v4, vcc_lo, v4
	; wave barrier
	ds_read_b32 v23, v32 offset:64
	v_and_b32_e32 v25, v25, v27
	v_and_b32_e32 v4, v7, v4
	;; [unrolled: 1-line block ×3, first 2 shown]
	v_mbcnt_lo_u32_b32 v6, v4, 0
	v_mbcnt_hi_u32_b32 v25, v5, v6
	v_cmp_eq_u32_e32 vcc, 0, v25
	v_cmp_ne_u64_e64 s[2:3], 0, v[4:5]
	s_and_b64 s[8:9], s[2:3], vcc
	; wave barrier
	s_and_saveexec_b64 s[2:3], s[8:9]
	s_cbranch_execz .LBB1290_37
; %bb.36:
	v_bcnt_u32_b32 v4, v4, 0
	v_bcnt_u32_b32 v4, v5, v4
	s_waitcnt lgkmcnt(0)
	v_add_u32_e32 v4, v23, v4
	ds_write_b32 v32, v4 offset:64
.LBB1290_37:
	s_or_b64 exec, exec, s[2:3]
	v_bfrev_b32_e32 v33, 1
	v_cmp_lt_i32_e32 vcc, -1, v21
	v_cndmask_b32_e32 v4, -1, v33, vcc
	v_xor_b32_e32 v21, v4, v21
	s_brev_b32 s8, -2
	v_cmp_ne_u32_e32 vcc, s8, v21
	v_cndmask_b32_e32 v4, v33, v21, vcc
	v_lshrrev_b32_e32 v4, s20, v4
	v_and_b32_e32 v6, s31, v4
	v_and_b32_e32 v5, 1, v6
	v_add_co_u32_e32 v7, vcc, -1, v5
	v_addc_co_u32_e64 v31, s[2:3], 0, -1, vcc
	v_cmp_ne_u32_e32 vcc, 0, v5
	v_lshl_add_u32 v4, v6, 4, v6
	v_xor_b32_e32 v5, vcc_hi, v31
	v_add_lshl_u32 v37, v29, v4, 2
	v_mov_b32_e32 v4, 0
	v_and_b32_e32 v31, exec_hi, v5
	v_lshlrev_b32_e32 v5, 30, v6
	v_xor_b32_e32 v7, vcc_lo, v7
	v_cmp_gt_i64_e32 vcc, 0, v[4:5]
	v_not_b32_e32 v5, v5
	v_ashrrev_i32_e32 v5, 31, v5
	v_and_b32_e32 v7, exec_lo, v7
	v_xor_b32_e32 v36, vcc_hi, v5
	v_xor_b32_e32 v5, vcc_lo, v5
	v_and_b32_e32 v7, v7, v5
	v_lshlrev_b32_e32 v5, 29, v6
	v_cmp_gt_i64_e32 vcc, 0, v[4:5]
	v_not_b32_e32 v5, v5
	v_ashrrev_i32_e32 v5, 31, v5
	v_and_b32_e32 v31, v31, v36
	v_xor_b32_e32 v36, vcc_hi, v5
	v_xor_b32_e32 v5, vcc_lo, v5
	v_and_b32_e32 v7, v7, v5
	v_lshlrev_b32_e32 v5, 28, v6
	v_cmp_gt_i64_e32 vcc, 0, v[4:5]
	v_not_b32_e32 v5, v5
	v_ashrrev_i32_e32 v5, 31, v5
	v_and_b32_e32 v31, v31, v36
	;; [unrolled: 8-line block ×5, first 2 shown]
	v_xor_b32_e32 v36, vcc_hi, v5
	v_xor_b32_e32 v5, vcc_lo, v5
	v_and_b32_e32 v31, v31, v36
	v_and_b32_e32 v36, v7, v5
	v_lshlrev_b32_e32 v5, 24, v6
	v_cmp_gt_i64_e32 vcc, 0, v[4:5]
	v_not_b32_e32 v5, v5
	v_ashrrev_i32_e32 v5, 31, v5
	v_xor_b32_e32 v6, vcc_hi, v5
	v_xor_b32_e32 v5, vcc_lo, v5
	; wave barrier
	ds_read_b32 v27, v37 offset:64
	v_and_b32_e32 v7, v31, v6
	v_and_b32_e32 v6, v36, v5
	v_mbcnt_lo_u32_b32 v5, v6, 0
	v_mbcnt_hi_u32_b32 v31, v7, v5
	v_cmp_eq_u32_e32 vcc, 0, v31
	v_cmp_ne_u64_e64 s[2:3], 0, v[6:7]
	s_and_b64 s[10:11], s[2:3], vcc
	; wave barrier
	s_and_saveexec_b64 s[2:3], s[10:11]
	s_cbranch_execz .LBB1290_39
; %bb.38:
	v_bcnt_u32_b32 v5, v6, 0
	v_bcnt_u32_b32 v5, v7, v5
	s_waitcnt lgkmcnt(0)
	v_add_u32_e32 v5, v27, v5
	ds_write_b32 v37, v5 offset:64
.LBB1290_39:
	s_or_b64 exec, exec, s[2:3]
	v_cmp_lt_i32_e32 vcc, -1, v24
	v_cndmask_b32_e32 v5, -1, v33, vcc
	v_xor_b32_e32 v24, v5, v24
	v_cmp_ne_u32_e32 vcc, s8, v24
	v_cndmask_b32_e32 v5, v33, v24, vcc
	v_lshrrev_b32_e32 v5, s20, v5
	v_and_b32_e32 v6, s31, v5
	v_lshl_add_u32 v5, v6, 4, v6
	v_add_lshl_u32 v40, v29, v5, 2
	v_and_b32_e32 v5, 1, v6
	v_add_co_u32_e32 v7, vcc, -1, v5
	v_addc_co_u32_e64 v36, s[2:3], 0, -1, vcc
	v_cmp_ne_u32_e32 vcc, 0, v5
	v_xor_b32_e32 v5, vcc_hi, v36
	v_and_b32_e32 v36, exec_hi, v5
	v_lshlrev_b32_e32 v5, 30, v6
	v_xor_b32_e32 v7, vcc_lo, v7
	v_cmp_gt_i64_e32 vcc, 0, v[4:5]
	v_not_b32_e32 v5, v5
	v_ashrrev_i32_e32 v5, 31, v5
	v_and_b32_e32 v7, exec_lo, v7
	v_xor_b32_e32 v38, vcc_hi, v5
	v_xor_b32_e32 v5, vcc_lo, v5
	v_and_b32_e32 v7, v7, v5
	v_lshlrev_b32_e32 v5, 29, v6
	v_cmp_gt_i64_e32 vcc, 0, v[4:5]
	v_not_b32_e32 v5, v5
	v_ashrrev_i32_e32 v5, 31, v5
	v_and_b32_e32 v36, v36, v38
	v_xor_b32_e32 v38, vcc_hi, v5
	v_xor_b32_e32 v5, vcc_lo, v5
	v_and_b32_e32 v7, v7, v5
	v_lshlrev_b32_e32 v5, 28, v6
	v_cmp_gt_i64_e32 vcc, 0, v[4:5]
	v_not_b32_e32 v5, v5
	v_ashrrev_i32_e32 v5, 31, v5
	v_and_b32_e32 v36, v36, v38
	;; [unrolled: 8-line block ×5, first 2 shown]
	v_xor_b32_e32 v38, vcc_hi, v5
	v_xor_b32_e32 v5, vcc_lo, v5
	v_and_b32_e32 v7, v7, v5
	v_lshlrev_b32_e32 v5, 24, v6
	v_cmp_gt_i64_e32 vcc, 0, v[4:5]
	v_not_b32_e32 v4, v5
	v_ashrrev_i32_e32 v4, 31, v4
	v_xor_b32_e32 v5, vcc_hi, v4
	v_xor_b32_e32 v4, vcc_lo, v4
	; wave barrier
	ds_read_b32 v33, v40 offset:64
	v_and_b32_e32 v36, v36, v38
	v_and_b32_e32 v4, v7, v4
	;; [unrolled: 1-line block ×3, first 2 shown]
	v_mbcnt_lo_u32_b32 v6, v4, 0
	v_mbcnt_hi_u32_b32 v36, v5, v6
	v_cmp_eq_u32_e32 vcc, 0, v36
	v_cmp_ne_u64_e64 s[2:3], 0, v[4:5]
	s_and_b64 s[8:9], s[2:3], vcc
	; wave barrier
	s_and_saveexec_b64 s[2:3], s[8:9]
	s_cbranch_execz .LBB1290_41
; %bb.40:
	v_bcnt_u32_b32 v4, v4, 0
	v_bcnt_u32_b32 v4, v5, v4
	s_waitcnt lgkmcnt(0)
	v_add_u32_e32 v4, v33, v4
	ds_write_b32 v40, v4 offset:64
.LBB1290_41:
	s_or_b64 exec, exec, s[2:3]
	v_bfrev_b32_e32 v41, 1
	v_cmp_lt_i32_e32 vcc, -1, v28
	v_cndmask_b32_e32 v4, -1, v41, vcc
	v_xor_b32_e32 v28, v4, v28
	s_brev_b32 s8, -2
	v_cmp_ne_u32_e32 vcc, s8, v28
	v_cndmask_b32_e32 v4, v41, v28, vcc
	v_lshrrev_b32_e32 v4, s20, v4
	v_and_b32_e32 v6, s31, v4
	v_and_b32_e32 v5, 1, v6
	v_add_co_u32_e32 v7, vcc, -1, v5
	v_addc_co_u32_e64 v39, s[2:3], 0, -1, vcc
	v_cmp_ne_u32_e32 vcc, 0, v5
	v_lshl_add_u32 v4, v6, 4, v6
	v_xor_b32_e32 v5, vcc_hi, v39
	v_add_lshl_u32 v43, v29, v4, 2
	v_mov_b32_e32 v4, 0
	v_and_b32_e32 v39, exec_hi, v5
	v_lshlrev_b32_e32 v5, 30, v6
	v_xor_b32_e32 v7, vcc_lo, v7
	v_cmp_gt_i64_e32 vcc, 0, v[4:5]
	v_not_b32_e32 v5, v5
	v_ashrrev_i32_e32 v5, 31, v5
	v_and_b32_e32 v7, exec_lo, v7
	v_xor_b32_e32 v42, vcc_hi, v5
	v_xor_b32_e32 v5, vcc_lo, v5
	v_and_b32_e32 v7, v7, v5
	v_lshlrev_b32_e32 v5, 29, v6
	v_cmp_gt_i64_e32 vcc, 0, v[4:5]
	v_not_b32_e32 v5, v5
	v_ashrrev_i32_e32 v5, 31, v5
	v_and_b32_e32 v39, v39, v42
	v_xor_b32_e32 v42, vcc_hi, v5
	v_xor_b32_e32 v5, vcc_lo, v5
	v_and_b32_e32 v7, v7, v5
	v_lshlrev_b32_e32 v5, 28, v6
	v_cmp_gt_i64_e32 vcc, 0, v[4:5]
	v_not_b32_e32 v5, v5
	v_ashrrev_i32_e32 v5, 31, v5
	v_and_b32_e32 v39, v39, v42
	;; [unrolled: 8-line block ×5, first 2 shown]
	v_xor_b32_e32 v42, vcc_hi, v5
	v_xor_b32_e32 v5, vcc_lo, v5
	v_and_b32_e32 v39, v39, v42
	v_and_b32_e32 v42, v7, v5
	v_lshlrev_b32_e32 v5, 24, v6
	v_cmp_gt_i64_e32 vcc, 0, v[4:5]
	v_not_b32_e32 v5, v5
	v_ashrrev_i32_e32 v5, 31, v5
	v_xor_b32_e32 v6, vcc_hi, v5
	v_xor_b32_e32 v5, vcc_lo, v5
	; wave barrier
	ds_read_b32 v38, v43 offset:64
	v_and_b32_e32 v7, v39, v6
	v_and_b32_e32 v6, v42, v5
	v_mbcnt_lo_u32_b32 v5, v6, 0
	v_mbcnt_hi_u32_b32 v39, v7, v5
	v_cmp_eq_u32_e32 vcc, 0, v39
	v_cmp_ne_u64_e64 s[2:3], 0, v[6:7]
	s_and_b64 s[10:11], s[2:3], vcc
	; wave barrier
	s_and_saveexec_b64 s[2:3], s[10:11]
	s_cbranch_execz .LBB1290_43
; %bb.42:
	v_bcnt_u32_b32 v5, v6, 0
	v_bcnt_u32_b32 v5, v7, v5
	s_waitcnt lgkmcnt(0)
	v_add_u32_e32 v5, v38, v5
	ds_write_b32 v43, v5 offset:64
.LBB1290_43:
	s_or_b64 exec, exec, s[2:3]
	v_cmp_lt_i32_e32 vcc, -1, v34
	v_cndmask_b32_e32 v5, -1, v41, vcc
	v_xor_b32_e32 v34, v5, v34
	v_cmp_ne_u32_e32 vcc, s8, v34
	v_cndmask_b32_e32 v5, v41, v34, vcc
	v_lshrrev_b32_e32 v5, s20, v5
	v_and_b32_e32 v6, s31, v5
	v_lshl_add_u32 v5, v6, 4, v6
	v_add_lshl_u32 v47, v29, v5, 2
	v_and_b32_e32 v5, 1, v6
	v_add_co_u32_e32 v7, vcc, -1, v5
	v_addc_co_u32_e64 v42, s[2:3], 0, -1, vcc
	v_cmp_ne_u32_e32 vcc, 0, v5
	v_xor_b32_e32 v5, vcc_hi, v42
	v_and_b32_e32 v42, exec_hi, v5
	v_lshlrev_b32_e32 v5, 30, v6
	v_xor_b32_e32 v7, vcc_lo, v7
	v_cmp_gt_i64_e32 vcc, 0, v[4:5]
	v_not_b32_e32 v5, v5
	v_ashrrev_i32_e32 v5, 31, v5
	v_and_b32_e32 v7, exec_lo, v7
	v_xor_b32_e32 v44, vcc_hi, v5
	v_xor_b32_e32 v5, vcc_lo, v5
	v_and_b32_e32 v7, v7, v5
	v_lshlrev_b32_e32 v5, 29, v6
	v_cmp_gt_i64_e32 vcc, 0, v[4:5]
	v_not_b32_e32 v5, v5
	v_ashrrev_i32_e32 v5, 31, v5
	v_and_b32_e32 v42, v42, v44
	v_xor_b32_e32 v44, vcc_hi, v5
	v_xor_b32_e32 v5, vcc_lo, v5
	v_and_b32_e32 v7, v7, v5
	v_lshlrev_b32_e32 v5, 28, v6
	v_cmp_gt_i64_e32 vcc, 0, v[4:5]
	v_not_b32_e32 v5, v5
	v_ashrrev_i32_e32 v5, 31, v5
	v_and_b32_e32 v42, v42, v44
	;; [unrolled: 8-line block ×5, first 2 shown]
	v_xor_b32_e32 v44, vcc_hi, v5
	v_xor_b32_e32 v5, vcc_lo, v5
	v_and_b32_e32 v7, v7, v5
	v_lshlrev_b32_e32 v5, 24, v6
	v_cmp_gt_i64_e32 vcc, 0, v[4:5]
	v_not_b32_e32 v4, v5
	v_ashrrev_i32_e32 v4, 31, v4
	v_xor_b32_e32 v5, vcc_hi, v4
	v_xor_b32_e32 v4, vcc_lo, v4
	; wave barrier
	ds_read_b32 v41, v47 offset:64
	v_and_b32_e32 v42, v42, v44
	v_and_b32_e32 v4, v7, v4
	;; [unrolled: 1-line block ×3, first 2 shown]
	v_mbcnt_lo_u32_b32 v6, v4, 0
	v_mbcnt_hi_u32_b32 v42, v5, v6
	v_cmp_eq_u32_e32 vcc, 0, v42
	v_cmp_ne_u64_e64 s[2:3], 0, v[4:5]
	s_and_b64 s[8:9], s[2:3], vcc
	; wave barrier
	s_and_saveexec_b64 s[2:3], s[8:9]
	s_cbranch_execz .LBB1290_45
; %bb.44:
	v_bcnt_u32_b32 v4, v4, 0
	v_bcnt_u32_b32 v4, v5, v4
	s_waitcnt lgkmcnt(0)
	v_add_u32_e32 v4, v41, v4
	ds_write_b32 v47, v4 offset:64
.LBB1290_45:
	s_or_b64 exec, exec, s[2:3]
	v_bfrev_b32_e32 v45, 1
	v_cmp_lt_i32_e32 vcc, -1, v35
	v_cndmask_b32_e32 v4, -1, v45, vcc
	v_xor_b32_e32 v35, v4, v35
	s_brev_b32 s8, -2
	v_cmp_ne_u32_e32 vcc, s8, v35
	v_cndmask_b32_e32 v4, v45, v35, vcc
	v_lshrrev_b32_e32 v4, s20, v4
	v_and_b32_e32 v6, s31, v4
	v_and_b32_e32 v5, 1, v6
	v_add_co_u32_e32 v7, vcc, -1, v5
	v_addc_co_u32_e64 v46, s[2:3], 0, -1, vcc
	v_cmp_ne_u32_e32 vcc, 0, v5
	v_lshl_add_u32 v4, v6, 4, v6
	v_xor_b32_e32 v5, vcc_hi, v46
	v_add_lshl_u32 v51, v29, v4, 2
	v_mov_b32_e32 v4, 0
	v_and_b32_e32 v46, exec_hi, v5
	v_lshlrev_b32_e32 v5, 30, v6
	v_xor_b32_e32 v7, vcc_lo, v7
	v_cmp_gt_i64_e32 vcc, 0, v[4:5]
	v_not_b32_e32 v5, v5
	v_ashrrev_i32_e32 v5, 31, v5
	v_and_b32_e32 v7, exec_lo, v7
	v_xor_b32_e32 v48, vcc_hi, v5
	v_xor_b32_e32 v5, vcc_lo, v5
	v_and_b32_e32 v7, v7, v5
	v_lshlrev_b32_e32 v5, 29, v6
	v_cmp_gt_i64_e32 vcc, 0, v[4:5]
	v_not_b32_e32 v5, v5
	v_ashrrev_i32_e32 v5, 31, v5
	v_and_b32_e32 v46, v46, v48
	v_xor_b32_e32 v48, vcc_hi, v5
	v_xor_b32_e32 v5, vcc_lo, v5
	v_and_b32_e32 v7, v7, v5
	v_lshlrev_b32_e32 v5, 28, v6
	v_cmp_gt_i64_e32 vcc, 0, v[4:5]
	v_not_b32_e32 v5, v5
	v_ashrrev_i32_e32 v5, 31, v5
	v_and_b32_e32 v46, v46, v48
	v_xor_b32_e32 v48, vcc_hi, v5
	v_xor_b32_e32 v5, vcc_lo, v5
	v_and_b32_e32 v7, v7, v5
	v_lshlrev_b32_e32 v5, 27, v6
	v_cmp_gt_i64_e32 vcc, 0, v[4:5]
	v_not_b32_e32 v5, v5
	v_ashrrev_i32_e32 v5, 31, v5
	v_and_b32_e32 v46, v46, v48
	v_xor_b32_e32 v48, vcc_hi, v5
	v_xor_b32_e32 v5, vcc_lo, v5
	v_and_b32_e32 v7, v7, v5
	v_lshlrev_b32_e32 v5, 26, v6
	v_cmp_gt_i64_e32 vcc, 0, v[4:5]
	v_not_b32_e32 v5, v5
	v_ashrrev_i32_e32 v5, 31, v5
	v_and_b32_e32 v46, v46, v48
	v_xor_b32_e32 v48, vcc_hi, v5
	v_xor_b32_e32 v5, vcc_lo, v5
	v_and_b32_e32 v7, v7, v5
	v_lshlrev_b32_e32 v5, 25, v6
	v_cmp_gt_i64_e32 vcc, 0, v[4:5]
	v_not_b32_e32 v5, v5
	v_ashrrev_i32_e32 v5, 31, v5
	v_and_b32_e32 v46, v46, v48
	v_xor_b32_e32 v48, vcc_hi, v5
	v_xor_b32_e32 v5, vcc_lo, v5
	v_and_b32_e32 v46, v46, v48
	v_and_b32_e32 v48, v7, v5
	v_lshlrev_b32_e32 v5, 24, v6
	v_cmp_gt_i64_e32 vcc, 0, v[4:5]
	v_not_b32_e32 v5, v5
	v_ashrrev_i32_e32 v5, 31, v5
	v_xor_b32_e32 v6, vcc_hi, v5
	v_xor_b32_e32 v5, vcc_lo, v5
	; wave barrier
	ds_read_b32 v44, v51 offset:64
	v_and_b32_e32 v7, v46, v6
	v_and_b32_e32 v6, v48, v5
	v_mbcnt_lo_u32_b32 v5, v6, 0
	v_mbcnt_hi_u32_b32 v46, v7, v5
	v_cmp_eq_u32_e32 vcc, 0, v46
	v_cmp_ne_u64_e64 s[2:3], 0, v[6:7]
	s_and_b64 s[10:11], s[2:3], vcc
	; wave barrier
	s_and_saveexec_b64 s[2:3], s[10:11]
	s_cbranch_execz .LBB1290_47
; %bb.46:
	v_bcnt_u32_b32 v5, v6, 0
	v_bcnt_u32_b32 v5, v7, v5
	s_waitcnt lgkmcnt(0)
	v_add_u32_e32 v5, v44, v5
	ds_write_b32 v51, v5 offset:64
.LBB1290_47:
	s_or_b64 exec, exec, s[2:3]
	v_cmp_lt_i32_e32 vcc, -1, v30
	v_cndmask_b32_e32 v5, -1, v45, vcc
	v_xor_b32_e32 v30, v5, v30
	v_cmp_ne_u32_e32 vcc, s8, v30
	v_cndmask_b32_e32 v5, v45, v30, vcc
	v_lshrrev_b32_e32 v5, s20, v5
	v_and_b32_e32 v6, s31, v5
	v_lshl_add_u32 v5, v6, 4, v6
	v_add_lshl_u32 v53, v29, v5, 2
	v_and_b32_e32 v5, 1, v6
	v_add_co_u32_e32 v7, vcc, -1, v5
	v_addc_co_u32_e64 v45, s[2:3], 0, -1, vcc
	v_cmp_ne_u32_e32 vcc, 0, v5
	v_xor_b32_e32 v5, vcc_hi, v45
	v_and_b32_e32 v45, exec_hi, v5
	v_lshlrev_b32_e32 v5, 30, v6
	v_xor_b32_e32 v7, vcc_lo, v7
	v_cmp_gt_i64_e32 vcc, 0, v[4:5]
	v_not_b32_e32 v5, v5
	v_ashrrev_i32_e32 v5, 31, v5
	v_and_b32_e32 v7, exec_lo, v7
	v_xor_b32_e32 v49, vcc_hi, v5
	v_xor_b32_e32 v5, vcc_lo, v5
	v_and_b32_e32 v7, v7, v5
	v_lshlrev_b32_e32 v5, 29, v6
	v_cmp_gt_i64_e32 vcc, 0, v[4:5]
	v_not_b32_e32 v5, v5
	v_ashrrev_i32_e32 v5, 31, v5
	v_and_b32_e32 v45, v45, v49
	v_xor_b32_e32 v49, vcc_hi, v5
	v_xor_b32_e32 v5, vcc_lo, v5
	v_and_b32_e32 v7, v7, v5
	v_lshlrev_b32_e32 v5, 28, v6
	v_cmp_gt_i64_e32 vcc, 0, v[4:5]
	v_not_b32_e32 v5, v5
	v_ashrrev_i32_e32 v5, 31, v5
	v_and_b32_e32 v45, v45, v49
	;; [unrolled: 8-line block ×5, first 2 shown]
	v_xor_b32_e32 v49, vcc_hi, v5
	v_xor_b32_e32 v5, vcc_lo, v5
	v_and_b32_e32 v7, v7, v5
	v_lshlrev_b32_e32 v5, 24, v6
	v_cmp_gt_i64_e32 vcc, 0, v[4:5]
	v_not_b32_e32 v4, v5
	v_ashrrev_i32_e32 v4, 31, v4
	v_xor_b32_e32 v5, vcc_hi, v4
	v_xor_b32_e32 v4, vcc_lo, v4
	; wave barrier
	ds_read_b32 v48, v53 offset:64
	v_and_b32_e32 v45, v45, v49
	v_and_b32_e32 v4, v7, v4
	;; [unrolled: 1-line block ×3, first 2 shown]
	v_mbcnt_lo_u32_b32 v6, v4, 0
	v_mbcnt_hi_u32_b32 v50, v5, v6
	v_cmp_eq_u32_e32 vcc, 0, v50
	v_cmp_ne_u64_e64 s[2:3], 0, v[4:5]
	s_and_b64 s[8:9], s[2:3], vcc
	; wave barrier
	s_and_saveexec_b64 s[2:3], s[8:9]
	s_cbranch_execz .LBB1290_49
; %bb.48:
	v_bcnt_u32_b32 v4, v4, 0
	v_bcnt_u32_b32 v4, v5, v4
	s_waitcnt lgkmcnt(0)
	v_add_u32_e32 v4, v48, v4
	ds_write_b32 v53, v4 offset:64
.LBB1290_49:
	s_or_b64 exec, exec, s[2:3]
	v_bfrev_b32_e32 v55, 1
	v_cmp_lt_i32_e32 vcc, -1, v11
	v_cndmask_b32_e32 v4, -1, v55, vcc
	v_xor_b32_e32 v45, v4, v11
	s_brev_b32 s8, -2
	v_cmp_ne_u32_e32 vcc, s8, v45
	v_cndmask_b32_e32 v4, v55, v45, vcc
	v_lshrrev_b32_e32 v4, s20, v4
	v_and_b32_e32 v6, s31, v4
	v_and_b32_e32 v5, 1, v6
	v_add_co_u32_e32 v7, vcc, -1, v5
	v_addc_co_u32_e64 v49, s[2:3], 0, -1, vcc
	v_cmp_ne_u32_e32 vcc, 0, v5
	v_lshl_add_u32 v4, v6, 4, v6
	v_xor_b32_e32 v5, vcc_hi, v49
	v_add_lshl_u32 v11, v29, v4, 2
	v_mov_b32_e32 v4, 0
	v_and_b32_e32 v49, exec_hi, v5
	v_lshlrev_b32_e32 v5, 30, v6
	v_xor_b32_e32 v7, vcc_lo, v7
	v_cmp_gt_i64_e32 vcc, 0, v[4:5]
	v_not_b32_e32 v5, v5
	v_ashrrev_i32_e32 v5, 31, v5
	v_and_b32_e32 v7, exec_lo, v7
	v_xor_b32_e32 v54, vcc_hi, v5
	v_xor_b32_e32 v5, vcc_lo, v5
	v_and_b32_e32 v7, v7, v5
	v_lshlrev_b32_e32 v5, 29, v6
	v_cmp_gt_i64_e32 vcc, 0, v[4:5]
	v_not_b32_e32 v5, v5
	v_ashrrev_i32_e32 v5, 31, v5
	v_and_b32_e32 v49, v49, v54
	v_xor_b32_e32 v54, vcc_hi, v5
	v_xor_b32_e32 v5, vcc_lo, v5
	v_and_b32_e32 v7, v7, v5
	v_lshlrev_b32_e32 v5, 28, v6
	v_cmp_gt_i64_e32 vcc, 0, v[4:5]
	v_not_b32_e32 v5, v5
	v_ashrrev_i32_e32 v5, 31, v5
	v_and_b32_e32 v49, v49, v54
	;; [unrolled: 8-line block ×5, first 2 shown]
	v_xor_b32_e32 v54, vcc_hi, v5
	v_xor_b32_e32 v5, vcc_lo, v5
	v_and_b32_e32 v49, v49, v54
	v_and_b32_e32 v54, v7, v5
	v_lshlrev_b32_e32 v5, 24, v6
	v_cmp_gt_i64_e32 vcc, 0, v[4:5]
	v_not_b32_e32 v5, v5
	v_ashrrev_i32_e32 v5, 31, v5
	v_xor_b32_e32 v6, vcc_hi, v5
	v_xor_b32_e32 v5, vcc_lo, v5
	; wave barrier
	ds_read_b32 v52, v11 offset:64
	v_and_b32_e32 v7, v49, v6
	v_and_b32_e32 v6, v54, v5
	v_mbcnt_lo_u32_b32 v5, v6, 0
	v_mbcnt_hi_u32_b32 v54, v7, v5
	v_cmp_eq_u32_e32 vcc, 0, v54
	v_cmp_ne_u64_e64 s[2:3], 0, v[6:7]
	s_and_b64 s[10:11], s[2:3], vcc
	; wave barrier
	s_and_saveexec_b64 s[2:3], s[10:11]
	s_cbranch_execz .LBB1290_51
; %bb.50:
	v_bcnt_u32_b32 v5, v6, 0
	v_bcnt_u32_b32 v5, v7, v5
	s_waitcnt lgkmcnt(0)
	v_add_u32_e32 v5, v52, v5
	ds_write_b32 v11, v5 offset:64
.LBB1290_51:
	s_or_b64 exec, exec, s[2:3]
	v_cmp_lt_i32_e32 vcc, -1, v9
	v_cndmask_b32_e32 v5, -1, v55, vcc
	v_xor_b32_e32 v49, v5, v9
	v_cmp_ne_u32_e32 vcc, s8, v49
	v_cndmask_b32_e32 v5, v55, v49, vcc
	v_lshrrev_b32_e32 v5, s20, v5
	v_and_b32_e32 v6, s31, v5
	v_lshl_add_u32 v5, v6, 4, v6
	v_add_lshl_u32 v9, v5, v29, 2
	v_and_b32_e32 v5, 1, v6
	v_add_co_u32_e32 v7, vcc, -1, v5
	v_addc_co_u32_e64 v55, s[2:3], 0, -1, vcc
	v_cmp_ne_u32_e32 vcc, 0, v5
	v_xor_b32_e32 v5, vcc_hi, v55
	v_and_b32_e32 v55, exec_hi, v5
	v_lshlrev_b32_e32 v5, 30, v6
	v_xor_b32_e32 v7, vcc_lo, v7
	v_cmp_gt_i64_e32 vcc, 0, v[4:5]
	v_not_b32_e32 v5, v5
	v_ashrrev_i32_e32 v5, 31, v5
	v_and_b32_e32 v7, exec_lo, v7
	v_xor_b32_e32 v57, vcc_hi, v5
	v_xor_b32_e32 v5, vcc_lo, v5
	v_and_b32_e32 v7, v7, v5
	v_lshlrev_b32_e32 v5, 29, v6
	v_cmp_gt_i64_e32 vcc, 0, v[4:5]
	v_not_b32_e32 v5, v5
	v_ashrrev_i32_e32 v5, 31, v5
	v_and_b32_e32 v55, v55, v57
	v_xor_b32_e32 v57, vcc_hi, v5
	v_xor_b32_e32 v5, vcc_lo, v5
	v_and_b32_e32 v7, v7, v5
	v_lshlrev_b32_e32 v5, 28, v6
	v_cmp_gt_i64_e32 vcc, 0, v[4:5]
	v_not_b32_e32 v5, v5
	v_ashrrev_i32_e32 v5, 31, v5
	v_and_b32_e32 v55, v55, v57
	;; [unrolled: 8-line block ×5, first 2 shown]
	v_xor_b32_e32 v57, vcc_hi, v5
	v_xor_b32_e32 v5, vcc_lo, v5
	v_and_b32_e32 v7, v7, v5
	v_lshlrev_b32_e32 v5, 24, v6
	v_cmp_gt_i64_e32 vcc, 0, v[4:5]
	v_not_b32_e32 v4, v5
	v_ashrrev_i32_e32 v4, 31, v4
	v_xor_b32_e32 v5, vcc_hi, v4
	v_xor_b32_e32 v4, vcc_lo, v4
	; wave barrier
	ds_read_b32 v29, v9 offset:64
	v_and_b32_e32 v55, v55, v57
	v_and_b32_e32 v4, v7, v4
	v_and_b32_e32 v5, v55, v5
	v_mbcnt_lo_u32_b32 v6, v4, 0
	v_mbcnt_hi_u32_b32 v55, v5, v6
	v_cmp_eq_u32_e32 vcc, 0, v55
	v_cmp_ne_u64_e64 s[2:3], 0, v[4:5]
	v_add_u32_e32 v56, 64, v3
	s_and_b64 s[8:9], s[2:3], vcc
	; wave barrier
	s_and_saveexec_b64 s[2:3], s[8:9]
	s_cbranch_execz .LBB1290_53
; %bb.52:
	v_bcnt_u32_b32 v4, v4, 0
	v_bcnt_u32_b32 v4, v5, v4
	s_waitcnt lgkmcnt(0)
	v_add_u32_e32 v4, v29, v4
	ds_write_b32 v9, v4 offset:64
.LBB1290_53:
	s_or_b64 exec, exec, s[2:3]
	; wave barrier
	s_waitcnt lgkmcnt(0)
	s_barrier
	ds_read2_b32 v[6:7], v3 offset0:16 offset1:17
	ds_read2_b32 v[4:5], v56 offset0:2 offset1:3
	ds_read_b32 v57, v56 offset:16
	v_cmp_lt_u32_e64 s[12:13], 31, v1
	s_waitcnt lgkmcnt(1)
	v_add3_u32 v58, v7, v6, v4
	s_waitcnt lgkmcnt(0)
	v_add3_u32 v57, v58, v5, v57
	v_and_b32_e32 v58, 15, v1
	v_cmp_eq_u32_e32 vcc, 0, v58
	v_mov_b32_dpp v59, v57 row_shr:1 row_mask:0xf bank_mask:0xf
	v_cndmask_b32_e64 v59, v59, 0, vcc
	v_add_u32_e32 v57, v59, v57
	v_cmp_lt_u32_e64 s[2:3], 1, v58
	v_cmp_lt_u32_e64 s[10:11], 3, v58
	v_mov_b32_dpp v59, v57 row_shr:2 row_mask:0xf bank_mask:0xf
	v_cndmask_b32_e64 v59, 0, v59, s[2:3]
	v_add_u32_e32 v57, v57, v59
	v_cmp_lt_u32_e64 s[8:9], 7, v58
	s_nop 0
	v_mov_b32_dpp v59, v57 row_shr:4 row_mask:0xf bank_mask:0xf
	v_cndmask_b32_e64 v59, 0, v59, s[10:11]
	v_add_u32_e32 v57, v57, v59
	s_nop 1
	v_mov_b32_dpp v59, v57 row_shr:8 row_mask:0xf bank_mask:0xf
	v_cndmask_b32_e64 v58, 0, v59, s[8:9]
	v_add_u32_e32 v57, v57, v58
	v_bfe_i32 v59, v1, 4, 1
	s_nop 0
	v_mov_b32_dpp v58, v57 row_bcast:15 row_mask:0xf bank_mask:0xf
	v_and_b32_e32 v58, v59, v58
	v_add_u32_e32 v57, v57, v58
	v_and_b32_e32 v59, 63, v2
	s_nop 0
	v_mov_b32_dpp v58, v57 row_bcast:31 row_mask:0xf bank_mask:0xf
	v_cndmask_b32_e64 v58, 0, v58, s[12:13]
	v_add_u32_e32 v57, v57, v58
	v_lshrrev_b32_e32 v58, 6, v2
	v_cmp_eq_u32_e64 s[12:13], 63, v59
	s_and_saveexec_b64 s[22:23], s[12:13]
	s_cbranch_execz .LBB1290_55
; %bb.54:
	v_lshlrev_b32_e32 v59, 2, v58
	ds_write_b32 v59, v57
.LBB1290_55:
	s_or_b64 exec, exec, s[22:23]
	v_cmp_gt_u32_e64 s[12:13], 16, v2
	s_waitcnt lgkmcnt(0)
	s_barrier
	s_and_saveexec_b64 s[22:23], s[12:13]
	s_cbranch_execz .LBB1290_57
; %bb.56:
	v_lshlrev_b32_e32 v59, 2, v2
	ds_read_b32 v60, v59
	s_waitcnt lgkmcnt(0)
	s_nop 0
	v_mov_b32_dpp v61, v60 row_shr:1 row_mask:0xf bank_mask:0xf
	v_cndmask_b32_e64 v61, v61, 0, vcc
	v_add_u32_e32 v60, v61, v60
	s_nop 1
	v_mov_b32_dpp v61, v60 row_shr:2 row_mask:0xf bank_mask:0xf
	v_cndmask_b32_e64 v61, 0, v61, s[2:3]
	v_add_u32_e32 v60, v60, v61
	s_nop 1
	v_mov_b32_dpp v61, v60 row_shr:4 row_mask:0xf bank_mask:0xf
	v_cndmask_b32_e64 v61, 0, v61, s[10:11]
	;; [unrolled: 4-line block ×3, first 2 shown]
	v_add_u32_e32 v60, v60, v61
	ds_write_b32 v59, v60
.LBB1290_57:
	s_or_b64 exec, exec, s[22:23]
	v_cmp_lt_u32_e32 vcc, 63, v2
	v_mov_b32_e32 v59, 0
	s_waitcnt lgkmcnt(0)
	s_barrier
	s_and_saveexec_b64 s[2:3], vcc
	s_cbranch_execz .LBB1290_59
; %bb.58:
	v_lshl_add_u32 v58, v58, 2, -4
	ds_read_b32 v59, v58
.LBB1290_59:
	s_or_b64 exec, exec, s[2:3]
	v_add_u32_e32 v58, -1, v1
	v_and_b32_e32 v60, 64, v1
	v_cmp_lt_i32_e32 vcc, v58, v60
	v_cndmask_b32_e32 v58, v58, v1, vcc
	s_waitcnt lgkmcnt(0)
	v_add_u32_e32 v57, v59, v57
	v_lshlrev_b32_e32 v58, 2, v58
	ds_bpermute_b32 v57, v58, v57
	v_cmp_eq_u32_e32 vcc, 0, v1
	s_movk_i32 s8, 0xff
	s_movk_i32 s2, 0x100
	v_cmp_gt_u32_e64 s[2:3], s2, v2
	s_waitcnt lgkmcnt(0)
	v_cndmask_b32_e32 v1, v57, v59, vcc
	v_cndmask_b32_e64 v1, v1, 0, s[0:1]
	v_add_u32_e32 v6, v1, v6
	v_add_u32_e32 v7, v6, v7
	;; [unrolled: 1-line block ×4, first 2 shown]
	ds_write2_b32 v3, v1, v6 offset0:16 offset1:17
	ds_write2_b32 v56, v7, v4 offset0:2 offset1:3
	ds_write_b32 v56, v5 offset:16
	s_waitcnt lgkmcnt(0)
	s_barrier
	ds_read_b32 v58, v8 offset:64
	ds_read_b32 v1, v10 offset:64
	;; [unrolled: 1-line block ×12, first 2 shown]
	v_cmp_lt_u32_e32 vcc, s8, v2
	v_pk_mov_b32 v[4:5], 0, 0
                                        ; implicit-def: $vgpr40
	s_and_saveexec_b64 s[10:11], s[2:3]
	s_cbranch_execz .LBB1290_63
; %bb.60:
	v_mul_u32_u24_e32 v3, 17, v2
	v_lshlrev_b32_e32 v5, 2, v3
	ds_read_b32 v4, v5 offset:64
	v_cmp_ne_u32_e64 s[8:9], s8, v2
	v_mov_b32_e32 v3, 0x3000
	s_and_saveexec_b64 s[12:13], s[8:9]
	s_cbranch_execz .LBB1290_62
; %bb.61:
	ds_read_b32 v3, v5 offset:132
.LBB1290_62:
	s_or_b64 exec, exec, s[12:13]
	s_waitcnt lgkmcnt(0)
	v_sub_u32_e32 v40, v3, v4
	v_mov_b32_e32 v5, 0
.LBB1290_63:
	s_or_b64 exec, exec, s[10:11]
	s_waitcnt lgkmcnt(0)
	s_barrier
	s_and_saveexec_b64 s[8:9], vcc
	s_xor_b64 s[8:9], exec, s[8:9]
; %bb.64:
	v_mov_b32_e32 v3, 0
; %bb.65:
	s_andn2_saveexec_b64 s[8:9], s[8:9]
	s_cbranch_execz .LBB1290_75
; %bb.66:
	v_lshl_or_b32 v6, s30, 8, v2
	v_mov_b32_e32 v7, 0
	v_lshlrev_b64 v[8:9], 2, v[6:7]
	v_mov_b32_e32 v3, s15
	v_add_co_u32_e32 v8, vcc, s14, v8
	v_addc_co_u32_e32 v9, vcc, v3, v9, vcc
	v_or_b32_e32 v6, 2.0, v40
	s_mov_b64 s[10:11], 0
	s_brev_b32 s33, 1
	s_mov_b32 s34, s30
	v_mov_b32_e32 v60, 0
	global_store_dword v[8:9], v6, off
                                        ; implicit-def: $sgpr12_sgpr13
	s_branch .LBB1290_68
.LBB1290_67:                            ;   in Loop: Header=BB1290_68 Depth=1
	s_or_b64 exec, exec, s[12:13]
	v_and_b32_e32 v10, 0x3fffffff, v61
	v_add_u32_e32 v60, v10, v60
	v_cmp_eq_u32_e64 s[12:13], s33, v6
	s_and_b64 s[22:23], exec, s[12:13]
	s_or_b64 s[10:11], s[22:23], s[10:11]
	s_andn2_b64 exec, exec, s[10:11]
	s_cbranch_execz .LBB1290_74
.LBB1290_68:                            ; =>This Loop Header: Depth=1
                                        ;     Child Loop BB1290_71 Depth 2
	s_or_b64 s[12:13], s[12:13], exec
	s_cmp_eq_u32 s34, 0
	s_cbranch_scc1 .LBB1290_73
; %bb.69:                               ;   in Loop: Header=BB1290_68 Depth=1
	s_add_i32 s34, s34, -1
	v_lshl_or_b32 v6, s34, 8, v2
	v_lshlrev_b64 v[10:11], 2, v[6:7]
	v_add_co_u32_e32 v10, vcc, s14, v10
	v_addc_co_u32_e32 v11, vcc, v3, v11, vcc
	global_load_dword v61, v[10:11], off glc
	s_waitcnt vmcnt(0)
	v_and_b32_e32 v6, -2.0, v61
	v_cmp_eq_u32_e32 vcc, 0, v6
	s_and_saveexec_b64 s[12:13], vcc
	s_cbranch_execz .LBB1290_67
; %bb.70:                               ;   in Loop: Header=BB1290_68 Depth=1
	s_mov_b64 s[22:23], 0
.LBB1290_71:                            ;   Parent Loop BB1290_68 Depth=1
                                        ; =>  This Inner Loop Header: Depth=2
	global_load_dword v61, v[10:11], off glc
	s_waitcnt vmcnt(0)
	v_and_b32_e32 v6, -2.0, v61
	v_cmp_ne_u32_e32 vcc, 0, v6
	s_or_b64 s[22:23], vcc, s[22:23]
	s_andn2_b64 exec, exec, s[22:23]
	s_cbranch_execnz .LBB1290_71
; %bb.72:                               ;   in Loop: Header=BB1290_68 Depth=1
	s_or_b64 exec, exec, s[22:23]
	s_branch .LBB1290_67
.LBB1290_73:                            ;   in Loop: Header=BB1290_68 Depth=1
                                        ; implicit-def: $sgpr34
	s_and_b64 s[22:23], exec, s[12:13]
	s_or_b64 s[10:11], s[22:23], s[10:11]
	s_andn2_b64 exec, exec, s[10:11]
	s_cbranch_execnz .LBB1290_68
.LBB1290_74:
	s_or_b64 exec, exec, s[10:11]
	v_add_u32_e32 v3, v60, v40
	v_or_b32_e32 v3, 0x80000000, v3
	global_store_dword v[8:9], v3, off
	v_lshlrev_b32_e32 v8, 3, v2
	global_load_dwordx2 v[6:7], v8, s[16:17]
	v_sub_co_u32_e32 v9, vcc, v60, v4
	v_subb_co_u32_e32 v10, vcc, 0, v5, vcc
	v_mov_b32_e32 v3, 0
	s_waitcnt vmcnt(0)
	v_add_co_u32_e32 v6, vcc, v9, v6
	v_addc_co_u32_e32 v7, vcc, v10, v7, vcc
	ds_write_b64 v8, v[6:7]
.LBB1290_75:
	s_or_b64 exec, exec, s[8:9]
	v_add3_u32 v37, v42, v37, v41
	v_add3_u32 v38, v39, v43, v38
	v_lshlrev_b64 v[42:43], 2, v[2:3]
	v_lshlrev_b32_e32 v8, 2, v2
	v_add3_u32 v17, v19, v1, v17
	v_mov_b32_e32 v1, s27
	v_add_co_u32_e32 v6, vcc, s26, v42
	v_add_u32_e32 v7, v58, v16
	v_add_u32_e32 v9, 0x800, v8
	v_add3_u32 v10, v55, v59, v29
	v_add3_u32 v11, v54, v53, v52
	;; [unrolled: 1-line block ×8, first 2 shown]
	v_addc_co_u32_e32 v1, vcc, v1, v43, vcc
	s_mov_b32 s10, 0
	s_brev_b32 s11, -2
	v_bfrev_b32_e32 v19, 1
	v_mov_b32_e32 v22, v2
	s_branch .LBB1290_77
.LBB1290_76:                            ;   in Loop: Header=BB1290_77 Depth=1
	s_or_b64 exec, exec, s[8:9]
	s_addk_i32 s10, 0xf000
	v_add_co_u32_e32 v6, vcc, 0x4000, v6
	v_addc_co_u32_e32 v1, vcc, 0, v1, vcc
	s_cmpk_eq_i32 s10, 0xd000
	v_add_u32_e32 v22, 0x1000, v22
	s_barrier
	s_cbranch_scc1 .LBB1290_86
.LBB1290_77:                            ; =>This Inner Loop Header: Depth=1
	v_add_u32_e32 v25, s10, v7
	v_min_u32_e32 v25, 0x1000, v25
	v_lshlrev_b32_e32 v25, 2, v25
	ds_write_b32 v25, v13 offset:2048
	v_add_u32_e32 v25, s10, v17
	v_min_u32_e32 v25, 0x1000, v25
	v_lshlrev_b32_e32 v25, 2, v25
	ds_write_b32 v25, v14 offset:2048
	;; [unrolled: 4-line block ×11, first 2 shown]
	v_add_u32_e32 v25, s10, v10
	v_min_u32_e32 v25, 0x1000, v25
	v_lshlrev_b32_e32 v25, 2, v25
	v_cmp_gt_u32_e32 vcc, s7, v22
	ds_write_b32 v25, v49 offset:2048
	s_waitcnt lgkmcnt(0)
	s_barrier
	s_and_saveexec_b64 s[8:9], vcc
	s_cbranch_execz .LBB1290_79
; %bb.78:                               ;   in Loop: Header=BB1290_77 Depth=1
	ds_read_b32 v25, v8 offset:2048
	s_waitcnt lgkmcnt(0)
	v_cmp_ne_u32_e32 vcc, s11, v25
	v_cndmask_b32_e32 v26, v19, v25, vcc
	v_lshrrev_b32_e32 v26, s20, v26
	v_and_b32_e32 v26, s31, v26
	v_lshlrev_b32_e32 v26, 3, v26
	ds_read_b64 v[42:43], v26
	v_cmp_lt_i32_e32 vcc, -1, v25
	v_cndmask_b32_e64 v26, v19, -1, vcc
	v_xor_b32_e32 v25, v26, v25
	s_waitcnt lgkmcnt(0)
	v_lshlrev_b64 v[42:43], 2, v[42:43]
	v_add_co_u32_e32 v42, vcc, v6, v42
	v_addc_co_u32_e32 v43, vcc, v1, v43, vcc
	global_store_dword v[42:43], v25, off
.LBB1290_79:                            ;   in Loop: Header=BB1290_77 Depth=1
	s_or_b64 exec, exec, s[8:9]
	v_add_u32_e32 v25, 0x400, v22
	v_cmp_gt_u32_e32 vcc, s7, v25
	s_and_saveexec_b64 s[8:9], vcc
	s_cbranch_execz .LBB1290_81
; %bb.80:                               ;   in Loop: Header=BB1290_77 Depth=1
	ds_read_b32 v25, v9 offset:4096
	s_waitcnt lgkmcnt(0)
	v_cmp_ne_u32_e32 vcc, s11, v25
	v_cndmask_b32_e32 v26, v19, v25, vcc
	v_lshrrev_b32_e32 v26, s20, v26
	v_and_b32_e32 v26, s31, v26
	v_lshlrev_b32_e32 v26, 3, v26
	ds_read_b64 v[42:43], v26
	v_cmp_lt_i32_e32 vcc, -1, v25
	v_cndmask_b32_e64 v26, v19, -1, vcc
	v_xor_b32_e32 v25, v26, v25
	s_waitcnt lgkmcnt(0)
	v_lshlrev_b64 v[42:43], 2, v[42:43]
	v_add_co_u32_e32 v26, vcc, v6, v42
	v_addc_co_u32_e32 v31, vcc, v1, v43, vcc
	v_add_co_u32_e32 v42, vcc, 0x1000, v26
	v_addc_co_u32_e32 v43, vcc, 0, v31, vcc
	global_store_dword v[42:43], v25, off
.LBB1290_81:                            ;   in Loop: Header=BB1290_77 Depth=1
	s_or_b64 exec, exec, s[8:9]
	v_add_u32_e32 v25, 0x800, v22
	v_cmp_gt_u32_e32 vcc, s7, v25
	s_and_saveexec_b64 s[8:9], vcc
	s_cbranch_execz .LBB1290_83
; %bb.82:                               ;   in Loop: Header=BB1290_77 Depth=1
	ds_read_b32 v25, v9 offset:8192
	s_waitcnt lgkmcnt(0)
	v_cmp_ne_u32_e32 vcc, s11, v25
	v_cndmask_b32_e32 v26, v19, v25, vcc
	v_lshrrev_b32_e32 v26, s20, v26
	v_and_b32_e32 v26, s31, v26
	v_lshlrev_b32_e32 v26, 3, v26
	ds_read_b64 v[42:43], v26
	v_cmp_lt_i32_e32 vcc, -1, v25
	v_cndmask_b32_e64 v26, v19, -1, vcc
	v_xor_b32_e32 v25, v26, v25
	s_waitcnt lgkmcnt(0)
	v_lshlrev_b64 v[42:43], 2, v[42:43]
	v_add_co_u32_e32 v26, vcc, v6, v42
	v_addc_co_u32_e32 v31, vcc, v1, v43, vcc
	v_add_co_u32_e32 v42, vcc, 0x2000, v26
	v_addc_co_u32_e32 v43, vcc, 0, v31, vcc
	global_store_dword v[42:43], v25, off
.LBB1290_83:                            ;   in Loop: Header=BB1290_77 Depth=1
	s_or_b64 exec, exec, s[8:9]
	v_add_u32_e32 v25, 0xc00, v22
	v_cmp_gt_u32_e32 vcc, s7, v25
	s_and_saveexec_b64 s[8:9], vcc
	s_cbranch_execz .LBB1290_76
; %bb.84:                               ;   in Loop: Header=BB1290_77 Depth=1
	ds_read_b32 v25, v9 offset:12288
	s_waitcnt lgkmcnt(0)
	v_cmp_ne_u32_e32 vcc, s11, v25
	v_cndmask_b32_e32 v26, v19, v25, vcc
	v_lshrrev_b32_e32 v26, s20, v26
	v_and_b32_e32 v26, s31, v26
	v_lshlrev_b32_e32 v26, 3, v26
	ds_read_b64 v[42:43], v26
	v_cmp_lt_i32_e32 vcc, -1, v25
	v_cndmask_b32_e64 v26, v19, -1, vcc
	v_xor_b32_e32 v25, v26, v25
	s_waitcnt lgkmcnt(0)
	v_lshlrev_b64 v[42:43], 2, v[42:43]
	v_add_co_u32_e32 v26, vcc, v6, v42
	v_addc_co_u32_e32 v31, vcc, v1, v43, vcc
	v_add_co_u32_e32 v42, vcc, 0x3000, v26
	v_addc_co_u32_e32 v43, vcc, 0, v31, vcc
	global_store_dword v[42:43], v25, off
	s_branch .LBB1290_76
.LBB1290_85:
	s_mov_b64 s[2:3], 0
                                        ; implicit-def: $vgpr4_vgpr5
                                        ; implicit-def: $vgpr40
	s_cbranch_execnz .LBB1290_87
	s_branch .LBB1290_136
.LBB1290_86:
	s_add_i32 s29, s29, -1
	s_cmp_eq_u32 s29, s30
	s_cselect_b64 s[8:9], -1, 0
	s_and_b64 s[2:3], s[2:3], s[8:9]
	s_branch .LBB1290_136
.LBB1290_87:
	s_mov_b32 s29, 0
	v_mbcnt_hi_u32_b32 v3, -1, v12
	s_lshl_b64 s[2:3], s[28:29], 2
	v_and_b32_e32 v1, 63, v3
	s_add_u32 s2, s24, s2
	v_lshlrev_b32_e32 v1, 2, v1
	v_add_co_u32_e32 v1, vcc, s2, v1
	s_load_dword s12, s[4:5], 0x58
	s_load_dword s2, s[4:5], 0x64
	s_addc_u32 s3, s25, s3
	v_and_b32_e32 v5, 0x3c0, v2
	v_mul_u32_u24_e32 v5, 12, v5
	v_mov_b32_e32 v6, s3
	v_addc_co_u32_e32 v6, vcc, 0, v6, vcc
	v_lshlrev_b32_e32 v5, 2, v5
	v_add_co_u32_e32 v14, vcc, v1, v5
	s_add_u32 s3, s4, 0x58
	v_addc_co_u32_e32 v15, vcc, 0, v6, vcc
	s_addc_u32 s4, s5, 0
	s_waitcnt lgkmcnt(0)
	s_lshr_b32 s5, s2, 16
	global_load_dword v1, v[14:15], off
	s_cmp_lt_u32 s6, s12
	s_cselect_b32 s2, 12, 18
	s_add_u32 s2, s3, s2
	v_mov_b32_e32 v4, 0
	s_addc_u32 s3, s4, 0
	global_load_ushort v5, v4, s[2:3]
	v_mul_u32_u24_e32 v6, 5, v2
	v_lshlrev_b32_e32 v6, 2, v6
	ds_write2_b32 v6, v4, v4 offset0:16 offset1:17
	ds_write2_b32 v6, v4, v4 offset0:18 offset1:19
	ds_write_b32 v6, v4 offset:80
	global_load_dword v11, v[14:15], off offset:256
	global_load_dword v12, v[14:15], off offset:512
	;; [unrolled: 1-line block ×11, first 2 shown]
	v_bfrev_b32_e32 v8, 1
	v_bfe_u32 v7, v0, 10, 10
	v_bfe_u32 v0, v0, 20, 10
	v_mad_u32_u24 v0, v0, s5, v7
	s_brev_b32 s4, -2
	s_lshl_b32 s2, -1, s21
	s_not_b32 s13, s2
	s_waitcnt lgkmcnt(0)
	s_barrier
	s_waitcnt lgkmcnt(0)
	; wave barrier
	s_waitcnt vmcnt(12)
	v_cmp_lt_i32_e32 vcc, -1, v1
	v_cndmask_b32_e32 v7, -1, v8, vcc
	v_xor_b32_e32 v10, v7, v1
	v_cmp_ne_u32_e32 vcc, s4, v10
	v_cndmask_b32_e32 v7, v8, v10, vcc
	s_waitcnt vmcnt(11)
	v_mad_u64_u32 v[0:1], s[2:3], v0, v5, v[2:3]
	v_lshrrev_b32_e32 v1, s20, v7
	v_lshrrev_b32_e32 v22, 6, v0
	v_and_b32_e32 v0, s13, v1
	v_lshl_add_u32 v1, v0, 4, v0
	v_and_b32_e32 v14, 1, v0
	v_add_lshl_u32 v7, v22, v1, 2
	v_add_co_u32_e32 v1, vcc, -1, v14
	v_lshlrev_b32_e32 v5, 30, v0
	v_addc_co_u32_e64 v15, s[2:3], 0, -1, vcc
	v_cmp_ne_u32_e32 vcc, 0, v14
	v_cmp_gt_i64_e64 s[2:3], 0, v[4:5]
	v_not_b32_e32 v14, v5
	v_lshlrev_b32_e32 v5, 29, v0
	v_xor_b32_e32 v15, vcc_hi, v15
	v_xor_b32_e32 v1, vcc_lo, v1
	v_ashrrev_i32_e32 v14, 31, v14
	v_cmp_gt_i64_e32 vcc, 0, v[4:5]
	v_not_b32_e32 v17, v5
	v_lshlrev_b32_e32 v5, 28, v0
	v_and_b32_e32 v15, exec_hi, v15
	v_and_b32_e32 v1, exec_lo, v1
	v_xor_b32_e32 v18, s3, v14
	v_xor_b32_e32 v14, s2, v14
	v_ashrrev_i32_e32 v17, 31, v17
	v_cmp_gt_i64_e64 s[2:3], 0, v[4:5]
	v_not_b32_e32 v5, v5
	v_and_b32_e32 v15, v15, v18
	v_and_b32_e32 v1, v1, v14
	v_xor_b32_e32 v14, vcc_hi, v17
	v_xor_b32_e32 v17, vcc_lo, v17
	v_ashrrev_i32_e32 v5, 31, v5
	v_and_b32_e32 v14, v15, v14
	v_and_b32_e32 v1, v1, v17
	v_xor_b32_e32 v15, s3, v5
	v_xor_b32_e32 v5, s2, v5
	v_and_b32_e32 v1, v1, v5
	v_lshlrev_b32_e32 v5, 27, v0
	v_cmp_gt_i64_e32 vcc, 0, v[4:5]
	v_not_b32_e32 v5, v5
	v_ashrrev_i32_e32 v5, 31, v5
	v_and_b32_e32 v14, v14, v15
	v_xor_b32_e32 v15, vcc_hi, v5
	v_xor_b32_e32 v5, vcc_lo, v5
	v_and_b32_e32 v1, v1, v5
	v_lshlrev_b32_e32 v5, 26, v0
	v_cmp_gt_i64_e32 vcc, 0, v[4:5]
	v_not_b32_e32 v5, v5
	v_ashrrev_i32_e32 v5, 31, v5
	v_and_b32_e32 v14, v14, v15
	v_xor_b32_e32 v15, vcc_hi, v5
	v_xor_b32_e32 v5, vcc_lo, v5
	;; [unrolled: 8-line block ×3, first 2 shown]
	v_and_b32_e32 v14, v14, v15
	v_and_b32_e32 v15, v1, v5
	v_lshlrev_b32_e32 v5, 24, v0
	v_not_b32_e32 v0, v5
	v_cmp_gt_i64_e32 vcc, 0, v[4:5]
	v_ashrrev_i32_e32 v0, 31, v0
	v_xor_b32_e32 v1, vcc_hi, v0
	v_xor_b32_e32 v0, vcc_lo, v0
	v_and_b32_e32 v0, v15, v0
	v_and_b32_e32 v1, v14, v1
	v_mbcnt_lo_u32_b32 v5, v0, 0
	v_mbcnt_hi_u32_b32 v14, v1, v5
	v_cmp_eq_u32_e32 vcc, 0, v14
	v_cmp_ne_u64_e64 s[2:3], 0, v[0:1]
	s_and_b64 s[6:7], s[2:3], vcc
	s_and_saveexec_b64 s[2:3], s[6:7]
	s_cbranch_execz .LBB1290_89
; %bb.88:
	v_bcnt_u32_b32 v0, v0, 0
	v_bcnt_u32_b32 v0, v1, v0
	ds_write_b32 v7, v0 offset:64
.LBB1290_89:
	s_or_b64 exec, exec, s[2:3]
	s_waitcnt vmcnt(10)
	v_cmp_lt_i32_e32 vcc, -1, v11
	v_cndmask_b32_e32 v0, -1, v8, vcc
	v_xor_b32_e32 v11, v0, v11
	v_cmp_ne_u32_e32 vcc, s4, v11
	v_cndmask_b32_e32 v0, v8, v11, vcc
	v_lshrrev_b32_e32 v0, s20, v0
	v_and_b32_e32 v0, s13, v0
	v_lshl_add_u32 v1, v0, 4, v0
	v_add_lshl_u32 v8, v22, v1, 2
	v_and_b32_e32 v1, 1, v0
	v_add_co_u32_e32 v5, vcc, -1, v1
	v_addc_co_u32_e64 v17, s[2:3], 0, -1, vcc
	v_cmp_ne_u32_e32 vcc, 0, v1
	v_xor_b32_e32 v5, vcc_lo, v5
	v_xor_b32_e32 v1, vcc_hi, v17
	v_and_b32_e32 v17, exec_lo, v5
	v_lshlrev_b32_e32 v5, 30, v0
	v_cmp_gt_i64_e32 vcc, 0, v[4:5]
	v_not_b32_e32 v5, v5
	v_ashrrev_i32_e32 v5, 31, v5
	v_xor_b32_e32 v18, vcc_hi, v5
	v_xor_b32_e32 v5, vcc_lo, v5
	v_and_b32_e32 v17, v17, v5
	v_lshlrev_b32_e32 v5, 29, v0
	v_cmp_gt_i64_e32 vcc, 0, v[4:5]
	v_not_b32_e32 v5, v5
	v_and_b32_e32 v1, exec_hi, v1
	v_ashrrev_i32_e32 v5, 31, v5
	v_and_b32_e32 v1, v1, v18
	v_xor_b32_e32 v18, vcc_hi, v5
	v_xor_b32_e32 v5, vcc_lo, v5
	v_and_b32_e32 v17, v17, v5
	v_lshlrev_b32_e32 v5, 28, v0
	v_cmp_gt_i64_e32 vcc, 0, v[4:5]
	v_not_b32_e32 v5, v5
	v_ashrrev_i32_e32 v5, 31, v5
	v_and_b32_e32 v1, v1, v18
	v_xor_b32_e32 v18, vcc_hi, v5
	v_xor_b32_e32 v5, vcc_lo, v5
	v_and_b32_e32 v17, v17, v5
	v_lshlrev_b32_e32 v5, 27, v0
	v_cmp_gt_i64_e32 vcc, 0, v[4:5]
	v_not_b32_e32 v5, v5
	;; [unrolled: 8-line block ×4, first 2 shown]
	v_ashrrev_i32_e32 v5, 31, v5
	v_and_b32_e32 v1, v1, v18
	v_xor_b32_e32 v18, vcc_hi, v5
	v_xor_b32_e32 v5, vcc_lo, v5
	v_and_b32_e32 v17, v17, v5
	v_lshlrev_b32_e32 v5, 24, v0
	v_not_b32_e32 v0, v5
	v_cmp_gt_i64_e32 vcc, 0, v[4:5]
	v_ashrrev_i32_e32 v0, 31, v0
	v_xor_b32_e32 v4, vcc_hi, v0
	v_xor_b32_e32 v0, vcc_lo, v0
	; wave barrier
	ds_read_b32 v15, v8 offset:64
	v_and_b32_e32 v1, v1, v18
	v_and_b32_e32 v0, v17, v0
	v_and_b32_e32 v1, v1, v4
	v_mbcnt_lo_u32_b32 v4, v0, 0
	v_mbcnt_hi_u32_b32 v17, v1, v4
	v_cmp_eq_u32_e32 vcc, 0, v17
	v_cmp_ne_u64_e64 s[2:3], 0, v[0:1]
	s_and_b64 s[4:5], s[2:3], vcc
	; wave barrier
	s_and_saveexec_b64 s[2:3], s[4:5]
	s_cbranch_execz .LBB1290_91
; %bb.90:
	v_bcnt_u32_b32 v0, v0, 0
	v_bcnt_u32_b32 v0, v1, v0
	s_waitcnt lgkmcnt(0)
	v_add_u32_e32 v0, v15, v0
	ds_write_b32 v8, v0 offset:64
.LBB1290_91:
	s_or_b64 exec, exec, s[2:3]
	v_bfrev_b32_e32 v21, 1
	s_waitcnt vmcnt(9)
	v_cmp_lt_i32_e32 vcc, -1, v12
	v_cndmask_b32_e32 v0, -1, v21, vcc
	v_xor_b32_e32 v12, v0, v12
	s_brev_b32 s4, -2
	v_cmp_ne_u32_e32 vcc, s4, v12
	v_cndmask_b32_e32 v0, v21, v12, vcc
	v_lshrrev_b32_e32 v0, s20, v0
	v_and_b32_e32 v4, s13, v0
	v_and_b32_e32 v1, 1, v4
	v_add_co_u32_e32 v5, vcc, -1, v1
	v_addc_co_u32_e64 v20, s[2:3], 0, -1, vcc
	v_cmp_ne_u32_e32 vcc, 0, v1
	v_lshl_add_u32 v0, v4, 4, v4
	v_xor_b32_e32 v1, vcc_hi, v20
	v_add_lshl_u32 v25, v22, v0, 2
	v_mov_b32_e32 v0, 0
	v_and_b32_e32 v20, exec_hi, v1
	v_lshlrev_b32_e32 v1, 30, v4
	v_xor_b32_e32 v5, vcc_lo, v5
	v_cmp_gt_i64_e32 vcc, 0, v[0:1]
	v_not_b32_e32 v1, v1
	v_ashrrev_i32_e32 v1, 31, v1
	v_and_b32_e32 v5, exec_lo, v5
	v_xor_b32_e32 v24, vcc_hi, v1
	v_xor_b32_e32 v1, vcc_lo, v1
	v_and_b32_e32 v5, v5, v1
	v_lshlrev_b32_e32 v1, 29, v4
	v_cmp_gt_i64_e32 vcc, 0, v[0:1]
	v_not_b32_e32 v1, v1
	v_ashrrev_i32_e32 v1, 31, v1
	v_and_b32_e32 v20, v20, v24
	v_xor_b32_e32 v24, vcc_hi, v1
	v_xor_b32_e32 v1, vcc_lo, v1
	v_and_b32_e32 v5, v5, v1
	v_lshlrev_b32_e32 v1, 28, v4
	v_cmp_gt_i64_e32 vcc, 0, v[0:1]
	v_not_b32_e32 v1, v1
	v_ashrrev_i32_e32 v1, 31, v1
	v_and_b32_e32 v20, v20, v24
	v_xor_b32_e32 v24, vcc_hi, v1
	v_xor_b32_e32 v1, vcc_lo, v1
	v_and_b32_e32 v5, v5, v1
	v_lshlrev_b32_e32 v1, 27, v4
	v_cmp_gt_i64_e32 vcc, 0, v[0:1]
	v_not_b32_e32 v1, v1
	v_ashrrev_i32_e32 v1, 31, v1
	v_and_b32_e32 v20, v20, v24
	v_xor_b32_e32 v24, vcc_hi, v1
	v_xor_b32_e32 v1, vcc_lo, v1
	v_and_b32_e32 v5, v5, v1
	v_lshlrev_b32_e32 v1, 26, v4
	v_cmp_gt_i64_e32 vcc, 0, v[0:1]
	v_not_b32_e32 v1, v1
	v_ashrrev_i32_e32 v1, 31, v1
	v_and_b32_e32 v20, v20, v24
	v_xor_b32_e32 v24, vcc_hi, v1
	v_xor_b32_e32 v1, vcc_lo, v1
	v_and_b32_e32 v5, v5, v1
	v_lshlrev_b32_e32 v1, 25, v4
	v_cmp_gt_i64_e32 vcc, 0, v[0:1]
	v_not_b32_e32 v1, v1
	v_ashrrev_i32_e32 v1, 31, v1
	v_and_b32_e32 v20, v20, v24
	v_xor_b32_e32 v24, vcc_hi, v1
	v_xor_b32_e32 v1, vcc_lo, v1
	v_and_b32_e32 v20, v20, v24
	v_and_b32_e32 v24, v5, v1
	v_lshlrev_b32_e32 v1, 24, v4
	v_cmp_gt_i64_e32 vcc, 0, v[0:1]
	v_not_b32_e32 v1, v1
	v_ashrrev_i32_e32 v1, 31, v1
	v_xor_b32_e32 v4, vcc_hi, v1
	v_xor_b32_e32 v1, vcc_lo, v1
	; wave barrier
	ds_read_b32 v18, v25 offset:64
	v_and_b32_e32 v5, v20, v4
	v_and_b32_e32 v4, v24, v1
	v_mbcnt_lo_u32_b32 v1, v4, 0
	v_mbcnt_hi_u32_b32 v20, v5, v1
	v_cmp_eq_u32_e32 vcc, 0, v20
	v_cmp_ne_u64_e64 s[2:3], 0, v[4:5]
	s_and_b64 s[6:7], s[2:3], vcc
	; wave barrier
	s_and_saveexec_b64 s[2:3], s[6:7]
	s_cbranch_execz .LBB1290_93
; %bb.92:
	v_bcnt_u32_b32 v1, v4, 0
	v_bcnt_u32_b32 v1, v5, v1
	s_waitcnt lgkmcnt(0)
	v_add_u32_e32 v1, v18, v1
	ds_write_b32 v25, v1 offset:64
.LBB1290_93:
	s_or_b64 exec, exec, s[2:3]
	s_waitcnt vmcnt(8)
	v_cmp_lt_i32_e32 vcc, -1, v13
	v_cndmask_b32_e32 v1, -1, v21, vcc
	v_xor_b32_e32 v13, v1, v13
	v_cmp_ne_u32_e32 vcc, s4, v13
	v_cndmask_b32_e32 v1, v21, v13, vcc
	v_lshrrev_b32_e32 v1, s20, v1
	v_and_b32_e32 v4, s13, v1
	v_lshl_add_u32 v1, v4, 4, v4
	v_add_lshl_u32 v30, v22, v1, 2
	v_and_b32_e32 v1, 1, v4
	v_add_co_u32_e32 v5, vcc, -1, v1
	v_addc_co_u32_e64 v24, s[2:3], 0, -1, vcc
	v_cmp_ne_u32_e32 vcc, 0, v1
	v_xor_b32_e32 v1, vcc_hi, v24
	v_and_b32_e32 v24, exec_hi, v1
	v_lshlrev_b32_e32 v1, 30, v4
	v_xor_b32_e32 v5, vcc_lo, v5
	v_cmp_gt_i64_e32 vcc, 0, v[0:1]
	v_not_b32_e32 v1, v1
	v_ashrrev_i32_e32 v1, 31, v1
	v_and_b32_e32 v5, exec_lo, v5
	v_xor_b32_e32 v26, vcc_hi, v1
	v_xor_b32_e32 v1, vcc_lo, v1
	v_and_b32_e32 v5, v5, v1
	v_lshlrev_b32_e32 v1, 29, v4
	v_cmp_gt_i64_e32 vcc, 0, v[0:1]
	v_not_b32_e32 v1, v1
	v_ashrrev_i32_e32 v1, 31, v1
	v_and_b32_e32 v24, v24, v26
	v_xor_b32_e32 v26, vcc_hi, v1
	v_xor_b32_e32 v1, vcc_lo, v1
	v_and_b32_e32 v5, v5, v1
	v_lshlrev_b32_e32 v1, 28, v4
	v_cmp_gt_i64_e32 vcc, 0, v[0:1]
	v_not_b32_e32 v1, v1
	v_ashrrev_i32_e32 v1, 31, v1
	v_and_b32_e32 v24, v24, v26
	;; [unrolled: 8-line block ×5, first 2 shown]
	v_xor_b32_e32 v26, vcc_hi, v1
	v_xor_b32_e32 v1, vcc_lo, v1
	v_and_b32_e32 v5, v5, v1
	v_lshlrev_b32_e32 v1, 24, v4
	v_cmp_gt_i64_e32 vcc, 0, v[0:1]
	v_not_b32_e32 v0, v1
	v_ashrrev_i32_e32 v0, 31, v0
	v_xor_b32_e32 v1, vcc_hi, v0
	v_xor_b32_e32 v0, vcc_lo, v0
	; wave barrier
	ds_read_b32 v21, v30 offset:64
	v_and_b32_e32 v24, v24, v26
	v_and_b32_e32 v0, v5, v0
	;; [unrolled: 1-line block ×3, first 2 shown]
	v_mbcnt_lo_u32_b32 v4, v0, 0
	v_mbcnt_hi_u32_b32 v24, v1, v4
	v_cmp_eq_u32_e32 vcc, 0, v24
	v_cmp_ne_u64_e64 s[2:3], 0, v[0:1]
	s_and_b64 s[4:5], s[2:3], vcc
	; wave barrier
	s_and_saveexec_b64 s[2:3], s[4:5]
	s_cbranch_execz .LBB1290_95
; %bb.94:
	v_bcnt_u32_b32 v0, v0, 0
	v_bcnt_u32_b32 v0, v1, v0
	s_waitcnt lgkmcnt(0)
	v_add_u32_e32 v0, v21, v0
	ds_write_b32 v30, v0 offset:64
.LBB1290_95:
	s_or_b64 exec, exec, s[2:3]
	v_bfrev_b32_e32 v31, 1
	s_waitcnt vmcnt(7)
	v_cmp_lt_i32_e32 vcc, -1, v16
	v_cndmask_b32_e32 v0, -1, v31, vcc
	v_xor_b32_e32 v16, v0, v16
	s_brev_b32 s4, -2
	v_cmp_ne_u32_e32 vcc, s4, v16
	v_cndmask_b32_e32 v0, v31, v16, vcc
	v_lshrrev_b32_e32 v0, s20, v0
	v_and_b32_e32 v4, s13, v0
	v_and_b32_e32 v1, 1, v4
	v_add_co_u32_e32 v5, vcc, -1, v1
	v_addc_co_u32_e64 v29, s[2:3], 0, -1, vcc
	v_cmp_ne_u32_e32 vcc, 0, v1
	v_lshl_add_u32 v0, v4, 4, v4
	v_xor_b32_e32 v1, vcc_hi, v29
	v_add_lshl_u32 v35, v22, v0, 2
	v_mov_b32_e32 v0, 0
	v_and_b32_e32 v29, exec_hi, v1
	v_lshlrev_b32_e32 v1, 30, v4
	v_xor_b32_e32 v5, vcc_lo, v5
	v_cmp_gt_i64_e32 vcc, 0, v[0:1]
	v_not_b32_e32 v1, v1
	v_ashrrev_i32_e32 v1, 31, v1
	v_and_b32_e32 v5, exec_lo, v5
	v_xor_b32_e32 v34, vcc_hi, v1
	v_xor_b32_e32 v1, vcc_lo, v1
	v_and_b32_e32 v5, v5, v1
	v_lshlrev_b32_e32 v1, 29, v4
	v_cmp_gt_i64_e32 vcc, 0, v[0:1]
	v_not_b32_e32 v1, v1
	v_ashrrev_i32_e32 v1, 31, v1
	v_and_b32_e32 v29, v29, v34
	v_xor_b32_e32 v34, vcc_hi, v1
	v_xor_b32_e32 v1, vcc_lo, v1
	v_and_b32_e32 v5, v5, v1
	v_lshlrev_b32_e32 v1, 28, v4
	v_cmp_gt_i64_e32 vcc, 0, v[0:1]
	v_not_b32_e32 v1, v1
	v_ashrrev_i32_e32 v1, 31, v1
	v_and_b32_e32 v29, v29, v34
	;; [unrolled: 8-line block ×5, first 2 shown]
	v_xor_b32_e32 v34, vcc_hi, v1
	v_xor_b32_e32 v1, vcc_lo, v1
	v_and_b32_e32 v29, v29, v34
	v_and_b32_e32 v34, v5, v1
	v_lshlrev_b32_e32 v1, 24, v4
	v_cmp_gt_i64_e32 vcc, 0, v[0:1]
	v_not_b32_e32 v1, v1
	v_ashrrev_i32_e32 v1, 31, v1
	v_xor_b32_e32 v4, vcc_hi, v1
	v_xor_b32_e32 v1, vcc_lo, v1
	; wave barrier
	ds_read_b32 v26, v35 offset:64
	v_and_b32_e32 v5, v29, v4
	v_and_b32_e32 v4, v34, v1
	v_mbcnt_lo_u32_b32 v1, v4, 0
	v_mbcnt_hi_u32_b32 v29, v5, v1
	v_cmp_eq_u32_e32 vcc, 0, v29
	v_cmp_ne_u64_e64 s[2:3], 0, v[4:5]
	s_and_b64 s[6:7], s[2:3], vcc
	; wave barrier
	s_and_saveexec_b64 s[2:3], s[6:7]
	s_cbranch_execz .LBB1290_97
; %bb.96:
	v_bcnt_u32_b32 v1, v4, 0
	v_bcnt_u32_b32 v1, v5, v1
	s_waitcnt lgkmcnt(0)
	v_add_u32_e32 v1, v26, v1
	ds_write_b32 v35, v1 offset:64
.LBB1290_97:
	s_or_b64 exec, exec, s[2:3]
	s_waitcnt vmcnt(6)
	v_cmp_lt_i32_e32 vcc, -1, v19
	v_cndmask_b32_e32 v1, -1, v31, vcc
	v_xor_b32_e32 v19, v1, v19
	v_cmp_ne_u32_e32 vcc, s4, v19
	v_cndmask_b32_e32 v1, v31, v19, vcc
	v_lshrrev_b32_e32 v1, s20, v1
	v_and_b32_e32 v4, s13, v1
	v_lshl_add_u32 v1, v4, 4, v4
	v_add_lshl_u32 v38, v22, v1, 2
	v_and_b32_e32 v1, 1, v4
	v_add_co_u32_e32 v5, vcc, -1, v1
	v_addc_co_u32_e64 v34, s[2:3], 0, -1, vcc
	v_cmp_ne_u32_e32 vcc, 0, v1
	v_xor_b32_e32 v1, vcc_hi, v34
	v_and_b32_e32 v34, exec_hi, v1
	v_lshlrev_b32_e32 v1, 30, v4
	v_xor_b32_e32 v5, vcc_lo, v5
	v_cmp_gt_i64_e32 vcc, 0, v[0:1]
	v_not_b32_e32 v1, v1
	v_ashrrev_i32_e32 v1, 31, v1
	v_and_b32_e32 v5, exec_lo, v5
	v_xor_b32_e32 v36, vcc_hi, v1
	v_xor_b32_e32 v1, vcc_lo, v1
	v_and_b32_e32 v5, v5, v1
	v_lshlrev_b32_e32 v1, 29, v4
	v_cmp_gt_i64_e32 vcc, 0, v[0:1]
	v_not_b32_e32 v1, v1
	v_ashrrev_i32_e32 v1, 31, v1
	v_and_b32_e32 v34, v34, v36
	v_xor_b32_e32 v36, vcc_hi, v1
	v_xor_b32_e32 v1, vcc_lo, v1
	v_and_b32_e32 v5, v5, v1
	v_lshlrev_b32_e32 v1, 28, v4
	v_cmp_gt_i64_e32 vcc, 0, v[0:1]
	v_not_b32_e32 v1, v1
	v_ashrrev_i32_e32 v1, 31, v1
	v_and_b32_e32 v34, v34, v36
	;; [unrolled: 8-line block ×5, first 2 shown]
	v_xor_b32_e32 v36, vcc_hi, v1
	v_xor_b32_e32 v1, vcc_lo, v1
	v_and_b32_e32 v5, v5, v1
	v_lshlrev_b32_e32 v1, 24, v4
	v_cmp_gt_i64_e32 vcc, 0, v[0:1]
	v_not_b32_e32 v0, v1
	v_ashrrev_i32_e32 v0, 31, v0
	v_xor_b32_e32 v1, vcc_hi, v0
	v_xor_b32_e32 v0, vcc_lo, v0
	; wave barrier
	ds_read_b32 v31, v38 offset:64
	v_and_b32_e32 v34, v34, v36
	v_and_b32_e32 v0, v5, v0
	;; [unrolled: 1-line block ×3, first 2 shown]
	v_mbcnt_lo_u32_b32 v4, v0, 0
	v_mbcnt_hi_u32_b32 v34, v1, v4
	v_cmp_eq_u32_e32 vcc, 0, v34
	v_cmp_ne_u64_e64 s[2:3], 0, v[0:1]
	s_and_b64 s[4:5], s[2:3], vcc
	; wave barrier
	s_and_saveexec_b64 s[2:3], s[4:5]
	s_cbranch_execz .LBB1290_99
; %bb.98:
	v_bcnt_u32_b32 v0, v0, 0
	v_bcnt_u32_b32 v0, v1, v0
	s_waitcnt lgkmcnt(0)
	v_add_u32_e32 v0, v31, v0
	ds_write_b32 v38, v0 offset:64
.LBB1290_99:
	s_or_b64 exec, exec, s[2:3]
	v_bfrev_b32_e32 v39, 1
	s_waitcnt vmcnt(5)
	v_cmp_lt_i32_e32 vcc, -1, v23
	v_cndmask_b32_e32 v0, -1, v39, vcc
	v_xor_b32_e32 v23, v0, v23
	s_brev_b32 s4, -2
	v_cmp_ne_u32_e32 vcc, s4, v23
	v_cndmask_b32_e32 v0, v39, v23, vcc
	v_lshrrev_b32_e32 v0, s20, v0
	v_and_b32_e32 v4, s13, v0
	v_and_b32_e32 v1, 1, v4
	v_add_co_u32_e32 v5, vcc, -1, v1
	v_addc_co_u32_e64 v37, s[2:3], 0, -1, vcc
	v_cmp_ne_u32_e32 vcc, 0, v1
	v_lshl_add_u32 v0, v4, 4, v4
	v_xor_b32_e32 v1, vcc_hi, v37
	v_add_lshl_u32 v40, v22, v0, 2
	v_mov_b32_e32 v0, 0
	v_and_b32_e32 v37, exec_hi, v1
	v_lshlrev_b32_e32 v1, 30, v4
	v_xor_b32_e32 v5, vcc_lo, v5
	v_cmp_gt_i64_e32 vcc, 0, v[0:1]
	v_not_b32_e32 v1, v1
	v_ashrrev_i32_e32 v1, 31, v1
	v_and_b32_e32 v5, exec_lo, v5
	v_xor_b32_e32 v41, vcc_hi, v1
	v_xor_b32_e32 v1, vcc_lo, v1
	v_and_b32_e32 v5, v5, v1
	v_lshlrev_b32_e32 v1, 29, v4
	v_cmp_gt_i64_e32 vcc, 0, v[0:1]
	v_not_b32_e32 v1, v1
	v_ashrrev_i32_e32 v1, 31, v1
	v_and_b32_e32 v37, v37, v41
	v_xor_b32_e32 v41, vcc_hi, v1
	v_xor_b32_e32 v1, vcc_lo, v1
	v_and_b32_e32 v5, v5, v1
	v_lshlrev_b32_e32 v1, 28, v4
	v_cmp_gt_i64_e32 vcc, 0, v[0:1]
	v_not_b32_e32 v1, v1
	v_ashrrev_i32_e32 v1, 31, v1
	v_and_b32_e32 v37, v37, v41
	;; [unrolled: 8-line block ×5, first 2 shown]
	v_xor_b32_e32 v41, vcc_hi, v1
	v_xor_b32_e32 v1, vcc_lo, v1
	v_and_b32_e32 v37, v37, v41
	v_and_b32_e32 v41, v5, v1
	v_lshlrev_b32_e32 v1, 24, v4
	v_cmp_gt_i64_e32 vcc, 0, v[0:1]
	v_not_b32_e32 v1, v1
	v_ashrrev_i32_e32 v1, 31, v1
	v_xor_b32_e32 v4, vcc_hi, v1
	v_xor_b32_e32 v1, vcc_lo, v1
	; wave barrier
	ds_read_b32 v36, v40 offset:64
	v_and_b32_e32 v5, v37, v4
	v_and_b32_e32 v4, v41, v1
	v_mbcnt_lo_u32_b32 v1, v4, 0
	v_mbcnt_hi_u32_b32 v37, v5, v1
	v_cmp_eq_u32_e32 vcc, 0, v37
	v_cmp_ne_u64_e64 s[2:3], 0, v[4:5]
	s_and_b64 s[6:7], s[2:3], vcc
	; wave barrier
	s_and_saveexec_b64 s[2:3], s[6:7]
	s_cbranch_execz .LBB1290_101
; %bb.100:
	v_bcnt_u32_b32 v1, v4, 0
	v_bcnt_u32_b32 v1, v5, v1
	s_waitcnt lgkmcnt(0)
	v_add_u32_e32 v1, v36, v1
	ds_write_b32 v40, v1 offset:64
.LBB1290_101:
	s_or_b64 exec, exec, s[2:3]
	s_waitcnt vmcnt(4)
	v_cmp_lt_i32_e32 vcc, -1, v28
	v_cndmask_b32_e32 v1, -1, v39, vcc
	v_xor_b32_e32 v28, v1, v28
	v_cmp_ne_u32_e32 vcc, s4, v28
	v_cndmask_b32_e32 v1, v39, v28, vcc
	v_lshrrev_b32_e32 v1, s20, v1
	v_and_b32_e32 v4, s13, v1
	v_lshl_add_u32 v1, v4, 4, v4
	v_add_lshl_u32 v45, v22, v1, 2
	v_and_b32_e32 v1, 1, v4
	v_add_co_u32_e32 v5, vcc, -1, v1
	v_addc_co_u32_e64 v41, s[2:3], 0, -1, vcc
	v_cmp_ne_u32_e32 vcc, 0, v1
	v_xor_b32_e32 v1, vcc_hi, v41
	v_and_b32_e32 v41, exec_hi, v1
	v_lshlrev_b32_e32 v1, 30, v4
	v_xor_b32_e32 v5, vcc_lo, v5
	v_cmp_gt_i64_e32 vcc, 0, v[0:1]
	v_not_b32_e32 v1, v1
	v_ashrrev_i32_e32 v1, 31, v1
	v_and_b32_e32 v5, exec_lo, v5
	v_xor_b32_e32 v42, vcc_hi, v1
	v_xor_b32_e32 v1, vcc_lo, v1
	v_and_b32_e32 v5, v5, v1
	v_lshlrev_b32_e32 v1, 29, v4
	v_cmp_gt_i64_e32 vcc, 0, v[0:1]
	v_not_b32_e32 v1, v1
	v_ashrrev_i32_e32 v1, 31, v1
	v_and_b32_e32 v41, v41, v42
	v_xor_b32_e32 v42, vcc_hi, v1
	v_xor_b32_e32 v1, vcc_lo, v1
	v_and_b32_e32 v5, v5, v1
	v_lshlrev_b32_e32 v1, 28, v4
	v_cmp_gt_i64_e32 vcc, 0, v[0:1]
	v_not_b32_e32 v1, v1
	v_ashrrev_i32_e32 v1, 31, v1
	v_and_b32_e32 v41, v41, v42
	;; [unrolled: 8-line block ×5, first 2 shown]
	v_xor_b32_e32 v42, vcc_hi, v1
	v_xor_b32_e32 v1, vcc_lo, v1
	v_and_b32_e32 v5, v5, v1
	v_lshlrev_b32_e32 v1, 24, v4
	v_cmp_gt_i64_e32 vcc, 0, v[0:1]
	v_not_b32_e32 v0, v1
	v_ashrrev_i32_e32 v0, 31, v0
	v_xor_b32_e32 v1, vcc_hi, v0
	v_xor_b32_e32 v0, vcc_lo, v0
	; wave barrier
	ds_read_b32 v39, v45 offset:64
	v_and_b32_e32 v41, v41, v42
	v_and_b32_e32 v0, v5, v0
	;; [unrolled: 1-line block ×3, first 2 shown]
	v_mbcnt_lo_u32_b32 v4, v0, 0
	v_mbcnt_hi_u32_b32 v41, v1, v4
	v_cmp_eq_u32_e32 vcc, 0, v41
	v_cmp_ne_u64_e64 s[2:3], 0, v[0:1]
	s_and_b64 s[4:5], s[2:3], vcc
	; wave barrier
	s_and_saveexec_b64 s[2:3], s[4:5]
	s_cbranch_execz .LBB1290_103
; %bb.102:
	v_bcnt_u32_b32 v0, v0, 0
	v_bcnt_u32_b32 v0, v1, v0
	s_waitcnt lgkmcnt(0)
	v_add_u32_e32 v0, v39, v0
	ds_write_b32 v45, v0 offset:64
.LBB1290_103:
	s_or_b64 exec, exec, s[2:3]
	v_bfrev_b32_e32 v43, 1
	s_waitcnt vmcnt(3)
	v_cmp_lt_i32_e32 vcc, -1, v33
	v_cndmask_b32_e32 v0, -1, v43, vcc
	v_xor_b32_e32 v33, v0, v33
	s_brev_b32 s4, -2
	v_cmp_ne_u32_e32 vcc, s4, v33
	v_cndmask_b32_e32 v0, v43, v33, vcc
	v_lshrrev_b32_e32 v0, s20, v0
	v_and_b32_e32 v4, s13, v0
	v_and_b32_e32 v1, 1, v4
	v_add_co_u32_e32 v5, vcc, -1, v1
	v_addc_co_u32_e64 v44, s[2:3], 0, -1, vcc
	v_cmp_ne_u32_e32 vcc, 0, v1
	v_lshl_add_u32 v0, v4, 4, v4
	v_xor_b32_e32 v1, vcc_hi, v44
	v_add_lshl_u32 v48, v22, v0, 2
	v_mov_b32_e32 v0, 0
	v_and_b32_e32 v44, exec_hi, v1
	v_lshlrev_b32_e32 v1, 30, v4
	v_xor_b32_e32 v5, vcc_lo, v5
	v_cmp_gt_i64_e32 vcc, 0, v[0:1]
	v_not_b32_e32 v1, v1
	v_ashrrev_i32_e32 v1, 31, v1
	v_and_b32_e32 v5, exec_lo, v5
	v_xor_b32_e32 v46, vcc_hi, v1
	v_xor_b32_e32 v1, vcc_lo, v1
	v_and_b32_e32 v5, v5, v1
	v_lshlrev_b32_e32 v1, 29, v4
	v_cmp_gt_i64_e32 vcc, 0, v[0:1]
	v_not_b32_e32 v1, v1
	v_ashrrev_i32_e32 v1, 31, v1
	v_and_b32_e32 v44, v44, v46
	v_xor_b32_e32 v46, vcc_hi, v1
	v_xor_b32_e32 v1, vcc_lo, v1
	v_and_b32_e32 v5, v5, v1
	v_lshlrev_b32_e32 v1, 28, v4
	v_cmp_gt_i64_e32 vcc, 0, v[0:1]
	v_not_b32_e32 v1, v1
	v_ashrrev_i32_e32 v1, 31, v1
	v_and_b32_e32 v44, v44, v46
	;; [unrolled: 8-line block ×5, first 2 shown]
	v_xor_b32_e32 v46, vcc_hi, v1
	v_xor_b32_e32 v1, vcc_lo, v1
	v_and_b32_e32 v44, v44, v46
	v_and_b32_e32 v46, v5, v1
	v_lshlrev_b32_e32 v1, 24, v4
	v_cmp_gt_i64_e32 vcc, 0, v[0:1]
	v_not_b32_e32 v1, v1
	v_ashrrev_i32_e32 v1, 31, v1
	v_xor_b32_e32 v4, vcc_hi, v1
	v_xor_b32_e32 v1, vcc_lo, v1
	; wave barrier
	ds_read_b32 v42, v48 offset:64
	v_and_b32_e32 v5, v44, v4
	v_and_b32_e32 v4, v46, v1
	v_mbcnt_lo_u32_b32 v1, v4, 0
	v_mbcnt_hi_u32_b32 v44, v5, v1
	v_cmp_eq_u32_e32 vcc, 0, v44
	v_cmp_ne_u64_e64 s[2:3], 0, v[4:5]
	s_and_b64 s[6:7], s[2:3], vcc
	; wave barrier
	s_and_saveexec_b64 s[2:3], s[6:7]
	s_cbranch_execz .LBB1290_105
; %bb.104:
	v_bcnt_u32_b32 v1, v4, 0
	v_bcnt_u32_b32 v1, v5, v1
	s_waitcnt lgkmcnt(0)
	v_add_u32_e32 v1, v42, v1
	ds_write_b32 v48, v1 offset:64
.LBB1290_105:
	s_or_b64 exec, exec, s[2:3]
	s_waitcnt vmcnt(2)
	v_cmp_lt_i32_e32 vcc, -1, v32
	v_cndmask_b32_e32 v1, -1, v43, vcc
	v_xor_b32_e32 v32, v1, v32
	v_cmp_ne_u32_e32 vcc, s4, v32
	v_cndmask_b32_e32 v1, v43, v32, vcc
	v_lshrrev_b32_e32 v1, s20, v1
	v_and_b32_e32 v4, s13, v1
	v_lshl_add_u32 v1, v4, 4, v4
	v_add_lshl_u32 v50, v22, v1, 2
	v_and_b32_e32 v1, 1, v4
	v_add_co_u32_e32 v5, vcc, -1, v1
	v_addc_co_u32_e64 v43, s[2:3], 0, -1, vcc
	v_cmp_ne_u32_e32 vcc, 0, v1
	v_xor_b32_e32 v1, vcc_hi, v43
	v_and_b32_e32 v43, exec_hi, v1
	v_lshlrev_b32_e32 v1, 30, v4
	v_xor_b32_e32 v5, vcc_lo, v5
	v_cmp_gt_i64_e32 vcc, 0, v[0:1]
	v_not_b32_e32 v1, v1
	v_ashrrev_i32_e32 v1, 31, v1
	v_and_b32_e32 v5, exec_lo, v5
	v_xor_b32_e32 v47, vcc_hi, v1
	v_xor_b32_e32 v1, vcc_lo, v1
	v_and_b32_e32 v5, v5, v1
	v_lshlrev_b32_e32 v1, 29, v4
	v_cmp_gt_i64_e32 vcc, 0, v[0:1]
	v_not_b32_e32 v1, v1
	v_ashrrev_i32_e32 v1, 31, v1
	v_and_b32_e32 v43, v43, v47
	v_xor_b32_e32 v47, vcc_hi, v1
	v_xor_b32_e32 v1, vcc_lo, v1
	v_and_b32_e32 v5, v5, v1
	v_lshlrev_b32_e32 v1, 28, v4
	v_cmp_gt_i64_e32 vcc, 0, v[0:1]
	v_not_b32_e32 v1, v1
	v_ashrrev_i32_e32 v1, 31, v1
	v_and_b32_e32 v43, v43, v47
	;; [unrolled: 8-line block ×5, first 2 shown]
	v_xor_b32_e32 v47, vcc_hi, v1
	v_xor_b32_e32 v1, vcc_lo, v1
	v_and_b32_e32 v5, v5, v1
	v_lshlrev_b32_e32 v1, 24, v4
	v_cmp_gt_i64_e32 vcc, 0, v[0:1]
	v_not_b32_e32 v0, v1
	v_ashrrev_i32_e32 v0, 31, v0
	v_xor_b32_e32 v1, vcc_hi, v0
	v_xor_b32_e32 v0, vcc_lo, v0
	; wave barrier
	ds_read_b32 v46, v50 offset:64
	v_and_b32_e32 v43, v43, v47
	v_and_b32_e32 v0, v5, v0
	;; [unrolled: 1-line block ×3, first 2 shown]
	v_mbcnt_lo_u32_b32 v4, v0, 0
	v_mbcnt_hi_u32_b32 v47, v1, v4
	v_cmp_eq_u32_e32 vcc, 0, v47
	v_cmp_ne_u64_e64 s[2:3], 0, v[0:1]
	s_and_b64 s[4:5], s[2:3], vcc
	; wave barrier
	s_and_saveexec_b64 s[2:3], s[4:5]
	s_cbranch_execz .LBB1290_107
; %bb.106:
	v_bcnt_u32_b32 v0, v0, 0
	v_bcnt_u32_b32 v0, v1, v0
	s_waitcnt lgkmcnt(0)
	v_add_u32_e32 v0, v46, v0
	ds_write_b32 v50, v0 offset:64
.LBB1290_107:
	s_or_b64 exec, exec, s[2:3]
	v_bfrev_b32_e32 v52, 1
	s_waitcnt vmcnt(1)
	v_cmp_lt_i32_e32 vcc, -1, v27
	v_cndmask_b32_e32 v0, -1, v52, vcc
	v_xor_b32_e32 v27, v0, v27
	s_brev_b32 s4, -2
	v_cmp_ne_u32_e32 vcc, s4, v27
	v_cndmask_b32_e32 v0, v52, v27, vcc
	v_lshrrev_b32_e32 v0, s20, v0
	v_and_b32_e32 v4, s13, v0
	v_and_b32_e32 v1, 1, v4
	v_add_co_u32_e32 v5, vcc, -1, v1
	v_addc_co_u32_e64 v43, s[2:3], 0, -1, vcc
	v_cmp_ne_u32_e32 vcc, 0, v1
	v_lshl_add_u32 v0, v4, 4, v4
	v_xor_b32_e32 v1, vcc_hi, v43
	v_add_lshl_u32 v53, v22, v0, 2
	v_mov_b32_e32 v0, 0
	v_and_b32_e32 v43, exec_hi, v1
	v_lshlrev_b32_e32 v1, 30, v4
	v_xor_b32_e32 v5, vcc_lo, v5
	v_cmp_gt_i64_e32 vcc, 0, v[0:1]
	v_not_b32_e32 v1, v1
	v_ashrrev_i32_e32 v1, 31, v1
	v_and_b32_e32 v5, exec_lo, v5
	v_xor_b32_e32 v51, vcc_hi, v1
	v_xor_b32_e32 v1, vcc_lo, v1
	v_and_b32_e32 v5, v5, v1
	v_lshlrev_b32_e32 v1, 29, v4
	v_cmp_gt_i64_e32 vcc, 0, v[0:1]
	v_not_b32_e32 v1, v1
	v_ashrrev_i32_e32 v1, 31, v1
	v_and_b32_e32 v43, v43, v51
	v_xor_b32_e32 v51, vcc_hi, v1
	v_xor_b32_e32 v1, vcc_lo, v1
	v_and_b32_e32 v5, v5, v1
	v_lshlrev_b32_e32 v1, 28, v4
	v_cmp_gt_i64_e32 vcc, 0, v[0:1]
	v_not_b32_e32 v1, v1
	v_ashrrev_i32_e32 v1, 31, v1
	v_and_b32_e32 v43, v43, v51
	;; [unrolled: 8-line block ×5, first 2 shown]
	v_xor_b32_e32 v51, vcc_hi, v1
	v_xor_b32_e32 v1, vcc_lo, v1
	v_and_b32_e32 v43, v43, v51
	v_and_b32_e32 v51, v5, v1
	v_lshlrev_b32_e32 v1, 24, v4
	v_cmp_gt_i64_e32 vcc, 0, v[0:1]
	v_not_b32_e32 v1, v1
	v_ashrrev_i32_e32 v1, 31, v1
	v_xor_b32_e32 v4, vcc_hi, v1
	v_xor_b32_e32 v1, vcc_lo, v1
	; wave barrier
	ds_read_b32 v49, v53 offset:64
	v_and_b32_e32 v5, v43, v4
	v_and_b32_e32 v4, v51, v1
	v_mbcnt_lo_u32_b32 v1, v4, 0
	v_mbcnt_hi_u32_b32 v51, v5, v1
	v_cmp_eq_u32_e32 vcc, 0, v51
	v_cmp_ne_u64_e64 s[2:3], 0, v[4:5]
	s_and_b64 s[6:7], s[2:3], vcc
	; wave barrier
	s_and_saveexec_b64 s[2:3], s[6:7]
	s_cbranch_execz .LBB1290_109
; %bb.108:
	v_bcnt_u32_b32 v1, v4, 0
	v_bcnt_u32_b32 v1, v5, v1
	s_waitcnt lgkmcnt(0)
	v_add_u32_e32 v1, v49, v1
	ds_write_b32 v53, v1 offset:64
.LBB1290_109:
	s_or_b64 exec, exec, s[2:3]
	s_waitcnt vmcnt(0)
	v_cmp_lt_i32_e32 vcc, -1, v9
	v_cndmask_b32_e32 v1, -1, v52, vcc
	v_xor_b32_e32 v43, v1, v9
	v_cmp_ne_u32_e32 vcc, s4, v43
	v_cndmask_b32_e32 v1, v52, v43, vcc
	v_lshrrev_b32_e32 v1, s20, v1
	v_and_b32_e32 v4, s13, v1
	v_lshl_add_u32 v1, v4, 4, v4
	v_add_lshl_u32 v9, v1, v22, 2
	v_and_b32_e32 v1, 1, v4
	v_add_co_u32_e32 v5, vcc, -1, v1
	v_addc_co_u32_e64 v22, s[2:3], 0, -1, vcc
	v_cmp_ne_u32_e32 vcc, 0, v1
	v_xor_b32_e32 v1, vcc_hi, v22
	v_and_b32_e32 v22, exec_hi, v1
	v_lshlrev_b32_e32 v1, 30, v4
	v_xor_b32_e32 v5, vcc_lo, v5
	v_cmp_gt_i64_e32 vcc, 0, v[0:1]
	v_not_b32_e32 v1, v1
	v_ashrrev_i32_e32 v1, 31, v1
	v_and_b32_e32 v5, exec_lo, v5
	v_xor_b32_e32 v54, vcc_hi, v1
	v_xor_b32_e32 v1, vcc_lo, v1
	v_and_b32_e32 v5, v5, v1
	v_lshlrev_b32_e32 v1, 29, v4
	v_cmp_gt_i64_e32 vcc, 0, v[0:1]
	v_not_b32_e32 v1, v1
	v_ashrrev_i32_e32 v1, 31, v1
	v_and_b32_e32 v22, v22, v54
	v_xor_b32_e32 v54, vcc_hi, v1
	v_xor_b32_e32 v1, vcc_lo, v1
	v_and_b32_e32 v5, v5, v1
	v_lshlrev_b32_e32 v1, 28, v4
	v_cmp_gt_i64_e32 vcc, 0, v[0:1]
	v_not_b32_e32 v1, v1
	v_ashrrev_i32_e32 v1, 31, v1
	v_and_b32_e32 v22, v22, v54
	;; [unrolled: 8-line block ×5, first 2 shown]
	v_xor_b32_e32 v54, vcc_hi, v1
	v_xor_b32_e32 v1, vcc_lo, v1
	v_and_b32_e32 v5, v5, v1
	v_lshlrev_b32_e32 v1, 24, v4
	v_cmp_gt_i64_e32 vcc, 0, v[0:1]
	v_not_b32_e32 v0, v1
	v_ashrrev_i32_e32 v0, 31, v0
	v_xor_b32_e32 v1, vcc_hi, v0
	v_xor_b32_e32 v0, vcc_lo, v0
	; wave barrier
	ds_read_b32 v52, v9 offset:64
	v_and_b32_e32 v22, v22, v54
	v_and_b32_e32 v0, v5, v0
	;; [unrolled: 1-line block ×3, first 2 shown]
	v_mbcnt_lo_u32_b32 v4, v0, 0
	v_mbcnt_hi_u32_b32 v54, v1, v4
	v_cmp_eq_u32_e32 vcc, 0, v54
	v_cmp_ne_u64_e64 s[2:3], 0, v[0:1]
	v_add_u32_e32 v55, 64, v6
	s_and_b64 s[4:5], s[2:3], vcc
	; wave barrier
	s_and_saveexec_b64 s[2:3], s[4:5]
	s_cbranch_execz .LBB1290_111
; %bb.110:
	v_bcnt_u32_b32 v0, v0, 0
	v_bcnt_u32_b32 v0, v1, v0
	s_waitcnt lgkmcnt(0)
	v_add_u32_e32 v0, v52, v0
	ds_write_b32 v9, v0 offset:64
.LBB1290_111:
	s_or_b64 exec, exec, s[2:3]
	; wave barrier
	s_waitcnt lgkmcnt(0)
	s_barrier
	ds_read2_b32 v[4:5], v6 offset0:16 offset1:17
	ds_read2_b32 v[0:1], v55 offset0:2 offset1:3
	ds_read_b32 v22, v55 offset:16
	v_cmp_lt_u32_e64 s[8:9], 31, v3
	s_waitcnt lgkmcnt(1)
	v_add3_u32 v56, v5, v4, v0
	s_waitcnt lgkmcnt(0)
	v_add3_u32 v22, v56, v1, v22
	v_and_b32_e32 v56, 15, v3
	v_cmp_eq_u32_e32 vcc, 0, v56
	v_mov_b32_dpp v57, v22 row_shr:1 row_mask:0xf bank_mask:0xf
	v_cndmask_b32_e64 v57, v57, 0, vcc
	v_add_u32_e32 v22, v57, v22
	v_cmp_lt_u32_e64 s[2:3], 1, v56
	v_cmp_lt_u32_e64 s[4:5], 3, v56
	v_mov_b32_dpp v57, v22 row_shr:2 row_mask:0xf bank_mask:0xf
	v_cndmask_b32_e64 v57, 0, v57, s[2:3]
	v_add_u32_e32 v22, v22, v57
	v_cmp_lt_u32_e64 s[6:7], 7, v56
	s_nop 0
	v_mov_b32_dpp v57, v22 row_shr:4 row_mask:0xf bank_mask:0xf
	v_cndmask_b32_e64 v57, 0, v57, s[4:5]
	v_add_u32_e32 v22, v22, v57
	s_nop 1
	v_mov_b32_dpp v57, v22 row_shr:8 row_mask:0xf bank_mask:0xf
	v_cndmask_b32_e64 v56, 0, v57, s[6:7]
	v_add_u32_e32 v22, v22, v56
	v_bfe_i32 v57, v3, 4, 1
	s_nop 0
	v_mov_b32_dpp v56, v22 row_bcast:15 row_mask:0xf bank_mask:0xf
	v_and_b32_e32 v56, v57, v56
	v_add_u32_e32 v22, v22, v56
	v_lshrrev_b32_e32 v57, 6, v2
	s_nop 0
	v_mov_b32_dpp v56, v22 row_bcast:31 row_mask:0xf bank_mask:0xf
	v_cndmask_b32_e64 v56, 0, v56, s[8:9]
	v_add_u32_e32 v56, v22, v56
	v_and_b32_e32 v22, 63, v2
	v_cmp_eq_u32_e64 s[8:9], 63, v22
	s_and_saveexec_b64 s[10:11], s[8:9]
	s_cbranch_execz .LBB1290_113
; %bb.112:
	v_lshlrev_b32_e32 v22, 2, v57
	ds_write_b32 v22, v56
.LBB1290_113:
	s_or_b64 exec, exec, s[10:11]
	v_cmp_gt_u32_e64 s[8:9], 16, v2
	v_lshlrev_b32_e32 v22, 2, v2
	s_waitcnt lgkmcnt(0)
	s_barrier
	s_and_saveexec_b64 s[10:11], s[8:9]
	s_cbranch_execz .LBB1290_115
; %bb.114:
	ds_read_b32 v58, v22
	s_waitcnt lgkmcnt(0)
	s_nop 0
	v_mov_b32_dpp v59, v58 row_shr:1 row_mask:0xf bank_mask:0xf
	v_cndmask_b32_e64 v59, v59, 0, vcc
	v_add_u32_e32 v58, v59, v58
	s_nop 1
	v_mov_b32_dpp v59, v58 row_shr:2 row_mask:0xf bank_mask:0xf
	v_cndmask_b32_e64 v59, 0, v59, s[2:3]
	v_add_u32_e32 v58, v58, v59
	s_nop 1
	v_mov_b32_dpp v59, v58 row_shr:4 row_mask:0xf bank_mask:0xf
	v_cndmask_b32_e64 v59, 0, v59, s[4:5]
	v_add_u32_e32 v58, v58, v59
	s_nop 1
	v_mov_b32_dpp v59, v58 row_shr:8 row_mask:0xf bank_mask:0xf
	v_cndmask_b32_e64 v59, 0, v59, s[6:7]
	v_add_u32_e32 v58, v58, v59
	ds_write_b32 v22, v58
.LBB1290_115:
	s_or_b64 exec, exec, s[10:11]
	v_cmp_lt_u32_e32 vcc, 63, v2
	v_mov_b32_e32 v58, 0
	s_waitcnt lgkmcnt(0)
	s_barrier
	s_and_saveexec_b64 s[2:3], vcc
	s_cbranch_execz .LBB1290_117
; %bb.116:
	v_lshl_add_u32 v57, v57, 2, -4
	ds_read_b32 v58, v57
.LBB1290_117:
	s_or_b64 exec, exec, s[2:3]
	v_add_u32_e32 v57, -1, v3
	v_and_b32_e32 v59, 64, v3
	v_cmp_lt_i32_e32 vcc, v57, v59
	v_cndmask_b32_e32 v57, v57, v3, vcc
	s_waitcnt lgkmcnt(0)
	v_add_u32_e32 v56, v58, v56
	v_lshlrev_b32_e32 v57, 2, v57
	ds_bpermute_b32 v56, v57, v56
	v_cmp_eq_u32_e32 vcc, 0, v3
	s_movk_i32 s2, 0xff
	s_waitcnt lgkmcnt(0)
	v_cndmask_b32_e32 v3, v56, v58, vcc
	v_cndmask_b32_e64 v3, v3, 0, s[0:1]
	v_add_u32_e32 v4, v3, v4
	v_add_u32_e32 v5, v4, v5
	v_add_u32_e32 v0, v5, v0
	v_add_u32_e32 v1, v0, v1
	ds_write2_b32 v6, v3, v4 offset0:16 offset1:17
	ds_write2_b32 v55, v5, v0 offset0:2 offset1:3
	ds_write_b32 v55, v1 offset:16
	s_waitcnt lgkmcnt(0)
	s_barrier
	ds_read_b32 v59, v7 offset:64
	ds_read_b32 v55, v8 offset:64
	;; [unrolled: 1-line block ×12, first 2 shown]
	s_movk_i32 s0, 0x100
	v_cmp_lt_u32_e32 vcc, s2, v2
	v_cmp_gt_u32_e64 s[0:1], s0, v2
	v_pk_mov_b32 v[4:5], 0, 0
                                        ; implicit-def: $vgpr40
	s_and_saveexec_b64 s[4:5], s[0:1]
	s_cbranch_execz .LBB1290_121
; %bb.118:
	v_mul_u32_u24_e32 v0, 17, v2
	v_lshlrev_b32_e32 v1, 2, v0
	ds_read_b32 v4, v1 offset:64
	v_cmp_ne_u32_e64 s[2:3], s2, v2
	v_mov_b32_e32 v0, 0x3000
	s_and_saveexec_b64 s[6:7], s[2:3]
	s_cbranch_execz .LBB1290_120
; %bb.119:
	ds_read_b32 v0, v1 offset:132
.LBB1290_120:
	s_or_b64 exec, exec, s[6:7]
	s_waitcnt lgkmcnt(0)
	v_sub_u32_e32 v40, v0, v4
	v_mov_b32_e32 v5, 0
.LBB1290_121:
	s_or_b64 exec, exec, s[4:5]
	s_waitcnt lgkmcnt(0)
	s_barrier
	s_and_saveexec_b64 s[2:3], vcc
	s_xor_b64 s[2:3], exec, s[2:3]
; %bb.122:
	v_mov_b32_e32 v3, 0
; %bb.123:
	s_andn2_saveexec_b64 s[2:3], s[2:3]
	s_cbranch_execz .LBB1290_133
; %bb.124:
	v_lshl_or_b32 v0, s30, 8, v2
	v_mov_b32_e32 v1, 0
	v_lshlrev_b64 v[6:7], 2, v[0:1]
	v_mov_b32_e32 v3, s15
	v_add_co_u32_e32 v6, vcc, s14, v6
	v_addc_co_u32_e32 v7, vcc, v3, v7, vcc
	v_or_b32_e32 v0, 2.0, v40
	s_mov_b64 s[4:5], 0
	s_brev_b32 s10, 1
	s_mov_b32 s11, s30
	v_mov_b32_e32 v53, 0
	global_store_dword v[6:7], v0, off
                                        ; implicit-def: $sgpr6_sgpr7
	s_branch .LBB1290_127
.LBB1290_125:                           ;   in Loop: Header=BB1290_127 Depth=1
	s_or_b64 exec, exec, s[8:9]
.LBB1290_126:                           ;   in Loop: Header=BB1290_127 Depth=1
	s_or_b64 exec, exec, s[6:7]
	v_and_b32_e32 v8, 0x3fffffff, v60
	v_add_u32_e32 v53, v8, v53
	v_cmp_eq_u32_e64 s[6:7], s10, v0
	s_and_b64 s[8:9], exec, s[6:7]
	s_or_b64 s[4:5], s[8:9], s[4:5]
	s_andn2_b64 exec, exec, s[4:5]
	s_cbranch_execz .LBB1290_132
.LBB1290_127:                           ; =>This Loop Header: Depth=1
                                        ;     Child Loop BB1290_130 Depth 2
	s_or_b64 s[6:7], s[6:7], exec
	s_cmp_eq_u32 s11, 0
	s_cbranch_scc1 .LBB1290_131
; %bb.128:                              ;   in Loop: Header=BB1290_127 Depth=1
	s_add_i32 s11, s11, -1
	v_lshl_or_b32 v0, s11, 8, v2
	v_lshlrev_b64 v[8:9], 2, v[0:1]
	v_add_co_u32_e32 v8, vcc, s14, v8
	v_addc_co_u32_e32 v9, vcc, v3, v9, vcc
	global_load_dword v60, v[8:9], off glc
	s_waitcnt vmcnt(0)
	v_and_b32_e32 v0, -2.0, v60
	v_cmp_eq_u32_e32 vcc, 0, v0
	s_and_saveexec_b64 s[6:7], vcc
	s_cbranch_execz .LBB1290_126
; %bb.129:                              ;   in Loop: Header=BB1290_127 Depth=1
	s_mov_b64 s[8:9], 0
.LBB1290_130:                           ;   Parent Loop BB1290_127 Depth=1
                                        ; =>  This Inner Loop Header: Depth=2
	global_load_dword v60, v[8:9], off glc
	s_waitcnt vmcnt(0)
	v_and_b32_e32 v0, -2.0, v60
	v_cmp_ne_u32_e32 vcc, 0, v0
	s_or_b64 s[8:9], vcc, s[8:9]
	s_andn2_b64 exec, exec, s[8:9]
	s_cbranch_execnz .LBB1290_130
	s_branch .LBB1290_125
.LBB1290_131:                           ;   in Loop: Header=BB1290_127 Depth=1
                                        ; implicit-def: $sgpr11
	s_and_b64 s[8:9], exec, s[6:7]
	s_or_b64 s[4:5], s[8:9], s[4:5]
	s_andn2_b64 exec, exec, s[4:5]
	s_cbranch_execnz .LBB1290_127
.LBB1290_132:
	s_or_b64 exec, exec, s[4:5]
	v_add_u32_e32 v0, v53, v40
	v_or_b32_e32 v0, 0x80000000, v0
	global_store_dword v[6:7], v0, off
	v_lshlrev_b32_e32 v6, 3, v2
	global_load_dwordx2 v[0:1], v6, s[16:17]
	v_sub_co_u32_e32 v7, vcc, v53, v4
	v_subb_co_u32_e32 v8, vcc, 0, v5, vcc
	v_mov_b32_e32 v3, 0
	s_waitcnt vmcnt(0)
	v_add_co_u32_e32 v0, vcc, v7, v0
	v_addc_co_u32_e32 v1, vcc, v8, v1, vcc
	ds_write_b64 v6, v[0:1]
.LBB1290_133:
	s_or_b64 exec, exec, s[2:3]
	v_lshlrev_b64 v[0:1], 2, v[2:3]
	v_add3_u32 v15, v17, v55, v15
	v_mov_b32_e32 v17, s27
	v_add_co_u32_e32 v0, vcc, s26, v0
	v_add_u32_e32 v6, v59, v14
	v_add_u32_e32 v7, 0x800, v22
	v_add3_u32 v8, v54, v50, v52
	v_add3_u32 v9, v51, v48, v49
	;; [unrolled: 1-line block ×10, first 2 shown]
	v_addc_co_u32_e32 v1, vcc, v17, v1, vcc
	s_mov_b32 s2, 0
	s_movk_i32 s3, 0x1000
	s_brev_b32 s4, -2
	v_bfrev_b32_e32 v17, 1
	s_movk_i32 s5, 0x2000
.LBB1290_134:                           ; =>This Inner Loop Header: Depth=1
	v_add_u32_e32 v20, s2, v6
	v_add_u32_e32 v36, s2, v26
	v_add_u32_e32 v37, s2, v31
	v_add_u32_e32 v24, s2, v15
	v_add_u32_e32 v29, s2, v18
	v_add_u32_e32 v34, s2, v21
	v_add_u32_e32 v38, s2, v35
	v_add_u32_e32 v39, s2, v30
	v_add_u32_e32 v41, s2, v25
	v_add_u32_e32 v42, s2, v14
	v_add_u32_e32 v44, s2, v9
	v_add_u32_e32 v45, s2, v8
	v_min_u32_e32 v20, 0x1000, v20
	v_min_u32_e32 v36, 0x1000, v36
	;; [unrolled: 1-line block ×12, first 2 shown]
	v_lshlrev_b32_e32 v20, 2, v20
	v_lshlrev_b32_e32 v36, 2, v36
	;; [unrolled: 1-line block ×12, first 2 shown]
	ds_write_b32 v20, v10 offset:2048
	ds_write_b32 v24, v11 offset:2048
	;; [unrolled: 1-line block ×12, first 2 shown]
	s_waitcnt lgkmcnt(0)
	s_barrier
	ds_read_b32 v20, v22 offset:2048
	ds_read2st64_b32 v[36:37], v7 offset0:16 offset1:32
	s_addk_i32 s2, 0xf000
	s_cmpk_lg_i32 s2, 0xd000
	s_waitcnt lgkmcnt(1)
	v_cmp_ne_u32_e32 vcc, s4, v20
	v_cndmask_b32_e32 v24, v17, v20, vcc
	v_cmp_lt_i32_e32 vcc, -1, v20
	v_cndmask_b32_e64 v29, v17, -1, vcc
	s_waitcnt lgkmcnt(0)
	v_cmp_ne_u32_e32 vcc, s4, v36
	v_cndmask_b32_e32 v34, v17, v36, vcc
	v_cmp_lt_i32_e32 vcc, -1, v36
	v_cndmask_b32_e64 v38, v17, -1, vcc
	v_cmp_ne_u32_e32 vcc, s4, v37
	v_cndmask_b32_e32 v39, v17, v37, vcc
	v_lshrrev_b32_e32 v24, s20, v24
	v_cmp_lt_i32_e32 vcc, -1, v37
	v_xor_b32_e32 v20, v29, v20
	v_lshrrev_b32_e32 v29, s20, v34
	v_xor_b32_e32 v34, v38, v36
	v_lshrrev_b32_e32 v36, s20, v39
	v_and_b32_e32 v24, s13, v24
	v_cndmask_b32_e64 v41, v17, -1, vcc
	v_and_b32_e32 v29, s13, v29
	v_and_b32_e32 v36, s13, v36
	v_lshlrev_b32_e32 v24, 3, v24
	v_xor_b32_e32 v41, v41, v37
	v_lshlrev_b32_e32 v29, 3, v29
	v_lshlrev_b32_e32 v42, 3, v36
	ds_read_b64 v[36:37], v24
	ds_read_b64 v[38:39], v29
	;; [unrolled: 1-line block ×3, first 2 shown]
	ds_read_b32 v24, v7 offset:12288
	s_waitcnt lgkmcnt(3)
	v_lshlrev_b64 v[36:37], 2, v[36:37]
	s_waitcnt lgkmcnt(2)
	v_lshlrev_b64 v[38:39], 2, v[38:39]
	;; [unrolled: 2-line block ×3, first 2 shown]
	s_waitcnt lgkmcnt(0)
	v_cmp_ne_u32_e32 vcc, s4, v24
	v_cndmask_b32_e32 v29, v17, v24, vcc
	v_cmp_lt_i32_e32 vcc, -1, v24
	v_cndmask_b32_e64 v42, v17, -1, vcc
	v_add_co_u32_e32 v36, vcc, v0, v36
	v_addc_co_u32_e32 v37, vcc, v1, v37, vcc
	v_add_co_u32_e32 v38, vcc, v0, v38
	v_addc_co_u32_e32 v39, vcc, v1, v39, vcc
	;; [unrolled: 2-line block ×3, first 2 shown]
	global_store_dword v[36:37], v20, off
	v_add_co_u32_e32 v36, vcc, s3, v38
	v_lshrrev_b32_e32 v29, s20, v29
	v_addc_co_u32_e32 v37, vcc, 0, v39, vcc
	v_add_co_u32_e32 v38, vcc, s5, v44
	v_and_b32_e32 v20, s13, v29
	v_addc_co_u32_e32 v39, vcc, 0, v45, vcc
	global_store_dword v[36:37], v34, off
	global_store_dword v[38:39], v41, off
	v_lshlrev_b32_e32 v20, 3, v20
	ds_read_b64 v[36:37], v20
	v_xor_b32_e32 v24, v42, v24
	s_waitcnt lgkmcnt(0)
	v_lshlrev_b64 v[36:37], 2, v[36:37]
	v_add_co_u32_e32 v20, vcc, v0, v36
	v_addc_co_u32_e32 v29, vcc, v1, v37, vcc
	v_add_co_u32_e32 v36, vcc, 0x3000, v20
	v_addc_co_u32_e32 v37, vcc, 0, v29, vcc
	;; [unrolled: 2-line block ×3, first 2 shown]
	global_store_dword v[36:37], v24, off
	s_barrier
	s_cbranch_scc1 .LBB1290_134
; %bb.135:
	s_add_i32 s12, s12, -1
	s_cmp_eq_u32 s12, s30
	s_cselect_b64 s[2:3], -1, 0
	s_and_b64 s[2:3], s[0:1], s[2:3]
.LBB1290_136:
	s_and_saveexec_b64 s[0:1], s[2:3]
	s_cbranch_execnz .LBB1290_138
; %bb.137:
	s_endpgm
.LBB1290_138:
	v_lshlrev_b32_e32 v6, 3, v2
	v_lshlrev_b64 v[0:1], 3, v[2:3]
	ds_read_b64 v[2:3], v6
	v_add_co_u32_e32 v4, vcc, v4, v40
	v_addc_co_u32_e32 v5, vcc, 0, v5, vcc
	v_mov_b32_e32 v7, s19
	v_add_co_u32_e32 v0, vcc, s18, v0
	v_addc_co_u32_e32 v1, vcc, v7, v1, vcc
	s_waitcnt lgkmcnt(0)
	v_add_co_u32_e32 v2, vcc, v4, v2
	v_addc_co_u32_e32 v3, vcc, v5, v3, vcc
	global_store_dwordx2 v[0:1], v[2:3], off
	s_endpgm
	.section	.rodata,"a",@progbits
	.p2align	6, 0x0
	.amdhsa_kernel _ZN7rocprim17ROCPRIM_400000_NS6detail17trampoline_kernelINS0_14default_configENS1_35radix_sort_onesweep_config_selectorIfNS0_10empty_typeEEEZZNS1_29radix_sort_onesweep_iterationIS3_Lb0EPfS8_PS5_S9_mNS0_19identity_decomposerENS1_16block_id_wrapperIjLb1EEEEE10hipError_tT1_PNSt15iterator_traitsISE_E10value_typeET2_T3_PNSF_ISK_E10value_typeET4_T5_PSP_SQ_PNS1_23onesweep_lookback_stateEbbT6_jjT7_P12ihipStream_tbENKUlT_T0_SE_SJ_E_clIS8_S8_S9_S9_EEDaSX_SY_SE_SJ_EUlSX_E_NS1_11comp_targetILNS1_3genE4ELNS1_11target_archE910ELNS1_3gpuE8ELNS1_3repE0EEENS1_47radix_sort_onesweep_sort_config_static_selectorELNS0_4arch9wavefront6targetE1EEEvSE_
		.amdhsa_group_segment_fixed_size 20552
		.amdhsa_private_segment_fixed_size 0
		.amdhsa_kernarg_size 344
		.amdhsa_user_sgpr_count 6
		.amdhsa_user_sgpr_private_segment_buffer 1
		.amdhsa_user_sgpr_dispatch_ptr 0
		.amdhsa_user_sgpr_queue_ptr 0
		.amdhsa_user_sgpr_kernarg_segment_ptr 1
		.amdhsa_user_sgpr_dispatch_id 0
		.amdhsa_user_sgpr_flat_scratch_init 0
		.amdhsa_user_sgpr_kernarg_preload_length 0
		.amdhsa_user_sgpr_kernarg_preload_offset 0
		.amdhsa_user_sgpr_private_segment_size 0
		.amdhsa_uses_dynamic_stack 0
		.amdhsa_system_sgpr_private_segment_wavefront_offset 0
		.amdhsa_system_sgpr_workgroup_id_x 1
		.amdhsa_system_sgpr_workgroup_id_y 0
		.amdhsa_system_sgpr_workgroup_id_z 0
		.amdhsa_system_sgpr_workgroup_info 0
		.amdhsa_system_vgpr_workitem_id 2
		.amdhsa_next_free_vgpr 62
		.amdhsa_next_free_sgpr 35
		.amdhsa_accum_offset 64
		.amdhsa_reserve_vcc 1
		.amdhsa_reserve_flat_scratch 0
		.amdhsa_float_round_mode_32 0
		.amdhsa_float_round_mode_16_64 0
		.amdhsa_float_denorm_mode_32 3
		.amdhsa_float_denorm_mode_16_64 3
		.amdhsa_dx10_clamp 1
		.amdhsa_ieee_mode 1
		.amdhsa_fp16_overflow 0
		.amdhsa_tg_split 0
		.amdhsa_exception_fp_ieee_invalid_op 0
		.amdhsa_exception_fp_denorm_src 0
		.amdhsa_exception_fp_ieee_div_zero 0
		.amdhsa_exception_fp_ieee_overflow 0
		.amdhsa_exception_fp_ieee_underflow 0
		.amdhsa_exception_fp_ieee_inexact 0
		.amdhsa_exception_int_div_zero 0
	.end_amdhsa_kernel
	.section	.text._ZN7rocprim17ROCPRIM_400000_NS6detail17trampoline_kernelINS0_14default_configENS1_35radix_sort_onesweep_config_selectorIfNS0_10empty_typeEEEZZNS1_29radix_sort_onesweep_iterationIS3_Lb0EPfS8_PS5_S9_mNS0_19identity_decomposerENS1_16block_id_wrapperIjLb1EEEEE10hipError_tT1_PNSt15iterator_traitsISE_E10value_typeET2_T3_PNSF_ISK_E10value_typeET4_T5_PSP_SQ_PNS1_23onesweep_lookback_stateEbbT6_jjT7_P12ihipStream_tbENKUlT_T0_SE_SJ_E_clIS8_S8_S9_S9_EEDaSX_SY_SE_SJ_EUlSX_E_NS1_11comp_targetILNS1_3genE4ELNS1_11target_archE910ELNS1_3gpuE8ELNS1_3repE0EEENS1_47radix_sort_onesweep_sort_config_static_selectorELNS0_4arch9wavefront6targetE1EEEvSE_,"axG",@progbits,_ZN7rocprim17ROCPRIM_400000_NS6detail17trampoline_kernelINS0_14default_configENS1_35radix_sort_onesweep_config_selectorIfNS0_10empty_typeEEEZZNS1_29radix_sort_onesweep_iterationIS3_Lb0EPfS8_PS5_S9_mNS0_19identity_decomposerENS1_16block_id_wrapperIjLb1EEEEE10hipError_tT1_PNSt15iterator_traitsISE_E10value_typeET2_T3_PNSF_ISK_E10value_typeET4_T5_PSP_SQ_PNS1_23onesweep_lookback_stateEbbT6_jjT7_P12ihipStream_tbENKUlT_T0_SE_SJ_E_clIS8_S8_S9_S9_EEDaSX_SY_SE_SJ_EUlSX_E_NS1_11comp_targetILNS1_3genE4ELNS1_11target_archE910ELNS1_3gpuE8ELNS1_3repE0EEENS1_47radix_sort_onesweep_sort_config_static_selectorELNS0_4arch9wavefront6targetE1EEEvSE_,comdat
.Lfunc_end1290:
	.size	_ZN7rocprim17ROCPRIM_400000_NS6detail17trampoline_kernelINS0_14default_configENS1_35radix_sort_onesweep_config_selectorIfNS0_10empty_typeEEEZZNS1_29radix_sort_onesweep_iterationIS3_Lb0EPfS8_PS5_S9_mNS0_19identity_decomposerENS1_16block_id_wrapperIjLb1EEEEE10hipError_tT1_PNSt15iterator_traitsISE_E10value_typeET2_T3_PNSF_ISK_E10value_typeET4_T5_PSP_SQ_PNS1_23onesweep_lookback_stateEbbT6_jjT7_P12ihipStream_tbENKUlT_T0_SE_SJ_E_clIS8_S8_S9_S9_EEDaSX_SY_SE_SJ_EUlSX_E_NS1_11comp_targetILNS1_3genE4ELNS1_11target_archE910ELNS1_3gpuE8ELNS1_3repE0EEENS1_47radix_sort_onesweep_sort_config_static_selectorELNS0_4arch9wavefront6targetE1EEEvSE_, .Lfunc_end1290-_ZN7rocprim17ROCPRIM_400000_NS6detail17trampoline_kernelINS0_14default_configENS1_35radix_sort_onesweep_config_selectorIfNS0_10empty_typeEEEZZNS1_29radix_sort_onesweep_iterationIS3_Lb0EPfS8_PS5_S9_mNS0_19identity_decomposerENS1_16block_id_wrapperIjLb1EEEEE10hipError_tT1_PNSt15iterator_traitsISE_E10value_typeET2_T3_PNSF_ISK_E10value_typeET4_T5_PSP_SQ_PNS1_23onesweep_lookback_stateEbbT6_jjT7_P12ihipStream_tbENKUlT_T0_SE_SJ_E_clIS8_S8_S9_S9_EEDaSX_SY_SE_SJ_EUlSX_E_NS1_11comp_targetILNS1_3genE4ELNS1_11target_archE910ELNS1_3gpuE8ELNS1_3repE0EEENS1_47radix_sort_onesweep_sort_config_static_selectorELNS0_4arch9wavefront6targetE1EEEvSE_
                                        ; -- End function
	.section	.AMDGPU.csdata,"",@progbits
; Kernel info:
; codeLenInByte = 14780
; NumSgprs: 39
; NumVgprs: 62
; NumAgprs: 0
; TotalNumVgprs: 62
; ScratchSize: 0
; MemoryBound: 0
; FloatMode: 240
; IeeeMode: 1
; LDSByteSize: 20552 bytes/workgroup (compile time only)
; SGPRBlocks: 4
; VGPRBlocks: 7
; NumSGPRsForWavesPerEU: 39
; NumVGPRsForWavesPerEU: 62
; AccumOffset: 64
; Occupancy: 8
; WaveLimiterHint : 1
; COMPUTE_PGM_RSRC2:SCRATCH_EN: 0
; COMPUTE_PGM_RSRC2:USER_SGPR: 6
; COMPUTE_PGM_RSRC2:TRAP_HANDLER: 0
; COMPUTE_PGM_RSRC2:TGID_X_EN: 1
; COMPUTE_PGM_RSRC2:TGID_Y_EN: 0
; COMPUTE_PGM_RSRC2:TGID_Z_EN: 0
; COMPUTE_PGM_RSRC2:TIDIG_COMP_CNT: 2
; COMPUTE_PGM_RSRC3_GFX90A:ACCUM_OFFSET: 15
; COMPUTE_PGM_RSRC3_GFX90A:TG_SPLIT: 0
	.section	.text._ZN7rocprim17ROCPRIM_400000_NS6detail17trampoline_kernelINS0_14default_configENS1_35radix_sort_onesweep_config_selectorIfNS0_10empty_typeEEEZZNS1_29radix_sort_onesweep_iterationIS3_Lb0EPfS8_PS5_S9_mNS0_19identity_decomposerENS1_16block_id_wrapperIjLb1EEEEE10hipError_tT1_PNSt15iterator_traitsISE_E10value_typeET2_T3_PNSF_ISK_E10value_typeET4_T5_PSP_SQ_PNS1_23onesweep_lookback_stateEbbT6_jjT7_P12ihipStream_tbENKUlT_T0_SE_SJ_E_clIS8_S8_S9_S9_EEDaSX_SY_SE_SJ_EUlSX_E_NS1_11comp_targetILNS1_3genE3ELNS1_11target_archE908ELNS1_3gpuE7ELNS1_3repE0EEENS1_47radix_sort_onesweep_sort_config_static_selectorELNS0_4arch9wavefront6targetE1EEEvSE_,"axG",@progbits,_ZN7rocprim17ROCPRIM_400000_NS6detail17trampoline_kernelINS0_14default_configENS1_35radix_sort_onesweep_config_selectorIfNS0_10empty_typeEEEZZNS1_29radix_sort_onesweep_iterationIS3_Lb0EPfS8_PS5_S9_mNS0_19identity_decomposerENS1_16block_id_wrapperIjLb1EEEEE10hipError_tT1_PNSt15iterator_traitsISE_E10value_typeET2_T3_PNSF_ISK_E10value_typeET4_T5_PSP_SQ_PNS1_23onesweep_lookback_stateEbbT6_jjT7_P12ihipStream_tbENKUlT_T0_SE_SJ_E_clIS8_S8_S9_S9_EEDaSX_SY_SE_SJ_EUlSX_E_NS1_11comp_targetILNS1_3genE3ELNS1_11target_archE908ELNS1_3gpuE7ELNS1_3repE0EEENS1_47radix_sort_onesweep_sort_config_static_selectorELNS0_4arch9wavefront6targetE1EEEvSE_,comdat
	.protected	_ZN7rocprim17ROCPRIM_400000_NS6detail17trampoline_kernelINS0_14default_configENS1_35radix_sort_onesweep_config_selectorIfNS0_10empty_typeEEEZZNS1_29radix_sort_onesweep_iterationIS3_Lb0EPfS8_PS5_S9_mNS0_19identity_decomposerENS1_16block_id_wrapperIjLb1EEEEE10hipError_tT1_PNSt15iterator_traitsISE_E10value_typeET2_T3_PNSF_ISK_E10value_typeET4_T5_PSP_SQ_PNS1_23onesweep_lookback_stateEbbT6_jjT7_P12ihipStream_tbENKUlT_T0_SE_SJ_E_clIS8_S8_S9_S9_EEDaSX_SY_SE_SJ_EUlSX_E_NS1_11comp_targetILNS1_3genE3ELNS1_11target_archE908ELNS1_3gpuE7ELNS1_3repE0EEENS1_47radix_sort_onesweep_sort_config_static_selectorELNS0_4arch9wavefront6targetE1EEEvSE_ ; -- Begin function _ZN7rocprim17ROCPRIM_400000_NS6detail17trampoline_kernelINS0_14default_configENS1_35radix_sort_onesweep_config_selectorIfNS0_10empty_typeEEEZZNS1_29radix_sort_onesweep_iterationIS3_Lb0EPfS8_PS5_S9_mNS0_19identity_decomposerENS1_16block_id_wrapperIjLb1EEEEE10hipError_tT1_PNSt15iterator_traitsISE_E10value_typeET2_T3_PNSF_ISK_E10value_typeET4_T5_PSP_SQ_PNS1_23onesweep_lookback_stateEbbT6_jjT7_P12ihipStream_tbENKUlT_T0_SE_SJ_E_clIS8_S8_S9_S9_EEDaSX_SY_SE_SJ_EUlSX_E_NS1_11comp_targetILNS1_3genE3ELNS1_11target_archE908ELNS1_3gpuE7ELNS1_3repE0EEENS1_47radix_sort_onesweep_sort_config_static_selectorELNS0_4arch9wavefront6targetE1EEEvSE_
	.globl	_ZN7rocprim17ROCPRIM_400000_NS6detail17trampoline_kernelINS0_14default_configENS1_35radix_sort_onesweep_config_selectorIfNS0_10empty_typeEEEZZNS1_29radix_sort_onesweep_iterationIS3_Lb0EPfS8_PS5_S9_mNS0_19identity_decomposerENS1_16block_id_wrapperIjLb1EEEEE10hipError_tT1_PNSt15iterator_traitsISE_E10value_typeET2_T3_PNSF_ISK_E10value_typeET4_T5_PSP_SQ_PNS1_23onesweep_lookback_stateEbbT6_jjT7_P12ihipStream_tbENKUlT_T0_SE_SJ_E_clIS8_S8_S9_S9_EEDaSX_SY_SE_SJ_EUlSX_E_NS1_11comp_targetILNS1_3genE3ELNS1_11target_archE908ELNS1_3gpuE7ELNS1_3repE0EEENS1_47radix_sort_onesweep_sort_config_static_selectorELNS0_4arch9wavefront6targetE1EEEvSE_
	.p2align	8
	.type	_ZN7rocprim17ROCPRIM_400000_NS6detail17trampoline_kernelINS0_14default_configENS1_35radix_sort_onesweep_config_selectorIfNS0_10empty_typeEEEZZNS1_29radix_sort_onesweep_iterationIS3_Lb0EPfS8_PS5_S9_mNS0_19identity_decomposerENS1_16block_id_wrapperIjLb1EEEEE10hipError_tT1_PNSt15iterator_traitsISE_E10value_typeET2_T3_PNSF_ISK_E10value_typeET4_T5_PSP_SQ_PNS1_23onesweep_lookback_stateEbbT6_jjT7_P12ihipStream_tbENKUlT_T0_SE_SJ_E_clIS8_S8_S9_S9_EEDaSX_SY_SE_SJ_EUlSX_E_NS1_11comp_targetILNS1_3genE3ELNS1_11target_archE908ELNS1_3gpuE7ELNS1_3repE0EEENS1_47radix_sort_onesweep_sort_config_static_selectorELNS0_4arch9wavefront6targetE1EEEvSE_,@function
_ZN7rocprim17ROCPRIM_400000_NS6detail17trampoline_kernelINS0_14default_configENS1_35radix_sort_onesweep_config_selectorIfNS0_10empty_typeEEEZZNS1_29radix_sort_onesweep_iterationIS3_Lb0EPfS8_PS5_S9_mNS0_19identity_decomposerENS1_16block_id_wrapperIjLb1EEEEE10hipError_tT1_PNSt15iterator_traitsISE_E10value_typeET2_T3_PNSF_ISK_E10value_typeET4_T5_PSP_SQ_PNS1_23onesweep_lookback_stateEbbT6_jjT7_P12ihipStream_tbENKUlT_T0_SE_SJ_E_clIS8_S8_S9_S9_EEDaSX_SY_SE_SJ_EUlSX_E_NS1_11comp_targetILNS1_3genE3ELNS1_11target_archE908ELNS1_3gpuE7ELNS1_3repE0EEENS1_47radix_sort_onesweep_sort_config_static_selectorELNS0_4arch9wavefront6targetE1EEEvSE_: ; @_ZN7rocprim17ROCPRIM_400000_NS6detail17trampoline_kernelINS0_14default_configENS1_35radix_sort_onesweep_config_selectorIfNS0_10empty_typeEEEZZNS1_29radix_sort_onesweep_iterationIS3_Lb0EPfS8_PS5_S9_mNS0_19identity_decomposerENS1_16block_id_wrapperIjLb1EEEEE10hipError_tT1_PNSt15iterator_traitsISE_E10value_typeET2_T3_PNSF_ISK_E10value_typeET4_T5_PSP_SQ_PNS1_23onesweep_lookback_stateEbbT6_jjT7_P12ihipStream_tbENKUlT_T0_SE_SJ_E_clIS8_S8_S9_S9_EEDaSX_SY_SE_SJ_EUlSX_E_NS1_11comp_targetILNS1_3genE3ELNS1_11target_archE908ELNS1_3gpuE7ELNS1_3repE0EEENS1_47radix_sort_onesweep_sort_config_static_selectorELNS0_4arch9wavefront6targetE1EEEvSE_
; %bb.0:
	.section	.rodata,"a",@progbits
	.p2align	6, 0x0
	.amdhsa_kernel _ZN7rocprim17ROCPRIM_400000_NS6detail17trampoline_kernelINS0_14default_configENS1_35radix_sort_onesweep_config_selectorIfNS0_10empty_typeEEEZZNS1_29radix_sort_onesweep_iterationIS3_Lb0EPfS8_PS5_S9_mNS0_19identity_decomposerENS1_16block_id_wrapperIjLb1EEEEE10hipError_tT1_PNSt15iterator_traitsISE_E10value_typeET2_T3_PNSF_ISK_E10value_typeET4_T5_PSP_SQ_PNS1_23onesweep_lookback_stateEbbT6_jjT7_P12ihipStream_tbENKUlT_T0_SE_SJ_E_clIS8_S8_S9_S9_EEDaSX_SY_SE_SJ_EUlSX_E_NS1_11comp_targetILNS1_3genE3ELNS1_11target_archE908ELNS1_3gpuE7ELNS1_3repE0EEENS1_47radix_sort_onesweep_sort_config_static_selectorELNS0_4arch9wavefront6targetE1EEEvSE_
		.amdhsa_group_segment_fixed_size 0
		.amdhsa_private_segment_fixed_size 0
		.amdhsa_kernarg_size 88
		.amdhsa_user_sgpr_count 6
		.amdhsa_user_sgpr_private_segment_buffer 1
		.amdhsa_user_sgpr_dispatch_ptr 0
		.amdhsa_user_sgpr_queue_ptr 0
		.amdhsa_user_sgpr_kernarg_segment_ptr 1
		.amdhsa_user_sgpr_dispatch_id 0
		.amdhsa_user_sgpr_flat_scratch_init 0
		.amdhsa_user_sgpr_kernarg_preload_length 0
		.amdhsa_user_sgpr_kernarg_preload_offset 0
		.amdhsa_user_sgpr_private_segment_size 0
		.amdhsa_uses_dynamic_stack 0
		.amdhsa_system_sgpr_private_segment_wavefront_offset 0
		.amdhsa_system_sgpr_workgroup_id_x 1
		.amdhsa_system_sgpr_workgroup_id_y 0
		.amdhsa_system_sgpr_workgroup_id_z 0
		.amdhsa_system_sgpr_workgroup_info 0
		.amdhsa_system_vgpr_workitem_id 0
		.amdhsa_next_free_vgpr 1
		.amdhsa_next_free_sgpr 0
		.amdhsa_accum_offset 4
		.amdhsa_reserve_vcc 0
		.amdhsa_reserve_flat_scratch 0
		.amdhsa_float_round_mode_32 0
		.amdhsa_float_round_mode_16_64 0
		.amdhsa_float_denorm_mode_32 3
		.amdhsa_float_denorm_mode_16_64 3
		.amdhsa_dx10_clamp 1
		.amdhsa_ieee_mode 1
		.amdhsa_fp16_overflow 0
		.amdhsa_tg_split 0
		.amdhsa_exception_fp_ieee_invalid_op 0
		.amdhsa_exception_fp_denorm_src 0
		.amdhsa_exception_fp_ieee_div_zero 0
		.amdhsa_exception_fp_ieee_overflow 0
		.amdhsa_exception_fp_ieee_underflow 0
		.amdhsa_exception_fp_ieee_inexact 0
		.amdhsa_exception_int_div_zero 0
	.end_amdhsa_kernel
	.section	.text._ZN7rocprim17ROCPRIM_400000_NS6detail17trampoline_kernelINS0_14default_configENS1_35radix_sort_onesweep_config_selectorIfNS0_10empty_typeEEEZZNS1_29radix_sort_onesweep_iterationIS3_Lb0EPfS8_PS5_S9_mNS0_19identity_decomposerENS1_16block_id_wrapperIjLb1EEEEE10hipError_tT1_PNSt15iterator_traitsISE_E10value_typeET2_T3_PNSF_ISK_E10value_typeET4_T5_PSP_SQ_PNS1_23onesweep_lookback_stateEbbT6_jjT7_P12ihipStream_tbENKUlT_T0_SE_SJ_E_clIS8_S8_S9_S9_EEDaSX_SY_SE_SJ_EUlSX_E_NS1_11comp_targetILNS1_3genE3ELNS1_11target_archE908ELNS1_3gpuE7ELNS1_3repE0EEENS1_47radix_sort_onesweep_sort_config_static_selectorELNS0_4arch9wavefront6targetE1EEEvSE_,"axG",@progbits,_ZN7rocprim17ROCPRIM_400000_NS6detail17trampoline_kernelINS0_14default_configENS1_35radix_sort_onesweep_config_selectorIfNS0_10empty_typeEEEZZNS1_29radix_sort_onesweep_iterationIS3_Lb0EPfS8_PS5_S9_mNS0_19identity_decomposerENS1_16block_id_wrapperIjLb1EEEEE10hipError_tT1_PNSt15iterator_traitsISE_E10value_typeET2_T3_PNSF_ISK_E10value_typeET4_T5_PSP_SQ_PNS1_23onesweep_lookback_stateEbbT6_jjT7_P12ihipStream_tbENKUlT_T0_SE_SJ_E_clIS8_S8_S9_S9_EEDaSX_SY_SE_SJ_EUlSX_E_NS1_11comp_targetILNS1_3genE3ELNS1_11target_archE908ELNS1_3gpuE7ELNS1_3repE0EEENS1_47radix_sort_onesweep_sort_config_static_selectorELNS0_4arch9wavefront6targetE1EEEvSE_,comdat
.Lfunc_end1291:
	.size	_ZN7rocprim17ROCPRIM_400000_NS6detail17trampoline_kernelINS0_14default_configENS1_35radix_sort_onesweep_config_selectorIfNS0_10empty_typeEEEZZNS1_29radix_sort_onesweep_iterationIS3_Lb0EPfS8_PS5_S9_mNS0_19identity_decomposerENS1_16block_id_wrapperIjLb1EEEEE10hipError_tT1_PNSt15iterator_traitsISE_E10value_typeET2_T3_PNSF_ISK_E10value_typeET4_T5_PSP_SQ_PNS1_23onesweep_lookback_stateEbbT6_jjT7_P12ihipStream_tbENKUlT_T0_SE_SJ_E_clIS8_S8_S9_S9_EEDaSX_SY_SE_SJ_EUlSX_E_NS1_11comp_targetILNS1_3genE3ELNS1_11target_archE908ELNS1_3gpuE7ELNS1_3repE0EEENS1_47radix_sort_onesweep_sort_config_static_selectorELNS0_4arch9wavefront6targetE1EEEvSE_, .Lfunc_end1291-_ZN7rocprim17ROCPRIM_400000_NS6detail17trampoline_kernelINS0_14default_configENS1_35radix_sort_onesweep_config_selectorIfNS0_10empty_typeEEEZZNS1_29radix_sort_onesweep_iterationIS3_Lb0EPfS8_PS5_S9_mNS0_19identity_decomposerENS1_16block_id_wrapperIjLb1EEEEE10hipError_tT1_PNSt15iterator_traitsISE_E10value_typeET2_T3_PNSF_ISK_E10value_typeET4_T5_PSP_SQ_PNS1_23onesweep_lookback_stateEbbT6_jjT7_P12ihipStream_tbENKUlT_T0_SE_SJ_E_clIS8_S8_S9_S9_EEDaSX_SY_SE_SJ_EUlSX_E_NS1_11comp_targetILNS1_3genE3ELNS1_11target_archE908ELNS1_3gpuE7ELNS1_3repE0EEENS1_47radix_sort_onesweep_sort_config_static_selectorELNS0_4arch9wavefront6targetE1EEEvSE_
                                        ; -- End function
	.section	.AMDGPU.csdata,"",@progbits
; Kernel info:
; codeLenInByte = 0
; NumSgprs: 4
; NumVgprs: 0
; NumAgprs: 0
; TotalNumVgprs: 0
; ScratchSize: 0
; MemoryBound: 0
; FloatMode: 240
; IeeeMode: 1
; LDSByteSize: 0 bytes/workgroup (compile time only)
; SGPRBlocks: 0
; VGPRBlocks: 0
; NumSGPRsForWavesPerEU: 4
; NumVGPRsForWavesPerEU: 1
; AccumOffset: 4
; Occupancy: 8
; WaveLimiterHint : 0
; COMPUTE_PGM_RSRC2:SCRATCH_EN: 0
; COMPUTE_PGM_RSRC2:USER_SGPR: 6
; COMPUTE_PGM_RSRC2:TRAP_HANDLER: 0
; COMPUTE_PGM_RSRC2:TGID_X_EN: 1
; COMPUTE_PGM_RSRC2:TGID_Y_EN: 0
; COMPUTE_PGM_RSRC2:TGID_Z_EN: 0
; COMPUTE_PGM_RSRC2:TIDIG_COMP_CNT: 0
; COMPUTE_PGM_RSRC3_GFX90A:ACCUM_OFFSET: 0
; COMPUTE_PGM_RSRC3_GFX90A:TG_SPLIT: 0
	.section	.text._ZN7rocprim17ROCPRIM_400000_NS6detail17trampoline_kernelINS0_14default_configENS1_35radix_sort_onesweep_config_selectorIfNS0_10empty_typeEEEZZNS1_29radix_sort_onesweep_iterationIS3_Lb0EPfS8_PS5_S9_mNS0_19identity_decomposerENS1_16block_id_wrapperIjLb1EEEEE10hipError_tT1_PNSt15iterator_traitsISE_E10value_typeET2_T3_PNSF_ISK_E10value_typeET4_T5_PSP_SQ_PNS1_23onesweep_lookback_stateEbbT6_jjT7_P12ihipStream_tbENKUlT_T0_SE_SJ_E_clIS8_S8_S9_S9_EEDaSX_SY_SE_SJ_EUlSX_E_NS1_11comp_targetILNS1_3genE10ELNS1_11target_archE1201ELNS1_3gpuE5ELNS1_3repE0EEENS1_47radix_sort_onesweep_sort_config_static_selectorELNS0_4arch9wavefront6targetE1EEEvSE_,"axG",@progbits,_ZN7rocprim17ROCPRIM_400000_NS6detail17trampoline_kernelINS0_14default_configENS1_35radix_sort_onesweep_config_selectorIfNS0_10empty_typeEEEZZNS1_29radix_sort_onesweep_iterationIS3_Lb0EPfS8_PS5_S9_mNS0_19identity_decomposerENS1_16block_id_wrapperIjLb1EEEEE10hipError_tT1_PNSt15iterator_traitsISE_E10value_typeET2_T3_PNSF_ISK_E10value_typeET4_T5_PSP_SQ_PNS1_23onesweep_lookback_stateEbbT6_jjT7_P12ihipStream_tbENKUlT_T0_SE_SJ_E_clIS8_S8_S9_S9_EEDaSX_SY_SE_SJ_EUlSX_E_NS1_11comp_targetILNS1_3genE10ELNS1_11target_archE1201ELNS1_3gpuE5ELNS1_3repE0EEENS1_47radix_sort_onesweep_sort_config_static_selectorELNS0_4arch9wavefront6targetE1EEEvSE_,comdat
	.protected	_ZN7rocprim17ROCPRIM_400000_NS6detail17trampoline_kernelINS0_14default_configENS1_35radix_sort_onesweep_config_selectorIfNS0_10empty_typeEEEZZNS1_29radix_sort_onesweep_iterationIS3_Lb0EPfS8_PS5_S9_mNS0_19identity_decomposerENS1_16block_id_wrapperIjLb1EEEEE10hipError_tT1_PNSt15iterator_traitsISE_E10value_typeET2_T3_PNSF_ISK_E10value_typeET4_T5_PSP_SQ_PNS1_23onesweep_lookback_stateEbbT6_jjT7_P12ihipStream_tbENKUlT_T0_SE_SJ_E_clIS8_S8_S9_S9_EEDaSX_SY_SE_SJ_EUlSX_E_NS1_11comp_targetILNS1_3genE10ELNS1_11target_archE1201ELNS1_3gpuE5ELNS1_3repE0EEENS1_47radix_sort_onesweep_sort_config_static_selectorELNS0_4arch9wavefront6targetE1EEEvSE_ ; -- Begin function _ZN7rocprim17ROCPRIM_400000_NS6detail17trampoline_kernelINS0_14default_configENS1_35radix_sort_onesweep_config_selectorIfNS0_10empty_typeEEEZZNS1_29radix_sort_onesweep_iterationIS3_Lb0EPfS8_PS5_S9_mNS0_19identity_decomposerENS1_16block_id_wrapperIjLb1EEEEE10hipError_tT1_PNSt15iterator_traitsISE_E10value_typeET2_T3_PNSF_ISK_E10value_typeET4_T5_PSP_SQ_PNS1_23onesweep_lookback_stateEbbT6_jjT7_P12ihipStream_tbENKUlT_T0_SE_SJ_E_clIS8_S8_S9_S9_EEDaSX_SY_SE_SJ_EUlSX_E_NS1_11comp_targetILNS1_3genE10ELNS1_11target_archE1201ELNS1_3gpuE5ELNS1_3repE0EEENS1_47radix_sort_onesweep_sort_config_static_selectorELNS0_4arch9wavefront6targetE1EEEvSE_
	.globl	_ZN7rocprim17ROCPRIM_400000_NS6detail17trampoline_kernelINS0_14default_configENS1_35radix_sort_onesweep_config_selectorIfNS0_10empty_typeEEEZZNS1_29radix_sort_onesweep_iterationIS3_Lb0EPfS8_PS5_S9_mNS0_19identity_decomposerENS1_16block_id_wrapperIjLb1EEEEE10hipError_tT1_PNSt15iterator_traitsISE_E10value_typeET2_T3_PNSF_ISK_E10value_typeET4_T5_PSP_SQ_PNS1_23onesweep_lookback_stateEbbT6_jjT7_P12ihipStream_tbENKUlT_T0_SE_SJ_E_clIS8_S8_S9_S9_EEDaSX_SY_SE_SJ_EUlSX_E_NS1_11comp_targetILNS1_3genE10ELNS1_11target_archE1201ELNS1_3gpuE5ELNS1_3repE0EEENS1_47radix_sort_onesweep_sort_config_static_selectorELNS0_4arch9wavefront6targetE1EEEvSE_
	.p2align	8
	.type	_ZN7rocprim17ROCPRIM_400000_NS6detail17trampoline_kernelINS0_14default_configENS1_35radix_sort_onesweep_config_selectorIfNS0_10empty_typeEEEZZNS1_29radix_sort_onesweep_iterationIS3_Lb0EPfS8_PS5_S9_mNS0_19identity_decomposerENS1_16block_id_wrapperIjLb1EEEEE10hipError_tT1_PNSt15iterator_traitsISE_E10value_typeET2_T3_PNSF_ISK_E10value_typeET4_T5_PSP_SQ_PNS1_23onesweep_lookback_stateEbbT6_jjT7_P12ihipStream_tbENKUlT_T0_SE_SJ_E_clIS8_S8_S9_S9_EEDaSX_SY_SE_SJ_EUlSX_E_NS1_11comp_targetILNS1_3genE10ELNS1_11target_archE1201ELNS1_3gpuE5ELNS1_3repE0EEENS1_47radix_sort_onesweep_sort_config_static_selectorELNS0_4arch9wavefront6targetE1EEEvSE_,@function
_ZN7rocprim17ROCPRIM_400000_NS6detail17trampoline_kernelINS0_14default_configENS1_35radix_sort_onesweep_config_selectorIfNS0_10empty_typeEEEZZNS1_29radix_sort_onesweep_iterationIS3_Lb0EPfS8_PS5_S9_mNS0_19identity_decomposerENS1_16block_id_wrapperIjLb1EEEEE10hipError_tT1_PNSt15iterator_traitsISE_E10value_typeET2_T3_PNSF_ISK_E10value_typeET4_T5_PSP_SQ_PNS1_23onesweep_lookback_stateEbbT6_jjT7_P12ihipStream_tbENKUlT_T0_SE_SJ_E_clIS8_S8_S9_S9_EEDaSX_SY_SE_SJ_EUlSX_E_NS1_11comp_targetILNS1_3genE10ELNS1_11target_archE1201ELNS1_3gpuE5ELNS1_3repE0EEENS1_47radix_sort_onesweep_sort_config_static_selectorELNS0_4arch9wavefront6targetE1EEEvSE_: ; @_ZN7rocprim17ROCPRIM_400000_NS6detail17trampoline_kernelINS0_14default_configENS1_35radix_sort_onesweep_config_selectorIfNS0_10empty_typeEEEZZNS1_29radix_sort_onesweep_iterationIS3_Lb0EPfS8_PS5_S9_mNS0_19identity_decomposerENS1_16block_id_wrapperIjLb1EEEEE10hipError_tT1_PNSt15iterator_traitsISE_E10value_typeET2_T3_PNSF_ISK_E10value_typeET4_T5_PSP_SQ_PNS1_23onesweep_lookback_stateEbbT6_jjT7_P12ihipStream_tbENKUlT_T0_SE_SJ_E_clIS8_S8_S9_S9_EEDaSX_SY_SE_SJ_EUlSX_E_NS1_11comp_targetILNS1_3genE10ELNS1_11target_archE1201ELNS1_3gpuE5ELNS1_3repE0EEENS1_47radix_sort_onesweep_sort_config_static_selectorELNS0_4arch9wavefront6targetE1EEEvSE_
; %bb.0:
	.section	.rodata,"a",@progbits
	.p2align	6, 0x0
	.amdhsa_kernel _ZN7rocprim17ROCPRIM_400000_NS6detail17trampoline_kernelINS0_14default_configENS1_35radix_sort_onesweep_config_selectorIfNS0_10empty_typeEEEZZNS1_29radix_sort_onesweep_iterationIS3_Lb0EPfS8_PS5_S9_mNS0_19identity_decomposerENS1_16block_id_wrapperIjLb1EEEEE10hipError_tT1_PNSt15iterator_traitsISE_E10value_typeET2_T3_PNSF_ISK_E10value_typeET4_T5_PSP_SQ_PNS1_23onesweep_lookback_stateEbbT6_jjT7_P12ihipStream_tbENKUlT_T0_SE_SJ_E_clIS8_S8_S9_S9_EEDaSX_SY_SE_SJ_EUlSX_E_NS1_11comp_targetILNS1_3genE10ELNS1_11target_archE1201ELNS1_3gpuE5ELNS1_3repE0EEENS1_47radix_sort_onesweep_sort_config_static_selectorELNS0_4arch9wavefront6targetE1EEEvSE_
		.amdhsa_group_segment_fixed_size 0
		.amdhsa_private_segment_fixed_size 0
		.amdhsa_kernarg_size 88
		.amdhsa_user_sgpr_count 6
		.amdhsa_user_sgpr_private_segment_buffer 1
		.amdhsa_user_sgpr_dispatch_ptr 0
		.amdhsa_user_sgpr_queue_ptr 0
		.amdhsa_user_sgpr_kernarg_segment_ptr 1
		.amdhsa_user_sgpr_dispatch_id 0
		.amdhsa_user_sgpr_flat_scratch_init 0
		.amdhsa_user_sgpr_kernarg_preload_length 0
		.amdhsa_user_sgpr_kernarg_preload_offset 0
		.amdhsa_user_sgpr_private_segment_size 0
		.amdhsa_uses_dynamic_stack 0
		.amdhsa_system_sgpr_private_segment_wavefront_offset 0
		.amdhsa_system_sgpr_workgroup_id_x 1
		.amdhsa_system_sgpr_workgroup_id_y 0
		.amdhsa_system_sgpr_workgroup_id_z 0
		.amdhsa_system_sgpr_workgroup_info 0
		.amdhsa_system_vgpr_workitem_id 0
		.amdhsa_next_free_vgpr 1
		.amdhsa_next_free_sgpr 0
		.amdhsa_accum_offset 4
		.amdhsa_reserve_vcc 0
		.amdhsa_reserve_flat_scratch 0
		.amdhsa_float_round_mode_32 0
		.amdhsa_float_round_mode_16_64 0
		.amdhsa_float_denorm_mode_32 3
		.amdhsa_float_denorm_mode_16_64 3
		.amdhsa_dx10_clamp 1
		.amdhsa_ieee_mode 1
		.amdhsa_fp16_overflow 0
		.amdhsa_tg_split 0
		.amdhsa_exception_fp_ieee_invalid_op 0
		.amdhsa_exception_fp_denorm_src 0
		.amdhsa_exception_fp_ieee_div_zero 0
		.amdhsa_exception_fp_ieee_overflow 0
		.amdhsa_exception_fp_ieee_underflow 0
		.amdhsa_exception_fp_ieee_inexact 0
		.amdhsa_exception_int_div_zero 0
	.end_amdhsa_kernel
	.section	.text._ZN7rocprim17ROCPRIM_400000_NS6detail17trampoline_kernelINS0_14default_configENS1_35radix_sort_onesweep_config_selectorIfNS0_10empty_typeEEEZZNS1_29radix_sort_onesweep_iterationIS3_Lb0EPfS8_PS5_S9_mNS0_19identity_decomposerENS1_16block_id_wrapperIjLb1EEEEE10hipError_tT1_PNSt15iterator_traitsISE_E10value_typeET2_T3_PNSF_ISK_E10value_typeET4_T5_PSP_SQ_PNS1_23onesweep_lookback_stateEbbT6_jjT7_P12ihipStream_tbENKUlT_T0_SE_SJ_E_clIS8_S8_S9_S9_EEDaSX_SY_SE_SJ_EUlSX_E_NS1_11comp_targetILNS1_3genE10ELNS1_11target_archE1201ELNS1_3gpuE5ELNS1_3repE0EEENS1_47radix_sort_onesweep_sort_config_static_selectorELNS0_4arch9wavefront6targetE1EEEvSE_,"axG",@progbits,_ZN7rocprim17ROCPRIM_400000_NS6detail17trampoline_kernelINS0_14default_configENS1_35radix_sort_onesweep_config_selectorIfNS0_10empty_typeEEEZZNS1_29radix_sort_onesweep_iterationIS3_Lb0EPfS8_PS5_S9_mNS0_19identity_decomposerENS1_16block_id_wrapperIjLb1EEEEE10hipError_tT1_PNSt15iterator_traitsISE_E10value_typeET2_T3_PNSF_ISK_E10value_typeET4_T5_PSP_SQ_PNS1_23onesweep_lookback_stateEbbT6_jjT7_P12ihipStream_tbENKUlT_T0_SE_SJ_E_clIS8_S8_S9_S9_EEDaSX_SY_SE_SJ_EUlSX_E_NS1_11comp_targetILNS1_3genE10ELNS1_11target_archE1201ELNS1_3gpuE5ELNS1_3repE0EEENS1_47radix_sort_onesweep_sort_config_static_selectorELNS0_4arch9wavefront6targetE1EEEvSE_,comdat
.Lfunc_end1292:
	.size	_ZN7rocprim17ROCPRIM_400000_NS6detail17trampoline_kernelINS0_14default_configENS1_35radix_sort_onesweep_config_selectorIfNS0_10empty_typeEEEZZNS1_29radix_sort_onesweep_iterationIS3_Lb0EPfS8_PS5_S9_mNS0_19identity_decomposerENS1_16block_id_wrapperIjLb1EEEEE10hipError_tT1_PNSt15iterator_traitsISE_E10value_typeET2_T3_PNSF_ISK_E10value_typeET4_T5_PSP_SQ_PNS1_23onesweep_lookback_stateEbbT6_jjT7_P12ihipStream_tbENKUlT_T0_SE_SJ_E_clIS8_S8_S9_S9_EEDaSX_SY_SE_SJ_EUlSX_E_NS1_11comp_targetILNS1_3genE10ELNS1_11target_archE1201ELNS1_3gpuE5ELNS1_3repE0EEENS1_47radix_sort_onesweep_sort_config_static_selectorELNS0_4arch9wavefront6targetE1EEEvSE_, .Lfunc_end1292-_ZN7rocprim17ROCPRIM_400000_NS6detail17trampoline_kernelINS0_14default_configENS1_35radix_sort_onesweep_config_selectorIfNS0_10empty_typeEEEZZNS1_29radix_sort_onesweep_iterationIS3_Lb0EPfS8_PS5_S9_mNS0_19identity_decomposerENS1_16block_id_wrapperIjLb1EEEEE10hipError_tT1_PNSt15iterator_traitsISE_E10value_typeET2_T3_PNSF_ISK_E10value_typeET4_T5_PSP_SQ_PNS1_23onesweep_lookback_stateEbbT6_jjT7_P12ihipStream_tbENKUlT_T0_SE_SJ_E_clIS8_S8_S9_S9_EEDaSX_SY_SE_SJ_EUlSX_E_NS1_11comp_targetILNS1_3genE10ELNS1_11target_archE1201ELNS1_3gpuE5ELNS1_3repE0EEENS1_47radix_sort_onesweep_sort_config_static_selectorELNS0_4arch9wavefront6targetE1EEEvSE_
                                        ; -- End function
	.section	.AMDGPU.csdata,"",@progbits
; Kernel info:
; codeLenInByte = 0
; NumSgprs: 4
; NumVgprs: 0
; NumAgprs: 0
; TotalNumVgprs: 0
; ScratchSize: 0
; MemoryBound: 0
; FloatMode: 240
; IeeeMode: 1
; LDSByteSize: 0 bytes/workgroup (compile time only)
; SGPRBlocks: 0
; VGPRBlocks: 0
; NumSGPRsForWavesPerEU: 4
; NumVGPRsForWavesPerEU: 1
; AccumOffset: 4
; Occupancy: 8
; WaveLimiterHint : 0
; COMPUTE_PGM_RSRC2:SCRATCH_EN: 0
; COMPUTE_PGM_RSRC2:USER_SGPR: 6
; COMPUTE_PGM_RSRC2:TRAP_HANDLER: 0
; COMPUTE_PGM_RSRC2:TGID_X_EN: 1
; COMPUTE_PGM_RSRC2:TGID_Y_EN: 0
; COMPUTE_PGM_RSRC2:TGID_Z_EN: 0
; COMPUTE_PGM_RSRC2:TIDIG_COMP_CNT: 0
; COMPUTE_PGM_RSRC3_GFX90A:ACCUM_OFFSET: 0
; COMPUTE_PGM_RSRC3_GFX90A:TG_SPLIT: 0
	.section	.text._ZN7rocprim17ROCPRIM_400000_NS6detail17trampoline_kernelINS0_14default_configENS1_35radix_sort_onesweep_config_selectorIfNS0_10empty_typeEEEZZNS1_29radix_sort_onesweep_iterationIS3_Lb0EPfS8_PS5_S9_mNS0_19identity_decomposerENS1_16block_id_wrapperIjLb1EEEEE10hipError_tT1_PNSt15iterator_traitsISE_E10value_typeET2_T3_PNSF_ISK_E10value_typeET4_T5_PSP_SQ_PNS1_23onesweep_lookback_stateEbbT6_jjT7_P12ihipStream_tbENKUlT_T0_SE_SJ_E_clIS8_S8_S9_S9_EEDaSX_SY_SE_SJ_EUlSX_E_NS1_11comp_targetILNS1_3genE9ELNS1_11target_archE1100ELNS1_3gpuE3ELNS1_3repE0EEENS1_47radix_sort_onesweep_sort_config_static_selectorELNS0_4arch9wavefront6targetE1EEEvSE_,"axG",@progbits,_ZN7rocprim17ROCPRIM_400000_NS6detail17trampoline_kernelINS0_14default_configENS1_35radix_sort_onesweep_config_selectorIfNS0_10empty_typeEEEZZNS1_29radix_sort_onesweep_iterationIS3_Lb0EPfS8_PS5_S9_mNS0_19identity_decomposerENS1_16block_id_wrapperIjLb1EEEEE10hipError_tT1_PNSt15iterator_traitsISE_E10value_typeET2_T3_PNSF_ISK_E10value_typeET4_T5_PSP_SQ_PNS1_23onesweep_lookback_stateEbbT6_jjT7_P12ihipStream_tbENKUlT_T0_SE_SJ_E_clIS8_S8_S9_S9_EEDaSX_SY_SE_SJ_EUlSX_E_NS1_11comp_targetILNS1_3genE9ELNS1_11target_archE1100ELNS1_3gpuE3ELNS1_3repE0EEENS1_47radix_sort_onesweep_sort_config_static_selectorELNS0_4arch9wavefront6targetE1EEEvSE_,comdat
	.protected	_ZN7rocprim17ROCPRIM_400000_NS6detail17trampoline_kernelINS0_14default_configENS1_35radix_sort_onesweep_config_selectorIfNS0_10empty_typeEEEZZNS1_29radix_sort_onesweep_iterationIS3_Lb0EPfS8_PS5_S9_mNS0_19identity_decomposerENS1_16block_id_wrapperIjLb1EEEEE10hipError_tT1_PNSt15iterator_traitsISE_E10value_typeET2_T3_PNSF_ISK_E10value_typeET4_T5_PSP_SQ_PNS1_23onesweep_lookback_stateEbbT6_jjT7_P12ihipStream_tbENKUlT_T0_SE_SJ_E_clIS8_S8_S9_S9_EEDaSX_SY_SE_SJ_EUlSX_E_NS1_11comp_targetILNS1_3genE9ELNS1_11target_archE1100ELNS1_3gpuE3ELNS1_3repE0EEENS1_47radix_sort_onesweep_sort_config_static_selectorELNS0_4arch9wavefront6targetE1EEEvSE_ ; -- Begin function _ZN7rocprim17ROCPRIM_400000_NS6detail17trampoline_kernelINS0_14default_configENS1_35radix_sort_onesweep_config_selectorIfNS0_10empty_typeEEEZZNS1_29radix_sort_onesweep_iterationIS3_Lb0EPfS8_PS5_S9_mNS0_19identity_decomposerENS1_16block_id_wrapperIjLb1EEEEE10hipError_tT1_PNSt15iterator_traitsISE_E10value_typeET2_T3_PNSF_ISK_E10value_typeET4_T5_PSP_SQ_PNS1_23onesweep_lookback_stateEbbT6_jjT7_P12ihipStream_tbENKUlT_T0_SE_SJ_E_clIS8_S8_S9_S9_EEDaSX_SY_SE_SJ_EUlSX_E_NS1_11comp_targetILNS1_3genE9ELNS1_11target_archE1100ELNS1_3gpuE3ELNS1_3repE0EEENS1_47radix_sort_onesweep_sort_config_static_selectorELNS0_4arch9wavefront6targetE1EEEvSE_
	.globl	_ZN7rocprim17ROCPRIM_400000_NS6detail17trampoline_kernelINS0_14default_configENS1_35radix_sort_onesweep_config_selectorIfNS0_10empty_typeEEEZZNS1_29radix_sort_onesweep_iterationIS3_Lb0EPfS8_PS5_S9_mNS0_19identity_decomposerENS1_16block_id_wrapperIjLb1EEEEE10hipError_tT1_PNSt15iterator_traitsISE_E10value_typeET2_T3_PNSF_ISK_E10value_typeET4_T5_PSP_SQ_PNS1_23onesweep_lookback_stateEbbT6_jjT7_P12ihipStream_tbENKUlT_T0_SE_SJ_E_clIS8_S8_S9_S9_EEDaSX_SY_SE_SJ_EUlSX_E_NS1_11comp_targetILNS1_3genE9ELNS1_11target_archE1100ELNS1_3gpuE3ELNS1_3repE0EEENS1_47radix_sort_onesweep_sort_config_static_selectorELNS0_4arch9wavefront6targetE1EEEvSE_
	.p2align	8
	.type	_ZN7rocprim17ROCPRIM_400000_NS6detail17trampoline_kernelINS0_14default_configENS1_35radix_sort_onesweep_config_selectorIfNS0_10empty_typeEEEZZNS1_29radix_sort_onesweep_iterationIS3_Lb0EPfS8_PS5_S9_mNS0_19identity_decomposerENS1_16block_id_wrapperIjLb1EEEEE10hipError_tT1_PNSt15iterator_traitsISE_E10value_typeET2_T3_PNSF_ISK_E10value_typeET4_T5_PSP_SQ_PNS1_23onesweep_lookback_stateEbbT6_jjT7_P12ihipStream_tbENKUlT_T0_SE_SJ_E_clIS8_S8_S9_S9_EEDaSX_SY_SE_SJ_EUlSX_E_NS1_11comp_targetILNS1_3genE9ELNS1_11target_archE1100ELNS1_3gpuE3ELNS1_3repE0EEENS1_47radix_sort_onesweep_sort_config_static_selectorELNS0_4arch9wavefront6targetE1EEEvSE_,@function
_ZN7rocprim17ROCPRIM_400000_NS6detail17trampoline_kernelINS0_14default_configENS1_35radix_sort_onesweep_config_selectorIfNS0_10empty_typeEEEZZNS1_29radix_sort_onesweep_iterationIS3_Lb0EPfS8_PS5_S9_mNS0_19identity_decomposerENS1_16block_id_wrapperIjLb1EEEEE10hipError_tT1_PNSt15iterator_traitsISE_E10value_typeET2_T3_PNSF_ISK_E10value_typeET4_T5_PSP_SQ_PNS1_23onesweep_lookback_stateEbbT6_jjT7_P12ihipStream_tbENKUlT_T0_SE_SJ_E_clIS8_S8_S9_S9_EEDaSX_SY_SE_SJ_EUlSX_E_NS1_11comp_targetILNS1_3genE9ELNS1_11target_archE1100ELNS1_3gpuE3ELNS1_3repE0EEENS1_47radix_sort_onesweep_sort_config_static_selectorELNS0_4arch9wavefront6targetE1EEEvSE_: ; @_ZN7rocprim17ROCPRIM_400000_NS6detail17trampoline_kernelINS0_14default_configENS1_35radix_sort_onesweep_config_selectorIfNS0_10empty_typeEEEZZNS1_29radix_sort_onesweep_iterationIS3_Lb0EPfS8_PS5_S9_mNS0_19identity_decomposerENS1_16block_id_wrapperIjLb1EEEEE10hipError_tT1_PNSt15iterator_traitsISE_E10value_typeET2_T3_PNSF_ISK_E10value_typeET4_T5_PSP_SQ_PNS1_23onesweep_lookback_stateEbbT6_jjT7_P12ihipStream_tbENKUlT_T0_SE_SJ_E_clIS8_S8_S9_S9_EEDaSX_SY_SE_SJ_EUlSX_E_NS1_11comp_targetILNS1_3genE9ELNS1_11target_archE1100ELNS1_3gpuE3ELNS1_3repE0EEENS1_47radix_sort_onesweep_sort_config_static_selectorELNS0_4arch9wavefront6targetE1EEEvSE_
; %bb.0:
	.section	.rodata,"a",@progbits
	.p2align	6, 0x0
	.amdhsa_kernel _ZN7rocprim17ROCPRIM_400000_NS6detail17trampoline_kernelINS0_14default_configENS1_35radix_sort_onesweep_config_selectorIfNS0_10empty_typeEEEZZNS1_29radix_sort_onesweep_iterationIS3_Lb0EPfS8_PS5_S9_mNS0_19identity_decomposerENS1_16block_id_wrapperIjLb1EEEEE10hipError_tT1_PNSt15iterator_traitsISE_E10value_typeET2_T3_PNSF_ISK_E10value_typeET4_T5_PSP_SQ_PNS1_23onesweep_lookback_stateEbbT6_jjT7_P12ihipStream_tbENKUlT_T0_SE_SJ_E_clIS8_S8_S9_S9_EEDaSX_SY_SE_SJ_EUlSX_E_NS1_11comp_targetILNS1_3genE9ELNS1_11target_archE1100ELNS1_3gpuE3ELNS1_3repE0EEENS1_47radix_sort_onesweep_sort_config_static_selectorELNS0_4arch9wavefront6targetE1EEEvSE_
		.amdhsa_group_segment_fixed_size 0
		.amdhsa_private_segment_fixed_size 0
		.amdhsa_kernarg_size 88
		.amdhsa_user_sgpr_count 6
		.amdhsa_user_sgpr_private_segment_buffer 1
		.amdhsa_user_sgpr_dispatch_ptr 0
		.amdhsa_user_sgpr_queue_ptr 0
		.amdhsa_user_sgpr_kernarg_segment_ptr 1
		.amdhsa_user_sgpr_dispatch_id 0
		.amdhsa_user_sgpr_flat_scratch_init 0
		.amdhsa_user_sgpr_kernarg_preload_length 0
		.amdhsa_user_sgpr_kernarg_preload_offset 0
		.amdhsa_user_sgpr_private_segment_size 0
		.amdhsa_uses_dynamic_stack 0
		.amdhsa_system_sgpr_private_segment_wavefront_offset 0
		.amdhsa_system_sgpr_workgroup_id_x 1
		.amdhsa_system_sgpr_workgroup_id_y 0
		.amdhsa_system_sgpr_workgroup_id_z 0
		.amdhsa_system_sgpr_workgroup_info 0
		.amdhsa_system_vgpr_workitem_id 0
		.amdhsa_next_free_vgpr 1
		.amdhsa_next_free_sgpr 0
		.amdhsa_accum_offset 4
		.amdhsa_reserve_vcc 0
		.amdhsa_reserve_flat_scratch 0
		.amdhsa_float_round_mode_32 0
		.amdhsa_float_round_mode_16_64 0
		.amdhsa_float_denorm_mode_32 3
		.amdhsa_float_denorm_mode_16_64 3
		.amdhsa_dx10_clamp 1
		.amdhsa_ieee_mode 1
		.amdhsa_fp16_overflow 0
		.amdhsa_tg_split 0
		.amdhsa_exception_fp_ieee_invalid_op 0
		.amdhsa_exception_fp_denorm_src 0
		.amdhsa_exception_fp_ieee_div_zero 0
		.amdhsa_exception_fp_ieee_overflow 0
		.amdhsa_exception_fp_ieee_underflow 0
		.amdhsa_exception_fp_ieee_inexact 0
		.amdhsa_exception_int_div_zero 0
	.end_amdhsa_kernel
	.section	.text._ZN7rocprim17ROCPRIM_400000_NS6detail17trampoline_kernelINS0_14default_configENS1_35radix_sort_onesweep_config_selectorIfNS0_10empty_typeEEEZZNS1_29radix_sort_onesweep_iterationIS3_Lb0EPfS8_PS5_S9_mNS0_19identity_decomposerENS1_16block_id_wrapperIjLb1EEEEE10hipError_tT1_PNSt15iterator_traitsISE_E10value_typeET2_T3_PNSF_ISK_E10value_typeET4_T5_PSP_SQ_PNS1_23onesweep_lookback_stateEbbT6_jjT7_P12ihipStream_tbENKUlT_T0_SE_SJ_E_clIS8_S8_S9_S9_EEDaSX_SY_SE_SJ_EUlSX_E_NS1_11comp_targetILNS1_3genE9ELNS1_11target_archE1100ELNS1_3gpuE3ELNS1_3repE0EEENS1_47radix_sort_onesweep_sort_config_static_selectorELNS0_4arch9wavefront6targetE1EEEvSE_,"axG",@progbits,_ZN7rocprim17ROCPRIM_400000_NS6detail17trampoline_kernelINS0_14default_configENS1_35radix_sort_onesweep_config_selectorIfNS0_10empty_typeEEEZZNS1_29radix_sort_onesweep_iterationIS3_Lb0EPfS8_PS5_S9_mNS0_19identity_decomposerENS1_16block_id_wrapperIjLb1EEEEE10hipError_tT1_PNSt15iterator_traitsISE_E10value_typeET2_T3_PNSF_ISK_E10value_typeET4_T5_PSP_SQ_PNS1_23onesweep_lookback_stateEbbT6_jjT7_P12ihipStream_tbENKUlT_T0_SE_SJ_E_clIS8_S8_S9_S9_EEDaSX_SY_SE_SJ_EUlSX_E_NS1_11comp_targetILNS1_3genE9ELNS1_11target_archE1100ELNS1_3gpuE3ELNS1_3repE0EEENS1_47radix_sort_onesweep_sort_config_static_selectorELNS0_4arch9wavefront6targetE1EEEvSE_,comdat
.Lfunc_end1293:
	.size	_ZN7rocprim17ROCPRIM_400000_NS6detail17trampoline_kernelINS0_14default_configENS1_35radix_sort_onesweep_config_selectorIfNS0_10empty_typeEEEZZNS1_29radix_sort_onesweep_iterationIS3_Lb0EPfS8_PS5_S9_mNS0_19identity_decomposerENS1_16block_id_wrapperIjLb1EEEEE10hipError_tT1_PNSt15iterator_traitsISE_E10value_typeET2_T3_PNSF_ISK_E10value_typeET4_T5_PSP_SQ_PNS1_23onesweep_lookback_stateEbbT6_jjT7_P12ihipStream_tbENKUlT_T0_SE_SJ_E_clIS8_S8_S9_S9_EEDaSX_SY_SE_SJ_EUlSX_E_NS1_11comp_targetILNS1_3genE9ELNS1_11target_archE1100ELNS1_3gpuE3ELNS1_3repE0EEENS1_47radix_sort_onesweep_sort_config_static_selectorELNS0_4arch9wavefront6targetE1EEEvSE_, .Lfunc_end1293-_ZN7rocprim17ROCPRIM_400000_NS6detail17trampoline_kernelINS0_14default_configENS1_35radix_sort_onesweep_config_selectorIfNS0_10empty_typeEEEZZNS1_29radix_sort_onesweep_iterationIS3_Lb0EPfS8_PS5_S9_mNS0_19identity_decomposerENS1_16block_id_wrapperIjLb1EEEEE10hipError_tT1_PNSt15iterator_traitsISE_E10value_typeET2_T3_PNSF_ISK_E10value_typeET4_T5_PSP_SQ_PNS1_23onesweep_lookback_stateEbbT6_jjT7_P12ihipStream_tbENKUlT_T0_SE_SJ_E_clIS8_S8_S9_S9_EEDaSX_SY_SE_SJ_EUlSX_E_NS1_11comp_targetILNS1_3genE9ELNS1_11target_archE1100ELNS1_3gpuE3ELNS1_3repE0EEENS1_47radix_sort_onesweep_sort_config_static_selectorELNS0_4arch9wavefront6targetE1EEEvSE_
                                        ; -- End function
	.section	.AMDGPU.csdata,"",@progbits
; Kernel info:
; codeLenInByte = 0
; NumSgprs: 4
; NumVgprs: 0
; NumAgprs: 0
; TotalNumVgprs: 0
; ScratchSize: 0
; MemoryBound: 0
; FloatMode: 240
; IeeeMode: 1
; LDSByteSize: 0 bytes/workgroup (compile time only)
; SGPRBlocks: 0
; VGPRBlocks: 0
; NumSGPRsForWavesPerEU: 4
; NumVGPRsForWavesPerEU: 1
; AccumOffset: 4
; Occupancy: 8
; WaveLimiterHint : 0
; COMPUTE_PGM_RSRC2:SCRATCH_EN: 0
; COMPUTE_PGM_RSRC2:USER_SGPR: 6
; COMPUTE_PGM_RSRC2:TRAP_HANDLER: 0
; COMPUTE_PGM_RSRC2:TGID_X_EN: 1
; COMPUTE_PGM_RSRC2:TGID_Y_EN: 0
; COMPUTE_PGM_RSRC2:TGID_Z_EN: 0
; COMPUTE_PGM_RSRC2:TIDIG_COMP_CNT: 0
; COMPUTE_PGM_RSRC3_GFX90A:ACCUM_OFFSET: 0
; COMPUTE_PGM_RSRC3_GFX90A:TG_SPLIT: 0
	.section	.text._ZN7rocprim17ROCPRIM_400000_NS6detail17trampoline_kernelINS0_14default_configENS1_35radix_sort_onesweep_config_selectorIfNS0_10empty_typeEEEZZNS1_29radix_sort_onesweep_iterationIS3_Lb0EPfS8_PS5_S9_mNS0_19identity_decomposerENS1_16block_id_wrapperIjLb1EEEEE10hipError_tT1_PNSt15iterator_traitsISE_E10value_typeET2_T3_PNSF_ISK_E10value_typeET4_T5_PSP_SQ_PNS1_23onesweep_lookback_stateEbbT6_jjT7_P12ihipStream_tbENKUlT_T0_SE_SJ_E_clIS8_S8_S9_S9_EEDaSX_SY_SE_SJ_EUlSX_E_NS1_11comp_targetILNS1_3genE8ELNS1_11target_archE1030ELNS1_3gpuE2ELNS1_3repE0EEENS1_47radix_sort_onesweep_sort_config_static_selectorELNS0_4arch9wavefront6targetE1EEEvSE_,"axG",@progbits,_ZN7rocprim17ROCPRIM_400000_NS6detail17trampoline_kernelINS0_14default_configENS1_35radix_sort_onesweep_config_selectorIfNS0_10empty_typeEEEZZNS1_29radix_sort_onesweep_iterationIS3_Lb0EPfS8_PS5_S9_mNS0_19identity_decomposerENS1_16block_id_wrapperIjLb1EEEEE10hipError_tT1_PNSt15iterator_traitsISE_E10value_typeET2_T3_PNSF_ISK_E10value_typeET4_T5_PSP_SQ_PNS1_23onesweep_lookback_stateEbbT6_jjT7_P12ihipStream_tbENKUlT_T0_SE_SJ_E_clIS8_S8_S9_S9_EEDaSX_SY_SE_SJ_EUlSX_E_NS1_11comp_targetILNS1_3genE8ELNS1_11target_archE1030ELNS1_3gpuE2ELNS1_3repE0EEENS1_47radix_sort_onesweep_sort_config_static_selectorELNS0_4arch9wavefront6targetE1EEEvSE_,comdat
	.protected	_ZN7rocprim17ROCPRIM_400000_NS6detail17trampoline_kernelINS0_14default_configENS1_35radix_sort_onesweep_config_selectorIfNS0_10empty_typeEEEZZNS1_29radix_sort_onesweep_iterationIS3_Lb0EPfS8_PS5_S9_mNS0_19identity_decomposerENS1_16block_id_wrapperIjLb1EEEEE10hipError_tT1_PNSt15iterator_traitsISE_E10value_typeET2_T3_PNSF_ISK_E10value_typeET4_T5_PSP_SQ_PNS1_23onesweep_lookback_stateEbbT6_jjT7_P12ihipStream_tbENKUlT_T0_SE_SJ_E_clIS8_S8_S9_S9_EEDaSX_SY_SE_SJ_EUlSX_E_NS1_11comp_targetILNS1_3genE8ELNS1_11target_archE1030ELNS1_3gpuE2ELNS1_3repE0EEENS1_47radix_sort_onesweep_sort_config_static_selectorELNS0_4arch9wavefront6targetE1EEEvSE_ ; -- Begin function _ZN7rocprim17ROCPRIM_400000_NS6detail17trampoline_kernelINS0_14default_configENS1_35radix_sort_onesweep_config_selectorIfNS0_10empty_typeEEEZZNS1_29radix_sort_onesweep_iterationIS3_Lb0EPfS8_PS5_S9_mNS0_19identity_decomposerENS1_16block_id_wrapperIjLb1EEEEE10hipError_tT1_PNSt15iterator_traitsISE_E10value_typeET2_T3_PNSF_ISK_E10value_typeET4_T5_PSP_SQ_PNS1_23onesweep_lookback_stateEbbT6_jjT7_P12ihipStream_tbENKUlT_T0_SE_SJ_E_clIS8_S8_S9_S9_EEDaSX_SY_SE_SJ_EUlSX_E_NS1_11comp_targetILNS1_3genE8ELNS1_11target_archE1030ELNS1_3gpuE2ELNS1_3repE0EEENS1_47radix_sort_onesweep_sort_config_static_selectorELNS0_4arch9wavefront6targetE1EEEvSE_
	.globl	_ZN7rocprim17ROCPRIM_400000_NS6detail17trampoline_kernelINS0_14default_configENS1_35radix_sort_onesweep_config_selectorIfNS0_10empty_typeEEEZZNS1_29radix_sort_onesweep_iterationIS3_Lb0EPfS8_PS5_S9_mNS0_19identity_decomposerENS1_16block_id_wrapperIjLb1EEEEE10hipError_tT1_PNSt15iterator_traitsISE_E10value_typeET2_T3_PNSF_ISK_E10value_typeET4_T5_PSP_SQ_PNS1_23onesweep_lookback_stateEbbT6_jjT7_P12ihipStream_tbENKUlT_T0_SE_SJ_E_clIS8_S8_S9_S9_EEDaSX_SY_SE_SJ_EUlSX_E_NS1_11comp_targetILNS1_3genE8ELNS1_11target_archE1030ELNS1_3gpuE2ELNS1_3repE0EEENS1_47radix_sort_onesweep_sort_config_static_selectorELNS0_4arch9wavefront6targetE1EEEvSE_
	.p2align	8
	.type	_ZN7rocprim17ROCPRIM_400000_NS6detail17trampoline_kernelINS0_14default_configENS1_35radix_sort_onesweep_config_selectorIfNS0_10empty_typeEEEZZNS1_29radix_sort_onesweep_iterationIS3_Lb0EPfS8_PS5_S9_mNS0_19identity_decomposerENS1_16block_id_wrapperIjLb1EEEEE10hipError_tT1_PNSt15iterator_traitsISE_E10value_typeET2_T3_PNSF_ISK_E10value_typeET4_T5_PSP_SQ_PNS1_23onesweep_lookback_stateEbbT6_jjT7_P12ihipStream_tbENKUlT_T0_SE_SJ_E_clIS8_S8_S9_S9_EEDaSX_SY_SE_SJ_EUlSX_E_NS1_11comp_targetILNS1_3genE8ELNS1_11target_archE1030ELNS1_3gpuE2ELNS1_3repE0EEENS1_47radix_sort_onesweep_sort_config_static_selectorELNS0_4arch9wavefront6targetE1EEEvSE_,@function
_ZN7rocprim17ROCPRIM_400000_NS6detail17trampoline_kernelINS0_14default_configENS1_35radix_sort_onesweep_config_selectorIfNS0_10empty_typeEEEZZNS1_29radix_sort_onesweep_iterationIS3_Lb0EPfS8_PS5_S9_mNS0_19identity_decomposerENS1_16block_id_wrapperIjLb1EEEEE10hipError_tT1_PNSt15iterator_traitsISE_E10value_typeET2_T3_PNSF_ISK_E10value_typeET4_T5_PSP_SQ_PNS1_23onesweep_lookback_stateEbbT6_jjT7_P12ihipStream_tbENKUlT_T0_SE_SJ_E_clIS8_S8_S9_S9_EEDaSX_SY_SE_SJ_EUlSX_E_NS1_11comp_targetILNS1_3genE8ELNS1_11target_archE1030ELNS1_3gpuE2ELNS1_3repE0EEENS1_47radix_sort_onesweep_sort_config_static_selectorELNS0_4arch9wavefront6targetE1EEEvSE_: ; @_ZN7rocprim17ROCPRIM_400000_NS6detail17trampoline_kernelINS0_14default_configENS1_35radix_sort_onesweep_config_selectorIfNS0_10empty_typeEEEZZNS1_29radix_sort_onesweep_iterationIS3_Lb0EPfS8_PS5_S9_mNS0_19identity_decomposerENS1_16block_id_wrapperIjLb1EEEEE10hipError_tT1_PNSt15iterator_traitsISE_E10value_typeET2_T3_PNSF_ISK_E10value_typeET4_T5_PSP_SQ_PNS1_23onesweep_lookback_stateEbbT6_jjT7_P12ihipStream_tbENKUlT_T0_SE_SJ_E_clIS8_S8_S9_S9_EEDaSX_SY_SE_SJ_EUlSX_E_NS1_11comp_targetILNS1_3genE8ELNS1_11target_archE1030ELNS1_3gpuE2ELNS1_3repE0EEENS1_47radix_sort_onesweep_sort_config_static_selectorELNS0_4arch9wavefront6targetE1EEEvSE_
; %bb.0:
	.section	.rodata,"a",@progbits
	.p2align	6, 0x0
	.amdhsa_kernel _ZN7rocprim17ROCPRIM_400000_NS6detail17trampoline_kernelINS0_14default_configENS1_35radix_sort_onesweep_config_selectorIfNS0_10empty_typeEEEZZNS1_29radix_sort_onesweep_iterationIS3_Lb0EPfS8_PS5_S9_mNS0_19identity_decomposerENS1_16block_id_wrapperIjLb1EEEEE10hipError_tT1_PNSt15iterator_traitsISE_E10value_typeET2_T3_PNSF_ISK_E10value_typeET4_T5_PSP_SQ_PNS1_23onesweep_lookback_stateEbbT6_jjT7_P12ihipStream_tbENKUlT_T0_SE_SJ_E_clIS8_S8_S9_S9_EEDaSX_SY_SE_SJ_EUlSX_E_NS1_11comp_targetILNS1_3genE8ELNS1_11target_archE1030ELNS1_3gpuE2ELNS1_3repE0EEENS1_47radix_sort_onesweep_sort_config_static_selectorELNS0_4arch9wavefront6targetE1EEEvSE_
		.amdhsa_group_segment_fixed_size 0
		.amdhsa_private_segment_fixed_size 0
		.amdhsa_kernarg_size 88
		.amdhsa_user_sgpr_count 6
		.amdhsa_user_sgpr_private_segment_buffer 1
		.amdhsa_user_sgpr_dispatch_ptr 0
		.amdhsa_user_sgpr_queue_ptr 0
		.amdhsa_user_sgpr_kernarg_segment_ptr 1
		.amdhsa_user_sgpr_dispatch_id 0
		.amdhsa_user_sgpr_flat_scratch_init 0
		.amdhsa_user_sgpr_kernarg_preload_length 0
		.amdhsa_user_sgpr_kernarg_preload_offset 0
		.amdhsa_user_sgpr_private_segment_size 0
		.amdhsa_uses_dynamic_stack 0
		.amdhsa_system_sgpr_private_segment_wavefront_offset 0
		.amdhsa_system_sgpr_workgroup_id_x 1
		.amdhsa_system_sgpr_workgroup_id_y 0
		.amdhsa_system_sgpr_workgroup_id_z 0
		.amdhsa_system_sgpr_workgroup_info 0
		.amdhsa_system_vgpr_workitem_id 0
		.amdhsa_next_free_vgpr 1
		.amdhsa_next_free_sgpr 0
		.amdhsa_accum_offset 4
		.amdhsa_reserve_vcc 0
		.amdhsa_reserve_flat_scratch 0
		.amdhsa_float_round_mode_32 0
		.amdhsa_float_round_mode_16_64 0
		.amdhsa_float_denorm_mode_32 3
		.amdhsa_float_denorm_mode_16_64 3
		.amdhsa_dx10_clamp 1
		.amdhsa_ieee_mode 1
		.amdhsa_fp16_overflow 0
		.amdhsa_tg_split 0
		.amdhsa_exception_fp_ieee_invalid_op 0
		.amdhsa_exception_fp_denorm_src 0
		.amdhsa_exception_fp_ieee_div_zero 0
		.amdhsa_exception_fp_ieee_overflow 0
		.amdhsa_exception_fp_ieee_underflow 0
		.amdhsa_exception_fp_ieee_inexact 0
		.amdhsa_exception_int_div_zero 0
	.end_amdhsa_kernel
	.section	.text._ZN7rocprim17ROCPRIM_400000_NS6detail17trampoline_kernelINS0_14default_configENS1_35radix_sort_onesweep_config_selectorIfNS0_10empty_typeEEEZZNS1_29radix_sort_onesweep_iterationIS3_Lb0EPfS8_PS5_S9_mNS0_19identity_decomposerENS1_16block_id_wrapperIjLb1EEEEE10hipError_tT1_PNSt15iterator_traitsISE_E10value_typeET2_T3_PNSF_ISK_E10value_typeET4_T5_PSP_SQ_PNS1_23onesweep_lookback_stateEbbT6_jjT7_P12ihipStream_tbENKUlT_T0_SE_SJ_E_clIS8_S8_S9_S9_EEDaSX_SY_SE_SJ_EUlSX_E_NS1_11comp_targetILNS1_3genE8ELNS1_11target_archE1030ELNS1_3gpuE2ELNS1_3repE0EEENS1_47radix_sort_onesweep_sort_config_static_selectorELNS0_4arch9wavefront6targetE1EEEvSE_,"axG",@progbits,_ZN7rocprim17ROCPRIM_400000_NS6detail17trampoline_kernelINS0_14default_configENS1_35radix_sort_onesweep_config_selectorIfNS0_10empty_typeEEEZZNS1_29radix_sort_onesweep_iterationIS3_Lb0EPfS8_PS5_S9_mNS0_19identity_decomposerENS1_16block_id_wrapperIjLb1EEEEE10hipError_tT1_PNSt15iterator_traitsISE_E10value_typeET2_T3_PNSF_ISK_E10value_typeET4_T5_PSP_SQ_PNS1_23onesweep_lookback_stateEbbT6_jjT7_P12ihipStream_tbENKUlT_T0_SE_SJ_E_clIS8_S8_S9_S9_EEDaSX_SY_SE_SJ_EUlSX_E_NS1_11comp_targetILNS1_3genE8ELNS1_11target_archE1030ELNS1_3gpuE2ELNS1_3repE0EEENS1_47radix_sort_onesweep_sort_config_static_selectorELNS0_4arch9wavefront6targetE1EEEvSE_,comdat
.Lfunc_end1294:
	.size	_ZN7rocprim17ROCPRIM_400000_NS6detail17trampoline_kernelINS0_14default_configENS1_35radix_sort_onesweep_config_selectorIfNS0_10empty_typeEEEZZNS1_29radix_sort_onesweep_iterationIS3_Lb0EPfS8_PS5_S9_mNS0_19identity_decomposerENS1_16block_id_wrapperIjLb1EEEEE10hipError_tT1_PNSt15iterator_traitsISE_E10value_typeET2_T3_PNSF_ISK_E10value_typeET4_T5_PSP_SQ_PNS1_23onesweep_lookback_stateEbbT6_jjT7_P12ihipStream_tbENKUlT_T0_SE_SJ_E_clIS8_S8_S9_S9_EEDaSX_SY_SE_SJ_EUlSX_E_NS1_11comp_targetILNS1_3genE8ELNS1_11target_archE1030ELNS1_3gpuE2ELNS1_3repE0EEENS1_47radix_sort_onesweep_sort_config_static_selectorELNS0_4arch9wavefront6targetE1EEEvSE_, .Lfunc_end1294-_ZN7rocprim17ROCPRIM_400000_NS6detail17trampoline_kernelINS0_14default_configENS1_35radix_sort_onesweep_config_selectorIfNS0_10empty_typeEEEZZNS1_29radix_sort_onesweep_iterationIS3_Lb0EPfS8_PS5_S9_mNS0_19identity_decomposerENS1_16block_id_wrapperIjLb1EEEEE10hipError_tT1_PNSt15iterator_traitsISE_E10value_typeET2_T3_PNSF_ISK_E10value_typeET4_T5_PSP_SQ_PNS1_23onesweep_lookback_stateEbbT6_jjT7_P12ihipStream_tbENKUlT_T0_SE_SJ_E_clIS8_S8_S9_S9_EEDaSX_SY_SE_SJ_EUlSX_E_NS1_11comp_targetILNS1_3genE8ELNS1_11target_archE1030ELNS1_3gpuE2ELNS1_3repE0EEENS1_47radix_sort_onesweep_sort_config_static_selectorELNS0_4arch9wavefront6targetE1EEEvSE_
                                        ; -- End function
	.section	.AMDGPU.csdata,"",@progbits
; Kernel info:
; codeLenInByte = 0
; NumSgprs: 4
; NumVgprs: 0
; NumAgprs: 0
; TotalNumVgprs: 0
; ScratchSize: 0
; MemoryBound: 0
; FloatMode: 240
; IeeeMode: 1
; LDSByteSize: 0 bytes/workgroup (compile time only)
; SGPRBlocks: 0
; VGPRBlocks: 0
; NumSGPRsForWavesPerEU: 4
; NumVGPRsForWavesPerEU: 1
; AccumOffset: 4
; Occupancy: 8
; WaveLimiterHint : 0
; COMPUTE_PGM_RSRC2:SCRATCH_EN: 0
; COMPUTE_PGM_RSRC2:USER_SGPR: 6
; COMPUTE_PGM_RSRC2:TRAP_HANDLER: 0
; COMPUTE_PGM_RSRC2:TGID_X_EN: 1
; COMPUTE_PGM_RSRC2:TGID_Y_EN: 0
; COMPUTE_PGM_RSRC2:TGID_Z_EN: 0
; COMPUTE_PGM_RSRC2:TIDIG_COMP_CNT: 0
; COMPUTE_PGM_RSRC3_GFX90A:ACCUM_OFFSET: 0
; COMPUTE_PGM_RSRC3_GFX90A:TG_SPLIT: 0
	.section	.text._ZN7rocprim17ROCPRIM_400000_NS6detail17trampoline_kernelINS0_14default_configENS1_35radix_sort_onesweep_config_selectorIfNS0_10empty_typeEEEZZNS1_29radix_sort_onesweep_iterationIS3_Lb0EPfS8_PS5_S9_mNS0_19identity_decomposerENS1_16block_id_wrapperIjLb0EEEEE10hipError_tT1_PNSt15iterator_traitsISE_E10value_typeET2_T3_PNSF_ISK_E10value_typeET4_T5_PSP_SQ_PNS1_23onesweep_lookback_stateEbbT6_jjT7_P12ihipStream_tbENKUlT_T0_SE_SJ_E_clIS8_S8_S9_S9_EEDaSX_SY_SE_SJ_EUlSX_E_NS1_11comp_targetILNS1_3genE0ELNS1_11target_archE4294967295ELNS1_3gpuE0ELNS1_3repE0EEENS1_47radix_sort_onesweep_sort_config_static_selectorELNS0_4arch9wavefront6targetE1EEEvSE_,"axG",@progbits,_ZN7rocprim17ROCPRIM_400000_NS6detail17trampoline_kernelINS0_14default_configENS1_35radix_sort_onesweep_config_selectorIfNS0_10empty_typeEEEZZNS1_29radix_sort_onesweep_iterationIS3_Lb0EPfS8_PS5_S9_mNS0_19identity_decomposerENS1_16block_id_wrapperIjLb0EEEEE10hipError_tT1_PNSt15iterator_traitsISE_E10value_typeET2_T3_PNSF_ISK_E10value_typeET4_T5_PSP_SQ_PNS1_23onesweep_lookback_stateEbbT6_jjT7_P12ihipStream_tbENKUlT_T0_SE_SJ_E_clIS8_S8_S9_S9_EEDaSX_SY_SE_SJ_EUlSX_E_NS1_11comp_targetILNS1_3genE0ELNS1_11target_archE4294967295ELNS1_3gpuE0ELNS1_3repE0EEENS1_47radix_sort_onesweep_sort_config_static_selectorELNS0_4arch9wavefront6targetE1EEEvSE_,comdat
	.protected	_ZN7rocprim17ROCPRIM_400000_NS6detail17trampoline_kernelINS0_14default_configENS1_35radix_sort_onesweep_config_selectorIfNS0_10empty_typeEEEZZNS1_29radix_sort_onesweep_iterationIS3_Lb0EPfS8_PS5_S9_mNS0_19identity_decomposerENS1_16block_id_wrapperIjLb0EEEEE10hipError_tT1_PNSt15iterator_traitsISE_E10value_typeET2_T3_PNSF_ISK_E10value_typeET4_T5_PSP_SQ_PNS1_23onesweep_lookback_stateEbbT6_jjT7_P12ihipStream_tbENKUlT_T0_SE_SJ_E_clIS8_S8_S9_S9_EEDaSX_SY_SE_SJ_EUlSX_E_NS1_11comp_targetILNS1_3genE0ELNS1_11target_archE4294967295ELNS1_3gpuE0ELNS1_3repE0EEENS1_47radix_sort_onesweep_sort_config_static_selectorELNS0_4arch9wavefront6targetE1EEEvSE_ ; -- Begin function _ZN7rocprim17ROCPRIM_400000_NS6detail17trampoline_kernelINS0_14default_configENS1_35radix_sort_onesweep_config_selectorIfNS0_10empty_typeEEEZZNS1_29radix_sort_onesweep_iterationIS3_Lb0EPfS8_PS5_S9_mNS0_19identity_decomposerENS1_16block_id_wrapperIjLb0EEEEE10hipError_tT1_PNSt15iterator_traitsISE_E10value_typeET2_T3_PNSF_ISK_E10value_typeET4_T5_PSP_SQ_PNS1_23onesweep_lookback_stateEbbT6_jjT7_P12ihipStream_tbENKUlT_T0_SE_SJ_E_clIS8_S8_S9_S9_EEDaSX_SY_SE_SJ_EUlSX_E_NS1_11comp_targetILNS1_3genE0ELNS1_11target_archE4294967295ELNS1_3gpuE0ELNS1_3repE0EEENS1_47radix_sort_onesweep_sort_config_static_selectorELNS0_4arch9wavefront6targetE1EEEvSE_
	.globl	_ZN7rocprim17ROCPRIM_400000_NS6detail17trampoline_kernelINS0_14default_configENS1_35radix_sort_onesweep_config_selectorIfNS0_10empty_typeEEEZZNS1_29radix_sort_onesweep_iterationIS3_Lb0EPfS8_PS5_S9_mNS0_19identity_decomposerENS1_16block_id_wrapperIjLb0EEEEE10hipError_tT1_PNSt15iterator_traitsISE_E10value_typeET2_T3_PNSF_ISK_E10value_typeET4_T5_PSP_SQ_PNS1_23onesweep_lookback_stateEbbT6_jjT7_P12ihipStream_tbENKUlT_T0_SE_SJ_E_clIS8_S8_S9_S9_EEDaSX_SY_SE_SJ_EUlSX_E_NS1_11comp_targetILNS1_3genE0ELNS1_11target_archE4294967295ELNS1_3gpuE0ELNS1_3repE0EEENS1_47radix_sort_onesweep_sort_config_static_selectorELNS0_4arch9wavefront6targetE1EEEvSE_
	.p2align	8
	.type	_ZN7rocprim17ROCPRIM_400000_NS6detail17trampoline_kernelINS0_14default_configENS1_35radix_sort_onesweep_config_selectorIfNS0_10empty_typeEEEZZNS1_29radix_sort_onesweep_iterationIS3_Lb0EPfS8_PS5_S9_mNS0_19identity_decomposerENS1_16block_id_wrapperIjLb0EEEEE10hipError_tT1_PNSt15iterator_traitsISE_E10value_typeET2_T3_PNSF_ISK_E10value_typeET4_T5_PSP_SQ_PNS1_23onesweep_lookback_stateEbbT6_jjT7_P12ihipStream_tbENKUlT_T0_SE_SJ_E_clIS8_S8_S9_S9_EEDaSX_SY_SE_SJ_EUlSX_E_NS1_11comp_targetILNS1_3genE0ELNS1_11target_archE4294967295ELNS1_3gpuE0ELNS1_3repE0EEENS1_47radix_sort_onesweep_sort_config_static_selectorELNS0_4arch9wavefront6targetE1EEEvSE_,@function
_ZN7rocprim17ROCPRIM_400000_NS6detail17trampoline_kernelINS0_14default_configENS1_35radix_sort_onesweep_config_selectorIfNS0_10empty_typeEEEZZNS1_29radix_sort_onesweep_iterationIS3_Lb0EPfS8_PS5_S9_mNS0_19identity_decomposerENS1_16block_id_wrapperIjLb0EEEEE10hipError_tT1_PNSt15iterator_traitsISE_E10value_typeET2_T3_PNSF_ISK_E10value_typeET4_T5_PSP_SQ_PNS1_23onesweep_lookback_stateEbbT6_jjT7_P12ihipStream_tbENKUlT_T0_SE_SJ_E_clIS8_S8_S9_S9_EEDaSX_SY_SE_SJ_EUlSX_E_NS1_11comp_targetILNS1_3genE0ELNS1_11target_archE4294967295ELNS1_3gpuE0ELNS1_3repE0EEENS1_47radix_sort_onesweep_sort_config_static_selectorELNS0_4arch9wavefront6targetE1EEEvSE_: ; @_ZN7rocprim17ROCPRIM_400000_NS6detail17trampoline_kernelINS0_14default_configENS1_35radix_sort_onesweep_config_selectorIfNS0_10empty_typeEEEZZNS1_29radix_sort_onesweep_iterationIS3_Lb0EPfS8_PS5_S9_mNS0_19identity_decomposerENS1_16block_id_wrapperIjLb0EEEEE10hipError_tT1_PNSt15iterator_traitsISE_E10value_typeET2_T3_PNSF_ISK_E10value_typeET4_T5_PSP_SQ_PNS1_23onesweep_lookback_stateEbbT6_jjT7_P12ihipStream_tbENKUlT_T0_SE_SJ_E_clIS8_S8_S9_S9_EEDaSX_SY_SE_SJ_EUlSX_E_NS1_11comp_targetILNS1_3genE0ELNS1_11target_archE4294967295ELNS1_3gpuE0ELNS1_3repE0EEENS1_47radix_sort_onesweep_sort_config_static_selectorELNS0_4arch9wavefront6targetE1EEEvSE_
; %bb.0:
	.section	.rodata,"a",@progbits
	.p2align	6, 0x0
	.amdhsa_kernel _ZN7rocprim17ROCPRIM_400000_NS6detail17trampoline_kernelINS0_14default_configENS1_35radix_sort_onesweep_config_selectorIfNS0_10empty_typeEEEZZNS1_29radix_sort_onesweep_iterationIS3_Lb0EPfS8_PS5_S9_mNS0_19identity_decomposerENS1_16block_id_wrapperIjLb0EEEEE10hipError_tT1_PNSt15iterator_traitsISE_E10value_typeET2_T3_PNSF_ISK_E10value_typeET4_T5_PSP_SQ_PNS1_23onesweep_lookback_stateEbbT6_jjT7_P12ihipStream_tbENKUlT_T0_SE_SJ_E_clIS8_S8_S9_S9_EEDaSX_SY_SE_SJ_EUlSX_E_NS1_11comp_targetILNS1_3genE0ELNS1_11target_archE4294967295ELNS1_3gpuE0ELNS1_3repE0EEENS1_47radix_sort_onesweep_sort_config_static_selectorELNS0_4arch9wavefront6targetE1EEEvSE_
		.amdhsa_group_segment_fixed_size 0
		.amdhsa_private_segment_fixed_size 0
		.amdhsa_kernarg_size 88
		.amdhsa_user_sgpr_count 6
		.amdhsa_user_sgpr_private_segment_buffer 1
		.amdhsa_user_sgpr_dispatch_ptr 0
		.amdhsa_user_sgpr_queue_ptr 0
		.amdhsa_user_sgpr_kernarg_segment_ptr 1
		.amdhsa_user_sgpr_dispatch_id 0
		.amdhsa_user_sgpr_flat_scratch_init 0
		.amdhsa_user_sgpr_kernarg_preload_length 0
		.amdhsa_user_sgpr_kernarg_preload_offset 0
		.amdhsa_user_sgpr_private_segment_size 0
		.amdhsa_uses_dynamic_stack 0
		.amdhsa_system_sgpr_private_segment_wavefront_offset 0
		.amdhsa_system_sgpr_workgroup_id_x 1
		.amdhsa_system_sgpr_workgroup_id_y 0
		.amdhsa_system_sgpr_workgroup_id_z 0
		.amdhsa_system_sgpr_workgroup_info 0
		.amdhsa_system_vgpr_workitem_id 0
		.amdhsa_next_free_vgpr 1
		.amdhsa_next_free_sgpr 0
		.amdhsa_accum_offset 4
		.amdhsa_reserve_vcc 0
		.amdhsa_reserve_flat_scratch 0
		.amdhsa_float_round_mode_32 0
		.amdhsa_float_round_mode_16_64 0
		.amdhsa_float_denorm_mode_32 3
		.amdhsa_float_denorm_mode_16_64 3
		.amdhsa_dx10_clamp 1
		.amdhsa_ieee_mode 1
		.amdhsa_fp16_overflow 0
		.amdhsa_tg_split 0
		.amdhsa_exception_fp_ieee_invalid_op 0
		.amdhsa_exception_fp_denorm_src 0
		.amdhsa_exception_fp_ieee_div_zero 0
		.amdhsa_exception_fp_ieee_overflow 0
		.amdhsa_exception_fp_ieee_underflow 0
		.amdhsa_exception_fp_ieee_inexact 0
		.amdhsa_exception_int_div_zero 0
	.end_amdhsa_kernel
	.section	.text._ZN7rocprim17ROCPRIM_400000_NS6detail17trampoline_kernelINS0_14default_configENS1_35radix_sort_onesweep_config_selectorIfNS0_10empty_typeEEEZZNS1_29radix_sort_onesweep_iterationIS3_Lb0EPfS8_PS5_S9_mNS0_19identity_decomposerENS1_16block_id_wrapperIjLb0EEEEE10hipError_tT1_PNSt15iterator_traitsISE_E10value_typeET2_T3_PNSF_ISK_E10value_typeET4_T5_PSP_SQ_PNS1_23onesweep_lookback_stateEbbT6_jjT7_P12ihipStream_tbENKUlT_T0_SE_SJ_E_clIS8_S8_S9_S9_EEDaSX_SY_SE_SJ_EUlSX_E_NS1_11comp_targetILNS1_3genE0ELNS1_11target_archE4294967295ELNS1_3gpuE0ELNS1_3repE0EEENS1_47radix_sort_onesweep_sort_config_static_selectorELNS0_4arch9wavefront6targetE1EEEvSE_,"axG",@progbits,_ZN7rocprim17ROCPRIM_400000_NS6detail17trampoline_kernelINS0_14default_configENS1_35radix_sort_onesweep_config_selectorIfNS0_10empty_typeEEEZZNS1_29radix_sort_onesweep_iterationIS3_Lb0EPfS8_PS5_S9_mNS0_19identity_decomposerENS1_16block_id_wrapperIjLb0EEEEE10hipError_tT1_PNSt15iterator_traitsISE_E10value_typeET2_T3_PNSF_ISK_E10value_typeET4_T5_PSP_SQ_PNS1_23onesweep_lookback_stateEbbT6_jjT7_P12ihipStream_tbENKUlT_T0_SE_SJ_E_clIS8_S8_S9_S9_EEDaSX_SY_SE_SJ_EUlSX_E_NS1_11comp_targetILNS1_3genE0ELNS1_11target_archE4294967295ELNS1_3gpuE0ELNS1_3repE0EEENS1_47radix_sort_onesweep_sort_config_static_selectorELNS0_4arch9wavefront6targetE1EEEvSE_,comdat
.Lfunc_end1295:
	.size	_ZN7rocprim17ROCPRIM_400000_NS6detail17trampoline_kernelINS0_14default_configENS1_35radix_sort_onesweep_config_selectorIfNS0_10empty_typeEEEZZNS1_29radix_sort_onesweep_iterationIS3_Lb0EPfS8_PS5_S9_mNS0_19identity_decomposerENS1_16block_id_wrapperIjLb0EEEEE10hipError_tT1_PNSt15iterator_traitsISE_E10value_typeET2_T3_PNSF_ISK_E10value_typeET4_T5_PSP_SQ_PNS1_23onesweep_lookback_stateEbbT6_jjT7_P12ihipStream_tbENKUlT_T0_SE_SJ_E_clIS8_S8_S9_S9_EEDaSX_SY_SE_SJ_EUlSX_E_NS1_11comp_targetILNS1_3genE0ELNS1_11target_archE4294967295ELNS1_3gpuE0ELNS1_3repE0EEENS1_47radix_sort_onesweep_sort_config_static_selectorELNS0_4arch9wavefront6targetE1EEEvSE_, .Lfunc_end1295-_ZN7rocprim17ROCPRIM_400000_NS6detail17trampoline_kernelINS0_14default_configENS1_35radix_sort_onesweep_config_selectorIfNS0_10empty_typeEEEZZNS1_29radix_sort_onesweep_iterationIS3_Lb0EPfS8_PS5_S9_mNS0_19identity_decomposerENS1_16block_id_wrapperIjLb0EEEEE10hipError_tT1_PNSt15iterator_traitsISE_E10value_typeET2_T3_PNSF_ISK_E10value_typeET4_T5_PSP_SQ_PNS1_23onesweep_lookback_stateEbbT6_jjT7_P12ihipStream_tbENKUlT_T0_SE_SJ_E_clIS8_S8_S9_S9_EEDaSX_SY_SE_SJ_EUlSX_E_NS1_11comp_targetILNS1_3genE0ELNS1_11target_archE4294967295ELNS1_3gpuE0ELNS1_3repE0EEENS1_47radix_sort_onesweep_sort_config_static_selectorELNS0_4arch9wavefront6targetE1EEEvSE_
                                        ; -- End function
	.section	.AMDGPU.csdata,"",@progbits
; Kernel info:
; codeLenInByte = 0
; NumSgprs: 4
; NumVgprs: 0
; NumAgprs: 0
; TotalNumVgprs: 0
; ScratchSize: 0
; MemoryBound: 0
; FloatMode: 240
; IeeeMode: 1
; LDSByteSize: 0 bytes/workgroup (compile time only)
; SGPRBlocks: 0
; VGPRBlocks: 0
; NumSGPRsForWavesPerEU: 4
; NumVGPRsForWavesPerEU: 1
; AccumOffset: 4
; Occupancy: 8
; WaveLimiterHint : 0
; COMPUTE_PGM_RSRC2:SCRATCH_EN: 0
; COMPUTE_PGM_RSRC2:USER_SGPR: 6
; COMPUTE_PGM_RSRC2:TRAP_HANDLER: 0
; COMPUTE_PGM_RSRC2:TGID_X_EN: 1
; COMPUTE_PGM_RSRC2:TGID_Y_EN: 0
; COMPUTE_PGM_RSRC2:TGID_Z_EN: 0
; COMPUTE_PGM_RSRC2:TIDIG_COMP_CNT: 0
; COMPUTE_PGM_RSRC3_GFX90A:ACCUM_OFFSET: 0
; COMPUTE_PGM_RSRC3_GFX90A:TG_SPLIT: 0
	.section	.text._ZN7rocprim17ROCPRIM_400000_NS6detail17trampoline_kernelINS0_14default_configENS1_35radix_sort_onesweep_config_selectorIfNS0_10empty_typeEEEZZNS1_29radix_sort_onesweep_iterationIS3_Lb0EPfS8_PS5_S9_mNS0_19identity_decomposerENS1_16block_id_wrapperIjLb0EEEEE10hipError_tT1_PNSt15iterator_traitsISE_E10value_typeET2_T3_PNSF_ISK_E10value_typeET4_T5_PSP_SQ_PNS1_23onesweep_lookback_stateEbbT6_jjT7_P12ihipStream_tbENKUlT_T0_SE_SJ_E_clIS8_S8_S9_S9_EEDaSX_SY_SE_SJ_EUlSX_E_NS1_11comp_targetILNS1_3genE6ELNS1_11target_archE950ELNS1_3gpuE13ELNS1_3repE0EEENS1_47radix_sort_onesweep_sort_config_static_selectorELNS0_4arch9wavefront6targetE1EEEvSE_,"axG",@progbits,_ZN7rocprim17ROCPRIM_400000_NS6detail17trampoline_kernelINS0_14default_configENS1_35radix_sort_onesweep_config_selectorIfNS0_10empty_typeEEEZZNS1_29radix_sort_onesweep_iterationIS3_Lb0EPfS8_PS5_S9_mNS0_19identity_decomposerENS1_16block_id_wrapperIjLb0EEEEE10hipError_tT1_PNSt15iterator_traitsISE_E10value_typeET2_T3_PNSF_ISK_E10value_typeET4_T5_PSP_SQ_PNS1_23onesweep_lookback_stateEbbT6_jjT7_P12ihipStream_tbENKUlT_T0_SE_SJ_E_clIS8_S8_S9_S9_EEDaSX_SY_SE_SJ_EUlSX_E_NS1_11comp_targetILNS1_3genE6ELNS1_11target_archE950ELNS1_3gpuE13ELNS1_3repE0EEENS1_47radix_sort_onesweep_sort_config_static_selectorELNS0_4arch9wavefront6targetE1EEEvSE_,comdat
	.protected	_ZN7rocprim17ROCPRIM_400000_NS6detail17trampoline_kernelINS0_14default_configENS1_35radix_sort_onesweep_config_selectorIfNS0_10empty_typeEEEZZNS1_29radix_sort_onesweep_iterationIS3_Lb0EPfS8_PS5_S9_mNS0_19identity_decomposerENS1_16block_id_wrapperIjLb0EEEEE10hipError_tT1_PNSt15iterator_traitsISE_E10value_typeET2_T3_PNSF_ISK_E10value_typeET4_T5_PSP_SQ_PNS1_23onesweep_lookback_stateEbbT6_jjT7_P12ihipStream_tbENKUlT_T0_SE_SJ_E_clIS8_S8_S9_S9_EEDaSX_SY_SE_SJ_EUlSX_E_NS1_11comp_targetILNS1_3genE6ELNS1_11target_archE950ELNS1_3gpuE13ELNS1_3repE0EEENS1_47radix_sort_onesweep_sort_config_static_selectorELNS0_4arch9wavefront6targetE1EEEvSE_ ; -- Begin function _ZN7rocprim17ROCPRIM_400000_NS6detail17trampoline_kernelINS0_14default_configENS1_35radix_sort_onesweep_config_selectorIfNS0_10empty_typeEEEZZNS1_29radix_sort_onesweep_iterationIS3_Lb0EPfS8_PS5_S9_mNS0_19identity_decomposerENS1_16block_id_wrapperIjLb0EEEEE10hipError_tT1_PNSt15iterator_traitsISE_E10value_typeET2_T3_PNSF_ISK_E10value_typeET4_T5_PSP_SQ_PNS1_23onesweep_lookback_stateEbbT6_jjT7_P12ihipStream_tbENKUlT_T0_SE_SJ_E_clIS8_S8_S9_S9_EEDaSX_SY_SE_SJ_EUlSX_E_NS1_11comp_targetILNS1_3genE6ELNS1_11target_archE950ELNS1_3gpuE13ELNS1_3repE0EEENS1_47radix_sort_onesweep_sort_config_static_selectorELNS0_4arch9wavefront6targetE1EEEvSE_
	.globl	_ZN7rocprim17ROCPRIM_400000_NS6detail17trampoline_kernelINS0_14default_configENS1_35radix_sort_onesweep_config_selectorIfNS0_10empty_typeEEEZZNS1_29radix_sort_onesweep_iterationIS3_Lb0EPfS8_PS5_S9_mNS0_19identity_decomposerENS1_16block_id_wrapperIjLb0EEEEE10hipError_tT1_PNSt15iterator_traitsISE_E10value_typeET2_T3_PNSF_ISK_E10value_typeET4_T5_PSP_SQ_PNS1_23onesweep_lookback_stateEbbT6_jjT7_P12ihipStream_tbENKUlT_T0_SE_SJ_E_clIS8_S8_S9_S9_EEDaSX_SY_SE_SJ_EUlSX_E_NS1_11comp_targetILNS1_3genE6ELNS1_11target_archE950ELNS1_3gpuE13ELNS1_3repE0EEENS1_47radix_sort_onesweep_sort_config_static_selectorELNS0_4arch9wavefront6targetE1EEEvSE_
	.p2align	8
	.type	_ZN7rocprim17ROCPRIM_400000_NS6detail17trampoline_kernelINS0_14default_configENS1_35radix_sort_onesweep_config_selectorIfNS0_10empty_typeEEEZZNS1_29radix_sort_onesweep_iterationIS3_Lb0EPfS8_PS5_S9_mNS0_19identity_decomposerENS1_16block_id_wrapperIjLb0EEEEE10hipError_tT1_PNSt15iterator_traitsISE_E10value_typeET2_T3_PNSF_ISK_E10value_typeET4_T5_PSP_SQ_PNS1_23onesweep_lookback_stateEbbT6_jjT7_P12ihipStream_tbENKUlT_T0_SE_SJ_E_clIS8_S8_S9_S9_EEDaSX_SY_SE_SJ_EUlSX_E_NS1_11comp_targetILNS1_3genE6ELNS1_11target_archE950ELNS1_3gpuE13ELNS1_3repE0EEENS1_47radix_sort_onesweep_sort_config_static_selectorELNS0_4arch9wavefront6targetE1EEEvSE_,@function
_ZN7rocprim17ROCPRIM_400000_NS6detail17trampoline_kernelINS0_14default_configENS1_35radix_sort_onesweep_config_selectorIfNS0_10empty_typeEEEZZNS1_29radix_sort_onesweep_iterationIS3_Lb0EPfS8_PS5_S9_mNS0_19identity_decomposerENS1_16block_id_wrapperIjLb0EEEEE10hipError_tT1_PNSt15iterator_traitsISE_E10value_typeET2_T3_PNSF_ISK_E10value_typeET4_T5_PSP_SQ_PNS1_23onesweep_lookback_stateEbbT6_jjT7_P12ihipStream_tbENKUlT_T0_SE_SJ_E_clIS8_S8_S9_S9_EEDaSX_SY_SE_SJ_EUlSX_E_NS1_11comp_targetILNS1_3genE6ELNS1_11target_archE950ELNS1_3gpuE13ELNS1_3repE0EEENS1_47radix_sort_onesweep_sort_config_static_selectorELNS0_4arch9wavefront6targetE1EEEvSE_: ; @_ZN7rocprim17ROCPRIM_400000_NS6detail17trampoline_kernelINS0_14default_configENS1_35radix_sort_onesweep_config_selectorIfNS0_10empty_typeEEEZZNS1_29radix_sort_onesweep_iterationIS3_Lb0EPfS8_PS5_S9_mNS0_19identity_decomposerENS1_16block_id_wrapperIjLb0EEEEE10hipError_tT1_PNSt15iterator_traitsISE_E10value_typeET2_T3_PNSF_ISK_E10value_typeET4_T5_PSP_SQ_PNS1_23onesweep_lookback_stateEbbT6_jjT7_P12ihipStream_tbENKUlT_T0_SE_SJ_E_clIS8_S8_S9_S9_EEDaSX_SY_SE_SJ_EUlSX_E_NS1_11comp_targetILNS1_3genE6ELNS1_11target_archE950ELNS1_3gpuE13ELNS1_3repE0EEENS1_47radix_sort_onesweep_sort_config_static_selectorELNS0_4arch9wavefront6targetE1EEEvSE_
; %bb.0:
	.section	.rodata,"a",@progbits
	.p2align	6, 0x0
	.amdhsa_kernel _ZN7rocprim17ROCPRIM_400000_NS6detail17trampoline_kernelINS0_14default_configENS1_35radix_sort_onesweep_config_selectorIfNS0_10empty_typeEEEZZNS1_29radix_sort_onesweep_iterationIS3_Lb0EPfS8_PS5_S9_mNS0_19identity_decomposerENS1_16block_id_wrapperIjLb0EEEEE10hipError_tT1_PNSt15iterator_traitsISE_E10value_typeET2_T3_PNSF_ISK_E10value_typeET4_T5_PSP_SQ_PNS1_23onesweep_lookback_stateEbbT6_jjT7_P12ihipStream_tbENKUlT_T0_SE_SJ_E_clIS8_S8_S9_S9_EEDaSX_SY_SE_SJ_EUlSX_E_NS1_11comp_targetILNS1_3genE6ELNS1_11target_archE950ELNS1_3gpuE13ELNS1_3repE0EEENS1_47radix_sort_onesweep_sort_config_static_selectorELNS0_4arch9wavefront6targetE1EEEvSE_
		.amdhsa_group_segment_fixed_size 0
		.amdhsa_private_segment_fixed_size 0
		.amdhsa_kernarg_size 88
		.amdhsa_user_sgpr_count 6
		.amdhsa_user_sgpr_private_segment_buffer 1
		.amdhsa_user_sgpr_dispatch_ptr 0
		.amdhsa_user_sgpr_queue_ptr 0
		.amdhsa_user_sgpr_kernarg_segment_ptr 1
		.amdhsa_user_sgpr_dispatch_id 0
		.amdhsa_user_sgpr_flat_scratch_init 0
		.amdhsa_user_sgpr_kernarg_preload_length 0
		.amdhsa_user_sgpr_kernarg_preload_offset 0
		.amdhsa_user_sgpr_private_segment_size 0
		.amdhsa_uses_dynamic_stack 0
		.amdhsa_system_sgpr_private_segment_wavefront_offset 0
		.amdhsa_system_sgpr_workgroup_id_x 1
		.amdhsa_system_sgpr_workgroup_id_y 0
		.amdhsa_system_sgpr_workgroup_id_z 0
		.amdhsa_system_sgpr_workgroup_info 0
		.amdhsa_system_vgpr_workitem_id 0
		.amdhsa_next_free_vgpr 1
		.amdhsa_next_free_sgpr 0
		.amdhsa_accum_offset 4
		.amdhsa_reserve_vcc 0
		.amdhsa_reserve_flat_scratch 0
		.amdhsa_float_round_mode_32 0
		.amdhsa_float_round_mode_16_64 0
		.amdhsa_float_denorm_mode_32 3
		.amdhsa_float_denorm_mode_16_64 3
		.amdhsa_dx10_clamp 1
		.amdhsa_ieee_mode 1
		.amdhsa_fp16_overflow 0
		.amdhsa_tg_split 0
		.amdhsa_exception_fp_ieee_invalid_op 0
		.amdhsa_exception_fp_denorm_src 0
		.amdhsa_exception_fp_ieee_div_zero 0
		.amdhsa_exception_fp_ieee_overflow 0
		.amdhsa_exception_fp_ieee_underflow 0
		.amdhsa_exception_fp_ieee_inexact 0
		.amdhsa_exception_int_div_zero 0
	.end_amdhsa_kernel
	.section	.text._ZN7rocprim17ROCPRIM_400000_NS6detail17trampoline_kernelINS0_14default_configENS1_35radix_sort_onesweep_config_selectorIfNS0_10empty_typeEEEZZNS1_29radix_sort_onesweep_iterationIS3_Lb0EPfS8_PS5_S9_mNS0_19identity_decomposerENS1_16block_id_wrapperIjLb0EEEEE10hipError_tT1_PNSt15iterator_traitsISE_E10value_typeET2_T3_PNSF_ISK_E10value_typeET4_T5_PSP_SQ_PNS1_23onesweep_lookback_stateEbbT6_jjT7_P12ihipStream_tbENKUlT_T0_SE_SJ_E_clIS8_S8_S9_S9_EEDaSX_SY_SE_SJ_EUlSX_E_NS1_11comp_targetILNS1_3genE6ELNS1_11target_archE950ELNS1_3gpuE13ELNS1_3repE0EEENS1_47radix_sort_onesweep_sort_config_static_selectorELNS0_4arch9wavefront6targetE1EEEvSE_,"axG",@progbits,_ZN7rocprim17ROCPRIM_400000_NS6detail17trampoline_kernelINS0_14default_configENS1_35radix_sort_onesweep_config_selectorIfNS0_10empty_typeEEEZZNS1_29radix_sort_onesweep_iterationIS3_Lb0EPfS8_PS5_S9_mNS0_19identity_decomposerENS1_16block_id_wrapperIjLb0EEEEE10hipError_tT1_PNSt15iterator_traitsISE_E10value_typeET2_T3_PNSF_ISK_E10value_typeET4_T5_PSP_SQ_PNS1_23onesweep_lookback_stateEbbT6_jjT7_P12ihipStream_tbENKUlT_T0_SE_SJ_E_clIS8_S8_S9_S9_EEDaSX_SY_SE_SJ_EUlSX_E_NS1_11comp_targetILNS1_3genE6ELNS1_11target_archE950ELNS1_3gpuE13ELNS1_3repE0EEENS1_47radix_sort_onesweep_sort_config_static_selectorELNS0_4arch9wavefront6targetE1EEEvSE_,comdat
.Lfunc_end1296:
	.size	_ZN7rocprim17ROCPRIM_400000_NS6detail17trampoline_kernelINS0_14default_configENS1_35radix_sort_onesweep_config_selectorIfNS0_10empty_typeEEEZZNS1_29radix_sort_onesweep_iterationIS3_Lb0EPfS8_PS5_S9_mNS0_19identity_decomposerENS1_16block_id_wrapperIjLb0EEEEE10hipError_tT1_PNSt15iterator_traitsISE_E10value_typeET2_T3_PNSF_ISK_E10value_typeET4_T5_PSP_SQ_PNS1_23onesweep_lookback_stateEbbT6_jjT7_P12ihipStream_tbENKUlT_T0_SE_SJ_E_clIS8_S8_S9_S9_EEDaSX_SY_SE_SJ_EUlSX_E_NS1_11comp_targetILNS1_3genE6ELNS1_11target_archE950ELNS1_3gpuE13ELNS1_3repE0EEENS1_47radix_sort_onesweep_sort_config_static_selectorELNS0_4arch9wavefront6targetE1EEEvSE_, .Lfunc_end1296-_ZN7rocprim17ROCPRIM_400000_NS6detail17trampoline_kernelINS0_14default_configENS1_35radix_sort_onesweep_config_selectorIfNS0_10empty_typeEEEZZNS1_29radix_sort_onesweep_iterationIS3_Lb0EPfS8_PS5_S9_mNS0_19identity_decomposerENS1_16block_id_wrapperIjLb0EEEEE10hipError_tT1_PNSt15iterator_traitsISE_E10value_typeET2_T3_PNSF_ISK_E10value_typeET4_T5_PSP_SQ_PNS1_23onesweep_lookback_stateEbbT6_jjT7_P12ihipStream_tbENKUlT_T0_SE_SJ_E_clIS8_S8_S9_S9_EEDaSX_SY_SE_SJ_EUlSX_E_NS1_11comp_targetILNS1_3genE6ELNS1_11target_archE950ELNS1_3gpuE13ELNS1_3repE0EEENS1_47radix_sort_onesweep_sort_config_static_selectorELNS0_4arch9wavefront6targetE1EEEvSE_
                                        ; -- End function
	.section	.AMDGPU.csdata,"",@progbits
; Kernel info:
; codeLenInByte = 0
; NumSgprs: 4
; NumVgprs: 0
; NumAgprs: 0
; TotalNumVgprs: 0
; ScratchSize: 0
; MemoryBound: 0
; FloatMode: 240
; IeeeMode: 1
; LDSByteSize: 0 bytes/workgroup (compile time only)
; SGPRBlocks: 0
; VGPRBlocks: 0
; NumSGPRsForWavesPerEU: 4
; NumVGPRsForWavesPerEU: 1
; AccumOffset: 4
; Occupancy: 8
; WaveLimiterHint : 0
; COMPUTE_PGM_RSRC2:SCRATCH_EN: 0
; COMPUTE_PGM_RSRC2:USER_SGPR: 6
; COMPUTE_PGM_RSRC2:TRAP_HANDLER: 0
; COMPUTE_PGM_RSRC2:TGID_X_EN: 1
; COMPUTE_PGM_RSRC2:TGID_Y_EN: 0
; COMPUTE_PGM_RSRC2:TGID_Z_EN: 0
; COMPUTE_PGM_RSRC2:TIDIG_COMP_CNT: 0
; COMPUTE_PGM_RSRC3_GFX90A:ACCUM_OFFSET: 0
; COMPUTE_PGM_RSRC3_GFX90A:TG_SPLIT: 0
	.section	.text._ZN7rocprim17ROCPRIM_400000_NS6detail17trampoline_kernelINS0_14default_configENS1_35radix_sort_onesweep_config_selectorIfNS0_10empty_typeEEEZZNS1_29radix_sort_onesweep_iterationIS3_Lb0EPfS8_PS5_S9_mNS0_19identity_decomposerENS1_16block_id_wrapperIjLb0EEEEE10hipError_tT1_PNSt15iterator_traitsISE_E10value_typeET2_T3_PNSF_ISK_E10value_typeET4_T5_PSP_SQ_PNS1_23onesweep_lookback_stateEbbT6_jjT7_P12ihipStream_tbENKUlT_T0_SE_SJ_E_clIS8_S8_S9_S9_EEDaSX_SY_SE_SJ_EUlSX_E_NS1_11comp_targetILNS1_3genE5ELNS1_11target_archE942ELNS1_3gpuE9ELNS1_3repE0EEENS1_47radix_sort_onesweep_sort_config_static_selectorELNS0_4arch9wavefront6targetE1EEEvSE_,"axG",@progbits,_ZN7rocprim17ROCPRIM_400000_NS6detail17trampoline_kernelINS0_14default_configENS1_35radix_sort_onesweep_config_selectorIfNS0_10empty_typeEEEZZNS1_29radix_sort_onesweep_iterationIS3_Lb0EPfS8_PS5_S9_mNS0_19identity_decomposerENS1_16block_id_wrapperIjLb0EEEEE10hipError_tT1_PNSt15iterator_traitsISE_E10value_typeET2_T3_PNSF_ISK_E10value_typeET4_T5_PSP_SQ_PNS1_23onesweep_lookback_stateEbbT6_jjT7_P12ihipStream_tbENKUlT_T0_SE_SJ_E_clIS8_S8_S9_S9_EEDaSX_SY_SE_SJ_EUlSX_E_NS1_11comp_targetILNS1_3genE5ELNS1_11target_archE942ELNS1_3gpuE9ELNS1_3repE0EEENS1_47radix_sort_onesweep_sort_config_static_selectorELNS0_4arch9wavefront6targetE1EEEvSE_,comdat
	.protected	_ZN7rocprim17ROCPRIM_400000_NS6detail17trampoline_kernelINS0_14default_configENS1_35radix_sort_onesweep_config_selectorIfNS0_10empty_typeEEEZZNS1_29radix_sort_onesweep_iterationIS3_Lb0EPfS8_PS5_S9_mNS0_19identity_decomposerENS1_16block_id_wrapperIjLb0EEEEE10hipError_tT1_PNSt15iterator_traitsISE_E10value_typeET2_T3_PNSF_ISK_E10value_typeET4_T5_PSP_SQ_PNS1_23onesweep_lookback_stateEbbT6_jjT7_P12ihipStream_tbENKUlT_T0_SE_SJ_E_clIS8_S8_S9_S9_EEDaSX_SY_SE_SJ_EUlSX_E_NS1_11comp_targetILNS1_3genE5ELNS1_11target_archE942ELNS1_3gpuE9ELNS1_3repE0EEENS1_47radix_sort_onesweep_sort_config_static_selectorELNS0_4arch9wavefront6targetE1EEEvSE_ ; -- Begin function _ZN7rocprim17ROCPRIM_400000_NS6detail17trampoline_kernelINS0_14default_configENS1_35radix_sort_onesweep_config_selectorIfNS0_10empty_typeEEEZZNS1_29radix_sort_onesweep_iterationIS3_Lb0EPfS8_PS5_S9_mNS0_19identity_decomposerENS1_16block_id_wrapperIjLb0EEEEE10hipError_tT1_PNSt15iterator_traitsISE_E10value_typeET2_T3_PNSF_ISK_E10value_typeET4_T5_PSP_SQ_PNS1_23onesweep_lookback_stateEbbT6_jjT7_P12ihipStream_tbENKUlT_T0_SE_SJ_E_clIS8_S8_S9_S9_EEDaSX_SY_SE_SJ_EUlSX_E_NS1_11comp_targetILNS1_3genE5ELNS1_11target_archE942ELNS1_3gpuE9ELNS1_3repE0EEENS1_47radix_sort_onesweep_sort_config_static_selectorELNS0_4arch9wavefront6targetE1EEEvSE_
	.globl	_ZN7rocprim17ROCPRIM_400000_NS6detail17trampoline_kernelINS0_14default_configENS1_35radix_sort_onesweep_config_selectorIfNS0_10empty_typeEEEZZNS1_29radix_sort_onesweep_iterationIS3_Lb0EPfS8_PS5_S9_mNS0_19identity_decomposerENS1_16block_id_wrapperIjLb0EEEEE10hipError_tT1_PNSt15iterator_traitsISE_E10value_typeET2_T3_PNSF_ISK_E10value_typeET4_T5_PSP_SQ_PNS1_23onesweep_lookback_stateEbbT6_jjT7_P12ihipStream_tbENKUlT_T0_SE_SJ_E_clIS8_S8_S9_S9_EEDaSX_SY_SE_SJ_EUlSX_E_NS1_11comp_targetILNS1_3genE5ELNS1_11target_archE942ELNS1_3gpuE9ELNS1_3repE0EEENS1_47radix_sort_onesweep_sort_config_static_selectorELNS0_4arch9wavefront6targetE1EEEvSE_
	.p2align	8
	.type	_ZN7rocprim17ROCPRIM_400000_NS6detail17trampoline_kernelINS0_14default_configENS1_35radix_sort_onesweep_config_selectorIfNS0_10empty_typeEEEZZNS1_29radix_sort_onesweep_iterationIS3_Lb0EPfS8_PS5_S9_mNS0_19identity_decomposerENS1_16block_id_wrapperIjLb0EEEEE10hipError_tT1_PNSt15iterator_traitsISE_E10value_typeET2_T3_PNSF_ISK_E10value_typeET4_T5_PSP_SQ_PNS1_23onesweep_lookback_stateEbbT6_jjT7_P12ihipStream_tbENKUlT_T0_SE_SJ_E_clIS8_S8_S9_S9_EEDaSX_SY_SE_SJ_EUlSX_E_NS1_11comp_targetILNS1_3genE5ELNS1_11target_archE942ELNS1_3gpuE9ELNS1_3repE0EEENS1_47radix_sort_onesweep_sort_config_static_selectorELNS0_4arch9wavefront6targetE1EEEvSE_,@function
_ZN7rocprim17ROCPRIM_400000_NS6detail17trampoline_kernelINS0_14default_configENS1_35radix_sort_onesweep_config_selectorIfNS0_10empty_typeEEEZZNS1_29radix_sort_onesweep_iterationIS3_Lb0EPfS8_PS5_S9_mNS0_19identity_decomposerENS1_16block_id_wrapperIjLb0EEEEE10hipError_tT1_PNSt15iterator_traitsISE_E10value_typeET2_T3_PNSF_ISK_E10value_typeET4_T5_PSP_SQ_PNS1_23onesweep_lookback_stateEbbT6_jjT7_P12ihipStream_tbENKUlT_T0_SE_SJ_E_clIS8_S8_S9_S9_EEDaSX_SY_SE_SJ_EUlSX_E_NS1_11comp_targetILNS1_3genE5ELNS1_11target_archE942ELNS1_3gpuE9ELNS1_3repE0EEENS1_47radix_sort_onesweep_sort_config_static_selectorELNS0_4arch9wavefront6targetE1EEEvSE_: ; @_ZN7rocprim17ROCPRIM_400000_NS6detail17trampoline_kernelINS0_14default_configENS1_35radix_sort_onesweep_config_selectorIfNS0_10empty_typeEEEZZNS1_29radix_sort_onesweep_iterationIS3_Lb0EPfS8_PS5_S9_mNS0_19identity_decomposerENS1_16block_id_wrapperIjLb0EEEEE10hipError_tT1_PNSt15iterator_traitsISE_E10value_typeET2_T3_PNSF_ISK_E10value_typeET4_T5_PSP_SQ_PNS1_23onesweep_lookback_stateEbbT6_jjT7_P12ihipStream_tbENKUlT_T0_SE_SJ_E_clIS8_S8_S9_S9_EEDaSX_SY_SE_SJ_EUlSX_E_NS1_11comp_targetILNS1_3genE5ELNS1_11target_archE942ELNS1_3gpuE9ELNS1_3repE0EEENS1_47radix_sort_onesweep_sort_config_static_selectorELNS0_4arch9wavefront6targetE1EEEvSE_
; %bb.0:
	.section	.rodata,"a",@progbits
	.p2align	6, 0x0
	.amdhsa_kernel _ZN7rocprim17ROCPRIM_400000_NS6detail17trampoline_kernelINS0_14default_configENS1_35radix_sort_onesweep_config_selectorIfNS0_10empty_typeEEEZZNS1_29radix_sort_onesweep_iterationIS3_Lb0EPfS8_PS5_S9_mNS0_19identity_decomposerENS1_16block_id_wrapperIjLb0EEEEE10hipError_tT1_PNSt15iterator_traitsISE_E10value_typeET2_T3_PNSF_ISK_E10value_typeET4_T5_PSP_SQ_PNS1_23onesweep_lookback_stateEbbT6_jjT7_P12ihipStream_tbENKUlT_T0_SE_SJ_E_clIS8_S8_S9_S9_EEDaSX_SY_SE_SJ_EUlSX_E_NS1_11comp_targetILNS1_3genE5ELNS1_11target_archE942ELNS1_3gpuE9ELNS1_3repE0EEENS1_47radix_sort_onesweep_sort_config_static_selectorELNS0_4arch9wavefront6targetE1EEEvSE_
		.amdhsa_group_segment_fixed_size 0
		.amdhsa_private_segment_fixed_size 0
		.amdhsa_kernarg_size 88
		.amdhsa_user_sgpr_count 6
		.amdhsa_user_sgpr_private_segment_buffer 1
		.amdhsa_user_sgpr_dispatch_ptr 0
		.amdhsa_user_sgpr_queue_ptr 0
		.amdhsa_user_sgpr_kernarg_segment_ptr 1
		.amdhsa_user_sgpr_dispatch_id 0
		.amdhsa_user_sgpr_flat_scratch_init 0
		.amdhsa_user_sgpr_kernarg_preload_length 0
		.amdhsa_user_sgpr_kernarg_preload_offset 0
		.amdhsa_user_sgpr_private_segment_size 0
		.amdhsa_uses_dynamic_stack 0
		.amdhsa_system_sgpr_private_segment_wavefront_offset 0
		.amdhsa_system_sgpr_workgroup_id_x 1
		.amdhsa_system_sgpr_workgroup_id_y 0
		.amdhsa_system_sgpr_workgroup_id_z 0
		.amdhsa_system_sgpr_workgroup_info 0
		.amdhsa_system_vgpr_workitem_id 0
		.amdhsa_next_free_vgpr 1
		.amdhsa_next_free_sgpr 0
		.amdhsa_accum_offset 4
		.amdhsa_reserve_vcc 0
		.amdhsa_reserve_flat_scratch 0
		.amdhsa_float_round_mode_32 0
		.amdhsa_float_round_mode_16_64 0
		.amdhsa_float_denorm_mode_32 3
		.amdhsa_float_denorm_mode_16_64 3
		.amdhsa_dx10_clamp 1
		.amdhsa_ieee_mode 1
		.amdhsa_fp16_overflow 0
		.amdhsa_tg_split 0
		.amdhsa_exception_fp_ieee_invalid_op 0
		.amdhsa_exception_fp_denorm_src 0
		.amdhsa_exception_fp_ieee_div_zero 0
		.amdhsa_exception_fp_ieee_overflow 0
		.amdhsa_exception_fp_ieee_underflow 0
		.amdhsa_exception_fp_ieee_inexact 0
		.amdhsa_exception_int_div_zero 0
	.end_amdhsa_kernel
	.section	.text._ZN7rocprim17ROCPRIM_400000_NS6detail17trampoline_kernelINS0_14default_configENS1_35radix_sort_onesweep_config_selectorIfNS0_10empty_typeEEEZZNS1_29radix_sort_onesweep_iterationIS3_Lb0EPfS8_PS5_S9_mNS0_19identity_decomposerENS1_16block_id_wrapperIjLb0EEEEE10hipError_tT1_PNSt15iterator_traitsISE_E10value_typeET2_T3_PNSF_ISK_E10value_typeET4_T5_PSP_SQ_PNS1_23onesweep_lookback_stateEbbT6_jjT7_P12ihipStream_tbENKUlT_T0_SE_SJ_E_clIS8_S8_S9_S9_EEDaSX_SY_SE_SJ_EUlSX_E_NS1_11comp_targetILNS1_3genE5ELNS1_11target_archE942ELNS1_3gpuE9ELNS1_3repE0EEENS1_47radix_sort_onesweep_sort_config_static_selectorELNS0_4arch9wavefront6targetE1EEEvSE_,"axG",@progbits,_ZN7rocprim17ROCPRIM_400000_NS6detail17trampoline_kernelINS0_14default_configENS1_35radix_sort_onesweep_config_selectorIfNS0_10empty_typeEEEZZNS1_29radix_sort_onesweep_iterationIS3_Lb0EPfS8_PS5_S9_mNS0_19identity_decomposerENS1_16block_id_wrapperIjLb0EEEEE10hipError_tT1_PNSt15iterator_traitsISE_E10value_typeET2_T3_PNSF_ISK_E10value_typeET4_T5_PSP_SQ_PNS1_23onesweep_lookback_stateEbbT6_jjT7_P12ihipStream_tbENKUlT_T0_SE_SJ_E_clIS8_S8_S9_S9_EEDaSX_SY_SE_SJ_EUlSX_E_NS1_11comp_targetILNS1_3genE5ELNS1_11target_archE942ELNS1_3gpuE9ELNS1_3repE0EEENS1_47radix_sort_onesweep_sort_config_static_selectorELNS0_4arch9wavefront6targetE1EEEvSE_,comdat
.Lfunc_end1297:
	.size	_ZN7rocprim17ROCPRIM_400000_NS6detail17trampoline_kernelINS0_14default_configENS1_35radix_sort_onesweep_config_selectorIfNS0_10empty_typeEEEZZNS1_29radix_sort_onesweep_iterationIS3_Lb0EPfS8_PS5_S9_mNS0_19identity_decomposerENS1_16block_id_wrapperIjLb0EEEEE10hipError_tT1_PNSt15iterator_traitsISE_E10value_typeET2_T3_PNSF_ISK_E10value_typeET4_T5_PSP_SQ_PNS1_23onesweep_lookback_stateEbbT6_jjT7_P12ihipStream_tbENKUlT_T0_SE_SJ_E_clIS8_S8_S9_S9_EEDaSX_SY_SE_SJ_EUlSX_E_NS1_11comp_targetILNS1_3genE5ELNS1_11target_archE942ELNS1_3gpuE9ELNS1_3repE0EEENS1_47radix_sort_onesweep_sort_config_static_selectorELNS0_4arch9wavefront6targetE1EEEvSE_, .Lfunc_end1297-_ZN7rocprim17ROCPRIM_400000_NS6detail17trampoline_kernelINS0_14default_configENS1_35radix_sort_onesweep_config_selectorIfNS0_10empty_typeEEEZZNS1_29radix_sort_onesweep_iterationIS3_Lb0EPfS8_PS5_S9_mNS0_19identity_decomposerENS1_16block_id_wrapperIjLb0EEEEE10hipError_tT1_PNSt15iterator_traitsISE_E10value_typeET2_T3_PNSF_ISK_E10value_typeET4_T5_PSP_SQ_PNS1_23onesweep_lookback_stateEbbT6_jjT7_P12ihipStream_tbENKUlT_T0_SE_SJ_E_clIS8_S8_S9_S9_EEDaSX_SY_SE_SJ_EUlSX_E_NS1_11comp_targetILNS1_3genE5ELNS1_11target_archE942ELNS1_3gpuE9ELNS1_3repE0EEENS1_47radix_sort_onesweep_sort_config_static_selectorELNS0_4arch9wavefront6targetE1EEEvSE_
                                        ; -- End function
	.section	.AMDGPU.csdata,"",@progbits
; Kernel info:
; codeLenInByte = 0
; NumSgprs: 4
; NumVgprs: 0
; NumAgprs: 0
; TotalNumVgprs: 0
; ScratchSize: 0
; MemoryBound: 0
; FloatMode: 240
; IeeeMode: 1
; LDSByteSize: 0 bytes/workgroup (compile time only)
; SGPRBlocks: 0
; VGPRBlocks: 0
; NumSGPRsForWavesPerEU: 4
; NumVGPRsForWavesPerEU: 1
; AccumOffset: 4
; Occupancy: 8
; WaveLimiterHint : 0
; COMPUTE_PGM_RSRC2:SCRATCH_EN: 0
; COMPUTE_PGM_RSRC2:USER_SGPR: 6
; COMPUTE_PGM_RSRC2:TRAP_HANDLER: 0
; COMPUTE_PGM_RSRC2:TGID_X_EN: 1
; COMPUTE_PGM_RSRC2:TGID_Y_EN: 0
; COMPUTE_PGM_RSRC2:TGID_Z_EN: 0
; COMPUTE_PGM_RSRC2:TIDIG_COMP_CNT: 0
; COMPUTE_PGM_RSRC3_GFX90A:ACCUM_OFFSET: 0
; COMPUTE_PGM_RSRC3_GFX90A:TG_SPLIT: 0
	.section	.text._ZN7rocprim17ROCPRIM_400000_NS6detail17trampoline_kernelINS0_14default_configENS1_35radix_sort_onesweep_config_selectorIfNS0_10empty_typeEEEZZNS1_29radix_sort_onesweep_iterationIS3_Lb0EPfS8_PS5_S9_mNS0_19identity_decomposerENS1_16block_id_wrapperIjLb0EEEEE10hipError_tT1_PNSt15iterator_traitsISE_E10value_typeET2_T3_PNSF_ISK_E10value_typeET4_T5_PSP_SQ_PNS1_23onesweep_lookback_stateEbbT6_jjT7_P12ihipStream_tbENKUlT_T0_SE_SJ_E_clIS8_S8_S9_S9_EEDaSX_SY_SE_SJ_EUlSX_E_NS1_11comp_targetILNS1_3genE2ELNS1_11target_archE906ELNS1_3gpuE6ELNS1_3repE0EEENS1_47radix_sort_onesweep_sort_config_static_selectorELNS0_4arch9wavefront6targetE1EEEvSE_,"axG",@progbits,_ZN7rocprim17ROCPRIM_400000_NS6detail17trampoline_kernelINS0_14default_configENS1_35radix_sort_onesweep_config_selectorIfNS0_10empty_typeEEEZZNS1_29radix_sort_onesweep_iterationIS3_Lb0EPfS8_PS5_S9_mNS0_19identity_decomposerENS1_16block_id_wrapperIjLb0EEEEE10hipError_tT1_PNSt15iterator_traitsISE_E10value_typeET2_T3_PNSF_ISK_E10value_typeET4_T5_PSP_SQ_PNS1_23onesweep_lookback_stateEbbT6_jjT7_P12ihipStream_tbENKUlT_T0_SE_SJ_E_clIS8_S8_S9_S9_EEDaSX_SY_SE_SJ_EUlSX_E_NS1_11comp_targetILNS1_3genE2ELNS1_11target_archE906ELNS1_3gpuE6ELNS1_3repE0EEENS1_47radix_sort_onesweep_sort_config_static_selectorELNS0_4arch9wavefront6targetE1EEEvSE_,comdat
	.protected	_ZN7rocprim17ROCPRIM_400000_NS6detail17trampoline_kernelINS0_14default_configENS1_35radix_sort_onesweep_config_selectorIfNS0_10empty_typeEEEZZNS1_29radix_sort_onesweep_iterationIS3_Lb0EPfS8_PS5_S9_mNS0_19identity_decomposerENS1_16block_id_wrapperIjLb0EEEEE10hipError_tT1_PNSt15iterator_traitsISE_E10value_typeET2_T3_PNSF_ISK_E10value_typeET4_T5_PSP_SQ_PNS1_23onesweep_lookback_stateEbbT6_jjT7_P12ihipStream_tbENKUlT_T0_SE_SJ_E_clIS8_S8_S9_S9_EEDaSX_SY_SE_SJ_EUlSX_E_NS1_11comp_targetILNS1_3genE2ELNS1_11target_archE906ELNS1_3gpuE6ELNS1_3repE0EEENS1_47radix_sort_onesweep_sort_config_static_selectorELNS0_4arch9wavefront6targetE1EEEvSE_ ; -- Begin function _ZN7rocprim17ROCPRIM_400000_NS6detail17trampoline_kernelINS0_14default_configENS1_35radix_sort_onesweep_config_selectorIfNS0_10empty_typeEEEZZNS1_29radix_sort_onesweep_iterationIS3_Lb0EPfS8_PS5_S9_mNS0_19identity_decomposerENS1_16block_id_wrapperIjLb0EEEEE10hipError_tT1_PNSt15iterator_traitsISE_E10value_typeET2_T3_PNSF_ISK_E10value_typeET4_T5_PSP_SQ_PNS1_23onesweep_lookback_stateEbbT6_jjT7_P12ihipStream_tbENKUlT_T0_SE_SJ_E_clIS8_S8_S9_S9_EEDaSX_SY_SE_SJ_EUlSX_E_NS1_11comp_targetILNS1_3genE2ELNS1_11target_archE906ELNS1_3gpuE6ELNS1_3repE0EEENS1_47radix_sort_onesweep_sort_config_static_selectorELNS0_4arch9wavefront6targetE1EEEvSE_
	.globl	_ZN7rocprim17ROCPRIM_400000_NS6detail17trampoline_kernelINS0_14default_configENS1_35radix_sort_onesweep_config_selectorIfNS0_10empty_typeEEEZZNS1_29radix_sort_onesweep_iterationIS3_Lb0EPfS8_PS5_S9_mNS0_19identity_decomposerENS1_16block_id_wrapperIjLb0EEEEE10hipError_tT1_PNSt15iterator_traitsISE_E10value_typeET2_T3_PNSF_ISK_E10value_typeET4_T5_PSP_SQ_PNS1_23onesweep_lookback_stateEbbT6_jjT7_P12ihipStream_tbENKUlT_T0_SE_SJ_E_clIS8_S8_S9_S9_EEDaSX_SY_SE_SJ_EUlSX_E_NS1_11comp_targetILNS1_3genE2ELNS1_11target_archE906ELNS1_3gpuE6ELNS1_3repE0EEENS1_47radix_sort_onesweep_sort_config_static_selectorELNS0_4arch9wavefront6targetE1EEEvSE_
	.p2align	8
	.type	_ZN7rocprim17ROCPRIM_400000_NS6detail17trampoline_kernelINS0_14default_configENS1_35radix_sort_onesweep_config_selectorIfNS0_10empty_typeEEEZZNS1_29radix_sort_onesweep_iterationIS3_Lb0EPfS8_PS5_S9_mNS0_19identity_decomposerENS1_16block_id_wrapperIjLb0EEEEE10hipError_tT1_PNSt15iterator_traitsISE_E10value_typeET2_T3_PNSF_ISK_E10value_typeET4_T5_PSP_SQ_PNS1_23onesweep_lookback_stateEbbT6_jjT7_P12ihipStream_tbENKUlT_T0_SE_SJ_E_clIS8_S8_S9_S9_EEDaSX_SY_SE_SJ_EUlSX_E_NS1_11comp_targetILNS1_3genE2ELNS1_11target_archE906ELNS1_3gpuE6ELNS1_3repE0EEENS1_47radix_sort_onesweep_sort_config_static_selectorELNS0_4arch9wavefront6targetE1EEEvSE_,@function
_ZN7rocprim17ROCPRIM_400000_NS6detail17trampoline_kernelINS0_14default_configENS1_35radix_sort_onesweep_config_selectorIfNS0_10empty_typeEEEZZNS1_29radix_sort_onesweep_iterationIS3_Lb0EPfS8_PS5_S9_mNS0_19identity_decomposerENS1_16block_id_wrapperIjLb0EEEEE10hipError_tT1_PNSt15iterator_traitsISE_E10value_typeET2_T3_PNSF_ISK_E10value_typeET4_T5_PSP_SQ_PNS1_23onesweep_lookback_stateEbbT6_jjT7_P12ihipStream_tbENKUlT_T0_SE_SJ_E_clIS8_S8_S9_S9_EEDaSX_SY_SE_SJ_EUlSX_E_NS1_11comp_targetILNS1_3genE2ELNS1_11target_archE906ELNS1_3gpuE6ELNS1_3repE0EEENS1_47radix_sort_onesweep_sort_config_static_selectorELNS0_4arch9wavefront6targetE1EEEvSE_: ; @_ZN7rocprim17ROCPRIM_400000_NS6detail17trampoline_kernelINS0_14default_configENS1_35radix_sort_onesweep_config_selectorIfNS0_10empty_typeEEEZZNS1_29radix_sort_onesweep_iterationIS3_Lb0EPfS8_PS5_S9_mNS0_19identity_decomposerENS1_16block_id_wrapperIjLb0EEEEE10hipError_tT1_PNSt15iterator_traitsISE_E10value_typeET2_T3_PNSF_ISK_E10value_typeET4_T5_PSP_SQ_PNS1_23onesweep_lookback_stateEbbT6_jjT7_P12ihipStream_tbENKUlT_T0_SE_SJ_E_clIS8_S8_S9_S9_EEDaSX_SY_SE_SJ_EUlSX_E_NS1_11comp_targetILNS1_3genE2ELNS1_11target_archE906ELNS1_3gpuE6ELNS1_3repE0EEENS1_47radix_sort_onesweep_sort_config_static_selectorELNS0_4arch9wavefront6targetE1EEEvSE_
; %bb.0:
	.section	.rodata,"a",@progbits
	.p2align	6, 0x0
	.amdhsa_kernel _ZN7rocprim17ROCPRIM_400000_NS6detail17trampoline_kernelINS0_14default_configENS1_35radix_sort_onesweep_config_selectorIfNS0_10empty_typeEEEZZNS1_29radix_sort_onesweep_iterationIS3_Lb0EPfS8_PS5_S9_mNS0_19identity_decomposerENS1_16block_id_wrapperIjLb0EEEEE10hipError_tT1_PNSt15iterator_traitsISE_E10value_typeET2_T3_PNSF_ISK_E10value_typeET4_T5_PSP_SQ_PNS1_23onesweep_lookback_stateEbbT6_jjT7_P12ihipStream_tbENKUlT_T0_SE_SJ_E_clIS8_S8_S9_S9_EEDaSX_SY_SE_SJ_EUlSX_E_NS1_11comp_targetILNS1_3genE2ELNS1_11target_archE906ELNS1_3gpuE6ELNS1_3repE0EEENS1_47radix_sort_onesweep_sort_config_static_selectorELNS0_4arch9wavefront6targetE1EEEvSE_
		.amdhsa_group_segment_fixed_size 0
		.amdhsa_private_segment_fixed_size 0
		.amdhsa_kernarg_size 88
		.amdhsa_user_sgpr_count 6
		.amdhsa_user_sgpr_private_segment_buffer 1
		.amdhsa_user_sgpr_dispatch_ptr 0
		.amdhsa_user_sgpr_queue_ptr 0
		.amdhsa_user_sgpr_kernarg_segment_ptr 1
		.amdhsa_user_sgpr_dispatch_id 0
		.amdhsa_user_sgpr_flat_scratch_init 0
		.amdhsa_user_sgpr_kernarg_preload_length 0
		.amdhsa_user_sgpr_kernarg_preload_offset 0
		.amdhsa_user_sgpr_private_segment_size 0
		.amdhsa_uses_dynamic_stack 0
		.amdhsa_system_sgpr_private_segment_wavefront_offset 0
		.amdhsa_system_sgpr_workgroup_id_x 1
		.amdhsa_system_sgpr_workgroup_id_y 0
		.amdhsa_system_sgpr_workgroup_id_z 0
		.amdhsa_system_sgpr_workgroup_info 0
		.amdhsa_system_vgpr_workitem_id 0
		.amdhsa_next_free_vgpr 1
		.amdhsa_next_free_sgpr 0
		.amdhsa_accum_offset 4
		.amdhsa_reserve_vcc 0
		.amdhsa_reserve_flat_scratch 0
		.amdhsa_float_round_mode_32 0
		.amdhsa_float_round_mode_16_64 0
		.amdhsa_float_denorm_mode_32 3
		.amdhsa_float_denorm_mode_16_64 3
		.amdhsa_dx10_clamp 1
		.amdhsa_ieee_mode 1
		.amdhsa_fp16_overflow 0
		.amdhsa_tg_split 0
		.amdhsa_exception_fp_ieee_invalid_op 0
		.amdhsa_exception_fp_denorm_src 0
		.amdhsa_exception_fp_ieee_div_zero 0
		.amdhsa_exception_fp_ieee_overflow 0
		.amdhsa_exception_fp_ieee_underflow 0
		.amdhsa_exception_fp_ieee_inexact 0
		.amdhsa_exception_int_div_zero 0
	.end_amdhsa_kernel
	.section	.text._ZN7rocprim17ROCPRIM_400000_NS6detail17trampoline_kernelINS0_14default_configENS1_35radix_sort_onesweep_config_selectorIfNS0_10empty_typeEEEZZNS1_29radix_sort_onesweep_iterationIS3_Lb0EPfS8_PS5_S9_mNS0_19identity_decomposerENS1_16block_id_wrapperIjLb0EEEEE10hipError_tT1_PNSt15iterator_traitsISE_E10value_typeET2_T3_PNSF_ISK_E10value_typeET4_T5_PSP_SQ_PNS1_23onesweep_lookback_stateEbbT6_jjT7_P12ihipStream_tbENKUlT_T0_SE_SJ_E_clIS8_S8_S9_S9_EEDaSX_SY_SE_SJ_EUlSX_E_NS1_11comp_targetILNS1_3genE2ELNS1_11target_archE906ELNS1_3gpuE6ELNS1_3repE0EEENS1_47radix_sort_onesweep_sort_config_static_selectorELNS0_4arch9wavefront6targetE1EEEvSE_,"axG",@progbits,_ZN7rocprim17ROCPRIM_400000_NS6detail17trampoline_kernelINS0_14default_configENS1_35radix_sort_onesweep_config_selectorIfNS0_10empty_typeEEEZZNS1_29radix_sort_onesweep_iterationIS3_Lb0EPfS8_PS5_S9_mNS0_19identity_decomposerENS1_16block_id_wrapperIjLb0EEEEE10hipError_tT1_PNSt15iterator_traitsISE_E10value_typeET2_T3_PNSF_ISK_E10value_typeET4_T5_PSP_SQ_PNS1_23onesweep_lookback_stateEbbT6_jjT7_P12ihipStream_tbENKUlT_T0_SE_SJ_E_clIS8_S8_S9_S9_EEDaSX_SY_SE_SJ_EUlSX_E_NS1_11comp_targetILNS1_3genE2ELNS1_11target_archE906ELNS1_3gpuE6ELNS1_3repE0EEENS1_47radix_sort_onesweep_sort_config_static_selectorELNS0_4arch9wavefront6targetE1EEEvSE_,comdat
.Lfunc_end1298:
	.size	_ZN7rocprim17ROCPRIM_400000_NS6detail17trampoline_kernelINS0_14default_configENS1_35radix_sort_onesweep_config_selectorIfNS0_10empty_typeEEEZZNS1_29radix_sort_onesweep_iterationIS3_Lb0EPfS8_PS5_S9_mNS0_19identity_decomposerENS1_16block_id_wrapperIjLb0EEEEE10hipError_tT1_PNSt15iterator_traitsISE_E10value_typeET2_T3_PNSF_ISK_E10value_typeET4_T5_PSP_SQ_PNS1_23onesweep_lookback_stateEbbT6_jjT7_P12ihipStream_tbENKUlT_T0_SE_SJ_E_clIS8_S8_S9_S9_EEDaSX_SY_SE_SJ_EUlSX_E_NS1_11comp_targetILNS1_3genE2ELNS1_11target_archE906ELNS1_3gpuE6ELNS1_3repE0EEENS1_47radix_sort_onesweep_sort_config_static_selectorELNS0_4arch9wavefront6targetE1EEEvSE_, .Lfunc_end1298-_ZN7rocprim17ROCPRIM_400000_NS6detail17trampoline_kernelINS0_14default_configENS1_35radix_sort_onesweep_config_selectorIfNS0_10empty_typeEEEZZNS1_29radix_sort_onesweep_iterationIS3_Lb0EPfS8_PS5_S9_mNS0_19identity_decomposerENS1_16block_id_wrapperIjLb0EEEEE10hipError_tT1_PNSt15iterator_traitsISE_E10value_typeET2_T3_PNSF_ISK_E10value_typeET4_T5_PSP_SQ_PNS1_23onesweep_lookback_stateEbbT6_jjT7_P12ihipStream_tbENKUlT_T0_SE_SJ_E_clIS8_S8_S9_S9_EEDaSX_SY_SE_SJ_EUlSX_E_NS1_11comp_targetILNS1_3genE2ELNS1_11target_archE906ELNS1_3gpuE6ELNS1_3repE0EEENS1_47radix_sort_onesweep_sort_config_static_selectorELNS0_4arch9wavefront6targetE1EEEvSE_
                                        ; -- End function
	.section	.AMDGPU.csdata,"",@progbits
; Kernel info:
; codeLenInByte = 0
; NumSgprs: 4
; NumVgprs: 0
; NumAgprs: 0
; TotalNumVgprs: 0
; ScratchSize: 0
; MemoryBound: 0
; FloatMode: 240
; IeeeMode: 1
; LDSByteSize: 0 bytes/workgroup (compile time only)
; SGPRBlocks: 0
; VGPRBlocks: 0
; NumSGPRsForWavesPerEU: 4
; NumVGPRsForWavesPerEU: 1
; AccumOffset: 4
; Occupancy: 8
; WaveLimiterHint : 0
; COMPUTE_PGM_RSRC2:SCRATCH_EN: 0
; COMPUTE_PGM_RSRC2:USER_SGPR: 6
; COMPUTE_PGM_RSRC2:TRAP_HANDLER: 0
; COMPUTE_PGM_RSRC2:TGID_X_EN: 1
; COMPUTE_PGM_RSRC2:TGID_Y_EN: 0
; COMPUTE_PGM_RSRC2:TGID_Z_EN: 0
; COMPUTE_PGM_RSRC2:TIDIG_COMP_CNT: 0
; COMPUTE_PGM_RSRC3_GFX90A:ACCUM_OFFSET: 0
; COMPUTE_PGM_RSRC3_GFX90A:TG_SPLIT: 0
	.section	.text._ZN7rocprim17ROCPRIM_400000_NS6detail17trampoline_kernelINS0_14default_configENS1_35radix_sort_onesweep_config_selectorIfNS0_10empty_typeEEEZZNS1_29radix_sort_onesweep_iterationIS3_Lb0EPfS8_PS5_S9_mNS0_19identity_decomposerENS1_16block_id_wrapperIjLb0EEEEE10hipError_tT1_PNSt15iterator_traitsISE_E10value_typeET2_T3_PNSF_ISK_E10value_typeET4_T5_PSP_SQ_PNS1_23onesweep_lookback_stateEbbT6_jjT7_P12ihipStream_tbENKUlT_T0_SE_SJ_E_clIS8_S8_S9_S9_EEDaSX_SY_SE_SJ_EUlSX_E_NS1_11comp_targetILNS1_3genE4ELNS1_11target_archE910ELNS1_3gpuE8ELNS1_3repE0EEENS1_47radix_sort_onesweep_sort_config_static_selectorELNS0_4arch9wavefront6targetE1EEEvSE_,"axG",@progbits,_ZN7rocprim17ROCPRIM_400000_NS6detail17trampoline_kernelINS0_14default_configENS1_35radix_sort_onesweep_config_selectorIfNS0_10empty_typeEEEZZNS1_29radix_sort_onesweep_iterationIS3_Lb0EPfS8_PS5_S9_mNS0_19identity_decomposerENS1_16block_id_wrapperIjLb0EEEEE10hipError_tT1_PNSt15iterator_traitsISE_E10value_typeET2_T3_PNSF_ISK_E10value_typeET4_T5_PSP_SQ_PNS1_23onesweep_lookback_stateEbbT6_jjT7_P12ihipStream_tbENKUlT_T0_SE_SJ_E_clIS8_S8_S9_S9_EEDaSX_SY_SE_SJ_EUlSX_E_NS1_11comp_targetILNS1_3genE4ELNS1_11target_archE910ELNS1_3gpuE8ELNS1_3repE0EEENS1_47radix_sort_onesweep_sort_config_static_selectorELNS0_4arch9wavefront6targetE1EEEvSE_,comdat
	.protected	_ZN7rocprim17ROCPRIM_400000_NS6detail17trampoline_kernelINS0_14default_configENS1_35radix_sort_onesweep_config_selectorIfNS0_10empty_typeEEEZZNS1_29radix_sort_onesweep_iterationIS3_Lb0EPfS8_PS5_S9_mNS0_19identity_decomposerENS1_16block_id_wrapperIjLb0EEEEE10hipError_tT1_PNSt15iterator_traitsISE_E10value_typeET2_T3_PNSF_ISK_E10value_typeET4_T5_PSP_SQ_PNS1_23onesweep_lookback_stateEbbT6_jjT7_P12ihipStream_tbENKUlT_T0_SE_SJ_E_clIS8_S8_S9_S9_EEDaSX_SY_SE_SJ_EUlSX_E_NS1_11comp_targetILNS1_3genE4ELNS1_11target_archE910ELNS1_3gpuE8ELNS1_3repE0EEENS1_47radix_sort_onesweep_sort_config_static_selectorELNS0_4arch9wavefront6targetE1EEEvSE_ ; -- Begin function _ZN7rocprim17ROCPRIM_400000_NS6detail17trampoline_kernelINS0_14default_configENS1_35radix_sort_onesweep_config_selectorIfNS0_10empty_typeEEEZZNS1_29radix_sort_onesweep_iterationIS3_Lb0EPfS8_PS5_S9_mNS0_19identity_decomposerENS1_16block_id_wrapperIjLb0EEEEE10hipError_tT1_PNSt15iterator_traitsISE_E10value_typeET2_T3_PNSF_ISK_E10value_typeET4_T5_PSP_SQ_PNS1_23onesweep_lookback_stateEbbT6_jjT7_P12ihipStream_tbENKUlT_T0_SE_SJ_E_clIS8_S8_S9_S9_EEDaSX_SY_SE_SJ_EUlSX_E_NS1_11comp_targetILNS1_3genE4ELNS1_11target_archE910ELNS1_3gpuE8ELNS1_3repE0EEENS1_47radix_sort_onesweep_sort_config_static_selectorELNS0_4arch9wavefront6targetE1EEEvSE_
	.globl	_ZN7rocprim17ROCPRIM_400000_NS6detail17trampoline_kernelINS0_14default_configENS1_35radix_sort_onesweep_config_selectorIfNS0_10empty_typeEEEZZNS1_29radix_sort_onesweep_iterationIS3_Lb0EPfS8_PS5_S9_mNS0_19identity_decomposerENS1_16block_id_wrapperIjLb0EEEEE10hipError_tT1_PNSt15iterator_traitsISE_E10value_typeET2_T3_PNSF_ISK_E10value_typeET4_T5_PSP_SQ_PNS1_23onesweep_lookback_stateEbbT6_jjT7_P12ihipStream_tbENKUlT_T0_SE_SJ_E_clIS8_S8_S9_S9_EEDaSX_SY_SE_SJ_EUlSX_E_NS1_11comp_targetILNS1_3genE4ELNS1_11target_archE910ELNS1_3gpuE8ELNS1_3repE0EEENS1_47radix_sort_onesweep_sort_config_static_selectorELNS0_4arch9wavefront6targetE1EEEvSE_
	.p2align	8
	.type	_ZN7rocprim17ROCPRIM_400000_NS6detail17trampoline_kernelINS0_14default_configENS1_35radix_sort_onesweep_config_selectorIfNS0_10empty_typeEEEZZNS1_29radix_sort_onesweep_iterationIS3_Lb0EPfS8_PS5_S9_mNS0_19identity_decomposerENS1_16block_id_wrapperIjLb0EEEEE10hipError_tT1_PNSt15iterator_traitsISE_E10value_typeET2_T3_PNSF_ISK_E10value_typeET4_T5_PSP_SQ_PNS1_23onesweep_lookback_stateEbbT6_jjT7_P12ihipStream_tbENKUlT_T0_SE_SJ_E_clIS8_S8_S9_S9_EEDaSX_SY_SE_SJ_EUlSX_E_NS1_11comp_targetILNS1_3genE4ELNS1_11target_archE910ELNS1_3gpuE8ELNS1_3repE0EEENS1_47radix_sort_onesweep_sort_config_static_selectorELNS0_4arch9wavefront6targetE1EEEvSE_,@function
_ZN7rocprim17ROCPRIM_400000_NS6detail17trampoline_kernelINS0_14default_configENS1_35radix_sort_onesweep_config_selectorIfNS0_10empty_typeEEEZZNS1_29radix_sort_onesweep_iterationIS3_Lb0EPfS8_PS5_S9_mNS0_19identity_decomposerENS1_16block_id_wrapperIjLb0EEEEE10hipError_tT1_PNSt15iterator_traitsISE_E10value_typeET2_T3_PNSF_ISK_E10value_typeET4_T5_PSP_SQ_PNS1_23onesweep_lookback_stateEbbT6_jjT7_P12ihipStream_tbENKUlT_T0_SE_SJ_E_clIS8_S8_S9_S9_EEDaSX_SY_SE_SJ_EUlSX_E_NS1_11comp_targetILNS1_3genE4ELNS1_11target_archE910ELNS1_3gpuE8ELNS1_3repE0EEENS1_47radix_sort_onesweep_sort_config_static_selectorELNS0_4arch9wavefront6targetE1EEEvSE_: ; @_ZN7rocprim17ROCPRIM_400000_NS6detail17trampoline_kernelINS0_14default_configENS1_35radix_sort_onesweep_config_selectorIfNS0_10empty_typeEEEZZNS1_29radix_sort_onesweep_iterationIS3_Lb0EPfS8_PS5_S9_mNS0_19identity_decomposerENS1_16block_id_wrapperIjLb0EEEEE10hipError_tT1_PNSt15iterator_traitsISE_E10value_typeET2_T3_PNSF_ISK_E10value_typeET4_T5_PSP_SQ_PNS1_23onesweep_lookback_stateEbbT6_jjT7_P12ihipStream_tbENKUlT_T0_SE_SJ_E_clIS8_S8_S9_S9_EEDaSX_SY_SE_SJ_EUlSX_E_NS1_11comp_targetILNS1_3genE4ELNS1_11target_archE910ELNS1_3gpuE8ELNS1_3repE0EEENS1_47radix_sort_onesweep_sort_config_static_selectorELNS0_4arch9wavefront6targetE1EEEvSE_
; %bb.0:
	s_load_dwordx4 s[16:19], s[4:5], 0x44
	s_load_dwordx2 s[24:25], s[4:5], 0x38
	s_load_dwordx4 s[20:23], s[4:5], 0x0
	s_load_dwordx4 s[12:15], s[4:5], 0x28
	s_mul_i32 s26, s6, 0x3000
	s_waitcnt lgkmcnt(0)
	s_cmp_ge_u32 s6, s18
	v_mbcnt_lo_u32_b32 v12, -1, 0
	s_cbranch_scc0 .LBB1299_81
; %bb.1:
	s_load_dword s7, s[4:5], 0x20
	s_mul_i32 s2, s18, 0xffffd000
	s_mov_b32 s27, 0
	v_and_b32_e32 v2, 0x3ff, v0
	s_lshl_b64 s[0:1], s[26:27], 2
	s_waitcnt lgkmcnt(0)
	s_add_i32 s7, s7, s2
	v_mbcnt_hi_u32_b32 v1, -1, v12
	s_add_u32 s0, s20, s0
	v_and_b32_e32 v3, 63, v1
	v_and_b32_e32 v4, 0x3c0, v2
	s_addc_u32 s1, s21, s1
	v_mul_u32_u24_e32 v6, 12, v4
	v_lshlrev_b32_e32 v4, 2, v3
	v_mov_b32_e32 v5, s1
	v_add_co_u32_e32 v4, vcc, s0, v4
	v_addc_co_u32_e32 v5, vcc, 0, v5, vcc
	v_lshlrev_b32_e32 v7, 2, v6
	v_add_co_u32_e32 v4, vcc, v4, v7
	v_addc_co_u32_e32 v5, vcc, 0, v5, vcc
	v_or_b32_e32 v3, v3, v6
	v_cmp_gt_u32_e32 vcc, s7, v3
	v_bfrev_b32_e32 v10, -2
	v_bfrev_b32_e32 v6, -2
	s_and_saveexec_b64 s[0:1], vcc
	s_cbranch_execz .LBB1299_3
; %bb.2:
	global_load_dword v6, v[4:5], off
.LBB1299_3:
	s_or_b64 exec, exec, s[0:1]
	v_or_b32_e32 v7, 64, v3
	v_cmp_gt_u32_e32 vcc, s7, v7
	s_and_saveexec_b64 s[0:1], vcc
	s_cbranch_execz .LBB1299_5
; %bb.4:
	global_load_dword v10, v[4:5], off offset:256
.LBB1299_5:
	s_or_b64 exec, exec, s[0:1]
	v_or_b32_e32 v7, 0x80, v3
	v_cmp_gt_u32_e32 vcc, s7, v7
	v_bfrev_b32_e32 v18, -2
	v_bfrev_b32_e32 v15, -2
	s_and_saveexec_b64 s[0:1], vcc
	s_cbranch_execz .LBB1299_7
; %bb.6:
	global_load_dword v15, v[4:5], off offset:512
.LBB1299_7:
	s_or_b64 exec, exec, s[0:1]
	v_or_b32_e32 v7, 0xc0, v3
	v_cmp_gt_u32_e32 vcc, s7, v7
	s_and_saveexec_b64 s[0:1], vcc
	s_cbranch_execz .LBB1299_9
; %bb.8:
	global_load_dword v18, v[4:5], off offset:768
.LBB1299_9:
	s_or_b64 exec, exec, s[0:1]
	v_add_u32_e32 v7, 0x100, v3
	v_cmp_gt_u32_e32 vcc, s7, v7
	v_bfrev_b32_e32 v24, -2
	v_bfrev_b32_e32 v21, -2
	s_and_saveexec_b64 s[0:1], vcc
	s_cbranch_execz .LBB1299_11
; %bb.10:
	global_load_dword v21, v[4:5], off offset:1024
.LBB1299_11:
	s_or_b64 exec, exec, s[0:1]
	v_add_u32_e32 v7, 0x140, v3
	v_cmp_gt_u32_e32 vcc, s7, v7
	s_and_saveexec_b64 s[0:1], vcc
	s_cbranch_execz .LBB1299_13
; %bb.12:
	global_load_dword v24, v[4:5], off offset:1280
.LBB1299_13:
	s_or_b64 exec, exec, s[0:1]
	v_add_u32_e32 v7, 0x180, v3
	v_cmp_gt_u32_e32 vcc, s7, v7
	v_bfrev_b32_e32 v34, -2
	v_bfrev_b32_e32 v28, -2
	s_and_saveexec_b64 s[0:1], vcc
	s_cbranch_execz .LBB1299_15
; %bb.14:
	global_load_dword v28, v[4:5], off offset:1536
.LBB1299_15:
	s_or_b64 exec, exec, s[0:1]
	v_add_u32_e32 v7, 0x1c0, v3
	;; [unrolled: 18-line block ×4, first 2 shown]
	v_cmp_gt_u32_e32 vcc, s7, v3
	s_and_saveexec_b64 s[0:1], vcc
	s_cbranch_execz .LBB1299_25
; %bb.24:
	global_load_dword v9, v[4:5], off offset:2816
.LBB1299_25:
	s_or_b64 exec, exec, s[0:1]
	s_load_dword s0, s[4:5], 0x64
	s_load_dword s27, s[4:5], 0x58
	s_add_u32 s1, s4, 0x58
	s_addc_u32 s2, s5, 0
	v_mov_b32_e32 v4, 0
	s_waitcnt lgkmcnt(0)
	s_lshr_b32 s3, s0, 16
	s_cmp_lt_u32 s6, s27
	s_cselect_b32 s0, 12, 18
	s_add_u32 s0, s1, s0
	s_addc_u32 s1, s2, 0
	global_load_ushort v7, v4, s[0:1]
	v_bfrev_b32_e32 v17, 1
	s_waitcnt vmcnt(1)
	v_cmp_lt_i32_e32 vcc, -1, v6
	v_cndmask_b32_e32 v13, -1, v17, vcc
	s_brev_b32 s2, -2
	v_xor_b32_e32 v13, v13, v6
	v_cmp_ne_u32_e32 vcc, s2, v13
	v_cndmask_b32_e32 v6, v17, v13, vcc
	s_lshl_b32 s0, -1, s17
	v_lshrrev_b32_e32 v6, s16, v6
	s_not_b32 s28, s0
	v_and_b32_e32 v14, s28, v6
	v_and_b32_e32 v6, 1, v14
	v_bfe_u32 v5, v0, 10, 10
	v_bfe_u32 v8, v0, 20, 10
	v_add_co_u32_e32 v19, vcc, -1, v6
	v_mad_u32_u24 v8, v8, s3, v5
	v_lshlrev_b32_e32 v5, 30, v14
	v_addc_co_u32_e64 v20, s[0:1], 0, -1, vcc
	v_cmp_ne_u32_e32 vcc, 0, v6
	v_cmp_gt_i64_e64 s[0:1], 0, v[4:5]
	v_not_b32_e32 v6, v5
	v_lshlrev_b32_e32 v5, 29, v14
	v_xor_b32_e32 v20, vcc_hi, v20
	v_xor_b32_e32 v19, vcc_lo, v19
	v_ashrrev_i32_e32 v6, 31, v6
	v_cmp_gt_i64_e32 vcc, 0, v[4:5]
	v_not_b32_e32 v22, v5
	v_lshlrev_b32_e32 v5, 28, v14
	v_and_b32_e32 v20, exec_hi, v20
	v_and_b32_e32 v19, exec_lo, v19
	v_xor_b32_e32 v23, s1, v6
	v_xor_b32_e32 v6, s0, v6
	v_ashrrev_i32_e32 v22, 31, v22
	v_cmp_gt_i64_e64 s[0:1], 0, v[4:5]
	v_not_b32_e32 v25, v5
	v_lshlrev_b32_e32 v5, 27, v14
	v_and_b32_e32 v20, v20, v23
	v_and_b32_e32 v6, v19, v6
	v_xor_b32_e32 v19, vcc_hi, v22
	v_xor_b32_e32 v22, vcc_lo, v22
	v_ashrrev_i32_e32 v23, 31, v25
	v_cmp_gt_i64_e32 vcc, 0, v[4:5]
	v_not_b32_e32 v25, v5
	v_lshlrev_b32_e32 v5, 26, v14
	v_and_b32_e32 v19, v20, v19
	v_and_b32_e32 v6, v6, v22
	v_xor_b32_e32 v20, s1, v23
	v_xor_b32_e32 v22, s0, v23
	v_ashrrev_i32_e32 v23, 31, v25
	v_not_b32_e32 v25, v5
	v_mul_u32_u24_e32 v3, 5, v2
	v_cmp_gt_i64_e64 s[0:1], 0, v[4:5]
	v_lshlrev_b32_e32 v5, 25, v14
	v_and_b32_e32 v19, v19, v20
	v_and_b32_e32 v6, v6, v22
	v_xor_b32_e32 v20, vcc_hi, v23
	v_xor_b32_e32 v22, vcc_lo, v23
	v_ashrrev_i32_e32 v23, 31, v25
	v_lshlrev_b32_e32 v3, 2, v3
	v_cmp_gt_i64_e32 vcc, 0, v[4:5]
	v_not_b32_e32 v5, v5
	v_and_b32_e32 v19, v19, v20
	v_and_b32_e32 v6, v6, v22
	v_xor_b32_e32 v20, s1, v23
	v_xor_b32_e32 v22, s0, v23
	v_ashrrev_i32_e32 v5, 31, v5
	v_and_b32_e32 v19, v19, v20
	v_and_b32_e32 v20, v6, v22
	v_lshl_add_u32 v16, v14, 4, v14
	v_xor_b32_e32 v22, vcc_hi, v5
	v_xor_b32_e32 v5, vcc_lo, v5
	ds_write2_b32 v3, v4, v4 offset0:16 offset1:17
	ds_write2_b32 v3, v4, v4 offset0:18 offset1:19
	ds_write_b32 v3, v4 offset:80
	s_waitcnt lgkmcnt(0)
	s_barrier
	s_waitcnt lgkmcnt(0)
	; wave barrier
	s_waitcnt vmcnt(0)
	v_mad_u64_u32 v[6:7], s[0:1], v8, v7, v[2:3]
	v_lshrrev_b32_e32 v29, 6, v6
	v_add_lshl_u32 v8, v29, v16, 2
	v_and_b32_e32 v16, v20, v5
	v_lshlrev_b32_e32 v5, 24, v14
	v_cmp_gt_i64_e32 vcc, 0, v[4:5]
	v_not_b32_e32 v5, v5
	v_ashrrev_i32_e32 v5, 31, v5
	v_and_b32_e32 v6, v19, v22
	v_xor_b32_e32 v7, vcc_hi, v5
	v_xor_b32_e32 v5, vcc_lo, v5
	v_and_b32_e32 v7, v6, v7
	v_and_b32_e32 v6, v16, v5
	v_mbcnt_lo_u32_b32 v5, v6, 0
	v_mbcnt_hi_u32_b32 v16, v7, v5
	v_cmp_eq_u32_e32 vcc, 0, v16
	v_cmp_ne_u64_e64 s[0:1], 0, v[6:7]
	s_and_b64 s[8:9], s[0:1], vcc
	s_and_saveexec_b64 s[0:1], s[8:9]
	s_cbranch_execz .LBB1299_27
; %bb.26:
	v_bcnt_u32_b32 v5, v6, 0
	v_bcnt_u32_b32 v5, v7, v5
	ds_write_b32 v8, v5 offset:64
.LBB1299_27:
	s_or_b64 exec, exec, s[0:1]
	v_cmp_lt_i32_e32 vcc, -1, v10
	v_cndmask_b32_e32 v5, -1, v17, vcc
	v_xor_b32_e32 v14, v5, v10
	v_cmp_ne_u32_e32 vcc, s2, v14
	v_cndmask_b32_e32 v5, v17, v14, vcc
	v_lshrrev_b32_e32 v5, s16, v5
	v_and_b32_e32 v6, s28, v5
	v_lshl_add_u32 v5, v6, 4, v6
	v_add_lshl_u32 v10, v29, v5, 2
	v_and_b32_e32 v5, 1, v6
	v_add_co_u32_e32 v7, vcc, -1, v5
	v_addc_co_u32_e64 v19, s[0:1], 0, -1, vcc
	v_cmp_ne_u32_e32 vcc, 0, v5
	v_xor_b32_e32 v5, vcc_hi, v19
	v_and_b32_e32 v19, exec_hi, v5
	v_lshlrev_b32_e32 v5, 30, v6
	v_xor_b32_e32 v7, vcc_lo, v7
	v_cmp_gt_i64_e32 vcc, 0, v[4:5]
	v_not_b32_e32 v5, v5
	v_ashrrev_i32_e32 v5, 31, v5
	v_and_b32_e32 v7, exec_lo, v7
	v_xor_b32_e32 v20, vcc_hi, v5
	v_xor_b32_e32 v5, vcc_lo, v5
	v_and_b32_e32 v7, v7, v5
	v_lshlrev_b32_e32 v5, 29, v6
	v_cmp_gt_i64_e32 vcc, 0, v[4:5]
	v_not_b32_e32 v5, v5
	v_ashrrev_i32_e32 v5, 31, v5
	v_and_b32_e32 v19, v19, v20
	v_xor_b32_e32 v20, vcc_hi, v5
	v_xor_b32_e32 v5, vcc_lo, v5
	v_and_b32_e32 v7, v7, v5
	v_lshlrev_b32_e32 v5, 28, v6
	v_cmp_gt_i64_e32 vcc, 0, v[4:5]
	v_not_b32_e32 v5, v5
	v_ashrrev_i32_e32 v5, 31, v5
	v_and_b32_e32 v19, v19, v20
	v_xor_b32_e32 v20, vcc_hi, v5
	v_xor_b32_e32 v5, vcc_lo, v5
	v_and_b32_e32 v7, v7, v5
	v_lshlrev_b32_e32 v5, 27, v6
	v_cmp_gt_i64_e32 vcc, 0, v[4:5]
	v_not_b32_e32 v5, v5
	v_ashrrev_i32_e32 v5, 31, v5
	v_and_b32_e32 v19, v19, v20
	v_xor_b32_e32 v20, vcc_hi, v5
	v_xor_b32_e32 v5, vcc_lo, v5
	v_and_b32_e32 v7, v7, v5
	v_lshlrev_b32_e32 v5, 26, v6
	v_cmp_gt_i64_e32 vcc, 0, v[4:5]
	v_not_b32_e32 v5, v5
	v_ashrrev_i32_e32 v5, 31, v5
	v_and_b32_e32 v19, v19, v20
	v_xor_b32_e32 v20, vcc_hi, v5
	v_xor_b32_e32 v5, vcc_lo, v5
	v_and_b32_e32 v7, v7, v5
	v_lshlrev_b32_e32 v5, 25, v6
	v_cmp_gt_i64_e32 vcc, 0, v[4:5]
	v_not_b32_e32 v5, v5
	v_ashrrev_i32_e32 v5, 31, v5
	v_and_b32_e32 v19, v19, v20
	v_xor_b32_e32 v20, vcc_hi, v5
	v_xor_b32_e32 v5, vcc_lo, v5
	v_and_b32_e32 v7, v7, v5
	v_lshlrev_b32_e32 v5, 24, v6
	v_cmp_gt_i64_e32 vcc, 0, v[4:5]
	v_not_b32_e32 v4, v5
	v_ashrrev_i32_e32 v4, 31, v4
	v_xor_b32_e32 v5, vcc_hi, v4
	v_xor_b32_e32 v4, vcc_lo, v4
	; wave barrier
	ds_read_b32 v17, v10 offset:64
	v_and_b32_e32 v19, v19, v20
	v_and_b32_e32 v4, v7, v4
	;; [unrolled: 1-line block ×3, first 2 shown]
	v_mbcnt_lo_u32_b32 v6, v4, 0
	v_mbcnt_hi_u32_b32 v19, v5, v6
	v_cmp_eq_u32_e32 vcc, 0, v19
	v_cmp_ne_u64_e64 s[0:1], 0, v[4:5]
	s_and_b64 s[2:3], s[0:1], vcc
	; wave barrier
	s_and_saveexec_b64 s[0:1], s[2:3]
	s_cbranch_execz .LBB1299_29
; %bb.28:
	v_bcnt_u32_b32 v4, v4, 0
	v_bcnt_u32_b32 v4, v5, v4
	s_waitcnt lgkmcnt(0)
	v_add_u32_e32 v4, v17, v4
	ds_write_b32 v10, v4 offset:64
.LBB1299_29:
	s_or_b64 exec, exec, s[0:1]
	v_bfrev_b32_e32 v23, 1
	v_cmp_lt_i32_e32 vcc, -1, v15
	v_cndmask_b32_e32 v4, -1, v23, vcc
	v_xor_b32_e32 v15, v4, v15
	s_brev_b32 s2, -2
	v_cmp_ne_u32_e32 vcc, s2, v15
	v_cndmask_b32_e32 v4, v23, v15, vcc
	v_lshrrev_b32_e32 v4, s16, v4
	v_and_b32_e32 v6, s28, v4
	v_and_b32_e32 v5, 1, v6
	v_add_co_u32_e32 v7, vcc, -1, v5
	v_addc_co_u32_e64 v22, s[0:1], 0, -1, vcc
	v_cmp_ne_u32_e32 vcc, 0, v5
	v_lshl_add_u32 v4, v6, 4, v6
	v_xor_b32_e32 v5, vcc_hi, v22
	v_add_lshl_u32 v26, v29, v4, 2
	v_mov_b32_e32 v4, 0
	v_and_b32_e32 v22, exec_hi, v5
	v_lshlrev_b32_e32 v5, 30, v6
	v_xor_b32_e32 v7, vcc_lo, v7
	v_cmp_gt_i64_e32 vcc, 0, v[4:5]
	v_not_b32_e32 v5, v5
	v_ashrrev_i32_e32 v5, 31, v5
	v_and_b32_e32 v7, exec_lo, v7
	v_xor_b32_e32 v25, vcc_hi, v5
	v_xor_b32_e32 v5, vcc_lo, v5
	v_and_b32_e32 v7, v7, v5
	v_lshlrev_b32_e32 v5, 29, v6
	v_cmp_gt_i64_e32 vcc, 0, v[4:5]
	v_not_b32_e32 v5, v5
	v_ashrrev_i32_e32 v5, 31, v5
	v_and_b32_e32 v22, v22, v25
	v_xor_b32_e32 v25, vcc_hi, v5
	v_xor_b32_e32 v5, vcc_lo, v5
	v_and_b32_e32 v7, v7, v5
	v_lshlrev_b32_e32 v5, 28, v6
	v_cmp_gt_i64_e32 vcc, 0, v[4:5]
	v_not_b32_e32 v5, v5
	v_ashrrev_i32_e32 v5, 31, v5
	v_and_b32_e32 v22, v22, v25
	;; [unrolled: 8-line block ×5, first 2 shown]
	v_xor_b32_e32 v25, vcc_hi, v5
	v_xor_b32_e32 v5, vcc_lo, v5
	v_and_b32_e32 v22, v22, v25
	v_and_b32_e32 v25, v7, v5
	v_lshlrev_b32_e32 v5, 24, v6
	v_cmp_gt_i64_e32 vcc, 0, v[4:5]
	v_not_b32_e32 v5, v5
	v_ashrrev_i32_e32 v5, 31, v5
	v_xor_b32_e32 v6, vcc_hi, v5
	v_xor_b32_e32 v5, vcc_lo, v5
	; wave barrier
	ds_read_b32 v20, v26 offset:64
	v_and_b32_e32 v7, v22, v6
	v_and_b32_e32 v6, v25, v5
	v_mbcnt_lo_u32_b32 v5, v6, 0
	v_mbcnt_hi_u32_b32 v22, v7, v5
	v_cmp_eq_u32_e32 vcc, 0, v22
	v_cmp_ne_u64_e64 s[0:1], 0, v[6:7]
	s_and_b64 s[8:9], s[0:1], vcc
	; wave barrier
	s_and_saveexec_b64 s[0:1], s[8:9]
	s_cbranch_execz .LBB1299_31
; %bb.30:
	v_bcnt_u32_b32 v5, v6, 0
	v_bcnt_u32_b32 v5, v7, v5
	s_waitcnt lgkmcnt(0)
	v_add_u32_e32 v5, v20, v5
	ds_write_b32 v26, v5 offset:64
.LBB1299_31:
	s_or_b64 exec, exec, s[0:1]
	v_cmp_lt_i32_e32 vcc, -1, v18
	v_cndmask_b32_e32 v5, -1, v23, vcc
	v_xor_b32_e32 v18, v5, v18
	v_cmp_ne_u32_e32 vcc, s2, v18
	v_cndmask_b32_e32 v5, v23, v18, vcc
	v_lshrrev_b32_e32 v5, s16, v5
	v_and_b32_e32 v6, s28, v5
	v_lshl_add_u32 v5, v6, 4, v6
	v_add_lshl_u32 v32, v29, v5, 2
	v_and_b32_e32 v5, 1, v6
	v_add_co_u32_e32 v7, vcc, -1, v5
	v_addc_co_u32_e64 v25, s[0:1], 0, -1, vcc
	v_cmp_ne_u32_e32 vcc, 0, v5
	v_xor_b32_e32 v5, vcc_hi, v25
	v_and_b32_e32 v25, exec_hi, v5
	v_lshlrev_b32_e32 v5, 30, v6
	v_xor_b32_e32 v7, vcc_lo, v7
	v_cmp_gt_i64_e32 vcc, 0, v[4:5]
	v_not_b32_e32 v5, v5
	v_ashrrev_i32_e32 v5, 31, v5
	v_and_b32_e32 v7, exec_lo, v7
	v_xor_b32_e32 v27, vcc_hi, v5
	v_xor_b32_e32 v5, vcc_lo, v5
	v_and_b32_e32 v7, v7, v5
	v_lshlrev_b32_e32 v5, 29, v6
	v_cmp_gt_i64_e32 vcc, 0, v[4:5]
	v_not_b32_e32 v5, v5
	v_ashrrev_i32_e32 v5, 31, v5
	v_and_b32_e32 v25, v25, v27
	v_xor_b32_e32 v27, vcc_hi, v5
	v_xor_b32_e32 v5, vcc_lo, v5
	v_and_b32_e32 v7, v7, v5
	v_lshlrev_b32_e32 v5, 28, v6
	v_cmp_gt_i64_e32 vcc, 0, v[4:5]
	v_not_b32_e32 v5, v5
	v_ashrrev_i32_e32 v5, 31, v5
	v_and_b32_e32 v25, v25, v27
	;; [unrolled: 8-line block ×5, first 2 shown]
	v_xor_b32_e32 v27, vcc_hi, v5
	v_xor_b32_e32 v5, vcc_lo, v5
	v_and_b32_e32 v7, v7, v5
	v_lshlrev_b32_e32 v5, 24, v6
	v_cmp_gt_i64_e32 vcc, 0, v[4:5]
	v_not_b32_e32 v4, v5
	v_ashrrev_i32_e32 v4, 31, v4
	v_xor_b32_e32 v5, vcc_hi, v4
	v_xor_b32_e32 v4, vcc_lo, v4
	; wave barrier
	ds_read_b32 v23, v32 offset:64
	v_and_b32_e32 v25, v25, v27
	v_and_b32_e32 v4, v7, v4
	v_and_b32_e32 v5, v25, v5
	v_mbcnt_lo_u32_b32 v6, v4, 0
	v_mbcnt_hi_u32_b32 v25, v5, v6
	v_cmp_eq_u32_e32 vcc, 0, v25
	v_cmp_ne_u64_e64 s[0:1], 0, v[4:5]
	s_and_b64 s[2:3], s[0:1], vcc
	; wave barrier
	s_and_saveexec_b64 s[0:1], s[2:3]
	s_cbranch_execz .LBB1299_33
; %bb.32:
	v_bcnt_u32_b32 v4, v4, 0
	v_bcnt_u32_b32 v4, v5, v4
	s_waitcnt lgkmcnt(0)
	v_add_u32_e32 v4, v23, v4
	ds_write_b32 v32, v4 offset:64
.LBB1299_33:
	s_or_b64 exec, exec, s[0:1]
	v_bfrev_b32_e32 v33, 1
	v_cmp_lt_i32_e32 vcc, -1, v21
	v_cndmask_b32_e32 v4, -1, v33, vcc
	v_xor_b32_e32 v21, v4, v21
	s_brev_b32 s2, -2
	v_cmp_ne_u32_e32 vcc, s2, v21
	v_cndmask_b32_e32 v4, v33, v21, vcc
	v_lshrrev_b32_e32 v4, s16, v4
	v_and_b32_e32 v6, s28, v4
	v_and_b32_e32 v5, 1, v6
	v_add_co_u32_e32 v7, vcc, -1, v5
	v_addc_co_u32_e64 v31, s[0:1], 0, -1, vcc
	v_cmp_ne_u32_e32 vcc, 0, v5
	v_lshl_add_u32 v4, v6, 4, v6
	v_xor_b32_e32 v5, vcc_hi, v31
	v_add_lshl_u32 v37, v29, v4, 2
	v_mov_b32_e32 v4, 0
	v_and_b32_e32 v31, exec_hi, v5
	v_lshlrev_b32_e32 v5, 30, v6
	v_xor_b32_e32 v7, vcc_lo, v7
	v_cmp_gt_i64_e32 vcc, 0, v[4:5]
	v_not_b32_e32 v5, v5
	v_ashrrev_i32_e32 v5, 31, v5
	v_and_b32_e32 v7, exec_lo, v7
	v_xor_b32_e32 v36, vcc_hi, v5
	v_xor_b32_e32 v5, vcc_lo, v5
	v_and_b32_e32 v7, v7, v5
	v_lshlrev_b32_e32 v5, 29, v6
	v_cmp_gt_i64_e32 vcc, 0, v[4:5]
	v_not_b32_e32 v5, v5
	v_ashrrev_i32_e32 v5, 31, v5
	v_and_b32_e32 v31, v31, v36
	v_xor_b32_e32 v36, vcc_hi, v5
	v_xor_b32_e32 v5, vcc_lo, v5
	v_and_b32_e32 v7, v7, v5
	v_lshlrev_b32_e32 v5, 28, v6
	v_cmp_gt_i64_e32 vcc, 0, v[4:5]
	v_not_b32_e32 v5, v5
	v_ashrrev_i32_e32 v5, 31, v5
	v_and_b32_e32 v31, v31, v36
	;; [unrolled: 8-line block ×5, first 2 shown]
	v_xor_b32_e32 v36, vcc_hi, v5
	v_xor_b32_e32 v5, vcc_lo, v5
	v_and_b32_e32 v31, v31, v36
	v_and_b32_e32 v36, v7, v5
	v_lshlrev_b32_e32 v5, 24, v6
	v_cmp_gt_i64_e32 vcc, 0, v[4:5]
	v_not_b32_e32 v5, v5
	v_ashrrev_i32_e32 v5, 31, v5
	v_xor_b32_e32 v6, vcc_hi, v5
	v_xor_b32_e32 v5, vcc_lo, v5
	; wave barrier
	ds_read_b32 v27, v37 offset:64
	v_and_b32_e32 v7, v31, v6
	v_and_b32_e32 v6, v36, v5
	v_mbcnt_lo_u32_b32 v5, v6, 0
	v_mbcnt_hi_u32_b32 v31, v7, v5
	v_cmp_eq_u32_e32 vcc, 0, v31
	v_cmp_ne_u64_e64 s[0:1], 0, v[6:7]
	s_and_b64 s[8:9], s[0:1], vcc
	; wave barrier
	s_and_saveexec_b64 s[0:1], s[8:9]
	s_cbranch_execz .LBB1299_35
; %bb.34:
	v_bcnt_u32_b32 v5, v6, 0
	v_bcnt_u32_b32 v5, v7, v5
	s_waitcnt lgkmcnt(0)
	v_add_u32_e32 v5, v27, v5
	ds_write_b32 v37, v5 offset:64
.LBB1299_35:
	s_or_b64 exec, exec, s[0:1]
	v_cmp_lt_i32_e32 vcc, -1, v24
	v_cndmask_b32_e32 v5, -1, v33, vcc
	v_xor_b32_e32 v24, v5, v24
	v_cmp_ne_u32_e32 vcc, s2, v24
	v_cndmask_b32_e32 v5, v33, v24, vcc
	v_lshrrev_b32_e32 v5, s16, v5
	v_and_b32_e32 v6, s28, v5
	v_lshl_add_u32 v5, v6, 4, v6
	v_add_lshl_u32 v40, v29, v5, 2
	v_and_b32_e32 v5, 1, v6
	v_add_co_u32_e32 v7, vcc, -1, v5
	v_addc_co_u32_e64 v36, s[0:1], 0, -1, vcc
	v_cmp_ne_u32_e32 vcc, 0, v5
	v_xor_b32_e32 v5, vcc_hi, v36
	v_and_b32_e32 v36, exec_hi, v5
	v_lshlrev_b32_e32 v5, 30, v6
	v_xor_b32_e32 v7, vcc_lo, v7
	v_cmp_gt_i64_e32 vcc, 0, v[4:5]
	v_not_b32_e32 v5, v5
	v_ashrrev_i32_e32 v5, 31, v5
	v_and_b32_e32 v7, exec_lo, v7
	v_xor_b32_e32 v38, vcc_hi, v5
	v_xor_b32_e32 v5, vcc_lo, v5
	v_and_b32_e32 v7, v7, v5
	v_lshlrev_b32_e32 v5, 29, v6
	v_cmp_gt_i64_e32 vcc, 0, v[4:5]
	v_not_b32_e32 v5, v5
	v_ashrrev_i32_e32 v5, 31, v5
	v_and_b32_e32 v36, v36, v38
	v_xor_b32_e32 v38, vcc_hi, v5
	v_xor_b32_e32 v5, vcc_lo, v5
	v_and_b32_e32 v7, v7, v5
	v_lshlrev_b32_e32 v5, 28, v6
	v_cmp_gt_i64_e32 vcc, 0, v[4:5]
	v_not_b32_e32 v5, v5
	v_ashrrev_i32_e32 v5, 31, v5
	v_and_b32_e32 v36, v36, v38
	;; [unrolled: 8-line block ×5, first 2 shown]
	v_xor_b32_e32 v38, vcc_hi, v5
	v_xor_b32_e32 v5, vcc_lo, v5
	v_and_b32_e32 v7, v7, v5
	v_lshlrev_b32_e32 v5, 24, v6
	v_cmp_gt_i64_e32 vcc, 0, v[4:5]
	v_not_b32_e32 v4, v5
	v_ashrrev_i32_e32 v4, 31, v4
	v_xor_b32_e32 v5, vcc_hi, v4
	v_xor_b32_e32 v4, vcc_lo, v4
	; wave barrier
	ds_read_b32 v33, v40 offset:64
	v_and_b32_e32 v36, v36, v38
	v_and_b32_e32 v4, v7, v4
	;; [unrolled: 1-line block ×3, first 2 shown]
	v_mbcnt_lo_u32_b32 v6, v4, 0
	v_mbcnt_hi_u32_b32 v36, v5, v6
	v_cmp_eq_u32_e32 vcc, 0, v36
	v_cmp_ne_u64_e64 s[0:1], 0, v[4:5]
	s_and_b64 s[2:3], s[0:1], vcc
	; wave barrier
	s_and_saveexec_b64 s[0:1], s[2:3]
	s_cbranch_execz .LBB1299_37
; %bb.36:
	v_bcnt_u32_b32 v4, v4, 0
	v_bcnt_u32_b32 v4, v5, v4
	s_waitcnt lgkmcnt(0)
	v_add_u32_e32 v4, v33, v4
	ds_write_b32 v40, v4 offset:64
.LBB1299_37:
	s_or_b64 exec, exec, s[0:1]
	v_bfrev_b32_e32 v41, 1
	v_cmp_lt_i32_e32 vcc, -1, v28
	v_cndmask_b32_e32 v4, -1, v41, vcc
	v_xor_b32_e32 v28, v4, v28
	s_brev_b32 s2, -2
	v_cmp_ne_u32_e32 vcc, s2, v28
	v_cndmask_b32_e32 v4, v41, v28, vcc
	v_lshrrev_b32_e32 v4, s16, v4
	v_and_b32_e32 v6, s28, v4
	v_and_b32_e32 v5, 1, v6
	v_add_co_u32_e32 v7, vcc, -1, v5
	v_addc_co_u32_e64 v39, s[0:1], 0, -1, vcc
	v_cmp_ne_u32_e32 vcc, 0, v5
	v_lshl_add_u32 v4, v6, 4, v6
	v_xor_b32_e32 v5, vcc_hi, v39
	v_add_lshl_u32 v44, v29, v4, 2
	v_mov_b32_e32 v4, 0
	v_and_b32_e32 v39, exec_hi, v5
	v_lshlrev_b32_e32 v5, 30, v6
	v_xor_b32_e32 v7, vcc_lo, v7
	v_cmp_gt_i64_e32 vcc, 0, v[4:5]
	v_not_b32_e32 v5, v5
	v_ashrrev_i32_e32 v5, 31, v5
	v_and_b32_e32 v7, exec_lo, v7
	v_xor_b32_e32 v42, vcc_hi, v5
	v_xor_b32_e32 v5, vcc_lo, v5
	v_and_b32_e32 v7, v7, v5
	v_lshlrev_b32_e32 v5, 29, v6
	v_cmp_gt_i64_e32 vcc, 0, v[4:5]
	v_not_b32_e32 v5, v5
	v_ashrrev_i32_e32 v5, 31, v5
	v_and_b32_e32 v39, v39, v42
	v_xor_b32_e32 v42, vcc_hi, v5
	v_xor_b32_e32 v5, vcc_lo, v5
	v_and_b32_e32 v7, v7, v5
	v_lshlrev_b32_e32 v5, 28, v6
	v_cmp_gt_i64_e32 vcc, 0, v[4:5]
	v_not_b32_e32 v5, v5
	v_ashrrev_i32_e32 v5, 31, v5
	v_and_b32_e32 v39, v39, v42
	;; [unrolled: 8-line block ×5, first 2 shown]
	v_xor_b32_e32 v42, vcc_hi, v5
	v_xor_b32_e32 v5, vcc_lo, v5
	v_and_b32_e32 v39, v39, v42
	v_and_b32_e32 v42, v7, v5
	v_lshlrev_b32_e32 v5, 24, v6
	v_cmp_gt_i64_e32 vcc, 0, v[4:5]
	v_not_b32_e32 v5, v5
	v_ashrrev_i32_e32 v5, 31, v5
	v_xor_b32_e32 v6, vcc_hi, v5
	v_xor_b32_e32 v5, vcc_lo, v5
	; wave barrier
	ds_read_b32 v38, v44 offset:64
	v_and_b32_e32 v7, v39, v6
	v_and_b32_e32 v6, v42, v5
	v_mbcnt_lo_u32_b32 v5, v6, 0
	v_mbcnt_hi_u32_b32 v39, v7, v5
	v_cmp_eq_u32_e32 vcc, 0, v39
	v_cmp_ne_u64_e64 s[0:1], 0, v[6:7]
	s_and_b64 s[8:9], s[0:1], vcc
	; wave barrier
	s_and_saveexec_b64 s[0:1], s[8:9]
	s_cbranch_execz .LBB1299_39
; %bb.38:
	v_bcnt_u32_b32 v5, v6, 0
	v_bcnt_u32_b32 v5, v7, v5
	s_waitcnt lgkmcnt(0)
	v_add_u32_e32 v5, v38, v5
	ds_write_b32 v44, v5 offset:64
.LBB1299_39:
	s_or_b64 exec, exec, s[0:1]
	v_cmp_lt_i32_e32 vcc, -1, v34
	v_cndmask_b32_e32 v5, -1, v41, vcc
	v_xor_b32_e32 v34, v5, v34
	v_cmp_ne_u32_e32 vcc, s2, v34
	v_cndmask_b32_e32 v5, v41, v34, vcc
	v_lshrrev_b32_e32 v5, s16, v5
	v_and_b32_e32 v6, s28, v5
	v_lshl_add_u32 v5, v6, 4, v6
	v_add_lshl_u32 v48, v29, v5, 2
	v_and_b32_e32 v5, 1, v6
	v_add_co_u32_e32 v7, vcc, -1, v5
	v_addc_co_u32_e64 v42, s[0:1], 0, -1, vcc
	v_cmp_ne_u32_e32 vcc, 0, v5
	v_xor_b32_e32 v5, vcc_hi, v42
	v_and_b32_e32 v42, exec_hi, v5
	v_lshlrev_b32_e32 v5, 30, v6
	v_xor_b32_e32 v7, vcc_lo, v7
	v_cmp_gt_i64_e32 vcc, 0, v[4:5]
	v_not_b32_e32 v5, v5
	v_ashrrev_i32_e32 v5, 31, v5
	v_and_b32_e32 v7, exec_lo, v7
	v_xor_b32_e32 v43, vcc_hi, v5
	v_xor_b32_e32 v5, vcc_lo, v5
	v_and_b32_e32 v7, v7, v5
	v_lshlrev_b32_e32 v5, 29, v6
	v_cmp_gt_i64_e32 vcc, 0, v[4:5]
	v_not_b32_e32 v5, v5
	v_ashrrev_i32_e32 v5, 31, v5
	v_and_b32_e32 v42, v42, v43
	v_xor_b32_e32 v43, vcc_hi, v5
	v_xor_b32_e32 v5, vcc_lo, v5
	v_and_b32_e32 v7, v7, v5
	v_lshlrev_b32_e32 v5, 28, v6
	v_cmp_gt_i64_e32 vcc, 0, v[4:5]
	v_not_b32_e32 v5, v5
	v_ashrrev_i32_e32 v5, 31, v5
	v_and_b32_e32 v42, v42, v43
	;; [unrolled: 8-line block ×5, first 2 shown]
	v_xor_b32_e32 v43, vcc_hi, v5
	v_xor_b32_e32 v5, vcc_lo, v5
	v_and_b32_e32 v7, v7, v5
	v_lshlrev_b32_e32 v5, 24, v6
	v_cmp_gt_i64_e32 vcc, 0, v[4:5]
	v_not_b32_e32 v4, v5
	v_ashrrev_i32_e32 v4, 31, v4
	v_xor_b32_e32 v5, vcc_hi, v4
	v_xor_b32_e32 v4, vcc_lo, v4
	; wave barrier
	ds_read_b32 v41, v48 offset:64
	v_and_b32_e32 v42, v42, v43
	v_and_b32_e32 v4, v7, v4
	;; [unrolled: 1-line block ×3, first 2 shown]
	v_mbcnt_lo_u32_b32 v6, v4, 0
	v_mbcnt_hi_u32_b32 v43, v5, v6
	v_cmp_eq_u32_e32 vcc, 0, v43
	v_cmp_ne_u64_e64 s[0:1], 0, v[4:5]
	s_and_b64 s[2:3], s[0:1], vcc
	; wave barrier
	s_and_saveexec_b64 s[0:1], s[2:3]
	s_cbranch_execz .LBB1299_41
; %bb.40:
	v_bcnt_u32_b32 v4, v4, 0
	v_bcnt_u32_b32 v4, v5, v4
	s_waitcnt lgkmcnt(0)
	v_add_u32_e32 v4, v41, v4
	ds_write_b32 v48, v4 offset:64
.LBB1299_41:
	s_or_b64 exec, exec, s[0:1]
	v_bfrev_b32_e32 v46, 1
	v_cmp_lt_i32_e32 vcc, -1, v35
	v_cndmask_b32_e32 v4, -1, v46, vcc
	v_xor_b32_e32 v35, v4, v35
	s_brev_b32 s2, -2
	v_cmp_ne_u32_e32 vcc, s2, v35
	v_cndmask_b32_e32 v4, v46, v35, vcc
	v_lshrrev_b32_e32 v4, s16, v4
	v_and_b32_e32 v6, s28, v4
	v_and_b32_e32 v5, 1, v6
	v_add_co_u32_e32 v7, vcc, -1, v5
	v_addc_co_u32_e64 v42, s[0:1], 0, -1, vcc
	v_cmp_ne_u32_e32 vcc, 0, v5
	v_lshl_add_u32 v4, v6, 4, v6
	v_xor_b32_e32 v5, vcc_hi, v42
	v_add_lshl_u32 v52, v29, v4, 2
	v_mov_b32_e32 v4, 0
	v_and_b32_e32 v42, exec_hi, v5
	v_lshlrev_b32_e32 v5, 30, v6
	v_xor_b32_e32 v7, vcc_lo, v7
	v_cmp_gt_i64_e32 vcc, 0, v[4:5]
	v_not_b32_e32 v5, v5
	v_ashrrev_i32_e32 v5, 31, v5
	v_and_b32_e32 v7, exec_lo, v7
	v_xor_b32_e32 v47, vcc_hi, v5
	v_xor_b32_e32 v5, vcc_lo, v5
	v_and_b32_e32 v7, v7, v5
	v_lshlrev_b32_e32 v5, 29, v6
	v_cmp_gt_i64_e32 vcc, 0, v[4:5]
	v_not_b32_e32 v5, v5
	v_ashrrev_i32_e32 v5, 31, v5
	v_and_b32_e32 v42, v42, v47
	v_xor_b32_e32 v47, vcc_hi, v5
	v_xor_b32_e32 v5, vcc_lo, v5
	v_and_b32_e32 v7, v7, v5
	v_lshlrev_b32_e32 v5, 28, v6
	v_cmp_gt_i64_e32 vcc, 0, v[4:5]
	v_not_b32_e32 v5, v5
	v_ashrrev_i32_e32 v5, 31, v5
	v_and_b32_e32 v42, v42, v47
	;; [unrolled: 8-line block ×5, first 2 shown]
	v_xor_b32_e32 v47, vcc_hi, v5
	v_xor_b32_e32 v5, vcc_lo, v5
	v_and_b32_e32 v42, v42, v47
	v_and_b32_e32 v47, v7, v5
	v_lshlrev_b32_e32 v5, 24, v6
	v_cmp_gt_i64_e32 vcc, 0, v[4:5]
	v_not_b32_e32 v5, v5
	v_ashrrev_i32_e32 v5, 31, v5
	v_xor_b32_e32 v6, vcc_hi, v5
	v_xor_b32_e32 v5, vcc_lo, v5
	; wave barrier
	ds_read_b32 v45, v52 offset:64
	v_and_b32_e32 v7, v42, v6
	v_and_b32_e32 v6, v47, v5
	v_mbcnt_lo_u32_b32 v5, v6, 0
	v_mbcnt_hi_u32_b32 v47, v7, v5
	v_cmp_eq_u32_e32 vcc, 0, v47
	v_cmp_ne_u64_e64 s[0:1], 0, v[6:7]
	s_and_b64 s[8:9], s[0:1], vcc
	; wave barrier
	s_and_saveexec_b64 s[0:1], s[8:9]
	s_cbranch_execz .LBB1299_43
; %bb.42:
	v_bcnt_u32_b32 v5, v6, 0
	v_bcnt_u32_b32 v5, v7, v5
	s_waitcnt lgkmcnt(0)
	v_add_u32_e32 v5, v45, v5
	ds_write_b32 v52, v5 offset:64
.LBB1299_43:
	s_or_b64 exec, exec, s[0:1]
	v_cmp_lt_i32_e32 vcc, -1, v30
	v_cndmask_b32_e32 v5, -1, v46, vcc
	v_xor_b32_e32 v42, v5, v30
	v_cmp_ne_u32_e32 vcc, s2, v42
	v_cndmask_b32_e32 v5, v46, v42, vcc
	v_lshrrev_b32_e32 v5, s16, v5
	v_and_b32_e32 v6, s28, v5
	v_lshl_add_u32 v5, v6, 4, v6
	v_add_lshl_u32 v30, v29, v5, 2
	v_and_b32_e32 v5, 1, v6
	v_add_co_u32_e32 v7, vcc, -1, v5
	v_addc_co_u32_e64 v46, s[0:1], 0, -1, vcc
	v_cmp_ne_u32_e32 vcc, 0, v5
	v_xor_b32_e32 v5, vcc_hi, v46
	v_and_b32_e32 v46, exec_hi, v5
	v_lshlrev_b32_e32 v5, 30, v6
	v_xor_b32_e32 v7, vcc_lo, v7
	v_cmp_gt_i64_e32 vcc, 0, v[4:5]
	v_not_b32_e32 v5, v5
	v_ashrrev_i32_e32 v5, 31, v5
	v_and_b32_e32 v7, exec_lo, v7
	v_xor_b32_e32 v50, vcc_hi, v5
	v_xor_b32_e32 v5, vcc_lo, v5
	v_and_b32_e32 v7, v7, v5
	v_lshlrev_b32_e32 v5, 29, v6
	v_cmp_gt_i64_e32 vcc, 0, v[4:5]
	v_not_b32_e32 v5, v5
	v_ashrrev_i32_e32 v5, 31, v5
	v_and_b32_e32 v46, v46, v50
	v_xor_b32_e32 v50, vcc_hi, v5
	v_xor_b32_e32 v5, vcc_lo, v5
	v_and_b32_e32 v7, v7, v5
	v_lshlrev_b32_e32 v5, 28, v6
	v_cmp_gt_i64_e32 vcc, 0, v[4:5]
	v_not_b32_e32 v5, v5
	v_ashrrev_i32_e32 v5, 31, v5
	v_and_b32_e32 v46, v46, v50
	;; [unrolled: 8-line block ×5, first 2 shown]
	v_xor_b32_e32 v50, vcc_hi, v5
	v_xor_b32_e32 v5, vcc_lo, v5
	v_and_b32_e32 v7, v7, v5
	v_lshlrev_b32_e32 v5, 24, v6
	v_cmp_gt_i64_e32 vcc, 0, v[4:5]
	v_not_b32_e32 v4, v5
	v_ashrrev_i32_e32 v4, 31, v4
	v_xor_b32_e32 v5, vcc_hi, v4
	v_xor_b32_e32 v4, vcc_lo, v4
	; wave barrier
	ds_read_b32 v49, v30 offset:64
	v_and_b32_e32 v46, v46, v50
	v_and_b32_e32 v4, v7, v4
	;; [unrolled: 1-line block ×3, first 2 shown]
	v_mbcnt_lo_u32_b32 v6, v4, 0
	v_mbcnt_hi_u32_b32 v51, v5, v6
	v_cmp_eq_u32_e32 vcc, 0, v51
	v_cmp_ne_u64_e64 s[0:1], 0, v[4:5]
	s_and_b64 s[2:3], s[0:1], vcc
	; wave barrier
	s_and_saveexec_b64 s[0:1], s[2:3]
	s_cbranch_execz .LBB1299_45
; %bb.44:
	v_bcnt_u32_b32 v4, v4, 0
	v_bcnt_u32_b32 v4, v5, v4
	s_waitcnt lgkmcnt(0)
	v_add_u32_e32 v4, v49, v4
	ds_write_b32 v30, v4 offset:64
.LBB1299_45:
	s_or_b64 exec, exec, s[0:1]
	v_bfrev_b32_e32 v55, 1
	v_cmp_lt_i32_e32 vcc, -1, v11
	v_cndmask_b32_e32 v4, -1, v55, vcc
	v_xor_b32_e32 v46, v4, v11
	s_brev_b32 s2, -2
	v_cmp_ne_u32_e32 vcc, s2, v46
	v_cndmask_b32_e32 v4, v55, v46, vcc
	v_lshrrev_b32_e32 v4, s16, v4
	v_and_b32_e32 v6, s28, v4
	v_and_b32_e32 v5, 1, v6
	v_add_co_u32_e32 v7, vcc, -1, v5
	v_addc_co_u32_e64 v50, s[0:1], 0, -1, vcc
	v_cmp_ne_u32_e32 vcc, 0, v5
	v_lshl_add_u32 v4, v6, 4, v6
	v_xor_b32_e32 v5, vcc_hi, v50
	v_add_lshl_u32 v11, v29, v4, 2
	v_mov_b32_e32 v4, 0
	v_and_b32_e32 v50, exec_hi, v5
	v_lshlrev_b32_e32 v5, 30, v6
	v_xor_b32_e32 v7, vcc_lo, v7
	v_cmp_gt_i64_e32 vcc, 0, v[4:5]
	v_not_b32_e32 v5, v5
	v_ashrrev_i32_e32 v5, 31, v5
	v_and_b32_e32 v7, exec_lo, v7
	v_xor_b32_e32 v54, vcc_hi, v5
	v_xor_b32_e32 v5, vcc_lo, v5
	v_and_b32_e32 v7, v7, v5
	v_lshlrev_b32_e32 v5, 29, v6
	v_cmp_gt_i64_e32 vcc, 0, v[4:5]
	v_not_b32_e32 v5, v5
	v_ashrrev_i32_e32 v5, 31, v5
	v_and_b32_e32 v50, v50, v54
	v_xor_b32_e32 v54, vcc_hi, v5
	v_xor_b32_e32 v5, vcc_lo, v5
	v_and_b32_e32 v7, v7, v5
	v_lshlrev_b32_e32 v5, 28, v6
	v_cmp_gt_i64_e32 vcc, 0, v[4:5]
	v_not_b32_e32 v5, v5
	v_ashrrev_i32_e32 v5, 31, v5
	v_and_b32_e32 v50, v50, v54
	;; [unrolled: 8-line block ×5, first 2 shown]
	v_xor_b32_e32 v54, vcc_hi, v5
	v_xor_b32_e32 v5, vcc_lo, v5
	v_and_b32_e32 v50, v50, v54
	v_and_b32_e32 v54, v7, v5
	v_lshlrev_b32_e32 v5, 24, v6
	v_cmp_gt_i64_e32 vcc, 0, v[4:5]
	v_not_b32_e32 v5, v5
	v_ashrrev_i32_e32 v5, 31, v5
	v_xor_b32_e32 v6, vcc_hi, v5
	v_xor_b32_e32 v5, vcc_lo, v5
	; wave barrier
	ds_read_b32 v53, v11 offset:64
	v_and_b32_e32 v7, v50, v6
	v_and_b32_e32 v6, v54, v5
	v_mbcnt_lo_u32_b32 v5, v6, 0
	v_mbcnt_hi_u32_b32 v54, v7, v5
	v_cmp_eq_u32_e32 vcc, 0, v54
	v_cmp_ne_u64_e64 s[0:1], 0, v[6:7]
	s_and_b64 s[8:9], s[0:1], vcc
	; wave barrier
	s_and_saveexec_b64 s[0:1], s[8:9]
	s_cbranch_execz .LBB1299_47
; %bb.46:
	v_bcnt_u32_b32 v5, v6, 0
	v_bcnt_u32_b32 v5, v7, v5
	s_waitcnt lgkmcnt(0)
	v_add_u32_e32 v5, v53, v5
	ds_write_b32 v11, v5 offset:64
.LBB1299_47:
	s_or_b64 exec, exec, s[0:1]
	v_cmp_lt_i32_e32 vcc, -1, v9
	v_cndmask_b32_e32 v5, -1, v55, vcc
	v_xor_b32_e32 v50, v5, v9
	v_cmp_ne_u32_e32 vcc, s2, v50
	v_cndmask_b32_e32 v5, v55, v50, vcc
	v_lshrrev_b32_e32 v5, s16, v5
	v_and_b32_e32 v6, s28, v5
	v_lshl_add_u32 v5, v6, 4, v6
	v_add_lshl_u32 v9, v5, v29, 2
	v_and_b32_e32 v5, 1, v6
	v_add_co_u32_e32 v7, vcc, -1, v5
	v_addc_co_u32_e64 v29, s[0:1], 0, -1, vcc
	v_cmp_ne_u32_e32 vcc, 0, v5
	v_xor_b32_e32 v5, vcc_hi, v29
	v_and_b32_e32 v29, exec_hi, v5
	v_lshlrev_b32_e32 v5, 30, v6
	v_xor_b32_e32 v7, vcc_lo, v7
	v_cmp_gt_i64_e32 vcc, 0, v[4:5]
	v_not_b32_e32 v5, v5
	v_ashrrev_i32_e32 v5, 31, v5
	v_and_b32_e32 v7, exec_lo, v7
	v_xor_b32_e32 v56, vcc_hi, v5
	v_xor_b32_e32 v5, vcc_lo, v5
	v_and_b32_e32 v7, v7, v5
	v_lshlrev_b32_e32 v5, 29, v6
	v_cmp_gt_i64_e32 vcc, 0, v[4:5]
	v_not_b32_e32 v5, v5
	v_ashrrev_i32_e32 v5, 31, v5
	v_and_b32_e32 v29, v29, v56
	v_xor_b32_e32 v56, vcc_hi, v5
	v_xor_b32_e32 v5, vcc_lo, v5
	v_and_b32_e32 v7, v7, v5
	v_lshlrev_b32_e32 v5, 28, v6
	v_cmp_gt_i64_e32 vcc, 0, v[4:5]
	v_not_b32_e32 v5, v5
	v_ashrrev_i32_e32 v5, 31, v5
	v_and_b32_e32 v29, v29, v56
	;; [unrolled: 8-line block ×5, first 2 shown]
	v_xor_b32_e32 v56, vcc_hi, v5
	v_xor_b32_e32 v5, vcc_lo, v5
	v_and_b32_e32 v7, v7, v5
	v_lshlrev_b32_e32 v5, 24, v6
	v_cmp_gt_i64_e32 vcc, 0, v[4:5]
	v_not_b32_e32 v4, v5
	v_ashrrev_i32_e32 v4, 31, v4
	v_xor_b32_e32 v5, vcc_hi, v4
	v_xor_b32_e32 v4, vcc_lo, v4
	; wave barrier
	ds_read_b32 v55, v9 offset:64
	v_and_b32_e32 v29, v29, v56
	v_and_b32_e32 v4, v7, v4
	;; [unrolled: 1-line block ×3, first 2 shown]
	v_mbcnt_lo_u32_b32 v6, v4, 0
	v_mbcnt_hi_u32_b32 v56, v5, v6
	v_cmp_eq_u32_e32 vcc, 0, v56
	v_cmp_ne_u64_e64 s[0:1], 0, v[4:5]
	v_add_u32_e32 v57, 64, v3
	s_and_b64 s[2:3], s[0:1], vcc
	; wave barrier
	s_and_saveexec_b64 s[0:1], s[2:3]
	s_cbranch_execz .LBB1299_49
; %bb.48:
	v_bcnt_u32_b32 v4, v4, 0
	v_bcnt_u32_b32 v4, v5, v4
	s_waitcnt lgkmcnt(0)
	v_add_u32_e32 v4, v55, v4
	ds_write_b32 v9, v4 offset:64
.LBB1299_49:
	s_or_b64 exec, exec, s[0:1]
	; wave barrier
	s_waitcnt lgkmcnt(0)
	s_barrier
	ds_read2_b32 v[6:7], v3 offset0:16 offset1:17
	ds_read2_b32 v[4:5], v57 offset0:2 offset1:3
	ds_read_b32 v29, v57 offset:16
	v_cmp_lt_u32_e64 s[10:11], 31, v1
	s_waitcnt lgkmcnt(1)
	v_add3_u32 v58, v7, v6, v4
	s_waitcnt lgkmcnt(0)
	v_add3_u32 v29, v58, v5, v29
	v_and_b32_e32 v58, 15, v1
	v_cmp_eq_u32_e32 vcc, 0, v58
	v_mov_b32_dpp v59, v29 row_shr:1 row_mask:0xf bank_mask:0xf
	v_cndmask_b32_e64 v59, v59, 0, vcc
	v_add_u32_e32 v29, v59, v29
	v_cmp_lt_u32_e64 s[0:1], 1, v58
	v_cmp_lt_u32_e64 s[2:3], 3, v58
	v_mov_b32_dpp v59, v29 row_shr:2 row_mask:0xf bank_mask:0xf
	v_cndmask_b32_e64 v59, 0, v59, s[0:1]
	v_add_u32_e32 v29, v29, v59
	v_cmp_lt_u32_e64 s[8:9], 7, v58
	s_nop 0
	v_mov_b32_dpp v59, v29 row_shr:4 row_mask:0xf bank_mask:0xf
	v_cndmask_b32_e64 v59, 0, v59, s[2:3]
	v_add_u32_e32 v29, v29, v59
	s_nop 1
	v_mov_b32_dpp v59, v29 row_shr:8 row_mask:0xf bank_mask:0xf
	v_cndmask_b32_e64 v58, 0, v59, s[8:9]
	v_add_u32_e32 v29, v29, v58
	v_bfe_i32 v59, v1, 4, 1
	s_nop 0
	v_mov_b32_dpp v58, v29 row_bcast:15 row_mask:0xf bank_mask:0xf
	v_and_b32_e32 v58, v59, v58
	v_add_u32_e32 v29, v29, v58
	v_lshrrev_b32_e32 v59, 6, v2
	s_nop 0
	v_mov_b32_dpp v58, v29 row_bcast:31 row_mask:0xf bank_mask:0xf
	v_cndmask_b32_e64 v58, 0, v58, s[10:11]
	v_add_u32_e32 v58, v29, v58
	v_and_b32_e32 v29, 63, v2
	v_cmp_eq_u32_e64 s[10:11], 63, v29
	s_and_saveexec_b64 s[18:19], s[10:11]
	s_cbranch_execz .LBB1299_51
; %bb.50:
	v_lshlrev_b32_e32 v29, 2, v59
	ds_write_b32 v29, v58
.LBB1299_51:
	s_or_b64 exec, exec, s[18:19]
	v_cmp_gt_u32_e64 s[10:11], 16, v2
	v_lshlrev_b32_e32 v29, 2, v2
	s_waitcnt lgkmcnt(0)
	s_barrier
	s_and_saveexec_b64 s[18:19], s[10:11]
	s_cbranch_execz .LBB1299_53
; %bb.52:
	ds_read_b32 v60, v29
	s_waitcnt lgkmcnt(0)
	s_nop 0
	v_mov_b32_dpp v61, v60 row_shr:1 row_mask:0xf bank_mask:0xf
	v_cndmask_b32_e64 v61, v61, 0, vcc
	v_add_u32_e32 v60, v61, v60
	s_nop 1
	v_mov_b32_dpp v61, v60 row_shr:2 row_mask:0xf bank_mask:0xf
	v_cndmask_b32_e64 v61, 0, v61, s[0:1]
	v_add_u32_e32 v60, v60, v61
	s_nop 1
	v_mov_b32_dpp v61, v60 row_shr:4 row_mask:0xf bank_mask:0xf
	v_cndmask_b32_e64 v61, 0, v61, s[2:3]
	v_add_u32_e32 v60, v60, v61
	s_nop 1
	v_mov_b32_dpp v61, v60 row_shr:8 row_mask:0xf bank_mask:0xf
	v_cndmask_b32_e64 v61, 0, v61, s[8:9]
	v_add_u32_e32 v60, v60, v61
	ds_write_b32 v29, v60
.LBB1299_53:
	s_or_b64 exec, exec, s[18:19]
	v_cmp_lt_u32_e32 vcc, 63, v2
	v_mov_b32_e32 v60, 0
	s_waitcnt lgkmcnt(0)
	s_barrier
	s_and_saveexec_b64 s[0:1], vcc
	s_cbranch_execz .LBB1299_55
; %bb.54:
	v_lshl_add_u32 v59, v59, 2, -4
	ds_read_b32 v60, v59
.LBB1299_55:
	s_or_b64 exec, exec, s[0:1]
	v_add_u32_e32 v59, -1, v1
	v_and_b32_e32 v61, 64, v1
	v_cmp_lt_i32_e32 vcc, v59, v61
	v_cndmask_b32_e32 v59, v59, v1, vcc
	s_waitcnt lgkmcnt(0)
	v_add_u32_e32 v58, v60, v58
	v_lshlrev_b32_e32 v59, 2, v59
	ds_bpermute_b32 v58, v59, v58
	v_cmp_eq_u32_e32 vcc, 0, v1
	s_movk_i32 s2, 0xff
	s_movk_i32 s0, 0x100
	v_cmp_gt_u32_e64 s[0:1], s0, v2
	s_waitcnt lgkmcnt(0)
	v_cndmask_b32_e32 v1, v58, v60, vcc
	v_cmp_ne_u32_e32 vcc, 0, v2
	v_cndmask_b32_e32 v1, 0, v1, vcc
	v_add_u32_e32 v6, v1, v6
	v_add_u32_e32 v7, v6, v7
	;; [unrolled: 1-line block ×4, first 2 shown]
	ds_write2_b32 v3, v1, v6 offset0:16 offset1:17
	ds_write2_b32 v57, v7, v4 offset0:2 offset1:3
	ds_write_b32 v57, v5 offset:16
	s_waitcnt lgkmcnt(0)
	s_barrier
	ds_read_b32 v59, v8 offset:64
	ds_read_b32 v1, v10 offset:64
	;; [unrolled: 1-line block ×12, first 2 shown]
	v_cmp_lt_u32_e32 vcc, s2, v2
	v_pk_mov_b32 v[4:5], 0, 0
                                        ; implicit-def: $vgpr30
	s_and_saveexec_b64 s[8:9], s[0:1]
	s_cbranch_execz .LBB1299_59
; %bb.56:
	v_mul_u32_u24_e32 v3, 17, v2
	v_lshlrev_b32_e32 v5, 2, v3
	ds_read_b32 v4, v5 offset:64
	v_cmp_ne_u32_e64 s[2:3], s2, v2
	v_mov_b32_e32 v3, 0x3000
	s_and_saveexec_b64 s[10:11], s[2:3]
	s_cbranch_execz .LBB1299_58
; %bb.57:
	ds_read_b32 v3, v5 offset:132
.LBB1299_58:
	s_or_b64 exec, exec, s[10:11]
	s_waitcnt lgkmcnt(0)
	v_sub_u32_e32 v30, v3, v4
	v_mov_b32_e32 v5, 0
.LBB1299_59:
	s_or_b64 exec, exec, s[8:9]
	s_waitcnt lgkmcnt(0)
	s_barrier
	s_and_saveexec_b64 s[2:3], vcc
	s_xor_b64 s[2:3], exec, s[2:3]
; %bb.60:
	v_mov_b32_e32 v3, 0
; %bb.61:
	s_andn2_saveexec_b64 s[2:3], s[2:3]
	s_cbranch_execz .LBB1299_71
; %bb.62:
	v_lshl_or_b32 v6, s6, 8, v2
	v_mov_b32_e32 v7, 0
	v_lshlrev_b64 v[8:9], 2, v[6:7]
	v_mov_b32_e32 v3, s25
	v_add_co_u32_e32 v8, vcc, s24, v8
	v_addc_co_u32_e32 v9, vcc, v3, v9, vcc
	v_or_b32_e32 v6, 2.0, v30
	s_mov_b64 s[8:9], 0
	s_brev_b32 s29, 1
	s_mov_b32 s30, s6
	v_mov_b32_e32 v61, 0
	global_store_dword v[8:9], v6, off
                                        ; implicit-def: $sgpr10_sgpr11
	s_branch .LBB1299_64
.LBB1299_63:                            ;   in Loop: Header=BB1299_64 Depth=1
	s_or_b64 exec, exec, s[10:11]
	v_and_b32_e32 v10, 0x3fffffff, v62
	v_add_u32_e32 v61, v10, v61
	v_cmp_eq_u32_e64 s[10:11], s29, v6
	s_and_b64 s[18:19], exec, s[10:11]
	s_or_b64 s[8:9], s[18:19], s[8:9]
	s_andn2_b64 exec, exec, s[8:9]
	s_cbranch_execz .LBB1299_70
.LBB1299_64:                            ; =>This Loop Header: Depth=1
                                        ;     Child Loop BB1299_67 Depth 2
	s_or_b64 s[10:11], s[10:11], exec
	s_cmp_eq_u32 s30, 0
	s_cbranch_scc1 .LBB1299_69
; %bb.65:                               ;   in Loop: Header=BB1299_64 Depth=1
	s_add_i32 s30, s30, -1
	v_lshl_or_b32 v6, s30, 8, v2
	v_lshlrev_b64 v[10:11], 2, v[6:7]
	v_add_co_u32_e32 v10, vcc, s24, v10
	v_addc_co_u32_e32 v11, vcc, v3, v11, vcc
	global_load_dword v62, v[10:11], off glc
	s_waitcnt vmcnt(0)
	v_and_b32_e32 v6, -2.0, v62
	v_cmp_eq_u32_e32 vcc, 0, v6
	s_and_saveexec_b64 s[10:11], vcc
	s_cbranch_execz .LBB1299_63
; %bb.66:                               ;   in Loop: Header=BB1299_64 Depth=1
	s_mov_b64 s[18:19], 0
.LBB1299_67:                            ;   Parent Loop BB1299_64 Depth=1
                                        ; =>  This Inner Loop Header: Depth=2
	global_load_dword v62, v[10:11], off glc
	s_waitcnt vmcnt(0)
	v_and_b32_e32 v6, -2.0, v62
	v_cmp_ne_u32_e32 vcc, 0, v6
	s_or_b64 s[18:19], vcc, s[18:19]
	s_andn2_b64 exec, exec, s[18:19]
	s_cbranch_execnz .LBB1299_67
; %bb.68:                               ;   in Loop: Header=BB1299_64 Depth=1
	s_or_b64 exec, exec, s[18:19]
	s_branch .LBB1299_63
.LBB1299_69:                            ;   in Loop: Header=BB1299_64 Depth=1
                                        ; implicit-def: $sgpr30
	s_and_b64 s[18:19], exec, s[10:11]
	s_or_b64 s[8:9], s[18:19], s[8:9]
	s_andn2_b64 exec, exec, s[8:9]
	s_cbranch_execnz .LBB1299_64
.LBB1299_70:
	s_or_b64 exec, exec, s[8:9]
	v_add_u32_e32 v3, v61, v30
	v_or_b32_e32 v3, 0x80000000, v3
	global_store_dword v[8:9], v3, off
	v_lshlrev_b32_e32 v8, 3, v2
	global_load_dwordx2 v[6:7], v8, s[12:13]
	v_sub_co_u32_e32 v9, vcc, v61, v4
	v_subb_co_u32_e32 v10, vcc, 0, v5, vcc
	v_mov_b32_e32 v3, 0
	s_waitcnt vmcnt(0)
	v_add_co_u32_e32 v6, vcc, v9, v6
	v_addc_co_u32_e32 v7, vcc, v10, v7, vcc
	ds_write_b64 v8, v[6:7]
.LBB1299_71:
	s_or_b64 exec, exec, s[2:3]
	v_add3_u32 v33, v36, v40, v33
	v_add3_u32 v27, v31, v37, v27
	v_lshlrev_b64 v[36:37], 2, v[2:3]
	v_add3_u32 v17, v19, v1, v17
	v_mov_b32_e32 v1, s23
	v_add_co_u32_e32 v6, vcc, s22, v36
	v_add_u32_e32 v7, v59, v16
	v_add_u32_e32 v8, 0x800, v29
	v_add3_u32 v9, v56, v60, v55
	v_add3_u32 v10, v54, v52, v53
	;; [unrolled: 1-line block ×8, first 2 shown]
	v_addc_co_u32_e32 v1, vcc, v1, v37, vcc
	s_mov_b32 s8, 0
	s_brev_b32 s9, -2
	v_bfrev_b32_e32 v19, 1
	s_mov_b32 s10, 0
	s_branch .LBB1299_73
.LBB1299_72:                            ;   in Loop: Header=BB1299_73 Depth=1
	s_or_b64 exec, exec, s[2:3]
	s_addk_i32 s10, 0x1000
	s_addk_i32 s8, 0xf000
	v_add_co_u32_e32 v6, vcc, 0x4000, v6
	s_cmpk_eq_i32 s8, 0xd000
	v_addc_co_u32_e32 v1, vcc, 0, v1, vcc
	s_barrier
	s_cbranch_scc1 .LBB1299_82
.LBB1299_73:                            ; =>This Inner Loop Header: Depth=1
	v_add_u32_e32 v22, s8, v7
	v_min_u32_e32 v22, 0x1000, v22
	v_lshlrev_b32_e32 v22, 2, v22
	ds_write_b32 v22, v13 offset:2048
	v_add_u32_e32 v22, s8, v17
	v_min_u32_e32 v22, 0x1000, v22
	v_lshlrev_b32_e32 v22, 2, v22
	ds_write_b32 v22, v14 offset:2048
	v_add_u32_e32 v22, s8, v20
	v_min_u32_e32 v22, 0x1000, v22
	v_lshlrev_b32_e32 v22, 2, v22
	ds_write_b32 v22, v15 offset:2048
	v_add_u32_e32 v22, s8, v23
	v_min_u32_e32 v22, 0x1000, v22
	v_lshlrev_b32_e32 v22, 2, v22
	ds_write_b32 v22, v18 offset:2048
	v_add_u32_e32 v22, s8, v27
	v_min_u32_e32 v22, 0x1000, v22
	v_lshlrev_b32_e32 v22, 2, v22
	ds_write_b32 v22, v21 offset:2048
	v_add_u32_e32 v22, s8, v33
	v_min_u32_e32 v22, 0x1000, v22
	v_lshlrev_b32_e32 v22, 2, v22
	ds_write_b32 v22, v24 offset:2048
	v_add_u32_e32 v22, s8, v32
	v_min_u32_e32 v22, 0x1000, v22
	v_lshlrev_b32_e32 v22, 2, v22
	ds_write_b32 v22, v28 offset:2048
	v_add_u32_e32 v22, s8, v26
	v_min_u32_e32 v22, 0x1000, v22
	v_lshlrev_b32_e32 v22, 2, v22
	ds_write_b32 v22, v34 offset:2048
	v_add_u32_e32 v22, s8, v16
	v_min_u32_e32 v22, 0x1000, v22
	v_lshlrev_b32_e32 v22, 2, v22
	ds_write_b32 v22, v35 offset:2048
	v_add_u32_e32 v22, s8, v11
	v_min_u32_e32 v22, 0x1000, v22
	v_lshlrev_b32_e32 v22, 2, v22
	ds_write_b32 v22, v42 offset:2048
	v_add_u32_e32 v22, s8, v10
	v_min_u32_e32 v22, 0x1000, v22
	v_lshlrev_b32_e32 v22, 2, v22
	ds_write_b32 v22, v46 offset:2048
	v_add_u32_e32 v22, s8, v9
	v_min_u32_e32 v22, 0x1000, v22
	v_lshlrev_b32_e32 v22, 2, v22
	ds_write_b32 v22, v50 offset:2048
	v_add_u32_e32 v22, s10, v2
	v_cmp_gt_u32_e32 vcc, s7, v22
	s_waitcnt lgkmcnt(0)
	s_barrier
	s_and_saveexec_b64 s[2:3], vcc
	s_cbranch_execz .LBB1299_75
; %bb.74:                               ;   in Loop: Header=BB1299_73 Depth=1
	ds_read_b32 v25, v29 offset:2048
	s_waitcnt lgkmcnt(0)
	v_cmp_ne_u32_e32 vcc, s9, v25
	v_cndmask_b32_e32 v31, v19, v25, vcc
	v_lshrrev_b32_e32 v31, s16, v31
	v_and_b32_e32 v31, s28, v31
	v_lshlrev_b32_e32 v31, 3, v31
	ds_read_b64 v[36:37], v31
	v_cmp_lt_i32_e32 vcc, -1, v25
	v_cndmask_b32_e64 v31, v19, -1, vcc
	v_xor_b32_e32 v25, v31, v25
	s_waitcnt lgkmcnt(0)
	v_lshlrev_b64 v[36:37], 2, v[36:37]
	v_add_co_u32_e32 v36, vcc, v6, v36
	v_addc_co_u32_e32 v37, vcc, v1, v37, vcc
	global_store_dword v[36:37], v25, off
.LBB1299_75:                            ;   in Loop: Header=BB1299_73 Depth=1
	s_or_b64 exec, exec, s[2:3]
	v_add_u32_e32 v25, 0x400, v22
	v_cmp_gt_u32_e32 vcc, s7, v25
	s_and_saveexec_b64 s[2:3], vcc
	s_cbranch_execz .LBB1299_77
; %bb.76:                               ;   in Loop: Header=BB1299_73 Depth=1
	ds_read_b32 v25, v8 offset:4096
	s_waitcnt lgkmcnt(0)
	v_cmp_ne_u32_e32 vcc, s9, v25
	v_cndmask_b32_e32 v31, v19, v25, vcc
	v_lshrrev_b32_e32 v31, s16, v31
	v_and_b32_e32 v31, s28, v31
	v_lshlrev_b32_e32 v31, 3, v31
	ds_read_b64 v[36:37], v31
	v_cmp_lt_i32_e32 vcc, -1, v25
	v_cndmask_b32_e64 v31, v19, -1, vcc
	v_xor_b32_e32 v25, v31, v25
	s_waitcnt lgkmcnt(0)
	v_lshlrev_b64 v[36:37], 2, v[36:37]
	v_add_co_u32_e32 v31, vcc, v6, v36
	v_addc_co_u32_e32 v37, vcc, v1, v37, vcc
	v_add_co_u32_e32 v36, vcc, 0x1000, v31
	v_addc_co_u32_e32 v37, vcc, 0, v37, vcc
	global_store_dword v[36:37], v25, off
.LBB1299_77:                            ;   in Loop: Header=BB1299_73 Depth=1
	s_or_b64 exec, exec, s[2:3]
	v_add_u32_e32 v25, 0x800, v22
	v_cmp_gt_u32_e32 vcc, s7, v25
	s_and_saveexec_b64 s[2:3], vcc
	s_cbranch_execz .LBB1299_79
; %bb.78:                               ;   in Loop: Header=BB1299_73 Depth=1
	ds_read_b32 v25, v8 offset:8192
	s_waitcnt lgkmcnt(0)
	v_cmp_ne_u32_e32 vcc, s9, v25
	v_cndmask_b32_e32 v31, v19, v25, vcc
	v_lshrrev_b32_e32 v31, s16, v31
	v_and_b32_e32 v31, s28, v31
	v_lshlrev_b32_e32 v31, 3, v31
	ds_read_b64 v[36:37], v31
	v_cmp_lt_i32_e32 vcc, -1, v25
	v_cndmask_b32_e64 v31, v19, -1, vcc
	v_xor_b32_e32 v25, v31, v25
	s_waitcnt lgkmcnt(0)
	v_lshlrev_b64 v[36:37], 2, v[36:37]
	v_add_co_u32_e32 v31, vcc, v6, v36
	v_addc_co_u32_e32 v37, vcc, v1, v37, vcc
	v_add_co_u32_e32 v36, vcc, 0x2000, v31
	v_addc_co_u32_e32 v37, vcc, 0, v37, vcc
	global_store_dword v[36:37], v25, off
.LBB1299_79:                            ;   in Loop: Header=BB1299_73 Depth=1
	s_or_b64 exec, exec, s[2:3]
	v_add_u32_e32 v22, 0xc00, v22
	v_cmp_gt_u32_e32 vcc, s7, v22
	s_and_saveexec_b64 s[2:3], vcc
	s_cbranch_execz .LBB1299_72
; %bb.80:                               ;   in Loop: Header=BB1299_73 Depth=1
	ds_read_b32 v22, v8 offset:12288
	s_waitcnt lgkmcnt(0)
	v_cmp_ne_u32_e32 vcc, s9, v22
	v_cndmask_b32_e32 v25, v19, v22, vcc
	v_lshrrev_b32_e32 v25, s16, v25
	v_and_b32_e32 v25, s28, v25
	v_lshlrev_b32_e32 v25, 3, v25
	ds_read_b64 v[36:37], v25
	v_cmp_lt_i32_e32 vcc, -1, v22
	v_cndmask_b32_e64 v25, v19, -1, vcc
	v_xor_b32_e32 v22, v25, v22
	s_waitcnt lgkmcnt(0)
	v_lshlrev_b64 v[36:37], 2, v[36:37]
	v_add_co_u32_e32 v25, vcc, v6, v36
	v_addc_co_u32_e32 v31, vcc, v1, v37, vcc
	v_add_co_u32_e32 v36, vcc, 0x3000, v25
	v_addc_co_u32_e32 v37, vcc, 0, v31, vcc
	global_store_dword v[36:37], v22, off
	s_branch .LBB1299_72
.LBB1299_81:
	s_mov_b64 s[0:1], 0
                                        ; implicit-def: $vgpr2
                                        ; implicit-def: $vgpr4_vgpr5
                                        ; implicit-def: $vgpr30
	s_cbranch_execnz .LBB1299_83
	s_branch .LBB1299_132
.LBB1299_82:
	s_add_i32 s27, s27, -1
	s_cmp_eq_u32 s27, s6
	s_cselect_b64 s[2:3], -1, 0
	s_and_b64 s[0:1], s[0:1], s[2:3]
	s_branch .LBB1299_132
.LBB1299_83:
	s_mov_b32 s27, 0
	v_mbcnt_hi_u32_b32 v3, -1, v12
	s_lshl_b64 s[0:1], s[26:27], 2
	v_and_b32_e32 v1, 63, v3
	s_add_u32 s0, s20, s0
	v_lshlrev_b32_e32 v1, 2, v1
	v_and_b32_e32 v2, 0x3ff, v0
	v_add_co_u32_e32 v1, vcc, s0, v1
	s_load_dword s7, s[4:5], 0x58
	s_load_dword s0, s[4:5], 0x64
	s_addc_u32 s1, s21, s1
	v_and_b32_e32 v5, 0x3c0, v2
	v_mul_u32_u24_e32 v5, 12, v5
	v_mov_b32_e32 v6, s1
	v_addc_co_u32_e32 v6, vcc, 0, v6, vcc
	v_lshlrev_b32_e32 v5, 2, v5
	v_add_co_u32_e32 v14, vcc, v1, v5
	s_add_u32 s1, s4, 0x58
	v_addc_co_u32_e32 v15, vcc, 0, v6, vcc
	s_addc_u32 s2, s5, 0
	s_waitcnt lgkmcnt(0)
	s_lshr_b32 s3, s0, 16
	global_load_dword v1, v[14:15], off
	s_cmp_lt_u32 s6, s7
	s_cselect_b32 s0, 12, 18
	s_add_u32 s0, s1, s0
	v_mov_b32_e32 v4, 0
	s_addc_u32 s1, s2, 0
	global_load_ushort v5, v4, s[0:1]
	v_mul_u32_u24_e32 v6, 5, v2
	v_lshlrev_b32_e32 v6, 2, v6
	ds_write2_b32 v6, v4, v4 offset0:16 offset1:17
	ds_write2_b32 v6, v4, v4 offset0:18 offset1:19
	ds_write_b32 v6, v4 offset:80
	global_load_dword v11, v[14:15], off offset:256
	global_load_dword v12, v[14:15], off offset:512
	;; [unrolled: 1-line block ×11, first 2 shown]
	v_bfrev_b32_e32 v8, 1
	v_bfe_u32 v7, v0, 10, 10
	v_bfe_u32 v0, v0, 20, 10
	v_mad_u32_u24 v0, v0, s3, v7
	s_brev_b32 s2, -2
	s_lshl_b32 s0, -1, s17
	s_not_b32 s17, s0
	s_waitcnt lgkmcnt(0)
	s_barrier
	s_waitcnt lgkmcnt(0)
	; wave barrier
	s_waitcnt vmcnt(12)
	v_cmp_lt_i32_e32 vcc, -1, v1
	v_cndmask_b32_e32 v7, -1, v8, vcc
	v_xor_b32_e32 v10, v7, v1
	v_cmp_ne_u32_e32 vcc, s2, v10
	v_cndmask_b32_e32 v7, v8, v10, vcc
	s_waitcnt vmcnt(11)
	v_mad_u64_u32 v[0:1], s[0:1], v0, v5, v[2:3]
	v_lshrrev_b32_e32 v1, s16, v7
	v_lshrrev_b32_e32 v22, 6, v0
	v_and_b32_e32 v0, s17, v1
	v_lshl_add_u32 v1, v0, 4, v0
	v_and_b32_e32 v14, 1, v0
	v_add_lshl_u32 v7, v22, v1, 2
	v_add_co_u32_e32 v1, vcc, -1, v14
	v_lshlrev_b32_e32 v5, 30, v0
	v_addc_co_u32_e64 v15, s[0:1], 0, -1, vcc
	v_cmp_ne_u32_e32 vcc, 0, v14
	v_cmp_gt_i64_e64 s[0:1], 0, v[4:5]
	v_not_b32_e32 v14, v5
	v_lshlrev_b32_e32 v5, 29, v0
	v_xor_b32_e32 v15, vcc_hi, v15
	v_xor_b32_e32 v1, vcc_lo, v1
	v_ashrrev_i32_e32 v14, 31, v14
	v_cmp_gt_i64_e32 vcc, 0, v[4:5]
	v_not_b32_e32 v17, v5
	v_lshlrev_b32_e32 v5, 28, v0
	v_and_b32_e32 v15, exec_hi, v15
	v_and_b32_e32 v1, exec_lo, v1
	v_xor_b32_e32 v18, s1, v14
	v_xor_b32_e32 v14, s0, v14
	v_ashrrev_i32_e32 v17, 31, v17
	v_cmp_gt_i64_e64 s[0:1], 0, v[4:5]
	v_not_b32_e32 v5, v5
	v_and_b32_e32 v15, v15, v18
	v_and_b32_e32 v1, v1, v14
	v_xor_b32_e32 v14, vcc_hi, v17
	v_xor_b32_e32 v17, vcc_lo, v17
	v_ashrrev_i32_e32 v5, 31, v5
	v_and_b32_e32 v14, v15, v14
	v_and_b32_e32 v1, v1, v17
	v_xor_b32_e32 v15, s1, v5
	v_xor_b32_e32 v5, s0, v5
	v_and_b32_e32 v1, v1, v5
	v_lshlrev_b32_e32 v5, 27, v0
	v_cmp_gt_i64_e32 vcc, 0, v[4:5]
	v_not_b32_e32 v5, v5
	v_ashrrev_i32_e32 v5, 31, v5
	v_and_b32_e32 v14, v14, v15
	v_xor_b32_e32 v15, vcc_hi, v5
	v_xor_b32_e32 v5, vcc_lo, v5
	v_and_b32_e32 v1, v1, v5
	v_lshlrev_b32_e32 v5, 26, v0
	v_cmp_gt_i64_e32 vcc, 0, v[4:5]
	v_not_b32_e32 v5, v5
	v_ashrrev_i32_e32 v5, 31, v5
	v_and_b32_e32 v14, v14, v15
	v_xor_b32_e32 v15, vcc_hi, v5
	v_xor_b32_e32 v5, vcc_lo, v5
	;; [unrolled: 8-line block ×3, first 2 shown]
	v_and_b32_e32 v14, v14, v15
	v_and_b32_e32 v15, v1, v5
	v_lshlrev_b32_e32 v5, 24, v0
	v_not_b32_e32 v0, v5
	v_cmp_gt_i64_e32 vcc, 0, v[4:5]
	v_ashrrev_i32_e32 v0, 31, v0
	v_xor_b32_e32 v1, vcc_hi, v0
	v_xor_b32_e32 v0, vcc_lo, v0
	v_and_b32_e32 v0, v15, v0
	v_and_b32_e32 v1, v14, v1
	v_mbcnt_lo_u32_b32 v5, v0, 0
	v_mbcnt_hi_u32_b32 v14, v1, v5
	v_cmp_eq_u32_e32 vcc, 0, v14
	v_cmp_ne_u64_e64 s[0:1], 0, v[0:1]
	s_and_b64 s[4:5], s[0:1], vcc
	s_and_saveexec_b64 s[0:1], s[4:5]
	s_cbranch_execz .LBB1299_85
; %bb.84:
	v_bcnt_u32_b32 v0, v0, 0
	v_bcnt_u32_b32 v0, v1, v0
	ds_write_b32 v7, v0 offset:64
.LBB1299_85:
	s_or_b64 exec, exec, s[0:1]
	s_waitcnt vmcnt(10)
	v_cmp_lt_i32_e32 vcc, -1, v11
	v_cndmask_b32_e32 v0, -1, v8, vcc
	v_xor_b32_e32 v11, v0, v11
	v_cmp_ne_u32_e32 vcc, s2, v11
	v_cndmask_b32_e32 v0, v8, v11, vcc
	v_lshrrev_b32_e32 v0, s16, v0
	v_and_b32_e32 v0, s17, v0
	v_lshl_add_u32 v1, v0, 4, v0
	v_add_lshl_u32 v8, v22, v1, 2
	v_and_b32_e32 v1, 1, v0
	v_add_co_u32_e32 v5, vcc, -1, v1
	v_addc_co_u32_e64 v17, s[0:1], 0, -1, vcc
	v_cmp_ne_u32_e32 vcc, 0, v1
	v_xor_b32_e32 v5, vcc_lo, v5
	v_xor_b32_e32 v1, vcc_hi, v17
	v_and_b32_e32 v17, exec_lo, v5
	v_lshlrev_b32_e32 v5, 30, v0
	v_cmp_gt_i64_e32 vcc, 0, v[4:5]
	v_not_b32_e32 v5, v5
	v_ashrrev_i32_e32 v5, 31, v5
	v_xor_b32_e32 v18, vcc_hi, v5
	v_xor_b32_e32 v5, vcc_lo, v5
	v_and_b32_e32 v17, v17, v5
	v_lshlrev_b32_e32 v5, 29, v0
	v_cmp_gt_i64_e32 vcc, 0, v[4:5]
	v_not_b32_e32 v5, v5
	v_and_b32_e32 v1, exec_hi, v1
	v_ashrrev_i32_e32 v5, 31, v5
	v_and_b32_e32 v1, v1, v18
	v_xor_b32_e32 v18, vcc_hi, v5
	v_xor_b32_e32 v5, vcc_lo, v5
	v_and_b32_e32 v17, v17, v5
	v_lshlrev_b32_e32 v5, 28, v0
	v_cmp_gt_i64_e32 vcc, 0, v[4:5]
	v_not_b32_e32 v5, v5
	v_ashrrev_i32_e32 v5, 31, v5
	v_and_b32_e32 v1, v1, v18
	v_xor_b32_e32 v18, vcc_hi, v5
	v_xor_b32_e32 v5, vcc_lo, v5
	v_and_b32_e32 v17, v17, v5
	v_lshlrev_b32_e32 v5, 27, v0
	v_cmp_gt_i64_e32 vcc, 0, v[4:5]
	v_not_b32_e32 v5, v5
	;; [unrolled: 8-line block ×4, first 2 shown]
	v_ashrrev_i32_e32 v5, 31, v5
	v_and_b32_e32 v1, v1, v18
	v_xor_b32_e32 v18, vcc_hi, v5
	v_xor_b32_e32 v5, vcc_lo, v5
	v_and_b32_e32 v17, v17, v5
	v_lshlrev_b32_e32 v5, 24, v0
	v_not_b32_e32 v0, v5
	v_cmp_gt_i64_e32 vcc, 0, v[4:5]
	v_ashrrev_i32_e32 v0, 31, v0
	v_xor_b32_e32 v4, vcc_hi, v0
	v_xor_b32_e32 v0, vcc_lo, v0
	; wave barrier
	ds_read_b32 v15, v8 offset:64
	v_and_b32_e32 v1, v1, v18
	v_and_b32_e32 v0, v17, v0
	;; [unrolled: 1-line block ×3, first 2 shown]
	v_mbcnt_lo_u32_b32 v4, v0, 0
	v_mbcnt_hi_u32_b32 v17, v1, v4
	v_cmp_eq_u32_e32 vcc, 0, v17
	v_cmp_ne_u64_e64 s[0:1], 0, v[0:1]
	s_and_b64 s[2:3], s[0:1], vcc
	; wave barrier
	s_and_saveexec_b64 s[0:1], s[2:3]
	s_cbranch_execz .LBB1299_87
; %bb.86:
	v_bcnt_u32_b32 v0, v0, 0
	v_bcnt_u32_b32 v0, v1, v0
	s_waitcnt lgkmcnt(0)
	v_add_u32_e32 v0, v15, v0
	ds_write_b32 v8, v0 offset:64
.LBB1299_87:
	s_or_b64 exec, exec, s[0:1]
	v_bfrev_b32_e32 v21, 1
	s_waitcnt vmcnt(9)
	v_cmp_lt_i32_e32 vcc, -1, v12
	v_cndmask_b32_e32 v0, -1, v21, vcc
	v_xor_b32_e32 v12, v0, v12
	s_brev_b32 s2, -2
	v_cmp_ne_u32_e32 vcc, s2, v12
	v_cndmask_b32_e32 v0, v21, v12, vcc
	v_lshrrev_b32_e32 v0, s16, v0
	v_and_b32_e32 v4, s17, v0
	v_and_b32_e32 v1, 1, v4
	v_add_co_u32_e32 v5, vcc, -1, v1
	v_addc_co_u32_e64 v20, s[0:1], 0, -1, vcc
	v_cmp_ne_u32_e32 vcc, 0, v1
	v_lshl_add_u32 v0, v4, 4, v4
	v_xor_b32_e32 v1, vcc_hi, v20
	v_add_lshl_u32 v25, v22, v0, 2
	v_mov_b32_e32 v0, 0
	v_and_b32_e32 v20, exec_hi, v1
	v_lshlrev_b32_e32 v1, 30, v4
	v_xor_b32_e32 v5, vcc_lo, v5
	v_cmp_gt_i64_e32 vcc, 0, v[0:1]
	v_not_b32_e32 v1, v1
	v_ashrrev_i32_e32 v1, 31, v1
	v_and_b32_e32 v5, exec_lo, v5
	v_xor_b32_e32 v24, vcc_hi, v1
	v_xor_b32_e32 v1, vcc_lo, v1
	v_and_b32_e32 v5, v5, v1
	v_lshlrev_b32_e32 v1, 29, v4
	v_cmp_gt_i64_e32 vcc, 0, v[0:1]
	v_not_b32_e32 v1, v1
	v_ashrrev_i32_e32 v1, 31, v1
	v_and_b32_e32 v20, v20, v24
	v_xor_b32_e32 v24, vcc_hi, v1
	v_xor_b32_e32 v1, vcc_lo, v1
	v_and_b32_e32 v5, v5, v1
	v_lshlrev_b32_e32 v1, 28, v4
	v_cmp_gt_i64_e32 vcc, 0, v[0:1]
	v_not_b32_e32 v1, v1
	v_ashrrev_i32_e32 v1, 31, v1
	v_and_b32_e32 v20, v20, v24
	;; [unrolled: 8-line block ×5, first 2 shown]
	v_xor_b32_e32 v24, vcc_hi, v1
	v_xor_b32_e32 v1, vcc_lo, v1
	v_and_b32_e32 v20, v20, v24
	v_and_b32_e32 v24, v5, v1
	v_lshlrev_b32_e32 v1, 24, v4
	v_cmp_gt_i64_e32 vcc, 0, v[0:1]
	v_not_b32_e32 v1, v1
	v_ashrrev_i32_e32 v1, 31, v1
	v_xor_b32_e32 v4, vcc_hi, v1
	v_xor_b32_e32 v1, vcc_lo, v1
	; wave barrier
	ds_read_b32 v18, v25 offset:64
	v_and_b32_e32 v5, v20, v4
	v_and_b32_e32 v4, v24, v1
	v_mbcnt_lo_u32_b32 v1, v4, 0
	v_mbcnt_hi_u32_b32 v20, v5, v1
	v_cmp_eq_u32_e32 vcc, 0, v20
	v_cmp_ne_u64_e64 s[0:1], 0, v[4:5]
	s_and_b64 s[4:5], s[0:1], vcc
	; wave barrier
	s_and_saveexec_b64 s[0:1], s[4:5]
	s_cbranch_execz .LBB1299_89
; %bb.88:
	v_bcnt_u32_b32 v1, v4, 0
	v_bcnt_u32_b32 v1, v5, v1
	s_waitcnt lgkmcnt(0)
	v_add_u32_e32 v1, v18, v1
	ds_write_b32 v25, v1 offset:64
.LBB1299_89:
	s_or_b64 exec, exec, s[0:1]
	s_waitcnt vmcnt(8)
	v_cmp_lt_i32_e32 vcc, -1, v13
	v_cndmask_b32_e32 v1, -1, v21, vcc
	v_xor_b32_e32 v13, v1, v13
	v_cmp_ne_u32_e32 vcc, s2, v13
	v_cndmask_b32_e32 v1, v21, v13, vcc
	v_lshrrev_b32_e32 v1, s16, v1
	v_and_b32_e32 v4, s17, v1
	v_lshl_add_u32 v1, v4, 4, v4
	v_add_lshl_u32 v30, v22, v1, 2
	v_and_b32_e32 v1, 1, v4
	v_add_co_u32_e32 v5, vcc, -1, v1
	v_addc_co_u32_e64 v24, s[0:1], 0, -1, vcc
	v_cmp_ne_u32_e32 vcc, 0, v1
	v_xor_b32_e32 v1, vcc_hi, v24
	v_and_b32_e32 v24, exec_hi, v1
	v_lshlrev_b32_e32 v1, 30, v4
	v_xor_b32_e32 v5, vcc_lo, v5
	v_cmp_gt_i64_e32 vcc, 0, v[0:1]
	v_not_b32_e32 v1, v1
	v_ashrrev_i32_e32 v1, 31, v1
	v_and_b32_e32 v5, exec_lo, v5
	v_xor_b32_e32 v26, vcc_hi, v1
	v_xor_b32_e32 v1, vcc_lo, v1
	v_and_b32_e32 v5, v5, v1
	v_lshlrev_b32_e32 v1, 29, v4
	v_cmp_gt_i64_e32 vcc, 0, v[0:1]
	v_not_b32_e32 v1, v1
	v_ashrrev_i32_e32 v1, 31, v1
	v_and_b32_e32 v24, v24, v26
	v_xor_b32_e32 v26, vcc_hi, v1
	v_xor_b32_e32 v1, vcc_lo, v1
	v_and_b32_e32 v5, v5, v1
	v_lshlrev_b32_e32 v1, 28, v4
	v_cmp_gt_i64_e32 vcc, 0, v[0:1]
	v_not_b32_e32 v1, v1
	v_ashrrev_i32_e32 v1, 31, v1
	v_and_b32_e32 v24, v24, v26
	;; [unrolled: 8-line block ×5, first 2 shown]
	v_xor_b32_e32 v26, vcc_hi, v1
	v_xor_b32_e32 v1, vcc_lo, v1
	v_and_b32_e32 v5, v5, v1
	v_lshlrev_b32_e32 v1, 24, v4
	v_cmp_gt_i64_e32 vcc, 0, v[0:1]
	v_not_b32_e32 v0, v1
	v_ashrrev_i32_e32 v0, 31, v0
	v_xor_b32_e32 v1, vcc_hi, v0
	v_xor_b32_e32 v0, vcc_lo, v0
	; wave barrier
	ds_read_b32 v21, v30 offset:64
	v_and_b32_e32 v24, v24, v26
	v_and_b32_e32 v0, v5, v0
	;; [unrolled: 1-line block ×3, first 2 shown]
	v_mbcnt_lo_u32_b32 v4, v0, 0
	v_mbcnt_hi_u32_b32 v24, v1, v4
	v_cmp_eq_u32_e32 vcc, 0, v24
	v_cmp_ne_u64_e64 s[0:1], 0, v[0:1]
	s_and_b64 s[2:3], s[0:1], vcc
	; wave barrier
	s_and_saveexec_b64 s[0:1], s[2:3]
	s_cbranch_execz .LBB1299_91
; %bb.90:
	v_bcnt_u32_b32 v0, v0, 0
	v_bcnt_u32_b32 v0, v1, v0
	s_waitcnt lgkmcnt(0)
	v_add_u32_e32 v0, v21, v0
	ds_write_b32 v30, v0 offset:64
.LBB1299_91:
	s_or_b64 exec, exec, s[0:1]
	v_bfrev_b32_e32 v31, 1
	s_waitcnt vmcnt(7)
	v_cmp_lt_i32_e32 vcc, -1, v16
	v_cndmask_b32_e32 v0, -1, v31, vcc
	v_xor_b32_e32 v16, v0, v16
	s_brev_b32 s2, -2
	v_cmp_ne_u32_e32 vcc, s2, v16
	v_cndmask_b32_e32 v0, v31, v16, vcc
	v_lshrrev_b32_e32 v0, s16, v0
	v_and_b32_e32 v4, s17, v0
	v_and_b32_e32 v1, 1, v4
	v_add_co_u32_e32 v5, vcc, -1, v1
	v_addc_co_u32_e64 v29, s[0:1], 0, -1, vcc
	v_cmp_ne_u32_e32 vcc, 0, v1
	v_lshl_add_u32 v0, v4, 4, v4
	v_xor_b32_e32 v1, vcc_hi, v29
	v_add_lshl_u32 v35, v22, v0, 2
	v_mov_b32_e32 v0, 0
	v_and_b32_e32 v29, exec_hi, v1
	v_lshlrev_b32_e32 v1, 30, v4
	v_xor_b32_e32 v5, vcc_lo, v5
	v_cmp_gt_i64_e32 vcc, 0, v[0:1]
	v_not_b32_e32 v1, v1
	v_ashrrev_i32_e32 v1, 31, v1
	v_and_b32_e32 v5, exec_lo, v5
	v_xor_b32_e32 v34, vcc_hi, v1
	v_xor_b32_e32 v1, vcc_lo, v1
	v_and_b32_e32 v5, v5, v1
	v_lshlrev_b32_e32 v1, 29, v4
	v_cmp_gt_i64_e32 vcc, 0, v[0:1]
	v_not_b32_e32 v1, v1
	v_ashrrev_i32_e32 v1, 31, v1
	v_and_b32_e32 v29, v29, v34
	v_xor_b32_e32 v34, vcc_hi, v1
	v_xor_b32_e32 v1, vcc_lo, v1
	v_and_b32_e32 v5, v5, v1
	v_lshlrev_b32_e32 v1, 28, v4
	v_cmp_gt_i64_e32 vcc, 0, v[0:1]
	v_not_b32_e32 v1, v1
	v_ashrrev_i32_e32 v1, 31, v1
	v_and_b32_e32 v29, v29, v34
	;; [unrolled: 8-line block ×5, first 2 shown]
	v_xor_b32_e32 v34, vcc_hi, v1
	v_xor_b32_e32 v1, vcc_lo, v1
	v_and_b32_e32 v29, v29, v34
	v_and_b32_e32 v34, v5, v1
	v_lshlrev_b32_e32 v1, 24, v4
	v_cmp_gt_i64_e32 vcc, 0, v[0:1]
	v_not_b32_e32 v1, v1
	v_ashrrev_i32_e32 v1, 31, v1
	v_xor_b32_e32 v4, vcc_hi, v1
	v_xor_b32_e32 v1, vcc_lo, v1
	; wave barrier
	ds_read_b32 v26, v35 offset:64
	v_and_b32_e32 v5, v29, v4
	v_and_b32_e32 v4, v34, v1
	v_mbcnt_lo_u32_b32 v1, v4, 0
	v_mbcnt_hi_u32_b32 v29, v5, v1
	v_cmp_eq_u32_e32 vcc, 0, v29
	v_cmp_ne_u64_e64 s[0:1], 0, v[4:5]
	s_and_b64 s[4:5], s[0:1], vcc
	; wave barrier
	s_and_saveexec_b64 s[0:1], s[4:5]
	s_cbranch_execz .LBB1299_93
; %bb.92:
	v_bcnt_u32_b32 v1, v4, 0
	v_bcnt_u32_b32 v1, v5, v1
	s_waitcnt lgkmcnt(0)
	v_add_u32_e32 v1, v26, v1
	ds_write_b32 v35, v1 offset:64
.LBB1299_93:
	s_or_b64 exec, exec, s[0:1]
	s_waitcnt vmcnt(6)
	v_cmp_lt_i32_e32 vcc, -1, v19
	v_cndmask_b32_e32 v1, -1, v31, vcc
	v_xor_b32_e32 v19, v1, v19
	v_cmp_ne_u32_e32 vcc, s2, v19
	v_cndmask_b32_e32 v1, v31, v19, vcc
	v_lshrrev_b32_e32 v1, s16, v1
	v_and_b32_e32 v4, s17, v1
	v_lshl_add_u32 v1, v4, 4, v4
	v_add_lshl_u32 v38, v22, v1, 2
	v_and_b32_e32 v1, 1, v4
	v_add_co_u32_e32 v5, vcc, -1, v1
	v_addc_co_u32_e64 v34, s[0:1], 0, -1, vcc
	v_cmp_ne_u32_e32 vcc, 0, v1
	v_xor_b32_e32 v1, vcc_hi, v34
	v_and_b32_e32 v34, exec_hi, v1
	v_lshlrev_b32_e32 v1, 30, v4
	v_xor_b32_e32 v5, vcc_lo, v5
	v_cmp_gt_i64_e32 vcc, 0, v[0:1]
	v_not_b32_e32 v1, v1
	v_ashrrev_i32_e32 v1, 31, v1
	v_and_b32_e32 v5, exec_lo, v5
	v_xor_b32_e32 v36, vcc_hi, v1
	v_xor_b32_e32 v1, vcc_lo, v1
	v_and_b32_e32 v5, v5, v1
	v_lshlrev_b32_e32 v1, 29, v4
	v_cmp_gt_i64_e32 vcc, 0, v[0:1]
	v_not_b32_e32 v1, v1
	v_ashrrev_i32_e32 v1, 31, v1
	v_and_b32_e32 v34, v34, v36
	v_xor_b32_e32 v36, vcc_hi, v1
	v_xor_b32_e32 v1, vcc_lo, v1
	v_and_b32_e32 v5, v5, v1
	v_lshlrev_b32_e32 v1, 28, v4
	v_cmp_gt_i64_e32 vcc, 0, v[0:1]
	v_not_b32_e32 v1, v1
	v_ashrrev_i32_e32 v1, 31, v1
	v_and_b32_e32 v34, v34, v36
	;; [unrolled: 8-line block ×5, first 2 shown]
	v_xor_b32_e32 v36, vcc_hi, v1
	v_xor_b32_e32 v1, vcc_lo, v1
	v_and_b32_e32 v5, v5, v1
	v_lshlrev_b32_e32 v1, 24, v4
	v_cmp_gt_i64_e32 vcc, 0, v[0:1]
	v_not_b32_e32 v0, v1
	v_ashrrev_i32_e32 v0, 31, v0
	v_xor_b32_e32 v1, vcc_hi, v0
	v_xor_b32_e32 v0, vcc_lo, v0
	; wave barrier
	ds_read_b32 v31, v38 offset:64
	v_and_b32_e32 v34, v34, v36
	v_and_b32_e32 v0, v5, v0
	;; [unrolled: 1-line block ×3, first 2 shown]
	v_mbcnt_lo_u32_b32 v4, v0, 0
	v_mbcnt_hi_u32_b32 v34, v1, v4
	v_cmp_eq_u32_e32 vcc, 0, v34
	v_cmp_ne_u64_e64 s[0:1], 0, v[0:1]
	s_and_b64 s[2:3], s[0:1], vcc
	; wave barrier
	s_and_saveexec_b64 s[0:1], s[2:3]
	s_cbranch_execz .LBB1299_95
; %bb.94:
	v_bcnt_u32_b32 v0, v0, 0
	v_bcnt_u32_b32 v0, v1, v0
	s_waitcnt lgkmcnt(0)
	v_add_u32_e32 v0, v31, v0
	ds_write_b32 v38, v0 offset:64
.LBB1299_95:
	s_or_b64 exec, exec, s[0:1]
	v_bfrev_b32_e32 v39, 1
	s_waitcnt vmcnt(5)
	v_cmp_lt_i32_e32 vcc, -1, v23
	v_cndmask_b32_e32 v0, -1, v39, vcc
	v_xor_b32_e32 v23, v0, v23
	s_brev_b32 s2, -2
	v_cmp_ne_u32_e32 vcc, s2, v23
	v_cndmask_b32_e32 v0, v39, v23, vcc
	v_lshrrev_b32_e32 v0, s16, v0
	v_and_b32_e32 v4, s17, v0
	v_and_b32_e32 v1, 1, v4
	v_add_co_u32_e32 v5, vcc, -1, v1
	v_addc_co_u32_e64 v37, s[0:1], 0, -1, vcc
	v_cmp_ne_u32_e32 vcc, 0, v1
	v_lshl_add_u32 v0, v4, 4, v4
	v_xor_b32_e32 v1, vcc_hi, v37
	v_add_lshl_u32 v41, v22, v0, 2
	v_mov_b32_e32 v0, 0
	v_and_b32_e32 v37, exec_hi, v1
	v_lshlrev_b32_e32 v1, 30, v4
	v_xor_b32_e32 v5, vcc_lo, v5
	v_cmp_gt_i64_e32 vcc, 0, v[0:1]
	v_not_b32_e32 v1, v1
	v_ashrrev_i32_e32 v1, 31, v1
	v_and_b32_e32 v5, exec_lo, v5
	v_xor_b32_e32 v40, vcc_hi, v1
	v_xor_b32_e32 v1, vcc_lo, v1
	v_and_b32_e32 v5, v5, v1
	v_lshlrev_b32_e32 v1, 29, v4
	v_cmp_gt_i64_e32 vcc, 0, v[0:1]
	v_not_b32_e32 v1, v1
	v_ashrrev_i32_e32 v1, 31, v1
	v_and_b32_e32 v37, v37, v40
	v_xor_b32_e32 v40, vcc_hi, v1
	v_xor_b32_e32 v1, vcc_lo, v1
	v_and_b32_e32 v5, v5, v1
	v_lshlrev_b32_e32 v1, 28, v4
	v_cmp_gt_i64_e32 vcc, 0, v[0:1]
	v_not_b32_e32 v1, v1
	v_ashrrev_i32_e32 v1, 31, v1
	v_and_b32_e32 v37, v37, v40
	;; [unrolled: 8-line block ×5, first 2 shown]
	v_xor_b32_e32 v40, vcc_hi, v1
	v_xor_b32_e32 v1, vcc_lo, v1
	v_and_b32_e32 v37, v37, v40
	v_and_b32_e32 v40, v5, v1
	v_lshlrev_b32_e32 v1, 24, v4
	v_cmp_gt_i64_e32 vcc, 0, v[0:1]
	v_not_b32_e32 v1, v1
	v_ashrrev_i32_e32 v1, 31, v1
	v_xor_b32_e32 v4, vcc_hi, v1
	v_xor_b32_e32 v1, vcc_lo, v1
	; wave barrier
	ds_read_b32 v36, v41 offset:64
	v_and_b32_e32 v5, v37, v4
	v_and_b32_e32 v4, v40, v1
	v_mbcnt_lo_u32_b32 v1, v4, 0
	v_mbcnt_hi_u32_b32 v37, v5, v1
	v_cmp_eq_u32_e32 vcc, 0, v37
	v_cmp_ne_u64_e64 s[0:1], 0, v[4:5]
	s_and_b64 s[4:5], s[0:1], vcc
	; wave barrier
	s_and_saveexec_b64 s[0:1], s[4:5]
	s_cbranch_execz .LBB1299_97
; %bb.96:
	v_bcnt_u32_b32 v1, v4, 0
	v_bcnt_u32_b32 v1, v5, v1
	s_waitcnt lgkmcnt(0)
	v_add_u32_e32 v1, v36, v1
	ds_write_b32 v41, v1 offset:64
.LBB1299_97:
	s_or_b64 exec, exec, s[0:1]
	s_waitcnt vmcnt(4)
	v_cmp_lt_i32_e32 vcc, -1, v28
	v_cndmask_b32_e32 v1, -1, v39, vcc
	v_xor_b32_e32 v28, v1, v28
	v_cmp_ne_u32_e32 vcc, s2, v28
	v_cndmask_b32_e32 v1, v39, v28, vcc
	v_lshrrev_b32_e32 v1, s16, v1
	v_and_b32_e32 v4, s17, v1
	v_lshl_add_u32 v1, v4, 4, v4
	v_add_lshl_u32 v45, v22, v1, 2
	v_and_b32_e32 v1, 1, v4
	v_add_co_u32_e32 v5, vcc, -1, v1
	v_addc_co_u32_e64 v40, s[0:1], 0, -1, vcc
	v_cmp_ne_u32_e32 vcc, 0, v1
	v_xor_b32_e32 v1, vcc_hi, v40
	v_and_b32_e32 v40, exec_hi, v1
	v_lshlrev_b32_e32 v1, 30, v4
	v_xor_b32_e32 v5, vcc_lo, v5
	v_cmp_gt_i64_e32 vcc, 0, v[0:1]
	v_not_b32_e32 v1, v1
	v_ashrrev_i32_e32 v1, 31, v1
	v_and_b32_e32 v5, exec_lo, v5
	v_xor_b32_e32 v42, vcc_hi, v1
	v_xor_b32_e32 v1, vcc_lo, v1
	v_and_b32_e32 v5, v5, v1
	v_lshlrev_b32_e32 v1, 29, v4
	v_cmp_gt_i64_e32 vcc, 0, v[0:1]
	v_not_b32_e32 v1, v1
	v_ashrrev_i32_e32 v1, 31, v1
	v_and_b32_e32 v40, v40, v42
	v_xor_b32_e32 v42, vcc_hi, v1
	v_xor_b32_e32 v1, vcc_lo, v1
	v_and_b32_e32 v5, v5, v1
	v_lshlrev_b32_e32 v1, 28, v4
	v_cmp_gt_i64_e32 vcc, 0, v[0:1]
	v_not_b32_e32 v1, v1
	v_ashrrev_i32_e32 v1, 31, v1
	v_and_b32_e32 v40, v40, v42
	;; [unrolled: 8-line block ×5, first 2 shown]
	v_xor_b32_e32 v42, vcc_hi, v1
	v_xor_b32_e32 v1, vcc_lo, v1
	v_and_b32_e32 v5, v5, v1
	v_lshlrev_b32_e32 v1, 24, v4
	v_cmp_gt_i64_e32 vcc, 0, v[0:1]
	v_not_b32_e32 v0, v1
	v_ashrrev_i32_e32 v0, 31, v0
	v_xor_b32_e32 v1, vcc_hi, v0
	v_xor_b32_e32 v0, vcc_lo, v0
	; wave barrier
	ds_read_b32 v39, v45 offset:64
	v_and_b32_e32 v40, v40, v42
	v_and_b32_e32 v0, v5, v0
	;; [unrolled: 1-line block ×3, first 2 shown]
	v_mbcnt_lo_u32_b32 v4, v0, 0
	v_mbcnt_hi_u32_b32 v40, v1, v4
	v_cmp_eq_u32_e32 vcc, 0, v40
	v_cmp_ne_u64_e64 s[0:1], 0, v[0:1]
	s_and_b64 s[2:3], s[0:1], vcc
	; wave barrier
	s_and_saveexec_b64 s[0:1], s[2:3]
	s_cbranch_execz .LBB1299_99
; %bb.98:
	v_bcnt_u32_b32 v0, v0, 0
	v_bcnt_u32_b32 v0, v1, v0
	s_waitcnt lgkmcnt(0)
	v_add_u32_e32 v0, v39, v0
	ds_write_b32 v45, v0 offset:64
.LBB1299_99:
	s_or_b64 exec, exec, s[0:1]
	v_bfrev_b32_e32 v43, 1
	s_waitcnt vmcnt(3)
	v_cmp_lt_i32_e32 vcc, -1, v33
	v_cndmask_b32_e32 v0, -1, v43, vcc
	v_xor_b32_e32 v33, v0, v33
	s_brev_b32 s2, -2
	v_cmp_ne_u32_e32 vcc, s2, v33
	v_cndmask_b32_e32 v0, v43, v33, vcc
	v_lshrrev_b32_e32 v0, s16, v0
	v_and_b32_e32 v4, s17, v0
	v_and_b32_e32 v1, 1, v4
	v_add_co_u32_e32 v5, vcc, -1, v1
	v_addc_co_u32_e64 v44, s[0:1], 0, -1, vcc
	v_cmp_ne_u32_e32 vcc, 0, v1
	v_lshl_add_u32 v0, v4, 4, v4
	v_xor_b32_e32 v1, vcc_hi, v44
	v_add_lshl_u32 v48, v22, v0, 2
	v_mov_b32_e32 v0, 0
	v_and_b32_e32 v44, exec_hi, v1
	v_lshlrev_b32_e32 v1, 30, v4
	v_xor_b32_e32 v5, vcc_lo, v5
	v_cmp_gt_i64_e32 vcc, 0, v[0:1]
	v_not_b32_e32 v1, v1
	v_ashrrev_i32_e32 v1, 31, v1
	v_and_b32_e32 v5, exec_lo, v5
	v_xor_b32_e32 v46, vcc_hi, v1
	v_xor_b32_e32 v1, vcc_lo, v1
	v_and_b32_e32 v5, v5, v1
	v_lshlrev_b32_e32 v1, 29, v4
	v_cmp_gt_i64_e32 vcc, 0, v[0:1]
	v_not_b32_e32 v1, v1
	v_ashrrev_i32_e32 v1, 31, v1
	v_and_b32_e32 v44, v44, v46
	v_xor_b32_e32 v46, vcc_hi, v1
	v_xor_b32_e32 v1, vcc_lo, v1
	v_and_b32_e32 v5, v5, v1
	v_lshlrev_b32_e32 v1, 28, v4
	v_cmp_gt_i64_e32 vcc, 0, v[0:1]
	v_not_b32_e32 v1, v1
	v_ashrrev_i32_e32 v1, 31, v1
	v_and_b32_e32 v44, v44, v46
	;; [unrolled: 8-line block ×5, first 2 shown]
	v_xor_b32_e32 v46, vcc_hi, v1
	v_xor_b32_e32 v1, vcc_lo, v1
	v_and_b32_e32 v44, v44, v46
	v_and_b32_e32 v46, v5, v1
	v_lshlrev_b32_e32 v1, 24, v4
	v_cmp_gt_i64_e32 vcc, 0, v[0:1]
	v_not_b32_e32 v1, v1
	v_ashrrev_i32_e32 v1, 31, v1
	v_xor_b32_e32 v4, vcc_hi, v1
	v_xor_b32_e32 v1, vcc_lo, v1
	; wave barrier
	ds_read_b32 v42, v48 offset:64
	v_and_b32_e32 v5, v44, v4
	v_and_b32_e32 v4, v46, v1
	v_mbcnt_lo_u32_b32 v1, v4, 0
	v_mbcnt_hi_u32_b32 v44, v5, v1
	v_cmp_eq_u32_e32 vcc, 0, v44
	v_cmp_ne_u64_e64 s[0:1], 0, v[4:5]
	s_and_b64 s[4:5], s[0:1], vcc
	; wave barrier
	s_and_saveexec_b64 s[0:1], s[4:5]
	s_cbranch_execz .LBB1299_101
; %bb.100:
	v_bcnt_u32_b32 v1, v4, 0
	v_bcnt_u32_b32 v1, v5, v1
	s_waitcnt lgkmcnt(0)
	v_add_u32_e32 v1, v42, v1
	ds_write_b32 v48, v1 offset:64
.LBB1299_101:
	s_or_b64 exec, exec, s[0:1]
	s_waitcnt vmcnt(2)
	v_cmp_lt_i32_e32 vcc, -1, v32
	v_cndmask_b32_e32 v1, -1, v43, vcc
	v_xor_b32_e32 v32, v1, v32
	v_cmp_ne_u32_e32 vcc, s2, v32
	v_cndmask_b32_e32 v1, v43, v32, vcc
	v_lshrrev_b32_e32 v1, s16, v1
	v_and_b32_e32 v4, s17, v1
	v_lshl_add_u32 v1, v4, 4, v4
	v_add_lshl_u32 v50, v22, v1, 2
	v_and_b32_e32 v1, 1, v4
	v_add_co_u32_e32 v5, vcc, -1, v1
	v_addc_co_u32_e64 v43, s[0:1], 0, -1, vcc
	v_cmp_ne_u32_e32 vcc, 0, v1
	v_xor_b32_e32 v1, vcc_hi, v43
	v_and_b32_e32 v43, exec_hi, v1
	v_lshlrev_b32_e32 v1, 30, v4
	v_xor_b32_e32 v5, vcc_lo, v5
	v_cmp_gt_i64_e32 vcc, 0, v[0:1]
	v_not_b32_e32 v1, v1
	v_ashrrev_i32_e32 v1, 31, v1
	v_and_b32_e32 v5, exec_lo, v5
	v_xor_b32_e32 v47, vcc_hi, v1
	v_xor_b32_e32 v1, vcc_lo, v1
	v_and_b32_e32 v5, v5, v1
	v_lshlrev_b32_e32 v1, 29, v4
	v_cmp_gt_i64_e32 vcc, 0, v[0:1]
	v_not_b32_e32 v1, v1
	v_ashrrev_i32_e32 v1, 31, v1
	v_and_b32_e32 v43, v43, v47
	v_xor_b32_e32 v47, vcc_hi, v1
	v_xor_b32_e32 v1, vcc_lo, v1
	v_and_b32_e32 v5, v5, v1
	v_lshlrev_b32_e32 v1, 28, v4
	v_cmp_gt_i64_e32 vcc, 0, v[0:1]
	v_not_b32_e32 v1, v1
	v_ashrrev_i32_e32 v1, 31, v1
	v_and_b32_e32 v43, v43, v47
	v_xor_b32_e32 v47, vcc_hi, v1
	v_xor_b32_e32 v1, vcc_lo, v1
	v_and_b32_e32 v5, v5, v1
	v_lshlrev_b32_e32 v1, 27, v4
	v_cmp_gt_i64_e32 vcc, 0, v[0:1]
	v_not_b32_e32 v1, v1
	v_ashrrev_i32_e32 v1, 31, v1
	v_and_b32_e32 v43, v43, v47
	v_xor_b32_e32 v47, vcc_hi, v1
	v_xor_b32_e32 v1, vcc_lo, v1
	v_and_b32_e32 v5, v5, v1
	v_lshlrev_b32_e32 v1, 26, v4
	v_cmp_gt_i64_e32 vcc, 0, v[0:1]
	v_not_b32_e32 v1, v1
	v_ashrrev_i32_e32 v1, 31, v1
	v_and_b32_e32 v43, v43, v47
	v_xor_b32_e32 v47, vcc_hi, v1
	v_xor_b32_e32 v1, vcc_lo, v1
	v_and_b32_e32 v5, v5, v1
	v_lshlrev_b32_e32 v1, 25, v4
	v_cmp_gt_i64_e32 vcc, 0, v[0:1]
	v_not_b32_e32 v1, v1
	v_ashrrev_i32_e32 v1, 31, v1
	v_and_b32_e32 v43, v43, v47
	v_xor_b32_e32 v47, vcc_hi, v1
	v_xor_b32_e32 v1, vcc_lo, v1
	v_and_b32_e32 v5, v5, v1
	v_lshlrev_b32_e32 v1, 24, v4
	v_cmp_gt_i64_e32 vcc, 0, v[0:1]
	v_not_b32_e32 v0, v1
	v_ashrrev_i32_e32 v0, 31, v0
	v_xor_b32_e32 v1, vcc_hi, v0
	v_xor_b32_e32 v0, vcc_lo, v0
	; wave barrier
	ds_read_b32 v46, v50 offset:64
	v_and_b32_e32 v43, v43, v47
	v_and_b32_e32 v0, v5, v0
	;; [unrolled: 1-line block ×3, first 2 shown]
	v_mbcnt_lo_u32_b32 v4, v0, 0
	v_mbcnt_hi_u32_b32 v47, v1, v4
	v_cmp_eq_u32_e32 vcc, 0, v47
	v_cmp_ne_u64_e64 s[0:1], 0, v[0:1]
	s_and_b64 s[2:3], s[0:1], vcc
	; wave barrier
	s_and_saveexec_b64 s[0:1], s[2:3]
	s_cbranch_execz .LBB1299_103
; %bb.102:
	v_bcnt_u32_b32 v0, v0, 0
	v_bcnt_u32_b32 v0, v1, v0
	s_waitcnt lgkmcnt(0)
	v_add_u32_e32 v0, v46, v0
	ds_write_b32 v50, v0 offset:64
.LBB1299_103:
	s_or_b64 exec, exec, s[0:1]
	v_bfrev_b32_e32 v52, 1
	s_waitcnt vmcnt(1)
	v_cmp_lt_i32_e32 vcc, -1, v27
	v_cndmask_b32_e32 v0, -1, v52, vcc
	v_xor_b32_e32 v27, v0, v27
	s_brev_b32 s2, -2
	v_cmp_ne_u32_e32 vcc, s2, v27
	v_cndmask_b32_e32 v0, v52, v27, vcc
	v_lshrrev_b32_e32 v0, s16, v0
	v_and_b32_e32 v4, s17, v0
	v_and_b32_e32 v1, 1, v4
	v_add_co_u32_e32 v5, vcc, -1, v1
	v_addc_co_u32_e64 v43, s[0:1], 0, -1, vcc
	v_cmp_ne_u32_e32 vcc, 0, v1
	v_lshl_add_u32 v0, v4, 4, v4
	v_xor_b32_e32 v1, vcc_hi, v43
	v_add_lshl_u32 v53, v22, v0, 2
	v_mov_b32_e32 v0, 0
	v_and_b32_e32 v43, exec_hi, v1
	v_lshlrev_b32_e32 v1, 30, v4
	v_xor_b32_e32 v5, vcc_lo, v5
	v_cmp_gt_i64_e32 vcc, 0, v[0:1]
	v_not_b32_e32 v1, v1
	v_ashrrev_i32_e32 v1, 31, v1
	v_and_b32_e32 v5, exec_lo, v5
	v_xor_b32_e32 v51, vcc_hi, v1
	v_xor_b32_e32 v1, vcc_lo, v1
	v_and_b32_e32 v5, v5, v1
	v_lshlrev_b32_e32 v1, 29, v4
	v_cmp_gt_i64_e32 vcc, 0, v[0:1]
	v_not_b32_e32 v1, v1
	v_ashrrev_i32_e32 v1, 31, v1
	v_and_b32_e32 v43, v43, v51
	v_xor_b32_e32 v51, vcc_hi, v1
	v_xor_b32_e32 v1, vcc_lo, v1
	v_and_b32_e32 v5, v5, v1
	v_lshlrev_b32_e32 v1, 28, v4
	v_cmp_gt_i64_e32 vcc, 0, v[0:1]
	v_not_b32_e32 v1, v1
	v_ashrrev_i32_e32 v1, 31, v1
	v_and_b32_e32 v43, v43, v51
	;; [unrolled: 8-line block ×5, first 2 shown]
	v_xor_b32_e32 v51, vcc_hi, v1
	v_xor_b32_e32 v1, vcc_lo, v1
	v_and_b32_e32 v43, v43, v51
	v_and_b32_e32 v51, v5, v1
	v_lshlrev_b32_e32 v1, 24, v4
	v_cmp_gt_i64_e32 vcc, 0, v[0:1]
	v_not_b32_e32 v1, v1
	v_ashrrev_i32_e32 v1, 31, v1
	v_xor_b32_e32 v4, vcc_hi, v1
	v_xor_b32_e32 v1, vcc_lo, v1
	; wave barrier
	ds_read_b32 v49, v53 offset:64
	v_and_b32_e32 v5, v43, v4
	v_and_b32_e32 v4, v51, v1
	v_mbcnt_lo_u32_b32 v1, v4, 0
	v_mbcnt_hi_u32_b32 v51, v5, v1
	v_cmp_eq_u32_e32 vcc, 0, v51
	v_cmp_ne_u64_e64 s[0:1], 0, v[4:5]
	s_and_b64 s[4:5], s[0:1], vcc
	; wave barrier
	s_and_saveexec_b64 s[0:1], s[4:5]
	s_cbranch_execz .LBB1299_105
; %bb.104:
	v_bcnt_u32_b32 v1, v4, 0
	v_bcnt_u32_b32 v1, v5, v1
	s_waitcnt lgkmcnt(0)
	v_add_u32_e32 v1, v49, v1
	ds_write_b32 v53, v1 offset:64
.LBB1299_105:
	s_or_b64 exec, exec, s[0:1]
	s_waitcnt vmcnt(0)
	v_cmp_lt_i32_e32 vcc, -1, v9
	v_cndmask_b32_e32 v1, -1, v52, vcc
	v_xor_b32_e32 v43, v1, v9
	v_cmp_ne_u32_e32 vcc, s2, v43
	v_cndmask_b32_e32 v1, v52, v43, vcc
	v_lshrrev_b32_e32 v1, s16, v1
	v_and_b32_e32 v4, s17, v1
	v_lshl_add_u32 v1, v4, 4, v4
	v_add_lshl_u32 v9, v1, v22, 2
	v_and_b32_e32 v1, 1, v4
	v_add_co_u32_e32 v5, vcc, -1, v1
	v_addc_co_u32_e64 v22, s[0:1], 0, -1, vcc
	v_cmp_ne_u32_e32 vcc, 0, v1
	v_xor_b32_e32 v1, vcc_hi, v22
	v_and_b32_e32 v22, exec_hi, v1
	v_lshlrev_b32_e32 v1, 30, v4
	v_xor_b32_e32 v5, vcc_lo, v5
	v_cmp_gt_i64_e32 vcc, 0, v[0:1]
	v_not_b32_e32 v1, v1
	v_ashrrev_i32_e32 v1, 31, v1
	v_and_b32_e32 v5, exec_lo, v5
	v_xor_b32_e32 v54, vcc_hi, v1
	v_xor_b32_e32 v1, vcc_lo, v1
	v_and_b32_e32 v5, v5, v1
	v_lshlrev_b32_e32 v1, 29, v4
	v_cmp_gt_i64_e32 vcc, 0, v[0:1]
	v_not_b32_e32 v1, v1
	v_ashrrev_i32_e32 v1, 31, v1
	v_and_b32_e32 v22, v22, v54
	v_xor_b32_e32 v54, vcc_hi, v1
	v_xor_b32_e32 v1, vcc_lo, v1
	v_and_b32_e32 v5, v5, v1
	v_lshlrev_b32_e32 v1, 28, v4
	v_cmp_gt_i64_e32 vcc, 0, v[0:1]
	v_not_b32_e32 v1, v1
	v_ashrrev_i32_e32 v1, 31, v1
	v_and_b32_e32 v22, v22, v54
	;; [unrolled: 8-line block ×5, first 2 shown]
	v_xor_b32_e32 v54, vcc_hi, v1
	v_xor_b32_e32 v1, vcc_lo, v1
	v_and_b32_e32 v5, v5, v1
	v_lshlrev_b32_e32 v1, 24, v4
	v_cmp_gt_i64_e32 vcc, 0, v[0:1]
	v_not_b32_e32 v0, v1
	v_ashrrev_i32_e32 v0, 31, v0
	v_xor_b32_e32 v1, vcc_hi, v0
	v_xor_b32_e32 v0, vcc_lo, v0
	; wave barrier
	ds_read_b32 v52, v9 offset:64
	v_and_b32_e32 v22, v22, v54
	v_and_b32_e32 v0, v5, v0
	;; [unrolled: 1-line block ×3, first 2 shown]
	v_mbcnt_lo_u32_b32 v4, v0, 0
	v_mbcnt_hi_u32_b32 v54, v1, v4
	v_cmp_eq_u32_e32 vcc, 0, v54
	v_cmp_ne_u64_e64 s[0:1], 0, v[0:1]
	v_add_u32_e32 v55, 64, v6
	s_and_b64 s[2:3], s[0:1], vcc
	; wave barrier
	s_and_saveexec_b64 s[0:1], s[2:3]
	s_cbranch_execz .LBB1299_107
; %bb.106:
	v_bcnt_u32_b32 v0, v0, 0
	v_bcnt_u32_b32 v0, v1, v0
	s_waitcnt lgkmcnt(0)
	v_add_u32_e32 v0, v52, v0
	ds_write_b32 v9, v0 offset:64
.LBB1299_107:
	s_or_b64 exec, exec, s[0:1]
	; wave barrier
	s_waitcnt lgkmcnt(0)
	s_barrier
	ds_read2_b32 v[4:5], v6 offset0:16 offset1:17
	ds_read2_b32 v[0:1], v55 offset0:2 offset1:3
	ds_read_b32 v22, v55 offset:16
	v_cmp_lt_u32_e64 s[8:9], 31, v3
	s_waitcnt lgkmcnt(1)
	v_add3_u32 v56, v5, v4, v0
	s_waitcnt lgkmcnt(0)
	v_add3_u32 v22, v56, v1, v22
	v_and_b32_e32 v56, 15, v3
	v_cmp_eq_u32_e32 vcc, 0, v56
	v_mov_b32_dpp v57, v22 row_shr:1 row_mask:0xf bank_mask:0xf
	v_cndmask_b32_e64 v57, v57, 0, vcc
	v_add_u32_e32 v22, v57, v22
	v_cmp_lt_u32_e64 s[0:1], 1, v56
	v_cmp_lt_u32_e64 s[2:3], 3, v56
	v_mov_b32_dpp v57, v22 row_shr:2 row_mask:0xf bank_mask:0xf
	v_cndmask_b32_e64 v57, 0, v57, s[0:1]
	v_add_u32_e32 v22, v22, v57
	v_cmp_lt_u32_e64 s[4:5], 7, v56
	s_nop 0
	v_mov_b32_dpp v57, v22 row_shr:4 row_mask:0xf bank_mask:0xf
	v_cndmask_b32_e64 v57, 0, v57, s[2:3]
	v_add_u32_e32 v22, v22, v57
	s_nop 1
	v_mov_b32_dpp v57, v22 row_shr:8 row_mask:0xf bank_mask:0xf
	v_cndmask_b32_e64 v56, 0, v57, s[4:5]
	v_add_u32_e32 v22, v22, v56
	v_bfe_i32 v57, v3, 4, 1
	s_nop 0
	v_mov_b32_dpp v56, v22 row_bcast:15 row_mask:0xf bank_mask:0xf
	v_and_b32_e32 v56, v57, v56
	v_add_u32_e32 v22, v22, v56
	v_lshrrev_b32_e32 v57, 6, v2
	s_nop 0
	v_mov_b32_dpp v56, v22 row_bcast:31 row_mask:0xf bank_mask:0xf
	v_cndmask_b32_e64 v56, 0, v56, s[8:9]
	v_add_u32_e32 v56, v22, v56
	v_and_b32_e32 v22, 63, v2
	v_cmp_eq_u32_e64 s[8:9], 63, v22
	s_and_saveexec_b64 s[10:11], s[8:9]
	s_cbranch_execz .LBB1299_109
; %bb.108:
	v_lshlrev_b32_e32 v22, 2, v57
	ds_write_b32 v22, v56
.LBB1299_109:
	s_or_b64 exec, exec, s[10:11]
	v_cmp_gt_u32_e64 s[8:9], 16, v2
	v_lshlrev_b32_e32 v22, 2, v2
	s_waitcnt lgkmcnt(0)
	s_barrier
	s_and_saveexec_b64 s[10:11], s[8:9]
	s_cbranch_execz .LBB1299_111
; %bb.110:
	ds_read_b32 v58, v22
	s_waitcnt lgkmcnt(0)
	s_nop 0
	v_mov_b32_dpp v59, v58 row_shr:1 row_mask:0xf bank_mask:0xf
	v_cndmask_b32_e64 v59, v59, 0, vcc
	v_add_u32_e32 v58, v59, v58
	s_nop 1
	v_mov_b32_dpp v59, v58 row_shr:2 row_mask:0xf bank_mask:0xf
	v_cndmask_b32_e64 v59, 0, v59, s[0:1]
	v_add_u32_e32 v58, v58, v59
	s_nop 1
	v_mov_b32_dpp v59, v58 row_shr:4 row_mask:0xf bank_mask:0xf
	v_cndmask_b32_e64 v59, 0, v59, s[2:3]
	;; [unrolled: 4-line block ×3, first 2 shown]
	v_add_u32_e32 v58, v58, v59
	ds_write_b32 v22, v58
.LBB1299_111:
	s_or_b64 exec, exec, s[10:11]
	v_cmp_lt_u32_e32 vcc, 63, v2
	v_mov_b32_e32 v58, 0
	s_waitcnt lgkmcnt(0)
	s_barrier
	s_and_saveexec_b64 s[0:1], vcc
	s_cbranch_execz .LBB1299_113
; %bb.112:
	v_lshl_add_u32 v57, v57, 2, -4
	ds_read_b32 v58, v57
.LBB1299_113:
	s_or_b64 exec, exec, s[0:1]
	v_add_u32_e32 v57, -1, v3
	v_and_b32_e32 v59, 64, v3
	v_cmp_lt_i32_e32 vcc, v57, v59
	v_cndmask_b32_e32 v57, v57, v3, vcc
	s_waitcnt lgkmcnt(0)
	v_add_u32_e32 v56, v58, v56
	v_lshlrev_b32_e32 v57, 2, v57
	ds_bpermute_b32 v56, v57, v56
	v_cmp_eq_u32_e32 vcc, 0, v3
	s_movk_i32 s2, 0xff
	s_movk_i32 s0, 0x100
	v_cmp_gt_u32_e64 s[0:1], s0, v2
	s_waitcnt lgkmcnt(0)
	v_cndmask_b32_e32 v3, v56, v58, vcc
	v_cmp_ne_u32_e32 vcc, 0, v2
	v_cndmask_b32_e32 v3, 0, v3, vcc
	v_add_u32_e32 v4, v3, v4
	v_add_u32_e32 v5, v4, v5
	;; [unrolled: 1-line block ×4, first 2 shown]
	ds_write2_b32 v6, v3, v4 offset0:16 offset1:17
	ds_write2_b32 v55, v5, v0 offset0:2 offset1:3
	ds_write_b32 v55, v1 offset:16
	s_waitcnt lgkmcnt(0)
	s_barrier
	ds_read_b32 v59, v7 offset:64
	ds_read_b32 v55, v8 offset:64
	;; [unrolled: 1-line block ×12, first 2 shown]
	v_cmp_lt_u32_e32 vcc, s2, v2
	v_pk_mov_b32 v[4:5], 0, 0
                                        ; implicit-def: $vgpr30
	s_and_saveexec_b64 s[4:5], s[0:1]
	s_cbranch_execz .LBB1299_117
; %bb.114:
	v_mul_u32_u24_e32 v0, 17, v2
	v_lshlrev_b32_e32 v1, 2, v0
	ds_read_b32 v4, v1 offset:64
	v_cmp_ne_u32_e64 s[2:3], s2, v2
	v_mov_b32_e32 v0, 0x3000
	s_and_saveexec_b64 s[8:9], s[2:3]
	s_cbranch_execz .LBB1299_116
; %bb.115:
	ds_read_b32 v0, v1 offset:132
.LBB1299_116:
	s_or_b64 exec, exec, s[8:9]
	s_waitcnt lgkmcnt(0)
	v_sub_u32_e32 v30, v0, v4
	v_mov_b32_e32 v5, 0
.LBB1299_117:
	s_or_b64 exec, exec, s[4:5]
	s_waitcnt lgkmcnt(0)
	s_barrier
	s_and_saveexec_b64 s[2:3], vcc
	s_xor_b64 s[2:3], exec, s[2:3]
; %bb.118:
	v_mov_b32_e32 v3, 0
; %bb.119:
	s_andn2_saveexec_b64 s[2:3], s[2:3]
	s_cbranch_execz .LBB1299_129
; %bb.120:
	v_lshl_or_b32 v0, s6, 8, v2
	v_mov_b32_e32 v1, 0
	v_lshlrev_b64 v[6:7], 2, v[0:1]
	v_mov_b32_e32 v3, s25
	v_add_co_u32_e32 v6, vcc, s24, v6
	v_addc_co_u32_e32 v7, vcc, v3, v7, vcc
	v_or_b32_e32 v0, 2.0, v30
	s_mov_b64 s[4:5], 0
	s_brev_b32 s18, 1
	s_mov_b32 s19, s6
	v_mov_b32_e32 v53, 0
	global_store_dword v[6:7], v0, off
                                        ; implicit-def: $sgpr8_sgpr9
	s_branch .LBB1299_123
.LBB1299_121:                           ;   in Loop: Header=BB1299_123 Depth=1
	s_or_b64 exec, exec, s[10:11]
.LBB1299_122:                           ;   in Loop: Header=BB1299_123 Depth=1
	s_or_b64 exec, exec, s[8:9]
	v_and_b32_e32 v8, 0x3fffffff, v60
	v_add_u32_e32 v53, v8, v53
	v_cmp_eq_u32_e64 s[8:9], s18, v0
	s_and_b64 s[10:11], exec, s[8:9]
	s_or_b64 s[4:5], s[10:11], s[4:5]
	s_andn2_b64 exec, exec, s[4:5]
	s_cbranch_execz .LBB1299_128
.LBB1299_123:                           ; =>This Loop Header: Depth=1
                                        ;     Child Loop BB1299_126 Depth 2
	s_or_b64 s[8:9], s[8:9], exec
	s_cmp_eq_u32 s19, 0
	s_cbranch_scc1 .LBB1299_127
; %bb.124:                              ;   in Loop: Header=BB1299_123 Depth=1
	s_add_i32 s19, s19, -1
	v_lshl_or_b32 v0, s19, 8, v2
	v_lshlrev_b64 v[8:9], 2, v[0:1]
	v_add_co_u32_e32 v8, vcc, s24, v8
	v_addc_co_u32_e32 v9, vcc, v3, v9, vcc
	global_load_dword v60, v[8:9], off glc
	s_waitcnt vmcnt(0)
	v_and_b32_e32 v0, -2.0, v60
	v_cmp_eq_u32_e32 vcc, 0, v0
	s_and_saveexec_b64 s[8:9], vcc
	s_cbranch_execz .LBB1299_122
; %bb.125:                              ;   in Loop: Header=BB1299_123 Depth=1
	s_mov_b64 s[10:11], 0
.LBB1299_126:                           ;   Parent Loop BB1299_123 Depth=1
                                        ; =>  This Inner Loop Header: Depth=2
	global_load_dword v60, v[8:9], off glc
	s_waitcnt vmcnt(0)
	v_and_b32_e32 v0, -2.0, v60
	v_cmp_ne_u32_e32 vcc, 0, v0
	s_or_b64 s[10:11], vcc, s[10:11]
	s_andn2_b64 exec, exec, s[10:11]
	s_cbranch_execnz .LBB1299_126
	s_branch .LBB1299_121
.LBB1299_127:                           ;   in Loop: Header=BB1299_123 Depth=1
                                        ; implicit-def: $sgpr19
	s_and_b64 s[10:11], exec, s[8:9]
	s_or_b64 s[4:5], s[10:11], s[4:5]
	s_andn2_b64 exec, exec, s[4:5]
	s_cbranch_execnz .LBB1299_123
.LBB1299_128:
	s_or_b64 exec, exec, s[4:5]
	v_add_u32_e32 v0, v53, v30
	v_or_b32_e32 v0, 0x80000000, v0
	global_store_dword v[6:7], v0, off
	v_lshlrev_b32_e32 v6, 3, v2
	global_load_dwordx2 v[0:1], v6, s[12:13]
	v_sub_co_u32_e32 v7, vcc, v53, v4
	v_subb_co_u32_e32 v8, vcc, 0, v5, vcc
	v_mov_b32_e32 v3, 0
	s_waitcnt vmcnt(0)
	v_add_co_u32_e32 v0, vcc, v7, v0
	v_addc_co_u32_e32 v1, vcc, v8, v1, vcc
	ds_write_b64 v6, v[0:1]
.LBB1299_129:
	s_or_b64 exec, exec, s[2:3]
	v_lshlrev_b64 v[0:1], 2, v[2:3]
	v_add3_u32 v15, v17, v55, v15
	v_mov_b32_e32 v17, s23
	v_add_co_u32_e32 v0, vcc, s22, v0
	v_add_u32_e32 v6, v59, v14
	v_add_u32_e32 v7, 0x800, v22
	v_add3_u32 v8, v54, v50, v52
	v_add3_u32 v9, v51, v48, v49
	;; [unrolled: 1-line block ×10, first 2 shown]
	v_addc_co_u32_e32 v1, vcc, v17, v1, vcc
	s_mov_b32 s2, 0
	s_movk_i32 s3, 0x1000
	s_brev_b32 s4, -2
	v_bfrev_b32_e32 v17, 1
	s_movk_i32 s5, 0x2000
.LBB1299_130:                           ; =>This Inner Loop Header: Depth=1
	v_add_u32_e32 v20, s2, v6
	v_add_u32_e32 v38, s2, v31
	;; [unrolled: 1-line block ×12, first 2 shown]
	v_min_u32_e32 v20, 0x1000, v20
	v_min_u32_e32 v38, 0x1000, v38
	;; [unrolled: 1-line block ×12, first 2 shown]
	v_lshlrev_b32_e32 v20, 2, v20
	v_lshlrev_b32_e32 v38, 2, v38
	;; [unrolled: 1-line block ×12, first 2 shown]
	ds_write_b32 v20, v10 offset:2048
	ds_write_b32 v24, v11 offset:2048
	;; [unrolled: 1-line block ×12, first 2 shown]
	s_waitcnt lgkmcnt(0)
	s_barrier
	ds_read_b32 v20, v22 offset:2048
	ds_read2st64_b32 v[38:39], v7 offset0:16 offset1:32
	s_addk_i32 s2, 0xf000
	s_cmpk_lg_i32 s2, 0xd000
	s_waitcnt lgkmcnt(1)
	v_cmp_ne_u32_e32 vcc, s4, v20
	v_cndmask_b32_e32 v24, v17, v20, vcc
	v_cmp_lt_i32_e32 vcc, -1, v20
	v_cndmask_b32_e64 v29, v17, -1, vcc
	s_waitcnt lgkmcnt(0)
	v_cmp_ne_u32_e32 vcc, s4, v38
	v_cndmask_b32_e32 v34, v17, v38, vcc
	v_cmp_lt_i32_e32 vcc, -1, v38
	v_cndmask_b32_e64 v37, v17, -1, vcc
	v_cmp_ne_u32_e32 vcc, s4, v39
	v_cndmask_b32_e32 v40, v17, v39, vcc
	v_lshrrev_b32_e32 v24, s16, v24
	v_cmp_lt_i32_e32 vcc, -1, v39
	v_xor_b32_e32 v20, v29, v20
	v_lshrrev_b32_e32 v29, s16, v34
	v_xor_b32_e32 v34, v37, v38
	v_lshrrev_b32_e32 v37, s16, v40
	v_and_b32_e32 v24, s17, v24
	v_cndmask_b32_e64 v41, v17, -1, vcc
	v_and_b32_e32 v29, s17, v29
	v_and_b32_e32 v37, s17, v37
	v_lshlrev_b32_e32 v24, 3, v24
	v_xor_b32_e32 v42, v41, v39
	v_lshlrev_b32_e32 v29, 3, v29
	v_lshlrev_b32_e32 v37, 3, v37
	ds_read_b64 v[38:39], v24
	ds_read_b64 v[40:41], v29
	;; [unrolled: 1-line block ×3, first 2 shown]
	ds_read_b32 v24, v7 offset:12288
	s_waitcnt lgkmcnt(3)
	v_lshlrev_b64 v[38:39], 2, v[38:39]
	s_waitcnt lgkmcnt(2)
	v_lshlrev_b64 v[40:41], 2, v[40:41]
	s_waitcnt lgkmcnt(1)
	v_lshlrev_b64 v[44:45], 2, v[44:45]
	s_waitcnt lgkmcnt(0)
	v_cmp_ne_u32_e32 vcc, s4, v24
	v_cndmask_b32_e32 v29, v17, v24, vcc
	v_cmp_lt_i32_e32 vcc, -1, v24
	v_cndmask_b32_e64 v37, v17, -1, vcc
	v_add_co_u32_e32 v38, vcc, v0, v38
	v_addc_co_u32_e32 v39, vcc, v1, v39, vcc
	v_add_co_u32_e32 v40, vcc, v0, v40
	v_addc_co_u32_e32 v41, vcc, v1, v41, vcc
	;; [unrolled: 2-line block ×3, first 2 shown]
	global_store_dword v[38:39], v20, off
	v_add_co_u32_e32 v38, vcc, s3, v40
	v_lshrrev_b32_e32 v29, s16, v29
	v_addc_co_u32_e32 v39, vcc, 0, v41, vcc
	v_add_co_u32_e32 v40, vcc, s5, v44
	v_and_b32_e32 v20, s17, v29
	v_addc_co_u32_e32 v41, vcc, 0, v45, vcc
	global_store_dword v[38:39], v34, off
	global_store_dword v[40:41], v42, off
	v_lshlrev_b32_e32 v20, 3, v20
	ds_read_b64 v[38:39], v20
	v_xor_b32_e32 v24, v37, v24
	s_waitcnt lgkmcnt(0)
	v_lshlrev_b64 v[38:39], 2, v[38:39]
	v_add_co_u32_e32 v20, vcc, v0, v38
	v_addc_co_u32_e32 v29, vcc, v1, v39, vcc
	v_add_co_u32_e32 v38, vcc, 0x3000, v20
	v_addc_co_u32_e32 v39, vcc, 0, v29, vcc
	;; [unrolled: 2-line block ×3, first 2 shown]
	global_store_dword v[38:39], v24, off
	s_barrier
	s_cbranch_scc1 .LBB1299_130
; %bb.131:
	s_add_i32 s7, s7, -1
	s_cmp_eq_u32 s7, s6
	s_cselect_b64 s[2:3], -1, 0
	s_and_b64 s[0:1], s[0:1], s[2:3]
.LBB1299_132:
	s_and_saveexec_b64 s[2:3], s[0:1]
	s_cbranch_execnz .LBB1299_134
; %bb.133:
	s_endpgm
.LBB1299_134:
	v_lshlrev_b32_e32 v6, 3, v2
	v_lshlrev_b64 v[0:1], 3, v[2:3]
	ds_read_b64 v[2:3], v6
	v_add_co_u32_e32 v4, vcc, v4, v30
	v_addc_co_u32_e32 v5, vcc, 0, v5, vcc
	v_mov_b32_e32 v7, s15
	v_add_co_u32_e32 v0, vcc, s14, v0
	v_addc_co_u32_e32 v1, vcc, v7, v1, vcc
	s_waitcnt lgkmcnt(0)
	v_add_co_u32_e32 v2, vcc, v4, v2
	v_addc_co_u32_e32 v3, vcc, v5, v3, vcc
	global_store_dwordx2 v[0:1], v[2:3], off
	s_endpgm
	.section	.rodata,"a",@progbits
	.p2align	6, 0x0
	.amdhsa_kernel _ZN7rocprim17ROCPRIM_400000_NS6detail17trampoline_kernelINS0_14default_configENS1_35radix_sort_onesweep_config_selectorIfNS0_10empty_typeEEEZZNS1_29radix_sort_onesweep_iterationIS3_Lb0EPfS8_PS5_S9_mNS0_19identity_decomposerENS1_16block_id_wrapperIjLb0EEEEE10hipError_tT1_PNSt15iterator_traitsISE_E10value_typeET2_T3_PNSF_ISK_E10value_typeET4_T5_PSP_SQ_PNS1_23onesweep_lookback_stateEbbT6_jjT7_P12ihipStream_tbENKUlT_T0_SE_SJ_E_clIS8_S8_S9_S9_EEDaSX_SY_SE_SJ_EUlSX_E_NS1_11comp_targetILNS1_3genE4ELNS1_11target_archE910ELNS1_3gpuE8ELNS1_3repE0EEENS1_47radix_sort_onesweep_sort_config_static_selectorELNS0_4arch9wavefront6targetE1EEEvSE_
		.amdhsa_group_segment_fixed_size 20552
		.amdhsa_private_segment_fixed_size 0
		.amdhsa_kernarg_size 344
		.amdhsa_user_sgpr_count 6
		.amdhsa_user_sgpr_private_segment_buffer 1
		.amdhsa_user_sgpr_dispatch_ptr 0
		.amdhsa_user_sgpr_queue_ptr 0
		.amdhsa_user_sgpr_kernarg_segment_ptr 1
		.amdhsa_user_sgpr_dispatch_id 0
		.amdhsa_user_sgpr_flat_scratch_init 0
		.amdhsa_user_sgpr_kernarg_preload_length 0
		.amdhsa_user_sgpr_kernarg_preload_offset 0
		.amdhsa_user_sgpr_private_segment_size 0
		.amdhsa_uses_dynamic_stack 0
		.amdhsa_system_sgpr_private_segment_wavefront_offset 0
		.amdhsa_system_sgpr_workgroup_id_x 1
		.amdhsa_system_sgpr_workgroup_id_y 0
		.amdhsa_system_sgpr_workgroup_id_z 0
		.amdhsa_system_sgpr_workgroup_info 0
		.amdhsa_system_vgpr_workitem_id 2
		.amdhsa_next_free_vgpr 63
		.amdhsa_next_free_sgpr 31
		.amdhsa_accum_offset 64
		.amdhsa_reserve_vcc 1
		.amdhsa_reserve_flat_scratch 0
		.amdhsa_float_round_mode_32 0
		.amdhsa_float_round_mode_16_64 0
		.amdhsa_float_denorm_mode_32 3
		.amdhsa_float_denorm_mode_16_64 3
		.amdhsa_dx10_clamp 1
		.amdhsa_ieee_mode 1
		.amdhsa_fp16_overflow 0
		.amdhsa_tg_split 0
		.amdhsa_exception_fp_ieee_invalid_op 0
		.amdhsa_exception_fp_denorm_src 0
		.amdhsa_exception_fp_ieee_div_zero 0
		.amdhsa_exception_fp_ieee_overflow 0
		.amdhsa_exception_fp_ieee_underflow 0
		.amdhsa_exception_fp_ieee_inexact 0
		.amdhsa_exception_int_div_zero 0
	.end_amdhsa_kernel
	.section	.text._ZN7rocprim17ROCPRIM_400000_NS6detail17trampoline_kernelINS0_14default_configENS1_35radix_sort_onesweep_config_selectorIfNS0_10empty_typeEEEZZNS1_29radix_sort_onesweep_iterationIS3_Lb0EPfS8_PS5_S9_mNS0_19identity_decomposerENS1_16block_id_wrapperIjLb0EEEEE10hipError_tT1_PNSt15iterator_traitsISE_E10value_typeET2_T3_PNSF_ISK_E10value_typeET4_T5_PSP_SQ_PNS1_23onesweep_lookback_stateEbbT6_jjT7_P12ihipStream_tbENKUlT_T0_SE_SJ_E_clIS8_S8_S9_S9_EEDaSX_SY_SE_SJ_EUlSX_E_NS1_11comp_targetILNS1_3genE4ELNS1_11target_archE910ELNS1_3gpuE8ELNS1_3repE0EEENS1_47radix_sort_onesweep_sort_config_static_selectorELNS0_4arch9wavefront6targetE1EEEvSE_,"axG",@progbits,_ZN7rocprim17ROCPRIM_400000_NS6detail17trampoline_kernelINS0_14default_configENS1_35radix_sort_onesweep_config_selectorIfNS0_10empty_typeEEEZZNS1_29radix_sort_onesweep_iterationIS3_Lb0EPfS8_PS5_S9_mNS0_19identity_decomposerENS1_16block_id_wrapperIjLb0EEEEE10hipError_tT1_PNSt15iterator_traitsISE_E10value_typeET2_T3_PNSF_ISK_E10value_typeET4_T5_PSP_SQ_PNS1_23onesweep_lookback_stateEbbT6_jjT7_P12ihipStream_tbENKUlT_T0_SE_SJ_E_clIS8_S8_S9_S9_EEDaSX_SY_SE_SJ_EUlSX_E_NS1_11comp_targetILNS1_3genE4ELNS1_11target_archE910ELNS1_3gpuE8ELNS1_3repE0EEENS1_47radix_sort_onesweep_sort_config_static_selectorELNS0_4arch9wavefront6targetE1EEEvSE_,comdat
.Lfunc_end1299:
	.size	_ZN7rocprim17ROCPRIM_400000_NS6detail17trampoline_kernelINS0_14default_configENS1_35radix_sort_onesweep_config_selectorIfNS0_10empty_typeEEEZZNS1_29radix_sort_onesweep_iterationIS3_Lb0EPfS8_PS5_S9_mNS0_19identity_decomposerENS1_16block_id_wrapperIjLb0EEEEE10hipError_tT1_PNSt15iterator_traitsISE_E10value_typeET2_T3_PNSF_ISK_E10value_typeET4_T5_PSP_SQ_PNS1_23onesweep_lookback_stateEbbT6_jjT7_P12ihipStream_tbENKUlT_T0_SE_SJ_E_clIS8_S8_S9_S9_EEDaSX_SY_SE_SJ_EUlSX_E_NS1_11comp_targetILNS1_3genE4ELNS1_11target_archE910ELNS1_3gpuE8ELNS1_3repE0EEENS1_47radix_sort_onesweep_sort_config_static_selectorELNS0_4arch9wavefront6targetE1EEEvSE_, .Lfunc_end1299-_ZN7rocprim17ROCPRIM_400000_NS6detail17trampoline_kernelINS0_14default_configENS1_35radix_sort_onesweep_config_selectorIfNS0_10empty_typeEEEZZNS1_29radix_sort_onesweep_iterationIS3_Lb0EPfS8_PS5_S9_mNS0_19identity_decomposerENS1_16block_id_wrapperIjLb0EEEEE10hipError_tT1_PNSt15iterator_traitsISE_E10value_typeET2_T3_PNSF_ISK_E10value_typeET4_T5_PSP_SQ_PNS1_23onesweep_lookback_stateEbbT6_jjT7_P12ihipStream_tbENKUlT_T0_SE_SJ_E_clIS8_S8_S9_S9_EEDaSX_SY_SE_SJ_EUlSX_E_NS1_11comp_targetILNS1_3genE4ELNS1_11target_archE910ELNS1_3gpuE8ELNS1_3repE0EEENS1_47radix_sort_onesweep_sort_config_static_selectorELNS0_4arch9wavefront6targetE1EEEvSE_
                                        ; -- End function
	.section	.AMDGPU.csdata,"",@progbits
; Kernel info:
; codeLenInByte = 14648
; NumSgprs: 35
; NumVgprs: 63
; NumAgprs: 0
; TotalNumVgprs: 63
; ScratchSize: 0
; MemoryBound: 0
; FloatMode: 240
; IeeeMode: 1
; LDSByteSize: 20552 bytes/workgroup (compile time only)
; SGPRBlocks: 4
; VGPRBlocks: 7
; NumSGPRsForWavesPerEU: 35
; NumVGPRsForWavesPerEU: 63
; AccumOffset: 64
; Occupancy: 8
; WaveLimiterHint : 1
; COMPUTE_PGM_RSRC2:SCRATCH_EN: 0
; COMPUTE_PGM_RSRC2:USER_SGPR: 6
; COMPUTE_PGM_RSRC2:TRAP_HANDLER: 0
; COMPUTE_PGM_RSRC2:TGID_X_EN: 1
; COMPUTE_PGM_RSRC2:TGID_Y_EN: 0
; COMPUTE_PGM_RSRC2:TGID_Z_EN: 0
; COMPUTE_PGM_RSRC2:TIDIG_COMP_CNT: 2
; COMPUTE_PGM_RSRC3_GFX90A:ACCUM_OFFSET: 15
; COMPUTE_PGM_RSRC3_GFX90A:TG_SPLIT: 0
	.section	.text._ZN7rocprim17ROCPRIM_400000_NS6detail17trampoline_kernelINS0_14default_configENS1_35radix_sort_onesweep_config_selectorIfNS0_10empty_typeEEEZZNS1_29radix_sort_onesweep_iterationIS3_Lb0EPfS8_PS5_S9_mNS0_19identity_decomposerENS1_16block_id_wrapperIjLb0EEEEE10hipError_tT1_PNSt15iterator_traitsISE_E10value_typeET2_T3_PNSF_ISK_E10value_typeET4_T5_PSP_SQ_PNS1_23onesweep_lookback_stateEbbT6_jjT7_P12ihipStream_tbENKUlT_T0_SE_SJ_E_clIS8_S8_S9_S9_EEDaSX_SY_SE_SJ_EUlSX_E_NS1_11comp_targetILNS1_3genE3ELNS1_11target_archE908ELNS1_3gpuE7ELNS1_3repE0EEENS1_47radix_sort_onesweep_sort_config_static_selectorELNS0_4arch9wavefront6targetE1EEEvSE_,"axG",@progbits,_ZN7rocprim17ROCPRIM_400000_NS6detail17trampoline_kernelINS0_14default_configENS1_35radix_sort_onesweep_config_selectorIfNS0_10empty_typeEEEZZNS1_29radix_sort_onesweep_iterationIS3_Lb0EPfS8_PS5_S9_mNS0_19identity_decomposerENS1_16block_id_wrapperIjLb0EEEEE10hipError_tT1_PNSt15iterator_traitsISE_E10value_typeET2_T3_PNSF_ISK_E10value_typeET4_T5_PSP_SQ_PNS1_23onesweep_lookback_stateEbbT6_jjT7_P12ihipStream_tbENKUlT_T0_SE_SJ_E_clIS8_S8_S9_S9_EEDaSX_SY_SE_SJ_EUlSX_E_NS1_11comp_targetILNS1_3genE3ELNS1_11target_archE908ELNS1_3gpuE7ELNS1_3repE0EEENS1_47radix_sort_onesweep_sort_config_static_selectorELNS0_4arch9wavefront6targetE1EEEvSE_,comdat
	.protected	_ZN7rocprim17ROCPRIM_400000_NS6detail17trampoline_kernelINS0_14default_configENS1_35radix_sort_onesweep_config_selectorIfNS0_10empty_typeEEEZZNS1_29radix_sort_onesweep_iterationIS3_Lb0EPfS8_PS5_S9_mNS0_19identity_decomposerENS1_16block_id_wrapperIjLb0EEEEE10hipError_tT1_PNSt15iterator_traitsISE_E10value_typeET2_T3_PNSF_ISK_E10value_typeET4_T5_PSP_SQ_PNS1_23onesweep_lookback_stateEbbT6_jjT7_P12ihipStream_tbENKUlT_T0_SE_SJ_E_clIS8_S8_S9_S9_EEDaSX_SY_SE_SJ_EUlSX_E_NS1_11comp_targetILNS1_3genE3ELNS1_11target_archE908ELNS1_3gpuE7ELNS1_3repE0EEENS1_47radix_sort_onesweep_sort_config_static_selectorELNS0_4arch9wavefront6targetE1EEEvSE_ ; -- Begin function _ZN7rocprim17ROCPRIM_400000_NS6detail17trampoline_kernelINS0_14default_configENS1_35radix_sort_onesweep_config_selectorIfNS0_10empty_typeEEEZZNS1_29radix_sort_onesweep_iterationIS3_Lb0EPfS8_PS5_S9_mNS0_19identity_decomposerENS1_16block_id_wrapperIjLb0EEEEE10hipError_tT1_PNSt15iterator_traitsISE_E10value_typeET2_T3_PNSF_ISK_E10value_typeET4_T5_PSP_SQ_PNS1_23onesweep_lookback_stateEbbT6_jjT7_P12ihipStream_tbENKUlT_T0_SE_SJ_E_clIS8_S8_S9_S9_EEDaSX_SY_SE_SJ_EUlSX_E_NS1_11comp_targetILNS1_3genE3ELNS1_11target_archE908ELNS1_3gpuE7ELNS1_3repE0EEENS1_47radix_sort_onesweep_sort_config_static_selectorELNS0_4arch9wavefront6targetE1EEEvSE_
	.globl	_ZN7rocprim17ROCPRIM_400000_NS6detail17trampoline_kernelINS0_14default_configENS1_35radix_sort_onesweep_config_selectorIfNS0_10empty_typeEEEZZNS1_29radix_sort_onesweep_iterationIS3_Lb0EPfS8_PS5_S9_mNS0_19identity_decomposerENS1_16block_id_wrapperIjLb0EEEEE10hipError_tT1_PNSt15iterator_traitsISE_E10value_typeET2_T3_PNSF_ISK_E10value_typeET4_T5_PSP_SQ_PNS1_23onesweep_lookback_stateEbbT6_jjT7_P12ihipStream_tbENKUlT_T0_SE_SJ_E_clIS8_S8_S9_S9_EEDaSX_SY_SE_SJ_EUlSX_E_NS1_11comp_targetILNS1_3genE3ELNS1_11target_archE908ELNS1_3gpuE7ELNS1_3repE0EEENS1_47radix_sort_onesweep_sort_config_static_selectorELNS0_4arch9wavefront6targetE1EEEvSE_
	.p2align	8
	.type	_ZN7rocprim17ROCPRIM_400000_NS6detail17trampoline_kernelINS0_14default_configENS1_35radix_sort_onesweep_config_selectorIfNS0_10empty_typeEEEZZNS1_29radix_sort_onesweep_iterationIS3_Lb0EPfS8_PS5_S9_mNS0_19identity_decomposerENS1_16block_id_wrapperIjLb0EEEEE10hipError_tT1_PNSt15iterator_traitsISE_E10value_typeET2_T3_PNSF_ISK_E10value_typeET4_T5_PSP_SQ_PNS1_23onesweep_lookback_stateEbbT6_jjT7_P12ihipStream_tbENKUlT_T0_SE_SJ_E_clIS8_S8_S9_S9_EEDaSX_SY_SE_SJ_EUlSX_E_NS1_11comp_targetILNS1_3genE3ELNS1_11target_archE908ELNS1_3gpuE7ELNS1_3repE0EEENS1_47radix_sort_onesweep_sort_config_static_selectorELNS0_4arch9wavefront6targetE1EEEvSE_,@function
_ZN7rocprim17ROCPRIM_400000_NS6detail17trampoline_kernelINS0_14default_configENS1_35radix_sort_onesweep_config_selectorIfNS0_10empty_typeEEEZZNS1_29radix_sort_onesweep_iterationIS3_Lb0EPfS8_PS5_S9_mNS0_19identity_decomposerENS1_16block_id_wrapperIjLb0EEEEE10hipError_tT1_PNSt15iterator_traitsISE_E10value_typeET2_T3_PNSF_ISK_E10value_typeET4_T5_PSP_SQ_PNS1_23onesweep_lookback_stateEbbT6_jjT7_P12ihipStream_tbENKUlT_T0_SE_SJ_E_clIS8_S8_S9_S9_EEDaSX_SY_SE_SJ_EUlSX_E_NS1_11comp_targetILNS1_3genE3ELNS1_11target_archE908ELNS1_3gpuE7ELNS1_3repE0EEENS1_47radix_sort_onesweep_sort_config_static_selectorELNS0_4arch9wavefront6targetE1EEEvSE_: ; @_ZN7rocprim17ROCPRIM_400000_NS6detail17trampoline_kernelINS0_14default_configENS1_35radix_sort_onesweep_config_selectorIfNS0_10empty_typeEEEZZNS1_29radix_sort_onesweep_iterationIS3_Lb0EPfS8_PS5_S9_mNS0_19identity_decomposerENS1_16block_id_wrapperIjLb0EEEEE10hipError_tT1_PNSt15iterator_traitsISE_E10value_typeET2_T3_PNSF_ISK_E10value_typeET4_T5_PSP_SQ_PNS1_23onesweep_lookback_stateEbbT6_jjT7_P12ihipStream_tbENKUlT_T0_SE_SJ_E_clIS8_S8_S9_S9_EEDaSX_SY_SE_SJ_EUlSX_E_NS1_11comp_targetILNS1_3genE3ELNS1_11target_archE908ELNS1_3gpuE7ELNS1_3repE0EEENS1_47radix_sort_onesweep_sort_config_static_selectorELNS0_4arch9wavefront6targetE1EEEvSE_
; %bb.0:
	.section	.rodata,"a",@progbits
	.p2align	6, 0x0
	.amdhsa_kernel _ZN7rocprim17ROCPRIM_400000_NS6detail17trampoline_kernelINS0_14default_configENS1_35radix_sort_onesweep_config_selectorIfNS0_10empty_typeEEEZZNS1_29radix_sort_onesweep_iterationIS3_Lb0EPfS8_PS5_S9_mNS0_19identity_decomposerENS1_16block_id_wrapperIjLb0EEEEE10hipError_tT1_PNSt15iterator_traitsISE_E10value_typeET2_T3_PNSF_ISK_E10value_typeET4_T5_PSP_SQ_PNS1_23onesweep_lookback_stateEbbT6_jjT7_P12ihipStream_tbENKUlT_T0_SE_SJ_E_clIS8_S8_S9_S9_EEDaSX_SY_SE_SJ_EUlSX_E_NS1_11comp_targetILNS1_3genE3ELNS1_11target_archE908ELNS1_3gpuE7ELNS1_3repE0EEENS1_47radix_sort_onesweep_sort_config_static_selectorELNS0_4arch9wavefront6targetE1EEEvSE_
		.amdhsa_group_segment_fixed_size 0
		.amdhsa_private_segment_fixed_size 0
		.amdhsa_kernarg_size 88
		.amdhsa_user_sgpr_count 6
		.amdhsa_user_sgpr_private_segment_buffer 1
		.amdhsa_user_sgpr_dispatch_ptr 0
		.amdhsa_user_sgpr_queue_ptr 0
		.amdhsa_user_sgpr_kernarg_segment_ptr 1
		.amdhsa_user_sgpr_dispatch_id 0
		.amdhsa_user_sgpr_flat_scratch_init 0
		.amdhsa_user_sgpr_kernarg_preload_length 0
		.amdhsa_user_sgpr_kernarg_preload_offset 0
		.amdhsa_user_sgpr_private_segment_size 0
		.amdhsa_uses_dynamic_stack 0
		.amdhsa_system_sgpr_private_segment_wavefront_offset 0
		.amdhsa_system_sgpr_workgroup_id_x 1
		.amdhsa_system_sgpr_workgroup_id_y 0
		.amdhsa_system_sgpr_workgroup_id_z 0
		.amdhsa_system_sgpr_workgroup_info 0
		.amdhsa_system_vgpr_workitem_id 0
		.amdhsa_next_free_vgpr 1
		.amdhsa_next_free_sgpr 0
		.amdhsa_accum_offset 4
		.amdhsa_reserve_vcc 0
		.amdhsa_reserve_flat_scratch 0
		.amdhsa_float_round_mode_32 0
		.amdhsa_float_round_mode_16_64 0
		.amdhsa_float_denorm_mode_32 3
		.amdhsa_float_denorm_mode_16_64 3
		.amdhsa_dx10_clamp 1
		.amdhsa_ieee_mode 1
		.amdhsa_fp16_overflow 0
		.amdhsa_tg_split 0
		.amdhsa_exception_fp_ieee_invalid_op 0
		.amdhsa_exception_fp_denorm_src 0
		.amdhsa_exception_fp_ieee_div_zero 0
		.amdhsa_exception_fp_ieee_overflow 0
		.amdhsa_exception_fp_ieee_underflow 0
		.amdhsa_exception_fp_ieee_inexact 0
		.amdhsa_exception_int_div_zero 0
	.end_amdhsa_kernel
	.section	.text._ZN7rocprim17ROCPRIM_400000_NS6detail17trampoline_kernelINS0_14default_configENS1_35radix_sort_onesweep_config_selectorIfNS0_10empty_typeEEEZZNS1_29radix_sort_onesweep_iterationIS3_Lb0EPfS8_PS5_S9_mNS0_19identity_decomposerENS1_16block_id_wrapperIjLb0EEEEE10hipError_tT1_PNSt15iterator_traitsISE_E10value_typeET2_T3_PNSF_ISK_E10value_typeET4_T5_PSP_SQ_PNS1_23onesweep_lookback_stateEbbT6_jjT7_P12ihipStream_tbENKUlT_T0_SE_SJ_E_clIS8_S8_S9_S9_EEDaSX_SY_SE_SJ_EUlSX_E_NS1_11comp_targetILNS1_3genE3ELNS1_11target_archE908ELNS1_3gpuE7ELNS1_3repE0EEENS1_47radix_sort_onesweep_sort_config_static_selectorELNS0_4arch9wavefront6targetE1EEEvSE_,"axG",@progbits,_ZN7rocprim17ROCPRIM_400000_NS6detail17trampoline_kernelINS0_14default_configENS1_35radix_sort_onesweep_config_selectorIfNS0_10empty_typeEEEZZNS1_29radix_sort_onesweep_iterationIS3_Lb0EPfS8_PS5_S9_mNS0_19identity_decomposerENS1_16block_id_wrapperIjLb0EEEEE10hipError_tT1_PNSt15iterator_traitsISE_E10value_typeET2_T3_PNSF_ISK_E10value_typeET4_T5_PSP_SQ_PNS1_23onesweep_lookback_stateEbbT6_jjT7_P12ihipStream_tbENKUlT_T0_SE_SJ_E_clIS8_S8_S9_S9_EEDaSX_SY_SE_SJ_EUlSX_E_NS1_11comp_targetILNS1_3genE3ELNS1_11target_archE908ELNS1_3gpuE7ELNS1_3repE0EEENS1_47radix_sort_onesweep_sort_config_static_selectorELNS0_4arch9wavefront6targetE1EEEvSE_,comdat
.Lfunc_end1300:
	.size	_ZN7rocprim17ROCPRIM_400000_NS6detail17trampoline_kernelINS0_14default_configENS1_35radix_sort_onesweep_config_selectorIfNS0_10empty_typeEEEZZNS1_29radix_sort_onesweep_iterationIS3_Lb0EPfS8_PS5_S9_mNS0_19identity_decomposerENS1_16block_id_wrapperIjLb0EEEEE10hipError_tT1_PNSt15iterator_traitsISE_E10value_typeET2_T3_PNSF_ISK_E10value_typeET4_T5_PSP_SQ_PNS1_23onesweep_lookback_stateEbbT6_jjT7_P12ihipStream_tbENKUlT_T0_SE_SJ_E_clIS8_S8_S9_S9_EEDaSX_SY_SE_SJ_EUlSX_E_NS1_11comp_targetILNS1_3genE3ELNS1_11target_archE908ELNS1_3gpuE7ELNS1_3repE0EEENS1_47radix_sort_onesweep_sort_config_static_selectorELNS0_4arch9wavefront6targetE1EEEvSE_, .Lfunc_end1300-_ZN7rocprim17ROCPRIM_400000_NS6detail17trampoline_kernelINS0_14default_configENS1_35radix_sort_onesweep_config_selectorIfNS0_10empty_typeEEEZZNS1_29radix_sort_onesweep_iterationIS3_Lb0EPfS8_PS5_S9_mNS0_19identity_decomposerENS1_16block_id_wrapperIjLb0EEEEE10hipError_tT1_PNSt15iterator_traitsISE_E10value_typeET2_T3_PNSF_ISK_E10value_typeET4_T5_PSP_SQ_PNS1_23onesweep_lookback_stateEbbT6_jjT7_P12ihipStream_tbENKUlT_T0_SE_SJ_E_clIS8_S8_S9_S9_EEDaSX_SY_SE_SJ_EUlSX_E_NS1_11comp_targetILNS1_3genE3ELNS1_11target_archE908ELNS1_3gpuE7ELNS1_3repE0EEENS1_47radix_sort_onesweep_sort_config_static_selectorELNS0_4arch9wavefront6targetE1EEEvSE_
                                        ; -- End function
	.section	.AMDGPU.csdata,"",@progbits
; Kernel info:
; codeLenInByte = 0
; NumSgprs: 4
; NumVgprs: 0
; NumAgprs: 0
; TotalNumVgprs: 0
; ScratchSize: 0
; MemoryBound: 0
; FloatMode: 240
; IeeeMode: 1
; LDSByteSize: 0 bytes/workgroup (compile time only)
; SGPRBlocks: 0
; VGPRBlocks: 0
; NumSGPRsForWavesPerEU: 4
; NumVGPRsForWavesPerEU: 1
; AccumOffset: 4
; Occupancy: 8
; WaveLimiterHint : 0
; COMPUTE_PGM_RSRC2:SCRATCH_EN: 0
; COMPUTE_PGM_RSRC2:USER_SGPR: 6
; COMPUTE_PGM_RSRC2:TRAP_HANDLER: 0
; COMPUTE_PGM_RSRC2:TGID_X_EN: 1
; COMPUTE_PGM_RSRC2:TGID_Y_EN: 0
; COMPUTE_PGM_RSRC2:TGID_Z_EN: 0
; COMPUTE_PGM_RSRC2:TIDIG_COMP_CNT: 0
; COMPUTE_PGM_RSRC3_GFX90A:ACCUM_OFFSET: 0
; COMPUTE_PGM_RSRC3_GFX90A:TG_SPLIT: 0
	.section	.text._ZN7rocprim17ROCPRIM_400000_NS6detail17trampoline_kernelINS0_14default_configENS1_35radix_sort_onesweep_config_selectorIfNS0_10empty_typeEEEZZNS1_29radix_sort_onesweep_iterationIS3_Lb0EPfS8_PS5_S9_mNS0_19identity_decomposerENS1_16block_id_wrapperIjLb0EEEEE10hipError_tT1_PNSt15iterator_traitsISE_E10value_typeET2_T3_PNSF_ISK_E10value_typeET4_T5_PSP_SQ_PNS1_23onesweep_lookback_stateEbbT6_jjT7_P12ihipStream_tbENKUlT_T0_SE_SJ_E_clIS8_S8_S9_S9_EEDaSX_SY_SE_SJ_EUlSX_E_NS1_11comp_targetILNS1_3genE10ELNS1_11target_archE1201ELNS1_3gpuE5ELNS1_3repE0EEENS1_47radix_sort_onesweep_sort_config_static_selectorELNS0_4arch9wavefront6targetE1EEEvSE_,"axG",@progbits,_ZN7rocprim17ROCPRIM_400000_NS6detail17trampoline_kernelINS0_14default_configENS1_35radix_sort_onesweep_config_selectorIfNS0_10empty_typeEEEZZNS1_29radix_sort_onesweep_iterationIS3_Lb0EPfS8_PS5_S9_mNS0_19identity_decomposerENS1_16block_id_wrapperIjLb0EEEEE10hipError_tT1_PNSt15iterator_traitsISE_E10value_typeET2_T3_PNSF_ISK_E10value_typeET4_T5_PSP_SQ_PNS1_23onesweep_lookback_stateEbbT6_jjT7_P12ihipStream_tbENKUlT_T0_SE_SJ_E_clIS8_S8_S9_S9_EEDaSX_SY_SE_SJ_EUlSX_E_NS1_11comp_targetILNS1_3genE10ELNS1_11target_archE1201ELNS1_3gpuE5ELNS1_3repE0EEENS1_47radix_sort_onesweep_sort_config_static_selectorELNS0_4arch9wavefront6targetE1EEEvSE_,comdat
	.protected	_ZN7rocprim17ROCPRIM_400000_NS6detail17trampoline_kernelINS0_14default_configENS1_35radix_sort_onesweep_config_selectorIfNS0_10empty_typeEEEZZNS1_29radix_sort_onesweep_iterationIS3_Lb0EPfS8_PS5_S9_mNS0_19identity_decomposerENS1_16block_id_wrapperIjLb0EEEEE10hipError_tT1_PNSt15iterator_traitsISE_E10value_typeET2_T3_PNSF_ISK_E10value_typeET4_T5_PSP_SQ_PNS1_23onesweep_lookback_stateEbbT6_jjT7_P12ihipStream_tbENKUlT_T0_SE_SJ_E_clIS8_S8_S9_S9_EEDaSX_SY_SE_SJ_EUlSX_E_NS1_11comp_targetILNS1_3genE10ELNS1_11target_archE1201ELNS1_3gpuE5ELNS1_3repE0EEENS1_47radix_sort_onesweep_sort_config_static_selectorELNS0_4arch9wavefront6targetE1EEEvSE_ ; -- Begin function _ZN7rocprim17ROCPRIM_400000_NS6detail17trampoline_kernelINS0_14default_configENS1_35radix_sort_onesweep_config_selectorIfNS0_10empty_typeEEEZZNS1_29radix_sort_onesweep_iterationIS3_Lb0EPfS8_PS5_S9_mNS0_19identity_decomposerENS1_16block_id_wrapperIjLb0EEEEE10hipError_tT1_PNSt15iterator_traitsISE_E10value_typeET2_T3_PNSF_ISK_E10value_typeET4_T5_PSP_SQ_PNS1_23onesweep_lookback_stateEbbT6_jjT7_P12ihipStream_tbENKUlT_T0_SE_SJ_E_clIS8_S8_S9_S9_EEDaSX_SY_SE_SJ_EUlSX_E_NS1_11comp_targetILNS1_3genE10ELNS1_11target_archE1201ELNS1_3gpuE5ELNS1_3repE0EEENS1_47radix_sort_onesweep_sort_config_static_selectorELNS0_4arch9wavefront6targetE1EEEvSE_
	.globl	_ZN7rocprim17ROCPRIM_400000_NS6detail17trampoline_kernelINS0_14default_configENS1_35radix_sort_onesweep_config_selectorIfNS0_10empty_typeEEEZZNS1_29radix_sort_onesweep_iterationIS3_Lb0EPfS8_PS5_S9_mNS0_19identity_decomposerENS1_16block_id_wrapperIjLb0EEEEE10hipError_tT1_PNSt15iterator_traitsISE_E10value_typeET2_T3_PNSF_ISK_E10value_typeET4_T5_PSP_SQ_PNS1_23onesweep_lookback_stateEbbT6_jjT7_P12ihipStream_tbENKUlT_T0_SE_SJ_E_clIS8_S8_S9_S9_EEDaSX_SY_SE_SJ_EUlSX_E_NS1_11comp_targetILNS1_3genE10ELNS1_11target_archE1201ELNS1_3gpuE5ELNS1_3repE0EEENS1_47radix_sort_onesweep_sort_config_static_selectorELNS0_4arch9wavefront6targetE1EEEvSE_
	.p2align	8
	.type	_ZN7rocprim17ROCPRIM_400000_NS6detail17trampoline_kernelINS0_14default_configENS1_35radix_sort_onesweep_config_selectorIfNS0_10empty_typeEEEZZNS1_29radix_sort_onesweep_iterationIS3_Lb0EPfS8_PS5_S9_mNS0_19identity_decomposerENS1_16block_id_wrapperIjLb0EEEEE10hipError_tT1_PNSt15iterator_traitsISE_E10value_typeET2_T3_PNSF_ISK_E10value_typeET4_T5_PSP_SQ_PNS1_23onesweep_lookback_stateEbbT6_jjT7_P12ihipStream_tbENKUlT_T0_SE_SJ_E_clIS8_S8_S9_S9_EEDaSX_SY_SE_SJ_EUlSX_E_NS1_11comp_targetILNS1_3genE10ELNS1_11target_archE1201ELNS1_3gpuE5ELNS1_3repE0EEENS1_47radix_sort_onesweep_sort_config_static_selectorELNS0_4arch9wavefront6targetE1EEEvSE_,@function
_ZN7rocprim17ROCPRIM_400000_NS6detail17trampoline_kernelINS0_14default_configENS1_35radix_sort_onesweep_config_selectorIfNS0_10empty_typeEEEZZNS1_29radix_sort_onesweep_iterationIS3_Lb0EPfS8_PS5_S9_mNS0_19identity_decomposerENS1_16block_id_wrapperIjLb0EEEEE10hipError_tT1_PNSt15iterator_traitsISE_E10value_typeET2_T3_PNSF_ISK_E10value_typeET4_T5_PSP_SQ_PNS1_23onesweep_lookback_stateEbbT6_jjT7_P12ihipStream_tbENKUlT_T0_SE_SJ_E_clIS8_S8_S9_S9_EEDaSX_SY_SE_SJ_EUlSX_E_NS1_11comp_targetILNS1_3genE10ELNS1_11target_archE1201ELNS1_3gpuE5ELNS1_3repE0EEENS1_47radix_sort_onesweep_sort_config_static_selectorELNS0_4arch9wavefront6targetE1EEEvSE_: ; @_ZN7rocprim17ROCPRIM_400000_NS6detail17trampoline_kernelINS0_14default_configENS1_35radix_sort_onesweep_config_selectorIfNS0_10empty_typeEEEZZNS1_29radix_sort_onesweep_iterationIS3_Lb0EPfS8_PS5_S9_mNS0_19identity_decomposerENS1_16block_id_wrapperIjLb0EEEEE10hipError_tT1_PNSt15iterator_traitsISE_E10value_typeET2_T3_PNSF_ISK_E10value_typeET4_T5_PSP_SQ_PNS1_23onesweep_lookback_stateEbbT6_jjT7_P12ihipStream_tbENKUlT_T0_SE_SJ_E_clIS8_S8_S9_S9_EEDaSX_SY_SE_SJ_EUlSX_E_NS1_11comp_targetILNS1_3genE10ELNS1_11target_archE1201ELNS1_3gpuE5ELNS1_3repE0EEENS1_47radix_sort_onesweep_sort_config_static_selectorELNS0_4arch9wavefront6targetE1EEEvSE_
; %bb.0:
	.section	.rodata,"a",@progbits
	.p2align	6, 0x0
	.amdhsa_kernel _ZN7rocprim17ROCPRIM_400000_NS6detail17trampoline_kernelINS0_14default_configENS1_35radix_sort_onesweep_config_selectorIfNS0_10empty_typeEEEZZNS1_29radix_sort_onesweep_iterationIS3_Lb0EPfS8_PS5_S9_mNS0_19identity_decomposerENS1_16block_id_wrapperIjLb0EEEEE10hipError_tT1_PNSt15iterator_traitsISE_E10value_typeET2_T3_PNSF_ISK_E10value_typeET4_T5_PSP_SQ_PNS1_23onesweep_lookback_stateEbbT6_jjT7_P12ihipStream_tbENKUlT_T0_SE_SJ_E_clIS8_S8_S9_S9_EEDaSX_SY_SE_SJ_EUlSX_E_NS1_11comp_targetILNS1_3genE10ELNS1_11target_archE1201ELNS1_3gpuE5ELNS1_3repE0EEENS1_47radix_sort_onesweep_sort_config_static_selectorELNS0_4arch9wavefront6targetE1EEEvSE_
		.amdhsa_group_segment_fixed_size 0
		.amdhsa_private_segment_fixed_size 0
		.amdhsa_kernarg_size 88
		.amdhsa_user_sgpr_count 6
		.amdhsa_user_sgpr_private_segment_buffer 1
		.amdhsa_user_sgpr_dispatch_ptr 0
		.amdhsa_user_sgpr_queue_ptr 0
		.amdhsa_user_sgpr_kernarg_segment_ptr 1
		.amdhsa_user_sgpr_dispatch_id 0
		.amdhsa_user_sgpr_flat_scratch_init 0
		.amdhsa_user_sgpr_kernarg_preload_length 0
		.amdhsa_user_sgpr_kernarg_preload_offset 0
		.amdhsa_user_sgpr_private_segment_size 0
		.amdhsa_uses_dynamic_stack 0
		.amdhsa_system_sgpr_private_segment_wavefront_offset 0
		.amdhsa_system_sgpr_workgroup_id_x 1
		.amdhsa_system_sgpr_workgroup_id_y 0
		.amdhsa_system_sgpr_workgroup_id_z 0
		.amdhsa_system_sgpr_workgroup_info 0
		.amdhsa_system_vgpr_workitem_id 0
		.amdhsa_next_free_vgpr 1
		.amdhsa_next_free_sgpr 0
		.amdhsa_accum_offset 4
		.amdhsa_reserve_vcc 0
		.amdhsa_reserve_flat_scratch 0
		.amdhsa_float_round_mode_32 0
		.amdhsa_float_round_mode_16_64 0
		.amdhsa_float_denorm_mode_32 3
		.amdhsa_float_denorm_mode_16_64 3
		.amdhsa_dx10_clamp 1
		.amdhsa_ieee_mode 1
		.amdhsa_fp16_overflow 0
		.amdhsa_tg_split 0
		.amdhsa_exception_fp_ieee_invalid_op 0
		.amdhsa_exception_fp_denorm_src 0
		.amdhsa_exception_fp_ieee_div_zero 0
		.amdhsa_exception_fp_ieee_overflow 0
		.amdhsa_exception_fp_ieee_underflow 0
		.amdhsa_exception_fp_ieee_inexact 0
		.amdhsa_exception_int_div_zero 0
	.end_amdhsa_kernel
	.section	.text._ZN7rocprim17ROCPRIM_400000_NS6detail17trampoline_kernelINS0_14default_configENS1_35radix_sort_onesweep_config_selectorIfNS0_10empty_typeEEEZZNS1_29radix_sort_onesweep_iterationIS3_Lb0EPfS8_PS5_S9_mNS0_19identity_decomposerENS1_16block_id_wrapperIjLb0EEEEE10hipError_tT1_PNSt15iterator_traitsISE_E10value_typeET2_T3_PNSF_ISK_E10value_typeET4_T5_PSP_SQ_PNS1_23onesweep_lookback_stateEbbT6_jjT7_P12ihipStream_tbENKUlT_T0_SE_SJ_E_clIS8_S8_S9_S9_EEDaSX_SY_SE_SJ_EUlSX_E_NS1_11comp_targetILNS1_3genE10ELNS1_11target_archE1201ELNS1_3gpuE5ELNS1_3repE0EEENS1_47radix_sort_onesweep_sort_config_static_selectorELNS0_4arch9wavefront6targetE1EEEvSE_,"axG",@progbits,_ZN7rocprim17ROCPRIM_400000_NS6detail17trampoline_kernelINS0_14default_configENS1_35radix_sort_onesweep_config_selectorIfNS0_10empty_typeEEEZZNS1_29radix_sort_onesweep_iterationIS3_Lb0EPfS8_PS5_S9_mNS0_19identity_decomposerENS1_16block_id_wrapperIjLb0EEEEE10hipError_tT1_PNSt15iterator_traitsISE_E10value_typeET2_T3_PNSF_ISK_E10value_typeET4_T5_PSP_SQ_PNS1_23onesweep_lookback_stateEbbT6_jjT7_P12ihipStream_tbENKUlT_T0_SE_SJ_E_clIS8_S8_S9_S9_EEDaSX_SY_SE_SJ_EUlSX_E_NS1_11comp_targetILNS1_3genE10ELNS1_11target_archE1201ELNS1_3gpuE5ELNS1_3repE0EEENS1_47radix_sort_onesweep_sort_config_static_selectorELNS0_4arch9wavefront6targetE1EEEvSE_,comdat
.Lfunc_end1301:
	.size	_ZN7rocprim17ROCPRIM_400000_NS6detail17trampoline_kernelINS0_14default_configENS1_35radix_sort_onesweep_config_selectorIfNS0_10empty_typeEEEZZNS1_29radix_sort_onesweep_iterationIS3_Lb0EPfS8_PS5_S9_mNS0_19identity_decomposerENS1_16block_id_wrapperIjLb0EEEEE10hipError_tT1_PNSt15iterator_traitsISE_E10value_typeET2_T3_PNSF_ISK_E10value_typeET4_T5_PSP_SQ_PNS1_23onesweep_lookback_stateEbbT6_jjT7_P12ihipStream_tbENKUlT_T0_SE_SJ_E_clIS8_S8_S9_S9_EEDaSX_SY_SE_SJ_EUlSX_E_NS1_11comp_targetILNS1_3genE10ELNS1_11target_archE1201ELNS1_3gpuE5ELNS1_3repE0EEENS1_47radix_sort_onesweep_sort_config_static_selectorELNS0_4arch9wavefront6targetE1EEEvSE_, .Lfunc_end1301-_ZN7rocprim17ROCPRIM_400000_NS6detail17trampoline_kernelINS0_14default_configENS1_35radix_sort_onesweep_config_selectorIfNS0_10empty_typeEEEZZNS1_29radix_sort_onesweep_iterationIS3_Lb0EPfS8_PS5_S9_mNS0_19identity_decomposerENS1_16block_id_wrapperIjLb0EEEEE10hipError_tT1_PNSt15iterator_traitsISE_E10value_typeET2_T3_PNSF_ISK_E10value_typeET4_T5_PSP_SQ_PNS1_23onesweep_lookback_stateEbbT6_jjT7_P12ihipStream_tbENKUlT_T0_SE_SJ_E_clIS8_S8_S9_S9_EEDaSX_SY_SE_SJ_EUlSX_E_NS1_11comp_targetILNS1_3genE10ELNS1_11target_archE1201ELNS1_3gpuE5ELNS1_3repE0EEENS1_47radix_sort_onesweep_sort_config_static_selectorELNS0_4arch9wavefront6targetE1EEEvSE_
                                        ; -- End function
	.section	.AMDGPU.csdata,"",@progbits
; Kernel info:
; codeLenInByte = 0
; NumSgprs: 4
; NumVgprs: 0
; NumAgprs: 0
; TotalNumVgprs: 0
; ScratchSize: 0
; MemoryBound: 0
; FloatMode: 240
; IeeeMode: 1
; LDSByteSize: 0 bytes/workgroup (compile time only)
; SGPRBlocks: 0
; VGPRBlocks: 0
; NumSGPRsForWavesPerEU: 4
; NumVGPRsForWavesPerEU: 1
; AccumOffset: 4
; Occupancy: 8
; WaveLimiterHint : 0
; COMPUTE_PGM_RSRC2:SCRATCH_EN: 0
; COMPUTE_PGM_RSRC2:USER_SGPR: 6
; COMPUTE_PGM_RSRC2:TRAP_HANDLER: 0
; COMPUTE_PGM_RSRC2:TGID_X_EN: 1
; COMPUTE_PGM_RSRC2:TGID_Y_EN: 0
; COMPUTE_PGM_RSRC2:TGID_Z_EN: 0
; COMPUTE_PGM_RSRC2:TIDIG_COMP_CNT: 0
; COMPUTE_PGM_RSRC3_GFX90A:ACCUM_OFFSET: 0
; COMPUTE_PGM_RSRC3_GFX90A:TG_SPLIT: 0
	.section	.text._ZN7rocprim17ROCPRIM_400000_NS6detail17trampoline_kernelINS0_14default_configENS1_35radix_sort_onesweep_config_selectorIfNS0_10empty_typeEEEZZNS1_29radix_sort_onesweep_iterationIS3_Lb0EPfS8_PS5_S9_mNS0_19identity_decomposerENS1_16block_id_wrapperIjLb0EEEEE10hipError_tT1_PNSt15iterator_traitsISE_E10value_typeET2_T3_PNSF_ISK_E10value_typeET4_T5_PSP_SQ_PNS1_23onesweep_lookback_stateEbbT6_jjT7_P12ihipStream_tbENKUlT_T0_SE_SJ_E_clIS8_S8_S9_S9_EEDaSX_SY_SE_SJ_EUlSX_E_NS1_11comp_targetILNS1_3genE9ELNS1_11target_archE1100ELNS1_3gpuE3ELNS1_3repE0EEENS1_47radix_sort_onesweep_sort_config_static_selectorELNS0_4arch9wavefront6targetE1EEEvSE_,"axG",@progbits,_ZN7rocprim17ROCPRIM_400000_NS6detail17trampoline_kernelINS0_14default_configENS1_35radix_sort_onesweep_config_selectorIfNS0_10empty_typeEEEZZNS1_29radix_sort_onesweep_iterationIS3_Lb0EPfS8_PS5_S9_mNS0_19identity_decomposerENS1_16block_id_wrapperIjLb0EEEEE10hipError_tT1_PNSt15iterator_traitsISE_E10value_typeET2_T3_PNSF_ISK_E10value_typeET4_T5_PSP_SQ_PNS1_23onesweep_lookback_stateEbbT6_jjT7_P12ihipStream_tbENKUlT_T0_SE_SJ_E_clIS8_S8_S9_S9_EEDaSX_SY_SE_SJ_EUlSX_E_NS1_11comp_targetILNS1_3genE9ELNS1_11target_archE1100ELNS1_3gpuE3ELNS1_3repE0EEENS1_47radix_sort_onesweep_sort_config_static_selectorELNS0_4arch9wavefront6targetE1EEEvSE_,comdat
	.protected	_ZN7rocprim17ROCPRIM_400000_NS6detail17trampoline_kernelINS0_14default_configENS1_35radix_sort_onesweep_config_selectorIfNS0_10empty_typeEEEZZNS1_29radix_sort_onesweep_iterationIS3_Lb0EPfS8_PS5_S9_mNS0_19identity_decomposerENS1_16block_id_wrapperIjLb0EEEEE10hipError_tT1_PNSt15iterator_traitsISE_E10value_typeET2_T3_PNSF_ISK_E10value_typeET4_T5_PSP_SQ_PNS1_23onesweep_lookback_stateEbbT6_jjT7_P12ihipStream_tbENKUlT_T0_SE_SJ_E_clIS8_S8_S9_S9_EEDaSX_SY_SE_SJ_EUlSX_E_NS1_11comp_targetILNS1_3genE9ELNS1_11target_archE1100ELNS1_3gpuE3ELNS1_3repE0EEENS1_47radix_sort_onesweep_sort_config_static_selectorELNS0_4arch9wavefront6targetE1EEEvSE_ ; -- Begin function _ZN7rocprim17ROCPRIM_400000_NS6detail17trampoline_kernelINS0_14default_configENS1_35radix_sort_onesweep_config_selectorIfNS0_10empty_typeEEEZZNS1_29radix_sort_onesweep_iterationIS3_Lb0EPfS8_PS5_S9_mNS0_19identity_decomposerENS1_16block_id_wrapperIjLb0EEEEE10hipError_tT1_PNSt15iterator_traitsISE_E10value_typeET2_T3_PNSF_ISK_E10value_typeET4_T5_PSP_SQ_PNS1_23onesweep_lookback_stateEbbT6_jjT7_P12ihipStream_tbENKUlT_T0_SE_SJ_E_clIS8_S8_S9_S9_EEDaSX_SY_SE_SJ_EUlSX_E_NS1_11comp_targetILNS1_3genE9ELNS1_11target_archE1100ELNS1_3gpuE3ELNS1_3repE0EEENS1_47radix_sort_onesweep_sort_config_static_selectorELNS0_4arch9wavefront6targetE1EEEvSE_
	.globl	_ZN7rocprim17ROCPRIM_400000_NS6detail17trampoline_kernelINS0_14default_configENS1_35radix_sort_onesweep_config_selectorIfNS0_10empty_typeEEEZZNS1_29radix_sort_onesweep_iterationIS3_Lb0EPfS8_PS5_S9_mNS0_19identity_decomposerENS1_16block_id_wrapperIjLb0EEEEE10hipError_tT1_PNSt15iterator_traitsISE_E10value_typeET2_T3_PNSF_ISK_E10value_typeET4_T5_PSP_SQ_PNS1_23onesweep_lookback_stateEbbT6_jjT7_P12ihipStream_tbENKUlT_T0_SE_SJ_E_clIS8_S8_S9_S9_EEDaSX_SY_SE_SJ_EUlSX_E_NS1_11comp_targetILNS1_3genE9ELNS1_11target_archE1100ELNS1_3gpuE3ELNS1_3repE0EEENS1_47radix_sort_onesweep_sort_config_static_selectorELNS0_4arch9wavefront6targetE1EEEvSE_
	.p2align	8
	.type	_ZN7rocprim17ROCPRIM_400000_NS6detail17trampoline_kernelINS0_14default_configENS1_35radix_sort_onesweep_config_selectorIfNS0_10empty_typeEEEZZNS1_29radix_sort_onesweep_iterationIS3_Lb0EPfS8_PS5_S9_mNS0_19identity_decomposerENS1_16block_id_wrapperIjLb0EEEEE10hipError_tT1_PNSt15iterator_traitsISE_E10value_typeET2_T3_PNSF_ISK_E10value_typeET4_T5_PSP_SQ_PNS1_23onesweep_lookback_stateEbbT6_jjT7_P12ihipStream_tbENKUlT_T0_SE_SJ_E_clIS8_S8_S9_S9_EEDaSX_SY_SE_SJ_EUlSX_E_NS1_11comp_targetILNS1_3genE9ELNS1_11target_archE1100ELNS1_3gpuE3ELNS1_3repE0EEENS1_47radix_sort_onesweep_sort_config_static_selectorELNS0_4arch9wavefront6targetE1EEEvSE_,@function
_ZN7rocprim17ROCPRIM_400000_NS6detail17trampoline_kernelINS0_14default_configENS1_35radix_sort_onesweep_config_selectorIfNS0_10empty_typeEEEZZNS1_29radix_sort_onesweep_iterationIS3_Lb0EPfS8_PS5_S9_mNS0_19identity_decomposerENS1_16block_id_wrapperIjLb0EEEEE10hipError_tT1_PNSt15iterator_traitsISE_E10value_typeET2_T3_PNSF_ISK_E10value_typeET4_T5_PSP_SQ_PNS1_23onesweep_lookback_stateEbbT6_jjT7_P12ihipStream_tbENKUlT_T0_SE_SJ_E_clIS8_S8_S9_S9_EEDaSX_SY_SE_SJ_EUlSX_E_NS1_11comp_targetILNS1_3genE9ELNS1_11target_archE1100ELNS1_3gpuE3ELNS1_3repE0EEENS1_47radix_sort_onesweep_sort_config_static_selectorELNS0_4arch9wavefront6targetE1EEEvSE_: ; @_ZN7rocprim17ROCPRIM_400000_NS6detail17trampoline_kernelINS0_14default_configENS1_35radix_sort_onesweep_config_selectorIfNS0_10empty_typeEEEZZNS1_29radix_sort_onesweep_iterationIS3_Lb0EPfS8_PS5_S9_mNS0_19identity_decomposerENS1_16block_id_wrapperIjLb0EEEEE10hipError_tT1_PNSt15iterator_traitsISE_E10value_typeET2_T3_PNSF_ISK_E10value_typeET4_T5_PSP_SQ_PNS1_23onesweep_lookback_stateEbbT6_jjT7_P12ihipStream_tbENKUlT_T0_SE_SJ_E_clIS8_S8_S9_S9_EEDaSX_SY_SE_SJ_EUlSX_E_NS1_11comp_targetILNS1_3genE9ELNS1_11target_archE1100ELNS1_3gpuE3ELNS1_3repE0EEENS1_47radix_sort_onesweep_sort_config_static_selectorELNS0_4arch9wavefront6targetE1EEEvSE_
; %bb.0:
	.section	.rodata,"a",@progbits
	.p2align	6, 0x0
	.amdhsa_kernel _ZN7rocprim17ROCPRIM_400000_NS6detail17trampoline_kernelINS0_14default_configENS1_35radix_sort_onesweep_config_selectorIfNS0_10empty_typeEEEZZNS1_29radix_sort_onesweep_iterationIS3_Lb0EPfS8_PS5_S9_mNS0_19identity_decomposerENS1_16block_id_wrapperIjLb0EEEEE10hipError_tT1_PNSt15iterator_traitsISE_E10value_typeET2_T3_PNSF_ISK_E10value_typeET4_T5_PSP_SQ_PNS1_23onesweep_lookback_stateEbbT6_jjT7_P12ihipStream_tbENKUlT_T0_SE_SJ_E_clIS8_S8_S9_S9_EEDaSX_SY_SE_SJ_EUlSX_E_NS1_11comp_targetILNS1_3genE9ELNS1_11target_archE1100ELNS1_3gpuE3ELNS1_3repE0EEENS1_47radix_sort_onesweep_sort_config_static_selectorELNS0_4arch9wavefront6targetE1EEEvSE_
		.amdhsa_group_segment_fixed_size 0
		.amdhsa_private_segment_fixed_size 0
		.amdhsa_kernarg_size 88
		.amdhsa_user_sgpr_count 6
		.amdhsa_user_sgpr_private_segment_buffer 1
		.amdhsa_user_sgpr_dispatch_ptr 0
		.amdhsa_user_sgpr_queue_ptr 0
		.amdhsa_user_sgpr_kernarg_segment_ptr 1
		.amdhsa_user_sgpr_dispatch_id 0
		.amdhsa_user_sgpr_flat_scratch_init 0
		.amdhsa_user_sgpr_kernarg_preload_length 0
		.amdhsa_user_sgpr_kernarg_preload_offset 0
		.amdhsa_user_sgpr_private_segment_size 0
		.amdhsa_uses_dynamic_stack 0
		.amdhsa_system_sgpr_private_segment_wavefront_offset 0
		.amdhsa_system_sgpr_workgroup_id_x 1
		.amdhsa_system_sgpr_workgroup_id_y 0
		.amdhsa_system_sgpr_workgroup_id_z 0
		.amdhsa_system_sgpr_workgroup_info 0
		.amdhsa_system_vgpr_workitem_id 0
		.amdhsa_next_free_vgpr 1
		.amdhsa_next_free_sgpr 0
		.amdhsa_accum_offset 4
		.amdhsa_reserve_vcc 0
		.amdhsa_reserve_flat_scratch 0
		.amdhsa_float_round_mode_32 0
		.amdhsa_float_round_mode_16_64 0
		.amdhsa_float_denorm_mode_32 3
		.amdhsa_float_denorm_mode_16_64 3
		.amdhsa_dx10_clamp 1
		.amdhsa_ieee_mode 1
		.amdhsa_fp16_overflow 0
		.amdhsa_tg_split 0
		.amdhsa_exception_fp_ieee_invalid_op 0
		.amdhsa_exception_fp_denorm_src 0
		.amdhsa_exception_fp_ieee_div_zero 0
		.amdhsa_exception_fp_ieee_overflow 0
		.amdhsa_exception_fp_ieee_underflow 0
		.amdhsa_exception_fp_ieee_inexact 0
		.amdhsa_exception_int_div_zero 0
	.end_amdhsa_kernel
	.section	.text._ZN7rocprim17ROCPRIM_400000_NS6detail17trampoline_kernelINS0_14default_configENS1_35radix_sort_onesweep_config_selectorIfNS0_10empty_typeEEEZZNS1_29radix_sort_onesweep_iterationIS3_Lb0EPfS8_PS5_S9_mNS0_19identity_decomposerENS1_16block_id_wrapperIjLb0EEEEE10hipError_tT1_PNSt15iterator_traitsISE_E10value_typeET2_T3_PNSF_ISK_E10value_typeET4_T5_PSP_SQ_PNS1_23onesweep_lookback_stateEbbT6_jjT7_P12ihipStream_tbENKUlT_T0_SE_SJ_E_clIS8_S8_S9_S9_EEDaSX_SY_SE_SJ_EUlSX_E_NS1_11comp_targetILNS1_3genE9ELNS1_11target_archE1100ELNS1_3gpuE3ELNS1_3repE0EEENS1_47radix_sort_onesweep_sort_config_static_selectorELNS0_4arch9wavefront6targetE1EEEvSE_,"axG",@progbits,_ZN7rocprim17ROCPRIM_400000_NS6detail17trampoline_kernelINS0_14default_configENS1_35radix_sort_onesweep_config_selectorIfNS0_10empty_typeEEEZZNS1_29radix_sort_onesweep_iterationIS3_Lb0EPfS8_PS5_S9_mNS0_19identity_decomposerENS1_16block_id_wrapperIjLb0EEEEE10hipError_tT1_PNSt15iterator_traitsISE_E10value_typeET2_T3_PNSF_ISK_E10value_typeET4_T5_PSP_SQ_PNS1_23onesweep_lookback_stateEbbT6_jjT7_P12ihipStream_tbENKUlT_T0_SE_SJ_E_clIS8_S8_S9_S9_EEDaSX_SY_SE_SJ_EUlSX_E_NS1_11comp_targetILNS1_3genE9ELNS1_11target_archE1100ELNS1_3gpuE3ELNS1_3repE0EEENS1_47radix_sort_onesweep_sort_config_static_selectorELNS0_4arch9wavefront6targetE1EEEvSE_,comdat
.Lfunc_end1302:
	.size	_ZN7rocprim17ROCPRIM_400000_NS6detail17trampoline_kernelINS0_14default_configENS1_35radix_sort_onesweep_config_selectorIfNS0_10empty_typeEEEZZNS1_29radix_sort_onesweep_iterationIS3_Lb0EPfS8_PS5_S9_mNS0_19identity_decomposerENS1_16block_id_wrapperIjLb0EEEEE10hipError_tT1_PNSt15iterator_traitsISE_E10value_typeET2_T3_PNSF_ISK_E10value_typeET4_T5_PSP_SQ_PNS1_23onesweep_lookback_stateEbbT6_jjT7_P12ihipStream_tbENKUlT_T0_SE_SJ_E_clIS8_S8_S9_S9_EEDaSX_SY_SE_SJ_EUlSX_E_NS1_11comp_targetILNS1_3genE9ELNS1_11target_archE1100ELNS1_3gpuE3ELNS1_3repE0EEENS1_47radix_sort_onesweep_sort_config_static_selectorELNS0_4arch9wavefront6targetE1EEEvSE_, .Lfunc_end1302-_ZN7rocprim17ROCPRIM_400000_NS6detail17trampoline_kernelINS0_14default_configENS1_35radix_sort_onesweep_config_selectorIfNS0_10empty_typeEEEZZNS1_29radix_sort_onesweep_iterationIS3_Lb0EPfS8_PS5_S9_mNS0_19identity_decomposerENS1_16block_id_wrapperIjLb0EEEEE10hipError_tT1_PNSt15iterator_traitsISE_E10value_typeET2_T3_PNSF_ISK_E10value_typeET4_T5_PSP_SQ_PNS1_23onesweep_lookback_stateEbbT6_jjT7_P12ihipStream_tbENKUlT_T0_SE_SJ_E_clIS8_S8_S9_S9_EEDaSX_SY_SE_SJ_EUlSX_E_NS1_11comp_targetILNS1_3genE9ELNS1_11target_archE1100ELNS1_3gpuE3ELNS1_3repE0EEENS1_47radix_sort_onesweep_sort_config_static_selectorELNS0_4arch9wavefront6targetE1EEEvSE_
                                        ; -- End function
	.section	.AMDGPU.csdata,"",@progbits
; Kernel info:
; codeLenInByte = 0
; NumSgprs: 4
; NumVgprs: 0
; NumAgprs: 0
; TotalNumVgprs: 0
; ScratchSize: 0
; MemoryBound: 0
; FloatMode: 240
; IeeeMode: 1
; LDSByteSize: 0 bytes/workgroup (compile time only)
; SGPRBlocks: 0
; VGPRBlocks: 0
; NumSGPRsForWavesPerEU: 4
; NumVGPRsForWavesPerEU: 1
; AccumOffset: 4
; Occupancy: 8
; WaveLimiterHint : 0
; COMPUTE_PGM_RSRC2:SCRATCH_EN: 0
; COMPUTE_PGM_RSRC2:USER_SGPR: 6
; COMPUTE_PGM_RSRC2:TRAP_HANDLER: 0
; COMPUTE_PGM_RSRC2:TGID_X_EN: 1
; COMPUTE_PGM_RSRC2:TGID_Y_EN: 0
; COMPUTE_PGM_RSRC2:TGID_Z_EN: 0
; COMPUTE_PGM_RSRC2:TIDIG_COMP_CNT: 0
; COMPUTE_PGM_RSRC3_GFX90A:ACCUM_OFFSET: 0
; COMPUTE_PGM_RSRC3_GFX90A:TG_SPLIT: 0
	.section	.text._ZN7rocprim17ROCPRIM_400000_NS6detail17trampoline_kernelINS0_14default_configENS1_35radix_sort_onesweep_config_selectorIfNS0_10empty_typeEEEZZNS1_29radix_sort_onesweep_iterationIS3_Lb0EPfS8_PS5_S9_mNS0_19identity_decomposerENS1_16block_id_wrapperIjLb0EEEEE10hipError_tT1_PNSt15iterator_traitsISE_E10value_typeET2_T3_PNSF_ISK_E10value_typeET4_T5_PSP_SQ_PNS1_23onesweep_lookback_stateEbbT6_jjT7_P12ihipStream_tbENKUlT_T0_SE_SJ_E_clIS8_S8_S9_S9_EEDaSX_SY_SE_SJ_EUlSX_E_NS1_11comp_targetILNS1_3genE8ELNS1_11target_archE1030ELNS1_3gpuE2ELNS1_3repE0EEENS1_47radix_sort_onesweep_sort_config_static_selectorELNS0_4arch9wavefront6targetE1EEEvSE_,"axG",@progbits,_ZN7rocprim17ROCPRIM_400000_NS6detail17trampoline_kernelINS0_14default_configENS1_35radix_sort_onesweep_config_selectorIfNS0_10empty_typeEEEZZNS1_29radix_sort_onesweep_iterationIS3_Lb0EPfS8_PS5_S9_mNS0_19identity_decomposerENS1_16block_id_wrapperIjLb0EEEEE10hipError_tT1_PNSt15iterator_traitsISE_E10value_typeET2_T3_PNSF_ISK_E10value_typeET4_T5_PSP_SQ_PNS1_23onesweep_lookback_stateEbbT6_jjT7_P12ihipStream_tbENKUlT_T0_SE_SJ_E_clIS8_S8_S9_S9_EEDaSX_SY_SE_SJ_EUlSX_E_NS1_11comp_targetILNS1_3genE8ELNS1_11target_archE1030ELNS1_3gpuE2ELNS1_3repE0EEENS1_47radix_sort_onesweep_sort_config_static_selectorELNS0_4arch9wavefront6targetE1EEEvSE_,comdat
	.protected	_ZN7rocprim17ROCPRIM_400000_NS6detail17trampoline_kernelINS0_14default_configENS1_35radix_sort_onesweep_config_selectorIfNS0_10empty_typeEEEZZNS1_29radix_sort_onesweep_iterationIS3_Lb0EPfS8_PS5_S9_mNS0_19identity_decomposerENS1_16block_id_wrapperIjLb0EEEEE10hipError_tT1_PNSt15iterator_traitsISE_E10value_typeET2_T3_PNSF_ISK_E10value_typeET4_T5_PSP_SQ_PNS1_23onesweep_lookback_stateEbbT6_jjT7_P12ihipStream_tbENKUlT_T0_SE_SJ_E_clIS8_S8_S9_S9_EEDaSX_SY_SE_SJ_EUlSX_E_NS1_11comp_targetILNS1_3genE8ELNS1_11target_archE1030ELNS1_3gpuE2ELNS1_3repE0EEENS1_47radix_sort_onesweep_sort_config_static_selectorELNS0_4arch9wavefront6targetE1EEEvSE_ ; -- Begin function _ZN7rocprim17ROCPRIM_400000_NS6detail17trampoline_kernelINS0_14default_configENS1_35radix_sort_onesweep_config_selectorIfNS0_10empty_typeEEEZZNS1_29radix_sort_onesweep_iterationIS3_Lb0EPfS8_PS5_S9_mNS0_19identity_decomposerENS1_16block_id_wrapperIjLb0EEEEE10hipError_tT1_PNSt15iterator_traitsISE_E10value_typeET2_T3_PNSF_ISK_E10value_typeET4_T5_PSP_SQ_PNS1_23onesweep_lookback_stateEbbT6_jjT7_P12ihipStream_tbENKUlT_T0_SE_SJ_E_clIS8_S8_S9_S9_EEDaSX_SY_SE_SJ_EUlSX_E_NS1_11comp_targetILNS1_3genE8ELNS1_11target_archE1030ELNS1_3gpuE2ELNS1_3repE0EEENS1_47radix_sort_onesweep_sort_config_static_selectorELNS0_4arch9wavefront6targetE1EEEvSE_
	.globl	_ZN7rocprim17ROCPRIM_400000_NS6detail17trampoline_kernelINS0_14default_configENS1_35radix_sort_onesweep_config_selectorIfNS0_10empty_typeEEEZZNS1_29radix_sort_onesweep_iterationIS3_Lb0EPfS8_PS5_S9_mNS0_19identity_decomposerENS1_16block_id_wrapperIjLb0EEEEE10hipError_tT1_PNSt15iterator_traitsISE_E10value_typeET2_T3_PNSF_ISK_E10value_typeET4_T5_PSP_SQ_PNS1_23onesweep_lookback_stateEbbT6_jjT7_P12ihipStream_tbENKUlT_T0_SE_SJ_E_clIS8_S8_S9_S9_EEDaSX_SY_SE_SJ_EUlSX_E_NS1_11comp_targetILNS1_3genE8ELNS1_11target_archE1030ELNS1_3gpuE2ELNS1_3repE0EEENS1_47radix_sort_onesweep_sort_config_static_selectorELNS0_4arch9wavefront6targetE1EEEvSE_
	.p2align	8
	.type	_ZN7rocprim17ROCPRIM_400000_NS6detail17trampoline_kernelINS0_14default_configENS1_35radix_sort_onesweep_config_selectorIfNS0_10empty_typeEEEZZNS1_29radix_sort_onesweep_iterationIS3_Lb0EPfS8_PS5_S9_mNS0_19identity_decomposerENS1_16block_id_wrapperIjLb0EEEEE10hipError_tT1_PNSt15iterator_traitsISE_E10value_typeET2_T3_PNSF_ISK_E10value_typeET4_T5_PSP_SQ_PNS1_23onesweep_lookback_stateEbbT6_jjT7_P12ihipStream_tbENKUlT_T0_SE_SJ_E_clIS8_S8_S9_S9_EEDaSX_SY_SE_SJ_EUlSX_E_NS1_11comp_targetILNS1_3genE8ELNS1_11target_archE1030ELNS1_3gpuE2ELNS1_3repE0EEENS1_47radix_sort_onesweep_sort_config_static_selectorELNS0_4arch9wavefront6targetE1EEEvSE_,@function
_ZN7rocprim17ROCPRIM_400000_NS6detail17trampoline_kernelINS0_14default_configENS1_35radix_sort_onesweep_config_selectorIfNS0_10empty_typeEEEZZNS1_29radix_sort_onesweep_iterationIS3_Lb0EPfS8_PS5_S9_mNS0_19identity_decomposerENS1_16block_id_wrapperIjLb0EEEEE10hipError_tT1_PNSt15iterator_traitsISE_E10value_typeET2_T3_PNSF_ISK_E10value_typeET4_T5_PSP_SQ_PNS1_23onesweep_lookback_stateEbbT6_jjT7_P12ihipStream_tbENKUlT_T0_SE_SJ_E_clIS8_S8_S9_S9_EEDaSX_SY_SE_SJ_EUlSX_E_NS1_11comp_targetILNS1_3genE8ELNS1_11target_archE1030ELNS1_3gpuE2ELNS1_3repE0EEENS1_47radix_sort_onesweep_sort_config_static_selectorELNS0_4arch9wavefront6targetE1EEEvSE_: ; @_ZN7rocprim17ROCPRIM_400000_NS6detail17trampoline_kernelINS0_14default_configENS1_35radix_sort_onesweep_config_selectorIfNS0_10empty_typeEEEZZNS1_29radix_sort_onesweep_iterationIS3_Lb0EPfS8_PS5_S9_mNS0_19identity_decomposerENS1_16block_id_wrapperIjLb0EEEEE10hipError_tT1_PNSt15iterator_traitsISE_E10value_typeET2_T3_PNSF_ISK_E10value_typeET4_T5_PSP_SQ_PNS1_23onesweep_lookback_stateEbbT6_jjT7_P12ihipStream_tbENKUlT_T0_SE_SJ_E_clIS8_S8_S9_S9_EEDaSX_SY_SE_SJ_EUlSX_E_NS1_11comp_targetILNS1_3genE8ELNS1_11target_archE1030ELNS1_3gpuE2ELNS1_3repE0EEENS1_47radix_sort_onesweep_sort_config_static_selectorELNS0_4arch9wavefront6targetE1EEEvSE_
; %bb.0:
	.section	.rodata,"a",@progbits
	.p2align	6, 0x0
	.amdhsa_kernel _ZN7rocprim17ROCPRIM_400000_NS6detail17trampoline_kernelINS0_14default_configENS1_35radix_sort_onesweep_config_selectorIfNS0_10empty_typeEEEZZNS1_29radix_sort_onesweep_iterationIS3_Lb0EPfS8_PS5_S9_mNS0_19identity_decomposerENS1_16block_id_wrapperIjLb0EEEEE10hipError_tT1_PNSt15iterator_traitsISE_E10value_typeET2_T3_PNSF_ISK_E10value_typeET4_T5_PSP_SQ_PNS1_23onesweep_lookback_stateEbbT6_jjT7_P12ihipStream_tbENKUlT_T0_SE_SJ_E_clIS8_S8_S9_S9_EEDaSX_SY_SE_SJ_EUlSX_E_NS1_11comp_targetILNS1_3genE8ELNS1_11target_archE1030ELNS1_3gpuE2ELNS1_3repE0EEENS1_47radix_sort_onesweep_sort_config_static_selectorELNS0_4arch9wavefront6targetE1EEEvSE_
		.amdhsa_group_segment_fixed_size 0
		.amdhsa_private_segment_fixed_size 0
		.amdhsa_kernarg_size 88
		.amdhsa_user_sgpr_count 6
		.amdhsa_user_sgpr_private_segment_buffer 1
		.amdhsa_user_sgpr_dispatch_ptr 0
		.amdhsa_user_sgpr_queue_ptr 0
		.amdhsa_user_sgpr_kernarg_segment_ptr 1
		.amdhsa_user_sgpr_dispatch_id 0
		.amdhsa_user_sgpr_flat_scratch_init 0
		.amdhsa_user_sgpr_kernarg_preload_length 0
		.amdhsa_user_sgpr_kernarg_preload_offset 0
		.amdhsa_user_sgpr_private_segment_size 0
		.amdhsa_uses_dynamic_stack 0
		.amdhsa_system_sgpr_private_segment_wavefront_offset 0
		.amdhsa_system_sgpr_workgroup_id_x 1
		.amdhsa_system_sgpr_workgroup_id_y 0
		.amdhsa_system_sgpr_workgroup_id_z 0
		.amdhsa_system_sgpr_workgroup_info 0
		.amdhsa_system_vgpr_workitem_id 0
		.amdhsa_next_free_vgpr 1
		.amdhsa_next_free_sgpr 0
		.amdhsa_accum_offset 4
		.amdhsa_reserve_vcc 0
		.amdhsa_reserve_flat_scratch 0
		.amdhsa_float_round_mode_32 0
		.amdhsa_float_round_mode_16_64 0
		.amdhsa_float_denorm_mode_32 3
		.amdhsa_float_denorm_mode_16_64 3
		.amdhsa_dx10_clamp 1
		.amdhsa_ieee_mode 1
		.amdhsa_fp16_overflow 0
		.amdhsa_tg_split 0
		.amdhsa_exception_fp_ieee_invalid_op 0
		.amdhsa_exception_fp_denorm_src 0
		.amdhsa_exception_fp_ieee_div_zero 0
		.amdhsa_exception_fp_ieee_overflow 0
		.amdhsa_exception_fp_ieee_underflow 0
		.amdhsa_exception_fp_ieee_inexact 0
		.amdhsa_exception_int_div_zero 0
	.end_amdhsa_kernel
	.section	.text._ZN7rocprim17ROCPRIM_400000_NS6detail17trampoline_kernelINS0_14default_configENS1_35radix_sort_onesweep_config_selectorIfNS0_10empty_typeEEEZZNS1_29radix_sort_onesweep_iterationIS3_Lb0EPfS8_PS5_S9_mNS0_19identity_decomposerENS1_16block_id_wrapperIjLb0EEEEE10hipError_tT1_PNSt15iterator_traitsISE_E10value_typeET2_T3_PNSF_ISK_E10value_typeET4_T5_PSP_SQ_PNS1_23onesweep_lookback_stateEbbT6_jjT7_P12ihipStream_tbENKUlT_T0_SE_SJ_E_clIS8_S8_S9_S9_EEDaSX_SY_SE_SJ_EUlSX_E_NS1_11comp_targetILNS1_3genE8ELNS1_11target_archE1030ELNS1_3gpuE2ELNS1_3repE0EEENS1_47radix_sort_onesweep_sort_config_static_selectorELNS0_4arch9wavefront6targetE1EEEvSE_,"axG",@progbits,_ZN7rocprim17ROCPRIM_400000_NS6detail17trampoline_kernelINS0_14default_configENS1_35radix_sort_onesweep_config_selectorIfNS0_10empty_typeEEEZZNS1_29radix_sort_onesweep_iterationIS3_Lb0EPfS8_PS5_S9_mNS0_19identity_decomposerENS1_16block_id_wrapperIjLb0EEEEE10hipError_tT1_PNSt15iterator_traitsISE_E10value_typeET2_T3_PNSF_ISK_E10value_typeET4_T5_PSP_SQ_PNS1_23onesweep_lookback_stateEbbT6_jjT7_P12ihipStream_tbENKUlT_T0_SE_SJ_E_clIS8_S8_S9_S9_EEDaSX_SY_SE_SJ_EUlSX_E_NS1_11comp_targetILNS1_3genE8ELNS1_11target_archE1030ELNS1_3gpuE2ELNS1_3repE0EEENS1_47radix_sort_onesweep_sort_config_static_selectorELNS0_4arch9wavefront6targetE1EEEvSE_,comdat
.Lfunc_end1303:
	.size	_ZN7rocprim17ROCPRIM_400000_NS6detail17trampoline_kernelINS0_14default_configENS1_35radix_sort_onesweep_config_selectorIfNS0_10empty_typeEEEZZNS1_29radix_sort_onesweep_iterationIS3_Lb0EPfS8_PS5_S9_mNS0_19identity_decomposerENS1_16block_id_wrapperIjLb0EEEEE10hipError_tT1_PNSt15iterator_traitsISE_E10value_typeET2_T3_PNSF_ISK_E10value_typeET4_T5_PSP_SQ_PNS1_23onesweep_lookback_stateEbbT6_jjT7_P12ihipStream_tbENKUlT_T0_SE_SJ_E_clIS8_S8_S9_S9_EEDaSX_SY_SE_SJ_EUlSX_E_NS1_11comp_targetILNS1_3genE8ELNS1_11target_archE1030ELNS1_3gpuE2ELNS1_3repE0EEENS1_47radix_sort_onesweep_sort_config_static_selectorELNS0_4arch9wavefront6targetE1EEEvSE_, .Lfunc_end1303-_ZN7rocprim17ROCPRIM_400000_NS6detail17trampoline_kernelINS0_14default_configENS1_35radix_sort_onesweep_config_selectorIfNS0_10empty_typeEEEZZNS1_29radix_sort_onesweep_iterationIS3_Lb0EPfS8_PS5_S9_mNS0_19identity_decomposerENS1_16block_id_wrapperIjLb0EEEEE10hipError_tT1_PNSt15iterator_traitsISE_E10value_typeET2_T3_PNSF_ISK_E10value_typeET4_T5_PSP_SQ_PNS1_23onesweep_lookback_stateEbbT6_jjT7_P12ihipStream_tbENKUlT_T0_SE_SJ_E_clIS8_S8_S9_S9_EEDaSX_SY_SE_SJ_EUlSX_E_NS1_11comp_targetILNS1_3genE8ELNS1_11target_archE1030ELNS1_3gpuE2ELNS1_3repE0EEENS1_47radix_sort_onesweep_sort_config_static_selectorELNS0_4arch9wavefront6targetE1EEEvSE_
                                        ; -- End function
	.section	.AMDGPU.csdata,"",@progbits
; Kernel info:
; codeLenInByte = 0
; NumSgprs: 4
; NumVgprs: 0
; NumAgprs: 0
; TotalNumVgprs: 0
; ScratchSize: 0
; MemoryBound: 0
; FloatMode: 240
; IeeeMode: 1
; LDSByteSize: 0 bytes/workgroup (compile time only)
; SGPRBlocks: 0
; VGPRBlocks: 0
; NumSGPRsForWavesPerEU: 4
; NumVGPRsForWavesPerEU: 1
; AccumOffset: 4
; Occupancy: 8
; WaveLimiterHint : 0
; COMPUTE_PGM_RSRC2:SCRATCH_EN: 0
; COMPUTE_PGM_RSRC2:USER_SGPR: 6
; COMPUTE_PGM_RSRC2:TRAP_HANDLER: 0
; COMPUTE_PGM_RSRC2:TGID_X_EN: 1
; COMPUTE_PGM_RSRC2:TGID_Y_EN: 0
; COMPUTE_PGM_RSRC2:TGID_Z_EN: 0
; COMPUTE_PGM_RSRC2:TIDIG_COMP_CNT: 0
; COMPUTE_PGM_RSRC3_GFX90A:ACCUM_OFFSET: 0
; COMPUTE_PGM_RSRC3_GFX90A:TG_SPLIT: 0
	.section	.text._ZN7rocprim17ROCPRIM_400000_NS6detail17trampoline_kernelINS0_13kernel_configILj256ELj4ELj4294967295EEENS1_37radix_sort_block_sort_config_selectorIdNS0_10empty_typeEEEZNS1_21radix_sort_block_sortIS4_Lb0EPdS9_PS6_SA_NS0_19identity_decomposerEEE10hipError_tT1_T2_T3_T4_jRjT5_jjP12ihipStream_tbEUlT_E_NS1_11comp_targetILNS1_3genE0ELNS1_11target_archE4294967295ELNS1_3gpuE0ELNS1_3repE0EEENS1_44radix_sort_block_sort_config_static_selectorELNS0_4arch9wavefront6targetE1EEEvSD_,"axG",@progbits,_ZN7rocprim17ROCPRIM_400000_NS6detail17trampoline_kernelINS0_13kernel_configILj256ELj4ELj4294967295EEENS1_37radix_sort_block_sort_config_selectorIdNS0_10empty_typeEEEZNS1_21radix_sort_block_sortIS4_Lb0EPdS9_PS6_SA_NS0_19identity_decomposerEEE10hipError_tT1_T2_T3_T4_jRjT5_jjP12ihipStream_tbEUlT_E_NS1_11comp_targetILNS1_3genE0ELNS1_11target_archE4294967295ELNS1_3gpuE0ELNS1_3repE0EEENS1_44radix_sort_block_sort_config_static_selectorELNS0_4arch9wavefront6targetE1EEEvSD_,comdat
	.protected	_ZN7rocprim17ROCPRIM_400000_NS6detail17trampoline_kernelINS0_13kernel_configILj256ELj4ELj4294967295EEENS1_37radix_sort_block_sort_config_selectorIdNS0_10empty_typeEEEZNS1_21radix_sort_block_sortIS4_Lb0EPdS9_PS6_SA_NS0_19identity_decomposerEEE10hipError_tT1_T2_T3_T4_jRjT5_jjP12ihipStream_tbEUlT_E_NS1_11comp_targetILNS1_3genE0ELNS1_11target_archE4294967295ELNS1_3gpuE0ELNS1_3repE0EEENS1_44radix_sort_block_sort_config_static_selectorELNS0_4arch9wavefront6targetE1EEEvSD_ ; -- Begin function _ZN7rocprim17ROCPRIM_400000_NS6detail17trampoline_kernelINS0_13kernel_configILj256ELj4ELj4294967295EEENS1_37radix_sort_block_sort_config_selectorIdNS0_10empty_typeEEEZNS1_21radix_sort_block_sortIS4_Lb0EPdS9_PS6_SA_NS0_19identity_decomposerEEE10hipError_tT1_T2_T3_T4_jRjT5_jjP12ihipStream_tbEUlT_E_NS1_11comp_targetILNS1_3genE0ELNS1_11target_archE4294967295ELNS1_3gpuE0ELNS1_3repE0EEENS1_44radix_sort_block_sort_config_static_selectorELNS0_4arch9wavefront6targetE1EEEvSD_
	.globl	_ZN7rocprim17ROCPRIM_400000_NS6detail17trampoline_kernelINS0_13kernel_configILj256ELj4ELj4294967295EEENS1_37radix_sort_block_sort_config_selectorIdNS0_10empty_typeEEEZNS1_21radix_sort_block_sortIS4_Lb0EPdS9_PS6_SA_NS0_19identity_decomposerEEE10hipError_tT1_T2_T3_T4_jRjT5_jjP12ihipStream_tbEUlT_E_NS1_11comp_targetILNS1_3genE0ELNS1_11target_archE4294967295ELNS1_3gpuE0ELNS1_3repE0EEENS1_44radix_sort_block_sort_config_static_selectorELNS0_4arch9wavefront6targetE1EEEvSD_
	.p2align	8
	.type	_ZN7rocprim17ROCPRIM_400000_NS6detail17trampoline_kernelINS0_13kernel_configILj256ELj4ELj4294967295EEENS1_37radix_sort_block_sort_config_selectorIdNS0_10empty_typeEEEZNS1_21radix_sort_block_sortIS4_Lb0EPdS9_PS6_SA_NS0_19identity_decomposerEEE10hipError_tT1_T2_T3_T4_jRjT5_jjP12ihipStream_tbEUlT_E_NS1_11comp_targetILNS1_3genE0ELNS1_11target_archE4294967295ELNS1_3gpuE0ELNS1_3repE0EEENS1_44radix_sort_block_sort_config_static_selectorELNS0_4arch9wavefront6targetE1EEEvSD_,@function
_ZN7rocprim17ROCPRIM_400000_NS6detail17trampoline_kernelINS0_13kernel_configILj256ELj4ELj4294967295EEENS1_37radix_sort_block_sort_config_selectorIdNS0_10empty_typeEEEZNS1_21radix_sort_block_sortIS4_Lb0EPdS9_PS6_SA_NS0_19identity_decomposerEEE10hipError_tT1_T2_T3_T4_jRjT5_jjP12ihipStream_tbEUlT_E_NS1_11comp_targetILNS1_3genE0ELNS1_11target_archE4294967295ELNS1_3gpuE0ELNS1_3repE0EEENS1_44radix_sort_block_sort_config_static_selectorELNS0_4arch9wavefront6targetE1EEEvSD_: ; @_ZN7rocprim17ROCPRIM_400000_NS6detail17trampoline_kernelINS0_13kernel_configILj256ELj4ELj4294967295EEENS1_37radix_sort_block_sort_config_selectorIdNS0_10empty_typeEEEZNS1_21radix_sort_block_sortIS4_Lb0EPdS9_PS6_SA_NS0_19identity_decomposerEEE10hipError_tT1_T2_T3_T4_jRjT5_jjP12ihipStream_tbEUlT_E_NS1_11comp_targetILNS1_3genE0ELNS1_11target_archE4294967295ELNS1_3gpuE0ELNS1_3repE0EEENS1_44radix_sort_block_sort_config_static_selectorELNS0_4arch9wavefront6targetE1EEEvSD_
; %bb.0:
	.section	.rodata,"a",@progbits
	.p2align	6, 0x0
	.amdhsa_kernel _ZN7rocprim17ROCPRIM_400000_NS6detail17trampoline_kernelINS0_13kernel_configILj256ELj4ELj4294967295EEENS1_37radix_sort_block_sort_config_selectorIdNS0_10empty_typeEEEZNS1_21radix_sort_block_sortIS4_Lb0EPdS9_PS6_SA_NS0_19identity_decomposerEEE10hipError_tT1_T2_T3_T4_jRjT5_jjP12ihipStream_tbEUlT_E_NS1_11comp_targetILNS1_3genE0ELNS1_11target_archE4294967295ELNS1_3gpuE0ELNS1_3repE0EEENS1_44radix_sort_block_sort_config_static_selectorELNS0_4arch9wavefront6targetE1EEEvSD_
		.amdhsa_group_segment_fixed_size 0
		.amdhsa_private_segment_fixed_size 0
		.amdhsa_kernarg_size 48
		.amdhsa_user_sgpr_count 6
		.amdhsa_user_sgpr_private_segment_buffer 1
		.amdhsa_user_sgpr_dispatch_ptr 0
		.amdhsa_user_sgpr_queue_ptr 0
		.amdhsa_user_sgpr_kernarg_segment_ptr 1
		.amdhsa_user_sgpr_dispatch_id 0
		.amdhsa_user_sgpr_flat_scratch_init 0
		.amdhsa_user_sgpr_kernarg_preload_length 0
		.amdhsa_user_sgpr_kernarg_preload_offset 0
		.amdhsa_user_sgpr_private_segment_size 0
		.amdhsa_uses_dynamic_stack 0
		.amdhsa_system_sgpr_private_segment_wavefront_offset 0
		.amdhsa_system_sgpr_workgroup_id_x 1
		.amdhsa_system_sgpr_workgroup_id_y 0
		.amdhsa_system_sgpr_workgroup_id_z 0
		.amdhsa_system_sgpr_workgroup_info 0
		.amdhsa_system_vgpr_workitem_id 0
		.amdhsa_next_free_vgpr 1
		.amdhsa_next_free_sgpr 0
		.amdhsa_accum_offset 4
		.amdhsa_reserve_vcc 0
		.amdhsa_reserve_flat_scratch 0
		.amdhsa_float_round_mode_32 0
		.amdhsa_float_round_mode_16_64 0
		.amdhsa_float_denorm_mode_32 3
		.amdhsa_float_denorm_mode_16_64 3
		.amdhsa_dx10_clamp 1
		.amdhsa_ieee_mode 1
		.amdhsa_fp16_overflow 0
		.amdhsa_tg_split 0
		.amdhsa_exception_fp_ieee_invalid_op 0
		.amdhsa_exception_fp_denorm_src 0
		.amdhsa_exception_fp_ieee_div_zero 0
		.amdhsa_exception_fp_ieee_overflow 0
		.amdhsa_exception_fp_ieee_underflow 0
		.amdhsa_exception_fp_ieee_inexact 0
		.amdhsa_exception_int_div_zero 0
	.end_amdhsa_kernel
	.section	.text._ZN7rocprim17ROCPRIM_400000_NS6detail17trampoline_kernelINS0_13kernel_configILj256ELj4ELj4294967295EEENS1_37radix_sort_block_sort_config_selectorIdNS0_10empty_typeEEEZNS1_21radix_sort_block_sortIS4_Lb0EPdS9_PS6_SA_NS0_19identity_decomposerEEE10hipError_tT1_T2_T3_T4_jRjT5_jjP12ihipStream_tbEUlT_E_NS1_11comp_targetILNS1_3genE0ELNS1_11target_archE4294967295ELNS1_3gpuE0ELNS1_3repE0EEENS1_44radix_sort_block_sort_config_static_selectorELNS0_4arch9wavefront6targetE1EEEvSD_,"axG",@progbits,_ZN7rocprim17ROCPRIM_400000_NS6detail17trampoline_kernelINS0_13kernel_configILj256ELj4ELj4294967295EEENS1_37radix_sort_block_sort_config_selectorIdNS0_10empty_typeEEEZNS1_21radix_sort_block_sortIS4_Lb0EPdS9_PS6_SA_NS0_19identity_decomposerEEE10hipError_tT1_T2_T3_T4_jRjT5_jjP12ihipStream_tbEUlT_E_NS1_11comp_targetILNS1_3genE0ELNS1_11target_archE4294967295ELNS1_3gpuE0ELNS1_3repE0EEENS1_44radix_sort_block_sort_config_static_selectorELNS0_4arch9wavefront6targetE1EEEvSD_,comdat
.Lfunc_end1304:
	.size	_ZN7rocprim17ROCPRIM_400000_NS6detail17trampoline_kernelINS0_13kernel_configILj256ELj4ELj4294967295EEENS1_37radix_sort_block_sort_config_selectorIdNS0_10empty_typeEEEZNS1_21radix_sort_block_sortIS4_Lb0EPdS9_PS6_SA_NS0_19identity_decomposerEEE10hipError_tT1_T2_T3_T4_jRjT5_jjP12ihipStream_tbEUlT_E_NS1_11comp_targetILNS1_3genE0ELNS1_11target_archE4294967295ELNS1_3gpuE0ELNS1_3repE0EEENS1_44radix_sort_block_sort_config_static_selectorELNS0_4arch9wavefront6targetE1EEEvSD_, .Lfunc_end1304-_ZN7rocprim17ROCPRIM_400000_NS6detail17trampoline_kernelINS0_13kernel_configILj256ELj4ELj4294967295EEENS1_37radix_sort_block_sort_config_selectorIdNS0_10empty_typeEEEZNS1_21radix_sort_block_sortIS4_Lb0EPdS9_PS6_SA_NS0_19identity_decomposerEEE10hipError_tT1_T2_T3_T4_jRjT5_jjP12ihipStream_tbEUlT_E_NS1_11comp_targetILNS1_3genE0ELNS1_11target_archE4294967295ELNS1_3gpuE0ELNS1_3repE0EEENS1_44radix_sort_block_sort_config_static_selectorELNS0_4arch9wavefront6targetE1EEEvSD_
                                        ; -- End function
	.section	.AMDGPU.csdata,"",@progbits
; Kernel info:
; codeLenInByte = 0
; NumSgprs: 4
; NumVgprs: 0
; NumAgprs: 0
; TotalNumVgprs: 0
; ScratchSize: 0
; MemoryBound: 0
; FloatMode: 240
; IeeeMode: 1
; LDSByteSize: 0 bytes/workgroup (compile time only)
; SGPRBlocks: 0
; VGPRBlocks: 0
; NumSGPRsForWavesPerEU: 4
; NumVGPRsForWavesPerEU: 1
; AccumOffset: 4
; Occupancy: 8
; WaveLimiterHint : 0
; COMPUTE_PGM_RSRC2:SCRATCH_EN: 0
; COMPUTE_PGM_RSRC2:USER_SGPR: 6
; COMPUTE_PGM_RSRC2:TRAP_HANDLER: 0
; COMPUTE_PGM_RSRC2:TGID_X_EN: 1
; COMPUTE_PGM_RSRC2:TGID_Y_EN: 0
; COMPUTE_PGM_RSRC2:TGID_Z_EN: 0
; COMPUTE_PGM_RSRC2:TIDIG_COMP_CNT: 0
; COMPUTE_PGM_RSRC3_GFX90A:ACCUM_OFFSET: 0
; COMPUTE_PGM_RSRC3_GFX90A:TG_SPLIT: 0
	.section	.text._ZN7rocprim17ROCPRIM_400000_NS6detail17trampoline_kernelINS0_13kernel_configILj256ELj4ELj4294967295EEENS1_37radix_sort_block_sort_config_selectorIdNS0_10empty_typeEEEZNS1_21radix_sort_block_sortIS4_Lb0EPdS9_PS6_SA_NS0_19identity_decomposerEEE10hipError_tT1_T2_T3_T4_jRjT5_jjP12ihipStream_tbEUlT_E_NS1_11comp_targetILNS1_3genE5ELNS1_11target_archE942ELNS1_3gpuE9ELNS1_3repE0EEENS1_44radix_sort_block_sort_config_static_selectorELNS0_4arch9wavefront6targetE1EEEvSD_,"axG",@progbits,_ZN7rocprim17ROCPRIM_400000_NS6detail17trampoline_kernelINS0_13kernel_configILj256ELj4ELj4294967295EEENS1_37radix_sort_block_sort_config_selectorIdNS0_10empty_typeEEEZNS1_21radix_sort_block_sortIS4_Lb0EPdS9_PS6_SA_NS0_19identity_decomposerEEE10hipError_tT1_T2_T3_T4_jRjT5_jjP12ihipStream_tbEUlT_E_NS1_11comp_targetILNS1_3genE5ELNS1_11target_archE942ELNS1_3gpuE9ELNS1_3repE0EEENS1_44radix_sort_block_sort_config_static_selectorELNS0_4arch9wavefront6targetE1EEEvSD_,comdat
	.protected	_ZN7rocprim17ROCPRIM_400000_NS6detail17trampoline_kernelINS0_13kernel_configILj256ELj4ELj4294967295EEENS1_37radix_sort_block_sort_config_selectorIdNS0_10empty_typeEEEZNS1_21radix_sort_block_sortIS4_Lb0EPdS9_PS6_SA_NS0_19identity_decomposerEEE10hipError_tT1_T2_T3_T4_jRjT5_jjP12ihipStream_tbEUlT_E_NS1_11comp_targetILNS1_3genE5ELNS1_11target_archE942ELNS1_3gpuE9ELNS1_3repE0EEENS1_44radix_sort_block_sort_config_static_selectorELNS0_4arch9wavefront6targetE1EEEvSD_ ; -- Begin function _ZN7rocprim17ROCPRIM_400000_NS6detail17trampoline_kernelINS0_13kernel_configILj256ELj4ELj4294967295EEENS1_37radix_sort_block_sort_config_selectorIdNS0_10empty_typeEEEZNS1_21radix_sort_block_sortIS4_Lb0EPdS9_PS6_SA_NS0_19identity_decomposerEEE10hipError_tT1_T2_T3_T4_jRjT5_jjP12ihipStream_tbEUlT_E_NS1_11comp_targetILNS1_3genE5ELNS1_11target_archE942ELNS1_3gpuE9ELNS1_3repE0EEENS1_44radix_sort_block_sort_config_static_selectorELNS0_4arch9wavefront6targetE1EEEvSD_
	.globl	_ZN7rocprim17ROCPRIM_400000_NS6detail17trampoline_kernelINS0_13kernel_configILj256ELj4ELj4294967295EEENS1_37radix_sort_block_sort_config_selectorIdNS0_10empty_typeEEEZNS1_21radix_sort_block_sortIS4_Lb0EPdS9_PS6_SA_NS0_19identity_decomposerEEE10hipError_tT1_T2_T3_T4_jRjT5_jjP12ihipStream_tbEUlT_E_NS1_11comp_targetILNS1_3genE5ELNS1_11target_archE942ELNS1_3gpuE9ELNS1_3repE0EEENS1_44radix_sort_block_sort_config_static_selectorELNS0_4arch9wavefront6targetE1EEEvSD_
	.p2align	8
	.type	_ZN7rocprim17ROCPRIM_400000_NS6detail17trampoline_kernelINS0_13kernel_configILj256ELj4ELj4294967295EEENS1_37radix_sort_block_sort_config_selectorIdNS0_10empty_typeEEEZNS1_21radix_sort_block_sortIS4_Lb0EPdS9_PS6_SA_NS0_19identity_decomposerEEE10hipError_tT1_T2_T3_T4_jRjT5_jjP12ihipStream_tbEUlT_E_NS1_11comp_targetILNS1_3genE5ELNS1_11target_archE942ELNS1_3gpuE9ELNS1_3repE0EEENS1_44radix_sort_block_sort_config_static_selectorELNS0_4arch9wavefront6targetE1EEEvSD_,@function
_ZN7rocprim17ROCPRIM_400000_NS6detail17trampoline_kernelINS0_13kernel_configILj256ELj4ELj4294967295EEENS1_37radix_sort_block_sort_config_selectorIdNS0_10empty_typeEEEZNS1_21radix_sort_block_sortIS4_Lb0EPdS9_PS6_SA_NS0_19identity_decomposerEEE10hipError_tT1_T2_T3_T4_jRjT5_jjP12ihipStream_tbEUlT_E_NS1_11comp_targetILNS1_3genE5ELNS1_11target_archE942ELNS1_3gpuE9ELNS1_3repE0EEENS1_44radix_sort_block_sort_config_static_selectorELNS0_4arch9wavefront6targetE1EEEvSD_: ; @_ZN7rocprim17ROCPRIM_400000_NS6detail17trampoline_kernelINS0_13kernel_configILj256ELj4ELj4294967295EEENS1_37radix_sort_block_sort_config_selectorIdNS0_10empty_typeEEEZNS1_21radix_sort_block_sortIS4_Lb0EPdS9_PS6_SA_NS0_19identity_decomposerEEE10hipError_tT1_T2_T3_T4_jRjT5_jjP12ihipStream_tbEUlT_E_NS1_11comp_targetILNS1_3genE5ELNS1_11target_archE942ELNS1_3gpuE9ELNS1_3repE0EEENS1_44radix_sort_block_sort_config_static_selectorELNS0_4arch9wavefront6targetE1EEEvSD_
; %bb.0:
	.section	.rodata,"a",@progbits
	.p2align	6, 0x0
	.amdhsa_kernel _ZN7rocprim17ROCPRIM_400000_NS6detail17trampoline_kernelINS0_13kernel_configILj256ELj4ELj4294967295EEENS1_37radix_sort_block_sort_config_selectorIdNS0_10empty_typeEEEZNS1_21radix_sort_block_sortIS4_Lb0EPdS9_PS6_SA_NS0_19identity_decomposerEEE10hipError_tT1_T2_T3_T4_jRjT5_jjP12ihipStream_tbEUlT_E_NS1_11comp_targetILNS1_3genE5ELNS1_11target_archE942ELNS1_3gpuE9ELNS1_3repE0EEENS1_44radix_sort_block_sort_config_static_selectorELNS0_4arch9wavefront6targetE1EEEvSD_
		.amdhsa_group_segment_fixed_size 0
		.amdhsa_private_segment_fixed_size 0
		.amdhsa_kernarg_size 48
		.amdhsa_user_sgpr_count 6
		.amdhsa_user_sgpr_private_segment_buffer 1
		.amdhsa_user_sgpr_dispatch_ptr 0
		.amdhsa_user_sgpr_queue_ptr 0
		.amdhsa_user_sgpr_kernarg_segment_ptr 1
		.amdhsa_user_sgpr_dispatch_id 0
		.amdhsa_user_sgpr_flat_scratch_init 0
		.amdhsa_user_sgpr_kernarg_preload_length 0
		.amdhsa_user_sgpr_kernarg_preload_offset 0
		.amdhsa_user_sgpr_private_segment_size 0
		.amdhsa_uses_dynamic_stack 0
		.amdhsa_system_sgpr_private_segment_wavefront_offset 0
		.amdhsa_system_sgpr_workgroup_id_x 1
		.amdhsa_system_sgpr_workgroup_id_y 0
		.amdhsa_system_sgpr_workgroup_id_z 0
		.amdhsa_system_sgpr_workgroup_info 0
		.amdhsa_system_vgpr_workitem_id 0
		.amdhsa_next_free_vgpr 1
		.amdhsa_next_free_sgpr 0
		.amdhsa_accum_offset 4
		.amdhsa_reserve_vcc 0
		.amdhsa_reserve_flat_scratch 0
		.amdhsa_float_round_mode_32 0
		.amdhsa_float_round_mode_16_64 0
		.amdhsa_float_denorm_mode_32 3
		.amdhsa_float_denorm_mode_16_64 3
		.amdhsa_dx10_clamp 1
		.amdhsa_ieee_mode 1
		.amdhsa_fp16_overflow 0
		.amdhsa_tg_split 0
		.amdhsa_exception_fp_ieee_invalid_op 0
		.amdhsa_exception_fp_denorm_src 0
		.amdhsa_exception_fp_ieee_div_zero 0
		.amdhsa_exception_fp_ieee_overflow 0
		.amdhsa_exception_fp_ieee_underflow 0
		.amdhsa_exception_fp_ieee_inexact 0
		.amdhsa_exception_int_div_zero 0
	.end_amdhsa_kernel
	.section	.text._ZN7rocprim17ROCPRIM_400000_NS6detail17trampoline_kernelINS0_13kernel_configILj256ELj4ELj4294967295EEENS1_37radix_sort_block_sort_config_selectorIdNS0_10empty_typeEEEZNS1_21radix_sort_block_sortIS4_Lb0EPdS9_PS6_SA_NS0_19identity_decomposerEEE10hipError_tT1_T2_T3_T4_jRjT5_jjP12ihipStream_tbEUlT_E_NS1_11comp_targetILNS1_3genE5ELNS1_11target_archE942ELNS1_3gpuE9ELNS1_3repE0EEENS1_44radix_sort_block_sort_config_static_selectorELNS0_4arch9wavefront6targetE1EEEvSD_,"axG",@progbits,_ZN7rocprim17ROCPRIM_400000_NS6detail17trampoline_kernelINS0_13kernel_configILj256ELj4ELj4294967295EEENS1_37radix_sort_block_sort_config_selectorIdNS0_10empty_typeEEEZNS1_21radix_sort_block_sortIS4_Lb0EPdS9_PS6_SA_NS0_19identity_decomposerEEE10hipError_tT1_T2_T3_T4_jRjT5_jjP12ihipStream_tbEUlT_E_NS1_11comp_targetILNS1_3genE5ELNS1_11target_archE942ELNS1_3gpuE9ELNS1_3repE0EEENS1_44radix_sort_block_sort_config_static_selectorELNS0_4arch9wavefront6targetE1EEEvSD_,comdat
.Lfunc_end1305:
	.size	_ZN7rocprim17ROCPRIM_400000_NS6detail17trampoline_kernelINS0_13kernel_configILj256ELj4ELj4294967295EEENS1_37radix_sort_block_sort_config_selectorIdNS0_10empty_typeEEEZNS1_21radix_sort_block_sortIS4_Lb0EPdS9_PS6_SA_NS0_19identity_decomposerEEE10hipError_tT1_T2_T3_T4_jRjT5_jjP12ihipStream_tbEUlT_E_NS1_11comp_targetILNS1_3genE5ELNS1_11target_archE942ELNS1_3gpuE9ELNS1_3repE0EEENS1_44radix_sort_block_sort_config_static_selectorELNS0_4arch9wavefront6targetE1EEEvSD_, .Lfunc_end1305-_ZN7rocprim17ROCPRIM_400000_NS6detail17trampoline_kernelINS0_13kernel_configILj256ELj4ELj4294967295EEENS1_37radix_sort_block_sort_config_selectorIdNS0_10empty_typeEEEZNS1_21radix_sort_block_sortIS4_Lb0EPdS9_PS6_SA_NS0_19identity_decomposerEEE10hipError_tT1_T2_T3_T4_jRjT5_jjP12ihipStream_tbEUlT_E_NS1_11comp_targetILNS1_3genE5ELNS1_11target_archE942ELNS1_3gpuE9ELNS1_3repE0EEENS1_44radix_sort_block_sort_config_static_selectorELNS0_4arch9wavefront6targetE1EEEvSD_
                                        ; -- End function
	.section	.AMDGPU.csdata,"",@progbits
; Kernel info:
; codeLenInByte = 0
; NumSgprs: 4
; NumVgprs: 0
; NumAgprs: 0
; TotalNumVgprs: 0
; ScratchSize: 0
; MemoryBound: 0
; FloatMode: 240
; IeeeMode: 1
; LDSByteSize: 0 bytes/workgroup (compile time only)
; SGPRBlocks: 0
; VGPRBlocks: 0
; NumSGPRsForWavesPerEU: 4
; NumVGPRsForWavesPerEU: 1
; AccumOffset: 4
; Occupancy: 8
; WaveLimiterHint : 0
; COMPUTE_PGM_RSRC2:SCRATCH_EN: 0
; COMPUTE_PGM_RSRC2:USER_SGPR: 6
; COMPUTE_PGM_RSRC2:TRAP_HANDLER: 0
; COMPUTE_PGM_RSRC2:TGID_X_EN: 1
; COMPUTE_PGM_RSRC2:TGID_Y_EN: 0
; COMPUTE_PGM_RSRC2:TGID_Z_EN: 0
; COMPUTE_PGM_RSRC2:TIDIG_COMP_CNT: 0
; COMPUTE_PGM_RSRC3_GFX90A:ACCUM_OFFSET: 0
; COMPUTE_PGM_RSRC3_GFX90A:TG_SPLIT: 0
	.section	.text._ZN7rocprim17ROCPRIM_400000_NS6detail17trampoline_kernelINS0_13kernel_configILj256ELj4ELj4294967295EEENS1_37radix_sort_block_sort_config_selectorIdNS0_10empty_typeEEEZNS1_21radix_sort_block_sortIS4_Lb0EPdS9_PS6_SA_NS0_19identity_decomposerEEE10hipError_tT1_T2_T3_T4_jRjT5_jjP12ihipStream_tbEUlT_E_NS1_11comp_targetILNS1_3genE4ELNS1_11target_archE910ELNS1_3gpuE8ELNS1_3repE0EEENS1_44radix_sort_block_sort_config_static_selectorELNS0_4arch9wavefront6targetE1EEEvSD_,"axG",@progbits,_ZN7rocprim17ROCPRIM_400000_NS6detail17trampoline_kernelINS0_13kernel_configILj256ELj4ELj4294967295EEENS1_37radix_sort_block_sort_config_selectorIdNS0_10empty_typeEEEZNS1_21radix_sort_block_sortIS4_Lb0EPdS9_PS6_SA_NS0_19identity_decomposerEEE10hipError_tT1_T2_T3_T4_jRjT5_jjP12ihipStream_tbEUlT_E_NS1_11comp_targetILNS1_3genE4ELNS1_11target_archE910ELNS1_3gpuE8ELNS1_3repE0EEENS1_44radix_sort_block_sort_config_static_selectorELNS0_4arch9wavefront6targetE1EEEvSD_,comdat
	.protected	_ZN7rocprim17ROCPRIM_400000_NS6detail17trampoline_kernelINS0_13kernel_configILj256ELj4ELj4294967295EEENS1_37radix_sort_block_sort_config_selectorIdNS0_10empty_typeEEEZNS1_21radix_sort_block_sortIS4_Lb0EPdS9_PS6_SA_NS0_19identity_decomposerEEE10hipError_tT1_T2_T3_T4_jRjT5_jjP12ihipStream_tbEUlT_E_NS1_11comp_targetILNS1_3genE4ELNS1_11target_archE910ELNS1_3gpuE8ELNS1_3repE0EEENS1_44radix_sort_block_sort_config_static_selectorELNS0_4arch9wavefront6targetE1EEEvSD_ ; -- Begin function _ZN7rocprim17ROCPRIM_400000_NS6detail17trampoline_kernelINS0_13kernel_configILj256ELj4ELj4294967295EEENS1_37radix_sort_block_sort_config_selectorIdNS0_10empty_typeEEEZNS1_21radix_sort_block_sortIS4_Lb0EPdS9_PS6_SA_NS0_19identity_decomposerEEE10hipError_tT1_T2_T3_T4_jRjT5_jjP12ihipStream_tbEUlT_E_NS1_11comp_targetILNS1_3genE4ELNS1_11target_archE910ELNS1_3gpuE8ELNS1_3repE0EEENS1_44radix_sort_block_sort_config_static_selectorELNS0_4arch9wavefront6targetE1EEEvSD_
	.globl	_ZN7rocprim17ROCPRIM_400000_NS6detail17trampoline_kernelINS0_13kernel_configILj256ELj4ELj4294967295EEENS1_37radix_sort_block_sort_config_selectorIdNS0_10empty_typeEEEZNS1_21radix_sort_block_sortIS4_Lb0EPdS9_PS6_SA_NS0_19identity_decomposerEEE10hipError_tT1_T2_T3_T4_jRjT5_jjP12ihipStream_tbEUlT_E_NS1_11comp_targetILNS1_3genE4ELNS1_11target_archE910ELNS1_3gpuE8ELNS1_3repE0EEENS1_44radix_sort_block_sort_config_static_selectorELNS0_4arch9wavefront6targetE1EEEvSD_
	.p2align	8
	.type	_ZN7rocprim17ROCPRIM_400000_NS6detail17trampoline_kernelINS0_13kernel_configILj256ELj4ELj4294967295EEENS1_37radix_sort_block_sort_config_selectorIdNS0_10empty_typeEEEZNS1_21radix_sort_block_sortIS4_Lb0EPdS9_PS6_SA_NS0_19identity_decomposerEEE10hipError_tT1_T2_T3_T4_jRjT5_jjP12ihipStream_tbEUlT_E_NS1_11comp_targetILNS1_3genE4ELNS1_11target_archE910ELNS1_3gpuE8ELNS1_3repE0EEENS1_44radix_sort_block_sort_config_static_selectorELNS0_4arch9wavefront6targetE1EEEvSD_,@function
_ZN7rocprim17ROCPRIM_400000_NS6detail17trampoline_kernelINS0_13kernel_configILj256ELj4ELj4294967295EEENS1_37radix_sort_block_sort_config_selectorIdNS0_10empty_typeEEEZNS1_21radix_sort_block_sortIS4_Lb0EPdS9_PS6_SA_NS0_19identity_decomposerEEE10hipError_tT1_T2_T3_T4_jRjT5_jjP12ihipStream_tbEUlT_E_NS1_11comp_targetILNS1_3genE4ELNS1_11target_archE910ELNS1_3gpuE8ELNS1_3repE0EEENS1_44radix_sort_block_sort_config_static_selectorELNS0_4arch9wavefront6targetE1EEEvSD_: ; @_ZN7rocprim17ROCPRIM_400000_NS6detail17trampoline_kernelINS0_13kernel_configILj256ELj4ELj4294967295EEENS1_37radix_sort_block_sort_config_selectorIdNS0_10empty_typeEEEZNS1_21radix_sort_block_sortIS4_Lb0EPdS9_PS6_SA_NS0_19identity_decomposerEEE10hipError_tT1_T2_T3_T4_jRjT5_jjP12ihipStream_tbEUlT_E_NS1_11comp_targetILNS1_3genE4ELNS1_11target_archE910ELNS1_3gpuE8ELNS1_3repE0EEENS1_44radix_sort_block_sort_config_static_selectorELNS0_4arch9wavefront6targetE1EEEvSD_
; %bb.0:
	s_load_dword s7, s[4:5], 0x20
	s_load_dwordx4 s[28:31], s[4:5], 0x0
	s_lshl_b32 s0, s6, 10
	s_mov_b32 s1, 0
	v_mbcnt_lo_u32_b32 v1, -1, 0
	s_waitcnt lgkmcnt(0)
	s_lshr_b32 s2, s7, 10
	s_cmp_lg_u32 s6, s2
	s_cselect_b64 s[34:35], -1, 0
	s_lshl_b64 s[36:37], s[0:1], 3
	v_mbcnt_hi_u32_b32 v1, -1, v1
	v_and_b32_e32 v10, 0x3ff, v0
	s_add_u32 s1, s28, s36
	v_and_b32_e32 v15, 63, v1
	s_addc_u32 s3, s29, s37
	v_lshlrev_b32_e32 v14, 2, v10
	v_lshlrev_b32_e32 v2, 3, v15
	v_and_b32_e32 v16, 0x300, v14
	v_mov_b32_e32 v3, s3
	v_add_co_u32_e32 v2, vcc, s1, v2
	v_addc_co_u32_e32 v3, vcc, 0, v3, vcc
	v_lshlrev_b32_e32 v4, 3, v16
	v_add_co_u32_e32 v12, vcc, v2, v4
	s_cmp_eq_u32 s6, s2
	v_addc_co_u32_e32 v13, vcc, 0, v3, vcc
	v_or_b32_e32 v11, v15, v16
	s_cbranch_scc1 .LBB1306_2
; %bb.1:
	global_load_dwordx2 v[2:3], v[12:13], off
	global_load_dwordx2 v[4:5], v[12:13], off offset:512
	global_load_dwordx2 v[6:7], v[12:13], off offset:1024
	;; [unrolled: 1-line block ×3, first 2 shown]
	v_or_b32_e32 v18, v15, v16
	v_or_b32_e32 v15, 64, v18
	v_or_b32_e32 v16, 0x80, v18
	v_or_b32_e32 v17, 0xc0, v18
	s_load_dwordx2 s[28:29], s[4:5], 0x28
	s_sub_i32 s33, s7, s0
	s_cbranch_execz .LBB1306_3
	s_branch .LBB1306_12
.LBB1306_2:
                                        ; implicit-def: $vgpr2_vgpr3_vgpr4_vgpr5_vgpr6_vgpr7_vgpr8_vgpr9
                                        ; implicit-def: $vgpr18
                                        ; implicit-def: $vgpr15
                                        ; implicit-def: $vgpr16
                                        ; implicit-def: $vgpr17
	s_load_dwordx2 s[28:29], s[4:5], 0x28
	s_sub_i32 s33, s7, s0
.LBB1306_3:
	s_brev_b32 s9, -2
	s_mov_b32 s8, -1
	s_mov_b32 s10, s8
	s_mov_b32 s11, s9
	;; [unrolled: 1-line block ×6, first 2 shown]
	s_waitcnt vmcnt(0)
	v_pk_mov_b32 v[2:3], s[8:9], s[8:9] op_sel:[0,1]
	v_cmp_gt_u32_e32 vcc, s33, v11
	v_pk_mov_b32 v[4:5], s[10:11], s[10:11] op_sel:[0,1]
	v_pk_mov_b32 v[6:7], s[12:13], s[12:13] op_sel:[0,1]
	;; [unrolled: 1-line block ×3, first 2 shown]
	s_and_saveexec_b64 s[0:1], vcc
	s_cbranch_execz .LBB1306_5
; %bb.4:
	global_load_dwordx2 v[2:3], v[12:13], off
	v_mov_b32_e32 v4, -1
	v_bfrev_b32_e32 v5, -2
	v_mov_b32_e32 v6, v4
	v_mov_b32_e32 v7, v5
	;; [unrolled: 1-line block ×4, first 2 shown]
.LBB1306_5:
	s_or_b64 exec, exec, s[0:1]
	v_or_b32_e32 v15, 64, v11
	v_cmp_gt_u32_e32 vcc, s33, v15
	s_and_saveexec_b64 s[0:1], vcc
	s_cbranch_execz .LBB1306_7
; %bb.6:
	global_load_dwordx2 v[4:5], v[12:13], off offset:512
.LBB1306_7:
	s_or_b64 exec, exec, s[0:1]
	v_or_b32_e32 v16, 0x80, v11
	v_cmp_gt_u32_e32 vcc, s33, v16
	s_and_saveexec_b64 s[0:1], vcc
	s_cbranch_execz .LBB1306_9
; %bb.8:
	global_load_dwordx2 v[6:7], v[12:13], off offset:1024
.LBB1306_9:
	;; [unrolled: 8-line block ×3, first 2 shown]
	s_or_b64 exec, exec, s[0:1]
	v_mov_b32_e32 v18, v11
.LBB1306_12:
	v_bfrev_b32_e32 v11, 1
	s_waitcnt vmcnt(0)
	v_cmp_lt_i64_e32 vcc, -1, v[2:3]
	s_load_dword s2, s[4:5], 0x3c
	v_cndmask_b32_e32 v12, -1, v11, vcc
	v_ashrrev_i32_e32 v13, 31, v3
	v_cmp_lt_i64_e32 vcc, -1, v[4:5]
	v_xor_b32_e32 v3, v12, v3
	v_xor_b32_e32 v2, v13, v2
	v_cndmask_b32_e32 v12, -1, v11, vcc
	v_ashrrev_i32_e32 v13, 31, v5
	v_cmp_lt_i64_e32 vcc, -1, v[6:7]
	s_waitcnt lgkmcnt(0)
	s_add_i32 s40, s29, s28
	v_xor_b32_e32 v20, v13, v4
	v_cndmask_b32_e32 v4, -1, v11, vcc
	v_cmp_lt_i64_e32 vcc, -1, v[8:9]
	v_xor_b32_e32 v23, v4, v7
	v_cndmask_b32_e32 v4, -1, v11, vcc
	s_getpc_b64 s[0:1]
	s_add_u32 s0, s0, _ZN7rocprim17ROCPRIM_400000_NS16block_radix_sortIdLj256ELj4ENS0_10empty_typeELj1ELj1ELj0ELNS0_26block_radix_rank_algorithmE1ELNS0_18block_padding_hintE2ELNS0_4arch9wavefront6targetE1EE19radix_bits_per_passE@rel32@lo+4
	s_addc_u32 s1, s1, _ZN7rocprim17ROCPRIM_400000_NS16block_radix_sortIdLj256ELj4ENS0_10empty_typeELj1ELj1ELj0ELNS0_26block_radix_rank_algorithmE1ELNS0_18block_padding_hintE2ELNS0_4arch9wavefront6targetE1EE19radix_bits_per_passE@rel32@hi+12
	v_xor_b32_e32 v21, v12, v5
	v_ashrrev_i32_e32 v5, 31, v7
	v_xor_b32_e32 v25, v4, v9
	s_load_dword s41, s[0:1], 0x0
	s_lshr_b32 s0, s2, 16
	v_bfe_u32 v4, v0, 10, 10
	v_bfe_u32 v0, v0, 20, 10
	v_xor_b32_e32 v22, v5, v6
	v_ashrrev_i32_e32 v5, 31, v9
	s_and_b32 s1, s2, 0xffff
	v_mad_u32_u24 v0, v0, s0, v4
	v_xor_b32_e32 v24, v5, v8
	v_mad_u64_u32 v[4:5], s[0:1], v0, s1, v[10:11]
	v_and_b32_e32 v0, 15, v1
	v_cmp_eq_u32_e64 s[0:1], 0, v0
	v_cmp_lt_u32_e64 s[2:3], 1, v0
	v_cmp_lt_u32_e64 s[4:5], 3, v0
	;; [unrolled: 1-line block ×3, first 2 shown]
	v_and_b32_e32 v0, 16, v1
	v_cmp_eq_u32_e64 s[8:9], 0, v0
	v_and_b32_e32 v0, 0x3c0, v10
	v_min_u32_e32 v0, 0xc0, v0
	v_or_b32_e32 v0, 63, v0
	v_lshrrev_b32_e32 v27, 6, v4
	v_cmp_eq_u32_e64 s[12:13], v0, v10
	v_add_u32_e32 v0, -1, v1
	v_and_b32_e32 v4, 64, v1
	v_cmp_lt_i32_e32 vcc, v0, v4
	v_cndmask_b32_e32 v0, v0, v1, vcc
	s_mov_b32 s26, 0
	v_lshlrev_b32_e32 v28, 2, v0
	v_lshrrev_b32_e32 v0, 4, v10
	s_mov_b32 s38, -1
	v_lshlrev_b32_e32 v26, 2, v14
	v_cmp_lt_u32_e64 s[10:11], 31, v1
	v_cmp_eq_u32_e64 s[18:19], 0, v1
	v_and_b32_e32 v29, 60, v0
	v_mul_i32_i24_e32 v0, -12, v10
	v_and_b32_e32 v1, 3, v1
	s_mov_b32 s27, s26
	s_mov_b32 s42, s26
	;; [unrolled: 1-line block ×3, first 2 shown]
	s_brev_b32 s39, -2
	v_cmp_gt_u32_e64 s[14:15], 4, v10
	v_cmp_lt_u32_e64 s[16:17], 63, v10
	v_cmp_eq_u32_e64 s[20:21], 0, v10
	v_cmp_eq_u32_e64 s[22:23], 0, v1
	v_cmp_lt_u32_e64 s[24:25], 1, v1
	v_add_u32_e32 v30, -4, v29
	v_lshlrev_b32_e32 v31, 3, v18
	v_lshlrev_b32_e32 v32, 3, v15
	;; [unrolled: 1-line block ×4, first 2 shown]
	v_add_u32_e32 v35, v26, v0
	v_pk_mov_b32 v[4:5], s[26:27], s[26:27] op_sel:[0,1]
	v_pk_mov_b32 v[6:7], s[42:43], s[42:43] op_sel:[0,1]
	v_mov_b32_e32 v8, 0
	s_branch .LBB1306_14
.LBB1306_13:                            ;   in Loop: Header=BB1306_14 Depth=1
	s_barrier
	ds_write_b64 v0, v[18:19]
	ds_write_b64 v1, v[16:17]
	;; [unrolled: 1-line block ×4, first 2 shown]
	s_waitcnt lgkmcnt(0)
	s_barrier
	ds_read_b64 v[2:3], v31
	ds_read_b64 v[20:21], v32
	;; [unrolled: 1-line block ×4, first 2 shown]
	s_add_i32 s29, s29, -8
	s_waitcnt lgkmcnt(0)
	s_barrier
	s_cbranch_execz .LBB1306_30
.LBB1306_14:                            ; =>This Inner Loop Header: Depth=1
	v_pk_mov_b32 v[18:19], v[2:3], v[2:3] op_sel:[0,1]
	s_waitcnt lgkmcnt(0)
	s_min_u32 s26, s41, s29
	v_cmp_ne_u64_e32 vcc, s[38:39], v[18:19]
	s_lshl_b32 s26, -1, s26
	v_cndmask_b32_e32 v1, v11, v19, vcc
	v_cndmask_b32_e32 v0, 0, v18, vcc
	s_not_b32 s42, s26
	v_lshrrev_b64 v[0:1], s28, v[0:1]
	v_and_b32_e32 v0, s42, v0
	v_lshl_add_u32 v1, v0, 2, v27
	v_pk_mov_b32 v[16:17], v[20:21], v[20:21] op_sel:[0,1]
	v_lshl_add_u32 v20, v1, 2, 16
	v_and_b32_e32 v1, 1, v0
	v_add_co_u32_e32 v2, vcc, -1, v1
	v_addc_co_u32_e64 v3, s[26:27], 0, -1, vcc
	v_cmp_ne_u32_e32 vcc, 0, v1
	v_lshlrev_b32_e32 v9, 30, v0
	v_xor_b32_e32 v1, vcc_hi, v3
	v_not_b32_e32 v3, v9
	v_xor_b32_e32 v2, vcc_lo, v2
	v_cmp_gt_i64_e32 vcc, 0, v[8:9]
	v_ashrrev_i32_e32 v3, 31, v3
	v_and_b32_e32 v1, exec_hi, v1
	v_xor_b32_e32 v9, vcc_hi, v3
	v_and_b32_e32 v2, exec_lo, v2
	v_xor_b32_e32 v3, vcc_lo, v3
	v_and_b32_e32 v1, v1, v9
	v_lshlrev_b32_e32 v9, 29, v0
	v_and_b32_e32 v2, v2, v3
	v_not_b32_e32 v3, v9
	v_cmp_gt_i64_e32 vcc, 0, v[8:9]
	v_ashrrev_i32_e32 v3, 31, v3
	v_xor_b32_e32 v9, vcc_hi, v3
	v_xor_b32_e32 v3, vcc_lo, v3
	v_and_b32_e32 v1, v1, v9
	v_lshlrev_b32_e32 v9, 28, v0
	v_and_b32_e32 v2, v2, v3
	v_not_b32_e32 v3, v9
	v_cmp_gt_i64_e32 vcc, 0, v[8:9]
	v_ashrrev_i32_e32 v3, 31, v3
	v_xor_b32_e32 v9, vcc_hi, v3
	;; [unrolled: 8-line block ×5, first 2 shown]
	v_and_b32_e32 v1, v1, v9
	v_lshlrev_b32_e32 v9, 24, v0
	v_not_b32_e32 v0, v9
	v_xor_b32_e32 v3, vcc_lo, v3
	v_cmp_gt_i64_e32 vcc, 0, v[8:9]
	v_ashrrev_i32_e32 v0, 31, v0
	v_and_b32_e32 v2, v2, v3
	v_xor_b32_e32 v3, vcc_hi, v0
	v_xor_b32_e32 v0, vcc_lo, v0
	v_and_b32_e32 v0, v2, v0
	v_and_b32_e32 v1, v1, v3
	v_mbcnt_lo_u32_b32 v2, v0, 0
	v_mbcnt_hi_u32_b32 v21, v1, v2
	v_cmp_eq_u32_e32 vcc, 0, v21
	v_cmp_ne_u64_e64 s[26:27], 0, v[0:1]
	v_pk_mov_b32 v[12:13], v[24:25], v[24:25] op_sel:[0,1]
	v_pk_mov_b32 v[14:15], v[22:23], v[22:23] op_sel:[0,1]
	s_and_b64 s[44:45], s[26:27], vcc
	ds_write2_b64 v26, v[4:5], v[6:7] offset0:2 offset1:3
	s_waitcnt lgkmcnt(0)
	s_barrier
	s_waitcnt lgkmcnt(0)
	; wave barrier
	s_and_saveexec_b64 s[26:27], s[44:45]
	s_cbranch_execz .LBB1306_16
; %bb.15:                               ;   in Loop: Header=BB1306_14 Depth=1
	v_bcnt_u32_b32 v0, v0, 0
	v_bcnt_u32_b32 v0, v1, v0
	ds_write_b32 v20, v0
.LBB1306_16:                            ;   in Loop: Header=BB1306_14 Depth=1
	s_or_b64 exec, exec, s[26:27]
	v_cmp_ne_u64_e32 vcc, s[38:39], v[16:17]
	v_cndmask_b32_e32 v1, v11, v17, vcc
	v_cndmask_b32_e32 v0, 0, v16, vcc
	v_lshrrev_b64 v[0:1], s28, v[0:1]
	v_and_b32_e32 v0, s42, v0
	v_lshlrev_b32_e32 v1, 2, v0
	v_add_lshl_u32 v1, v1, v27, 2
	; wave barrier
	v_add_u32_e32 v23, 16, v1
	ds_read_b32 v22, v1 offset:16
	v_and_b32_e32 v1, 1, v0
	v_add_co_u32_e32 v2, vcc, -1, v1
	v_addc_co_u32_e64 v3, s[26:27], 0, -1, vcc
	v_cmp_ne_u32_e32 vcc, 0, v1
	v_lshlrev_b32_e32 v9, 30, v0
	v_xor_b32_e32 v1, vcc_hi, v3
	v_not_b32_e32 v3, v9
	v_xor_b32_e32 v2, vcc_lo, v2
	v_cmp_gt_i64_e32 vcc, 0, v[8:9]
	v_ashrrev_i32_e32 v3, 31, v3
	v_and_b32_e32 v1, exec_hi, v1
	v_xor_b32_e32 v9, vcc_hi, v3
	v_and_b32_e32 v2, exec_lo, v2
	v_xor_b32_e32 v3, vcc_lo, v3
	v_and_b32_e32 v1, v1, v9
	v_lshlrev_b32_e32 v9, 29, v0
	v_and_b32_e32 v2, v2, v3
	v_not_b32_e32 v3, v9
	v_cmp_gt_i64_e32 vcc, 0, v[8:9]
	v_ashrrev_i32_e32 v3, 31, v3
	v_xor_b32_e32 v9, vcc_hi, v3
	v_xor_b32_e32 v3, vcc_lo, v3
	v_and_b32_e32 v1, v1, v9
	v_lshlrev_b32_e32 v9, 28, v0
	v_and_b32_e32 v2, v2, v3
	v_not_b32_e32 v3, v9
	v_cmp_gt_i64_e32 vcc, 0, v[8:9]
	v_ashrrev_i32_e32 v3, 31, v3
	v_xor_b32_e32 v9, vcc_hi, v3
	;; [unrolled: 8-line block ×5, first 2 shown]
	v_and_b32_e32 v1, v1, v9
	v_lshlrev_b32_e32 v9, 24, v0
	v_not_b32_e32 v0, v9
	v_xor_b32_e32 v3, vcc_lo, v3
	v_cmp_gt_i64_e32 vcc, 0, v[8:9]
	v_ashrrev_i32_e32 v0, 31, v0
	v_and_b32_e32 v2, v2, v3
	v_xor_b32_e32 v3, vcc_hi, v0
	v_xor_b32_e32 v0, vcc_lo, v0
	v_and_b32_e32 v0, v2, v0
	v_and_b32_e32 v1, v1, v3
	v_mbcnt_lo_u32_b32 v2, v0, 0
	v_mbcnt_hi_u32_b32 v24, v1, v2
	v_cmp_eq_u32_e32 vcc, 0, v24
	v_cmp_ne_u64_e64 s[26:27], 0, v[0:1]
	s_and_b64 s[44:45], s[26:27], vcc
	; wave barrier
	s_and_saveexec_b64 s[26:27], s[44:45]
	s_cbranch_execz .LBB1306_18
; %bb.17:                               ;   in Loop: Header=BB1306_14 Depth=1
	v_bcnt_u32_b32 v0, v0, 0
	v_bcnt_u32_b32 v0, v1, v0
	s_waitcnt lgkmcnt(0)
	v_add_u32_e32 v0, v22, v0
	ds_write_b32 v23, v0
.LBB1306_18:                            ;   in Loop: Header=BB1306_14 Depth=1
	s_or_b64 exec, exec, s[26:27]
	v_cmp_ne_u64_e32 vcc, s[38:39], v[14:15]
	v_cndmask_b32_e32 v1, v11, v15, vcc
	v_cndmask_b32_e32 v0, 0, v14, vcc
	v_lshrrev_b64 v[0:1], s28, v[0:1]
	v_and_b32_e32 v0, s42, v0
	v_lshlrev_b32_e32 v1, 2, v0
	v_add_lshl_u32 v1, v1, v27, 2
	; wave barrier
	v_add_u32_e32 v36, 16, v1
	ds_read_b32 v25, v1 offset:16
	v_and_b32_e32 v1, 1, v0
	v_add_co_u32_e32 v2, vcc, -1, v1
	v_addc_co_u32_e64 v3, s[26:27], 0, -1, vcc
	v_cmp_ne_u32_e32 vcc, 0, v1
	v_lshlrev_b32_e32 v9, 30, v0
	v_xor_b32_e32 v1, vcc_hi, v3
	v_not_b32_e32 v3, v9
	v_xor_b32_e32 v2, vcc_lo, v2
	v_cmp_gt_i64_e32 vcc, 0, v[8:9]
	v_ashrrev_i32_e32 v3, 31, v3
	v_and_b32_e32 v1, exec_hi, v1
	v_xor_b32_e32 v9, vcc_hi, v3
	v_and_b32_e32 v2, exec_lo, v2
	v_xor_b32_e32 v3, vcc_lo, v3
	v_and_b32_e32 v1, v1, v9
	v_lshlrev_b32_e32 v9, 29, v0
	v_and_b32_e32 v2, v2, v3
	v_not_b32_e32 v3, v9
	v_cmp_gt_i64_e32 vcc, 0, v[8:9]
	v_ashrrev_i32_e32 v3, 31, v3
	v_xor_b32_e32 v9, vcc_hi, v3
	v_xor_b32_e32 v3, vcc_lo, v3
	v_and_b32_e32 v1, v1, v9
	v_lshlrev_b32_e32 v9, 28, v0
	v_and_b32_e32 v2, v2, v3
	v_not_b32_e32 v3, v9
	v_cmp_gt_i64_e32 vcc, 0, v[8:9]
	v_ashrrev_i32_e32 v3, 31, v3
	v_xor_b32_e32 v9, vcc_hi, v3
	;; [unrolled: 8-line block ×5, first 2 shown]
	v_and_b32_e32 v1, v1, v9
	v_lshlrev_b32_e32 v9, 24, v0
	v_not_b32_e32 v0, v9
	v_xor_b32_e32 v3, vcc_lo, v3
	v_cmp_gt_i64_e32 vcc, 0, v[8:9]
	v_ashrrev_i32_e32 v0, 31, v0
	v_and_b32_e32 v2, v2, v3
	v_xor_b32_e32 v3, vcc_hi, v0
	v_xor_b32_e32 v0, vcc_lo, v0
	v_and_b32_e32 v0, v2, v0
	v_and_b32_e32 v1, v1, v3
	v_mbcnt_lo_u32_b32 v2, v0, 0
	v_mbcnt_hi_u32_b32 v37, v1, v2
	v_cmp_eq_u32_e32 vcc, 0, v37
	v_cmp_ne_u64_e64 s[26:27], 0, v[0:1]
	s_and_b64 s[44:45], s[26:27], vcc
	; wave barrier
	s_and_saveexec_b64 s[26:27], s[44:45]
	s_cbranch_execz .LBB1306_20
; %bb.19:                               ;   in Loop: Header=BB1306_14 Depth=1
	v_bcnt_u32_b32 v0, v0, 0
	v_bcnt_u32_b32 v0, v1, v0
	s_waitcnt lgkmcnt(0)
	v_add_u32_e32 v0, v25, v0
	ds_write_b32 v36, v0
.LBB1306_20:                            ;   in Loop: Header=BB1306_14 Depth=1
	s_or_b64 exec, exec, s[26:27]
	v_cmp_ne_u64_e32 vcc, s[38:39], v[12:13]
	v_cndmask_b32_e32 v1, v11, v13, vcc
	v_cndmask_b32_e32 v0, 0, v12, vcc
	v_lshrrev_b64 v[0:1], s28, v[0:1]
	v_and_b32_e32 v0, s42, v0
	v_lshlrev_b32_e32 v1, 2, v0
	v_add_lshl_u32 v1, v1, v27, 2
	; wave barrier
	v_add_u32_e32 v39, 16, v1
	ds_read_b32 v38, v1 offset:16
	v_and_b32_e32 v1, 1, v0
	v_add_co_u32_e32 v2, vcc, -1, v1
	v_addc_co_u32_e64 v3, s[26:27], 0, -1, vcc
	v_cmp_ne_u32_e32 vcc, 0, v1
	v_lshlrev_b32_e32 v9, 30, v0
	v_xor_b32_e32 v1, vcc_hi, v3
	v_not_b32_e32 v3, v9
	v_xor_b32_e32 v2, vcc_lo, v2
	v_cmp_gt_i64_e32 vcc, 0, v[8:9]
	v_ashrrev_i32_e32 v3, 31, v3
	v_and_b32_e32 v1, exec_hi, v1
	v_xor_b32_e32 v9, vcc_hi, v3
	v_and_b32_e32 v2, exec_lo, v2
	v_xor_b32_e32 v3, vcc_lo, v3
	v_and_b32_e32 v1, v1, v9
	v_lshlrev_b32_e32 v9, 29, v0
	v_and_b32_e32 v2, v2, v3
	v_not_b32_e32 v3, v9
	v_cmp_gt_i64_e32 vcc, 0, v[8:9]
	v_ashrrev_i32_e32 v3, 31, v3
	v_xor_b32_e32 v9, vcc_hi, v3
	v_xor_b32_e32 v3, vcc_lo, v3
	v_and_b32_e32 v1, v1, v9
	v_lshlrev_b32_e32 v9, 28, v0
	v_and_b32_e32 v2, v2, v3
	v_not_b32_e32 v3, v9
	v_cmp_gt_i64_e32 vcc, 0, v[8:9]
	v_ashrrev_i32_e32 v3, 31, v3
	v_xor_b32_e32 v9, vcc_hi, v3
	;; [unrolled: 8-line block ×5, first 2 shown]
	v_and_b32_e32 v1, v1, v9
	v_lshlrev_b32_e32 v9, 24, v0
	v_not_b32_e32 v0, v9
	v_xor_b32_e32 v3, vcc_lo, v3
	v_cmp_gt_i64_e32 vcc, 0, v[8:9]
	v_ashrrev_i32_e32 v0, 31, v0
	v_and_b32_e32 v2, v2, v3
	v_xor_b32_e32 v3, vcc_hi, v0
	v_xor_b32_e32 v0, vcc_lo, v0
	v_and_b32_e32 v0, v2, v0
	v_and_b32_e32 v1, v1, v3
	v_mbcnt_lo_u32_b32 v2, v0, 0
	v_mbcnt_hi_u32_b32 v9, v1, v2
	v_cmp_eq_u32_e32 vcc, 0, v9
	v_cmp_ne_u64_e64 s[26:27], 0, v[0:1]
	s_and_b64 s[42:43], s[26:27], vcc
	; wave barrier
	s_and_saveexec_b64 s[26:27], s[42:43]
	s_cbranch_execz .LBB1306_22
; %bb.21:                               ;   in Loop: Header=BB1306_14 Depth=1
	v_bcnt_u32_b32 v0, v0, 0
	v_bcnt_u32_b32 v0, v1, v0
	s_waitcnt lgkmcnt(0)
	v_add_u32_e32 v0, v38, v0
	ds_write_b32 v39, v0
.LBB1306_22:                            ;   in Loop: Header=BB1306_14 Depth=1
	s_or_b64 exec, exec, s[26:27]
	; wave barrier
	s_waitcnt lgkmcnt(0)
	s_barrier
	ds_read2_b64 v[0:3], v26 offset0:2 offset1:3
	s_waitcnt lgkmcnt(0)
	v_add_u32_e32 v40, v1, v0
	v_add3_u32 v3, v40, v2, v3
	s_nop 1
	v_mov_b32_dpp v40, v3 row_shr:1 row_mask:0xf bank_mask:0xf
	v_cndmask_b32_e64 v40, v40, 0, s[0:1]
	v_add_u32_e32 v3, v40, v3
	s_nop 1
	v_mov_b32_dpp v40, v3 row_shr:2 row_mask:0xf bank_mask:0xf
	v_cndmask_b32_e64 v40, 0, v40, s[2:3]
	v_add_u32_e32 v3, v3, v40
	;; [unrolled: 4-line block ×4, first 2 shown]
	s_nop 1
	v_mov_b32_dpp v40, v3 row_bcast:15 row_mask:0xf bank_mask:0xf
	v_cndmask_b32_e64 v40, v40, 0, s[8:9]
	v_add_u32_e32 v3, v3, v40
	s_nop 1
	v_mov_b32_dpp v40, v3 row_bcast:31 row_mask:0xf bank_mask:0xf
	v_cndmask_b32_e64 v40, 0, v40, s[10:11]
	v_add_u32_e32 v3, v3, v40
	s_and_saveexec_b64 s[26:27], s[12:13]
	s_cbranch_execz .LBB1306_24
; %bb.23:                               ;   in Loop: Header=BB1306_14 Depth=1
	ds_write_b32 v29, v3
.LBB1306_24:                            ;   in Loop: Header=BB1306_14 Depth=1
	s_or_b64 exec, exec, s[26:27]
	s_waitcnt lgkmcnt(0)
	s_barrier
	s_and_saveexec_b64 s[26:27], s[14:15]
	s_cbranch_execz .LBB1306_26
; %bb.25:                               ;   in Loop: Header=BB1306_14 Depth=1
	ds_read_b32 v40, v35
	s_waitcnt lgkmcnt(0)
	s_nop 0
	v_mov_b32_dpp v41, v40 row_shr:1 row_mask:0xf bank_mask:0xf
	v_cndmask_b32_e64 v41, v41, 0, s[22:23]
	v_add_u32_e32 v40, v41, v40
	s_nop 1
	v_mov_b32_dpp v41, v40 row_shr:2 row_mask:0xf bank_mask:0xf
	v_cndmask_b32_e64 v41, 0, v41, s[24:25]
	v_add_u32_e32 v40, v40, v41
	ds_write_b32 v35, v40
.LBB1306_26:                            ;   in Loop: Header=BB1306_14 Depth=1
	s_or_b64 exec, exec, s[26:27]
	v_mov_b32_e32 v40, 0
	s_waitcnt lgkmcnt(0)
	s_barrier
	s_and_saveexec_b64 s[26:27], s[16:17]
	s_cbranch_execz .LBB1306_28
; %bb.27:                               ;   in Loop: Header=BB1306_14 Depth=1
	ds_read_b32 v40, v30
.LBB1306_28:                            ;   in Loop: Header=BB1306_14 Depth=1
	s_or_b64 exec, exec, s[26:27]
	s_waitcnt lgkmcnt(0)
	v_add_u32_e32 v3, v40, v3
	ds_bpermute_b32 v3, v28, v3
	s_add_i32 s28, s28, 8
	s_cmp_ge_u32 s28, s40
	s_waitcnt lgkmcnt(0)
	v_cndmask_b32_e64 v3, v3, v40, s[18:19]
	v_cndmask_b32_e64 v40, v3, 0, s[20:21]
	v_add_u32_e32 v41, v40, v0
	v_add_u32_e32 v0, v41, v1
	;; [unrolled: 1-line block ×3, first 2 shown]
	ds_write2_b64 v26, v[40:41], v[0:1] offset0:2 offset1:3
	s_waitcnt lgkmcnt(0)
	s_barrier
	ds_read_b32 v0, v20
	ds_read_b32 v1, v23
	;; [unrolled: 1-line block ×4, first 2 shown]
	v_lshlrev_b32_e32 v20, 3, v21
	s_waitcnt lgkmcnt(3)
	v_lshl_add_u32 v0, v0, 3, v20
	v_lshlrev_b32_e32 v20, 3, v24
	v_lshlrev_b32_e32 v21, 3, v22
	s_waitcnt lgkmcnt(2)
	v_lshlrev_b32_e32 v1, 3, v1
	v_add3_u32 v1, v20, v21, v1
	v_lshlrev_b32_e32 v20, 3, v37
	v_lshlrev_b32_e32 v21, 3, v25
	s_waitcnt lgkmcnt(1)
	v_lshlrev_b32_e32 v2, 3, v2
	v_add3_u32 v36, v20, v21, v2
	;; [unrolled: 5-line block ×3, first 2 shown]
	s_cbranch_scc0 .LBB1306_13
; %bb.29:
                                        ; implicit-def: $vgpr24_vgpr25
                                        ; implicit-def: $vgpr22_vgpr23
                                        ; implicit-def: $vgpr20_vgpr21
                                        ; implicit-def: $vgpr2_vgpr3
                                        ; implicit-def: $sgpr28
.LBB1306_30:
	v_lshlrev_b32_e32 v11, 3, v10
	s_barrier
	ds_write_b64 v0, v[18:19]
	ds_write_b64 v1, v[16:17]
	;; [unrolled: 1-line block ×4, first 2 shown]
	s_waitcnt lgkmcnt(0)
	s_barrier
	ds_read2st64_b64 v[4:7], v11 offset1:4
	ds_read2st64_b64 v[0:3], v11 offset0:8 offset1:12
	v_bfrev_b32_e32 v12, 1
	s_add_u32 s2, s30, s36
	s_addc_u32 s3, s31, s37
	s_waitcnt lgkmcnt(1)
	v_cmp_lt_i64_e32 vcc, -1, v[4:5]
	v_cndmask_b32_e64 v8, v12, -1, vcc
	v_ashrrev_i32_e32 v9, 31, v5
	v_not_b32_e32 v13, v9
	v_xor_b32_e32 v9, v8, v5
	v_ashrrev_i32_e32 v5, 31, v7
	v_cmp_lt_i64_e32 vcc, -1, v[6:7]
	v_not_b32_e32 v5, v5
	v_xor_b32_e32 v8, v13, v4
	v_cndmask_b32_e64 v4, v12, -1, vcc
	v_xor_b32_e32 v6, v5, v6
	s_waitcnt lgkmcnt(0)
	v_cmp_lt_i64_e32 vcc, -1, v[0:1]
	v_ashrrev_i32_e32 v5, 31, v1
	v_xor_b32_e32 v7, v4, v7
	v_cndmask_b32_e64 v4, v12, -1, vcc
	v_not_b32_e32 v12, v5
	v_xor_b32_e32 v5, v4, v1
	v_xor_b32_e32 v4, v12, v0
	v_mov_b32_e32 v1, s3
	v_add_co_u32_e32 v0, vcc, s2, v11
	v_addc_co_u32_e32 v1, vcc, 0, v1, vcc
	s_mov_b64 s[0:1], -1
	s_andn2_b64 vcc, exec, s[34:35]
	s_mov_b64 s[2:3], 0
	s_cbranch_vccz .LBB1306_34
; %bb.31:
	s_andn2_b64 vcc, exec, s[0:1]
	s_cbranch_vccz .LBB1306_35
.LBB1306_32:
	s_and_saveexec_b64 s[0:1], s[2:3]
	s_cbranch_execnz .LBB1306_42
.LBB1306_33:
	s_endpgm
.LBB1306_34:
	v_add_co_u32_e32 v12, vcc, 0x1000, v0
	v_addc_co_u32_e32 v13, vcc, 0, v1, vcc
	s_mov_b64 s[2:3], -1
	global_store_dwordx2 v[0:1], v[8:9], off
	global_store_dwordx2 v[0:1], v[6:7], off offset:2048
	global_store_dwordx2 v[12:13], v[4:5], off
	s_cbranch_execnz .LBB1306_32
.LBB1306_35:
	v_cmp_gt_u32_e32 vcc, s33, v10
	s_and_saveexec_b64 s[0:1], vcc
	s_cbranch_execz .LBB1306_37
; %bb.36:
	global_store_dwordx2 v[0:1], v[8:9], off
.LBB1306_37:
	s_or_b64 exec, exec, s[0:1]
	v_add_u32_e32 v8, 0x100, v10
	v_cmp_gt_u32_e32 vcc, s33, v8
	s_and_saveexec_b64 s[0:1], vcc
	s_cbranch_execz .LBB1306_39
; %bb.38:
	global_store_dwordx2 v[0:1], v[6:7], off offset:2048
.LBB1306_39:
	s_or_b64 exec, exec, s[0:1]
	v_add_u32_e32 v6, 0x200, v10
	v_cmp_gt_u32_e32 vcc, s33, v6
	s_and_saveexec_b64 s[0:1], vcc
	s_cbranch_execz .LBB1306_41
; %bb.40:
	v_add_co_u32_e32 v6, vcc, 0x1000, v0
	v_addc_co_u32_e32 v7, vcc, 0, v1, vcc
	global_store_dwordx2 v[6:7], v[4:5], off
.LBB1306_41:
	s_or_b64 exec, exec, s[0:1]
	v_add_u32_e32 v4, 0x300, v10
	v_cmp_gt_u32_e64 s[2:3], s33, v4
	s_and_saveexec_b64 s[0:1], s[2:3]
	s_cbranch_execz .LBB1306_33
.LBB1306_42:
	v_bfrev_b32_e32 v4, 1
	v_cmp_lt_i64_e32 vcc, -1, v[2:3]
	v_ashrrev_i32_e32 v5, 31, v3
	v_cndmask_b32_e64 v4, v4, -1, vcc
	v_not_b32_e32 v5, v5
	v_add_co_u32_e32 v0, vcc, 0x1000, v0
	v_xor_b32_e32 v3, v4, v3
	v_xor_b32_e32 v2, v5, v2
	v_addc_co_u32_e32 v1, vcc, 0, v1, vcc
	global_store_dwordx2 v[0:1], v[2:3], off offset:2048
	s_endpgm
	.section	.rodata,"a",@progbits
	.p2align	6, 0x0
	.amdhsa_kernel _ZN7rocprim17ROCPRIM_400000_NS6detail17trampoline_kernelINS0_13kernel_configILj256ELj4ELj4294967295EEENS1_37radix_sort_block_sort_config_selectorIdNS0_10empty_typeEEEZNS1_21radix_sort_block_sortIS4_Lb0EPdS9_PS6_SA_NS0_19identity_decomposerEEE10hipError_tT1_T2_T3_T4_jRjT5_jjP12ihipStream_tbEUlT_E_NS1_11comp_targetILNS1_3genE4ELNS1_11target_archE910ELNS1_3gpuE8ELNS1_3repE0EEENS1_44radix_sort_block_sort_config_static_selectorELNS0_4arch9wavefront6targetE1EEEvSD_
		.amdhsa_group_segment_fixed_size 8192
		.amdhsa_private_segment_fixed_size 0
		.amdhsa_kernarg_size 304
		.amdhsa_user_sgpr_count 6
		.amdhsa_user_sgpr_private_segment_buffer 1
		.amdhsa_user_sgpr_dispatch_ptr 0
		.amdhsa_user_sgpr_queue_ptr 0
		.amdhsa_user_sgpr_kernarg_segment_ptr 1
		.amdhsa_user_sgpr_dispatch_id 0
		.amdhsa_user_sgpr_flat_scratch_init 0
		.amdhsa_user_sgpr_kernarg_preload_length 0
		.amdhsa_user_sgpr_kernarg_preload_offset 0
		.amdhsa_user_sgpr_private_segment_size 0
		.amdhsa_uses_dynamic_stack 0
		.amdhsa_system_sgpr_private_segment_wavefront_offset 0
		.amdhsa_system_sgpr_workgroup_id_x 1
		.amdhsa_system_sgpr_workgroup_id_y 0
		.amdhsa_system_sgpr_workgroup_id_z 0
		.amdhsa_system_sgpr_workgroup_info 0
		.amdhsa_system_vgpr_workitem_id 2
		.amdhsa_next_free_vgpr 42
		.amdhsa_next_free_sgpr 46
		.amdhsa_accum_offset 44
		.amdhsa_reserve_vcc 1
		.amdhsa_reserve_flat_scratch 0
		.amdhsa_float_round_mode_32 0
		.amdhsa_float_round_mode_16_64 0
		.amdhsa_float_denorm_mode_32 3
		.amdhsa_float_denorm_mode_16_64 3
		.amdhsa_dx10_clamp 1
		.amdhsa_ieee_mode 1
		.amdhsa_fp16_overflow 0
		.amdhsa_tg_split 0
		.amdhsa_exception_fp_ieee_invalid_op 0
		.amdhsa_exception_fp_denorm_src 0
		.amdhsa_exception_fp_ieee_div_zero 0
		.amdhsa_exception_fp_ieee_overflow 0
		.amdhsa_exception_fp_ieee_underflow 0
		.amdhsa_exception_fp_ieee_inexact 0
		.amdhsa_exception_int_div_zero 0
	.end_amdhsa_kernel
	.section	.text._ZN7rocprim17ROCPRIM_400000_NS6detail17trampoline_kernelINS0_13kernel_configILj256ELj4ELj4294967295EEENS1_37radix_sort_block_sort_config_selectorIdNS0_10empty_typeEEEZNS1_21radix_sort_block_sortIS4_Lb0EPdS9_PS6_SA_NS0_19identity_decomposerEEE10hipError_tT1_T2_T3_T4_jRjT5_jjP12ihipStream_tbEUlT_E_NS1_11comp_targetILNS1_3genE4ELNS1_11target_archE910ELNS1_3gpuE8ELNS1_3repE0EEENS1_44radix_sort_block_sort_config_static_selectorELNS0_4arch9wavefront6targetE1EEEvSD_,"axG",@progbits,_ZN7rocprim17ROCPRIM_400000_NS6detail17trampoline_kernelINS0_13kernel_configILj256ELj4ELj4294967295EEENS1_37radix_sort_block_sort_config_selectorIdNS0_10empty_typeEEEZNS1_21radix_sort_block_sortIS4_Lb0EPdS9_PS6_SA_NS0_19identity_decomposerEEE10hipError_tT1_T2_T3_T4_jRjT5_jjP12ihipStream_tbEUlT_E_NS1_11comp_targetILNS1_3genE4ELNS1_11target_archE910ELNS1_3gpuE8ELNS1_3repE0EEENS1_44radix_sort_block_sort_config_static_selectorELNS0_4arch9wavefront6targetE1EEEvSD_,comdat
.Lfunc_end1306:
	.size	_ZN7rocprim17ROCPRIM_400000_NS6detail17trampoline_kernelINS0_13kernel_configILj256ELj4ELj4294967295EEENS1_37radix_sort_block_sort_config_selectorIdNS0_10empty_typeEEEZNS1_21radix_sort_block_sortIS4_Lb0EPdS9_PS6_SA_NS0_19identity_decomposerEEE10hipError_tT1_T2_T3_T4_jRjT5_jjP12ihipStream_tbEUlT_E_NS1_11comp_targetILNS1_3genE4ELNS1_11target_archE910ELNS1_3gpuE8ELNS1_3repE0EEENS1_44radix_sort_block_sort_config_static_selectorELNS0_4arch9wavefront6targetE1EEEvSD_, .Lfunc_end1306-_ZN7rocprim17ROCPRIM_400000_NS6detail17trampoline_kernelINS0_13kernel_configILj256ELj4ELj4294967295EEENS1_37radix_sort_block_sort_config_selectorIdNS0_10empty_typeEEEZNS1_21radix_sort_block_sortIS4_Lb0EPdS9_PS6_SA_NS0_19identity_decomposerEEE10hipError_tT1_T2_T3_T4_jRjT5_jjP12ihipStream_tbEUlT_E_NS1_11comp_targetILNS1_3genE4ELNS1_11target_archE910ELNS1_3gpuE8ELNS1_3repE0EEENS1_44radix_sort_block_sort_config_static_selectorELNS0_4arch9wavefront6targetE1EEEvSD_
                                        ; -- End function
	.section	.AMDGPU.csdata,"",@progbits
; Kernel info:
; codeLenInByte = 3488
; NumSgprs: 50
; NumVgprs: 42
; NumAgprs: 0
; TotalNumVgprs: 42
; ScratchSize: 0
; MemoryBound: 1
; FloatMode: 240
; IeeeMode: 1
; LDSByteSize: 8192 bytes/workgroup (compile time only)
; SGPRBlocks: 6
; VGPRBlocks: 5
; NumSGPRsForWavesPerEU: 50
; NumVGPRsForWavesPerEU: 42
; AccumOffset: 44
; Occupancy: 8
; WaveLimiterHint : 1
; COMPUTE_PGM_RSRC2:SCRATCH_EN: 0
; COMPUTE_PGM_RSRC2:USER_SGPR: 6
; COMPUTE_PGM_RSRC2:TRAP_HANDLER: 0
; COMPUTE_PGM_RSRC2:TGID_X_EN: 1
; COMPUTE_PGM_RSRC2:TGID_Y_EN: 0
; COMPUTE_PGM_RSRC2:TGID_Z_EN: 0
; COMPUTE_PGM_RSRC2:TIDIG_COMP_CNT: 2
; COMPUTE_PGM_RSRC3_GFX90A:ACCUM_OFFSET: 10
; COMPUTE_PGM_RSRC3_GFX90A:TG_SPLIT: 0
	.section	.text._ZN7rocprim17ROCPRIM_400000_NS6detail17trampoline_kernelINS0_13kernel_configILj256ELj4ELj4294967295EEENS1_37radix_sort_block_sort_config_selectorIdNS0_10empty_typeEEEZNS1_21radix_sort_block_sortIS4_Lb0EPdS9_PS6_SA_NS0_19identity_decomposerEEE10hipError_tT1_T2_T3_T4_jRjT5_jjP12ihipStream_tbEUlT_E_NS1_11comp_targetILNS1_3genE3ELNS1_11target_archE908ELNS1_3gpuE7ELNS1_3repE0EEENS1_44radix_sort_block_sort_config_static_selectorELNS0_4arch9wavefront6targetE1EEEvSD_,"axG",@progbits,_ZN7rocprim17ROCPRIM_400000_NS6detail17trampoline_kernelINS0_13kernel_configILj256ELj4ELj4294967295EEENS1_37radix_sort_block_sort_config_selectorIdNS0_10empty_typeEEEZNS1_21radix_sort_block_sortIS4_Lb0EPdS9_PS6_SA_NS0_19identity_decomposerEEE10hipError_tT1_T2_T3_T4_jRjT5_jjP12ihipStream_tbEUlT_E_NS1_11comp_targetILNS1_3genE3ELNS1_11target_archE908ELNS1_3gpuE7ELNS1_3repE0EEENS1_44radix_sort_block_sort_config_static_selectorELNS0_4arch9wavefront6targetE1EEEvSD_,comdat
	.protected	_ZN7rocprim17ROCPRIM_400000_NS6detail17trampoline_kernelINS0_13kernel_configILj256ELj4ELj4294967295EEENS1_37radix_sort_block_sort_config_selectorIdNS0_10empty_typeEEEZNS1_21radix_sort_block_sortIS4_Lb0EPdS9_PS6_SA_NS0_19identity_decomposerEEE10hipError_tT1_T2_T3_T4_jRjT5_jjP12ihipStream_tbEUlT_E_NS1_11comp_targetILNS1_3genE3ELNS1_11target_archE908ELNS1_3gpuE7ELNS1_3repE0EEENS1_44radix_sort_block_sort_config_static_selectorELNS0_4arch9wavefront6targetE1EEEvSD_ ; -- Begin function _ZN7rocprim17ROCPRIM_400000_NS6detail17trampoline_kernelINS0_13kernel_configILj256ELj4ELj4294967295EEENS1_37radix_sort_block_sort_config_selectorIdNS0_10empty_typeEEEZNS1_21radix_sort_block_sortIS4_Lb0EPdS9_PS6_SA_NS0_19identity_decomposerEEE10hipError_tT1_T2_T3_T4_jRjT5_jjP12ihipStream_tbEUlT_E_NS1_11comp_targetILNS1_3genE3ELNS1_11target_archE908ELNS1_3gpuE7ELNS1_3repE0EEENS1_44radix_sort_block_sort_config_static_selectorELNS0_4arch9wavefront6targetE1EEEvSD_
	.globl	_ZN7rocprim17ROCPRIM_400000_NS6detail17trampoline_kernelINS0_13kernel_configILj256ELj4ELj4294967295EEENS1_37radix_sort_block_sort_config_selectorIdNS0_10empty_typeEEEZNS1_21radix_sort_block_sortIS4_Lb0EPdS9_PS6_SA_NS0_19identity_decomposerEEE10hipError_tT1_T2_T3_T4_jRjT5_jjP12ihipStream_tbEUlT_E_NS1_11comp_targetILNS1_3genE3ELNS1_11target_archE908ELNS1_3gpuE7ELNS1_3repE0EEENS1_44radix_sort_block_sort_config_static_selectorELNS0_4arch9wavefront6targetE1EEEvSD_
	.p2align	8
	.type	_ZN7rocprim17ROCPRIM_400000_NS6detail17trampoline_kernelINS0_13kernel_configILj256ELj4ELj4294967295EEENS1_37radix_sort_block_sort_config_selectorIdNS0_10empty_typeEEEZNS1_21radix_sort_block_sortIS4_Lb0EPdS9_PS6_SA_NS0_19identity_decomposerEEE10hipError_tT1_T2_T3_T4_jRjT5_jjP12ihipStream_tbEUlT_E_NS1_11comp_targetILNS1_3genE3ELNS1_11target_archE908ELNS1_3gpuE7ELNS1_3repE0EEENS1_44radix_sort_block_sort_config_static_selectorELNS0_4arch9wavefront6targetE1EEEvSD_,@function
_ZN7rocprim17ROCPRIM_400000_NS6detail17trampoline_kernelINS0_13kernel_configILj256ELj4ELj4294967295EEENS1_37radix_sort_block_sort_config_selectorIdNS0_10empty_typeEEEZNS1_21radix_sort_block_sortIS4_Lb0EPdS9_PS6_SA_NS0_19identity_decomposerEEE10hipError_tT1_T2_T3_T4_jRjT5_jjP12ihipStream_tbEUlT_E_NS1_11comp_targetILNS1_3genE3ELNS1_11target_archE908ELNS1_3gpuE7ELNS1_3repE0EEENS1_44radix_sort_block_sort_config_static_selectorELNS0_4arch9wavefront6targetE1EEEvSD_: ; @_ZN7rocprim17ROCPRIM_400000_NS6detail17trampoline_kernelINS0_13kernel_configILj256ELj4ELj4294967295EEENS1_37radix_sort_block_sort_config_selectorIdNS0_10empty_typeEEEZNS1_21radix_sort_block_sortIS4_Lb0EPdS9_PS6_SA_NS0_19identity_decomposerEEE10hipError_tT1_T2_T3_T4_jRjT5_jjP12ihipStream_tbEUlT_E_NS1_11comp_targetILNS1_3genE3ELNS1_11target_archE908ELNS1_3gpuE7ELNS1_3repE0EEENS1_44radix_sort_block_sort_config_static_selectorELNS0_4arch9wavefront6targetE1EEEvSD_
; %bb.0:
	.section	.rodata,"a",@progbits
	.p2align	6, 0x0
	.amdhsa_kernel _ZN7rocprim17ROCPRIM_400000_NS6detail17trampoline_kernelINS0_13kernel_configILj256ELj4ELj4294967295EEENS1_37radix_sort_block_sort_config_selectorIdNS0_10empty_typeEEEZNS1_21radix_sort_block_sortIS4_Lb0EPdS9_PS6_SA_NS0_19identity_decomposerEEE10hipError_tT1_T2_T3_T4_jRjT5_jjP12ihipStream_tbEUlT_E_NS1_11comp_targetILNS1_3genE3ELNS1_11target_archE908ELNS1_3gpuE7ELNS1_3repE0EEENS1_44radix_sort_block_sort_config_static_selectorELNS0_4arch9wavefront6targetE1EEEvSD_
		.amdhsa_group_segment_fixed_size 0
		.amdhsa_private_segment_fixed_size 0
		.amdhsa_kernarg_size 48
		.amdhsa_user_sgpr_count 6
		.amdhsa_user_sgpr_private_segment_buffer 1
		.amdhsa_user_sgpr_dispatch_ptr 0
		.amdhsa_user_sgpr_queue_ptr 0
		.amdhsa_user_sgpr_kernarg_segment_ptr 1
		.amdhsa_user_sgpr_dispatch_id 0
		.amdhsa_user_sgpr_flat_scratch_init 0
		.amdhsa_user_sgpr_kernarg_preload_length 0
		.amdhsa_user_sgpr_kernarg_preload_offset 0
		.amdhsa_user_sgpr_private_segment_size 0
		.amdhsa_uses_dynamic_stack 0
		.amdhsa_system_sgpr_private_segment_wavefront_offset 0
		.amdhsa_system_sgpr_workgroup_id_x 1
		.amdhsa_system_sgpr_workgroup_id_y 0
		.amdhsa_system_sgpr_workgroup_id_z 0
		.amdhsa_system_sgpr_workgroup_info 0
		.amdhsa_system_vgpr_workitem_id 0
		.amdhsa_next_free_vgpr 1
		.amdhsa_next_free_sgpr 0
		.amdhsa_accum_offset 4
		.amdhsa_reserve_vcc 0
		.amdhsa_reserve_flat_scratch 0
		.amdhsa_float_round_mode_32 0
		.amdhsa_float_round_mode_16_64 0
		.amdhsa_float_denorm_mode_32 3
		.amdhsa_float_denorm_mode_16_64 3
		.amdhsa_dx10_clamp 1
		.amdhsa_ieee_mode 1
		.amdhsa_fp16_overflow 0
		.amdhsa_tg_split 0
		.amdhsa_exception_fp_ieee_invalid_op 0
		.amdhsa_exception_fp_denorm_src 0
		.amdhsa_exception_fp_ieee_div_zero 0
		.amdhsa_exception_fp_ieee_overflow 0
		.amdhsa_exception_fp_ieee_underflow 0
		.amdhsa_exception_fp_ieee_inexact 0
		.amdhsa_exception_int_div_zero 0
	.end_amdhsa_kernel
	.section	.text._ZN7rocprim17ROCPRIM_400000_NS6detail17trampoline_kernelINS0_13kernel_configILj256ELj4ELj4294967295EEENS1_37radix_sort_block_sort_config_selectorIdNS0_10empty_typeEEEZNS1_21radix_sort_block_sortIS4_Lb0EPdS9_PS6_SA_NS0_19identity_decomposerEEE10hipError_tT1_T2_T3_T4_jRjT5_jjP12ihipStream_tbEUlT_E_NS1_11comp_targetILNS1_3genE3ELNS1_11target_archE908ELNS1_3gpuE7ELNS1_3repE0EEENS1_44radix_sort_block_sort_config_static_selectorELNS0_4arch9wavefront6targetE1EEEvSD_,"axG",@progbits,_ZN7rocprim17ROCPRIM_400000_NS6detail17trampoline_kernelINS0_13kernel_configILj256ELj4ELj4294967295EEENS1_37radix_sort_block_sort_config_selectorIdNS0_10empty_typeEEEZNS1_21radix_sort_block_sortIS4_Lb0EPdS9_PS6_SA_NS0_19identity_decomposerEEE10hipError_tT1_T2_T3_T4_jRjT5_jjP12ihipStream_tbEUlT_E_NS1_11comp_targetILNS1_3genE3ELNS1_11target_archE908ELNS1_3gpuE7ELNS1_3repE0EEENS1_44radix_sort_block_sort_config_static_selectorELNS0_4arch9wavefront6targetE1EEEvSD_,comdat
.Lfunc_end1307:
	.size	_ZN7rocprim17ROCPRIM_400000_NS6detail17trampoline_kernelINS0_13kernel_configILj256ELj4ELj4294967295EEENS1_37radix_sort_block_sort_config_selectorIdNS0_10empty_typeEEEZNS1_21radix_sort_block_sortIS4_Lb0EPdS9_PS6_SA_NS0_19identity_decomposerEEE10hipError_tT1_T2_T3_T4_jRjT5_jjP12ihipStream_tbEUlT_E_NS1_11comp_targetILNS1_3genE3ELNS1_11target_archE908ELNS1_3gpuE7ELNS1_3repE0EEENS1_44radix_sort_block_sort_config_static_selectorELNS0_4arch9wavefront6targetE1EEEvSD_, .Lfunc_end1307-_ZN7rocprim17ROCPRIM_400000_NS6detail17trampoline_kernelINS0_13kernel_configILj256ELj4ELj4294967295EEENS1_37radix_sort_block_sort_config_selectorIdNS0_10empty_typeEEEZNS1_21radix_sort_block_sortIS4_Lb0EPdS9_PS6_SA_NS0_19identity_decomposerEEE10hipError_tT1_T2_T3_T4_jRjT5_jjP12ihipStream_tbEUlT_E_NS1_11comp_targetILNS1_3genE3ELNS1_11target_archE908ELNS1_3gpuE7ELNS1_3repE0EEENS1_44radix_sort_block_sort_config_static_selectorELNS0_4arch9wavefront6targetE1EEEvSD_
                                        ; -- End function
	.section	.AMDGPU.csdata,"",@progbits
; Kernel info:
; codeLenInByte = 0
; NumSgprs: 4
; NumVgprs: 0
; NumAgprs: 0
; TotalNumVgprs: 0
; ScratchSize: 0
; MemoryBound: 0
; FloatMode: 240
; IeeeMode: 1
; LDSByteSize: 0 bytes/workgroup (compile time only)
; SGPRBlocks: 0
; VGPRBlocks: 0
; NumSGPRsForWavesPerEU: 4
; NumVGPRsForWavesPerEU: 1
; AccumOffset: 4
; Occupancy: 8
; WaveLimiterHint : 0
; COMPUTE_PGM_RSRC2:SCRATCH_EN: 0
; COMPUTE_PGM_RSRC2:USER_SGPR: 6
; COMPUTE_PGM_RSRC2:TRAP_HANDLER: 0
; COMPUTE_PGM_RSRC2:TGID_X_EN: 1
; COMPUTE_PGM_RSRC2:TGID_Y_EN: 0
; COMPUTE_PGM_RSRC2:TGID_Z_EN: 0
; COMPUTE_PGM_RSRC2:TIDIG_COMP_CNT: 0
; COMPUTE_PGM_RSRC3_GFX90A:ACCUM_OFFSET: 0
; COMPUTE_PGM_RSRC3_GFX90A:TG_SPLIT: 0
	.section	.text._ZN7rocprim17ROCPRIM_400000_NS6detail17trampoline_kernelINS0_13kernel_configILj256ELj4ELj4294967295EEENS1_37radix_sort_block_sort_config_selectorIdNS0_10empty_typeEEEZNS1_21radix_sort_block_sortIS4_Lb0EPdS9_PS6_SA_NS0_19identity_decomposerEEE10hipError_tT1_T2_T3_T4_jRjT5_jjP12ihipStream_tbEUlT_E_NS1_11comp_targetILNS1_3genE2ELNS1_11target_archE906ELNS1_3gpuE6ELNS1_3repE0EEENS1_44radix_sort_block_sort_config_static_selectorELNS0_4arch9wavefront6targetE1EEEvSD_,"axG",@progbits,_ZN7rocprim17ROCPRIM_400000_NS6detail17trampoline_kernelINS0_13kernel_configILj256ELj4ELj4294967295EEENS1_37radix_sort_block_sort_config_selectorIdNS0_10empty_typeEEEZNS1_21radix_sort_block_sortIS4_Lb0EPdS9_PS6_SA_NS0_19identity_decomposerEEE10hipError_tT1_T2_T3_T4_jRjT5_jjP12ihipStream_tbEUlT_E_NS1_11comp_targetILNS1_3genE2ELNS1_11target_archE906ELNS1_3gpuE6ELNS1_3repE0EEENS1_44radix_sort_block_sort_config_static_selectorELNS0_4arch9wavefront6targetE1EEEvSD_,comdat
	.protected	_ZN7rocprim17ROCPRIM_400000_NS6detail17trampoline_kernelINS0_13kernel_configILj256ELj4ELj4294967295EEENS1_37radix_sort_block_sort_config_selectorIdNS0_10empty_typeEEEZNS1_21radix_sort_block_sortIS4_Lb0EPdS9_PS6_SA_NS0_19identity_decomposerEEE10hipError_tT1_T2_T3_T4_jRjT5_jjP12ihipStream_tbEUlT_E_NS1_11comp_targetILNS1_3genE2ELNS1_11target_archE906ELNS1_3gpuE6ELNS1_3repE0EEENS1_44radix_sort_block_sort_config_static_selectorELNS0_4arch9wavefront6targetE1EEEvSD_ ; -- Begin function _ZN7rocprim17ROCPRIM_400000_NS6detail17trampoline_kernelINS0_13kernel_configILj256ELj4ELj4294967295EEENS1_37radix_sort_block_sort_config_selectorIdNS0_10empty_typeEEEZNS1_21radix_sort_block_sortIS4_Lb0EPdS9_PS6_SA_NS0_19identity_decomposerEEE10hipError_tT1_T2_T3_T4_jRjT5_jjP12ihipStream_tbEUlT_E_NS1_11comp_targetILNS1_3genE2ELNS1_11target_archE906ELNS1_3gpuE6ELNS1_3repE0EEENS1_44radix_sort_block_sort_config_static_selectorELNS0_4arch9wavefront6targetE1EEEvSD_
	.globl	_ZN7rocprim17ROCPRIM_400000_NS6detail17trampoline_kernelINS0_13kernel_configILj256ELj4ELj4294967295EEENS1_37radix_sort_block_sort_config_selectorIdNS0_10empty_typeEEEZNS1_21radix_sort_block_sortIS4_Lb0EPdS9_PS6_SA_NS0_19identity_decomposerEEE10hipError_tT1_T2_T3_T4_jRjT5_jjP12ihipStream_tbEUlT_E_NS1_11comp_targetILNS1_3genE2ELNS1_11target_archE906ELNS1_3gpuE6ELNS1_3repE0EEENS1_44radix_sort_block_sort_config_static_selectorELNS0_4arch9wavefront6targetE1EEEvSD_
	.p2align	8
	.type	_ZN7rocprim17ROCPRIM_400000_NS6detail17trampoline_kernelINS0_13kernel_configILj256ELj4ELj4294967295EEENS1_37radix_sort_block_sort_config_selectorIdNS0_10empty_typeEEEZNS1_21radix_sort_block_sortIS4_Lb0EPdS9_PS6_SA_NS0_19identity_decomposerEEE10hipError_tT1_T2_T3_T4_jRjT5_jjP12ihipStream_tbEUlT_E_NS1_11comp_targetILNS1_3genE2ELNS1_11target_archE906ELNS1_3gpuE6ELNS1_3repE0EEENS1_44radix_sort_block_sort_config_static_selectorELNS0_4arch9wavefront6targetE1EEEvSD_,@function
_ZN7rocprim17ROCPRIM_400000_NS6detail17trampoline_kernelINS0_13kernel_configILj256ELj4ELj4294967295EEENS1_37radix_sort_block_sort_config_selectorIdNS0_10empty_typeEEEZNS1_21radix_sort_block_sortIS4_Lb0EPdS9_PS6_SA_NS0_19identity_decomposerEEE10hipError_tT1_T2_T3_T4_jRjT5_jjP12ihipStream_tbEUlT_E_NS1_11comp_targetILNS1_3genE2ELNS1_11target_archE906ELNS1_3gpuE6ELNS1_3repE0EEENS1_44radix_sort_block_sort_config_static_selectorELNS0_4arch9wavefront6targetE1EEEvSD_: ; @_ZN7rocprim17ROCPRIM_400000_NS6detail17trampoline_kernelINS0_13kernel_configILj256ELj4ELj4294967295EEENS1_37radix_sort_block_sort_config_selectorIdNS0_10empty_typeEEEZNS1_21radix_sort_block_sortIS4_Lb0EPdS9_PS6_SA_NS0_19identity_decomposerEEE10hipError_tT1_T2_T3_T4_jRjT5_jjP12ihipStream_tbEUlT_E_NS1_11comp_targetILNS1_3genE2ELNS1_11target_archE906ELNS1_3gpuE6ELNS1_3repE0EEENS1_44radix_sort_block_sort_config_static_selectorELNS0_4arch9wavefront6targetE1EEEvSD_
; %bb.0:
	.section	.rodata,"a",@progbits
	.p2align	6, 0x0
	.amdhsa_kernel _ZN7rocprim17ROCPRIM_400000_NS6detail17trampoline_kernelINS0_13kernel_configILj256ELj4ELj4294967295EEENS1_37radix_sort_block_sort_config_selectorIdNS0_10empty_typeEEEZNS1_21radix_sort_block_sortIS4_Lb0EPdS9_PS6_SA_NS0_19identity_decomposerEEE10hipError_tT1_T2_T3_T4_jRjT5_jjP12ihipStream_tbEUlT_E_NS1_11comp_targetILNS1_3genE2ELNS1_11target_archE906ELNS1_3gpuE6ELNS1_3repE0EEENS1_44radix_sort_block_sort_config_static_selectorELNS0_4arch9wavefront6targetE1EEEvSD_
		.amdhsa_group_segment_fixed_size 0
		.amdhsa_private_segment_fixed_size 0
		.amdhsa_kernarg_size 48
		.amdhsa_user_sgpr_count 6
		.amdhsa_user_sgpr_private_segment_buffer 1
		.amdhsa_user_sgpr_dispatch_ptr 0
		.amdhsa_user_sgpr_queue_ptr 0
		.amdhsa_user_sgpr_kernarg_segment_ptr 1
		.amdhsa_user_sgpr_dispatch_id 0
		.amdhsa_user_sgpr_flat_scratch_init 0
		.amdhsa_user_sgpr_kernarg_preload_length 0
		.amdhsa_user_sgpr_kernarg_preload_offset 0
		.amdhsa_user_sgpr_private_segment_size 0
		.amdhsa_uses_dynamic_stack 0
		.amdhsa_system_sgpr_private_segment_wavefront_offset 0
		.amdhsa_system_sgpr_workgroup_id_x 1
		.amdhsa_system_sgpr_workgroup_id_y 0
		.amdhsa_system_sgpr_workgroup_id_z 0
		.amdhsa_system_sgpr_workgroup_info 0
		.amdhsa_system_vgpr_workitem_id 0
		.amdhsa_next_free_vgpr 1
		.amdhsa_next_free_sgpr 0
		.amdhsa_accum_offset 4
		.amdhsa_reserve_vcc 0
		.amdhsa_reserve_flat_scratch 0
		.amdhsa_float_round_mode_32 0
		.amdhsa_float_round_mode_16_64 0
		.amdhsa_float_denorm_mode_32 3
		.amdhsa_float_denorm_mode_16_64 3
		.amdhsa_dx10_clamp 1
		.amdhsa_ieee_mode 1
		.amdhsa_fp16_overflow 0
		.amdhsa_tg_split 0
		.amdhsa_exception_fp_ieee_invalid_op 0
		.amdhsa_exception_fp_denorm_src 0
		.amdhsa_exception_fp_ieee_div_zero 0
		.amdhsa_exception_fp_ieee_overflow 0
		.amdhsa_exception_fp_ieee_underflow 0
		.amdhsa_exception_fp_ieee_inexact 0
		.amdhsa_exception_int_div_zero 0
	.end_amdhsa_kernel
	.section	.text._ZN7rocprim17ROCPRIM_400000_NS6detail17trampoline_kernelINS0_13kernel_configILj256ELj4ELj4294967295EEENS1_37radix_sort_block_sort_config_selectorIdNS0_10empty_typeEEEZNS1_21radix_sort_block_sortIS4_Lb0EPdS9_PS6_SA_NS0_19identity_decomposerEEE10hipError_tT1_T2_T3_T4_jRjT5_jjP12ihipStream_tbEUlT_E_NS1_11comp_targetILNS1_3genE2ELNS1_11target_archE906ELNS1_3gpuE6ELNS1_3repE0EEENS1_44radix_sort_block_sort_config_static_selectorELNS0_4arch9wavefront6targetE1EEEvSD_,"axG",@progbits,_ZN7rocprim17ROCPRIM_400000_NS6detail17trampoline_kernelINS0_13kernel_configILj256ELj4ELj4294967295EEENS1_37radix_sort_block_sort_config_selectorIdNS0_10empty_typeEEEZNS1_21radix_sort_block_sortIS4_Lb0EPdS9_PS6_SA_NS0_19identity_decomposerEEE10hipError_tT1_T2_T3_T4_jRjT5_jjP12ihipStream_tbEUlT_E_NS1_11comp_targetILNS1_3genE2ELNS1_11target_archE906ELNS1_3gpuE6ELNS1_3repE0EEENS1_44radix_sort_block_sort_config_static_selectorELNS0_4arch9wavefront6targetE1EEEvSD_,comdat
.Lfunc_end1308:
	.size	_ZN7rocprim17ROCPRIM_400000_NS6detail17trampoline_kernelINS0_13kernel_configILj256ELj4ELj4294967295EEENS1_37radix_sort_block_sort_config_selectorIdNS0_10empty_typeEEEZNS1_21radix_sort_block_sortIS4_Lb0EPdS9_PS6_SA_NS0_19identity_decomposerEEE10hipError_tT1_T2_T3_T4_jRjT5_jjP12ihipStream_tbEUlT_E_NS1_11comp_targetILNS1_3genE2ELNS1_11target_archE906ELNS1_3gpuE6ELNS1_3repE0EEENS1_44radix_sort_block_sort_config_static_selectorELNS0_4arch9wavefront6targetE1EEEvSD_, .Lfunc_end1308-_ZN7rocprim17ROCPRIM_400000_NS6detail17trampoline_kernelINS0_13kernel_configILj256ELj4ELj4294967295EEENS1_37radix_sort_block_sort_config_selectorIdNS0_10empty_typeEEEZNS1_21radix_sort_block_sortIS4_Lb0EPdS9_PS6_SA_NS0_19identity_decomposerEEE10hipError_tT1_T2_T3_T4_jRjT5_jjP12ihipStream_tbEUlT_E_NS1_11comp_targetILNS1_3genE2ELNS1_11target_archE906ELNS1_3gpuE6ELNS1_3repE0EEENS1_44radix_sort_block_sort_config_static_selectorELNS0_4arch9wavefront6targetE1EEEvSD_
                                        ; -- End function
	.section	.AMDGPU.csdata,"",@progbits
; Kernel info:
; codeLenInByte = 0
; NumSgprs: 4
; NumVgprs: 0
; NumAgprs: 0
; TotalNumVgprs: 0
; ScratchSize: 0
; MemoryBound: 0
; FloatMode: 240
; IeeeMode: 1
; LDSByteSize: 0 bytes/workgroup (compile time only)
; SGPRBlocks: 0
; VGPRBlocks: 0
; NumSGPRsForWavesPerEU: 4
; NumVGPRsForWavesPerEU: 1
; AccumOffset: 4
; Occupancy: 8
; WaveLimiterHint : 0
; COMPUTE_PGM_RSRC2:SCRATCH_EN: 0
; COMPUTE_PGM_RSRC2:USER_SGPR: 6
; COMPUTE_PGM_RSRC2:TRAP_HANDLER: 0
; COMPUTE_PGM_RSRC2:TGID_X_EN: 1
; COMPUTE_PGM_RSRC2:TGID_Y_EN: 0
; COMPUTE_PGM_RSRC2:TGID_Z_EN: 0
; COMPUTE_PGM_RSRC2:TIDIG_COMP_CNT: 0
; COMPUTE_PGM_RSRC3_GFX90A:ACCUM_OFFSET: 0
; COMPUTE_PGM_RSRC3_GFX90A:TG_SPLIT: 0
	.section	.text._ZN7rocprim17ROCPRIM_400000_NS6detail17trampoline_kernelINS0_13kernel_configILj256ELj4ELj4294967295EEENS1_37radix_sort_block_sort_config_selectorIdNS0_10empty_typeEEEZNS1_21radix_sort_block_sortIS4_Lb0EPdS9_PS6_SA_NS0_19identity_decomposerEEE10hipError_tT1_T2_T3_T4_jRjT5_jjP12ihipStream_tbEUlT_E_NS1_11comp_targetILNS1_3genE10ELNS1_11target_archE1201ELNS1_3gpuE5ELNS1_3repE0EEENS1_44radix_sort_block_sort_config_static_selectorELNS0_4arch9wavefront6targetE1EEEvSD_,"axG",@progbits,_ZN7rocprim17ROCPRIM_400000_NS6detail17trampoline_kernelINS0_13kernel_configILj256ELj4ELj4294967295EEENS1_37radix_sort_block_sort_config_selectorIdNS0_10empty_typeEEEZNS1_21radix_sort_block_sortIS4_Lb0EPdS9_PS6_SA_NS0_19identity_decomposerEEE10hipError_tT1_T2_T3_T4_jRjT5_jjP12ihipStream_tbEUlT_E_NS1_11comp_targetILNS1_3genE10ELNS1_11target_archE1201ELNS1_3gpuE5ELNS1_3repE0EEENS1_44radix_sort_block_sort_config_static_selectorELNS0_4arch9wavefront6targetE1EEEvSD_,comdat
	.protected	_ZN7rocprim17ROCPRIM_400000_NS6detail17trampoline_kernelINS0_13kernel_configILj256ELj4ELj4294967295EEENS1_37radix_sort_block_sort_config_selectorIdNS0_10empty_typeEEEZNS1_21radix_sort_block_sortIS4_Lb0EPdS9_PS6_SA_NS0_19identity_decomposerEEE10hipError_tT1_T2_T3_T4_jRjT5_jjP12ihipStream_tbEUlT_E_NS1_11comp_targetILNS1_3genE10ELNS1_11target_archE1201ELNS1_3gpuE5ELNS1_3repE0EEENS1_44radix_sort_block_sort_config_static_selectorELNS0_4arch9wavefront6targetE1EEEvSD_ ; -- Begin function _ZN7rocprim17ROCPRIM_400000_NS6detail17trampoline_kernelINS0_13kernel_configILj256ELj4ELj4294967295EEENS1_37radix_sort_block_sort_config_selectorIdNS0_10empty_typeEEEZNS1_21radix_sort_block_sortIS4_Lb0EPdS9_PS6_SA_NS0_19identity_decomposerEEE10hipError_tT1_T2_T3_T4_jRjT5_jjP12ihipStream_tbEUlT_E_NS1_11comp_targetILNS1_3genE10ELNS1_11target_archE1201ELNS1_3gpuE5ELNS1_3repE0EEENS1_44radix_sort_block_sort_config_static_selectorELNS0_4arch9wavefront6targetE1EEEvSD_
	.globl	_ZN7rocprim17ROCPRIM_400000_NS6detail17trampoline_kernelINS0_13kernel_configILj256ELj4ELj4294967295EEENS1_37radix_sort_block_sort_config_selectorIdNS0_10empty_typeEEEZNS1_21radix_sort_block_sortIS4_Lb0EPdS9_PS6_SA_NS0_19identity_decomposerEEE10hipError_tT1_T2_T3_T4_jRjT5_jjP12ihipStream_tbEUlT_E_NS1_11comp_targetILNS1_3genE10ELNS1_11target_archE1201ELNS1_3gpuE5ELNS1_3repE0EEENS1_44radix_sort_block_sort_config_static_selectorELNS0_4arch9wavefront6targetE1EEEvSD_
	.p2align	8
	.type	_ZN7rocprim17ROCPRIM_400000_NS6detail17trampoline_kernelINS0_13kernel_configILj256ELj4ELj4294967295EEENS1_37radix_sort_block_sort_config_selectorIdNS0_10empty_typeEEEZNS1_21radix_sort_block_sortIS4_Lb0EPdS9_PS6_SA_NS0_19identity_decomposerEEE10hipError_tT1_T2_T3_T4_jRjT5_jjP12ihipStream_tbEUlT_E_NS1_11comp_targetILNS1_3genE10ELNS1_11target_archE1201ELNS1_3gpuE5ELNS1_3repE0EEENS1_44radix_sort_block_sort_config_static_selectorELNS0_4arch9wavefront6targetE1EEEvSD_,@function
_ZN7rocprim17ROCPRIM_400000_NS6detail17trampoline_kernelINS0_13kernel_configILj256ELj4ELj4294967295EEENS1_37radix_sort_block_sort_config_selectorIdNS0_10empty_typeEEEZNS1_21radix_sort_block_sortIS4_Lb0EPdS9_PS6_SA_NS0_19identity_decomposerEEE10hipError_tT1_T2_T3_T4_jRjT5_jjP12ihipStream_tbEUlT_E_NS1_11comp_targetILNS1_3genE10ELNS1_11target_archE1201ELNS1_3gpuE5ELNS1_3repE0EEENS1_44radix_sort_block_sort_config_static_selectorELNS0_4arch9wavefront6targetE1EEEvSD_: ; @_ZN7rocprim17ROCPRIM_400000_NS6detail17trampoline_kernelINS0_13kernel_configILj256ELj4ELj4294967295EEENS1_37radix_sort_block_sort_config_selectorIdNS0_10empty_typeEEEZNS1_21radix_sort_block_sortIS4_Lb0EPdS9_PS6_SA_NS0_19identity_decomposerEEE10hipError_tT1_T2_T3_T4_jRjT5_jjP12ihipStream_tbEUlT_E_NS1_11comp_targetILNS1_3genE10ELNS1_11target_archE1201ELNS1_3gpuE5ELNS1_3repE0EEENS1_44radix_sort_block_sort_config_static_selectorELNS0_4arch9wavefront6targetE1EEEvSD_
; %bb.0:
	.section	.rodata,"a",@progbits
	.p2align	6, 0x0
	.amdhsa_kernel _ZN7rocprim17ROCPRIM_400000_NS6detail17trampoline_kernelINS0_13kernel_configILj256ELj4ELj4294967295EEENS1_37radix_sort_block_sort_config_selectorIdNS0_10empty_typeEEEZNS1_21radix_sort_block_sortIS4_Lb0EPdS9_PS6_SA_NS0_19identity_decomposerEEE10hipError_tT1_T2_T3_T4_jRjT5_jjP12ihipStream_tbEUlT_E_NS1_11comp_targetILNS1_3genE10ELNS1_11target_archE1201ELNS1_3gpuE5ELNS1_3repE0EEENS1_44radix_sort_block_sort_config_static_selectorELNS0_4arch9wavefront6targetE1EEEvSD_
		.amdhsa_group_segment_fixed_size 0
		.amdhsa_private_segment_fixed_size 0
		.amdhsa_kernarg_size 48
		.amdhsa_user_sgpr_count 6
		.amdhsa_user_sgpr_private_segment_buffer 1
		.amdhsa_user_sgpr_dispatch_ptr 0
		.amdhsa_user_sgpr_queue_ptr 0
		.amdhsa_user_sgpr_kernarg_segment_ptr 1
		.amdhsa_user_sgpr_dispatch_id 0
		.amdhsa_user_sgpr_flat_scratch_init 0
		.amdhsa_user_sgpr_kernarg_preload_length 0
		.amdhsa_user_sgpr_kernarg_preload_offset 0
		.amdhsa_user_sgpr_private_segment_size 0
		.amdhsa_uses_dynamic_stack 0
		.amdhsa_system_sgpr_private_segment_wavefront_offset 0
		.amdhsa_system_sgpr_workgroup_id_x 1
		.amdhsa_system_sgpr_workgroup_id_y 0
		.amdhsa_system_sgpr_workgroup_id_z 0
		.amdhsa_system_sgpr_workgroup_info 0
		.amdhsa_system_vgpr_workitem_id 0
		.amdhsa_next_free_vgpr 1
		.amdhsa_next_free_sgpr 0
		.amdhsa_accum_offset 4
		.amdhsa_reserve_vcc 0
		.amdhsa_reserve_flat_scratch 0
		.amdhsa_float_round_mode_32 0
		.amdhsa_float_round_mode_16_64 0
		.amdhsa_float_denorm_mode_32 3
		.amdhsa_float_denorm_mode_16_64 3
		.amdhsa_dx10_clamp 1
		.amdhsa_ieee_mode 1
		.amdhsa_fp16_overflow 0
		.amdhsa_tg_split 0
		.amdhsa_exception_fp_ieee_invalid_op 0
		.amdhsa_exception_fp_denorm_src 0
		.amdhsa_exception_fp_ieee_div_zero 0
		.amdhsa_exception_fp_ieee_overflow 0
		.amdhsa_exception_fp_ieee_underflow 0
		.amdhsa_exception_fp_ieee_inexact 0
		.amdhsa_exception_int_div_zero 0
	.end_amdhsa_kernel
	.section	.text._ZN7rocprim17ROCPRIM_400000_NS6detail17trampoline_kernelINS0_13kernel_configILj256ELj4ELj4294967295EEENS1_37radix_sort_block_sort_config_selectorIdNS0_10empty_typeEEEZNS1_21radix_sort_block_sortIS4_Lb0EPdS9_PS6_SA_NS0_19identity_decomposerEEE10hipError_tT1_T2_T3_T4_jRjT5_jjP12ihipStream_tbEUlT_E_NS1_11comp_targetILNS1_3genE10ELNS1_11target_archE1201ELNS1_3gpuE5ELNS1_3repE0EEENS1_44radix_sort_block_sort_config_static_selectorELNS0_4arch9wavefront6targetE1EEEvSD_,"axG",@progbits,_ZN7rocprim17ROCPRIM_400000_NS6detail17trampoline_kernelINS0_13kernel_configILj256ELj4ELj4294967295EEENS1_37radix_sort_block_sort_config_selectorIdNS0_10empty_typeEEEZNS1_21radix_sort_block_sortIS4_Lb0EPdS9_PS6_SA_NS0_19identity_decomposerEEE10hipError_tT1_T2_T3_T4_jRjT5_jjP12ihipStream_tbEUlT_E_NS1_11comp_targetILNS1_3genE10ELNS1_11target_archE1201ELNS1_3gpuE5ELNS1_3repE0EEENS1_44radix_sort_block_sort_config_static_selectorELNS0_4arch9wavefront6targetE1EEEvSD_,comdat
.Lfunc_end1309:
	.size	_ZN7rocprim17ROCPRIM_400000_NS6detail17trampoline_kernelINS0_13kernel_configILj256ELj4ELj4294967295EEENS1_37radix_sort_block_sort_config_selectorIdNS0_10empty_typeEEEZNS1_21radix_sort_block_sortIS4_Lb0EPdS9_PS6_SA_NS0_19identity_decomposerEEE10hipError_tT1_T2_T3_T4_jRjT5_jjP12ihipStream_tbEUlT_E_NS1_11comp_targetILNS1_3genE10ELNS1_11target_archE1201ELNS1_3gpuE5ELNS1_3repE0EEENS1_44radix_sort_block_sort_config_static_selectorELNS0_4arch9wavefront6targetE1EEEvSD_, .Lfunc_end1309-_ZN7rocprim17ROCPRIM_400000_NS6detail17trampoline_kernelINS0_13kernel_configILj256ELj4ELj4294967295EEENS1_37radix_sort_block_sort_config_selectorIdNS0_10empty_typeEEEZNS1_21radix_sort_block_sortIS4_Lb0EPdS9_PS6_SA_NS0_19identity_decomposerEEE10hipError_tT1_T2_T3_T4_jRjT5_jjP12ihipStream_tbEUlT_E_NS1_11comp_targetILNS1_3genE10ELNS1_11target_archE1201ELNS1_3gpuE5ELNS1_3repE0EEENS1_44radix_sort_block_sort_config_static_selectorELNS0_4arch9wavefront6targetE1EEEvSD_
                                        ; -- End function
	.section	.AMDGPU.csdata,"",@progbits
; Kernel info:
; codeLenInByte = 0
; NumSgprs: 4
; NumVgprs: 0
; NumAgprs: 0
; TotalNumVgprs: 0
; ScratchSize: 0
; MemoryBound: 0
; FloatMode: 240
; IeeeMode: 1
; LDSByteSize: 0 bytes/workgroup (compile time only)
; SGPRBlocks: 0
; VGPRBlocks: 0
; NumSGPRsForWavesPerEU: 4
; NumVGPRsForWavesPerEU: 1
; AccumOffset: 4
; Occupancy: 8
; WaveLimiterHint : 0
; COMPUTE_PGM_RSRC2:SCRATCH_EN: 0
; COMPUTE_PGM_RSRC2:USER_SGPR: 6
; COMPUTE_PGM_RSRC2:TRAP_HANDLER: 0
; COMPUTE_PGM_RSRC2:TGID_X_EN: 1
; COMPUTE_PGM_RSRC2:TGID_Y_EN: 0
; COMPUTE_PGM_RSRC2:TGID_Z_EN: 0
; COMPUTE_PGM_RSRC2:TIDIG_COMP_CNT: 0
; COMPUTE_PGM_RSRC3_GFX90A:ACCUM_OFFSET: 0
; COMPUTE_PGM_RSRC3_GFX90A:TG_SPLIT: 0
	.section	.text._ZN7rocprim17ROCPRIM_400000_NS6detail17trampoline_kernelINS0_13kernel_configILj256ELj4ELj4294967295EEENS1_37radix_sort_block_sort_config_selectorIdNS0_10empty_typeEEEZNS1_21radix_sort_block_sortIS4_Lb0EPdS9_PS6_SA_NS0_19identity_decomposerEEE10hipError_tT1_T2_T3_T4_jRjT5_jjP12ihipStream_tbEUlT_E_NS1_11comp_targetILNS1_3genE10ELNS1_11target_archE1200ELNS1_3gpuE4ELNS1_3repE0EEENS1_44radix_sort_block_sort_config_static_selectorELNS0_4arch9wavefront6targetE1EEEvSD_,"axG",@progbits,_ZN7rocprim17ROCPRIM_400000_NS6detail17trampoline_kernelINS0_13kernel_configILj256ELj4ELj4294967295EEENS1_37radix_sort_block_sort_config_selectorIdNS0_10empty_typeEEEZNS1_21radix_sort_block_sortIS4_Lb0EPdS9_PS6_SA_NS0_19identity_decomposerEEE10hipError_tT1_T2_T3_T4_jRjT5_jjP12ihipStream_tbEUlT_E_NS1_11comp_targetILNS1_3genE10ELNS1_11target_archE1200ELNS1_3gpuE4ELNS1_3repE0EEENS1_44radix_sort_block_sort_config_static_selectorELNS0_4arch9wavefront6targetE1EEEvSD_,comdat
	.protected	_ZN7rocprim17ROCPRIM_400000_NS6detail17trampoline_kernelINS0_13kernel_configILj256ELj4ELj4294967295EEENS1_37radix_sort_block_sort_config_selectorIdNS0_10empty_typeEEEZNS1_21radix_sort_block_sortIS4_Lb0EPdS9_PS6_SA_NS0_19identity_decomposerEEE10hipError_tT1_T2_T3_T4_jRjT5_jjP12ihipStream_tbEUlT_E_NS1_11comp_targetILNS1_3genE10ELNS1_11target_archE1200ELNS1_3gpuE4ELNS1_3repE0EEENS1_44radix_sort_block_sort_config_static_selectorELNS0_4arch9wavefront6targetE1EEEvSD_ ; -- Begin function _ZN7rocprim17ROCPRIM_400000_NS6detail17trampoline_kernelINS0_13kernel_configILj256ELj4ELj4294967295EEENS1_37radix_sort_block_sort_config_selectorIdNS0_10empty_typeEEEZNS1_21radix_sort_block_sortIS4_Lb0EPdS9_PS6_SA_NS0_19identity_decomposerEEE10hipError_tT1_T2_T3_T4_jRjT5_jjP12ihipStream_tbEUlT_E_NS1_11comp_targetILNS1_3genE10ELNS1_11target_archE1200ELNS1_3gpuE4ELNS1_3repE0EEENS1_44radix_sort_block_sort_config_static_selectorELNS0_4arch9wavefront6targetE1EEEvSD_
	.globl	_ZN7rocprim17ROCPRIM_400000_NS6detail17trampoline_kernelINS0_13kernel_configILj256ELj4ELj4294967295EEENS1_37radix_sort_block_sort_config_selectorIdNS0_10empty_typeEEEZNS1_21radix_sort_block_sortIS4_Lb0EPdS9_PS6_SA_NS0_19identity_decomposerEEE10hipError_tT1_T2_T3_T4_jRjT5_jjP12ihipStream_tbEUlT_E_NS1_11comp_targetILNS1_3genE10ELNS1_11target_archE1200ELNS1_3gpuE4ELNS1_3repE0EEENS1_44radix_sort_block_sort_config_static_selectorELNS0_4arch9wavefront6targetE1EEEvSD_
	.p2align	8
	.type	_ZN7rocprim17ROCPRIM_400000_NS6detail17trampoline_kernelINS0_13kernel_configILj256ELj4ELj4294967295EEENS1_37radix_sort_block_sort_config_selectorIdNS0_10empty_typeEEEZNS1_21radix_sort_block_sortIS4_Lb0EPdS9_PS6_SA_NS0_19identity_decomposerEEE10hipError_tT1_T2_T3_T4_jRjT5_jjP12ihipStream_tbEUlT_E_NS1_11comp_targetILNS1_3genE10ELNS1_11target_archE1200ELNS1_3gpuE4ELNS1_3repE0EEENS1_44radix_sort_block_sort_config_static_selectorELNS0_4arch9wavefront6targetE1EEEvSD_,@function
_ZN7rocprim17ROCPRIM_400000_NS6detail17trampoline_kernelINS0_13kernel_configILj256ELj4ELj4294967295EEENS1_37radix_sort_block_sort_config_selectorIdNS0_10empty_typeEEEZNS1_21radix_sort_block_sortIS4_Lb0EPdS9_PS6_SA_NS0_19identity_decomposerEEE10hipError_tT1_T2_T3_T4_jRjT5_jjP12ihipStream_tbEUlT_E_NS1_11comp_targetILNS1_3genE10ELNS1_11target_archE1200ELNS1_3gpuE4ELNS1_3repE0EEENS1_44radix_sort_block_sort_config_static_selectorELNS0_4arch9wavefront6targetE1EEEvSD_: ; @_ZN7rocprim17ROCPRIM_400000_NS6detail17trampoline_kernelINS0_13kernel_configILj256ELj4ELj4294967295EEENS1_37radix_sort_block_sort_config_selectorIdNS0_10empty_typeEEEZNS1_21radix_sort_block_sortIS4_Lb0EPdS9_PS6_SA_NS0_19identity_decomposerEEE10hipError_tT1_T2_T3_T4_jRjT5_jjP12ihipStream_tbEUlT_E_NS1_11comp_targetILNS1_3genE10ELNS1_11target_archE1200ELNS1_3gpuE4ELNS1_3repE0EEENS1_44radix_sort_block_sort_config_static_selectorELNS0_4arch9wavefront6targetE1EEEvSD_
; %bb.0:
	.section	.rodata,"a",@progbits
	.p2align	6, 0x0
	.amdhsa_kernel _ZN7rocprim17ROCPRIM_400000_NS6detail17trampoline_kernelINS0_13kernel_configILj256ELj4ELj4294967295EEENS1_37radix_sort_block_sort_config_selectorIdNS0_10empty_typeEEEZNS1_21radix_sort_block_sortIS4_Lb0EPdS9_PS6_SA_NS0_19identity_decomposerEEE10hipError_tT1_T2_T3_T4_jRjT5_jjP12ihipStream_tbEUlT_E_NS1_11comp_targetILNS1_3genE10ELNS1_11target_archE1200ELNS1_3gpuE4ELNS1_3repE0EEENS1_44radix_sort_block_sort_config_static_selectorELNS0_4arch9wavefront6targetE1EEEvSD_
		.amdhsa_group_segment_fixed_size 0
		.amdhsa_private_segment_fixed_size 0
		.amdhsa_kernarg_size 48
		.amdhsa_user_sgpr_count 6
		.amdhsa_user_sgpr_private_segment_buffer 1
		.amdhsa_user_sgpr_dispatch_ptr 0
		.amdhsa_user_sgpr_queue_ptr 0
		.amdhsa_user_sgpr_kernarg_segment_ptr 1
		.amdhsa_user_sgpr_dispatch_id 0
		.amdhsa_user_sgpr_flat_scratch_init 0
		.amdhsa_user_sgpr_kernarg_preload_length 0
		.amdhsa_user_sgpr_kernarg_preload_offset 0
		.amdhsa_user_sgpr_private_segment_size 0
		.amdhsa_uses_dynamic_stack 0
		.amdhsa_system_sgpr_private_segment_wavefront_offset 0
		.amdhsa_system_sgpr_workgroup_id_x 1
		.amdhsa_system_sgpr_workgroup_id_y 0
		.amdhsa_system_sgpr_workgroup_id_z 0
		.amdhsa_system_sgpr_workgroup_info 0
		.amdhsa_system_vgpr_workitem_id 0
		.amdhsa_next_free_vgpr 1
		.amdhsa_next_free_sgpr 0
		.amdhsa_accum_offset 4
		.amdhsa_reserve_vcc 0
		.amdhsa_reserve_flat_scratch 0
		.amdhsa_float_round_mode_32 0
		.amdhsa_float_round_mode_16_64 0
		.amdhsa_float_denorm_mode_32 3
		.amdhsa_float_denorm_mode_16_64 3
		.amdhsa_dx10_clamp 1
		.amdhsa_ieee_mode 1
		.amdhsa_fp16_overflow 0
		.amdhsa_tg_split 0
		.amdhsa_exception_fp_ieee_invalid_op 0
		.amdhsa_exception_fp_denorm_src 0
		.amdhsa_exception_fp_ieee_div_zero 0
		.amdhsa_exception_fp_ieee_overflow 0
		.amdhsa_exception_fp_ieee_underflow 0
		.amdhsa_exception_fp_ieee_inexact 0
		.amdhsa_exception_int_div_zero 0
	.end_amdhsa_kernel
	.section	.text._ZN7rocprim17ROCPRIM_400000_NS6detail17trampoline_kernelINS0_13kernel_configILj256ELj4ELj4294967295EEENS1_37radix_sort_block_sort_config_selectorIdNS0_10empty_typeEEEZNS1_21radix_sort_block_sortIS4_Lb0EPdS9_PS6_SA_NS0_19identity_decomposerEEE10hipError_tT1_T2_T3_T4_jRjT5_jjP12ihipStream_tbEUlT_E_NS1_11comp_targetILNS1_3genE10ELNS1_11target_archE1200ELNS1_3gpuE4ELNS1_3repE0EEENS1_44radix_sort_block_sort_config_static_selectorELNS0_4arch9wavefront6targetE1EEEvSD_,"axG",@progbits,_ZN7rocprim17ROCPRIM_400000_NS6detail17trampoline_kernelINS0_13kernel_configILj256ELj4ELj4294967295EEENS1_37radix_sort_block_sort_config_selectorIdNS0_10empty_typeEEEZNS1_21radix_sort_block_sortIS4_Lb0EPdS9_PS6_SA_NS0_19identity_decomposerEEE10hipError_tT1_T2_T3_T4_jRjT5_jjP12ihipStream_tbEUlT_E_NS1_11comp_targetILNS1_3genE10ELNS1_11target_archE1200ELNS1_3gpuE4ELNS1_3repE0EEENS1_44radix_sort_block_sort_config_static_selectorELNS0_4arch9wavefront6targetE1EEEvSD_,comdat
.Lfunc_end1310:
	.size	_ZN7rocprim17ROCPRIM_400000_NS6detail17trampoline_kernelINS0_13kernel_configILj256ELj4ELj4294967295EEENS1_37radix_sort_block_sort_config_selectorIdNS0_10empty_typeEEEZNS1_21radix_sort_block_sortIS4_Lb0EPdS9_PS6_SA_NS0_19identity_decomposerEEE10hipError_tT1_T2_T3_T4_jRjT5_jjP12ihipStream_tbEUlT_E_NS1_11comp_targetILNS1_3genE10ELNS1_11target_archE1200ELNS1_3gpuE4ELNS1_3repE0EEENS1_44radix_sort_block_sort_config_static_selectorELNS0_4arch9wavefront6targetE1EEEvSD_, .Lfunc_end1310-_ZN7rocprim17ROCPRIM_400000_NS6detail17trampoline_kernelINS0_13kernel_configILj256ELj4ELj4294967295EEENS1_37radix_sort_block_sort_config_selectorIdNS0_10empty_typeEEEZNS1_21radix_sort_block_sortIS4_Lb0EPdS9_PS6_SA_NS0_19identity_decomposerEEE10hipError_tT1_T2_T3_T4_jRjT5_jjP12ihipStream_tbEUlT_E_NS1_11comp_targetILNS1_3genE10ELNS1_11target_archE1200ELNS1_3gpuE4ELNS1_3repE0EEENS1_44radix_sort_block_sort_config_static_selectorELNS0_4arch9wavefront6targetE1EEEvSD_
                                        ; -- End function
	.section	.AMDGPU.csdata,"",@progbits
; Kernel info:
; codeLenInByte = 0
; NumSgprs: 4
; NumVgprs: 0
; NumAgprs: 0
; TotalNumVgprs: 0
; ScratchSize: 0
; MemoryBound: 0
; FloatMode: 240
; IeeeMode: 1
; LDSByteSize: 0 bytes/workgroup (compile time only)
; SGPRBlocks: 0
; VGPRBlocks: 0
; NumSGPRsForWavesPerEU: 4
; NumVGPRsForWavesPerEU: 1
; AccumOffset: 4
; Occupancy: 8
; WaveLimiterHint : 0
; COMPUTE_PGM_RSRC2:SCRATCH_EN: 0
; COMPUTE_PGM_RSRC2:USER_SGPR: 6
; COMPUTE_PGM_RSRC2:TRAP_HANDLER: 0
; COMPUTE_PGM_RSRC2:TGID_X_EN: 1
; COMPUTE_PGM_RSRC2:TGID_Y_EN: 0
; COMPUTE_PGM_RSRC2:TGID_Z_EN: 0
; COMPUTE_PGM_RSRC2:TIDIG_COMP_CNT: 0
; COMPUTE_PGM_RSRC3_GFX90A:ACCUM_OFFSET: 0
; COMPUTE_PGM_RSRC3_GFX90A:TG_SPLIT: 0
	.section	.text._ZN7rocprim17ROCPRIM_400000_NS6detail17trampoline_kernelINS0_13kernel_configILj256ELj4ELj4294967295EEENS1_37radix_sort_block_sort_config_selectorIdNS0_10empty_typeEEEZNS1_21radix_sort_block_sortIS4_Lb0EPdS9_PS6_SA_NS0_19identity_decomposerEEE10hipError_tT1_T2_T3_T4_jRjT5_jjP12ihipStream_tbEUlT_E_NS1_11comp_targetILNS1_3genE9ELNS1_11target_archE1100ELNS1_3gpuE3ELNS1_3repE0EEENS1_44radix_sort_block_sort_config_static_selectorELNS0_4arch9wavefront6targetE1EEEvSD_,"axG",@progbits,_ZN7rocprim17ROCPRIM_400000_NS6detail17trampoline_kernelINS0_13kernel_configILj256ELj4ELj4294967295EEENS1_37radix_sort_block_sort_config_selectorIdNS0_10empty_typeEEEZNS1_21radix_sort_block_sortIS4_Lb0EPdS9_PS6_SA_NS0_19identity_decomposerEEE10hipError_tT1_T2_T3_T4_jRjT5_jjP12ihipStream_tbEUlT_E_NS1_11comp_targetILNS1_3genE9ELNS1_11target_archE1100ELNS1_3gpuE3ELNS1_3repE0EEENS1_44radix_sort_block_sort_config_static_selectorELNS0_4arch9wavefront6targetE1EEEvSD_,comdat
	.protected	_ZN7rocprim17ROCPRIM_400000_NS6detail17trampoline_kernelINS0_13kernel_configILj256ELj4ELj4294967295EEENS1_37radix_sort_block_sort_config_selectorIdNS0_10empty_typeEEEZNS1_21radix_sort_block_sortIS4_Lb0EPdS9_PS6_SA_NS0_19identity_decomposerEEE10hipError_tT1_T2_T3_T4_jRjT5_jjP12ihipStream_tbEUlT_E_NS1_11comp_targetILNS1_3genE9ELNS1_11target_archE1100ELNS1_3gpuE3ELNS1_3repE0EEENS1_44radix_sort_block_sort_config_static_selectorELNS0_4arch9wavefront6targetE1EEEvSD_ ; -- Begin function _ZN7rocprim17ROCPRIM_400000_NS6detail17trampoline_kernelINS0_13kernel_configILj256ELj4ELj4294967295EEENS1_37radix_sort_block_sort_config_selectorIdNS0_10empty_typeEEEZNS1_21radix_sort_block_sortIS4_Lb0EPdS9_PS6_SA_NS0_19identity_decomposerEEE10hipError_tT1_T2_T3_T4_jRjT5_jjP12ihipStream_tbEUlT_E_NS1_11comp_targetILNS1_3genE9ELNS1_11target_archE1100ELNS1_3gpuE3ELNS1_3repE0EEENS1_44radix_sort_block_sort_config_static_selectorELNS0_4arch9wavefront6targetE1EEEvSD_
	.globl	_ZN7rocprim17ROCPRIM_400000_NS6detail17trampoline_kernelINS0_13kernel_configILj256ELj4ELj4294967295EEENS1_37radix_sort_block_sort_config_selectorIdNS0_10empty_typeEEEZNS1_21radix_sort_block_sortIS4_Lb0EPdS9_PS6_SA_NS0_19identity_decomposerEEE10hipError_tT1_T2_T3_T4_jRjT5_jjP12ihipStream_tbEUlT_E_NS1_11comp_targetILNS1_3genE9ELNS1_11target_archE1100ELNS1_3gpuE3ELNS1_3repE0EEENS1_44radix_sort_block_sort_config_static_selectorELNS0_4arch9wavefront6targetE1EEEvSD_
	.p2align	8
	.type	_ZN7rocprim17ROCPRIM_400000_NS6detail17trampoline_kernelINS0_13kernel_configILj256ELj4ELj4294967295EEENS1_37radix_sort_block_sort_config_selectorIdNS0_10empty_typeEEEZNS1_21radix_sort_block_sortIS4_Lb0EPdS9_PS6_SA_NS0_19identity_decomposerEEE10hipError_tT1_T2_T3_T4_jRjT5_jjP12ihipStream_tbEUlT_E_NS1_11comp_targetILNS1_3genE9ELNS1_11target_archE1100ELNS1_3gpuE3ELNS1_3repE0EEENS1_44radix_sort_block_sort_config_static_selectorELNS0_4arch9wavefront6targetE1EEEvSD_,@function
_ZN7rocprim17ROCPRIM_400000_NS6detail17trampoline_kernelINS0_13kernel_configILj256ELj4ELj4294967295EEENS1_37radix_sort_block_sort_config_selectorIdNS0_10empty_typeEEEZNS1_21radix_sort_block_sortIS4_Lb0EPdS9_PS6_SA_NS0_19identity_decomposerEEE10hipError_tT1_T2_T3_T4_jRjT5_jjP12ihipStream_tbEUlT_E_NS1_11comp_targetILNS1_3genE9ELNS1_11target_archE1100ELNS1_3gpuE3ELNS1_3repE0EEENS1_44radix_sort_block_sort_config_static_selectorELNS0_4arch9wavefront6targetE1EEEvSD_: ; @_ZN7rocprim17ROCPRIM_400000_NS6detail17trampoline_kernelINS0_13kernel_configILj256ELj4ELj4294967295EEENS1_37radix_sort_block_sort_config_selectorIdNS0_10empty_typeEEEZNS1_21radix_sort_block_sortIS4_Lb0EPdS9_PS6_SA_NS0_19identity_decomposerEEE10hipError_tT1_T2_T3_T4_jRjT5_jjP12ihipStream_tbEUlT_E_NS1_11comp_targetILNS1_3genE9ELNS1_11target_archE1100ELNS1_3gpuE3ELNS1_3repE0EEENS1_44radix_sort_block_sort_config_static_selectorELNS0_4arch9wavefront6targetE1EEEvSD_
; %bb.0:
	.section	.rodata,"a",@progbits
	.p2align	6, 0x0
	.amdhsa_kernel _ZN7rocprim17ROCPRIM_400000_NS6detail17trampoline_kernelINS0_13kernel_configILj256ELj4ELj4294967295EEENS1_37radix_sort_block_sort_config_selectorIdNS0_10empty_typeEEEZNS1_21radix_sort_block_sortIS4_Lb0EPdS9_PS6_SA_NS0_19identity_decomposerEEE10hipError_tT1_T2_T3_T4_jRjT5_jjP12ihipStream_tbEUlT_E_NS1_11comp_targetILNS1_3genE9ELNS1_11target_archE1100ELNS1_3gpuE3ELNS1_3repE0EEENS1_44radix_sort_block_sort_config_static_selectorELNS0_4arch9wavefront6targetE1EEEvSD_
		.amdhsa_group_segment_fixed_size 0
		.amdhsa_private_segment_fixed_size 0
		.amdhsa_kernarg_size 48
		.amdhsa_user_sgpr_count 6
		.amdhsa_user_sgpr_private_segment_buffer 1
		.amdhsa_user_sgpr_dispatch_ptr 0
		.amdhsa_user_sgpr_queue_ptr 0
		.amdhsa_user_sgpr_kernarg_segment_ptr 1
		.amdhsa_user_sgpr_dispatch_id 0
		.amdhsa_user_sgpr_flat_scratch_init 0
		.amdhsa_user_sgpr_kernarg_preload_length 0
		.amdhsa_user_sgpr_kernarg_preload_offset 0
		.amdhsa_user_sgpr_private_segment_size 0
		.amdhsa_uses_dynamic_stack 0
		.amdhsa_system_sgpr_private_segment_wavefront_offset 0
		.amdhsa_system_sgpr_workgroup_id_x 1
		.amdhsa_system_sgpr_workgroup_id_y 0
		.amdhsa_system_sgpr_workgroup_id_z 0
		.amdhsa_system_sgpr_workgroup_info 0
		.amdhsa_system_vgpr_workitem_id 0
		.amdhsa_next_free_vgpr 1
		.amdhsa_next_free_sgpr 0
		.amdhsa_accum_offset 4
		.amdhsa_reserve_vcc 0
		.amdhsa_reserve_flat_scratch 0
		.amdhsa_float_round_mode_32 0
		.amdhsa_float_round_mode_16_64 0
		.amdhsa_float_denorm_mode_32 3
		.amdhsa_float_denorm_mode_16_64 3
		.amdhsa_dx10_clamp 1
		.amdhsa_ieee_mode 1
		.amdhsa_fp16_overflow 0
		.amdhsa_tg_split 0
		.amdhsa_exception_fp_ieee_invalid_op 0
		.amdhsa_exception_fp_denorm_src 0
		.amdhsa_exception_fp_ieee_div_zero 0
		.amdhsa_exception_fp_ieee_overflow 0
		.amdhsa_exception_fp_ieee_underflow 0
		.amdhsa_exception_fp_ieee_inexact 0
		.amdhsa_exception_int_div_zero 0
	.end_amdhsa_kernel
	.section	.text._ZN7rocprim17ROCPRIM_400000_NS6detail17trampoline_kernelINS0_13kernel_configILj256ELj4ELj4294967295EEENS1_37radix_sort_block_sort_config_selectorIdNS0_10empty_typeEEEZNS1_21radix_sort_block_sortIS4_Lb0EPdS9_PS6_SA_NS0_19identity_decomposerEEE10hipError_tT1_T2_T3_T4_jRjT5_jjP12ihipStream_tbEUlT_E_NS1_11comp_targetILNS1_3genE9ELNS1_11target_archE1100ELNS1_3gpuE3ELNS1_3repE0EEENS1_44radix_sort_block_sort_config_static_selectorELNS0_4arch9wavefront6targetE1EEEvSD_,"axG",@progbits,_ZN7rocprim17ROCPRIM_400000_NS6detail17trampoline_kernelINS0_13kernel_configILj256ELj4ELj4294967295EEENS1_37radix_sort_block_sort_config_selectorIdNS0_10empty_typeEEEZNS1_21radix_sort_block_sortIS4_Lb0EPdS9_PS6_SA_NS0_19identity_decomposerEEE10hipError_tT1_T2_T3_T4_jRjT5_jjP12ihipStream_tbEUlT_E_NS1_11comp_targetILNS1_3genE9ELNS1_11target_archE1100ELNS1_3gpuE3ELNS1_3repE0EEENS1_44radix_sort_block_sort_config_static_selectorELNS0_4arch9wavefront6targetE1EEEvSD_,comdat
.Lfunc_end1311:
	.size	_ZN7rocprim17ROCPRIM_400000_NS6detail17trampoline_kernelINS0_13kernel_configILj256ELj4ELj4294967295EEENS1_37radix_sort_block_sort_config_selectorIdNS0_10empty_typeEEEZNS1_21radix_sort_block_sortIS4_Lb0EPdS9_PS6_SA_NS0_19identity_decomposerEEE10hipError_tT1_T2_T3_T4_jRjT5_jjP12ihipStream_tbEUlT_E_NS1_11comp_targetILNS1_3genE9ELNS1_11target_archE1100ELNS1_3gpuE3ELNS1_3repE0EEENS1_44radix_sort_block_sort_config_static_selectorELNS0_4arch9wavefront6targetE1EEEvSD_, .Lfunc_end1311-_ZN7rocprim17ROCPRIM_400000_NS6detail17trampoline_kernelINS0_13kernel_configILj256ELj4ELj4294967295EEENS1_37radix_sort_block_sort_config_selectorIdNS0_10empty_typeEEEZNS1_21radix_sort_block_sortIS4_Lb0EPdS9_PS6_SA_NS0_19identity_decomposerEEE10hipError_tT1_T2_T3_T4_jRjT5_jjP12ihipStream_tbEUlT_E_NS1_11comp_targetILNS1_3genE9ELNS1_11target_archE1100ELNS1_3gpuE3ELNS1_3repE0EEENS1_44radix_sort_block_sort_config_static_selectorELNS0_4arch9wavefront6targetE1EEEvSD_
                                        ; -- End function
	.section	.AMDGPU.csdata,"",@progbits
; Kernel info:
; codeLenInByte = 0
; NumSgprs: 4
; NumVgprs: 0
; NumAgprs: 0
; TotalNumVgprs: 0
; ScratchSize: 0
; MemoryBound: 0
; FloatMode: 240
; IeeeMode: 1
; LDSByteSize: 0 bytes/workgroup (compile time only)
; SGPRBlocks: 0
; VGPRBlocks: 0
; NumSGPRsForWavesPerEU: 4
; NumVGPRsForWavesPerEU: 1
; AccumOffset: 4
; Occupancy: 8
; WaveLimiterHint : 0
; COMPUTE_PGM_RSRC2:SCRATCH_EN: 0
; COMPUTE_PGM_RSRC2:USER_SGPR: 6
; COMPUTE_PGM_RSRC2:TRAP_HANDLER: 0
; COMPUTE_PGM_RSRC2:TGID_X_EN: 1
; COMPUTE_PGM_RSRC2:TGID_Y_EN: 0
; COMPUTE_PGM_RSRC2:TGID_Z_EN: 0
; COMPUTE_PGM_RSRC2:TIDIG_COMP_CNT: 0
; COMPUTE_PGM_RSRC3_GFX90A:ACCUM_OFFSET: 0
; COMPUTE_PGM_RSRC3_GFX90A:TG_SPLIT: 0
	.section	.text._ZN7rocprim17ROCPRIM_400000_NS6detail17trampoline_kernelINS0_13kernel_configILj256ELj4ELj4294967295EEENS1_37radix_sort_block_sort_config_selectorIdNS0_10empty_typeEEEZNS1_21radix_sort_block_sortIS4_Lb0EPdS9_PS6_SA_NS0_19identity_decomposerEEE10hipError_tT1_T2_T3_T4_jRjT5_jjP12ihipStream_tbEUlT_E_NS1_11comp_targetILNS1_3genE8ELNS1_11target_archE1030ELNS1_3gpuE2ELNS1_3repE0EEENS1_44radix_sort_block_sort_config_static_selectorELNS0_4arch9wavefront6targetE1EEEvSD_,"axG",@progbits,_ZN7rocprim17ROCPRIM_400000_NS6detail17trampoline_kernelINS0_13kernel_configILj256ELj4ELj4294967295EEENS1_37radix_sort_block_sort_config_selectorIdNS0_10empty_typeEEEZNS1_21radix_sort_block_sortIS4_Lb0EPdS9_PS6_SA_NS0_19identity_decomposerEEE10hipError_tT1_T2_T3_T4_jRjT5_jjP12ihipStream_tbEUlT_E_NS1_11comp_targetILNS1_3genE8ELNS1_11target_archE1030ELNS1_3gpuE2ELNS1_3repE0EEENS1_44radix_sort_block_sort_config_static_selectorELNS0_4arch9wavefront6targetE1EEEvSD_,comdat
	.protected	_ZN7rocprim17ROCPRIM_400000_NS6detail17trampoline_kernelINS0_13kernel_configILj256ELj4ELj4294967295EEENS1_37radix_sort_block_sort_config_selectorIdNS0_10empty_typeEEEZNS1_21radix_sort_block_sortIS4_Lb0EPdS9_PS6_SA_NS0_19identity_decomposerEEE10hipError_tT1_T2_T3_T4_jRjT5_jjP12ihipStream_tbEUlT_E_NS1_11comp_targetILNS1_3genE8ELNS1_11target_archE1030ELNS1_3gpuE2ELNS1_3repE0EEENS1_44radix_sort_block_sort_config_static_selectorELNS0_4arch9wavefront6targetE1EEEvSD_ ; -- Begin function _ZN7rocprim17ROCPRIM_400000_NS6detail17trampoline_kernelINS0_13kernel_configILj256ELj4ELj4294967295EEENS1_37radix_sort_block_sort_config_selectorIdNS0_10empty_typeEEEZNS1_21radix_sort_block_sortIS4_Lb0EPdS9_PS6_SA_NS0_19identity_decomposerEEE10hipError_tT1_T2_T3_T4_jRjT5_jjP12ihipStream_tbEUlT_E_NS1_11comp_targetILNS1_3genE8ELNS1_11target_archE1030ELNS1_3gpuE2ELNS1_3repE0EEENS1_44radix_sort_block_sort_config_static_selectorELNS0_4arch9wavefront6targetE1EEEvSD_
	.globl	_ZN7rocprim17ROCPRIM_400000_NS6detail17trampoline_kernelINS0_13kernel_configILj256ELj4ELj4294967295EEENS1_37radix_sort_block_sort_config_selectorIdNS0_10empty_typeEEEZNS1_21radix_sort_block_sortIS4_Lb0EPdS9_PS6_SA_NS0_19identity_decomposerEEE10hipError_tT1_T2_T3_T4_jRjT5_jjP12ihipStream_tbEUlT_E_NS1_11comp_targetILNS1_3genE8ELNS1_11target_archE1030ELNS1_3gpuE2ELNS1_3repE0EEENS1_44radix_sort_block_sort_config_static_selectorELNS0_4arch9wavefront6targetE1EEEvSD_
	.p2align	8
	.type	_ZN7rocprim17ROCPRIM_400000_NS6detail17trampoline_kernelINS0_13kernel_configILj256ELj4ELj4294967295EEENS1_37radix_sort_block_sort_config_selectorIdNS0_10empty_typeEEEZNS1_21radix_sort_block_sortIS4_Lb0EPdS9_PS6_SA_NS0_19identity_decomposerEEE10hipError_tT1_T2_T3_T4_jRjT5_jjP12ihipStream_tbEUlT_E_NS1_11comp_targetILNS1_3genE8ELNS1_11target_archE1030ELNS1_3gpuE2ELNS1_3repE0EEENS1_44radix_sort_block_sort_config_static_selectorELNS0_4arch9wavefront6targetE1EEEvSD_,@function
_ZN7rocprim17ROCPRIM_400000_NS6detail17trampoline_kernelINS0_13kernel_configILj256ELj4ELj4294967295EEENS1_37radix_sort_block_sort_config_selectorIdNS0_10empty_typeEEEZNS1_21radix_sort_block_sortIS4_Lb0EPdS9_PS6_SA_NS0_19identity_decomposerEEE10hipError_tT1_T2_T3_T4_jRjT5_jjP12ihipStream_tbEUlT_E_NS1_11comp_targetILNS1_3genE8ELNS1_11target_archE1030ELNS1_3gpuE2ELNS1_3repE0EEENS1_44radix_sort_block_sort_config_static_selectorELNS0_4arch9wavefront6targetE1EEEvSD_: ; @_ZN7rocprim17ROCPRIM_400000_NS6detail17trampoline_kernelINS0_13kernel_configILj256ELj4ELj4294967295EEENS1_37radix_sort_block_sort_config_selectorIdNS0_10empty_typeEEEZNS1_21radix_sort_block_sortIS4_Lb0EPdS9_PS6_SA_NS0_19identity_decomposerEEE10hipError_tT1_T2_T3_T4_jRjT5_jjP12ihipStream_tbEUlT_E_NS1_11comp_targetILNS1_3genE8ELNS1_11target_archE1030ELNS1_3gpuE2ELNS1_3repE0EEENS1_44radix_sort_block_sort_config_static_selectorELNS0_4arch9wavefront6targetE1EEEvSD_
; %bb.0:
	.section	.rodata,"a",@progbits
	.p2align	6, 0x0
	.amdhsa_kernel _ZN7rocprim17ROCPRIM_400000_NS6detail17trampoline_kernelINS0_13kernel_configILj256ELj4ELj4294967295EEENS1_37radix_sort_block_sort_config_selectorIdNS0_10empty_typeEEEZNS1_21radix_sort_block_sortIS4_Lb0EPdS9_PS6_SA_NS0_19identity_decomposerEEE10hipError_tT1_T2_T3_T4_jRjT5_jjP12ihipStream_tbEUlT_E_NS1_11comp_targetILNS1_3genE8ELNS1_11target_archE1030ELNS1_3gpuE2ELNS1_3repE0EEENS1_44radix_sort_block_sort_config_static_selectorELNS0_4arch9wavefront6targetE1EEEvSD_
		.amdhsa_group_segment_fixed_size 0
		.amdhsa_private_segment_fixed_size 0
		.amdhsa_kernarg_size 48
		.amdhsa_user_sgpr_count 6
		.amdhsa_user_sgpr_private_segment_buffer 1
		.amdhsa_user_sgpr_dispatch_ptr 0
		.amdhsa_user_sgpr_queue_ptr 0
		.amdhsa_user_sgpr_kernarg_segment_ptr 1
		.amdhsa_user_sgpr_dispatch_id 0
		.amdhsa_user_sgpr_flat_scratch_init 0
		.amdhsa_user_sgpr_kernarg_preload_length 0
		.amdhsa_user_sgpr_kernarg_preload_offset 0
		.amdhsa_user_sgpr_private_segment_size 0
		.amdhsa_uses_dynamic_stack 0
		.amdhsa_system_sgpr_private_segment_wavefront_offset 0
		.amdhsa_system_sgpr_workgroup_id_x 1
		.amdhsa_system_sgpr_workgroup_id_y 0
		.amdhsa_system_sgpr_workgroup_id_z 0
		.amdhsa_system_sgpr_workgroup_info 0
		.amdhsa_system_vgpr_workitem_id 0
		.amdhsa_next_free_vgpr 1
		.amdhsa_next_free_sgpr 0
		.amdhsa_accum_offset 4
		.amdhsa_reserve_vcc 0
		.amdhsa_reserve_flat_scratch 0
		.amdhsa_float_round_mode_32 0
		.amdhsa_float_round_mode_16_64 0
		.amdhsa_float_denorm_mode_32 3
		.amdhsa_float_denorm_mode_16_64 3
		.amdhsa_dx10_clamp 1
		.amdhsa_ieee_mode 1
		.amdhsa_fp16_overflow 0
		.amdhsa_tg_split 0
		.amdhsa_exception_fp_ieee_invalid_op 0
		.amdhsa_exception_fp_denorm_src 0
		.amdhsa_exception_fp_ieee_div_zero 0
		.amdhsa_exception_fp_ieee_overflow 0
		.amdhsa_exception_fp_ieee_underflow 0
		.amdhsa_exception_fp_ieee_inexact 0
		.amdhsa_exception_int_div_zero 0
	.end_amdhsa_kernel
	.section	.text._ZN7rocprim17ROCPRIM_400000_NS6detail17trampoline_kernelINS0_13kernel_configILj256ELj4ELj4294967295EEENS1_37radix_sort_block_sort_config_selectorIdNS0_10empty_typeEEEZNS1_21radix_sort_block_sortIS4_Lb0EPdS9_PS6_SA_NS0_19identity_decomposerEEE10hipError_tT1_T2_T3_T4_jRjT5_jjP12ihipStream_tbEUlT_E_NS1_11comp_targetILNS1_3genE8ELNS1_11target_archE1030ELNS1_3gpuE2ELNS1_3repE0EEENS1_44radix_sort_block_sort_config_static_selectorELNS0_4arch9wavefront6targetE1EEEvSD_,"axG",@progbits,_ZN7rocprim17ROCPRIM_400000_NS6detail17trampoline_kernelINS0_13kernel_configILj256ELj4ELj4294967295EEENS1_37radix_sort_block_sort_config_selectorIdNS0_10empty_typeEEEZNS1_21radix_sort_block_sortIS4_Lb0EPdS9_PS6_SA_NS0_19identity_decomposerEEE10hipError_tT1_T2_T3_T4_jRjT5_jjP12ihipStream_tbEUlT_E_NS1_11comp_targetILNS1_3genE8ELNS1_11target_archE1030ELNS1_3gpuE2ELNS1_3repE0EEENS1_44radix_sort_block_sort_config_static_selectorELNS0_4arch9wavefront6targetE1EEEvSD_,comdat
.Lfunc_end1312:
	.size	_ZN7rocprim17ROCPRIM_400000_NS6detail17trampoline_kernelINS0_13kernel_configILj256ELj4ELj4294967295EEENS1_37radix_sort_block_sort_config_selectorIdNS0_10empty_typeEEEZNS1_21radix_sort_block_sortIS4_Lb0EPdS9_PS6_SA_NS0_19identity_decomposerEEE10hipError_tT1_T2_T3_T4_jRjT5_jjP12ihipStream_tbEUlT_E_NS1_11comp_targetILNS1_3genE8ELNS1_11target_archE1030ELNS1_3gpuE2ELNS1_3repE0EEENS1_44radix_sort_block_sort_config_static_selectorELNS0_4arch9wavefront6targetE1EEEvSD_, .Lfunc_end1312-_ZN7rocprim17ROCPRIM_400000_NS6detail17trampoline_kernelINS0_13kernel_configILj256ELj4ELj4294967295EEENS1_37radix_sort_block_sort_config_selectorIdNS0_10empty_typeEEEZNS1_21radix_sort_block_sortIS4_Lb0EPdS9_PS6_SA_NS0_19identity_decomposerEEE10hipError_tT1_T2_T3_T4_jRjT5_jjP12ihipStream_tbEUlT_E_NS1_11comp_targetILNS1_3genE8ELNS1_11target_archE1030ELNS1_3gpuE2ELNS1_3repE0EEENS1_44radix_sort_block_sort_config_static_selectorELNS0_4arch9wavefront6targetE1EEEvSD_
                                        ; -- End function
	.section	.AMDGPU.csdata,"",@progbits
; Kernel info:
; codeLenInByte = 0
; NumSgprs: 4
; NumVgprs: 0
; NumAgprs: 0
; TotalNumVgprs: 0
; ScratchSize: 0
; MemoryBound: 0
; FloatMode: 240
; IeeeMode: 1
; LDSByteSize: 0 bytes/workgroup (compile time only)
; SGPRBlocks: 0
; VGPRBlocks: 0
; NumSGPRsForWavesPerEU: 4
; NumVGPRsForWavesPerEU: 1
; AccumOffset: 4
; Occupancy: 8
; WaveLimiterHint : 0
; COMPUTE_PGM_RSRC2:SCRATCH_EN: 0
; COMPUTE_PGM_RSRC2:USER_SGPR: 6
; COMPUTE_PGM_RSRC2:TRAP_HANDLER: 0
; COMPUTE_PGM_RSRC2:TGID_X_EN: 1
; COMPUTE_PGM_RSRC2:TGID_Y_EN: 0
; COMPUTE_PGM_RSRC2:TGID_Z_EN: 0
; COMPUTE_PGM_RSRC2:TIDIG_COMP_CNT: 0
; COMPUTE_PGM_RSRC3_GFX90A:ACCUM_OFFSET: 0
; COMPUTE_PGM_RSRC3_GFX90A:TG_SPLIT: 0
	.section	.text._ZN7rocprim17ROCPRIM_400000_NS6detail44device_merge_sort_compile_time_verifier_archINS1_11comp_targetILNS1_3genE0ELNS1_11target_archE4294967295ELNS1_3gpuE0ELNS1_3repE0EEES8_NS1_28merge_sort_block_sort_configILj256ELj4ELNS0_20block_sort_algorithmE0EEENS0_14default_configENS1_37merge_sort_block_sort_config_selectorIdNS0_10empty_typeEEENS1_38merge_sort_block_merge_config_selectorIdSE_EEEEvv,"axG",@progbits,_ZN7rocprim17ROCPRIM_400000_NS6detail44device_merge_sort_compile_time_verifier_archINS1_11comp_targetILNS1_3genE0ELNS1_11target_archE4294967295ELNS1_3gpuE0ELNS1_3repE0EEES8_NS1_28merge_sort_block_sort_configILj256ELj4ELNS0_20block_sort_algorithmE0EEENS0_14default_configENS1_37merge_sort_block_sort_config_selectorIdNS0_10empty_typeEEENS1_38merge_sort_block_merge_config_selectorIdSE_EEEEvv,comdat
	.protected	_ZN7rocprim17ROCPRIM_400000_NS6detail44device_merge_sort_compile_time_verifier_archINS1_11comp_targetILNS1_3genE0ELNS1_11target_archE4294967295ELNS1_3gpuE0ELNS1_3repE0EEES8_NS1_28merge_sort_block_sort_configILj256ELj4ELNS0_20block_sort_algorithmE0EEENS0_14default_configENS1_37merge_sort_block_sort_config_selectorIdNS0_10empty_typeEEENS1_38merge_sort_block_merge_config_selectorIdSE_EEEEvv ; -- Begin function _ZN7rocprim17ROCPRIM_400000_NS6detail44device_merge_sort_compile_time_verifier_archINS1_11comp_targetILNS1_3genE0ELNS1_11target_archE4294967295ELNS1_3gpuE0ELNS1_3repE0EEES8_NS1_28merge_sort_block_sort_configILj256ELj4ELNS0_20block_sort_algorithmE0EEENS0_14default_configENS1_37merge_sort_block_sort_config_selectorIdNS0_10empty_typeEEENS1_38merge_sort_block_merge_config_selectorIdSE_EEEEvv
	.globl	_ZN7rocprim17ROCPRIM_400000_NS6detail44device_merge_sort_compile_time_verifier_archINS1_11comp_targetILNS1_3genE0ELNS1_11target_archE4294967295ELNS1_3gpuE0ELNS1_3repE0EEES8_NS1_28merge_sort_block_sort_configILj256ELj4ELNS0_20block_sort_algorithmE0EEENS0_14default_configENS1_37merge_sort_block_sort_config_selectorIdNS0_10empty_typeEEENS1_38merge_sort_block_merge_config_selectorIdSE_EEEEvv
	.p2align	8
	.type	_ZN7rocprim17ROCPRIM_400000_NS6detail44device_merge_sort_compile_time_verifier_archINS1_11comp_targetILNS1_3genE0ELNS1_11target_archE4294967295ELNS1_3gpuE0ELNS1_3repE0EEES8_NS1_28merge_sort_block_sort_configILj256ELj4ELNS0_20block_sort_algorithmE0EEENS0_14default_configENS1_37merge_sort_block_sort_config_selectorIdNS0_10empty_typeEEENS1_38merge_sort_block_merge_config_selectorIdSE_EEEEvv,@function
_ZN7rocprim17ROCPRIM_400000_NS6detail44device_merge_sort_compile_time_verifier_archINS1_11comp_targetILNS1_3genE0ELNS1_11target_archE4294967295ELNS1_3gpuE0ELNS1_3repE0EEES8_NS1_28merge_sort_block_sort_configILj256ELj4ELNS0_20block_sort_algorithmE0EEENS0_14default_configENS1_37merge_sort_block_sort_config_selectorIdNS0_10empty_typeEEENS1_38merge_sort_block_merge_config_selectorIdSE_EEEEvv: ; @_ZN7rocprim17ROCPRIM_400000_NS6detail44device_merge_sort_compile_time_verifier_archINS1_11comp_targetILNS1_3genE0ELNS1_11target_archE4294967295ELNS1_3gpuE0ELNS1_3repE0EEES8_NS1_28merge_sort_block_sort_configILj256ELj4ELNS0_20block_sort_algorithmE0EEENS0_14default_configENS1_37merge_sort_block_sort_config_selectorIdNS0_10empty_typeEEENS1_38merge_sort_block_merge_config_selectorIdSE_EEEEvv
; %bb.0:
	s_endpgm
	.section	.rodata,"a",@progbits
	.p2align	6, 0x0
	.amdhsa_kernel _ZN7rocprim17ROCPRIM_400000_NS6detail44device_merge_sort_compile_time_verifier_archINS1_11comp_targetILNS1_3genE0ELNS1_11target_archE4294967295ELNS1_3gpuE0ELNS1_3repE0EEES8_NS1_28merge_sort_block_sort_configILj256ELj4ELNS0_20block_sort_algorithmE0EEENS0_14default_configENS1_37merge_sort_block_sort_config_selectorIdNS0_10empty_typeEEENS1_38merge_sort_block_merge_config_selectorIdSE_EEEEvv
		.amdhsa_group_segment_fixed_size 0
		.amdhsa_private_segment_fixed_size 0
		.amdhsa_kernarg_size 0
		.amdhsa_user_sgpr_count 4
		.amdhsa_user_sgpr_private_segment_buffer 1
		.amdhsa_user_sgpr_dispatch_ptr 0
		.amdhsa_user_sgpr_queue_ptr 0
		.amdhsa_user_sgpr_kernarg_segment_ptr 0
		.amdhsa_user_sgpr_dispatch_id 0
		.amdhsa_user_sgpr_flat_scratch_init 0
		.amdhsa_user_sgpr_kernarg_preload_length 0
		.amdhsa_user_sgpr_kernarg_preload_offset 0
		.amdhsa_user_sgpr_private_segment_size 0
		.amdhsa_uses_dynamic_stack 0
		.amdhsa_system_sgpr_private_segment_wavefront_offset 0
		.amdhsa_system_sgpr_workgroup_id_x 1
		.amdhsa_system_sgpr_workgroup_id_y 0
		.amdhsa_system_sgpr_workgroup_id_z 0
		.amdhsa_system_sgpr_workgroup_info 0
		.amdhsa_system_vgpr_workitem_id 0
		.amdhsa_next_free_vgpr 1
		.amdhsa_next_free_sgpr 0
		.amdhsa_accum_offset 4
		.amdhsa_reserve_vcc 0
		.amdhsa_reserve_flat_scratch 0
		.amdhsa_float_round_mode_32 0
		.amdhsa_float_round_mode_16_64 0
		.amdhsa_float_denorm_mode_32 3
		.amdhsa_float_denorm_mode_16_64 3
		.amdhsa_dx10_clamp 1
		.amdhsa_ieee_mode 1
		.amdhsa_fp16_overflow 0
		.amdhsa_tg_split 0
		.amdhsa_exception_fp_ieee_invalid_op 0
		.amdhsa_exception_fp_denorm_src 0
		.amdhsa_exception_fp_ieee_div_zero 0
		.amdhsa_exception_fp_ieee_overflow 0
		.amdhsa_exception_fp_ieee_underflow 0
		.amdhsa_exception_fp_ieee_inexact 0
		.amdhsa_exception_int_div_zero 0
	.end_amdhsa_kernel
	.section	.text._ZN7rocprim17ROCPRIM_400000_NS6detail44device_merge_sort_compile_time_verifier_archINS1_11comp_targetILNS1_3genE0ELNS1_11target_archE4294967295ELNS1_3gpuE0ELNS1_3repE0EEES8_NS1_28merge_sort_block_sort_configILj256ELj4ELNS0_20block_sort_algorithmE0EEENS0_14default_configENS1_37merge_sort_block_sort_config_selectorIdNS0_10empty_typeEEENS1_38merge_sort_block_merge_config_selectorIdSE_EEEEvv,"axG",@progbits,_ZN7rocprim17ROCPRIM_400000_NS6detail44device_merge_sort_compile_time_verifier_archINS1_11comp_targetILNS1_3genE0ELNS1_11target_archE4294967295ELNS1_3gpuE0ELNS1_3repE0EEES8_NS1_28merge_sort_block_sort_configILj256ELj4ELNS0_20block_sort_algorithmE0EEENS0_14default_configENS1_37merge_sort_block_sort_config_selectorIdNS0_10empty_typeEEENS1_38merge_sort_block_merge_config_selectorIdSE_EEEEvv,comdat
.Lfunc_end1313:
	.size	_ZN7rocprim17ROCPRIM_400000_NS6detail44device_merge_sort_compile_time_verifier_archINS1_11comp_targetILNS1_3genE0ELNS1_11target_archE4294967295ELNS1_3gpuE0ELNS1_3repE0EEES8_NS1_28merge_sort_block_sort_configILj256ELj4ELNS0_20block_sort_algorithmE0EEENS0_14default_configENS1_37merge_sort_block_sort_config_selectorIdNS0_10empty_typeEEENS1_38merge_sort_block_merge_config_selectorIdSE_EEEEvv, .Lfunc_end1313-_ZN7rocprim17ROCPRIM_400000_NS6detail44device_merge_sort_compile_time_verifier_archINS1_11comp_targetILNS1_3genE0ELNS1_11target_archE4294967295ELNS1_3gpuE0ELNS1_3repE0EEES8_NS1_28merge_sort_block_sort_configILj256ELj4ELNS0_20block_sort_algorithmE0EEENS0_14default_configENS1_37merge_sort_block_sort_config_selectorIdNS0_10empty_typeEEENS1_38merge_sort_block_merge_config_selectorIdSE_EEEEvv
                                        ; -- End function
	.section	.AMDGPU.csdata,"",@progbits
; Kernel info:
; codeLenInByte = 4
; NumSgprs: 4
; NumVgprs: 0
; NumAgprs: 0
; TotalNumVgprs: 0
; ScratchSize: 0
; MemoryBound: 0
; FloatMode: 240
; IeeeMode: 1
; LDSByteSize: 0 bytes/workgroup (compile time only)
; SGPRBlocks: 0
; VGPRBlocks: 0
; NumSGPRsForWavesPerEU: 4
; NumVGPRsForWavesPerEU: 1
; AccumOffset: 4
; Occupancy: 8
; WaveLimiterHint : 0
; COMPUTE_PGM_RSRC2:SCRATCH_EN: 0
; COMPUTE_PGM_RSRC2:USER_SGPR: 4
; COMPUTE_PGM_RSRC2:TRAP_HANDLER: 0
; COMPUTE_PGM_RSRC2:TGID_X_EN: 1
; COMPUTE_PGM_RSRC2:TGID_Y_EN: 0
; COMPUTE_PGM_RSRC2:TGID_Z_EN: 0
; COMPUTE_PGM_RSRC2:TIDIG_COMP_CNT: 0
; COMPUTE_PGM_RSRC3_GFX90A:ACCUM_OFFSET: 0
; COMPUTE_PGM_RSRC3_GFX90A:TG_SPLIT: 0
	.section	.text._ZN7rocprim17ROCPRIM_400000_NS6detail44device_merge_sort_compile_time_verifier_archINS1_11comp_targetILNS1_3genE5ELNS1_11target_archE942ELNS1_3gpuE9ELNS1_3repE0EEES8_NS1_28merge_sort_block_sort_configILj256ELj4ELNS0_20block_sort_algorithmE0EEENS0_14default_configENS1_37merge_sort_block_sort_config_selectorIdNS0_10empty_typeEEENS1_38merge_sort_block_merge_config_selectorIdSE_EEEEvv,"axG",@progbits,_ZN7rocprim17ROCPRIM_400000_NS6detail44device_merge_sort_compile_time_verifier_archINS1_11comp_targetILNS1_3genE5ELNS1_11target_archE942ELNS1_3gpuE9ELNS1_3repE0EEES8_NS1_28merge_sort_block_sort_configILj256ELj4ELNS0_20block_sort_algorithmE0EEENS0_14default_configENS1_37merge_sort_block_sort_config_selectorIdNS0_10empty_typeEEENS1_38merge_sort_block_merge_config_selectorIdSE_EEEEvv,comdat
	.protected	_ZN7rocprim17ROCPRIM_400000_NS6detail44device_merge_sort_compile_time_verifier_archINS1_11comp_targetILNS1_3genE5ELNS1_11target_archE942ELNS1_3gpuE9ELNS1_3repE0EEES8_NS1_28merge_sort_block_sort_configILj256ELj4ELNS0_20block_sort_algorithmE0EEENS0_14default_configENS1_37merge_sort_block_sort_config_selectorIdNS0_10empty_typeEEENS1_38merge_sort_block_merge_config_selectorIdSE_EEEEvv ; -- Begin function _ZN7rocprim17ROCPRIM_400000_NS6detail44device_merge_sort_compile_time_verifier_archINS1_11comp_targetILNS1_3genE5ELNS1_11target_archE942ELNS1_3gpuE9ELNS1_3repE0EEES8_NS1_28merge_sort_block_sort_configILj256ELj4ELNS0_20block_sort_algorithmE0EEENS0_14default_configENS1_37merge_sort_block_sort_config_selectorIdNS0_10empty_typeEEENS1_38merge_sort_block_merge_config_selectorIdSE_EEEEvv
	.globl	_ZN7rocprim17ROCPRIM_400000_NS6detail44device_merge_sort_compile_time_verifier_archINS1_11comp_targetILNS1_3genE5ELNS1_11target_archE942ELNS1_3gpuE9ELNS1_3repE0EEES8_NS1_28merge_sort_block_sort_configILj256ELj4ELNS0_20block_sort_algorithmE0EEENS0_14default_configENS1_37merge_sort_block_sort_config_selectorIdNS0_10empty_typeEEENS1_38merge_sort_block_merge_config_selectorIdSE_EEEEvv
	.p2align	8
	.type	_ZN7rocprim17ROCPRIM_400000_NS6detail44device_merge_sort_compile_time_verifier_archINS1_11comp_targetILNS1_3genE5ELNS1_11target_archE942ELNS1_3gpuE9ELNS1_3repE0EEES8_NS1_28merge_sort_block_sort_configILj256ELj4ELNS0_20block_sort_algorithmE0EEENS0_14default_configENS1_37merge_sort_block_sort_config_selectorIdNS0_10empty_typeEEENS1_38merge_sort_block_merge_config_selectorIdSE_EEEEvv,@function
_ZN7rocprim17ROCPRIM_400000_NS6detail44device_merge_sort_compile_time_verifier_archINS1_11comp_targetILNS1_3genE5ELNS1_11target_archE942ELNS1_3gpuE9ELNS1_3repE0EEES8_NS1_28merge_sort_block_sort_configILj256ELj4ELNS0_20block_sort_algorithmE0EEENS0_14default_configENS1_37merge_sort_block_sort_config_selectorIdNS0_10empty_typeEEENS1_38merge_sort_block_merge_config_selectorIdSE_EEEEvv: ; @_ZN7rocprim17ROCPRIM_400000_NS6detail44device_merge_sort_compile_time_verifier_archINS1_11comp_targetILNS1_3genE5ELNS1_11target_archE942ELNS1_3gpuE9ELNS1_3repE0EEES8_NS1_28merge_sort_block_sort_configILj256ELj4ELNS0_20block_sort_algorithmE0EEENS0_14default_configENS1_37merge_sort_block_sort_config_selectorIdNS0_10empty_typeEEENS1_38merge_sort_block_merge_config_selectorIdSE_EEEEvv
; %bb.0:
	s_endpgm
	.section	.rodata,"a",@progbits
	.p2align	6, 0x0
	.amdhsa_kernel _ZN7rocprim17ROCPRIM_400000_NS6detail44device_merge_sort_compile_time_verifier_archINS1_11comp_targetILNS1_3genE5ELNS1_11target_archE942ELNS1_3gpuE9ELNS1_3repE0EEES8_NS1_28merge_sort_block_sort_configILj256ELj4ELNS0_20block_sort_algorithmE0EEENS0_14default_configENS1_37merge_sort_block_sort_config_selectorIdNS0_10empty_typeEEENS1_38merge_sort_block_merge_config_selectorIdSE_EEEEvv
		.amdhsa_group_segment_fixed_size 0
		.amdhsa_private_segment_fixed_size 0
		.amdhsa_kernarg_size 0
		.amdhsa_user_sgpr_count 4
		.amdhsa_user_sgpr_private_segment_buffer 1
		.amdhsa_user_sgpr_dispatch_ptr 0
		.amdhsa_user_sgpr_queue_ptr 0
		.amdhsa_user_sgpr_kernarg_segment_ptr 0
		.amdhsa_user_sgpr_dispatch_id 0
		.amdhsa_user_sgpr_flat_scratch_init 0
		.amdhsa_user_sgpr_kernarg_preload_length 0
		.amdhsa_user_sgpr_kernarg_preload_offset 0
		.amdhsa_user_sgpr_private_segment_size 0
		.amdhsa_uses_dynamic_stack 0
		.amdhsa_system_sgpr_private_segment_wavefront_offset 0
		.amdhsa_system_sgpr_workgroup_id_x 1
		.amdhsa_system_sgpr_workgroup_id_y 0
		.amdhsa_system_sgpr_workgroup_id_z 0
		.amdhsa_system_sgpr_workgroup_info 0
		.amdhsa_system_vgpr_workitem_id 0
		.amdhsa_next_free_vgpr 1
		.amdhsa_next_free_sgpr 0
		.amdhsa_accum_offset 4
		.amdhsa_reserve_vcc 0
		.amdhsa_reserve_flat_scratch 0
		.amdhsa_float_round_mode_32 0
		.amdhsa_float_round_mode_16_64 0
		.amdhsa_float_denorm_mode_32 3
		.amdhsa_float_denorm_mode_16_64 3
		.amdhsa_dx10_clamp 1
		.amdhsa_ieee_mode 1
		.amdhsa_fp16_overflow 0
		.amdhsa_tg_split 0
		.amdhsa_exception_fp_ieee_invalid_op 0
		.amdhsa_exception_fp_denorm_src 0
		.amdhsa_exception_fp_ieee_div_zero 0
		.amdhsa_exception_fp_ieee_overflow 0
		.amdhsa_exception_fp_ieee_underflow 0
		.amdhsa_exception_fp_ieee_inexact 0
		.amdhsa_exception_int_div_zero 0
	.end_amdhsa_kernel
	.section	.text._ZN7rocprim17ROCPRIM_400000_NS6detail44device_merge_sort_compile_time_verifier_archINS1_11comp_targetILNS1_3genE5ELNS1_11target_archE942ELNS1_3gpuE9ELNS1_3repE0EEES8_NS1_28merge_sort_block_sort_configILj256ELj4ELNS0_20block_sort_algorithmE0EEENS0_14default_configENS1_37merge_sort_block_sort_config_selectorIdNS0_10empty_typeEEENS1_38merge_sort_block_merge_config_selectorIdSE_EEEEvv,"axG",@progbits,_ZN7rocprim17ROCPRIM_400000_NS6detail44device_merge_sort_compile_time_verifier_archINS1_11comp_targetILNS1_3genE5ELNS1_11target_archE942ELNS1_3gpuE9ELNS1_3repE0EEES8_NS1_28merge_sort_block_sort_configILj256ELj4ELNS0_20block_sort_algorithmE0EEENS0_14default_configENS1_37merge_sort_block_sort_config_selectorIdNS0_10empty_typeEEENS1_38merge_sort_block_merge_config_selectorIdSE_EEEEvv,comdat
.Lfunc_end1314:
	.size	_ZN7rocprim17ROCPRIM_400000_NS6detail44device_merge_sort_compile_time_verifier_archINS1_11comp_targetILNS1_3genE5ELNS1_11target_archE942ELNS1_3gpuE9ELNS1_3repE0EEES8_NS1_28merge_sort_block_sort_configILj256ELj4ELNS0_20block_sort_algorithmE0EEENS0_14default_configENS1_37merge_sort_block_sort_config_selectorIdNS0_10empty_typeEEENS1_38merge_sort_block_merge_config_selectorIdSE_EEEEvv, .Lfunc_end1314-_ZN7rocprim17ROCPRIM_400000_NS6detail44device_merge_sort_compile_time_verifier_archINS1_11comp_targetILNS1_3genE5ELNS1_11target_archE942ELNS1_3gpuE9ELNS1_3repE0EEES8_NS1_28merge_sort_block_sort_configILj256ELj4ELNS0_20block_sort_algorithmE0EEENS0_14default_configENS1_37merge_sort_block_sort_config_selectorIdNS0_10empty_typeEEENS1_38merge_sort_block_merge_config_selectorIdSE_EEEEvv
                                        ; -- End function
	.section	.AMDGPU.csdata,"",@progbits
; Kernel info:
; codeLenInByte = 4
; NumSgprs: 4
; NumVgprs: 0
; NumAgprs: 0
; TotalNumVgprs: 0
; ScratchSize: 0
; MemoryBound: 0
; FloatMode: 240
; IeeeMode: 1
; LDSByteSize: 0 bytes/workgroup (compile time only)
; SGPRBlocks: 0
; VGPRBlocks: 0
; NumSGPRsForWavesPerEU: 4
; NumVGPRsForWavesPerEU: 1
; AccumOffset: 4
; Occupancy: 8
; WaveLimiterHint : 0
; COMPUTE_PGM_RSRC2:SCRATCH_EN: 0
; COMPUTE_PGM_RSRC2:USER_SGPR: 4
; COMPUTE_PGM_RSRC2:TRAP_HANDLER: 0
; COMPUTE_PGM_RSRC2:TGID_X_EN: 1
; COMPUTE_PGM_RSRC2:TGID_Y_EN: 0
; COMPUTE_PGM_RSRC2:TGID_Z_EN: 0
; COMPUTE_PGM_RSRC2:TIDIG_COMP_CNT: 0
; COMPUTE_PGM_RSRC3_GFX90A:ACCUM_OFFSET: 0
; COMPUTE_PGM_RSRC3_GFX90A:TG_SPLIT: 0
	.section	.text._ZN7rocprim17ROCPRIM_400000_NS6detail44device_merge_sort_compile_time_verifier_archINS1_11comp_targetILNS1_3genE4ELNS1_11target_archE910ELNS1_3gpuE8ELNS1_3repE0EEES8_NS1_28merge_sort_block_sort_configILj256ELj4ELNS0_20block_sort_algorithmE0EEENS0_14default_configENS1_37merge_sort_block_sort_config_selectorIdNS0_10empty_typeEEENS1_38merge_sort_block_merge_config_selectorIdSE_EEEEvv,"axG",@progbits,_ZN7rocprim17ROCPRIM_400000_NS6detail44device_merge_sort_compile_time_verifier_archINS1_11comp_targetILNS1_3genE4ELNS1_11target_archE910ELNS1_3gpuE8ELNS1_3repE0EEES8_NS1_28merge_sort_block_sort_configILj256ELj4ELNS0_20block_sort_algorithmE0EEENS0_14default_configENS1_37merge_sort_block_sort_config_selectorIdNS0_10empty_typeEEENS1_38merge_sort_block_merge_config_selectorIdSE_EEEEvv,comdat
	.protected	_ZN7rocprim17ROCPRIM_400000_NS6detail44device_merge_sort_compile_time_verifier_archINS1_11comp_targetILNS1_3genE4ELNS1_11target_archE910ELNS1_3gpuE8ELNS1_3repE0EEES8_NS1_28merge_sort_block_sort_configILj256ELj4ELNS0_20block_sort_algorithmE0EEENS0_14default_configENS1_37merge_sort_block_sort_config_selectorIdNS0_10empty_typeEEENS1_38merge_sort_block_merge_config_selectorIdSE_EEEEvv ; -- Begin function _ZN7rocprim17ROCPRIM_400000_NS6detail44device_merge_sort_compile_time_verifier_archINS1_11comp_targetILNS1_3genE4ELNS1_11target_archE910ELNS1_3gpuE8ELNS1_3repE0EEES8_NS1_28merge_sort_block_sort_configILj256ELj4ELNS0_20block_sort_algorithmE0EEENS0_14default_configENS1_37merge_sort_block_sort_config_selectorIdNS0_10empty_typeEEENS1_38merge_sort_block_merge_config_selectorIdSE_EEEEvv
	.globl	_ZN7rocprim17ROCPRIM_400000_NS6detail44device_merge_sort_compile_time_verifier_archINS1_11comp_targetILNS1_3genE4ELNS1_11target_archE910ELNS1_3gpuE8ELNS1_3repE0EEES8_NS1_28merge_sort_block_sort_configILj256ELj4ELNS0_20block_sort_algorithmE0EEENS0_14default_configENS1_37merge_sort_block_sort_config_selectorIdNS0_10empty_typeEEENS1_38merge_sort_block_merge_config_selectorIdSE_EEEEvv
	.p2align	8
	.type	_ZN7rocprim17ROCPRIM_400000_NS6detail44device_merge_sort_compile_time_verifier_archINS1_11comp_targetILNS1_3genE4ELNS1_11target_archE910ELNS1_3gpuE8ELNS1_3repE0EEES8_NS1_28merge_sort_block_sort_configILj256ELj4ELNS0_20block_sort_algorithmE0EEENS0_14default_configENS1_37merge_sort_block_sort_config_selectorIdNS0_10empty_typeEEENS1_38merge_sort_block_merge_config_selectorIdSE_EEEEvv,@function
_ZN7rocprim17ROCPRIM_400000_NS6detail44device_merge_sort_compile_time_verifier_archINS1_11comp_targetILNS1_3genE4ELNS1_11target_archE910ELNS1_3gpuE8ELNS1_3repE0EEES8_NS1_28merge_sort_block_sort_configILj256ELj4ELNS0_20block_sort_algorithmE0EEENS0_14default_configENS1_37merge_sort_block_sort_config_selectorIdNS0_10empty_typeEEENS1_38merge_sort_block_merge_config_selectorIdSE_EEEEvv: ; @_ZN7rocprim17ROCPRIM_400000_NS6detail44device_merge_sort_compile_time_verifier_archINS1_11comp_targetILNS1_3genE4ELNS1_11target_archE910ELNS1_3gpuE8ELNS1_3repE0EEES8_NS1_28merge_sort_block_sort_configILj256ELj4ELNS0_20block_sort_algorithmE0EEENS0_14default_configENS1_37merge_sort_block_sort_config_selectorIdNS0_10empty_typeEEENS1_38merge_sort_block_merge_config_selectorIdSE_EEEEvv
; %bb.0:
	s_endpgm
	.section	.rodata,"a",@progbits
	.p2align	6, 0x0
	.amdhsa_kernel _ZN7rocprim17ROCPRIM_400000_NS6detail44device_merge_sort_compile_time_verifier_archINS1_11comp_targetILNS1_3genE4ELNS1_11target_archE910ELNS1_3gpuE8ELNS1_3repE0EEES8_NS1_28merge_sort_block_sort_configILj256ELj4ELNS0_20block_sort_algorithmE0EEENS0_14default_configENS1_37merge_sort_block_sort_config_selectorIdNS0_10empty_typeEEENS1_38merge_sort_block_merge_config_selectorIdSE_EEEEvv
		.amdhsa_group_segment_fixed_size 0
		.amdhsa_private_segment_fixed_size 0
		.amdhsa_kernarg_size 0
		.amdhsa_user_sgpr_count 4
		.amdhsa_user_sgpr_private_segment_buffer 1
		.amdhsa_user_sgpr_dispatch_ptr 0
		.amdhsa_user_sgpr_queue_ptr 0
		.amdhsa_user_sgpr_kernarg_segment_ptr 0
		.amdhsa_user_sgpr_dispatch_id 0
		.amdhsa_user_sgpr_flat_scratch_init 0
		.amdhsa_user_sgpr_kernarg_preload_length 0
		.amdhsa_user_sgpr_kernarg_preload_offset 0
		.amdhsa_user_sgpr_private_segment_size 0
		.amdhsa_uses_dynamic_stack 0
		.amdhsa_system_sgpr_private_segment_wavefront_offset 0
		.amdhsa_system_sgpr_workgroup_id_x 1
		.amdhsa_system_sgpr_workgroup_id_y 0
		.amdhsa_system_sgpr_workgroup_id_z 0
		.amdhsa_system_sgpr_workgroup_info 0
		.amdhsa_system_vgpr_workitem_id 0
		.amdhsa_next_free_vgpr 1
		.amdhsa_next_free_sgpr 0
		.amdhsa_accum_offset 4
		.amdhsa_reserve_vcc 0
		.amdhsa_reserve_flat_scratch 0
		.amdhsa_float_round_mode_32 0
		.amdhsa_float_round_mode_16_64 0
		.amdhsa_float_denorm_mode_32 3
		.amdhsa_float_denorm_mode_16_64 3
		.amdhsa_dx10_clamp 1
		.amdhsa_ieee_mode 1
		.amdhsa_fp16_overflow 0
		.amdhsa_tg_split 0
		.amdhsa_exception_fp_ieee_invalid_op 0
		.amdhsa_exception_fp_denorm_src 0
		.amdhsa_exception_fp_ieee_div_zero 0
		.amdhsa_exception_fp_ieee_overflow 0
		.amdhsa_exception_fp_ieee_underflow 0
		.amdhsa_exception_fp_ieee_inexact 0
		.amdhsa_exception_int_div_zero 0
	.end_amdhsa_kernel
	.section	.text._ZN7rocprim17ROCPRIM_400000_NS6detail44device_merge_sort_compile_time_verifier_archINS1_11comp_targetILNS1_3genE4ELNS1_11target_archE910ELNS1_3gpuE8ELNS1_3repE0EEES8_NS1_28merge_sort_block_sort_configILj256ELj4ELNS0_20block_sort_algorithmE0EEENS0_14default_configENS1_37merge_sort_block_sort_config_selectorIdNS0_10empty_typeEEENS1_38merge_sort_block_merge_config_selectorIdSE_EEEEvv,"axG",@progbits,_ZN7rocprim17ROCPRIM_400000_NS6detail44device_merge_sort_compile_time_verifier_archINS1_11comp_targetILNS1_3genE4ELNS1_11target_archE910ELNS1_3gpuE8ELNS1_3repE0EEES8_NS1_28merge_sort_block_sort_configILj256ELj4ELNS0_20block_sort_algorithmE0EEENS0_14default_configENS1_37merge_sort_block_sort_config_selectorIdNS0_10empty_typeEEENS1_38merge_sort_block_merge_config_selectorIdSE_EEEEvv,comdat
.Lfunc_end1315:
	.size	_ZN7rocprim17ROCPRIM_400000_NS6detail44device_merge_sort_compile_time_verifier_archINS1_11comp_targetILNS1_3genE4ELNS1_11target_archE910ELNS1_3gpuE8ELNS1_3repE0EEES8_NS1_28merge_sort_block_sort_configILj256ELj4ELNS0_20block_sort_algorithmE0EEENS0_14default_configENS1_37merge_sort_block_sort_config_selectorIdNS0_10empty_typeEEENS1_38merge_sort_block_merge_config_selectorIdSE_EEEEvv, .Lfunc_end1315-_ZN7rocprim17ROCPRIM_400000_NS6detail44device_merge_sort_compile_time_verifier_archINS1_11comp_targetILNS1_3genE4ELNS1_11target_archE910ELNS1_3gpuE8ELNS1_3repE0EEES8_NS1_28merge_sort_block_sort_configILj256ELj4ELNS0_20block_sort_algorithmE0EEENS0_14default_configENS1_37merge_sort_block_sort_config_selectorIdNS0_10empty_typeEEENS1_38merge_sort_block_merge_config_selectorIdSE_EEEEvv
                                        ; -- End function
	.section	.AMDGPU.csdata,"",@progbits
; Kernel info:
; codeLenInByte = 4
; NumSgprs: 4
; NumVgprs: 0
; NumAgprs: 0
; TotalNumVgprs: 0
; ScratchSize: 0
; MemoryBound: 0
; FloatMode: 240
; IeeeMode: 1
; LDSByteSize: 0 bytes/workgroup (compile time only)
; SGPRBlocks: 0
; VGPRBlocks: 0
; NumSGPRsForWavesPerEU: 4
; NumVGPRsForWavesPerEU: 1
; AccumOffset: 4
; Occupancy: 8
; WaveLimiterHint : 0
; COMPUTE_PGM_RSRC2:SCRATCH_EN: 0
; COMPUTE_PGM_RSRC2:USER_SGPR: 4
; COMPUTE_PGM_RSRC2:TRAP_HANDLER: 0
; COMPUTE_PGM_RSRC2:TGID_X_EN: 1
; COMPUTE_PGM_RSRC2:TGID_Y_EN: 0
; COMPUTE_PGM_RSRC2:TGID_Z_EN: 0
; COMPUTE_PGM_RSRC2:TIDIG_COMP_CNT: 0
; COMPUTE_PGM_RSRC3_GFX90A:ACCUM_OFFSET: 0
; COMPUTE_PGM_RSRC3_GFX90A:TG_SPLIT: 0
	.section	.text._ZN7rocprim17ROCPRIM_400000_NS6detail44device_merge_sort_compile_time_verifier_archINS1_11comp_targetILNS1_3genE3ELNS1_11target_archE908ELNS1_3gpuE7ELNS1_3repE0EEES8_NS1_28merge_sort_block_sort_configILj256ELj4ELNS0_20block_sort_algorithmE0EEENS0_14default_configENS1_37merge_sort_block_sort_config_selectorIdNS0_10empty_typeEEENS1_38merge_sort_block_merge_config_selectorIdSE_EEEEvv,"axG",@progbits,_ZN7rocprim17ROCPRIM_400000_NS6detail44device_merge_sort_compile_time_verifier_archINS1_11comp_targetILNS1_3genE3ELNS1_11target_archE908ELNS1_3gpuE7ELNS1_3repE0EEES8_NS1_28merge_sort_block_sort_configILj256ELj4ELNS0_20block_sort_algorithmE0EEENS0_14default_configENS1_37merge_sort_block_sort_config_selectorIdNS0_10empty_typeEEENS1_38merge_sort_block_merge_config_selectorIdSE_EEEEvv,comdat
	.protected	_ZN7rocprim17ROCPRIM_400000_NS6detail44device_merge_sort_compile_time_verifier_archINS1_11comp_targetILNS1_3genE3ELNS1_11target_archE908ELNS1_3gpuE7ELNS1_3repE0EEES8_NS1_28merge_sort_block_sort_configILj256ELj4ELNS0_20block_sort_algorithmE0EEENS0_14default_configENS1_37merge_sort_block_sort_config_selectorIdNS0_10empty_typeEEENS1_38merge_sort_block_merge_config_selectorIdSE_EEEEvv ; -- Begin function _ZN7rocprim17ROCPRIM_400000_NS6detail44device_merge_sort_compile_time_verifier_archINS1_11comp_targetILNS1_3genE3ELNS1_11target_archE908ELNS1_3gpuE7ELNS1_3repE0EEES8_NS1_28merge_sort_block_sort_configILj256ELj4ELNS0_20block_sort_algorithmE0EEENS0_14default_configENS1_37merge_sort_block_sort_config_selectorIdNS0_10empty_typeEEENS1_38merge_sort_block_merge_config_selectorIdSE_EEEEvv
	.globl	_ZN7rocprim17ROCPRIM_400000_NS6detail44device_merge_sort_compile_time_verifier_archINS1_11comp_targetILNS1_3genE3ELNS1_11target_archE908ELNS1_3gpuE7ELNS1_3repE0EEES8_NS1_28merge_sort_block_sort_configILj256ELj4ELNS0_20block_sort_algorithmE0EEENS0_14default_configENS1_37merge_sort_block_sort_config_selectorIdNS0_10empty_typeEEENS1_38merge_sort_block_merge_config_selectorIdSE_EEEEvv
	.p2align	8
	.type	_ZN7rocprim17ROCPRIM_400000_NS6detail44device_merge_sort_compile_time_verifier_archINS1_11comp_targetILNS1_3genE3ELNS1_11target_archE908ELNS1_3gpuE7ELNS1_3repE0EEES8_NS1_28merge_sort_block_sort_configILj256ELj4ELNS0_20block_sort_algorithmE0EEENS0_14default_configENS1_37merge_sort_block_sort_config_selectorIdNS0_10empty_typeEEENS1_38merge_sort_block_merge_config_selectorIdSE_EEEEvv,@function
_ZN7rocprim17ROCPRIM_400000_NS6detail44device_merge_sort_compile_time_verifier_archINS1_11comp_targetILNS1_3genE3ELNS1_11target_archE908ELNS1_3gpuE7ELNS1_3repE0EEES8_NS1_28merge_sort_block_sort_configILj256ELj4ELNS0_20block_sort_algorithmE0EEENS0_14default_configENS1_37merge_sort_block_sort_config_selectorIdNS0_10empty_typeEEENS1_38merge_sort_block_merge_config_selectorIdSE_EEEEvv: ; @_ZN7rocprim17ROCPRIM_400000_NS6detail44device_merge_sort_compile_time_verifier_archINS1_11comp_targetILNS1_3genE3ELNS1_11target_archE908ELNS1_3gpuE7ELNS1_3repE0EEES8_NS1_28merge_sort_block_sort_configILj256ELj4ELNS0_20block_sort_algorithmE0EEENS0_14default_configENS1_37merge_sort_block_sort_config_selectorIdNS0_10empty_typeEEENS1_38merge_sort_block_merge_config_selectorIdSE_EEEEvv
; %bb.0:
	s_endpgm
	.section	.rodata,"a",@progbits
	.p2align	6, 0x0
	.amdhsa_kernel _ZN7rocprim17ROCPRIM_400000_NS6detail44device_merge_sort_compile_time_verifier_archINS1_11comp_targetILNS1_3genE3ELNS1_11target_archE908ELNS1_3gpuE7ELNS1_3repE0EEES8_NS1_28merge_sort_block_sort_configILj256ELj4ELNS0_20block_sort_algorithmE0EEENS0_14default_configENS1_37merge_sort_block_sort_config_selectorIdNS0_10empty_typeEEENS1_38merge_sort_block_merge_config_selectorIdSE_EEEEvv
		.amdhsa_group_segment_fixed_size 0
		.amdhsa_private_segment_fixed_size 0
		.amdhsa_kernarg_size 0
		.amdhsa_user_sgpr_count 4
		.amdhsa_user_sgpr_private_segment_buffer 1
		.amdhsa_user_sgpr_dispatch_ptr 0
		.amdhsa_user_sgpr_queue_ptr 0
		.amdhsa_user_sgpr_kernarg_segment_ptr 0
		.amdhsa_user_sgpr_dispatch_id 0
		.amdhsa_user_sgpr_flat_scratch_init 0
		.amdhsa_user_sgpr_kernarg_preload_length 0
		.amdhsa_user_sgpr_kernarg_preload_offset 0
		.amdhsa_user_sgpr_private_segment_size 0
		.amdhsa_uses_dynamic_stack 0
		.amdhsa_system_sgpr_private_segment_wavefront_offset 0
		.amdhsa_system_sgpr_workgroup_id_x 1
		.amdhsa_system_sgpr_workgroup_id_y 0
		.amdhsa_system_sgpr_workgroup_id_z 0
		.amdhsa_system_sgpr_workgroup_info 0
		.amdhsa_system_vgpr_workitem_id 0
		.amdhsa_next_free_vgpr 1
		.amdhsa_next_free_sgpr 0
		.amdhsa_accum_offset 4
		.amdhsa_reserve_vcc 0
		.amdhsa_reserve_flat_scratch 0
		.amdhsa_float_round_mode_32 0
		.amdhsa_float_round_mode_16_64 0
		.amdhsa_float_denorm_mode_32 3
		.amdhsa_float_denorm_mode_16_64 3
		.amdhsa_dx10_clamp 1
		.amdhsa_ieee_mode 1
		.amdhsa_fp16_overflow 0
		.amdhsa_tg_split 0
		.amdhsa_exception_fp_ieee_invalid_op 0
		.amdhsa_exception_fp_denorm_src 0
		.amdhsa_exception_fp_ieee_div_zero 0
		.amdhsa_exception_fp_ieee_overflow 0
		.amdhsa_exception_fp_ieee_underflow 0
		.amdhsa_exception_fp_ieee_inexact 0
		.amdhsa_exception_int_div_zero 0
	.end_amdhsa_kernel
	.section	.text._ZN7rocprim17ROCPRIM_400000_NS6detail44device_merge_sort_compile_time_verifier_archINS1_11comp_targetILNS1_3genE3ELNS1_11target_archE908ELNS1_3gpuE7ELNS1_3repE0EEES8_NS1_28merge_sort_block_sort_configILj256ELj4ELNS0_20block_sort_algorithmE0EEENS0_14default_configENS1_37merge_sort_block_sort_config_selectorIdNS0_10empty_typeEEENS1_38merge_sort_block_merge_config_selectorIdSE_EEEEvv,"axG",@progbits,_ZN7rocprim17ROCPRIM_400000_NS6detail44device_merge_sort_compile_time_verifier_archINS1_11comp_targetILNS1_3genE3ELNS1_11target_archE908ELNS1_3gpuE7ELNS1_3repE0EEES8_NS1_28merge_sort_block_sort_configILj256ELj4ELNS0_20block_sort_algorithmE0EEENS0_14default_configENS1_37merge_sort_block_sort_config_selectorIdNS0_10empty_typeEEENS1_38merge_sort_block_merge_config_selectorIdSE_EEEEvv,comdat
.Lfunc_end1316:
	.size	_ZN7rocprim17ROCPRIM_400000_NS6detail44device_merge_sort_compile_time_verifier_archINS1_11comp_targetILNS1_3genE3ELNS1_11target_archE908ELNS1_3gpuE7ELNS1_3repE0EEES8_NS1_28merge_sort_block_sort_configILj256ELj4ELNS0_20block_sort_algorithmE0EEENS0_14default_configENS1_37merge_sort_block_sort_config_selectorIdNS0_10empty_typeEEENS1_38merge_sort_block_merge_config_selectorIdSE_EEEEvv, .Lfunc_end1316-_ZN7rocprim17ROCPRIM_400000_NS6detail44device_merge_sort_compile_time_verifier_archINS1_11comp_targetILNS1_3genE3ELNS1_11target_archE908ELNS1_3gpuE7ELNS1_3repE0EEES8_NS1_28merge_sort_block_sort_configILj256ELj4ELNS0_20block_sort_algorithmE0EEENS0_14default_configENS1_37merge_sort_block_sort_config_selectorIdNS0_10empty_typeEEENS1_38merge_sort_block_merge_config_selectorIdSE_EEEEvv
                                        ; -- End function
	.section	.AMDGPU.csdata,"",@progbits
; Kernel info:
; codeLenInByte = 4
; NumSgprs: 4
; NumVgprs: 0
; NumAgprs: 0
; TotalNumVgprs: 0
; ScratchSize: 0
; MemoryBound: 0
; FloatMode: 240
; IeeeMode: 1
; LDSByteSize: 0 bytes/workgroup (compile time only)
; SGPRBlocks: 0
; VGPRBlocks: 0
; NumSGPRsForWavesPerEU: 4
; NumVGPRsForWavesPerEU: 1
; AccumOffset: 4
; Occupancy: 8
; WaveLimiterHint : 0
; COMPUTE_PGM_RSRC2:SCRATCH_EN: 0
; COMPUTE_PGM_RSRC2:USER_SGPR: 4
; COMPUTE_PGM_RSRC2:TRAP_HANDLER: 0
; COMPUTE_PGM_RSRC2:TGID_X_EN: 1
; COMPUTE_PGM_RSRC2:TGID_Y_EN: 0
; COMPUTE_PGM_RSRC2:TGID_Z_EN: 0
; COMPUTE_PGM_RSRC2:TIDIG_COMP_CNT: 0
; COMPUTE_PGM_RSRC3_GFX90A:ACCUM_OFFSET: 0
; COMPUTE_PGM_RSRC3_GFX90A:TG_SPLIT: 0
	.section	.text._ZN7rocprim17ROCPRIM_400000_NS6detail44device_merge_sort_compile_time_verifier_archINS1_11comp_targetILNS1_3genE2ELNS1_11target_archE906ELNS1_3gpuE6ELNS1_3repE0EEES8_NS1_28merge_sort_block_sort_configILj256ELj4ELNS0_20block_sort_algorithmE0EEENS0_14default_configENS1_37merge_sort_block_sort_config_selectorIdNS0_10empty_typeEEENS1_38merge_sort_block_merge_config_selectorIdSE_EEEEvv,"axG",@progbits,_ZN7rocprim17ROCPRIM_400000_NS6detail44device_merge_sort_compile_time_verifier_archINS1_11comp_targetILNS1_3genE2ELNS1_11target_archE906ELNS1_3gpuE6ELNS1_3repE0EEES8_NS1_28merge_sort_block_sort_configILj256ELj4ELNS0_20block_sort_algorithmE0EEENS0_14default_configENS1_37merge_sort_block_sort_config_selectorIdNS0_10empty_typeEEENS1_38merge_sort_block_merge_config_selectorIdSE_EEEEvv,comdat
	.protected	_ZN7rocprim17ROCPRIM_400000_NS6detail44device_merge_sort_compile_time_verifier_archINS1_11comp_targetILNS1_3genE2ELNS1_11target_archE906ELNS1_3gpuE6ELNS1_3repE0EEES8_NS1_28merge_sort_block_sort_configILj256ELj4ELNS0_20block_sort_algorithmE0EEENS0_14default_configENS1_37merge_sort_block_sort_config_selectorIdNS0_10empty_typeEEENS1_38merge_sort_block_merge_config_selectorIdSE_EEEEvv ; -- Begin function _ZN7rocprim17ROCPRIM_400000_NS6detail44device_merge_sort_compile_time_verifier_archINS1_11comp_targetILNS1_3genE2ELNS1_11target_archE906ELNS1_3gpuE6ELNS1_3repE0EEES8_NS1_28merge_sort_block_sort_configILj256ELj4ELNS0_20block_sort_algorithmE0EEENS0_14default_configENS1_37merge_sort_block_sort_config_selectorIdNS0_10empty_typeEEENS1_38merge_sort_block_merge_config_selectorIdSE_EEEEvv
	.globl	_ZN7rocprim17ROCPRIM_400000_NS6detail44device_merge_sort_compile_time_verifier_archINS1_11comp_targetILNS1_3genE2ELNS1_11target_archE906ELNS1_3gpuE6ELNS1_3repE0EEES8_NS1_28merge_sort_block_sort_configILj256ELj4ELNS0_20block_sort_algorithmE0EEENS0_14default_configENS1_37merge_sort_block_sort_config_selectorIdNS0_10empty_typeEEENS1_38merge_sort_block_merge_config_selectorIdSE_EEEEvv
	.p2align	8
	.type	_ZN7rocprim17ROCPRIM_400000_NS6detail44device_merge_sort_compile_time_verifier_archINS1_11comp_targetILNS1_3genE2ELNS1_11target_archE906ELNS1_3gpuE6ELNS1_3repE0EEES8_NS1_28merge_sort_block_sort_configILj256ELj4ELNS0_20block_sort_algorithmE0EEENS0_14default_configENS1_37merge_sort_block_sort_config_selectorIdNS0_10empty_typeEEENS1_38merge_sort_block_merge_config_selectorIdSE_EEEEvv,@function
_ZN7rocprim17ROCPRIM_400000_NS6detail44device_merge_sort_compile_time_verifier_archINS1_11comp_targetILNS1_3genE2ELNS1_11target_archE906ELNS1_3gpuE6ELNS1_3repE0EEES8_NS1_28merge_sort_block_sort_configILj256ELj4ELNS0_20block_sort_algorithmE0EEENS0_14default_configENS1_37merge_sort_block_sort_config_selectorIdNS0_10empty_typeEEENS1_38merge_sort_block_merge_config_selectorIdSE_EEEEvv: ; @_ZN7rocprim17ROCPRIM_400000_NS6detail44device_merge_sort_compile_time_verifier_archINS1_11comp_targetILNS1_3genE2ELNS1_11target_archE906ELNS1_3gpuE6ELNS1_3repE0EEES8_NS1_28merge_sort_block_sort_configILj256ELj4ELNS0_20block_sort_algorithmE0EEENS0_14default_configENS1_37merge_sort_block_sort_config_selectorIdNS0_10empty_typeEEENS1_38merge_sort_block_merge_config_selectorIdSE_EEEEvv
; %bb.0:
	s_endpgm
	.section	.rodata,"a",@progbits
	.p2align	6, 0x0
	.amdhsa_kernel _ZN7rocprim17ROCPRIM_400000_NS6detail44device_merge_sort_compile_time_verifier_archINS1_11comp_targetILNS1_3genE2ELNS1_11target_archE906ELNS1_3gpuE6ELNS1_3repE0EEES8_NS1_28merge_sort_block_sort_configILj256ELj4ELNS0_20block_sort_algorithmE0EEENS0_14default_configENS1_37merge_sort_block_sort_config_selectorIdNS0_10empty_typeEEENS1_38merge_sort_block_merge_config_selectorIdSE_EEEEvv
		.amdhsa_group_segment_fixed_size 0
		.amdhsa_private_segment_fixed_size 0
		.amdhsa_kernarg_size 0
		.amdhsa_user_sgpr_count 4
		.amdhsa_user_sgpr_private_segment_buffer 1
		.amdhsa_user_sgpr_dispatch_ptr 0
		.amdhsa_user_sgpr_queue_ptr 0
		.amdhsa_user_sgpr_kernarg_segment_ptr 0
		.amdhsa_user_sgpr_dispatch_id 0
		.amdhsa_user_sgpr_flat_scratch_init 0
		.amdhsa_user_sgpr_kernarg_preload_length 0
		.amdhsa_user_sgpr_kernarg_preload_offset 0
		.amdhsa_user_sgpr_private_segment_size 0
		.amdhsa_uses_dynamic_stack 0
		.amdhsa_system_sgpr_private_segment_wavefront_offset 0
		.amdhsa_system_sgpr_workgroup_id_x 1
		.amdhsa_system_sgpr_workgroup_id_y 0
		.amdhsa_system_sgpr_workgroup_id_z 0
		.amdhsa_system_sgpr_workgroup_info 0
		.amdhsa_system_vgpr_workitem_id 0
		.amdhsa_next_free_vgpr 1
		.amdhsa_next_free_sgpr 0
		.amdhsa_accum_offset 4
		.amdhsa_reserve_vcc 0
		.amdhsa_reserve_flat_scratch 0
		.amdhsa_float_round_mode_32 0
		.amdhsa_float_round_mode_16_64 0
		.amdhsa_float_denorm_mode_32 3
		.amdhsa_float_denorm_mode_16_64 3
		.amdhsa_dx10_clamp 1
		.amdhsa_ieee_mode 1
		.amdhsa_fp16_overflow 0
		.amdhsa_tg_split 0
		.amdhsa_exception_fp_ieee_invalid_op 0
		.amdhsa_exception_fp_denorm_src 0
		.amdhsa_exception_fp_ieee_div_zero 0
		.amdhsa_exception_fp_ieee_overflow 0
		.amdhsa_exception_fp_ieee_underflow 0
		.amdhsa_exception_fp_ieee_inexact 0
		.amdhsa_exception_int_div_zero 0
	.end_amdhsa_kernel
	.section	.text._ZN7rocprim17ROCPRIM_400000_NS6detail44device_merge_sort_compile_time_verifier_archINS1_11comp_targetILNS1_3genE2ELNS1_11target_archE906ELNS1_3gpuE6ELNS1_3repE0EEES8_NS1_28merge_sort_block_sort_configILj256ELj4ELNS0_20block_sort_algorithmE0EEENS0_14default_configENS1_37merge_sort_block_sort_config_selectorIdNS0_10empty_typeEEENS1_38merge_sort_block_merge_config_selectorIdSE_EEEEvv,"axG",@progbits,_ZN7rocprim17ROCPRIM_400000_NS6detail44device_merge_sort_compile_time_verifier_archINS1_11comp_targetILNS1_3genE2ELNS1_11target_archE906ELNS1_3gpuE6ELNS1_3repE0EEES8_NS1_28merge_sort_block_sort_configILj256ELj4ELNS0_20block_sort_algorithmE0EEENS0_14default_configENS1_37merge_sort_block_sort_config_selectorIdNS0_10empty_typeEEENS1_38merge_sort_block_merge_config_selectorIdSE_EEEEvv,comdat
.Lfunc_end1317:
	.size	_ZN7rocprim17ROCPRIM_400000_NS6detail44device_merge_sort_compile_time_verifier_archINS1_11comp_targetILNS1_3genE2ELNS1_11target_archE906ELNS1_3gpuE6ELNS1_3repE0EEES8_NS1_28merge_sort_block_sort_configILj256ELj4ELNS0_20block_sort_algorithmE0EEENS0_14default_configENS1_37merge_sort_block_sort_config_selectorIdNS0_10empty_typeEEENS1_38merge_sort_block_merge_config_selectorIdSE_EEEEvv, .Lfunc_end1317-_ZN7rocprim17ROCPRIM_400000_NS6detail44device_merge_sort_compile_time_verifier_archINS1_11comp_targetILNS1_3genE2ELNS1_11target_archE906ELNS1_3gpuE6ELNS1_3repE0EEES8_NS1_28merge_sort_block_sort_configILj256ELj4ELNS0_20block_sort_algorithmE0EEENS0_14default_configENS1_37merge_sort_block_sort_config_selectorIdNS0_10empty_typeEEENS1_38merge_sort_block_merge_config_selectorIdSE_EEEEvv
                                        ; -- End function
	.section	.AMDGPU.csdata,"",@progbits
; Kernel info:
; codeLenInByte = 4
; NumSgprs: 4
; NumVgprs: 0
; NumAgprs: 0
; TotalNumVgprs: 0
; ScratchSize: 0
; MemoryBound: 0
; FloatMode: 240
; IeeeMode: 1
; LDSByteSize: 0 bytes/workgroup (compile time only)
; SGPRBlocks: 0
; VGPRBlocks: 0
; NumSGPRsForWavesPerEU: 4
; NumVGPRsForWavesPerEU: 1
; AccumOffset: 4
; Occupancy: 8
; WaveLimiterHint : 0
; COMPUTE_PGM_RSRC2:SCRATCH_EN: 0
; COMPUTE_PGM_RSRC2:USER_SGPR: 4
; COMPUTE_PGM_RSRC2:TRAP_HANDLER: 0
; COMPUTE_PGM_RSRC2:TGID_X_EN: 1
; COMPUTE_PGM_RSRC2:TGID_Y_EN: 0
; COMPUTE_PGM_RSRC2:TGID_Z_EN: 0
; COMPUTE_PGM_RSRC2:TIDIG_COMP_CNT: 0
; COMPUTE_PGM_RSRC3_GFX90A:ACCUM_OFFSET: 0
; COMPUTE_PGM_RSRC3_GFX90A:TG_SPLIT: 0
	.section	.text._ZN7rocprim17ROCPRIM_400000_NS6detail44device_merge_sort_compile_time_verifier_archINS1_11comp_targetILNS1_3genE10ELNS1_11target_archE1201ELNS1_3gpuE5ELNS1_3repE0EEES8_NS1_28merge_sort_block_sort_configILj256ELj4ELNS0_20block_sort_algorithmE0EEENS0_14default_configENS1_37merge_sort_block_sort_config_selectorIdNS0_10empty_typeEEENS1_38merge_sort_block_merge_config_selectorIdSE_EEEEvv,"axG",@progbits,_ZN7rocprim17ROCPRIM_400000_NS6detail44device_merge_sort_compile_time_verifier_archINS1_11comp_targetILNS1_3genE10ELNS1_11target_archE1201ELNS1_3gpuE5ELNS1_3repE0EEES8_NS1_28merge_sort_block_sort_configILj256ELj4ELNS0_20block_sort_algorithmE0EEENS0_14default_configENS1_37merge_sort_block_sort_config_selectorIdNS0_10empty_typeEEENS1_38merge_sort_block_merge_config_selectorIdSE_EEEEvv,comdat
	.protected	_ZN7rocprim17ROCPRIM_400000_NS6detail44device_merge_sort_compile_time_verifier_archINS1_11comp_targetILNS1_3genE10ELNS1_11target_archE1201ELNS1_3gpuE5ELNS1_3repE0EEES8_NS1_28merge_sort_block_sort_configILj256ELj4ELNS0_20block_sort_algorithmE0EEENS0_14default_configENS1_37merge_sort_block_sort_config_selectorIdNS0_10empty_typeEEENS1_38merge_sort_block_merge_config_selectorIdSE_EEEEvv ; -- Begin function _ZN7rocprim17ROCPRIM_400000_NS6detail44device_merge_sort_compile_time_verifier_archINS1_11comp_targetILNS1_3genE10ELNS1_11target_archE1201ELNS1_3gpuE5ELNS1_3repE0EEES8_NS1_28merge_sort_block_sort_configILj256ELj4ELNS0_20block_sort_algorithmE0EEENS0_14default_configENS1_37merge_sort_block_sort_config_selectorIdNS0_10empty_typeEEENS1_38merge_sort_block_merge_config_selectorIdSE_EEEEvv
	.globl	_ZN7rocprim17ROCPRIM_400000_NS6detail44device_merge_sort_compile_time_verifier_archINS1_11comp_targetILNS1_3genE10ELNS1_11target_archE1201ELNS1_3gpuE5ELNS1_3repE0EEES8_NS1_28merge_sort_block_sort_configILj256ELj4ELNS0_20block_sort_algorithmE0EEENS0_14default_configENS1_37merge_sort_block_sort_config_selectorIdNS0_10empty_typeEEENS1_38merge_sort_block_merge_config_selectorIdSE_EEEEvv
	.p2align	8
	.type	_ZN7rocprim17ROCPRIM_400000_NS6detail44device_merge_sort_compile_time_verifier_archINS1_11comp_targetILNS1_3genE10ELNS1_11target_archE1201ELNS1_3gpuE5ELNS1_3repE0EEES8_NS1_28merge_sort_block_sort_configILj256ELj4ELNS0_20block_sort_algorithmE0EEENS0_14default_configENS1_37merge_sort_block_sort_config_selectorIdNS0_10empty_typeEEENS1_38merge_sort_block_merge_config_selectorIdSE_EEEEvv,@function
_ZN7rocprim17ROCPRIM_400000_NS6detail44device_merge_sort_compile_time_verifier_archINS1_11comp_targetILNS1_3genE10ELNS1_11target_archE1201ELNS1_3gpuE5ELNS1_3repE0EEES8_NS1_28merge_sort_block_sort_configILj256ELj4ELNS0_20block_sort_algorithmE0EEENS0_14default_configENS1_37merge_sort_block_sort_config_selectorIdNS0_10empty_typeEEENS1_38merge_sort_block_merge_config_selectorIdSE_EEEEvv: ; @_ZN7rocprim17ROCPRIM_400000_NS6detail44device_merge_sort_compile_time_verifier_archINS1_11comp_targetILNS1_3genE10ELNS1_11target_archE1201ELNS1_3gpuE5ELNS1_3repE0EEES8_NS1_28merge_sort_block_sort_configILj256ELj4ELNS0_20block_sort_algorithmE0EEENS0_14default_configENS1_37merge_sort_block_sort_config_selectorIdNS0_10empty_typeEEENS1_38merge_sort_block_merge_config_selectorIdSE_EEEEvv
; %bb.0:
	s_endpgm
	.section	.rodata,"a",@progbits
	.p2align	6, 0x0
	.amdhsa_kernel _ZN7rocprim17ROCPRIM_400000_NS6detail44device_merge_sort_compile_time_verifier_archINS1_11comp_targetILNS1_3genE10ELNS1_11target_archE1201ELNS1_3gpuE5ELNS1_3repE0EEES8_NS1_28merge_sort_block_sort_configILj256ELj4ELNS0_20block_sort_algorithmE0EEENS0_14default_configENS1_37merge_sort_block_sort_config_selectorIdNS0_10empty_typeEEENS1_38merge_sort_block_merge_config_selectorIdSE_EEEEvv
		.amdhsa_group_segment_fixed_size 0
		.amdhsa_private_segment_fixed_size 0
		.amdhsa_kernarg_size 0
		.amdhsa_user_sgpr_count 4
		.amdhsa_user_sgpr_private_segment_buffer 1
		.amdhsa_user_sgpr_dispatch_ptr 0
		.amdhsa_user_sgpr_queue_ptr 0
		.amdhsa_user_sgpr_kernarg_segment_ptr 0
		.amdhsa_user_sgpr_dispatch_id 0
		.amdhsa_user_sgpr_flat_scratch_init 0
		.amdhsa_user_sgpr_kernarg_preload_length 0
		.amdhsa_user_sgpr_kernarg_preload_offset 0
		.amdhsa_user_sgpr_private_segment_size 0
		.amdhsa_uses_dynamic_stack 0
		.amdhsa_system_sgpr_private_segment_wavefront_offset 0
		.amdhsa_system_sgpr_workgroup_id_x 1
		.amdhsa_system_sgpr_workgroup_id_y 0
		.amdhsa_system_sgpr_workgroup_id_z 0
		.amdhsa_system_sgpr_workgroup_info 0
		.amdhsa_system_vgpr_workitem_id 0
		.amdhsa_next_free_vgpr 1
		.amdhsa_next_free_sgpr 0
		.amdhsa_accum_offset 4
		.amdhsa_reserve_vcc 0
		.amdhsa_reserve_flat_scratch 0
		.amdhsa_float_round_mode_32 0
		.amdhsa_float_round_mode_16_64 0
		.amdhsa_float_denorm_mode_32 3
		.amdhsa_float_denorm_mode_16_64 3
		.amdhsa_dx10_clamp 1
		.amdhsa_ieee_mode 1
		.amdhsa_fp16_overflow 0
		.amdhsa_tg_split 0
		.amdhsa_exception_fp_ieee_invalid_op 0
		.amdhsa_exception_fp_denorm_src 0
		.amdhsa_exception_fp_ieee_div_zero 0
		.amdhsa_exception_fp_ieee_overflow 0
		.amdhsa_exception_fp_ieee_underflow 0
		.amdhsa_exception_fp_ieee_inexact 0
		.amdhsa_exception_int_div_zero 0
	.end_amdhsa_kernel
	.section	.text._ZN7rocprim17ROCPRIM_400000_NS6detail44device_merge_sort_compile_time_verifier_archINS1_11comp_targetILNS1_3genE10ELNS1_11target_archE1201ELNS1_3gpuE5ELNS1_3repE0EEES8_NS1_28merge_sort_block_sort_configILj256ELj4ELNS0_20block_sort_algorithmE0EEENS0_14default_configENS1_37merge_sort_block_sort_config_selectorIdNS0_10empty_typeEEENS1_38merge_sort_block_merge_config_selectorIdSE_EEEEvv,"axG",@progbits,_ZN7rocprim17ROCPRIM_400000_NS6detail44device_merge_sort_compile_time_verifier_archINS1_11comp_targetILNS1_3genE10ELNS1_11target_archE1201ELNS1_3gpuE5ELNS1_3repE0EEES8_NS1_28merge_sort_block_sort_configILj256ELj4ELNS0_20block_sort_algorithmE0EEENS0_14default_configENS1_37merge_sort_block_sort_config_selectorIdNS0_10empty_typeEEENS1_38merge_sort_block_merge_config_selectorIdSE_EEEEvv,comdat
.Lfunc_end1318:
	.size	_ZN7rocprim17ROCPRIM_400000_NS6detail44device_merge_sort_compile_time_verifier_archINS1_11comp_targetILNS1_3genE10ELNS1_11target_archE1201ELNS1_3gpuE5ELNS1_3repE0EEES8_NS1_28merge_sort_block_sort_configILj256ELj4ELNS0_20block_sort_algorithmE0EEENS0_14default_configENS1_37merge_sort_block_sort_config_selectorIdNS0_10empty_typeEEENS1_38merge_sort_block_merge_config_selectorIdSE_EEEEvv, .Lfunc_end1318-_ZN7rocprim17ROCPRIM_400000_NS6detail44device_merge_sort_compile_time_verifier_archINS1_11comp_targetILNS1_3genE10ELNS1_11target_archE1201ELNS1_3gpuE5ELNS1_3repE0EEES8_NS1_28merge_sort_block_sort_configILj256ELj4ELNS0_20block_sort_algorithmE0EEENS0_14default_configENS1_37merge_sort_block_sort_config_selectorIdNS0_10empty_typeEEENS1_38merge_sort_block_merge_config_selectorIdSE_EEEEvv
                                        ; -- End function
	.section	.AMDGPU.csdata,"",@progbits
; Kernel info:
; codeLenInByte = 4
; NumSgprs: 4
; NumVgprs: 0
; NumAgprs: 0
; TotalNumVgprs: 0
; ScratchSize: 0
; MemoryBound: 0
; FloatMode: 240
; IeeeMode: 1
; LDSByteSize: 0 bytes/workgroup (compile time only)
; SGPRBlocks: 0
; VGPRBlocks: 0
; NumSGPRsForWavesPerEU: 4
; NumVGPRsForWavesPerEU: 1
; AccumOffset: 4
; Occupancy: 8
; WaveLimiterHint : 0
; COMPUTE_PGM_RSRC2:SCRATCH_EN: 0
; COMPUTE_PGM_RSRC2:USER_SGPR: 4
; COMPUTE_PGM_RSRC2:TRAP_HANDLER: 0
; COMPUTE_PGM_RSRC2:TGID_X_EN: 1
; COMPUTE_PGM_RSRC2:TGID_Y_EN: 0
; COMPUTE_PGM_RSRC2:TGID_Z_EN: 0
; COMPUTE_PGM_RSRC2:TIDIG_COMP_CNT: 0
; COMPUTE_PGM_RSRC3_GFX90A:ACCUM_OFFSET: 0
; COMPUTE_PGM_RSRC3_GFX90A:TG_SPLIT: 0
	.section	.text._ZN7rocprim17ROCPRIM_400000_NS6detail44device_merge_sort_compile_time_verifier_archINS1_11comp_targetILNS1_3genE10ELNS1_11target_archE1200ELNS1_3gpuE4ELNS1_3repE0EEENS3_ILS4_10ELS5_1201ELS6_5ELS7_0EEENS1_28merge_sort_block_sort_configILj256ELj4ELNS0_20block_sort_algorithmE0EEENS0_14default_configENS1_37merge_sort_block_sort_config_selectorIdNS0_10empty_typeEEENS1_38merge_sort_block_merge_config_selectorIdSF_EEEEvv,"axG",@progbits,_ZN7rocprim17ROCPRIM_400000_NS6detail44device_merge_sort_compile_time_verifier_archINS1_11comp_targetILNS1_3genE10ELNS1_11target_archE1200ELNS1_3gpuE4ELNS1_3repE0EEENS3_ILS4_10ELS5_1201ELS6_5ELS7_0EEENS1_28merge_sort_block_sort_configILj256ELj4ELNS0_20block_sort_algorithmE0EEENS0_14default_configENS1_37merge_sort_block_sort_config_selectorIdNS0_10empty_typeEEENS1_38merge_sort_block_merge_config_selectorIdSF_EEEEvv,comdat
	.protected	_ZN7rocprim17ROCPRIM_400000_NS6detail44device_merge_sort_compile_time_verifier_archINS1_11comp_targetILNS1_3genE10ELNS1_11target_archE1200ELNS1_3gpuE4ELNS1_3repE0EEENS3_ILS4_10ELS5_1201ELS6_5ELS7_0EEENS1_28merge_sort_block_sort_configILj256ELj4ELNS0_20block_sort_algorithmE0EEENS0_14default_configENS1_37merge_sort_block_sort_config_selectorIdNS0_10empty_typeEEENS1_38merge_sort_block_merge_config_selectorIdSF_EEEEvv ; -- Begin function _ZN7rocprim17ROCPRIM_400000_NS6detail44device_merge_sort_compile_time_verifier_archINS1_11comp_targetILNS1_3genE10ELNS1_11target_archE1200ELNS1_3gpuE4ELNS1_3repE0EEENS3_ILS4_10ELS5_1201ELS6_5ELS7_0EEENS1_28merge_sort_block_sort_configILj256ELj4ELNS0_20block_sort_algorithmE0EEENS0_14default_configENS1_37merge_sort_block_sort_config_selectorIdNS0_10empty_typeEEENS1_38merge_sort_block_merge_config_selectorIdSF_EEEEvv
	.globl	_ZN7rocprim17ROCPRIM_400000_NS6detail44device_merge_sort_compile_time_verifier_archINS1_11comp_targetILNS1_3genE10ELNS1_11target_archE1200ELNS1_3gpuE4ELNS1_3repE0EEENS3_ILS4_10ELS5_1201ELS6_5ELS7_0EEENS1_28merge_sort_block_sort_configILj256ELj4ELNS0_20block_sort_algorithmE0EEENS0_14default_configENS1_37merge_sort_block_sort_config_selectorIdNS0_10empty_typeEEENS1_38merge_sort_block_merge_config_selectorIdSF_EEEEvv
	.p2align	8
	.type	_ZN7rocprim17ROCPRIM_400000_NS6detail44device_merge_sort_compile_time_verifier_archINS1_11comp_targetILNS1_3genE10ELNS1_11target_archE1200ELNS1_3gpuE4ELNS1_3repE0EEENS3_ILS4_10ELS5_1201ELS6_5ELS7_0EEENS1_28merge_sort_block_sort_configILj256ELj4ELNS0_20block_sort_algorithmE0EEENS0_14default_configENS1_37merge_sort_block_sort_config_selectorIdNS0_10empty_typeEEENS1_38merge_sort_block_merge_config_selectorIdSF_EEEEvv,@function
_ZN7rocprim17ROCPRIM_400000_NS6detail44device_merge_sort_compile_time_verifier_archINS1_11comp_targetILNS1_3genE10ELNS1_11target_archE1200ELNS1_3gpuE4ELNS1_3repE0EEENS3_ILS4_10ELS5_1201ELS6_5ELS7_0EEENS1_28merge_sort_block_sort_configILj256ELj4ELNS0_20block_sort_algorithmE0EEENS0_14default_configENS1_37merge_sort_block_sort_config_selectorIdNS0_10empty_typeEEENS1_38merge_sort_block_merge_config_selectorIdSF_EEEEvv: ; @_ZN7rocprim17ROCPRIM_400000_NS6detail44device_merge_sort_compile_time_verifier_archINS1_11comp_targetILNS1_3genE10ELNS1_11target_archE1200ELNS1_3gpuE4ELNS1_3repE0EEENS3_ILS4_10ELS5_1201ELS6_5ELS7_0EEENS1_28merge_sort_block_sort_configILj256ELj4ELNS0_20block_sort_algorithmE0EEENS0_14default_configENS1_37merge_sort_block_sort_config_selectorIdNS0_10empty_typeEEENS1_38merge_sort_block_merge_config_selectorIdSF_EEEEvv
; %bb.0:
	s_endpgm
	.section	.rodata,"a",@progbits
	.p2align	6, 0x0
	.amdhsa_kernel _ZN7rocprim17ROCPRIM_400000_NS6detail44device_merge_sort_compile_time_verifier_archINS1_11comp_targetILNS1_3genE10ELNS1_11target_archE1200ELNS1_3gpuE4ELNS1_3repE0EEENS3_ILS4_10ELS5_1201ELS6_5ELS7_0EEENS1_28merge_sort_block_sort_configILj256ELj4ELNS0_20block_sort_algorithmE0EEENS0_14default_configENS1_37merge_sort_block_sort_config_selectorIdNS0_10empty_typeEEENS1_38merge_sort_block_merge_config_selectorIdSF_EEEEvv
		.amdhsa_group_segment_fixed_size 0
		.amdhsa_private_segment_fixed_size 0
		.amdhsa_kernarg_size 0
		.amdhsa_user_sgpr_count 4
		.amdhsa_user_sgpr_private_segment_buffer 1
		.amdhsa_user_sgpr_dispatch_ptr 0
		.amdhsa_user_sgpr_queue_ptr 0
		.amdhsa_user_sgpr_kernarg_segment_ptr 0
		.amdhsa_user_sgpr_dispatch_id 0
		.amdhsa_user_sgpr_flat_scratch_init 0
		.amdhsa_user_sgpr_kernarg_preload_length 0
		.amdhsa_user_sgpr_kernarg_preload_offset 0
		.amdhsa_user_sgpr_private_segment_size 0
		.amdhsa_uses_dynamic_stack 0
		.amdhsa_system_sgpr_private_segment_wavefront_offset 0
		.amdhsa_system_sgpr_workgroup_id_x 1
		.amdhsa_system_sgpr_workgroup_id_y 0
		.amdhsa_system_sgpr_workgroup_id_z 0
		.amdhsa_system_sgpr_workgroup_info 0
		.amdhsa_system_vgpr_workitem_id 0
		.amdhsa_next_free_vgpr 1
		.amdhsa_next_free_sgpr 0
		.amdhsa_accum_offset 4
		.amdhsa_reserve_vcc 0
		.amdhsa_reserve_flat_scratch 0
		.amdhsa_float_round_mode_32 0
		.amdhsa_float_round_mode_16_64 0
		.amdhsa_float_denorm_mode_32 3
		.amdhsa_float_denorm_mode_16_64 3
		.amdhsa_dx10_clamp 1
		.amdhsa_ieee_mode 1
		.amdhsa_fp16_overflow 0
		.amdhsa_tg_split 0
		.amdhsa_exception_fp_ieee_invalid_op 0
		.amdhsa_exception_fp_denorm_src 0
		.amdhsa_exception_fp_ieee_div_zero 0
		.amdhsa_exception_fp_ieee_overflow 0
		.amdhsa_exception_fp_ieee_underflow 0
		.amdhsa_exception_fp_ieee_inexact 0
		.amdhsa_exception_int_div_zero 0
	.end_amdhsa_kernel
	.section	.text._ZN7rocprim17ROCPRIM_400000_NS6detail44device_merge_sort_compile_time_verifier_archINS1_11comp_targetILNS1_3genE10ELNS1_11target_archE1200ELNS1_3gpuE4ELNS1_3repE0EEENS3_ILS4_10ELS5_1201ELS6_5ELS7_0EEENS1_28merge_sort_block_sort_configILj256ELj4ELNS0_20block_sort_algorithmE0EEENS0_14default_configENS1_37merge_sort_block_sort_config_selectorIdNS0_10empty_typeEEENS1_38merge_sort_block_merge_config_selectorIdSF_EEEEvv,"axG",@progbits,_ZN7rocprim17ROCPRIM_400000_NS6detail44device_merge_sort_compile_time_verifier_archINS1_11comp_targetILNS1_3genE10ELNS1_11target_archE1200ELNS1_3gpuE4ELNS1_3repE0EEENS3_ILS4_10ELS5_1201ELS6_5ELS7_0EEENS1_28merge_sort_block_sort_configILj256ELj4ELNS0_20block_sort_algorithmE0EEENS0_14default_configENS1_37merge_sort_block_sort_config_selectorIdNS0_10empty_typeEEENS1_38merge_sort_block_merge_config_selectorIdSF_EEEEvv,comdat
.Lfunc_end1319:
	.size	_ZN7rocprim17ROCPRIM_400000_NS6detail44device_merge_sort_compile_time_verifier_archINS1_11comp_targetILNS1_3genE10ELNS1_11target_archE1200ELNS1_3gpuE4ELNS1_3repE0EEENS3_ILS4_10ELS5_1201ELS6_5ELS7_0EEENS1_28merge_sort_block_sort_configILj256ELj4ELNS0_20block_sort_algorithmE0EEENS0_14default_configENS1_37merge_sort_block_sort_config_selectorIdNS0_10empty_typeEEENS1_38merge_sort_block_merge_config_selectorIdSF_EEEEvv, .Lfunc_end1319-_ZN7rocprim17ROCPRIM_400000_NS6detail44device_merge_sort_compile_time_verifier_archINS1_11comp_targetILNS1_3genE10ELNS1_11target_archE1200ELNS1_3gpuE4ELNS1_3repE0EEENS3_ILS4_10ELS5_1201ELS6_5ELS7_0EEENS1_28merge_sort_block_sort_configILj256ELj4ELNS0_20block_sort_algorithmE0EEENS0_14default_configENS1_37merge_sort_block_sort_config_selectorIdNS0_10empty_typeEEENS1_38merge_sort_block_merge_config_selectorIdSF_EEEEvv
                                        ; -- End function
	.section	.AMDGPU.csdata,"",@progbits
; Kernel info:
; codeLenInByte = 4
; NumSgprs: 4
; NumVgprs: 0
; NumAgprs: 0
; TotalNumVgprs: 0
; ScratchSize: 0
; MemoryBound: 0
; FloatMode: 240
; IeeeMode: 1
; LDSByteSize: 0 bytes/workgroup (compile time only)
; SGPRBlocks: 0
; VGPRBlocks: 0
; NumSGPRsForWavesPerEU: 4
; NumVGPRsForWavesPerEU: 1
; AccumOffset: 4
; Occupancy: 8
; WaveLimiterHint : 0
; COMPUTE_PGM_RSRC2:SCRATCH_EN: 0
; COMPUTE_PGM_RSRC2:USER_SGPR: 4
; COMPUTE_PGM_RSRC2:TRAP_HANDLER: 0
; COMPUTE_PGM_RSRC2:TGID_X_EN: 1
; COMPUTE_PGM_RSRC2:TGID_Y_EN: 0
; COMPUTE_PGM_RSRC2:TGID_Z_EN: 0
; COMPUTE_PGM_RSRC2:TIDIG_COMP_CNT: 0
; COMPUTE_PGM_RSRC3_GFX90A:ACCUM_OFFSET: 0
; COMPUTE_PGM_RSRC3_GFX90A:TG_SPLIT: 0
	.section	.text._ZN7rocprim17ROCPRIM_400000_NS6detail44device_merge_sort_compile_time_verifier_archINS1_11comp_targetILNS1_3genE9ELNS1_11target_archE1100ELNS1_3gpuE3ELNS1_3repE0EEES8_NS1_28merge_sort_block_sort_configILj256ELj4ELNS0_20block_sort_algorithmE0EEENS0_14default_configENS1_37merge_sort_block_sort_config_selectorIdNS0_10empty_typeEEENS1_38merge_sort_block_merge_config_selectorIdSE_EEEEvv,"axG",@progbits,_ZN7rocprim17ROCPRIM_400000_NS6detail44device_merge_sort_compile_time_verifier_archINS1_11comp_targetILNS1_3genE9ELNS1_11target_archE1100ELNS1_3gpuE3ELNS1_3repE0EEES8_NS1_28merge_sort_block_sort_configILj256ELj4ELNS0_20block_sort_algorithmE0EEENS0_14default_configENS1_37merge_sort_block_sort_config_selectorIdNS0_10empty_typeEEENS1_38merge_sort_block_merge_config_selectorIdSE_EEEEvv,comdat
	.protected	_ZN7rocprim17ROCPRIM_400000_NS6detail44device_merge_sort_compile_time_verifier_archINS1_11comp_targetILNS1_3genE9ELNS1_11target_archE1100ELNS1_3gpuE3ELNS1_3repE0EEES8_NS1_28merge_sort_block_sort_configILj256ELj4ELNS0_20block_sort_algorithmE0EEENS0_14default_configENS1_37merge_sort_block_sort_config_selectorIdNS0_10empty_typeEEENS1_38merge_sort_block_merge_config_selectorIdSE_EEEEvv ; -- Begin function _ZN7rocprim17ROCPRIM_400000_NS6detail44device_merge_sort_compile_time_verifier_archINS1_11comp_targetILNS1_3genE9ELNS1_11target_archE1100ELNS1_3gpuE3ELNS1_3repE0EEES8_NS1_28merge_sort_block_sort_configILj256ELj4ELNS0_20block_sort_algorithmE0EEENS0_14default_configENS1_37merge_sort_block_sort_config_selectorIdNS0_10empty_typeEEENS1_38merge_sort_block_merge_config_selectorIdSE_EEEEvv
	.globl	_ZN7rocprim17ROCPRIM_400000_NS6detail44device_merge_sort_compile_time_verifier_archINS1_11comp_targetILNS1_3genE9ELNS1_11target_archE1100ELNS1_3gpuE3ELNS1_3repE0EEES8_NS1_28merge_sort_block_sort_configILj256ELj4ELNS0_20block_sort_algorithmE0EEENS0_14default_configENS1_37merge_sort_block_sort_config_selectorIdNS0_10empty_typeEEENS1_38merge_sort_block_merge_config_selectorIdSE_EEEEvv
	.p2align	8
	.type	_ZN7rocprim17ROCPRIM_400000_NS6detail44device_merge_sort_compile_time_verifier_archINS1_11comp_targetILNS1_3genE9ELNS1_11target_archE1100ELNS1_3gpuE3ELNS1_3repE0EEES8_NS1_28merge_sort_block_sort_configILj256ELj4ELNS0_20block_sort_algorithmE0EEENS0_14default_configENS1_37merge_sort_block_sort_config_selectorIdNS0_10empty_typeEEENS1_38merge_sort_block_merge_config_selectorIdSE_EEEEvv,@function
_ZN7rocprim17ROCPRIM_400000_NS6detail44device_merge_sort_compile_time_verifier_archINS1_11comp_targetILNS1_3genE9ELNS1_11target_archE1100ELNS1_3gpuE3ELNS1_3repE0EEES8_NS1_28merge_sort_block_sort_configILj256ELj4ELNS0_20block_sort_algorithmE0EEENS0_14default_configENS1_37merge_sort_block_sort_config_selectorIdNS0_10empty_typeEEENS1_38merge_sort_block_merge_config_selectorIdSE_EEEEvv: ; @_ZN7rocprim17ROCPRIM_400000_NS6detail44device_merge_sort_compile_time_verifier_archINS1_11comp_targetILNS1_3genE9ELNS1_11target_archE1100ELNS1_3gpuE3ELNS1_3repE0EEES8_NS1_28merge_sort_block_sort_configILj256ELj4ELNS0_20block_sort_algorithmE0EEENS0_14default_configENS1_37merge_sort_block_sort_config_selectorIdNS0_10empty_typeEEENS1_38merge_sort_block_merge_config_selectorIdSE_EEEEvv
; %bb.0:
	s_endpgm
	.section	.rodata,"a",@progbits
	.p2align	6, 0x0
	.amdhsa_kernel _ZN7rocprim17ROCPRIM_400000_NS6detail44device_merge_sort_compile_time_verifier_archINS1_11comp_targetILNS1_3genE9ELNS1_11target_archE1100ELNS1_3gpuE3ELNS1_3repE0EEES8_NS1_28merge_sort_block_sort_configILj256ELj4ELNS0_20block_sort_algorithmE0EEENS0_14default_configENS1_37merge_sort_block_sort_config_selectorIdNS0_10empty_typeEEENS1_38merge_sort_block_merge_config_selectorIdSE_EEEEvv
		.amdhsa_group_segment_fixed_size 0
		.amdhsa_private_segment_fixed_size 0
		.amdhsa_kernarg_size 0
		.amdhsa_user_sgpr_count 4
		.amdhsa_user_sgpr_private_segment_buffer 1
		.amdhsa_user_sgpr_dispatch_ptr 0
		.amdhsa_user_sgpr_queue_ptr 0
		.amdhsa_user_sgpr_kernarg_segment_ptr 0
		.amdhsa_user_sgpr_dispatch_id 0
		.amdhsa_user_sgpr_flat_scratch_init 0
		.amdhsa_user_sgpr_kernarg_preload_length 0
		.amdhsa_user_sgpr_kernarg_preload_offset 0
		.amdhsa_user_sgpr_private_segment_size 0
		.amdhsa_uses_dynamic_stack 0
		.amdhsa_system_sgpr_private_segment_wavefront_offset 0
		.amdhsa_system_sgpr_workgroup_id_x 1
		.amdhsa_system_sgpr_workgroup_id_y 0
		.amdhsa_system_sgpr_workgroup_id_z 0
		.amdhsa_system_sgpr_workgroup_info 0
		.amdhsa_system_vgpr_workitem_id 0
		.amdhsa_next_free_vgpr 1
		.amdhsa_next_free_sgpr 0
		.amdhsa_accum_offset 4
		.amdhsa_reserve_vcc 0
		.amdhsa_reserve_flat_scratch 0
		.amdhsa_float_round_mode_32 0
		.amdhsa_float_round_mode_16_64 0
		.amdhsa_float_denorm_mode_32 3
		.amdhsa_float_denorm_mode_16_64 3
		.amdhsa_dx10_clamp 1
		.amdhsa_ieee_mode 1
		.amdhsa_fp16_overflow 0
		.amdhsa_tg_split 0
		.amdhsa_exception_fp_ieee_invalid_op 0
		.amdhsa_exception_fp_denorm_src 0
		.amdhsa_exception_fp_ieee_div_zero 0
		.amdhsa_exception_fp_ieee_overflow 0
		.amdhsa_exception_fp_ieee_underflow 0
		.amdhsa_exception_fp_ieee_inexact 0
		.amdhsa_exception_int_div_zero 0
	.end_amdhsa_kernel
	.section	.text._ZN7rocprim17ROCPRIM_400000_NS6detail44device_merge_sort_compile_time_verifier_archINS1_11comp_targetILNS1_3genE9ELNS1_11target_archE1100ELNS1_3gpuE3ELNS1_3repE0EEES8_NS1_28merge_sort_block_sort_configILj256ELj4ELNS0_20block_sort_algorithmE0EEENS0_14default_configENS1_37merge_sort_block_sort_config_selectorIdNS0_10empty_typeEEENS1_38merge_sort_block_merge_config_selectorIdSE_EEEEvv,"axG",@progbits,_ZN7rocprim17ROCPRIM_400000_NS6detail44device_merge_sort_compile_time_verifier_archINS1_11comp_targetILNS1_3genE9ELNS1_11target_archE1100ELNS1_3gpuE3ELNS1_3repE0EEES8_NS1_28merge_sort_block_sort_configILj256ELj4ELNS0_20block_sort_algorithmE0EEENS0_14default_configENS1_37merge_sort_block_sort_config_selectorIdNS0_10empty_typeEEENS1_38merge_sort_block_merge_config_selectorIdSE_EEEEvv,comdat
.Lfunc_end1320:
	.size	_ZN7rocprim17ROCPRIM_400000_NS6detail44device_merge_sort_compile_time_verifier_archINS1_11comp_targetILNS1_3genE9ELNS1_11target_archE1100ELNS1_3gpuE3ELNS1_3repE0EEES8_NS1_28merge_sort_block_sort_configILj256ELj4ELNS0_20block_sort_algorithmE0EEENS0_14default_configENS1_37merge_sort_block_sort_config_selectorIdNS0_10empty_typeEEENS1_38merge_sort_block_merge_config_selectorIdSE_EEEEvv, .Lfunc_end1320-_ZN7rocprim17ROCPRIM_400000_NS6detail44device_merge_sort_compile_time_verifier_archINS1_11comp_targetILNS1_3genE9ELNS1_11target_archE1100ELNS1_3gpuE3ELNS1_3repE0EEES8_NS1_28merge_sort_block_sort_configILj256ELj4ELNS0_20block_sort_algorithmE0EEENS0_14default_configENS1_37merge_sort_block_sort_config_selectorIdNS0_10empty_typeEEENS1_38merge_sort_block_merge_config_selectorIdSE_EEEEvv
                                        ; -- End function
	.section	.AMDGPU.csdata,"",@progbits
; Kernel info:
; codeLenInByte = 4
; NumSgprs: 4
; NumVgprs: 0
; NumAgprs: 0
; TotalNumVgprs: 0
; ScratchSize: 0
; MemoryBound: 0
; FloatMode: 240
; IeeeMode: 1
; LDSByteSize: 0 bytes/workgroup (compile time only)
; SGPRBlocks: 0
; VGPRBlocks: 0
; NumSGPRsForWavesPerEU: 4
; NumVGPRsForWavesPerEU: 1
; AccumOffset: 4
; Occupancy: 8
; WaveLimiterHint : 0
; COMPUTE_PGM_RSRC2:SCRATCH_EN: 0
; COMPUTE_PGM_RSRC2:USER_SGPR: 4
; COMPUTE_PGM_RSRC2:TRAP_HANDLER: 0
; COMPUTE_PGM_RSRC2:TGID_X_EN: 1
; COMPUTE_PGM_RSRC2:TGID_Y_EN: 0
; COMPUTE_PGM_RSRC2:TGID_Z_EN: 0
; COMPUTE_PGM_RSRC2:TIDIG_COMP_CNT: 0
; COMPUTE_PGM_RSRC3_GFX90A:ACCUM_OFFSET: 0
; COMPUTE_PGM_RSRC3_GFX90A:TG_SPLIT: 0
	.section	.text._ZN7rocprim17ROCPRIM_400000_NS6detail44device_merge_sort_compile_time_verifier_archINS1_11comp_targetILNS1_3genE8ELNS1_11target_archE1030ELNS1_3gpuE2ELNS1_3repE0EEES8_NS1_28merge_sort_block_sort_configILj256ELj4ELNS0_20block_sort_algorithmE0EEENS0_14default_configENS1_37merge_sort_block_sort_config_selectorIdNS0_10empty_typeEEENS1_38merge_sort_block_merge_config_selectorIdSE_EEEEvv,"axG",@progbits,_ZN7rocprim17ROCPRIM_400000_NS6detail44device_merge_sort_compile_time_verifier_archINS1_11comp_targetILNS1_3genE8ELNS1_11target_archE1030ELNS1_3gpuE2ELNS1_3repE0EEES8_NS1_28merge_sort_block_sort_configILj256ELj4ELNS0_20block_sort_algorithmE0EEENS0_14default_configENS1_37merge_sort_block_sort_config_selectorIdNS0_10empty_typeEEENS1_38merge_sort_block_merge_config_selectorIdSE_EEEEvv,comdat
	.protected	_ZN7rocprim17ROCPRIM_400000_NS6detail44device_merge_sort_compile_time_verifier_archINS1_11comp_targetILNS1_3genE8ELNS1_11target_archE1030ELNS1_3gpuE2ELNS1_3repE0EEES8_NS1_28merge_sort_block_sort_configILj256ELj4ELNS0_20block_sort_algorithmE0EEENS0_14default_configENS1_37merge_sort_block_sort_config_selectorIdNS0_10empty_typeEEENS1_38merge_sort_block_merge_config_selectorIdSE_EEEEvv ; -- Begin function _ZN7rocprim17ROCPRIM_400000_NS6detail44device_merge_sort_compile_time_verifier_archINS1_11comp_targetILNS1_3genE8ELNS1_11target_archE1030ELNS1_3gpuE2ELNS1_3repE0EEES8_NS1_28merge_sort_block_sort_configILj256ELj4ELNS0_20block_sort_algorithmE0EEENS0_14default_configENS1_37merge_sort_block_sort_config_selectorIdNS0_10empty_typeEEENS1_38merge_sort_block_merge_config_selectorIdSE_EEEEvv
	.globl	_ZN7rocprim17ROCPRIM_400000_NS6detail44device_merge_sort_compile_time_verifier_archINS1_11comp_targetILNS1_3genE8ELNS1_11target_archE1030ELNS1_3gpuE2ELNS1_3repE0EEES8_NS1_28merge_sort_block_sort_configILj256ELj4ELNS0_20block_sort_algorithmE0EEENS0_14default_configENS1_37merge_sort_block_sort_config_selectorIdNS0_10empty_typeEEENS1_38merge_sort_block_merge_config_selectorIdSE_EEEEvv
	.p2align	8
	.type	_ZN7rocprim17ROCPRIM_400000_NS6detail44device_merge_sort_compile_time_verifier_archINS1_11comp_targetILNS1_3genE8ELNS1_11target_archE1030ELNS1_3gpuE2ELNS1_3repE0EEES8_NS1_28merge_sort_block_sort_configILj256ELj4ELNS0_20block_sort_algorithmE0EEENS0_14default_configENS1_37merge_sort_block_sort_config_selectorIdNS0_10empty_typeEEENS1_38merge_sort_block_merge_config_selectorIdSE_EEEEvv,@function
_ZN7rocprim17ROCPRIM_400000_NS6detail44device_merge_sort_compile_time_verifier_archINS1_11comp_targetILNS1_3genE8ELNS1_11target_archE1030ELNS1_3gpuE2ELNS1_3repE0EEES8_NS1_28merge_sort_block_sort_configILj256ELj4ELNS0_20block_sort_algorithmE0EEENS0_14default_configENS1_37merge_sort_block_sort_config_selectorIdNS0_10empty_typeEEENS1_38merge_sort_block_merge_config_selectorIdSE_EEEEvv: ; @_ZN7rocprim17ROCPRIM_400000_NS6detail44device_merge_sort_compile_time_verifier_archINS1_11comp_targetILNS1_3genE8ELNS1_11target_archE1030ELNS1_3gpuE2ELNS1_3repE0EEES8_NS1_28merge_sort_block_sort_configILj256ELj4ELNS0_20block_sort_algorithmE0EEENS0_14default_configENS1_37merge_sort_block_sort_config_selectorIdNS0_10empty_typeEEENS1_38merge_sort_block_merge_config_selectorIdSE_EEEEvv
; %bb.0:
	s_endpgm
	.section	.rodata,"a",@progbits
	.p2align	6, 0x0
	.amdhsa_kernel _ZN7rocprim17ROCPRIM_400000_NS6detail44device_merge_sort_compile_time_verifier_archINS1_11comp_targetILNS1_3genE8ELNS1_11target_archE1030ELNS1_3gpuE2ELNS1_3repE0EEES8_NS1_28merge_sort_block_sort_configILj256ELj4ELNS0_20block_sort_algorithmE0EEENS0_14default_configENS1_37merge_sort_block_sort_config_selectorIdNS0_10empty_typeEEENS1_38merge_sort_block_merge_config_selectorIdSE_EEEEvv
		.amdhsa_group_segment_fixed_size 0
		.amdhsa_private_segment_fixed_size 0
		.amdhsa_kernarg_size 0
		.amdhsa_user_sgpr_count 4
		.amdhsa_user_sgpr_private_segment_buffer 1
		.amdhsa_user_sgpr_dispatch_ptr 0
		.amdhsa_user_sgpr_queue_ptr 0
		.amdhsa_user_sgpr_kernarg_segment_ptr 0
		.amdhsa_user_sgpr_dispatch_id 0
		.amdhsa_user_sgpr_flat_scratch_init 0
		.amdhsa_user_sgpr_kernarg_preload_length 0
		.amdhsa_user_sgpr_kernarg_preload_offset 0
		.amdhsa_user_sgpr_private_segment_size 0
		.amdhsa_uses_dynamic_stack 0
		.amdhsa_system_sgpr_private_segment_wavefront_offset 0
		.amdhsa_system_sgpr_workgroup_id_x 1
		.amdhsa_system_sgpr_workgroup_id_y 0
		.amdhsa_system_sgpr_workgroup_id_z 0
		.amdhsa_system_sgpr_workgroup_info 0
		.amdhsa_system_vgpr_workitem_id 0
		.amdhsa_next_free_vgpr 1
		.amdhsa_next_free_sgpr 0
		.amdhsa_accum_offset 4
		.amdhsa_reserve_vcc 0
		.amdhsa_reserve_flat_scratch 0
		.amdhsa_float_round_mode_32 0
		.amdhsa_float_round_mode_16_64 0
		.amdhsa_float_denorm_mode_32 3
		.amdhsa_float_denorm_mode_16_64 3
		.amdhsa_dx10_clamp 1
		.amdhsa_ieee_mode 1
		.amdhsa_fp16_overflow 0
		.amdhsa_tg_split 0
		.amdhsa_exception_fp_ieee_invalid_op 0
		.amdhsa_exception_fp_denorm_src 0
		.amdhsa_exception_fp_ieee_div_zero 0
		.amdhsa_exception_fp_ieee_overflow 0
		.amdhsa_exception_fp_ieee_underflow 0
		.amdhsa_exception_fp_ieee_inexact 0
		.amdhsa_exception_int_div_zero 0
	.end_amdhsa_kernel
	.section	.text._ZN7rocprim17ROCPRIM_400000_NS6detail44device_merge_sort_compile_time_verifier_archINS1_11comp_targetILNS1_3genE8ELNS1_11target_archE1030ELNS1_3gpuE2ELNS1_3repE0EEES8_NS1_28merge_sort_block_sort_configILj256ELj4ELNS0_20block_sort_algorithmE0EEENS0_14default_configENS1_37merge_sort_block_sort_config_selectorIdNS0_10empty_typeEEENS1_38merge_sort_block_merge_config_selectorIdSE_EEEEvv,"axG",@progbits,_ZN7rocprim17ROCPRIM_400000_NS6detail44device_merge_sort_compile_time_verifier_archINS1_11comp_targetILNS1_3genE8ELNS1_11target_archE1030ELNS1_3gpuE2ELNS1_3repE0EEES8_NS1_28merge_sort_block_sort_configILj256ELj4ELNS0_20block_sort_algorithmE0EEENS0_14default_configENS1_37merge_sort_block_sort_config_selectorIdNS0_10empty_typeEEENS1_38merge_sort_block_merge_config_selectorIdSE_EEEEvv,comdat
.Lfunc_end1321:
	.size	_ZN7rocprim17ROCPRIM_400000_NS6detail44device_merge_sort_compile_time_verifier_archINS1_11comp_targetILNS1_3genE8ELNS1_11target_archE1030ELNS1_3gpuE2ELNS1_3repE0EEES8_NS1_28merge_sort_block_sort_configILj256ELj4ELNS0_20block_sort_algorithmE0EEENS0_14default_configENS1_37merge_sort_block_sort_config_selectorIdNS0_10empty_typeEEENS1_38merge_sort_block_merge_config_selectorIdSE_EEEEvv, .Lfunc_end1321-_ZN7rocprim17ROCPRIM_400000_NS6detail44device_merge_sort_compile_time_verifier_archINS1_11comp_targetILNS1_3genE8ELNS1_11target_archE1030ELNS1_3gpuE2ELNS1_3repE0EEES8_NS1_28merge_sort_block_sort_configILj256ELj4ELNS0_20block_sort_algorithmE0EEENS0_14default_configENS1_37merge_sort_block_sort_config_selectorIdNS0_10empty_typeEEENS1_38merge_sort_block_merge_config_selectorIdSE_EEEEvv
                                        ; -- End function
	.section	.AMDGPU.csdata,"",@progbits
; Kernel info:
; codeLenInByte = 4
; NumSgprs: 4
; NumVgprs: 0
; NumAgprs: 0
; TotalNumVgprs: 0
; ScratchSize: 0
; MemoryBound: 0
; FloatMode: 240
; IeeeMode: 1
; LDSByteSize: 0 bytes/workgroup (compile time only)
; SGPRBlocks: 0
; VGPRBlocks: 0
; NumSGPRsForWavesPerEU: 4
; NumVGPRsForWavesPerEU: 1
; AccumOffset: 4
; Occupancy: 8
; WaveLimiterHint : 0
; COMPUTE_PGM_RSRC2:SCRATCH_EN: 0
; COMPUTE_PGM_RSRC2:USER_SGPR: 4
; COMPUTE_PGM_RSRC2:TRAP_HANDLER: 0
; COMPUTE_PGM_RSRC2:TGID_X_EN: 1
; COMPUTE_PGM_RSRC2:TGID_Y_EN: 0
; COMPUTE_PGM_RSRC2:TGID_Z_EN: 0
; COMPUTE_PGM_RSRC2:TIDIG_COMP_CNT: 0
; COMPUTE_PGM_RSRC3_GFX90A:ACCUM_OFFSET: 0
; COMPUTE_PGM_RSRC3_GFX90A:TG_SPLIT: 0
	.section	.text._ZN7rocprim17ROCPRIM_400000_NS6detail17trampoline_kernelINS0_14default_configENS1_38merge_sort_block_merge_config_selectorIdNS0_10empty_typeEEEZZNS1_27merge_sort_block_merge_implIS3_PdPS5_jNS1_19radix_merge_compareILb0ELb0EdNS0_19identity_decomposerEEEEE10hipError_tT0_T1_T2_jT3_P12ihipStream_tbPNSt15iterator_traitsISE_E10value_typeEPNSK_ISF_E10value_typeEPSG_NS1_7vsmem_tEENKUlT_SE_SF_SG_E_clIS8_S8_S9_S9_EESD_ST_SE_SF_SG_EUlST_E_NS1_11comp_targetILNS1_3genE0ELNS1_11target_archE4294967295ELNS1_3gpuE0ELNS1_3repE0EEENS1_48merge_mergepath_partition_config_static_selectorELNS0_4arch9wavefront6targetE1EEEvSF_,"axG",@progbits,_ZN7rocprim17ROCPRIM_400000_NS6detail17trampoline_kernelINS0_14default_configENS1_38merge_sort_block_merge_config_selectorIdNS0_10empty_typeEEEZZNS1_27merge_sort_block_merge_implIS3_PdPS5_jNS1_19radix_merge_compareILb0ELb0EdNS0_19identity_decomposerEEEEE10hipError_tT0_T1_T2_jT3_P12ihipStream_tbPNSt15iterator_traitsISE_E10value_typeEPNSK_ISF_E10value_typeEPSG_NS1_7vsmem_tEENKUlT_SE_SF_SG_E_clIS8_S8_S9_S9_EESD_ST_SE_SF_SG_EUlST_E_NS1_11comp_targetILNS1_3genE0ELNS1_11target_archE4294967295ELNS1_3gpuE0ELNS1_3repE0EEENS1_48merge_mergepath_partition_config_static_selectorELNS0_4arch9wavefront6targetE1EEEvSF_,comdat
	.protected	_ZN7rocprim17ROCPRIM_400000_NS6detail17trampoline_kernelINS0_14default_configENS1_38merge_sort_block_merge_config_selectorIdNS0_10empty_typeEEEZZNS1_27merge_sort_block_merge_implIS3_PdPS5_jNS1_19radix_merge_compareILb0ELb0EdNS0_19identity_decomposerEEEEE10hipError_tT0_T1_T2_jT3_P12ihipStream_tbPNSt15iterator_traitsISE_E10value_typeEPNSK_ISF_E10value_typeEPSG_NS1_7vsmem_tEENKUlT_SE_SF_SG_E_clIS8_S8_S9_S9_EESD_ST_SE_SF_SG_EUlST_E_NS1_11comp_targetILNS1_3genE0ELNS1_11target_archE4294967295ELNS1_3gpuE0ELNS1_3repE0EEENS1_48merge_mergepath_partition_config_static_selectorELNS0_4arch9wavefront6targetE1EEEvSF_ ; -- Begin function _ZN7rocprim17ROCPRIM_400000_NS6detail17trampoline_kernelINS0_14default_configENS1_38merge_sort_block_merge_config_selectorIdNS0_10empty_typeEEEZZNS1_27merge_sort_block_merge_implIS3_PdPS5_jNS1_19radix_merge_compareILb0ELb0EdNS0_19identity_decomposerEEEEE10hipError_tT0_T1_T2_jT3_P12ihipStream_tbPNSt15iterator_traitsISE_E10value_typeEPNSK_ISF_E10value_typeEPSG_NS1_7vsmem_tEENKUlT_SE_SF_SG_E_clIS8_S8_S9_S9_EESD_ST_SE_SF_SG_EUlST_E_NS1_11comp_targetILNS1_3genE0ELNS1_11target_archE4294967295ELNS1_3gpuE0ELNS1_3repE0EEENS1_48merge_mergepath_partition_config_static_selectorELNS0_4arch9wavefront6targetE1EEEvSF_
	.globl	_ZN7rocprim17ROCPRIM_400000_NS6detail17trampoline_kernelINS0_14default_configENS1_38merge_sort_block_merge_config_selectorIdNS0_10empty_typeEEEZZNS1_27merge_sort_block_merge_implIS3_PdPS5_jNS1_19radix_merge_compareILb0ELb0EdNS0_19identity_decomposerEEEEE10hipError_tT0_T1_T2_jT3_P12ihipStream_tbPNSt15iterator_traitsISE_E10value_typeEPNSK_ISF_E10value_typeEPSG_NS1_7vsmem_tEENKUlT_SE_SF_SG_E_clIS8_S8_S9_S9_EESD_ST_SE_SF_SG_EUlST_E_NS1_11comp_targetILNS1_3genE0ELNS1_11target_archE4294967295ELNS1_3gpuE0ELNS1_3repE0EEENS1_48merge_mergepath_partition_config_static_selectorELNS0_4arch9wavefront6targetE1EEEvSF_
	.p2align	8
	.type	_ZN7rocprim17ROCPRIM_400000_NS6detail17trampoline_kernelINS0_14default_configENS1_38merge_sort_block_merge_config_selectorIdNS0_10empty_typeEEEZZNS1_27merge_sort_block_merge_implIS3_PdPS5_jNS1_19radix_merge_compareILb0ELb0EdNS0_19identity_decomposerEEEEE10hipError_tT0_T1_T2_jT3_P12ihipStream_tbPNSt15iterator_traitsISE_E10value_typeEPNSK_ISF_E10value_typeEPSG_NS1_7vsmem_tEENKUlT_SE_SF_SG_E_clIS8_S8_S9_S9_EESD_ST_SE_SF_SG_EUlST_E_NS1_11comp_targetILNS1_3genE0ELNS1_11target_archE4294967295ELNS1_3gpuE0ELNS1_3repE0EEENS1_48merge_mergepath_partition_config_static_selectorELNS0_4arch9wavefront6targetE1EEEvSF_,@function
_ZN7rocprim17ROCPRIM_400000_NS6detail17trampoline_kernelINS0_14default_configENS1_38merge_sort_block_merge_config_selectorIdNS0_10empty_typeEEEZZNS1_27merge_sort_block_merge_implIS3_PdPS5_jNS1_19radix_merge_compareILb0ELb0EdNS0_19identity_decomposerEEEEE10hipError_tT0_T1_T2_jT3_P12ihipStream_tbPNSt15iterator_traitsISE_E10value_typeEPNSK_ISF_E10value_typeEPSG_NS1_7vsmem_tEENKUlT_SE_SF_SG_E_clIS8_S8_S9_S9_EESD_ST_SE_SF_SG_EUlST_E_NS1_11comp_targetILNS1_3genE0ELNS1_11target_archE4294967295ELNS1_3gpuE0ELNS1_3repE0EEENS1_48merge_mergepath_partition_config_static_selectorELNS0_4arch9wavefront6targetE1EEEvSF_: ; @_ZN7rocprim17ROCPRIM_400000_NS6detail17trampoline_kernelINS0_14default_configENS1_38merge_sort_block_merge_config_selectorIdNS0_10empty_typeEEEZZNS1_27merge_sort_block_merge_implIS3_PdPS5_jNS1_19radix_merge_compareILb0ELb0EdNS0_19identity_decomposerEEEEE10hipError_tT0_T1_T2_jT3_P12ihipStream_tbPNSt15iterator_traitsISE_E10value_typeEPNSK_ISF_E10value_typeEPSG_NS1_7vsmem_tEENKUlT_SE_SF_SG_E_clIS8_S8_S9_S9_EESD_ST_SE_SF_SG_EUlST_E_NS1_11comp_targetILNS1_3genE0ELNS1_11target_archE4294967295ELNS1_3gpuE0ELNS1_3repE0EEENS1_48merge_mergepath_partition_config_static_selectorELNS0_4arch9wavefront6targetE1EEEvSF_
; %bb.0:
	.section	.rodata,"a",@progbits
	.p2align	6, 0x0
	.amdhsa_kernel _ZN7rocprim17ROCPRIM_400000_NS6detail17trampoline_kernelINS0_14default_configENS1_38merge_sort_block_merge_config_selectorIdNS0_10empty_typeEEEZZNS1_27merge_sort_block_merge_implIS3_PdPS5_jNS1_19radix_merge_compareILb0ELb0EdNS0_19identity_decomposerEEEEE10hipError_tT0_T1_T2_jT3_P12ihipStream_tbPNSt15iterator_traitsISE_E10value_typeEPNSK_ISF_E10value_typeEPSG_NS1_7vsmem_tEENKUlT_SE_SF_SG_E_clIS8_S8_S9_S9_EESD_ST_SE_SF_SG_EUlST_E_NS1_11comp_targetILNS1_3genE0ELNS1_11target_archE4294967295ELNS1_3gpuE0ELNS1_3repE0EEENS1_48merge_mergepath_partition_config_static_selectorELNS0_4arch9wavefront6targetE1EEEvSF_
		.amdhsa_group_segment_fixed_size 0
		.amdhsa_private_segment_fixed_size 0
		.amdhsa_kernarg_size 40
		.amdhsa_user_sgpr_count 6
		.amdhsa_user_sgpr_private_segment_buffer 1
		.amdhsa_user_sgpr_dispatch_ptr 0
		.amdhsa_user_sgpr_queue_ptr 0
		.amdhsa_user_sgpr_kernarg_segment_ptr 1
		.amdhsa_user_sgpr_dispatch_id 0
		.amdhsa_user_sgpr_flat_scratch_init 0
		.amdhsa_user_sgpr_kernarg_preload_length 0
		.amdhsa_user_sgpr_kernarg_preload_offset 0
		.amdhsa_user_sgpr_private_segment_size 0
		.amdhsa_uses_dynamic_stack 0
		.amdhsa_system_sgpr_private_segment_wavefront_offset 0
		.amdhsa_system_sgpr_workgroup_id_x 1
		.amdhsa_system_sgpr_workgroup_id_y 0
		.amdhsa_system_sgpr_workgroup_id_z 0
		.amdhsa_system_sgpr_workgroup_info 0
		.amdhsa_system_vgpr_workitem_id 0
		.amdhsa_next_free_vgpr 1
		.amdhsa_next_free_sgpr 0
		.amdhsa_accum_offset 4
		.amdhsa_reserve_vcc 0
		.amdhsa_reserve_flat_scratch 0
		.amdhsa_float_round_mode_32 0
		.amdhsa_float_round_mode_16_64 0
		.amdhsa_float_denorm_mode_32 3
		.amdhsa_float_denorm_mode_16_64 3
		.amdhsa_dx10_clamp 1
		.amdhsa_ieee_mode 1
		.amdhsa_fp16_overflow 0
		.amdhsa_tg_split 0
		.amdhsa_exception_fp_ieee_invalid_op 0
		.amdhsa_exception_fp_denorm_src 0
		.amdhsa_exception_fp_ieee_div_zero 0
		.amdhsa_exception_fp_ieee_overflow 0
		.amdhsa_exception_fp_ieee_underflow 0
		.amdhsa_exception_fp_ieee_inexact 0
		.amdhsa_exception_int_div_zero 0
	.end_amdhsa_kernel
	.section	.text._ZN7rocprim17ROCPRIM_400000_NS6detail17trampoline_kernelINS0_14default_configENS1_38merge_sort_block_merge_config_selectorIdNS0_10empty_typeEEEZZNS1_27merge_sort_block_merge_implIS3_PdPS5_jNS1_19radix_merge_compareILb0ELb0EdNS0_19identity_decomposerEEEEE10hipError_tT0_T1_T2_jT3_P12ihipStream_tbPNSt15iterator_traitsISE_E10value_typeEPNSK_ISF_E10value_typeEPSG_NS1_7vsmem_tEENKUlT_SE_SF_SG_E_clIS8_S8_S9_S9_EESD_ST_SE_SF_SG_EUlST_E_NS1_11comp_targetILNS1_3genE0ELNS1_11target_archE4294967295ELNS1_3gpuE0ELNS1_3repE0EEENS1_48merge_mergepath_partition_config_static_selectorELNS0_4arch9wavefront6targetE1EEEvSF_,"axG",@progbits,_ZN7rocprim17ROCPRIM_400000_NS6detail17trampoline_kernelINS0_14default_configENS1_38merge_sort_block_merge_config_selectorIdNS0_10empty_typeEEEZZNS1_27merge_sort_block_merge_implIS3_PdPS5_jNS1_19radix_merge_compareILb0ELb0EdNS0_19identity_decomposerEEEEE10hipError_tT0_T1_T2_jT3_P12ihipStream_tbPNSt15iterator_traitsISE_E10value_typeEPNSK_ISF_E10value_typeEPSG_NS1_7vsmem_tEENKUlT_SE_SF_SG_E_clIS8_S8_S9_S9_EESD_ST_SE_SF_SG_EUlST_E_NS1_11comp_targetILNS1_3genE0ELNS1_11target_archE4294967295ELNS1_3gpuE0ELNS1_3repE0EEENS1_48merge_mergepath_partition_config_static_selectorELNS0_4arch9wavefront6targetE1EEEvSF_,comdat
.Lfunc_end1322:
	.size	_ZN7rocprim17ROCPRIM_400000_NS6detail17trampoline_kernelINS0_14default_configENS1_38merge_sort_block_merge_config_selectorIdNS0_10empty_typeEEEZZNS1_27merge_sort_block_merge_implIS3_PdPS5_jNS1_19radix_merge_compareILb0ELb0EdNS0_19identity_decomposerEEEEE10hipError_tT0_T1_T2_jT3_P12ihipStream_tbPNSt15iterator_traitsISE_E10value_typeEPNSK_ISF_E10value_typeEPSG_NS1_7vsmem_tEENKUlT_SE_SF_SG_E_clIS8_S8_S9_S9_EESD_ST_SE_SF_SG_EUlST_E_NS1_11comp_targetILNS1_3genE0ELNS1_11target_archE4294967295ELNS1_3gpuE0ELNS1_3repE0EEENS1_48merge_mergepath_partition_config_static_selectorELNS0_4arch9wavefront6targetE1EEEvSF_, .Lfunc_end1322-_ZN7rocprim17ROCPRIM_400000_NS6detail17trampoline_kernelINS0_14default_configENS1_38merge_sort_block_merge_config_selectorIdNS0_10empty_typeEEEZZNS1_27merge_sort_block_merge_implIS3_PdPS5_jNS1_19radix_merge_compareILb0ELb0EdNS0_19identity_decomposerEEEEE10hipError_tT0_T1_T2_jT3_P12ihipStream_tbPNSt15iterator_traitsISE_E10value_typeEPNSK_ISF_E10value_typeEPSG_NS1_7vsmem_tEENKUlT_SE_SF_SG_E_clIS8_S8_S9_S9_EESD_ST_SE_SF_SG_EUlST_E_NS1_11comp_targetILNS1_3genE0ELNS1_11target_archE4294967295ELNS1_3gpuE0ELNS1_3repE0EEENS1_48merge_mergepath_partition_config_static_selectorELNS0_4arch9wavefront6targetE1EEEvSF_
                                        ; -- End function
	.section	.AMDGPU.csdata,"",@progbits
; Kernel info:
; codeLenInByte = 0
; NumSgprs: 4
; NumVgprs: 0
; NumAgprs: 0
; TotalNumVgprs: 0
; ScratchSize: 0
; MemoryBound: 0
; FloatMode: 240
; IeeeMode: 1
; LDSByteSize: 0 bytes/workgroup (compile time only)
; SGPRBlocks: 0
; VGPRBlocks: 0
; NumSGPRsForWavesPerEU: 4
; NumVGPRsForWavesPerEU: 1
; AccumOffset: 4
; Occupancy: 8
; WaveLimiterHint : 0
; COMPUTE_PGM_RSRC2:SCRATCH_EN: 0
; COMPUTE_PGM_RSRC2:USER_SGPR: 6
; COMPUTE_PGM_RSRC2:TRAP_HANDLER: 0
; COMPUTE_PGM_RSRC2:TGID_X_EN: 1
; COMPUTE_PGM_RSRC2:TGID_Y_EN: 0
; COMPUTE_PGM_RSRC2:TGID_Z_EN: 0
; COMPUTE_PGM_RSRC2:TIDIG_COMP_CNT: 0
; COMPUTE_PGM_RSRC3_GFX90A:ACCUM_OFFSET: 0
; COMPUTE_PGM_RSRC3_GFX90A:TG_SPLIT: 0
	.section	.text._ZN7rocprim17ROCPRIM_400000_NS6detail17trampoline_kernelINS0_14default_configENS1_38merge_sort_block_merge_config_selectorIdNS0_10empty_typeEEEZZNS1_27merge_sort_block_merge_implIS3_PdPS5_jNS1_19radix_merge_compareILb0ELb0EdNS0_19identity_decomposerEEEEE10hipError_tT0_T1_T2_jT3_P12ihipStream_tbPNSt15iterator_traitsISE_E10value_typeEPNSK_ISF_E10value_typeEPSG_NS1_7vsmem_tEENKUlT_SE_SF_SG_E_clIS8_S8_S9_S9_EESD_ST_SE_SF_SG_EUlST_E_NS1_11comp_targetILNS1_3genE10ELNS1_11target_archE1201ELNS1_3gpuE5ELNS1_3repE0EEENS1_48merge_mergepath_partition_config_static_selectorELNS0_4arch9wavefront6targetE1EEEvSF_,"axG",@progbits,_ZN7rocprim17ROCPRIM_400000_NS6detail17trampoline_kernelINS0_14default_configENS1_38merge_sort_block_merge_config_selectorIdNS0_10empty_typeEEEZZNS1_27merge_sort_block_merge_implIS3_PdPS5_jNS1_19radix_merge_compareILb0ELb0EdNS0_19identity_decomposerEEEEE10hipError_tT0_T1_T2_jT3_P12ihipStream_tbPNSt15iterator_traitsISE_E10value_typeEPNSK_ISF_E10value_typeEPSG_NS1_7vsmem_tEENKUlT_SE_SF_SG_E_clIS8_S8_S9_S9_EESD_ST_SE_SF_SG_EUlST_E_NS1_11comp_targetILNS1_3genE10ELNS1_11target_archE1201ELNS1_3gpuE5ELNS1_3repE0EEENS1_48merge_mergepath_partition_config_static_selectorELNS0_4arch9wavefront6targetE1EEEvSF_,comdat
	.protected	_ZN7rocprim17ROCPRIM_400000_NS6detail17trampoline_kernelINS0_14default_configENS1_38merge_sort_block_merge_config_selectorIdNS0_10empty_typeEEEZZNS1_27merge_sort_block_merge_implIS3_PdPS5_jNS1_19radix_merge_compareILb0ELb0EdNS0_19identity_decomposerEEEEE10hipError_tT0_T1_T2_jT3_P12ihipStream_tbPNSt15iterator_traitsISE_E10value_typeEPNSK_ISF_E10value_typeEPSG_NS1_7vsmem_tEENKUlT_SE_SF_SG_E_clIS8_S8_S9_S9_EESD_ST_SE_SF_SG_EUlST_E_NS1_11comp_targetILNS1_3genE10ELNS1_11target_archE1201ELNS1_3gpuE5ELNS1_3repE0EEENS1_48merge_mergepath_partition_config_static_selectorELNS0_4arch9wavefront6targetE1EEEvSF_ ; -- Begin function _ZN7rocprim17ROCPRIM_400000_NS6detail17trampoline_kernelINS0_14default_configENS1_38merge_sort_block_merge_config_selectorIdNS0_10empty_typeEEEZZNS1_27merge_sort_block_merge_implIS3_PdPS5_jNS1_19radix_merge_compareILb0ELb0EdNS0_19identity_decomposerEEEEE10hipError_tT0_T1_T2_jT3_P12ihipStream_tbPNSt15iterator_traitsISE_E10value_typeEPNSK_ISF_E10value_typeEPSG_NS1_7vsmem_tEENKUlT_SE_SF_SG_E_clIS8_S8_S9_S9_EESD_ST_SE_SF_SG_EUlST_E_NS1_11comp_targetILNS1_3genE10ELNS1_11target_archE1201ELNS1_3gpuE5ELNS1_3repE0EEENS1_48merge_mergepath_partition_config_static_selectorELNS0_4arch9wavefront6targetE1EEEvSF_
	.globl	_ZN7rocprim17ROCPRIM_400000_NS6detail17trampoline_kernelINS0_14default_configENS1_38merge_sort_block_merge_config_selectorIdNS0_10empty_typeEEEZZNS1_27merge_sort_block_merge_implIS3_PdPS5_jNS1_19radix_merge_compareILb0ELb0EdNS0_19identity_decomposerEEEEE10hipError_tT0_T1_T2_jT3_P12ihipStream_tbPNSt15iterator_traitsISE_E10value_typeEPNSK_ISF_E10value_typeEPSG_NS1_7vsmem_tEENKUlT_SE_SF_SG_E_clIS8_S8_S9_S9_EESD_ST_SE_SF_SG_EUlST_E_NS1_11comp_targetILNS1_3genE10ELNS1_11target_archE1201ELNS1_3gpuE5ELNS1_3repE0EEENS1_48merge_mergepath_partition_config_static_selectorELNS0_4arch9wavefront6targetE1EEEvSF_
	.p2align	8
	.type	_ZN7rocprim17ROCPRIM_400000_NS6detail17trampoline_kernelINS0_14default_configENS1_38merge_sort_block_merge_config_selectorIdNS0_10empty_typeEEEZZNS1_27merge_sort_block_merge_implIS3_PdPS5_jNS1_19radix_merge_compareILb0ELb0EdNS0_19identity_decomposerEEEEE10hipError_tT0_T1_T2_jT3_P12ihipStream_tbPNSt15iterator_traitsISE_E10value_typeEPNSK_ISF_E10value_typeEPSG_NS1_7vsmem_tEENKUlT_SE_SF_SG_E_clIS8_S8_S9_S9_EESD_ST_SE_SF_SG_EUlST_E_NS1_11comp_targetILNS1_3genE10ELNS1_11target_archE1201ELNS1_3gpuE5ELNS1_3repE0EEENS1_48merge_mergepath_partition_config_static_selectorELNS0_4arch9wavefront6targetE1EEEvSF_,@function
_ZN7rocprim17ROCPRIM_400000_NS6detail17trampoline_kernelINS0_14default_configENS1_38merge_sort_block_merge_config_selectorIdNS0_10empty_typeEEEZZNS1_27merge_sort_block_merge_implIS3_PdPS5_jNS1_19radix_merge_compareILb0ELb0EdNS0_19identity_decomposerEEEEE10hipError_tT0_T1_T2_jT3_P12ihipStream_tbPNSt15iterator_traitsISE_E10value_typeEPNSK_ISF_E10value_typeEPSG_NS1_7vsmem_tEENKUlT_SE_SF_SG_E_clIS8_S8_S9_S9_EESD_ST_SE_SF_SG_EUlST_E_NS1_11comp_targetILNS1_3genE10ELNS1_11target_archE1201ELNS1_3gpuE5ELNS1_3repE0EEENS1_48merge_mergepath_partition_config_static_selectorELNS0_4arch9wavefront6targetE1EEEvSF_: ; @_ZN7rocprim17ROCPRIM_400000_NS6detail17trampoline_kernelINS0_14default_configENS1_38merge_sort_block_merge_config_selectorIdNS0_10empty_typeEEEZZNS1_27merge_sort_block_merge_implIS3_PdPS5_jNS1_19radix_merge_compareILb0ELb0EdNS0_19identity_decomposerEEEEE10hipError_tT0_T1_T2_jT3_P12ihipStream_tbPNSt15iterator_traitsISE_E10value_typeEPNSK_ISF_E10value_typeEPSG_NS1_7vsmem_tEENKUlT_SE_SF_SG_E_clIS8_S8_S9_S9_EESD_ST_SE_SF_SG_EUlST_E_NS1_11comp_targetILNS1_3genE10ELNS1_11target_archE1201ELNS1_3gpuE5ELNS1_3repE0EEENS1_48merge_mergepath_partition_config_static_selectorELNS0_4arch9wavefront6targetE1EEEvSF_
; %bb.0:
	.section	.rodata,"a",@progbits
	.p2align	6, 0x0
	.amdhsa_kernel _ZN7rocprim17ROCPRIM_400000_NS6detail17trampoline_kernelINS0_14default_configENS1_38merge_sort_block_merge_config_selectorIdNS0_10empty_typeEEEZZNS1_27merge_sort_block_merge_implIS3_PdPS5_jNS1_19radix_merge_compareILb0ELb0EdNS0_19identity_decomposerEEEEE10hipError_tT0_T1_T2_jT3_P12ihipStream_tbPNSt15iterator_traitsISE_E10value_typeEPNSK_ISF_E10value_typeEPSG_NS1_7vsmem_tEENKUlT_SE_SF_SG_E_clIS8_S8_S9_S9_EESD_ST_SE_SF_SG_EUlST_E_NS1_11comp_targetILNS1_3genE10ELNS1_11target_archE1201ELNS1_3gpuE5ELNS1_3repE0EEENS1_48merge_mergepath_partition_config_static_selectorELNS0_4arch9wavefront6targetE1EEEvSF_
		.amdhsa_group_segment_fixed_size 0
		.amdhsa_private_segment_fixed_size 0
		.amdhsa_kernarg_size 40
		.amdhsa_user_sgpr_count 6
		.amdhsa_user_sgpr_private_segment_buffer 1
		.amdhsa_user_sgpr_dispatch_ptr 0
		.amdhsa_user_sgpr_queue_ptr 0
		.amdhsa_user_sgpr_kernarg_segment_ptr 1
		.amdhsa_user_sgpr_dispatch_id 0
		.amdhsa_user_sgpr_flat_scratch_init 0
		.amdhsa_user_sgpr_kernarg_preload_length 0
		.amdhsa_user_sgpr_kernarg_preload_offset 0
		.amdhsa_user_sgpr_private_segment_size 0
		.amdhsa_uses_dynamic_stack 0
		.amdhsa_system_sgpr_private_segment_wavefront_offset 0
		.amdhsa_system_sgpr_workgroup_id_x 1
		.amdhsa_system_sgpr_workgroup_id_y 0
		.amdhsa_system_sgpr_workgroup_id_z 0
		.amdhsa_system_sgpr_workgroup_info 0
		.amdhsa_system_vgpr_workitem_id 0
		.amdhsa_next_free_vgpr 1
		.amdhsa_next_free_sgpr 0
		.amdhsa_accum_offset 4
		.amdhsa_reserve_vcc 0
		.amdhsa_reserve_flat_scratch 0
		.amdhsa_float_round_mode_32 0
		.amdhsa_float_round_mode_16_64 0
		.amdhsa_float_denorm_mode_32 3
		.amdhsa_float_denorm_mode_16_64 3
		.amdhsa_dx10_clamp 1
		.amdhsa_ieee_mode 1
		.amdhsa_fp16_overflow 0
		.amdhsa_tg_split 0
		.amdhsa_exception_fp_ieee_invalid_op 0
		.amdhsa_exception_fp_denorm_src 0
		.amdhsa_exception_fp_ieee_div_zero 0
		.amdhsa_exception_fp_ieee_overflow 0
		.amdhsa_exception_fp_ieee_underflow 0
		.amdhsa_exception_fp_ieee_inexact 0
		.amdhsa_exception_int_div_zero 0
	.end_amdhsa_kernel
	.section	.text._ZN7rocprim17ROCPRIM_400000_NS6detail17trampoline_kernelINS0_14default_configENS1_38merge_sort_block_merge_config_selectorIdNS0_10empty_typeEEEZZNS1_27merge_sort_block_merge_implIS3_PdPS5_jNS1_19radix_merge_compareILb0ELb0EdNS0_19identity_decomposerEEEEE10hipError_tT0_T1_T2_jT3_P12ihipStream_tbPNSt15iterator_traitsISE_E10value_typeEPNSK_ISF_E10value_typeEPSG_NS1_7vsmem_tEENKUlT_SE_SF_SG_E_clIS8_S8_S9_S9_EESD_ST_SE_SF_SG_EUlST_E_NS1_11comp_targetILNS1_3genE10ELNS1_11target_archE1201ELNS1_3gpuE5ELNS1_3repE0EEENS1_48merge_mergepath_partition_config_static_selectorELNS0_4arch9wavefront6targetE1EEEvSF_,"axG",@progbits,_ZN7rocprim17ROCPRIM_400000_NS6detail17trampoline_kernelINS0_14default_configENS1_38merge_sort_block_merge_config_selectorIdNS0_10empty_typeEEEZZNS1_27merge_sort_block_merge_implIS3_PdPS5_jNS1_19radix_merge_compareILb0ELb0EdNS0_19identity_decomposerEEEEE10hipError_tT0_T1_T2_jT3_P12ihipStream_tbPNSt15iterator_traitsISE_E10value_typeEPNSK_ISF_E10value_typeEPSG_NS1_7vsmem_tEENKUlT_SE_SF_SG_E_clIS8_S8_S9_S9_EESD_ST_SE_SF_SG_EUlST_E_NS1_11comp_targetILNS1_3genE10ELNS1_11target_archE1201ELNS1_3gpuE5ELNS1_3repE0EEENS1_48merge_mergepath_partition_config_static_selectorELNS0_4arch9wavefront6targetE1EEEvSF_,comdat
.Lfunc_end1323:
	.size	_ZN7rocprim17ROCPRIM_400000_NS6detail17trampoline_kernelINS0_14default_configENS1_38merge_sort_block_merge_config_selectorIdNS0_10empty_typeEEEZZNS1_27merge_sort_block_merge_implIS3_PdPS5_jNS1_19radix_merge_compareILb0ELb0EdNS0_19identity_decomposerEEEEE10hipError_tT0_T1_T2_jT3_P12ihipStream_tbPNSt15iterator_traitsISE_E10value_typeEPNSK_ISF_E10value_typeEPSG_NS1_7vsmem_tEENKUlT_SE_SF_SG_E_clIS8_S8_S9_S9_EESD_ST_SE_SF_SG_EUlST_E_NS1_11comp_targetILNS1_3genE10ELNS1_11target_archE1201ELNS1_3gpuE5ELNS1_3repE0EEENS1_48merge_mergepath_partition_config_static_selectorELNS0_4arch9wavefront6targetE1EEEvSF_, .Lfunc_end1323-_ZN7rocprim17ROCPRIM_400000_NS6detail17trampoline_kernelINS0_14default_configENS1_38merge_sort_block_merge_config_selectorIdNS0_10empty_typeEEEZZNS1_27merge_sort_block_merge_implIS3_PdPS5_jNS1_19radix_merge_compareILb0ELb0EdNS0_19identity_decomposerEEEEE10hipError_tT0_T1_T2_jT3_P12ihipStream_tbPNSt15iterator_traitsISE_E10value_typeEPNSK_ISF_E10value_typeEPSG_NS1_7vsmem_tEENKUlT_SE_SF_SG_E_clIS8_S8_S9_S9_EESD_ST_SE_SF_SG_EUlST_E_NS1_11comp_targetILNS1_3genE10ELNS1_11target_archE1201ELNS1_3gpuE5ELNS1_3repE0EEENS1_48merge_mergepath_partition_config_static_selectorELNS0_4arch9wavefront6targetE1EEEvSF_
                                        ; -- End function
	.section	.AMDGPU.csdata,"",@progbits
; Kernel info:
; codeLenInByte = 0
; NumSgprs: 4
; NumVgprs: 0
; NumAgprs: 0
; TotalNumVgprs: 0
; ScratchSize: 0
; MemoryBound: 0
; FloatMode: 240
; IeeeMode: 1
; LDSByteSize: 0 bytes/workgroup (compile time only)
; SGPRBlocks: 0
; VGPRBlocks: 0
; NumSGPRsForWavesPerEU: 4
; NumVGPRsForWavesPerEU: 1
; AccumOffset: 4
; Occupancy: 8
; WaveLimiterHint : 0
; COMPUTE_PGM_RSRC2:SCRATCH_EN: 0
; COMPUTE_PGM_RSRC2:USER_SGPR: 6
; COMPUTE_PGM_RSRC2:TRAP_HANDLER: 0
; COMPUTE_PGM_RSRC2:TGID_X_EN: 1
; COMPUTE_PGM_RSRC2:TGID_Y_EN: 0
; COMPUTE_PGM_RSRC2:TGID_Z_EN: 0
; COMPUTE_PGM_RSRC2:TIDIG_COMP_CNT: 0
; COMPUTE_PGM_RSRC3_GFX90A:ACCUM_OFFSET: 0
; COMPUTE_PGM_RSRC3_GFX90A:TG_SPLIT: 0
	.section	.text._ZN7rocprim17ROCPRIM_400000_NS6detail17trampoline_kernelINS0_14default_configENS1_38merge_sort_block_merge_config_selectorIdNS0_10empty_typeEEEZZNS1_27merge_sort_block_merge_implIS3_PdPS5_jNS1_19radix_merge_compareILb0ELb0EdNS0_19identity_decomposerEEEEE10hipError_tT0_T1_T2_jT3_P12ihipStream_tbPNSt15iterator_traitsISE_E10value_typeEPNSK_ISF_E10value_typeEPSG_NS1_7vsmem_tEENKUlT_SE_SF_SG_E_clIS8_S8_S9_S9_EESD_ST_SE_SF_SG_EUlST_E_NS1_11comp_targetILNS1_3genE5ELNS1_11target_archE942ELNS1_3gpuE9ELNS1_3repE0EEENS1_48merge_mergepath_partition_config_static_selectorELNS0_4arch9wavefront6targetE1EEEvSF_,"axG",@progbits,_ZN7rocprim17ROCPRIM_400000_NS6detail17trampoline_kernelINS0_14default_configENS1_38merge_sort_block_merge_config_selectorIdNS0_10empty_typeEEEZZNS1_27merge_sort_block_merge_implIS3_PdPS5_jNS1_19radix_merge_compareILb0ELb0EdNS0_19identity_decomposerEEEEE10hipError_tT0_T1_T2_jT3_P12ihipStream_tbPNSt15iterator_traitsISE_E10value_typeEPNSK_ISF_E10value_typeEPSG_NS1_7vsmem_tEENKUlT_SE_SF_SG_E_clIS8_S8_S9_S9_EESD_ST_SE_SF_SG_EUlST_E_NS1_11comp_targetILNS1_3genE5ELNS1_11target_archE942ELNS1_3gpuE9ELNS1_3repE0EEENS1_48merge_mergepath_partition_config_static_selectorELNS0_4arch9wavefront6targetE1EEEvSF_,comdat
	.protected	_ZN7rocprim17ROCPRIM_400000_NS6detail17trampoline_kernelINS0_14default_configENS1_38merge_sort_block_merge_config_selectorIdNS0_10empty_typeEEEZZNS1_27merge_sort_block_merge_implIS3_PdPS5_jNS1_19radix_merge_compareILb0ELb0EdNS0_19identity_decomposerEEEEE10hipError_tT0_T1_T2_jT3_P12ihipStream_tbPNSt15iterator_traitsISE_E10value_typeEPNSK_ISF_E10value_typeEPSG_NS1_7vsmem_tEENKUlT_SE_SF_SG_E_clIS8_S8_S9_S9_EESD_ST_SE_SF_SG_EUlST_E_NS1_11comp_targetILNS1_3genE5ELNS1_11target_archE942ELNS1_3gpuE9ELNS1_3repE0EEENS1_48merge_mergepath_partition_config_static_selectorELNS0_4arch9wavefront6targetE1EEEvSF_ ; -- Begin function _ZN7rocprim17ROCPRIM_400000_NS6detail17trampoline_kernelINS0_14default_configENS1_38merge_sort_block_merge_config_selectorIdNS0_10empty_typeEEEZZNS1_27merge_sort_block_merge_implIS3_PdPS5_jNS1_19radix_merge_compareILb0ELb0EdNS0_19identity_decomposerEEEEE10hipError_tT0_T1_T2_jT3_P12ihipStream_tbPNSt15iterator_traitsISE_E10value_typeEPNSK_ISF_E10value_typeEPSG_NS1_7vsmem_tEENKUlT_SE_SF_SG_E_clIS8_S8_S9_S9_EESD_ST_SE_SF_SG_EUlST_E_NS1_11comp_targetILNS1_3genE5ELNS1_11target_archE942ELNS1_3gpuE9ELNS1_3repE0EEENS1_48merge_mergepath_partition_config_static_selectorELNS0_4arch9wavefront6targetE1EEEvSF_
	.globl	_ZN7rocprim17ROCPRIM_400000_NS6detail17trampoline_kernelINS0_14default_configENS1_38merge_sort_block_merge_config_selectorIdNS0_10empty_typeEEEZZNS1_27merge_sort_block_merge_implIS3_PdPS5_jNS1_19radix_merge_compareILb0ELb0EdNS0_19identity_decomposerEEEEE10hipError_tT0_T1_T2_jT3_P12ihipStream_tbPNSt15iterator_traitsISE_E10value_typeEPNSK_ISF_E10value_typeEPSG_NS1_7vsmem_tEENKUlT_SE_SF_SG_E_clIS8_S8_S9_S9_EESD_ST_SE_SF_SG_EUlST_E_NS1_11comp_targetILNS1_3genE5ELNS1_11target_archE942ELNS1_3gpuE9ELNS1_3repE0EEENS1_48merge_mergepath_partition_config_static_selectorELNS0_4arch9wavefront6targetE1EEEvSF_
	.p2align	8
	.type	_ZN7rocprim17ROCPRIM_400000_NS6detail17trampoline_kernelINS0_14default_configENS1_38merge_sort_block_merge_config_selectorIdNS0_10empty_typeEEEZZNS1_27merge_sort_block_merge_implIS3_PdPS5_jNS1_19radix_merge_compareILb0ELb0EdNS0_19identity_decomposerEEEEE10hipError_tT0_T1_T2_jT3_P12ihipStream_tbPNSt15iterator_traitsISE_E10value_typeEPNSK_ISF_E10value_typeEPSG_NS1_7vsmem_tEENKUlT_SE_SF_SG_E_clIS8_S8_S9_S9_EESD_ST_SE_SF_SG_EUlST_E_NS1_11comp_targetILNS1_3genE5ELNS1_11target_archE942ELNS1_3gpuE9ELNS1_3repE0EEENS1_48merge_mergepath_partition_config_static_selectorELNS0_4arch9wavefront6targetE1EEEvSF_,@function
_ZN7rocprim17ROCPRIM_400000_NS6detail17trampoline_kernelINS0_14default_configENS1_38merge_sort_block_merge_config_selectorIdNS0_10empty_typeEEEZZNS1_27merge_sort_block_merge_implIS3_PdPS5_jNS1_19radix_merge_compareILb0ELb0EdNS0_19identity_decomposerEEEEE10hipError_tT0_T1_T2_jT3_P12ihipStream_tbPNSt15iterator_traitsISE_E10value_typeEPNSK_ISF_E10value_typeEPSG_NS1_7vsmem_tEENKUlT_SE_SF_SG_E_clIS8_S8_S9_S9_EESD_ST_SE_SF_SG_EUlST_E_NS1_11comp_targetILNS1_3genE5ELNS1_11target_archE942ELNS1_3gpuE9ELNS1_3repE0EEENS1_48merge_mergepath_partition_config_static_selectorELNS0_4arch9wavefront6targetE1EEEvSF_: ; @_ZN7rocprim17ROCPRIM_400000_NS6detail17trampoline_kernelINS0_14default_configENS1_38merge_sort_block_merge_config_selectorIdNS0_10empty_typeEEEZZNS1_27merge_sort_block_merge_implIS3_PdPS5_jNS1_19radix_merge_compareILb0ELb0EdNS0_19identity_decomposerEEEEE10hipError_tT0_T1_T2_jT3_P12ihipStream_tbPNSt15iterator_traitsISE_E10value_typeEPNSK_ISF_E10value_typeEPSG_NS1_7vsmem_tEENKUlT_SE_SF_SG_E_clIS8_S8_S9_S9_EESD_ST_SE_SF_SG_EUlST_E_NS1_11comp_targetILNS1_3genE5ELNS1_11target_archE942ELNS1_3gpuE9ELNS1_3repE0EEENS1_48merge_mergepath_partition_config_static_selectorELNS0_4arch9wavefront6targetE1EEEvSF_
; %bb.0:
	.section	.rodata,"a",@progbits
	.p2align	6, 0x0
	.amdhsa_kernel _ZN7rocprim17ROCPRIM_400000_NS6detail17trampoline_kernelINS0_14default_configENS1_38merge_sort_block_merge_config_selectorIdNS0_10empty_typeEEEZZNS1_27merge_sort_block_merge_implIS3_PdPS5_jNS1_19radix_merge_compareILb0ELb0EdNS0_19identity_decomposerEEEEE10hipError_tT0_T1_T2_jT3_P12ihipStream_tbPNSt15iterator_traitsISE_E10value_typeEPNSK_ISF_E10value_typeEPSG_NS1_7vsmem_tEENKUlT_SE_SF_SG_E_clIS8_S8_S9_S9_EESD_ST_SE_SF_SG_EUlST_E_NS1_11comp_targetILNS1_3genE5ELNS1_11target_archE942ELNS1_3gpuE9ELNS1_3repE0EEENS1_48merge_mergepath_partition_config_static_selectorELNS0_4arch9wavefront6targetE1EEEvSF_
		.amdhsa_group_segment_fixed_size 0
		.amdhsa_private_segment_fixed_size 0
		.amdhsa_kernarg_size 40
		.amdhsa_user_sgpr_count 6
		.amdhsa_user_sgpr_private_segment_buffer 1
		.amdhsa_user_sgpr_dispatch_ptr 0
		.amdhsa_user_sgpr_queue_ptr 0
		.amdhsa_user_sgpr_kernarg_segment_ptr 1
		.amdhsa_user_sgpr_dispatch_id 0
		.amdhsa_user_sgpr_flat_scratch_init 0
		.amdhsa_user_sgpr_kernarg_preload_length 0
		.amdhsa_user_sgpr_kernarg_preload_offset 0
		.amdhsa_user_sgpr_private_segment_size 0
		.amdhsa_uses_dynamic_stack 0
		.amdhsa_system_sgpr_private_segment_wavefront_offset 0
		.amdhsa_system_sgpr_workgroup_id_x 1
		.amdhsa_system_sgpr_workgroup_id_y 0
		.amdhsa_system_sgpr_workgroup_id_z 0
		.amdhsa_system_sgpr_workgroup_info 0
		.amdhsa_system_vgpr_workitem_id 0
		.amdhsa_next_free_vgpr 1
		.amdhsa_next_free_sgpr 0
		.amdhsa_accum_offset 4
		.amdhsa_reserve_vcc 0
		.amdhsa_reserve_flat_scratch 0
		.amdhsa_float_round_mode_32 0
		.amdhsa_float_round_mode_16_64 0
		.amdhsa_float_denorm_mode_32 3
		.amdhsa_float_denorm_mode_16_64 3
		.amdhsa_dx10_clamp 1
		.amdhsa_ieee_mode 1
		.amdhsa_fp16_overflow 0
		.amdhsa_tg_split 0
		.amdhsa_exception_fp_ieee_invalid_op 0
		.amdhsa_exception_fp_denorm_src 0
		.amdhsa_exception_fp_ieee_div_zero 0
		.amdhsa_exception_fp_ieee_overflow 0
		.amdhsa_exception_fp_ieee_underflow 0
		.amdhsa_exception_fp_ieee_inexact 0
		.amdhsa_exception_int_div_zero 0
	.end_amdhsa_kernel
	.section	.text._ZN7rocprim17ROCPRIM_400000_NS6detail17trampoline_kernelINS0_14default_configENS1_38merge_sort_block_merge_config_selectorIdNS0_10empty_typeEEEZZNS1_27merge_sort_block_merge_implIS3_PdPS5_jNS1_19radix_merge_compareILb0ELb0EdNS0_19identity_decomposerEEEEE10hipError_tT0_T1_T2_jT3_P12ihipStream_tbPNSt15iterator_traitsISE_E10value_typeEPNSK_ISF_E10value_typeEPSG_NS1_7vsmem_tEENKUlT_SE_SF_SG_E_clIS8_S8_S9_S9_EESD_ST_SE_SF_SG_EUlST_E_NS1_11comp_targetILNS1_3genE5ELNS1_11target_archE942ELNS1_3gpuE9ELNS1_3repE0EEENS1_48merge_mergepath_partition_config_static_selectorELNS0_4arch9wavefront6targetE1EEEvSF_,"axG",@progbits,_ZN7rocprim17ROCPRIM_400000_NS6detail17trampoline_kernelINS0_14default_configENS1_38merge_sort_block_merge_config_selectorIdNS0_10empty_typeEEEZZNS1_27merge_sort_block_merge_implIS3_PdPS5_jNS1_19radix_merge_compareILb0ELb0EdNS0_19identity_decomposerEEEEE10hipError_tT0_T1_T2_jT3_P12ihipStream_tbPNSt15iterator_traitsISE_E10value_typeEPNSK_ISF_E10value_typeEPSG_NS1_7vsmem_tEENKUlT_SE_SF_SG_E_clIS8_S8_S9_S9_EESD_ST_SE_SF_SG_EUlST_E_NS1_11comp_targetILNS1_3genE5ELNS1_11target_archE942ELNS1_3gpuE9ELNS1_3repE0EEENS1_48merge_mergepath_partition_config_static_selectorELNS0_4arch9wavefront6targetE1EEEvSF_,comdat
.Lfunc_end1324:
	.size	_ZN7rocprim17ROCPRIM_400000_NS6detail17trampoline_kernelINS0_14default_configENS1_38merge_sort_block_merge_config_selectorIdNS0_10empty_typeEEEZZNS1_27merge_sort_block_merge_implIS3_PdPS5_jNS1_19radix_merge_compareILb0ELb0EdNS0_19identity_decomposerEEEEE10hipError_tT0_T1_T2_jT3_P12ihipStream_tbPNSt15iterator_traitsISE_E10value_typeEPNSK_ISF_E10value_typeEPSG_NS1_7vsmem_tEENKUlT_SE_SF_SG_E_clIS8_S8_S9_S9_EESD_ST_SE_SF_SG_EUlST_E_NS1_11comp_targetILNS1_3genE5ELNS1_11target_archE942ELNS1_3gpuE9ELNS1_3repE0EEENS1_48merge_mergepath_partition_config_static_selectorELNS0_4arch9wavefront6targetE1EEEvSF_, .Lfunc_end1324-_ZN7rocprim17ROCPRIM_400000_NS6detail17trampoline_kernelINS0_14default_configENS1_38merge_sort_block_merge_config_selectorIdNS0_10empty_typeEEEZZNS1_27merge_sort_block_merge_implIS3_PdPS5_jNS1_19radix_merge_compareILb0ELb0EdNS0_19identity_decomposerEEEEE10hipError_tT0_T1_T2_jT3_P12ihipStream_tbPNSt15iterator_traitsISE_E10value_typeEPNSK_ISF_E10value_typeEPSG_NS1_7vsmem_tEENKUlT_SE_SF_SG_E_clIS8_S8_S9_S9_EESD_ST_SE_SF_SG_EUlST_E_NS1_11comp_targetILNS1_3genE5ELNS1_11target_archE942ELNS1_3gpuE9ELNS1_3repE0EEENS1_48merge_mergepath_partition_config_static_selectorELNS0_4arch9wavefront6targetE1EEEvSF_
                                        ; -- End function
	.section	.AMDGPU.csdata,"",@progbits
; Kernel info:
; codeLenInByte = 0
; NumSgprs: 4
; NumVgprs: 0
; NumAgprs: 0
; TotalNumVgprs: 0
; ScratchSize: 0
; MemoryBound: 0
; FloatMode: 240
; IeeeMode: 1
; LDSByteSize: 0 bytes/workgroup (compile time only)
; SGPRBlocks: 0
; VGPRBlocks: 0
; NumSGPRsForWavesPerEU: 4
; NumVGPRsForWavesPerEU: 1
; AccumOffset: 4
; Occupancy: 8
; WaveLimiterHint : 0
; COMPUTE_PGM_RSRC2:SCRATCH_EN: 0
; COMPUTE_PGM_RSRC2:USER_SGPR: 6
; COMPUTE_PGM_RSRC2:TRAP_HANDLER: 0
; COMPUTE_PGM_RSRC2:TGID_X_EN: 1
; COMPUTE_PGM_RSRC2:TGID_Y_EN: 0
; COMPUTE_PGM_RSRC2:TGID_Z_EN: 0
; COMPUTE_PGM_RSRC2:TIDIG_COMP_CNT: 0
; COMPUTE_PGM_RSRC3_GFX90A:ACCUM_OFFSET: 0
; COMPUTE_PGM_RSRC3_GFX90A:TG_SPLIT: 0
	.section	.text._ZN7rocprim17ROCPRIM_400000_NS6detail17trampoline_kernelINS0_14default_configENS1_38merge_sort_block_merge_config_selectorIdNS0_10empty_typeEEEZZNS1_27merge_sort_block_merge_implIS3_PdPS5_jNS1_19radix_merge_compareILb0ELb0EdNS0_19identity_decomposerEEEEE10hipError_tT0_T1_T2_jT3_P12ihipStream_tbPNSt15iterator_traitsISE_E10value_typeEPNSK_ISF_E10value_typeEPSG_NS1_7vsmem_tEENKUlT_SE_SF_SG_E_clIS8_S8_S9_S9_EESD_ST_SE_SF_SG_EUlST_E_NS1_11comp_targetILNS1_3genE4ELNS1_11target_archE910ELNS1_3gpuE8ELNS1_3repE0EEENS1_48merge_mergepath_partition_config_static_selectorELNS0_4arch9wavefront6targetE1EEEvSF_,"axG",@progbits,_ZN7rocprim17ROCPRIM_400000_NS6detail17trampoline_kernelINS0_14default_configENS1_38merge_sort_block_merge_config_selectorIdNS0_10empty_typeEEEZZNS1_27merge_sort_block_merge_implIS3_PdPS5_jNS1_19radix_merge_compareILb0ELb0EdNS0_19identity_decomposerEEEEE10hipError_tT0_T1_T2_jT3_P12ihipStream_tbPNSt15iterator_traitsISE_E10value_typeEPNSK_ISF_E10value_typeEPSG_NS1_7vsmem_tEENKUlT_SE_SF_SG_E_clIS8_S8_S9_S9_EESD_ST_SE_SF_SG_EUlST_E_NS1_11comp_targetILNS1_3genE4ELNS1_11target_archE910ELNS1_3gpuE8ELNS1_3repE0EEENS1_48merge_mergepath_partition_config_static_selectorELNS0_4arch9wavefront6targetE1EEEvSF_,comdat
	.protected	_ZN7rocprim17ROCPRIM_400000_NS6detail17trampoline_kernelINS0_14default_configENS1_38merge_sort_block_merge_config_selectorIdNS0_10empty_typeEEEZZNS1_27merge_sort_block_merge_implIS3_PdPS5_jNS1_19radix_merge_compareILb0ELb0EdNS0_19identity_decomposerEEEEE10hipError_tT0_T1_T2_jT3_P12ihipStream_tbPNSt15iterator_traitsISE_E10value_typeEPNSK_ISF_E10value_typeEPSG_NS1_7vsmem_tEENKUlT_SE_SF_SG_E_clIS8_S8_S9_S9_EESD_ST_SE_SF_SG_EUlST_E_NS1_11comp_targetILNS1_3genE4ELNS1_11target_archE910ELNS1_3gpuE8ELNS1_3repE0EEENS1_48merge_mergepath_partition_config_static_selectorELNS0_4arch9wavefront6targetE1EEEvSF_ ; -- Begin function _ZN7rocprim17ROCPRIM_400000_NS6detail17trampoline_kernelINS0_14default_configENS1_38merge_sort_block_merge_config_selectorIdNS0_10empty_typeEEEZZNS1_27merge_sort_block_merge_implIS3_PdPS5_jNS1_19radix_merge_compareILb0ELb0EdNS0_19identity_decomposerEEEEE10hipError_tT0_T1_T2_jT3_P12ihipStream_tbPNSt15iterator_traitsISE_E10value_typeEPNSK_ISF_E10value_typeEPSG_NS1_7vsmem_tEENKUlT_SE_SF_SG_E_clIS8_S8_S9_S9_EESD_ST_SE_SF_SG_EUlST_E_NS1_11comp_targetILNS1_3genE4ELNS1_11target_archE910ELNS1_3gpuE8ELNS1_3repE0EEENS1_48merge_mergepath_partition_config_static_selectorELNS0_4arch9wavefront6targetE1EEEvSF_
	.globl	_ZN7rocprim17ROCPRIM_400000_NS6detail17trampoline_kernelINS0_14default_configENS1_38merge_sort_block_merge_config_selectorIdNS0_10empty_typeEEEZZNS1_27merge_sort_block_merge_implIS3_PdPS5_jNS1_19radix_merge_compareILb0ELb0EdNS0_19identity_decomposerEEEEE10hipError_tT0_T1_T2_jT3_P12ihipStream_tbPNSt15iterator_traitsISE_E10value_typeEPNSK_ISF_E10value_typeEPSG_NS1_7vsmem_tEENKUlT_SE_SF_SG_E_clIS8_S8_S9_S9_EESD_ST_SE_SF_SG_EUlST_E_NS1_11comp_targetILNS1_3genE4ELNS1_11target_archE910ELNS1_3gpuE8ELNS1_3repE0EEENS1_48merge_mergepath_partition_config_static_selectorELNS0_4arch9wavefront6targetE1EEEvSF_
	.p2align	8
	.type	_ZN7rocprim17ROCPRIM_400000_NS6detail17trampoline_kernelINS0_14default_configENS1_38merge_sort_block_merge_config_selectorIdNS0_10empty_typeEEEZZNS1_27merge_sort_block_merge_implIS3_PdPS5_jNS1_19radix_merge_compareILb0ELb0EdNS0_19identity_decomposerEEEEE10hipError_tT0_T1_T2_jT3_P12ihipStream_tbPNSt15iterator_traitsISE_E10value_typeEPNSK_ISF_E10value_typeEPSG_NS1_7vsmem_tEENKUlT_SE_SF_SG_E_clIS8_S8_S9_S9_EESD_ST_SE_SF_SG_EUlST_E_NS1_11comp_targetILNS1_3genE4ELNS1_11target_archE910ELNS1_3gpuE8ELNS1_3repE0EEENS1_48merge_mergepath_partition_config_static_selectorELNS0_4arch9wavefront6targetE1EEEvSF_,@function
_ZN7rocprim17ROCPRIM_400000_NS6detail17trampoline_kernelINS0_14default_configENS1_38merge_sort_block_merge_config_selectorIdNS0_10empty_typeEEEZZNS1_27merge_sort_block_merge_implIS3_PdPS5_jNS1_19radix_merge_compareILb0ELb0EdNS0_19identity_decomposerEEEEE10hipError_tT0_T1_T2_jT3_P12ihipStream_tbPNSt15iterator_traitsISE_E10value_typeEPNSK_ISF_E10value_typeEPSG_NS1_7vsmem_tEENKUlT_SE_SF_SG_E_clIS8_S8_S9_S9_EESD_ST_SE_SF_SG_EUlST_E_NS1_11comp_targetILNS1_3genE4ELNS1_11target_archE910ELNS1_3gpuE8ELNS1_3repE0EEENS1_48merge_mergepath_partition_config_static_selectorELNS0_4arch9wavefront6targetE1EEEvSF_: ; @_ZN7rocprim17ROCPRIM_400000_NS6detail17trampoline_kernelINS0_14default_configENS1_38merge_sort_block_merge_config_selectorIdNS0_10empty_typeEEEZZNS1_27merge_sort_block_merge_implIS3_PdPS5_jNS1_19radix_merge_compareILb0ELb0EdNS0_19identity_decomposerEEEEE10hipError_tT0_T1_T2_jT3_P12ihipStream_tbPNSt15iterator_traitsISE_E10value_typeEPNSK_ISF_E10value_typeEPSG_NS1_7vsmem_tEENKUlT_SE_SF_SG_E_clIS8_S8_S9_S9_EESD_ST_SE_SF_SG_EUlST_E_NS1_11comp_targetILNS1_3genE4ELNS1_11target_archE910ELNS1_3gpuE8ELNS1_3repE0EEENS1_48merge_mergepath_partition_config_static_selectorELNS0_4arch9wavefront6targetE1EEEvSF_
; %bb.0:
	s_load_dword s0, s[4:5], 0x0
	v_lshl_or_b32 v0, s6, 7, v0
	s_waitcnt lgkmcnt(0)
	v_cmp_gt_u32_e32 vcc, s0, v0
	s_and_saveexec_b64 s[0:1], vcc
	s_cbranch_execz .LBB1325_6
; %bb.1:
	s_load_dwordx2 s[2:3], s[4:5], 0x4
	s_load_dwordx2 s[0:1], s[4:5], 0x20
	s_waitcnt lgkmcnt(0)
	s_lshr_b32 s6, s2, 9
	s_and_b32 s6, s6, 0x7ffffe
	s_add_i32 s7, s6, -1
	s_sub_i32 s6, 0, s6
	v_and_b32_e32 v1, s6, v0
	v_lshlrev_b32_e32 v1, 10, v1
	v_min_u32_e32 v2, s3, v1
	v_add_u32_e32 v1, s2, v1
	v_min_u32_e32 v4, s3, v1
	v_add_u32_e32 v1, s2, v4
	v_and_b32_e32 v3, s7, v0
	v_min_u32_e32 v1, s3, v1
	v_sub_u32_e32 v5, v1, v2
	v_lshlrev_b32_e32 v3, 10, v3
	v_min_u32_e32 v6, v5, v3
	v_sub_u32_e32 v3, v4, v2
	v_sub_u32_e32 v1, v1, v4
	v_sub_u32_e64 v1, v6, v1 clamp
	v_min_u32_e32 v7, v6, v3
	v_cmp_lt_u32_e32 vcc, v1, v7
	s_and_saveexec_b64 s[2:3], vcc
	s_cbranch_execz .LBB1325_5
; %bb.2:
	s_load_dwordx2 s[4:5], s[4:5], 0x10
	v_mov_b32_e32 v5, 0
	v_mov_b32_e32 v3, v5
	v_lshlrev_b64 v[8:9], 3, v[2:3]
	v_lshlrev_b64 v[10:11], 3, v[4:5]
	s_waitcnt lgkmcnt(0)
	v_mov_b32_e32 v12, s5
	v_add_co_u32_e32 v3, vcc, s4, v8
	v_addc_co_u32_e32 v8, vcc, v12, v9, vcc
	v_add_co_u32_e32 v9, vcc, s4, v10
	v_addc_co_u32_e32 v10, vcc, v12, v11, vcc
	s_mov_b64 s[4:5], 0
.LBB1325_3:                             ; =>This Inner Loop Header: Depth=1
	v_add_u32_e32 v4, v7, v1
	v_lshrrev_b32_e32 v4, 1, v4
	v_lshlrev_b64 v[14:15], 3, v[4:5]
	v_mov_b32_e32 v13, v5
	v_xad_u32 v12, v4, -1, v6
	v_add_co_u32_e32 v14, vcc, v3, v14
	v_addc_co_u32_e32 v15, vcc, v8, v15, vcc
	v_lshlrev_b64 v[12:13], 3, v[12:13]
	v_add_co_u32_e32 v12, vcc, v9, v12
	v_addc_co_u32_e32 v13, vcc, v10, v13, vcc
	global_load_dwordx2 v[16:17], v[14:15], off
	global_load_dwordx2 v[18:19], v[12:13], off
	v_add_u32_e32 v11, 1, v4
	s_waitcnt vmcnt(1)
	v_add_f64 v[12:13], v[16:17], 0
	s_waitcnt vmcnt(0)
	v_add_f64 v[14:15], v[18:19], 0
	v_ashrrev_i32_e32 v16, 31, v13
	v_or_b32_e32 v17, 0x80000000, v16
	v_xor_b32_e32 v12, v16, v12
	v_ashrrev_i32_e32 v16, 31, v15
	v_xor_b32_e32 v13, v17, v13
	v_or_b32_e32 v17, 0x80000000, v16
	v_xor_b32_e32 v14, v16, v14
	v_xor_b32_e32 v15, v17, v15
	v_cmp_gt_u64_e32 vcc, v[12:13], v[14:15]
	v_cndmask_b32_e32 v7, v7, v4, vcc
	v_cndmask_b32_e32 v1, v11, v1, vcc
	v_cmp_ge_u32_e32 vcc, v1, v7
	s_or_b64 s[4:5], vcc, s[4:5]
	s_andn2_b64 exec, exec, s[4:5]
	s_cbranch_execnz .LBB1325_3
; %bb.4:
	s_or_b64 exec, exec, s[4:5]
.LBB1325_5:
	s_or_b64 exec, exec, s[2:3]
	v_add_u32_e32 v2, v1, v2
	v_mov_b32_e32 v1, 0
	v_lshlrev_b64 v[0:1], 2, v[0:1]
	v_mov_b32_e32 v3, s1
	v_add_co_u32_e32 v0, vcc, s0, v0
	v_addc_co_u32_e32 v1, vcc, v3, v1, vcc
	global_store_dword v[0:1], v2, off
.LBB1325_6:
	s_endpgm
	.section	.rodata,"a",@progbits
	.p2align	6, 0x0
	.amdhsa_kernel _ZN7rocprim17ROCPRIM_400000_NS6detail17trampoline_kernelINS0_14default_configENS1_38merge_sort_block_merge_config_selectorIdNS0_10empty_typeEEEZZNS1_27merge_sort_block_merge_implIS3_PdPS5_jNS1_19radix_merge_compareILb0ELb0EdNS0_19identity_decomposerEEEEE10hipError_tT0_T1_T2_jT3_P12ihipStream_tbPNSt15iterator_traitsISE_E10value_typeEPNSK_ISF_E10value_typeEPSG_NS1_7vsmem_tEENKUlT_SE_SF_SG_E_clIS8_S8_S9_S9_EESD_ST_SE_SF_SG_EUlST_E_NS1_11comp_targetILNS1_3genE4ELNS1_11target_archE910ELNS1_3gpuE8ELNS1_3repE0EEENS1_48merge_mergepath_partition_config_static_selectorELNS0_4arch9wavefront6targetE1EEEvSF_
		.amdhsa_group_segment_fixed_size 0
		.amdhsa_private_segment_fixed_size 0
		.amdhsa_kernarg_size 40
		.amdhsa_user_sgpr_count 6
		.amdhsa_user_sgpr_private_segment_buffer 1
		.amdhsa_user_sgpr_dispatch_ptr 0
		.amdhsa_user_sgpr_queue_ptr 0
		.amdhsa_user_sgpr_kernarg_segment_ptr 1
		.amdhsa_user_sgpr_dispatch_id 0
		.amdhsa_user_sgpr_flat_scratch_init 0
		.amdhsa_user_sgpr_kernarg_preload_length 0
		.amdhsa_user_sgpr_kernarg_preload_offset 0
		.amdhsa_user_sgpr_private_segment_size 0
		.amdhsa_uses_dynamic_stack 0
		.amdhsa_system_sgpr_private_segment_wavefront_offset 0
		.amdhsa_system_sgpr_workgroup_id_x 1
		.amdhsa_system_sgpr_workgroup_id_y 0
		.amdhsa_system_sgpr_workgroup_id_z 0
		.amdhsa_system_sgpr_workgroup_info 0
		.amdhsa_system_vgpr_workitem_id 0
		.amdhsa_next_free_vgpr 20
		.amdhsa_next_free_sgpr 8
		.amdhsa_accum_offset 20
		.amdhsa_reserve_vcc 1
		.amdhsa_reserve_flat_scratch 0
		.amdhsa_float_round_mode_32 0
		.amdhsa_float_round_mode_16_64 0
		.amdhsa_float_denorm_mode_32 3
		.amdhsa_float_denorm_mode_16_64 3
		.amdhsa_dx10_clamp 1
		.amdhsa_ieee_mode 1
		.amdhsa_fp16_overflow 0
		.amdhsa_tg_split 0
		.amdhsa_exception_fp_ieee_invalid_op 0
		.amdhsa_exception_fp_denorm_src 0
		.amdhsa_exception_fp_ieee_div_zero 0
		.amdhsa_exception_fp_ieee_overflow 0
		.amdhsa_exception_fp_ieee_underflow 0
		.amdhsa_exception_fp_ieee_inexact 0
		.amdhsa_exception_int_div_zero 0
	.end_amdhsa_kernel
	.section	.text._ZN7rocprim17ROCPRIM_400000_NS6detail17trampoline_kernelINS0_14default_configENS1_38merge_sort_block_merge_config_selectorIdNS0_10empty_typeEEEZZNS1_27merge_sort_block_merge_implIS3_PdPS5_jNS1_19radix_merge_compareILb0ELb0EdNS0_19identity_decomposerEEEEE10hipError_tT0_T1_T2_jT3_P12ihipStream_tbPNSt15iterator_traitsISE_E10value_typeEPNSK_ISF_E10value_typeEPSG_NS1_7vsmem_tEENKUlT_SE_SF_SG_E_clIS8_S8_S9_S9_EESD_ST_SE_SF_SG_EUlST_E_NS1_11comp_targetILNS1_3genE4ELNS1_11target_archE910ELNS1_3gpuE8ELNS1_3repE0EEENS1_48merge_mergepath_partition_config_static_selectorELNS0_4arch9wavefront6targetE1EEEvSF_,"axG",@progbits,_ZN7rocprim17ROCPRIM_400000_NS6detail17trampoline_kernelINS0_14default_configENS1_38merge_sort_block_merge_config_selectorIdNS0_10empty_typeEEEZZNS1_27merge_sort_block_merge_implIS3_PdPS5_jNS1_19radix_merge_compareILb0ELb0EdNS0_19identity_decomposerEEEEE10hipError_tT0_T1_T2_jT3_P12ihipStream_tbPNSt15iterator_traitsISE_E10value_typeEPNSK_ISF_E10value_typeEPSG_NS1_7vsmem_tEENKUlT_SE_SF_SG_E_clIS8_S8_S9_S9_EESD_ST_SE_SF_SG_EUlST_E_NS1_11comp_targetILNS1_3genE4ELNS1_11target_archE910ELNS1_3gpuE8ELNS1_3repE0EEENS1_48merge_mergepath_partition_config_static_selectorELNS0_4arch9wavefront6targetE1EEEvSF_,comdat
.Lfunc_end1325:
	.size	_ZN7rocprim17ROCPRIM_400000_NS6detail17trampoline_kernelINS0_14default_configENS1_38merge_sort_block_merge_config_selectorIdNS0_10empty_typeEEEZZNS1_27merge_sort_block_merge_implIS3_PdPS5_jNS1_19radix_merge_compareILb0ELb0EdNS0_19identity_decomposerEEEEE10hipError_tT0_T1_T2_jT3_P12ihipStream_tbPNSt15iterator_traitsISE_E10value_typeEPNSK_ISF_E10value_typeEPSG_NS1_7vsmem_tEENKUlT_SE_SF_SG_E_clIS8_S8_S9_S9_EESD_ST_SE_SF_SG_EUlST_E_NS1_11comp_targetILNS1_3genE4ELNS1_11target_archE910ELNS1_3gpuE8ELNS1_3repE0EEENS1_48merge_mergepath_partition_config_static_selectorELNS0_4arch9wavefront6targetE1EEEvSF_, .Lfunc_end1325-_ZN7rocprim17ROCPRIM_400000_NS6detail17trampoline_kernelINS0_14default_configENS1_38merge_sort_block_merge_config_selectorIdNS0_10empty_typeEEEZZNS1_27merge_sort_block_merge_implIS3_PdPS5_jNS1_19radix_merge_compareILb0ELb0EdNS0_19identity_decomposerEEEEE10hipError_tT0_T1_T2_jT3_P12ihipStream_tbPNSt15iterator_traitsISE_E10value_typeEPNSK_ISF_E10value_typeEPSG_NS1_7vsmem_tEENKUlT_SE_SF_SG_E_clIS8_S8_S9_S9_EESD_ST_SE_SF_SG_EUlST_E_NS1_11comp_targetILNS1_3genE4ELNS1_11target_archE910ELNS1_3gpuE8ELNS1_3repE0EEENS1_48merge_mergepath_partition_config_static_selectorELNS0_4arch9wavefront6targetE1EEEvSF_
                                        ; -- End function
	.section	.AMDGPU.csdata,"",@progbits
; Kernel info:
; codeLenInByte = 420
; NumSgprs: 12
; NumVgprs: 20
; NumAgprs: 0
; TotalNumVgprs: 20
; ScratchSize: 0
; MemoryBound: 0
; FloatMode: 240
; IeeeMode: 1
; LDSByteSize: 0 bytes/workgroup (compile time only)
; SGPRBlocks: 1
; VGPRBlocks: 2
; NumSGPRsForWavesPerEU: 12
; NumVGPRsForWavesPerEU: 20
; AccumOffset: 20
; Occupancy: 8
; WaveLimiterHint : 0
; COMPUTE_PGM_RSRC2:SCRATCH_EN: 0
; COMPUTE_PGM_RSRC2:USER_SGPR: 6
; COMPUTE_PGM_RSRC2:TRAP_HANDLER: 0
; COMPUTE_PGM_RSRC2:TGID_X_EN: 1
; COMPUTE_PGM_RSRC2:TGID_Y_EN: 0
; COMPUTE_PGM_RSRC2:TGID_Z_EN: 0
; COMPUTE_PGM_RSRC2:TIDIG_COMP_CNT: 0
; COMPUTE_PGM_RSRC3_GFX90A:ACCUM_OFFSET: 4
; COMPUTE_PGM_RSRC3_GFX90A:TG_SPLIT: 0
	.section	.text._ZN7rocprim17ROCPRIM_400000_NS6detail17trampoline_kernelINS0_14default_configENS1_38merge_sort_block_merge_config_selectorIdNS0_10empty_typeEEEZZNS1_27merge_sort_block_merge_implIS3_PdPS5_jNS1_19radix_merge_compareILb0ELb0EdNS0_19identity_decomposerEEEEE10hipError_tT0_T1_T2_jT3_P12ihipStream_tbPNSt15iterator_traitsISE_E10value_typeEPNSK_ISF_E10value_typeEPSG_NS1_7vsmem_tEENKUlT_SE_SF_SG_E_clIS8_S8_S9_S9_EESD_ST_SE_SF_SG_EUlST_E_NS1_11comp_targetILNS1_3genE3ELNS1_11target_archE908ELNS1_3gpuE7ELNS1_3repE0EEENS1_48merge_mergepath_partition_config_static_selectorELNS0_4arch9wavefront6targetE1EEEvSF_,"axG",@progbits,_ZN7rocprim17ROCPRIM_400000_NS6detail17trampoline_kernelINS0_14default_configENS1_38merge_sort_block_merge_config_selectorIdNS0_10empty_typeEEEZZNS1_27merge_sort_block_merge_implIS3_PdPS5_jNS1_19radix_merge_compareILb0ELb0EdNS0_19identity_decomposerEEEEE10hipError_tT0_T1_T2_jT3_P12ihipStream_tbPNSt15iterator_traitsISE_E10value_typeEPNSK_ISF_E10value_typeEPSG_NS1_7vsmem_tEENKUlT_SE_SF_SG_E_clIS8_S8_S9_S9_EESD_ST_SE_SF_SG_EUlST_E_NS1_11comp_targetILNS1_3genE3ELNS1_11target_archE908ELNS1_3gpuE7ELNS1_3repE0EEENS1_48merge_mergepath_partition_config_static_selectorELNS0_4arch9wavefront6targetE1EEEvSF_,comdat
	.protected	_ZN7rocprim17ROCPRIM_400000_NS6detail17trampoline_kernelINS0_14default_configENS1_38merge_sort_block_merge_config_selectorIdNS0_10empty_typeEEEZZNS1_27merge_sort_block_merge_implIS3_PdPS5_jNS1_19radix_merge_compareILb0ELb0EdNS0_19identity_decomposerEEEEE10hipError_tT0_T1_T2_jT3_P12ihipStream_tbPNSt15iterator_traitsISE_E10value_typeEPNSK_ISF_E10value_typeEPSG_NS1_7vsmem_tEENKUlT_SE_SF_SG_E_clIS8_S8_S9_S9_EESD_ST_SE_SF_SG_EUlST_E_NS1_11comp_targetILNS1_3genE3ELNS1_11target_archE908ELNS1_3gpuE7ELNS1_3repE0EEENS1_48merge_mergepath_partition_config_static_selectorELNS0_4arch9wavefront6targetE1EEEvSF_ ; -- Begin function _ZN7rocprim17ROCPRIM_400000_NS6detail17trampoline_kernelINS0_14default_configENS1_38merge_sort_block_merge_config_selectorIdNS0_10empty_typeEEEZZNS1_27merge_sort_block_merge_implIS3_PdPS5_jNS1_19radix_merge_compareILb0ELb0EdNS0_19identity_decomposerEEEEE10hipError_tT0_T1_T2_jT3_P12ihipStream_tbPNSt15iterator_traitsISE_E10value_typeEPNSK_ISF_E10value_typeEPSG_NS1_7vsmem_tEENKUlT_SE_SF_SG_E_clIS8_S8_S9_S9_EESD_ST_SE_SF_SG_EUlST_E_NS1_11comp_targetILNS1_3genE3ELNS1_11target_archE908ELNS1_3gpuE7ELNS1_3repE0EEENS1_48merge_mergepath_partition_config_static_selectorELNS0_4arch9wavefront6targetE1EEEvSF_
	.globl	_ZN7rocprim17ROCPRIM_400000_NS6detail17trampoline_kernelINS0_14default_configENS1_38merge_sort_block_merge_config_selectorIdNS0_10empty_typeEEEZZNS1_27merge_sort_block_merge_implIS3_PdPS5_jNS1_19radix_merge_compareILb0ELb0EdNS0_19identity_decomposerEEEEE10hipError_tT0_T1_T2_jT3_P12ihipStream_tbPNSt15iterator_traitsISE_E10value_typeEPNSK_ISF_E10value_typeEPSG_NS1_7vsmem_tEENKUlT_SE_SF_SG_E_clIS8_S8_S9_S9_EESD_ST_SE_SF_SG_EUlST_E_NS1_11comp_targetILNS1_3genE3ELNS1_11target_archE908ELNS1_3gpuE7ELNS1_3repE0EEENS1_48merge_mergepath_partition_config_static_selectorELNS0_4arch9wavefront6targetE1EEEvSF_
	.p2align	8
	.type	_ZN7rocprim17ROCPRIM_400000_NS6detail17trampoline_kernelINS0_14default_configENS1_38merge_sort_block_merge_config_selectorIdNS0_10empty_typeEEEZZNS1_27merge_sort_block_merge_implIS3_PdPS5_jNS1_19radix_merge_compareILb0ELb0EdNS0_19identity_decomposerEEEEE10hipError_tT0_T1_T2_jT3_P12ihipStream_tbPNSt15iterator_traitsISE_E10value_typeEPNSK_ISF_E10value_typeEPSG_NS1_7vsmem_tEENKUlT_SE_SF_SG_E_clIS8_S8_S9_S9_EESD_ST_SE_SF_SG_EUlST_E_NS1_11comp_targetILNS1_3genE3ELNS1_11target_archE908ELNS1_3gpuE7ELNS1_3repE0EEENS1_48merge_mergepath_partition_config_static_selectorELNS0_4arch9wavefront6targetE1EEEvSF_,@function
_ZN7rocprim17ROCPRIM_400000_NS6detail17trampoline_kernelINS0_14default_configENS1_38merge_sort_block_merge_config_selectorIdNS0_10empty_typeEEEZZNS1_27merge_sort_block_merge_implIS3_PdPS5_jNS1_19radix_merge_compareILb0ELb0EdNS0_19identity_decomposerEEEEE10hipError_tT0_T1_T2_jT3_P12ihipStream_tbPNSt15iterator_traitsISE_E10value_typeEPNSK_ISF_E10value_typeEPSG_NS1_7vsmem_tEENKUlT_SE_SF_SG_E_clIS8_S8_S9_S9_EESD_ST_SE_SF_SG_EUlST_E_NS1_11comp_targetILNS1_3genE3ELNS1_11target_archE908ELNS1_3gpuE7ELNS1_3repE0EEENS1_48merge_mergepath_partition_config_static_selectorELNS0_4arch9wavefront6targetE1EEEvSF_: ; @_ZN7rocprim17ROCPRIM_400000_NS6detail17trampoline_kernelINS0_14default_configENS1_38merge_sort_block_merge_config_selectorIdNS0_10empty_typeEEEZZNS1_27merge_sort_block_merge_implIS3_PdPS5_jNS1_19radix_merge_compareILb0ELb0EdNS0_19identity_decomposerEEEEE10hipError_tT0_T1_T2_jT3_P12ihipStream_tbPNSt15iterator_traitsISE_E10value_typeEPNSK_ISF_E10value_typeEPSG_NS1_7vsmem_tEENKUlT_SE_SF_SG_E_clIS8_S8_S9_S9_EESD_ST_SE_SF_SG_EUlST_E_NS1_11comp_targetILNS1_3genE3ELNS1_11target_archE908ELNS1_3gpuE7ELNS1_3repE0EEENS1_48merge_mergepath_partition_config_static_selectorELNS0_4arch9wavefront6targetE1EEEvSF_
; %bb.0:
	.section	.rodata,"a",@progbits
	.p2align	6, 0x0
	.amdhsa_kernel _ZN7rocprim17ROCPRIM_400000_NS6detail17trampoline_kernelINS0_14default_configENS1_38merge_sort_block_merge_config_selectorIdNS0_10empty_typeEEEZZNS1_27merge_sort_block_merge_implIS3_PdPS5_jNS1_19radix_merge_compareILb0ELb0EdNS0_19identity_decomposerEEEEE10hipError_tT0_T1_T2_jT3_P12ihipStream_tbPNSt15iterator_traitsISE_E10value_typeEPNSK_ISF_E10value_typeEPSG_NS1_7vsmem_tEENKUlT_SE_SF_SG_E_clIS8_S8_S9_S9_EESD_ST_SE_SF_SG_EUlST_E_NS1_11comp_targetILNS1_3genE3ELNS1_11target_archE908ELNS1_3gpuE7ELNS1_3repE0EEENS1_48merge_mergepath_partition_config_static_selectorELNS0_4arch9wavefront6targetE1EEEvSF_
		.amdhsa_group_segment_fixed_size 0
		.amdhsa_private_segment_fixed_size 0
		.amdhsa_kernarg_size 40
		.amdhsa_user_sgpr_count 6
		.amdhsa_user_sgpr_private_segment_buffer 1
		.amdhsa_user_sgpr_dispatch_ptr 0
		.amdhsa_user_sgpr_queue_ptr 0
		.amdhsa_user_sgpr_kernarg_segment_ptr 1
		.amdhsa_user_sgpr_dispatch_id 0
		.amdhsa_user_sgpr_flat_scratch_init 0
		.amdhsa_user_sgpr_kernarg_preload_length 0
		.amdhsa_user_sgpr_kernarg_preload_offset 0
		.amdhsa_user_sgpr_private_segment_size 0
		.amdhsa_uses_dynamic_stack 0
		.amdhsa_system_sgpr_private_segment_wavefront_offset 0
		.amdhsa_system_sgpr_workgroup_id_x 1
		.amdhsa_system_sgpr_workgroup_id_y 0
		.amdhsa_system_sgpr_workgroup_id_z 0
		.amdhsa_system_sgpr_workgroup_info 0
		.amdhsa_system_vgpr_workitem_id 0
		.amdhsa_next_free_vgpr 1
		.amdhsa_next_free_sgpr 0
		.amdhsa_accum_offset 4
		.amdhsa_reserve_vcc 0
		.amdhsa_reserve_flat_scratch 0
		.amdhsa_float_round_mode_32 0
		.amdhsa_float_round_mode_16_64 0
		.amdhsa_float_denorm_mode_32 3
		.amdhsa_float_denorm_mode_16_64 3
		.amdhsa_dx10_clamp 1
		.amdhsa_ieee_mode 1
		.amdhsa_fp16_overflow 0
		.amdhsa_tg_split 0
		.amdhsa_exception_fp_ieee_invalid_op 0
		.amdhsa_exception_fp_denorm_src 0
		.amdhsa_exception_fp_ieee_div_zero 0
		.amdhsa_exception_fp_ieee_overflow 0
		.amdhsa_exception_fp_ieee_underflow 0
		.amdhsa_exception_fp_ieee_inexact 0
		.amdhsa_exception_int_div_zero 0
	.end_amdhsa_kernel
	.section	.text._ZN7rocprim17ROCPRIM_400000_NS6detail17trampoline_kernelINS0_14default_configENS1_38merge_sort_block_merge_config_selectorIdNS0_10empty_typeEEEZZNS1_27merge_sort_block_merge_implIS3_PdPS5_jNS1_19radix_merge_compareILb0ELb0EdNS0_19identity_decomposerEEEEE10hipError_tT0_T1_T2_jT3_P12ihipStream_tbPNSt15iterator_traitsISE_E10value_typeEPNSK_ISF_E10value_typeEPSG_NS1_7vsmem_tEENKUlT_SE_SF_SG_E_clIS8_S8_S9_S9_EESD_ST_SE_SF_SG_EUlST_E_NS1_11comp_targetILNS1_3genE3ELNS1_11target_archE908ELNS1_3gpuE7ELNS1_3repE0EEENS1_48merge_mergepath_partition_config_static_selectorELNS0_4arch9wavefront6targetE1EEEvSF_,"axG",@progbits,_ZN7rocprim17ROCPRIM_400000_NS6detail17trampoline_kernelINS0_14default_configENS1_38merge_sort_block_merge_config_selectorIdNS0_10empty_typeEEEZZNS1_27merge_sort_block_merge_implIS3_PdPS5_jNS1_19radix_merge_compareILb0ELb0EdNS0_19identity_decomposerEEEEE10hipError_tT0_T1_T2_jT3_P12ihipStream_tbPNSt15iterator_traitsISE_E10value_typeEPNSK_ISF_E10value_typeEPSG_NS1_7vsmem_tEENKUlT_SE_SF_SG_E_clIS8_S8_S9_S9_EESD_ST_SE_SF_SG_EUlST_E_NS1_11comp_targetILNS1_3genE3ELNS1_11target_archE908ELNS1_3gpuE7ELNS1_3repE0EEENS1_48merge_mergepath_partition_config_static_selectorELNS0_4arch9wavefront6targetE1EEEvSF_,comdat
.Lfunc_end1326:
	.size	_ZN7rocprim17ROCPRIM_400000_NS6detail17trampoline_kernelINS0_14default_configENS1_38merge_sort_block_merge_config_selectorIdNS0_10empty_typeEEEZZNS1_27merge_sort_block_merge_implIS3_PdPS5_jNS1_19radix_merge_compareILb0ELb0EdNS0_19identity_decomposerEEEEE10hipError_tT0_T1_T2_jT3_P12ihipStream_tbPNSt15iterator_traitsISE_E10value_typeEPNSK_ISF_E10value_typeEPSG_NS1_7vsmem_tEENKUlT_SE_SF_SG_E_clIS8_S8_S9_S9_EESD_ST_SE_SF_SG_EUlST_E_NS1_11comp_targetILNS1_3genE3ELNS1_11target_archE908ELNS1_3gpuE7ELNS1_3repE0EEENS1_48merge_mergepath_partition_config_static_selectorELNS0_4arch9wavefront6targetE1EEEvSF_, .Lfunc_end1326-_ZN7rocprim17ROCPRIM_400000_NS6detail17trampoline_kernelINS0_14default_configENS1_38merge_sort_block_merge_config_selectorIdNS0_10empty_typeEEEZZNS1_27merge_sort_block_merge_implIS3_PdPS5_jNS1_19radix_merge_compareILb0ELb0EdNS0_19identity_decomposerEEEEE10hipError_tT0_T1_T2_jT3_P12ihipStream_tbPNSt15iterator_traitsISE_E10value_typeEPNSK_ISF_E10value_typeEPSG_NS1_7vsmem_tEENKUlT_SE_SF_SG_E_clIS8_S8_S9_S9_EESD_ST_SE_SF_SG_EUlST_E_NS1_11comp_targetILNS1_3genE3ELNS1_11target_archE908ELNS1_3gpuE7ELNS1_3repE0EEENS1_48merge_mergepath_partition_config_static_selectorELNS0_4arch9wavefront6targetE1EEEvSF_
                                        ; -- End function
	.section	.AMDGPU.csdata,"",@progbits
; Kernel info:
; codeLenInByte = 0
; NumSgprs: 4
; NumVgprs: 0
; NumAgprs: 0
; TotalNumVgprs: 0
; ScratchSize: 0
; MemoryBound: 0
; FloatMode: 240
; IeeeMode: 1
; LDSByteSize: 0 bytes/workgroup (compile time only)
; SGPRBlocks: 0
; VGPRBlocks: 0
; NumSGPRsForWavesPerEU: 4
; NumVGPRsForWavesPerEU: 1
; AccumOffset: 4
; Occupancy: 8
; WaveLimiterHint : 0
; COMPUTE_PGM_RSRC2:SCRATCH_EN: 0
; COMPUTE_PGM_RSRC2:USER_SGPR: 6
; COMPUTE_PGM_RSRC2:TRAP_HANDLER: 0
; COMPUTE_PGM_RSRC2:TGID_X_EN: 1
; COMPUTE_PGM_RSRC2:TGID_Y_EN: 0
; COMPUTE_PGM_RSRC2:TGID_Z_EN: 0
; COMPUTE_PGM_RSRC2:TIDIG_COMP_CNT: 0
; COMPUTE_PGM_RSRC3_GFX90A:ACCUM_OFFSET: 0
; COMPUTE_PGM_RSRC3_GFX90A:TG_SPLIT: 0
	.section	.text._ZN7rocprim17ROCPRIM_400000_NS6detail17trampoline_kernelINS0_14default_configENS1_38merge_sort_block_merge_config_selectorIdNS0_10empty_typeEEEZZNS1_27merge_sort_block_merge_implIS3_PdPS5_jNS1_19radix_merge_compareILb0ELb0EdNS0_19identity_decomposerEEEEE10hipError_tT0_T1_T2_jT3_P12ihipStream_tbPNSt15iterator_traitsISE_E10value_typeEPNSK_ISF_E10value_typeEPSG_NS1_7vsmem_tEENKUlT_SE_SF_SG_E_clIS8_S8_S9_S9_EESD_ST_SE_SF_SG_EUlST_E_NS1_11comp_targetILNS1_3genE2ELNS1_11target_archE906ELNS1_3gpuE6ELNS1_3repE0EEENS1_48merge_mergepath_partition_config_static_selectorELNS0_4arch9wavefront6targetE1EEEvSF_,"axG",@progbits,_ZN7rocprim17ROCPRIM_400000_NS6detail17trampoline_kernelINS0_14default_configENS1_38merge_sort_block_merge_config_selectorIdNS0_10empty_typeEEEZZNS1_27merge_sort_block_merge_implIS3_PdPS5_jNS1_19radix_merge_compareILb0ELb0EdNS0_19identity_decomposerEEEEE10hipError_tT0_T1_T2_jT3_P12ihipStream_tbPNSt15iterator_traitsISE_E10value_typeEPNSK_ISF_E10value_typeEPSG_NS1_7vsmem_tEENKUlT_SE_SF_SG_E_clIS8_S8_S9_S9_EESD_ST_SE_SF_SG_EUlST_E_NS1_11comp_targetILNS1_3genE2ELNS1_11target_archE906ELNS1_3gpuE6ELNS1_3repE0EEENS1_48merge_mergepath_partition_config_static_selectorELNS0_4arch9wavefront6targetE1EEEvSF_,comdat
	.protected	_ZN7rocprim17ROCPRIM_400000_NS6detail17trampoline_kernelINS0_14default_configENS1_38merge_sort_block_merge_config_selectorIdNS0_10empty_typeEEEZZNS1_27merge_sort_block_merge_implIS3_PdPS5_jNS1_19radix_merge_compareILb0ELb0EdNS0_19identity_decomposerEEEEE10hipError_tT0_T1_T2_jT3_P12ihipStream_tbPNSt15iterator_traitsISE_E10value_typeEPNSK_ISF_E10value_typeEPSG_NS1_7vsmem_tEENKUlT_SE_SF_SG_E_clIS8_S8_S9_S9_EESD_ST_SE_SF_SG_EUlST_E_NS1_11comp_targetILNS1_3genE2ELNS1_11target_archE906ELNS1_3gpuE6ELNS1_3repE0EEENS1_48merge_mergepath_partition_config_static_selectorELNS0_4arch9wavefront6targetE1EEEvSF_ ; -- Begin function _ZN7rocprim17ROCPRIM_400000_NS6detail17trampoline_kernelINS0_14default_configENS1_38merge_sort_block_merge_config_selectorIdNS0_10empty_typeEEEZZNS1_27merge_sort_block_merge_implIS3_PdPS5_jNS1_19radix_merge_compareILb0ELb0EdNS0_19identity_decomposerEEEEE10hipError_tT0_T1_T2_jT3_P12ihipStream_tbPNSt15iterator_traitsISE_E10value_typeEPNSK_ISF_E10value_typeEPSG_NS1_7vsmem_tEENKUlT_SE_SF_SG_E_clIS8_S8_S9_S9_EESD_ST_SE_SF_SG_EUlST_E_NS1_11comp_targetILNS1_3genE2ELNS1_11target_archE906ELNS1_3gpuE6ELNS1_3repE0EEENS1_48merge_mergepath_partition_config_static_selectorELNS0_4arch9wavefront6targetE1EEEvSF_
	.globl	_ZN7rocprim17ROCPRIM_400000_NS6detail17trampoline_kernelINS0_14default_configENS1_38merge_sort_block_merge_config_selectorIdNS0_10empty_typeEEEZZNS1_27merge_sort_block_merge_implIS3_PdPS5_jNS1_19radix_merge_compareILb0ELb0EdNS0_19identity_decomposerEEEEE10hipError_tT0_T1_T2_jT3_P12ihipStream_tbPNSt15iterator_traitsISE_E10value_typeEPNSK_ISF_E10value_typeEPSG_NS1_7vsmem_tEENKUlT_SE_SF_SG_E_clIS8_S8_S9_S9_EESD_ST_SE_SF_SG_EUlST_E_NS1_11comp_targetILNS1_3genE2ELNS1_11target_archE906ELNS1_3gpuE6ELNS1_3repE0EEENS1_48merge_mergepath_partition_config_static_selectorELNS0_4arch9wavefront6targetE1EEEvSF_
	.p2align	8
	.type	_ZN7rocprim17ROCPRIM_400000_NS6detail17trampoline_kernelINS0_14default_configENS1_38merge_sort_block_merge_config_selectorIdNS0_10empty_typeEEEZZNS1_27merge_sort_block_merge_implIS3_PdPS5_jNS1_19radix_merge_compareILb0ELb0EdNS0_19identity_decomposerEEEEE10hipError_tT0_T1_T2_jT3_P12ihipStream_tbPNSt15iterator_traitsISE_E10value_typeEPNSK_ISF_E10value_typeEPSG_NS1_7vsmem_tEENKUlT_SE_SF_SG_E_clIS8_S8_S9_S9_EESD_ST_SE_SF_SG_EUlST_E_NS1_11comp_targetILNS1_3genE2ELNS1_11target_archE906ELNS1_3gpuE6ELNS1_3repE0EEENS1_48merge_mergepath_partition_config_static_selectorELNS0_4arch9wavefront6targetE1EEEvSF_,@function
_ZN7rocprim17ROCPRIM_400000_NS6detail17trampoline_kernelINS0_14default_configENS1_38merge_sort_block_merge_config_selectorIdNS0_10empty_typeEEEZZNS1_27merge_sort_block_merge_implIS3_PdPS5_jNS1_19radix_merge_compareILb0ELb0EdNS0_19identity_decomposerEEEEE10hipError_tT0_T1_T2_jT3_P12ihipStream_tbPNSt15iterator_traitsISE_E10value_typeEPNSK_ISF_E10value_typeEPSG_NS1_7vsmem_tEENKUlT_SE_SF_SG_E_clIS8_S8_S9_S9_EESD_ST_SE_SF_SG_EUlST_E_NS1_11comp_targetILNS1_3genE2ELNS1_11target_archE906ELNS1_3gpuE6ELNS1_3repE0EEENS1_48merge_mergepath_partition_config_static_selectorELNS0_4arch9wavefront6targetE1EEEvSF_: ; @_ZN7rocprim17ROCPRIM_400000_NS6detail17trampoline_kernelINS0_14default_configENS1_38merge_sort_block_merge_config_selectorIdNS0_10empty_typeEEEZZNS1_27merge_sort_block_merge_implIS3_PdPS5_jNS1_19radix_merge_compareILb0ELb0EdNS0_19identity_decomposerEEEEE10hipError_tT0_T1_T2_jT3_P12ihipStream_tbPNSt15iterator_traitsISE_E10value_typeEPNSK_ISF_E10value_typeEPSG_NS1_7vsmem_tEENKUlT_SE_SF_SG_E_clIS8_S8_S9_S9_EESD_ST_SE_SF_SG_EUlST_E_NS1_11comp_targetILNS1_3genE2ELNS1_11target_archE906ELNS1_3gpuE6ELNS1_3repE0EEENS1_48merge_mergepath_partition_config_static_selectorELNS0_4arch9wavefront6targetE1EEEvSF_
; %bb.0:
	.section	.rodata,"a",@progbits
	.p2align	6, 0x0
	.amdhsa_kernel _ZN7rocprim17ROCPRIM_400000_NS6detail17trampoline_kernelINS0_14default_configENS1_38merge_sort_block_merge_config_selectorIdNS0_10empty_typeEEEZZNS1_27merge_sort_block_merge_implIS3_PdPS5_jNS1_19radix_merge_compareILb0ELb0EdNS0_19identity_decomposerEEEEE10hipError_tT0_T1_T2_jT3_P12ihipStream_tbPNSt15iterator_traitsISE_E10value_typeEPNSK_ISF_E10value_typeEPSG_NS1_7vsmem_tEENKUlT_SE_SF_SG_E_clIS8_S8_S9_S9_EESD_ST_SE_SF_SG_EUlST_E_NS1_11comp_targetILNS1_3genE2ELNS1_11target_archE906ELNS1_3gpuE6ELNS1_3repE0EEENS1_48merge_mergepath_partition_config_static_selectorELNS0_4arch9wavefront6targetE1EEEvSF_
		.amdhsa_group_segment_fixed_size 0
		.amdhsa_private_segment_fixed_size 0
		.amdhsa_kernarg_size 40
		.amdhsa_user_sgpr_count 6
		.amdhsa_user_sgpr_private_segment_buffer 1
		.amdhsa_user_sgpr_dispatch_ptr 0
		.amdhsa_user_sgpr_queue_ptr 0
		.amdhsa_user_sgpr_kernarg_segment_ptr 1
		.amdhsa_user_sgpr_dispatch_id 0
		.amdhsa_user_sgpr_flat_scratch_init 0
		.amdhsa_user_sgpr_kernarg_preload_length 0
		.amdhsa_user_sgpr_kernarg_preload_offset 0
		.amdhsa_user_sgpr_private_segment_size 0
		.amdhsa_uses_dynamic_stack 0
		.amdhsa_system_sgpr_private_segment_wavefront_offset 0
		.amdhsa_system_sgpr_workgroup_id_x 1
		.amdhsa_system_sgpr_workgroup_id_y 0
		.amdhsa_system_sgpr_workgroup_id_z 0
		.amdhsa_system_sgpr_workgroup_info 0
		.amdhsa_system_vgpr_workitem_id 0
		.amdhsa_next_free_vgpr 1
		.amdhsa_next_free_sgpr 0
		.amdhsa_accum_offset 4
		.amdhsa_reserve_vcc 0
		.amdhsa_reserve_flat_scratch 0
		.amdhsa_float_round_mode_32 0
		.amdhsa_float_round_mode_16_64 0
		.amdhsa_float_denorm_mode_32 3
		.amdhsa_float_denorm_mode_16_64 3
		.amdhsa_dx10_clamp 1
		.amdhsa_ieee_mode 1
		.amdhsa_fp16_overflow 0
		.amdhsa_tg_split 0
		.amdhsa_exception_fp_ieee_invalid_op 0
		.amdhsa_exception_fp_denorm_src 0
		.amdhsa_exception_fp_ieee_div_zero 0
		.amdhsa_exception_fp_ieee_overflow 0
		.amdhsa_exception_fp_ieee_underflow 0
		.amdhsa_exception_fp_ieee_inexact 0
		.amdhsa_exception_int_div_zero 0
	.end_amdhsa_kernel
	.section	.text._ZN7rocprim17ROCPRIM_400000_NS6detail17trampoline_kernelINS0_14default_configENS1_38merge_sort_block_merge_config_selectorIdNS0_10empty_typeEEEZZNS1_27merge_sort_block_merge_implIS3_PdPS5_jNS1_19radix_merge_compareILb0ELb0EdNS0_19identity_decomposerEEEEE10hipError_tT0_T1_T2_jT3_P12ihipStream_tbPNSt15iterator_traitsISE_E10value_typeEPNSK_ISF_E10value_typeEPSG_NS1_7vsmem_tEENKUlT_SE_SF_SG_E_clIS8_S8_S9_S9_EESD_ST_SE_SF_SG_EUlST_E_NS1_11comp_targetILNS1_3genE2ELNS1_11target_archE906ELNS1_3gpuE6ELNS1_3repE0EEENS1_48merge_mergepath_partition_config_static_selectorELNS0_4arch9wavefront6targetE1EEEvSF_,"axG",@progbits,_ZN7rocprim17ROCPRIM_400000_NS6detail17trampoline_kernelINS0_14default_configENS1_38merge_sort_block_merge_config_selectorIdNS0_10empty_typeEEEZZNS1_27merge_sort_block_merge_implIS3_PdPS5_jNS1_19radix_merge_compareILb0ELb0EdNS0_19identity_decomposerEEEEE10hipError_tT0_T1_T2_jT3_P12ihipStream_tbPNSt15iterator_traitsISE_E10value_typeEPNSK_ISF_E10value_typeEPSG_NS1_7vsmem_tEENKUlT_SE_SF_SG_E_clIS8_S8_S9_S9_EESD_ST_SE_SF_SG_EUlST_E_NS1_11comp_targetILNS1_3genE2ELNS1_11target_archE906ELNS1_3gpuE6ELNS1_3repE0EEENS1_48merge_mergepath_partition_config_static_selectorELNS0_4arch9wavefront6targetE1EEEvSF_,comdat
.Lfunc_end1327:
	.size	_ZN7rocprim17ROCPRIM_400000_NS6detail17trampoline_kernelINS0_14default_configENS1_38merge_sort_block_merge_config_selectorIdNS0_10empty_typeEEEZZNS1_27merge_sort_block_merge_implIS3_PdPS5_jNS1_19radix_merge_compareILb0ELb0EdNS0_19identity_decomposerEEEEE10hipError_tT0_T1_T2_jT3_P12ihipStream_tbPNSt15iterator_traitsISE_E10value_typeEPNSK_ISF_E10value_typeEPSG_NS1_7vsmem_tEENKUlT_SE_SF_SG_E_clIS8_S8_S9_S9_EESD_ST_SE_SF_SG_EUlST_E_NS1_11comp_targetILNS1_3genE2ELNS1_11target_archE906ELNS1_3gpuE6ELNS1_3repE0EEENS1_48merge_mergepath_partition_config_static_selectorELNS0_4arch9wavefront6targetE1EEEvSF_, .Lfunc_end1327-_ZN7rocprim17ROCPRIM_400000_NS6detail17trampoline_kernelINS0_14default_configENS1_38merge_sort_block_merge_config_selectorIdNS0_10empty_typeEEEZZNS1_27merge_sort_block_merge_implIS3_PdPS5_jNS1_19radix_merge_compareILb0ELb0EdNS0_19identity_decomposerEEEEE10hipError_tT0_T1_T2_jT3_P12ihipStream_tbPNSt15iterator_traitsISE_E10value_typeEPNSK_ISF_E10value_typeEPSG_NS1_7vsmem_tEENKUlT_SE_SF_SG_E_clIS8_S8_S9_S9_EESD_ST_SE_SF_SG_EUlST_E_NS1_11comp_targetILNS1_3genE2ELNS1_11target_archE906ELNS1_3gpuE6ELNS1_3repE0EEENS1_48merge_mergepath_partition_config_static_selectorELNS0_4arch9wavefront6targetE1EEEvSF_
                                        ; -- End function
	.section	.AMDGPU.csdata,"",@progbits
; Kernel info:
; codeLenInByte = 0
; NumSgprs: 4
; NumVgprs: 0
; NumAgprs: 0
; TotalNumVgprs: 0
; ScratchSize: 0
; MemoryBound: 0
; FloatMode: 240
; IeeeMode: 1
; LDSByteSize: 0 bytes/workgroup (compile time only)
; SGPRBlocks: 0
; VGPRBlocks: 0
; NumSGPRsForWavesPerEU: 4
; NumVGPRsForWavesPerEU: 1
; AccumOffset: 4
; Occupancy: 8
; WaveLimiterHint : 0
; COMPUTE_PGM_RSRC2:SCRATCH_EN: 0
; COMPUTE_PGM_RSRC2:USER_SGPR: 6
; COMPUTE_PGM_RSRC2:TRAP_HANDLER: 0
; COMPUTE_PGM_RSRC2:TGID_X_EN: 1
; COMPUTE_PGM_RSRC2:TGID_Y_EN: 0
; COMPUTE_PGM_RSRC2:TGID_Z_EN: 0
; COMPUTE_PGM_RSRC2:TIDIG_COMP_CNT: 0
; COMPUTE_PGM_RSRC3_GFX90A:ACCUM_OFFSET: 0
; COMPUTE_PGM_RSRC3_GFX90A:TG_SPLIT: 0
	.section	.text._ZN7rocprim17ROCPRIM_400000_NS6detail17trampoline_kernelINS0_14default_configENS1_38merge_sort_block_merge_config_selectorIdNS0_10empty_typeEEEZZNS1_27merge_sort_block_merge_implIS3_PdPS5_jNS1_19radix_merge_compareILb0ELb0EdNS0_19identity_decomposerEEEEE10hipError_tT0_T1_T2_jT3_P12ihipStream_tbPNSt15iterator_traitsISE_E10value_typeEPNSK_ISF_E10value_typeEPSG_NS1_7vsmem_tEENKUlT_SE_SF_SG_E_clIS8_S8_S9_S9_EESD_ST_SE_SF_SG_EUlST_E_NS1_11comp_targetILNS1_3genE9ELNS1_11target_archE1100ELNS1_3gpuE3ELNS1_3repE0EEENS1_48merge_mergepath_partition_config_static_selectorELNS0_4arch9wavefront6targetE1EEEvSF_,"axG",@progbits,_ZN7rocprim17ROCPRIM_400000_NS6detail17trampoline_kernelINS0_14default_configENS1_38merge_sort_block_merge_config_selectorIdNS0_10empty_typeEEEZZNS1_27merge_sort_block_merge_implIS3_PdPS5_jNS1_19radix_merge_compareILb0ELb0EdNS0_19identity_decomposerEEEEE10hipError_tT0_T1_T2_jT3_P12ihipStream_tbPNSt15iterator_traitsISE_E10value_typeEPNSK_ISF_E10value_typeEPSG_NS1_7vsmem_tEENKUlT_SE_SF_SG_E_clIS8_S8_S9_S9_EESD_ST_SE_SF_SG_EUlST_E_NS1_11comp_targetILNS1_3genE9ELNS1_11target_archE1100ELNS1_3gpuE3ELNS1_3repE0EEENS1_48merge_mergepath_partition_config_static_selectorELNS0_4arch9wavefront6targetE1EEEvSF_,comdat
	.protected	_ZN7rocprim17ROCPRIM_400000_NS6detail17trampoline_kernelINS0_14default_configENS1_38merge_sort_block_merge_config_selectorIdNS0_10empty_typeEEEZZNS1_27merge_sort_block_merge_implIS3_PdPS5_jNS1_19radix_merge_compareILb0ELb0EdNS0_19identity_decomposerEEEEE10hipError_tT0_T1_T2_jT3_P12ihipStream_tbPNSt15iterator_traitsISE_E10value_typeEPNSK_ISF_E10value_typeEPSG_NS1_7vsmem_tEENKUlT_SE_SF_SG_E_clIS8_S8_S9_S9_EESD_ST_SE_SF_SG_EUlST_E_NS1_11comp_targetILNS1_3genE9ELNS1_11target_archE1100ELNS1_3gpuE3ELNS1_3repE0EEENS1_48merge_mergepath_partition_config_static_selectorELNS0_4arch9wavefront6targetE1EEEvSF_ ; -- Begin function _ZN7rocprim17ROCPRIM_400000_NS6detail17trampoline_kernelINS0_14default_configENS1_38merge_sort_block_merge_config_selectorIdNS0_10empty_typeEEEZZNS1_27merge_sort_block_merge_implIS3_PdPS5_jNS1_19radix_merge_compareILb0ELb0EdNS0_19identity_decomposerEEEEE10hipError_tT0_T1_T2_jT3_P12ihipStream_tbPNSt15iterator_traitsISE_E10value_typeEPNSK_ISF_E10value_typeEPSG_NS1_7vsmem_tEENKUlT_SE_SF_SG_E_clIS8_S8_S9_S9_EESD_ST_SE_SF_SG_EUlST_E_NS1_11comp_targetILNS1_3genE9ELNS1_11target_archE1100ELNS1_3gpuE3ELNS1_3repE0EEENS1_48merge_mergepath_partition_config_static_selectorELNS0_4arch9wavefront6targetE1EEEvSF_
	.globl	_ZN7rocprim17ROCPRIM_400000_NS6detail17trampoline_kernelINS0_14default_configENS1_38merge_sort_block_merge_config_selectorIdNS0_10empty_typeEEEZZNS1_27merge_sort_block_merge_implIS3_PdPS5_jNS1_19radix_merge_compareILb0ELb0EdNS0_19identity_decomposerEEEEE10hipError_tT0_T1_T2_jT3_P12ihipStream_tbPNSt15iterator_traitsISE_E10value_typeEPNSK_ISF_E10value_typeEPSG_NS1_7vsmem_tEENKUlT_SE_SF_SG_E_clIS8_S8_S9_S9_EESD_ST_SE_SF_SG_EUlST_E_NS1_11comp_targetILNS1_3genE9ELNS1_11target_archE1100ELNS1_3gpuE3ELNS1_3repE0EEENS1_48merge_mergepath_partition_config_static_selectorELNS0_4arch9wavefront6targetE1EEEvSF_
	.p2align	8
	.type	_ZN7rocprim17ROCPRIM_400000_NS6detail17trampoline_kernelINS0_14default_configENS1_38merge_sort_block_merge_config_selectorIdNS0_10empty_typeEEEZZNS1_27merge_sort_block_merge_implIS3_PdPS5_jNS1_19radix_merge_compareILb0ELb0EdNS0_19identity_decomposerEEEEE10hipError_tT0_T1_T2_jT3_P12ihipStream_tbPNSt15iterator_traitsISE_E10value_typeEPNSK_ISF_E10value_typeEPSG_NS1_7vsmem_tEENKUlT_SE_SF_SG_E_clIS8_S8_S9_S9_EESD_ST_SE_SF_SG_EUlST_E_NS1_11comp_targetILNS1_3genE9ELNS1_11target_archE1100ELNS1_3gpuE3ELNS1_3repE0EEENS1_48merge_mergepath_partition_config_static_selectorELNS0_4arch9wavefront6targetE1EEEvSF_,@function
_ZN7rocprim17ROCPRIM_400000_NS6detail17trampoline_kernelINS0_14default_configENS1_38merge_sort_block_merge_config_selectorIdNS0_10empty_typeEEEZZNS1_27merge_sort_block_merge_implIS3_PdPS5_jNS1_19radix_merge_compareILb0ELb0EdNS0_19identity_decomposerEEEEE10hipError_tT0_T1_T2_jT3_P12ihipStream_tbPNSt15iterator_traitsISE_E10value_typeEPNSK_ISF_E10value_typeEPSG_NS1_7vsmem_tEENKUlT_SE_SF_SG_E_clIS8_S8_S9_S9_EESD_ST_SE_SF_SG_EUlST_E_NS1_11comp_targetILNS1_3genE9ELNS1_11target_archE1100ELNS1_3gpuE3ELNS1_3repE0EEENS1_48merge_mergepath_partition_config_static_selectorELNS0_4arch9wavefront6targetE1EEEvSF_: ; @_ZN7rocprim17ROCPRIM_400000_NS6detail17trampoline_kernelINS0_14default_configENS1_38merge_sort_block_merge_config_selectorIdNS0_10empty_typeEEEZZNS1_27merge_sort_block_merge_implIS3_PdPS5_jNS1_19radix_merge_compareILb0ELb0EdNS0_19identity_decomposerEEEEE10hipError_tT0_T1_T2_jT3_P12ihipStream_tbPNSt15iterator_traitsISE_E10value_typeEPNSK_ISF_E10value_typeEPSG_NS1_7vsmem_tEENKUlT_SE_SF_SG_E_clIS8_S8_S9_S9_EESD_ST_SE_SF_SG_EUlST_E_NS1_11comp_targetILNS1_3genE9ELNS1_11target_archE1100ELNS1_3gpuE3ELNS1_3repE0EEENS1_48merge_mergepath_partition_config_static_selectorELNS0_4arch9wavefront6targetE1EEEvSF_
; %bb.0:
	.section	.rodata,"a",@progbits
	.p2align	6, 0x0
	.amdhsa_kernel _ZN7rocprim17ROCPRIM_400000_NS6detail17trampoline_kernelINS0_14default_configENS1_38merge_sort_block_merge_config_selectorIdNS0_10empty_typeEEEZZNS1_27merge_sort_block_merge_implIS3_PdPS5_jNS1_19radix_merge_compareILb0ELb0EdNS0_19identity_decomposerEEEEE10hipError_tT0_T1_T2_jT3_P12ihipStream_tbPNSt15iterator_traitsISE_E10value_typeEPNSK_ISF_E10value_typeEPSG_NS1_7vsmem_tEENKUlT_SE_SF_SG_E_clIS8_S8_S9_S9_EESD_ST_SE_SF_SG_EUlST_E_NS1_11comp_targetILNS1_3genE9ELNS1_11target_archE1100ELNS1_3gpuE3ELNS1_3repE0EEENS1_48merge_mergepath_partition_config_static_selectorELNS0_4arch9wavefront6targetE1EEEvSF_
		.amdhsa_group_segment_fixed_size 0
		.amdhsa_private_segment_fixed_size 0
		.amdhsa_kernarg_size 40
		.amdhsa_user_sgpr_count 6
		.amdhsa_user_sgpr_private_segment_buffer 1
		.amdhsa_user_sgpr_dispatch_ptr 0
		.amdhsa_user_sgpr_queue_ptr 0
		.amdhsa_user_sgpr_kernarg_segment_ptr 1
		.amdhsa_user_sgpr_dispatch_id 0
		.amdhsa_user_sgpr_flat_scratch_init 0
		.amdhsa_user_sgpr_kernarg_preload_length 0
		.amdhsa_user_sgpr_kernarg_preload_offset 0
		.amdhsa_user_sgpr_private_segment_size 0
		.amdhsa_uses_dynamic_stack 0
		.amdhsa_system_sgpr_private_segment_wavefront_offset 0
		.amdhsa_system_sgpr_workgroup_id_x 1
		.amdhsa_system_sgpr_workgroup_id_y 0
		.amdhsa_system_sgpr_workgroup_id_z 0
		.amdhsa_system_sgpr_workgroup_info 0
		.amdhsa_system_vgpr_workitem_id 0
		.amdhsa_next_free_vgpr 1
		.amdhsa_next_free_sgpr 0
		.amdhsa_accum_offset 4
		.amdhsa_reserve_vcc 0
		.amdhsa_reserve_flat_scratch 0
		.amdhsa_float_round_mode_32 0
		.amdhsa_float_round_mode_16_64 0
		.amdhsa_float_denorm_mode_32 3
		.amdhsa_float_denorm_mode_16_64 3
		.amdhsa_dx10_clamp 1
		.amdhsa_ieee_mode 1
		.amdhsa_fp16_overflow 0
		.amdhsa_tg_split 0
		.amdhsa_exception_fp_ieee_invalid_op 0
		.amdhsa_exception_fp_denorm_src 0
		.amdhsa_exception_fp_ieee_div_zero 0
		.amdhsa_exception_fp_ieee_overflow 0
		.amdhsa_exception_fp_ieee_underflow 0
		.amdhsa_exception_fp_ieee_inexact 0
		.amdhsa_exception_int_div_zero 0
	.end_amdhsa_kernel
	.section	.text._ZN7rocprim17ROCPRIM_400000_NS6detail17trampoline_kernelINS0_14default_configENS1_38merge_sort_block_merge_config_selectorIdNS0_10empty_typeEEEZZNS1_27merge_sort_block_merge_implIS3_PdPS5_jNS1_19radix_merge_compareILb0ELb0EdNS0_19identity_decomposerEEEEE10hipError_tT0_T1_T2_jT3_P12ihipStream_tbPNSt15iterator_traitsISE_E10value_typeEPNSK_ISF_E10value_typeEPSG_NS1_7vsmem_tEENKUlT_SE_SF_SG_E_clIS8_S8_S9_S9_EESD_ST_SE_SF_SG_EUlST_E_NS1_11comp_targetILNS1_3genE9ELNS1_11target_archE1100ELNS1_3gpuE3ELNS1_3repE0EEENS1_48merge_mergepath_partition_config_static_selectorELNS0_4arch9wavefront6targetE1EEEvSF_,"axG",@progbits,_ZN7rocprim17ROCPRIM_400000_NS6detail17trampoline_kernelINS0_14default_configENS1_38merge_sort_block_merge_config_selectorIdNS0_10empty_typeEEEZZNS1_27merge_sort_block_merge_implIS3_PdPS5_jNS1_19radix_merge_compareILb0ELb0EdNS0_19identity_decomposerEEEEE10hipError_tT0_T1_T2_jT3_P12ihipStream_tbPNSt15iterator_traitsISE_E10value_typeEPNSK_ISF_E10value_typeEPSG_NS1_7vsmem_tEENKUlT_SE_SF_SG_E_clIS8_S8_S9_S9_EESD_ST_SE_SF_SG_EUlST_E_NS1_11comp_targetILNS1_3genE9ELNS1_11target_archE1100ELNS1_3gpuE3ELNS1_3repE0EEENS1_48merge_mergepath_partition_config_static_selectorELNS0_4arch9wavefront6targetE1EEEvSF_,comdat
.Lfunc_end1328:
	.size	_ZN7rocprim17ROCPRIM_400000_NS6detail17trampoline_kernelINS0_14default_configENS1_38merge_sort_block_merge_config_selectorIdNS0_10empty_typeEEEZZNS1_27merge_sort_block_merge_implIS3_PdPS5_jNS1_19radix_merge_compareILb0ELb0EdNS0_19identity_decomposerEEEEE10hipError_tT0_T1_T2_jT3_P12ihipStream_tbPNSt15iterator_traitsISE_E10value_typeEPNSK_ISF_E10value_typeEPSG_NS1_7vsmem_tEENKUlT_SE_SF_SG_E_clIS8_S8_S9_S9_EESD_ST_SE_SF_SG_EUlST_E_NS1_11comp_targetILNS1_3genE9ELNS1_11target_archE1100ELNS1_3gpuE3ELNS1_3repE0EEENS1_48merge_mergepath_partition_config_static_selectorELNS0_4arch9wavefront6targetE1EEEvSF_, .Lfunc_end1328-_ZN7rocprim17ROCPRIM_400000_NS6detail17trampoline_kernelINS0_14default_configENS1_38merge_sort_block_merge_config_selectorIdNS0_10empty_typeEEEZZNS1_27merge_sort_block_merge_implIS3_PdPS5_jNS1_19radix_merge_compareILb0ELb0EdNS0_19identity_decomposerEEEEE10hipError_tT0_T1_T2_jT3_P12ihipStream_tbPNSt15iterator_traitsISE_E10value_typeEPNSK_ISF_E10value_typeEPSG_NS1_7vsmem_tEENKUlT_SE_SF_SG_E_clIS8_S8_S9_S9_EESD_ST_SE_SF_SG_EUlST_E_NS1_11comp_targetILNS1_3genE9ELNS1_11target_archE1100ELNS1_3gpuE3ELNS1_3repE0EEENS1_48merge_mergepath_partition_config_static_selectorELNS0_4arch9wavefront6targetE1EEEvSF_
                                        ; -- End function
	.section	.AMDGPU.csdata,"",@progbits
; Kernel info:
; codeLenInByte = 0
; NumSgprs: 4
; NumVgprs: 0
; NumAgprs: 0
; TotalNumVgprs: 0
; ScratchSize: 0
; MemoryBound: 0
; FloatMode: 240
; IeeeMode: 1
; LDSByteSize: 0 bytes/workgroup (compile time only)
; SGPRBlocks: 0
; VGPRBlocks: 0
; NumSGPRsForWavesPerEU: 4
; NumVGPRsForWavesPerEU: 1
; AccumOffset: 4
; Occupancy: 8
; WaveLimiterHint : 0
; COMPUTE_PGM_RSRC2:SCRATCH_EN: 0
; COMPUTE_PGM_RSRC2:USER_SGPR: 6
; COMPUTE_PGM_RSRC2:TRAP_HANDLER: 0
; COMPUTE_PGM_RSRC2:TGID_X_EN: 1
; COMPUTE_PGM_RSRC2:TGID_Y_EN: 0
; COMPUTE_PGM_RSRC2:TGID_Z_EN: 0
; COMPUTE_PGM_RSRC2:TIDIG_COMP_CNT: 0
; COMPUTE_PGM_RSRC3_GFX90A:ACCUM_OFFSET: 0
; COMPUTE_PGM_RSRC3_GFX90A:TG_SPLIT: 0
	.section	.text._ZN7rocprim17ROCPRIM_400000_NS6detail17trampoline_kernelINS0_14default_configENS1_38merge_sort_block_merge_config_selectorIdNS0_10empty_typeEEEZZNS1_27merge_sort_block_merge_implIS3_PdPS5_jNS1_19radix_merge_compareILb0ELb0EdNS0_19identity_decomposerEEEEE10hipError_tT0_T1_T2_jT3_P12ihipStream_tbPNSt15iterator_traitsISE_E10value_typeEPNSK_ISF_E10value_typeEPSG_NS1_7vsmem_tEENKUlT_SE_SF_SG_E_clIS8_S8_S9_S9_EESD_ST_SE_SF_SG_EUlST_E_NS1_11comp_targetILNS1_3genE8ELNS1_11target_archE1030ELNS1_3gpuE2ELNS1_3repE0EEENS1_48merge_mergepath_partition_config_static_selectorELNS0_4arch9wavefront6targetE1EEEvSF_,"axG",@progbits,_ZN7rocprim17ROCPRIM_400000_NS6detail17trampoline_kernelINS0_14default_configENS1_38merge_sort_block_merge_config_selectorIdNS0_10empty_typeEEEZZNS1_27merge_sort_block_merge_implIS3_PdPS5_jNS1_19radix_merge_compareILb0ELb0EdNS0_19identity_decomposerEEEEE10hipError_tT0_T1_T2_jT3_P12ihipStream_tbPNSt15iterator_traitsISE_E10value_typeEPNSK_ISF_E10value_typeEPSG_NS1_7vsmem_tEENKUlT_SE_SF_SG_E_clIS8_S8_S9_S9_EESD_ST_SE_SF_SG_EUlST_E_NS1_11comp_targetILNS1_3genE8ELNS1_11target_archE1030ELNS1_3gpuE2ELNS1_3repE0EEENS1_48merge_mergepath_partition_config_static_selectorELNS0_4arch9wavefront6targetE1EEEvSF_,comdat
	.protected	_ZN7rocprim17ROCPRIM_400000_NS6detail17trampoline_kernelINS0_14default_configENS1_38merge_sort_block_merge_config_selectorIdNS0_10empty_typeEEEZZNS1_27merge_sort_block_merge_implIS3_PdPS5_jNS1_19radix_merge_compareILb0ELb0EdNS0_19identity_decomposerEEEEE10hipError_tT0_T1_T2_jT3_P12ihipStream_tbPNSt15iterator_traitsISE_E10value_typeEPNSK_ISF_E10value_typeEPSG_NS1_7vsmem_tEENKUlT_SE_SF_SG_E_clIS8_S8_S9_S9_EESD_ST_SE_SF_SG_EUlST_E_NS1_11comp_targetILNS1_3genE8ELNS1_11target_archE1030ELNS1_3gpuE2ELNS1_3repE0EEENS1_48merge_mergepath_partition_config_static_selectorELNS0_4arch9wavefront6targetE1EEEvSF_ ; -- Begin function _ZN7rocprim17ROCPRIM_400000_NS6detail17trampoline_kernelINS0_14default_configENS1_38merge_sort_block_merge_config_selectorIdNS0_10empty_typeEEEZZNS1_27merge_sort_block_merge_implIS3_PdPS5_jNS1_19radix_merge_compareILb0ELb0EdNS0_19identity_decomposerEEEEE10hipError_tT0_T1_T2_jT3_P12ihipStream_tbPNSt15iterator_traitsISE_E10value_typeEPNSK_ISF_E10value_typeEPSG_NS1_7vsmem_tEENKUlT_SE_SF_SG_E_clIS8_S8_S9_S9_EESD_ST_SE_SF_SG_EUlST_E_NS1_11comp_targetILNS1_3genE8ELNS1_11target_archE1030ELNS1_3gpuE2ELNS1_3repE0EEENS1_48merge_mergepath_partition_config_static_selectorELNS0_4arch9wavefront6targetE1EEEvSF_
	.globl	_ZN7rocprim17ROCPRIM_400000_NS6detail17trampoline_kernelINS0_14default_configENS1_38merge_sort_block_merge_config_selectorIdNS0_10empty_typeEEEZZNS1_27merge_sort_block_merge_implIS3_PdPS5_jNS1_19radix_merge_compareILb0ELb0EdNS0_19identity_decomposerEEEEE10hipError_tT0_T1_T2_jT3_P12ihipStream_tbPNSt15iterator_traitsISE_E10value_typeEPNSK_ISF_E10value_typeEPSG_NS1_7vsmem_tEENKUlT_SE_SF_SG_E_clIS8_S8_S9_S9_EESD_ST_SE_SF_SG_EUlST_E_NS1_11comp_targetILNS1_3genE8ELNS1_11target_archE1030ELNS1_3gpuE2ELNS1_3repE0EEENS1_48merge_mergepath_partition_config_static_selectorELNS0_4arch9wavefront6targetE1EEEvSF_
	.p2align	8
	.type	_ZN7rocprim17ROCPRIM_400000_NS6detail17trampoline_kernelINS0_14default_configENS1_38merge_sort_block_merge_config_selectorIdNS0_10empty_typeEEEZZNS1_27merge_sort_block_merge_implIS3_PdPS5_jNS1_19radix_merge_compareILb0ELb0EdNS0_19identity_decomposerEEEEE10hipError_tT0_T1_T2_jT3_P12ihipStream_tbPNSt15iterator_traitsISE_E10value_typeEPNSK_ISF_E10value_typeEPSG_NS1_7vsmem_tEENKUlT_SE_SF_SG_E_clIS8_S8_S9_S9_EESD_ST_SE_SF_SG_EUlST_E_NS1_11comp_targetILNS1_3genE8ELNS1_11target_archE1030ELNS1_3gpuE2ELNS1_3repE0EEENS1_48merge_mergepath_partition_config_static_selectorELNS0_4arch9wavefront6targetE1EEEvSF_,@function
_ZN7rocprim17ROCPRIM_400000_NS6detail17trampoline_kernelINS0_14default_configENS1_38merge_sort_block_merge_config_selectorIdNS0_10empty_typeEEEZZNS1_27merge_sort_block_merge_implIS3_PdPS5_jNS1_19radix_merge_compareILb0ELb0EdNS0_19identity_decomposerEEEEE10hipError_tT0_T1_T2_jT3_P12ihipStream_tbPNSt15iterator_traitsISE_E10value_typeEPNSK_ISF_E10value_typeEPSG_NS1_7vsmem_tEENKUlT_SE_SF_SG_E_clIS8_S8_S9_S9_EESD_ST_SE_SF_SG_EUlST_E_NS1_11comp_targetILNS1_3genE8ELNS1_11target_archE1030ELNS1_3gpuE2ELNS1_3repE0EEENS1_48merge_mergepath_partition_config_static_selectorELNS0_4arch9wavefront6targetE1EEEvSF_: ; @_ZN7rocprim17ROCPRIM_400000_NS6detail17trampoline_kernelINS0_14default_configENS1_38merge_sort_block_merge_config_selectorIdNS0_10empty_typeEEEZZNS1_27merge_sort_block_merge_implIS3_PdPS5_jNS1_19radix_merge_compareILb0ELb0EdNS0_19identity_decomposerEEEEE10hipError_tT0_T1_T2_jT3_P12ihipStream_tbPNSt15iterator_traitsISE_E10value_typeEPNSK_ISF_E10value_typeEPSG_NS1_7vsmem_tEENKUlT_SE_SF_SG_E_clIS8_S8_S9_S9_EESD_ST_SE_SF_SG_EUlST_E_NS1_11comp_targetILNS1_3genE8ELNS1_11target_archE1030ELNS1_3gpuE2ELNS1_3repE0EEENS1_48merge_mergepath_partition_config_static_selectorELNS0_4arch9wavefront6targetE1EEEvSF_
; %bb.0:
	.section	.rodata,"a",@progbits
	.p2align	6, 0x0
	.amdhsa_kernel _ZN7rocprim17ROCPRIM_400000_NS6detail17trampoline_kernelINS0_14default_configENS1_38merge_sort_block_merge_config_selectorIdNS0_10empty_typeEEEZZNS1_27merge_sort_block_merge_implIS3_PdPS5_jNS1_19radix_merge_compareILb0ELb0EdNS0_19identity_decomposerEEEEE10hipError_tT0_T1_T2_jT3_P12ihipStream_tbPNSt15iterator_traitsISE_E10value_typeEPNSK_ISF_E10value_typeEPSG_NS1_7vsmem_tEENKUlT_SE_SF_SG_E_clIS8_S8_S9_S9_EESD_ST_SE_SF_SG_EUlST_E_NS1_11comp_targetILNS1_3genE8ELNS1_11target_archE1030ELNS1_3gpuE2ELNS1_3repE0EEENS1_48merge_mergepath_partition_config_static_selectorELNS0_4arch9wavefront6targetE1EEEvSF_
		.amdhsa_group_segment_fixed_size 0
		.amdhsa_private_segment_fixed_size 0
		.amdhsa_kernarg_size 40
		.amdhsa_user_sgpr_count 6
		.amdhsa_user_sgpr_private_segment_buffer 1
		.amdhsa_user_sgpr_dispatch_ptr 0
		.amdhsa_user_sgpr_queue_ptr 0
		.amdhsa_user_sgpr_kernarg_segment_ptr 1
		.amdhsa_user_sgpr_dispatch_id 0
		.amdhsa_user_sgpr_flat_scratch_init 0
		.amdhsa_user_sgpr_kernarg_preload_length 0
		.amdhsa_user_sgpr_kernarg_preload_offset 0
		.amdhsa_user_sgpr_private_segment_size 0
		.amdhsa_uses_dynamic_stack 0
		.amdhsa_system_sgpr_private_segment_wavefront_offset 0
		.amdhsa_system_sgpr_workgroup_id_x 1
		.amdhsa_system_sgpr_workgroup_id_y 0
		.amdhsa_system_sgpr_workgroup_id_z 0
		.amdhsa_system_sgpr_workgroup_info 0
		.amdhsa_system_vgpr_workitem_id 0
		.amdhsa_next_free_vgpr 1
		.amdhsa_next_free_sgpr 0
		.amdhsa_accum_offset 4
		.amdhsa_reserve_vcc 0
		.amdhsa_reserve_flat_scratch 0
		.amdhsa_float_round_mode_32 0
		.amdhsa_float_round_mode_16_64 0
		.amdhsa_float_denorm_mode_32 3
		.amdhsa_float_denorm_mode_16_64 3
		.amdhsa_dx10_clamp 1
		.amdhsa_ieee_mode 1
		.amdhsa_fp16_overflow 0
		.amdhsa_tg_split 0
		.amdhsa_exception_fp_ieee_invalid_op 0
		.amdhsa_exception_fp_denorm_src 0
		.amdhsa_exception_fp_ieee_div_zero 0
		.amdhsa_exception_fp_ieee_overflow 0
		.amdhsa_exception_fp_ieee_underflow 0
		.amdhsa_exception_fp_ieee_inexact 0
		.amdhsa_exception_int_div_zero 0
	.end_amdhsa_kernel
	.section	.text._ZN7rocprim17ROCPRIM_400000_NS6detail17trampoline_kernelINS0_14default_configENS1_38merge_sort_block_merge_config_selectorIdNS0_10empty_typeEEEZZNS1_27merge_sort_block_merge_implIS3_PdPS5_jNS1_19radix_merge_compareILb0ELb0EdNS0_19identity_decomposerEEEEE10hipError_tT0_T1_T2_jT3_P12ihipStream_tbPNSt15iterator_traitsISE_E10value_typeEPNSK_ISF_E10value_typeEPSG_NS1_7vsmem_tEENKUlT_SE_SF_SG_E_clIS8_S8_S9_S9_EESD_ST_SE_SF_SG_EUlST_E_NS1_11comp_targetILNS1_3genE8ELNS1_11target_archE1030ELNS1_3gpuE2ELNS1_3repE0EEENS1_48merge_mergepath_partition_config_static_selectorELNS0_4arch9wavefront6targetE1EEEvSF_,"axG",@progbits,_ZN7rocprim17ROCPRIM_400000_NS6detail17trampoline_kernelINS0_14default_configENS1_38merge_sort_block_merge_config_selectorIdNS0_10empty_typeEEEZZNS1_27merge_sort_block_merge_implIS3_PdPS5_jNS1_19radix_merge_compareILb0ELb0EdNS0_19identity_decomposerEEEEE10hipError_tT0_T1_T2_jT3_P12ihipStream_tbPNSt15iterator_traitsISE_E10value_typeEPNSK_ISF_E10value_typeEPSG_NS1_7vsmem_tEENKUlT_SE_SF_SG_E_clIS8_S8_S9_S9_EESD_ST_SE_SF_SG_EUlST_E_NS1_11comp_targetILNS1_3genE8ELNS1_11target_archE1030ELNS1_3gpuE2ELNS1_3repE0EEENS1_48merge_mergepath_partition_config_static_selectorELNS0_4arch9wavefront6targetE1EEEvSF_,comdat
.Lfunc_end1329:
	.size	_ZN7rocprim17ROCPRIM_400000_NS6detail17trampoline_kernelINS0_14default_configENS1_38merge_sort_block_merge_config_selectorIdNS0_10empty_typeEEEZZNS1_27merge_sort_block_merge_implIS3_PdPS5_jNS1_19radix_merge_compareILb0ELb0EdNS0_19identity_decomposerEEEEE10hipError_tT0_T1_T2_jT3_P12ihipStream_tbPNSt15iterator_traitsISE_E10value_typeEPNSK_ISF_E10value_typeEPSG_NS1_7vsmem_tEENKUlT_SE_SF_SG_E_clIS8_S8_S9_S9_EESD_ST_SE_SF_SG_EUlST_E_NS1_11comp_targetILNS1_3genE8ELNS1_11target_archE1030ELNS1_3gpuE2ELNS1_3repE0EEENS1_48merge_mergepath_partition_config_static_selectorELNS0_4arch9wavefront6targetE1EEEvSF_, .Lfunc_end1329-_ZN7rocprim17ROCPRIM_400000_NS6detail17trampoline_kernelINS0_14default_configENS1_38merge_sort_block_merge_config_selectorIdNS0_10empty_typeEEEZZNS1_27merge_sort_block_merge_implIS3_PdPS5_jNS1_19radix_merge_compareILb0ELb0EdNS0_19identity_decomposerEEEEE10hipError_tT0_T1_T2_jT3_P12ihipStream_tbPNSt15iterator_traitsISE_E10value_typeEPNSK_ISF_E10value_typeEPSG_NS1_7vsmem_tEENKUlT_SE_SF_SG_E_clIS8_S8_S9_S9_EESD_ST_SE_SF_SG_EUlST_E_NS1_11comp_targetILNS1_3genE8ELNS1_11target_archE1030ELNS1_3gpuE2ELNS1_3repE0EEENS1_48merge_mergepath_partition_config_static_selectorELNS0_4arch9wavefront6targetE1EEEvSF_
                                        ; -- End function
	.section	.AMDGPU.csdata,"",@progbits
; Kernel info:
; codeLenInByte = 0
; NumSgprs: 4
; NumVgprs: 0
; NumAgprs: 0
; TotalNumVgprs: 0
; ScratchSize: 0
; MemoryBound: 0
; FloatMode: 240
; IeeeMode: 1
; LDSByteSize: 0 bytes/workgroup (compile time only)
; SGPRBlocks: 0
; VGPRBlocks: 0
; NumSGPRsForWavesPerEU: 4
; NumVGPRsForWavesPerEU: 1
; AccumOffset: 4
; Occupancy: 8
; WaveLimiterHint : 0
; COMPUTE_PGM_RSRC2:SCRATCH_EN: 0
; COMPUTE_PGM_RSRC2:USER_SGPR: 6
; COMPUTE_PGM_RSRC2:TRAP_HANDLER: 0
; COMPUTE_PGM_RSRC2:TGID_X_EN: 1
; COMPUTE_PGM_RSRC2:TGID_Y_EN: 0
; COMPUTE_PGM_RSRC2:TGID_Z_EN: 0
; COMPUTE_PGM_RSRC2:TIDIG_COMP_CNT: 0
; COMPUTE_PGM_RSRC3_GFX90A:ACCUM_OFFSET: 0
; COMPUTE_PGM_RSRC3_GFX90A:TG_SPLIT: 0
	.section	.text._ZN7rocprim17ROCPRIM_400000_NS6detail17trampoline_kernelINS0_14default_configENS1_38merge_sort_block_merge_config_selectorIdNS0_10empty_typeEEEZZNS1_27merge_sort_block_merge_implIS3_PdPS5_jNS1_19radix_merge_compareILb0ELb0EdNS0_19identity_decomposerEEEEE10hipError_tT0_T1_T2_jT3_P12ihipStream_tbPNSt15iterator_traitsISE_E10value_typeEPNSK_ISF_E10value_typeEPSG_NS1_7vsmem_tEENKUlT_SE_SF_SG_E_clIS8_S8_S9_S9_EESD_ST_SE_SF_SG_EUlST_E0_NS1_11comp_targetILNS1_3genE0ELNS1_11target_archE4294967295ELNS1_3gpuE0ELNS1_3repE0EEENS1_38merge_mergepath_config_static_selectorELNS0_4arch9wavefront6targetE1EEEvSF_,"axG",@progbits,_ZN7rocprim17ROCPRIM_400000_NS6detail17trampoline_kernelINS0_14default_configENS1_38merge_sort_block_merge_config_selectorIdNS0_10empty_typeEEEZZNS1_27merge_sort_block_merge_implIS3_PdPS5_jNS1_19radix_merge_compareILb0ELb0EdNS0_19identity_decomposerEEEEE10hipError_tT0_T1_T2_jT3_P12ihipStream_tbPNSt15iterator_traitsISE_E10value_typeEPNSK_ISF_E10value_typeEPSG_NS1_7vsmem_tEENKUlT_SE_SF_SG_E_clIS8_S8_S9_S9_EESD_ST_SE_SF_SG_EUlST_E0_NS1_11comp_targetILNS1_3genE0ELNS1_11target_archE4294967295ELNS1_3gpuE0ELNS1_3repE0EEENS1_38merge_mergepath_config_static_selectorELNS0_4arch9wavefront6targetE1EEEvSF_,comdat
	.protected	_ZN7rocprim17ROCPRIM_400000_NS6detail17trampoline_kernelINS0_14default_configENS1_38merge_sort_block_merge_config_selectorIdNS0_10empty_typeEEEZZNS1_27merge_sort_block_merge_implIS3_PdPS5_jNS1_19radix_merge_compareILb0ELb0EdNS0_19identity_decomposerEEEEE10hipError_tT0_T1_T2_jT3_P12ihipStream_tbPNSt15iterator_traitsISE_E10value_typeEPNSK_ISF_E10value_typeEPSG_NS1_7vsmem_tEENKUlT_SE_SF_SG_E_clIS8_S8_S9_S9_EESD_ST_SE_SF_SG_EUlST_E0_NS1_11comp_targetILNS1_3genE0ELNS1_11target_archE4294967295ELNS1_3gpuE0ELNS1_3repE0EEENS1_38merge_mergepath_config_static_selectorELNS0_4arch9wavefront6targetE1EEEvSF_ ; -- Begin function _ZN7rocprim17ROCPRIM_400000_NS6detail17trampoline_kernelINS0_14default_configENS1_38merge_sort_block_merge_config_selectorIdNS0_10empty_typeEEEZZNS1_27merge_sort_block_merge_implIS3_PdPS5_jNS1_19radix_merge_compareILb0ELb0EdNS0_19identity_decomposerEEEEE10hipError_tT0_T1_T2_jT3_P12ihipStream_tbPNSt15iterator_traitsISE_E10value_typeEPNSK_ISF_E10value_typeEPSG_NS1_7vsmem_tEENKUlT_SE_SF_SG_E_clIS8_S8_S9_S9_EESD_ST_SE_SF_SG_EUlST_E0_NS1_11comp_targetILNS1_3genE0ELNS1_11target_archE4294967295ELNS1_3gpuE0ELNS1_3repE0EEENS1_38merge_mergepath_config_static_selectorELNS0_4arch9wavefront6targetE1EEEvSF_
	.globl	_ZN7rocprim17ROCPRIM_400000_NS6detail17trampoline_kernelINS0_14default_configENS1_38merge_sort_block_merge_config_selectorIdNS0_10empty_typeEEEZZNS1_27merge_sort_block_merge_implIS3_PdPS5_jNS1_19radix_merge_compareILb0ELb0EdNS0_19identity_decomposerEEEEE10hipError_tT0_T1_T2_jT3_P12ihipStream_tbPNSt15iterator_traitsISE_E10value_typeEPNSK_ISF_E10value_typeEPSG_NS1_7vsmem_tEENKUlT_SE_SF_SG_E_clIS8_S8_S9_S9_EESD_ST_SE_SF_SG_EUlST_E0_NS1_11comp_targetILNS1_3genE0ELNS1_11target_archE4294967295ELNS1_3gpuE0ELNS1_3repE0EEENS1_38merge_mergepath_config_static_selectorELNS0_4arch9wavefront6targetE1EEEvSF_
	.p2align	8
	.type	_ZN7rocprim17ROCPRIM_400000_NS6detail17trampoline_kernelINS0_14default_configENS1_38merge_sort_block_merge_config_selectorIdNS0_10empty_typeEEEZZNS1_27merge_sort_block_merge_implIS3_PdPS5_jNS1_19radix_merge_compareILb0ELb0EdNS0_19identity_decomposerEEEEE10hipError_tT0_T1_T2_jT3_P12ihipStream_tbPNSt15iterator_traitsISE_E10value_typeEPNSK_ISF_E10value_typeEPSG_NS1_7vsmem_tEENKUlT_SE_SF_SG_E_clIS8_S8_S9_S9_EESD_ST_SE_SF_SG_EUlST_E0_NS1_11comp_targetILNS1_3genE0ELNS1_11target_archE4294967295ELNS1_3gpuE0ELNS1_3repE0EEENS1_38merge_mergepath_config_static_selectorELNS0_4arch9wavefront6targetE1EEEvSF_,@function
_ZN7rocprim17ROCPRIM_400000_NS6detail17trampoline_kernelINS0_14default_configENS1_38merge_sort_block_merge_config_selectorIdNS0_10empty_typeEEEZZNS1_27merge_sort_block_merge_implIS3_PdPS5_jNS1_19radix_merge_compareILb0ELb0EdNS0_19identity_decomposerEEEEE10hipError_tT0_T1_T2_jT3_P12ihipStream_tbPNSt15iterator_traitsISE_E10value_typeEPNSK_ISF_E10value_typeEPSG_NS1_7vsmem_tEENKUlT_SE_SF_SG_E_clIS8_S8_S9_S9_EESD_ST_SE_SF_SG_EUlST_E0_NS1_11comp_targetILNS1_3genE0ELNS1_11target_archE4294967295ELNS1_3gpuE0ELNS1_3repE0EEENS1_38merge_mergepath_config_static_selectorELNS0_4arch9wavefront6targetE1EEEvSF_: ; @_ZN7rocprim17ROCPRIM_400000_NS6detail17trampoline_kernelINS0_14default_configENS1_38merge_sort_block_merge_config_selectorIdNS0_10empty_typeEEEZZNS1_27merge_sort_block_merge_implIS3_PdPS5_jNS1_19radix_merge_compareILb0ELb0EdNS0_19identity_decomposerEEEEE10hipError_tT0_T1_T2_jT3_P12ihipStream_tbPNSt15iterator_traitsISE_E10value_typeEPNSK_ISF_E10value_typeEPSG_NS1_7vsmem_tEENKUlT_SE_SF_SG_E_clIS8_S8_S9_S9_EESD_ST_SE_SF_SG_EUlST_E0_NS1_11comp_targetILNS1_3genE0ELNS1_11target_archE4294967295ELNS1_3gpuE0ELNS1_3repE0EEENS1_38merge_mergepath_config_static_selectorELNS0_4arch9wavefront6targetE1EEEvSF_
; %bb.0:
	.section	.rodata,"a",@progbits
	.p2align	6, 0x0
	.amdhsa_kernel _ZN7rocprim17ROCPRIM_400000_NS6detail17trampoline_kernelINS0_14default_configENS1_38merge_sort_block_merge_config_selectorIdNS0_10empty_typeEEEZZNS1_27merge_sort_block_merge_implIS3_PdPS5_jNS1_19radix_merge_compareILb0ELb0EdNS0_19identity_decomposerEEEEE10hipError_tT0_T1_T2_jT3_P12ihipStream_tbPNSt15iterator_traitsISE_E10value_typeEPNSK_ISF_E10value_typeEPSG_NS1_7vsmem_tEENKUlT_SE_SF_SG_E_clIS8_S8_S9_S9_EESD_ST_SE_SF_SG_EUlST_E0_NS1_11comp_targetILNS1_3genE0ELNS1_11target_archE4294967295ELNS1_3gpuE0ELNS1_3repE0EEENS1_38merge_mergepath_config_static_selectorELNS0_4arch9wavefront6targetE1EEEvSF_
		.amdhsa_group_segment_fixed_size 0
		.amdhsa_private_segment_fixed_size 0
		.amdhsa_kernarg_size 64
		.amdhsa_user_sgpr_count 6
		.amdhsa_user_sgpr_private_segment_buffer 1
		.amdhsa_user_sgpr_dispatch_ptr 0
		.amdhsa_user_sgpr_queue_ptr 0
		.amdhsa_user_sgpr_kernarg_segment_ptr 1
		.amdhsa_user_sgpr_dispatch_id 0
		.amdhsa_user_sgpr_flat_scratch_init 0
		.amdhsa_user_sgpr_kernarg_preload_length 0
		.amdhsa_user_sgpr_kernarg_preload_offset 0
		.amdhsa_user_sgpr_private_segment_size 0
		.amdhsa_uses_dynamic_stack 0
		.amdhsa_system_sgpr_private_segment_wavefront_offset 0
		.amdhsa_system_sgpr_workgroup_id_x 1
		.amdhsa_system_sgpr_workgroup_id_y 0
		.amdhsa_system_sgpr_workgroup_id_z 0
		.amdhsa_system_sgpr_workgroup_info 0
		.amdhsa_system_vgpr_workitem_id 0
		.amdhsa_next_free_vgpr 1
		.amdhsa_next_free_sgpr 0
		.amdhsa_accum_offset 4
		.amdhsa_reserve_vcc 0
		.amdhsa_reserve_flat_scratch 0
		.amdhsa_float_round_mode_32 0
		.amdhsa_float_round_mode_16_64 0
		.amdhsa_float_denorm_mode_32 3
		.amdhsa_float_denorm_mode_16_64 3
		.amdhsa_dx10_clamp 1
		.amdhsa_ieee_mode 1
		.amdhsa_fp16_overflow 0
		.amdhsa_tg_split 0
		.amdhsa_exception_fp_ieee_invalid_op 0
		.amdhsa_exception_fp_denorm_src 0
		.amdhsa_exception_fp_ieee_div_zero 0
		.amdhsa_exception_fp_ieee_overflow 0
		.amdhsa_exception_fp_ieee_underflow 0
		.amdhsa_exception_fp_ieee_inexact 0
		.amdhsa_exception_int_div_zero 0
	.end_amdhsa_kernel
	.section	.text._ZN7rocprim17ROCPRIM_400000_NS6detail17trampoline_kernelINS0_14default_configENS1_38merge_sort_block_merge_config_selectorIdNS0_10empty_typeEEEZZNS1_27merge_sort_block_merge_implIS3_PdPS5_jNS1_19radix_merge_compareILb0ELb0EdNS0_19identity_decomposerEEEEE10hipError_tT0_T1_T2_jT3_P12ihipStream_tbPNSt15iterator_traitsISE_E10value_typeEPNSK_ISF_E10value_typeEPSG_NS1_7vsmem_tEENKUlT_SE_SF_SG_E_clIS8_S8_S9_S9_EESD_ST_SE_SF_SG_EUlST_E0_NS1_11comp_targetILNS1_3genE0ELNS1_11target_archE4294967295ELNS1_3gpuE0ELNS1_3repE0EEENS1_38merge_mergepath_config_static_selectorELNS0_4arch9wavefront6targetE1EEEvSF_,"axG",@progbits,_ZN7rocprim17ROCPRIM_400000_NS6detail17trampoline_kernelINS0_14default_configENS1_38merge_sort_block_merge_config_selectorIdNS0_10empty_typeEEEZZNS1_27merge_sort_block_merge_implIS3_PdPS5_jNS1_19radix_merge_compareILb0ELb0EdNS0_19identity_decomposerEEEEE10hipError_tT0_T1_T2_jT3_P12ihipStream_tbPNSt15iterator_traitsISE_E10value_typeEPNSK_ISF_E10value_typeEPSG_NS1_7vsmem_tEENKUlT_SE_SF_SG_E_clIS8_S8_S9_S9_EESD_ST_SE_SF_SG_EUlST_E0_NS1_11comp_targetILNS1_3genE0ELNS1_11target_archE4294967295ELNS1_3gpuE0ELNS1_3repE0EEENS1_38merge_mergepath_config_static_selectorELNS0_4arch9wavefront6targetE1EEEvSF_,comdat
.Lfunc_end1330:
	.size	_ZN7rocprim17ROCPRIM_400000_NS6detail17trampoline_kernelINS0_14default_configENS1_38merge_sort_block_merge_config_selectorIdNS0_10empty_typeEEEZZNS1_27merge_sort_block_merge_implIS3_PdPS5_jNS1_19radix_merge_compareILb0ELb0EdNS0_19identity_decomposerEEEEE10hipError_tT0_T1_T2_jT3_P12ihipStream_tbPNSt15iterator_traitsISE_E10value_typeEPNSK_ISF_E10value_typeEPSG_NS1_7vsmem_tEENKUlT_SE_SF_SG_E_clIS8_S8_S9_S9_EESD_ST_SE_SF_SG_EUlST_E0_NS1_11comp_targetILNS1_3genE0ELNS1_11target_archE4294967295ELNS1_3gpuE0ELNS1_3repE0EEENS1_38merge_mergepath_config_static_selectorELNS0_4arch9wavefront6targetE1EEEvSF_, .Lfunc_end1330-_ZN7rocprim17ROCPRIM_400000_NS6detail17trampoline_kernelINS0_14default_configENS1_38merge_sort_block_merge_config_selectorIdNS0_10empty_typeEEEZZNS1_27merge_sort_block_merge_implIS3_PdPS5_jNS1_19radix_merge_compareILb0ELb0EdNS0_19identity_decomposerEEEEE10hipError_tT0_T1_T2_jT3_P12ihipStream_tbPNSt15iterator_traitsISE_E10value_typeEPNSK_ISF_E10value_typeEPSG_NS1_7vsmem_tEENKUlT_SE_SF_SG_E_clIS8_S8_S9_S9_EESD_ST_SE_SF_SG_EUlST_E0_NS1_11comp_targetILNS1_3genE0ELNS1_11target_archE4294967295ELNS1_3gpuE0ELNS1_3repE0EEENS1_38merge_mergepath_config_static_selectorELNS0_4arch9wavefront6targetE1EEEvSF_
                                        ; -- End function
	.section	.AMDGPU.csdata,"",@progbits
; Kernel info:
; codeLenInByte = 0
; NumSgprs: 4
; NumVgprs: 0
; NumAgprs: 0
; TotalNumVgprs: 0
; ScratchSize: 0
; MemoryBound: 0
; FloatMode: 240
; IeeeMode: 1
; LDSByteSize: 0 bytes/workgroup (compile time only)
; SGPRBlocks: 0
; VGPRBlocks: 0
; NumSGPRsForWavesPerEU: 4
; NumVGPRsForWavesPerEU: 1
; AccumOffset: 4
; Occupancy: 8
; WaveLimiterHint : 0
; COMPUTE_PGM_RSRC2:SCRATCH_EN: 0
; COMPUTE_PGM_RSRC2:USER_SGPR: 6
; COMPUTE_PGM_RSRC2:TRAP_HANDLER: 0
; COMPUTE_PGM_RSRC2:TGID_X_EN: 1
; COMPUTE_PGM_RSRC2:TGID_Y_EN: 0
; COMPUTE_PGM_RSRC2:TGID_Z_EN: 0
; COMPUTE_PGM_RSRC2:TIDIG_COMP_CNT: 0
; COMPUTE_PGM_RSRC3_GFX90A:ACCUM_OFFSET: 0
; COMPUTE_PGM_RSRC3_GFX90A:TG_SPLIT: 0
	.section	.text._ZN7rocprim17ROCPRIM_400000_NS6detail17trampoline_kernelINS0_14default_configENS1_38merge_sort_block_merge_config_selectorIdNS0_10empty_typeEEEZZNS1_27merge_sort_block_merge_implIS3_PdPS5_jNS1_19radix_merge_compareILb0ELb0EdNS0_19identity_decomposerEEEEE10hipError_tT0_T1_T2_jT3_P12ihipStream_tbPNSt15iterator_traitsISE_E10value_typeEPNSK_ISF_E10value_typeEPSG_NS1_7vsmem_tEENKUlT_SE_SF_SG_E_clIS8_S8_S9_S9_EESD_ST_SE_SF_SG_EUlST_E0_NS1_11comp_targetILNS1_3genE10ELNS1_11target_archE1201ELNS1_3gpuE5ELNS1_3repE0EEENS1_38merge_mergepath_config_static_selectorELNS0_4arch9wavefront6targetE1EEEvSF_,"axG",@progbits,_ZN7rocprim17ROCPRIM_400000_NS6detail17trampoline_kernelINS0_14default_configENS1_38merge_sort_block_merge_config_selectorIdNS0_10empty_typeEEEZZNS1_27merge_sort_block_merge_implIS3_PdPS5_jNS1_19radix_merge_compareILb0ELb0EdNS0_19identity_decomposerEEEEE10hipError_tT0_T1_T2_jT3_P12ihipStream_tbPNSt15iterator_traitsISE_E10value_typeEPNSK_ISF_E10value_typeEPSG_NS1_7vsmem_tEENKUlT_SE_SF_SG_E_clIS8_S8_S9_S9_EESD_ST_SE_SF_SG_EUlST_E0_NS1_11comp_targetILNS1_3genE10ELNS1_11target_archE1201ELNS1_3gpuE5ELNS1_3repE0EEENS1_38merge_mergepath_config_static_selectorELNS0_4arch9wavefront6targetE1EEEvSF_,comdat
	.protected	_ZN7rocprim17ROCPRIM_400000_NS6detail17trampoline_kernelINS0_14default_configENS1_38merge_sort_block_merge_config_selectorIdNS0_10empty_typeEEEZZNS1_27merge_sort_block_merge_implIS3_PdPS5_jNS1_19radix_merge_compareILb0ELb0EdNS0_19identity_decomposerEEEEE10hipError_tT0_T1_T2_jT3_P12ihipStream_tbPNSt15iterator_traitsISE_E10value_typeEPNSK_ISF_E10value_typeEPSG_NS1_7vsmem_tEENKUlT_SE_SF_SG_E_clIS8_S8_S9_S9_EESD_ST_SE_SF_SG_EUlST_E0_NS1_11comp_targetILNS1_3genE10ELNS1_11target_archE1201ELNS1_3gpuE5ELNS1_3repE0EEENS1_38merge_mergepath_config_static_selectorELNS0_4arch9wavefront6targetE1EEEvSF_ ; -- Begin function _ZN7rocprim17ROCPRIM_400000_NS6detail17trampoline_kernelINS0_14default_configENS1_38merge_sort_block_merge_config_selectorIdNS0_10empty_typeEEEZZNS1_27merge_sort_block_merge_implIS3_PdPS5_jNS1_19radix_merge_compareILb0ELb0EdNS0_19identity_decomposerEEEEE10hipError_tT0_T1_T2_jT3_P12ihipStream_tbPNSt15iterator_traitsISE_E10value_typeEPNSK_ISF_E10value_typeEPSG_NS1_7vsmem_tEENKUlT_SE_SF_SG_E_clIS8_S8_S9_S9_EESD_ST_SE_SF_SG_EUlST_E0_NS1_11comp_targetILNS1_3genE10ELNS1_11target_archE1201ELNS1_3gpuE5ELNS1_3repE0EEENS1_38merge_mergepath_config_static_selectorELNS0_4arch9wavefront6targetE1EEEvSF_
	.globl	_ZN7rocprim17ROCPRIM_400000_NS6detail17trampoline_kernelINS0_14default_configENS1_38merge_sort_block_merge_config_selectorIdNS0_10empty_typeEEEZZNS1_27merge_sort_block_merge_implIS3_PdPS5_jNS1_19radix_merge_compareILb0ELb0EdNS0_19identity_decomposerEEEEE10hipError_tT0_T1_T2_jT3_P12ihipStream_tbPNSt15iterator_traitsISE_E10value_typeEPNSK_ISF_E10value_typeEPSG_NS1_7vsmem_tEENKUlT_SE_SF_SG_E_clIS8_S8_S9_S9_EESD_ST_SE_SF_SG_EUlST_E0_NS1_11comp_targetILNS1_3genE10ELNS1_11target_archE1201ELNS1_3gpuE5ELNS1_3repE0EEENS1_38merge_mergepath_config_static_selectorELNS0_4arch9wavefront6targetE1EEEvSF_
	.p2align	8
	.type	_ZN7rocprim17ROCPRIM_400000_NS6detail17trampoline_kernelINS0_14default_configENS1_38merge_sort_block_merge_config_selectorIdNS0_10empty_typeEEEZZNS1_27merge_sort_block_merge_implIS3_PdPS5_jNS1_19radix_merge_compareILb0ELb0EdNS0_19identity_decomposerEEEEE10hipError_tT0_T1_T2_jT3_P12ihipStream_tbPNSt15iterator_traitsISE_E10value_typeEPNSK_ISF_E10value_typeEPSG_NS1_7vsmem_tEENKUlT_SE_SF_SG_E_clIS8_S8_S9_S9_EESD_ST_SE_SF_SG_EUlST_E0_NS1_11comp_targetILNS1_3genE10ELNS1_11target_archE1201ELNS1_3gpuE5ELNS1_3repE0EEENS1_38merge_mergepath_config_static_selectorELNS0_4arch9wavefront6targetE1EEEvSF_,@function
_ZN7rocprim17ROCPRIM_400000_NS6detail17trampoline_kernelINS0_14default_configENS1_38merge_sort_block_merge_config_selectorIdNS0_10empty_typeEEEZZNS1_27merge_sort_block_merge_implIS3_PdPS5_jNS1_19radix_merge_compareILb0ELb0EdNS0_19identity_decomposerEEEEE10hipError_tT0_T1_T2_jT3_P12ihipStream_tbPNSt15iterator_traitsISE_E10value_typeEPNSK_ISF_E10value_typeEPSG_NS1_7vsmem_tEENKUlT_SE_SF_SG_E_clIS8_S8_S9_S9_EESD_ST_SE_SF_SG_EUlST_E0_NS1_11comp_targetILNS1_3genE10ELNS1_11target_archE1201ELNS1_3gpuE5ELNS1_3repE0EEENS1_38merge_mergepath_config_static_selectorELNS0_4arch9wavefront6targetE1EEEvSF_: ; @_ZN7rocprim17ROCPRIM_400000_NS6detail17trampoline_kernelINS0_14default_configENS1_38merge_sort_block_merge_config_selectorIdNS0_10empty_typeEEEZZNS1_27merge_sort_block_merge_implIS3_PdPS5_jNS1_19radix_merge_compareILb0ELb0EdNS0_19identity_decomposerEEEEE10hipError_tT0_T1_T2_jT3_P12ihipStream_tbPNSt15iterator_traitsISE_E10value_typeEPNSK_ISF_E10value_typeEPSG_NS1_7vsmem_tEENKUlT_SE_SF_SG_E_clIS8_S8_S9_S9_EESD_ST_SE_SF_SG_EUlST_E0_NS1_11comp_targetILNS1_3genE10ELNS1_11target_archE1201ELNS1_3gpuE5ELNS1_3repE0EEENS1_38merge_mergepath_config_static_selectorELNS0_4arch9wavefront6targetE1EEEvSF_
; %bb.0:
	.section	.rodata,"a",@progbits
	.p2align	6, 0x0
	.amdhsa_kernel _ZN7rocprim17ROCPRIM_400000_NS6detail17trampoline_kernelINS0_14default_configENS1_38merge_sort_block_merge_config_selectorIdNS0_10empty_typeEEEZZNS1_27merge_sort_block_merge_implIS3_PdPS5_jNS1_19radix_merge_compareILb0ELb0EdNS0_19identity_decomposerEEEEE10hipError_tT0_T1_T2_jT3_P12ihipStream_tbPNSt15iterator_traitsISE_E10value_typeEPNSK_ISF_E10value_typeEPSG_NS1_7vsmem_tEENKUlT_SE_SF_SG_E_clIS8_S8_S9_S9_EESD_ST_SE_SF_SG_EUlST_E0_NS1_11comp_targetILNS1_3genE10ELNS1_11target_archE1201ELNS1_3gpuE5ELNS1_3repE0EEENS1_38merge_mergepath_config_static_selectorELNS0_4arch9wavefront6targetE1EEEvSF_
		.amdhsa_group_segment_fixed_size 0
		.amdhsa_private_segment_fixed_size 0
		.amdhsa_kernarg_size 64
		.amdhsa_user_sgpr_count 6
		.amdhsa_user_sgpr_private_segment_buffer 1
		.amdhsa_user_sgpr_dispatch_ptr 0
		.amdhsa_user_sgpr_queue_ptr 0
		.amdhsa_user_sgpr_kernarg_segment_ptr 1
		.amdhsa_user_sgpr_dispatch_id 0
		.amdhsa_user_sgpr_flat_scratch_init 0
		.amdhsa_user_sgpr_kernarg_preload_length 0
		.amdhsa_user_sgpr_kernarg_preload_offset 0
		.amdhsa_user_sgpr_private_segment_size 0
		.amdhsa_uses_dynamic_stack 0
		.amdhsa_system_sgpr_private_segment_wavefront_offset 0
		.amdhsa_system_sgpr_workgroup_id_x 1
		.amdhsa_system_sgpr_workgroup_id_y 0
		.amdhsa_system_sgpr_workgroup_id_z 0
		.amdhsa_system_sgpr_workgroup_info 0
		.amdhsa_system_vgpr_workitem_id 0
		.amdhsa_next_free_vgpr 1
		.amdhsa_next_free_sgpr 0
		.amdhsa_accum_offset 4
		.amdhsa_reserve_vcc 0
		.amdhsa_reserve_flat_scratch 0
		.amdhsa_float_round_mode_32 0
		.amdhsa_float_round_mode_16_64 0
		.amdhsa_float_denorm_mode_32 3
		.amdhsa_float_denorm_mode_16_64 3
		.amdhsa_dx10_clamp 1
		.amdhsa_ieee_mode 1
		.amdhsa_fp16_overflow 0
		.amdhsa_tg_split 0
		.amdhsa_exception_fp_ieee_invalid_op 0
		.amdhsa_exception_fp_denorm_src 0
		.amdhsa_exception_fp_ieee_div_zero 0
		.amdhsa_exception_fp_ieee_overflow 0
		.amdhsa_exception_fp_ieee_underflow 0
		.amdhsa_exception_fp_ieee_inexact 0
		.amdhsa_exception_int_div_zero 0
	.end_amdhsa_kernel
	.section	.text._ZN7rocprim17ROCPRIM_400000_NS6detail17trampoline_kernelINS0_14default_configENS1_38merge_sort_block_merge_config_selectorIdNS0_10empty_typeEEEZZNS1_27merge_sort_block_merge_implIS3_PdPS5_jNS1_19radix_merge_compareILb0ELb0EdNS0_19identity_decomposerEEEEE10hipError_tT0_T1_T2_jT3_P12ihipStream_tbPNSt15iterator_traitsISE_E10value_typeEPNSK_ISF_E10value_typeEPSG_NS1_7vsmem_tEENKUlT_SE_SF_SG_E_clIS8_S8_S9_S9_EESD_ST_SE_SF_SG_EUlST_E0_NS1_11comp_targetILNS1_3genE10ELNS1_11target_archE1201ELNS1_3gpuE5ELNS1_3repE0EEENS1_38merge_mergepath_config_static_selectorELNS0_4arch9wavefront6targetE1EEEvSF_,"axG",@progbits,_ZN7rocprim17ROCPRIM_400000_NS6detail17trampoline_kernelINS0_14default_configENS1_38merge_sort_block_merge_config_selectorIdNS0_10empty_typeEEEZZNS1_27merge_sort_block_merge_implIS3_PdPS5_jNS1_19radix_merge_compareILb0ELb0EdNS0_19identity_decomposerEEEEE10hipError_tT0_T1_T2_jT3_P12ihipStream_tbPNSt15iterator_traitsISE_E10value_typeEPNSK_ISF_E10value_typeEPSG_NS1_7vsmem_tEENKUlT_SE_SF_SG_E_clIS8_S8_S9_S9_EESD_ST_SE_SF_SG_EUlST_E0_NS1_11comp_targetILNS1_3genE10ELNS1_11target_archE1201ELNS1_3gpuE5ELNS1_3repE0EEENS1_38merge_mergepath_config_static_selectorELNS0_4arch9wavefront6targetE1EEEvSF_,comdat
.Lfunc_end1331:
	.size	_ZN7rocprim17ROCPRIM_400000_NS6detail17trampoline_kernelINS0_14default_configENS1_38merge_sort_block_merge_config_selectorIdNS0_10empty_typeEEEZZNS1_27merge_sort_block_merge_implIS3_PdPS5_jNS1_19radix_merge_compareILb0ELb0EdNS0_19identity_decomposerEEEEE10hipError_tT0_T1_T2_jT3_P12ihipStream_tbPNSt15iterator_traitsISE_E10value_typeEPNSK_ISF_E10value_typeEPSG_NS1_7vsmem_tEENKUlT_SE_SF_SG_E_clIS8_S8_S9_S9_EESD_ST_SE_SF_SG_EUlST_E0_NS1_11comp_targetILNS1_3genE10ELNS1_11target_archE1201ELNS1_3gpuE5ELNS1_3repE0EEENS1_38merge_mergepath_config_static_selectorELNS0_4arch9wavefront6targetE1EEEvSF_, .Lfunc_end1331-_ZN7rocprim17ROCPRIM_400000_NS6detail17trampoline_kernelINS0_14default_configENS1_38merge_sort_block_merge_config_selectorIdNS0_10empty_typeEEEZZNS1_27merge_sort_block_merge_implIS3_PdPS5_jNS1_19radix_merge_compareILb0ELb0EdNS0_19identity_decomposerEEEEE10hipError_tT0_T1_T2_jT3_P12ihipStream_tbPNSt15iterator_traitsISE_E10value_typeEPNSK_ISF_E10value_typeEPSG_NS1_7vsmem_tEENKUlT_SE_SF_SG_E_clIS8_S8_S9_S9_EESD_ST_SE_SF_SG_EUlST_E0_NS1_11comp_targetILNS1_3genE10ELNS1_11target_archE1201ELNS1_3gpuE5ELNS1_3repE0EEENS1_38merge_mergepath_config_static_selectorELNS0_4arch9wavefront6targetE1EEEvSF_
                                        ; -- End function
	.section	.AMDGPU.csdata,"",@progbits
; Kernel info:
; codeLenInByte = 0
; NumSgprs: 4
; NumVgprs: 0
; NumAgprs: 0
; TotalNumVgprs: 0
; ScratchSize: 0
; MemoryBound: 0
; FloatMode: 240
; IeeeMode: 1
; LDSByteSize: 0 bytes/workgroup (compile time only)
; SGPRBlocks: 0
; VGPRBlocks: 0
; NumSGPRsForWavesPerEU: 4
; NumVGPRsForWavesPerEU: 1
; AccumOffset: 4
; Occupancy: 8
; WaveLimiterHint : 0
; COMPUTE_PGM_RSRC2:SCRATCH_EN: 0
; COMPUTE_PGM_RSRC2:USER_SGPR: 6
; COMPUTE_PGM_RSRC2:TRAP_HANDLER: 0
; COMPUTE_PGM_RSRC2:TGID_X_EN: 1
; COMPUTE_PGM_RSRC2:TGID_Y_EN: 0
; COMPUTE_PGM_RSRC2:TGID_Z_EN: 0
; COMPUTE_PGM_RSRC2:TIDIG_COMP_CNT: 0
; COMPUTE_PGM_RSRC3_GFX90A:ACCUM_OFFSET: 0
; COMPUTE_PGM_RSRC3_GFX90A:TG_SPLIT: 0
	.section	.text._ZN7rocprim17ROCPRIM_400000_NS6detail17trampoline_kernelINS0_14default_configENS1_38merge_sort_block_merge_config_selectorIdNS0_10empty_typeEEEZZNS1_27merge_sort_block_merge_implIS3_PdPS5_jNS1_19radix_merge_compareILb0ELb0EdNS0_19identity_decomposerEEEEE10hipError_tT0_T1_T2_jT3_P12ihipStream_tbPNSt15iterator_traitsISE_E10value_typeEPNSK_ISF_E10value_typeEPSG_NS1_7vsmem_tEENKUlT_SE_SF_SG_E_clIS8_S8_S9_S9_EESD_ST_SE_SF_SG_EUlST_E0_NS1_11comp_targetILNS1_3genE5ELNS1_11target_archE942ELNS1_3gpuE9ELNS1_3repE0EEENS1_38merge_mergepath_config_static_selectorELNS0_4arch9wavefront6targetE1EEEvSF_,"axG",@progbits,_ZN7rocprim17ROCPRIM_400000_NS6detail17trampoline_kernelINS0_14default_configENS1_38merge_sort_block_merge_config_selectorIdNS0_10empty_typeEEEZZNS1_27merge_sort_block_merge_implIS3_PdPS5_jNS1_19radix_merge_compareILb0ELb0EdNS0_19identity_decomposerEEEEE10hipError_tT0_T1_T2_jT3_P12ihipStream_tbPNSt15iterator_traitsISE_E10value_typeEPNSK_ISF_E10value_typeEPSG_NS1_7vsmem_tEENKUlT_SE_SF_SG_E_clIS8_S8_S9_S9_EESD_ST_SE_SF_SG_EUlST_E0_NS1_11comp_targetILNS1_3genE5ELNS1_11target_archE942ELNS1_3gpuE9ELNS1_3repE0EEENS1_38merge_mergepath_config_static_selectorELNS0_4arch9wavefront6targetE1EEEvSF_,comdat
	.protected	_ZN7rocprim17ROCPRIM_400000_NS6detail17trampoline_kernelINS0_14default_configENS1_38merge_sort_block_merge_config_selectorIdNS0_10empty_typeEEEZZNS1_27merge_sort_block_merge_implIS3_PdPS5_jNS1_19radix_merge_compareILb0ELb0EdNS0_19identity_decomposerEEEEE10hipError_tT0_T1_T2_jT3_P12ihipStream_tbPNSt15iterator_traitsISE_E10value_typeEPNSK_ISF_E10value_typeEPSG_NS1_7vsmem_tEENKUlT_SE_SF_SG_E_clIS8_S8_S9_S9_EESD_ST_SE_SF_SG_EUlST_E0_NS1_11comp_targetILNS1_3genE5ELNS1_11target_archE942ELNS1_3gpuE9ELNS1_3repE0EEENS1_38merge_mergepath_config_static_selectorELNS0_4arch9wavefront6targetE1EEEvSF_ ; -- Begin function _ZN7rocprim17ROCPRIM_400000_NS6detail17trampoline_kernelINS0_14default_configENS1_38merge_sort_block_merge_config_selectorIdNS0_10empty_typeEEEZZNS1_27merge_sort_block_merge_implIS3_PdPS5_jNS1_19radix_merge_compareILb0ELb0EdNS0_19identity_decomposerEEEEE10hipError_tT0_T1_T2_jT3_P12ihipStream_tbPNSt15iterator_traitsISE_E10value_typeEPNSK_ISF_E10value_typeEPSG_NS1_7vsmem_tEENKUlT_SE_SF_SG_E_clIS8_S8_S9_S9_EESD_ST_SE_SF_SG_EUlST_E0_NS1_11comp_targetILNS1_3genE5ELNS1_11target_archE942ELNS1_3gpuE9ELNS1_3repE0EEENS1_38merge_mergepath_config_static_selectorELNS0_4arch9wavefront6targetE1EEEvSF_
	.globl	_ZN7rocprim17ROCPRIM_400000_NS6detail17trampoline_kernelINS0_14default_configENS1_38merge_sort_block_merge_config_selectorIdNS0_10empty_typeEEEZZNS1_27merge_sort_block_merge_implIS3_PdPS5_jNS1_19radix_merge_compareILb0ELb0EdNS0_19identity_decomposerEEEEE10hipError_tT0_T1_T2_jT3_P12ihipStream_tbPNSt15iterator_traitsISE_E10value_typeEPNSK_ISF_E10value_typeEPSG_NS1_7vsmem_tEENKUlT_SE_SF_SG_E_clIS8_S8_S9_S9_EESD_ST_SE_SF_SG_EUlST_E0_NS1_11comp_targetILNS1_3genE5ELNS1_11target_archE942ELNS1_3gpuE9ELNS1_3repE0EEENS1_38merge_mergepath_config_static_selectorELNS0_4arch9wavefront6targetE1EEEvSF_
	.p2align	8
	.type	_ZN7rocprim17ROCPRIM_400000_NS6detail17trampoline_kernelINS0_14default_configENS1_38merge_sort_block_merge_config_selectorIdNS0_10empty_typeEEEZZNS1_27merge_sort_block_merge_implIS3_PdPS5_jNS1_19radix_merge_compareILb0ELb0EdNS0_19identity_decomposerEEEEE10hipError_tT0_T1_T2_jT3_P12ihipStream_tbPNSt15iterator_traitsISE_E10value_typeEPNSK_ISF_E10value_typeEPSG_NS1_7vsmem_tEENKUlT_SE_SF_SG_E_clIS8_S8_S9_S9_EESD_ST_SE_SF_SG_EUlST_E0_NS1_11comp_targetILNS1_3genE5ELNS1_11target_archE942ELNS1_3gpuE9ELNS1_3repE0EEENS1_38merge_mergepath_config_static_selectorELNS0_4arch9wavefront6targetE1EEEvSF_,@function
_ZN7rocprim17ROCPRIM_400000_NS6detail17trampoline_kernelINS0_14default_configENS1_38merge_sort_block_merge_config_selectorIdNS0_10empty_typeEEEZZNS1_27merge_sort_block_merge_implIS3_PdPS5_jNS1_19radix_merge_compareILb0ELb0EdNS0_19identity_decomposerEEEEE10hipError_tT0_T1_T2_jT3_P12ihipStream_tbPNSt15iterator_traitsISE_E10value_typeEPNSK_ISF_E10value_typeEPSG_NS1_7vsmem_tEENKUlT_SE_SF_SG_E_clIS8_S8_S9_S9_EESD_ST_SE_SF_SG_EUlST_E0_NS1_11comp_targetILNS1_3genE5ELNS1_11target_archE942ELNS1_3gpuE9ELNS1_3repE0EEENS1_38merge_mergepath_config_static_selectorELNS0_4arch9wavefront6targetE1EEEvSF_: ; @_ZN7rocprim17ROCPRIM_400000_NS6detail17trampoline_kernelINS0_14default_configENS1_38merge_sort_block_merge_config_selectorIdNS0_10empty_typeEEEZZNS1_27merge_sort_block_merge_implIS3_PdPS5_jNS1_19radix_merge_compareILb0ELb0EdNS0_19identity_decomposerEEEEE10hipError_tT0_T1_T2_jT3_P12ihipStream_tbPNSt15iterator_traitsISE_E10value_typeEPNSK_ISF_E10value_typeEPSG_NS1_7vsmem_tEENKUlT_SE_SF_SG_E_clIS8_S8_S9_S9_EESD_ST_SE_SF_SG_EUlST_E0_NS1_11comp_targetILNS1_3genE5ELNS1_11target_archE942ELNS1_3gpuE9ELNS1_3repE0EEENS1_38merge_mergepath_config_static_selectorELNS0_4arch9wavefront6targetE1EEEvSF_
; %bb.0:
	.section	.rodata,"a",@progbits
	.p2align	6, 0x0
	.amdhsa_kernel _ZN7rocprim17ROCPRIM_400000_NS6detail17trampoline_kernelINS0_14default_configENS1_38merge_sort_block_merge_config_selectorIdNS0_10empty_typeEEEZZNS1_27merge_sort_block_merge_implIS3_PdPS5_jNS1_19radix_merge_compareILb0ELb0EdNS0_19identity_decomposerEEEEE10hipError_tT0_T1_T2_jT3_P12ihipStream_tbPNSt15iterator_traitsISE_E10value_typeEPNSK_ISF_E10value_typeEPSG_NS1_7vsmem_tEENKUlT_SE_SF_SG_E_clIS8_S8_S9_S9_EESD_ST_SE_SF_SG_EUlST_E0_NS1_11comp_targetILNS1_3genE5ELNS1_11target_archE942ELNS1_3gpuE9ELNS1_3repE0EEENS1_38merge_mergepath_config_static_selectorELNS0_4arch9wavefront6targetE1EEEvSF_
		.amdhsa_group_segment_fixed_size 0
		.amdhsa_private_segment_fixed_size 0
		.amdhsa_kernarg_size 64
		.amdhsa_user_sgpr_count 6
		.amdhsa_user_sgpr_private_segment_buffer 1
		.amdhsa_user_sgpr_dispatch_ptr 0
		.amdhsa_user_sgpr_queue_ptr 0
		.amdhsa_user_sgpr_kernarg_segment_ptr 1
		.amdhsa_user_sgpr_dispatch_id 0
		.amdhsa_user_sgpr_flat_scratch_init 0
		.amdhsa_user_sgpr_kernarg_preload_length 0
		.amdhsa_user_sgpr_kernarg_preload_offset 0
		.amdhsa_user_sgpr_private_segment_size 0
		.amdhsa_uses_dynamic_stack 0
		.amdhsa_system_sgpr_private_segment_wavefront_offset 0
		.amdhsa_system_sgpr_workgroup_id_x 1
		.amdhsa_system_sgpr_workgroup_id_y 0
		.amdhsa_system_sgpr_workgroup_id_z 0
		.amdhsa_system_sgpr_workgroup_info 0
		.amdhsa_system_vgpr_workitem_id 0
		.amdhsa_next_free_vgpr 1
		.amdhsa_next_free_sgpr 0
		.amdhsa_accum_offset 4
		.amdhsa_reserve_vcc 0
		.amdhsa_reserve_flat_scratch 0
		.amdhsa_float_round_mode_32 0
		.amdhsa_float_round_mode_16_64 0
		.amdhsa_float_denorm_mode_32 3
		.amdhsa_float_denorm_mode_16_64 3
		.amdhsa_dx10_clamp 1
		.amdhsa_ieee_mode 1
		.amdhsa_fp16_overflow 0
		.amdhsa_tg_split 0
		.amdhsa_exception_fp_ieee_invalid_op 0
		.amdhsa_exception_fp_denorm_src 0
		.amdhsa_exception_fp_ieee_div_zero 0
		.amdhsa_exception_fp_ieee_overflow 0
		.amdhsa_exception_fp_ieee_underflow 0
		.amdhsa_exception_fp_ieee_inexact 0
		.amdhsa_exception_int_div_zero 0
	.end_amdhsa_kernel
	.section	.text._ZN7rocprim17ROCPRIM_400000_NS6detail17trampoline_kernelINS0_14default_configENS1_38merge_sort_block_merge_config_selectorIdNS0_10empty_typeEEEZZNS1_27merge_sort_block_merge_implIS3_PdPS5_jNS1_19radix_merge_compareILb0ELb0EdNS0_19identity_decomposerEEEEE10hipError_tT0_T1_T2_jT3_P12ihipStream_tbPNSt15iterator_traitsISE_E10value_typeEPNSK_ISF_E10value_typeEPSG_NS1_7vsmem_tEENKUlT_SE_SF_SG_E_clIS8_S8_S9_S9_EESD_ST_SE_SF_SG_EUlST_E0_NS1_11comp_targetILNS1_3genE5ELNS1_11target_archE942ELNS1_3gpuE9ELNS1_3repE0EEENS1_38merge_mergepath_config_static_selectorELNS0_4arch9wavefront6targetE1EEEvSF_,"axG",@progbits,_ZN7rocprim17ROCPRIM_400000_NS6detail17trampoline_kernelINS0_14default_configENS1_38merge_sort_block_merge_config_selectorIdNS0_10empty_typeEEEZZNS1_27merge_sort_block_merge_implIS3_PdPS5_jNS1_19radix_merge_compareILb0ELb0EdNS0_19identity_decomposerEEEEE10hipError_tT0_T1_T2_jT3_P12ihipStream_tbPNSt15iterator_traitsISE_E10value_typeEPNSK_ISF_E10value_typeEPSG_NS1_7vsmem_tEENKUlT_SE_SF_SG_E_clIS8_S8_S9_S9_EESD_ST_SE_SF_SG_EUlST_E0_NS1_11comp_targetILNS1_3genE5ELNS1_11target_archE942ELNS1_3gpuE9ELNS1_3repE0EEENS1_38merge_mergepath_config_static_selectorELNS0_4arch9wavefront6targetE1EEEvSF_,comdat
.Lfunc_end1332:
	.size	_ZN7rocprim17ROCPRIM_400000_NS6detail17trampoline_kernelINS0_14default_configENS1_38merge_sort_block_merge_config_selectorIdNS0_10empty_typeEEEZZNS1_27merge_sort_block_merge_implIS3_PdPS5_jNS1_19radix_merge_compareILb0ELb0EdNS0_19identity_decomposerEEEEE10hipError_tT0_T1_T2_jT3_P12ihipStream_tbPNSt15iterator_traitsISE_E10value_typeEPNSK_ISF_E10value_typeEPSG_NS1_7vsmem_tEENKUlT_SE_SF_SG_E_clIS8_S8_S9_S9_EESD_ST_SE_SF_SG_EUlST_E0_NS1_11comp_targetILNS1_3genE5ELNS1_11target_archE942ELNS1_3gpuE9ELNS1_3repE0EEENS1_38merge_mergepath_config_static_selectorELNS0_4arch9wavefront6targetE1EEEvSF_, .Lfunc_end1332-_ZN7rocprim17ROCPRIM_400000_NS6detail17trampoline_kernelINS0_14default_configENS1_38merge_sort_block_merge_config_selectorIdNS0_10empty_typeEEEZZNS1_27merge_sort_block_merge_implIS3_PdPS5_jNS1_19radix_merge_compareILb0ELb0EdNS0_19identity_decomposerEEEEE10hipError_tT0_T1_T2_jT3_P12ihipStream_tbPNSt15iterator_traitsISE_E10value_typeEPNSK_ISF_E10value_typeEPSG_NS1_7vsmem_tEENKUlT_SE_SF_SG_E_clIS8_S8_S9_S9_EESD_ST_SE_SF_SG_EUlST_E0_NS1_11comp_targetILNS1_3genE5ELNS1_11target_archE942ELNS1_3gpuE9ELNS1_3repE0EEENS1_38merge_mergepath_config_static_selectorELNS0_4arch9wavefront6targetE1EEEvSF_
                                        ; -- End function
	.section	.AMDGPU.csdata,"",@progbits
; Kernel info:
; codeLenInByte = 0
; NumSgprs: 4
; NumVgprs: 0
; NumAgprs: 0
; TotalNumVgprs: 0
; ScratchSize: 0
; MemoryBound: 0
; FloatMode: 240
; IeeeMode: 1
; LDSByteSize: 0 bytes/workgroup (compile time only)
; SGPRBlocks: 0
; VGPRBlocks: 0
; NumSGPRsForWavesPerEU: 4
; NumVGPRsForWavesPerEU: 1
; AccumOffset: 4
; Occupancy: 8
; WaveLimiterHint : 0
; COMPUTE_PGM_RSRC2:SCRATCH_EN: 0
; COMPUTE_PGM_RSRC2:USER_SGPR: 6
; COMPUTE_PGM_RSRC2:TRAP_HANDLER: 0
; COMPUTE_PGM_RSRC2:TGID_X_EN: 1
; COMPUTE_PGM_RSRC2:TGID_Y_EN: 0
; COMPUTE_PGM_RSRC2:TGID_Z_EN: 0
; COMPUTE_PGM_RSRC2:TIDIG_COMP_CNT: 0
; COMPUTE_PGM_RSRC3_GFX90A:ACCUM_OFFSET: 0
; COMPUTE_PGM_RSRC3_GFX90A:TG_SPLIT: 0
	.section	.text._ZN7rocprim17ROCPRIM_400000_NS6detail17trampoline_kernelINS0_14default_configENS1_38merge_sort_block_merge_config_selectorIdNS0_10empty_typeEEEZZNS1_27merge_sort_block_merge_implIS3_PdPS5_jNS1_19radix_merge_compareILb0ELb0EdNS0_19identity_decomposerEEEEE10hipError_tT0_T1_T2_jT3_P12ihipStream_tbPNSt15iterator_traitsISE_E10value_typeEPNSK_ISF_E10value_typeEPSG_NS1_7vsmem_tEENKUlT_SE_SF_SG_E_clIS8_S8_S9_S9_EESD_ST_SE_SF_SG_EUlST_E0_NS1_11comp_targetILNS1_3genE4ELNS1_11target_archE910ELNS1_3gpuE8ELNS1_3repE0EEENS1_38merge_mergepath_config_static_selectorELNS0_4arch9wavefront6targetE1EEEvSF_,"axG",@progbits,_ZN7rocprim17ROCPRIM_400000_NS6detail17trampoline_kernelINS0_14default_configENS1_38merge_sort_block_merge_config_selectorIdNS0_10empty_typeEEEZZNS1_27merge_sort_block_merge_implIS3_PdPS5_jNS1_19radix_merge_compareILb0ELb0EdNS0_19identity_decomposerEEEEE10hipError_tT0_T1_T2_jT3_P12ihipStream_tbPNSt15iterator_traitsISE_E10value_typeEPNSK_ISF_E10value_typeEPSG_NS1_7vsmem_tEENKUlT_SE_SF_SG_E_clIS8_S8_S9_S9_EESD_ST_SE_SF_SG_EUlST_E0_NS1_11comp_targetILNS1_3genE4ELNS1_11target_archE910ELNS1_3gpuE8ELNS1_3repE0EEENS1_38merge_mergepath_config_static_selectorELNS0_4arch9wavefront6targetE1EEEvSF_,comdat
	.protected	_ZN7rocprim17ROCPRIM_400000_NS6detail17trampoline_kernelINS0_14default_configENS1_38merge_sort_block_merge_config_selectorIdNS0_10empty_typeEEEZZNS1_27merge_sort_block_merge_implIS3_PdPS5_jNS1_19radix_merge_compareILb0ELb0EdNS0_19identity_decomposerEEEEE10hipError_tT0_T1_T2_jT3_P12ihipStream_tbPNSt15iterator_traitsISE_E10value_typeEPNSK_ISF_E10value_typeEPSG_NS1_7vsmem_tEENKUlT_SE_SF_SG_E_clIS8_S8_S9_S9_EESD_ST_SE_SF_SG_EUlST_E0_NS1_11comp_targetILNS1_3genE4ELNS1_11target_archE910ELNS1_3gpuE8ELNS1_3repE0EEENS1_38merge_mergepath_config_static_selectorELNS0_4arch9wavefront6targetE1EEEvSF_ ; -- Begin function _ZN7rocprim17ROCPRIM_400000_NS6detail17trampoline_kernelINS0_14default_configENS1_38merge_sort_block_merge_config_selectorIdNS0_10empty_typeEEEZZNS1_27merge_sort_block_merge_implIS3_PdPS5_jNS1_19radix_merge_compareILb0ELb0EdNS0_19identity_decomposerEEEEE10hipError_tT0_T1_T2_jT3_P12ihipStream_tbPNSt15iterator_traitsISE_E10value_typeEPNSK_ISF_E10value_typeEPSG_NS1_7vsmem_tEENKUlT_SE_SF_SG_E_clIS8_S8_S9_S9_EESD_ST_SE_SF_SG_EUlST_E0_NS1_11comp_targetILNS1_3genE4ELNS1_11target_archE910ELNS1_3gpuE8ELNS1_3repE0EEENS1_38merge_mergepath_config_static_selectorELNS0_4arch9wavefront6targetE1EEEvSF_
	.globl	_ZN7rocprim17ROCPRIM_400000_NS6detail17trampoline_kernelINS0_14default_configENS1_38merge_sort_block_merge_config_selectorIdNS0_10empty_typeEEEZZNS1_27merge_sort_block_merge_implIS3_PdPS5_jNS1_19radix_merge_compareILb0ELb0EdNS0_19identity_decomposerEEEEE10hipError_tT0_T1_T2_jT3_P12ihipStream_tbPNSt15iterator_traitsISE_E10value_typeEPNSK_ISF_E10value_typeEPSG_NS1_7vsmem_tEENKUlT_SE_SF_SG_E_clIS8_S8_S9_S9_EESD_ST_SE_SF_SG_EUlST_E0_NS1_11comp_targetILNS1_3genE4ELNS1_11target_archE910ELNS1_3gpuE8ELNS1_3repE0EEENS1_38merge_mergepath_config_static_selectorELNS0_4arch9wavefront6targetE1EEEvSF_
	.p2align	8
	.type	_ZN7rocprim17ROCPRIM_400000_NS6detail17trampoline_kernelINS0_14default_configENS1_38merge_sort_block_merge_config_selectorIdNS0_10empty_typeEEEZZNS1_27merge_sort_block_merge_implIS3_PdPS5_jNS1_19radix_merge_compareILb0ELb0EdNS0_19identity_decomposerEEEEE10hipError_tT0_T1_T2_jT3_P12ihipStream_tbPNSt15iterator_traitsISE_E10value_typeEPNSK_ISF_E10value_typeEPSG_NS1_7vsmem_tEENKUlT_SE_SF_SG_E_clIS8_S8_S9_S9_EESD_ST_SE_SF_SG_EUlST_E0_NS1_11comp_targetILNS1_3genE4ELNS1_11target_archE910ELNS1_3gpuE8ELNS1_3repE0EEENS1_38merge_mergepath_config_static_selectorELNS0_4arch9wavefront6targetE1EEEvSF_,@function
_ZN7rocprim17ROCPRIM_400000_NS6detail17trampoline_kernelINS0_14default_configENS1_38merge_sort_block_merge_config_selectorIdNS0_10empty_typeEEEZZNS1_27merge_sort_block_merge_implIS3_PdPS5_jNS1_19radix_merge_compareILb0ELb0EdNS0_19identity_decomposerEEEEE10hipError_tT0_T1_T2_jT3_P12ihipStream_tbPNSt15iterator_traitsISE_E10value_typeEPNSK_ISF_E10value_typeEPSG_NS1_7vsmem_tEENKUlT_SE_SF_SG_E_clIS8_S8_S9_S9_EESD_ST_SE_SF_SG_EUlST_E0_NS1_11comp_targetILNS1_3genE4ELNS1_11target_archE910ELNS1_3gpuE8ELNS1_3repE0EEENS1_38merge_mergepath_config_static_selectorELNS0_4arch9wavefront6targetE1EEEvSF_: ; @_ZN7rocprim17ROCPRIM_400000_NS6detail17trampoline_kernelINS0_14default_configENS1_38merge_sort_block_merge_config_selectorIdNS0_10empty_typeEEEZZNS1_27merge_sort_block_merge_implIS3_PdPS5_jNS1_19radix_merge_compareILb0ELb0EdNS0_19identity_decomposerEEEEE10hipError_tT0_T1_T2_jT3_P12ihipStream_tbPNSt15iterator_traitsISE_E10value_typeEPNSK_ISF_E10value_typeEPSG_NS1_7vsmem_tEENKUlT_SE_SF_SG_E_clIS8_S8_S9_S9_EESD_ST_SE_SF_SG_EUlST_E0_NS1_11comp_targetILNS1_3genE4ELNS1_11target_archE910ELNS1_3gpuE8ELNS1_3repE0EEENS1_38merge_mergepath_config_static_selectorELNS0_4arch9wavefront6targetE1EEEvSF_
; %bb.0:
	s_load_dwordx2 s[14:15], s[4:5], 0x40
	s_load_dword s2, s[4:5], 0x30
	s_add_u32 s0, s4, 64
	s_addc_u32 s1, s5, 0
	s_waitcnt lgkmcnt(0)
	s_mul_i32 s3, s15, s8
	s_add_i32 s3, s3, s7
	s_mul_i32 s3, s3, s14
	s_add_i32 s12, s3, s6
	s_cmp_ge_u32 s12, s2
	s_cbranch_scc1 .LBB1333_45
; %bb.1:
	s_load_dwordx2 s[2:3], s[4:5], 0x28
	s_load_dwordx2 s[8:9], s[4:5], 0x38
	;; [unrolled: 1-line block ×3, first 2 shown]
	s_mov_b32 s13, 0
	s_mov_b32 s23, s13
	s_waitcnt lgkmcnt(0)
	s_lshr_b32 s7, s2, 10
	s_cmp_lg_u32 s12, s7
	s_cselect_b64 s[10:11], -1, 0
	s_lshl_b64 s[16:17], s[12:13], 2
	s_add_u32 s8, s8, s16
	s_addc_u32 s9, s9, s17
	s_load_dwordx2 s[16:17], s[8:9], 0x0
	s_lshr_b32 s8, s3, 9
	s_and_b32 s8, s8, 0x7ffffe
	s_sub_i32 s9, 0, s8
	s_and_b32 s15, s12, s9
	s_lshl_b32 s18, s15, 10
	s_lshl_b32 s8, s12, 10
	s_lshl_b32 s15, s15, 11
	s_sub_i32 s19, s8, s18
	s_add_i32 s15, s15, s3
	s_add_i32 s19, s15, s19
	s_waitcnt lgkmcnt(0)
	s_sub_i32 s22, s19, s16
	s_sub_i32 s19, s19, s17
	;; [unrolled: 1-line block ×3, first 2 shown]
	s_min_u32 s22, s2, s22
	s_addk_i32 s19, 0x400
	s_or_b32 s9, s12, s9
	s_min_u32 s18, s2, s15
	s_add_i32 s15, s15, s3
	s_cmp_eq_u32 s9, -1
	s_cselect_b32 s3, s15, s19
	s_cselect_b32 s9, s18, s17
	s_min_u32 s15, s3, s2
	s_mov_b32 s17, s13
	s_sub_i32 s3, s9, s16
	s_sub_i32 s15, s15, s22
	s_lshl_b64 s[18:19], s[16:17], 3
	s_add_u32 s17, s20, s18
	s_addc_u32 s18, s21, s19
	s_lshl_b64 s[22:23], s[22:23], 3
	s_add_u32 s13, s20, s22
	s_addc_u32 s16, s21, s23
	s_cmp_lt_u32 s6, s14
	v_mov_b32_e32 v9, 0
	s_cselect_b32 s6, 12, 18
	global_load_dword v1, v9, s[0:1] offset:14
	s_add_u32 s0, s0, s6
	s_addc_u32 s1, s1, 0
	global_load_ushort v2, v9, s[0:1]
	s_cmp_eq_u32 s12, s7
	s_waitcnt vmcnt(1)
	v_lshrrev_b32_e32 v3, 16, v1
	v_and_b32_e32 v1, 0xffff, v1
	v_mul_lo_u32 v1, v1, v3
	s_waitcnt vmcnt(0)
	v_mul_lo_u32 v14, v1, v2
	v_add_u32_e32 v12, v14, v0
	v_lshlrev_b32_e32 v1, 3, v0
	v_add_u32_e32 v10, v12, v14
	s_cbranch_scc1 .LBB1333_3
; %bb.2:
	v_mov_b32_e32 v2, s18
	v_add_co_u32_e32 v4, vcc, s17, v1
	v_subrev_u32_e32 v8, s3, v0
	v_addc_co_u32_e32 v5, vcc, 0, v2, vcc
	v_lshlrev_b64 v[2:3], 3, v[8:9]
	v_mov_b32_e32 v6, s16
	v_add_co_u32_e32 v2, vcc, s13, v2
	v_addc_co_u32_e32 v3, vcc, v6, v3, vcc
	v_cmp_gt_u32_e32 vcc, s3, v0
	v_mov_b32_e32 v13, v9
	v_cndmask_b32_e32 v3, v3, v5, vcc
	v_cndmask_b32_e32 v2, v2, v4, vcc
	v_lshlrev_b64 v[4:5], 3, v[12:13]
	v_mov_b32_e32 v6, s18
	v_add_co_u32_e32 v7, vcc, s17, v4
	v_subrev_u32_e32 v8, s3, v12
	v_addc_co_u32_e32 v6, vcc, v6, v5, vcc
	v_lshlrev_b64 v[4:5], 3, v[8:9]
	v_mov_b32_e32 v8, s16
	v_add_co_u32_e32 v4, vcc, s13, v4
	v_addc_co_u32_e32 v5, vcc, v8, v5, vcc
	v_cmp_gt_u32_e32 vcc, s3, v12
	v_mov_b32_e32 v11, v9
	v_cndmask_b32_e32 v5, v5, v6, vcc
	v_cndmask_b32_e32 v4, v4, v7, vcc
	v_lshlrev_b64 v[6:7], 3, v[10:11]
	v_mov_b32_e32 v8, s18
	v_add_co_u32_e32 v11, vcc, s17, v6
	v_addc_co_u32_e32 v13, vcc, v8, v7, vcc
	v_subrev_u32_e32 v8, s3, v10
	v_lshlrev_b64 v[6:7], 3, v[8:9]
	v_mov_b32_e32 v8, s16
	v_add_co_u32_e32 v6, vcc, s13, v6
	v_addc_co_u32_e32 v7, vcc, v8, v7, vcc
	v_add_u32_e32 v8, v10, v14
	v_cmp_gt_u32_e32 vcc, s3, v10
	v_lshlrev_b64 v[16:17], 3, v[8:9]
	v_cndmask_b32_e32 v7, v7, v13, vcc
	v_cndmask_b32_e32 v6, v6, v11, vcc
	v_mov_b32_e32 v11, s18
	v_add_co_u32_e32 v13, vcc, s17, v16
	v_addc_co_u32_e32 v11, vcc, v11, v17, vcc
	v_cmp_gt_u32_e32 vcc, s3, v8
	v_subrev_u32_e32 v8, s3, v8
	v_lshlrev_b64 v[8:9], 3, v[8:9]
	v_mov_b32_e32 v15, s16
	v_add_co_u32_e64 v8, s[0:1], s13, v8
	v_addc_co_u32_e64 v9, s[0:1], v15, v9, s[0:1]
	v_cndmask_b32_e32 v9, v9, v11, vcc
	v_cndmask_b32_e32 v8, v8, v13, vcc
	global_load_dwordx2 v[2:3], v[2:3], off
	s_add_i32 s9, s15, s3
	global_load_dwordx2 v[4:5], v[4:5], off
	s_nop 0
	global_load_dwordx2 v[6:7], v[6:7], off
	s_nop 0
	global_load_dwordx2 v[8:9], v[8:9], off
	s_load_dwordx2 s[4:5], s[4:5], 0x10
	s_cbranch_execz .LBB1333_4
	s_branch .LBB1333_11
.LBB1333_3:
                                        ; implicit-def: $vgpr2_vgpr3_vgpr4_vgpr5_vgpr6_vgpr7_vgpr8_vgpr9
                                        ; implicit-def: $sgpr9
	s_load_dwordx2 s[4:5], s[4:5], 0x10
.LBB1333_4:
	s_add_i32 s9, s15, s3
	v_cmp_gt_u32_e32 vcc, s9, v0
                                        ; implicit-def: $vgpr2_vgpr3_vgpr4_vgpr5_vgpr6_vgpr7_vgpr8_vgpr9
	s_and_saveexec_b64 s[0:1], vcc
	s_cbranch_execnz .LBB1333_46
; %bb.5:
	s_or_b64 exec, exec, s[0:1]
	v_cmp_gt_u32_e32 vcc, s9, v12
	s_and_saveexec_b64 s[6:7], vcc
	s_cbranch_execnz .LBB1333_47
.LBB1333_6:
	s_or_b64 exec, exec, s[6:7]
	v_cmp_gt_u32_e32 vcc, s9, v10
	s_and_saveexec_b64 s[0:1], vcc
	s_cbranch_execz .LBB1333_8
.LBB1333_7:
	v_mov_b32_e32 v11, 0
	s_waitcnt vmcnt(1)
	v_lshlrev_b64 v[6:7], 3, v[10:11]
	v_mov_b32_e32 v12, s18
	v_add_co_u32_e32 v13, vcc, s17, v6
	v_addc_co_u32_e32 v12, vcc, v12, v7, vcc
	v_subrev_u32_e32 v6, s3, v10
	v_mov_b32_e32 v7, v11
	v_lshlrev_b64 v[6:7], 3, v[6:7]
	v_mov_b32_e32 v11, s16
	v_add_co_u32_e32 v6, vcc, s13, v6
	v_addc_co_u32_e32 v7, vcc, v11, v7, vcc
	v_cmp_gt_u32_e32 vcc, s3, v10
	v_cndmask_b32_e32 v7, v7, v12, vcc
	v_cndmask_b32_e32 v6, v6, v13, vcc
	global_load_dwordx2 v[6:7], v[6:7], off
.LBB1333_8:
	s_or_b64 exec, exec, s[0:1]
	v_add_u32_e32 v10, v10, v14
	v_cmp_gt_u32_e32 vcc, s9, v10
	s_and_saveexec_b64 s[6:7], vcc
	s_cbranch_execz .LBB1333_10
; %bb.9:
	v_mov_b32_e32 v11, 0
	s_waitcnt vmcnt(0)
	v_lshlrev_b64 v[8:9], 3, v[10:11]
	v_mov_b32_e32 v12, s18
	v_add_co_u32_e32 v13, vcc, s17, v8
	v_addc_co_u32_e32 v12, vcc, v12, v9, vcc
	v_cmp_gt_u32_e32 vcc, s3, v10
	v_subrev_u32_e32 v10, s3, v10
	v_lshlrev_b64 v[8:9], 3, v[10:11]
	v_mov_b32_e32 v10, s16
	v_add_co_u32_e64 v8, s[0:1], s13, v8
	v_addc_co_u32_e64 v9, s[0:1], v10, v9, s[0:1]
	v_cndmask_b32_e32 v9, v9, v12, vcc
	v_cndmask_b32_e32 v8, v8, v13, vcc
	global_load_dwordx2 v[8:9], v[8:9], off
.LBB1333_10:
	s_or_b64 exec, exec, s[6:7]
.LBB1333_11:
	v_lshlrev_b32_e32 v16, 2, v0
	v_min_u32_e32 v11, s9, v16
	v_sub_u32_e64 v10, v11, s15 clamp
	v_min_u32_e32 v12, s3, v11
	v_cmp_lt_u32_e32 vcc, v10, v12
	s_waitcnt vmcnt(0)
	ds_write2st64_b64 v1, v[2:3], v[4:5] offset1:4
	ds_write2st64_b64 v1, v[6:7], v[8:9] offset0:8 offset1:12
	s_waitcnt lgkmcnt(0)
	s_barrier
	s_and_saveexec_b64 s[0:1], vcc
	s_cbranch_execz .LBB1333_15
; %bb.12:
	v_lshlrev_b32_e32 v13, 3, v11
	v_lshl_add_u32 v13, s3, 3, v13
	s_mov_b64 s[6:7], 0
.LBB1333_13:                            ; =>This Inner Loop Header: Depth=1
	v_add_u32_e32 v14, v12, v10
	v_lshrrev_b32_e32 v17, 1, v14
	v_not_b32_e32 v14, v17
	v_lshlrev_b32_e32 v15, 3, v17
	v_lshl_add_u32 v18, v14, 3, v13
	ds_read_b64 v[14:15], v15
	ds_read_b64 v[18:19], v18
	v_add_u32_e32 v20, 1, v17
	s_waitcnt lgkmcnt(1)
	v_add_f64 v[14:15], v[14:15], 0
	s_waitcnt lgkmcnt(0)
	v_add_f64 v[18:19], v[18:19], 0
	v_ashrrev_i32_e32 v21, 31, v15
	v_or_b32_e32 v22, 0x80000000, v21
	v_xor_b32_e32 v14, v21, v14
	v_ashrrev_i32_e32 v21, 31, v19
	v_xor_b32_e32 v15, v22, v15
	v_or_b32_e32 v22, 0x80000000, v21
	v_xor_b32_e32 v18, v21, v18
	v_xor_b32_e32 v19, v22, v19
	v_cmp_gt_u64_e32 vcc, v[14:15], v[18:19]
	v_cndmask_b32_e32 v12, v12, v17, vcc
	v_cndmask_b32_e32 v10, v20, v10, vcc
	v_cmp_ge_u32_e32 vcc, v10, v12
	s_or_b64 s[6:7], vcc, s[6:7]
	s_andn2_b64 exec, exec, s[6:7]
	s_cbranch_execnz .LBB1333_13
; %bb.14:
	s_or_b64 exec, exec, s[6:7]
.LBB1333_15:
	s_or_b64 exec, exec, s[0:1]
	v_sub_u32_e32 v11, v11, v10
	v_add_u32_e32 v11, s3, v11
	v_cmp_ge_u32_e32 vcc, s3, v10
	v_cmp_ge_u32_e64 s[0:1], s9, v11
	s_or_b64 s[0:1], vcc, s[0:1]
	s_and_saveexec_b64 s[6:7], s[0:1]
	s_cbranch_execz .LBB1333_35
; %bb.16:
	v_cmp_le_u32_e32 vcc, s3, v10
	v_cmp_gt_u32_e64 s[0:1], s3, v10
                                        ; implicit-def: $vgpr2_vgpr3
	s_and_saveexec_b64 s[12:13], s[0:1]
	s_cbranch_execz .LBB1333_18
; %bb.17:
	v_lshlrev_b32_e32 v2, 3, v10
	ds_read_b64 v[2:3], v2
.LBB1333_18:
	s_or_b64 exec, exec, s[12:13]
	v_cmp_le_u32_e64 s[12:13], s9, v11
	v_cmp_gt_u32_e64 s[0:1], s9, v11
                                        ; implicit-def: $vgpr6_vgpr7
	s_and_saveexec_b64 s[14:15], s[0:1]
	s_cbranch_execz .LBB1333_20
; %bb.19:
	v_lshlrev_b32_e32 v4, 3, v11
	ds_read_b64 v[6:7], v4
.LBB1333_20:
	s_or_b64 exec, exec, s[14:15]
	s_or_b64 s[14:15], vcc, s[12:13]
	s_mov_b64 s[0:1], -1
	s_xor_b64 s[16:17], s[14:15], -1
	s_and_saveexec_b64 s[14:15], s[16:17]
	s_cbranch_execz .LBB1333_22
; %bb.21:
	s_waitcnt lgkmcnt(0)
	v_add_f64 v[4:5], v[2:3], 0
	v_add_f64 v[8:9], v[6:7], 0
	v_ashrrev_i32_e32 v12, 31, v5
	v_or_b32_e32 v13, 0x80000000, v12
	v_xor_b32_e32 v4, v12, v4
	v_ashrrev_i32_e32 v12, 31, v9
	v_xor_b32_e32 v5, v13, v5
	v_or_b32_e32 v13, 0x80000000, v12
	v_xor_b32_e32 v9, v13, v9
	v_xor_b32_e32 v8, v12, v8
	v_cmp_le_u64_e32 vcc, v[4:5], v[8:9]
	s_andn2_b64 s[12:13], s[12:13], exec
	s_and_b64 s[16:17], vcc, exec
	s_or_b64 s[12:13], s[12:13], s[16:17]
.LBB1333_22:
	s_or_b64 exec, exec, s[14:15]
	v_mov_b32_e32 v5, s9
	v_mov_b32_e32 v8, s3
	v_cndmask_b32_e64 v4, v11, v10, s[12:13]
	v_cndmask_b32_e64 v5, v5, v8, s[12:13]
	v_add_u32_e32 v12, 1, v4
	v_add_u32_e32 v4, -1, v5
	v_min_u32_e32 v4, v12, v4
	v_lshlrev_b32_e32 v4, 3, v4
	ds_read_b64 v[8:9], v4
	v_cndmask_b32_e64 v14, v12, v11, s[12:13]
	v_cndmask_b32_e64 v15, v10, v12, s[12:13]
	v_cmp_gt_u32_e32 vcc, s9, v14
	s_waitcnt lgkmcnt(0)
	v_cndmask_b32_e64 v5, v9, v7, s[12:13]
	v_cndmask_b32_e64 v4, v8, v6, s[12:13]
	;; [unrolled: 1-line block ×4, first 2 shown]
	s_and_saveexec_b64 s[14:15], vcc
	s_cbranch_execz .LBB1333_26
; %bb.23:
	v_cmp_gt_u32_e32 vcc, s3, v15
	s_mov_b64 s[16:17], 0
	s_and_saveexec_b64 s[0:1], vcc
	s_cbranch_execz .LBB1333_25
; %bb.24:
	v_add_f64 v[10:11], v[8:9], 0
	v_add_f64 v[12:13], v[4:5], 0
	v_ashrrev_i32_e32 v17, 31, v11
	v_or_b32_e32 v18, 0x80000000, v17
	v_xor_b32_e32 v10, v17, v10
	v_ashrrev_i32_e32 v17, 31, v13
	v_xor_b32_e32 v11, v18, v11
	v_or_b32_e32 v18, 0x80000000, v17
	v_xor_b32_e32 v13, v18, v13
	v_xor_b32_e32 v12, v17, v12
	v_cmp_le_u64_e32 vcc, v[10:11], v[12:13]
	s_and_b64 s[16:17], vcc, exec
.LBB1333_25:
	s_or_b64 exec, exec, s[0:1]
	s_orn2_b64 s[0:1], s[16:17], exec
.LBB1333_26:
	s_or_b64 exec, exec, s[14:15]
	v_mov_b32_e32 v11, s9
	v_mov_b32_e32 v12, s3
	v_cndmask_b32_e64 v10, v14, v15, s[0:1]
	v_cndmask_b32_e64 v11, v11, v12, s[0:1]
	v_add_u32_e32 v17, 1, v10
	v_add_u32_e32 v10, -1, v11
	v_min_u32_e32 v10, v17, v10
	v_lshlrev_b32_e32 v10, 3, v10
	ds_read_b64 v[12:13], v10
	v_cndmask_b32_e64 v18, v17, v14, s[0:1]
	v_cndmask_b32_e64 v17, v15, v17, s[0:1]
	v_cmp_gt_u32_e32 vcc, s9, v18
	s_mov_b64 s[14:15], -1
	s_waitcnt lgkmcnt(0)
	v_cndmask_b32_e64 v11, v13, v5, s[0:1]
	v_cndmask_b32_e64 v10, v12, v4, s[0:1]
	;; [unrolled: 1-line block ×4, first 2 shown]
	s_and_saveexec_b64 s[16:17], vcc
	s_cbranch_execz .LBB1333_30
; %bb.27:
	v_cmp_gt_u32_e32 vcc, s3, v17
	s_mov_b64 s[18:19], 0
	s_and_saveexec_b64 s[14:15], vcc
	s_cbranch_execz .LBB1333_29
; %bb.28:
	v_add_f64 v[14:15], v[12:13], 0
	v_add_f64 v[20:21], v[10:11], 0
	v_ashrrev_i32_e32 v19, 31, v15
	v_or_b32_e32 v22, 0x80000000, v19
	v_xor_b32_e32 v14, v19, v14
	v_ashrrev_i32_e32 v19, 31, v21
	v_xor_b32_e32 v15, v22, v15
	v_or_b32_e32 v22, 0x80000000, v19
	v_xor_b32_e32 v21, v22, v21
	v_xor_b32_e32 v20, v19, v20
	v_cmp_le_u64_e32 vcc, v[14:15], v[20:21]
	s_and_b64 s[18:19], vcc, exec
.LBB1333_29:
	s_or_b64 exec, exec, s[14:15]
	s_orn2_b64 s[14:15], s[18:19], exec
.LBB1333_30:
	s_or_b64 exec, exec, s[16:17]
	v_cndmask_b32_e64 v5, v5, v9, s[0:1]
	v_mov_b32_e32 v9, s9
	v_mov_b32_e32 v14, s3
	v_cndmask_b32_e64 v4, v4, v8, s[0:1]
	v_cndmask_b32_e64 v8, v18, v17, s[14:15]
	;; [unrolled: 1-line block ×3, first 2 shown]
	v_add_u32_e32 v19, 1, v8
	v_add_u32_e32 v8, -1, v9
	v_min_u32_e32 v8, v19, v8
	v_lshlrev_b32_e32 v8, 3, v8
	ds_read_b64 v[14:15], v8
	v_cndmask_b32_e64 v2, v6, v2, s[12:13]
	v_cndmask_b32_e64 v6, v10, v12, s[14:15]
	v_cndmask_b32_e64 v3, v7, v3, s[12:13]
	v_cndmask_b32_e64 v7, v11, v13, s[14:15]
	s_waitcnt lgkmcnt(0)
	v_cndmask_b32_e64 v8, v12, v14, s[14:15]
	v_cndmask_b32_e64 v12, v19, v18, s[14:15]
	;; [unrolled: 1-line block ×3, first 2 shown]
	v_cmp_gt_u32_e32 vcc, s9, v12
	s_and_saveexec_b64 s[0:1], vcc
	s_cbranch_execz .LBB1333_34
; %bb.31:
	v_cndmask_b32_e64 v12, v17, v19, s[14:15]
	v_cndmask_b32_e64 v11, v15, v11, s[14:15]
	;; [unrolled: 1-line block ×3, first 2 shown]
	v_cmp_gt_u32_e32 vcc, s3, v12
	s_and_saveexec_b64 s[12:13], vcc
	s_cbranch_execz .LBB1333_33
; %bb.32:
	v_add_f64 v[12:13], v[8:9], 0
	v_add_f64 v[14:15], v[10:11], 0
	v_ashrrev_i32_e32 v17, 31, v13
	v_or_b32_e32 v18, 0x80000000, v17
	v_xor_b32_e32 v12, v17, v12
	v_ashrrev_i32_e32 v17, 31, v15
	v_xor_b32_e32 v13, v18, v13
	v_or_b32_e32 v18, 0x80000000, v17
	v_xor_b32_e32 v15, v18, v15
	v_xor_b32_e32 v14, v17, v14
	v_cmp_gt_u64_e32 vcc, v[12:13], v[14:15]
	v_cndmask_b32_e32 v11, v9, v11, vcc
	v_cndmask_b32_e32 v10, v8, v10, vcc
.LBB1333_33:
	s_or_b64 exec, exec, s[12:13]
	v_pk_mov_b32 v[8:9], v[10:11], v[10:11] op_sel:[0,1]
.LBB1333_34:
	s_or_b64 exec, exec, s[0:1]
.LBB1333_35:
	s_or_b64 exec, exec, s[6:7]
	v_and_b32_e32 v10, 0xf8, v0
	v_lshl_add_u32 v10, v16, 3, v10
	s_barrier
	s_barrier
	ds_write2_b64 v10, v[2:3], v[4:5] offset1:1
	ds_write2_b64 v10, v[6:7], v[8:9] offset0:2 offset1:3
	v_lshrrev_b32_e32 v2, 2, v0
	v_and_b32_e32 v2, 56, v2
	v_or_b32_e32 v12, 0x100, v0
	v_add_u32_e32 v13, v1, v2
	v_lshrrev_b32_e32 v2, 2, v12
	v_and_b32_e32 v2, 0x78, v2
	v_or_b32_e32 v11, 0x200, v0
	s_mov_b32 s9, 0
	v_add_u32_e32 v6, v1, v2
	v_lshrrev_b32_e32 v2, 2, v11
	s_lshl_b64 s[0:1], s[8:9], 3
	v_and_b32_e32 v2, 0xb8, v2
	v_or_b32_e32 v10, 0x300, v0
	s_add_u32 s0, s4, s0
	v_add_u32_e32 v7, v1, v2
	v_lshrrev_b32_e32 v2, 2, v10
	s_addc_u32 s1, s5, s1
	v_and_b32_e32 v2, 0xf8, v2
	v_add_u32_e32 v14, v1, v2
	v_mov_b32_e32 v3, s1
	v_add_co_u32_e32 v2, vcc, s0, v1
	v_addc_co_u32_e32 v3, vcc, 0, v3, vcc
	s_and_b64 vcc, exec, s[10:11]
	s_waitcnt lgkmcnt(0)
	s_cbranch_vccz .LBB1333_37
; %bb.36:
	s_barrier
	ds_read_b64 v[8:9], v13
	ds_read_b64 v[16:17], v6 offset:2048
	ds_read_b64 v[18:19], v7 offset:4096
	;; [unrolled: 1-line block ×3, first 2 shown]
	s_waitcnt lgkmcnt(3)
	global_store_dwordx2 v[2:3], v[8:9], off
	s_waitcnt lgkmcnt(2)
	global_store_dwordx2 v[2:3], v[16:17], off offset:2048
	v_add_co_u32_e32 v8, vcc, 0x1000, v2
	v_addc_co_u32_e32 v9, vcc, 0, v3, vcc
	s_waitcnt lgkmcnt(1)
	global_store_dwordx2 v[8:9], v[18:19], off
	s_mov_b64 s[0:1], -1
	s_cbranch_execz .LBB1333_38
	s_branch .LBB1333_43
.LBB1333_37:
	s_mov_b64 s[0:1], 0
                                        ; implicit-def: $vgpr4_vgpr5
.LBB1333_38:
	s_barrier
	s_waitcnt lgkmcnt(0)
	ds_read_b64 v[8:9], v6 offset:2048
	ds_read_b64 v[6:7], v7 offset:4096
	ds_read_b64 v[4:5], v14 offset:6144
	s_sub_i32 s2, s2, s8
	v_cmp_gt_u32_e32 vcc, s2, v0
	s_and_saveexec_b64 s[0:1], vcc
	s_cbranch_execnz .LBB1333_48
; %bb.39:
	s_or_b64 exec, exec, s[0:1]
	v_cmp_gt_u32_e32 vcc, s2, v12
	s_and_saveexec_b64 s[0:1], vcc
	s_cbranch_execnz .LBB1333_49
.LBB1333_40:
	s_or_b64 exec, exec, s[0:1]
	v_cmp_gt_u32_e32 vcc, s2, v11
	s_and_saveexec_b64 s[0:1], vcc
	s_cbranch_execz .LBB1333_42
.LBB1333_41:
	v_add_co_u32_e32 v0, vcc, 0x1000, v2
	v_addc_co_u32_e32 v1, vcc, 0, v3, vcc
	s_waitcnt lgkmcnt(1)
	global_store_dwordx2 v[0:1], v[6:7], off
.LBB1333_42:
	s_or_b64 exec, exec, s[0:1]
	v_cmp_gt_u32_e64 s[0:1], s2, v10
.LBB1333_43:
	s_and_saveexec_b64 s[2:3], s[0:1]
	s_cbranch_execz .LBB1333_45
; %bb.44:
	v_add_co_u32_e32 v0, vcc, 0x1000, v2
	v_addc_co_u32_e32 v1, vcc, 0, v3, vcc
	s_waitcnt lgkmcnt(0)
	global_store_dwordx2 v[0:1], v[4:5], off offset:2048
.LBB1333_45:
	s_endpgm
.LBB1333_46:
	s_waitcnt vmcnt(3)
	v_mov_b32_e32 v2, s18
	s_waitcnt vmcnt(2)
	v_add_co_u32_e32 v4, vcc, s17, v1
	v_mov_b32_e32 v3, 0
	v_addc_co_u32_e32 v5, vcc, 0, v2, vcc
	v_subrev_u32_e32 v2, s3, v0
	v_lshlrev_b64 v[2:3], 3, v[2:3]
	s_waitcnt vmcnt(1)
	v_mov_b32_e32 v6, s16
	v_add_co_u32_e32 v2, vcc, s13, v2
	v_addc_co_u32_e32 v3, vcc, v6, v3, vcc
	v_cmp_gt_u32_e32 vcc, s3, v0
	v_cndmask_b32_e32 v3, v3, v5, vcc
	v_cndmask_b32_e32 v2, v2, v4, vcc
	global_load_dwordx2 v[2:3], v[2:3], off
	s_or_b64 exec, exec, s[0:1]
	v_cmp_gt_u32_e32 vcc, s9, v12
	s_and_saveexec_b64 s[6:7], vcc
	s_cbranch_execz .LBB1333_6
.LBB1333_47:
	v_mov_b32_e32 v13, 0
	s_waitcnt vmcnt(2)
	v_lshlrev_b64 v[4:5], 3, v[12:13]
	v_mov_b32_e32 v11, s18
	v_add_co_u32_e32 v15, vcc, s17, v4
	v_addc_co_u32_e32 v11, vcc, v11, v5, vcc
	v_cmp_gt_u32_e32 vcc, s3, v12
	v_subrev_u32_e32 v12, s3, v12
	v_lshlrev_b64 v[4:5], 3, v[12:13]
	v_mov_b32_e32 v12, s16
	v_add_co_u32_e64 v4, s[0:1], s13, v4
	v_addc_co_u32_e64 v5, s[0:1], v12, v5, s[0:1]
	v_cndmask_b32_e32 v5, v5, v11, vcc
	v_cndmask_b32_e32 v4, v4, v15, vcc
	global_load_dwordx2 v[4:5], v[4:5], off
	s_or_b64 exec, exec, s[6:7]
	v_cmp_gt_u32_e32 vcc, s9, v10
	s_and_saveexec_b64 s[0:1], vcc
	s_cbranch_execnz .LBB1333_7
	s_branch .LBB1333_8
.LBB1333_48:
	ds_read_b64 v[0:1], v13
	s_waitcnt lgkmcnt(0)
	global_store_dwordx2 v[2:3], v[0:1], off
	s_or_b64 exec, exec, s[0:1]
	v_cmp_gt_u32_e32 vcc, s2, v12
	s_and_saveexec_b64 s[0:1], vcc
	s_cbranch_execz .LBB1333_40
.LBB1333_49:
	s_waitcnt lgkmcnt(2)
	global_store_dwordx2 v[2:3], v[8:9], off offset:2048
	s_or_b64 exec, exec, s[0:1]
	v_cmp_gt_u32_e32 vcc, s2, v11
	s_and_saveexec_b64 s[0:1], vcc
	s_cbranch_execnz .LBB1333_41
	s_branch .LBB1333_42
	.section	.rodata,"a",@progbits
	.p2align	6, 0x0
	.amdhsa_kernel _ZN7rocprim17ROCPRIM_400000_NS6detail17trampoline_kernelINS0_14default_configENS1_38merge_sort_block_merge_config_selectorIdNS0_10empty_typeEEEZZNS1_27merge_sort_block_merge_implIS3_PdPS5_jNS1_19radix_merge_compareILb0ELb0EdNS0_19identity_decomposerEEEEE10hipError_tT0_T1_T2_jT3_P12ihipStream_tbPNSt15iterator_traitsISE_E10value_typeEPNSK_ISF_E10value_typeEPSG_NS1_7vsmem_tEENKUlT_SE_SF_SG_E_clIS8_S8_S9_S9_EESD_ST_SE_SF_SG_EUlST_E0_NS1_11comp_targetILNS1_3genE4ELNS1_11target_archE910ELNS1_3gpuE8ELNS1_3repE0EEENS1_38merge_mergepath_config_static_selectorELNS0_4arch9wavefront6targetE1EEEvSF_
		.amdhsa_group_segment_fixed_size 8448
		.amdhsa_private_segment_fixed_size 0
		.amdhsa_kernarg_size 320
		.amdhsa_user_sgpr_count 6
		.amdhsa_user_sgpr_private_segment_buffer 1
		.amdhsa_user_sgpr_dispatch_ptr 0
		.amdhsa_user_sgpr_queue_ptr 0
		.amdhsa_user_sgpr_kernarg_segment_ptr 1
		.amdhsa_user_sgpr_dispatch_id 0
		.amdhsa_user_sgpr_flat_scratch_init 0
		.amdhsa_user_sgpr_kernarg_preload_length 0
		.amdhsa_user_sgpr_kernarg_preload_offset 0
		.amdhsa_user_sgpr_private_segment_size 0
		.amdhsa_uses_dynamic_stack 0
		.amdhsa_system_sgpr_private_segment_wavefront_offset 0
		.amdhsa_system_sgpr_workgroup_id_x 1
		.amdhsa_system_sgpr_workgroup_id_y 1
		.amdhsa_system_sgpr_workgroup_id_z 1
		.amdhsa_system_sgpr_workgroup_info 0
		.amdhsa_system_vgpr_workitem_id 0
		.amdhsa_next_free_vgpr 23
		.amdhsa_next_free_sgpr 24
		.amdhsa_accum_offset 24
		.amdhsa_reserve_vcc 1
		.amdhsa_reserve_flat_scratch 0
		.amdhsa_float_round_mode_32 0
		.amdhsa_float_round_mode_16_64 0
		.amdhsa_float_denorm_mode_32 3
		.amdhsa_float_denorm_mode_16_64 3
		.amdhsa_dx10_clamp 1
		.amdhsa_ieee_mode 1
		.amdhsa_fp16_overflow 0
		.amdhsa_tg_split 0
		.amdhsa_exception_fp_ieee_invalid_op 0
		.amdhsa_exception_fp_denorm_src 0
		.amdhsa_exception_fp_ieee_div_zero 0
		.amdhsa_exception_fp_ieee_overflow 0
		.amdhsa_exception_fp_ieee_underflow 0
		.amdhsa_exception_fp_ieee_inexact 0
		.amdhsa_exception_int_div_zero 0
	.end_amdhsa_kernel
	.section	.text._ZN7rocprim17ROCPRIM_400000_NS6detail17trampoline_kernelINS0_14default_configENS1_38merge_sort_block_merge_config_selectorIdNS0_10empty_typeEEEZZNS1_27merge_sort_block_merge_implIS3_PdPS5_jNS1_19radix_merge_compareILb0ELb0EdNS0_19identity_decomposerEEEEE10hipError_tT0_T1_T2_jT3_P12ihipStream_tbPNSt15iterator_traitsISE_E10value_typeEPNSK_ISF_E10value_typeEPSG_NS1_7vsmem_tEENKUlT_SE_SF_SG_E_clIS8_S8_S9_S9_EESD_ST_SE_SF_SG_EUlST_E0_NS1_11comp_targetILNS1_3genE4ELNS1_11target_archE910ELNS1_3gpuE8ELNS1_3repE0EEENS1_38merge_mergepath_config_static_selectorELNS0_4arch9wavefront6targetE1EEEvSF_,"axG",@progbits,_ZN7rocprim17ROCPRIM_400000_NS6detail17trampoline_kernelINS0_14default_configENS1_38merge_sort_block_merge_config_selectorIdNS0_10empty_typeEEEZZNS1_27merge_sort_block_merge_implIS3_PdPS5_jNS1_19radix_merge_compareILb0ELb0EdNS0_19identity_decomposerEEEEE10hipError_tT0_T1_T2_jT3_P12ihipStream_tbPNSt15iterator_traitsISE_E10value_typeEPNSK_ISF_E10value_typeEPSG_NS1_7vsmem_tEENKUlT_SE_SF_SG_E_clIS8_S8_S9_S9_EESD_ST_SE_SF_SG_EUlST_E0_NS1_11comp_targetILNS1_3genE4ELNS1_11target_archE910ELNS1_3gpuE8ELNS1_3repE0EEENS1_38merge_mergepath_config_static_selectorELNS0_4arch9wavefront6targetE1EEEvSF_,comdat
.Lfunc_end1333:
	.size	_ZN7rocprim17ROCPRIM_400000_NS6detail17trampoline_kernelINS0_14default_configENS1_38merge_sort_block_merge_config_selectorIdNS0_10empty_typeEEEZZNS1_27merge_sort_block_merge_implIS3_PdPS5_jNS1_19radix_merge_compareILb0ELb0EdNS0_19identity_decomposerEEEEE10hipError_tT0_T1_T2_jT3_P12ihipStream_tbPNSt15iterator_traitsISE_E10value_typeEPNSK_ISF_E10value_typeEPSG_NS1_7vsmem_tEENKUlT_SE_SF_SG_E_clIS8_S8_S9_S9_EESD_ST_SE_SF_SG_EUlST_E0_NS1_11comp_targetILNS1_3genE4ELNS1_11target_archE910ELNS1_3gpuE8ELNS1_3repE0EEENS1_38merge_mergepath_config_static_selectorELNS0_4arch9wavefront6targetE1EEEvSF_, .Lfunc_end1333-_ZN7rocprim17ROCPRIM_400000_NS6detail17trampoline_kernelINS0_14default_configENS1_38merge_sort_block_merge_config_selectorIdNS0_10empty_typeEEEZZNS1_27merge_sort_block_merge_implIS3_PdPS5_jNS1_19radix_merge_compareILb0ELb0EdNS0_19identity_decomposerEEEEE10hipError_tT0_T1_T2_jT3_P12ihipStream_tbPNSt15iterator_traitsISE_E10value_typeEPNSK_ISF_E10value_typeEPSG_NS1_7vsmem_tEENKUlT_SE_SF_SG_E_clIS8_S8_S9_S9_EESD_ST_SE_SF_SG_EUlST_E0_NS1_11comp_targetILNS1_3genE4ELNS1_11target_archE910ELNS1_3gpuE8ELNS1_3repE0EEENS1_38merge_mergepath_config_static_selectorELNS0_4arch9wavefront6targetE1EEEvSF_
                                        ; -- End function
	.section	.AMDGPU.csdata,"",@progbits
; Kernel info:
; codeLenInByte = 2648
; NumSgprs: 28
; NumVgprs: 23
; NumAgprs: 0
; TotalNumVgprs: 23
; ScratchSize: 0
; MemoryBound: 0
; FloatMode: 240
; IeeeMode: 1
; LDSByteSize: 8448 bytes/workgroup (compile time only)
; SGPRBlocks: 3
; VGPRBlocks: 2
; NumSGPRsForWavesPerEU: 28
; NumVGPRsForWavesPerEU: 23
; AccumOffset: 24
; Occupancy: 7
; WaveLimiterHint : 1
; COMPUTE_PGM_RSRC2:SCRATCH_EN: 0
; COMPUTE_PGM_RSRC2:USER_SGPR: 6
; COMPUTE_PGM_RSRC2:TRAP_HANDLER: 0
; COMPUTE_PGM_RSRC2:TGID_X_EN: 1
; COMPUTE_PGM_RSRC2:TGID_Y_EN: 1
; COMPUTE_PGM_RSRC2:TGID_Z_EN: 1
; COMPUTE_PGM_RSRC2:TIDIG_COMP_CNT: 0
; COMPUTE_PGM_RSRC3_GFX90A:ACCUM_OFFSET: 5
; COMPUTE_PGM_RSRC3_GFX90A:TG_SPLIT: 0
	.section	.text._ZN7rocprim17ROCPRIM_400000_NS6detail17trampoline_kernelINS0_14default_configENS1_38merge_sort_block_merge_config_selectorIdNS0_10empty_typeEEEZZNS1_27merge_sort_block_merge_implIS3_PdPS5_jNS1_19radix_merge_compareILb0ELb0EdNS0_19identity_decomposerEEEEE10hipError_tT0_T1_T2_jT3_P12ihipStream_tbPNSt15iterator_traitsISE_E10value_typeEPNSK_ISF_E10value_typeEPSG_NS1_7vsmem_tEENKUlT_SE_SF_SG_E_clIS8_S8_S9_S9_EESD_ST_SE_SF_SG_EUlST_E0_NS1_11comp_targetILNS1_3genE3ELNS1_11target_archE908ELNS1_3gpuE7ELNS1_3repE0EEENS1_38merge_mergepath_config_static_selectorELNS0_4arch9wavefront6targetE1EEEvSF_,"axG",@progbits,_ZN7rocprim17ROCPRIM_400000_NS6detail17trampoline_kernelINS0_14default_configENS1_38merge_sort_block_merge_config_selectorIdNS0_10empty_typeEEEZZNS1_27merge_sort_block_merge_implIS3_PdPS5_jNS1_19radix_merge_compareILb0ELb0EdNS0_19identity_decomposerEEEEE10hipError_tT0_T1_T2_jT3_P12ihipStream_tbPNSt15iterator_traitsISE_E10value_typeEPNSK_ISF_E10value_typeEPSG_NS1_7vsmem_tEENKUlT_SE_SF_SG_E_clIS8_S8_S9_S9_EESD_ST_SE_SF_SG_EUlST_E0_NS1_11comp_targetILNS1_3genE3ELNS1_11target_archE908ELNS1_3gpuE7ELNS1_3repE0EEENS1_38merge_mergepath_config_static_selectorELNS0_4arch9wavefront6targetE1EEEvSF_,comdat
	.protected	_ZN7rocprim17ROCPRIM_400000_NS6detail17trampoline_kernelINS0_14default_configENS1_38merge_sort_block_merge_config_selectorIdNS0_10empty_typeEEEZZNS1_27merge_sort_block_merge_implIS3_PdPS5_jNS1_19radix_merge_compareILb0ELb0EdNS0_19identity_decomposerEEEEE10hipError_tT0_T1_T2_jT3_P12ihipStream_tbPNSt15iterator_traitsISE_E10value_typeEPNSK_ISF_E10value_typeEPSG_NS1_7vsmem_tEENKUlT_SE_SF_SG_E_clIS8_S8_S9_S9_EESD_ST_SE_SF_SG_EUlST_E0_NS1_11comp_targetILNS1_3genE3ELNS1_11target_archE908ELNS1_3gpuE7ELNS1_3repE0EEENS1_38merge_mergepath_config_static_selectorELNS0_4arch9wavefront6targetE1EEEvSF_ ; -- Begin function _ZN7rocprim17ROCPRIM_400000_NS6detail17trampoline_kernelINS0_14default_configENS1_38merge_sort_block_merge_config_selectorIdNS0_10empty_typeEEEZZNS1_27merge_sort_block_merge_implIS3_PdPS5_jNS1_19radix_merge_compareILb0ELb0EdNS0_19identity_decomposerEEEEE10hipError_tT0_T1_T2_jT3_P12ihipStream_tbPNSt15iterator_traitsISE_E10value_typeEPNSK_ISF_E10value_typeEPSG_NS1_7vsmem_tEENKUlT_SE_SF_SG_E_clIS8_S8_S9_S9_EESD_ST_SE_SF_SG_EUlST_E0_NS1_11comp_targetILNS1_3genE3ELNS1_11target_archE908ELNS1_3gpuE7ELNS1_3repE0EEENS1_38merge_mergepath_config_static_selectorELNS0_4arch9wavefront6targetE1EEEvSF_
	.globl	_ZN7rocprim17ROCPRIM_400000_NS6detail17trampoline_kernelINS0_14default_configENS1_38merge_sort_block_merge_config_selectorIdNS0_10empty_typeEEEZZNS1_27merge_sort_block_merge_implIS3_PdPS5_jNS1_19radix_merge_compareILb0ELb0EdNS0_19identity_decomposerEEEEE10hipError_tT0_T1_T2_jT3_P12ihipStream_tbPNSt15iterator_traitsISE_E10value_typeEPNSK_ISF_E10value_typeEPSG_NS1_7vsmem_tEENKUlT_SE_SF_SG_E_clIS8_S8_S9_S9_EESD_ST_SE_SF_SG_EUlST_E0_NS1_11comp_targetILNS1_3genE3ELNS1_11target_archE908ELNS1_3gpuE7ELNS1_3repE0EEENS1_38merge_mergepath_config_static_selectorELNS0_4arch9wavefront6targetE1EEEvSF_
	.p2align	8
	.type	_ZN7rocprim17ROCPRIM_400000_NS6detail17trampoline_kernelINS0_14default_configENS1_38merge_sort_block_merge_config_selectorIdNS0_10empty_typeEEEZZNS1_27merge_sort_block_merge_implIS3_PdPS5_jNS1_19radix_merge_compareILb0ELb0EdNS0_19identity_decomposerEEEEE10hipError_tT0_T1_T2_jT3_P12ihipStream_tbPNSt15iterator_traitsISE_E10value_typeEPNSK_ISF_E10value_typeEPSG_NS1_7vsmem_tEENKUlT_SE_SF_SG_E_clIS8_S8_S9_S9_EESD_ST_SE_SF_SG_EUlST_E0_NS1_11comp_targetILNS1_3genE3ELNS1_11target_archE908ELNS1_3gpuE7ELNS1_3repE0EEENS1_38merge_mergepath_config_static_selectorELNS0_4arch9wavefront6targetE1EEEvSF_,@function
_ZN7rocprim17ROCPRIM_400000_NS6detail17trampoline_kernelINS0_14default_configENS1_38merge_sort_block_merge_config_selectorIdNS0_10empty_typeEEEZZNS1_27merge_sort_block_merge_implIS3_PdPS5_jNS1_19radix_merge_compareILb0ELb0EdNS0_19identity_decomposerEEEEE10hipError_tT0_T1_T2_jT3_P12ihipStream_tbPNSt15iterator_traitsISE_E10value_typeEPNSK_ISF_E10value_typeEPSG_NS1_7vsmem_tEENKUlT_SE_SF_SG_E_clIS8_S8_S9_S9_EESD_ST_SE_SF_SG_EUlST_E0_NS1_11comp_targetILNS1_3genE3ELNS1_11target_archE908ELNS1_3gpuE7ELNS1_3repE0EEENS1_38merge_mergepath_config_static_selectorELNS0_4arch9wavefront6targetE1EEEvSF_: ; @_ZN7rocprim17ROCPRIM_400000_NS6detail17trampoline_kernelINS0_14default_configENS1_38merge_sort_block_merge_config_selectorIdNS0_10empty_typeEEEZZNS1_27merge_sort_block_merge_implIS3_PdPS5_jNS1_19radix_merge_compareILb0ELb0EdNS0_19identity_decomposerEEEEE10hipError_tT0_T1_T2_jT3_P12ihipStream_tbPNSt15iterator_traitsISE_E10value_typeEPNSK_ISF_E10value_typeEPSG_NS1_7vsmem_tEENKUlT_SE_SF_SG_E_clIS8_S8_S9_S9_EESD_ST_SE_SF_SG_EUlST_E0_NS1_11comp_targetILNS1_3genE3ELNS1_11target_archE908ELNS1_3gpuE7ELNS1_3repE0EEENS1_38merge_mergepath_config_static_selectorELNS0_4arch9wavefront6targetE1EEEvSF_
; %bb.0:
	.section	.rodata,"a",@progbits
	.p2align	6, 0x0
	.amdhsa_kernel _ZN7rocprim17ROCPRIM_400000_NS6detail17trampoline_kernelINS0_14default_configENS1_38merge_sort_block_merge_config_selectorIdNS0_10empty_typeEEEZZNS1_27merge_sort_block_merge_implIS3_PdPS5_jNS1_19radix_merge_compareILb0ELb0EdNS0_19identity_decomposerEEEEE10hipError_tT0_T1_T2_jT3_P12ihipStream_tbPNSt15iterator_traitsISE_E10value_typeEPNSK_ISF_E10value_typeEPSG_NS1_7vsmem_tEENKUlT_SE_SF_SG_E_clIS8_S8_S9_S9_EESD_ST_SE_SF_SG_EUlST_E0_NS1_11comp_targetILNS1_3genE3ELNS1_11target_archE908ELNS1_3gpuE7ELNS1_3repE0EEENS1_38merge_mergepath_config_static_selectorELNS0_4arch9wavefront6targetE1EEEvSF_
		.amdhsa_group_segment_fixed_size 0
		.amdhsa_private_segment_fixed_size 0
		.amdhsa_kernarg_size 64
		.amdhsa_user_sgpr_count 6
		.amdhsa_user_sgpr_private_segment_buffer 1
		.amdhsa_user_sgpr_dispatch_ptr 0
		.amdhsa_user_sgpr_queue_ptr 0
		.amdhsa_user_sgpr_kernarg_segment_ptr 1
		.amdhsa_user_sgpr_dispatch_id 0
		.amdhsa_user_sgpr_flat_scratch_init 0
		.amdhsa_user_sgpr_kernarg_preload_length 0
		.amdhsa_user_sgpr_kernarg_preload_offset 0
		.amdhsa_user_sgpr_private_segment_size 0
		.amdhsa_uses_dynamic_stack 0
		.amdhsa_system_sgpr_private_segment_wavefront_offset 0
		.amdhsa_system_sgpr_workgroup_id_x 1
		.amdhsa_system_sgpr_workgroup_id_y 0
		.amdhsa_system_sgpr_workgroup_id_z 0
		.amdhsa_system_sgpr_workgroup_info 0
		.amdhsa_system_vgpr_workitem_id 0
		.amdhsa_next_free_vgpr 1
		.amdhsa_next_free_sgpr 0
		.amdhsa_accum_offset 4
		.amdhsa_reserve_vcc 0
		.amdhsa_reserve_flat_scratch 0
		.amdhsa_float_round_mode_32 0
		.amdhsa_float_round_mode_16_64 0
		.amdhsa_float_denorm_mode_32 3
		.amdhsa_float_denorm_mode_16_64 3
		.amdhsa_dx10_clamp 1
		.amdhsa_ieee_mode 1
		.amdhsa_fp16_overflow 0
		.amdhsa_tg_split 0
		.amdhsa_exception_fp_ieee_invalid_op 0
		.amdhsa_exception_fp_denorm_src 0
		.amdhsa_exception_fp_ieee_div_zero 0
		.amdhsa_exception_fp_ieee_overflow 0
		.amdhsa_exception_fp_ieee_underflow 0
		.amdhsa_exception_fp_ieee_inexact 0
		.amdhsa_exception_int_div_zero 0
	.end_amdhsa_kernel
	.section	.text._ZN7rocprim17ROCPRIM_400000_NS6detail17trampoline_kernelINS0_14default_configENS1_38merge_sort_block_merge_config_selectorIdNS0_10empty_typeEEEZZNS1_27merge_sort_block_merge_implIS3_PdPS5_jNS1_19radix_merge_compareILb0ELb0EdNS0_19identity_decomposerEEEEE10hipError_tT0_T1_T2_jT3_P12ihipStream_tbPNSt15iterator_traitsISE_E10value_typeEPNSK_ISF_E10value_typeEPSG_NS1_7vsmem_tEENKUlT_SE_SF_SG_E_clIS8_S8_S9_S9_EESD_ST_SE_SF_SG_EUlST_E0_NS1_11comp_targetILNS1_3genE3ELNS1_11target_archE908ELNS1_3gpuE7ELNS1_3repE0EEENS1_38merge_mergepath_config_static_selectorELNS0_4arch9wavefront6targetE1EEEvSF_,"axG",@progbits,_ZN7rocprim17ROCPRIM_400000_NS6detail17trampoline_kernelINS0_14default_configENS1_38merge_sort_block_merge_config_selectorIdNS0_10empty_typeEEEZZNS1_27merge_sort_block_merge_implIS3_PdPS5_jNS1_19radix_merge_compareILb0ELb0EdNS0_19identity_decomposerEEEEE10hipError_tT0_T1_T2_jT3_P12ihipStream_tbPNSt15iterator_traitsISE_E10value_typeEPNSK_ISF_E10value_typeEPSG_NS1_7vsmem_tEENKUlT_SE_SF_SG_E_clIS8_S8_S9_S9_EESD_ST_SE_SF_SG_EUlST_E0_NS1_11comp_targetILNS1_3genE3ELNS1_11target_archE908ELNS1_3gpuE7ELNS1_3repE0EEENS1_38merge_mergepath_config_static_selectorELNS0_4arch9wavefront6targetE1EEEvSF_,comdat
.Lfunc_end1334:
	.size	_ZN7rocprim17ROCPRIM_400000_NS6detail17trampoline_kernelINS0_14default_configENS1_38merge_sort_block_merge_config_selectorIdNS0_10empty_typeEEEZZNS1_27merge_sort_block_merge_implIS3_PdPS5_jNS1_19radix_merge_compareILb0ELb0EdNS0_19identity_decomposerEEEEE10hipError_tT0_T1_T2_jT3_P12ihipStream_tbPNSt15iterator_traitsISE_E10value_typeEPNSK_ISF_E10value_typeEPSG_NS1_7vsmem_tEENKUlT_SE_SF_SG_E_clIS8_S8_S9_S9_EESD_ST_SE_SF_SG_EUlST_E0_NS1_11comp_targetILNS1_3genE3ELNS1_11target_archE908ELNS1_3gpuE7ELNS1_3repE0EEENS1_38merge_mergepath_config_static_selectorELNS0_4arch9wavefront6targetE1EEEvSF_, .Lfunc_end1334-_ZN7rocprim17ROCPRIM_400000_NS6detail17trampoline_kernelINS0_14default_configENS1_38merge_sort_block_merge_config_selectorIdNS0_10empty_typeEEEZZNS1_27merge_sort_block_merge_implIS3_PdPS5_jNS1_19radix_merge_compareILb0ELb0EdNS0_19identity_decomposerEEEEE10hipError_tT0_T1_T2_jT3_P12ihipStream_tbPNSt15iterator_traitsISE_E10value_typeEPNSK_ISF_E10value_typeEPSG_NS1_7vsmem_tEENKUlT_SE_SF_SG_E_clIS8_S8_S9_S9_EESD_ST_SE_SF_SG_EUlST_E0_NS1_11comp_targetILNS1_3genE3ELNS1_11target_archE908ELNS1_3gpuE7ELNS1_3repE0EEENS1_38merge_mergepath_config_static_selectorELNS0_4arch9wavefront6targetE1EEEvSF_
                                        ; -- End function
	.section	.AMDGPU.csdata,"",@progbits
; Kernel info:
; codeLenInByte = 0
; NumSgprs: 4
; NumVgprs: 0
; NumAgprs: 0
; TotalNumVgprs: 0
; ScratchSize: 0
; MemoryBound: 0
; FloatMode: 240
; IeeeMode: 1
; LDSByteSize: 0 bytes/workgroup (compile time only)
; SGPRBlocks: 0
; VGPRBlocks: 0
; NumSGPRsForWavesPerEU: 4
; NumVGPRsForWavesPerEU: 1
; AccumOffset: 4
; Occupancy: 8
; WaveLimiterHint : 0
; COMPUTE_PGM_RSRC2:SCRATCH_EN: 0
; COMPUTE_PGM_RSRC2:USER_SGPR: 6
; COMPUTE_PGM_RSRC2:TRAP_HANDLER: 0
; COMPUTE_PGM_RSRC2:TGID_X_EN: 1
; COMPUTE_PGM_RSRC2:TGID_Y_EN: 0
; COMPUTE_PGM_RSRC2:TGID_Z_EN: 0
; COMPUTE_PGM_RSRC2:TIDIG_COMP_CNT: 0
; COMPUTE_PGM_RSRC3_GFX90A:ACCUM_OFFSET: 0
; COMPUTE_PGM_RSRC3_GFX90A:TG_SPLIT: 0
	.section	.text._ZN7rocprim17ROCPRIM_400000_NS6detail17trampoline_kernelINS0_14default_configENS1_38merge_sort_block_merge_config_selectorIdNS0_10empty_typeEEEZZNS1_27merge_sort_block_merge_implIS3_PdPS5_jNS1_19radix_merge_compareILb0ELb0EdNS0_19identity_decomposerEEEEE10hipError_tT0_T1_T2_jT3_P12ihipStream_tbPNSt15iterator_traitsISE_E10value_typeEPNSK_ISF_E10value_typeEPSG_NS1_7vsmem_tEENKUlT_SE_SF_SG_E_clIS8_S8_S9_S9_EESD_ST_SE_SF_SG_EUlST_E0_NS1_11comp_targetILNS1_3genE2ELNS1_11target_archE906ELNS1_3gpuE6ELNS1_3repE0EEENS1_38merge_mergepath_config_static_selectorELNS0_4arch9wavefront6targetE1EEEvSF_,"axG",@progbits,_ZN7rocprim17ROCPRIM_400000_NS6detail17trampoline_kernelINS0_14default_configENS1_38merge_sort_block_merge_config_selectorIdNS0_10empty_typeEEEZZNS1_27merge_sort_block_merge_implIS3_PdPS5_jNS1_19radix_merge_compareILb0ELb0EdNS0_19identity_decomposerEEEEE10hipError_tT0_T1_T2_jT3_P12ihipStream_tbPNSt15iterator_traitsISE_E10value_typeEPNSK_ISF_E10value_typeEPSG_NS1_7vsmem_tEENKUlT_SE_SF_SG_E_clIS8_S8_S9_S9_EESD_ST_SE_SF_SG_EUlST_E0_NS1_11comp_targetILNS1_3genE2ELNS1_11target_archE906ELNS1_3gpuE6ELNS1_3repE0EEENS1_38merge_mergepath_config_static_selectorELNS0_4arch9wavefront6targetE1EEEvSF_,comdat
	.protected	_ZN7rocprim17ROCPRIM_400000_NS6detail17trampoline_kernelINS0_14default_configENS1_38merge_sort_block_merge_config_selectorIdNS0_10empty_typeEEEZZNS1_27merge_sort_block_merge_implIS3_PdPS5_jNS1_19radix_merge_compareILb0ELb0EdNS0_19identity_decomposerEEEEE10hipError_tT0_T1_T2_jT3_P12ihipStream_tbPNSt15iterator_traitsISE_E10value_typeEPNSK_ISF_E10value_typeEPSG_NS1_7vsmem_tEENKUlT_SE_SF_SG_E_clIS8_S8_S9_S9_EESD_ST_SE_SF_SG_EUlST_E0_NS1_11comp_targetILNS1_3genE2ELNS1_11target_archE906ELNS1_3gpuE6ELNS1_3repE0EEENS1_38merge_mergepath_config_static_selectorELNS0_4arch9wavefront6targetE1EEEvSF_ ; -- Begin function _ZN7rocprim17ROCPRIM_400000_NS6detail17trampoline_kernelINS0_14default_configENS1_38merge_sort_block_merge_config_selectorIdNS0_10empty_typeEEEZZNS1_27merge_sort_block_merge_implIS3_PdPS5_jNS1_19radix_merge_compareILb0ELb0EdNS0_19identity_decomposerEEEEE10hipError_tT0_T1_T2_jT3_P12ihipStream_tbPNSt15iterator_traitsISE_E10value_typeEPNSK_ISF_E10value_typeEPSG_NS1_7vsmem_tEENKUlT_SE_SF_SG_E_clIS8_S8_S9_S9_EESD_ST_SE_SF_SG_EUlST_E0_NS1_11comp_targetILNS1_3genE2ELNS1_11target_archE906ELNS1_3gpuE6ELNS1_3repE0EEENS1_38merge_mergepath_config_static_selectorELNS0_4arch9wavefront6targetE1EEEvSF_
	.globl	_ZN7rocprim17ROCPRIM_400000_NS6detail17trampoline_kernelINS0_14default_configENS1_38merge_sort_block_merge_config_selectorIdNS0_10empty_typeEEEZZNS1_27merge_sort_block_merge_implIS3_PdPS5_jNS1_19radix_merge_compareILb0ELb0EdNS0_19identity_decomposerEEEEE10hipError_tT0_T1_T2_jT3_P12ihipStream_tbPNSt15iterator_traitsISE_E10value_typeEPNSK_ISF_E10value_typeEPSG_NS1_7vsmem_tEENKUlT_SE_SF_SG_E_clIS8_S8_S9_S9_EESD_ST_SE_SF_SG_EUlST_E0_NS1_11comp_targetILNS1_3genE2ELNS1_11target_archE906ELNS1_3gpuE6ELNS1_3repE0EEENS1_38merge_mergepath_config_static_selectorELNS0_4arch9wavefront6targetE1EEEvSF_
	.p2align	8
	.type	_ZN7rocprim17ROCPRIM_400000_NS6detail17trampoline_kernelINS0_14default_configENS1_38merge_sort_block_merge_config_selectorIdNS0_10empty_typeEEEZZNS1_27merge_sort_block_merge_implIS3_PdPS5_jNS1_19radix_merge_compareILb0ELb0EdNS0_19identity_decomposerEEEEE10hipError_tT0_T1_T2_jT3_P12ihipStream_tbPNSt15iterator_traitsISE_E10value_typeEPNSK_ISF_E10value_typeEPSG_NS1_7vsmem_tEENKUlT_SE_SF_SG_E_clIS8_S8_S9_S9_EESD_ST_SE_SF_SG_EUlST_E0_NS1_11comp_targetILNS1_3genE2ELNS1_11target_archE906ELNS1_3gpuE6ELNS1_3repE0EEENS1_38merge_mergepath_config_static_selectorELNS0_4arch9wavefront6targetE1EEEvSF_,@function
_ZN7rocprim17ROCPRIM_400000_NS6detail17trampoline_kernelINS0_14default_configENS1_38merge_sort_block_merge_config_selectorIdNS0_10empty_typeEEEZZNS1_27merge_sort_block_merge_implIS3_PdPS5_jNS1_19radix_merge_compareILb0ELb0EdNS0_19identity_decomposerEEEEE10hipError_tT0_T1_T2_jT3_P12ihipStream_tbPNSt15iterator_traitsISE_E10value_typeEPNSK_ISF_E10value_typeEPSG_NS1_7vsmem_tEENKUlT_SE_SF_SG_E_clIS8_S8_S9_S9_EESD_ST_SE_SF_SG_EUlST_E0_NS1_11comp_targetILNS1_3genE2ELNS1_11target_archE906ELNS1_3gpuE6ELNS1_3repE0EEENS1_38merge_mergepath_config_static_selectorELNS0_4arch9wavefront6targetE1EEEvSF_: ; @_ZN7rocprim17ROCPRIM_400000_NS6detail17trampoline_kernelINS0_14default_configENS1_38merge_sort_block_merge_config_selectorIdNS0_10empty_typeEEEZZNS1_27merge_sort_block_merge_implIS3_PdPS5_jNS1_19radix_merge_compareILb0ELb0EdNS0_19identity_decomposerEEEEE10hipError_tT0_T1_T2_jT3_P12ihipStream_tbPNSt15iterator_traitsISE_E10value_typeEPNSK_ISF_E10value_typeEPSG_NS1_7vsmem_tEENKUlT_SE_SF_SG_E_clIS8_S8_S9_S9_EESD_ST_SE_SF_SG_EUlST_E0_NS1_11comp_targetILNS1_3genE2ELNS1_11target_archE906ELNS1_3gpuE6ELNS1_3repE0EEENS1_38merge_mergepath_config_static_selectorELNS0_4arch9wavefront6targetE1EEEvSF_
; %bb.0:
	.section	.rodata,"a",@progbits
	.p2align	6, 0x0
	.amdhsa_kernel _ZN7rocprim17ROCPRIM_400000_NS6detail17trampoline_kernelINS0_14default_configENS1_38merge_sort_block_merge_config_selectorIdNS0_10empty_typeEEEZZNS1_27merge_sort_block_merge_implIS3_PdPS5_jNS1_19radix_merge_compareILb0ELb0EdNS0_19identity_decomposerEEEEE10hipError_tT0_T1_T2_jT3_P12ihipStream_tbPNSt15iterator_traitsISE_E10value_typeEPNSK_ISF_E10value_typeEPSG_NS1_7vsmem_tEENKUlT_SE_SF_SG_E_clIS8_S8_S9_S9_EESD_ST_SE_SF_SG_EUlST_E0_NS1_11comp_targetILNS1_3genE2ELNS1_11target_archE906ELNS1_3gpuE6ELNS1_3repE0EEENS1_38merge_mergepath_config_static_selectorELNS0_4arch9wavefront6targetE1EEEvSF_
		.amdhsa_group_segment_fixed_size 0
		.amdhsa_private_segment_fixed_size 0
		.amdhsa_kernarg_size 64
		.amdhsa_user_sgpr_count 6
		.amdhsa_user_sgpr_private_segment_buffer 1
		.amdhsa_user_sgpr_dispatch_ptr 0
		.amdhsa_user_sgpr_queue_ptr 0
		.amdhsa_user_sgpr_kernarg_segment_ptr 1
		.amdhsa_user_sgpr_dispatch_id 0
		.amdhsa_user_sgpr_flat_scratch_init 0
		.amdhsa_user_sgpr_kernarg_preload_length 0
		.amdhsa_user_sgpr_kernarg_preload_offset 0
		.amdhsa_user_sgpr_private_segment_size 0
		.amdhsa_uses_dynamic_stack 0
		.amdhsa_system_sgpr_private_segment_wavefront_offset 0
		.amdhsa_system_sgpr_workgroup_id_x 1
		.amdhsa_system_sgpr_workgroup_id_y 0
		.amdhsa_system_sgpr_workgroup_id_z 0
		.amdhsa_system_sgpr_workgroup_info 0
		.amdhsa_system_vgpr_workitem_id 0
		.amdhsa_next_free_vgpr 1
		.amdhsa_next_free_sgpr 0
		.amdhsa_accum_offset 4
		.amdhsa_reserve_vcc 0
		.amdhsa_reserve_flat_scratch 0
		.amdhsa_float_round_mode_32 0
		.amdhsa_float_round_mode_16_64 0
		.amdhsa_float_denorm_mode_32 3
		.amdhsa_float_denorm_mode_16_64 3
		.amdhsa_dx10_clamp 1
		.amdhsa_ieee_mode 1
		.amdhsa_fp16_overflow 0
		.amdhsa_tg_split 0
		.amdhsa_exception_fp_ieee_invalid_op 0
		.amdhsa_exception_fp_denorm_src 0
		.amdhsa_exception_fp_ieee_div_zero 0
		.amdhsa_exception_fp_ieee_overflow 0
		.amdhsa_exception_fp_ieee_underflow 0
		.amdhsa_exception_fp_ieee_inexact 0
		.amdhsa_exception_int_div_zero 0
	.end_amdhsa_kernel
	.section	.text._ZN7rocprim17ROCPRIM_400000_NS6detail17trampoline_kernelINS0_14default_configENS1_38merge_sort_block_merge_config_selectorIdNS0_10empty_typeEEEZZNS1_27merge_sort_block_merge_implIS3_PdPS5_jNS1_19radix_merge_compareILb0ELb0EdNS0_19identity_decomposerEEEEE10hipError_tT0_T1_T2_jT3_P12ihipStream_tbPNSt15iterator_traitsISE_E10value_typeEPNSK_ISF_E10value_typeEPSG_NS1_7vsmem_tEENKUlT_SE_SF_SG_E_clIS8_S8_S9_S9_EESD_ST_SE_SF_SG_EUlST_E0_NS1_11comp_targetILNS1_3genE2ELNS1_11target_archE906ELNS1_3gpuE6ELNS1_3repE0EEENS1_38merge_mergepath_config_static_selectorELNS0_4arch9wavefront6targetE1EEEvSF_,"axG",@progbits,_ZN7rocprim17ROCPRIM_400000_NS6detail17trampoline_kernelINS0_14default_configENS1_38merge_sort_block_merge_config_selectorIdNS0_10empty_typeEEEZZNS1_27merge_sort_block_merge_implIS3_PdPS5_jNS1_19radix_merge_compareILb0ELb0EdNS0_19identity_decomposerEEEEE10hipError_tT0_T1_T2_jT3_P12ihipStream_tbPNSt15iterator_traitsISE_E10value_typeEPNSK_ISF_E10value_typeEPSG_NS1_7vsmem_tEENKUlT_SE_SF_SG_E_clIS8_S8_S9_S9_EESD_ST_SE_SF_SG_EUlST_E0_NS1_11comp_targetILNS1_3genE2ELNS1_11target_archE906ELNS1_3gpuE6ELNS1_3repE0EEENS1_38merge_mergepath_config_static_selectorELNS0_4arch9wavefront6targetE1EEEvSF_,comdat
.Lfunc_end1335:
	.size	_ZN7rocprim17ROCPRIM_400000_NS6detail17trampoline_kernelINS0_14default_configENS1_38merge_sort_block_merge_config_selectorIdNS0_10empty_typeEEEZZNS1_27merge_sort_block_merge_implIS3_PdPS5_jNS1_19radix_merge_compareILb0ELb0EdNS0_19identity_decomposerEEEEE10hipError_tT0_T1_T2_jT3_P12ihipStream_tbPNSt15iterator_traitsISE_E10value_typeEPNSK_ISF_E10value_typeEPSG_NS1_7vsmem_tEENKUlT_SE_SF_SG_E_clIS8_S8_S9_S9_EESD_ST_SE_SF_SG_EUlST_E0_NS1_11comp_targetILNS1_3genE2ELNS1_11target_archE906ELNS1_3gpuE6ELNS1_3repE0EEENS1_38merge_mergepath_config_static_selectorELNS0_4arch9wavefront6targetE1EEEvSF_, .Lfunc_end1335-_ZN7rocprim17ROCPRIM_400000_NS6detail17trampoline_kernelINS0_14default_configENS1_38merge_sort_block_merge_config_selectorIdNS0_10empty_typeEEEZZNS1_27merge_sort_block_merge_implIS3_PdPS5_jNS1_19radix_merge_compareILb0ELb0EdNS0_19identity_decomposerEEEEE10hipError_tT0_T1_T2_jT3_P12ihipStream_tbPNSt15iterator_traitsISE_E10value_typeEPNSK_ISF_E10value_typeEPSG_NS1_7vsmem_tEENKUlT_SE_SF_SG_E_clIS8_S8_S9_S9_EESD_ST_SE_SF_SG_EUlST_E0_NS1_11comp_targetILNS1_3genE2ELNS1_11target_archE906ELNS1_3gpuE6ELNS1_3repE0EEENS1_38merge_mergepath_config_static_selectorELNS0_4arch9wavefront6targetE1EEEvSF_
                                        ; -- End function
	.section	.AMDGPU.csdata,"",@progbits
; Kernel info:
; codeLenInByte = 0
; NumSgprs: 4
; NumVgprs: 0
; NumAgprs: 0
; TotalNumVgprs: 0
; ScratchSize: 0
; MemoryBound: 0
; FloatMode: 240
; IeeeMode: 1
; LDSByteSize: 0 bytes/workgroup (compile time only)
; SGPRBlocks: 0
; VGPRBlocks: 0
; NumSGPRsForWavesPerEU: 4
; NumVGPRsForWavesPerEU: 1
; AccumOffset: 4
; Occupancy: 8
; WaveLimiterHint : 0
; COMPUTE_PGM_RSRC2:SCRATCH_EN: 0
; COMPUTE_PGM_RSRC2:USER_SGPR: 6
; COMPUTE_PGM_RSRC2:TRAP_HANDLER: 0
; COMPUTE_PGM_RSRC2:TGID_X_EN: 1
; COMPUTE_PGM_RSRC2:TGID_Y_EN: 0
; COMPUTE_PGM_RSRC2:TGID_Z_EN: 0
; COMPUTE_PGM_RSRC2:TIDIG_COMP_CNT: 0
; COMPUTE_PGM_RSRC3_GFX90A:ACCUM_OFFSET: 0
; COMPUTE_PGM_RSRC3_GFX90A:TG_SPLIT: 0
	.section	.text._ZN7rocprim17ROCPRIM_400000_NS6detail17trampoline_kernelINS0_14default_configENS1_38merge_sort_block_merge_config_selectorIdNS0_10empty_typeEEEZZNS1_27merge_sort_block_merge_implIS3_PdPS5_jNS1_19radix_merge_compareILb0ELb0EdNS0_19identity_decomposerEEEEE10hipError_tT0_T1_T2_jT3_P12ihipStream_tbPNSt15iterator_traitsISE_E10value_typeEPNSK_ISF_E10value_typeEPSG_NS1_7vsmem_tEENKUlT_SE_SF_SG_E_clIS8_S8_S9_S9_EESD_ST_SE_SF_SG_EUlST_E0_NS1_11comp_targetILNS1_3genE9ELNS1_11target_archE1100ELNS1_3gpuE3ELNS1_3repE0EEENS1_38merge_mergepath_config_static_selectorELNS0_4arch9wavefront6targetE1EEEvSF_,"axG",@progbits,_ZN7rocprim17ROCPRIM_400000_NS6detail17trampoline_kernelINS0_14default_configENS1_38merge_sort_block_merge_config_selectorIdNS0_10empty_typeEEEZZNS1_27merge_sort_block_merge_implIS3_PdPS5_jNS1_19radix_merge_compareILb0ELb0EdNS0_19identity_decomposerEEEEE10hipError_tT0_T1_T2_jT3_P12ihipStream_tbPNSt15iterator_traitsISE_E10value_typeEPNSK_ISF_E10value_typeEPSG_NS1_7vsmem_tEENKUlT_SE_SF_SG_E_clIS8_S8_S9_S9_EESD_ST_SE_SF_SG_EUlST_E0_NS1_11comp_targetILNS1_3genE9ELNS1_11target_archE1100ELNS1_3gpuE3ELNS1_3repE0EEENS1_38merge_mergepath_config_static_selectorELNS0_4arch9wavefront6targetE1EEEvSF_,comdat
	.protected	_ZN7rocprim17ROCPRIM_400000_NS6detail17trampoline_kernelINS0_14default_configENS1_38merge_sort_block_merge_config_selectorIdNS0_10empty_typeEEEZZNS1_27merge_sort_block_merge_implIS3_PdPS5_jNS1_19radix_merge_compareILb0ELb0EdNS0_19identity_decomposerEEEEE10hipError_tT0_T1_T2_jT3_P12ihipStream_tbPNSt15iterator_traitsISE_E10value_typeEPNSK_ISF_E10value_typeEPSG_NS1_7vsmem_tEENKUlT_SE_SF_SG_E_clIS8_S8_S9_S9_EESD_ST_SE_SF_SG_EUlST_E0_NS1_11comp_targetILNS1_3genE9ELNS1_11target_archE1100ELNS1_3gpuE3ELNS1_3repE0EEENS1_38merge_mergepath_config_static_selectorELNS0_4arch9wavefront6targetE1EEEvSF_ ; -- Begin function _ZN7rocprim17ROCPRIM_400000_NS6detail17trampoline_kernelINS0_14default_configENS1_38merge_sort_block_merge_config_selectorIdNS0_10empty_typeEEEZZNS1_27merge_sort_block_merge_implIS3_PdPS5_jNS1_19radix_merge_compareILb0ELb0EdNS0_19identity_decomposerEEEEE10hipError_tT0_T1_T2_jT3_P12ihipStream_tbPNSt15iterator_traitsISE_E10value_typeEPNSK_ISF_E10value_typeEPSG_NS1_7vsmem_tEENKUlT_SE_SF_SG_E_clIS8_S8_S9_S9_EESD_ST_SE_SF_SG_EUlST_E0_NS1_11comp_targetILNS1_3genE9ELNS1_11target_archE1100ELNS1_3gpuE3ELNS1_3repE0EEENS1_38merge_mergepath_config_static_selectorELNS0_4arch9wavefront6targetE1EEEvSF_
	.globl	_ZN7rocprim17ROCPRIM_400000_NS6detail17trampoline_kernelINS0_14default_configENS1_38merge_sort_block_merge_config_selectorIdNS0_10empty_typeEEEZZNS1_27merge_sort_block_merge_implIS3_PdPS5_jNS1_19radix_merge_compareILb0ELb0EdNS0_19identity_decomposerEEEEE10hipError_tT0_T1_T2_jT3_P12ihipStream_tbPNSt15iterator_traitsISE_E10value_typeEPNSK_ISF_E10value_typeEPSG_NS1_7vsmem_tEENKUlT_SE_SF_SG_E_clIS8_S8_S9_S9_EESD_ST_SE_SF_SG_EUlST_E0_NS1_11comp_targetILNS1_3genE9ELNS1_11target_archE1100ELNS1_3gpuE3ELNS1_3repE0EEENS1_38merge_mergepath_config_static_selectorELNS0_4arch9wavefront6targetE1EEEvSF_
	.p2align	8
	.type	_ZN7rocprim17ROCPRIM_400000_NS6detail17trampoline_kernelINS0_14default_configENS1_38merge_sort_block_merge_config_selectorIdNS0_10empty_typeEEEZZNS1_27merge_sort_block_merge_implIS3_PdPS5_jNS1_19radix_merge_compareILb0ELb0EdNS0_19identity_decomposerEEEEE10hipError_tT0_T1_T2_jT3_P12ihipStream_tbPNSt15iterator_traitsISE_E10value_typeEPNSK_ISF_E10value_typeEPSG_NS1_7vsmem_tEENKUlT_SE_SF_SG_E_clIS8_S8_S9_S9_EESD_ST_SE_SF_SG_EUlST_E0_NS1_11comp_targetILNS1_3genE9ELNS1_11target_archE1100ELNS1_3gpuE3ELNS1_3repE0EEENS1_38merge_mergepath_config_static_selectorELNS0_4arch9wavefront6targetE1EEEvSF_,@function
_ZN7rocprim17ROCPRIM_400000_NS6detail17trampoline_kernelINS0_14default_configENS1_38merge_sort_block_merge_config_selectorIdNS0_10empty_typeEEEZZNS1_27merge_sort_block_merge_implIS3_PdPS5_jNS1_19radix_merge_compareILb0ELb0EdNS0_19identity_decomposerEEEEE10hipError_tT0_T1_T2_jT3_P12ihipStream_tbPNSt15iterator_traitsISE_E10value_typeEPNSK_ISF_E10value_typeEPSG_NS1_7vsmem_tEENKUlT_SE_SF_SG_E_clIS8_S8_S9_S9_EESD_ST_SE_SF_SG_EUlST_E0_NS1_11comp_targetILNS1_3genE9ELNS1_11target_archE1100ELNS1_3gpuE3ELNS1_3repE0EEENS1_38merge_mergepath_config_static_selectorELNS0_4arch9wavefront6targetE1EEEvSF_: ; @_ZN7rocprim17ROCPRIM_400000_NS6detail17trampoline_kernelINS0_14default_configENS1_38merge_sort_block_merge_config_selectorIdNS0_10empty_typeEEEZZNS1_27merge_sort_block_merge_implIS3_PdPS5_jNS1_19radix_merge_compareILb0ELb0EdNS0_19identity_decomposerEEEEE10hipError_tT0_T1_T2_jT3_P12ihipStream_tbPNSt15iterator_traitsISE_E10value_typeEPNSK_ISF_E10value_typeEPSG_NS1_7vsmem_tEENKUlT_SE_SF_SG_E_clIS8_S8_S9_S9_EESD_ST_SE_SF_SG_EUlST_E0_NS1_11comp_targetILNS1_3genE9ELNS1_11target_archE1100ELNS1_3gpuE3ELNS1_3repE0EEENS1_38merge_mergepath_config_static_selectorELNS0_4arch9wavefront6targetE1EEEvSF_
; %bb.0:
	.section	.rodata,"a",@progbits
	.p2align	6, 0x0
	.amdhsa_kernel _ZN7rocprim17ROCPRIM_400000_NS6detail17trampoline_kernelINS0_14default_configENS1_38merge_sort_block_merge_config_selectorIdNS0_10empty_typeEEEZZNS1_27merge_sort_block_merge_implIS3_PdPS5_jNS1_19radix_merge_compareILb0ELb0EdNS0_19identity_decomposerEEEEE10hipError_tT0_T1_T2_jT3_P12ihipStream_tbPNSt15iterator_traitsISE_E10value_typeEPNSK_ISF_E10value_typeEPSG_NS1_7vsmem_tEENKUlT_SE_SF_SG_E_clIS8_S8_S9_S9_EESD_ST_SE_SF_SG_EUlST_E0_NS1_11comp_targetILNS1_3genE9ELNS1_11target_archE1100ELNS1_3gpuE3ELNS1_3repE0EEENS1_38merge_mergepath_config_static_selectorELNS0_4arch9wavefront6targetE1EEEvSF_
		.amdhsa_group_segment_fixed_size 0
		.amdhsa_private_segment_fixed_size 0
		.amdhsa_kernarg_size 64
		.amdhsa_user_sgpr_count 6
		.amdhsa_user_sgpr_private_segment_buffer 1
		.amdhsa_user_sgpr_dispatch_ptr 0
		.amdhsa_user_sgpr_queue_ptr 0
		.amdhsa_user_sgpr_kernarg_segment_ptr 1
		.amdhsa_user_sgpr_dispatch_id 0
		.amdhsa_user_sgpr_flat_scratch_init 0
		.amdhsa_user_sgpr_kernarg_preload_length 0
		.amdhsa_user_sgpr_kernarg_preload_offset 0
		.amdhsa_user_sgpr_private_segment_size 0
		.amdhsa_uses_dynamic_stack 0
		.amdhsa_system_sgpr_private_segment_wavefront_offset 0
		.amdhsa_system_sgpr_workgroup_id_x 1
		.amdhsa_system_sgpr_workgroup_id_y 0
		.amdhsa_system_sgpr_workgroup_id_z 0
		.amdhsa_system_sgpr_workgroup_info 0
		.amdhsa_system_vgpr_workitem_id 0
		.amdhsa_next_free_vgpr 1
		.amdhsa_next_free_sgpr 0
		.amdhsa_accum_offset 4
		.amdhsa_reserve_vcc 0
		.amdhsa_reserve_flat_scratch 0
		.amdhsa_float_round_mode_32 0
		.amdhsa_float_round_mode_16_64 0
		.amdhsa_float_denorm_mode_32 3
		.amdhsa_float_denorm_mode_16_64 3
		.amdhsa_dx10_clamp 1
		.amdhsa_ieee_mode 1
		.amdhsa_fp16_overflow 0
		.amdhsa_tg_split 0
		.amdhsa_exception_fp_ieee_invalid_op 0
		.amdhsa_exception_fp_denorm_src 0
		.amdhsa_exception_fp_ieee_div_zero 0
		.amdhsa_exception_fp_ieee_overflow 0
		.amdhsa_exception_fp_ieee_underflow 0
		.amdhsa_exception_fp_ieee_inexact 0
		.amdhsa_exception_int_div_zero 0
	.end_amdhsa_kernel
	.section	.text._ZN7rocprim17ROCPRIM_400000_NS6detail17trampoline_kernelINS0_14default_configENS1_38merge_sort_block_merge_config_selectorIdNS0_10empty_typeEEEZZNS1_27merge_sort_block_merge_implIS3_PdPS5_jNS1_19radix_merge_compareILb0ELb0EdNS0_19identity_decomposerEEEEE10hipError_tT0_T1_T2_jT3_P12ihipStream_tbPNSt15iterator_traitsISE_E10value_typeEPNSK_ISF_E10value_typeEPSG_NS1_7vsmem_tEENKUlT_SE_SF_SG_E_clIS8_S8_S9_S9_EESD_ST_SE_SF_SG_EUlST_E0_NS1_11comp_targetILNS1_3genE9ELNS1_11target_archE1100ELNS1_3gpuE3ELNS1_3repE0EEENS1_38merge_mergepath_config_static_selectorELNS0_4arch9wavefront6targetE1EEEvSF_,"axG",@progbits,_ZN7rocprim17ROCPRIM_400000_NS6detail17trampoline_kernelINS0_14default_configENS1_38merge_sort_block_merge_config_selectorIdNS0_10empty_typeEEEZZNS1_27merge_sort_block_merge_implIS3_PdPS5_jNS1_19radix_merge_compareILb0ELb0EdNS0_19identity_decomposerEEEEE10hipError_tT0_T1_T2_jT3_P12ihipStream_tbPNSt15iterator_traitsISE_E10value_typeEPNSK_ISF_E10value_typeEPSG_NS1_7vsmem_tEENKUlT_SE_SF_SG_E_clIS8_S8_S9_S9_EESD_ST_SE_SF_SG_EUlST_E0_NS1_11comp_targetILNS1_3genE9ELNS1_11target_archE1100ELNS1_3gpuE3ELNS1_3repE0EEENS1_38merge_mergepath_config_static_selectorELNS0_4arch9wavefront6targetE1EEEvSF_,comdat
.Lfunc_end1336:
	.size	_ZN7rocprim17ROCPRIM_400000_NS6detail17trampoline_kernelINS0_14default_configENS1_38merge_sort_block_merge_config_selectorIdNS0_10empty_typeEEEZZNS1_27merge_sort_block_merge_implIS3_PdPS5_jNS1_19radix_merge_compareILb0ELb0EdNS0_19identity_decomposerEEEEE10hipError_tT0_T1_T2_jT3_P12ihipStream_tbPNSt15iterator_traitsISE_E10value_typeEPNSK_ISF_E10value_typeEPSG_NS1_7vsmem_tEENKUlT_SE_SF_SG_E_clIS8_S8_S9_S9_EESD_ST_SE_SF_SG_EUlST_E0_NS1_11comp_targetILNS1_3genE9ELNS1_11target_archE1100ELNS1_3gpuE3ELNS1_3repE0EEENS1_38merge_mergepath_config_static_selectorELNS0_4arch9wavefront6targetE1EEEvSF_, .Lfunc_end1336-_ZN7rocprim17ROCPRIM_400000_NS6detail17trampoline_kernelINS0_14default_configENS1_38merge_sort_block_merge_config_selectorIdNS0_10empty_typeEEEZZNS1_27merge_sort_block_merge_implIS3_PdPS5_jNS1_19radix_merge_compareILb0ELb0EdNS0_19identity_decomposerEEEEE10hipError_tT0_T1_T2_jT3_P12ihipStream_tbPNSt15iterator_traitsISE_E10value_typeEPNSK_ISF_E10value_typeEPSG_NS1_7vsmem_tEENKUlT_SE_SF_SG_E_clIS8_S8_S9_S9_EESD_ST_SE_SF_SG_EUlST_E0_NS1_11comp_targetILNS1_3genE9ELNS1_11target_archE1100ELNS1_3gpuE3ELNS1_3repE0EEENS1_38merge_mergepath_config_static_selectorELNS0_4arch9wavefront6targetE1EEEvSF_
                                        ; -- End function
	.section	.AMDGPU.csdata,"",@progbits
; Kernel info:
; codeLenInByte = 0
; NumSgprs: 4
; NumVgprs: 0
; NumAgprs: 0
; TotalNumVgprs: 0
; ScratchSize: 0
; MemoryBound: 0
; FloatMode: 240
; IeeeMode: 1
; LDSByteSize: 0 bytes/workgroup (compile time only)
; SGPRBlocks: 0
; VGPRBlocks: 0
; NumSGPRsForWavesPerEU: 4
; NumVGPRsForWavesPerEU: 1
; AccumOffset: 4
; Occupancy: 8
; WaveLimiterHint : 0
; COMPUTE_PGM_RSRC2:SCRATCH_EN: 0
; COMPUTE_PGM_RSRC2:USER_SGPR: 6
; COMPUTE_PGM_RSRC2:TRAP_HANDLER: 0
; COMPUTE_PGM_RSRC2:TGID_X_EN: 1
; COMPUTE_PGM_RSRC2:TGID_Y_EN: 0
; COMPUTE_PGM_RSRC2:TGID_Z_EN: 0
; COMPUTE_PGM_RSRC2:TIDIG_COMP_CNT: 0
; COMPUTE_PGM_RSRC3_GFX90A:ACCUM_OFFSET: 0
; COMPUTE_PGM_RSRC3_GFX90A:TG_SPLIT: 0
	.section	.text._ZN7rocprim17ROCPRIM_400000_NS6detail17trampoline_kernelINS0_14default_configENS1_38merge_sort_block_merge_config_selectorIdNS0_10empty_typeEEEZZNS1_27merge_sort_block_merge_implIS3_PdPS5_jNS1_19radix_merge_compareILb0ELb0EdNS0_19identity_decomposerEEEEE10hipError_tT0_T1_T2_jT3_P12ihipStream_tbPNSt15iterator_traitsISE_E10value_typeEPNSK_ISF_E10value_typeEPSG_NS1_7vsmem_tEENKUlT_SE_SF_SG_E_clIS8_S8_S9_S9_EESD_ST_SE_SF_SG_EUlST_E0_NS1_11comp_targetILNS1_3genE8ELNS1_11target_archE1030ELNS1_3gpuE2ELNS1_3repE0EEENS1_38merge_mergepath_config_static_selectorELNS0_4arch9wavefront6targetE1EEEvSF_,"axG",@progbits,_ZN7rocprim17ROCPRIM_400000_NS6detail17trampoline_kernelINS0_14default_configENS1_38merge_sort_block_merge_config_selectorIdNS0_10empty_typeEEEZZNS1_27merge_sort_block_merge_implIS3_PdPS5_jNS1_19radix_merge_compareILb0ELb0EdNS0_19identity_decomposerEEEEE10hipError_tT0_T1_T2_jT3_P12ihipStream_tbPNSt15iterator_traitsISE_E10value_typeEPNSK_ISF_E10value_typeEPSG_NS1_7vsmem_tEENKUlT_SE_SF_SG_E_clIS8_S8_S9_S9_EESD_ST_SE_SF_SG_EUlST_E0_NS1_11comp_targetILNS1_3genE8ELNS1_11target_archE1030ELNS1_3gpuE2ELNS1_3repE0EEENS1_38merge_mergepath_config_static_selectorELNS0_4arch9wavefront6targetE1EEEvSF_,comdat
	.protected	_ZN7rocprim17ROCPRIM_400000_NS6detail17trampoline_kernelINS0_14default_configENS1_38merge_sort_block_merge_config_selectorIdNS0_10empty_typeEEEZZNS1_27merge_sort_block_merge_implIS3_PdPS5_jNS1_19radix_merge_compareILb0ELb0EdNS0_19identity_decomposerEEEEE10hipError_tT0_T1_T2_jT3_P12ihipStream_tbPNSt15iterator_traitsISE_E10value_typeEPNSK_ISF_E10value_typeEPSG_NS1_7vsmem_tEENKUlT_SE_SF_SG_E_clIS8_S8_S9_S9_EESD_ST_SE_SF_SG_EUlST_E0_NS1_11comp_targetILNS1_3genE8ELNS1_11target_archE1030ELNS1_3gpuE2ELNS1_3repE0EEENS1_38merge_mergepath_config_static_selectorELNS0_4arch9wavefront6targetE1EEEvSF_ ; -- Begin function _ZN7rocprim17ROCPRIM_400000_NS6detail17trampoline_kernelINS0_14default_configENS1_38merge_sort_block_merge_config_selectorIdNS0_10empty_typeEEEZZNS1_27merge_sort_block_merge_implIS3_PdPS5_jNS1_19radix_merge_compareILb0ELb0EdNS0_19identity_decomposerEEEEE10hipError_tT0_T1_T2_jT3_P12ihipStream_tbPNSt15iterator_traitsISE_E10value_typeEPNSK_ISF_E10value_typeEPSG_NS1_7vsmem_tEENKUlT_SE_SF_SG_E_clIS8_S8_S9_S9_EESD_ST_SE_SF_SG_EUlST_E0_NS1_11comp_targetILNS1_3genE8ELNS1_11target_archE1030ELNS1_3gpuE2ELNS1_3repE0EEENS1_38merge_mergepath_config_static_selectorELNS0_4arch9wavefront6targetE1EEEvSF_
	.globl	_ZN7rocprim17ROCPRIM_400000_NS6detail17trampoline_kernelINS0_14default_configENS1_38merge_sort_block_merge_config_selectorIdNS0_10empty_typeEEEZZNS1_27merge_sort_block_merge_implIS3_PdPS5_jNS1_19radix_merge_compareILb0ELb0EdNS0_19identity_decomposerEEEEE10hipError_tT0_T1_T2_jT3_P12ihipStream_tbPNSt15iterator_traitsISE_E10value_typeEPNSK_ISF_E10value_typeEPSG_NS1_7vsmem_tEENKUlT_SE_SF_SG_E_clIS8_S8_S9_S9_EESD_ST_SE_SF_SG_EUlST_E0_NS1_11comp_targetILNS1_3genE8ELNS1_11target_archE1030ELNS1_3gpuE2ELNS1_3repE0EEENS1_38merge_mergepath_config_static_selectorELNS0_4arch9wavefront6targetE1EEEvSF_
	.p2align	8
	.type	_ZN7rocprim17ROCPRIM_400000_NS6detail17trampoline_kernelINS0_14default_configENS1_38merge_sort_block_merge_config_selectorIdNS0_10empty_typeEEEZZNS1_27merge_sort_block_merge_implIS3_PdPS5_jNS1_19radix_merge_compareILb0ELb0EdNS0_19identity_decomposerEEEEE10hipError_tT0_T1_T2_jT3_P12ihipStream_tbPNSt15iterator_traitsISE_E10value_typeEPNSK_ISF_E10value_typeEPSG_NS1_7vsmem_tEENKUlT_SE_SF_SG_E_clIS8_S8_S9_S9_EESD_ST_SE_SF_SG_EUlST_E0_NS1_11comp_targetILNS1_3genE8ELNS1_11target_archE1030ELNS1_3gpuE2ELNS1_3repE0EEENS1_38merge_mergepath_config_static_selectorELNS0_4arch9wavefront6targetE1EEEvSF_,@function
_ZN7rocprim17ROCPRIM_400000_NS6detail17trampoline_kernelINS0_14default_configENS1_38merge_sort_block_merge_config_selectorIdNS0_10empty_typeEEEZZNS1_27merge_sort_block_merge_implIS3_PdPS5_jNS1_19radix_merge_compareILb0ELb0EdNS0_19identity_decomposerEEEEE10hipError_tT0_T1_T2_jT3_P12ihipStream_tbPNSt15iterator_traitsISE_E10value_typeEPNSK_ISF_E10value_typeEPSG_NS1_7vsmem_tEENKUlT_SE_SF_SG_E_clIS8_S8_S9_S9_EESD_ST_SE_SF_SG_EUlST_E0_NS1_11comp_targetILNS1_3genE8ELNS1_11target_archE1030ELNS1_3gpuE2ELNS1_3repE0EEENS1_38merge_mergepath_config_static_selectorELNS0_4arch9wavefront6targetE1EEEvSF_: ; @_ZN7rocprim17ROCPRIM_400000_NS6detail17trampoline_kernelINS0_14default_configENS1_38merge_sort_block_merge_config_selectorIdNS0_10empty_typeEEEZZNS1_27merge_sort_block_merge_implIS3_PdPS5_jNS1_19radix_merge_compareILb0ELb0EdNS0_19identity_decomposerEEEEE10hipError_tT0_T1_T2_jT3_P12ihipStream_tbPNSt15iterator_traitsISE_E10value_typeEPNSK_ISF_E10value_typeEPSG_NS1_7vsmem_tEENKUlT_SE_SF_SG_E_clIS8_S8_S9_S9_EESD_ST_SE_SF_SG_EUlST_E0_NS1_11comp_targetILNS1_3genE8ELNS1_11target_archE1030ELNS1_3gpuE2ELNS1_3repE0EEENS1_38merge_mergepath_config_static_selectorELNS0_4arch9wavefront6targetE1EEEvSF_
; %bb.0:
	.section	.rodata,"a",@progbits
	.p2align	6, 0x0
	.amdhsa_kernel _ZN7rocprim17ROCPRIM_400000_NS6detail17trampoline_kernelINS0_14default_configENS1_38merge_sort_block_merge_config_selectorIdNS0_10empty_typeEEEZZNS1_27merge_sort_block_merge_implIS3_PdPS5_jNS1_19radix_merge_compareILb0ELb0EdNS0_19identity_decomposerEEEEE10hipError_tT0_T1_T2_jT3_P12ihipStream_tbPNSt15iterator_traitsISE_E10value_typeEPNSK_ISF_E10value_typeEPSG_NS1_7vsmem_tEENKUlT_SE_SF_SG_E_clIS8_S8_S9_S9_EESD_ST_SE_SF_SG_EUlST_E0_NS1_11comp_targetILNS1_3genE8ELNS1_11target_archE1030ELNS1_3gpuE2ELNS1_3repE0EEENS1_38merge_mergepath_config_static_selectorELNS0_4arch9wavefront6targetE1EEEvSF_
		.amdhsa_group_segment_fixed_size 0
		.amdhsa_private_segment_fixed_size 0
		.amdhsa_kernarg_size 64
		.amdhsa_user_sgpr_count 6
		.amdhsa_user_sgpr_private_segment_buffer 1
		.amdhsa_user_sgpr_dispatch_ptr 0
		.amdhsa_user_sgpr_queue_ptr 0
		.amdhsa_user_sgpr_kernarg_segment_ptr 1
		.amdhsa_user_sgpr_dispatch_id 0
		.amdhsa_user_sgpr_flat_scratch_init 0
		.amdhsa_user_sgpr_kernarg_preload_length 0
		.amdhsa_user_sgpr_kernarg_preload_offset 0
		.amdhsa_user_sgpr_private_segment_size 0
		.amdhsa_uses_dynamic_stack 0
		.amdhsa_system_sgpr_private_segment_wavefront_offset 0
		.amdhsa_system_sgpr_workgroup_id_x 1
		.amdhsa_system_sgpr_workgroup_id_y 0
		.amdhsa_system_sgpr_workgroup_id_z 0
		.amdhsa_system_sgpr_workgroup_info 0
		.amdhsa_system_vgpr_workitem_id 0
		.amdhsa_next_free_vgpr 1
		.amdhsa_next_free_sgpr 0
		.amdhsa_accum_offset 4
		.amdhsa_reserve_vcc 0
		.amdhsa_reserve_flat_scratch 0
		.amdhsa_float_round_mode_32 0
		.amdhsa_float_round_mode_16_64 0
		.amdhsa_float_denorm_mode_32 3
		.amdhsa_float_denorm_mode_16_64 3
		.amdhsa_dx10_clamp 1
		.amdhsa_ieee_mode 1
		.amdhsa_fp16_overflow 0
		.amdhsa_tg_split 0
		.amdhsa_exception_fp_ieee_invalid_op 0
		.amdhsa_exception_fp_denorm_src 0
		.amdhsa_exception_fp_ieee_div_zero 0
		.amdhsa_exception_fp_ieee_overflow 0
		.amdhsa_exception_fp_ieee_underflow 0
		.amdhsa_exception_fp_ieee_inexact 0
		.amdhsa_exception_int_div_zero 0
	.end_amdhsa_kernel
	.section	.text._ZN7rocprim17ROCPRIM_400000_NS6detail17trampoline_kernelINS0_14default_configENS1_38merge_sort_block_merge_config_selectorIdNS0_10empty_typeEEEZZNS1_27merge_sort_block_merge_implIS3_PdPS5_jNS1_19radix_merge_compareILb0ELb0EdNS0_19identity_decomposerEEEEE10hipError_tT0_T1_T2_jT3_P12ihipStream_tbPNSt15iterator_traitsISE_E10value_typeEPNSK_ISF_E10value_typeEPSG_NS1_7vsmem_tEENKUlT_SE_SF_SG_E_clIS8_S8_S9_S9_EESD_ST_SE_SF_SG_EUlST_E0_NS1_11comp_targetILNS1_3genE8ELNS1_11target_archE1030ELNS1_3gpuE2ELNS1_3repE0EEENS1_38merge_mergepath_config_static_selectorELNS0_4arch9wavefront6targetE1EEEvSF_,"axG",@progbits,_ZN7rocprim17ROCPRIM_400000_NS6detail17trampoline_kernelINS0_14default_configENS1_38merge_sort_block_merge_config_selectorIdNS0_10empty_typeEEEZZNS1_27merge_sort_block_merge_implIS3_PdPS5_jNS1_19radix_merge_compareILb0ELb0EdNS0_19identity_decomposerEEEEE10hipError_tT0_T1_T2_jT3_P12ihipStream_tbPNSt15iterator_traitsISE_E10value_typeEPNSK_ISF_E10value_typeEPSG_NS1_7vsmem_tEENKUlT_SE_SF_SG_E_clIS8_S8_S9_S9_EESD_ST_SE_SF_SG_EUlST_E0_NS1_11comp_targetILNS1_3genE8ELNS1_11target_archE1030ELNS1_3gpuE2ELNS1_3repE0EEENS1_38merge_mergepath_config_static_selectorELNS0_4arch9wavefront6targetE1EEEvSF_,comdat
.Lfunc_end1337:
	.size	_ZN7rocprim17ROCPRIM_400000_NS6detail17trampoline_kernelINS0_14default_configENS1_38merge_sort_block_merge_config_selectorIdNS0_10empty_typeEEEZZNS1_27merge_sort_block_merge_implIS3_PdPS5_jNS1_19radix_merge_compareILb0ELb0EdNS0_19identity_decomposerEEEEE10hipError_tT0_T1_T2_jT3_P12ihipStream_tbPNSt15iterator_traitsISE_E10value_typeEPNSK_ISF_E10value_typeEPSG_NS1_7vsmem_tEENKUlT_SE_SF_SG_E_clIS8_S8_S9_S9_EESD_ST_SE_SF_SG_EUlST_E0_NS1_11comp_targetILNS1_3genE8ELNS1_11target_archE1030ELNS1_3gpuE2ELNS1_3repE0EEENS1_38merge_mergepath_config_static_selectorELNS0_4arch9wavefront6targetE1EEEvSF_, .Lfunc_end1337-_ZN7rocprim17ROCPRIM_400000_NS6detail17trampoline_kernelINS0_14default_configENS1_38merge_sort_block_merge_config_selectorIdNS0_10empty_typeEEEZZNS1_27merge_sort_block_merge_implIS3_PdPS5_jNS1_19radix_merge_compareILb0ELb0EdNS0_19identity_decomposerEEEEE10hipError_tT0_T1_T2_jT3_P12ihipStream_tbPNSt15iterator_traitsISE_E10value_typeEPNSK_ISF_E10value_typeEPSG_NS1_7vsmem_tEENKUlT_SE_SF_SG_E_clIS8_S8_S9_S9_EESD_ST_SE_SF_SG_EUlST_E0_NS1_11comp_targetILNS1_3genE8ELNS1_11target_archE1030ELNS1_3gpuE2ELNS1_3repE0EEENS1_38merge_mergepath_config_static_selectorELNS0_4arch9wavefront6targetE1EEEvSF_
                                        ; -- End function
	.section	.AMDGPU.csdata,"",@progbits
; Kernel info:
; codeLenInByte = 0
; NumSgprs: 4
; NumVgprs: 0
; NumAgprs: 0
; TotalNumVgprs: 0
; ScratchSize: 0
; MemoryBound: 0
; FloatMode: 240
; IeeeMode: 1
; LDSByteSize: 0 bytes/workgroup (compile time only)
; SGPRBlocks: 0
; VGPRBlocks: 0
; NumSGPRsForWavesPerEU: 4
; NumVGPRsForWavesPerEU: 1
; AccumOffset: 4
; Occupancy: 8
; WaveLimiterHint : 0
; COMPUTE_PGM_RSRC2:SCRATCH_EN: 0
; COMPUTE_PGM_RSRC2:USER_SGPR: 6
; COMPUTE_PGM_RSRC2:TRAP_HANDLER: 0
; COMPUTE_PGM_RSRC2:TGID_X_EN: 1
; COMPUTE_PGM_RSRC2:TGID_Y_EN: 0
; COMPUTE_PGM_RSRC2:TGID_Z_EN: 0
; COMPUTE_PGM_RSRC2:TIDIG_COMP_CNT: 0
; COMPUTE_PGM_RSRC3_GFX90A:ACCUM_OFFSET: 0
; COMPUTE_PGM_RSRC3_GFX90A:TG_SPLIT: 0
	.section	.text._ZN7rocprim17ROCPRIM_400000_NS6detail17trampoline_kernelINS0_14default_configENS1_38merge_sort_block_merge_config_selectorIdNS0_10empty_typeEEEZZNS1_27merge_sort_block_merge_implIS3_PdPS5_jNS1_19radix_merge_compareILb0ELb0EdNS0_19identity_decomposerEEEEE10hipError_tT0_T1_T2_jT3_P12ihipStream_tbPNSt15iterator_traitsISE_E10value_typeEPNSK_ISF_E10value_typeEPSG_NS1_7vsmem_tEENKUlT_SE_SF_SG_E_clIS8_S8_S9_S9_EESD_ST_SE_SF_SG_EUlST_E1_NS1_11comp_targetILNS1_3genE0ELNS1_11target_archE4294967295ELNS1_3gpuE0ELNS1_3repE0EEENS1_36merge_oddeven_config_static_selectorELNS0_4arch9wavefront6targetE1EEEvSF_,"axG",@progbits,_ZN7rocprim17ROCPRIM_400000_NS6detail17trampoline_kernelINS0_14default_configENS1_38merge_sort_block_merge_config_selectorIdNS0_10empty_typeEEEZZNS1_27merge_sort_block_merge_implIS3_PdPS5_jNS1_19radix_merge_compareILb0ELb0EdNS0_19identity_decomposerEEEEE10hipError_tT0_T1_T2_jT3_P12ihipStream_tbPNSt15iterator_traitsISE_E10value_typeEPNSK_ISF_E10value_typeEPSG_NS1_7vsmem_tEENKUlT_SE_SF_SG_E_clIS8_S8_S9_S9_EESD_ST_SE_SF_SG_EUlST_E1_NS1_11comp_targetILNS1_3genE0ELNS1_11target_archE4294967295ELNS1_3gpuE0ELNS1_3repE0EEENS1_36merge_oddeven_config_static_selectorELNS0_4arch9wavefront6targetE1EEEvSF_,comdat
	.protected	_ZN7rocprim17ROCPRIM_400000_NS6detail17trampoline_kernelINS0_14default_configENS1_38merge_sort_block_merge_config_selectorIdNS0_10empty_typeEEEZZNS1_27merge_sort_block_merge_implIS3_PdPS5_jNS1_19radix_merge_compareILb0ELb0EdNS0_19identity_decomposerEEEEE10hipError_tT0_T1_T2_jT3_P12ihipStream_tbPNSt15iterator_traitsISE_E10value_typeEPNSK_ISF_E10value_typeEPSG_NS1_7vsmem_tEENKUlT_SE_SF_SG_E_clIS8_S8_S9_S9_EESD_ST_SE_SF_SG_EUlST_E1_NS1_11comp_targetILNS1_3genE0ELNS1_11target_archE4294967295ELNS1_3gpuE0ELNS1_3repE0EEENS1_36merge_oddeven_config_static_selectorELNS0_4arch9wavefront6targetE1EEEvSF_ ; -- Begin function _ZN7rocprim17ROCPRIM_400000_NS6detail17trampoline_kernelINS0_14default_configENS1_38merge_sort_block_merge_config_selectorIdNS0_10empty_typeEEEZZNS1_27merge_sort_block_merge_implIS3_PdPS5_jNS1_19radix_merge_compareILb0ELb0EdNS0_19identity_decomposerEEEEE10hipError_tT0_T1_T2_jT3_P12ihipStream_tbPNSt15iterator_traitsISE_E10value_typeEPNSK_ISF_E10value_typeEPSG_NS1_7vsmem_tEENKUlT_SE_SF_SG_E_clIS8_S8_S9_S9_EESD_ST_SE_SF_SG_EUlST_E1_NS1_11comp_targetILNS1_3genE0ELNS1_11target_archE4294967295ELNS1_3gpuE0ELNS1_3repE0EEENS1_36merge_oddeven_config_static_selectorELNS0_4arch9wavefront6targetE1EEEvSF_
	.globl	_ZN7rocprim17ROCPRIM_400000_NS6detail17trampoline_kernelINS0_14default_configENS1_38merge_sort_block_merge_config_selectorIdNS0_10empty_typeEEEZZNS1_27merge_sort_block_merge_implIS3_PdPS5_jNS1_19radix_merge_compareILb0ELb0EdNS0_19identity_decomposerEEEEE10hipError_tT0_T1_T2_jT3_P12ihipStream_tbPNSt15iterator_traitsISE_E10value_typeEPNSK_ISF_E10value_typeEPSG_NS1_7vsmem_tEENKUlT_SE_SF_SG_E_clIS8_S8_S9_S9_EESD_ST_SE_SF_SG_EUlST_E1_NS1_11comp_targetILNS1_3genE0ELNS1_11target_archE4294967295ELNS1_3gpuE0ELNS1_3repE0EEENS1_36merge_oddeven_config_static_selectorELNS0_4arch9wavefront6targetE1EEEvSF_
	.p2align	8
	.type	_ZN7rocprim17ROCPRIM_400000_NS6detail17trampoline_kernelINS0_14default_configENS1_38merge_sort_block_merge_config_selectorIdNS0_10empty_typeEEEZZNS1_27merge_sort_block_merge_implIS3_PdPS5_jNS1_19radix_merge_compareILb0ELb0EdNS0_19identity_decomposerEEEEE10hipError_tT0_T1_T2_jT3_P12ihipStream_tbPNSt15iterator_traitsISE_E10value_typeEPNSK_ISF_E10value_typeEPSG_NS1_7vsmem_tEENKUlT_SE_SF_SG_E_clIS8_S8_S9_S9_EESD_ST_SE_SF_SG_EUlST_E1_NS1_11comp_targetILNS1_3genE0ELNS1_11target_archE4294967295ELNS1_3gpuE0ELNS1_3repE0EEENS1_36merge_oddeven_config_static_selectorELNS0_4arch9wavefront6targetE1EEEvSF_,@function
_ZN7rocprim17ROCPRIM_400000_NS6detail17trampoline_kernelINS0_14default_configENS1_38merge_sort_block_merge_config_selectorIdNS0_10empty_typeEEEZZNS1_27merge_sort_block_merge_implIS3_PdPS5_jNS1_19radix_merge_compareILb0ELb0EdNS0_19identity_decomposerEEEEE10hipError_tT0_T1_T2_jT3_P12ihipStream_tbPNSt15iterator_traitsISE_E10value_typeEPNSK_ISF_E10value_typeEPSG_NS1_7vsmem_tEENKUlT_SE_SF_SG_E_clIS8_S8_S9_S9_EESD_ST_SE_SF_SG_EUlST_E1_NS1_11comp_targetILNS1_3genE0ELNS1_11target_archE4294967295ELNS1_3gpuE0ELNS1_3repE0EEENS1_36merge_oddeven_config_static_selectorELNS0_4arch9wavefront6targetE1EEEvSF_: ; @_ZN7rocprim17ROCPRIM_400000_NS6detail17trampoline_kernelINS0_14default_configENS1_38merge_sort_block_merge_config_selectorIdNS0_10empty_typeEEEZZNS1_27merge_sort_block_merge_implIS3_PdPS5_jNS1_19radix_merge_compareILb0ELb0EdNS0_19identity_decomposerEEEEE10hipError_tT0_T1_T2_jT3_P12ihipStream_tbPNSt15iterator_traitsISE_E10value_typeEPNSK_ISF_E10value_typeEPSG_NS1_7vsmem_tEENKUlT_SE_SF_SG_E_clIS8_S8_S9_S9_EESD_ST_SE_SF_SG_EUlST_E1_NS1_11comp_targetILNS1_3genE0ELNS1_11target_archE4294967295ELNS1_3gpuE0ELNS1_3repE0EEENS1_36merge_oddeven_config_static_selectorELNS0_4arch9wavefront6targetE1EEEvSF_
; %bb.0:
	.section	.rodata,"a",@progbits
	.p2align	6, 0x0
	.amdhsa_kernel _ZN7rocprim17ROCPRIM_400000_NS6detail17trampoline_kernelINS0_14default_configENS1_38merge_sort_block_merge_config_selectorIdNS0_10empty_typeEEEZZNS1_27merge_sort_block_merge_implIS3_PdPS5_jNS1_19radix_merge_compareILb0ELb0EdNS0_19identity_decomposerEEEEE10hipError_tT0_T1_T2_jT3_P12ihipStream_tbPNSt15iterator_traitsISE_E10value_typeEPNSK_ISF_E10value_typeEPSG_NS1_7vsmem_tEENKUlT_SE_SF_SG_E_clIS8_S8_S9_S9_EESD_ST_SE_SF_SG_EUlST_E1_NS1_11comp_targetILNS1_3genE0ELNS1_11target_archE4294967295ELNS1_3gpuE0ELNS1_3repE0EEENS1_36merge_oddeven_config_static_selectorELNS0_4arch9wavefront6targetE1EEEvSF_
		.amdhsa_group_segment_fixed_size 0
		.amdhsa_private_segment_fixed_size 0
		.amdhsa_kernarg_size 48
		.amdhsa_user_sgpr_count 6
		.amdhsa_user_sgpr_private_segment_buffer 1
		.amdhsa_user_sgpr_dispatch_ptr 0
		.amdhsa_user_sgpr_queue_ptr 0
		.amdhsa_user_sgpr_kernarg_segment_ptr 1
		.amdhsa_user_sgpr_dispatch_id 0
		.amdhsa_user_sgpr_flat_scratch_init 0
		.amdhsa_user_sgpr_kernarg_preload_length 0
		.amdhsa_user_sgpr_kernarg_preload_offset 0
		.amdhsa_user_sgpr_private_segment_size 0
		.amdhsa_uses_dynamic_stack 0
		.amdhsa_system_sgpr_private_segment_wavefront_offset 0
		.amdhsa_system_sgpr_workgroup_id_x 1
		.amdhsa_system_sgpr_workgroup_id_y 0
		.amdhsa_system_sgpr_workgroup_id_z 0
		.amdhsa_system_sgpr_workgroup_info 0
		.amdhsa_system_vgpr_workitem_id 0
		.amdhsa_next_free_vgpr 1
		.amdhsa_next_free_sgpr 0
		.amdhsa_accum_offset 4
		.amdhsa_reserve_vcc 0
		.amdhsa_reserve_flat_scratch 0
		.amdhsa_float_round_mode_32 0
		.amdhsa_float_round_mode_16_64 0
		.amdhsa_float_denorm_mode_32 3
		.amdhsa_float_denorm_mode_16_64 3
		.amdhsa_dx10_clamp 1
		.amdhsa_ieee_mode 1
		.amdhsa_fp16_overflow 0
		.amdhsa_tg_split 0
		.amdhsa_exception_fp_ieee_invalid_op 0
		.amdhsa_exception_fp_denorm_src 0
		.amdhsa_exception_fp_ieee_div_zero 0
		.amdhsa_exception_fp_ieee_overflow 0
		.amdhsa_exception_fp_ieee_underflow 0
		.amdhsa_exception_fp_ieee_inexact 0
		.amdhsa_exception_int_div_zero 0
	.end_amdhsa_kernel
	.section	.text._ZN7rocprim17ROCPRIM_400000_NS6detail17trampoline_kernelINS0_14default_configENS1_38merge_sort_block_merge_config_selectorIdNS0_10empty_typeEEEZZNS1_27merge_sort_block_merge_implIS3_PdPS5_jNS1_19radix_merge_compareILb0ELb0EdNS0_19identity_decomposerEEEEE10hipError_tT0_T1_T2_jT3_P12ihipStream_tbPNSt15iterator_traitsISE_E10value_typeEPNSK_ISF_E10value_typeEPSG_NS1_7vsmem_tEENKUlT_SE_SF_SG_E_clIS8_S8_S9_S9_EESD_ST_SE_SF_SG_EUlST_E1_NS1_11comp_targetILNS1_3genE0ELNS1_11target_archE4294967295ELNS1_3gpuE0ELNS1_3repE0EEENS1_36merge_oddeven_config_static_selectorELNS0_4arch9wavefront6targetE1EEEvSF_,"axG",@progbits,_ZN7rocprim17ROCPRIM_400000_NS6detail17trampoline_kernelINS0_14default_configENS1_38merge_sort_block_merge_config_selectorIdNS0_10empty_typeEEEZZNS1_27merge_sort_block_merge_implIS3_PdPS5_jNS1_19radix_merge_compareILb0ELb0EdNS0_19identity_decomposerEEEEE10hipError_tT0_T1_T2_jT3_P12ihipStream_tbPNSt15iterator_traitsISE_E10value_typeEPNSK_ISF_E10value_typeEPSG_NS1_7vsmem_tEENKUlT_SE_SF_SG_E_clIS8_S8_S9_S9_EESD_ST_SE_SF_SG_EUlST_E1_NS1_11comp_targetILNS1_3genE0ELNS1_11target_archE4294967295ELNS1_3gpuE0ELNS1_3repE0EEENS1_36merge_oddeven_config_static_selectorELNS0_4arch9wavefront6targetE1EEEvSF_,comdat
.Lfunc_end1338:
	.size	_ZN7rocprim17ROCPRIM_400000_NS6detail17trampoline_kernelINS0_14default_configENS1_38merge_sort_block_merge_config_selectorIdNS0_10empty_typeEEEZZNS1_27merge_sort_block_merge_implIS3_PdPS5_jNS1_19radix_merge_compareILb0ELb0EdNS0_19identity_decomposerEEEEE10hipError_tT0_T1_T2_jT3_P12ihipStream_tbPNSt15iterator_traitsISE_E10value_typeEPNSK_ISF_E10value_typeEPSG_NS1_7vsmem_tEENKUlT_SE_SF_SG_E_clIS8_S8_S9_S9_EESD_ST_SE_SF_SG_EUlST_E1_NS1_11comp_targetILNS1_3genE0ELNS1_11target_archE4294967295ELNS1_3gpuE0ELNS1_3repE0EEENS1_36merge_oddeven_config_static_selectorELNS0_4arch9wavefront6targetE1EEEvSF_, .Lfunc_end1338-_ZN7rocprim17ROCPRIM_400000_NS6detail17trampoline_kernelINS0_14default_configENS1_38merge_sort_block_merge_config_selectorIdNS0_10empty_typeEEEZZNS1_27merge_sort_block_merge_implIS3_PdPS5_jNS1_19radix_merge_compareILb0ELb0EdNS0_19identity_decomposerEEEEE10hipError_tT0_T1_T2_jT3_P12ihipStream_tbPNSt15iterator_traitsISE_E10value_typeEPNSK_ISF_E10value_typeEPSG_NS1_7vsmem_tEENKUlT_SE_SF_SG_E_clIS8_S8_S9_S9_EESD_ST_SE_SF_SG_EUlST_E1_NS1_11comp_targetILNS1_3genE0ELNS1_11target_archE4294967295ELNS1_3gpuE0ELNS1_3repE0EEENS1_36merge_oddeven_config_static_selectorELNS0_4arch9wavefront6targetE1EEEvSF_
                                        ; -- End function
	.section	.AMDGPU.csdata,"",@progbits
; Kernel info:
; codeLenInByte = 0
; NumSgprs: 4
; NumVgprs: 0
; NumAgprs: 0
; TotalNumVgprs: 0
; ScratchSize: 0
; MemoryBound: 0
; FloatMode: 240
; IeeeMode: 1
; LDSByteSize: 0 bytes/workgroup (compile time only)
; SGPRBlocks: 0
; VGPRBlocks: 0
; NumSGPRsForWavesPerEU: 4
; NumVGPRsForWavesPerEU: 1
; AccumOffset: 4
; Occupancy: 8
; WaveLimiterHint : 0
; COMPUTE_PGM_RSRC2:SCRATCH_EN: 0
; COMPUTE_PGM_RSRC2:USER_SGPR: 6
; COMPUTE_PGM_RSRC2:TRAP_HANDLER: 0
; COMPUTE_PGM_RSRC2:TGID_X_EN: 1
; COMPUTE_PGM_RSRC2:TGID_Y_EN: 0
; COMPUTE_PGM_RSRC2:TGID_Z_EN: 0
; COMPUTE_PGM_RSRC2:TIDIG_COMP_CNT: 0
; COMPUTE_PGM_RSRC3_GFX90A:ACCUM_OFFSET: 0
; COMPUTE_PGM_RSRC3_GFX90A:TG_SPLIT: 0
	.section	.text._ZN7rocprim17ROCPRIM_400000_NS6detail17trampoline_kernelINS0_14default_configENS1_38merge_sort_block_merge_config_selectorIdNS0_10empty_typeEEEZZNS1_27merge_sort_block_merge_implIS3_PdPS5_jNS1_19radix_merge_compareILb0ELb0EdNS0_19identity_decomposerEEEEE10hipError_tT0_T1_T2_jT3_P12ihipStream_tbPNSt15iterator_traitsISE_E10value_typeEPNSK_ISF_E10value_typeEPSG_NS1_7vsmem_tEENKUlT_SE_SF_SG_E_clIS8_S8_S9_S9_EESD_ST_SE_SF_SG_EUlST_E1_NS1_11comp_targetILNS1_3genE10ELNS1_11target_archE1201ELNS1_3gpuE5ELNS1_3repE0EEENS1_36merge_oddeven_config_static_selectorELNS0_4arch9wavefront6targetE1EEEvSF_,"axG",@progbits,_ZN7rocprim17ROCPRIM_400000_NS6detail17trampoline_kernelINS0_14default_configENS1_38merge_sort_block_merge_config_selectorIdNS0_10empty_typeEEEZZNS1_27merge_sort_block_merge_implIS3_PdPS5_jNS1_19radix_merge_compareILb0ELb0EdNS0_19identity_decomposerEEEEE10hipError_tT0_T1_T2_jT3_P12ihipStream_tbPNSt15iterator_traitsISE_E10value_typeEPNSK_ISF_E10value_typeEPSG_NS1_7vsmem_tEENKUlT_SE_SF_SG_E_clIS8_S8_S9_S9_EESD_ST_SE_SF_SG_EUlST_E1_NS1_11comp_targetILNS1_3genE10ELNS1_11target_archE1201ELNS1_3gpuE5ELNS1_3repE0EEENS1_36merge_oddeven_config_static_selectorELNS0_4arch9wavefront6targetE1EEEvSF_,comdat
	.protected	_ZN7rocprim17ROCPRIM_400000_NS6detail17trampoline_kernelINS0_14default_configENS1_38merge_sort_block_merge_config_selectorIdNS0_10empty_typeEEEZZNS1_27merge_sort_block_merge_implIS3_PdPS5_jNS1_19radix_merge_compareILb0ELb0EdNS0_19identity_decomposerEEEEE10hipError_tT0_T1_T2_jT3_P12ihipStream_tbPNSt15iterator_traitsISE_E10value_typeEPNSK_ISF_E10value_typeEPSG_NS1_7vsmem_tEENKUlT_SE_SF_SG_E_clIS8_S8_S9_S9_EESD_ST_SE_SF_SG_EUlST_E1_NS1_11comp_targetILNS1_3genE10ELNS1_11target_archE1201ELNS1_3gpuE5ELNS1_3repE0EEENS1_36merge_oddeven_config_static_selectorELNS0_4arch9wavefront6targetE1EEEvSF_ ; -- Begin function _ZN7rocprim17ROCPRIM_400000_NS6detail17trampoline_kernelINS0_14default_configENS1_38merge_sort_block_merge_config_selectorIdNS0_10empty_typeEEEZZNS1_27merge_sort_block_merge_implIS3_PdPS5_jNS1_19radix_merge_compareILb0ELb0EdNS0_19identity_decomposerEEEEE10hipError_tT0_T1_T2_jT3_P12ihipStream_tbPNSt15iterator_traitsISE_E10value_typeEPNSK_ISF_E10value_typeEPSG_NS1_7vsmem_tEENKUlT_SE_SF_SG_E_clIS8_S8_S9_S9_EESD_ST_SE_SF_SG_EUlST_E1_NS1_11comp_targetILNS1_3genE10ELNS1_11target_archE1201ELNS1_3gpuE5ELNS1_3repE0EEENS1_36merge_oddeven_config_static_selectorELNS0_4arch9wavefront6targetE1EEEvSF_
	.globl	_ZN7rocprim17ROCPRIM_400000_NS6detail17trampoline_kernelINS0_14default_configENS1_38merge_sort_block_merge_config_selectorIdNS0_10empty_typeEEEZZNS1_27merge_sort_block_merge_implIS3_PdPS5_jNS1_19radix_merge_compareILb0ELb0EdNS0_19identity_decomposerEEEEE10hipError_tT0_T1_T2_jT3_P12ihipStream_tbPNSt15iterator_traitsISE_E10value_typeEPNSK_ISF_E10value_typeEPSG_NS1_7vsmem_tEENKUlT_SE_SF_SG_E_clIS8_S8_S9_S9_EESD_ST_SE_SF_SG_EUlST_E1_NS1_11comp_targetILNS1_3genE10ELNS1_11target_archE1201ELNS1_3gpuE5ELNS1_3repE0EEENS1_36merge_oddeven_config_static_selectorELNS0_4arch9wavefront6targetE1EEEvSF_
	.p2align	8
	.type	_ZN7rocprim17ROCPRIM_400000_NS6detail17trampoline_kernelINS0_14default_configENS1_38merge_sort_block_merge_config_selectorIdNS0_10empty_typeEEEZZNS1_27merge_sort_block_merge_implIS3_PdPS5_jNS1_19radix_merge_compareILb0ELb0EdNS0_19identity_decomposerEEEEE10hipError_tT0_T1_T2_jT3_P12ihipStream_tbPNSt15iterator_traitsISE_E10value_typeEPNSK_ISF_E10value_typeEPSG_NS1_7vsmem_tEENKUlT_SE_SF_SG_E_clIS8_S8_S9_S9_EESD_ST_SE_SF_SG_EUlST_E1_NS1_11comp_targetILNS1_3genE10ELNS1_11target_archE1201ELNS1_3gpuE5ELNS1_3repE0EEENS1_36merge_oddeven_config_static_selectorELNS0_4arch9wavefront6targetE1EEEvSF_,@function
_ZN7rocprim17ROCPRIM_400000_NS6detail17trampoline_kernelINS0_14default_configENS1_38merge_sort_block_merge_config_selectorIdNS0_10empty_typeEEEZZNS1_27merge_sort_block_merge_implIS3_PdPS5_jNS1_19radix_merge_compareILb0ELb0EdNS0_19identity_decomposerEEEEE10hipError_tT0_T1_T2_jT3_P12ihipStream_tbPNSt15iterator_traitsISE_E10value_typeEPNSK_ISF_E10value_typeEPSG_NS1_7vsmem_tEENKUlT_SE_SF_SG_E_clIS8_S8_S9_S9_EESD_ST_SE_SF_SG_EUlST_E1_NS1_11comp_targetILNS1_3genE10ELNS1_11target_archE1201ELNS1_3gpuE5ELNS1_3repE0EEENS1_36merge_oddeven_config_static_selectorELNS0_4arch9wavefront6targetE1EEEvSF_: ; @_ZN7rocprim17ROCPRIM_400000_NS6detail17trampoline_kernelINS0_14default_configENS1_38merge_sort_block_merge_config_selectorIdNS0_10empty_typeEEEZZNS1_27merge_sort_block_merge_implIS3_PdPS5_jNS1_19radix_merge_compareILb0ELb0EdNS0_19identity_decomposerEEEEE10hipError_tT0_T1_T2_jT3_P12ihipStream_tbPNSt15iterator_traitsISE_E10value_typeEPNSK_ISF_E10value_typeEPSG_NS1_7vsmem_tEENKUlT_SE_SF_SG_E_clIS8_S8_S9_S9_EESD_ST_SE_SF_SG_EUlST_E1_NS1_11comp_targetILNS1_3genE10ELNS1_11target_archE1201ELNS1_3gpuE5ELNS1_3repE0EEENS1_36merge_oddeven_config_static_selectorELNS0_4arch9wavefront6targetE1EEEvSF_
; %bb.0:
	.section	.rodata,"a",@progbits
	.p2align	6, 0x0
	.amdhsa_kernel _ZN7rocprim17ROCPRIM_400000_NS6detail17trampoline_kernelINS0_14default_configENS1_38merge_sort_block_merge_config_selectorIdNS0_10empty_typeEEEZZNS1_27merge_sort_block_merge_implIS3_PdPS5_jNS1_19radix_merge_compareILb0ELb0EdNS0_19identity_decomposerEEEEE10hipError_tT0_T1_T2_jT3_P12ihipStream_tbPNSt15iterator_traitsISE_E10value_typeEPNSK_ISF_E10value_typeEPSG_NS1_7vsmem_tEENKUlT_SE_SF_SG_E_clIS8_S8_S9_S9_EESD_ST_SE_SF_SG_EUlST_E1_NS1_11comp_targetILNS1_3genE10ELNS1_11target_archE1201ELNS1_3gpuE5ELNS1_3repE0EEENS1_36merge_oddeven_config_static_selectorELNS0_4arch9wavefront6targetE1EEEvSF_
		.amdhsa_group_segment_fixed_size 0
		.amdhsa_private_segment_fixed_size 0
		.amdhsa_kernarg_size 48
		.amdhsa_user_sgpr_count 6
		.amdhsa_user_sgpr_private_segment_buffer 1
		.amdhsa_user_sgpr_dispatch_ptr 0
		.amdhsa_user_sgpr_queue_ptr 0
		.amdhsa_user_sgpr_kernarg_segment_ptr 1
		.amdhsa_user_sgpr_dispatch_id 0
		.amdhsa_user_sgpr_flat_scratch_init 0
		.amdhsa_user_sgpr_kernarg_preload_length 0
		.amdhsa_user_sgpr_kernarg_preload_offset 0
		.amdhsa_user_sgpr_private_segment_size 0
		.amdhsa_uses_dynamic_stack 0
		.amdhsa_system_sgpr_private_segment_wavefront_offset 0
		.amdhsa_system_sgpr_workgroup_id_x 1
		.amdhsa_system_sgpr_workgroup_id_y 0
		.amdhsa_system_sgpr_workgroup_id_z 0
		.amdhsa_system_sgpr_workgroup_info 0
		.amdhsa_system_vgpr_workitem_id 0
		.amdhsa_next_free_vgpr 1
		.amdhsa_next_free_sgpr 0
		.amdhsa_accum_offset 4
		.amdhsa_reserve_vcc 0
		.amdhsa_reserve_flat_scratch 0
		.amdhsa_float_round_mode_32 0
		.amdhsa_float_round_mode_16_64 0
		.amdhsa_float_denorm_mode_32 3
		.amdhsa_float_denorm_mode_16_64 3
		.amdhsa_dx10_clamp 1
		.amdhsa_ieee_mode 1
		.amdhsa_fp16_overflow 0
		.amdhsa_tg_split 0
		.amdhsa_exception_fp_ieee_invalid_op 0
		.amdhsa_exception_fp_denorm_src 0
		.amdhsa_exception_fp_ieee_div_zero 0
		.amdhsa_exception_fp_ieee_overflow 0
		.amdhsa_exception_fp_ieee_underflow 0
		.amdhsa_exception_fp_ieee_inexact 0
		.amdhsa_exception_int_div_zero 0
	.end_amdhsa_kernel
	.section	.text._ZN7rocprim17ROCPRIM_400000_NS6detail17trampoline_kernelINS0_14default_configENS1_38merge_sort_block_merge_config_selectorIdNS0_10empty_typeEEEZZNS1_27merge_sort_block_merge_implIS3_PdPS5_jNS1_19radix_merge_compareILb0ELb0EdNS0_19identity_decomposerEEEEE10hipError_tT0_T1_T2_jT3_P12ihipStream_tbPNSt15iterator_traitsISE_E10value_typeEPNSK_ISF_E10value_typeEPSG_NS1_7vsmem_tEENKUlT_SE_SF_SG_E_clIS8_S8_S9_S9_EESD_ST_SE_SF_SG_EUlST_E1_NS1_11comp_targetILNS1_3genE10ELNS1_11target_archE1201ELNS1_3gpuE5ELNS1_3repE0EEENS1_36merge_oddeven_config_static_selectorELNS0_4arch9wavefront6targetE1EEEvSF_,"axG",@progbits,_ZN7rocprim17ROCPRIM_400000_NS6detail17trampoline_kernelINS0_14default_configENS1_38merge_sort_block_merge_config_selectorIdNS0_10empty_typeEEEZZNS1_27merge_sort_block_merge_implIS3_PdPS5_jNS1_19radix_merge_compareILb0ELb0EdNS0_19identity_decomposerEEEEE10hipError_tT0_T1_T2_jT3_P12ihipStream_tbPNSt15iterator_traitsISE_E10value_typeEPNSK_ISF_E10value_typeEPSG_NS1_7vsmem_tEENKUlT_SE_SF_SG_E_clIS8_S8_S9_S9_EESD_ST_SE_SF_SG_EUlST_E1_NS1_11comp_targetILNS1_3genE10ELNS1_11target_archE1201ELNS1_3gpuE5ELNS1_3repE0EEENS1_36merge_oddeven_config_static_selectorELNS0_4arch9wavefront6targetE1EEEvSF_,comdat
.Lfunc_end1339:
	.size	_ZN7rocprim17ROCPRIM_400000_NS6detail17trampoline_kernelINS0_14default_configENS1_38merge_sort_block_merge_config_selectorIdNS0_10empty_typeEEEZZNS1_27merge_sort_block_merge_implIS3_PdPS5_jNS1_19radix_merge_compareILb0ELb0EdNS0_19identity_decomposerEEEEE10hipError_tT0_T1_T2_jT3_P12ihipStream_tbPNSt15iterator_traitsISE_E10value_typeEPNSK_ISF_E10value_typeEPSG_NS1_7vsmem_tEENKUlT_SE_SF_SG_E_clIS8_S8_S9_S9_EESD_ST_SE_SF_SG_EUlST_E1_NS1_11comp_targetILNS1_3genE10ELNS1_11target_archE1201ELNS1_3gpuE5ELNS1_3repE0EEENS1_36merge_oddeven_config_static_selectorELNS0_4arch9wavefront6targetE1EEEvSF_, .Lfunc_end1339-_ZN7rocprim17ROCPRIM_400000_NS6detail17trampoline_kernelINS0_14default_configENS1_38merge_sort_block_merge_config_selectorIdNS0_10empty_typeEEEZZNS1_27merge_sort_block_merge_implIS3_PdPS5_jNS1_19radix_merge_compareILb0ELb0EdNS0_19identity_decomposerEEEEE10hipError_tT0_T1_T2_jT3_P12ihipStream_tbPNSt15iterator_traitsISE_E10value_typeEPNSK_ISF_E10value_typeEPSG_NS1_7vsmem_tEENKUlT_SE_SF_SG_E_clIS8_S8_S9_S9_EESD_ST_SE_SF_SG_EUlST_E1_NS1_11comp_targetILNS1_3genE10ELNS1_11target_archE1201ELNS1_3gpuE5ELNS1_3repE0EEENS1_36merge_oddeven_config_static_selectorELNS0_4arch9wavefront6targetE1EEEvSF_
                                        ; -- End function
	.section	.AMDGPU.csdata,"",@progbits
; Kernel info:
; codeLenInByte = 0
; NumSgprs: 4
; NumVgprs: 0
; NumAgprs: 0
; TotalNumVgprs: 0
; ScratchSize: 0
; MemoryBound: 0
; FloatMode: 240
; IeeeMode: 1
; LDSByteSize: 0 bytes/workgroup (compile time only)
; SGPRBlocks: 0
; VGPRBlocks: 0
; NumSGPRsForWavesPerEU: 4
; NumVGPRsForWavesPerEU: 1
; AccumOffset: 4
; Occupancy: 8
; WaveLimiterHint : 0
; COMPUTE_PGM_RSRC2:SCRATCH_EN: 0
; COMPUTE_PGM_RSRC2:USER_SGPR: 6
; COMPUTE_PGM_RSRC2:TRAP_HANDLER: 0
; COMPUTE_PGM_RSRC2:TGID_X_EN: 1
; COMPUTE_PGM_RSRC2:TGID_Y_EN: 0
; COMPUTE_PGM_RSRC2:TGID_Z_EN: 0
; COMPUTE_PGM_RSRC2:TIDIG_COMP_CNT: 0
; COMPUTE_PGM_RSRC3_GFX90A:ACCUM_OFFSET: 0
; COMPUTE_PGM_RSRC3_GFX90A:TG_SPLIT: 0
	.section	.text._ZN7rocprim17ROCPRIM_400000_NS6detail17trampoline_kernelINS0_14default_configENS1_38merge_sort_block_merge_config_selectorIdNS0_10empty_typeEEEZZNS1_27merge_sort_block_merge_implIS3_PdPS5_jNS1_19radix_merge_compareILb0ELb0EdNS0_19identity_decomposerEEEEE10hipError_tT0_T1_T2_jT3_P12ihipStream_tbPNSt15iterator_traitsISE_E10value_typeEPNSK_ISF_E10value_typeEPSG_NS1_7vsmem_tEENKUlT_SE_SF_SG_E_clIS8_S8_S9_S9_EESD_ST_SE_SF_SG_EUlST_E1_NS1_11comp_targetILNS1_3genE5ELNS1_11target_archE942ELNS1_3gpuE9ELNS1_3repE0EEENS1_36merge_oddeven_config_static_selectorELNS0_4arch9wavefront6targetE1EEEvSF_,"axG",@progbits,_ZN7rocprim17ROCPRIM_400000_NS6detail17trampoline_kernelINS0_14default_configENS1_38merge_sort_block_merge_config_selectorIdNS0_10empty_typeEEEZZNS1_27merge_sort_block_merge_implIS3_PdPS5_jNS1_19radix_merge_compareILb0ELb0EdNS0_19identity_decomposerEEEEE10hipError_tT0_T1_T2_jT3_P12ihipStream_tbPNSt15iterator_traitsISE_E10value_typeEPNSK_ISF_E10value_typeEPSG_NS1_7vsmem_tEENKUlT_SE_SF_SG_E_clIS8_S8_S9_S9_EESD_ST_SE_SF_SG_EUlST_E1_NS1_11comp_targetILNS1_3genE5ELNS1_11target_archE942ELNS1_3gpuE9ELNS1_3repE0EEENS1_36merge_oddeven_config_static_selectorELNS0_4arch9wavefront6targetE1EEEvSF_,comdat
	.protected	_ZN7rocprim17ROCPRIM_400000_NS6detail17trampoline_kernelINS0_14default_configENS1_38merge_sort_block_merge_config_selectorIdNS0_10empty_typeEEEZZNS1_27merge_sort_block_merge_implIS3_PdPS5_jNS1_19radix_merge_compareILb0ELb0EdNS0_19identity_decomposerEEEEE10hipError_tT0_T1_T2_jT3_P12ihipStream_tbPNSt15iterator_traitsISE_E10value_typeEPNSK_ISF_E10value_typeEPSG_NS1_7vsmem_tEENKUlT_SE_SF_SG_E_clIS8_S8_S9_S9_EESD_ST_SE_SF_SG_EUlST_E1_NS1_11comp_targetILNS1_3genE5ELNS1_11target_archE942ELNS1_3gpuE9ELNS1_3repE0EEENS1_36merge_oddeven_config_static_selectorELNS0_4arch9wavefront6targetE1EEEvSF_ ; -- Begin function _ZN7rocprim17ROCPRIM_400000_NS6detail17trampoline_kernelINS0_14default_configENS1_38merge_sort_block_merge_config_selectorIdNS0_10empty_typeEEEZZNS1_27merge_sort_block_merge_implIS3_PdPS5_jNS1_19radix_merge_compareILb0ELb0EdNS0_19identity_decomposerEEEEE10hipError_tT0_T1_T2_jT3_P12ihipStream_tbPNSt15iterator_traitsISE_E10value_typeEPNSK_ISF_E10value_typeEPSG_NS1_7vsmem_tEENKUlT_SE_SF_SG_E_clIS8_S8_S9_S9_EESD_ST_SE_SF_SG_EUlST_E1_NS1_11comp_targetILNS1_3genE5ELNS1_11target_archE942ELNS1_3gpuE9ELNS1_3repE0EEENS1_36merge_oddeven_config_static_selectorELNS0_4arch9wavefront6targetE1EEEvSF_
	.globl	_ZN7rocprim17ROCPRIM_400000_NS6detail17trampoline_kernelINS0_14default_configENS1_38merge_sort_block_merge_config_selectorIdNS0_10empty_typeEEEZZNS1_27merge_sort_block_merge_implIS3_PdPS5_jNS1_19radix_merge_compareILb0ELb0EdNS0_19identity_decomposerEEEEE10hipError_tT0_T1_T2_jT3_P12ihipStream_tbPNSt15iterator_traitsISE_E10value_typeEPNSK_ISF_E10value_typeEPSG_NS1_7vsmem_tEENKUlT_SE_SF_SG_E_clIS8_S8_S9_S9_EESD_ST_SE_SF_SG_EUlST_E1_NS1_11comp_targetILNS1_3genE5ELNS1_11target_archE942ELNS1_3gpuE9ELNS1_3repE0EEENS1_36merge_oddeven_config_static_selectorELNS0_4arch9wavefront6targetE1EEEvSF_
	.p2align	8
	.type	_ZN7rocprim17ROCPRIM_400000_NS6detail17trampoline_kernelINS0_14default_configENS1_38merge_sort_block_merge_config_selectorIdNS0_10empty_typeEEEZZNS1_27merge_sort_block_merge_implIS3_PdPS5_jNS1_19radix_merge_compareILb0ELb0EdNS0_19identity_decomposerEEEEE10hipError_tT0_T1_T2_jT3_P12ihipStream_tbPNSt15iterator_traitsISE_E10value_typeEPNSK_ISF_E10value_typeEPSG_NS1_7vsmem_tEENKUlT_SE_SF_SG_E_clIS8_S8_S9_S9_EESD_ST_SE_SF_SG_EUlST_E1_NS1_11comp_targetILNS1_3genE5ELNS1_11target_archE942ELNS1_3gpuE9ELNS1_3repE0EEENS1_36merge_oddeven_config_static_selectorELNS0_4arch9wavefront6targetE1EEEvSF_,@function
_ZN7rocprim17ROCPRIM_400000_NS6detail17trampoline_kernelINS0_14default_configENS1_38merge_sort_block_merge_config_selectorIdNS0_10empty_typeEEEZZNS1_27merge_sort_block_merge_implIS3_PdPS5_jNS1_19radix_merge_compareILb0ELb0EdNS0_19identity_decomposerEEEEE10hipError_tT0_T1_T2_jT3_P12ihipStream_tbPNSt15iterator_traitsISE_E10value_typeEPNSK_ISF_E10value_typeEPSG_NS1_7vsmem_tEENKUlT_SE_SF_SG_E_clIS8_S8_S9_S9_EESD_ST_SE_SF_SG_EUlST_E1_NS1_11comp_targetILNS1_3genE5ELNS1_11target_archE942ELNS1_3gpuE9ELNS1_3repE0EEENS1_36merge_oddeven_config_static_selectorELNS0_4arch9wavefront6targetE1EEEvSF_: ; @_ZN7rocprim17ROCPRIM_400000_NS6detail17trampoline_kernelINS0_14default_configENS1_38merge_sort_block_merge_config_selectorIdNS0_10empty_typeEEEZZNS1_27merge_sort_block_merge_implIS3_PdPS5_jNS1_19radix_merge_compareILb0ELb0EdNS0_19identity_decomposerEEEEE10hipError_tT0_T1_T2_jT3_P12ihipStream_tbPNSt15iterator_traitsISE_E10value_typeEPNSK_ISF_E10value_typeEPSG_NS1_7vsmem_tEENKUlT_SE_SF_SG_E_clIS8_S8_S9_S9_EESD_ST_SE_SF_SG_EUlST_E1_NS1_11comp_targetILNS1_3genE5ELNS1_11target_archE942ELNS1_3gpuE9ELNS1_3repE0EEENS1_36merge_oddeven_config_static_selectorELNS0_4arch9wavefront6targetE1EEEvSF_
; %bb.0:
	.section	.rodata,"a",@progbits
	.p2align	6, 0x0
	.amdhsa_kernel _ZN7rocprim17ROCPRIM_400000_NS6detail17trampoline_kernelINS0_14default_configENS1_38merge_sort_block_merge_config_selectorIdNS0_10empty_typeEEEZZNS1_27merge_sort_block_merge_implIS3_PdPS5_jNS1_19radix_merge_compareILb0ELb0EdNS0_19identity_decomposerEEEEE10hipError_tT0_T1_T2_jT3_P12ihipStream_tbPNSt15iterator_traitsISE_E10value_typeEPNSK_ISF_E10value_typeEPSG_NS1_7vsmem_tEENKUlT_SE_SF_SG_E_clIS8_S8_S9_S9_EESD_ST_SE_SF_SG_EUlST_E1_NS1_11comp_targetILNS1_3genE5ELNS1_11target_archE942ELNS1_3gpuE9ELNS1_3repE0EEENS1_36merge_oddeven_config_static_selectorELNS0_4arch9wavefront6targetE1EEEvSF_
		.amdhsa_group_segment_fixed_size 0
		.amdhsa_private_segment_fixed_size 0
		.amdhsa_kernarg_size 48
		.amdhsa_user_sgpr_count 6
		.amdhsa_user_sgpr_private_segment_buffer 1
		.amdhsa_user_sgpr_dispatch_ptr 0
		.amdhsa_user_sgpr_queue_ptr 0
		.amdhsa_user_sgpr_kernarg_segment_ptr 1
		.amdhsa_user_sgpr_dispatch_id 0
		.amdhsa_user_sgpr_flat_scratch_init 0
		.amdhsa_user_sgpr_kernarg_preload_length 0
		.amdhsa_user_sgpr_kernarg_preload_offset 0
		.amdhsa_user_sgpr_private_segment_size 0
		.amdhsa_uses_dynamic_stack 0
		.amdhsa_system_sgpr_private_segment_wavefront_offset 0
		.amdhsa_system_sgpr_workgroup_id_x 1
		.amdhsa_system_sgpr_workgroup_id_y 0
		.amdhsa_system_sgpr_workgroup_id_z 0
		.amdhsa_system_sgpr_workgroup_info 0
		.amdhsa_system_vgpr_workitem_id 0
		.amdhsa_next_free_vgpr 1
		.amdhsa_next_free_sgpr 0
		.amdhsa_accum_offset 4
		.amdhsa_reserve_vcc 0
		.amdhsa_reserve_flat_scratch 0
		.amdhsa_float_round_mode_32 0
		.amdhsa_float_round_mode_16_64 0
		.amdhsa_float_denorm_mode_32 3
		.amdhsa_float_denorm_mode_16_64 3
		.amdhsa_dx10_clamp 1
		.amdhsa_ieee_mode 1
		.amdhsa_fp16_overflow 0
		.amdhsa_tg_split 0
		.amdhsa_exception_fp_ieee_invalid_op 0
		.amdhsa_exception_fp_denorm_src 0
		.amdhsa_exception_fp_ieee_div_zero 0
		.amdhsa_exception_fp_ieee_overflow 0
		.amdhsa_exception_fp_ieee_underflow 0
		.amdhsa_exception_fp_ieee_inexact 0
		.amdhsa_exception_int_div_zero 0
	.end_amdhsa_kernel
	.section	.text._ZN7rocprim17ROCPRIM_400000_NS6detail17trampoline_kernelINS0_14default_configENS1_38merge_sort_block_merge_config_selectorIdNS0_10empty_typeEEEZZNS1_27merge_sort_block_merge_implIS3_PdPS5_jNS1_19radix_merge_compareILb0ELb0EdNS0_19identity_decomposerEEEEE10hipError_tT0_T1_T2_jT3_P12ihipStream_tbPNSt15iterator_traitsISE_E10value_typeEPNSK_ISF_E10value_typeEPSG_NS1_7vsmem_tEENKUlT_SE_SF_SG_E_clIS8_S8_S9_S9_EESD_ST_SE_SF_SG_EUlST_E1_NS1_11comp_targetILNS1_3genE5ELNS1_11target_archE942ELNS1_3gpuE9ELNS1_3repE0EEENS1_36merge_oddeven_config_static_selectorELNS0_4arch9wavefront6targetE1EEEvSF_,"axG",@progbits,_ZN7rocprim17ROCPRIM_400000_NS6detail17trampoline_kernelINS0_14default_configENS1_38merge_sort_block_merge_config_selectorIdNS0_10empty_typeEEEZZNS1_27merge_sort_block_merge_implIS3_PdPS5_jNS1_19radix_merge_compareILb0ELb0EdNS0_19identity_decomposerEEEEE10hipError_tT0_T1_T2_jT3_P12ihipStream_tbPNSt15iterator_traitsISE_E10value_typeEPNSK_ISF_E10value_typeEPSG_NS1_7vsmem_tEENKUlT_SE_SF_SG_E_clIS8_S8_S9_S9_EESD_ST_SE_SF_SG_EUlST_E1_NS1_11comp_targetILNS1_3genE5ELNS1_11target_archE942ELNS1_3gpuE9ELNS1_3repE0EEENS1_36merge_oddeven_config_static_selectorELNS0_4arch9wavefront6targetE1EEEvSF_,comdat
.Lfunc_end1340:
	.size	_ZN7rocprim17ROCPRIM_400000_NS6detail17trampoline_kernelINS0_14default_configENS1_38merge_sort_block_merge_config_selectorIdNS0_10empty_typeEEEZZNS1_27merge_sort_block_merge_implIS3_PdPS5_jNS1_19radix_merge_compareILb0ELb0EdNS0_19identity_decomposerEEEEE10hipError_tT0_T1_T2_jT3_P12ihipStream_tbPNSt15iterator_traitsISE_E10value_typeEPNSK_ISF_E10value_typeEPSG_NS1_7vsmem_tEENKUlT_SE_SF_SG_E_clIS8_S8_S9_S9_EESD_ST_SE_SF_SG_EUlST_E1_NS1_11comp_targetILNS1_3genE5ELNS1_11target_archE942ELNS1_3gpuE9ELNS1_3repE0EEENS1_36merge_oddeven_config_static_selectorELNS0_4arch9wavefront6targetE1EEEvSF_, .Lfunc_end1340-_ZN7rocprim17ROCPRIM_400000_NS6detail17trampoline_kernelINS0_14default_configENS1_38merge_sort_block_merge_config_selectorIdNS0_10empty_typeEEEZZNS1_27merge_sort_block_merge_implIS3_PdPS5_jNS1_19radix_merge_compareILb0ELb0EdNS0_19identity_decomposerEEEEE10hipError_tT0_T1_T2_jT3_P12ihipStream_tbPNSt15iterator_traitsISE_E10value_typeEPNSK_ISF_E10value_typeEPSG_NS1_7vsmem_tEENKUlT_SE_SF_SG_E_clIS8_S8_S9_S9_EESD_ST_SE_SF_SG_EUlST_E1_NS1_11comp_targetILNS1_3genE5ELNS1_11target_archE942ELNS1_3gpuE9ELNS1_3repE0EEENS1_36merge_oddeven_config_static_selectorELNS0_4arch9wavefront6targetE1EEEvSF_
                                        ; -- End function
	.section	.AMDGPU.csdata,"",@progbits
; Kernel info:
; codeLenInByte = 0
; NumSgprs: 4
; NumVgprs: 0
; NumAgprs: 0
; TotalNumVgprs: 0
; ScratchSize: 0
; MemoryBound: 0
; FloatMode: 240
; IeeeMode: 1
; LDSByteSize: 0 bytes/workgroup (compile time only)
; SGPRBlocks: 0
; VGPRBlocks: 0
; NumSGPRsForWavesPerEU: 4
; NumVGPRsForWavesPerEU: 1
; AccumOffset: 4
; Occupancy: 8
; WaveLimiterHint : 0
; COMPUTE_PGM_RSRC2:SCRATCH_EN: 0
; COMPUTE_PGM_RSRC2:USER_SGPR: 6
; COMPUTE_PGM_RSRC2:TRAP_HANDLER: 0
; COMPUTE_PGM_RSRC2:TGID_X_EN: 1
; COMPUTE_PGM_RSRC2:TGID_Y_EN: 0
; COMPUTE_PGM_RSRC2:TGID_Z_EN: 0
; COMPUTE_PGM_RSRC2:TIDIG_COMP_CNT: 0
; COMPUTE_PGM_RSRC3_GFX90A:ACCUM_OFFSET: 0
; COMPUTE_PGM_RSRC3_GFX90A:TG_SPLIT: 0
	.section	.text._ZN7rocprim17ROCPRIM_400000_NS6detail17trampoline_kernelINS0_14default_configENS1_38merge_sort_block_merge_config_selectorIdNS0_10empty_typeEEEZZNS1_27merge_sort_block_merge_implIS3_PdPS5_jNS1_19radix_merge_compareILb0ELb0EdNS0_19identity_decomposerEEEEE10hipError_tT0_T1_T2_jT3_P12ihipStream_tbPNSt15iterator_traitsISE_E10value_typeEPNSK_ISF_E10value_typeEPSG_NS1_7vsmem_tEENKUlT_SE_SF_SG_E_clIS8_S8_S9_S9_EESD_ST_SE_SF_SG_EUlST_E1_NS1_11comp_targetILNS1_3genE4ELNS1_11target_archE910ELNS1_3gpuE8ELNS1_3repE0EEENS1_36merge_oddeven_config_static_selectorELNS0_4arch9wavefront6targetE1EEEvSF_,"axG",@progbits,_ZN7rocprim17ROCPRIM_400000_NS6detail17trampoline_kernelINS0_14default_configENS1_38merge_sort_block_merge_config_selectorIdNS0_10empty_typeEEEZZNS1_27merge_sort_block_merge_implIS3_PdPS5_jNS1_19radix_merge_compareILb0ELb0EdNS0_19identity_decomposerEEEEE10hipError_tT0_T1_T2_jT3_P12ihipStream_tbPNSt15iterator_traitsISE_E10value_typeEPNSK_ISF_E10value_typeEPSG_NS1_7vsmem_tEENKUlT_SE_SF_SG_E_clIS8_S8_S9_S9_EESD_ST_SE_SF_SG_EUlST_E1_NS1_11comp_targetILNS1_3genE4ELNS1_11target_archE910ELNS1_3gpuE8ELNS1_3repE0EEENS1_36merge_oddeven_config_static_selectorELNS0_4arch9wavefront6targetE1EEEvSF_,comdat
	.protected	_ZN7rocprim17ROCPRIM_400000_NS6detail17trampoline_kernelINS0_14default_configENS1_38merge_sort_block_merge_config_selectorIdNS0_10empty_typeEEEZZNS1_27merge_sort_block_merge_implIS3_PdPS5_jNS1_19radix_merge_compareILb0ELb0EdNS0_19identity_decomposerEEEEE10hipError_tT0_T1_T2_jT3_P12ihipStream_tbPNSt15iterator_traitsISE_E10value_typeEPNSK_ISF_E10value_typeEPSG_NS1_7vsmem_tEENKUlT_SE_SF_SG_E_clIS8_S8_S9_S9_EESD_ST_SE_SF_SG_EUlST_E1_NS1_11comp_targetILNS1_3genE4ELNS1_11target_archE910ELNS1_3gpuE8ELNS1_3repE0EEENS1_36merge_oddeven_config_static_selectorELNS0_4arch9wavefront6targetE1EEEvSF_ ; -- Begin function _ZN7rocprim17ROCPRIM_400000_NS6detail17trampoline_kernelINS0_14default_configENS1_38merge_sort_block_merge_config_selectorIdNS0_10empty_typeEEEZZNS1_27merge_sort_block_merge_implIS3_PdPS5_jNS1_19radix_merge_compareILb0ELb0EdNS0_19identity_decomposerEEEEE10hipError_tT0_T1_T2_jT3_P12ihipStream_tbPNSt15iterator_traitsISE_E10value_typeEPNSK_ISF_E10value_typeEPSG_NS1_7vsmem_tEENKUlT_SE_SF_SG_E_clIS8_S8_S9_S9_EESD_ST_SE_SF_SG_EUlST_E1_NS1_11comp_targetILNS1_3genE4ELNS1_11target_archE910ELNS1_3gpuE8ELNS1_3repE0EEENS1_36merge_oddeven_config_static_selectorELNS0_4arch9wavefront6targetE1EEEvSF_
	.globl	_ZN7rocprim17ROCPRIM_400000_NS6detail17trampoline_kernelINS0_14default_configENS1_38merge_sort_block_merge_config_selectorIdNS0_10empty_typeEEEZZNS1_27merge_sort_block_merge_implIS3_PdPS5_jNS1_19radix_merge_compareILb0ELb0EdNS0_19identity_decomposerEEEEE10hipError_tT0_T1_T2_jT3_P12ihipStream_tbPNSt15iterator_traitsISE_E10value_typeEPNSK_ISF_E10value_typeEPSG_NS1_7vsmem_tEENKUlT_SE_SF_SG_E_clIS8_S8_S9_S9_EESD_ST_SE_SF_SG_EUlST_E1_NS1_11comp_targetILNS1_3genE4ELNS1_11target_archE910ELNS1_3gpuE8ELNS1_3repE0EEENS1_36merge_oddeven_config_static_selectorELNS0_4arch9wavefront6targetE1EEEvSF_
	.p2align	8
	.type	_ZN7rocprim17ROCPRIM_400000_NS6detail17trampoline_kernelINS0_14default_configENS1_38merge_sort_block_merge_config_selectorIdNS0_10empty_typeEEEZZNS1_27merge_sort_block_merge_implIS3_PdPS5_jNS1_19radix_merge_compareILb0ELb0EdNS0_19identity_decomposerEEEEE10hipError_tT0_T1_T2_jT3_P12ihipStream_tbPNSt15iterator_traitsISE_E10value_typeEPNSK_ISF_E10value_typeEPSG_NS1_7vsmem_tEENKUlT_SE_SF_SG_E_clIS8_S8_S9_S9_EESD_ST_SE_SF_SG_EUlST_E1_NS1_11comp_targetILNS1_3genE4ELNS1_11target_archE910ELNS1_3gpuE8ELNS1_3repE0EEENS1_36merge_oddeven_config_static_selectorELNS0_4arch9wavefront6targetE1EEEvSF_,@function
_ZN7rocprim17ROCPRIM_400000_NS6detail17trampoline_kernelINS0_14default_configENS1_38merge_sort_block_merge_config_selectorIdNS0_10empty_typeEEEZZNS1_27merge_sort_block_merge_implIS3_PdPS5_jNS1_19radix_merge_compareILb0ELb0EdNS0_19identity_decomposerEEEEE10hipError_tT0_T1_T2_jT3_P12ihipStream_tbPNSt15iterator_traitsISE_E10value_typeEPNSK_ISF_E10value_typeEPSG_NS1_7vsmem_tEENKUlT_SE_SF_SG_E_clIS8_S8_S9_S9_EESD_ST_SE_SF_SG_EUlST_E1_NS1_11comp_targetILNS1_3genE4ELNS1_11target_archE910ELNS1_3gpuE8ELNS1_3repE0EEENS1_36merge_oddeven_config_static_selectorELNS0_4arch9wavefront6targetE1EEEvSF_: ; @_ZN7rocprim17ROCPRIM_400000_NS6detail17trampoline_kernelINS0_14default_configENS1_38merge_sort_block_merge_config_selectorIdNS0_10empty_typeEEEZZNS1_27merge_sort_block_merge_implIS3_PdPS5_jNS1_19radix_merge_compareILb0ELb0EdNS0_19identity_decomposerEEEEE10hipError_tT0_T1_T2_jT3_P12ihipStream_tbPNSt15iterator_traitsISE_E10value_typeEPNSK_ISF_E10value_typeEPSG_NS1_7vsmem_tEENKUlT_SE_SF_SG_E_clIS8_S8_S9_S9_EESD_ST_SE_SF_SG_EUlST_E1_NS1_11comp_targetILNS1_3genE4ELNS1_11target_archE910ELNS1_3gpuE8ELNS1_3repE0EEENS1_36merge_oddeven_config_static_selectorELNS0_4arch9wavefront6targetE1EEEvSF_
; %bb.0:
	s_load_dword s18, s[4:5], 0x20
	s_waitcnt lgkmcnt(0)
	s_lshr_b32 s0, s18, 8
	s_cmp_lg_u32 s6, s0
	s_cselect_b64 s[14:15], -1, 0
	s_cmp_eq_u32 s6, s0
	s_cselect_b64 s[12:13], -1, 0
	s_lshl_b32 s16, s6, 8
	s_sub_i32 s0, s18, s16
	v_cmp_gt_u32_e64 s[2:3], s0, v0
	s_or_b64 s[0:1], s[14:15], s[2:3]
	s_and_saveexec_b64 s[8:9], s[0:1]
	s_cbranch_execz .LBB1341_20
; %bb.1:
	s_load_dwordx4 s[8:11], s[4:5], 0x0
	s_load_dword s19, s[4:5], 0x24
	s_mov_b32 s17, 0
	s_lshl_b64 s[0:1], s[16:17], 3
	v_lshlrev_b32_e32 v1, 3, v0
	s_waitcnt lgkmcnt(0)
	s_add_u32 s0, s8, s0
	s_addc_u32 s1, s9, s1
	global_load_dwordx2 v[2:3], v1, s[0:1]
	s_lshr_b32 s0, s19, 8
	s_sub_i32 s1, 0, s0
	s_and_b32 s1, s6, s1
	s_and_b32 s0, s1, s0
	s_lshl_b32 s20, s1, 8
	s_sub_i32 s6, 0, s19
	s_cmp_eq_u32 s0, 0
	s_cselect_b64 s[0:1], -1, 0
	s_and_b64 s[4:5], s[0:1], exec
	s_cselect_b32 s17, s19, s6
	s_add_i32 s17, s17, s20
	s_cmp_lt_u32 s17, s18
	v_add_u32_e32 v0, s16, v0
	s_cbranch_scc1 .LBB1341_3
; %bb.2:
	v_cmp_gt_u32_e32 vcc, s18, v0
	s_or_b64 s[4:5], vcc, s[14:15]
	s_and_b64 s[4:5], s[4:5], exec
	s_cbranch_execz .LBB1341_4
	s_branch .LBB1341_18
.LBB1341_3:
	s_mov_b64 s[4:5], 0
.LBB1341_4:
	s_min_u32 s14, s17, s18
	s_add_i32 s6, s14, s19
	s_min_u32 s15, s6, s18
	s_min_u32 s6, s20, s14
	s_add_i32 s20, s20, s14
	v_subrev_u32_e32 v0, s20, v0
	v_add_u32_e32 v6, s6, v0
	s_and_b64 vcc, exec, s[12:13]
	s_cbranch_vccz .LBB1341_12
; %bb.5:
                                        ; implicit-def: $vgpr0
	s_and_saveexec_b64 s[6:7], s[2:3]
	s_cbranch_execz .LBB1341_11
; %bb.6:
	s_cmp_ge_u32 s17, s15
	v_mov_b32_e32 v7, s14
	s_cbranch_scc1 .LBB1341_10
; %bb.7:
	s_waitcnt vmcnt(0)
	v_add_f64 v[0:1], v[2:3], 0
	v_ashrrev_i32_e32 v4, 31, v1
	v_or_b32_e32 v5, 0x80000000, v4
	s_mov_b64 s[2:3], 0
	v_xor_b32_e32 v1, v5, v1
	v_xor_b32_e32 v0, v4, v0
	v_mov_b32_e32 v8, s15
	v_mov_b32_e32 v7, s14
	v_mov_b32_e32 v5, 0
	v_mov_b32_e32 v9, s9
.LBB1341_8:                             ; =>This Inner Loop Header: Depth=1
	v_add_u32_e32 v4, v7, v8
	v_lshrrev_b32_e32 v4, 1, v4
	v_lshlrev_b64 v[10:11], 3, v[4:5]
	v_add_co_u32_e32 v10, vcc, s8, v10
	v_addc_co_u32_e32 v11, vcc, v9, v11, vcc
	global_load_dwordx2 v[10:11], v[10:11], off
	v_add_u32_e32 v12, 1, v4
	s_waitcnt vmcnt(0)
	v_add_f64 v[10:11], v[10:11], 0
	v_ashrrev_i32_e32 v13, 31, v11
	v_or_b32_e32 v14, 0x80000000, v13
	v_xor_b32_e32 v10, v13, v10
	v_xor_b32_e32 v11, v14, v11
	v_cmp_gt_u64_e32 vcc, v[0:1], v[10:11]
	v_cndmask_b32_e64 v13, 0, 1, vcc
	v_cmp_le_u64_e32 vcc, v[10:11], v[0:1]
	v_cndmask_b32_e64 v10, 0, 1, vcc
	v_cndmask_b32_e64 v10, v10, v13, s[0:1]
	v_and_b32_e32 v10, 1, v10
	v_cmp_eq_u32_e32 vcc, 1, v10
	v_cndmask_b32_e32 v8, v4, v8, vcc
	v_cndmask_b32_e32 v7, v7, v12, vcc
	v_cmp_ge_u32_e32 vcc, v7, v8
	s_or_b64 s[2:3], vcc, s[2:3]
	s_andn2_b64 exec, exec, s[2:3]
	s_cbranch_execnz .LBB1341_8
; %bb.9:
	s_or_b64 exec, exec, s[2:3]
.LBB1341_10:
	v_add_u32_e32 v0, v7, v6
	s_or_b64 s[4:5], s[4:5], exec
.LBB1341_11:
	s_or_b64 exec, exec, s[6:7]
	s_branch .LBB1341_18
.LBB1341_12:
                                        ; implicit-def: $vgpr0
	s_cbranch_execz .LBB1341_18
; %bb.13:
	s_cmp_ge_u32 s17, s15
	v_mov_b32_e32 v7, s14
	s_cbranch_scc1 .LBB1341_17
; %bb.14:
	s_waitcnt vmcnt(0)
	v_add_f64 v[0:1], v[2:3], 0
	v_ashrrev_i32_e32 v4, 31, v1
	v_or_b32_e32 v5, 0x80000000, v4
	s_mov_b64 s[2:3], 0
	v_xor_b32_e32 v1, v5, v1
	v_xor_b32_e32 v0, v4, v0
	v_mov_b32_e32 v8, s15
	v_mov_b32_e32 v7, s14
	;; [unrolled: 1-line block ×4, first 2 shown]
.LBB1341_15:                            ; =>This Inner Loop Header: Depth=1
	v_add_u32_e32 v4, v7, v8
	v_lshrrev_b32_e32 v4, 1, v4
	v_lshlrev_b64 v[10:11], 3, v[4:5]
	v_add_co_u32_e32 v10, vcc, s8, v10
	v_addc_co_u32_e32 v11, vcc, v9, v11, vcc
	global_load_dwordx2 v[10:11], v[10:11], off
	v_add_u32_e32 v12, 1, v4
	s_waitcnt vmcnt(0)
	v_add_f64 v[10:11], v[10:11], 0
	v_ashrrev_i32_e32 v13, 31, v11
	v_or_b32_e32 v14, 0x80000000, v13
	v_xor_b32_e32 v10, v13, v10
	v_xor_b32_e32 v11, v14, v11
	v_cmp_gt_u64_e32 vcc, v[0:1], v[10:11]
	v_cndmask_b32_e64 v13, 0, 1, vcc
	v_cmp_le_u64_e32 vcc, v[10:11], v[0:1]
	v_cndmask_b32_e64 v10, 0, 1, vcc
	v_cndmask_b32_e64 v10, v10, v13, s[0:1]
	v_and_b32_e32 v10, 1, v10
	v_cmp_eq_u32_e32 vcc, 1, v10
	v_cndmask_b32_e32 v8, v4, v8, vcc
	v_cndmask_b32_e32 v7, v7, v12, vcc
	v_cmp_ge_u32_e32 vcc, v7, v8
	s_or_b64 s[2:3], vcc, s[2:3]
	s_andn2_b64 exec, exec, s[2:3]
	s_cbranch_execnz .LBB1341_15
; %bb.16:
	s_or_b64 exec, exec, s[2:3]
.LBB1341_17:
	v_add_u32_e32 v0, v7, v6
	s_mov_b64 s[4:5], -1
.LBB1341_18:
	s_and_b64 exec, exec, s[4:5]
	s_cbranch_execz .LBB1341_20
; %bb.19:
	v_mov_b32_e32 v1, 0
	v_lshlrev_b64 v[0:1], 3, v[0:1]
	v_mov_b32_e32 v4, s11
	v_add_co_u32_e32 v0, vcc, s10, v0
	v_addc_co_u32_e32 v1, vcc, v4, v1, vcc
	s_waitcnt vmcnt(0)
	global_store_dwordx2 v[0:1], v[2:3], off
.LBB1341_20:
	s_endpgm
	.section	.rodata,"a",@progbits
	.p2align	6, 0x0
	.amdhsa_kernel _ZN7rocprim17ROCPRIM_400000_NS6detail17trampoline_kernelINS0_14default_configENS1_38merge_sort_block_merge_config_selectorIdNS0_10empty_typeEEEZZNS1_27merge_sort_block_merge_implIS3_PdPS5_jNS1_19radix_merge_compareILb0ELb0EdNS0_19identity_decomposerEEEEE10hipError_tT0_T1_T2_jT3_P12ihipStream_tbPNSt15iterator_traitsISE_E10value_typeEPNSK_ISF_E10value_typeEPSG_NS1_7vsmem_tEENKUlT_SE_SF_SG_E_clIS8_S8_S9_S9_EESD_ST_SE_SF_SG_EUlST_E1_NS1_11comp_targetILNS1_3genE4ELNS1_11target_archE910ELNS1_3gpuE8ELNS1_3repE0EEENS1_36merge_oddeven_config_static_selectorELNS0_4arch9wavefront6targetE1EEEvSF_
		.amdhsa_group_segment_fixed_size 0
		.amdhsa_private_segment_fixed_size 0
		.amdhsa_kernarg_size 48
		.amdhsa_user_sgpr_count 6
		.amdhsa_user_sgpr_private_segment_buffer 1
		.amdhsa_user_sgpr_dispatch_ptr 0
		.amdhsa_user_sgpr_queue_ptr 0
		.amdhsa_user_sgpr_kernarg_segment_ptr 1
		.amdhsa_user_sgpr_dispatch_id 0
		.amdhsa_user_sgpr_flat_scratch_init 0
		.amdhsa_user_sgpr_kernarg_preload_length 0
		.amdhsa_user_sgpr_kernarg_preload_offset 0
		.amdhsa_user_sgpr_private_segment_size 0
		.amdhsa_uses_dynamic_stack 0
		.amdhsa_system_sgpr_private_segment_wavefront_offset 0
		.amdhsa_system_sgpr_workgroup_id_x 1
		.amdhsa_system_sgpr_workgroup_id_y 0
		.amdhsa_system_sgpr_workgroup_id_z 0
		.amdhsa_system_sgpr_workgroup_info 0
		.amdhsa_system_vgpr_workitem_id 0
		.amdhsa_next_free_vgpr 15
		.amdhsa_next_free_sgpr 21
		.amdhsa_accum_offset 16
		.amdhsa_reserve_vcc 1
		.amdhsa_reserve_flat_scratch 0
		.amdhsa_float_round_mode_32 0
		.amdhsa_float_round_mode_16_64 0
		.amdhsa_float_denorm_mode_32 3
		.amdhsa_float_denorm_mode_16_64 3
		.amdhsa_dx10_clamp 1
		.amdhsa_ieee_mode 1
		.amdhsa_fp16_overflow 0
		.amdhsa_tg_split 0
		.amdhsa_exception_fp_ieee_invalid_op 0
		.amdhsa_exception_fp_denorm_src 0
		.amdhsa_exception_fp_ieee_div_zero 0
		.amdhsa_exception_fp_ieee_overflow 0
		.amdhsa_exception_fp_ieee_underflow 0
		.amdhsa_exception_fp_ieee_inexact 0
		.amdhsa_exception_int_div_zero 0
	.end_amdhsa_kernel
	.section	.text._ZN7rocprim17ROCPRIM_400000_NS6detail17trampoline_kernelINS0_14default_configENS1_38merge_sort_block_merge_config_selectorIdNS0_10empty_typeEEEZZNS1_27merge_sort_block_merge_implIS3_PdPS5_jNS1_19radix_merge_compareILb0ELb0EdNS0_19identity_decomposerEEEEE10hipError_tT0_T1_T2_jT3_P12ihipStream_tbPNSt15iterator_traitsISE_E10value_typeEPNSK_ISF_E10value_typeEPSG_NS1_7vsmem_tEENKUlT_SE_SF_SG_E_clIS8_S8_S9_S9_EESD_ST_SE_SF_SG_EUlST_E1_NS1_11comp_targetILNS1_3genE4ELNS1_11target_archE910ELNS1_3gpuE8ELNS1_3repE0EEENS1_36merge_oddeven_config_static_selectorELNS0_4arch9wavefront6targetE1EEEvSF_,"axG",@progbits,_ZN7rocprim17ROCPRIM_400000_NS6detail17trampoline_kernelINS0_14default_configENS1_38merge_sort_block_merge_config_selectorIdNS0_10empty_typeEEEZZNS1_27merge_sort_block_merge_implIS3_PdPS5_jNS1_19radix_merge_compareILb0ELb0EdNS0_19identity_decomposerEEEEE10hipError_tT0_T1_T2_jT3_P12ihipStream_tbPNSt15iterator_traitsISE_E10value_typeEPNSK_ISF_E10value_typeEPSG_NS1_7vsmem_tEENKUlT_SE_SF_SG_E_clIS8_S8_S9_S9_EESD_ST_SE_SF_SG_EUlST_E1_NS1_11comp_targetILNS1_3genE4ELNS1_11target_archE910ELNS1_3gpuE8ELNS1_3repE0EEENS1_36merge_oddeven_config_static_selectorELNS0_4arch9wavefront6targetE1EEEvSF_,comdat
.Lfunc_end1341:
	.size	_ZN7rocprim17ROCPRIM_400000_NS6detail17trampoline_kernelINS0_14default_configENS1_38merge_sort_block_merge_config_selectorIdNS0_10empty_typeEEEZZNS1_27merge_sort_block_merge_implIS3_PdPS5_jNS1_19radix_merge_compareILb0ELb0EdNS0_19identity_decomposerEEEEE10hipError_tT0_T1_T2_jT3_P12ihipStream_tbPNSt15iterator_traitsISE_E10value_typeEPNSK_ISF_E10value_typeEPSG_NS1_7vsmem_tEENKUlT_SE_SF_SG_E_clIS8_S8_S9_S9_EESD_ST_SE_SF_SG_EUlST_E1_NS1_11comp_targetILNS1_3genE4ELNS1_11target_archE910ELNS1_3gpuE8ELNS1_3repE0EEENS1_36merge_oddeven_config_static_selectorELNS0_4arch9wavefront6targetE1EEEvSF_, .Lfunc_end1341-_ZN7rocprim17ROCPRIM_400000_NS6detail17trampoline_kernelINS0_14default_configENS1_38merge_sort_block_merge_config_selectorIdNS0_10empty_typeEEEZZNS1_27merge_sort_block_merge_implIS3_PdPS5_jNS1_19radix_merge_compareILb0ELb0EdNS0_19identity_decomposerEEEEE10hipError_tT0_T1_T2_jT3_P12ihipStream_tbPNSt15iterator_traitsISE_E10value_typeEPNSK_ISF_E10value_typeEPSG_NS1_7vsmem_tEENKUlT_SE_SF_SG_E_clIS8_S8_S9_S9_EESD_ST_SE_SF_SG_EUlST_E1_NS1_11comp_targetILNS1_3genE4ELNS1_11target_archE910ELNS1_3gpuE8ELNS1_3repE0EEENS1_36merge_oddeven_config_static_selectorELNS0_4arch9wavefront6targetE1EEEvSF_
                                        ; -- End function
	.section	.AMDGPU.csdata,"",@progbits
; Kernel info:
; codeLenInByte = 708
; NumSgprs: 25
; NumVgprs: 15
; NumAgprs: 0
; TotalNumVgprs: 15
; ScratchSize: 0
; MemoryBound: 0
; FloatMode: 240
; IeeeMode: 1
; LDSByteSize: 0 bytes/workgroup (compile time only)
; SGPRBlocks: 3
; VGPRBlocks: 1
; NumSGPRsForWavesPerEU: 25
; NumVGPRsForWavesPerEU: 15
; AccumOffset: 16
; Occupancy: 8
; WaveLimiterHint : 0
; COMPUTE_PGM_RSRC2:SCRATCH_EN: 0
; COMPUTE_PGM_RSRC2:USER_SGPR: 6
; COMPUTE_PGM_RSRC2:TRAP_HANDLER: 0
; COMPUTE_PGM_RSRC2:TGID_X_EN: 1
; COMPUTE_PGM_RSRC2:TGID_Y_EN: 0
; COMPUTE_PGM_RSRC2:TGID_Z_EN: 0
; COMPUTE_PGM_RSRC2:TIDIG_COMP_CNT: 0
; COMPUTE_PGM_RSRC3_GFX90A:ACCUM_OFFSET: 3
; COMPUTE_PGM_RSRC3_GFX90A:TG_SPLIT: 0
	.section	.text._ZN7rocprim17ROCPRIM_400000_NS6detail17trampoline_kernelINS0_14default_configENS1_38merge_sort_block_merge_config_selectorIdNS0_10empty_typeEEEZZNS1_27merge_sort_block_merge_implIS3_PdPS5_jNS1_19radix_merge_compareILb0ELb0EdNS0_19identity_decomposerEEEEE10hipError_tT0_T1_T2_jT3_P12ihipStream_tbPNSt15iterator_traitsISE_E10value_typeEPNSK_ISF_E10value_typeEPSG_NS1_7vsmem_tEENKUlT_SE_SF_SG_E_clIS8_S8_S9_S9_EESD_ST_SE_SF_SG_EUlST_E1_NS1_11comp_targetILNS1_3genE3ELNS1_11target_archE908ELNS1_3gpuE7ELNS1_3repE0EEENS1_36merge_oddeven_config_static_selectorELNS0_4arch9wavefront6targetE1EEEvSF_,"axG",@progbits,_ZN7rocprim17ROCPRIM_400000_NS6detail17trampoline_kernelINS0_14default_configENS1_38merge_sort_block_merge_config_selectorIdNS0_10empty_typeEEEZZNS1_27merge_sort_block_merge_implIS3_PdPS5_jNS1_19radix_merge_compareILb0ELb0EdNS0_19identity_decomposerEEEEE10hipError_tT0_T1_T2_jT3_P12ihipStream_tbPNSt15iterator_traitsISE_E10value_typeEPNSK_ISF_E10value_typeEPSG_NS1_7vsmem_tEENKUlT_SE_SF_SG_E_clIS8_S8_S9_S9_EESD_ST_SE_SF_SG_EUlST_E1_NS1_11comp_targetILNS1_3genE3ELNS1_11target_archE908ELNS1_3gpuE7ELNS1_3repE0EEENS1_36merge_oddeven_config_static_selectorELNS0_4arch9wavefront6targetE1EEEvSF_,comdat
	.protected	_ZN7rocprim17ROCPRIM_400000_NS6detail17trampoline_kernelINS0_14default_configENS1_38merge_sort_block_merge_config_selectorIdNS0_10empty_typeEEEZZNS1_27merge_sort_block_merge_implIS3_PdPS5_jNS1_19radix_merge_compareILb0ELb0EdNS0_19identity_decomposerEEEEE10hipError_tT0_T1_T2_jT3_P12ihipStream_tbPNSt15iterator_traitsISE_E10value_typeEPNSK_ISF_E10value_typeEPSG_NS1_7vsmem_tEENKUlT_SE_SF_SG_E_clIS8_S8_S9_S9_EESD_ST_SE_SF_SG_EUlST_E1_NS1_11comp_targetILNS1_3genE3ELNS1_11target_archE908ELNS1_3gpuE7ELNS1_3repE0EEENS1_36merge_oddeven_config_static_selectorELNS0_4arch9wavefront6targetE1EEEvSF_ ; -- Begin function _ZN7rocprim17ROCPRIM_400000_NS6detail17trampoline_kernelINS0_14default_configENS1_38merge_sort_block_merge_config_selectorIdNS0_10empty_typeEEEZZNS1_27merge_sort_block_merge_implIS3_PdPS5_jNS1_19radix_merge_compareILb0ELb0EdNS0_19identity_decomposerEEEEE10hipError_tT0_T1_T2_jT3_P12ihipStream_tbPNSt15iterator_traitsISE_E10value_typeEPNSK_ISF_E10value_typeEPSG_NS1_7vsmem_tEENKUlT_SE_SF_SG_E_clIS8_S8_S9_S9_EESD_ST_SE_SF_SG_EUlST_E1_NS1_11comp_targetILNS1_3genE3ELNS1_11target_archE908ELNS1_3gpuE7ELNS1_3repE0EEENS1_36merge_oddeven_config_static_selectorELNS0_4arch9wavefront6targetE1EEEvSF_
	.globl	_ZN7rocprim17ROCPRIM_400000_NS6detail17trampoline_kernelINS0_14default_configENS1_38merge_sort_block_merge_config_selectorIdNS0_10empty_typeEEEZZNS1_27merge_sort_block_merge_implIS3_PdPS5_jNS1_19radix_merge_compareILb0ELb0EdNS0_19identity_decomposerEEEEE10hipError_tT0_T1_T2_jT3_P12ihipStream_tbPNSt15iterator_traitsISE_E10value_typeEPNSK_ISF_E10value_typeEPSG_NS1_7vsmem_tEENKUlT_SE_SF_SG_E_clIS8_S8_S9_S9_EESD_ST_SE_SF_SG_EUlST_E1_NS1_11comp_targetILNS1_3genE3ELNS1_11target_archE908ELNS1_3gpuE7ELNS1_3repE0EEENS1_36merge_oddeven_config_static_selectorELNS0_4arch9wavefront6targetE1EEEvSF_
	.p2align	8
	.type	_ZN7rocprim17ROCPRIM_400000_NS6detail17trampoline_kernelINS0_14default_configENS1_38merge_sort_block_merge_config_selectorIdNS0_10empty_typeEEEZZNS1_27merge_sort_block_merge_implIS3_PdPS5_jNS1_19radix_merge_compareILb0ELb0EdNS0_19identity_decomposerEEEEE10hipError_tT0_T1_T2_jT3_P12ihipStream_tbPNSt15iterator_traitsISE_E10value_typeEPNSK_ISF_E10value_typeEPSG_NS1_7vsmem_tEENKUlT_SE_SF_SG_E_clIS8_S8_S9_S9_EESD_ST_SE_SF_SG_EUlST_E1_NS1_11comp_targetILNS1_3genE3ELNS1_11target_archE908ELNS1_3gpuE7ELNS1_3repE0EEENS1_36merge_oddeven_config_static_selectorELNS0_4arch9wavefront6targetE1EEEvSF_,@function
_ZN7rocprim17ROCPRIM_400000_NS6detail17trampoline_kernelINS0_14default_configENS1_38merge_sort_block_merge_config_selectorIdNS0_10empty_typeEEEZZNS1_27merge_sort_block_merge_implIS3_PdPS5_jNS1_19radix_merge_compareILb0ELb0EdNS0_19identity_decomposerEEEEE10hipError_tT0_T1_T2_jT3_P12ihipStream_tbPNSt15iterator_traitsISE_E10value_typeEPNSK_ISF_E10value_typeEPSG_NS1_7vsmem_tEENKUlT_SE_SF_SG_E_clIS8_S8_S9_S9_EESD_ST_SE_SF_SG_EUlST_E1_NS1_11comp_targetILNS1_3genE3ELNS1_11target_archE908ELNS1_3gpuE7ELNS1_3repE0EEENS1_36merge_oddeven_config_static_selectorELNS0_4arch9wavefront6targetE1EEEvSF_: ; @_ZN7rocprim17ROCPRIM_400000_NS6detail17trampoline_kernelINS0_14default_configENS1_38merge_sort_block_merge_config_selectorIdNS0_10empty_typeEEEZZNS1_27merge_sort_block_merge_implIS3_PdPS5_jNS1_19radix_merge_compareILb0ELb0EdNS0_19identity_decomposerEEEEE10hipError_tT0_T1_T2_jT3_P12ihipStream_tbPNSt15iterator_traitsISE_E10value_typeEPNSK_ISF_E10value_typeEPSG_NS1_7vsmem_tEENKUlT_SE_SF_SG_E_clIS8_S8_S9_S9_EESD_ST_SE_SF_SG_EUlST_E1_NS1_11comp_targetILNS1_3genE3ELNS1_11target_archE908ELNS1_3gpuE7ELNS1_3repE0EEENS1_36merge_oddeven_config_static_selectorELNS0_4arch9wavefront6targetE1EEEvSF_
; %bb.0:
	.section	.rodata,"a",@progbits
	.p2align	6, 0x0
	.amdhsa_kernel _ZN7rocprim17ROCPRIM_400000_NS6detail17trampoline_kernelINS0_14default_configENS1_38merge_sort_block_merge_config_selectorIdNS0_10empty_typeEEEZZNS1_27merge_sort_block_merge_implIS3_PdPS5_jNS1_19radix_merge_compareILb0ELb0EdNS0_19identity_decomposerEEEEE10hipError_tT0_T1_T2_jT3_P12ihipStream_tbPNSt15iterator_traitsISE_E10value_typeEPNSK_ISF_E10value_typeEPSG_NS1_7vsmem_tEENKUlT_SE_SF_SG_E_clIS8_S8_S9_S9_EESD_ST_SE_SF_SG_EUlST_E1_NS1_11comp_targetILNS1_3genE3ELNS1_11target_archE908ELNS1_3gpuE7ELNS1_3repE0EEENS1_36merge_oddeven_config_static_selectorELNS0_4arch9wavefront6targetE1EEEvSF_
		.amdhsa_group_segment_fixed_size 0
		.amdhsa_private_segment_fixed_size 0
		.amdhsa_kernarg_size 48
		.amdhsa_user_sgpr_count 6
		.amdhsa_user_sgpr_private_segment_buffer 1
		.amdhsa_user_sgpr_dispatch_ptr 0
		.amdhsa_user_sgpr_queue_ptr 0
		.amdhsa_user_sgpr_kernarg_segment_ptr 1
		.amdhsa_user_sgpr_dispatch_id 0
		.amdhsa_user_sgpr_flat_scratch_init 0
		.amdhsa_user_sgpr_kernarg_preload_length 0
		.amdhsa_user_sgpr_kernarg_preload_offset 0
		.amdhsa_user_sgpr_private_segment_size 0
		.amdhsa_uses_dynamic_stack 0
		.amdhsa_system_sgpr_private_segment_wavefront_offset 0
		.amdhsa_system_sgpr_workgroup_id_x 1
		.amdhsa_system_sgpr_workgroup_id_y 0
		.amdhsa_system_sgpr_workgroup_id_z 0
		.amdhsa_system_sgpr_workgroup_info 0
		.amdhsa_system_vgpr_workitem_id 0
		.amdhsa_next_free_vgpr 1
		.amdhsa_next_free_sgpr 0
		.amdhsa_accum_offset 4
		.amdhsa_reserve_vcc 0
		.amdhsa_reserve_flat_scratch 0
		.amdhsa_float_round_mode_32 0
		.amdhsa_float_round_mode_16_64 0
		.amdhsa_float_denorm_mode_32 3
		.amdhsa_float_denorm_mode_16_64 3
		.amdhsa_dx10_clamp 1
		.amdhsa_ieee_mode 1
		.amdhsa_fp16_overflow 0
		.amdhsa_tg_split 0
		.amdhsa_exception_fp_ieee_invalid_op 0
		.amdhsa_exception_fp_denorm_src 0
		.amdhsa_exception_fp_ieee_div_zero 0
		.amdhsa_exception_fp_ieee_overflow 0
		.amdhsa_exception_fp_ieee_underflow 0
		.amdhsa_exception_fp_ieee_inexact 0
		.amdhsa_exception_int_div_zero 0
	.end_amdhsa_kernel
	.section	.text._ZN7rocprim17ROCPRIM_400000_NS6detail17trampoline_kernelINS0_14default_configENS1_38merge_sort_block_merge_config_selectorIdNS0_10empty_typeEEEZZNS1_27merge_sort_block_merge_implIS3_PdPS5_jNS1_19radix_merge_compareILb0ELb0EdNS0_19identity_decomposerEEEEE10hipError_tT0_T1_T2_jT3_P12ihipStream_tbPNSt15iterator_traitsISE_E10value_typeEPNSK_ISF_E10value_typeEPSG_NS1_7vsmem_tEENKUlT_SE_SF_SG_E_clIS8_S8_S9_S9_EESD_ST_SE_SF_SG_EUlST_E1_NS1_11comp_targetILNS1_3genE3ELNS1_11target_archE908ELNS1_3gpuE7ELNS1_3repE0EEENS1_36merge_oddeven_config_static_selectorELNS0_4arch9wavefront6targetE1EEEvSF_,"axG",@progbits,_ZN7rocprim17ROCPRIM_400000_NS6detail17trampoline_kernelINS0_14default_configENS1_38merge_sort_block_merge_config_selectorIdNS0_10empty_typeEEEZZNS1_27merge_sort_block_merge_implIS3_PdPS5_jNS1_19radix_merge_compareILb0ELb0EdNS0_19identity_decomposerEEEEE10hipError_tT0_T1_T2_jT3_P12ihipStream_tbPNSt15iterator_traitsISE_E10value_typeEPNSK_ISF_E10value_typeEPSG_NS1_7vsmem_tEENKUlT_SE_SF_SG_E_clIS8_S8_S9_S9_EESD_ST_SE_SF_SG_EUlST_E1_NS1_11comp_targetILNS1_3genE3ELNS1_11target_archE908ELNS1_3gpuE7ELNS1_3repE0EEENS1_36merge_oddeven_config_static_selectorELNS0_4arch9wavefront6targetE1EEEvSF_,comdat
.Lfunc_end1342:
	.size	_ZN7rocprim17ROCPRIM_400000_NS6detail17trampoline_kernelINS0_14default_configENS1_38merge_sort_block_merge_config_selectorIdNS0_10empty_typeEEEZZNS1_27merge_sort_block_merge_implIS3_PdPS5_jNS1_19radix_merge_compareILb0ELb0EdNS0_19identity_decomposerEEEEE10hipError_tT0_T1_T2_jT3_P12ihipStream_tbPNSt15iterator_traitsISE_E10value_typeEPNSK_ISF_E10value_typeEPSG_NS1_7vsmem_tEENKUlT_SE_SF_SG_E_clIS8_S8_S9_S9_EESD_ST_SE_SF_SG_EUlST_E1_NS1_11comp_targetILNS1_3genE3ELNS1_11target_archE908ELNS1_3gpuE7ELNS1_3repE0EEENS1_36merge_oddeven_config_static_selectorELNS0_4arch9wavefront6targetE1EEEvSF_, .Lfunc_end1342-_ZN7rocprim17ROCPRIM_400000_NS6detail17trampoline_kernelINS0_14default_configENS1_38merge_sort_block_merge_config_selectorIdNS0_10empty_typeEEEZZNS1_27merge_sort_block_merge_implIS3_PdPS5_jNS1_19radix_merge_compareILb0ELb0EdNS0_19identity_decomposerEEEEE10hipError_tT0_T1_T2_jT3_P12ihipStream_tbPNSt15iterator_traitsISE_E10value_typeEPNSK_ISF_E10value_typeEPSG_NS1_7vsmem_tEENKUlT_SE_SF_SG_E_clIS8_S8_S9_S9_EESD_ST_SE_SF_SG_EUlST_E1_NS1_11comp_targetILNS1_3genE3ELNS1_11target_archE908ELNS1_3gpuE7ELNS1_3repE0EEENS1_36merge_oddeven_config_static_selectorELNS0_4arch9wavefront6targetE1EEEvSF_
                                        ; -- End function
	.section	.AMDGPU.csdata,"",@progbits
; Kernel info:
; codeLenInByte = 0
; NumSgprs: 4
; NumVgprs: 0
; NumAgprs: 0
; TotalNumVgprs: 0
; ScratchSize: 0
; MemoryBound: 0
; FloatMode: 240
; IeeeMode: 1
; LDSByteSize: 0 bytes/workgroup (compile time only)
; SGPRBlocks: 0
; VGPRBlocks: 0
; NumSGPRsForWavesPerEU: 4
; NumVGPRsForWavesPerEU: 1
; AccumOffset: 4
; Occupancy: 8
; WaveLimiterHint : 0
; COMPUTE_PGM_RSRC2:SCRATCH_EN: 0
; COMPUTE_PGM_RSRC2:USER_SGPR: 6
; COMPUTE_PGM_RSRC2:TRAP_HANDLER: 0
; COMPUTE_PGM_RSRC2:TGID_X_EN: 1
; COMPUTE_PGM_RSRC2:TGID_Y_EN: 0
; COMPUTE_PGM_RSRC2:TGID_Z_EN: 0
; COMPUTE_PGM_RSRC2:TIDIG_COMP_CNT: 0
; COMPUTE_PGM_RSRC3_GFX90A:ACCUM_OFFSET: 0
; COMPUTE_PGM_RSRC3_GFX90A:TG_SPLIT: 0
	.section	.text._ZN7rocprim17ROCPRIM_400000_NS6detail17trampoline_kernelINS0_14default_configENS1_38merge_sort_block_merge_config_selectorIdNS0_10empty_typeEEEZZNS1_27merge_sort_block_merge_implIS3_PdPS5_jNS1_19radix_merge_compareILb0ELb0EdNS0_19identity_decomposerEEEEE10hipError_tT0_T1_T2_jT3_P12ihipStream_tbPNSt15iterator_traitsISE_E10value_typeEPNSK_ISF_E10value_typeEPSG_NS1_7vsmem_tEENKUlT_SE_SF_SG_E_clIS8_S8_S9_S9_EESD_ST_SE_SF_SG_EUlST_E1_NS1_11comp_targetILNS1_3genE2ELNS1_11target_archE906ELNS1_3gpuE6ELNS1_3repE0EEENS1_36merge_oddeven_config_static_selectorELNS0_4arch9wavefront6targetE1EEEvSF_,"axG",@progbits,_ZN7rocprim17ROCPRIM_400000_NS6detail17trampoline_kernelINS0_14default_configENS1_38merge_sort_block_merge_config_selectorIdNS0_10empty_typeEEEZZNS1_27merge_sort_block_merge_implIS3_PdPS5_jNS1_19radix_merge_compareILb0ELb0EdNS0_19identity_decomposerEEEEE10hipError_tT0_T1_T2_jT3_P12ihipStream_tbPNSt15iterator_traitsISE_E10value_typeEPNSK_ISF_E10value_typeEPSG_NS1_7vsmem_tEENKUlT_SE_SF_SG_E_clIS8_S8_S9_S9_EESD_ST_SE_SF_SG_EUlST_E1_NS1_11comp_targetILNS1_3genE2ELNS1_11target_archE906ELNS1_3gpuE6ELNS1_3repE0EEENS1_36merge_oddeven_config_static_selectorELNS0_4arch9wavefront6targetE1EEEvSF_,comdat
	.protected	_ZN7rocprim17ROCPRIM_400000_NS6detail17trampoline_kernelINS0_14default_configENS1_38merge_sort_block_merge_config_selectorIdNS0_10empty_typeEEEZZNS1_27merge_sort_block_merge_implIS3_PdPS5_jNS1_19radix_merge_compareILb0ELb0EdNS0_19identity_decomposerEEEEE10hipError_tT0_T1_T2_jT3_P12ihipStream_tbPNSt15iterator_traitsISE_E10value_typeEPNSK_ISF_E10value_typeEPSG_NS1_7vsmem_tEENKUlT_SE_SF_SG_E_clIS8_S8_S9_S9_EESD_ST_SE_SF_SG_EUlST_E1_NS1_11comp_targetILNS1_3genE2ELNS1_11target_archE906ELNS1_3gpuE6ELNS1_3repE0EEENS1_36merge_oddeven_config_static_selectorELNS0_4arch9wavefront6targetE1EEEvSF_ ; -- Begin function _ZN7rocprim17ROCPRIM_400000_NS6detail17trampoline_kernelINS0_14default_configENS1_38merge_sort_block_merge_config_selectorIdNS0_10empty_typeEEEZZNS1_27merge_sort_block_merge_implIS3_PdPS5_jNS1_19radix_merge_compareILb0ELb0EdNS0_19identity_decomposerEEEEE10hipError_tT0_T1_T2_jT3_P12ihipStream_tbPNSt15iterator_traitsISE_E10value_typeEPNSK_ISF_E10value_typeEPSG_NS1_7vsmem_tEENKUlT_SE_SF_SG_E_clIS8_S8_S9_S9_EESD_ST_SE_SF_SG_EUlST_E1_NS1_11comp_targetILNS1_3genE2ELNS1_11target_archE906ELNS1_3gpuE6ELNS1_3repE0EEENS1_36merge_oddeven_config_static_selectorELNS0_4arch9wavefront6targetE1EEEvSF_
	.globl	_ZN7rocprim17ROCPRIM_400000_NS6detail17trampoline_kernelINS0_14default_configENS1_38merge_sort_block_merge_config_selectorIdNS0_10empty_typeEEEZZNS1_27merge_sort_block_merge_implIS3_PdPS5_jNS1_19radix_merge_compareILb0ELb0EdNS0_19identity_decomposerEEEEE10hipError_tT0_T1_T2_jT3_P12ihipStream_tbPNSt15iterator_traitsISE_E10value_typeEPNSK_ISF_E10value_typeEPSG_NS1_7vsmem_tEENKUlT_SE_SF_SG_E_clIS8_S8_S9_S9_EESD_ST_SE_SF_SG_EUlST_E1_NS1_11comp_targetILNS1_3genE2ELNS1_11target_archE906ELNS1_3gpuE6ELNS1_3repE0EEENS1_36merge_oddeven_config_static_selectorELNS0_4arch9wavefront6targetE1EEEvSF_
	.p2align	8
	.type	_ZN7rocprim17ROCPRIM_400000_NS6detail17trampoline_kernelINS0_14default_configENS1_38merge_sort_block_merge_config_selectorIdNS0_10empty_typeEEEZZNS1_27merge_sort_block_merge_implIS3_PdPS5_jNS1_19radix_merge_compareILb0ELb0EdNS0_19identity_decomposerEEEEE10hipError_tT0_T1_T2_jT3_P12ihipStream_tbPNSt15iterator_traitsISE_E10value_typeEPNSK_ISF_E10value_typeEPSG_NS1_7vsmem_tEENKUlT_SE_SF_SG_E_clIS8_S8_S9_S9_EESD_ST_SE_SF_SG_EUlST_E1_NS1_11comp_targetILNS1_3genE2ELNS1_11target_archE906ELNS1_3gpuE6ELNS1_3repE0EEENS1_36merge_oddeven_config_static_selectorELNS0_4arch9wavefront6targetE1EEEvSF_,@function
_ZN7rocprim17ROCPRIM_400000_NS6detail17trampoline_kernelINS0_14default_configENS1_38merge_sort_block_merge_config_selectorIdNS0_10empty_typeEEEZZNS1_27merge_sort_block_merge_implIS3_PdPS5_jNS1_19radix_merge_compareILb0ELb0EdNS0_19identity_decomposerEEEEE10hipError_tT0_T1_T2_jT3_P12ihipStream_tbPNSt15iterator_traitsISE_E10value_typeEPNSK_ISF_E10value_typeEPSG_NS1_7vsmem_tEENKUlT_SE_SF_SG_E_clIS8_S8_S9_S9_EESD_ST_SE_SF_SG_EUlST_E1_NS1_11comp_targetILNS1_3genE2ELNS1_11target_archE906ELNS1_3gpuE6ELNS1_3repE0EEENS1_36merge_oddeven_config_static_selectorELNS0_4arch9wavefront6targetE1EEEvSF_: ; @_ZN7rocprim17ROCPRIM_400000_NS6detail17trampoline_kernelINS0_14default_configENS1_38merge_sort_block_merge_config_selectorIdNS0_10empty_typeEEEZZNS1_27merge_sort_block_merge_implIS3_PdPS5_jNS1_19radix_merge_compareILb0ELb0EdNS0_19identity_decomposerEEEEE10hipError_tT0_T1_T2_jT3_P12ihipStream_tbPNSt15iterator_traitsISE_E10value_typeEPNSK_ISF_E10value_typeEPSG_NS1_7vsmem_tEENKUlT_SE_SF_SG_E_clIS8_S8_S9_S9_EESD_ST_SE_SF_SG_EUlST_E1_NS1_11comp_targetILNS1_3genE2ELNS1_11target_archE906ELNS1_3gpuE6ELNS1_3repE0EEENS1_36merge_oddeven_config_static_selectorELNS0_4arch9wavefront6targetE1EEEvSF_
; %bb.0:
	.section	.rodata,"a",@progbits
	.p2align	6, 0x0
	.amdhsa_kernel _ZN7rocprim17ROCPRIM_400000_NS6detail17trampoline_kernelINS0_14default_configENS1_38merge_sort_block_merge_config_selectorIdNS0_10empty_typeEEEZZNS1_27merge_sort_block_merge_implIS3_PdPS5_jNS1_19radix_merge_compareILb0ELb0EdNS0_19identity_decomposerEEEEE10hipError_tT0_T1_T2_jT3_P12ihipStream_tbPNSt15iterator_traitsISE_E10value_typeEPNSK_ISF_E10value_typeEPSG_NS1_7vsmem_tEENKUlT_SE_SF_SG_E_clIS8_S8_S9_S9_EESD_ST_SE_SF_SG_EUlST_E1_NS1_11comp_targetILNS1_3genE2ELNS1_11target_archE906ELNS1_3gpuE6ELNS1_3repE0EEENS1_36merge_oddeven_config_static_selectorELNS0_4arch9wavefront6targetE1EEEvSF_
		.amdhsa_group_segment_fixed_size 0
		.amdhsa_private_segment_fixed_size 0
		.amdhsa_kernarg_size 48
		.amdhsa_user_sgpr_count 6
		.amdhsa_user_sgpr_private_segment_buffer 1
		.amdhsa_user_sgpr_dispatch_ptr 0
		.amdhsa_user_sgpr_queue_ptr 0
		.amdhsa_user_sgpr_kernarg_segment_ptr 1
		.amdhsa_user_sgpr_dispatch_id 0
		.amdhsa_user_sgpr_flat_scratch_init 0
		.amdhsa_user_sgpr_kernarg_preload_length 0
		.amdhsa_user_sgpr_kernarg_preload_offset 0
		.amdhsa_user_sgpr_private_segment_size 0
		.amdhsa_uses_dynamic_stack 0
		.amdhsa_system_sgpr_private_segment_wavefront_offset 0
		.amdhsa_system_sgpr_workgroup_id_x 1
		.amdhsa_system_sgpr_workgroup_id_y 0
		.amdhsa_system_sgpr_workgroup_id_z 0
		.amdhsa_system_sgpr_workgroup_info 0
		.amdhsa_system_vgpr_workitem_id 0
		.amdhsa_next_free_vgpr 1
		.amdhsa_next_free_sgpr 0
		.amdhsa_accum_offset 4
		.amdhsa_reserve_vcc 0
		.amdhsa_reserve_flat_scratch 0
		.amdhsa_float_round_mode_32 0
		.amdhsa_float_round_mode_16_64 0
		.amdhsa_float_denorm_mode_32 3
		.amdhsa_float_denorm_mode_16_64 3
		.amdhsa_dx10_clamp 1
		.amdhsa_ieee_mode 1
		.amdhsa_fp16_overflow 0
		.amdhsa_tg_split 0
		.amdhsa_exception_fp_ieee_invalid_op 0
		.amdhsa_exception_fp_denorm_src 0
		.amdhsa_exception_fp_ieee_div_zero 0
		.amdhsa_exception_fp_ieee_overflow 0
		.amdhsa_exception_fp_ieee_underflow 0
		.amdhsa_exception_fp_ieee_inexact 0
		.amdhsa_exception_int_div_zero 0
	.end_amdhsa_kernel
	.section	.text._ZN7rocprim17ROCPRIM_400000_NS6detail17trampoline_kernelINS0_14default_configENS1_38merge_sort_block_merge_config_selectorIdNS0_10empty_typeEEEZZNS1_27merge_sort_block_merge_implIS3_PdPS5_jNS1_19radix_merge_compareILb0ELb0EdNS0_19identity_decomposerEEEEE10hipError_tT0_T1_T2_jT3_P12ihipStream_tbPNSt15iterator_traitsISE_E10value_typeEPNSK_ISF_E10value_typeEPSG_NS1_7vsmem_tEENKUlT_SE_SF_SG_E_clIS8_S8_S9_S9_EESD_ST_SE_SF_SG_EUlST_E1_NS1_11comp_targetILNS1_3genE2ELNS1_11target_archE906ELNS1_3gpuE6ELNS1_3repE0EEENS1_36merge_oddeven_config_static_selectorELNS0_4arch9wavefront6targetE1EEEvSF_,"axG",@progbits,_ZN7rocprim17ROCPRIM_400000_NS6detail17trampoline_kernelINS0_14default_configENS1_38merge_sort_block_merge_config_selectorIdNS0_10empty_typeEEEZZNS1_27merge_sort_block_merge_implIS3_PdPS5_jNS1_19radix_merge_compareILb0ELb0EdNS0_19identity_decomposerEEEEE10hipError_tT0_T1_T2_jT3_P12ihipStream_tbPNSt15iterator_traitsISE_E10value_typeEPNSK_ISF_E10value_typeEPSG_NS1_7vsmem_tEENKUlT_SE_SF_SG_E_clIS8_S8_S9_S9_EESD_ST_SE_SF_SG_EUlST_E1_NS1_11comp_targetILNS1_3genE2ELNS1_11target_archE906ELNS1_3gpuE6ELNS1_3repE0EEENS1_36merge_oddeven_config_static_selectorELNS0_4arch9wavefront6targetE1EEEvSF_,comdat
.Lfunc_end1343:
	.size	_ZN7rocprim17ROCPRIM_400000_NS6detail17trampoline_kernelINS0_14default_configENS1_38merge_sort_block_merge_config_selectorIdNS0_10empty_typeEEEZZNS1_27merge_sort_block_merge_implIS3_PdPS5_jNS1_19radix_merge_compareILb0ELb0EdNS0_19identity_decomposerEEEEE10hipError_tT0_T1_T2_jT3_P12ihipStream_tbPNSt15iterator_traitsISE_E10value_typeEPNSK_ISF_E10value_typeEPSG_NS1_7vsmem_tEENKUlT_SE_SF_SG_E_clIS8_S8_S9_S9_EESD_ST_SE_SF_SG_EUlST_E1_NS1_11comp_targetILNS1_3genE2ELNS1_11target_archE906ELNS1_3gpuE6ELNS1_3repE0EEENS1_36merge_oddeven_config_static_selectorELNS0_4arch9wavefront6targetE1EEEvSF_, .Lfunc_end1343-_ZN7rocprim17ROCPRIM_400000_NS6detail17trampoline_kernelINS0_14default_configENS1_38merge_sort_block_merge_config_selectorIdNS0_10empty_typeEEEZZNS1_27merge_sort_block_merge_implIS3_PdPS5_jNS1_19radix_merge_compareILb0ELb0EdNS0_19identity_decomposerEEEEE10hipError_tT0_T1_T2_jT3_P12ihipStream_tbPNSt15iterator_traitsISE_E10value_typeEPNSK_ISF_E10value_typeEPSG_NS1_7vsmem_tEENKUlT_SE_SF_SG_E_clIS8_S8_S9_S9_EESD_ST_SE_SF_SG_EUlST_E1_NS1_11comp_targetILNS1_3genE2ELNS1_11target_archE906ELNS1_3gpuE6ELNS1_3repE0EEENS1_36merge_oddeven_config_static_selectorELNS0_4arch9wavefront6targetE1EEEvSF_
                                        ; -- End function
	.section	.AMDGPU.csdata,"",@progbits
; Kernel info:
; codeLenInByte = 0
; NumSgprs: 4
; NumVgprs: 0
; NumAgprs: 0
; TotalNumVgprs: 0
; ScratchSize: 0
; MemoryBound: 0
; FloatMode: 240
; IeeeMode: 1
; LDSByteSize: 0 bytes/workgroup (compile time only)
; SGPRBlocks: 0
; VGPRBlocks: 0
; NumSGPRsForWavesPerEU: 4
; NumVGPRsForWavesPerEU: 1
; AccumOffset: 4
; Occupancy: 8
; WaveLimiterHint : 0
; COMPUTE_PGM_RSRC2:SCRATCH_EN: 0
; COMPUTE_PGM_RSRC2:USER_SGPR: 6
; COMPUTE_PGM_RSRC2:TRAP_HANDLER: 0
; COMPUTE_PGM_RSRC2:TGID_X_EN: 1
; COMPUTE_PGM_RSRC2:TGID_Y_EN: 0
; COMPUTE_PGM_RSRC2:TGID_Z_EN: 0
; COMPUTE_PGM_RSRC2:TIDIG_COMP_CNT: 0
; COMPUTE_PGM_RSRC3_GFX90A:ACCUM_OFFSET: 0
; COMPUTE_PGM_RSRC3_GFX90A:TG_SPLIT: 0
	.section	.text._ZN7rocprim17ROCPRIM_400000_NS6detail17trampoline_kernelINS0_14default_configENS1_38merge_sort_block_merge_config_selectorIdNS0_10empty_typeEEEZZNS1_27merge_sort_block_merge_implIS3_PdPS5_jNS1_19radix_merge_compareILb0ELb0EdNS0_19identity_decomposerEEEEE10hipError_tT0_T1_T2_jT3_P12ihipStream_tbPNSt15iterator_traitsISE_E10value_typeEPNSK_ISF_E10value_typeEPSG_NS1_7vsmem_tEENKUlT_SE_SF_SG_E_clIS8_S8_S9_S9_EESD_ST_SE_SF_SG_EUlST_E1_NS1_11comp_targetILNS1_3genE9ELNS1_11target_archE1100ELNS1_3gpuE3ELNS1_3repE0EEENS1_36merge_oddeven_config_static_selectorELNS0_4arch9wavefront6targetE1EEEvSF_,"axG",@progbits,_ZN7rocprim17ROCPRIM_400000_NS6detail17trampoline_kernelINS0_14default_configENS1_38merge_sort_block_merge_config_selectorIdNS0_10empty_typeEEEZZNS1_27merge_sort_block_merge_implIS3_PdPS5_jNS1_19radix_merge_compareILb0ELb0EdNS0_19identity_decomposerEEEEE10hipError_tT0_T1_T2_jT3_P12ihipStream_tbPNSt15iterator_traitsISE_E10value_typeEPNSK_ISF_E10value_typeEPSG_NS1_7vsmem_tEENKUlT_SE_SF_SG_E_clIS8_S8_S9_S9_EESD_ST_SE_SF_SG_EUlST_E1_NS1_11comp_targetILNS1_3genE9ELNS1_11target_archE1100ELNS1_3gpuE3ELNS1_3repE0EEENS1_36merge_oddeven_config_static_selectorELNS0_4arch9wavefront6targetE1EEEvSF_,comdat
	.protected	_ZN7rocprim17ROCPRIM_400000_NS6detail17trampoline_kernelINS0_14default_configENS1_38merge_sort_block_merge_config_selectorIdNS0_10empty_typeEEEZZNS1_27merge_sort_block_merge_implIS3_PdPS5_jNS1_19radix_merge_compareILb0ELb0EdNS0_19identity_decomposerEEEEE10hipError_tT0_T1_T2_jT3_P12ihipStream_tbPNSt15iterator_traitsISE_E10value_typeEPNSK_ISF_E10value_typeEPSG_NS1_7vsmem_tEENKUlT_SE_SF_SG_E_clIS8_S8_S9_S9_EESD_ST_SE_SF_SG_EUlST_E1_NS1_11comp_targetILNS1_3genE9ELNS1_11target_archE1100ELNS1_3gpuE3ELNS1_3repE0EEENS1_36merge_oddeven_config_static_selectorELNS0_4arch9wavefront6targetE1EEEvSF_ ; -- Begin function _ZN7rocprim17ROCPRIM_400000_NS6detail17trampoline_kernelINS0_14default_configENS1_38merge_sort_block_merge_config_selectorIdNS0_10empty_typeEEEZZNS1_27merge_sort_block_merge_implIS3_PdPS5_jNS1_19radix_merge_compareILb0ELb0EdNS0_19identity_decomposerEEEEE10hipError_tT0_T1_T2_jT3_P12ihipStream_tbPNSt15iterator_traitsISE_E10value_typeEPNSK_ISF_E10value_typeEPSG_NS1_7vsmem_tEENKUlT_SE_SF_SG_E_clIS8_S8_S9_S9_EESD_ST_SE_SF_SG_EUlST_E1_NS1_11comp_targetILNS1_3genE9ELNS1_11target_archE1100ELNS1_3gpuE3ELNS1_3repE0EEENS1_36merge_oddeven_config_static_selectorELNS0_4arch9wavefront6targetE1EEEvSF_
	.globl	_ZN7rocprim17ROCPRIM_400000_NS6detail17trampoline_kernelINS0_14default_configENS1_38merge_sort_block_merge_config_selectorIdNS0_10empty_typeEEEZZNS1_27merge_sort_block_merge_implIS3_PdPS5_jNS1_19radix_merge_compareILb0ELb0EdNS0_19identity_decomposerEEEEE10hipError_tT0_T1_T2_jT3_P12ihipStream_tbPNSt15iterator_traitsISE_E10value_typeEPNSK_ISF_E10value_typeEPSG_NS1_7vsmem_tEENKUlT_SE_SF_SG_E_clIS8_S8_S9_S9_EESD_ST_SE_SF_SG_EUlST_E1_NS1_11comp_targetILNS1_3genE9ELNS1_11target_archE1100ELNS1_3gpuE3ELNS1_3repE0EEENS1_36merge_oddeven_config_static_selectorELNS0_4arch9wavefront6targetE1EEEvSF_
	.p2align	8
	.type	_ZN7rocprim17ROCPRIM_400000_NS6detail17trampoline_kernelINS0_14default_configENS1_38merge_sort_block_merge_config_selectorIdNS0_10empty_typeEEEZZNS1_27merge_sort_block_merge_implIS3_PdPS5_jNS1_19radix_merge_compareILb0ELb0EdNS0_19identity_decomposerEEEEE10hipError_tT0_T1_T2_jT3_P12ihipStream_tbPNSt15iterator_traitsISE_E10value_typeEPNSK_ISF_E10value_typeEPSG_NS1_7vsmem_tEENKUlT_SE_SF_SG_E_clIS8_S8_S9_S9_EESD_ST_SE_SF_SG_EUlST_E1_NS1_11comp_targetILNS1_3genE9ELNS1_11target_archE1100ELNS1_3gpuE3ELNS1_3repE0EEENS1_36merge_oddeven_config_static_selectorELNS0_4arch9wavefront6targetE1EEEvSF_,@function
_ZN7rocprim17ROCPRIM_400000_NS6detail17trampoline_kernelINS0_14default_configENS1_38merge_sort_block_merge_config_selectorIdNS0_10empty_typeEEEZZNS1_27merge_sort_block_merge_implIS3_PdPS5_jNS1_19radix_merge_compareILb0ELb0EdNS0_19identity_decomposerEEEEE10hipError_tT0_T1_T2_jT3_P12ihipStream_tbPNSt15iterator_traitsISE_E10value_typeEPNSK_ISF_E10value_typeEPSG_NS1_7vsmem_tEENKUlT_SE_SF_SG_E_clIS8_S8_S9_S9_EESD_ST_SE_SF_SG_EUlST_E1_NS1_11comp_targetILNS1_3genE9ELNS1_11target_archE1100ELNS1_3gpuE3ELNS1_3repE0EEENS1_36merge_oddeven_config_static_selectorELNS0_4arch9wavefront6targetE1EEEvSF_: ; @_ZN7rocprim17ROCPRIM_400000_NS6detail17trampoline_kernelINS0_14default_configENS1_38merge_sort_block_merge_config_selectorIdNS0_10empty_typeEEEZZNS1_27merge_sort_block_merge_implIS3_PdPS5_jNS1_19radix_merge_compareILb0ELb0EdNS0_19identity_decomposerEEEEE10hipError_tT0_T1_T2_jT3_P12ihipStream_tbPNSt15iterator_traitsISE_E10value_typeEPNSK_ISF_E10value_typeEPSG_NS1_7vsmem_tEENKUlT_SE_SF_SG_E_clIS8_S8_S9_S9_EESD_ST_SE_SF_SG_EUlST_E1_NS1_11comp_targetILNS1_3genE9ELNS1_11target_archE1100ELNS1_3gpuE3ELNS1_3repE0EEENS1_36merge_oddeven_config_static_selectorELNS0_4arch9wavefront6targetE1EEEvSF_
; %bb.0:
	.section	.rodata,"a",@progbits
	.p2align	6, 0x0
	.amdhsa_kernel _ZN7rocprim17ROCPRIM_400000_NS6detail17trampoline_kernelINS0_14default_configENS1_38merge_sort_block_merge_config_selectorIdNS0_10empty_typeEEEZZNS1_27merge_sort_block_merge_implIS3_PdPS5_jNS1_19radix_merge_compareILb0ELb0EdNS0_19identity_decomposerEEEEE10hipError_tT0_T1_T2_jT3_P12ihipStream_tbPNSt15iterator_traitsISE_E10value_typeEPNSK_ISF_E10value_typeEPSG_NS1_7vsmem_tEENKUlT_SE_SF_SG_E_clIS8_S8_S9_S9_EESD_ST_SE_SF_SG_EUlST_E1_NS1_11comp_targetILNS1_3genE9ELNS1_11target_archE1100ELNS1_3gpuE3ELNS1_3repE0EEENS1_36merge_oddeven_config_static_selectorELNS0_4arch9wavefront6targetE1EEEvSF_
		.amdhsa_group_segment_fixed_size 0
		.amdhsa_private_segment_fixed_size 0
		.amdhsa_kernarg_size 48
		.amdhsa_user_sgpr_count 6
		.amdhsa_user_sgpr_private_segment_buffer 1
		.amdhsa_user_sgpr_dispatch_ptr 0
		.amdhsa_user_sgpr_queue_ptr 0
		.amdhsa_user_sgpr_kernarg_segment_ptr 1
		.amdhsa_user_sgpr_dispatch_id 0
		.amdhsa_user_sgpr_flat_scratch_init 0
		.amdhsa_user_sgpr_kernarg_preload_length 0
		.amdhsa_user_sgpr_kernarg_preload_offset 0
		.amdhsa_user_sgpr_private_segment_size 0
		.amdhsa_uses_dynamic_stack 0
		.amdhsa_system_sgpr_private_segment_wavefront_offset 0
		.amdhsa_system_sgpr_workgroup_id_x 1
		.amdhsa_system_sgpr_workgroup_id_y 0
		.amdhsa_system_sgpr_workgroup_id_z 0
		.amdhsa_system_sgpr_workgroup_info 0
		.amdhsa_system_vgpr_workitem_id 0
		.amdhsa_next_free_vgpr 1
		.amdhsa_next_free_sgpr 0
		.amdhsa_accum_offset 4
		.amdhsa_reserve_vcc 0
		.amdhsa_reserve_flat_scratch 0
		.amdhsa_float_round_mode_32 0
		.amdhsa_float_round_mode_16_64 0
		.amdhsa_float_denorm_mode_32 3
		.amdhsa_float_denorm_mode_16_64 3
		.amdhsa_dx10_clamp 1
		.amdhsa_ieee_mode 1
		.amdhsa_fp16_overflow 0
		.amdhsa_tg_split 0
		.amdhsa_exception_fp_ieee_invalid_op 0
		.amdhsa_exception_fp_denorm_src 0
		.amdhsa_exception_fp_ieee_div_zero 0
		.amdhsa_exception_fp_ieee_overflow 0
		.amdhsa_exception_fp_ieee_underflow 0
		.amdhsa_exception_fp_ieee_inexact 0
		.amdhsa_exception_int_div_zero 0
	.end_amdhsa_kernel
	.section	.text._ZN7rocprim17ROCPRIM_400000_NS6detail17trampoline_kernelINS0_14default_configENS1_38merge_sort_block_merge_config_selectorIdNS0_10empty_typeEEEZZNS1_27merge_sort_block_merge_implIS3_PdPS5_jNS1_19radix_merge_compareILb0ELb0EdNS0_19identity_decomposerEEEEE10hipError_tT0_T1_T2_jT3_P12ihipStream_tbPNSt15iterator_traitsISE_E10value_typeEPNSK_ISF_E10value_typeEPSG_NS1_7vsmem_tEENKUlT_SE_SF_SG_E_clIS8_S8_S9_S9_EESD_ST_SE_SF_SG_EUlST_E1_NS1_11comp_targetILNS1_3genE9ELNS1_11target_archE1100ELNS1_3gpuE3ELNS1_3repE0EEENS1_36merge_oddeven_config_static_selectorELNS0_4arch9wavefront6targetE1EEEvSF_,"axG",@progbits,_ZN7rocprim17ROCPRIM_400000_NS6detail17trampoline_kernelINS0_14default_configENS1_38merge_sort_block_merge_config_selectorIdNS0_10empty_typeEEEZZNS1_27merge_sort_block_merge_implIS3_PdPS5_jNS1_19radix_merge_compareILb0ELb0EdNS0_19identity_decomposerEEEEE10hipError_tT0_T1_T2_jT3_P12ihipStream_tbPNSt15iterator_traitsISE_E10value_typeEPNSK_ISF_E10value_typeEPSG_NS1_7vsmem_tEENKUlT_SE_SF_SG_E_clIS8_S8_S9_S9_EESD_ST_SE_SF_SG_EUlST_E1_NS1_11comp_targetILNS1_3genE9ELNS1_11target_archE1100ELNS1_3gpuE3ELNS1_3repE0EEENS1_36merge_oddeven_config_static_selectorELNS0_4arch9wavefront6targetE1EEEvSF_,comdat
.Lfunc_end1344:
	.size	_ZN7rocprim17ROCPRIM_400000_NS6detail17trampoline_kernelINS0_14default_configENS1_38merge_sort_block_merge_config_selectorIdNS0_10empty_typeEEEZZNS1_27merge_sort_block_merge_implIS3_PdPS5_jNS1_19radix_merge_compareILb0ELb0EdNS0_19identity_decomposerEEEEE10hipError_tT0_T1_T2_jT3_P12ihipStream_tbPNSt15iterator_traitsISE_E10value_typeEPNSK_ISF_E10value_typeEPSG_NS1_7vsmem_tEENKUlT_SE_SF_SG_E_clIS8_S8_S9_S9_EESD_ST_SE_SF_SG_EUlST_E1_NS1_11comp_targetILNS1_3genE9ELNS1_11target_archE1100ELNS1_3gpuE3ELNS1_3repE0EEENS1_36merge_oddeven_config_static_selectorELNS0_4arch9wavefront6targetE1EEEvSF_, .Lfunc_end1344-_ZN7rocprim17ROCPRIM_400000_NS6detail17trampoline_kernelINS0_14default_configENS1_38merge_sort_block_merge_config_selectorIdNS0_10empty_typeEEEZZNS1_27merge_sort_block_merge_implIS3_PdPS5_jNS1_19radix_merge_compareILb0ELb0EdNS0_19identity_decomposerEEEEE10hipError_tT0_T1_T2_jT3_P12ihipStream_tbPNSt15iterator_traitsISE_E10value_typeEPNSK_ISF_E10value_typeEPSG_NS1_7vsmem_tEENKUlT_SE_SF_SG_E_clIS8_S8_S9_S9_EESD_ST_SE_SF_SG_EUlST_E1_NS1_11comp_targetILNS1_3genE9ELNS1_11target_archE1100ELNS1_3gpuE3ELNS1_3repE0EEENS1_36merge_oddeven_config_static_selectorELNS0_4arch9wavefront6targetE1EEEvSF_
                                        ; -- End function
	.section	.AMDGPU.csdata,"",@progbits
; Kernel info:
; codeLenInByte = 0
; NumSgprs: 4
; NumVgprs: 0
; NumAgprs: 0
; TotalNumVgprs: 0
; ScratchSize: 0
; MemoryBound: 0
; FloatMode: 240
; IeeeMode: 1
; LDSByteSize: 0 bytes/workgroup (compile time only)
; SGPRBlocks: 0
; VGPRBlocks: 0
; NumSGPRsForWavesPerEU: 4
; NumVGPRsForWavesPerEU: 1
; AccumOffset: 4
; Occupancy: 8
; WaveLimiterHint : 0
; COMPUTE_PGM_RSRC2:SCRATCH_EN: 0
; COMPUTE_PGM_RSRC2:USER_SGPR: 6
; COMPUTE_PGM_RSRC2:TRAP_HANDLER: 0
; COMPUTE_PGM_RSRC2:TGID_X_EN: 1
; COMPUTE_PGM_RSRC2:TGID_Y_EN: 0
; COMPUTE_PGM_RSRC2:TGID_Z_EN: 0
; COMPUTE_PGM_RSRC2:TIDIG_COMP_CNT: 0
; COMPUTE_PGM_RSRC3_GFX90A:ACCUM_OFFSET: 0
; COMPUTE_PGM_RSRC3_GFX90A:TG_SPLIT: 0
	.section	.text._ZN7rocprim17ROCPRIM_400000_NS6detail17trampoline_kernelINS0_14default_configENS1_38merge_sort_block_merge_config_selectorIdNS0_10empty_typeEEEZZNS1_27merge_sort_block_merge_implIS3_PdPS5_jNS1_19radix_merge_compareILb0ELb0EdNS0_19identity_decomposerEEEEE10hipError_tT0_T1_T2_jT3_P12ihipStream_tbPNSt15iterator_traitsISE_E10value_typeEPNSK_ISF_E10value_typeEPSG_NS1_7vsmem_tEENKUlT_SE_SF_SG_E_clIS8_S8_S9_S9_EESD_ST_SE_SF_SG_EUlST_E1_NS1_11comp_targetILNS1_3genE8ELNS1_11target_archE1030ELNS1_3gpuE2ELNS1_3repE0EEENS1_36merge_oddeven_config_static_selectorELNS0_4arch9wavefront6targetE1EEEvSF_,"axG",@progbits,_ZN7rocprim17ROCPRIM_400000_NS6detail17trampoline_kernelINS0_14default_configENS1_38merge_sort_block_merge_config_selectorIdNS0_10empty_typeEEEZZNS1_27merge_sort_block_merge_implIS3_PdPS5_jNS1_19radix_merge_compareILb0ELb0EdNS0_19identity_decomposerEEEEE10hipError_tT0_T1_T2_jT3_P12ihipStream_tbPNSt15iterator_traitsISE_E10value_typeEPNSK_ISF_E10value_typeEPSG_NS1_7vsmem_tEENKUlT_SE_SF_SG_E_clIS8_S8_S9_S9_EESD_ST_SE_SF_SG_EUlST_E1_NS1_11comp_targetILNS1_3genE8ELNS1_11target_archE1030ELNS1_3gpuE2ELNS1_3repE0EEENS1_36merge_oddeven_config_static_selectorELNS0_4arch9wavefront6targetE1EEEvSF_,comdat
	.protected	_ZN7rocprim17ROCPRIM_400000_NS6detail17trampoline_kernelINS0_14default_configENS1_38merge_sort_block_merge_config_selectorIdNS0_10empty_typeEEEZZNS1_27merge_sort_block_merge_implIS3_PdPS5_jNS1_19radix_merge_compareILb0ELb0EdNS0_19identity_decomposerEEEEE10hipError_tT0_T1_T2_jT3_P12ihipStream_tbPNSt15iterator_traitsISE_E10value_typeEPNSK_ISF_E10value_typeEPSG_NS1_7vsmem_tEENKUlT_SE_SF_SG_E_clIS8_S8_S9_S9_EESD_ST_SE_SF_SG_EUlST_E1_NS1_11comp_targetILNS1_3genE8ELNS1_11target_archE1030ELNS1_3gpuE2ELNS1_3repE0EEENS1_36merge_oddeven_config_static_selectorELNS0_4arch9wavefront6targetE1EEEvSF_ ; -- Begin function _ZN7rocprim17ROCPRIM_400000_NS6detail17trampoline_kernelINS0_14default_configENS1_38merge_sort_block_merge_config_selectorIdNS0_10empty_typeEEEZZNS1_27merge_sort_block_merge_implIS3_PdPS5_jNS1_19radix_merge_compareILb0ELb0EdNS0_19identity_decomposerEEEEE10hipError_tT0_T1_T2_jT3_P12ihipStream_tbPNSt15iterator_traitsISE_E10value_typeEPNSK_ISF_E10value_typeEPSG_NS1_7vsmem_tEENKUlT_SE_SF_SG_E_clIS8_S8_S9_S9_EESD_ST_SE_SF_SG_EUlST_E1_NS1_11comp_targetILNS1_3genE8ELNS1_11target_archE1030ELNS1_3gpuE2ELNS1_3repE0EEENS1_36merge_oddeven_config_static_selectorELNS0_4arch9wavefront6targetE1EEEvSF_
	.globl	_ZN7rocprim17ROCPRIM_400000_NS6detail17trampoline_kernelINS0_14default_configENS1_38merge_sort_block_merge_config_selectorIdNS0_10empty_typeEEEZZNS1_27merge_sort_block_merge_implIS3_PdPS5_jNS1_19radix_merge_compareILb0ELb0EdNS0_19identity_decomposerEEEEE10hipError_tT0_T1_T2_jT3_P12ihipStream_tbPNSt15iterator_traitsISE_E10value_typeEPNSK_ISF_E10value_typeEPSG_NS1_7vsmem_tEENKUlT_SE_SF_SG_E_clIS8_S8_S9_S9_EESD_ST_SE_SF_SG_EUlST_E1_NS1_11comp_targetILNS1_3genE8ELNS1_11target_archE1030ELNS1_3gpuE2ELNS1_3repE0EEENS1_36merge_oddeven_config_static_selectorELNS0_4arch9wavefront6targetE1EEEvSF_
	.p2align	8
	.type	_ZN7rocprim17ROCPRIM_400000_NS6detail17trampoline_kernelINS0_14default_configENS1_38merge_sort_block_merge_config_selectorIdNS0_10empty_typeEEEZZNS1_27merge_sort_block_merge_implIS3_PdPS5_jNS1_19radix_merge_compareILb0ELb0EdNS0_19identity_decomposerEEEEE10hipError_tT0_T1_T2_jT3_P12ihipStream_tbPNSt15iterator_traitsISE_E10value_typeEPNSK_ISF_E10value_typeEPSG_NS1_7vsmem_tEENKUlT_SE_SF_SG_E_clIS8_S8_S9_S9_EESD_ST_SE_SF_SG_EUlST_E1_NS1_11comp_targetILNS1_3genE8ELNS1_11target_archE1030ELNS1_3gpuE2ELNS1_3repE0EEENS1_36merge_oddeven_config_static_selectorELNS0_4arch9wavefront6targetE1EEEvSF_,@function
_ZN7rocprim17ROCPRIM_400000_NS6detail17trampoline_kernelINS0_14default_configENS1_38merge_sort_block_merge_config_selectorIdNS0_10empty_typeEEEZZNS1_27merge_sort_block_merge_implIS3_PdPS5_jNS1_19radix_merge_compareILb0ELb0EdNS0_19identity_decomposerEEEEE10hipError_tT0_T1_T2_jT3_P12ihipStream_tbPNSt15iterator_traitsISE_E10value_typeEPNSK_ISF_E10value_typeEPSG_NS1_7vsmem_tEENKUlT_SE_SF_SG_E_clIS8_S8_S9_S9_EESD_ST_SE_SF_SG_EUlST_E1_NS1_11comp_targetILNS1_3genE8ELNS1_11target_archE1030ELNS1_3gpuE2ELNS1_3repE0EEENS1_36merge_oddeven_config_static_selectorELNS0_4arch9wavefront6targetE1EEEvSF_: ; @_ZN7rocprim17ROCPRIM_400000_NS6detail17trampoline_kernelINS0_14default_configENS1_38merge_sort_block_merge_config_selectorIdNS0_10empty_typeEEEZZNS1_27merge_sort_block_merge_implIS3_PdPS5_jNS1_19radix_merge_compareILb0ELb0EdNS0_19identity_decomposerEEEEE10hipError_tT0_T1_T2_jT3_P12ihipStream_tbPNSt15iterator_traitsISE_E10value_typeEPNSK_ISF_E10value_typeEPSG_NS1_7vsmem_tEENKUlT_SE_SF_SG_E_clIS8_S8_S9_S9_EESD_ST_SE_SF_SG_EUlST_E1_NS1_11comp_targetILNS1_3genE8ELNS1_11target_archE1030ELNS1_3gpuE2ELNS1_3repE0EEENS1_36merge_oddeven_config_static_selectorELNS0_4arch9wavefront6targetE1EEEvSF_
; %bb.0:
	.section	.rodata,"a",@progbits
	.p2align	6, 0x0
	.amdhsa_kernel _ZN7rocprim17ROCPRIM_400000_NS6detail17trampoline_kernelINS0_14default_configENS1_38merge_sort_block_merge_config_selectorIdNS0_10empty_typeEEEZZNS1_27merge_sort_block_merge_implIS3_PdPS5_jNS1_19radix_merge_compareILb0ELb0EdNS0_19identity_decomposerEEEEE10hipError_tT0_T1_T2_jT3_P12ihipStream_tbPNSt15iterator_traitsISE_E10value_typeEPNSK_ISF_E10value_typeEPSG_NS1_7vsmem_tEENKUlT_SE_SF_SG_E_clIS8_S8_S9_S9_EESD_ST_SE_SF_SG_EUlST_E1_NS1_11comp_targetILNS1_3genE8ELNS1_11target_archE1030ELNS1_3gpuE2ELNS1_3repE0EEENS1_36merge_oddeven_config_static_selectorELNS0_4arch9wavefront6targetE1EEEvSF_
		.amdhsa_group_segment_fixed_size 0
		.amdhsa_private_segment_fixed_size 0
		.amdhsa_kernarg_size 48
		.amdhsa_user_sgpr_count 6
		.amdhsa_user_sgpr_private_segment_buffer 1
		.amdhsa_user_sgpr_dispatch_ptr 0
		.amdhsa_user_sgpr_queue_ptr 0
		.amdhsa_user_sgpr_kernarg_segment_ptr 1
		.amdhsa_user_sgpr_dispatch_id 0
		.amdhsa_user_sgpr_flat_scratch_init 0
		.amdhsa_user_sgpr_kernarg_preload_length 0
		.amdhsa_user_sgpr_kernarg_preload_offset 0
		.amdhsa_user_sgpr_private_segment_size 0
		.amdhsa_uses_dynamic_stack 0
		.amdhsa_system_sgpr_private_segment_wavefront_offset 0
		.amdhsa_system_sgpr_workgroup_id_x 1
		.amdhsa_system_sgpr_workgroup_id_y 0
		.amdhsa_system_sgpr_workgroup_id_z 0
		.amdhsa_system_sgpr_workgroup_info 0
		.amdhsa_system_vgpr_workitem_id 0
		.amdhsa_next_free_vgpr 1
		.amdhsa_next_free_sgpr 0
		.amdhsa_accum_offset 4
		.amdhsa_reserve_vcc 0
		.amdhsa_reserve_flat_scratch 0
		.amdhsa_float_round_mode_32 0
		.amdhsa_float_round_mode_16_64 0
		.amdhsa_float_denorm_mode_32 3
		.amdhsa_float_denorm_mode_16_64 3
		.amdhsa_dx10_clamp 1
		.amdhsa_ieee_mode 1
		.amdhsa_fp16_overflow 0
		.amdhsa_tg_split 0
		.amdhsa_exception_fp_ieee_invalid_op 0
		.amdhsa_exception_fp_denorm_src 0
		.amdhsa_exception_fp_ieee_div_zero 0
		.amdhsa_exception_fp_ieee_overflow 0
		.amdhsa_exception_fp_ieee_underflow 0
		.amdhsa_exception_fp_ieee_inexact 0
		.amdhsa_exception_int_div_zero 0
	.end_amdhsa_kernel
	.section	.text._ZN7rocprim17ROCPRIM_400000_NS6detail17trampoline_kernelINS0_14default_configENS1_38merge_sort_block_merge_config_selectorIdNS0_10empty_typeEEEZZNS1_27merge_sort_block_merge_implIS3_PdPS5_jNS1_19radix_merge_compareILb0ELb0EdNS0_19identity_decomposerEEEEE10hipError_tT0_T1_T2_jT3_P12ihipStream_tbPNSt15iterator_traitsISE_E10value_typeEPNSK_ISF_E10value_typeEPSG_NS1_7vsmem_tEENKUlT_SE_SF_SG_E_clIS8_S8_S9_S9_EESD_ST_SE_SF_SG_EUlST_E1_NS1_11comp_targetILNS1_3genE8ELNS1_11target_archE1030ELNS1_3gpuE2ELNS1_3repE0EEENS1_36merge_oddeven_config_static_selectorELNS0_4arch9wavefront6targetE1EEEvSF_,"axG",@progbits,_ZN7rocprim17ROCPRIM_400000_NS6detail17trampoline_kernelINS0_14default_configENS1_38merge_sort_block_merge_config_selectorIdNS0_10empty_typeEEEZZNS1_27merge_sort_block_merge_implIS3_PdPS5_jNS1_19radix_merge_compareILb0ELb0EdNS0_19identity_decomposerEEEEE10hipError_tT0_T1_T2_jT3_P12ihipStream_tbPNSt15iterator_traitsISE_E10value_typeEPNSK_ISF_E10value_typeEPSG_NS1_7vsmem_tEENKUlT_SE_SF_SG_E_clIS8_S8_S9_S9_EESD_ST_SE_SF_SG_EUlST_E1_NS1_11comp_targetILNS1_3genE8ELNS1_11target_archE1030ELNS1_3gpuE2ELNS1_3repE0EEENS1_36merge_oddeven_config_static_selectorELNS0_4arch9wavefront6targetE1EEEvSF_,comdat
.Lfunc_end1345:
	.size	_ZN7rocprim17ROCPRIM_400000_NS6detail17trampoline_kernelINS0_14default_configENS1_38merge_sort_block_merge_config_selectorIdNS0_10empty_typeEEEZZNS1_27merge_sort_block_merge_implIS3_PdPS5_jNS1_19radix_merge_compareILb0ELb0EdNS0_19identity_decomposerEEEEE10hipError_tT0_T1_T2_jT3_P12ihipStream_tbPNSt15iterator_traitsISE_E10value_typeEPNSK_ISF_E10value_typeEPSG_NS1_7vsmem_tEENKUlT_SE_SF_SG_E_clIS8_S8_S9_S9_EESD_ST_SE_SF_SG_EUlST_E1_NS1_11comp_targetILNS1_3genE8ELNS1_11target_archE1030ELNS1_3gpuE2ELNS1_3repE0EEENS1_36merge_oddeven_config_static_selectorELNS0_4arch9wavefront6targetE1EEEvSF_, .Lfunc_end1345-_ZN7rocprim17ROCPRIM_400000_NS6detail17trampoline_kernelINS0_14default_configENS1_38merge_sort_block_merge_config_selectorIdNS0_10empty_typeEEEZZNS1_27merge_sort_block_merge_implIS3_PdPS5_jNS1_19radix_merge_compareILb0ELb0EdNS0_19identity_decomposerEEEEE10hipError_tT0_T1_T2_jT3_P12ihipStream_tbPNSt15iterator_traitsISE_E10value_typeEPNSK_ISF_E10value_typeEPSG_NS1_7vsmem_tEENKUlT_SE_SF_SG_E_clIS8_S8_S9_S9_EESD_ST_SE_SF_SG_EUlST_E1_NS1_11comp_targetILNS1_3genE8ELNS1_11target_archE1030ELNS1_3gpuE2ELNS1_3repE0EEENS1_36merge_oddeven_config_static_selectorELNS0_4arch9wavefront6targetE1EEEvSF_
                                        ; -- End function
	.section	.AMDGPU.csdata,"",@progbits
; Kernel info:
; codeLenInByte = 0
; NumSgprs: 4
; NumVgprs: 0
; NumAgprs: 0
; TotalNumVgprs: 0
; ScratchSize: 0
; MemoryBound: 0
; FloatMode: 240
; IeeeMode: 1
; LDSByteSize: 0 bytes/workgroup (compile time only)
; SGPRBlocks: 0
; VGPRBlocks: 0
; NumSGPRsForWavesPerEU: 4
; NumVGPRsForWavesPerEU: 1
; AccumOffset: 4
; Occupancy: 8
; WaveLimiterHint : 0
; COMPUTE_PGM_RSRC2:SCRATCH_EN: 0
; COMPUTE_PGM_RSRC2:USER_SGPR: 6
; COMPUTE_PGM_RSRC2:TRAP_HANDLER: 0
; COMPUTE_PGM_RSRC2:TGID_X_EN: 1
; COMPUTE_PGM_RSRC2:TGID_Y_EN: 0
; COMPUTE_PGM_RSRC2:TGID_Z_EN: 0
; COMPUTE_PGM_RSRC2:TIDIG_COMP_CNT: 0
; COMPUTE_PGM_RSRC3_GFX90A:ACCUM_OFFSET: 0
; COMPUTE_PGM_RSRC3_GFX90A:TG_SPLIT: 0
	.section	.text._ZN7rocprim17ROCPRIM_400000_NS6detail17trampoline_kernelINS0_14default_configENS1_25transform_config_selectorIdLb1EEEZNS1_14transform_implILb1ES3_S5_PdS7_NS0_8identityIdEEEE10hipError_tT2_T3_mT4_P12ihipStream_tbEUlT_E_NS1_11comp_targetILNS1_3genE0ELNS1_11target_archE4294967295ELNS1_3gpuE0ELNS1_3repE0EEENS1_30default_config_static_selectorELNS0_4arch9wavefront6targetE1EEEvT1_,"axG",@progbits,_ZN7rocprim17ROCPRIM_400000_NS6detail17trampoline_kernelINS0_14default_configENS1_25transform_config_selectorIdLb1EEEZNS1_14transform_implILb1ES3_S5_PdS7_NS0_8identityIdEEEE10hipError_tT2_T3_mT4_P12ihipStream_tbEUlT_E_NS1_11comp_targetILNS1_3genE0ELNS1_11target_archE4294967295ELNS1_3gpuE0ELNS1_3repE0EEENS1_30default_config_static_selectorELNS0_4arch9wavefront6targetE1EEEvT1_,comdat
	.protected	_ZN7rocprim17ROCPRIM_400000_NS6detail17trampoline_kernelINS0_14default_configENS1_25transform_config_selectorIdLb1EEEZNS1_14transform_implILb1ES3_S5_PdS7_NS0_8identityIdEEEE10hipError_tT2_T3_mT4_P12ihipStream_tbEUlT_E_NS1_11comp_targetILNS1_3genE0ELNS1_11target_archE4294967295ELNS1_3gpuE0ELNS1_3repE0EEENS1_30default_config_static_selectorELNS0_4arch9wavefront6targetE1EEEvT1_ ; -- Begin function _ZN7rocprim17ROCPRIM_400000_NS6detail17trampoline_kernelINS0_14default_configENS1_25transform_config_selectorIdLb1EEEZNS1_14transform_implILb1ES3_S5_PdS7_NS0_8identityIdEEEE10hipError_tT2_T3_mT4_P12ihipStream_tbEUlT_E_NS1_11comp_targetILNS1_3genE0ELNS1_11target_archE4294967295ELNS1_3gpuE0ELNS1_3repE0EEENS1_30default_config_static_selectorELNS0_4arch9wavefront6targetE1EEEvT1_
	.globl	_ZN7rocprim17ROCPRIM_400000_NS6detail17trampoline_kernelINS0_14default_configENS1_25transform_config_selectorIdLb1EEEZNS1_14transform_implILb1ES3_S5_PdS7_NS0_8identityIdEEEE10hipError_tT2_T3_mT4_P12ihipStream_tbEUlT_E_NS1_11comp_targetILNS1_3genE0ELNS1_11target_archE4294967295ELNS1_3gpuE0ELNS1_3repE0EEENS1_30default_config_static_selectorELNS0_4arch9wavefront6targetE1EEEvT1_
	.p2align	8
	.type	_ZN7rocprim17ROCPRIM_400000_NS6detail17trampoline_kernelINS0_14default_configENS1_25transform_config_selectorIdLb1EEEZNS1_14transform_implILb1ES3_S5_PdS7_NS0_8identityIdEEEE10hipError_tT2_T3_mT4_P12ihipStream_tbEUlT_E_NS1_11comp_targetILNS1_3genE0ELNS1_11target_archE4294967295ELNS1_3gpuE0ELNS1_3repE0EEENS1_30default_config_static_selectorELNS0_4arch9wavefront6targetE1EEEvT1_,@function
_ZN7rocprim17ROCPRIM_400000_NS6detail17trampoline_kernelINS0_14default_configENS1_25transform_config_selectorIdLb1EEEZNS1_14transform_implILb1ES3_S5_PdS7_NS0_8identityIdEEEE10hipError_tT2_T3_mT4_P12ihipStream_tbEUlT_E_NS1_11comp_targetILNS1_3genE0ELNS1_11target_archE4294967295ELNS1_3gpuE0ELNS1_3repE0EEENS1_30default_config_static_selectorELNS0_4arch9wavefront6targetE1EEEvT1_: ; @_ZN7rocprim17ROCPRIM_400000_NS6detail17trampoline_kernelINS0_14default_configENS1_25transform_config_selectorIdLb1EEEZNS1_14transform_implILb1ES3_S5_PdS7_NS0_8identityIdEEEE10hipError_tT2_T3_mT4_P12ihipStream_tbEUlT_E_NS1_11comp_targetILNS1_3genE0ELNS1_11target_archE4294967295ELNS1_3gpuE0ELNS1_3repE0EEENS1_30default_config_static_selectorELNS0_4arch9wavefront6targetE1EEEvT1_
; %bb.0:
	.section	.rodata,"a",@progbits
	.p2align	6, 0x0
	.amdhsa_kernel _ZN7rocprim17ROCPRIM_400000_NS6detail17trampoline_kernelINS0_14default_configENS1_25transform_config_selectorIdLb1EEEZNS1_14transform_implILb1ES3_S5_PdS7_NS0_8identityIdEEEE10hipError_tT2_T3_mT4_P12ihipStream_tbEUlT_E_NS1_11comp_targetILNS1_3genE0ELNS1_11target_archE4294967295ELNS1_3gpuE0ELNS1_3repE0EEENS1_30default_config_static_selectorELNS0_4arch9wavefront6targetE1EEEvT1_
		.amdhsa_group_segment_fixed_size 0
		.amdhsa_private_segment_fixed_size 0
		.amdhsa_kernarg_size 40
		.amdhsa_user_sgpr_count 6
		.amdhsa_user_sgpr_private_segment_buffer 1
		.amdhsa_user_sgpr_dispatch_ptr 0
		.amdhsa_user_sgpr_queue_ptr 0
		.amdhsa_user_sgpr_kernarg_segment_ptr 1
		.amdhsa_user_sgpr_dispatch_id 0
		.amdhsa_user_sgpr_flat_scratch_init 0
		.amdhsa_user_sgpr_kernarg_preload_length 0
		.amdhsa_user_sgpr_kernarg_preload_offset 0
		.amdhsa_user_sgpr_private_segment_size 0
		.amdhsa_uses_dynamic_stack 0
		.amdhsa_system_sgpr_private_segment_wavefront_offset 0
		.amdhsa_system_sgpr_workgroup_id_x 1
		.amdhsa_system_sgpr_workgroup_id_y 0
		.amdhsa_system_sgpr_workgroup_id_z 0
		.amdhsa_system_sgpr_workgroup_info 0
		.amdhsa_system_vgpr_workitem_id 0
		.amdhsa_next_free_vgpr 1
		.amdhsa_next_free_sgpr 0
		.amdhsa_accum_offset 4
		.amdhsa_reserve_vcc 0
		.amdhsa_reserve_flat_scratch 0
		.amdhsa_float_round_mode_32 0
		.amdhsa_float_round_mode_16_64 0
		.amdhsa_float_denorm_mode_32 3
		.amdhsa_float_denorm_mode_16_64 3
		.amdhsa_dx10_clamp 1
		.amdhsa_ieee_mode 1
		.amdhsa_fp16_overflow 0
		.amdhsa_tg_split 0
		.amdhsa_exception_fp_ieee_invalid_op 0
		.amdhsa_exception_fp_denorm_src 0
		.amdhsa_exception_fp_ieee_div_zero 0
		.amdhsa_exception_fp_ieee_overflow 0
		.amdhsa_exception_fp_ieee_underflow 0
		.amdhsa_exception_fp_ieee_inexact 0
		.amdhsa_exception_int_div_zero 0
	.end_amdhsa_kernel
	.section	.text._ZN7rocprim17ROCPRIM_400000_NS6detail17trampoline_kernelINS0_14default_configENS1_25transform_config_selectorIdLb1EEEZNS1_14transform_implILb1ES3_S5_PdS7_NS0_8identityIdEEEE10hipError_tT2_T3_mT4_P12ihipStream_tbEUlT_E_NS1_11comp_targetILNS1_3genE0ELNS1_11target_archE4294967295ELNS1_3gpuE0ELNS1_3repE0EEENS1_30default_config_static_selectorELNS0_4arch9wavefront6targetE1EEEvT1_,"axG",@progbits,_ZN7rocprim17ROCPRIM_400000_NS6detail17trampoline_kernelINS0_14default_configENS1_25transform_config_selectorIdLb1EEEZNS1_14transform_implILb1ES3_S5_PdS7_NS0_8identityIdEEEE10hipError_tT2_T3_mT4_P12ihipStream_tbEUlT_E_NS1_11comp_targetILNS1_3genE0ELNS1_11target_archE4294967295ELNS1_3gpuE0ELNS1_3repE0EEENS1_30default_config_static_selectorELNS0_4arch9wavefront6targetE1EEEvT1_,comdat
.Lfunc_end1346:
	.size	_ZN7rocprim17ROCPRIM_400000_NS6detail17trampoline_kernelINS0_14default_configENS1_25transform_config_selectorIdLb1EEEZNS1_14transform_implILb1ES3_S5_PdS7_NS0_8identityIdEEEE10hipError_tT2_T3_mT4_P12ihipStream_tbEUlT_E_NS1_11comp_targetILNS1_3genE0ELNS1_11target_archE4294967295ELNS1_3gpuE0ELNS1_3repE0EEENS1_30default_config_static_selectorELNS0_4arch9wavefront6targetE1EEEvT1_, .Lfunc_end1346-_ZN7rocprim17ROCPRIM_400000_NS6detail17trampoline_kernelINS0_14default_configENS1_25transform_config_selectorIdLb1EEEZNS1_14transform_implILb1ES3_S5_PdS7_NS0_8identityIdEEEE10hipError_tT2_T3_mT4_P12ihipStream_tbEUlT_E_NS1_11comp_targetILNS1_3genE0ELNS1_11target_archE4294967295ELNS1_3gpuE0ELNS1_3repE0EEENS1_30default_config_static_selectorELNS0_4arch9wavefront6targetE1EEEvT1_
                                        ; -- End function
	.section	.AMDGPU.csdata,"",@progbits
; Kernel info:
; codeLenInByte = 0
; NumSgprs: 4
; NumVgprs: 0
; NumAgprs: 0
; TotalNumVgprs: 0
; ScratchSize: 0
; MemoryBound: 0
; FloatMode: 240
; IeeeMode: 1
; LDSByteSize: 0 bytes/workgroup (compile time only)
; SGPRBlocks: 0
; VGPRBlocks: 0
; NumSGPRsForWavesPerEU: 4
; NumVGPRsForWavesPerEU: 1
; AccumOffset: 4
; Occupancy: 8
; WaveLimiterHint : 0
; COMPUTE_PGM_RSRC2:SCRATCH_EN: 0
; COMPUTE_PGM_RSRC2:USER_SGPR: 6
; COMPUTE_PGM_RSRC2:TRAP_HANDLER: 0
; COMPUTE_PGM_RSRC2:TGID_X_EN: 1
; COMPUTE_PGM_RSRC2:TGID_Y_EN: 0
; COMPUTE_PGM_RSRC2:TGID_Z_EN: 0
; COMPUTE_PGM_RSRC2:TIDIG_COMP_CNT: 0
; COMPUTE_PGM_RSRC3_GFX90A:ACCUM_OFFSET: 0
; COMPUTE_PGM_RSRC3_GFX90A:TG_SPLIT: 0
	.section	.text._ZN7rocprim17ROCPRIM_400000_NS6detail17trampoline_kernelINS0_14default_configENS1_25transform_config_selectorIdLb1EEEZNS1_14transform_implILb1ES3_S5_PdS7_NS0_8identityIdEEEE10hipError_tT2_T3_mT4_P12ihipStream_tbEUlT_E_NS1_11comp_targetILNS1_3genE10ELNS1_11target_archE1201ELNS1_3gpuE5ELNS1_3repE0EEENS1_30default_config_static_selectorELNS0_4arch9wavefront6targetE1EEEvT1_,"axG",@progbits,_ZN7rocprim17ROCPRIM_400000_NS6detail17trampoline_kernelINS0_14default_configENS1_25transform_config_selectorIdLb1EEEZNS1_14transform_implILb1ES3_S5_PdS7_NS0_8identityIdEEEE10hipError_tT2_T3_mT4_P12ihipStream_tbEUlT_E_NS1_11comp_targetILNS1_3genE10ELNS1_11target_archE1201ELNS1_3gpuE5ELNS1_3repE0EEENS1_30default_config_static_selectorELNS0_4arch9wavefront6targetE1EEEvT1_,comdat
	.protected	_ZN7rocprim17ROCPRIM_400000_NS6detail17trampoline_kernelINS0_14default_configENS1_25transform_config_selectorIdLb1EEEZNS1_14transform_implILb1ES3_S5_PdS7_NS0_8identityIdEEEE10hipError_tT2_T3_mT4_P12ihipStream_tbEUlT_E_NS1_11comp_targetILNS1_3genE10ELNS1_11target_archE1201ELNS1_3gpuE5ELNS1_3repE0EEENS1_30default_config_static_selectorELNS0_4arch9wavefront6targetE1EEEvT1_ ; -- Begin function _ZN7rocprim17ROCPRIM_400000_NS6detail17trampoline_kernelINS0_14default_configENS1_25transform_config_selectorIdLb1EEEZNS1_14transform_implILb1ES3_S5_PdS7_NS0_8identityIdEEEE10hipError_tT2_T3_mT4_P12ihipStream_tbEUlT_E_NS1_11comp_targetILNS1_3genE10ELNS1_11target_archE1201ELNS1_3gpuE5ELNS1_3repE0EEENS1_30default_config_static_selectorELNS0_4arch9wavefront6targetE1EEEvT1_
	.globl	_ZN7rocprim17ROCPRIM_400000_NS6detail17trampoline_kernelINS0_14default_configENS1_25transform_config_selectorIdLb1EEEZNS1_14transform_implILb1ES3_S5_PdS7_NS0_8identityIdEEEE10hipError_tT2_T3_mT4_P12ihipStream_tbEUlT_E_NS1_11comp_targetILNS1_3genE10ELNS1_11target_archE1201ELNS1_3gpuE5ELNS1_3repE0EEENS1_30default_config_static_selectorELNS0_4arch9wavefront6targetE1EEEvT1_
	.p2align	8
	.type	_ZN7rocprim17ROCPRIM_400000_NS6detail17trampoline_kernelINS0_14default_configENS1_25transform_config_selectorIdLb1EEEZNS1_14transform_implILb1ES3_S5_PdS7_NS0_8identityIdEEEE10hipError_tT2_T3_mT4_P12ihipStream_tbEUlT_E_NS1_11comp_targetILNS1_3genE10ELNS1_11target_archE1201ELNS1_3gpuE5ELNS1_3repE0EEENS1_30default_config_static_selectorELNS0_4arch9wavefront6targetE1EEEvT1_,@function
_ZN7rocprim17ROCPRIM_400000_NS6detail17trampoline_kernelINS0_14default_configENS1_25transform_config_selectorIdLb1EEEZNS1_14transform_implILb1ES3_S5_PdS7_NS0_8identityIdEEEE10hipError_tT2_T3_mT4_P12ihipStream_tbEUlT_E_NS1_11comp_targetILNS1_3genE10ELNS1_11target_archE1201ELNS1_3gpuE5ELNS1_3repE0EEENS1_30default_config_static_selectorELNS0_4arch9wavefront6targetE1EEEvT1_: ; @_ZN7rocprim17ROCPRIM_400000_NS6detail17trampoline_kernelINS0_14default_configENS1_25transform_config_selectorIdLb1EEEZNS1_14transform_implILb1ES3_S5_PdS7_NS0_8identityIdEEEE10hipError_tT2_T3_mT4_P12ihipStream_tbEUlT_E_NS1_11comp_targetILNS1_3genE10ELNS1_11target_archE1201ELNS1_3gpuE5ELNS1_3repE0EEENS1_30default_config_static_selectorELNS0_4arch9wavefront6targetE1EEEvT1_
; %bb.0:
	.section	.rodata,"a",@progbits
	.p2align	6, 0x0
	.amdhsa_kernel _ZN7rocprim17ROCPRIM_400000_NS6detail17trampoline_kernelINS0_14default_configENS1_25transform_config_selectorIdLb1EEEZNS1_14transform_implILb1ES3_S5_PdS7_NS0_8identityIdEEEE10hipError_tT2_T3_mT4_P12ihipStream_tbEUlT_E_NS1_11comp_targetILNS1_3genE10ELNS1_11target_archE1201ELNS1_3gpuE5ELNS1_3repE0EEENS1_30default_config_static_selectorELNS0_4arch9wavefront6targetE1EEEvT1_
		.amdhsa_group_segment_fixed_size 0
		.amdhsa_private_segment_fixed_size 0
		.amdhsa_kernarg_size 40
		.amdhsa_user_sgpr_count 6
		.amdhsa_user_sgpr_private_segment_buffer 1
		.amdhsa_user_sgpr_dispatch_ptr 0
		.amdhsa_user_sgpr_queue_ptr 0
		.amdhsa_user_sgpr_kernarg_segment_ptr 1
		.amdhsa_user_sgpr_dispatch_id 0
		.amdhsa_user_sgpr_flat_scratch_init 0
		.amdhsa_user_sgpr_kernarg_preload_length 0
		.amdhsa_user_sgpr_kernarg_preload_offset 0
		.amdhsa_user_sgpr_private_segment_size 0
		.amdhsa_uses_dynamic_stack 0
		.amdhsa_system_sgpr_private_segment_wavefront_offset 0
		.amdhsa_system_sgpr_workgroup_id_x 1
		.amdhsa_system_sgpr_workgroup_id_y 0
		.amdhsa_system_sgpr_workgroup_id_z 0
		.amdhsa_system_sgpr_workgroup_info 0
		.amdhsa_system_vgpr_workitem_id 0
		.amdhsa_next_free_vgpr 1
		.amdhsa_next_free_sgpr 0
		.amdhsa_accum_offset 4
		.amdhsa_reserve_vcc 0
		.amdhsa_reserve_flat_scratch 0
		.amdhsa_float_round_mode_32 0
		.amdhsa_float_round_mode_16_64 0
		.amdhsa_float_denorm_mode_32 3
		.amdhsa_float_denorm_mode_16_64 3
		.amdhsa_dx10_clamp 1
		.amdhsa_ieee_mode 1
		.amdhsa_fp16_overflow 0
		.amdhsa_tg_split 0
		.amdhsa_exception_fp_ieee_invalid_op 0
		.amdhsa_exception_fp_denorm_src 0
		.amdhsa_exception_fp_ieee_div_zero 0
		.amdhsa_exception_fp_ieee_overflow 0
		.amdhsa_exception_fp_ieee_underflow 0
		.amdhsa_exception_fp_ieee_inexact 0
		.amdhsa_exception_int_div_zero 0
	.end_amdhsa_kernel
	.section	.text._ZN7rocprim17ROCPRIM_400000_NS6detail17trampoline_kernelINS0_14default_configENS1_25transform_config_selectorIdLb1EEEZNS1_14transform_implILb1ES3_S5_PdS7_NS0_8identityIdEEEE10hipError_tT2_T3_mT4_P12ihipStream_tbEUlT_E_NS1_11comp_targetILNS1_3genE10ELNS1_11target_archE1201ELNS1_3gpuE5ELNS1_3repE0EEENS1_30default_config_static_selectorELNS0_4arch9wavefront6targetE1EEEvT1_,"axG",@progbits,_ZN7rocprim17ROCPRIM_400000_NS6detail17trampoline_kernelINS0_14default_configENS1_25transform_config_selectorIdLb1EEEZNS1_14transform_implILb1ES3_S5_PdS7_NS0_8identityIdEEEE10hipError_tT2_T3_mT4_P12ihipStream_tbEUlT_E_NS1_11comp_targetILNS1_3genE10ELNS1_11target_archE1201ELNS1_3gpuE5ELNS1_3repE0EEENS1_30default_config_static_selectorELNS0_4arch9wavefront6targetE1EEEvT1_,comdat
.Lfunc_end1347:
	.size	_ZN7rocprim17ROCPRIM_400000_NS6detail17trampoline_kernelINS0_14default_configENS1_25transform_config_selectorIdLb1EEEZNS1_14transform_implILb1ES3_S5_PdS7_NS0_8identityIdEEEE10hipError_tT2_T3_mT4_P12ihipStream_tbEUlT_E_NS1_11comp_targetILNS1_3genE10ELNS1_11target_archE1201ELNS1_3gpuE5ELNS1_3repE0EEENS1_30default_config_static_selectorELNS0_4arch9wavefront6targetE1EEEvT1_, .Lfunc_end1347-_ZN7rocprim17ROCPRIM_400000_NS6detail17trampoline_kernelINS0_14default_configENS1_25transform_config_selectorIdLb1EEEZNS1_14transform_implILb1ES3_S5_PdS7_NS0_8identityIdEEEE10hipError_tT2_T3_mT4_P12ihipStream_tbEUlT_E_NS1_11comp_targetILNS1_3genE10ELNS1_11target_archE1201ELNS1_3gpuE5ELNS1_3repE0EEENS1_30default_config_static_selectorELNS0_4arch9wavefront6targetE1EEEvT1_
                                        ; -- End function
	.section	.AMDGPU.csdata,"",@progbits
; Kernel info:
; codeLenInByte = 0
; NumSgprs: 4
; NumVgprs: 0
; NumAgprs: 0
; TotalNumVgprs: 0
; ScratchSize: 0
; MemoryBound: 0
; FloatMode: 240
; IeeeMode: 1
; LDSByteSize: 0 bytes/workgroup (compile time only)
; SGPRBlocks: 0
; VGPRBlocks: 0
; NumSGPRsForWavesPerEU: 4
; NumVGPRsForWavesPerEU: 1
; AccumOffset: 4
; Occupancy: 8
; WaveLimiterHint : 0
; COMPUTE_PGM_RSRC2:SCRATCH_EN: 0
; COMPUTE_PGM_RSRC2:USER_SGPR: 6
; COMPUTE_PGM_RSRC2:TRAP_HANDLER: 0
; COMPUTE_PGM_RSRC2:TGID_X_EN: 1
; COMPUTE_PGM_RSRC2:TGID_Y_EN: 0
; COMPUTE_PGM_RSRC2:TGID_Z_EN: 0
; COMPUTE_PGM_RSRC2:TIDIG_COMP_CNT: 0
; COMPUTE_PGM_RSRC3_GFX90A:ACCUM_OFFSET: 0
; COMPUTE_PGM_RSRC3_GFX90A:TG_SPLIT: 0
	.section	.text._ZN7rocprim17ROCPRIM_400000_NS6detail17trampoline_kernelINS0_14default_configENS1_25transform_config_selectorIdLb1EEEZNS1_14transform_implILb1ES3_S5_PdS7_NS0_8identityIdEEEE10hipError_tT2_T3_mT4_P12ihipStream_tbEUlT_E_NS1_11comp_targetILNS1_3genE5ELNS1_11target_archE942ELNS1_3gpuE9ELNS1_3repE0EEENS1_30default_config_static_selectorELNS0_4arch9wavefront6targetE1EEEvT1_,"axG",@progbits,_ZN7rocprim17ROCPRIM_400000_NS6detail17trampoline_kernelINS0_14default_configENS1_25transform_config_selectorIdLb1EEEZNS1_14transform_implILb1ES3_S5_PdS7_NS0_8identityIdEEEE10hipError_tT2_T3_mT4_P12ihipStream_tbEUlT_E_NS1_11comp_targetILNS1_3genE5ELNS1_11target_archE942ELNS1_3gpuE9ELNS1_3repE0EEENS1_30default_config_static_selectorELNS0_4arch9wavefront6targetE1EEEvT1_,comdat
	.protected	_ZN7rocprim17ROCPRIM_400000_NS6detail17trampoline_kernelINS0_14default_configENS1_25transform_config_selectorIdLb1EEEZNS1_14transform_implILb1ES3_S5_PdS7_NS0_8identityIdEEEE10hipError_tT2_T3_mT4_P12ihipStream_tbEUlT_E_NS1_11comp_targetILNS1_3genE5ELNS1_11target_archE942ELNS1_3gpuE9ELNS1_3repE0EEENS1_30default_config_static_selectorELNS0_4arch9wavefront6targetE1EEEvT1_ ; -- Begin function _ZN7rocprim17ROCPRIM_400000_NS6detail17trampoline_kernelINS0_14default_configENS1_25transform_config_selectorIdLb1EEEZNS1_14transform_implILb1ES3_S5_PdS7_NS0_8identityIdEEEE10hipError_tT2_T3_mT4_P12ihipStream_tbEUlT_E_NS1_11comp_targetILNS1_3genE5ELNS1_11target_archE942ELNS1_3gpuE9ELNS1_3repE0EEENS1_30default_config_static_selectorELNS0_4arch9wavefront6targetE1EEEvT1_
	.globl	_ZN7rocprim17ROCPRIM_400000_NS6detail17trampoline_kernelINS0_14default_configENS1_25transform_config_selectorIdLb1EEEZNS1_14transform_implILb1ES3_S5_PdS7_NS0_8identityIdEEEE10hipError_tT2_T3_mT4_P12ihipStream_tbEUlT_E_NS1_11comp_targetILNS1_3genE5ELNS1_11target_archE942ELNS1_3gpuE9ELNS1_3repE0EEENS1_30default_config_static_selectorELNS0_4arch9wavefront6targetE1EEEvT1_
	.p2align	8
	.type	_ZN7rocprim17ROCPRIM_400000_NS6detail17trampoline_kernelINS0_14default_configENS1_25transform_config_selectorIdLb1EEEZNS1_14transform_implILb1ES3_S5_PdS7_NS0_8identityIdEEEE10hipError_tT2_T3_mT4_P12ihipStream_tbEUlT_E_NS1_11comp_targetILNS1_3genE5ELNS1_11target_archE942ELNS1_3gpuE9ELNS1_3repE0EEENS1_30default_config_static_selectorELNS0_4arch9wavefront6targetE1EEEvT1_,@function
_ZN7rocprim17ROCPRIM_400000_NS6detail17trampoline_kernelINS0_14default_configENS1_25transform_config_selectorIdLb1EEEZNS1_14transform_implILb1ES3_S5_PdS7_NS0_8identityIdEEEE10hipError_tT2_T3_mT4_P12ihipStream_tbEUlT_E_NS1_11comp_targetILNS1_3genE5ELNS1_11target_archE942ELNS1_3gpuE9ELNS1_3repE0EEENS1_30default_config_static_selectorELNS0_4arch9wavefront6targetE1EEEvT1_: ; @_ZN7rocprim17ROCPRIM_400000_NS6detail17trampoline_kernelINS0_14default_configENS1_25transform_config_selectorIdLb1EEEZNS1_14transform_implILb1ES3_S5_PdS7_NS0_8identityIdEEEE10hipError_tT2_T3_mT4_P12ihipStream_tbEUlT_E_NS1_11comp_targetILNS1_3genE5ELNS1_11target_archE942ELNS1_3gpuE9ELNS1_3repE0EEENS1_30default_config_static_selectorELNS0_4arch9wavefront6targetE1EEEvT1_
; %bb.0:
	.section	.rodata,"a",@progbits
	.p2align	6, 0x0
	.amdhsa_kernel _ZN7rocprim17ROCPRIM_400000_NS6detail17trampoline_kernelINS0_14default_configENS1_25transform_config_selectorIdLb1EEEZNS1_14transform_implILb1ES3_S5_PdS7_NS0_8identityIdEEEE10hipError_tT2_T3_mT4_P12ihipStream_tbEUlT_E_NS1_11comp_targetILNS1_3genE5ELNS1_11target_archE942ELNS1_3gpuE9ELNS1_3repE0EEENS1_30default_config_static_selectorELNS0_4arch9wavefront6targetE1EEEvT1_
		.amdhsa_group_segment_fixed_size 0
		.amdhsa_private_segment_fixed_size 0
		.amdhsa_kernarg_size 40
		.amdhsa_user_sgpr_count 6
		.amdhsa_user_sgpr_private_segment_buffer 1
		.amdhsa_user_sgpr_dispatch_ptr 0
		.amdhsa_user_sgpr_queue_ptr 0
		.amdhsa_user_sgpr_kernarg_segment_ptr 1
		.amdhsa_user_sgpr_dispatch_id 0
		.amdhsa_user_sgpr_flat_scratch_init 0
		.amdhsa_user_sgpr_kernarg_preload_length 0
		.amdhsa_user_sgpr_kernarg_preload_offset 0
		.amdhsa_user_sgpr_private_segment_size 0
		.amdhsa_uses_dynamic_stack 0
		.amdhsa_system_sgpr_private_segment_wavefront_offset 0
		.amdhsa_system_sgpr_workgroup_id_x 1
		.amdhsa_system_sgpr_workgroup_id_y 0
		.amdhsa_system_sgpr_workgroup_id_z 0
		.amdhsa_system_sgpr_workgroup_info 0
		.amdhsa_system_vgpr_workitem_id 0
		.amdhsa_next_free_vgpr 1
		.amdhsa_next_free_sgpr 0
		.amdhsa_accum_offset 4
		.amdhsa_reserve_vcc 0
		.amdhsa_reserve_flat_scratch 0
		.amdhsa_float_round_mode_32 0
		.amdhsa_float_round_mode_16_64 0
		.amdhsa_float_denorm_mode_32 3
		.amdhsa_float_denorm_mode_16_64 3
		.amdhsa_dx10_clamp 1
		.amdhsa_ieee_mode 1
		.amdhsa_fp16_overflow 0
		.amdhsa_tg_split 0
		.amdhsa_exception_fp_ieee_invalid_op 0
		.amdhsa_exception_fp_denorm_src 0
		.amdhsa_exception_fp_ieee_div_zero 0
		.amdhsa_exception_fp_ieee_overflow 0
		.amdhsa_exception_fp_ieee_underflow 0
		.amdhsa_exception_fp_ieee_inexact 0
		.amdhsa_exception_int_div_zero 0
	.end_amdhsa_kernel
	.section	.text._ZN7rocprim17ROCPRIM_400000_NS6detail17trampoline_kernelINS0_14default_configENS1_25transform_config_selectorIdLb1EEEZNS1_14transform_implILb1ES3_S5_PdS7_NS0_8identityIdEEEE10hipError_tT2_T3_mT4_P12ihipStream_tbEUlT_E_NS1_11comp_targetILNS1_3genE5ELNS1_11target_archE942ELNS1_3gpuE9ELNS1_3repE0EEENS1_30default_config_static_selectorELNS0_4arch9wavefront6targetE1EEEvT1_,"axG",@progbits,_ZN7rocprim17ROCPRIM_400000_NS6detail17trampoline_kernelINS0_14default_configENS1_25transform_config_selectorIdLb1EEEZNS1_14transform_implILb1ES3_S5_PdS7_NS0_8identityIdEEEE10hipError_tT2_T3_mT4_P12ihipStream_tbEUlT_E_NS1_11comp_targetILNS1_3genE5ELNS1_11target_archE942ELNS1_3gpuE9ELNS1_3repE0EEENS1_30default_config_static_selectorELNS0_4arch9wavefront6targetE1EEEvT1_,comdat
.Lfunc_end1348:
	.size	_ZN7rocprim17ROCPRIM_400000_NS6detail17trampoline_kernelINS0_14default_configENS1_25transform_config_selectorIdLb1EEEZNS1_14transform_implILb1ES3_S5_PdS7_NS0_8identityIdEEEE10hipError_tT2_T3_mT4_P12ihipStream_tbEUlT_E_NS1_11comp_targetILNS1_3genE5ELNS1_11target_archE942ELNS1_3gpuE9ELNS1_3repE0EEENS1_30default_config_static_selectorELNS0_4arch9wavefront6targetE1EEEvT1_, .Lfunc_end1348-_ZN7rocprim17ROCPRIM_400000_NS6detail17trampoline_kernelINS0_14default_configENS1_25transform_config_selectorIdLb1EEEZNS1_14transform_implILb1ES3_S5_PdS7_NS0_8identityIdEEEE10hipError_tT2_T3_mT4_P12ihipStream_tbEUlT_E_NS1_11comp_targetILNS1_3genE5ELNS1_11target_archE942ELNS1_3gpuE9ELNS1_3repE0EEENS1_30default_config_static_selectorELNS0_4arch9wavefront6targetE1EEEvT1_
                                        ; -- End function
	.section	.AMDGPU.csdata,"",@progbits
; Kernel info:
; codeLenInByte = 0
; NumSgprs: 4
; NumVgprs: 0
; NumAgprs: 0
; TotalNumVgprs: 0
; ScratchSize: 0
; MemoryBound: 0
; FloatMode: 240
; IeeeMode: 1
; LDSByteSize: 0 bytes/workgroup (compile time only)
; SGPRBlocks: 0
; VGPRBlocks: 0
; NumSGPRsForWavesPerEU: 4
; NumVGPRsForWavesPerEU: 1
; AccumOffset: 4
; Occupancy: 8
; WaveLimiterHint : 0
; COMPUTE_PGM_RSRC2:SCRATCH_EN: 0
; COMPUTE_PGM_RSRC2:USER_SGPR: 6
; COMPUTE_PGM_RSRC2:TRAP_HANDLER: 0
; COMPUTE_PGM_RSRC2:TGID_X_EN: 1
; COMPUTE_PGM_RSRC2:TGID_Y_EN: 0
; COMPUTE_PGM_RSRC2:TGID_Z_EN: 0
; COMPUTE_PGM_RSRC2:TIDIG_COMP_CNT: 0
; COMPUTE_PGM_RSRC3_GFX90A:ACCUM_OFFSET: 0
; COMPUTE_PGM_RSRC3_GFX90A:TG_SPLIT: 0
	.section	.text._ZN7rocprim17ROCPRIM_400000_NS6detail17trampoline_kernelINS0_14default_configENS1_25transform_config_selectorIdLb1EEEZNS1_14transform_implILb1ES3_S5_PdS7_NS0_8identityIdEEEE10hipError_tT2_T3_mT4_P12ihipStream_tbEUlT_E_NS1_11comp_targetILNS1_3genE4ELNS1_11target_archE910ELNS1_3gpuE8ELNS1_3repE0EEENS1_30default_config_static_selectorELNS0_4arch9wavefront6targetE1EEEvT1_,"axG",@progbits,_ZN7rocprim17ROCPRIM_400000_NS6detail17trampoline_kernelINS0_14default_configENS1_25transform_config_selectorIdLb1EEEZNS1_14transform_implILb1ES3_S5_PdS7_NS0_8identityIdEEEE10hipError_tT2_T3_mT4_P12ihipStream_tbEUlT_E_NS1_11comp_targetILNS1_3genE4ELNS1_11target_archE910ELNS1_3gpuE8ELNS1_3repE0EEENS1_30default_config_static_selectorELNS0_4arch9wavefront6targetE1EEEvT1_,comdat
	.protected	_ZN7rocprim17ROCPRIM_400000_NS6detail17trampoline_kernelINS0_14default_configENS1_25transform_config_selectorIdLb1EEEZNS1_14transform_implILb1ES3_S5_PdS7_NS0_8identityIdEEEE10hipError_tT2_T3_mT4_P12ihipStream_tbEUlT_E_NS1_11comp_targetILNS1_3genE4ELNS1_11target_archE910ELNS1_3gpuE8ELNS1_3repE0EEENS1_30default_config_static_selectorELNS0_4arch9wavefront6targetE1EEEvT1_ ; -- Begin function _ZN7rocprim17ROCPRIM_400000_NS6detail17trampoline_kernelINS0_14default_configENS1_25transform_config_selectorIdLb1EEEZNS1_14transform_implILb1ES3_S5_PdS7_NS0_8identityIdEEEE10hipError_tT2_T3_mT4_P12ihipStream_tbEUlT_E_NS1_11comp_targetILNS1_3genE4ELNS1_11target_archE910ELNS1_3gpuE8ELNS1_3repE0EEENS1_30default_config_static_selectorELNS0_4arch9wavefront6targetE1EEEvT1_
	.globl	_ZN7rocprim17ROCPRIM_400000_NS6detail17trampoline_kernelINS0_14default_configENS1_25transform_config_selectorIdLb1EEEZNS1_14transform_implILb1ES3_S5_PdS7_NS0_8identityIdEEEE10hipError_tT2_T3_mT4_P12ihipStream_tbEUlT_E_NS1_11comp_targetILNS1_3genE4ELNS1_11target_archE910ELNS1_3gpuE8ELNS1_3repE0EEENS1_30default_config_static_selectorELNS0_4arch9wavefront6targetE1EEEvT1_
	.p2align	8
	.type	_ZN7rocprim17ROCPRIM_400000_NS6detail17trampoline_kernelINS0_14default_configENS1_25transform_config_selectorIdLb1EEEZNS1_14transform_implILb1ES3_S5_PdS7_NS0_8identityIdEEEE10hipError_tT2_T3_mT4_P12ihipStream_tbEUlT_E_NS1_11comp_targetILNS1_3genE4ELNS1_11target_archE910ELNS1_3gpuE8ELNS1_3repE0EEENS1_30default_config_static_selectorELNS0_4arch9wavefront6targetE1EEEvT1_,@function
_ZN7rocprim17ROCPRIM_400000_NS6detail17trampoline_kernelINS0_14default_configENS1_25transform_config_selectorIdLb1EEEZNS1_14transform_implILb1ES3_S5_PdS7_NS0_8identityIdEEEE10hipError_tT2_T3_mT4_P12ihipStream_tbEUlT_E_NS1_11comp_targetILNS1_3genE4ELNS1_11target_archE910ELNS1_3gpuE8ELNS1_3repE0EEENS1_30default_config_static_selectorELNS0_4arch9wavefront6targetE1EEEvT1_: ; @_ZN7rocprim17ROCPRIM_400000_NS6detail17trampoline_kernelINS0_14default_configENS1_25transform_config_selectorIdLb1EEEZNS1_14transform_implILb1ES3_S5_PdS7_NS0_8identityIdEEEE10hipError_tT2_T3_mT4_P12ihipStream_tbEUlT_E_NS1_11comp_targetILNS1_3genE4ELNS1_11target_archE910ELNS1_3gpuE8ELNS1_3repE0EEENS1_30default_config_static_selectorELNS0_4arch9wavefront6targetE1EEEvT1_
; %bb.0:
	s_load_dwordx8 s[8:15], s[4:5], 0x0
	s_load_dword s2, s[4:5], 0x28
	s_waitcnt lgkmcnt(0)
	s_lshl_b64 s[0:1], s[10:11], 3
	s_add_u32 s4, s8, s0
	s_addc_u32 s5, s9, s1
	s_add_u32 s8, s14, s0
	s_addc_u32 s9, s15, s1
	s_lshl_b32 s0, s6, 11
	s_mov_b32 s1, 0
	s_add_i32 s7, s2, -1
	s_lshl_b64 s[2:3], s[0:1], 3
	s_add_u32 s4, s4, s2
	s_addc_u32 s5, s5, s3
	s_cmp_lg_u32 s6, s7
	s_mov_b64 s[6:7], -1
	s_cbranch_scc0 .LBB1349_2
; %bb.1:
	v_lshlrev_b32_e32 v1, 4, v0
	global_load_dwordx4 v[2:5], v1, s[4:5]
	s_add_u32 s6, s8, s2
	s_addc_u32 s7, s9, s3
	s_waitcnt vmcnt(0)
	global_store_dwordx4 v1, v[2:5], s[6:7]
	s_mov_b64 s[6:7], 0
.LBB1349_2:
	s_andn2_b64 vcc, exec, s[6:7]
	s_cbranch_vccnz .LBB1349_11
; %bb.3:
	s_sub_i32 s6, s12, s0
	v_cmp_gt_u32_e32 vcc, s6, v0
	v_lshlrev_b32_e32 v1, 3, v0
                                        ; implicit-def: $vgpr2_vgpr3_vgpr4_vgpr5
	s_and_saveexec_b64 s[0:1], vcc
	s_cbranch_execz .LBB1349_5
; %bb.4:
	global_load_dwordx2 v[2:3], v1, s[4:5]
.LBB1349_5:
	s_or_b64 exec, exec, s[0:1]
	v_or_b32_e32 v0, 0x400, v0
	v_cmp_gt_u32_e64 s[0:1], s6, v0
	s_and_saveexec_b64 s[6:7], s[0:1]
	s_cbranch_execz .LBB1349_7
; %bb.6:
	v_lshlrev_b32_e32 v0, 3, v0
	global_load_dwordx2 v[4:5], v0, s[4:5]
.LBB1349_7:
	s_or_b64 exec, exec, s[6:7]
	s_add_u32 s2, s8, s2
	s_addc_u32 s3, s9, s3
	v_mov_b32_e32 v6, s3
	v_add_co_u32_e64 v0, s[2:3], s2, v1
	v_addc_co_u32_e64 v1, s[2:3], 0, v6, s[2:3]
	s_and_saveexec_b64 s[2:3], vcc
	s_cbranch_execz .LBB1349_9
; %bb.8:
	s_waitcnt vmcnt(0)
	global_store_dwordx2 v[0:1], v[2:3], off
.LBB1349_9:
	s_or_b64 exec, exec, s[2:3]
	s_and_saveexec_b64 s[2:3], s[0:1]
	s_cbranch_execz .LBB1349_11
; %bb.10:
	v_add_co_u32_e32 v0, vcc, 0x2000, v0
	v_addc_co_u32_e32 v1, vcc, 0, v1, vcc
	s_waitcnt vmcnt(0)
	global_store_dwordx2 v[0:1], v[4:5], off
.LBB1349_11:
	s_endpgm
	.section	.rodata,"a",@progbits
	.p2align	6, 0x0
	.amdhsa_kernel _ZN7rocprim17ROCPRIM_400000_NS6detail17trampoline_kernelINS0_14default_configENS1_25transform_config_selectorIdLb1EEEZNS1_14transform_implILb1ES3_S5_PdS7_NS0_8identityIdEEEE10hipError_tT2_T3_mT4_P12ihipStream_tbEUlT_E_NS1_11comp_targetILNS1_3genE4ELNS1_11target_archE910ELNS1_3gpuE8ELNS1_3repE0EEENS1_30default_config_static_selectorELNS0_4arch9wavefront6targetE1EEEvT1_
		.amdhsa_group_segment_fixed_size 0
		.amdhsa_private_segment_fixed_size 0
		.amdhsa_kernarg_size 296
		.amdhsa_user_sgpr_count 6
		.amdhsa_user_sgpr_private_segment_buffer 1
		.amdhsa_user_sgpr_dispatch_ptr 0
		.amdhsa_user_sgpr_queue_ptr 0
		.amdhsa_user_sgpr_kernarg_segment_ptr 1
		.amdhsa_user_sgpr_dispatch_id 0
		.amdhsa_user_sgpr_flat_scratch_init 0
		.amdhsa_user_sgpr_kernarg_preload_length 0
		.amdhsa_user_sgpr_kernarg_preload_offset 0
		.amdhsa_user_sgpr_private_segment_size 0
		.amdhsa_uses_dynamic_stack 0
		.amdhsa_system_sgpr_private_segment_wavefront_offset 0
		.amdhsa_system_sgpr_workgroup_id_x 1
		.amdhsa_system_sgpr_workgroup_id_y 0
		.amdhsa_system_sgpr_workgroup_id_z 0
		.amdhsa_system_sgpr_workgroup_info 0
		.amdhsa_system_vgpr_workitem_id 0
		.amdhsa_next_free_vgpr 7
		.amdhsa_next_free_sgpr 16
		.amdhsa_accum_offset 8
		.amdhsa_reserve_vcc 1
		.amdhsa_reserve_flat_scratch 0
		.amdhsa_float_round_mode_32 0
		.amdhsa_float_round_mode_16_64 0
		.amdhsa_float_denorm_mode_32 3
		.amdhsa_float_denorm_mode_16_64 3
		.amdhsa_dx10_clamp 1
		.amdhsa_ieee_mode 1
		.amdhsa_fp16_overflow 0
		.amdhsa_tg_split 0
		.amdhsa_exception_fp_ieee_invalid_op 0
		.amdhsa_exception_fp_denorm_src 0
		.amdhsa_exception_fp_ieee_div_zero 0
		.amdhsa_exception_fp_ieee_overflow 0
		.amdhsa_exception_fp_ieee_underflow 0
		.amdhsa_exception_fp_ieee_inexact 0
		.amdhsa_exception_int_div_zero 0
	.end_amdhsa_kernel
	.section	.text._ZN7rocprim17ROCPRIM_400000_NS6detail17trampoline_kernelINS0_14default_configENS1_25transform_config_selectorIdLb1EEEZNS1_14transform_implILb1ES3_S5_PdS7_NS0_8identityIdEEEE10hipError_tT2_T3_mT4_P12ihipStream_tbEUlT_E_NS1_11comp_targetILNS1_3genE4ELNS1_11target_archE910ELNS1_3gpuE8ELNS1_3repE0EEENS1_30default_config_static_selectorELNS0_4arch9wavefront6targetE1EEEvT1_,"axG",@progbits,_ZN7rocprim17ROCPRIM_400000_NS6detail17trampoline_kernelINS0_14default_configENS1_25transform_config_selectorIdLb1EEEZNS1_14transform_implILb1ES3_S5_PdS7_NS0_8identityIdEEEE10hipError_tT2_T3_mT4_P12ihipStream_tbEUlT_E_NS1_11comp_targetILNS1_3genE4ELNS1_11target_archE910ELNS1_3gpuE8ELNS1_3repE0EEENS1_30default_config_static_selectorELNS0_4arch9wavefront6targetE1EEEvT1_,comdat
.Lfunc_end1349:
	.size	_ZN7rocprim17ROCPRIM_400000_NS6detail17trampoline_kernelINS0_14default_configENS1_25transform_config_selectorIdLb1EEEZNS1_14transform_implILb1ES3_S5_PdS7_NS0_8identityIdEEEE10hipError_tT2_T3_mT4_P12ihipStream_tbEUlT_E_NS1_11comp_targetILNS1_3genE4ELNS1_11target_archE910ELNS1_3gpuE8ELNS1_3repE0EEENS1_30default_config_static_selectorELNS0_4arch9wavefront6targetE1EEEvT1_, .Lfunc_end1349-_ZN7rocprim17ROCPRIM_400000_NS6detail17trampoline_kernelINS0_14default_configENS1_25transform_config_selectorIdLb1EEEZNS1_14transform_implILb1ES3_S5_PdS7_NS0_8identityIdEEEE10hipError_tT2_T3_mT4_P12ihipStream_tbEUlT_E_NS1_11comp_targetILNS1_3genE4ELNS1_11target_archE910ELNS1_3gpuE8ELNS1_3repE0EEENS1_30default_config_static_selectorELNS0_4arch9wavefront6targetE1EEEvT1_
                                        ; -- End function
	.section	.AMDGPU.csdata,"",@progbits
; Kernel info:
; codeLenInByte = 280
; NumSgprs: 20
; NumVgprs: 7
; NumAgprs: 0
; TotalNumVgprs: 7
; ScratchSize: 0
; MemoryBound: 1
; FloatMode: 240
; IeeeMode: 1
; LDSByteSize: 0 bytes/workgroup (compile time only)
; SGPRBlocks: 2
; VGPRBlocks: 0
; NumSGPRsForWavesPerEU: 20
; NumVGPRsForWavesPerEU: 7
; AccumOffset: 8
; Occupancy: 8
; WaveLimiterHint : 0
; COMPUTE_PGM_RSRC2:SCRATCH_EN: 0
; COMPUTE_PGM_RSRC2:USER_SGPR: 6
; COMPUTE_PGM_RSRC2:TRAP_HANDLER: 0
; COMPUTE_PGM_RSRC2:TGID_X_EN: 1
; COMPUTE_PGM_RSRC2:TGID_Y_EN: 0
; COMPUTE_PGM_RSRC2:TGID_Z_EN: 0
; COMPUTE_PGM_RSRC2:TIDIG_COMP_CNT: 0
; COMPUTE_PGM_RSRC3_GFX90A:ACCUM_OFFSET: 1
; COMPUTE_PGM_RSRC3_GFX90A:TG_SPLIT: 0
	.section	.text._ZN7rocprim17ROCPRIM_400000_NS6detail17trampoline_kernelINS0_14default_configENS1_25transform_config_selectorIdLb1EEEZNS1_14transform_implILb1ES3_S5_PdS7_NS0_8identityIdEEEE10hipError_tT2_T3_mT4_P12ihipStream_tbEUlT_E_NS1_11comp_targetILNS1_3genE3ELNS1_11target_archE908ELNS1_3gpuE7ELNS1_3repE0EEENS1_30default_config_static_selectorELNS0_4arch9wavefront6targetE1EEEvT1_,"axG",@progbits,_ZN7rocprim17ROCPRIM_400000_NS6detail17trampoline_kernelINS0_14default_configENS1_25transform_config_selectorIdLb1EEEZNS1_14transform_implILb1ES3_S5_PdS7_NS0_8identityIdEEEE10hipError_tT2_T3_mT4_P12ihipStream_tbEUlT_E_NS1_11comp_targetILNS1_3genE3ELNS1_11target_archE908ELNS1_3gpuE7ELNS1_3repE0EEENS1_30default_config_static_selectorELNS0_4arch9wavefront6targetE1EEEvT1_,comdat
	.protected	_ZN7rocprim17ROCPRIM_400000_NS6detail17trampoline_kernelINS0_14default_configENS1_25transform_config_selectorIdLb1EEEZNS1_14transform_implILb1ES3_S5_PdS7_NS0_8identityIdEEEE10hipError_tT2_T3_mT4_P12ihipStream_tbEUlT_E_NS1_11comp_targetILNS1_3genE3ELNS1_11target_archE908ELNS1_3gpuE7ELNS1_3repE0EEENS1_30default_config_static_selectorELNS0_4arch9wavefront6targetE1EEEvT1_ ; -- Begin function _ZN7rocprim17ROCPRIM_400000_NS6detail17trampoline_kernelINS0_14default_configENS1_25transform_config_selectorIdLb1EEEZNS1_14transform_implILb1ES3_S5_PdS7_NS0_8identityIdEEEE10hipError_tT2_T3_mT4_P12ihipStream_tbEUlT_E_NS1_11comp_targetILNS1_3genE3ELNS1_11target_archE908ELNS1_3gpuE7ELNS1_3repE0EEENS1_30default_config_static_selectorELNS0_4arch9wavefront6targetE1EEEvT1_
	.globl	_ZN7rocprim17ROCPRIM_400000_NS6detail17trampoline_kernelINS0_14default_configENS1_25transform_config_selectorIdLb1EEEZNS1_14transform_implILb1ES3_S5_PdS7_NS0_8identityIdEEEE10hipError_tT2_T3_mT4_P12ihipStream_tbEUlT_E_NS1_11comp_targetILNS1_3genE3ELNS1_11target_archE908ELNS1_3gpuE7ELNS1_3repE0EEENS1_30default_config_static_selectorELNS0_4arch9wavefront6targetE1EEEvT1_
	.p2align	8
	.type	_ZN7rocprim17ROCPRIM_400000_NS6detail17trampoline_kernelINS0_14default_configENS1_25transform_config_selectorIdLb1EEEZNS1_14transform_implILb1ES3_S5_PdS7_NS0_8identityIdEEEE10hipError_tT2_T3_mT4_P12ihipStream_tbEUlT_E_NS1_11comp_targetILNS1_3genE3ELNS1_11target_archE908ELNS1_3gpuE7ELNS1_3repE0EEENS1_30default_config_static_selectorELNS0_4arch9wavefront6targetE1EEEvT1_,@function
_ZN7rocprim17ROCPRIM_400000_NS6detail17trampoline_kernelINS0_14default_configENS1_25transform_config_selectorIdLb1EEEZNS1_14transform_implILb1ES3_S5_PdS7_NS0_8identityIdEEEE10hipError_tT2_T3_mT4_P12ihipStream_tbEUlT_E_NS1_11comp_targetILNS1_3genE3ELNS1_11target_archE908ELNS1_3gpuE7ELNS1_3repE0EEENS1_30default_config_static_selectorELNS0_4arch9wavefront6targetE1EEEvT1_: ; @_ZN7rocprim17ROCPRIM_400000_NS6detail17trampoline_kernelINS0_14default_configENS1_25transform_config_selectorIdLb1EEEZNS1_14transform_implILb1ES3_S5_PdS7_NS0_8identityIdEEEE10hipError_tT2_T3_mT4_P12ihipStream_tbEUlT_E_NS1_11comp_targetILNS1_3genE3ELNS1_11target_archE908ELNS1_3gpuE7ELNS1_3repE0EEENS1_30default_config_static_selectorELNS0_4arch9wavefront6targetE1EEEvT1_
; %bb.0:
	.section	.rodata,"a",@progbits
	.p2align	6, 0x0
	.amdhsa_kernel _ZN7rocprim17ROCPRIM_400000_NS6detail17trampoline_kernelINS0_14default_configENS1_25transform_config_selectorIdLb1EEEZNS1_14transform_implILb1ES3_S5_PdS7_NS0_8identityIdEEEE10hipError_tT2_T3_mT4_P12ihipStream_tbEUlT_E_NS1_11comp_targetILNS1_3genE3ELNS1_11target_archE908ELNS1_3gpuE7ELNS1_3repE0EEENS1_30default_config_static_selectorELNS0_4arch9wavefront6targetE1EEEvT1_
		.amdhsa_group_segment_fixed_size 0
		.amdhsa_private_segment_fixed_size 0
		.amdhsa_kernarg_size 40
		.amdhsa_user_sgpr_count 6
		.amdhsa_user_sgpr_private_segment_buffer 1
		.amdhsa_user_sgpr_dispatch_ptr 0
		.amdhsa_user_sgpr_queue_ptr 0
		.amdhsa_user_sgpr_kernarg_segment_ptr 1
		.amdhsa_user_sgpr_dispatch_id 0
		.amdhsa_user_sgpr_flat_scratch_init 0
		.amdhsa_user_sgpr_kernarg_preload_length 0
		.amdhsa_user_sgpr_kernarg_preload_offset 0
		.amdhsa_user_sgpr_private_segment_size 0
		.amdhsa_uses_dynamic_stack 0
		.amdhsa_system_sgpr_private_segment_wavefront_offset 0
		.amdhsa_system_sgpr_workgroup_id_x 1
		.amdhsa_system_sgpr_workgroup_id_y 0
		.amdhsa_system_sgpr_workgroup_id_z 0
		.amdhsa_system_sgpr_workgroup_info 0
		.amdhsa_system_vgpr_workitem_id 0
		.amdhsa_next_free_vgpr 1
		.amdhsa_next_free_sgpr 0
		.amdhsa_accum_offset 4
		.amdhsa_reserve_vcc 0
		.amdhsa_reserve_flat_scratch 0
		.amdhsa_float_round_mode_32 0
		.amdhsa_float_round_mode_16_64 0
		.amdhsa_float_denorm_mode_32 3
		.amdhsa_float_denorm_mode_16_64 3
		.amdhsa_dx10_clamp 1
		.amdhsa_ieee_mode 1
		.amdhsa_fp16_overflow 0
		.amdhsa_tg_split 0
		.amdhsa_exception_fp_ieee_invalid_op 0
		.amdhsa_exception_fp_denorm_src 0
		.amdhsa_exception_fp_ieee_div_zero 0
		.amdhsa_exception_fp_ieee_overflow 0
		.amdhsa_exception_fp_ieee_underflow 0
		.amdhsa_exception_fp_ieee_inexact 0
		.amdhsa_exception_int_div_zero 0
	.end_amdhsa_kernel
	.section	.text._ZN7rocprim17ROCPRIM_400000_NS6detail17trampoline_kernelINS0_14default_configENS1_25transform_config_selectorIdLb1EEEZNS1_14transform_implILb1ES3_S5_PdS7_NS0_8identityIdEEEE10hipError_tT2_T3_mT4_P12ihipStream_tbEUlT_E_NS1_11comp_targetILNS1_3genE3ELNS1_11target_archE908ELNS1_3gpuE7ELNS1_3repE0EEENS1_30default_config_static_selectorELNS0_4arch9wavefront6targetE1EEEvT1_,"axG",@progbits,_ZN7rocprim17ROCPRIM_400000_NS6detail17trampoline_kernelINS0_14default_configENS1_25transform_config_selectorIdLb1EEEZNS1_14transform_implILb1ES3_S5_PdS7_NS0_8identityIdEEEE10hipError_tT2_T3_mT4_P12ihipStream_tbEUlT_E_NS1_11comp_targetILNS1_3genE3ELNS1_11target_archE908ELNS1_3gpuE7ELNS1_3repE0EEENS1_30default_config_static_selectorELNS0_4arch9wavefront6targetE1EEEvT1_,comdat
.Lfunc_end1350:
	.size	_ZN7rocprim17ROCPRIM_400000_NS6detail17trampoline_kernelINS0_14default_configENS1_25transform_config_selectorIdLb1EEEZNS1_14transform_implILb1ES3_S5_PdS7_NS0_8identityIdEEEE10hipError_tT2_T3_mT4_P12ihipStream_tbEUlT_E_NS1_11comp_targetILNS1_3genE3ELNS1_11target_archE908ELNS1_3gpuE7ELNS1_3repE0EEENS1_30default_config_static_selectorELNS0_4arch9wavefront6targetE1EEEvT1_, .Lfunc_end1350-_ZN7rocprim17ROCPRIM_400000_NS6detail17trampoline_kernelINS0_14default_configENS1_25transform_config_selectorIdLb1EEEZNS1_14transform_implILb1ES3_S5_PdS7_NS0_8identityIdEEEE10hipError_tT2_T3_mT4_P12ihipStream_tbEUlT_E_NS1_11comp_targetILNS1_3genE3ELNS1_11target_archE908ELNS1_3gpuE7ELNS1_3repE0EEENS1_30default_config_static_selectorELNS0_4arch9wavefront6targetE1EEEvT1_
                                        ; -- End function
	.section	.AMDGPU.csdata,"",@progbits
; Kernel info:
; codeLenInByte = 0
; NumSgprs: 4
; NumVgprs: 0
; NumAgprs: 0
; TotalNumVgprs: 0
; ScratchSize: 0
; MemoryBound: 0
; FloatMode: 240
; IeeeMode: 1
; LDSByteSize: 0 bytes/workgroup (compile time only)
; SGPRBlocks: 0
; VGPRBlocks: 0
; NumSGPRsForWavesPerEU: 4
; NumVGPRsForWavesPerEU: 1
; AccumOffset: 4
; Occupancy: 8
; WaveLimiterHint : 0
; COMPUTE_PGM_RSRC2:SCRATCH_EN: 0
; COMPUTE_PGM_RSRC2:USER_SGPR: 6
; COMPUTE_PGM_RSRC2:TRAP_HANDLER: 0
; COMPUTE_PGM_RSRC2:TGID_X_EN: 1
; COMPUTE_PGM_RSRC2:TGID_Y_EN: 0
; COMPUTE_PGM_RSRC2:TGID_Z_EN: 0
; COMPUTE_PGM_RSRC2:TIDIG_COMP_CNT: 0
; COMPUTE_PGM_RSRC3_GFX90A:ACCUM_OFFSET: 0
; COMPUTE_PGM_RSRC3_GFX90A:TG_SPLIT: 0
	.section	.text._ZN7rocprim17ROCPRIM_400000_NS6detail17trampoline_kernelINS0_14default_configENS1_25transform_config_selectorIdLb1EEEZNS1_14transform_implILb1ES3_S5_PdS7_NS0_8identityIdEEEE10hipError_tT2_T3_mT4_P12ihipStream_tbEUlT_E_NS1_11comp_targetILNS1_3genE2ELNS1_11target_archE906ELNS1_3gpuE6ELNS1_3repE0EEENS1_30default_config_static_selectorELNS0_4arch9wavefront6targetE1EEEvT1_,"axG",@progbits,_ZN7rocprim17ROCPRIM_400000_NS6detail17trampoline_kernelINS0_14default_configENS1_25transform_config_selectorIdLb1EEEZNS1_14transform_implILb1ES3_S5_PdS7_NS0_8identityIdEEEE10hipError_tT2_T3_mT4_P12ihipStream_tbEUlT_E_NS1_11comp_targetILNS1_3genE2ELNS1_11target_archE906ELNS1_3gpuE6ELNS1_3repE0EEENS1_30default_config_static_selectorELNS0_4arch9wavefront6targetE1EEEvT1_,comdat
	.protected	_ZN7rocprim17ROCPRIM_400000_NS6detail17trampoline_kernelINS0_14default_configENS1_25transform_config_selectorIdLb1EEEZNS1_14transform_implILb1ES3_S5_PdS7_NS0_8identityIdEEEE10hipError_tT2_T3_mT4_P12ihipStream_tbEUlT_E_NS1_11comp_targetILNS1_3genE2ELNS1_11target_archE906ELNS1_3gpuE6ELNS1_3repE0EEENS1_30default_config_static_selectorELNS0_4arch9wavefront6targetE1EEEvT1_ ; -- Begin function _ZN7rocprim17ROCPRIM_400000_NS6detail17trampoline_kernelINS0_14default_configENS1_25transform_config_selectorIdLb1EEEZNS1_14transform_implILb1ES3_S5_PdS7_NS0_8identityIdEEEE10hipError_tT2_T3_mT4_P12ihipStream_tbEUlT_E_NS1_11comp_targetILNS1_3genE2ELNS1_11target_archE906ELNS1_3gpuE6ELNS1_3repE0EEENS1_30default_config_static_selectorELNS0_4arch9wavefront6targetE1EEEvT1_
	.globl	_ZN7rocprim17ROCPRIM_400000_NS6detail17trampoline_kernelINS0_14default_configENS1_25transform_config_selectorIdLb1EEEZNS1_14transform_implILb1ES3_S5_PdS7_NS0_8identityIdEEEE10hipError_tT2_T3_mT4_P12ihipStream_tbEUlT_E_NS1_11comp_targetILNS1_3genE2ELNS1_11target_archE906ELNS1_3gpuE6ELNS1_3repE0EEENS1_30default_config_static_selectorELNS0_4arch9wavefront6targetE1EEEvT1_
	.p2align	8
	.type	_ZN7rocprim17ROCPRIM_400000_NS6detail17trampoline_kernelINS0_14default_configENS1_25transform_config_selectorIdLb1EEEZNS1_14transform_implILb1ES3_S5_PdS7_NS0_8identityIdEEEE10hipError_tT2_T3_mT4_P12ihipStream_tbEUlT_E_NS1_11comp_targetILNS1_3genE2ELNS1_11target_archE906ELNS1_3gpuE6ELNS1_3repE0EEENS1_30default_config_static_selectorELNS0_4arch9wavefront6targetE1EEEvT1_,@function
_ZN7rocprim17ROCPRIM_400000_NS6detail17trampoline_kernelINS0_14default_configENS1_25transform_config_selectorIdLb1EEEZNS1_14transform_implILb1ES3_S5_PdS7_NS0_8identityIdEEEE10hipError_tT2_T3_mT4_P12ihipStream_tbEUlT_E_NS1_11comp_targetILNS1_3genE2ELNS1_11target_archE906ELNS1_3gpuE6ELNS1_3repE0EEENS1_30default_config_static_selectorELNS0_4arch9wavefront6targetE1EEEvT1_: ; @_ZN7rocprim17ROCPRIM_400000_NS6detail17trampoline_kernelINS0_14default_configENS1_25transform_config_selectorIdLb1EEEZNS1_14transform_implILb1ES3_S5_PdS7_NS0_8identityIdEEEE10hipError_tT2_T3_mT4_P12ihipStream_tbEUlT_E_NS1_11comp_targetILNS1_3genE2ELNS1_11target_archE906ELNS1_3gpuE6ELNS1_3repE0EEENS1_30default_config_static_selectorELNS0_4arch9wavefront6targetE1EEEvT1_
; %bb.0:
	.section	.rodata,"a",@progbits
	.p2align	6, 0x0
	.amdhsa_kernel _ZN7rocprim17ROCPRIM_400000_NS6detail17trampoline_kernelINS0_14default_configENS1_25transform_config_selectorIdLb1EEEZNS1_14transform_implILb1ES3_S5_PdS7_NS0_8identityIdEEEE10hipError_tT2_T3_mT4_P12ihipStream_tbEUlT_E_NS1_11comp_targetILNS1_3genE2ELNS1_11target_archE906ELNS1_3gpuE6ELNS1_3repE0EEENS1_30default_config_static_selectorELNS0_4arch9wavefront6targetE1EEEvT1_
		.amdhsa_group_segment_fixed_size 0
		.amdhsa_private_segment_fixed_size 0
		.amdhsa_kernarg_size 40
		.amdhsa_user_sgpr_count 6
		.amdhsa_user_sgpr_private_segment_buffer 1
		.amdhsa_user_sgpr_dispatch_ptr 0
		.amdhsa_user_sgpr_queue_ptr 0
		.amdhsa_user_sgpr_kernarg_segment_ptr 1
		.amdhsa_user_sgpr_dispatch_id 0
		.amdhsa_user_sgpr_flat_scratch_init 0
		.amdhsa_user_sgpr_kernarg_preload_length 0
		.amdhsa_user_sgpr_kernarg_preload_offset 0
		.amdhsa_user_sgpr_private_segment_size 0
		.amdhsa_uses_dynamic_stack 0
		.amdhsa_system_sgpr_private_segment_wavefront_offset 0
		.amdhsa_system_sgpr_workgroup_id_x 1
		.amdhsa_system_sgpr_workgroup_id_y 0
		.amdhsa_system_sgpr_workgroup_id_z 0
		.amdhsa_system_sgpr_workgroup_info 0
		.amdhsa_system_vgpr_workitem_id 0
		.amdhsa_next_free_vgpr 1
		.amdhsa_next_free_sgpr 0
		.amdhsa_accum_offset 4
		.amdhsa_reserve_vcc 0
		.amdhsa_reserve_flat_scratch 0
		.amdhsa_float_round_mode_32 0
		.amdhsa_float_round_mode_16_64 0
		.amdhsa_float_denorm_mode_32 3
		.amdhsa_float_denorm_mode_16_64 3
		.amdhsa_dx10_clamp 1
		.amdhsa_ieee_mode 1
		.amdhsa_fp16_overflow 0
		.amdhsa_tg_split 0
		.amdhsa_exception_fp_ieee_invalid_op 0
		.amdhsa_exception_fp_denorm_src 0
		.amdhsa_exception_fp_ieee_div_zero 0
		.amdhsa_exception_fp_ieee_overflow 0
		.amdhsa_exception_fp_ieee_underflow 0
		.amdhsa_exception_fp_ieee_inexact 0
		.amdhsa_exception_int_div_zero 0
	.end_amdhsa_kernel
	.section	.text._ZN7rocprim17ROCPRIM_400000_NS6detail17trampoline_kernelINS0_14default_configENS1_25transform_config_selectorIdLb1EEEZNS1_14transform_implILb1ES3_S5_PdS7_NS0_8identityIdEEEE10hipError_tT2_T3_mT4_P12ihipStream_tbEUlT_E_NS1_11comp_targetILNS1_3genE2ELNS1_11target_archE906ELNS1_3gpuE6ELNS1_3repE0EEENS1_30default_config_static_selectorELNS0_4arch9wavefront6targetE1EEEvT1_,"axG",@progbits,_ZN7rocprim17ROCPRIM_400000_NS6detail17trampoline_kernelINS0_14default_configENS1_25transform_config_selectorIdLb1EEEZNS1_14transform_implILb1ES3_S5_PdS7_NS0_8identityIdEEEE10hipError_tT2_T3_mT4_P12ihipStream_tbEUlT_E_NS1_11comp_targetILNS1_3genE2ELNS1_11target_archE906ELNS1_3gpuE6ELNS1_3repE0EEENS1_30default_config_static_selectorELNS0_4arch9wavefront6targetE1EEEvT1_,comdat
.Lfunc_end1351:
	.size	_ZN7rocprim17ROCPRIM_400000_NS6detail17trampoline_kernelINS0_14default_configENS1_25transform_config_selectorIdLb1EEEZNS1_14transform_implILb1ES3_S5_PdS7_NS0_8identityIdEEEE10hipError_tT2_T3_mT4_P12ihipStream_tbEUlT_E_NS1_11comp_targetILNS1_3genE2ELNS1_11target_archE906ELNS1_3gpuE6ELNS1_3repE0EEENS1_30default_config_static_selectorELNS0_4arch9wavefront6targetE1EEEvT1_, .Lfunc_end1351-_ZN7rocprim17ROCPRIM_400000_NS6detail17trampoline_kernelINS0_14default_configENS1_25transform_config_selectorIdLb1EEEZNS1_14transform_implILb1ES3_S5_PdS7_NS0_8identityIdEEEE10hipError_tT2_T3_mT4_P12ihipStream_tbEUlT_E_NS1_11comp_targetILNS1_3genE2ELNS1_11target_archE906ELNS1_3gpuE6ELNS1_3repE0EEENS1_30default_config_static_selectorELNS0_4arch9wavefront6targetE1EEEvT1_
                                        ; -- End function
	.section	.AMDGPU.csdata,"",@progbits
; Kernel info:
; codeLenInByte = 0
; NumSgprs: 4
; NumVgprs: 0
; NumAgprs: 0
; TotalNumVgprs: 0
; ScratchSize: 0
; MemoryBound: 0
; FloatMode: 240
; IeeeMode: 1
; LDSByteSize: 0 bytes/workgroup (compile time only)
; SGPRBlocks: 0
; VGPRBlocks: 0
; NumSGPRsForWavesPerEU: 4
; NumVGPRsForWavesPerEU: 1
; AccumOffset: 4
; Occupancy: 8
; WaveLimiterHint : 0
; COMPUTE_PGM_RSRC2:SCRATCH_EN: 0
; COMPUTE_PGM_RSRC2:USER_SGPR: 6
; COMPUTE_PGM_RSRC2:TRAP_HANDLER: 0
; COMPUTE_PGM_RSRC2:TGID_X_EN: 1
; COMPUTE_PGM_RSRC2:TGID_Y_EN: 0
; COMPUTE_PGM_RSRC2:TGID_Z_EN: 0
; COMPUTE_PGM_RSRC2:TIDIG_COMP_CNT: 0
; COMPUTE_PGM_RSRC3_GFX90A:ACCUM_OFFSET: 0
; COMPUTE_PGM_RSRC3_GFX90A:TG_SPLIT: 0
	.section	.text._ZN7rocprim17ROCPRIM_400000_NS6detail17trampoline_kernelINS0_14default_configENS1_25transform_config_selectorIdLb1EEEZNS1_14transform_implILb1ES3_S5_PdS7_NS0_8identityIdEEEE10hipError_tT2_T3_mT4_P12ihipStream_tbEUlT_E_NS1_11comp_targetILNS1_3genE9ELNS1_11target_archE1100ELNS1_3gpuE3ELNS1_3repE0EEENS1_30default_config_static_selectorELNS0_4arch9wavefront6targetE1EEEvT1_,"axG",@progbits,_ZN7rocprim17ROCPRIM_400000_NS6detail17trampoline_kernelINS0_14default_configENS1_25transform_config_selectorIdLb1EEEZNS1_14transform_implILb1ES3_S5_PdS7_NS0_8identityIdEEEE10hipError_tT2_T3_mT4_P12ihipStream_tbEUlT_E_NS1_11comp_targetILNS1_3genE9ELNS1_11target_archE1100ELNS1_3gpuE3ELNS1_3repE0EEENS1_30default_config_static_selectorELNS0_4arch9wavefront6targetE1EEEvT1_,comdat
	.protected	_ZN7rocprim17ROCPRIM_400000_NS6detail17trampoline_kernelINS0_14default_configENS1_25transform_config_selectorIdLb1EEEZNS1_14transform_implILb1ES3_S5_PdS7_NS0_8identityIdEEEE10hipError_tT2_T3_mT4_P12ihipStream_tbEUlT_E_NS1_11comp_targetILNS1_3genE9ELNS1_11target_archE1100ELNS1_3gpuE3ELNS1_3repE0EEENS1_30default_config_static_selectorELNS0_4arch9wavefront6targetE1EEEvT1_ ; -- Begin function _ZN7rocprim17ROCPRIM_400000_NS6detail17trampoline_kernelINS0_14default_configENS1_25transform_config_selectorIdLb1EEEZNS1_14transform_implILb1ES3_S5_PdS7_NS0_8identityIdEEEE10hipError_tT2_T3_mT4_P12ihipStream_tbEUlT_E_NS1_11comp_targetILNS1_3genE9ELNS1_11target_archE1100ELNS1_3gpuE3ELNS1_3repE0EEENS1_30default_config_static_selectorELNS0_4arch9wavefront6targetE1EEEvT1_
	.globl	_ZN7rocprim17ROCPRIM_400000_NS6detail17trampoline_kernelINS0_14default_configENS1_25transform_config_selectorIdLb1EEEZNS1_14transform_implILb1ES3_S5_PdS7_NS0_8identityIdEEEE10hipError_tT2_T3_mT4_P12ihipStream_tbEUlT_E_NS1_11comp_targetILNS1_3genE9ELNS1_11target_archE1100ELNS1_3gpuE3ELNS1_3repE0EEENS1_30default_config_static_selectorELNS0_4arch9wavefront6targetE1EEEvT1_
	.p2align	8
	.type	_ZN7rocprim17ROCPRIM_400000_NS6detail17trampoline_kernelINS0_14default_configENS1_25transform_config_selectorIdLb1EEEZNS1_14transform_implILb1ES3_S5_PdS7_NS0_8identityIdEEEE10hipError_tT2_T3_mT4_P12ihipStream_tbEUlT_E_NS1_11comp_targetILNS1_3genE9ELNS1_11target_archE1100ELNS1_3gpuE3ELNS1_3repE0EEENS1_30default_config_static_selectorELNS0_4arch9wavefront6targetE1EEEvT1_,@function
_ZN7rocprim17ROCPRIM_400000_NS6detail17trampoline_kernelINS0_14default_configENS1_25transform_config_selectorIdLb1EEEZNS1_14transform_implILb1ES3_S5_PdS7_NS0_8identityIdEEEE10hipError_tT2_T3_mT4_P12ihipStream_tbEUlT_E_NS1_11comp_targetILNS1_3genE9ELNS1_11target_archE1100ELNS1_3gpuE3ELNS1_3repE0EEENS1_30default_config_static_selectorELNS0_4arch9wavefront6targetE1EEEvT1_: ; @_ZN7rocprim17ROCPRIM_400000_NS6detail17trampoline_kernelINS0_14default_configENS1_25transform_config_selectorIdLb1EEEZNS1_14transform_implILb1ES3_S5_PdS7_NS0_8identityIdEEEE10hipError_tT2_T3_mT4_P12ihipStream_tbEUlT_E_NS1_11comp_targetILNS1_3genE9ELNS1_11target_archE1100ELNS1_3gpuE3ELNS1_3repE0EEENS1_30default_config_static_selectorELNS0_4arch9wavefront6targetE1EEEvT1_
; %bb.0:
	.section	.rodata,"a",@progbits
	.p2align	6, 0x0
	.amdhsa_kernel _ZN7rocprim17ROCPRIM_400000_NS6detail17trampoline_kernelINS0_14default_configENS1_25transform_config_selectorIdLb1EEEZNS1_14transform_implILb1ES3_S5_PdS7_NS0_8identityIdEEEE10hipError_tT2_T3_mT4_P12ihipStream_tbEUlT_E_NS1_11comp_targetILNS1_3genE9ELNS1_11target_archE1100ELNS1_3gpuE3ELNS1_3repE0EEENS1_30default_config_static_selectorELNS0_4arch9wavefront6targetE1EEEvT1_
		.amdhsa_group_segment_fixed_size 0
		.amdhsa_private_segment_fixed_size 0
		.amdhsa_kernarg_size 40
		.amdhsa_user_sgpr_count 6
		.amdhsa_user_sgpr_private_segment_buffer 1
		.amdhsa_user_sgpr_dispatch_ptr 0
		.amdhsa_user_sgpr_queue_ptr 0
		.amdhsa_user_sgpr_kernarg_segment_ptr 1
		.amdhsa_user_sgpr_dispatch_id 0
		.amdhsa_user_sgpr_flat_scratch_init 0
		.amdhsa_user_sgpr_kernarg_preload_length 0
		.amdhsa_user_sgpr_kernarg_preload_offset 0
		.amdhsa_user_sgpr_private_segment_size 0
		.amdhsa_uses_dynamic_stack 0
		.amdhsa_system_sgpr_private_segment_wavefront_offset 0
		.amdhsa_system_sgpr_workgroup_id_x 1
		.amdhsa_system_sgpr_workgroup_id_y 0
		.amdhsa_system_sgpr_workgroup_id_z 0
		.amdhsa_system_sgpr_workgroup_info 0
		.amdhsa_system_vgpr_workitem_id 0
		.amdhsa_next_free_vgpr 1
		.amdhsa_next_free_sgpr 0
		.amdhsa_accum_offset 4
		.amdhsa_reserve_vcc 0
		.amdhsa_reserve_flat_scratch 0
		.amdhsa_float_round_mode_32 0
		.amdhsa_float_round_mode_16_64 0
		.amdhsa_float_denorm_mode_32 3
		.amdhsa_float_denorm_mode_16_64 3
		.amdhsa_dx10_clamp 1
		.amdhsa_ieee_mode 1
		.amdhsa_fp16_overflow 0
		.amdhsa_tg_split 0
		.amdhsa_exception_fp_ieee_invalid_op 0
		.amdhsa_exception_fp_denorm_src 0
		.amdhsa_exception_fp_ieee_div_zero 0
		.amdhsa_exception_fp_ieee_overflow 0
		.amdhsa_exception_fp_ieee_underflow 0
		.amdhsa_exception_fp_ieee_inexact 0
		.amdhsa_exception_int_div_zero 0
	.end_amdhsa_kernel
	.section	.text._ZN7rocprim17ROCPRIM_400000_NS6detail17trampoline_kernelINS0_14default_configENS1_25transform_config_selectorIdLb1EEEZNS1_14transform_implILb1ES3_S5_PdS7_NS0_8identityIdEEEE10hipError_tT2_T3_mT4_P12ihipStream_tbEUlT_E_NS1_11comp_targetILNS1_3genE9ELNS1_11target_archE1100ELNS1_3gpuE3ELNS1_3repE0EEENS1_30default_config_static_selectorELNS0_4arch9wavefront6targetE1EEEvT1_,"axG",@progbits,_ZN7rocprim17ROCPRIM_400000_NS6detail17trampoline_kernelINS0_14default_configENS1_25transform_config_selectorIdLb1EEEZNS1_14transform_implILb1ES3_S5_PdS7_NS0_8identityIdEEEE10hipError_tT2_T3_mT4_P12ihipStream_tbEUlT_E_NS1_11comp_targetILNS1_3genE9ELNS1_11target_archE1100ELNS1_3gpuE3ELNS1_3repE0EEENS1_30default_config_static_selectorELNS0_4arch9wavefront6targetE1EEEvT1_,comdat
.Lfunc_end1352:
	.size	_ZN7rocprim17ROCPRIM_400000_NS6detail17trampoline_kernelINS0_14default_configENS1_25transform_config_selectorIdLb1EEEZNS1_14transform_implILb1ES3_S5_PdS7_NS0_8identityIdEEEE10hipError_tT2_T3_mT4_P12ihipStream_tbEUlT_E_NS1_11comp_targetILNS1_3genE9ELNS1_11target_archE1100ELNS1_3gpuE3ELNS1_3repE0EEENS1_30default_config_static_selectorELNS0_4arch9wavefront6targetE1EEEvT1_, .Lfunc_end1352-_ZN7rocprim17ROCPRIM_400000_NS6detail17trampoline_kernelINS0_14default_configENS1_25transform_config_selectorIdLb1EEEZNS1_14transform_implILb1ES3_S5_PdS7_NS0_8identityIdEEEE10hipError_tT2_T3_mT4_P12ihipStream_tbEUlT_E_NS1_11comp_targetILNS1_3genE9ELNS1_11target_archE1100ELNS1_3gpuE3ELNS1_3repE0EEENS1_30default_config_static_selectorELNS0_4arch9wavefront6targetE1EEEvT1_
                                        ; -- End function
	.section	.AMDGPU.csdata,"",@progbits
; Kernel info:
; codeLenInByte = 0
; NumSgprs: 4
; NumVgprs: 0
; NumAgprs: 0
; TotalNumVgprs: 0
; ScratchSize: 0
; MemoryBound: 0
; FloatMode: 240
; IeeeMode: 1
; LDSByteSize: 0 bytes/workgroup (compile time only)
; SGPRBlocks: 0
; VGPRBlocks: 0
; NumSGPRsForWavesPerEU: 4
; NumVGPRsForWavesPerEU: 1
; AccumOffset: 4
; Occupancy: 8
; WaveLimiterHint : 0
; COMPUTE_PGM_RSRC2:SCRATCH_EN: 0
; COMPUTE_PGM_RSRC2:USER_SGPR: 6
; COMPUTE_PGM_RSRC2:TRAP_HANDLER: 0
; COMPUTE_PGM_RSRC2:TGID_X_EN: 1
; COMPUTE_PGM_RSRC2:TGID_Y_EN: 0
; COMPUTE_PGM_RSRC2:TGID_Z_EN: 0
; COMPUTE_PGM_RSRC2:TIDIG_COMP_CNT: 0
; COMPUTE_PGM_RSRC3_GFX90A:ACCUM_OFFSET: 0
; COMPUTE_PGM_RSRC3_GFX90A:TG_SPLIT: 0
	.section	.text._ZN7rocprim17ROCPRIM_400000_NS6detail17trampoline_kernelINS0_14default_configENS1_25transform_config_selectorIdLb1EEEZNS1_14transform_implILb1ES3_S5_PdS7_NS0_8identityIdEEEE10hipError_tT2_T3_mT4_P12ihipStream_tbEUlT_E_NS1_11comp_targetILNS1_3genE8ELNS1_11target_archE1030ELNS1_3gpuE2ELNS1_3repE0EEENS1_30default_config_static_selectorELNS0_4arch9wavefront6targetE1EEEvT1_,"axG",@progbits,_ZN7rocprim17ROCPRIM_400000_NS6detail17trampoline_kernelINS0_14default_configENS1_25transform_config_selectorIdLb1EEEZNS1_14transform_implILb1ES3_S5_PdS7_NS0_8identityIdEEEE10hipError_tT2_T3_mT4_P12ihipStream_tbEUlT_E_NS1_11comp_targetILNS1_3genE8ELNS1_11target_archE1030ELNS1_3gpuE2ELNS1_3repE0EEENS1_30default_config_static_selectorELNS0_4arch9wavefront6targetE1EEEvT1_,comdat
	.protected	_ZN7rocprim17ROCPRIM_400000_NS6detail17trampoline_kernelINS0_14default_configENS1_25transform_config_selectorIdLb1EEEZNS1_14transform_implILb1ES3_S5_PdS7_NS0_8identityIdEEEE10hipError_tT2_T3_mT4_P12ihipStream_tbEUlT_E_NS1_11comp_targetILNS1_3genE8ELNS1_11target_archE1030ELNS1_3gpuE2ELNS1_3repE0EEENS1_30default_config_static_selectorELNS0_4arch9wavefront6targetE1EEEvT1_ ; -- Begin function _ZN7rocprim17ROCPRIM_400000_NS6detail17trampoline_kernelINS0_14default_configENS1_25transform_config_selectorIdLb1EEEZNS1_14transform_implILb1ES3_S5_PdS7_NS0_8identityIdEEEE10hipError_tT2_T3_mT4_P12ihipStream_tbEUlT_E_NS1_11comp_targetILNS1_3genE8ELNS1_11target_archE1030ELNS1_3gpuE2ELNS1_3repE0EEENS1_30default_config_static_selectorELNS0_4arch9wavefront6targetE1EEEvT1_
	.globl	_ZN7rocprim17ROCPRIM_400000_NS6detail17trampoline_kernelINS0_14default_configENS1_25transform_config_selectorIdLb1EEEZNS1_14transform_implILb1ES3_S5_PdS7_NS0_8identityIdEEEE10hipError_tT2_T3_mT4_P12ihipStream_tbEUlT_E_NS1_11comp_targetILNS1_3genE8ELNS1_11target_archE1030ELNS1_3gpuE2ELNS1_3repE0EEENS1_30default_config_static_selectorELNS0_4arch9wavefront6targetE1EEEvT1_
	.p2align	8
	.type	_ZN7rocprim17ROCPRIM_400000_NS6detail17trampoline_kernelINS0_14default_configENS1_25transform_config_selectorIdLb1EEEZNS1_14transform_implILb1ES3_S5_PdS7_NS0_8identityIdEEEE10hipError_tT2_T3_mT4_P12ihipStream_tbEUlT_E_NS1_11comp_targetILNS1_3genE8ELNS1_11target_archE1030ELNS1_3gpuE2ELNS1_3repE0EEENS1_30default_config_static_selectorELNS0_4arch9wavefront6targetE1EEEvT1_,@function
_ZN7rocprim17ROCPRIM_400000_NS6detail17trampoline_kernelINS0_14default_configENS1_25transform_config_selectorIdLb1EEEZNS1_14transform_implILb1ES3_S5_PdS7_NS0_8identityIdEEEE10hipError_tT2_T3_mT4_P12ihipStream_tbEUlT_E_NS1_11comp_targetILNS1_3genE8ELNS1_11target_archE1030ELNS1_3gpuE2ELNS1_3repE0EEENS1_30default_config_static_selectorELNS0_4arch9wavefront6targetE1EEEvT1_: ; @_ZN7rocprim17ROCPRIM_400000_NS6detail17trampoline_kernelINS0_14default_configENS1_25transform_config_selectorIdLb1EEEZNS1_14transform_implILb1ES3_S5_PdS7_NS0_8identityIdEEEE10hipError_tT2_T3_mT4_P12ihipStream_tbEUlT_E_NS1_11comp_targetILNS1_3genE8ELNS1_11target_archE1030ELNS1_3gpuE2ELNS1_3repE0EEENS1_30default_config_static_selectorELNS0_4arch9wavefront6targetE1EEEvT1_
; %bb.0:
	.section	.rodata,"a",@progbits
	.p2align	6, 0x0
	.amdhsa_kernel _ZN7rocprim17ROCPRIM_400000_NS6detail17trampoline_kernelINS0_14default_configENS1_25transform_config_selectorIdLb1EEEZNS1_14transform_implILb1ES3_S5_PdS7_NS0_8identityIdEEEE10hipError_tT2_T3_mT4_P12ihipStream_tbEUlT_E_NS1_11comp_targetILNS1_3genE8ELNS1_11target_archE1030ELNS1_3gpuE2ELNS1_3repE0EEENS1_30default_config_static_selectorELNS0_4arch9wavefront6targetE1EEEvT1_
		.amdhsa_group_segment_fixed_size 0
		.amdhsa_private_segment_fixed_size 0
		.amdhsa_kernarg_size 40
		.amdhsa_user_sgpr_count 6
		.amdhsa_user_sgpr_private_segment_buffer 1
		.amdhsa_user_sgpr_dispatch_ptr 0
		.amdhsa_user_sgpr_queue_ptr 0
		.amdhsa_user_sgpr_kernarg_segment_ptr 1
		.amdhsa_user_sgpr_dispatch_id 0
		.amdhsa_user_sgpr_flat_scratch_init 0
		.amdhsa_user_sgpr_kernarg_preload_length 0
		.amdhsa_user_sgpr_kernarg_preload_offset 0
		.amdhsa_user_sgpr_private_segment_size 0
		.amdhsa_uses_dynamic_stack 0
		.amdhsa_system_sgpr_private_segment_wavefront_offset 0
		.amdhsa_system_sgpr_workgroup_id_x 1
		.amdhsa_system_sgpr_workgroup_id_y 0
		.amdhsa_system_sgpr_workgroup_id_z 0
		.amdhsa_system_sgpr_workgroup_info 0
		.amdhsa_system_vgpr_workitem_id 0
		.amdhsa_next_free_vgpr 1
		.amdhsa_next_free_sgpr 0
		.amdhsa_accum_offset 4
		.amdhsa_reserve_vcc 0
		.amdhsa_reserve_flat_scratch 0
		.amdhsa_float_round_mode_32 0
		.amdhsa_float_round_mode_16_64 0
		.amdhsa_float_denorm_mode_32 3
		.amdhsa_float_denorm_mode_16_64 3
		.amdhsa_dx10_clamp 1
		.amdhsa_ieee_mode 1
		.amdhsa_fp16_overflow 0
		.amdhsa_tg_split 0
		.amdhsa_exception_fp_ieee_invalid_op 0
		.amdhsa_exception_fp_denorm_src 0
		.amdhsa_exception_fp_ieee_div_zero 0
		.amdhsa_exception_fp_ieee_overflow 0
		.amdhsa_exception_fp_ieee_underflow 0
		.amdhsa_exception_fp_ieee_inexact 0
		.amdhsa_exception_int_div_zero 0
	.end_amdhsa_kernel
	.section	.text._ZN7rocprim17ROCPRIM_400000_NS6detail17trampoline_kernelINS0_14default_configENS1_25transform_config_selectorIdLb1EEEZNS1_14transform_implILb1ES3_S5_PdS7_NS0_8identityIdEEEE10hipError_tT2_T3_mT4_P12ihipStream_tbEUlT_E_NS1_11comp_targetILNS1_3genE8ELNS1_11target_archE1030ELNS1_3gpuE2ELNS1_3repE0EEENS1_30default_config_static_selectorELNS0_4arch9wavefront6targetE1EEEvT1_,"axG",@progbits,_ZN7rocprim17ROCPRIM_400000_NS6detail17trampoline_kernelINS0_14default_configENS1_25transform_config_selectorIdLb1EEEZNS1_14transform_implILb1ES3_S5_PdS7_NS0_8identityIdEEEE10hipError_tT2_T3_mT4_P12ihipStream_tbEUlT_E_NS1_11comp_targetILNS1_3genE8ELNS1_11target_archE1030ELNS1_3gpuE2ELNS1_3repE0EEENS1_30default_config_static_selectorELNS0_4arch9wavefront6targetE1EEEvT1_,comdat
.Lfunc_end1353:
	.size	_ZN7rocprim17ROCPRIM_400000_NS6detail17trampoline_kernelINS0_14default_configENS1_25transform_config_selectorIdLb1EEEZNS1_14transform_implILb1ES3_S5_PdS7_NS0_8identityIdEEEE10hipError_tT2_T3_mT4_P12ihipStream_tbEUlT_E_NS1_11comp_targetILNS1_3genE8ELNS1_11target_archE1030ELNS1_3gpuE2ELNS1_3repE0EEENS1_30default_config_static_selectorELNS0_4arch9wavefront6targetE1EEEvT1_, .Lfunc_end1353-_ZN7rocprim17ROCPRIM_400000_NS6detail17trampoline_kernelINS0_14default_configENS1_25transform_config_selectorIdLb1EEEZNS1_14transform_implILb1ES3_S5_PdS7_NS0_8identityIdEEEE10hipError_tT2_T3_mT4_P12ihipStream_tbEUlT_E_NS1_11comp_targetILNS1_3genE8ELNS1_11target_archE1030ELNS1_3gpuE2ELNS1_3repE0EEENS1_30default_config_static_selectorELNS0_4arch9wavefront6targetE1EEEvT1_
                                        ; -- End function
	.section	.AMDGPU.csdata,"",@progbits
; Kernel info:
; codeLenInByte = 0
; NumSgprs: 4
; NumVgprs: 0
; NumAgprs: 0
; TotalNumVgprs: 0
; ScratchSize: 0
; MemoryBound: 0
; FloatMode: 240
; IeeeMode: 1
; LDSByteSize: 0 bytes/workgroup (compile time only)
; SGPRBlocks: 0
; VGPRBlocks: 0
; NumSGPRsForWavesPerEU: 4
; NumVGPRsForWavesPerEU: 1
; AccumOffset: 4
; Occupancy: 8
; WaveLimiterHint : 0
; COMPUTE_PGM_RSRC2:SCRATCH_EN: 0
; COMPUTE_PGM_RSRC2:USER_SGPR: 6
; COMPUTE_PGM_RSRC2:TRAP_HANDLER: 0
; COMPUTE_PGM_RSRC2:TGID_X_EN: 1
; COMPUTE_PGM_RSRC2:TGID_Y_EN: 0
; COMPUTE_PGM_RSRC2:TGID_Z_EN: 0
; COMPUTE_PGM_RSRC2:TIDIG_COMP_CNT: 0
; COMPUTE_PGM_RSRC3_GFX90A:ACCUM_OFFSET: 0
; COMPUTE_PGM_RSRC3_GFX90A:TG_SPLIT: 0
	.section	.text._ZN7rocprim17ROCPRIM_400000_NS6detail17trampoline_kernelINS0_14default_configENS1_35radix_sort_onesweep_config_selectorIdNS0_10empty_typeEEEZNS1_34radix_sort_onesweep_global_offsetsIS3_Lb0EPdPS5_mNS0_19identity_decomposerEEE10hipError_tT1_T2_PT3_SE_jT4_jjP12ihipStream_tbEUlT_E_NS1_11comp_targetILNS1_3genE0ELNS1_11target_archE4294967295ELNS1_3gpuE0ELNS1_3repE0EEENS1_52radix_sort_onesweep_histogram_config_static_selectorELNS0_4arch9wavefront6targetE1EEEvSC_,"axG",@progbits,_ZN7rocprim17ROCPRIM_400000_NS6detail17trampoline_kernelINS0_14default_configENS1_35radix_sort_onesweep_config_selectorIdNS0_10empty_typeEEEZNS1_34radix_sort_onesweep_global_offsetsIS3_Lb0EPdPS5_mNS0_19identity_decomposerEEE10hipError_tT1_T2_PT3_SE_jT4_jjP12ihipStream_tbEUlT_E_NS1_11comp_targetILNS1_3genE0ELNS1_11target_archE4294967295ELNS1_3gpuE0ELNS1_3repE0EEENS1_52radix_sort_onesweep_histogram_config_static_selectorELNS0_4arch9wavefront6targetE1EEEvSC_,comdat
	.protected	_ZN7rocprim17ROCPRIM_400000_NS6detail17trampoline_kernelINS0_14default_configENS1_35radix_sort_onesweep_config_selectorIdNS0_10empty_typeEEEZNS1_34radix_sort_onesweep_global_offsetsIS3_Lb0EPdPS5_mNS0_19identity_decomposerEEE10hipError_tT1_T2_PT3_SE_jT4_jjP12ihipStream_tbEUlT_E_NS1_11comp_targetILNS1_3genE0ELNS1_11target_archE4294967295ELNS1_3gpuE0ELNS1_3repE0EEENS1_52radix_sort_onesweep_histogram_config_static_selectorELNS0_4arch9wavefront6targetE1EEEvSC_ ; -- Begin function _ZN7rocprim17ROCPRIM_400000_NS6detail17trampoline_kernelINS0_14default_configENS1_35radix_sort_onesweep_config_selectorIdNS0_10empty_typeEEEZNS1_34radix_sort_onesweep_global_offsetsIS3_Lb0EPdPS5_mNS0_19identity_decomposerEEE10hipError_tT1_T2_PT3_SE_jT4_jjP12ihipStream_tbEUlT_E_NS1_11comp_targetILNS1_3genE0ELNS1_11target_archE4294967295ELNS1_3gpuE0ELNS1_3repE0EEENS1_52radix_sort_onesweep_histogram_config_static_selectorELNS0_4arch9wavefront6targetE1EEEvSC_
	.globl	_ZN7rocprim17ROCPRIM_400000_NS6detail17trampoline_kernelINS0_14default_configENS1_35radix_sort_onesweep_config_selectorIdNS0_10empty_typeEEEZNS1_34radix_sort_onesweep_global_offsetsIS3_Lb0EPdPS5_mNS0_19identity_decomposerEEE10hipError_tT1_T2_PT3_SE_jT4_jjP12ihipStream_tbEUlT_E_NS1_11comp_targetILNS1_3genE0ELNS1_11target_archE4294967295ELNS1_3gpuE0ELNS1_3repE0EEENS1_52radix_sort_onesweep_histogram_config_static_selectorELNS0_4arch9wavefront6targetE1EEEvSC_
	.p2align	8
	.type	_ZN7rocprim17ROCPRIM_400000_NS6detail17trampoline_kernelINS0_14default_configENS1_35radix_sort_onesweep_config_selectorIdNS0_10empty_typeEEEZNS1_34radix_sort_onesweep_global_offsetsIS3_Lb0EPdPS5_mNS0_19identity_decomposerEEE10hipError_tT1_T2_PT3_SE_jT4_jjP12ihipStream_tbEUlT_E_NS1_11comp_targetILNS1_3genE0ELNS1_11target_archE4294967295ELNS1_3gpuE0ELNS1_3repE0EEENS1_52radix_sort_onesweep_histogram_config_static_selectorELNS0_4arch9wavefront6targetE1EEEvSC_,@function
_ZN7rocprim17ROCPRIM_400000_NS6detail17trampoline_kernelINS0_14default_configENS1_35radix_sort_onesweep_config_selectorIdNS0_10empty_typeEEEZNS1_34radix_sort_onesweep_global_offsetsIS3_Lb0EPdPS5_mNS0_19identity_decomposerEEE10hipError_tT1_T2_PT3_SE_jT4_jjP12ihipStream_tbEUlT_E_NS1_11comp_targetILNS1_3genE0ELNS1_11target_archE4294967295ELNS1_3gpuE0ELNS1_3repE0EEENS1_52radix_sort_onesweep_histogram_config_static_selectorELNS0_4arch9wavefront6targetE1EEEvSC_: ; @_ZN7rocprim17ROCPRIM_400000_NS6detail17trampoline_kernelINS0_14default_configENS1_35radix_sort_onesweep_config_selectorIdNS0_10empty_typeEEEZNS1_34radix_sort_onesweep_global_offsetsIS3_Lb0EPdPS5_mNS0_19identity_decomposerEEE10hipError_tT1_T2_PT3_SE_jT4_jjP12ihipStream_tbEUlT_E_NS1_11comp_targetILNS1_3genE0ELNS1_11target_archE4294967295ELNS1_3gpuE0ELNS1_3repE0EEENS1_52radix_sort_onesweep_histogram_config_static_selectorELNS0_4arch9wavefront6targetE1EEEvSC_
; %bb.0:
	.section	.rodata,"a",@progbits
	.p2align	6, 0x0
	.amdhsa_kernel _ZN7rocprim17ROCPRIM_400000_NS6detail17trampoline_kernelINS0_14default_configENS1_35radix_sort_onesweep_config_selectorIdNS0_10empty_typeEEEZNS1_34radix_sort_onesweep_global_offsetsIS3_Lb0EPdPS5_mNS0_19identity_decomposerEEE10hipError_tT1_T2_PT3_SE_jT4_jjP12ihipStream_tbEUlT_E_NS1_11comp_targetILNS1_3genE0ELNS1_11target_archE4294967295ELNS1_3gpuE0ELNS1_3repE0EEENS1_52radix_sort_onesweep_histogram_config_static_selectorELNS0_4arch9wavefront6targetE1EEEvSC_
		.amdhsa_group_segment_fixed_size 0
		.amdhsa_private_segment_fixed_size 0
		.amdhsa_kernarg_size 48
		.amdhsa_user_sgpr_count 6
		.amdhsa_user_sgpr_private_segment_buffer 1
		.amdhsa_user_sgpr_dispatch_ptr 0
		.amdhsa_user_sgpr_queue_ptr 0
		.amdhsa_user_sgpr_kernarg_segment_ptr 1
		.amdhsa_user_sgpr_dispatch_id 0
		.amdhsa_user_sgpr_flat_scratch_init 0
		.amdhsa_user_sgpr_kernarg_preload_length 0
		.amdhsa_user_sgpr_kernarg_preload_offset 0
		.amdhsa_user_sgpr_private_segment_size 0
		.amdhsa_uses_dynamic_stack 0
		.amdhsa_system_sgpr_private_segment_wavefront_offset 0
		.amdhsa_system_sgpr_workgroup_id_x 1
		.amdhsa_system_sgpr_workgroup_id_y 0
		.amdhsa_system_sgpr_workgroup_id_z 0
		.amdhsa_system_sgpr_workgroup_info 0
		.amdhsa_system_vgpr_workitem_id 0
		.amdhsa_next_free_vgpr 1
		.amdhsa_next_free_sgpr 0
		.amdhsa_accum_offset 4
		.amdhsa_reserve_vcc 0
		.amdhsa_reserve_flat_scratch 0
		.amdhsa_float_round_mode_32 0
		.amdhsa_float_round_mode_16_64 0
		.amdhsa_float_denorm_mode_32 3
		.amdhsa_float_denorm_mode_16_64 3
		.amdhsa_dx10_clamp 1
		.amdhsa_ieee_mode 1
		.amdhsa_fp16_overflow 0
		.amdhsa_tg_split 0
		.amdhsa_exception_fp_ieee_invalid_op 0
		.amdhsa_exception_fp_denorm_src 0
		.amdhsa_exception_fp_ieee_div_zero 0
		.amdhsa_exception_fp_ieee_overflow 0
		.amdhsa_exception_fp_ieee_underflow 0
		.amdhsa_exception_fp_ieee_inexact 0
		.amdhsa_exception_int_div_zero 0
	.end_amdhsa_kernel
	.section	.text._ZN7rocprim17ROCPRIM_400000_NS6detail17trampoline_kernelINS0_14default_configENS1_35radix_sort_onesweep_config_selectorIdNS0_10empty_typeEEEZNS1_34radix_sort_onesweep_global_offsetsIS3_Lb0EPdPS5_mNS0_19identity_decomposerEEE10hipError_tT1_T2_PT3_SE_jT4_jjP12ihipStream_tbEUlT_E_NS1_11comp_targetILNS1_3genE0ELNS1_11target_archE4294967295ELNS1_3gpuE0ELNS1_3repE0EEENS1_52radix_sort_onesweep_histogram_config_static_selectorELNS0_4arch9wavefront6targetE1EEEvSC_,"axG",@progbits,_ZN7rocprim17ROCPRIM_400000_NS6detail17trampoline_kernelINS0_14default_configENS1_35radix_sort_onesweep_config_selectorIdNS0_10empty_typeEEEZNS1_34radix_sort_onesweep_global_offsetsIS3_Lb0EPdPS5_mNS0_19identity_decomposerEEE10hipError_tT1_T2_PT3_SE_jT4_jjP12ihipStream_tbEUlT_E_NS1_11comp_targetILNS1_3genE0ELNS1_11target_archE4294967295ELNS1_3gpuE0ELNS1_3repE0EEENS1_52radix_sort_onesweep_histogram_config_static_selectorELNS0_4arch9wavefront6targetE1EEEvSC_,comdat
.Lfunc_end1354:
	.size	_ZN7rocprim17ROCPRIM_400000_NS6detail17trampoline_kernelINS0_14default_configENS1_35radix_sort_onesweep_config_selectorIdNS0_10empty_typeEEEZNS1_34radix_sort_onesweep_global_offsetsIS3_Lb0EPdPS5_mNS0_19identity_decomposerEEE10hipError_tT1_T2_PT3_SE_jT4_jjP12ihipStream_tbEUlT_E_NS1_11comp_targetILNS1_3genE0ELNS1_11target_archE4294967295ELNS1_3gpuE0ELNS1_3repE0EEENS1_52radix_sort_onesweep_histogram_config_static_selectorELNS0_4arch9wavefront6targetE1EEEvSC_, .Lfunc_end1354-_ZN7rocprim17ROCPRIM_400000_NS6detail17trampoline_kernelINS0_14default_configENS1_35radix_sort_onesweep_config_selectorIdNS0_10empty_typeEEEZNS1_34radix_sort_onesweep_global_offsetsIS3_Lb0EPdPS5_mNS0_19identity_decomposerEEE10hipError_tT1_T2_PT3_SE_jT4_jjP12ihipStream_tbEUlT_E_NS1_11comp_targetILNS1_3genE0ELNS1_11target_archE4294967295ELNS1_3gpuE0ELNS1_3repE0EEENS1_52radix_sort_onesweep_histogram_config_static_selectorELNS0_4arch9wavefront6targetE1EEEvSC_
                                        ; -- End function
	.section	.AMDGPU.csdata,"",@progbits
; Kernel info:
; codeLenInByte = 0
; NumSgprs: 4
; NumVgprs: 0
; NumAgprs: 0
; TotalNumVgprs: 0
; ScratchSize: 0
; MemoryBound: 0
; FloatMode: 240
; IeeeMode: 1
; LDSByteSize: 0 bytes/workgroup (compile time only)
; SGPRBlocks: 0
; VGPRBlocks: 0
; NumSGPRsForWavesPerEU: 4
; NumVGPRsForWavesPerEU: 1
; AccumOffset: 4
; Occupancy: 8
; WaveLimiterHint : 0
; COMPUTE_PGM_RSRC2:SCRATCH_EN: 0
; COMPUTE_PGM_RSRC2:USER_SGPR: 6
; COMPUTE_PGM_RSRC2:TRAP_HANDLER: 0
; COMPUTE_PGM_RSRC2:TGID_X_EN: 1
; COMPUTE_PGM_RSRC2:TGID_Y_EN: 0
; COMPUTE_PGM_RSRC2:TGID_Z_EN: 0
; COMPUTE_PGM_RSRC2:TIDIG_COMP_CNT: 0
; COMPUTE_PGM_RSRC3_GFX90A:ACCUM_OFFSET: 0
; COMPUTE_PGM_RSRC3_GFX90A:TG_SPLIT: 0
	.section	.text._ZN7rocprim17ROCPRIM_400000_NS6detail17trampoline_kernelINS0_14default_configENS1_35radix_sort_onesweep_config_selectorIdNS0_10empty_typeEEEZNS1_34radix_sort_onesweep_global_offsetsIS3_Lb0EPdPS5_mNS0_19identity_decomposerEEE10hipError_tT1_T2_PT3_SE_jT4_jjP12ihipStream_tbEUlT_E_NS1_11comp_targetILNS1_3genE6ELNS1_11target_archE950ELNS1_3gpuE13ELNS1_3repE0EEENS1_52radix_sort_onesweep_histogram_config_static_selectorELNS0_4arch9wavefront6targetE1EEEvSC_,"axG",@progbits,_ZN7rocprim17ROCPRIM_400000_NS6detail17trampoline_kernelINS0_14default_configENS1_35radix_sort_onesweep_config_selectorIdNS0_10empty_typeEEEZNS1_34radix_sort_onesweep_global_offsetsIS3_Lb0EPdPS5_mNS0_19identity_decomposerEEE10hipError_tT1_T2_PT3_SE_jT4_jjP12ihipStream_tbEUlT_E_NS1_11comp_targetILNS1_3genE6ELNS1_11target_archE950ELNS1_3gpuE13ELNS1_3repE0EEENS1_52radix_sort_onesweep_histogram_config_static_selectorELNS0_4arch9wavefront6targetE1EEEvSC_,comdat
	.protected	_ZN7rocprim17ROCPRIM_400000_NS6detail17trampoline_kernelINS0_14default_configENS1_35radix_sort_onesweep_config_selectorIdNS0_10empty_typeEEEZNS1_34radix_sort_onesweep_global_offsetsIS3_Lb0EPdPS5_mNS0_19identity_decomposerEEE10hipError_tT1_T2_PT3_SE_jT4_jjP12ihipStream_tbEUlT_E_NS1_11comp_targetILNS1_3genE6ELNS1_11target_archE950ELNS1_3gpuE13ELNS1_3repE0EEENS1_52radix_sort_onesweep_histogram_config_static_selectorELNS0_4arch9wavefront6targetE1EEEvSC_ ; -- Begin function _ZN7rocprim17ROCPRIM_400000_NS6detail17trampoline_kernelINS0_14default_configENS1_35radix_sort_onesweep_config_selectorIdNS0_10empty_typeEEEZNS1_34radix_sort_onesweep_global_offsetsIS3_Lb0EPdPS5_mNS0_19identity_decomposerEEE10hipError_tT1_T2_PT3_SE_jT4_jjP12ihipStream_tbEUlT_E_NS1_11comp_targetILNS1_3genE6ELNS1_11target_archE950ELNS1_3gpuE13ELNS1_3repE0EEENS1_52radix_sort_onesweep_histogram_config_static_selectorELNS0_4arch9wavefront6targetE1EEEvSC_
	.globl	_ZN7rocprim17ROCPRIM_400000_NS6detail17trampoline_kernelINS0_14default_configENS1_35radix_sort_onesweep_config_selectorIdNS0_10empty_typeEEEZNS1_34radix_sort_onesweep_global_offsetsIS3_Lb0EPdPS5_mNS0_19identity_decomposerEEE10hipError_tT1_T2_PT3_SE_jT4_jjP12ihipStream_tbEUlT_E_NS1_11comp_targetILNS1_3genE6ELNS1_11target_archE950ELNS1_3gpuE13ELNS1_3repE0EEENS1_52radix_sort_onesweep_histogram_config_static_selectorELNS0_4arch9wavefront6targetE1EEEvSC_
	.p2align	8
	.type	_ZN7rocprim17ROCPRIM_400000_NS6detail17trampoline_kernelINS0_14default_configENS1_35radix_sort_onesweep_config_selectorIdNS0_10empty_typeEEEZNS1_34radix_sort_onesweep_global_offsetsIS3_Lb0EPdPS5_mNS0_19identity_decomposerEEE10hipError_tT1_T2_PT3_SE_jT4_jjP12ihipStream_tbEUlT_E_NS1_11comp_targetILNS1_3genE6ELNS1_11target_archE950ELNS1_3gpuE13ELNS1_3repE0EEENS1_52radix_sort_onesweep_histogram_config_static_selectorELNS0_4arch9wavefront6targetE1EEEvSC_,@function
_ZN7rocprim17ROCPRIM_400000_NS6detail17trampoline_kernelINS0_14default_configENS1_35radix_sort_onesweep_config_selectorIdNS0_10empty_typeEEEZNS1_34radix_sort_onesweep_global_offsetsIS3_Lb0EPdPS5_mNS0_19identity_decomposerEEE10hipError_tT1_T2_PT3_SE_jT4_jjP12ihipStream_tbEUlT_E_NS1_11comp_targetILNS1_3genE6ELNS1_11target_archE950ELNS1_3gpuE13ELNS1_3repE0EEENS1_52radix_sort_onesweep_histogram_config_static_selectorELNS0_4arch9wavefront6targetE1EEEvSC_: ; @_ZN7rocprim17ROCPRIM_400000_NS6detail17trampoline_kernelINS0_14default_configENS1_35radix_sort_onesweep_config_selectorIdNS0_10empty_typeEEEZNS1_34radix_sort_onesweep_global_offsetsIS3_Lb0EPdPS5_mNS0_19identity_decomposerEEE10hipError_tT1_T2_PT3_SE_jT4_jjP12ihipStream_tbEUlT_E_NS1_11comp_targetILNS1_3genE6ELNS1_11target_archE950ELNS1_3gpuE13ELNS1_3repE0EEENS1_52radix_sort_onesweep_histogram_config_static_selectorELNS0_4arch9wavefront6targetE1EEEvSC_
; %bb.0:
	.section	.rodata,"a",@progbits
	.p2align	6, 0x0
	.amdhsa_kernel _ZN7rocprim17ROCPRIM_400000_NS6detail17trampoline_kernelINS0_14default_configENS1_35radix_sort_onesweep_config_selectorIdNS0_10empty_typeEEEZNS1_34radix_sort_onesweep_global_offsetsIS3_Lb0EPdPS5_mNS0_19identity_decomposerEEE10hipError_tT1_T2_PT3_SE_jT4_jjP12ihipStream_tbEUlT_E_NS1_11comp_targetILNS1_3genE6ELNS1_11target_archE950ELNS1_3gpuE13ELNS1_3repE0EEENS1_52radix_sort_onesweep_histogram_config_static_selectorELNS0_4arch9wavefront6targetE1EEEvSC_
		.amdhsa_group_segment_fixed_size 0
		.amdhsa_private_segment_fixed_size 0
		.amdhsa_kernarg_size 48
		.amdhsa_user_sgpr_count 6
		.amdhsa_user_sgpr_private_segment_buffer 1
		.amdhsa_user_sgpr_dispatch_ptr 0
		.amdhsa_user_sgpr_queue_ptr 0
		.amdhsa_user_sgpr_kernarg_segment_ptr 1
		.amdhsa_user_sgpr_dispatch_id 0
		.amdhsa_user_sgpr_flat_scratch_init 0
		.amdhsa_user_sgpr_kernarg_preload_length 0
		.amdhsa_user_sgpr_kernarg_preload_offset 0
		.amdhsa_user_sgpr_private_segment_size 0
		.amdhsa_uses_dynamic_stack 0
		.amdhsa_system_sgpr_private_segment_wavefront_offset 0
		.amdhsa_system_sgpr_workgroup_id_x 1
		.amdhsa_system_sgpr_workgroup_id_y 0
		.amdhsa_system_sgpr_workgroup_id_z 0
		.amdhsa_system_sgpr_workgroup_info 0
		.amdhsa_system_vgpr_workitem_id 0
		.amdhsa_next_free_vgpr 1
		.amdhsa_next_free_sgpr 0
		.amdhsa_accum_offset 4
		.amdhsa_reserve_vcc 0
		.amdhsa_reserve_flat_scratch 0
		.amdhsa_float_round_mode_32 0
		.amdhsa_float_round_mode_16_64 0
		.amdhsa_float_denorm_mode_32 3
		.amdhsa_float_denorm_mode_16_64 3
		.amdhsa_dx10_clamp 1
		.amdhsa_ieee_mode 1
		.amdhsa_fp16_overflow 0
		.amdhsa_tg_split 0
		.amdhsa_exception_fp_ieee_invalid_op 0
		.amdhsa_exception_fp_denorm_src 0
		.amdhsa_exception_fp_ieee_div_zero 0
		.amdhsa_exception_fp_ieee_overflow 0
		.amdhsa_exception_fp_ieee_underflow 0
		.amdhsa_exception_fp_ieee_inexact 0
		.amdhsa_exception_int_div_zero 0
	.end_amdhsa_kernel
	.section	.text._ZN7rocprim17ROCPRIM_400000_NS6detail17trampoline_kernelINS0_14default_configENS1_35radix_sort_onesweep_config_selectorIdNS0_10empty_typeEEEZNS1_34radix_sort_onesweep_global_offsetsIS3_Lb0EPdPS5_mNS0_19identity_decomposerEEE10hipError_tT1_T2_PT3_SE_jT4_jjP12ihipStream_tbEUlT_E_NS1_11comp_targetILNS1_3genE6ELNS1_11target_archE950ELNS1_3gpuE13ELNS1_3repE0EEENS1_52radix_sort_onesweep_histogram_config_static_selectorELNS0_4arch9wavefront6targetE1EEEvSC_,"axG",@progbits,_ZN7rocprim17ROCPRIM_400000_NS6detail17trampoline_kernelINS0_14default_configENS1_35radix_sort_onesweep_config_selectorIdNS0_10empty_typeEEEZNS1_34radix_sort_onesweep_global_offsetsIS3_Lb0EPdPS5_mNS0_19identity_decomposerEEE10hipError_tT1_T2_PT3_SE_jT4_jjP12ihipStream_tbEUlT_E_NS1_11comp_targetILNS1_3genE6ELNS1_11target_archE950ELNS1_3gpuE13ELNS1_3repE0EEENS1_52radix_sort_onesweep_histogram_config_static_selectorELNS0_4arch9wavefront6targetE1EEEvSC_,comdat
.Lfunc_end1355:
	.size	_ZN7rocprim17ROCPRIM_400000_NS6detail17trampoline_kernelINS0_14default_configENS1_35radix_sort_onesweep_config_selectorIdNS0_10empty_typeEEEZNS1_34radix_sort_onesweep_global_offsetsIS3_Lb0EPdPS5_mNS0_19identity_decomposerEEE10hipError_tT1_T2_PT3_SE_jT4_jjP12ihipStream_tbEUlT_E_NS1_11comp_targetILNS1_3genE6ELNS1_11target_archE950ELNS1_3gpuE13ELNS1_3repE0EEENS1_52radix_sort_onesweep_histogram_config_static_selectorELNS0_4arch9wavefront6targetE1EEEvSC_, .Lfunc_end1355-_ZN7rocprim17ROCPRIM_400000_NS6detail17trampoline_kernelINS0_14default_configENS1_35radix_sort_onesweep_config_selectorIdNS0_10empty_typeEEEZNS1_34radix_sort_onesweep_global_offsetsIS3_Lb0EPdPS5_mNS0_19identity_decomposerEEE10hipError_tT1_T2_PT3_SE_jT4_jjP12ihipStream_tbEUlT_E_NS1_11comp_targetILNS1_3genE6ELNS1_11target_archE950ELNS1_3gpuE13ELNS1_3repE0EEENS1_52radix_sort_onesweep_histogram_config_static_selectorELNS0_4arch9wavefront6targetE1EEEvSC_
                                        ; -- End function
	.section	.AMDGPU.csdata,"",@progbits
; Kernel info:
; codeLenInByte = 0
; NumSgprs: 4
; NumVgprs: 0
; NumAgprs: 0
; TotalNumVgprs: 0
; ScratchSize: 0
; MemoryBound: 0
; FloatMode: 240
; IeeeMode: 1
; LDSByteSize: 0 bytes/workgroup (compile time only)
; SGPRBlocks: 0
; VGPRBlocks: 0
; NumSGPRsForWavesPerEU: 4
; NumVGPRsForWavesPerEU: 1
; AccumOffset: 4
; Occupancy: 8
; WaveLimiterHint : 0
; COMPUTE_PGM_RSRC2:SCRATCH_EN: 0
; COMPUTE_PGM_RSRC2:USER_SGPR: 6
; COMPUTE_PGM_RSRC2:TRAP_HANDLER: 0
; COMPUTE_PGM_RSRC2:TGID_X_EN: 1
; COMPUTE_PGM_RSRC2:TGID_Y_EN: 0
; COMPUTE_PGM_RSRC2:TGID_Z_EN: 0
; COMPUTE_PGM_RSRC2:TIDIG_COMP_CNT: 0
; COMPUTE_PGM_RSRC3_GFX90A:ACCUM_OFFSET: 0
; COMPUTE_PGM_RSRC3_GFX90A:TG_SPLIT: 0
	.section	.text._ZN7rocprim17ROCPRIM_400000_NS6detail17trampoline_kernelINS0_14default_configENS1_35radix_sort_onesweep_config_selectorIdNS0_10empty_typeEEEZNS1_34radix_sort_onesweep_global_offsetsIS3_Lb0EPdPS5_mNS0_19identity_decomposerEEE10hipError_tT1_T2_PT3_SE_jT4_jjP12ihipStream_tbEUlT_E_NS1_11comp_targetILNS1_3genE5ELNS1_11target_archE942ELNS1_3gpuE9ELNS1_3repE0EEENS1_52radix_sort_onesweep_histogram_config_static_selectorELNS0_4arch9wavefront6targetE1EEEvSC_,"axG",@progbits,_ZN7rocprim17ROCPRIM_400000_NS6detail17trampoline_kernelINS0_14default_configENS1_35radix_sort_onesweep_config_selectorIdNS0_10empty_typeEEEZNS1_34radix_sort_onesweep_global_offsetsIS3_Lb0EPdPS5_mNS0_19identity_decomposerEEE10hipError_tT1_T2_PT3_SE_jT4_jjP12ihipStream_tbEUlT_E_NS1_11comp_targetILNS1_3genE5ELNS1_11target_archE942ELNS1_3gpuE9ELNS1_3repE0EEENS1_52radix_sort_onesweep_histogram_config_static_selectorELNS0_4arch9wavefront6targetE1EEEvSC_,comdat
	.protected	_ZN7rocprim17ROCPRIM_400000_NS6detail17trampoline_kernelINS0_14default_configENS1_35radix_sort_onesweep_config_selectorIdNS0_10empty_typeEEEZNS1_34radix_sort_onesweep_global_offsetsIS3_Lb0EPdPS5_mNS0_19identity_decomposerEEE10hipError_tT1_T2_PT3_SE_jT4_jjP12ihipStream_tbEUlT_E_NS1_11comp_targetILNS1_3genE5ELNS1_11target_archE942ELNS1_3gpuE9ELNS1_3repE0EEENS1_52radix_sort_onesweep_histogram_config_static_selectorELNS0_4arch9wavefront6targetE1EEEvSC_ ; -- Begin function _ZN7rocprim17ROCPRIM_400000_NS6detail17trampoline_kernelINS0_14default_configENS1_35radix_sort_onesweep_config_selectorIdNS0_10empty_typeEEEZNS1_34radix_sort_onesweep_global_offsetsIS3_Lb0EPdPS5_mNS0_19identity_decomposerEEE10hipError_tT1_T2_PT3_SE_jT4_jjP12ihipStream_tbEUlT_E_NS1_11comp_targetILNS1_3genE5ELNS1_11target_archE942ELNS1_3gpuE9ELNS1_3repE0EEENS1_52radix_sort_onesweep_histogram_config_static_selectorELNS0_4arch9wavefront6targetE1EEEvSC_
	.globl	_ZN7rocprim17ROCPRIM_400000_NS6detail17trampoline_kernelINS0_14default_configENS1_35radix_sort_onesweep_config_selectorIdNS0_10empty_typeEEEZNS1_34radix_sort_onesweep_global_offsetsIS3_Lb0EPdPS5_mNS0_19identity_decomposerEEE10hipError_tT1_T2_PT3_SE_jT4_jjP12ihipStream_tbEUlT_E_NS1_11comp_targetILNS1_3genE5ELNS1_11target_archE942ELNS1_3gpuE9ELNS1_3repE0EEENS1_52radix_sort_onesweep_histogram_config_static_selectorELNS0_4arch9wavefront6targetE1EEEvSC_
	.p2align	8
	.type	_ZN7rocprim17ROCPRIM_400000_NS6detail17trampoline_kernelINS0_14default_configENS1_35radix_sort_onesweep_config_selectorIdNS0_10empty_typeEEEZNS1_34radix_sort_onesweep_global_offsetsIS3_Lb0EPdPS5_mNS0_19identity_decomposerEEE10hipError_tT1_T2_PT3_SE_jT4_jjP12ihipStream_tbEUlT_E_NS1_11comp_targetILNS1_3genE5ELNS1_11target_archE942ELNS1_3gpuE9ELNS1_3repE0EEENS1_52radix_sort_onesweep_histogram_config_static_selectorELNS0_4arch9wavefront6targetE1EEEvSC_,@function
_ZN7rocprim17ROCPRIM_400000_NS6detail17trampoline_kernelINS0_14default_configENS1_35radix_sort_onesweep_config_selectorIdNS0_10empty_typeEEEZNS1_34radix_sort_onesweep_global_offsetsIS3_Lb0EPdPS5_mNS0_19identity_decomposerEEE10hipError_tT1_T2_PT3_SE_jT4_jjP12ihipStream_tbEUlT_E_NS1_11comp_targetILNS1_3genE5ELNS1_11target_archE942ELNS1_3gpuE9ELNS1_3repE0EEENS1_52radix_sort_onesweep_histogram_config_static_selectorELNS0_4arch9wavefront6targetE1EEEvSC_: ; @_ZN7rocprim17ROCPRIM_400000_NS6detail17trampoline_kernelINS0_14default_configENS1_35radix_sort_onesweep_config_selectorIdNS0_10empty_typeEEEZNS1_34radix_sort_onesweep_global_offsetsIS3_Lb0EPdPS5_mNS0_19identity_decomposerEEE10hipError_tT1_T2_PT3_SE_jT4_jjP12ihipStream_tbEUlT_E_NS1_11comp_targetILNS1_3genE5ELNS1_11target_archE942ELNS1_3gpuE9ELNS1_3repE0EEENS1_52radix_sort_onesweep_histogram_config_static_selectorELNS0_4arch9wavefront6targetE1EEEvSC_
; %bb.0:
	.section	.rodata,"a",@progbits
	.p2align	6, 0x0
	.amdhsa_kernel _ZN7rocprim17ROCPRIM_400000_NS6detail17trampoline_kernelINS0_14default_configENS1_35radix_sort_onesweep_config_selectorIdNS0_10empty_typeEEEZNS1_34radix_sort_onesweep_global_offsetsIS3_Lb0EPdPS5_mNS0_19identity_decomposerEEE10hipError_tT1_T2_PT3_SE_jT4_jjP12ihipStream_tbEUlT_E_NS1_11comp_targetILNS1_3genE5ELNS1_11target_archE942ELNS1_3gpuE9ELNS1_3repE0EEENS1_52radix_sort_onesweep_histogram_config_static_selectorELNS0_4arch9wavefront6targetE1EEEvSC_
		.amdhsa_group_segment_fixed_size 0
		.amdhsa_private_segment_fixed_size 0
		.amdhsa_kernarg_size 48
		.amdhsa_user_sgpr_count 6
		.amdhsa_user_sgpr_private_segment_buffer 1
		.amdhsa_user_sgpr_dispatch_ptr 0
		.amdhsa_user_sgpr_queue_ptr 0
		.amdhsa_user_sgpr_kernarg_segment_ptr 1
		.amdhsa_user_sgpr_dispatch_id 0
		.amdhsa_user_sgpr_flat_scratch_init 0
		.amdhsa_user_sgpr_kernarg_preload_length 0
		.amdhsa_user_sgpr_kernarg_preload_offset 0
		.amdhsa_user_sgpr_private_segment_size 0
		.amdhsa_uses_dynamic_stack 0
		.amdhsa_system_sgpr_private_segment_wavefront_offset 0
		.amdhsa_system_sgpr_workgroup_id_x 1
		.amdhsa_system_sgpr_workgroup_id_y 0
		.amdhsa_system_sgpr_workgroup_id_z 0
		.amdhsa_system_sgpr_workgroup_info 0
		.amdhsa_system_vgpr_workitem_id 0
		.amdhsa_next_free_vgpr 1
		.amdhsa_next_free_sgpr 0
		.amdhsa_accum_offset 4
		.amdhsa_reserve_vcc 0
		.amdhsa_reserve_flat_scratch 0
		.amdhsa_float_round_mode_32 0
		.amdhsa_float_round_mode_16_64 0
		.amdhsa_float_denorm_mode_32 3
		.amdhsa_float_denorm_mode_16_64 3
		.amdhsa_dx10_clamp 1
		.amdhsa_ieee_mode 1
		.amdhsa_fp16_overflow 0
		.amdhsa_tg_split 0
		.amdhsa_exception_fp_ieee_invalid_op 0
		.amdhsa_exception_fp_denorm_src 0
		.amdhsa_exception_fp_ieee_div_zero 0
		.amdhsa_exception_fp_ieee_overflow 0
		.amdhsa_exception_fp_ieee_underflow 0
		.amdhsa_exception_fp_ieee_inexact 0
		.amdhsa_exception_int_div_zero 0
	.end_amdhsa_kernel
	.section	.text._ZN7rocprim17ROCPRIM_400000_NS6detail17trampoline_kernelINS0_14default_configENS1_35radix_sort_onesweep_config_selectorIdNS0_10empty_typeEEEZNS1_34radix_sort_onesweep_global_offsetsIS3_Lb0EPdPS5_mNS0_19identity_decomposerEEE10hipError_tT1_T2_PT3_SE_jT4_jjP12ihipStream_tbEUlT_E_NS1_11comp_targetILNS1_3genE5ELNS1_11target_archE942ELNS1_3gpuE9ELNS1_3repE0EEENS1_52radix_sort_onesweep_histogram_config_static_selectorELNS0_4arch9wavefront6targetE1EEEvSC_,"axG",@progbits,_ZN7rocprim17ROCPRIM_400000_NS6detail17trampoline_kernelINS0_14default_configENS1_35radix_sort_onesweep_config_selectorIdNS0_10empty_typeEEEZNS1_34radix_sort_onesweep_global_offsetsIS3_Lb0EPdPS5_mNS0_19identity_decomposerEEE10hipError_tT1_T2_PT3_SE_jT4_jjP12ihipStream_tbEUlT_E_NS1_11comp_targetILNS1_3genE5ELNS1_11target_archE942ELNS1_3gpuE9ELNS1_3repE0EEENS1_52radix_sort_onesweep_histogram_config_static_selectorELNS0_4arch9wavefront6targetE1EEEvSC_,comdat
.Lfunc_end1356:
	.size	_ZN7rocprim17ROCPRIM_400000_NS6detail17trampoline_kernelINS0_14default_configENS1_35radix_sort_onesweep_config_selectorIdNS0_10empty_typeEEEZNS1_34radix_sort_onesweep_global_offsetsIS3_Lb0EPdPS5_mNS0_19identity_decomposerEEE10hipError_tT1_T2_PT3_SE_jT4_jjP12ihipStream_tbEUlT_E_NS1_11comp_targetILNS1_3genE5ELNS1_11target_archE942ELNS1_3gpuE9ELNS1_3repE0EEENS1_52radix_sort_onesweep_histogram_config_static_selectorELNS0_4arch9wavefront6targetE1EEEvSC_, .Lfunc_end1356-_ZN7rocprim17ROCPRIM_400000_NS6detail17trampoline_kernelINS0_14default_configENS1_35radix_sort_onesweep_config_selectorIdNS0_10empty_typeEEEZNS1_34radix_sort_onesweep_global_offsetsIS3_Lb0EPdPS5_mNS0_19identity_decomposerEEE10hipError_tT1_T2_PT3_SE_jT4_jjP12ihipStream_tbEUlT_E_NS1_11comp_targetILNS1_3genE5ELNS1_11target_archE942ELNS1_3gpuE9ELNS1_3repE0EEENS1_52radix_sort_onesweep_histogram_config_static_selectorELNS0_4arch9wavefront6targetE1EEEvSC_
                                        ; -- End function
	.section	.AMDGPU.csdata,"",@progbits
; Kernel info:
; codeLenInByte = 0
; NumSgprs: 4
; NumVgprs: 0
; NumAgprs: 0
; TotalNumVgprs: 0
; ScratchSize: 0
; MemoryBound: 0
; FloatMode: 240
; IeeeMode: 1
; LDSByteSize: 0 bytes/workgroup (compile time only)
; SGPRBlocks: 0
; VGPRBlocks: 0
; NumSGPRsForWavesPerEU: 4
; NumVGPRsForWavesPerEU: 1
; AccumOffset: 4
; Occupancy: 8
; WaveLimiterHint : 0
; COMPUTE_PGM_RSRC2:SCRATCH_EN: 0
; COMPUTE_PGM_RSRC2:USER_SGPR: 6
; COMPUTE_PGM_RSRC2:TRAP_HANDLER: 0
; COMPUTE_PGM_RSRC2:TGID_X_EN: 1
; COMPUTE_PGM_RSRC2:TGID_Y_EN: 0
; COMPUTE_PGM_RSRC2:TGID_Z_EN: 0
; COMPUTE_PGM_RSRC2:TIDIG_COMP_CNT: 0
; COMPUTE_PGM_RSRC3_GFX90A:ACCUM_OFFSET: 0
; COMPUTE_PGM_RSRC3_GFX90A:TG_SPLIT: 0
	.section	.text._ZN7rocprim17ROCPRIM_400000_NS6detail17trampoline_kernelINS0_14default_configENS1_35radix_sort_onesweep_config_selectorIdNS0_10empty_typeEEEZNS1_34radix_sort_onesweep_global_offsetsIS3_Lb0EPdPS5_mNS0_19identity_decomposerEEE10hipError_tT1_T2_PT3_SE_jT4_jjP12ihipStream_tbEUlT_E_NS1_11comp_targetILNS1_3genE2ELNS1_11target_archE906ELNS1_3gpuE6ELNS1_3repE0EEENS1_52radix_sort_onesweep_histogram_config_static_selectorELNS0_4arch9wavefront6targetE1EEEvSC_,"axG",@progbits,_ZN7rocprim17ROCPRIM_400000_NS6detail17trampoline_kernelINS0_14default_configENS1_35radix_sort_onesweep_config_selectorIdNS0_10empty_typeEEEZNS1_34radix_sort_onesweep_global_offsetsIS3_Lb0EPdPS5_mNS0_19identity_decomposerEEE10hipError_tT1_T2_PT3_SE_jT4_jjP12ihipStream_tbEUlT_E_NS1_11comp_targetILNS1_3genE2ELNS1_11target_archE906ELNS1_3gpuE6ELNS1_3repE0EEENS1_52radix_sort_onesweep_histogram_config_static_selectorELNS0_4arch9wavefront6targetE1EEEvSC_,comdat
	.protected	_ZN7rocprim17ROCPRIM_400000_NS6detail17trampoline_kernelINS0_14default_configENS1_35radix_sort_onesweep_config_selectorIdNS0_10empty_typeEEEZNS1_34radix_sort_onesweep_global_offsetsIS3_Lb0EPdPS5_mNS0_19identity_decomposerEEE10hipError_tT1_T2_PT3_SE_jT4_jjP12ihipStream_tbEUlT_E_NS1_11comp_targetILNS1_3genE2ELNS1_11target_archE906ELNS1_3gpuE6ELNS1_3repE0EEENS1_52radix_sort_onesweep_histogram_config_static_selectorELNS0_4arch9wavefront6targetE1EEEvSC_ ; -- Begin function _ZN7rocprim17ROCPRIM_400000_NS6detail17trampoline_kernelINS0_14default_configENS1_35radix_sort_onesweep_config_selectorIdNS0_10empty_typeEEEZNS1_34radix_sort_onesweep_global_offsetsIS3_Lb0EPdPS5_mNS0_19identity_decomposerEEE10hipError_tT1_T2_PT3_SE_jT4_jjP12ihipStream_tbEUlT_E_NS1_11comp_targetILNS1_3genE2ELNS1_11target_archE906ELNS1_3gpuE6ELNS1_3repE0EEENS1_52radix_sort_onesweep_histogram_config_static_selectorELNS0_4arch9wavefront6targetE1EEEvSC_
	.globl	_ZN7rocprim17ROCPRIM_400000_NS6detail17trampoline_kernelINS0_14default_configENS1_35radix_sort_onesweep_config_selectorIdNS0_10empty_typeEEEZNS1_34radix_sort_onesweep_global_offsetsIS3_Lb0EPdPS5_mNS0_19identity_decomposerEEE10hipError_tT1_T2_PT3_SE_jT4_jjP12ihipStream_tbEUlT_E_NS1_11comp_targetILNS1_3genE2ELNS1_11target_archE906ELNS1_3gpuE6ELNS1_3repE0EEENS1_52radix_sort_onesweep_histogram_config_static_selectorELNS0_4arch9wavefront6targetE1EEEvSC_
	.p2align	8
	.type	_ZN7rocprim17ROCPRIM_400000_NS6detail17trampoline_kernelINS0_14default_configENS1_35radix_sort_onesweep_config_selectorIdNS0_10empty_typeEEEZNS1_34radix_sort_onesweep_global_offsetsIS3_Lb0EPdPS5_mNS0_19identity_decomposerEEE10hipError_tT1_T2_PT3_SE_jT4_jjP12ihipStream_tbEUlT_E_NS1_11comp_targetILNS1_3genE2ELNS1_11target_archE906ELNS1_3gpuE6ELNS1_3repE0EEENS1_52radix_sort_onesweep_histogram_config_static_selectorELNS0_4arch9wavefront6targetE1EEEvSC_,@function
_ZN7rocprim17ROCPRIM_400000_NS6detail17trampoline_kernelINS0_14default_configENS1_35radix_sort_onesweep_config_selectorIdNS0_10empty_typeEEEZNS1_34radix_sort_onesweep_global_offsetsIS3_Lb0EPdPS5_mNS0_19identity_decomposerEEE10hipError_tT1_T2_PT3_SE_jT4_jjP12ihipStream_tbEUlT_E_NS1_11comp_targetILNS1_3genE2ELNS1_11target_archE906ELNS1_3gpuE6ELNS1_3repE0EEENS1_52radix_sort_onesweep_histogram_config_static_selectorELNS0_4arch9wavefront6targetE1EEEvSC_: ; @_ZN7rocprim17ROCPRIM_400000_NS6detail17trampoline_kernelINS0_14default_configENS1_35radix_sort_onesweep_config_selectorIdNS0_10empty_typeEEEZNS1_34radix_sort_onesweep_global_offsetsIS3_Lb0EPdPS5_mNS0_19identity_decomposerEEE10hipError_tT1_T2_PT3_SE_jT4_jjP12ihipStream_tbEUlT_E_NS1_11comp_targetILNS1_3genE2ELNS1_11target_archE906ELNS1_3gpuE6ELNS1_3repE0EEENS1_52radix_sort_onesweep_histogram_config_static_selectorELNS0_4arch9wavefront6targetE1EEEvSC_
; %bb.0:
	.section	.rodata,"a",@progbits
	.p2align	6, 0x0
	.amdhsa_kernel _ZN7rocprim17ROCPRIM_400000_NS6detail17trampoline_kernelINS0_14default_configENS1_35radix_sort_onesweep_config_selectorIdNS0_10empty_typeEEEZNS1_34radix_sort_onesweep_global_offsetsIS3_Lb0EPdPS5_mNS0_19identity_decomposerEEE10hipError_tT1_T2_PT3_SE_jT4_jjP12ihipStream_tbEUlT_E_NS1_11comp_targetILNS1_3genE2ELNS1_11target_archE906ELNS1_3gpuE6ELNS1_3repE0EEENS1_52radix_sort_onesweep_histogram_config_static_selectorELNS0_4arch9wavefront6targetE1EEEvSC_
		.amdhsa_group_segment_fixed_size 0
		.amdhsa_private_segment_fixed_size 0
		.amdhsa_kernarg_size 48
		.amdhsa_user_sgpr_count 6
		.amdhsa_user_sgpr_private_segment_buffer 1
		.amdhsa_user_sgpr_dispatch_ptr 0
		.amdhsa_user_sgpr_queue_ptr 0
		.amdhsa_user_sgpr_kernarg_segment_ptr 1
		.amdhsa_user_sgpr_dispatch_id 0
		.amdhsa_user_sgpr_flat_scratch_init 0
		.amdhsa_user_sgpr_kernarg_preload_length 0
		.amdhsa_user_sgpr_kernarg_preload_offset 0
		.amdhsa_user_sgpr_private_segment_size 0
		.amdhsa_uses_dynamic_stack 0
		.amdhsa_system_sgpr_private_segment_wavefront_offset 0
		.amdhsa_system_sgpr_workgroup_id_x 1
		.amdhsa_system_sgpr_workgroup_id_y 0
		.amdhsa_system_sgpr_workgroup_id_z 0
		.amdhsa_system_sgpr_workgroup_info 0
		.amdhsa_system_vgpr_workitem_id 0
		.amdhsa_next_free_vgpr 1
		.amdhsa_next_free_sgpr 0
		.amdhsa_accum_offset 4
		.amdhsa_reserve_vcc 0
		.amdhsa_reserve_flat_scratch 0
		.amdhsa_float_round_mode_32 0
		.amdhsa_float_round_mode_16_64 0
		.amdhsa_float_denorm_mode_32 3
		.amdhsa_float_denorm_mode_16_64 3
		.amdhsa_dx10_clamp 1
		.amdhsa_ieee_mode 1
		.amdhsa_fp16_overflow 0
		.amdhsa_tg_split 0
		.amdhsa_exception_fp_ieee_invalid_op 0
		.amdhsa_exception_fp_denorm_src 0
		.amdhsa_exception_fp_ieee_div_zero 0
		.amdhsa_exception_fp_ieee_overflow 0
		.amdhsa_exception_fp_ieee_underflow 0
		.amdhsa_exception_fp_ieee_inexact 0
		.amdhsa_exception_int_div_zero 0
	.end_amdhsa_kernel
	.section	.text._ZN7rocprim17ROCPRIM_400000_NS6detail17trampoline_kernelINS0_14default_configENS1_35radix_sort_onesweep_config_selectorIdNS0_10empty_typeEEEZNS1_34radix_sort_onesweep_global_offsetsIS3_Lb0EPdPS5_mNS0_19identity_decomposerEEE10hipError_tT1_T2_PT3_SE_jT4_jjP12ihipStream_tbEUlT_E_NS1_11comp_targetILNS1_3genE2ELNS1_11target_archE906ELNS1_3gpuE6ELNS1_3repE0EEENS1_52radix_sort_onesweep_histogram_config_static_selectorELNS0_4arch9wavefront6targetE1EEEvSC_,"axG",@progbits,_ZN7rocprim17ROCPRIM_400000_NS6detail17trampoline_kernelINS0_14default_configENS1_35radix_sort_onesweep_config_selectorIdNS0_10empty_typeEEEZNS1_34radix_sort_onesweep_global_offsetsIS3_Lb0EPdPS5_mNS0_19identity_decomposerEEE10hipError_tT1_T2_PT3_SE_jT4_jjP12ihipStream_tbEUlT_E_NS1_11comp_targetILNS1_3genE2ELNS1_11target_archE906ELNS1_3gpuE6ELNS1_3repE0EEENS1_52radix_sort_onesweep_histogram_config_static_selectorELNS0_4arch9wavefront6targetE1EEEvSC_,comdat
.Lfunc_end1357:
	.size	_ZN7rocprim17ROCPRIM_400000_NS6detail17trampoline_kernelINS0_14default_configENS1_35radix_sort_onesweep_config_selectorIdNS0_10empty_typeEEEZNS1_34radix_sort_onesweep_global_offsetsIS3_Lb0EPdPS5_mNS0_19identity_decomposerEEE10hipError_tT1_T2_PT3_SE_jT4_jjP12ihipStream_tbEUlT_E_NS1_11comp_targetILNS1_3genE2ELNS1_11target_archE906ELNS1_3gpuE6ELNS1_3repE0EEENS1_52radix_sort_onesweep_histogram_config_static_selectorELNS0_4arch9wavefront6targetE1EEEvSC_, .Lfunc_end1357-_ZN7rocprim17ROCPRIM_400000_NS6detail17trampoline_kernelINS0_14default_configENS1_35radix_sort_onesweep_config_selectorIdNS0_10empty_typeEEEZNS1_34radix_sort_onesweep_global_offsetsIS3_Lb0EPdPS5_mNS0_19identity_decomposerEEE10hipError_tT1_T2_PT3_SE_jT4_jjP12ihipStream_tbEUlT_E_NS1_11comp_targetILNS1_3genE2ELNS1_11target_archE906ELNS1_3gpuE6ELNS1_3repE0EEENS1_52radix_sort_onesweep_histogram_config_static_selectorELNS0_4arch9wavefront6targetE1EEEvSC_
                                        ; -- End function
	.section	.AMDGPU.csdata,"",@progbits
; Kernel info:
; codeLenInByte = 0
; NumSgprs: 4
; NumVgprs: 0
; NumAgprs: 0
; TotalNumVgprs: 0
; ScratchSize: 0
; MemoryBound: 0
; FloatMode: 240
; IeeeMode: 1
; LDSByteSize: 0 bytes/workgroup (compile time only)
; SGPRBlocks: 0
; VGPRBlocks: 0
; NumSGPRsForWavesPerEU: 4
; NumVGPRsForWavesPerEU: 1
; AccumOffset: 4
; Occupancy: 8
; WaveLimiterHint : 0
; COMPUTE_PGM_RSRC2:SCRATCH_EN: 0
; COMPUTE_PGM_RSRC2:USER_SGPR: 6
; COMPUTE_PGM_RSRC2:TRAP_HANDLER: 0
; COMPUTE_PGM_RSRC2:TGID_X_EN: 1
; COMPUTE_PGM_RSRC2:TGID_Y_EN: 0
; COMPUTE_PGM_RSRC2:TGID_Z_EN: 0
; COMPUTE_PGM_RSRC2:TIDIG_COMP_CNT: 0
; COMPUTE_PGM_RSRC3_GFX90A:ACCUM_OFFSET: 0
; COMPUTE_PGM_RSRC3_GFX90A:TG_SPLIT: 0
	.section	.text._ZN7rocprim17ROCPRIM_400000_NS6detail17trampoline_kernelINS0_14default_configENS1_35radix_sort_onesweep_config_selectorIdNS0_10empty_typeEEEZNS1_34radix_sort_onesweep_global_offsetsIS3_Lb0EPdPS5_mNS0_19identity_decomposerEEE10hipError_tT1_T2_PT3_SE_jT4_jjP12ihipStream_tbEUlT_E_NS1_11comp_targetILNS1_3genE4ELNS1_11target_archE910ELNS1_3gpuE8ELNS1_3repE0EEENS1_52radix_sort_onesweep_histogram_config_static_selectorELNS0_4arch9wavefront6targetE1EEEvSC_,"axG",@progbits,_ZN7rocprim17ROCPRIM_400000_NS6detail17trampoline_kernelINS0_14default_configENS1_35radix_sort_onesweep_config_selectorIdNS0_10empty_typeEEEZNS1_34radix_sort_onesweep_global_offsetsIS3_Lb0EPdPS5_mNS0_19identity_decomposerEEE10hipError_tT1_T2_PT3_SE_jT4_jjP12ihipStream_tbEUlT_E_NS1_11comp_targetILNS1_3genE4ELNS1_11target_archE910ELNS1_3gpuE8ELNS1_3repE0EEENS1_52radix_sort_onesweep_histogram_config_static_selectorELNS0_4arch9wavefront6targetE1EEEvSC_,comdat
	.protected	_ZN7rocprim17ROCPRIM_400000_NS6detail17trampoline_kernelINS0_14default_configENS1_35radix_sort_onesweep_config_selectorIdNS0_10empty_typeEEEZNS1_34radix_sort_onesweep_global_offsetsIS3_Lb0EPdPS5_mNS0_19identity_decomposerEEE10hipError_tT1_T2_PT3_SE_jT4_jjP12ihipStream_tbEUlT_E_NS1_11comp_targetILNS1_3genE4ELNS1_11target_archE910ELNS1_3gpuE8ELNS1_3repE0EEENS1_52radix_sort_onesweep_histogram_config_static_selectorELNS0_4arch9wavefront6targetE1EEEvSC_ ; -- Begin function _ZN7rocprim17ROCPRIM_400000_NS6detail17trampoline_kernelINS0_14default_configENS1_35radix_sort_onesweep_config_selectorIdNS0_10empty_typeEEEZNS1_34radix_sort_onesweep_global_offsetsIS3_Lb0EPdPS5_mNS0_19identity_decomposerEEE10hipError_tT1_T2_PT3_SE_jT4_jjP12ihipStream_tbEUlT_E_NS1_11comp_targetILNS1_3genE4ELNS1_11target_archE910ELNS1_3gpuE8ELNS1_3repE0EEENS1_52radix_sort_onesweep_histogram_config_static_selectorELNS0_4arch9wavefront6targetE1EEEvSC_
	.globl	_ZN7rocprim17ROCPRIM_400000_NS6detail17trampoline_kernelINS0_14default_configENS1_35radix_sort_onesweep_config_selectorIdNS0_10empty_typeEEEZNS1_34radix_sort_onesweep_global_offsetsIS3_Lb0EPdPS5_mNS0_19identity_decomposerEEE10hipError_tT1_T2_PT3_SE_jT4_jjP12ihipStream_tbEUlT_E_NS1_11comp_targetILNS1_3genE4ELNS1_11target_archE910ELNS1_3gpuE8ELNS1_3repE0EEENS1_52radix_sort_onesweep_histogram_config_static_selectorELNS0_4arch9wavefront6targetE1EEEvSC_
	.p2align	8
	.type	_ZN7rocprim17ROCPRIM_400000_NS6detail17trampoline_kernelINS0_14default_configENS1_35radix_sort_onesweep_config_selectorIdNS0_10empty_typeEEEZNS1_34radix_sort_onesweep_global_offsetsIS3_Lb0EPdPS5_mNS0_19identity_decomposerEEE10hipError_tT1_T2_PT3_SE_jT4_jjP12ihipStream_tbEUlT_E_NS1_11comp_targetILNS1_3genE4ELNS1_11target_archE910ELNS1_3gpuE8ELNS1_3repE0EEENS1_52radix_sort_onesweep_histogram_config_static_selectorELNS0_4arch9wavefront6targetE1EEEvSC_,@function
_ZN7rocprim17ROCPRIM_400000_NS6detail17trampoline_kernelINS0_14default_configENS1_35radix_sort_onesweep_config_selectorIdNS0_10empty_typeEEEZNS1_34radix_sort_onesweep_global_offsetsIS3_Lb0EPdPS5_mNS0_19identity_decomposerEEE10hipError_tT1_T2_PT3_SE_jT4_jjP12ihipStream_tbEUlT_E_NS1_11comp_targetILNS1_3genE4ELNS1_11target_archE910ELNS1_3gpuE8ELNS1_3repE0EEENS1_52radix_sort_onesweep_histogram_config_static_selectorELNS0_4arch9wavefront6targetE1EEEvSC_: ; @_ZN7rocprim17ROCPRIM_400000_NS6detail17trampoline_kernelINS0_14default_configENS1_35radix_sort_onesweep_config_selectorIdNS0_10empty_typeEEEZNS1_34radix_sort_onesweep_global_offsetsIS3_Lb0EPdPS5_mNS0_19identity_decomposerEEE10hipError_tT1_T2_PT3_SE_jT4_jjP12ihipStream_tbEUlT_E_NS1_11comp_targetILNS1_3genE4ELNS1_11target_archE910ELNS1_3gpuE8ELNS1_3repE0EEENS1_52radix_sort_onesweep_histogram_config_static_selectorELNS0_4arch9wavefront6targetE1EEEvSC_
; %bb.0:
	s_load_dwordx2 s[10:11], s[4:5], 0x18
	s_load_dwordx4 s[0:3], s[4:5], 0x0
	s_load_dwordx2 s[8:9], s[4:5], 0x24
	v_mov_b32_e32 v2, s6
	v_mov_b32_e32 v3, 0
	s_mul_hi_u32 s7, s6, 0xc000
	s_mul_i32 s6, s6, 0xc000
	s_waitcnt lgkmcnt(0)
	v_cmp_le_u64_e32 vcc, s[10:11], v[2:3]
	s_add_u32 s6, s0, s6
	s_addc_u32 s7, s1, s7
	s_mov_b64 s[0:1], -1
	s_cbranch_vccz .LBB1358_241
; %bb.1:
	s_load_dword s16, s[4:5], 0x10
	s_mul_i32 s0, s10, 0xffffe800
                                        ; implicit-def: $vgpr12_vgpr13
	s_waitcnt lgkmcnt(0)
	s_add_i32 s16, s16, s0
	v_cmp_gt_u32_e32 vcc, s16, v0
	s_and_saveexec_b64 s[0:1], vcc
	s_cbranch_execz .LBB1358_3
; %bb.2:
	v_lshlrev_b32_e32 v1, 3, v0
	global_load_dwordx2 v[12:13], v1, s[6:7]
.LBB1358_3:
	s_or_b64 exec, exec, s[0:1]
	v_or_b32_e32 v18, 0x400, v0
	v_cmp_gt_u32_e32 vcc, s16, v18
                                        ; implicit-def: $vgpr10_vgpr11
	s_and_saveexec_b64 s[0:1], vcc
	s_cbranch_execz .LBB1358_5
; %bb.4:
	v_lshlrev_b32_e32 v1, 3, v18
	global_load_dwordx2 v[10:11], v1, s[6:7]
.LBB1358_5:
	s_or_b64 exec, exec, s[0:1]
	v_or_b32_e32 v17, 0x800, v0
	v_cmp_gt_u32_e32 vcc, s16, v17
                                        ; implicit-def: $vgpr8_vgpr9
	s_and_saveexec_b64 s[0:1], vcc
	s_cbranch_execz .LBB1358_7
; %bb.6:
	v_lshlrev_b32_e32 v1, 3, v17
	global_load_dwordx2 v[8:9], v1, s[6:7]
.LBB1358_7:
	s_or_b64 exec, exec, s[0:1]
	v_or_b32_e32 v16, 0xc00, v0
	v_cmp_gt_u32_e32 vcc, s16, v16
                                        ; implicit-def: $vgpr6_vgpr7
	s_and_saveexec_b64 s[0:1], vcc
	s_cbranch_execz .LBB1358_9
; %bb.8:
	v_lshlrev_b32_e32 v1, 3, v16
	global_load_dwordx2 v[6:7], v1, s[6:7]
.LBB1358_9:
	s_or_b64 exec, exec, s[0:1]
	v_or_b32_e32 v15, 0x1000, v0
	v_cmp_gt_u32_e32 vcc, s16, v15
                                        ; implicit-def: $vgpr4_vgpr5
	s_and_saveexec_b64 s[0:1], vcc
	s_cbranch_execz .LBB1358_11
; %bb.10:
	v_lshlrev_b32_e32 v1, 3, v15
	global_load_dwordx2 v[4:5], v1, s[6:7]
.LBB1358_11:
	s_or_b64 exec, exec, s[0:1]
	v_or_b32_e32 v14, 0x1400, v0
	v_cmp_gt_u32_e32 vcc, s16, v14
                                        ; implicit-def: $vgpr2_vgpr3
	s_and_saveexec_b64 s[0:1], vcc
	s_cbranch_execz .LBB1358_13
; %bb.12:
	v_lshlrev_b32_e32 v1, 3, v14
	global_load_dwordx2 v[2:3], v1, s[6:7]
.LBB1358_13:
	s_or_b64 exec, exec, s[0:1]
	v_lshlrev_b32_e32 v19, 2, v0
	v_mov_b32_e32 v20, 0
	s_cmp_le_u32 s9, s8
	ds_write2st64_b32 v19, v20, v20 offset1:16
	ds_write2st64_b32 v19, v20, v20 offset0:32 offset1:48
	ds_write2st64_b32 v19, v20, v20 offset0:64 offset1:80
	;; [unrolled: 1-line block ×3, first 2 shown]
	v_bfrev_b32_e32 v19, 1
	s_waitcnt vmcnt(0)
	v_cmp_lt_i64_e32 vcc, -1, v[12:13]
	s_cselect_b64 s[4:5], -1, 0
	v_cndmask_b32_e32 v20, -1, v19, vcc
	v_cmp_le_u32_e32 vcc, s16, v0
	s_and_b64 s[10:11], s[4:5], exec
	v_ashrrev_i32_e32 v21, 31, v13
	s_cselect_b32 s17, 8, 10
	s_or_b64 s[10:11], s[4:5], vcc
	v_and_b32_e32 v1, 3, v0
	s_mov_b32 s0, -1
	v_xor_b32_e32 v13, v20, v13
	v_xor_b32_e32 v12, v21, v12
	s_xor_b64 s[12:13], s[10:11], -1
	v_mov_b32_e32 v20, s17
	s_waitcnt lgkmcnt(0)
	s_barrier
	s_and_saveexec_b64 s[10:11], s[12:13]
	s_cbranch_execz .LBB1358_15
; %bb.14:
	s_sub_i32 s1, s9, s8
	s_min_u32 s12, s1, 8
	s_brev_b32 s1, -2
	v_cmp_ne_u64_e64 s[0:1], s[0:1], v[12:13]
	v_cndmask_b32_e64 v21, v19, v13, s[0:1]
	v_cndmask_b32_e64 v20, 0, v12, s[0:1]
	v_lshrrev_b64 v[20:21], s8, v[20:21]
	v_bfe_u32 v19, v20, 0, s12
	v_lshlrev_b32_e32 v20, 2, v1
	v_lshl_or_b32 v19, v19, 4, v20
	v_mov_b32_e32 v20, 1
	ds_add_u32 v19, v20
	v_mov_b32_e32 v20, 0
.LBB1358_15:
	s_or_b64 exec, exec, s[10:11]
	v_cmp_gt_i32_e64 s[0:1], 10, v20
	s_mov_b64 s[12:13], -1
	s_and_saveexec_b64 s[10:11], s[0:1]
; %bb.16:
	v_cmp_eq_u32_e64 s[0:1], 0, v20
	s_orn2_b64 s[12:13], s[0:1], exec
; %bb.17:
	s_or_b64 exec, exec, s[10:11]
	s_and_saveexec_b64 s[10:11], s[12:13]
	s_cbranch_execz .LBB1358_50
; %bb.18:
	s_add_i32 s14, s8, 8
	s_cmp_le_u32 s9, s14
	s_cselect_b64 s[0:1], -1, 0
	s_and_b64 s[12:13], s[0:1], exec
	s_cselect_b32 s12, 8, 10
	s_or_b64 s[0:1], s[0:1], vcc
	s_xor_b64 s[0:1], s[0:1], -1
	v_mov_b32_e32 v19, s12
	s_and_saveexec_b64 s[12:13], s[0:1]
	s_cbranch_execz .LBB1358_20
; %bb.19:
	s_sub_i32 s0, s9, s14
	s_min_u32 s15, s0, 8
	s_mov_b32 s0, -1
	s_brev_b32 s1, -2
	v_bfrev_b32_e32 v19, 1
	v_cmp_ne_u64_e64 s[0:1], s[0:1], v[12:13]
	v_cndmask_b32_e64 v21, v19, v13, s[0:1]
	v_cndmask_b32_e64 v20, 0, v12, s[0:1]
	v_lshrrev_b64 v[20:21], s14, v[20:21]
	v_bfe_u32 v19, v20, 0, s15
	v_lshlrev_b32_e32 v20, 2, v1
	v_lshl_or_b32 v19, v19, 4, v20
	v_mov_b32_e32 v20, 1
	ds_add_u32 v19, v20 offset:4096
	v_mov_b32_e32 v19, 0
.LBB1358_20:
	s_or_b64 exec, exec, s[12:13]
	v_cmp_gt_i32_e64 s[0:1], 10, v19
	s_mov_b64 s[12:13], -1
	s_and_saveexec_b64 s[14:15], s[0:1]
; %bb.21:
	v_cmp_eq_u32_e64 s[0:1], 0, v19
	s_orn2_b64 s[12:13], s[0:1], exec
; %bb.22:
	s_or_b64 exec, exec, s[14:15]
	s_and_b64 exec, exec, s[12:13]
	s_cbranch_execz .LBB1358_50
; %bb.23:
	s_add_i32 s14, s8, 16
	s_cmp_le_u32 s9, s14
	s_cselect_b64 s[0:1], -1, 0
	s_and_b64 s[12:13], s[0:1], exec
	s_cselect_b32 s12, 8, 10
	s_or_b64 s[0:1], s[0:1], vcc
	s_xor_b64 s[0:1], s[0:1], -1
	v_mov_b32_e32 v19, s12
	s_and_saveexec_b64 s[12:13], s[0:1]
	s_cbranch_execz .LBB1358_25
; %bb.24:
	s_sub_i32 s0, s9, s14
	s_min_u32 s15, s0, 8
	s_mov_b32 s0, -1
	s_brev_b32 s1, -2
	v_bfrev_b32_e32 v19, 1
	v_cmp_ne_u64_e64 s[0:1], s[0:1], v[12:13]
	v_cndmask_b32_e64 v21, v19, v13, s[0:1]
	v_cndmask_b32_e64 v20, 0, v12, s[0:1]
	v_lshrrev_b64 v[20:21], s14, v[20:21]
	v_bfe_u32 v19, v20, 0, s15
	v_lshlrev_b32_e32 v20, 2, v1
	v_lshl_or_b32 v19, v19, 4, v20
	v_mov_b32_e32 v20, 1
	ds_add_u32 v19, v20 offset:8192
	v_mov_b32_e32 v19, 0
.LBB1358_25:
	s_or_b64 exec, exec, s[12:13]
	v_cmp_gt_i32_e64 s[0:1], 10, v19
	s_mov_b64 s[12:13], -1
	s_and_saveexec_b64 s[14:15], s[0:1]
; %bb.26:
	v_cmp_eq_u32_e64 s[0:1], 0, v19
	s_orn2_b64 s[12:13], s[0:1], exec
; %bb.27:
	s_or_b64 exec, exec, s[14:15]
	s_and_b64 exec, exec, s[12:13]
	;; [unrolled: 39-line block ×6, first 2 shown]
	s_cbranch_execz .LBB1358_50
; %bb.48:
	s_add_i32 s0, s8, 56
	s_cmp_gt_u32 s9, s0
	s_cselect_b64 s[12:13], -1, 0
	s_xor_b64 s[14:15], vcc, -1
	s_and_b64 s[12:13], s[12:13], s[14:15]
	s_and_b64 exec, exec, s[12:13]
	s_cbranch_execz .LBB1358_50
; %bb.49:
	s_mov_b32 s12, -1
	s_brev_b32 s13, -2
	v_bfrev_b32_e32 v19, 1
	v_cmp_ne_u64_e32 vcc, s[12:13], v[12:13]
	s_sub_i32 s1, s9, s0
	v_cndmask_b32_e32 v13, v19, v13, vcc
	v_cndmask_b32_e32 v12, 0, v12, vcc
	s_min_u32 s1, s1, 8
	v_lshrrev_b64 v[12:13], s0, v[12:13]
	v_bfe_u32 v12, v12, 0, s1
	v_lshlrev_b32_e32 v13, 2, v1
	v_lshl_or_b32 v12, v12, 4, v13
	v_mov_b32_e32 v13, 1
	ds_add_u32 v12, v13 offset:28672
.LBB1358_50:
	s_or_b64 exec, exec, s[10:11]
	v_bfrev_b32_e32 v12, 1
	v_cmp_lt_i64_e32 vcc, -1, v[10:11]
	v_cndmask_b32_e32 v13, -1, v12, vcc
	v_cmp_le_u32_e32 vcc, s16, v18
	v_ashrrev_i32_e32 v19, 31, v11
	s_or_b64 s[10:11], s[4:5], vcc
	s_mov_b32 s0, -1
	v_xor_b32_e32 v11, v13, v11
	v_xor_b32_e32 v10, v19, v10
	s_xor_b64 s[12:13], s[10:11], -1
	v_mov_b32_e32 v13, s17
	s_and_saveexec_b64 s[10:11], s[12:13]
	s_cbranch_execz .LBB1358_52
; %bb.51:
	s_sub_i32 s1, s9, s8
	s_min_u32 s12, s1, 8
	s_brev_b32 s1, -2
	v_cmp_ne_u64_e64 s[0:1], s[0:1], v[10:11]
	v_cndmask_b32_e64 v13, v12, v11, s[0:1]
	v_cndmask_b32_e64 v12, 0, v10, s[0:1]
	v_lshrrev_b64 v[12:13], s8, v[12:13]
	v_bfe_u32 v12, v12, 0, s12
	v_lshlrev_b32_e32 v13, 2, v1
	v_lshl_or_b32 v12, v12, 4, v13
	v_mov_b32_e32 v13, 1
	ds_add_u32 v12, v13
	v_mov_b32_e32 v13, 0
.LBB1358_52:
	s_or_b64 exec, exec, s[10:11]
	v_cmp_gt_i32_e64 s[0:1], 10, v13
	s_mov_b64 s[12:13], -1
	s_and_saveexec_b64 s[10:11], s[0:1]
; %bb.53:
	v_cmp_eq_u32_e64 s[0:1], 0, v13
	s_orn2_b64 s[12:13], s[0:1], exec
; %bb.54:
	s_or_b64 exec, exec, s[10:11]
	s_and_saveexec_b64 s[10:11], s[12:13]
	s_cbranch_execz .LBB1358_87
; %bb.55:
	s_add_i32 s14, s8, 8
	s_cmp_le_u32 s9, s14
	s_cselect_b64 s[0:1], -1, 0
	s_and_b64 s[12:13], s[0:1], exec
	s_cselect_b32 s12, 8, 10
	s_or_b64 s[0:1], s[0:1], vcc
	s_xor_b64 s[0:1], s[0:1], -1
	v_mov_b32_e32 v12, s12
	s_and_saveexec_b64 s[12:13], s[0:1]
	s_cbranch_execz .LBB1358_57
; %bb.56:
	s_sub_i32 s0, s9, s14
	s_min_u32 s15, s0, 8
	s_mov_b32 s0, -1
	s_brev_b32 s1, -2
	v_bfrev_b32_e32 v12, 1
	v_cmp_ne_u64_e64 s[0:1], s[0:1], v[10:11]
	v_cndmask_b32_e64 v13, v12, v11, s[0:1]
	v_cndmask_b32_e64 v12, 0, v10, s[0:1]
	v_lshrrev_b64 v[12:13], s14, v[12:13]
	v_bfe_u32 v12, v12, 0, s15
	v_lshlrev_b32_e32 v13, 2, v1
	v_lshl_or_b32 v12, v12, 4, v13
	v_mov_b32_e32 v13, 1
	ds_add_u32 v12, v13 offset:4096
	v_mov_b32_e32 v12, 0
.LBB1358_57:
	s_or_b64 exec, exec, s[12:13]
	v_cmp_gt_i32_e64 s[0:1], 10, v12
	s_mov_b64 s[12:13], -1
	s_and_saveexec_b64 s[14:15], s[0:1]
; %bb.58:
	v_cmp_eq_u32_e64 s[0:1], 0, v12
	s_orn2_b64 s[12:13], s[0:1], exec
; %bb.59:
	s_or_b64 exec, exec, s[14:15]
	s_and_b64 exec, exec, s[12:13]
	s_cbranch_execz .LBB1358_87
; %bb.60:
	s_add_i32 s14, s8, 16
	s_cmp_le_u32 s9, s14
	s_cselect_b64 s[0:1], -1, 0
	s_and_b64 s[12:13], s[0:1], exec
	s_cselect_b32 s12, 8, 10
	s_or_b64 s[0:1], s[0:1], vcc
	s_xor_b64 s[0:1], s[0:1], -1
	v_mov_b32_e32 v12, s12
	s_and_saveexec_b64 s[12:13], s[0:1]
	s_cbranch_execz .LBB1358_62
; %bb.61:
	s_sub_i32 s0, s9, s14
	s_min_u32 s15, s0, 8
	s_mov_b32 s0, -1
	s_brev_b32 s1, -2
	v_bfrev_b32_e32 v12, 1
	v_cmp_ne_u64_e64 s[0:1], s[0:1], v[10:11]
	v_cndmask_b32_e64 v13, v12, v11, s[0:1]
	v_cndmask_b32_e64 v12, 0, v10, s[0:1]
	v_lshrrev_b64 v[12:13], s14, v[12:13]
	v_bfe_u32 v12, v12, 0, s15
	v_lshlrev_b32_e32 v13, 2, v1
	v_lshl_or_b32 v12, v12, 4, v13
	v_mov_b32_e32 v13, 1
	ds_add_u32 v12, v13 offset:8192
	v_mov_b32_e32 v12, 0
.LBB1358_62:
	s_or_b64 exec, exec, s[12:13]
	v_cmp_gt_i32_e64 s[0:1], 10, v12
	s_mov_b64 s[12:13], -1
	s_and_saveexec_b64 s[14:15], s[0:1]
; %bb.63:
	v_cmp_eq_u32_e64 s[0:1], 0, v12
	s_orn2_b64 s[12:13], s[0:1], exec
; %bb.64:
	s_or_b64 exec, exec, s[14:15]
	s_and_b64 exec, exec, s[12:13]
	;; [unrolled: 39-line block ×6, first 2 shown]
	s_cbranch_execz .LBB1358_87
; %bb.85:
	s_add_i32 s0, s8, 56
	s_cmp_gt_u32 s9, s0
	s_cselect_b64 s[12:13], -1, 0
	s_xor_b64 s[14:15], vcc, -1
	s_and_b64 s[12:13], s[12:13], s[14:15]
	s_and_b64 exec, exec, s[12:13]
	s_cbranch_execz .LBB1358_87
; %bb.86:
	s_mov_b32 s12, -1
	s_brev_b32 s13, -2
	v_bfrev_b32_e32 v12, 1
	v_cmp_ne_u64_e32 vcc, s[12:13], v[10:11]
	s_sub_i32 s1, s9, s0
	v_cndmask_b32_e32 v11, v12, v11, vcc
	v_cndmask_b32_e32 v10, 0, v10, vcc
	s_min_u32 s1, s1, 8
	v_lshrrev_b64 v[10:11], s0, v[10:11]
	v_bfe_u32 v10, v10, 0, s1
	v_lshlrev_b32_e32 v11, 2, v1
	v_lshl_or_b32 v10, v10, 4, v11
	v_mov_b32_e32 v11, 1
	ds_add_u32 v10, v11 offset:28672
.LBB1358_87:
	s_or_b64 exec, exec, s[10:11]
	v_bfrev_b32_e32 v10, 1
	v_cmp_lt_i64_e32 vcc, -1, v[8:9]
	v_cndmask_b32_e32 v11, -1, v10, vcc
	v_cmp_le_u32_e32 vcc, s16, v17
	v_ashrrev_i32_e32 v12, 31, v9
	s_or_b64 s[10:11], s[4:5], vcc
	s_mov_b32 s0, -1
	v_xor_b32_e32 v9, v11, v9
	v_xor_b32_e32 v8, v12, v8
	s_xor_b64 s[12:13], s[10:11], -1
	v_mov_b32_e32 v11, s17
	s_and_saveexec_b64 s[10:11], s[12:13]
	s_cbranch_execz .LBB1358_89
; %bb.88:
	s_sub_i32 s1, s9, s8
	s_min_u32 s12, s1, 8
	s_brev_b32 s1, -2
	v_cmp_ne_u64_e64 s[0:1], s[0:1], v[8:9]
	v_cndmask_b32_e64 v11, v10, v9, s[0:1]
	v_cndmask_b32_e64 v10, 0, v8, s[0:1]
	v_lshrrev_b64 v[10:11], s8, v[10:11]
	v_bfe_u32 v10, v10, 0, s12
	v_lshlrev_b32_e32 v11, 2, v1
	v_lshl_or_b32 v10, v10, 4, v11
	v_mov_b32_e32 v11, 1
	ds_add_u32 v10, v11
	v_mov_b32_e32 v11, 0
.LBB1358_89:
	s_or_b64 exec, exec, s[10:11]
	v_cmp_gt_i32_e64 s[0:1], 10, v11
	s_mov_b64 s[12:13], -1
	s_and_saveexec_b64 s[10:11], s[0:1]
; %bb.90:
	v_cmp_eq_u32_e64 s[0:1], 0, v11
	s_orn2_b64 s[12:13], s[0:1], exec
; %bb.91:
	s_or_b64 exec, exec, s[10:11]
	s_and_saveexec_b64 s[10:11], s[12:13]
	s_cbranch_execz .LBB1358_124
; %bb.92:
	s_add_i32 s14, s8, 8
	s_cmp_le_u32 s9, s14
	s_cselect_b64 s[0:1], -1, 0
	s_and_b64 s[12:13], s[0:1], exec
	s_cselect_b32 s12, 8, 10
	s_or_b64 s[0:1], s[0:1], vcc
	s_xor_b64 s[0:1], s[0:1], -1
	v_mov_b32_e32 v10, s12
	s_and_saveexec_b64 s[12:13], s[0:1]
	s_cbranch_execz .LBB1358_94
; %bb.93:
	s_sub_i32 s0, s9, s14
	s_min_u32 s15, s0, 8
	s_mov_b32 s0, -1
	s_brev_b32 s1, -2
	v_bfrev_b32_e32 v10, 1
	v_cmp_ne_u64_e64 s[0:1], s[0:1], v[8:9]
	v_cndmask_b32_e64 v11, v10, v9, s[0:1]
	v_cndmask_b32_e64 v10, 0, v8, s[0:1]
	v_lshrrev_b64 v[10:11], s14, v[10:11]
	v_bfe_u32 v10, v10, 0, s15
	v_lshlrev_b32_e32 v11, 2, v1
	v_lshl_or_b32 v10, v10, 4, v11
	v_mov_b32_e32 v11, 1
	ds_add_u32 v10, v11 offset:4096
	v_mov_b32_e32 v10, 0
.LBB1358_94:
	s_or_b64 exec, exec, s[12:13]
	v_cmp_gt_i32_e64 s[0:1], 10, v10
	s_mov_b64 s[12:13], -1
	s_and_saveexec_b64 s[14:15], s[0:1]
; %bb.95:
	v_cmp_eq_u32_e64 s[0:1], 0, v10
	s_orn2_b64 s[12:13], s[0:1], exec
; %bb.96:
	s_or_b64 exec, exec, s[14:15]
	s_and_b64 exec, exec, s[12:13]
	s_cbranch_execz .LBB1358_124
; %bb.97:
	s_add_i32 s14, s8, 16
	s_cmp_le_u32 s9, s14
	s_cselect_b64 s[0:1], -1, 0
	s_and_b64 s[12:13], s[0:1], exec
	s_cselect_b32 s12, 8, 10
	s_or_b64 s[0:1], s[0:1], vcc
	s_xor_b64 s[0:1], s[0:1], -1
	v_mov_b32_e32 v10, s12
	s_and_saveexec_b64 s[12:13], s[0:1]
	s_cbranch_execz .LBB1358_99
; %bb.98:
	s_sub_i32 s0, s9, s14
	s_min_u32 s15, s0, 8
	s_mov_b32 s0, -1
	s_brev_b32 s1, -2
	v_bfrev_b32_e32 v10, 1
	v_cmp_ne_u64_e64 s[0:1], s[0:1], v[8:9]
	v_cndmask_b32_e64 v11, v10, v9, s[0:1]
	v_cndmask_b32_e64 v10, 0, v8, s[0:1]
	v_lshrrev_b64 v[10:11], s14, v[10:11]
	v_bfe_u32 v10, v10, 0, s15
	v_lshlrev_b32_e32 v11, 2, v1
	v_lshl_or_b32 v10, v10, 4, v11
	v_mov_b32_e32 v11, 1
	ds_add_u32 v10, v11 offset:8192
	v_mov_b32_e32 v10, 0
.LBB1358_99:
	s_or_b64 exec, exec, s[12:13]
	v_cmp_gt_i32_e64 s[0:1], 10, v10
	s_mov_b64 s[12:13], -1
	s_and_saveexec_b64 s[14:15], s[0:1]
; %bb.100:
	v_cmp_eq_u32_e64 s[0:1], 0, v10
	s_orn2_b64 s[12:13], s[0:1], exec
; %bb.101:
	s_or_b64 exec, exec, s[14:15]
	s_and_b64 exec, exec, s[12:13]
	;; [unrolled: 39-line block ×6, first 2 shown]
	s_cbranch_execz .LBB1358_124
; %bb.122:
	s_add_i32 s0, s8, 56
	s_cmp_gt_u32 s9, s0
	s_cselect_b64 s[12:13], -1, 0
	s_xor_b64 s[14:15], vcc, -1
	s_and_b64 s[12:13], s[12:13], s[14:15]
	s_and_b64 exec, exec, s[12:13]
	s_cbranch_execz .LBB1358_124
; %bb.123:
	s_mov_b32 s12, -1
	s_brev_b32 s13, -2
	v_bfrev_b32_e32 v10, 1
	v_cmp_ne_u64_e32 vcc, s[12:13], v[8:9]
	s_sub_i32 s1, s9, s0
	v_cndmask_b32_e32 v9, v10, v9, vcc
	v_cndmask_b32_e32 v8, 0, v8, vcc
	s_min_u32 s1, s1, 8
	v_lshrrev_b64 v[8:9], s0, v[8:9]
	v_bfe_u32 v8, v8, 0, s1
	v_lshlrev_b32_e32 v9, 2, v1
	v_lshl_or_b32 v8, v8, 4, v9
	v_mov_b32_e32 v9, 1
	ds_add_u32 v8, v9 offset:28672
.LBB1358_124:
	s_or_b64 exec, exec, s[10:11]
	v_bfrev_b32_e32 v8, 1
	v_cmp_lt_i64_e32 vcc, -1, v[6:7]
	v_cndmask_b32_e32 v9, -1, v8, vcc
	v_cmp_le_u32_e32 vcc, s16, v16
	v_ashrrev_i32_e32 v10, 31, v7
	s_or_b64 s[10:11], s[4:5], vcc
	s_mov_b32 s0, -1
	v_xor_b32_e32 v7, v9, v7
	v_xor_b32_e32 v6, v10, v6
	s_xor_b64 s[12:13], s[10:11], -1
	v_mov_b32_e32 v9, s17
	s_and_saveexec_b64 s[10:11], s[12:13]
	s_cbranch_execz .LBB1358_126
; %bb.125:
	s_sub_i32 s1, s9, s8
	s_min_u32 s12, s1, 8
	s_brev_b32 s1, -2
	v_cmp_ne_u64_e64 s[0:1], s[0:1], v[6:7]
	v_cndmask_b32_e64 v9, v8, v7, s[0:1]
	v_cndmask_b32_e64 v8, 0, v6, s[0:1]
	v_lshrrev_b64 v[8:9], s8, v[8:9]
	v_bfe_u32 v8, v8, 0, s12
	v_lshlrev_b32_e32 v9, 2, v1
	v_lshl_or_b32 v8, v8, 4, v9
	v_mov_b32_e32 v9, 1
	ds_add_u32 v8, v9
	v_mov_b32_e32 v9, 0
.LBB1358_126:
	s_or_b64 exec, exec, s[10:11]
	v_cmp_gt_i32_e64 s[0:1], 10, v9
	s_mov_b64 s[12:13], -1
	s_and_saveexec_b64 s[10:11], s[0:1]
; %bb.127:
	v_cmp_eq_u32_e64 s[0:1], 0, v9
	s_orn2_b64 s[12:13], s[0:1], exec
; %bb.128:
	s_or_b64 exec, exec, s[10:11]
	s_and_saveexec_b64 s[10:11], s[12:13]
	s_cbranch_execz .LBB1358_161
; %bb.129:
	s_add_i32 s14, s8, 8
	s_cmp_le_u32 s9, s14
	s_cselect_b64 s[0:1], -1, 0
	s_and_b64 s[12:13], s[0:1], exec
	s_cselect_b32 s12, 8, 10
	s_or_b64 s[0:1], s[0:1], vcc
	s_xor_b64 s[0:1], s[0:1], -1
	v_mov_b32_e32 v8, s12
	s_and_saveexec_b64 s[12:13], s[0:1]
	s_cbranch_execz .LBB1358_131
; %bb.130:
	s_sub_i32 s0, s9, s14
	s_min_u32 s15, s0, 8
	s_mov_b32 s0, -1
	s_brev_b32 s1, -2
	v_bfrev_b32_e32 v8, 1
	v_cmp_ne_u64_e64 s[0:1], s[0:1], v[6:7]
	v_cndmask_b32_e64 v9, v8, v7, s[0:1]
	v_cndmask_b32_e64 v8, 0, v6, s[0:1]
	v_lshrrev_b64 v[8:9], s14, v[8:9]
	v_bfe_u32 v8, v8, 0, s15
	v_lshlrev_b32_e32 v9, 2, v1
	v_lshl_or_b32 v8, v8, 4, v9
	v_mov_b32_e32 v9, 1
	ds_add_u32 v8, v9 offset:4096
	v_mov_b32_e32 v8, 0
.LBB1358_131:
	s_or_b64 exec, exec, s[12:13]
	v_cmp_gt_i32_e64 s[0:1], 10, v8
	s_mov_b64 s[12:13], -1
	s_and_saveexec_b64 s[14:15], s[0:1]
; %bb.132:
	v_cmp_eq_u32_e64 s[0:1], 0, v8
	s_orn2_b64 s[12:13], s[0:1], exec
; %bb.133:
	s_or_b64 exec, exec, s[14:15]
	s_and_b64 exec, exec, s[12:13]
	s_cbranch_execz .LBB1358_161
; %bb.134:
	s_add_i32 s14, s8, 16
	s_cmp_le_u32 s9, s14
	s_cselect_b64 s[0:1], -1, 0
	s_and_b64 s[12:13], s[0:1], exec
	s_cselect_b32 s12, 8, 10
	s_or_b64 s[0:1], s[0:1], vcc
	s_xor_b64 s[0:1], s[0:1], -1
	v_mov_b32_e32 v8, s12
	s_and_saveexec_b64 s[12:13], s[0:1]
	s_cbranch_execz .LBB1358_136
; %bb.135:
	s_sub_i32 s0, s9, s14
	s_min_u32 s15, s0, 8
	s_mov_b32 s0, -1
	s_brev_b32 s1, -2
	v_bfrev_b32_e32 v8, 1
	v_cmp_ne_u64_e64 s[0:1], s[0:1], v[6:7]
	v_cndmask_b32_e64 v9, v8, v7, s[0:1]
	v_cndmask_b32_e64 v8, 0, v6, s[0:1]
	v_lshrrev_b64 v[8:9], s14, v[8:9]
	v_bfe_u32 v8, v8, 0, s15
	v_lshlrev_b32_e32 v9, 2, v1
	v_lshl_or_b32 v8, v8, 4, v9
	v_mov_b32_e32 v9, 1
	ds_add_u32 v8, v9 offset:8192
	v_mov_b32_e32 v8, 0
.LBB1358_136:
	s_or_b64 exec, exec, s[12:13]
	v_cmp_gt_i32_e64 s[0:1], 10, v8
	s_mov_b64 s[12:13], -1
	s_and_saveexec_b64 s[14:15], s[0:1]
; %bb.137:
	v_cmp_eq_u32_e64 s[0:1], 0, v8
	s_orn2_b64 s[12:13], s[0:1], exec
; %bb.138:
	s_or_b64 exec, exec, s[14:15]
	s_and_b64 exec, exec, s[12:13]
	;; [unrolled: 39-line block ×6, first 2 shown]
	s_cbranch_execz .LBB1358_161
; %bb.159:
	s_add_i32 s0, s8, 56
	s_cmp_gt_u32 s9, s0
	s_cselect_b64 s[12:13], -1, 0
	s_xor_b64 s[14:15], vcc, -1
	s_and_b64 s[12:13], s[12:13], s[14:15]
	s_and_b64 exec, exec, s[12:13]
	s_cbranch_execz .LBB1358_161
; %bb.160:
	s_mov_b32 s12, -1
	s_brev_b32 s13, -2
	v_bfrev_b32_e32 v8, 1
	v_cmp_ne_u64_e32 vcc, s[12:13], v[6:7]
	s_sub_i32 s1, s9, s0
	v_cndmask_b32_e32 v7, v8, v7, vcc
	v_cndmask_b32_e32 v6, 0, v6, vcc
	s_min_u32 s1, s1, 8
	v_lshrrev_b64 v[6:7], s0, v[6:7]
	v_bfe_u32 v6, v6, 0, s1
	v_lshlrev_b32_e32 v7, 2, v1
	v_lshl_or_b32 v6, v6, 4, v7
	v_mov_b32_e32 v7, 1
	ds_add_u32 v6, v7 offset:28672
.LBB1358_161:
	s_or_b64 exec, exec, s[10:11]
	v_bfrev_b32_e32 v6, 1
	v_cmp_lt_i64_e32 vcc, -1, v[4:5]
	v_cndmask_b32_e32 v7, -1, v6, vcc
	v_cmp_le_u32_e32 vcc, s16, v15
	v_ashrrev_i32_e32 v8, 31, v5
	s_or_b64 s[10:11], s[4:5], vcc
	s_mov_b32 s0, -1
	v_xor_b32_e32 v5, v7, v5
	v_xor_b32_e32 v4, v8, v4
	s_xor_b64 s[12:13], s[10:11], -1
	v_mov_b32_e32 v7, s17
	s_and_saveexec_b64 s[10:11], s[12:13]
	s_cbranch_execz .LBB1358_163
; %bb.162:
	s_sub_i32 s1, s9, s8
	s_min_u32 s12, s1, 8
	s_brev_b32 s1, -2
	v_cmp_ne_u64_e64 s[0:1], s[0:1], v[4:5]
	v_cndmask_b32_e64 v7, v6, v5, s[0:1]
	v_cndmask_b32_e64 v6, 0, v4, s[0:1]
	v_lshrrev_b64 v[6:7], s8, v[6:7]
	v_bfe_u32 v6, v6, 0, s12
	v_lshlrev_b32_e32 v7, 2, v1
	v_lshl_or_b32 v6, v6, 4, v7
	v_mov_b32_e32 v7, 1
	ds_add_u32 v6, v7
	v_mov_b32_e32 v7, 0
.LBB1358_163:
	s_or_b64 exec, exec, s[10:11]
	v_cmp_gt_i32_e64 s[0:1], 10, v7
	s_mov_b64 s[12:13], -1
	s_and_saveexec_b64 s[10:11], s[0:1]
; %bb.164:
	v_cmp_eq_u32_e64 s[0:1], 0, v7
	s_orn2_b64 s[12:13], s[0:1], exec
; %bb.165:
	s_or_b64 exec, exec, s[10:11]
	s_and_saveexec_b64 s[10:11], s[12:13]
	s_cbranch_execz .LBB1358_198
; %bb.166:
	s_add_i32 s14, s8, 8
	s_cmp_le_u32 s9, s14
	s_cselect_b64 s[0:1], -1, 0
	s_and_b64 s[12:13], s[0:1], exec
	s_cselect_b32 s12, 8, 10
	s_or_b64 s[0:1], s[0:1], vcc
	s_xor_b64 s[0:1], s[0:1], -1
	v_mov_b32_e32 v6, s12
	s_and_saveexec_b64 s[12:13], s[0:1]
	s_cbranch_execz .LBB1358_168
; %bb.167:
	s_sub_i32 s0, s9, s14
	s_min_u32 s15, s0, 8
	s_mov_b32 s0, -1
	s_brev_b32 s1, -2
	v_bfrev_b32_e32 v6, 1
	v_cmp_ne_u64_e64 s[0:1], s[0:1], v[4:5]
	v_cndmask_b32_e64 v7, v6, v5, s[0:1]
	v_cndmask_b32_e64 v6, 0, v4, s[0:1]
	v_lshrrev_b64 v[6:7], s14, v[6:7]
	v_bfe_u32 v6, v6, 0, s15
	v_lshlrev_b32_e32 v7, 2, v1
	v_lshl_or_b32 v6, v6, 4, v7
	v_mov_b32_e32 v7, 1
	ds_add_u32 v6, v7 offset:4096
	v_mov_b32_e32 v6, 0
.LBB1358_168:
	s_or_b64 exec, exec, s[12:13]
	v_cmp_gt_i32_e64 s[0:1], 10, v6
	s_mov_b64 s[12:13], -1
	s_and_saveexec_b64 s[14:15], s[0:1]
; %bb.169:
	v_cmp_eq_u32_e64 s[0:1], 0, v6
	s_orn2_b64 s[12:13], s[0:1], exec
; %bb.170:
	s_or_b64 exec, exec, s[14:15]
	s_and_b64 exec, exec, s[12:13]
	s_cbranch_execz .LBB1358_198
; %bb.171:
	s_add_i32 s14, s8, 16
	s_cmp_le_u32 s9, s14
	s_cselect_b64 s[0:1], -1, 0
	s_and_b64 s[12:13], s[0:1], exec
	s_cselect_b32 s12, 8, 10
	s_or_b64 s[0:1], s[0:1], vcc
	s_xor_b64 s[0:1], s[0:1], -1
	v_mov_b32_e32 v6, s12
	s_and_saveexec_b64 s[12:13], s[0:1]
	s_cbranch_execz .LBB1358_173
; %bb.172:
	s_sub_i32 s0, s9, s14
	s_min_u32 s15, s0, 8
	s_mov_b32 s0, -1
	s_brev_b32 s1, -2
	v_bfrev_b32_e32 v6, 1
	v_cmp_ne_u64_e64 s[0:1], s[0:1], v[4:5]
	v_cndmask_b32_e64 v7, v6, v5, s[0:1]
	v_cndmask_b32_e64 v6, 0, v4, s[0:1]
	v_lshrrev_b64 v[6:7], s14, v[6:7]
	v_bfe_u32 v6, v6, 0, s15
	v_lshlrev_b32_e32 v7, 2, v1
	v_lshl_or_b32 v6, v6, 4, v7
	v_mov_b32_e32 v7, 1
	ds_add_u32 v6, v7 offset:8192
	v_mov_b32_e32 v6, 0
.LBB1358_173:
	s_or_b64 exec, exec, s[12:13]
	v_cmp_gt_i32_e64 s[0:1], 10, v6
	s_mov_b64 s[12:13], -1
	s_and_saveexec_b64 s[14:15], s[0:1]
; %bb.174:
	v_cmp_eq_u32_e64 s[0:1], 0, v6
	s_orn2_b64 s[12:13], s[0:1], exec
; %bb.175:
	s_or_b64 exec, exec, s[14:15]
	s_and_b64 exec, exec, s[12:13]
	;; [unrolled: 39-line block ×6, first 2 shown]
	s_cbranch_execz .LBB1358_198
; %bb.196:
	s_add_i32 s0, s8, 56
	s_cmp_gt_u32 s9, s0
	s_cselect_b64 s[12:13], -1, 0
	s_xor_b64 s[14:15], vcc, -1
	s_and_b64 s[12:13], s[12:13], s[14:15]
	s_and_b64 exec, exec, s[12:13]
	s_cbranch_execz .LBB1358_198
; %bb.197:
	s_mov_b32 s12, -1
	s_brev_b32 s13, -2
	v_bfrev_b32_e32 v6, 1
	v_cmp_ne_u64_e32 vcc, s[12:13], v[4:5]
	s_sub_i32 s1, s9, s0
	v_cndmask_b32_e32 v5, v6, v5, vcc
	v_cndmask_b32_e32 v4, 0, v4, vcc
	s_min_u32 s1, s1, 8
	v_lshrrev_b64 v[4:5], s0, v[4:5]
	v_bfe_u32 v4, v4, 0, s1
	v_lshlrev_b32_e32 v5, 2, v1
	v_lshl_or_b32 v4, v4, 4, v5
	v_mov_b32_e32 v5, 1
	ds_add_u32 v4, v5 offset:28672
.LBB1358_198:
	s_or_b64 exec, exec, s[10:11]
	v_bfrev_b32_e32 v4, 1
	v_cmp_lt_i64_e32 vcc, -1, v[2:3]
	v_cndmask_b32_e32 v5, -1, v4, vcc
	v_cmp_le_u32_e32 vcc, s16, v14
	v_ashrrev_i32_e32 v6, 31, v3
	s_or_b64 s[4:5], s[4:5], vcc
	s_mov_b32 s0, -1
	v_xor_b32_e32 v3, v5, v3
	v_xor_b32_e32 v2, v6, v2
	s_xor_b64 s[10:11], s[4:5], -1
	v_mov_b32_e32 v5, s17
	s_and_saveexec_b64 s[4:5], s[10:11]
	s_cbranch_execz .LBB1358_200
; %bb.199:
	s_sub_i32 s1, s9, s8
	s_min_u32 s10, s1, 8
	s_brev_b32 s1, -2
	v_cmp_ne_u64_e64 s[0:1], s[0:1], v[2:3]
	v_cndmask_b32_e64 v5, v4, v3, s[0:1]
	v_cndmask_b32_e64 v4, 0, v2, s[0:1]
	v_lshrrev_b64 v[4:5], s8, v[4:5]
	v_bfe_u32 v4, v4, 0, s10
	v_lshlrev_b32_e32 v5, 2, v1
	v_lshl_or_b32 v4, v4, 4, v5
	v_mov_b32_e32 v5, 1
	ds_add_u32 v4, v5
	v_mov_b32_e32 v5, 0
.LBB1358_200:
	s_or_b64 exec, exec, s[4:5]
	v_cmp_gt_i32_e64 s[0:1], 10, v5
	s_mov_b64 s[10:11], -1
	s_and_saveexec_b64 s[4:5], s[0:1]
; %bb.201:
	v_cmp_eq_u32_e64 s[0:1], 0, v5
	s_orn2_b64 s[10:11], s[0:1], exec
; %bb.202:
	s_or_b64 exec, exec, s[4:5]
	s_and_saveexec_b64 s[4:5], s[10:11]
	s_cbranch_execz .LBB1358_235
; %bb.203:
	s_add_i32 s12, s8, 8
	s_cmp_le_u32 s9, s12
	s_cselect_b64 s[0:1], -1, 0
	s_and_b64 s[10:11], s[0:1], exec
	s_cselect_b32 s10, 8, 10
	s_or_b64 s[0:1], s[0:1], vcc
	s_xor_b64 s[0:1], s[0:1], -1
	v_mov_b32_e32 v4, s10
	s_and_saveexec_b64 s[10:11], s[0:1]
	s_cbranch_execz .LBB1358_205
; %bb.204:
	s_sub_i32 s0, s9, s12
	s_min_u32 s13, s0, 8
	s_mov_b32 s0, -1
	s_brev_b32 s1, -2
	v_bfrev_b32_e32 v4, 1
	v_cmp_ne_u64_e64 s[0:1], s[0:1], v[2:3]
	v_cndmask_b32_e64 v5, v4, v3, s[0:1]
	v_cndmask_b32_e64 v4, 0, v2, s[0:1]
	v_lshrrev_b64 v[4:5], s12, v[4:5]
	v_bfe_u32 v4, v4, 0, s13
	v_lshlrev_b32_e32 v5, 2, v1
	v_lshl_or_b32 v4, v4, 4, v5
	v_mov_b32_e32 v5, 1
	ds_add_u32 v4, v5 offset:4096
	v_mov_b32_e32 v4, 0
.LBB1358_205:
	s_or_b64 exec, exec, s[10:11]
	v_cmp_gt_i32_e64 s[0:1], 10, v4
	s_mov_b64 s[10:11], -1
	s_and_saveexec_b64 s[12:13], s[0:1]
; %bb.206:
	v_cmp_eq_u32_e64 s[0:1], 0, v4
	s_orn2_b64 s[10:11], s[0:1], exec
; %bb.207:
	s_or_b64 exec, exec, s[12:13]
	s_and_b64 exec, exec, s[10:11]
	s_cbranch_execz .LBB1358_235
; %bb.208:
	s_add_i32 s12, s8, 16
	s_cmp_le_u32 s9, s12
	s_cselect_b64 s[0:1], -1, 0
	s_and_b64 s[10:11], s[0:1], exec
	s_cselect_b32 s10, 8, 10
	s_or_b64 s[0:1], s[0:1], vcc
	s_xor_b64 s[0:1], s[0:1], -1
	v_mov_b32_e32 v4, s10
	s_and_saveexec_b64 s[10:11], s[0:1]
	s_cbranch_execz .LBB1358_210
; %bb.209:
	s_sub_i32 s0, s9, s12
	s_min_u32 s13, s0, 8
	s_mov_b32 s0, -1
	s_brev_b32 s1, -2
	v_bfrev_b32_e32 v4, 1
	v_cmp_ne_u64_e64 s[0:1], s[0:1], v[2:3]
	v_cndmask_b32_e64 v5, v4, v3, s[0:1]
	v_cndmask_b32_e64 v4, 0, v2, s[0:1]
	v_lshrrev_b64 v[4:5], s12, v[4:5]
	v_bfe_u32 v4, v4, 0, s13
	v_lshlrev_b32_e32 v5, 2, v1
	v_lshl_or_b32 v4, v4, 4, v5
	v_mov_b32_e32 v5, 1
	ds_add_u32 v4, v5 offset:8192
	v_mov_b32_e32 v4, 0
.LBB1358_210:
	s_or_b64 exec, exec, s[10:11]
	v_cmp_gt_i32_e64 s[0:1], 10, v4
	s_mov_b64 s[10:11], -1
	s_and_saveexec_b64 s[12:13], s[0:1]
; %bb.211:
	v_cmp_eq_u32_e64 s[0:1], 0, v4
	s_orn2_b64 s[10:11], s[0:1], exec
; %bb.212:
	s_or_b64 exec, exec, s[12:13]
	s_and_b64 exec, exec, s[10:11]
	;; [unrolled: 39-line block ×6, first 2 shown]
	s_cbranch_execz .LBB1358_235
; %bb.233:
	s_add_i32 s0, s8, 56
	s_cmp_gt_u32 s9, s0
	s_cselect_b64 s[10:11], -1, 0
	s_xor_b64 s[12:13], vcc, -1
	s_and_b64 s[10:11], s[10:11], s[12:13]
	s_and_b64 exec, exec, s[10:11]
	s_cbranch_execz .LBB1358_235
; %bb.234:
	s_mov_b32 s10, -1
	s_brev_b32 s11, -2
	v_bfrev_b32_e32 v4, 1
	v_cmp_ne_u64_e32 vcc, s[10:11], v[2:3]
	s_sub_i32 s1, s9, s0
	v_cndmask_b32_e32 v3, v4, v3, vcc
	v_cndmask_b32_e32 v2, 0, v2, vcc
	s_min_u32 s1, s1, 8
	v_lshrrev_b64 v[2:3], s0, v[2:3]
	v_bfe_u32 v2, v2, 0, s1
	v_lshlrev_b32_e32 v1, 2, v1
	v_lshl_or_b32 v1, v2, 4, v1
	v_mov_b32_e32 v2, 1
	ds_add_u32 v1, v2 offset:28672
.LBB1358_235:
	s_or_b64 exec, exec, s[4:5]
	s_cmp_gt_u32 s9, s8
	s_waitcnt lgkmcnt(0)
	s_barrier
	s_cbranch_scc0 .LBB1358_240
; %bb.236:
	s_movk_i32 s0, 0x100
	v_cmp_gt_u32_e32 vcc, s0, v0
	v_lshlrev_b32_e32 v1, 4, v0
	v_mov_b32_e32 v3, 0
	v_mov_b32_e32 v2, v0
	s_mov_b32 s10, s8
	s_branch .LBB1358_238
.LBB1358_237:                           ;   in Loop: Header=BB1358_238 Depth=1
	s_or_b64 exec, exec, s[4:5]
	s_add_i32 s10, s10, 8
	v_add_u32_e32 v2, 0x100, v2
	s_cmp_lt_u32 s10, s9
	v_add_u32_e32 v1, 0x1000, v1
	s_cbranch_scc0 .LBB1358_240
.LBB1358_238:                           ; =>This Inner Loop Header: Depth=1
	s_and_saveexec_b64 s[4:5], vcc
	s_cbranch_execz .LBB1358_237
; %bb.239:                              ;   in Loop: Header=BB1358_238 Depth=1
	ds_read2_b32 v[4:5], v1 offset1:1
	ds_read2_b32 v[6:7], v1 offset0:2 offset1:3
	v_lshlrev_b64 v[8:9], 3, v[2:3]
	v_mov_b32_e32 v10, s3
	s_waitcnt lgkmcnt(1)
	v_add_u32_e32 v4, v5, v4
	s_waitcnt lgkmcnt(0)
	v_add3_u32 v4, v4, v6, v7
	v_add_co_u32_e64 v6, s[0:1], s2, v8
	v_addc_co_u32_e64 v7, s[0:1], v10, v9, s[0:1]
	v_mov_b32_e32 v5, v3
	global_atomic_add_x2 v[6:7], v[4:5], off
	s_branch .LBB1358_237
.LBB1358_240:
	s_mov_b64 s[0:1], 0
.LBB1358_241:
	s_and_b64 vcc, exec, s[0:1]
	s_cbranch_vccz .LBB1358_301
; %bb.242:
	v_lshlrev_b32_e32 v16, 3, v0
	v_mov_b32_e32 v1, s7
	v_add_co_u32_e32 v17, vcc, s6, v16
	v_addc_co_u32_e32 v1, vcc, 0, v1, vcc
	v_add_co_u32_e32 v4, vcc, 0x2000, v17
	v_addc_co_u32_e32 v5, vcc, 0, v1, vcc
	;; [unrolled: 2-line block ×4, first 2 shown]
	global_load_dwordx2 v[12:13], v16, s[6:7]
	global_load_dwordx2 v[10:11], v[4:5], off
	global_load_dwordx2 v[6:7], v[8:9], off
	;; [unrolled: 1-line block ×3, first 2 shown]
	v_add_co_u32_e32 v14, vcc, 0x8000, v17
	v_addc_co_u32_e32 v15, vcc, 0, v1, vcc
	v_add_co_u32_e32 v18, vcc, 0xa000, v17
	v_addc_co_u32_e32 v19, vcc, 0, v1, vcc
	global_load_dwordx2 v[8:9], v[14:15], off
	global_load_dwordx2 v[4:5], v[18:19], off
	s_cmp_eq_u32 s8, 0
	s_cselect_b64 s[0:1], -1, 0
	s_cmp_eq_u32 s9, 64
	s_cselect_b64 s[4:5], -1, 0
	s_and_b64 s[4:5], s[0:1], s[4:5]
	s_mov_b64 s[0:1], -1
	s_and_b64 vcc, exec, s[4:5]
	v_lshlrev_b32_e32 v17, 2, v0
	s_cbranch_vccnz .LBB1358_298
; %bb.243:
	s_cmp_gt_u32 s9, s8
	s_cselect_b64 s[4:5], -1, 0
	v_mov_b32_e32 v1, 0
	s_and_b64 vcc, exec, s[4:5]
	ds_write2st64_b32 v17, v1, v1 offset1:16
	ds_write2st64_b32 v17, v1, v1 offset0:32 offset1:48
	ds_write2st64_b32 v17, v1, v1 offset0:64 offset1:80
	;; [unrolled: 1-line block ×3, first 2 shown]
	s_waitcnt lgkmcnt(0)
	s_barrier
	s_cbranch_vccz .LBB1358_292
; %bb.244:
	v_bfrev_b32_e32 v18, 1
	s_waitcnt vmcnt(5)
	v_cmp_lt_i64_e32 vcc, -1, v[12:13]
	s_mov_b32 s0, -1
	v_cndmask_b32_e32 v14, -1, v18, vcc
	v_ashrrev_i32_e32 v19, 31, v13
	s_brev_b32 s1, -2
	v_xor_b32_e32 v15, v14, v13
	v_xor_b32_e32 v14, v19, v12
	s_sub_i32 s6, s9, s8
	s_min_u32 s6, s6, 8
	v_cmp_ne_u64_e32 vcc, s[0:1], v[14:15]
	s_lshl_b32 s6, -1, s6
	v_cndmask_b32_e32 v15, v18, v15, vcc
	v_cndmask_b32_e32 v14, 0, v14, vcc
	v_and_b32_e32 v1, 3, v0
	s_not_b32 s10, s6
	v_lshrrev_b64 v[20:21], s8, v[14:15]
	v_and_b32_e32 v19, s10, v20
	v_lshlrev_b32_e32 v1, 2, v1
	v_lshl_or_b32 v20, v19, 4, v1
	v_mov_b32_e32 v19, 1
	ds_add_u32 v20, v19
	s_add_i32 s11, s8, 8
	s_cmp_gt_u32 s9, s11
	s_cselect_b64 s[6:7], -1, 0
	s_cmp_le_u32 s9, s11
	s_cbranch_scc1 .LBB1358_252
; %bb.245:
	s_sub_i32 s12, s9, s11
	s_min_u32 s12, s12, 8
	v_lshrrev_b64 v[20:21], s11, v[14:15]
	v_bfe_u32 v20, v20, 0, s12
	v_lshl_or_b32 v20, v20, 4, v1
	ds_add_u32 v20, v19 offset:4096
	s_add_i32 s12, s8, 16
	s_cmp_le_u32 s9, s12
	s_cbranch_scc1 .LBB1358_252
; %bb.246:
	s_sub_i32 s13, s9, s12
	s_min_u32 s13, s13, 8
	v_lshrrev_b64 v[20:21], s12, v[14:15]
	v_bfe_u32 v20, v20, 0, s13
	v_lshl_or_b32 v21, v20, 4, v1
	v_mov_b32_e32 v20, 1
	ds_add_u32 v21, v20 offset:8192
	s_add_i32 s12, s8, 24
	s_cmp_le_u32 s9, s12
	s_cbranch_scc1 .LBB1358_252
; %bb.247:
	s_sub_i32 s13, s9, s12
	s_min_u32 s13, s13, 8
	v_lshrrev_b64 v[22:23], s12, v[14:15]
	v_bfe_u32 v21, v22, 0, s13
	v_lshl_or_b32 v21, v21, 4, v1
	ds_add_u32 v21, v20 offset:12288
	s_add_i32 s12, s8, 32
	s_cmp_le_u32 s9, s12
	s_cbranch_scc1 .LBB1358_252
; %bb.248:
	s_sub_i32 s13, s9, s12
	s_min_u32 s13, s13, 8
	v_lshrrev_b64 v[20:21], s12, v[14:15]
	v_bfe_u32 v20, v20, 0, s13
	v_lshl_or_b32 v21, v20, 4, v1
	v_mov_b32_e32 v20, 1
	ds_add_u32 v21, v20 offset:16384
	s_add_i32 s12, s8, 40
	;; [unrolled: 21-line block ×3, first 2 shown]
	s_cmp_le_u32 s9, s12
	s_cbranch_scc1 .LBB1358_252
; %bb.251:
	s_sub_i32 s13, s9, s12
	s_min_u32 s13, s13, 8
	v_lshrrev_b64 v[14:15], s12, v[14:15]
	v_bfe_u32 v14, v14, 0, s13
	v_lshl_or_b32 v14, v14, 4, v1
	ds_add_u32 v14, v20 offset:28672
.LBB1358_252:
	s_waitcnt vmcnt(4)
	v_cmp_lt_i64_e32 vcc, -1, v[10:11]
	v_cndmask_b32_e32 v14, -1, v18, vcc
	v_ashrrev_i32_e32 v20, 31, v11
	v_xor_b32_e32 v15, v14, v11
	v_xor_b32_e32 v14, v20, v10
	v_cmp_ne_u64_e32 vcc, s[0:1], v[14:15]
	v_cndmask_b32_e32 v15, v18, v15, vcc
	v_cndmask_b32_e32 v14, 0, v14, vcc
	v_lshrrev_b64 v[20:21], s8, v[14:15]
	v_and_b32_e32 v18, s10, v20
	v_lshl_or_b32 v18, v18, 4, v1
	ds_add_u32 v18, v19
	v_cndmask_b32_e64 v18, 0, 1, s[6:7]
	v_cmp_ne_u32_e64 s[0:1], 1, v18
	s_andn2_b64 vcc, exec, s[6:7]
	s_cbranch_vccnz .LBB1358_260
; %bb.253:
	s_sub_i32 s6, s9, s11
	s_min_u32 s6, s6, 8
	v_lshrrev_b64 v[18:19], s11, v[14:15]
	v_bfe_u32 v18, v18, 0, s6
	v_lshl_or_b32 v19, v18, 4, v1
	v_mov_b32_e32 v18, 1
	ds_add_u32 v19, v18 offset:4096
	s_add_i32 s6, s8, 16
	s_cmp_le_u32 s9, s6
	s_cbranch_scc1 .LBB1358_260
; %bb.254:
	s_sub_i32 s7, s9, s6
	s_min_u32 s7, s7, 8
	v_lshrrev_b64 v[20:21], s6, v[14:15]
	v_bfe_u32 v19, v20, 0, s7
	v_lshl_or_b32 v19, v19, 4, v1
	ds_add_u32 v19, v18 offset:8192
	s_add_i32 s6, s8, 24
	s_cmp_le_u32 s9, s6
	s_cbranch_scc1 .LBB1358_260
; %bb.255:
	s_sub_i32 s7, s9, s6
	s_min_u32 s7, s7, 8
	v_lshrrev_b64 v[18:19], s6, v[14:15]
	v_bfe_u32 v18, v18, 0, s7
	v_lshl_or_b32 v19, v18, 4, v1
	v_mov_b32_e32 v18, 1
	ds_add_u32 v19, v18 offset:12288
	s_add_i32 s6, s8, 32
	s_cmp_le_u32 s9, s6
	s_cbranch_scc1 .LBB1358_260
; %bb.256:
	s_sub_i32 s7, s9, s6
	s_min_u32 s7, s7, 8
	v_lshrrev_b64 v[20:21], s6, v[14:15]
	v_bfe_u32 v19, v20, 0, s7
	v_lshl_or_b32 v19, v19, 4, v1
	ds_add_u32 v19, v18 offset:16384
	s_add_i32 s6, s8, 40
	s_cmp_le_u32 s9, s6
	s_cbranch_scc1 .LBB1358_260
	;; [unrolled: 21-line block ×3, first 2 shown]
; %bb.259:
	s_sub_i32 s7, s9, s6
	s_min_u32 s7, s7, 8
	v_lshrrev_b64 v[14:15], s6, v[14:15]
	v_bfe_u32 v14, v14, 0, s7
	v_lshl_or_b32 v14, v14, 4, v1
	v_mov_b32_e32 v15, 1
	ds_add_u32 v14, v15 offset:28672
.LBB1358_260:
	v_bfrev_b32_e32 v18, 1
	s_waitcnt vmcnt(3)
	v_cmp_lt_i64_e32 vcc, -1, v[6:7]
	s_mov_b32 s6, -1
	v_cndmask_b32_e32 v14, -1, v18, vcc
	v_ashrrev_i32_e32 v19, 31, v7
	s_brev_b32 s7, -2
	v_xor_b32_e32 v15, v14, v7
	v_xor_b32_e32 v14, v19, v6
	v_cmp_ne_u64_e32 vcc, s[6:7], v[14:15]
	v_cndmask_b32_e32 v15, v18, v15, vcc
	v_cndmask_b32_e32 v14, 0, v14, vcc
	v_lshrrev_b64 v[20:21], s8, v[14:15]
	v_and_b32_e32 v19, s10, v20
	v_lshl_or_b32 v20, v19, 4, v1
	v_mov_b32_e32 v19, 1
	ds_add_u32 v20, v19
	s_and_b64 vcc, exec, s[0:1]
	s_cbranch_vccnz .LBB1358_268
; %bb.261:
	s_sub_i32 s12, s9, s11
	s_min_u32 s12, s12, 8
	v_lshrrev_b64 v[20:21], s11, v[14:15]
	v_bfe_u32 v20, v20, 0, s12
	v_lshl_or_b32 v20, v20, 4, v1
	ds_add_u32 v20, v19 offset:4096
	s_add_i32 s12, s8, 16
	s_cmp_le_u32 s9, s12
	s_cbranch_scc1 .LBB1358_268
; %bb.262:
	s_sub_i32 s13, s9, s12
	s_min_u32 s13, s13, 8
	v_lshrrev_b64 v[20:21], s12, v[14:15]
	v_bfe_u32 v20, v20, 0, s13
	v_lshl_or_b32 v20, v20, 4, v1
	ds_add_u32 v20, v19 offset:8192
	s_add_i32 s12, s8, 24
	s_cmp_le_u32 s9, s12
	s_cbranch_scc1 .LBB1358_268
; %bb.263:
	s_sub_i32 s13, s9, s12
	s_min_u32 s13, s13, 8
	v_lshrrev_b64 v[20:21], s12, v[14:15]
	v_bfe_u32 v20, v20, 0, s13
	v_lshl_or_b32 v21, v20, 4, v1
	v_mov_b32_e32 v20, 1
	ds_add_u32 v21, v20 offset:12288
	s_add_i32 s12, s8, 32
	s_cmp_le_u32 s9, s12
	s_cbranch_scc1 .LBB1358_268
; %bb.264:
	s_sub_i32 s13, s9, s12
	s_min_u32 s13, s13, 8
	v_lshrrev_b64 v[22:23], s12, v[14:15]
	v_bfe_u32 v21, v22, 0, s13
	v_lshl_or_b32 v21, v21, 4, v1
	ds_add_u32 v21, v20 offset:16384
	s_add_i32 s12, s8, 40
	s_cmp_le_u32 s9, s12
	s_cbranch_scc1 .LBB1358_268
; %bb.265:
	s_sub_i32 s13, s9, s12
	s_min_u32 s13, s13, 8
	v_lshrrev_b64 v[20:21], s12, v[14:15]
	v_bfe_u32 v20, v20, 0, s13
	v_lshl_or_b32 v21, v20, 4, v1
	v_mov_b32_e32 v20, 1
	;; [unrolled: 21-line block ×3, first 2 shown]
	ds_add_u32 v14, v15 offset:28672
.LBB1358_268:
	s_waitcnt vmcnt(2)
	v_cmp_lt_i64_e32 vcc, -1, v[2:3]
	v_cndmask_b32_e32 v14, -1, v18, vcc
	v_ashrrev_i32_e32 v20, 31, v3
	v_xor_b32_e32 v15, v14, v3
	v_xor_b32_e32 v14, v20, v2
	v_cmp_ne_u64_e32 vcc, s[6:7], v[14:15]
	v_cndmask_b32_e32 v15, v18, v15, vcc
	v_cndmask_b32_e32 v14, 0, v14, vcc
	v_lshrrev_b64 v[20:21], s8, v[14:15]
	v_and_b32_e32 v18, s10, v20
	v_lshl_or_b32 v18, v18, 4, v1
	ds_add_u32 v18, v19
	s_and_b64 vcc, exec, s[0:1]
	s_cbranch_vccnz .LBB1358_276
; %bb.269:
	s_sub_i32 s6, s9, s11
	s_min_u32 s6, s6, 8
	v_lshrrev_b64 v[18:19], s11, v[14:15]
	v_bfe_u32 v18, v18, 0, s6
	v_lshl_or_b32 v19, v18, 4, v1
	v_mov_b32_e32 v18, 1
	ds_add_u32 v19, v18 offset:4096
	s_add_i32 s6, s8, 16
	s_cmp_le_u32 s9, s6
	s_cbranch_scc1 .LBB1358_276
; %bb.270:
	s_sub_i32 s7, s9, s6
	s_min_u32 s7, s7, 8
	v_lshrrev_b64 v[20:21], s6, v[14:15]
	v_bfe_u32 v19, v20, 0, s7
	v_lshl_or_b32 v19, v19, 4, v1
	ds_add_u32 v19, v18 offset:8192
	s_add_i32 s6, s8, 24
	s_cmp_le_u32 s9, s6
	s_cbranch_scc1 .LBB1358_276
; %bb.271:
	s_sub_i32 s7, s9, s6
	s_min_u32 s7, s7, 8
	v_lshrrev_b64 v[18:19], s6, v[14:15]
	v_bfe_u32 v18, v18, 0, s7
	v_lshl_or_b32 v19, v18, 4, v1
	v_mov_b32_e32 v18, 1
	ds_add_u32 v19, v18 offset:12288
	s_add_i32 s6, s8, 32
	s_cmp_le_u32 s9, s6
	s_cbranch_scc1 .LBB1358_276
; %bb.272:
	s_sub_i32 s7, s9, s6
	s_min_u32 s7, s7, 8
	v_lshrrev_b64 v[20:21], s6, v[14:15]
	v_bfe_u32 v19, v20, 0, s7
	v_lshl_or_b32 v19, v19, 4, v1
	ds_add_u32 v19, v18 offset:16384
	s_add_i32 s6, s8, 40
	s_cmp_le_u32 s9, s6
	s_cbranch_scc1 .LBB1358_276
	;; [unrolled: 21-line block ×3, first 2 shown]
; %bb.275:
	s_sub_i32 s7, s9, s6
	s_min_u32 s7, s7, 8
	v_lshrrev_b64 v[14:15], s6, v[14:15]
	v_bfe_u32 v14, v14, 0, s7
	v_lshl_or_b32 v14, v14, 4, v1
	v_mov_b32_e32 v15, 1
	ds_add_u32 v14, v15 offset:28672
.LBB1358_276:
	v_bfrev_b32_e32 v18, 1
	s_waitcnt vmcnt(1)
	v_cmp_lt_i64_e32 vcc, -1, v[8:9]
	s_mov_b32 s6, -1
	v_cndmask_b32_e32 v14, -1, v18, vcc
	v_ashrrev_i32_e32 v19, 31, v9
	s_brev_b32 s7, -2
	v_xor_b32_e32 v15, v14, v9
	v_xor_b32_e32 v14, v19, v8
	v_cmp_ne_u64_e32 vcc, s[6:7], v[14:15]
	v_cndmask_b32_e32 v15, v18, v15, vcc
	v_cndmask_b32_e32 v14, 0, v14, vcc
	v_lshrrev_b64 v[20:21], s8, v[14:15]
	v_and_b32_e32 v19, s10, v20
	v_lshl_or_b32 v20, v19, 4, v1
	v_mov_b32_e32 v19, 1
	ds_add_u32 v20, v19
	s_and_b64 vcc, exec, s[0:1]
	s_cbranch_vccnz .LBB1358_284
; %bb.277:
	s_sub_i32 s12, s9, s11
	s_min_u32 s12, s12, 8
	v_lshrrev_b64 v[20:21], s11, v[14:15]
	v_bfe_u32 v20, v20, 0, s12
	v_lshl_or_b32 v20, v20, 4, v1
	ds_add_u32 v20, v19 offset:4096
	s_add_i32 s12, s8, 16
	s_cmp_le_u32 s9, s12
	s_cbranch_scc1 .LBB1358_284
; %bb.278:
	s_sub_i32 s13, s9, s12
	s_min_u32 s13, s13, 8
	v_lshrrev_b64 v[20:21], s12, v[14:15]
	v_bfe_u32 v20, v20, 0, s13
	v_lshl_or_b32 v20, v20, 4, v1
	ds_add_u32 v20, v19 offset:8192
	s_add_i32 s12, s8, 24
	s_cmp_le_u32 s9, s12
	s_cbranch_scc1 .LBB1358_284
; %bb.279:
	s_sub_i32 s13, s9, s12
	s_min_u32 s13, s13, 8
	v_lshrrev_b64 v[20:21], s12, v[14:15]
	v_bfe_u32 v20, v20, 0, s13
	v_lshl_or_b32 v21, v20, 4, v1
	v_mov_b32_e32 v20, 1
	ds_add_u32 v21, v20 offset:12288
	s_add_i32 s12, s8, 32
	s_cmp_le_u32 s9, s12
	s_cbranch_scc1 .LBB1358_284
; %bb.280:
	s_sub_i32 s13, s9, s12
	s_min_u32 s13, s13, 8
	v_lshrrev_b64 v[22:23], s12, v[14:15]
	v_bfe_u32 v21, v22, 0, s13
	v_lshl_or_b32 v21, v21, 4, v1
	ds_add_u32 v21, v20 offset:16384
	s_add_i32 s12, s8, 40
	s_cmp_le_u32 s9, s12
	s_cbranch_scc1 .LBB1358_284
; %bb.281:
	s_sub_i32 s13, s9, s12
	s_min_u32 s13, s13, 8
	v_lshrrev_b64 v[20:21], s12, v[14:15]
	v_bfe_u32 v20, v20, 0, s13
	v_lshl_or_b32 v21, v20, 4, v1
	v_mov_b32_e32 v20, 1
	;; [unrolled: 21-line block ×3, first 2 shown]
	ds_add_u32 v14, v15 offset:28672
.LBB1358_284:
	s_waitcnt vmcnt(0)
	v_cmp_lt_i64_e32 vcc, -1, v[4:5]
	v_cndmask_b32_e32 v14, -1, v18, vcc
	v_ashrrev_i32_e32 v20, 31, v5
	v_xor_b32_e32 v15, v14, v5
	v_xor_b32_e32 v14, v20, v4
	v_cmp_ne_u64_e32 vcc, s[6:7], v[14:15]
	v_cndmask_b32_e32 v15, v18, v15, vcc
	v_cndmask_b32_e32 v14, 0, v14, vcc
	v_lshrrev_b64 v[20:21], s8, v[14:15]
	v_and_b32_e32 v18, s10, v20
	v_lshl_or_b32 v18, v18, 4, v1
	ds_add_u32 v18, v19
	s_and_b64 vcc, exec, s[0:1]
	s_cbranch_vccnz .LBB1358_292
; %bb.285:
	s_sub_i32 s0, s9, s11
	s_min_u32 s0, s0, 8
	v_lshrrev_b64 v[18:19], s11, v[14:15]
	v_bfe_u32 v18, v18, 0, s0
	v_lshl_or_b32 v19, v18, 4, v1
	v_mov_b32_e32 v18, 1
	ds_add_u32 v19, v18 offset:4096
	s_add_i32 s0, s8, 16
	s_cmp_le_u32 s9, s0
	s_cbranch_scc1 .LBB1358_292
; %bb.286:
	s_sub_i32 s1, s9, s0
	s_min_u32 s1, s1, 8
	v_lshrrev_b64 v[20:21], s0, v[14:15]
	v_bfe_u32 v19, v20, 0, s1
	v_lshl_or_b32 v19, v19, 4, v1
	ds_add_u32 v19, v18 offset:8192
	s_add_i32 s0, s8, 24
	s_cmp_le_u32 s9, s0
	s_cbranch_scc1 .LBB1358_292
; %bb.287:
	s_sub_i32 s1, s9, s0
	s_min_u32 s1, s1, 8
	v_lshrrev_b64 v[18:19], s0, v[14:15]
	v_bfe_u32 v18, v18, 0, s1
	v_lshl_or_b32 v19, v18, 4, v1
	v_mov_b32_e32 v18, 1
	ds_add_u32 v19, v18 offset:12288
	s_add_i32 s0, s8, 32
	s_cmp_le_u32 s9, s0
	s_cbranch_scc1 .LBB1358_292
; %bb.288:
	s_sub_i32 s1, s9, s0
	s_min_u32 s1, s1, 8
	v_lshrrev_b64 v[20:21], s0, v[14:15]
	v_bfe_u32 v19, v20, 0, s1
	v_lshl_or_b32 v19, v19, 4, v1
	ds_add_u32 v19, v18 offset:16384
	s_add_i32 s0, s8, 40
	s_cmp_le_u32 s9, s0
	s_cbranch_scc1 .LBB1358_292
	;; [unrolled: 21-line block ×3, first 2 shown]
; %bb.291:
	s_sub_i32 s1, s9, s0
	s_min_u32 s1, s1, 8
	v_lshrrev_b64 v[14:15], s0, v[14:15]
	v_bfe_u32 v14, v14, 0, s1
	v_lshl_or_b32 v1, v14, 4, v1
	v_mov_b32_e32 v14, 1
	ds_add_u32 v1, v14 offset:28672
.LBB1358_292:
	s_and_b64 vcc, exec, s[4:5]
	s_waitcnt lgkmcnt(0)
	s_barrier
	s_cbranch_vccz .LBB1358_297
; %bb.293:
	s_movk_i32 s0, 0x100
	v_cmp_gt_u32_e32 vcc, s0, v0
	v_lshlrev_b32_e32 v1, 4, v0
	v_mov_b32_e32 v15, 0
	v_mov_b32_e32 v14, v0
	s_branch .LBB1358_295
.LBB1358_294:                           ;   in Loop: Header=BB1358_295 Depth=1
	s_or_b64 exec, exec, s[4:5]
	s_add_i32 s8, s8, 8
	v_add_u32_e32 v14, 0x100, v14
	s_cmp_ge_u32 s8, s9
	v_add_u32_e32 v1, 0x1000, v1
	s_cbranch_scc1 .LBB1358_297
.LBB1358_295:                           ; =>This Inner Loop Header: Depth=1
	s_and_saveexec_b64 s[4:5], vcc
	s_cbranch_execz .LBB1358_294
; %bb.296:                              ;   in Loop: Header=BB1358_295 Depth=1
	ds_read2_b32 v[18:19], v1 offset1:1
	ds_read2_b32 v[20:21], v1 offset0:2 offset1:3
	v_lshlrev_b64 v[22:23], 3, v[14:15]
	v_mov_b32_e32 v24, s3
	s_waitcnt lgkmcnt(1)
	v_add_u32_e32 v18, v19, v18
	s_waitcnt lgkmcnt(0)
	v_add3_u32 v18, v18, v20, v21
	v_add_co_u32_e64 v20, s[0:1], s2, v22
	v_addc_co_u32_e64 v21, s[0:1], v24, v23, s[0:1]
	v_mov_b32_e32 v19, v15
	global_atomic_add_x2 v[20:21], v[18:19], off
	s_branch .LBB1358_294
.LBB1358_297:
	s_mov_b64 s[0:1], 0
.LBB1358_298:
	s_and_b64 vcc, exec, s[0:1]
	s_cbranch_vccz .LBB1358_301
; %bb.299:
	v_mov_b32_e32 v1, 0
	ds_write2st64_b32 v17, v1, v1 offset1:16
	ds_write2st64_b32 v17, v1, v1 offset0:32 offset1:48
	ds_write2st64_b32 v17, v1, v1 offset0:64 offset1:80
	;; [unrolled: 1-line block ×3, first 2 shown]
	v_bfrev_b32_e32 v17, 1
	s_waitcnt vmcnt(5)
	v_cmp_lt_i64_e32 vcc, -1, v[12:13]
	v_cndmask_b32_e32 v14, -1, v17, vcc
	s_waitcnt vmcnt(4)
	v_cmp_lt_i64_e32 vcc, -1, v[10:11]
	v_ashrrev_i32_e32 v15, 31, v13
	v_xor_b32_e32 v13, v14, v13
	v_cndmask_b32_e32 v14, -1, v17, vcc
	v_ashrrev_i32_e32 v18, 31, v11
	s_waitcnt vmcnt(3)
	v_cmp_lt_i64_e32 vcc, -1, v[6:7]
	v_xor_b32_e32 v12, v15, v12
	v_xor_b32_e32 v15, v14, v11
	;; [unrolled: 1-line block ×3, first 2 shown]
	v_cndmask_b32_e32 v10, -1, v17, vcc
	v_ashrrev_i32_e32 v11, 31, v7
	s_waitcnt vmcnt(2)
	v_cmp_lt_i64_e32 vcc, -1, v[2:3]
	s_mov_b32 s0, -1
	v_xor_b32_e32 v19, v10, v7
	v_xor_b32_e32 v18, v11, v6
	v_cndmask_b32_e32 v6, -1, v17, vcc
	v_ashrrev_i32_e32 v7, 31, v3
	s_waitcnt vmcnt(1)
	v_cmp_lt_i64_e32 vcc, -1, v[8:9]
	s_brev_b32 s1, -2
	v_xor_b32_e32 v11, v6, v3
	v_xor_b32_e32 v10, v7, v2
	v_cndmask_b32_e32 v2, -1, v17, vcc
	v_ashrrev_i32_e32 v3, 31, v9
	s_waitcnt vmcnt(0)
	v_cmp_lt_i64_e32 vcc, -1, v[4:5]
	v_xor_b32_e32 v7, v2, v9
	v_xor_b32_e32 v6, v3, v8
	v_cndmask_b32_e32 v2, -1, v17, vcc
	v_ashrrev_i32_e32 v8, 31, v5
	v_cmp_ne_u64_e32 vcc, s[0:1], v[12:13]
	v_xor_b32_e32 v3, v2, v5
	v_xor_b32_e32 v2, v8, v4
	v_cndmask_b32_e32 v8, 0, v12, vcc
	v_and_b32_e32 v4, 3, v0
	v_lshlrev_b32_e32 v9, 2, v8
	s_movk_i32 s4, 0x3fc
	v_and_or_b32 v9, v9, s4, v4
	v_lshlrev_b32_e32 v9, 2, v9
	v_mov_b32_e32 v12, 1
	s_waitcnt lgkmcnt(0)
	s_barrier
	ds_add_u32 v9, v12
	v_bfe_u32 v9, v8, 8, 8
	v_lshl_or_b32 v9, v9, 2, v4
	v_lshlrev_b32_e32 v9, 2, v9
	ds_add_u32 v9, v12 offset:4096
	v_bfe_u32 v9, v8, 16, 8
	v_lshl_or_b32 v9, v9, 2, v4
	v_lshlrev_b32_e32 v9, 2, v9
	v_cndmask_b32_e32 v5, v17, v13, vcc
	ds_add_u32 v9, v12 offset:8192
	v_lshrrev_b32_e32 v9, 24, v8
	v_lshl_or_b32 v9, v9, 2, v4
	v_alignbit_b32 v8, v5, v8, 30
	v_lshlrev_b32_e32 v9, 2, v9
	v_and_or_b32 v8, v8, s4, v4
	ds_add_u32 v9, v12 offset:12288
	v_lshlrev_b32_e32 v8, 2, v8
	ds_add_u32 v8, v12 offset:16384
	v_bfe_u32 v8, v5, 8, 8
	v_lshl_or_b32 v8, v8, 2, v4
	v_lshlrev_b32_e32 v8, 2, v8
	ds_add_u32 v8, v12 offset:20480
	v_bfe_u32 v8, v5, 16, 8
	v_lshl_or_b32 v8, v8, 2, v4
	v_lshlrev_b32_e32 v8, 2, v8
	v_cmp_ne_u64_e32 vcc, s[0:1], v[14:15]
	ds_add_u32 v8, v12 offset:24576
	v_lshrrev_b32_e32 v5, 24, v5
	v_cndmask_b32_e32 v8, 0, v14, vcc
	v_lshl_or_b32 v5, v5, 2, v4
	v_lshlrev_b32_e32 v9, 2, v8
	v_lshlrev_b32_e32 v5, 2, v5
	v_and_or_b32 v9, v9, s4, v4
	ds_add_u32 v5, v12 offset:28672
	v_lshlrev_b32_e32 v9, 2, v9
	ds_add_u32 v9, v12
	v_bfe_u32 v9, v8, 8, 8
	v_lshl_or_b32 v9, v9, 2, v4
	v_lshlrev_b32_e32 v9, 2, v9
	ds_add_u32 v9, v12 offset:4096
	v_bfe_u32 v9, v8, 16, 8
	v_lshl_or_b32 v9, v9, 2, v4
	v_lshlrev_b32_e32 v9, 2, v9
	v_cndmask_b32_e32 v5, v17, v15, vcc
	ds_add_u32 v9, v12 offset:8192
	v_lshrrev_b32_e32 v9, 24, v8
	v_lshl_or_b32 v9, v9, 2, v4
	v_alignbit_b32 v8, v5, v8, 30
	v_lshlrev_b32_e32 v9, 2, v9
	v_and_or_b32 v8, v8, s4, v4
	ds_add_u32 v9, v12 offset:12288
	v_lshlrev_b32_e32 v8, 2, v8
	ds_add_u32 v8, v12 offset:16384
	v_bfe_u32 v8, v5, 8, 8
	v_lshl_or_b32 v8, v8, 2, v4
	v_lshlrev_b32_e32 v8, 2, v8
	ds_add_u32 v8, v12 offset:20480
	v_bfe_u32 v8, v5, 16, 8
	v_lshl_or_b32 v8, v8, 2, v4
	v_lshlrev_b32_e32 v8, 2, v8
	v_cmp_ne_u64_e32 vcc, s[0:1], v[18:19]
	ds_add_u32 v8, v12 offset:24576
	v_lshrrev_b32_e32 v5, 24, v5
	v_cndmask_b32_e32 v8, 0, v18, vcc
	v_lshl_or_b32 v5, v5, 2, v4
	v_lshlrev_b32_e32 v9, 2, v8
	v_lshlrev_b32_e32 v5, 2, v5
	v_and_or_b32 v9, v9, s4, v4
	ds_add_u32 v5, v12 offset:28672
	v_lshlrev_b32_e32 v9, 2, v9
	;; [unrolled: 35-line block ×3, first 2 shown]
	ds_add_u32 v9, v12
	v_bfe_u32 v9, v8, 8, 8
	v_lshl_or_b32 v9, v9, 2, v4
	v_lshlrev_b32_e32 v9, 2, v9
	ds_add_u32 v9, v12 offset:4096
	v_bfe_u32 v9, v8, 16, 8
	v_lshl_or_b32 v9, v9, 2, v4
	v_lshlrev_b32_e32 v9, 2, v9
	v_cndmask_b32_e32 v5, v17, v11, vcc
	ds_add_u32 v9, v12 offset:8192
	v_lshrrev_b32_e32 v9, 24, v8
	v_lshl_or_b32 v9, v9, 2, v4
	v_alignbit_b32 v8, v5, v8, 30
	v_lshlrev_b32_e32 v9, 2, v9
	v_and_or_b32 v8, v8, s4, v4
	ds_add_u32 v9, v12 offset:12288
	v_lshlrev_b32_e32 v8, 2, v8
	ds_add_u32 v8, v12 offset:16384
	v_bfe_u32 v8, v5, 8, 8
	v_lshl_or_b32 v8, v8, 2, v4
	v_lshlrev_b32_e32 v8, 2, v8
	ds_add_u32 v8, v12 offset:20480
	v_bfe_u32 v8, v5, 16, 8
	v_lshl_or_b32 v8, v8, 2, v4
	v_lshrrev_b32_e32 v5, 24, v5
	v_lshlrev_b32_e32 v8, 2, v8
	v_lshl_or_b32 v5, v5, 2, v4
	v_cmp_ne_u64_e32 vcc, s[0:1], v[6:7]
	ds_add_u32 v8, v12 offset:24576
	v_lshlrev_b32_e32 v5, 2, v5
	v_cndmask_b32_e32 v6, 0, v6, vcc
	ds_add_u32 v5, v12 offset:28672
	v_cndmask_b32_e32 v5, v17, v7, vcc
	v_lshlrev_b32_e32 v7, 2, v6
	v_and_or_b32 v7, v7, s4, v4
	v_lshlrev_b32_e32 v7, 2, v7
	ds_add_u32 v7, v12
	v_bfe_u32 v7, v6, 8, 8
	v_lshl_or_b32 v7, v7, 2, v4
	v_lshlrev_b32_e32 v7, 2, v7
	ds_add_u32 v7, v12 offset:4096
	v_bfe_u32 v7, v6, 16, 8
	v_lshl_or_b32 v7, v7, 2, v4
	v_lshlrev_b32_e32 v7, 2, v7
	ds_add_u32 v7, v12 offset:8192
	v_lshrrev_b32_e32 v7, 24, v6
	v_lshl_or_b32 v7, v7, 2, v4
	v_alignbit_b32 v6, v5, v6, 30
	v_lshlrev_b32_e32 v7, 2, v7
	v_and_or_b32 v6, v6, s4, v4
	ds_add_u32 v7, v12 offset:12288
	v_lshlrev_b32_e32 v6, 2, v6
	ds_add_u32 v6, v12 offset:16384
	v_bfe_u32 v6, v5, 8, 8
	v_lshl_or_b32 v6, v6, 2, v4
	v_lshlrev_b32_e32 v6, 2, v6
	ds_add_u32 v6, v12 offset:20480
	v_bfe_u32 v6, v5, 16, 8
	v_lshl_or_b32 v6, v6, 2, v4
	v_lshrrev_b32_e32 v5, 24, v5
	v_lshlrev_b32_e32 v6, 2, v6
	v_lshl_or_b32 v5, v5, 2, v4
	v_cmp_ne_u64_e32 vcc, s[0:1], v[2:3]
	ds_add_u32 v6, v12 offset:24576
	v_lshlrev_b32_e32 v5, 2, v5
	v_cndmask_b32_e32 v2, 0, v2, vcc
	ds_add_u32 v5, v12 offset:28672
	v_lshlrev_b32_e32 v5, 2, v2
	v_and_or_b32 v5, v5, s4, v4
	v_lshlrev_b32_e32 v5, 2, v5
	ds_add_u32 v5, v12
	v_bfe_u32 v5, v2, 8, 8
	v_lshl_or_b32 v5, v5, 2, v4
	v_lshlrev_b32_e32 v5, 2, v5
	ds_add_u32 v5, v12 offset:4096
	v_bfe_u32 v5, v2, 16, 8
	v_lshl_or_b32 v5, v5, 2, v4
	v_lshlrev_b32_e32 v5, 2, v5
	v_cndmask_b32_e32 v3, v17, v3, vcc
	ds_add_u32 v5, v12 offset:8192
	v_lshrrev_b32_e32 v5, 24, v2
	v_lshl_or_b32 v5, v5, 2, v4
	v_alignbit_b32 v2, v3, v2, 30
	v_lshlrev_b32_e32 v5, 2, v5
	v_and_or_b32 v2, v2, s4, v4
	ds_add_u32 v5, v12 offset:12288
	v_lshlrev_b32_e32 v2, 2, v2
	ds_add_u32 v2, v12 offset:16384
	v_bfe_u32 v2, v3, 8, 8
	v_lshl_or_b32 v2, v2, 2, v4
	v_lshlrev_b32_e32 v2, 2, v2
	ds_add_u32 v2, v12 offset:20480
	v_bfe_u32 v2, v3, 16, 8
	v_lshl_or_b32 v2, v2, 2, v4
	v_lshlrev_b32_e32 v2, 2, v2
	ds_add_u32 v2, v12 offset:24576
	v_lshrrev_b32_e32 v2, 24, v3
	v_lshl_or_b32 v2, v2, 2, v4
	v_lshlrev_b32_e32 v2, 2, v2
	ds_add_u32 v2, v12 offset:28672
	s_movk_i32 s0, 0x100
	v_cmp_gt_u32_e32 vcc, s0, v0
	s_waitcnt lgkmcnt(0)
	s_barrier
	s_and_saveexec_b64 s[0:1], vcc
	s_cbranch_execz .LBB1358_301
; %bb.300:
	v_lshlrev_b32_e32 v6, 4, v0
	ds_read2_b32 v[2:3], v6 offset1:1
	ds_read2_b32 v[4:5], v6 offset0:2 offset1:3
	v_add_u32_e32 v7, 0x1000, v6
	v_add_u32_e32 v8, 0x1008, v6
	;; [unrolled: 1-line block ×3, first 2 shown]
	s_waitcnt lgkmcnt(1)
	v_add_u32_e32 v0, v3, v2
	s_waitcnt lgkmcnt(0)
	v_add3_u32 v0, v0, v4, v5
	global_atomic_add_x2 v16, v[0:1], s[2:3]
	ds_read2_b32 v[2:3], v7 offset1:1
	ds_read2_b32 v[4:5], v8 offset1:1
	v_add_u32_e32 v7, 0x2000, v6
	v_add_u32_e32 v8, 0x2008, v6
	s_waitcnt lgkmcnt(1)
	v_add_u32_e32 v0, v3, v2
	s_waitcnt lgkmcnt(0)
	v_add3_u32 v0, v0, v4, v5
	global_atomic_add_x2 v16, v[0:1], s[2:3] offset:2048
	ds_read2_b32 v[2:3], v7 offset1:1
	ds_read2_b32 v[4:5], v8 offset1:1
	v_or_b32_e32 v7, 0x1000, v16
	v_add_u32_e32 v8, 0x3000, v6
	s_waitcnt lgkmcnt(1)
	v_add_u32_e32 v0, v3, v2
	s_waitcnt lgkmcnt(0)
	v_add3_u32 v0, v0, v4, v5
	global_atomic_add_x2 v7, v[0:1], s[2:3]
	ds_read2_b32 v[2:3], v8 offset1:1
	ds_read2_b32 v[4:5], v9 offset1:1
	v_or_b32_e32 v7, 0x1800, v16
	v_or_b32_e32 v8, 0x4000, v6
	;; [unrolled: 1-line block ×3, first 2 shown]
	s_waitcnt lgkmcnt(1)
	v_add_u32_e32 v0, v3, v2
	s_waitcnt lgkmcnt(0)
	v_add3_u32 v0, v0, v4, v5
	global_atomic_add_x2 v7, v[0:1], s[2:3]
	ds_read2_b32 v[2:3], v8 offset1:1
	ds_read2_b32 v[4:5], v9 offset1:1
	v_or_b32_e32 v7, 0x2000, v16
	v_add_u32_e32 v8, 0x5000, v6
	v_add_u32_e32 v9, 0x5008, v6
	s_waitcnt lgkmcnt(1)
	v_add_u32_e32 v0, v3, v2
	s_waitcnt lgkmcnt(0)
	v_add3_u32 v0, v0, v4, v5
	global_atomic_add_x2 v7, v[0:1], s[2:3]
	ds_read2_b32 v[2:3], v8 offset1:1
	ds_read2_b32 v[4:5], v9 offset1:1
	v_or_b32_e32 v7, 0x2800, v16
	v_add_u32_e32 v8, 0x6000, v6
	v_add_u32_e32 v9, 0x6008, v6
	;; [unrolled: 10-line block ×3, first 2 shown]
	s_waitcnt lgkmcnt(1)
	v_add_u32_e32 v0, v3, v2
	s_waitcnt lgkmcnt(0)
	v_add3_u32 v0, v0, v4, v5
	global_atomic_add_x2 v7, v[0:1], s[2:3]
	ds_read2_b32 v[2:3], v8 offset1:1
	ds_read2_b32 v[4:5], v6 offset1:1
	s_waitcnt lgkmcnt(1)
	v_add_u32_e32 v0, v3, v2
	s_waitcnt lgkmcnt(0)
	v_add3_u32 v0, v0, v4, v5
	v_or_b32_e32 v2, 0x3800, v16
	global_atomic_add_x2 v2, v[0:1], s[2:3]
.LBB1358_301:
	s_endpgm
	.section	.rodata,"a",@progbits
	.p2align	6, 0x0
	.amdhsa_kernel _ZN7rocprim17ROCPRIM_400000_NS6detail17trampoline_kernelINS0_14default_configENS1_35radix_sort_onesweep_config_selectorIdNS0_10empty_typeEEEZNS1_34radix_sort_onesweep_global_offsetsIS3_Lb0EPdPS5_mNS0_19identity_decomposerEEE10hipError_tT1_T2_PT3_SE_jT4_jjP12ihipStream_tbEUlT_E_NS1_11comp_targetILNS1_3genE4ELNS1_11target_archE910ELNS1_3gpuE8ELNS1_3repE0EEENS1_52radix_sort_onesweep_histogram_config_static_selectorELNS0_4arch9wavefront6targetE1EEEvSC_
		.amdhsa_group_segment_fixed_size 32768
		.amdhsa_private_segment_fixed_size 0
		.amdhsa_kernarg_size 48
		.amdhsa_user_sgpr_count 6
		.amdhsa_user_sgpr_private_segment_buffer 1
		.amdhsa_user_sgpr_dispatch_ptr 0
		.amdhsa_user_sgpr_queue_ptr 0
		.amdhsa_user_sgpr_kernarg_segment_ptr 1
		.amdhsa_user_sgpr_dispatch_id 0
		.amdhsa_user_sgpr_flat_scratch_init 0
		.amdhsa_user_sgpr_kernarg_preload_length 0
		.amdhsa_user_sgpr_kernarg_preload_offset 0
		.amdhsa_user_sgpr_private_segment_size 0
		.amdhsa_uses_dynamic_stack 0
		.amdhsa_system_sgpr_private_segment_wavefront_offset 0
		.amdhsa_system_sgpr_workgroup_id_x 1
		.amdhsa_system_sgpr_workgroup_id_y 0
		.amdhsa_system_sgpr_workgroup_id_z 0
		.amdhsa_system_sgpr_workgroup_info 0
		.amdhsa_system_vgpr_workitem_id 0
		.amdhsa_next_free_vgpr 25
		.amdhsa_next_free_sgpr 18
		.amdhsa_accum_offset 28
		.amdhsa_reserve_vcc 1
		.amdhsa_reserve_flat_scratch 0
		.amdhsa_float_round_mode_32 0
		.amdhsa_float_round_mode_16_64 0
		.amdhsa_float_denorm_mode_32 3
		.amdhsa_float_denorm_mode_16_64 3
		.amdhsa_dx10_clamp 1
		.amdhsa_ieee_mode 1
		.amdhsa_fp16_overflow 0
		.amdhsa_tg_split 0
		.amdhsa_exception_fp_ieee_invalid_op 0
		.amdhsa_exception_fp_denorm_src 0
		.amdhsa_exception_fp_ieee_div_zero 0
		.amdhsa_exception_fp_ieee_overflow 0
		.amdhsa_exception_fp_ieee_underflow 0
		.amdhsa_exception_fp_ieee_inexact 0
		.amdhsa_exception_int_div_zero 0
	.end_amdhsa_kernel
	.section	.text._ZN7rocprim17ROCPRIM_400000_NS6detail17trampoline_kernelINS0_14default_configENS1_35radix_sort_onesweep_config_selectorIdNS0_10empty_typeEEEZNS1_34radix_sort_onesweep_global_offsetsIS3_Lb0EPdPS5_mNS0_19identity_decomposerEEE10hipError_tT1_T2_PT3_SE_jT4_jjP12ihipStream_tbEUlT_E_NS1_11comp_targetILNS1_3genE4ELNS1_11target_archE910ELNS1_3gpuE8ELNS1_3repE0EEENS1_52radix_sort_onesweep_histogram_config_static_selectorELNS0_4arch9wavefront6targetE1EEEvSC_,"axG",@progbits,_ZN7rocprim17ROCPRIM_400000_NS6detail17trampoline_kernelINS0_14default_configENS1_35radix_sort_onesweep_config_selectorIdNS0_10empty_typeEEEZNS1_34radix_sort_onesweep_global_offsetsIS3_Lb0EPdPS5_mNS0_19identity_decomposerEEE10hipError_tT1_T2_PT3_SE_jT4_jjP12ihipStream_tbEUlT_E_NS1_11comp_targetILNS1_3genE4ELNS1_11target_archE910ELNS1_3gpuE8ELNS1_3repE0EEENS1_52radix_sort_onesweep_histogram_config_static_selectorELNS0_4arch9wavefront6targetE1EEEvSC_,comdat
.Lfunc_end1358:
	.size	_ZN7rocprim17ROCPRIM_400000_NS6detail17trampoline_kernelINS0_14default_configENS1_35radix_sort_onesweep_config_selectorIdNS0_10empty_typeEEEZNS1_34radix_sort_onesweep_global_offsetsIS3_Lb0EPdPS5_mNS0_19identity_decomposerEEE10hipError_tT1_T2_PT3_SE_jT4_jjP12ihipStream_tbEUlT_E_NS1_11comp_targetILNS1_3genE4ELNS1_11target_archE910ELNS1_3gpuE8ELNS1_3repE0EEENS1_52radix_sort_onesweep_histogram_config_static_selectorELNS0_4arch9wavefront6targetE1EEEvSC_, .Lfunc_end1358-_ZN7rocprim17ROCPRIM_400000_NS6detail17trampoline_kernelINS0_14default_configENS1_35radix_sort_onesweep_config_selectorIdNS0_10empty_typeEEEZNS1_34radix_sort_onesweep_global_offsetsIS3_Lb0EPdPS5_mNS0_19identity_decomposerEEE10hipError_tT1_T2_PT3_SE_jT4_jjP12ihipStream_tbEUlT_E_NS1_11comp_targetILNS1_3genE4ELNS1_11target_archE910ELNS1_3gpuE8ELNS1_3repE0EEENS1_52radix_sort_onesweep_histogram_config_static_selectorELNS0_4arch9wavefront6targetE1EEEvSC_
                                        ; -- End function
	.section	.AMDGPU.csdata,"",@progbits
; Kernel info:
; codeLenInByte = 13644
; NumSgprs: 22
; NumVgprs: 25
; NumAgprs: 0
; TotalNumVgprs: 25
; ScratchSize: 0
; MemoryBound: 0
; FloatMode: 240
; IeeeMode: 1
; LDSByteSize: 32768 bytes/workgroup (compile time only)
; SGPRBlocks: 2
; VGPRBlocks: 3
; NumSGPRsForWavesPerEU: 22
; NumVGPRsForWavesPerEU: 25
; AccumOffset: 28
; Occupancy: 8
; WaveLimiterHint : 1
; COMPUTE_PGM_RSRC2:SCRATCH_EN: 0
; COMPUTE_PGM_RSRC2:USER_SGPR: 6
; COMPUTE_PGM_RSRC2:TRAP_HANDLER: 0
; COMPUTE_PGM_RSRC2:TGID_X_EN: 1
; COMPUTE_PGM_RSRC2:TGID_Y_EN: 0
; COMPUTE_PGM_RSRC2:TGID_Z_EN: 0
; COMPUTE_PGM_RSRC2:TIDIG_COMP_CNT: 0
; COMPUTE_PGM_RSRC3_GFX90A:ACCUM_OFFSET: 6
; COMPUTE_PGM_RSRC3_GFX90A:TG_SPLIT: 0
	.section	.text._ZN7rocprim17ROCPRIM_400000_NS6detail17trampoline_kernelINS0_14default_configENS1_35radix_sort_onesweep_config_selectorIdNS0_10empty_typeEEEZNS1_34radix_sort_onesweep_global_offsetsIS3_Lb0EPdPS5_mNS0_19identity_decomposerEEE10hipError_tT1_T2_PT3_SE_jT4_jjP12ihipStream_tbEUlT_E_NS1_11comp_targetILNS1_3genE3ELNS1_11target_archE908ELNS1_3gpuE7ELNS1_3repE0EEENS1_52radix_sort_onesweep_histogram_config_static_selectorELNS0_4arch9wavefront6targetE1EEEvSC_,"axG",@progbits,_ZN7rocprim17ROCPRIM_400000_NS6detail17trampoline_kernelINS0_14default_configENS1_35radix_sort_onesweep_config_selectorIdNS0_10empty_typeEEEZNS1_34radix_sort_onesweep_global_offsetsIS3_Lb0EPdPS5_mNS0_19identity_decomposerEEE10hipError_tT1_T2_PT3_SE_jT4_jjP12ihipStream_tbEUlT_E_NS1_11comp_targetILNS1_3genE3ELNS1_11target_archE908ELNS1_3gpuE7ELNS1_3repE0EEENS1_52radix_sort_onesweep_histogram_config_static_selectorELNS0_4arch9wavefront6targetE1EEEvSC_,comdat
	.protected	_ZN7rocprim17ROCPRIM_400000_NS6detail17trampoline_kernelINS0_14default_configENS1_35radix_sort_onesweep_config_selectorIdNS0_10empty_typeEEEZNS1_34radix_sort_onesweep_global_offsetsIS3_Lb0EPdPS5_mNS0_19identity_decomposerEEE10hipError_tT1_T2_PT3_SE_jT4_jjP12ihipStream_tbEUlT_E_NS1_11comp_targetILNS1_3genE3ELNS1_11target_archE908ELNS1_3gpuE7ELNS1_3repE0EEENS1_52radix_sort_onesweep_histogram_config_static_selectorELNS0_4arch9wavefront6targetE1EEEvSC_ ; -- Begin function _ZN7rocprim17ROCPRIM_400000_NS6detail17trampoline_kernelINS0_14default_configENS1_35radix_sort_onesweep_config_selectorIdNS0_10empty_typeEEEZNS1_34radix_sort_onesweep_global_offsetsIS3_Lb0EPdPS5_mNS0_19identity_decomposerEEE10hipError_tT1_T2_PT3_SE_jT4_jjP12ihipStream_tbEUlT_E_NS1_11comp_targetILNS1_3genE3ELNS1_11target_archE908ELNS1_3gpuE7ELNS1_3repE0EEENS1_52radix_sort_onesweep_histogram_config_static_selectorELNS0_4arch9wavefront6targetE1EEEvSC_
	.globl	_ZN7rocprim17ROCPRIM_400000_NS6detail17trampoline_kernelINS0_14default_configENS1_35radix_sort_onesweep_config_selectorIdNS0_10empty_typeEEEZNS1_34radix_sort_onesweep_global_offsetsIS3_Lb0EPdPS5_mNS0_19identity_decomposerEEE10hipError_tT1_T2_PT3_SE_jT4_jjP12ihipStream_tbEUlT_E_NS1_11comp_targetILNS1_3genE3ELNS1_11target_archE908ELNS1_3gpuE7ELNS1_3repE0EEENS1_52radix_sort_onesweep_histogram_config_static_selectorELNS0_4arch9wavefront6targetE1EEEvSC_
	.p2align	8
	.type	_ZN7rocprim17ROCPRIM_400000_NS6detail17trampoline_kernelINS0_14default_configENS1_35radix_sort_onesweep_config_selectorIdNS0_10empty_typeEEEZNS1_34radix_sort_onesweep_global_offsetsIS3_Lb0EPdPS5_mNS0_19identity_decomposerEEE10hipError_tT1_T2_PT3_SE_jT4_jjP12ihipStream_tbEUlT_E_NS1_11comp_targetILNS1_3genE3ELNS1_11target_archE908ELNS1_3gpuE7ELNS1_3repE0EEENS1_52radix_sort_onesweep_histogram_config_static_selectorELNS0_4arch9wavefront6targetE1EEEvSC_,@function
_ZN7rocprim17ROCPRIM_400000_NS6detail17trampoline_kernelINS0_14default_configENS1_35radix_sort_onesweep_config_selectorIdNS0_10empty_typeEEEZNS1_34radix_sort_onesweep_global_offsetsIS3_Lb0EPdPS5_mNS0_19identity_decomposerEEE10hipError_tT1_T2_PT3_SE_jT4_jjP12ihipStream_tbEUlT_E_NS1_11comp_targetILNS1_3genE3ELNS1_11target_archE908ELNS1_3gpuE7ELNS1_3repE0EEENS1_52radix_sort_onesweep_histogram_config_static_selectorELNS0_4arch9wavefront6targetE1EEEvSC_: ; @_ZN7rocprim17ROCPRIM_400000_NS6detail17trampoline_kernelINS0_14default_configENS1_35radix_sort_onesweep_config_selectorIdNS0_10empty_typeEEEZNS1_34radix_sort_onesweep_global_offsetsIS3_Lb0EPdPS5_mNS0_19identity_decomposerEEE10hipError_tT1_T2_PT3_SE_jT4_jjP12ihipStream_tbEUlT_E_NS1_11comp_targetILNS1_3genE3ELNS1_11target_archE908ELNS1_3gpuE7ELNS1_3repE0EEENS1_52radix_sort_onesweep_histogram_config_static_selectorELNS0_4arch9wavefront6targetE1EEEvSC_
; %bb.0:
	.section	.rodata,"a",@progbits
	.p2align	6, 0x0
	.amdhsa_kernel _ZN7rocprim17ROCPRIM_400000_NS6detail17trampoline_kernelINS0_14default_configENS1_35radix_sort_onesweep_config_selectorIdNS0_10empty_typeEEEZNS1_34radix_sort_onesweep_global_offsetsIS3_Lb0EPdPS5_mNS0_19identity_decomposerEEE10hipError_tT1_T2_PT3_SE_jT4_jjP12ihipStream_tbEUlT_E_NS1_11comp_targetILNS1_3genE3ELNS1_11target_archE908ELNS1_3gpuE7ELNS1_3repE0EEENS1_52radix_sort_onesweep_histogram_config_static_selectorELNS0_4arch9wavefront6targetE1EEEvSC_
		.amdhsa_group_segment_fixed_size 0
		.amdhsa_private_segment_fixed_size 0
		.amdhsa_kernarg_size 48
		.amdhsa_user_sgpr_count 6
		.amdhsa_user_sgpr_private_segment_buffer 1
		.amdhsa_user_sgpr_dispatch_ptr 0
		.amdhsa_user_sgpr_queue_ptr 0
		.amdhsa_user_sgpr_kernarg_segment_ptr 1
		.amdhsa_user_sgpr_dispatch_id 0
		.amdhsa_user_sgpr_flat_scratch_init 0
		.amdhsa_user_sgpr_kernarg_preload_length 0
		.amdhsa_user_sgpr_kernarg_preload_offset 0
		.amdhsa_user_sgpr_private_segment_size 0
		.amdhsa_uses_dynamic_stack 0
		.amdhsa_system_sgpr_private_segment_wavefront_offset 0
		.amdhsa_system_sgpr_workgroup_id_x 1
		.amdhsa_system_sgpr_workgroup_id_y 0
		.amdhsa_system_sgpr_workgroup_id_z 0
		.amdhsa_system_sgpr_workgroup_info 0
		.amdhsa_system_vgpr_workitem_id 0
		.amdhsa_next_free_vgpr 1
		.amdhsa_next_free_sgpr 0
		.amdhsa_accum_offset 4
		.amdhsa_reserve_vcc 0
		.amdhsa_reserve_flat_scratch 0
		.amdhsa_float_round_mode_32 0
		.amdhsa_float_round_mode_16_64 0
		.amdhsa_float_denorm_mode_32 3
		.amdhsa_float_denorm_mode_16_64 3
		.amdhsa_dx10_clamp 1
		.amdhsa_ieee_mode 1
		.amdhsa_fp16_overflow 0
		.amdhsa_tg_split 0
		.amdhsa_exception_fp_ieee_invalid_op 0
		.amdhsa_exception_fp_denorm_src 0
		.amdhsa_exception_fp_ieee_div_zero 0
		.amdhsa_exception_fp_ieee_overflow 0
		.amdhsa_exception_fp_ieee_underflow 0
		.amdhsa_exception_fp_ieee_inexact 0
		.amdhsa_exception_int_div_zero 0
	.end_amdhsa_kernel
	.section	.text._ZN7rocprim17ROCPRIM_400000_NS6detail17trampoline_kernelINS0_14default_configENS1_35radix_sort_onesweep_config_selectorIdNS0_10empty_typeEEEZNS1_34radix_sort_onesweep_global_offsetsIS3_Lb0EPdPS5_mNS0_19identity_decomposerEEE10hipError_tT1_T2_PT3_SE_jT4_jjP12ihipStream_tbEUlT_E_NS1_11comp_targetILNS1_3genE3ELNS1_11target_archE908ELNS1_3gpuE7ELNS1_3repE0EEENS1_52radix_sort_onesweep_histogram_config_static_selectorELNS0_4arch9wavefront6targetE1EEEvSC_,"axG",@progbits,_ZN7rocprim17ROCPRIM_400000_NS6detail17trampoline_kernelINS0_14default_configENS1_35radix_sort_onesweep_config_selectorIdNS0_10empty_typeEEEZNS1_34radix_sort_onesweep_global_offsetsIS3_Lb0EPdPS5_mNS0_19identity_decomposerEEE10hipError_tT1_T2_PT3_SE_jT4_jjP12ihipStream_tbEUlT_E_NS1_11comp_targetILNS1_3genE3ELNS1_11target_archE908ELNS1_3gpuE7ELNS1_3repE0EEENS1_52radix_sort_onesweep_histogram_config_static_selectorELNS0_4arch9wavefront6targetE1EEEvSC_,comdat
.Lfunc_end1359:
	.size	_ZN7rocprim17ROCPRIM_400000_NS6detail17trampoline_kernelINS0_14default_configENS1_35radix_sort_onesweep_config_selectorIdNS0_10empty_typeEEEZNS1_34radix_sort_onesweep_global_offsetsIS3_Lb0EPdPS5_mNS0_19identity_decomposerEEE10hipError_tT1_T2_PT3_SE_jT4_jjP12ihipStream_tbEUlT_E_NS1_11comp_targetILNS1_3genE3ELNS1_11target_archE908ELNS1_3gpuE7ELNS1_3repE0EEENS1_52radix_sort_onesweep_histogram_config_static_selectorELNS0_4arch9wavefront6targetE1EEEvSC_, .Lfunc_end1359-_ZN7rocprim17ROCPRIM_400000_NS6detail17trampoline_kernelINS0_14default_configENS1_35radix_sort_onesweep_config_selectorIdNS0_10empty_typeEEEZNS1_34radix_sort_onesweep_global_offsetsIS3_Lb0EPdPS5_mNS0_19identity_decomposerEEE10hipError_tT1_T2_PT3_SE_jT4_jjP12ihipStream_tbEUlT_E_NS1_11comp_targetILNS1_3genE3ELNS1_11target_archE908ELNS1_3gpuE7ELNS1_3repE0EEENS1_52radix_sort_onesweep_histogram_config_static_selectorELNS0_4arch9wavefront6targetE1EEEvSC_
                                        ; -- End function
	.section	.AMDGPU.csdata,"",@progbits
; Kernel info:
; codeLenInByte = 0
; NumSgprs: 4
; NumVgprs: 0
; NumAgprs: 0
; TotalNumVgprs: 0
; ScratchSize: 0
; MemoryBound: 0
; FloatMode: 240
; IeeeMode: 1
; LDSByteSize: 0 bytes/workgroup (compile time only)
; SGPRBlocks: 0
; VGPRBlocks: 0
; NumSGPRsForWavesPerEU: 4
; NumVGPRsForWavesPerEU: 1
; AccumOffset: 4
; Occupancy: 8
; WaveLimiterHint : 0
; COMPUTE_PGM_RSRC2:SCRATCH_EN: 0
; COMPUTE_PGM_RSRC2:USER_SGPR: 6
; COMPUTE_PGM_RSRC2:TRAP_HANDLER: 0
; COMPUTE_PGM_RSRC2:TGID_X_EN: 1
; COMPUTE_PGM_RSRC2:TGID_Y_EN: 0
; COMPUTE_PGM_RSRC2:TGID_Z_EN: 0
; COMPUTE_PGM_RSRC2:TIDIG_COMP_CNT: 0
; COMPUTE_PGM_RSRC3_GFX90A:ACCUM_OFFSET: 0
; COMPUTE_PGM_RSRC3_GFX90A:TG_SPLIT: 0
	.section	.text._ZN7rocprim17ROCPRIM_400000_NS6detail17trampoline_kernelINS0_14default_configENS1_35radix_sort_onesweep_config_selectorIdNS0_10empty_typeEEEZNS1_34radix_sort_onesweep_global_offsetsIS3_Lb0EPdPS5_mNS0_19identity_decomposerEEE10hipError_tT1_T2_PT3_SE_jT4_jjP12ihipStream_tbEUlT_E_NS1_11comp_targetILNS1_3genE10ELNS1_11target_archE1201ELNS1_3gpuE5ELNS1_3repE0EEENS1_52radix_sort_onesweep_histogram_config_static_selectorELNS0_4arch9wavefront6targetE1EEEvSC_,"axG",@progbits,_ZN7rocprim17ROCPRIM_400000_NS6detail17trampoline_kernelINS0_14default_configENS1_35radix_sort_onesweep_config_selectorIdNS0_10empty_typeEEEZNS1_34radix_sort_onesweep_global_offsetsIS3_Lb0EPdPS5_mNS0_19identity_decomposerEEE10hipError_tT1_T2_PT3_SE_jT4_jjP12ihipStream_tbEUlT_E_NS1_11comp_targetILNS1_3genE10ELNS1_11target_archE1201ELNS1_3gpuE5ELNS1_3repE0EEENS1_52radix_sort_onesweep_histogram_config_static_selectorELNS0_4arch9wavefront6targetE1EEEvSC_,comdat
	.protected	_ZN7rocprim17ROCPRIM_400000_NS6detail17trampoline_kernelINS0_14default_configENS1_35radix_sort_onesweep_config_selectorIdNS0_10empty_typeEEEZNS1_34radix_sort_onesweep_global_offsetsIS3_Lb0EPdPS5_mNS0_19identity_decomposerEEE10hipError_tT1_T2_PT3_SE_jT4_jjP12ihipStream_tbEUlT_E_NS1_11comp_targetILNS1_3genE10ELNS1_11target_archE1201ELNS1_3gpuE5ELNS1_3repE0EEENS1_52radix_sort_onesweep_histogram_config_static_selectorELNS0_4arch9wavefront6targetE1EEEvSC_ ; -- Begin function _ZN7rocprim17ROCPRIM_400000_NS6detail17trampoline_kernelINS0_14default_configENS1_35radix_sort_onesweep_config_selectorIdNS0_10empty_typeEEEZNS1_34radix_sort_onesweep_global_offsetsIS3_Lb0EPdPS5_mNS0_19identity_decomposerEEE10hipError_tT1_T2_PT3_SE_jT4_jjP12ihipStream_tbEUlT_E_NS1_11comp_targetILNS1_3genE10ELNS1_11target_archE1201ELNS1_3gpuE5ELNS1_3repE0EEENS1_52radix_sort_onesweep_histogram_config_static_selectorELNS0_4arch9wavefront6targetE1EEEvSC_
	.globl	_ZN7rocprim17ROCPRIM_400000_NS6detail17trampoline_kernelINS0_14default_configENS1_35radix_sort_onesweep_config_selectorIdNS0_10empty_typeEEEZNS1_34radix_sort_onesweep_global_offsetsIS3_Lb0EPdPS5_mNS0_19identity_decomposerEEE10hipError_tT1_T2_PT3_SE_jT4_jjP12ihipStream_tbEUlT_E_NS1_11comp_targetILNS1_3genE10ELNS1_11target_archE1201ELNS1_3gpuE5ELNS1_3repE0EEENS1_52radix_sort_onesweep_histogram_config_static_selectorELNS0_4arch9wavefront6targetE1EEEvSC_
	.p2align	8
	.type	_ZN7rocprim17ROCPRIM_400000_NS6detail17trampoline_kernelINS0_14default_configENS1_35radix_sort_onesweep_config_selectorIdNS0_10empty_typeEEEZNS1_34radix_sort_onesweep_global_offsetsIS3_Lb0EPdPS5_mNS0_19identity_decomposerEEE10hipError_tT1_T2_PT3_SE_jT4_jjP12ihipStream_tbEUlT_E_NS1_11comp_targetILNS1_3genE10ELNS1_11target_archE1201ELNS1_3gpuE5ELNS1_3repE0EEENS1_52radix_sort_onesweep_histogram_config_static_selectorELNS0_4arch9wavefront6targetE1EEEvSC_,@function
_ZN7rocprim17ROCPRIM_400000_NS6detail17trampoline_kernelINS0_14default_configENS1_35radix_sort_onesweep_config_selectorIdNS0_10empty_typeEEEZNS1_34radix_sort_onesweep_global_offsetsIS3_Lb0EPdPS5_mNS0_19identity_decomposerEEE10hipError_tT1_T2_PT3_SE_jT4_jjP12ihipStream_tbEUlT_E_NS1_11comp_targetILNS1_3genE10ELNS1_11target_archE1201ELNS1_3gpuE5ELNS1_3repE0EEENS1_52radix_sort_onesweep_histogram_config_static_selectorELNS0_4arch9wavefront6targetE1EEEvSC_: ; @_ZN7rocprim17ROCPRIM_400000_NS6detail17trampoline_kernelINS0_14default_configENS1_35radix_sort_onesweep_config_selectorIdNS0_10empty_typeEEEZNS1_34radix_sort_onesweep_global_offsetsIS3_Lb0EPdPS5_mNS0_19identity_decomposerEEE10hipError_tT1_T2_PT3_SE_jT4_jjP12ihipStream_tbEUlT_E_NS1_11comp_targetILNS1_3genE10ELNS1_11target_archE1201ELNS1_3gpuE5ELNS1_3repE0EEENS1_52radix_sort_onesweep_histogram_config_static_selectorELNS0_4arch9wavefront6targetE1EEEvSC_
; %bb.0:
	.section	.rodata,"a",@progbits
	.p2align	6, 0x0
	.amdhsa_kernel _ZN7rocprim17ROCPRIM_400000_NS6detail17trampoline_kernelINS0_14default_configENS1_35radix_sort_onesweep_config_selectorIdNS0_10empty_typeEEEZNS1_34radix_sort_onesweep_global_offsetsIS3_Lb0EPdPS5_mNS0_19identity_decomposerEEE10hipError_tT1_T2_PT3_SE_jT4_jjP12ihipStream_tbEUlT_E_NS1_11comp_targetILNS1_3genE10ELNS1_11target_archE1201ELNS1_3gpuE5ELNS1_3repE0EEENS1_52radix_sort_onesweep_histogram_config_static_selectorELNS0_4arch9wavefront6targetE1EEEvSC_
		.amdhsa_group_segment_fixed_size 0
		.amdhsa_private_segment_fixed_size 0
		.amdhsa_kernarg_size 48
		.amdhsa_user_sgpr_count 6
		.amdhsa_user_sgpr_private_segment_buffer 1
		.amdhsa_user_sgpr_dispatch_ptr 0
		.amdhsa_user_sgpr_queue_ptr 0
		.amdhsa_user_sgpr_kernarg_segment_ptr 1
		.amdhsa_user_sgpr_dispatch_id 0
		.amdhsa_user_sgpr_flat_scratch_init 0
		.amdhsa_user_sgpr_kernarg_preload_length 0
		.amdhsa_user_sgpr_kernarg_preload_offset 0
		.amdhsa_user_sgpr_private_segment_size 0
		.amdhsa_uses_dynamic_stack 0
		.amdhsa_system_sgpr_private_segment_wavefront_offset 0
		.amdhsa_system_sgpr_workgroup_id_x 1
		.amdhsa_system_sgpr_workgroup_id_y 0
		.amdhsa_system_sgpr_workgroup_id_z 0
		.amdhsa_system_sgpr_workgroup_info 0
		.amdhsa_system_vgpr_workitem_id 0
		.amdhsa_next_free_vgpr 1
		.amdhsa_next_free_sgpr 0
		.amdhsa_accum_offset 4
		.amdhsa_reserve_vcc 0
		.amdhsa_reserve_flat_scratch 0
		.amdhsa_float_round_mode_32 0
		.amdhsa_float_round_mode_16_64 0
		.amdhsa_float_denorm_mode_32 3
		.amdhsa_float_denorm_mode_16_64 3
		.amdhsa_dx10_clamp 1
		.amdhsa_ieee_mode 1
		.amdhsa_fp16_overflow 0
		.amdhsa_tg_split 0
		.amdhsa_exception_fp_ieee_invalid_op 0
		.amdhsa_exception_fp_denorm_src 0
		.amdhsa_exception_fp_ieee_div_zero 0
		.amdhsa_exception_fp_ieee_overflow 0
		.amdhsa_exception_fp_ieee_underflow 0
		.amdhsa_exception_fp_ieee_inexact 0
		.amdhsa_exception_int_div_zero 0
	.end_amdhsa_kernel
	.section	.text._ZN7rocprim17ROCPRIM_400000_NS6detail17trampoline_kernelINS0_14default_configENS1_35radix_sort_onesweep_config_selectorIdNS0_10empty_typeEEEZNS1_34radix_sort_onesweep_global_offsetsIS3_Lb0EPdPS5_mNS0_19identity_decomposerEEE10hipError_tT1_T2_PT3_SE_jT4_jjP12ihipStream_tbEUlT_E_NS1_11comp_targetILNS1_3genE10ELNS1_11target_archE1201ELNS1_3gpuE5ELNS1_3repE0EEENS1_52radix_sort_onesweep_histogram_config_static_selectorELNS0_4arch9wavefront6targetE1EEEvSC_,"axG",@progbits,_ZN7rocprim17ROCPRIM_400000_NS6detail17trampoline_kernelINS0_14default_configENS1_35radix_sort_onesweep_config_selectorIdNS0_10empty_typeEEEZNS1_34radix_sort_onesweep_global_offsetsIS3_Lb0EPdPS5_mNS0_19identity_decomposerEEE10hipError_tT1_T2_PT3_SE_jT4_jjP12ihipStream_tbEUlT_E_NS1_11comp_targetILNS1_3genE10ELNS1_11target_archE1201ELNS1_3gpuE5ELNS1_3repE0EEENS1_52radix_sort_onesweep_histogram_config_static_selectorELNS0_4arch9wavefront6targetE1EEEvSC_,comdat
.Lfunc_end1360:
	.size	_ZN7rocprim17ROCPRIM_400000_NS6detail17trampoline_kernelINS0_14default_configENS1_35radix_sort_onesweep_config_selectorIdNS0_10empty_typeEEEZNS1_34radix_sort_onesweep_global_offsetsIS3_Lb0EPdPS5_mNS0_19identity_decomposerEEE10hipError_tT1_T2_PT3_SE_jT4_jjP12ihipStream_tbEUlT_E_NS1_11comp_targetILNS1_3genE10ELNS1_11target_archE1201ELNS1_3gpuE5ELNS1_3repE0EEENS1_52radix_sort_onesweep_histogram_config_static_selectorELNS0_4arch9wavefront6targetE1EEEvSC_, .Lfunc_end1360-_ZN7rocprim17ROCPRIM_400000_NS6detail17trampoline_kernelINS0_14default_configENS1_35radix_sort_onesweep_config_selectorIdNS0_10empty_typeEEEZNS1_34radix_sort_onesweep_global_offsetsIS3_Lb0EPdPS5_mNS0_19identity_decomposerEEE10hipError_tT1_T2_PT3_SE_jT4_jjP12ihipStream_tbEUlT_E_NS1_11comp_targetILNS1_3genE10ELNS1_11target_archE1201ELNS1_3gpuE5ELNS1_3repE0EEENS1_52radix_sort_onesweep_histogram_config_static_selectorELNS0_4arch9wavefront6targetE1EEEvSC_
                                        ; -- End function
	.section	.AMDGPU.csdata,"",@progbits
; Kernel info:
; codeLenInByte = 0
; NumSgprs: 4
; NumVgprs: 0
; NumAgprs: 0
; TotalNumVgprs: 0
; ScratchSize: 0
; MemoryBound: 0
; FloatMode: 240
; IeeeMode: 1
; LDSByteSize: 0 bytes/workgroup (compile time only)
; SGPRBlocks: 0
; VGPRBlocks: 0
; NumSGPRsForWavesPerEU: 4
; NumVGPRsForWavesPerEU: 1
; AccumOffset: 4
; Occupancy: 8
; WaveLimiterHint : 0
; COMPUTE_PGM_RSRC2:SCRATCH_EN: 0
; COMPUTE_PGM_RSRC2:USER_SGPR: 6
; COMPUTE_PGM_RSRC2:TRAP_HANDLER: 0
; COMPUTE_PGM_RSRC2:TGID_X_EN: 1
; COMPUTE_PGM_RSRC2:TGID_Y_EN: 0
; COMPUTE_PGM_RSRC2:TGID_Z_EN: 0
; COMPUTE_PGM_RSRC2:TIDIG_COMP_CNT: 0
; COMPUTE_PGM_RSRC3_GFX90A:ACCUM_OFFSET: 0
; COMPUTE_PGM_RSRC3_GFX90A:TG_SPLIT: 0
	.section	.text._ZN7rocprim17ROCPRIM_400000_NS6detail17trampoline_kernelINS0_14default_configENS1_35radix_sort_onesweep_config_selectorIdNS0_10empty_typeEEEZNS1_34radix_sort_onesweep_global_offsetsIS3_Lb0EPdPS5_mNS0_19identity_decomposerEEE10hipError_tT1_T2_PT3_SE_jT4_jjP12ihipStream_tbEUlT_E_NS1_11comp_targetILNS1_3genE9ELNS1_11target_archE1100ELNS1_3gpuE3ELNS1_3repE0EEENS1_52radix_sort_onesweep_histogram_config_static_selectorELNS0_4arch9wavefront6targetE1EEEvSC_,"axG",@progbits,_ZN7rocprim17ROCPRIM_400000_NS6detail17trampoline_kernelINS0_14default_configENS1_35radix_sort_onesweep_config_selectorIdNS0_10empty_typeEEEZNS1_34radix_sort_onesweep_global_offsetsIS3_Lb0EPdPS5_mNS0_19identity_decomposerEEE10hipError_tT1_T2_PT3_SE_jT4_jjP12ihipStream_tbEUlT_E_NS1_11comp_targetILNS1_3genE9ELNS1_11target_archE1100ELNS1_3gpuE3ELNS1_3repE0EEENS1_52radix_sort_onesweep_histogram_config_static_selectorELNS0_4arch9wavefront6targetE1EEEvSC_,comdat
	.protected	_ZN7rocprim17ROCPRIM_400000_NS6detail17trampoline_kernelINS0_14default_configENS1_35radix_sort_onesweep_config_selectorIdNS0_10empty_typeEEEZNS1_34radix_sort_onesweep_global_offsetsIS3_Lb0EPdPS5_mNS0_19identity_decomposerEEE10hipError_tT1_T2_PT3_SE_jT4_jjP12ihipStream_tbEUlT_E_NS1_11comp_targetILNS1_3genE9ELNS1_11target_archE1100ELNS1_3gpuE3ELNS1_3repE0EEENS1_52radix_sort_onesweep_histogram_config_static_selectorELNS0_4arch9wavefront6targetE1EEEvSC_ ; -- Begin function _ZN7rocprim17ROCPRIM_400000_NS6detail17trampoline_kernelINS0_14default_configENS1_35radix_sort_onesweep_config_selectorIdNS0_10empty_typeEEEZNS1_34radix_sort_onesweep_global_offsetsIS3_Lb0EPdPS5_mNS0_19identity_decomposerEEE10hipError_tT1_T2_PT3_SE_jT4_jjP12ihipStream_tbEUlT_E_NS1_11comp_targetILNS1_3genE9ELNS1_11target_archE1100ELNS1_3gpuE3ELNS1_3repE0EEENS1_52radix_sort_onesweep_histogram_config_static_selectorELNS0_4arch9wavefront6targetE1EEEvSC_
	.globl	_ZN7rocprim17ROCPRIM_400000_NS6detail17trampoline_kernelINS0_14default_configENS1_35radix_sort_onesweep_config_selectorIdNS0_10empty_typeEEEZNS1_34radix_sort_onesweep_global_offsetsIS3_Lb0EPdPS5_mNS0_19identity_decomposerEEE10hipError_tT1_T2_PT3_SE_jT4_jjP12ihipStream_tbEUlT_E_NS1_11comp_targetILNS1_3genE9ELNS1_11target_archE1100ELNS1_3gpuE3ELNS1_3repE0EEENS1_52radix_sort_onesweep_histogram_config_static_selectorELNS0_4arch9wavefront6targetE1EEEvSC_
	.p2align	8
	.type	_ZN7rocprim17ROCPRIM_400000_NS6detail17trampoline_kernelINS0_14default_configENS1_35radix_sort_onesweep_config_selectorIdNS0_10empty_typeEEEZNS1_34radix_sort_onesweep_global_offsetsIS3_Lb0EPdPS5_mNS0_19identity_decomposerEEE10hipError_tT1_T2_PT3_SE_jT4_jjP12ihipStream_tbEUlT_E_NS1_11comp_targetILNS1_3genE9ELNS1_11target_archE1100ELNS1_3gpuE3ELNS1_3repE0EEENS1_52radix_sort_onesweep_histogram_config_static_selectorELNS0_4arch9wavefront6targetE1EEEvSC_,@function
_ZN7rocprim17ROCPRIM_400000_NS6detail17trampoline_kernelINS0_14default_configENS1_35radix_sort_onesweep_config_selectorIdNS0_10empty_typeEEEZNS1_34radix_sort_onesweep_global_offsetsIS3_Lb0EPdPS5_mNS0_19identity_decomposerEEE10hipError_tT1_T2_PT3_SE_jT4_jjP12ihipStream_tbEUlT_E_NS1_11comp_targetILNS1_3genE9ELNS1_11target_archE1100ELNS1_3gpuE3ELNS1_3repE0EEENS1_52radix_sort_onesweep_histogram_config_static_selectorELNS0_4arch9wavefront6targetE1EEEvSC_: ; @_ZN7rocprim17ROCPRIM_400000_NS6detail17trampoline_kernelINS0_14default_configENS1_35radix_sort_onesweep_config_selectorIdNS0_10empty_typeEEEZNS1_34radix_sort_onesweep_global_offsetsIS3_Lb0EPdPS5_mNS0_19identity_decomposerEEE10hipError_tT1_T2_PT3_SE_jT4_jjP12ihipStream_tbEUlT_E_NS1_11comp_targetILNS1_3genE9ELNS1_11target_archE1100ELNS1_3gpuE3ELNS1_3repE0EEENS1_52radix_sort_onesweep_histogram_config_static_selectorELNS0_4arch9wavefront6targetE1EEEvSC_
; %bb.0:
	.section	.rodata,"a",@progbits
	.p2align	6, 0x0
	.amdhsa_kernel _ZN7rocprim17ROCPRIM_400000_NS6detail17trampoline_kernelINS0_14default_configENS1_35radix_sort_onesweep_config_selectorIdNS0_10empty_typeEEEZNS1_34radix_sort_onesweep_global_offsetsIS3_Lb0EPdPS5_mNS0_19identity_decomposerEEE10hipError_tT1_T2_PT3_SE_jT4_jjP12ihipStream_tbEUlT_E_NS1_11comp_targetILNS1_3genE9ELNS1_11target_archE1100ELNS1_3gpuE3ELNS1_3repE0EEENS1_52radix_sort_onesweep_histogram_config_static_selectorELNS0_4arch9wavefront6targetE1EEEvSC_
		.amdhsa_group_segment_fixed_size 0
		.amdhsa_private_segment_fixed_size 0
		.amdhsa_kernarg_size 48
		.amdhsa_user_sgpr_count 6
		.amdhsa_user_sgpr_private_segment_buffer 1
		.amdhsa_user_sgpr_dispatch_ptr 0
		.amdhsa_user_sgpr_queue_ptr 0
		.amdhsa_user_sgpr_kernarg_segment_ptr 1
		.amdhsa_user_sgpr_dispatch_id 0
		.amdhsa_user_sgpr_flat_scratch_init 0
		.amdhsa_user_sgpr_kernarg_preload_length 0
		.amdhsa_user_sgpr_kernarg_preload_offset 0
		.amdhsa_user_sgpr_private_segment_size 0
		.amdhsa_uses_dynamic_stack 0
		.amdhsa_system_sgpr_private_segment_wavefront_offset 0
		.amdhsa_system_sgpr_workgroup_id_x 1
		.amdhsa_system_sgpr_workgroup_id_y 0
		.amdhsa_system_sgpr_workgroup_id_z 0
		.amdhsa_system_sgpr_workgroup_info 0
		.amdhsa_system_vgpr_workitem_id 0
		.amdhsa_next_free_vgpr 1
		.amdhsa_next_free_sgpr 0
		.amdhsa_accum_offset 4
		.amdhsa_reserve_vcc 0
		.amdhsa_reserve_flat_scratch 0
		.amdhsa_float_round_mode_32 0
		.amdhsa_float_round_mode_16_64 0
		.amdhsa_float_denorm_mode_32 3
		.amdhsa_float_denorm_mode_16_64 3
		.amdhsa_dx10_clamp 1
		.amdhsa_ieee_mode 1
		.amdhsa_fp16_overflow 0
		.amdhsa_tg_split 0
		.amdhsa_exception_fp_ieee_invalid_op 0
		.amdhsa_exception_fp_denorm_src 0
		.amdhsa_exception_fp_ieee_div_zero 0
		.amdhsa_exception_fp_ieee_overflow 0
		.amdhsa_exception_fp_ieee_underflow 0
		.amdhsa_exception_fp_ieee_inexact 0
		.amdhsa_exception_int_div_zero 0
	.end_amdhsa_kernel
	.section	.text._ZN7rocprim17ROCPRIM_400000_NS6detail17trampoline_kernelINS0_14default_configENS1_35radix_sort_onesweep_config_selectorIdNS0_10empty_typeEEEZNS1_34radix_sort_onesweep_global_offsetsIS3_Lb0EPdPS5_mNS0_19identity_decomposerEEE10hipError_tT1_T2_PT3_SE_jT4_jjP12ihipStream_tbEUlT_E_NS1_11comp_targetILNS1_3genE9ELNS1_11target_archE1100ELNS1_3gpuE3ELNS1_3repE0EEENS1_52radix_sort_onesweep_histogram_config_static_selectorELNS0_4arch9wavefront6targetE1EEEvSC_,"axG",@progbits,_ZN7rocprim17ROCPRIM_400000_NS6detail17trampoline_kernelINS0_14default_configENS1_35radix_sort_onesweep_config_selectorIdNS0_10empty_typeEEEZNS1_34radix_sort_onesweep_global_offsetsIS3_Lb0EPdPS5_mNS0_19identity_decomposerEEE10hipError_tT1_T2_PT3_SE_jT4_jjP12ihipStream_tbEUlT_E_NS1_11comp_targetILNS1_3genE9ELNS1_11target_archE1100ELNS1_3gpuE3ELNS1_3repE0EEENS1_52radix_sort_onesweep_histogram_config_static_selectorELNS0_4arch9wavefront6targetE1EEEvSC_,comdat
.Lfunc_end1361:
	.size	_ZN7rocprim17ROCPRIM_400000_NS6detail17trampoline_kernelINS0_14default_configENS1_35radix_sort_onesweep_config_selectorIdNS0_10empty_typeEEEZNS1_34radix_sort_onesweep_global_offsetsIS3_Lb0EPdPS5_mNS0_19identity_decomposerEEE10hipError_tT1_T2_PT3_SE_jT4_jjP12ihipStream_tbEUlT_E_NS1_11comp_targetILNS1_3genE9ELNS1_11target_archE1100ELNS1_3gpuE3ELNS1_3repE0EEENS1_52radix_sort_onesweep_histogram_config_static_selectorELNS0_4arch9wavefront6targetE1EEEvSC_, .Lfunc_end1361-_ZN7rocprim17ROCPRIM_400000_NS6detail17trampoline_kernelINS0_14default_configENS1_35radix_sort_onesweep_config_selectorIdNS0_10empty_typeEEEZNS1_34radix_sort_onesweep_global_offsetsIS3_Lb0EPdPS5_mNS0_19identity_decomposerEEE10hipError_tT1_T2_PT3_SE_jT4_jjP12ihipStream_tbEUlT_E_NS1_11comp_targetILNS1_3genE9ELNS1_11target_archE1100ELNS1_3gpuE3ELNS1_3repE0EEENS1_52radix_sort_onesweep_histogram_config_static_selectorELNS0_4arch9wavefront6targetE1EEEvSC_
                                        ; -- End function
	.section	.AMDGPU.csdata,"",@progbits
; Kernel info:
; codeLenInByte = 0
; NumSgprs: 4
; NumVgprs: 0
; NumAgprs: 0
; TotalNumVgprs: 0
; ScratchSize: 0
; MemoryBound: 0
; FloatMode: 240
; IeeeMode: 1
; LDSByteSize: 0 bytes/workgroup (compile time only)
; SGPRBlocks: 0
; VGPRBlocks: 0
; NumSGPRsForWavesPerEU: 4
; NumVGPRsForWavesPerEU: 1
; AccumOffset: 4
; Occupancy: 8
; WaveLimiterHint : 0
; COMPUTE_PGM_RSRC2:SCRATCH_EN: 0
; COMPUTE_PGM_RSRC2:USER_SGPR: 6
; COMPUTE_PGM_RSRC2:TRAP_HANDLER: 0
; COMPUTE_PGM_RSRC2:TGID_X_EN: 1
; COMPUTE_PGM_RSRC2:TGID_Y_EN: 0
; COMPUTE_PGM_RSRC2:TGID_Z_EN: 0
; COMPUTE_PGM_RSRC2:TIDIG_COMP_CNT: 0
; COMPUTE_PGM_RSRC3_GFX90A:ACCUM_OFFSET: 0
; COMPUTE_PGM_RSRC3_GFX90A:TG_SPLIT: 0
	.section	.text._ZN7rocprim17ROCPRIM_400000_NS6detail17trampoline_kernelINS0_14default_configENS1_35radix_sort_onesweep_config_selectorIdNS0_10empty_typeEEEZNS1_34radix_sort_onesweep_global_offsetsIS3_Lb0EPdPS5_mNS0_19identity_decomposerEEE10hipError_tT1_T2_PT3_SE_jT4_jjP12ihipStream_tbEUlT_E_NS1_11comp_targetILNS1_3genE8ELNS1_11target_archE1030ELNS1_3gpuE2ELNS1_3repE0EEENS1_52radix_sort_onesweep_histogram_config_static_selectorELNS0_4arch9wavefront6targetE1EEEvSC_,"axG",@progbits,_ZN7rocprim17ROCPRIM_400000_NS6detail17trampoline_kernelINS0_14default_configENS1_35radix_sort_onesweep_config_selectorIdNS0_10empty_typeEEEZNS1_34radix_sort_onesweep_global_offsetsIS3_Lb0EPdPS5_mNS0_19identity_decomposerEEE10hipError_tT1_T2_PT3_SE_jT4_jjP12ihipStream_tbEUlT_E_NS1_11comp_targetILNS1_3genE8ELNS1_11target_archE1030ELNS1_3gpuE2ELNS1_3repE0EEENS1_52radix_sort_onesweep_histogram_config_static_selectorELNS0_4arch9wavefront6targetE1EEEvSC_,comdat
	.protected	_ZN7rocprim17ROCPRIM_400000_NS6detail17trampoline_kernelINS0_14default_configENS1_35radix_sort_onesweep_config_selectorIdNS0_10empty_typeEEEZNS1_34radix_sort_onesweep_global_offsetsIS3_Lb0EPdPS5_mNS0_19identity_decomposerEEE10hipError_tT1_T2_PT3_SE_jT4_jjP12ihipStream_tbEUlT_E_NS1_11comp_targetILNS1_3genE8ELNS1_11target_archE1030ELNS1_3gpuE2ELNS1_3repE0EEENS1_52radix_sort_onesweep_histogram_config_static_selectorELNS0_4arch9wavefront6targetE1EEEvSC_ ; -- Begin function _ZN7rocprim17ROCPRIM_400000_NS6detail17trampoline_kernelINS0_14default_configENS1_35radix_sort_onesweep_config_selectorIdNS0_10empty_typeEEEZNS1_34radix_sort_onesweep_global_offsetsIS3_Lb0EPdPS5_mNS0_19identity_decomposerEEE10hipError_tT1_T2_PT3_SE_jT4_jjP12ihipStream_tbEUlT_E_NS1_11comp_targetILNS1_3genE8ELNS1_11target_archE1030ELNS1_3gpuE2ELNS1_3repE0EEENS1_52radix_sort_onesweep_histogram_config_static_selectorELNS0_4arch9wavefront6targetE1EEEvSC_
	.globl	_ZN7rocprim17ROCPRIM_400000_NS6detail17trampoline_kernelINS0_14default_configENS1_35radix_sort_onesweep_config_selectorIdNS0_10empty_typeEEEZNS1_34radix_sort_onesweep_global_offsetsIS3_Lb0EPdPS5_mNS0_19identity_decomposerEEE10hipError_tT1_T2_PT3_SE_jT4_jjP12ihipStream_tbEUlT_E_NS1_11comp_targetILNS1_3genE8ELNS1_11target_archE1030ELNS1_3gpuE2ELNS1_3repE0EEENS1_52radix_sort_onesweep_histogram_config_static_selectorELNS0_4arch9wavefront6targetE1EEEvSC_
	.p2align	8
	.type	_ZN7rocprim17ROCPRIM_400000_NS6detail17trampoline_kernelINS0_14default_configENS1_35radix_sort_onesweep_config_selectorIdNS0_10empty_typeEEEZNS1_34radix_sort_onesweep_global_offsetsIS3_Lb0EPdPS5_mNS0_19identity_decomposerEEE10hipError_tT1_T2_PT3_SE_jT4_jjP12ihipStream_tbEUlT_E_NS1_11comp_targetILNS1_3genE8ELNS1_11target_archE1030ELNS1_3gpuE2ELNS1_3repE0EEENS1_52radix_sort_onesweep_histogram_config_static_selectorELNS0_4arch9wavefront6targetE1EEEvSC_,@function
_ZN7rocprim17ROCPRIM_400000_NS6detail17trampoline_kernelINS0_14default_configENS1_35radix_sort_onesweep_config_selectorIdNS0_10empty_typeEEEZNS1_34radix_sort_onesweep_global_offsetsIS3_Lb0EPdPS5_mNS0_19identity_decomposerEEE10hipError_tT1_T2_PT3_SE_jT4_jjP12ihipStream_tbEUlT_E_NS1_11comp_targetILNS1_3genE8ELNS1_11target_archE1030ELNS1_3gpuE2ELNS1_3repE0EEENS1_52radix_sort_onesweep_histogram_config_static_selectorELNS0_4arch9wavefront6targetE1EEEvSC_: ; @_ZN7rocprim17ROCPRIM_400000_NS6detail17trampoline_kernelINS0_14default_configENS1_35radix_sort_onesweep_config_selectorIdNS0_10empty_typeEEEZNS1_34radix_sort_onesweep_global_offsetsIS3_Lb0EPdPS5_mNS0_19identity_decomposerEEE10hipError_tT1_T2_PT3_SE_jT4_jjP12ihipStream_tbEUlT_E_NS1_11comp_targetILNS1_3genE8ELNS1_11target_archE1030ELNS1_3gpuE2ELNS1_3repE0EEENS1_52radix_sort_onesweep_histogram_config_static_selectorELNS0_4arch9wavefront6targetE1EEEvSC_
; %bb.0:
	.section	.rodata,"a",@progbits
	.p2align	6, 0x0
	.amdhsa_kernel _ZN7rocprim17ROCPRIM_400000_NS6detail17trampoline_kernelINS0_14default_configENS1_35radix_sort_onesweep_config_selectorIdNS0_10empty_typeEEEZNS1_34radix_sort_onesweep_global_offsetsIS3_Lb0EPdPS5_mNS0_19identity_decomposerEEE10hipError_tT1_T2_PT3_SE_jT4_jjP12ihipStream_tbEUlT_E_NS1_11comp_targetILNS1_3genE8ELNS1_11target_archE1030ELNS1_3gpuE2ELNS1_3repE0EEENS1_52radix_sort_onesweep_histogram_config_static_selectorELNS0_4arch9wavefront6targetE1EEEvSC_
		.amdhsa_group_segment_fixed_size 0
		.amdhsa_private_segment_fixed_size 0
		.amdhsa_kernarg_size 48
		.amdhsa_user_sgpr_count 6
		.amdhsa_user_sgpr_private_segment_buffer 1
		.amdhsa_user_sgpr_dispatch_ptr 0
		.amdhsa_user_sgpr_queue_ptr 0
		.amdhsa_user_sgpr_kernarg_segment_ptr 1
		.amdhsa_user_sgpr_dispatch_id 0
		.amdhsa_user_sgpr_flat_scratch_init 0
		.amdhsa_user_sgpr_kernarg_preload_length 0
		.amdhsa_user_sgpr_kernarg_preload_offset 0
		.amdhsa_user_sgpr_private_segment_size 0
		.amdhsa_uses_dynamic_stack 0
		.amdhsa_system_sgpr_private_segment_wavefront_offset 0
		.amdhsa_system_sgpr_workgroup_id_x 1
		.amdhsa_system_sgpr_workgroup_id_y 0
		.amdhsa_system_sgpr_workgroup_id_z 0
		.amdhsa_system_sgpr_workgroup_info 0
		.amdhsa_system_vgpr_workitem_id 0
		.amdhsa_next_free_vgpr 1
		.amdhsa_next_free_sgpr 0
		.amdhsa_accum_offset 4
		.amdhsa_reserve_vcc 0
		.amdhsa_reserve_flat_scratch 0
		.amdhsa_float_round_mode_32 0
		.amdhsa_float_round_mode_16_64 0
		.amdhsa_float_denorm_mode_32 3
		.amdhsa_float_denorm_mode_16_64 3
		.amdhsa_dx10_clamp 1
		.amdhsa_ieee_mode 1
		.amdhsa_fp16_overflow 0
		.amdhsa_tg_split 0
		.amdhsa_exception_fp_ieee_invalid_op 0
		.amdhsa_exception_fp_denorm_src 0
		.amdhsa_exception_fp_ieee_div_zero 0
		.amdhsa_exception_fp_ieee_overflow 0
		.amdhsa_exception_fp_ieee_underflow 0
		.amdhsa_exception_fp_ieee_inexact 0
		.amdhsa_exception_int_div_zero 0
	.end_amdhsa_kernel
	.section	.text._ZN7rocprim17ROCPRIM_400000_NS6detail17trampoline_kernelINS0_14default_configENS1_35radix_sort_onesweep_config_selectorIdNS0_10empty_typeEEEZNS1_34radix_sort_onesweep_global_offsetsIS3_Lb0EPdPS5_mNS0_19identity_decomposerEEE10hipError_tT1_T2_PT3_SE_jT4_jjP12ihipStream_tbEUlT_E_NS1_11comp_targetILNS1_3genE8ELNS1_11target_archE1030ELNS1_3gpuE2ELNS1_3repE0EEENS1_52radix_sort_onesweep_histogram_config_static_selectorELNS0_4arch9wavefront6targetE1EEEvSC_,"axG",@progbits,_ZN7rocprim17ROCPRIM_400000_NS6detail17trampoline_kernelINS0_14default_configENS1_35radix_sort_onesweep_config_selectorIdNS0_10empty_typeEEEZNS1_34radix_sort_onesweep_global_offsetsIS3_Lb0EPdPS5_mNS0_19identity_decomposerEEE10hipError_tT1_T2_PT3_SE_jT4_jjP12ihipStream_tbEUlT_E_NS1_11comp_targetILNS1_3genE8ELNS1_11target_archE1030ELNS1_3gpuE2ELNS1_3repE0EEENS1_52radix_sort_onesweep_histogram_config_static_selectorELNS0_4arch9wavefront6targetE1EEEvSC_,comdat
.Lfunc_end1362:
	.size	_ZN7rocprim17ROCPRIM_400000_NS6detail17trampoline_kernelINS0_14default_configENS1_35radix_sort_onesweep_config_selectorIdNS0_10empty_typeEEEZNS1_34radix_sort_onesweep_global_offsetsIS3_Lb0EPdPS5_mNS0_19identity_decomposerEEE10hipError_tT1_T2_PT3_SE_jT4_jjP12ihipStream_tbEUlT_E_NS1_11comp_targetILNS1_3genE8ELNS1_11target_archE1030ELNS1_3gpuE2ELNS1_3repE0EEENS1_52radix_sort_onesweep_histogram_config_static_selectorELNS0_4arch9wavefront6targetE1EEEvSC_, .Lfunc_end1362-_ZN7rocprim17ROCPRIM_400000_NS6detail17trampoline_kernelINS0_14default_configENS1_35radix_sort_onesweep_config_selectorIdNS0_10empty_typeEEEZNS1_34radix_sort_onesweep_global_offsetsIS3_Lb0EPdPS5_mNS0_19identity_decomposerEEE10hipError_tT1_T2_PT3_SE_jT4_jjP12ihipStream_tbEUlT_E_NS1_11comp_targetILNS1_3genE8ELNS1_11target_archE1030ELNS1_3gpuE2ELNS1_3repE0EEENS1_52radix_sort_onesweep_histogram_config_static_selectorELNS0_4arch9wavefront6targetE1EEEvSC_
                                        ; -- End function
	.section	.AMDGPU.csdata,"",@progbits
; Kernel info:
; codeLenInByte = 0
; NumSgprs: 4
; NumVgprs: 0
; NumAgprs: 0
; TotalNumVgprs: 0
; ScratchSize: 0
; MemoryBound: 0
; FloatMode: 240
; IeeeMode: 1
; LDSByteSize: 0 bytes/workgroup (compile time only)
; SGPRBlocks: 0
; VGPRBlocks: 0
; NumSGPRsForWavesPerEU: 4
; NumVGPRsForWavesPerEU: 1
; AccumOffset: 4
; Occupancy: 8
; WaveLimiterHint : 0
; COMPUTE_PGM_RSRC2:SCRATCH_EN: 0
; COMPUTE_PGM_RSRC2:USER_SGPR: 6
; COMPUTE_PGM_RSRC2:TRAP_HANDLER: 0
; COMPUTE_PGM_RSRC2:TGID_X_EN: 1
; COMPUTE_PGM_RSRC2:TGID_Y_EN: 0
; COMPUTE_PGM_RSRC2:TGID_Z_EN: 0
; COMPUTE_PGM_RSRC2:TIDIG_COMP_CNT: 0
; COMPUTE_PGM_RSRC3_GFX90A:ACCUM_OFFSET: 0
; COMPUTE_PGM_RSRC3_GFX90A:TG_SPLIT: 0
	.section	.text._ZN7rocprim17ROCPRIM_400000_NS6detail17trampoline_kernelINS0_14default_configENS1_35radix_sort_onesweep_config_selectorIdNS0_10empty_typeEEEZNS1_34radix_sort_onesweep_global_offsetsIS3_Lb0EPdPS5_mNS0_19identity_decomposerEEE10hipError_tT1_T2_PT3_SE_jT4_jjP12ihipStream_tbEUlT_E0_NS1_11comp_targetILNS1_3genE0ELNS1_11target_archE4294967295ELNS1_3gpuE0ELNS1_3repE0EEENS1_52radix_sort_onesweep_histogram_config_static_selectorELNS0_4arch9wavefront6targetE1EEEvSC_,"axG",@progbits,_ZN7rocprim17ROCPRIM_400000_NS6detail17trampoline_kernelINS0_14default_configENS1_35radix_sort_onesweep_config_selectorIdNS0_10empty_typeEEEZNS1_34radix_sort_onesweep_global_offsetsIS3_Lb0EPdPS5_mNS0_19identity_decomposerEEE10hipError_tT1_T2_PT3_SE_jT4_jjP12ihipStream_tbEUlT_E0_NS1_11comp_targetILNS1_3genE0ELNS1_11target_archE4294967295ELNS1_3gpuE0ELNS1_3repE0EEENS1_52radix_sort_onesweep_histogram_config_static_selectorELNS0_4arch9wavefront6targetE1EEEvSC_,comdat
	.protected	_ZN7rocprim17ROCPRIM_400000_NS6detail17trampoline_kernelINS0_14default_configENS1_35radix_sort_onesweep_config_selectorIdNS0_10empty_typeEEEZNS1_34radix_sort_onesweep_global_offsetsIS3_Lb0EPdPS5_mNS0_19identity_decomposerEEE10hipError_tT1_T2_PT3_SE_jT4_jjP12ihipStream_tbEUlT_E0_NS1_11comp_targetILNS1_3genE0ELNS1_11target_archE4294967295ELNS1_3gpuE0ELNS1_3repE0EEENS1_52radix_sort_onesweep_histogram_config_static_selectorELNS0_4arch9wavefront6targetE1EEEvSC_ ; -- Begin function _ZN7rocprim17ROCPRIM_400000_NS6detail17trampoline_kernelINS0_14default_configENS1_35radix_sort_onesweep_config_selectorIdNS0_10empty_typeEEEZNS1_34radix_sort_onesweep_global_offsetsIS3_Lb0EPdPS5_mNS0_19identity_decomposerEEE10hipError_tT1_T2_PT3_SE_jT4_jjP12ihipStream_tbEUlT_E0_NS1_11comp_targetILNS1_3genE0ELNS1_11target_archE4294967295ELNS1_3gpuE0ELNS1_3repE0EEENS1_52radix_sort_onesweep_histogram_config_static_selectorELNS0_4arch9wavefront6targetE1EEEvSC_
	.globl	_ZN7rocprim17ROCPRIM_400000_NS6detail17trampoline_kernelINS0_14default_configENS1_35radix_sort_onesweep_config_selectorIdNS0_10empty_typeEEEZNS1_34radix_sort_onesweep_global_offsetsIS3_Lb0EPdPS5_mNS0_19identity_decomposerEEE10hipError_tT1_T2_PT3_SE_jT4_jjP12ihipStream_tbEUlT_E0_NS1_11comp_targetILNS1_3genE0ELNS1_11target_archE4294967295ELNS1_3gpuE0ELNS1_3repE0EEENS1_52radix_sort_onesweep_histogram_config_static_selectorELNS0_4arch9wavefront6targetE1EEEvSC_
	.p2align	8
	.type	_ZN7rocprim17ROCPRIM_400000_NS6detail17trampoline_kernelINS0_14default_configENS1_35radix_sort_onesweep_config_selectorIdNS0_10empty_typeEEEZNS1_34radix_sort_onesweep_global_offsetsIS3_Lb0EPdPS5_mNS0_19identity_decomposerEEE10hipError_tT1_T2_PT3_SE_jT4_jjP12ihipStream_tbEUlT_E0_NS1_11comp_targetILNS1_3genE0ELNS1_11target_archE4294967295ELNS1_3gpuE0ELNS1_3repE0EEENS1_52radix_sort_onesweep_histogram_config_static_selectorELNS0_4arch9wavefront6targetE1EEEvSC_,@function
_ZN7rocprim17ROCPRIM_400000_NS6detail17trampoline_kernelINS0_14default_configENS1_35radix_sort_onesweep_config_selectorIdNS0_10empty_typeEEEZNS1_34radix_sort_onesweep_global_offsetsIS3_Lb0EPdPS5_mNS0_19identity_decomposerEEE10hipError_tT1_T2_PT3_SE_jT4_jjP12ihipStream_tbEUlT_E0_NS1_11comp_targetILNS1_3genE0ELNS1_11target_archE4294967295ELNS1_3gpuE0ELNS1_3repE0EEENS1_52radix_sort_onesweep_histogram_config_static_selectorELNS0_4arch9wavefront6targetE1EEEvSC_: ; @_ZN7rocprim17ROCPRIM_400000_NS6detail17trampoline_kernelINS0_14default_configENS1_35radix_sort_onesweep_config_selectorIdNS0_10empty_typeEEEZNS1_34radix_sort_onesweep_global_offsetsIS3_Lb0EPdPS5_mNS0_19identity_decomposerEEE10hipError_tT1_T2_PT3_SE_jT4_jjP12ihipStream_tbEUlT_E0_NS1_11comp_targetILNS1_3genE0ELNS1_11target_archE4294967295ELNS1_3gpuE0ELNS1_3repE0EEENS1_52radix_sort_onesweep_histogram_config_static_selectorELNS0_4arch9wavefront6targetE1EEEvSC_
; %bb.0:
	.section	.rodata,"a",@progbits
	.p2align	6, 0x0
	.amdhsa_kernel _ZN7rocprim17ROCPRIM_400000_NS6detail17trampoline_kernelINS0_14default_configENS1_35radix_sort_onesweep_config_selectorIdNS0_10empty_typeEEEZNS1_34radix_sort_onesweep_global_offsetsIS3_Lb0EPdPS5_mNS0_19identity_decomposerEEE10hipError_tT1_T2_PT3_SE_jT4_jjP12ihipStream_tbEUlT_E0_NS1_11comp_targetILNS1_3genE0ELNS1_11target_archE4294967295ELNS1_3gpuE0ELNS1_3repE0EEENS1_52radix_sort_onesweep_histogram_config_static_selectorELNS0_4arch9wavefront6targetE1EEEvSC_
		.amdhsa_group_segment_fixed_size 0
		.amdhsa_private_segment_fixed_size 0
		.amdhsa_kernarg_size 8
		.amdhsa_user_sgpr_count 6
		.amdhsa_user_sgpr_private_segment_buffer 1
		.amdhsa_user_sgpr_dispatch_ptr 0
		.amdhsa_user_sgpr_queue_ptr 0
		.amdhsa_user_sgpr_kernarg_segment_ptr 1
		.amdhsa_user_sgpr_dispatch_id 0
		.amdhsa_user_sgpr_flat_scratch_init 0
		.amdhsa_user_sgpr_kernarg_preload_length 0
		.amdhsa_user_sgpr_kernarg_preload_offset 0
		.amdhsa_user_sgpr_private_segment_size 0
		.amdhsa_uses_dynamic_stack 0
		.amdhsa_system_sgpr_private_segment_wavefront_offset 0
		.amdhsa_system_sgpr_workgroup_id_x 1
		.amdhsa_system_sgpr_workgroup_id_y 0
		.amdhsa_system_sgpr_workgroup_id_z 0
		.amdhsa_system_sgpr_workgroup_info 0
		.amdhsa_system_vgpr_workitem_id 0
		.amdhsa_next_free_vgpr 1
		.amdhsa_next_free_sgpr 0
		.amdhsa_accum_offset 4
		.amdhsa_reserve_vcc 0
		.amdhsa_reserve_flat_scratch 0
		.amdhsa_float_round_mode_32 0
		.amdhsa_float_round_mode_16_64 0
		.amdhsa_float_denorm_mode_32 3
		.amdhsa_float_denorm_mode_16_64 3
		.amdhsa_dx10_clamp 1
		.amdhsa_ieee_mode 1
		.amdhsa_fp16_overflow 0
		.amdhsa_tg_split 0
		.amdhsa_exception_fp_ieee_invalid_op 0
		.amdhsa_exception_fp_denorm_src 0
		.amdhsa_exception_fp_ieee_div_zero 0
		.amdhsa_exception_fp_ieee_overflow 0
		.amdhsa_exception_fp_ieee_underflow 0
		.amdhsa_exception_fp_ieee_inexact 0
		.amdhsa_exception_int_div_zero 0
	.end_amdhsa_kernel
	.section	.text._ZN7rocprim17ROCPRIM_400000_NS6detail17trampoline_kernelINS0_14default_configENS1_35radix_sort_onesweep_config_selectorIdNS0_10empty_typeEEEZNS1_34radix_sort_onesweep_global_offsetsIS3_Lb0EPdPS5_mNS0_19identity_decomposerEEE10hipError_tT1_T2_PT3_SE_jT4_jjP12ihipStream_tbEUlT_E0_NS1_11comp_targetILNS1_3genE0ELNS1_11target_archE4294967295ELNS1_3gpuE0ELNS1_3repE0EEENS1_52radix_sort_onesweep_histogram_config_static_selectorELNS0_4arch9wavefront6targetE1EEEvSC_,"axG",@progbits,_ZN7rocprim17ROCPRIM_400000_NS6detail17trampoline_kernelINS0_14default_configENS1_35radix_sort_onesweep_config_selectorIdNS0_10empty_typeEEEZNS1_34radix_sort_onesweep_global_offsetsIS3_Lb0EPdPS5_mNS0_19identity_decomposerEEE10hipError_tT1_T2_PT3_SE_jT4_jjP12ihipStream_tbEUlT_E0_NS1_11comp_targetILNS1_3genE0ELNS1_11target_archE4294967295ELNS1_3gpuE0ELNS1_3repE0EEENS1_52radix_sort_onesweep_histogram_config_static_selectorELNS0_4arch9wavefront6targetE1EEEvSC_,comdat
.Lfunc_end1363:
	.size	_ZN7rocprim17ROCPRIM_400000_NS6detail17trampoline_kernelINS0_14default_configENS1_35radix_sort_onesweep_config_selectorIdNS0_10empty_typeEEEZNS1_34radix_sort_onesweep_global_offsetsIS3_Lb0EPdPS5_mNS0_19identity_decomposerEEE10hipError_tT1_T2_PT3_SE_jT4_jjP12ihipStream_tbEUlT_E0_NS1_11comp_targetILNS1_3genE0ELNS1_11target_archE4294967295ELNS1_3gpuE0ELNS1_3repE0EEENS1_52radix_sort_onesweep_histogram_config_static_selectorELNS0_4arch9wavefront6targetE1EEEvSC_, .Lfunc_end1363-_ZN7rocprim17ROCPRIM_400000_NS6detail17trampoline_kernelINS0_14default_configENS1_35radix_sort_onesweep_config_selectorIdNS0_10empty_typeEEEZNS1_34radix_sort_onesweep_global_offsetsIS3_Lb0EPdPS5_mNS0_19identity_decomposerEEE10hipError_tT1_T2_PT3_SE_jT4_jjP12ihipStream_tbEUlT_E0_NS1_11comp_targetILNS1_3genE0ELNS1_11target_archE4294967295ELNS1_3gpuE0ELNS1_3repE0EEENS1_52radix_sort_onesweep_histogram_config_static_selectorELNS0_4arch9wavefront6targetE1EEEvSC_
                                        ; -- End function
	.section	.AMDGPU.csdata,"",@progbits
; Kernel info:
; codeLenInByte = 0
; NumSgprs: 4
; NumVgprs: 0
; NumAgprs: 0
; TotalNumVgprs: 0
; ScratchSize: 0
; MemoryBound: 0
; FloatMode: 240
; IeeeMode: 1
; LDSByteSize: 0 bytes/workgroup (compile time only)
; SGPRBlocks: 0
; VGPRBlocks: 0
; NumSGPRsForWavesPerEU: 4
; NumVGPRsForWavesPerEU: 1
; AccumOffset: 4
; Occupancy: 8
; WaveLimiterHint : 0
; COMPUTE_PGM_RSRC2:SCRATCH_EN: 0
; COMPUTE_PGM_RSRC2:USER_SGPR: 6
; COMPUTE_PGM_RSRC2:TRAP_HANDLER: 0
; COMPUTE_PGM_RSRC2:TGID_X_EN: 1
; COMPUTE_PGM_RSRC2:TGID_Y_EN: 0
; COMPUTE_PGM_RSRC2:TGID_Z_EN: 0
; COMPUTE_PGM_RSRC2:TIDIG_COMP_CNT: 0
; COMPUTE_PGM_RSRC3_GFX90A:ACCUM_OFFSET: 0
; COMPUTE_PGM_RSRC3_GFX90A:TG_SPLIT: 0
	.section	.text._ZN7rocprim17ROCPRIM_400000_NS6detail17trampoline_kernelINS0_14default_configENS1_35radix_sort_onesweep_config_selectorIdNS0_10empty_typeEEEZNS1_34radix_sort_onesweep_global_offsetsIS3_Lb0EPdPS5_mNS0_19identity_decomposerEEE10hipError_tT1_T2_PT3_SE_jT4_jjP12ihipStream_tbEUlT_E0_NS1_11comp_targetILNS1_3genE6ELNS1_11target_archE950ELNS1_3gpuE13ELNS1_3repE0EEENS1_52radix_sort_onesweep_histogram_config_static_selectorELNS0_4arch9wavefront6targetE1EEEvSC_,"axG",@progbits,_ZN7rocprim17ROCPRIM_400000_NS6detail17trampoline_kernelINS0_14default_configENS1_35radix_sort_onesweep_config_selectorIdNS0_10empty_typeEEEZNS1_34radix_sort_onesweep_global_offsetsIS3_Lb0EPdPS5_mNS0_19identity_decomposerEEE10hipError_tT1_T2_PT3_SE_jT4_jjP12ihipStream_tbEUlT_E0_NS1_11comp_targetILNS1_3genE6ELNS1_11target_archE950ELNS1_3gpuE13ELNS1_3repE0EEENS1_52radix_sort_onesweep_histogram_config_static_selectorELNS0_4arch9wavefront6targetE1EEEvSC_,comdat
	.protected	_ZN7rocprim17ROCPRIM_400000_NS6detail17trampoline_kernelINS0_14default_configENS1_35radix_sort_onesweep_config_selectorIdNS0_10empty_typeEEEZNS1_34radix_sort_onesweep_global_offsetsIS3_Lb0EPdPS5_mNS0_19identity_decomposerEEE10hipError_tT1_T2_PT3_SE_jT4_jjP12ihipStream_tbEUlT_E0_NS1_11comp_targetILNS1_3genE6ELNS1_11target_archE950ELNS1_3gpuE13ELNS1_3repE0EEENS1_52radix_sort_onesweep_histogram_config_static_selectorELNS0_4arch9wavefront6targetE1EEEvSC_ ; -- Begin function _ZN7rocprim17ROCPRIM_400000_NS6detail17trampoline_kernelINS0_14default_configENS1_35radix_sort_onesweep_config_selectorIdNS0_10empty_typeEEEZNS1_34radix_sort_onesweep_global_offsetsIS3_Lb0EPdPS5_mNS0_19identity_decomposerEEE10hipError_tT1_T2_PT3_SE_jT4_jjP12ihipStream_tbEUlT_E0_NS1_11comp_targetILNS1_3genE6ELNS1_11target_archE950ELNS1_3gpuE13ELNS1_3repE0EEENS1_52radix_sort_onesweep_histogram_config_static_selectorELNS0_4arch9wavefront6targetE1EEEvSC_
	.globl	_ZN7rocprim17ROCPRIM_400000_NS6detail17trampoline_kernelINS0_14default_configENS1_35radix_sort_onesweep_config_selectorIdNS0_10empty_typeEEEZNS1_34radix_sort_onesweep_global_offsetsIS3_Lb0EPdPS5_mNS0_19identity_decomposerEEE10hipError_tT1_T2_PT3_SE_jT4_jjP12ihipStream_tbEUlT_E0_NS1_11comp_targetILNS1_3genE6ELNS1_11target_archE950ELNS1_3gpuE13ELNS1_3repE0EEENS1_52radix_sort_onesweep_histogram_config_static_selectorELNS0_4arch9wavefront6targetE1EEEvSC_
	.p2align	8
	.type	_ZN7rocprim17ROCPRIM_400000_NS6detail17trampoline_kernelINS0_14default_configENS1_35radix_sort_onesweep_config_selectorIdNS0_10empty_typeEEEZNS1_34radix_sort_onesweep_global_offsetsIS3_Lb0EPdPS5_mNS0_19identity_decomposerEEE10hipError_tT1_T2_PT3_SE_jT4_jjP12ihipStream_tbEUlT_E0_NS1_11comp_targetILNS1_3genE6ELNS1_11target_archE950ELNS1_3gpuE13ELNS1_3repE0EEENS1_52radix_sort_onesweep_histogram_config_static_selectorELNS0_4arch9wavefront6targetE1EEEvSC_,@function
_ZN7rocprim17ROCPRIM_400000_NS6detail17trampoline_kernelINS0_14default_configENS1_35radix_sort_onesweep_config_selectorIdNS0_10empty_typeEEEZNS1_34radix_sort_onesweep_global_offsetsIS3_Lb0EPdPS5_mNS0_19identity_decomposerEEE10hipError_tT1_T2_PT3_SE_jT4_jjP12ihipStream_tbEUlT_E0_NS1_11comp_targetILNS1_3genE6ELNS1_11target_archE950ELNS1_3gpuE13ELNS1_3repE0EEENS1_52radix_sort_onesweep_histogram_config_static_selectorELNS0_4arch9wavefront6targetE1EEEvSC_: ; @_ZN7rocprim17ROCPRIM_400000_NS6detail17trampoline_kernelINS0_14default_configENS1_35radix_sort_onesweep_config_selectorIdNS0_10empty_typeEEEZNS1_34radix_sort_onesweep_global_offsetsIS3_Lb0EPdPS5_mNS0_19identity_decomposerEEE10hipError_tT1_T2_PT3_SE_jT4_jjP12ihipStream_tbEUlT_E0_NS1_11comp_targetILNS1_3genE6ELNS1_11target_archE950ELNS1_3gpuE13ELNS1_3repE0EEENS1_52radix_sort_onesweep_histogram_config_static_selectorELNS0_4arch9wavefront6targetE1EEEvSC_
; %bb.0:
	.section	.rodata,"a",@progbits
	.p2align	6, 0x0
	.amdhsa_kernel _ZN7rocprim17ROCPRIM_400000_NS6detail17trampoline_kernelINS0_14default_configENS1_35radix_sort_onesweep_config_selectorIdNS0_10empty_typeEEEZNS1_34radix_sort_onesweep_global_offsetsIS3_Lb0EPdPS5_mNS0_19identity_decomposerEEE10hipError_tT1_T2_PT3_SE_jT4_jjP12ihipStream_tbEUlT_E0_NS1_11comp_targetILNS1_3genE6ELNS1_11target_archE950ELNS1_3gpuE13ELNS1_3repE0EEENS1_52radix_sort_onesweep_histogram_config_static_selectorELNS0_4arch9wavefront6targetE1EEEvSC_
		.amdhsa_group_segment_fixed_size 0
		.amdhsa_private_segment_fixed_size 0
		.amdhsa_kernarg_size 8
		.amdhsa_user_sgpr_count 6
		.amdhsa_user_sgpr_private_segment_buffer 1
		.amdhsa_user_sgpr_dispatch_ptr 0
		.amdhsa_user_sgpr_queue_ptr 0
		.amdhsa_user_sgpr_kernarg_segment_ptr 1
		.amdhsa_user_sgpr_dispatch_id 0
		.amdhsa_user_sgpr_flat_scratch_init 0
		.amdhsa_user_sgpr_kernarg_preload_length 0
		.amdhsa_user_sgpr_kernarg_preload_offset 0
		.amdhsa_user_sgpr_private_segment_size 0
		.amdhsa_uses_dynamic_stack 0
		.amdhsa_system_sgpr_private_segment_wavefront_offset 0
		.amdhsa_system_sgpr_workgroup_id_x 1
		.amdhsa_system_sgpr_workgroup_id_y 0
		.amdhsa_system_sgpr_workgroup_id_z 0
		.amdhsa_system_sgpr_workgroup_info 0
		.amdhsa_system_vgpr_workitem_id 0
		.amdhsa_next_free_vgpr 1
		.amdhsa_next_free_sgpr 0
		.amdhsa_accum_offset 4
		.amdhsa_reserve_vcc 0
		.amdhsa_reserve_flat_scratch 0
		.amdhsa_float_round_mode_32 0
		.amdhsa_float_round_mode_16_64 0
		.amdhsa_float_denorm_mode_32 3
		.amdhsa_float_denorm_mode_16_64 3
		.amdhsa_dx10_clamp 1
		.amdhsa_ieee_mode 1
		.amdhsa_fp16_overflow 0
		.amdhsa_tg_split 0
		.amdhsa_exception_fp_ieee_invalid_op 0
		.amdhsa_exception_fp_denorm_src 0
		.amdhsa_exception_fp_ieee_div_zero 0
		.amdhsa_exception_fp_ieee_overflow 0
		.amdhsa_exception_fp_ieee_underflow 0
		.amdhsa_exception_fp_ieee_inexact 0
		.amdhsa_exception_int_div_zero 0
	.end_amdhsa_kernel
	.section	.text._ZN7rocprim17ROCPRIM_400000_NS6detail17trampoline_kernelINS0_14default_configENS1_35radix_sort_onesweep_config_selectorIdNS0_10empty_typeEEEZNS1_34radix_sort_onesweep_global_offsetsIS3_Lb0EPdPS5_mNS0_19identity_decomposerEEE10hipError_tT1_T2_PT3_SE_jT4_jjP12ihipStream_tbEUlT_E0_NS1_11comp_targetILNS1_3genE6ELNS1_11target_archE950ELNS1_3gpuE13ELNS1_3repE0EEENS1_52radix_sort_onesweep_histogram_config_static_selectorELNS0_4arch9wavefront6targetE1EEEvSC_,"axG",@progbits,_ZN7rocprim17ROCPRIM_400000_NS6detail17trampoline_kernelINS0_14default_configENS1_35radix_sort_onesweep_config_selectorIdNS0_10empty_typeEEEZNS1_34radix_sort_onesweep_global_offsetsIS3_Lb0EPdPS5_mNS0_19identity_decomposerEEE10hipError_tT1_T2_PT3_SE_jT4_jjP12ihipStream_tbEUlT_E0_NS1_11comp_targetILNS1_3genE6ELNS1_11target_archE950ELNS1_3gpuE13ELNS1_3repE0EEENS1_52radix_sort_onesweep_histogram_config_static_selectorELNS0_4arch9wavefront6targetE1EEEvSC_,comdat
.Lfunc_end1364:
	.size	_ZN7rocprim17ROCPRIM_400000_NS6detail17trampoline_kernelINS0_14default_configENS1_35radix_sort_onesweep_config_selectorIdNS0_10empty_typeEEEZNS1_34radix_sort_onesweep_global_offsetsIS3_Lb0EPdPS5_mNS0_19identity_decomposerEEE10hipError_tT1_T2_PT3_SE_jT4_jjP12ihipStream_tbEUlT_E0_NS1_11comp_targetILNS1_3genE6ELNS1_11target_archE950ELNS1_3gpuE13ELNS1_3repE0EEENS1_52radix_sort_onesweep_histogram_config_static_selectorELNS0_4arch9wavefront6targetE1EEEvSC_, .Lfunc_end1364-_ZN7rocprim17ROCPRIM_400000_NS6detail17trampoline_kernelINS0_14default_configENS1_35radix_sort_onesweep_config_selectorIdNS0_10empty_typeEEEZNS1_34radix_sort_onesweep_global_offsetsIS3_Lb0EPdPS5_mNS0_19identity_decomposerEEE10hipError_tT1_T2_PT3_SE_jT4_jjP12ihipStream_tbEUlT_E0_NS1_11comp_targetILNS1_3genE6ELNS1_11target_archE950ELNS1_3gpuE13ELNS1_3repE0EEENS1_52radix_sort_onesweep_histogram_config_static_selectorELNS0_4arch9wavefront6targetE1EEEvSC_
                                        ; -- End function
	.section	.AMDGPU.csdata,"",@progbits
; Kernel info:
; codeLenInByte = 0
; NumSgprs: 4
; NumVgprs: 0
; NumAgprs: 0
; TotalNumVgprs: 0
; ScratchSize: 0
; MemoryBound: 0
; FloatMode: 240
; IeeeMode: 1
; LDSByteSize: 0 bytes/workgroup (compile time only)
; SGPRBlocks: 0
; VGPRBlocks: 0
; NumSGPRsForWavesPerEU: 4
; NumVGPRsForWavesPerEU: 1
; AccumOffset: 4
; Occupancy: 8
; WaveLimiterHint : 0
; COMPUTE_PGM_RSRC2:SCRATCH_EN: 0
; COMPUTE_PGM_RSRC2:USER_SGPR: 6
; COMPUTE_PGM_RSRC2:TRAP_HANDLER: 0
; COMPUTE_PGM_RSRC2:TGID_X_EN: 1
; COMPUTE_PGM_RSRC2:TGID_Y_EN: 0
; COMPUTE_PGM_RSRC2:TGID_Z_EN: 0
; COMPUTE_PGM_RSRC2:TIDIG_COMP_CNT: 0
; COMPUTE_PGM_RSRC3_GFX90A:ACCUM_OFFSET: 0
; COMPUTE_PGM_RSRC3_GFX90A:TG_SPLIT: 0
	.section	.text._ZN7rocprim17ROCPRIM_400000_NS6detail17trampoline_kernelINS0_14default_configENS1_35radix_sort_onesweep_config_selectorIdNS0_10empty_typeEEEZNS1_34radix_sort_onesweep_global_offsetsIS3_Lb0EPdPS5_mNS0_19identity_decomposerEEE10hipError_tT1_T2_PT3_SE_jT4_jjP12ihipStream_tbEUlT_E0_NS1_11comp_targetILNS1_3genE5ELNS1_11target_archE942ELNS1_3gpuE9ELNS1_3repE0EEENS1_52radix_sort_onesweep_histogram_config_static_selectorELNS0_4arch9wavefront6targetE1EEEvSC_,"axG",@progbits,_ZN7rocprim17ROCPRIM_400000_NS6detail17trampoline_kernelINS0_14default_configENS1_35radix_sort_onesweep_config_selectorIdNS0_10empty_typeEEEZNS1_34radix_sort_onesweep_global_offsetsIS3_Lb0EPdPS5_mNS0_19identity_decomposerEEE10hipError_tT1_T2_PT3_SE_jT4_jjP12ihipStream_tbEUlT_E0_NS1_11comp_targetILNS1_3genE5ELNS1_11target_archE942ELNS1_3gpuE9ELNS1_3repE0EEENS1_52radix_sort_onesweep_histogram_config_static_selectorELNS0_4arch9wavefront6targetE1EEEvSC_,comdat
	.protected	_ZN7rocprim17ROCPRIM_400000_NS6detail17trampoline_kernelINS0_14default_configENS1_35radix_sort_onesweep_config_selectorIdNS0_10empty_typeEEEZNS1_34radix_sort_onesweep_global_offsetsIS3_Lb0EPdPS5_mNS0_19identity_decomposerEEE10hipError_tT1_T2_PT3_SE_jT4_jjP12ihipStream_tbEUlT_E0_NS1_11comp_targetILNS1_3genE5ELNS1_11target_archE942ELNS1_3gpuE9ELNS1_3repE0EEENS1_52radix_sort_onesweep_histogram_config_static_selectorELNS0_4arch9wavefront6targetE1EEEvSC_ ; -- Begin function _ZN7rocprim17ROCPRIM_400000_NS6detail17trampoline_kernelINS0_14default_configENS1_35radix_sort_onesweep_config_selectorIdNS0_10empty_typeEEEZNS1_34radix_sort_onesweep_global_offsetsIS3_Lb0EPdPS5_mNS0_19identity_decomposerEEE10hipError_tT1_T2_PT3_SE_jT4_jjP12ihipStream_tbEUlT_E0_NS1_11comp_targetILNS1_3genE5ELNS1_11target_archE942ELNS1_3gpuE9ELNS1_3repE0EEENS1_52radix_sort_onesweep_histogram_config_static_selectorELNS0_4arch9wavefront6targetE1EEEvSC_
	.globl	_ZN7rocprim17ROCPRIM_400000_NS6detail17trampoline_kernelINS0_14default_configENS1_35radix_sort_onesweep_config_selectorIdNS0_10empty_typeEEEZNS1_34radix_sort_onesweep_global_offsetsIS3_Lb0EPdPS5_mNS0_19identity_decomposerEEE10hipError_tT1_T2_PT3_SE_jT4_jjP12ihipStream_tbEUlT_E0_NS1_11comp_targetILNS1_3genE5ELNS1_11target_archE942ELNS1_3gpuE9ELNS1_3repE0EEENS1_52radix_sort_onesweep_histogram_config_static_selectorELNS0_4arch9wavefront6targetE1EEEvSC_
	.p2align	8
	.type	_ZN7rocprim17ROCPRIM_400000_NS6detail17trampoline_kernelINS0_14default_configENS1_35radix_sort_onesweep_config_selectorIdNS0_10empty_typeEEEZNS1_34radix_sort_onesweep_global_offsetsIS3_Lb0EPdPS5_mNS0_19identity_decomposerEEE10hipError_tT1_T2_PT3_SE_jT4_jjP12ihipStream_tbEUlT_E0_NS1_11comp_targetILNS1_3genE5ELNS1_11target_archE942ELNS1_3gpuE9ELNS1_3repE0EEENS1_52radix_sort_onesweep_histogram_config_static_selectorELNS0_4arch9wavefront6targetE1EEEvSC_,@function
_ZN7rocprim17ROCPRIM_400000_NS6detail17trampoline_kernelINS0_14default_configENS1_35radix_sort_onesweep_config_selectorIdNS0_10empty_typeEEEZNS1_34radix_sort_onesweep_global_offsetsIS3_Lb0EPdPS5_mNS0_19identity_decomposerEEE10hipError_tT1_T2_PT3_SE_jT4_jjP12ihipStream_tbEUlT_E0_NS1_11comp_targetILNS1_3genE5ELNS1_11target_archE942ELNS1_3gpuE9ELNS1_3repE0EEENS1_52radix_sort_onesweep_histogram_config_static_selectorELNS0_4arch9wavefront6targetE1EEEvSC_: ; @_ZN7rocprim17ROCPRIM_400000_NS6detail17trampoline_kernelINS0_14default_configENS1_35radix_sort_onesweep_config_selectorIdNS0_10empty_typeEEEZNS1_34radix_sort_onesweep_global_offsetsIS3_Lb0EPdPS5_mNS0_19identity_decomposerEEE10hipError_tT1_T2_PT3_SE_jT4_jjP12ihipStream_tbEUlT_E0_NS1_11comp_targetILNS1_3genE5ELNS1_11target_archE942ELNS1_3gpuE9ELNS1_3repE0EEENS1_52radix_sort_onesweep_histogram_config_static_selectorELNS0_4arch9wavefront6targetE1EEEvSC_
; %bb.0:
	.section	.rodata,"a",@progbits
	.p2align	6, 0x0
	.amdhsa_kernel _ZN7rocprim17ROCPRIM_400000_NS6detail17trampoline_kernelINS0_14default_configENS1_35radix_sort_onesweep_config_selectorIdNS0_10empty_typeEEEZNS1_34radix_sort_onesweep_global_offsetsIS3_Lb0EPdPS5_mNS0_19identity_decomposerEEE10hipError_tT1_T2_PT3_SE_jT4_jjP12ihipStream_tbEUlT_E0_NS1_11comp_targetILNS1_3genE5ELNS1_11target_archE942ELNS1_3gpuE9ELNS1_3repE0EEENS1_52radix_sort_onesweep_histogram_config_static_selectorELNS0_4arch9wavefront6targetE1EEEvSC_
		.amdhsa_group_segment_fixed_size 0
		.amdhsa_private_segment_fixed_size 0
		.amdhsa_kernarg_size 8
		.amdhsa_user_sgpr_count 6
		.amdhsa_user_sgpr_private_segment_buffer 1
		.amdhsa_user_sgpr_dispatch_ptr 0
		.amdhsa_user_sgpr_queue_ptr 0
		.amdhsa_user_sgpr_kernarg_segment_ptr 1
		.amdhsa_user_sgpr_dispatch_id 0
		.amdhsa_user_sgpr_flat_scratch_init 0
		.amdhsa_user_sgpr_kernarg_preload_length 0
		.amdhsa_user_sgpr_kernarg_preload_offset 0
		.amdhsa_user_sgpr_private_segment_size 0
		.amdhsa_uses_dynamic_stack 0
		.amdhsa_system_sgpr_private_segment_wavefront_offset 0
		.amdhsa_system_sgpr_workgroup_id_x 1
		.amdhsa_system_sgpr_workgroup_id_y 0
		.amdhsa_system_sgpr_workgroup_id_z 0
		.amdhsa_system_sgpr_workgroup_info 0
		.amdhsa_system_vgpr_workitem_id 0
		.amdhsa_next_free_vgpr 1
		.amdhsa_next_free_sgpr 0
		.amdhsa_accum_offset 4
		.amdhsa_reserve_vcc 0
		.amdhsa_reserve_flat_scratch 0
		.amdhsa_float_round_mode_32 0
		.amdhsa_float_round_mode_16_64 0
		.amdhsa_float_denorm_mode_32 3
		.amdhsa_float_denorm_mode_16_64 3
		.amdhsa_dx10_clamp 1
		.amdhsa_ieee_mode 1
		.amdhsa_fp16_overflow 0
		.amdhsa_tg_split 0
		.amdhsa_exception_fp_ieee_invalid_op 0
		.amdhsa_exception_fp_denorm_src 0
		.amdhsa_exception_fp_ieee_div_zero 0
		.amdhsa_exception_fp_ieee_overflow 0
		.amdhsa_exception_fp_ieee_underflow 0
		.amdhsa_exception_fp_ieee_inexact 0
		.amdhsa_exception_int_div_zero 0
	.end_amdhsa_kernel
	.section	.text._ZN7rocprim17ROCPRIM_400000_NS6detail17trampoline_kernelINS0_14default_configENS1_35radix_sort_onesweep_config_selectorIdNS0_10empty_typeEEEZNS1_34radix_sort_onesweep_global_offsetsIS3_Lb0EPdPS5_mNS0_19identity_decomposerEEE10hipError_tT1_T2_PT3_SE_jT4_jjP12ihipStream_tbEUlT_E0_NS1_11comp_targetILNS1_3genE5ELNS1_11target_archE942ELNS1_3gpuE9ELNS1_3repE0EEENS1_52radix_sort_onesweep_histogram_config_static_selectorELNS0_4arch9wavefront6targetE1EEEvSC_,"axG",@progbits,_ZN7rocprim17ROCPRIM_400000_NS6detail17trampoline_kernelINS0_14default_configENS1_35radix_sort_onesweep_config_selectorIdNS0_10empty_typeEEEZNS1_34radix_sort_onesweep_global_offsetsIS3_Lb0EPdPS5_mNS0_19identity_decomposerEEE10hipError_tT1_T2_PT3_SE_jT4_jjP12ihipStream_tbEUlT_E0_NS1_11comp_targetILNS1_3genE5ELNS1_11target_archE942ELNS1_3gpuE9ELNS1_3repE0EEENS1_52radix_sort_onesweep_histogram_config_static_selectorELNS0_4arch9wavefront6targetE1EEEvSC_,comdat
.Lfunc_end1365:
	.size	_ZN7rocprim17ROCPRIM_400000_NS6detail17trampoline_kernelINS0_14default_configENS1_35radix_sort_onesweep_config_selectorIdNS0_10empty_typeEEEZNS1_34radix_sort_onesweep_global_offsetsIS3_Lb0EPdPS5_mNS0_19identity_decomposerEEE10hipError_tT1_T2_PT3_SE_jT4_jjP12ihipStream_tbEUlT_E0_NS1_11comp_targetILNS1_3genE5ELNS1_11target_archE942ELNS1_3gpuE9ELNS1_3repE0EEENS1_52radix_sort_onesweep_histogram_config_static_selectorELNS0_4arch9wavefront6targetE1EEEvSC_, .Lfunc_end1365-_ZN7rocprim17ROCPRIM_400000_NS6detail17trampoline_kernelINS0_14default_configENS1_35radix_sort_onesweep_config_selectorIdNS0_10empty_typeEEEZNS1_34radix_sort_onesweep_global_offsetsIS3_Lb0EPdPS5_mNS0_19identity_decomposerEEE10hipError_tT1_T2_PT3_SE_jT4_jjP12ihipStream_tbEUlT_E0_NS1_11comp_targetILNS1_3genE5ELNS1_11target_archE942ELNS1_3gpuE9ELNS1_3repE0EEENS1_52radix_sort_onesweep_histogram_config_static_selectorELNS0_4arch9wavefront6targetE1EEEvSC_
                                        ; -- End function
	.section	.AMDGPU.csdata,"",@progbits
; Kernel info:
; codeLenInByte = 0
; NumSgprs: 4
; NumVgprs: 0
; NumAgprs: 0
; TotalNumVgprs: 0
; ScratchSize: 0
; MemoryBound: 0
; FloatMode: 240
; IeeeMode: 1
; LDSByteSize: 0 bytes/workgroup (compile time only)
; SGPRBlocks: 0
; VGPRBlocks: 0
; NumSGPRsForWavesPerEU: 4
; NumVGPRsForWavesPerEU: 1
; AccumOffset: 4
; Occupancy: 8
; WaveLimiterHint : 0
; COMPUTE_PGM_RSRC2:SCRATCH_EN: 0
; COMPUTE_PGM_RSRC2:USER_SGPR: 6
; COMPUTE_PGM_RSRC2:TRAP_HANDLER: 0
; COMPUTE_PGM_RSRC2:TGID_X_EN: 1
; COMPUTE_PGM_RSRC2:TGID_Y_EN: 0
; COMPUTE_PGM_RSRC2:TGID_Z_EN: 0
; COMPUTE_PGM_RSRC2:TIDIG_COMP_CNT: 0
; COMPUTE_PGM_RSRC3_GFX90A:ACCUM_OFFSET: 0
; COMPUTE_PGM_RSRC3_GFX90A:TG_SPLIT: 0
	.section	.text._ZN7rocprim17ROCPRIM_400000_NS6detail17trampoline_kernelINS0_14default_configENS1_35radix_sort_onesweep_config_selectorIdNS0_10empty_typeEEEZNS1_34radix_sort_onesweep_global_offsetsIS3_Lb0EPdPS5_mNS0_19identity_decomposerEEE10hipError_tT1_T2_PT3_SE_jT4_jjP12ihipStream_tbEUlT_E0_NS1_11comp_targetILNS1_3genE2ELNS1_11target_archE906ELNS1_3gpuE6ELNS1_3repE0EEENS1_52radix_sort_onesweep_histogram_config_static_selectorELNS0_4arch9wavefront6targetE1EEEvSC_,"axG",@progbits,_ZN7rocprim17ROCPRIM_400000_NS6detail17trampoline_kernelINS0_14default_configENS1_35radix_sort_onesweep_config_selectorIdNS0_10empty_typeEEEZNS1_34radix_sort_onesweep_global_offsetsIS3_Lb0EPdPS5_mNS0_19identity_decomposerEEE10hipError_tT1_T2_PT3_SE_jT4_jjP12ihipStream_tbEUlT_E0_NS1_11comp_targetILNS1_3genE2ELNS1_11target_archE906ELNS1_3gpuE6ELNS1_3repE0EEENS1_52radix_sort_onesweep_histogram_config_static_selectorELNS0_4arch9wavefront6targetE1EEEvSC_,comdat
	.protected	_ZN7rocprim17ROCPRIM_400000_NS6detail17trampoline_kernelINS0_14default_configENS1_35radix_sort_onesweep_config_selectorIdNS0_10empty_typeEEEZNS1_34radix_sort_onesweep_global_offsetsIS3_Lb0EPdPS5_mNS0_19identity_decomposerEEE10hipError_tT1_T2_PT3_SE_jT4_jjP12ihipStream_tbEUlT_E0_NS1_11comp_targetILNS1_3genE2ELNS1_11target_archE906ELNS1_3gpuE6ELNS1_3repE0EEENS1_52radix_sort_onesweep_histogram_config_static_selectorELNS0_4arch9wavefront6targetE1EEEvSC_ ; -- Begin function _ZN7rocprim17ROCPRIM_400000_NS6detail17trampoline_kernelINS0_14default_configENS1_35radix_sort_onesweep_config_selectorIdNS0_10empty_typeEEEZNS1_34radix_sort_onesweep_global_offsetsIS3_Lb0EPdPS5_mNS0_19identity_decomposerEEE10hipError_tT1_T2_PT3_SE_jT4_jjP12ihipStream_tbEUlT_E0_NS1_11comp_targetILNS1_3genE2ELNS1_11target_archE906ELNS1_3gpuE6ELNS1_3repE0EEENS1_52radix_sort_onesweep_histogram_config_static_selectorELNS0_4arch9wavefront6targetE1EEEvSC_
	.globl	_ZN7rocprim17ROCPRIM_400000_NS6detail17trampoline_kernelINS0_14default_configENS1_35radix_sort_onesweep_config_selectorIdNS0_10empty_typeEEEZNS1_34radix_sort_onesweep_global_offsetsIS3_Lb0EPdPS5_mNS0_19identity_decomposerEEE10hipError_tT1_T2_PT3_SE_jT4_jjP12ihipStream_tbEUlT_E0_NS1_11comp_targetILNS1_3genE2ELNS1_11target_archE906ELNS1_3gpuE6ELNS1_3repE0EEENS1_52radix_sort_onesweep_histogram_config_static_selectorELNS0_4arch9wavefront6targetE1EEEvSC_
	.p2align	8
	.type	_ZN7rocprim17ROCPRIM_400000_NS6detail17trampoline_kernelINS0_14default_configENS1_35radix_sort_onesweep_config_selectorIdNS0_10empty_typeEEEZNS1_34radix_sort_onesweep_global_offsetsIS3_Lb0EPdPS5_mNS0_19identity_decomposerEEE10hipError_tT1_T2_PT3_SE_jT4_jjP12ihipStream_tbEUlT_E0_NS1_11comp_targetILNS1_3genE2ELNS1_11target_archE906ELNS1_3gpuE6ELNS1_3repE0EEENS1_52radix_sort_onesweep_histogram_config_static_selectorELNS0_4arch9wavefront6targetE1EEEvSC_,@function
_ZN7rocprim17ROCPRIM_400000_NS6detail17trampoline_kernelINS0_14default_configENS1_35radix_sort_onesweep_config_selectorIdNS0_10empty_typeEEEZNS1_34radix_sort_onesweep_global_offsetsIS3_Lb0EPdPS5_mNS0_19identity_decomposerEEE10hipError_tT1_T2_PT3_SE_jT4_jjP12ihipStream_tbEUlT_E0_NS1_11comp_targetILNS1_3genE2ELNS1_11target_archE906ELNS1_3gpuE6ELNS1_3repE0EEENS1_52radix_sort_onesweep_histogram_config_static_selectorELNS0_4arch9wavefront6targetE1EEEvSC_: ; @_ZN7rocprim17ROCPRIM_400000_NS6detail17trampoline_kernelINS0_14default_configENS1_35radix_sort_onesweep_config_selectorIdNS0_10empty_typeEEEZNS1_34radix_sort_onesweep_global_offsetsIS3_Lb0EPdPS5_mNS0_19identity_decomposerEEE10hipError_tT1_T2_PT3_SE_jT4_jjP12ihipStream_tbEUlT_E0_NS1_11comp_targetILNS1_3genE2ELNS1_11target_archE906ELNS1_3gpuE6ELNS1_3repE0EEENS1_52radix_sort_onesweep_histogram_config_static_selectorELNS0_4arch9wavefront6targetE1EEEvSC_
; %bb.0:
	.section	.rodata,"a",@progbits
	.p2align	6, 0x0
	.amdhsa_kernel _ZN7rocprim17ROCPRIM_400000_NS6detail17trampoline_kernelINS0_14default_configENS1_35radix_sort_onesweep_config_selectorIdNS0_10empty_typeEEEZNS1_34radix_sort_onesweep_global_offsetsIS3_Lb0EPdPS5_mNS0_19identity_decomposerEEE10hipError_tT1_T2_PT3_SE_jT4_jjP12ihipStream_tbEUlT_E0_NS1_11comp_targetILNS1_3genE2ELNS1_11target_archE906ELNS1_3gpuE6ELNS1_3repE0EEENS1_52radix_sort_onesweep_histogram_config_static_selectorELNS0_4arch9wavefront6targetE1EEEvSC_
		.amdhsa_group_segment_fixed_size 0
		.amdhsa_private_segment_fixed_size 0
		.amdhsa_kernarg_size 8
		.amdhsa_user_sgpr_count 6
		.amdhsa_user_sgpr_private_segment_buffer 1
		.amdhsa_user_sgpr_dispatch_ptr 0
		.amdhsa_user_sgpr_queue_ptr 0
		.amdhsa_user_sgpr_kernarg_segment_ptr 1
		.amdhsa_user_sgpr_dispatch_id 0
		.amdhsa_user_sgpr_flat_scratch_init 0
		.amdhsa_user_sgpr_kernarg_preload_length 0
		.amdhsa_user_sgpr_kernarg_preload_offset 0
		.amdhsa_user_sgpr_private_segment_size 0
		.amdhsa_uses_dynamic_stack 0
		.amdhsa_system_sgpr_private_segment_wavefront_offset 0
		.amdhsa_system_sgpr_workgroup_id_x 1
		.amdhsa_system_sgpr_workgroup_id_y 0
		.amdhsa_system_sgpr_workgroup_id_z 0
		.amdhsa_system_sgpr_workgroup_info 0
		.amdhsa_system_vgpr_workitem_id 0
		.amdhsa_next_free_vgpr 1
		.amdhsa_next_free_sgpr 0
		.amdhsa_accum_offset 4
		.amdhsa_reserve_vcc 0
		.amdhsa_reserve_flat_scratch 0
		.amdhsa_float_round_mode_32 0
		.amdhsa_float_round_mode_16_64 0
		.amdhsa_float_denorm_mode_32 3
		.amdhsa_float_denorm_mode_16_64 3
		.amdhsa_dx10_clamp 1
		.amdhsa_ieee_mode 1
		.amdhsa_fp16_overflow 0
		.amdhsa_tg_split 0
		.amdhsa_exception_fp_ieee_invalid_op 0
		.amdhsa_exception_fp_denorm_src 0
		.amdhsa_exception_fp_ieee_div_zero 0
		.amdhsa_exception_fp_ieee_overflow 0
		.amdhsa_exception_fp_ieee_underflow 0
		.amdhsa_exception_fp_ieee_inexact 0
		.amdhsa_exception_int_div_zero 0
	.end_amdhsa_kernel
	.section	.text._ZN7rocprim17ROCPRIM_400000_NS6detail17trampoline_kernelINS0_14default_configENS1_35radix_sort_onesweep_config_selectorIdNS0_10empty_typeEEEZNS1_34radix_sort_onesweep_global_offsetsIS3_Lb0EPdPS5_mNS0_19identity_decomposerEEE10hipError_tT1_T2_PT3_SE_jT4_jjP12ihipStream_tbEUlT_E0_NS1_11comp_targetILNS1_3genE2ELNS1_11target_archE906ELNS1_3gpuE6ELNS1_3repE0EEENS1_52radix_sort_onesweep_histogram_config_static_selectorELNS0_4arch9wavefront6targetE1EEEvSC_,"axG",@progbits,_ZN7rocprim17ROCPRIM_400000_NS6detail17trampoline_kernelINS0_14default_configENS1_35radix_sort_onesweep_config_selectorIdNS0_10empty_typeEEEZNS1_34radix_sort_onesweep_global_offsetsIS3_Lb0EPdPS5_mNS0_19identity_decomposerEEE10hipError_tT1_T2_PT3_SE_jT4_jjP12ihipStream_tbEUlT_E0_NS1_11comp_targetILNS1_3genE2ELNS1_11target_archE906ELNS1_3gpuE6ELNS1_3repE0EEENS1_52radix_sort_onesweep_histogram_config_static_selectorELNS0_4arch9wavefront6targetE1EEEvSC_,comdat
.Lfunc_end1366:
	.size	_ZN7rocprim17ROCPRIM_400000_NS6detail17trampoline_kernelINS0_14default_configENS1_35radix_sort_onesweep_config_selectorIdNS0_10empty_typeEEEZNS1_34radix_sort_onesweep_global_offsetsIS3_Lb0EPdPS5_mNS0_19identity_decomposerEEE10hipError_tT1_T2_PT3_SE_jT4_jjP12ihipStream_tbEUlT_E0_NS1_11comp_targetILNS1_3genE2ELNS1_11target_archE906ELNS1_3gpuE6ELNS1_3repE0EEENS1_52radix_sort_onesweep_histogram_config_static_selectorELNS0_4arch9wavefront6targetE1EEEvSC_, .Lfunc_end1366-_ZN7rocprim17ROCPRIM_400000_NS6detail17trampoline_kernelINS0_14default_configENS1_35radix_sort_onesweep_config_selectorIdNS0_10empty_typeEEEZNS1_34radix_sort_onesweep_global_offsetsIS3_Lb0EPdPS5_mNS0_19identity_decomposerEEE10hipError_tT1_T2_PT3_SE_jT4_jjP12ihipStream_tbEUlT_E0_NS1_11comp_targetILNS1_3genE2ELNS1_11target_archE906ELNS1_3gpuE6ELNS1_3repE0EEENS1_52radix_sort_onesweep_histogram_config_static_selectorELNS0_4arch9wavefront6targetE1EEEvSC_
                                        ; -- End function
	.section	.AMDGPU.csdata,"",@progbits
; Kernel info:
; codeLenInByte = 0
; NumSgprs: 4
; NumVgprs: 0
; NumAgprs: 0
; TotalNumVgprs: 0
; ScratchSize: 0
; MemoryBound: 0
; FloatMode: 240
; IeeeMode: 1
; LDSByteSize: 0 bytes/workgroup (compile time only)
; SGPRBlocks: 0
; VGPRBlocks: 0
; NumSGPRsForWavesPerEU: 4
; NumVGPRsForWavesPerEU: 1
; AccumOffset: 4
; Occupancy: 8
; WaveLimiterHint : 0
; COMPUTE_PGM_RSRC2:SCRATCH_EN: 0
; COMPUTE_PGM_RSRC2:USER_SGPR: 6
; COMPUTE_PGM_RSRC2:TRAP_HANDLER: 0
; COMPUTE_PGM_RSRC2:TGID_X_EN: 1
; COMPUTE_PGM_RSRC2:TGID_Y_EN: 0
; COMPUTE_PGM_RSRC2:TGID_Z_EN: 0
; COMPUTE_PGM_RSRC2:TIDIG_COMP_CNT: 0
; COMPUTE_PGM_RSRC3_GFX90A:ACCUM_OFFSET: 0
; COMPUTE_PGM_RSRC3_GFX90A:TG_SPLIT: 0
	.section	.text._ZN7rocprim17ROCPRIM_400000_NS6detail17trampoline_kernelINS0_14default_configENS1_35radix_sort_onesweep_config_selectorIdNS0_10empty_typeEEEZNS1_34radix_sort_onesweep_global_offsetsIS3_Lb0EPdPS5_mNS0_19identity_decomposerEEE10hipError_tT1_T2_PT3_SE_jT4_jjP12ihipStream_tbEUlT_E0_NS1_11comp_targetILNS1_3genE4ELNS1_11target_archE910ELNS1_3gpuE8ELNS1_3repE0EEENS1_52radix_sort_onesweep_histogram_config_static_selectorELNS0_4arch9wavefront6targetE1EEEvSC_,"axG",@progbits,_ZN7rocprim17ROCPRIM_400000_NS6detail17trampoline_kernelINS0_14default_configENS1_35radix_sort_onesweep_config_selectorIdNS0_10empty_typeEEEZNS1_34radix_sort_onesweep_global_offsetsIS3_Lb0EPdPS5_mNS0_19identity_decomposerEEE10hipError_tT1_T2_PT3_SE_jT4_jjP12ihipStream_tbEUlT_E0_NS1_11comp_targetILNS1_3genE4ELNS1_11target_archE910ELNS1_3gpuE8ELNS1_3repE0EEENS1_52radix_sort_onesweep_histogram_config_static_selectorELNS0_4arch9wavefront6targetE1EEEvSC_,comdat
	.protected	_ZN7rocprim17ROCPRIM_400000_NS6detail17trampoline_kernelINS0_14default_configENS1_35radix_sort_onesweep_config_selectorIdNS0_10empty_typeEEEZNS1_34radix_sort_onesweep_global_offsetsIS3_Lb0EPdPS5_mNS0_19identity_decomposerEEE10hipError_tT1_T2_PT3_SE_jT4_jjP12ihipStream_tbEUlT_E0_NS1_11comp_targetILNS1_3genE4ELNS1_11target_archE910ELNS1_3gpuE8ELNS1_3repE0EEENS1_52radix_sort_onesweep_histogram_config_static_selectorELNS0_4arch9wavefront6targetE1EEEvSC_ ; -- Begin function _ZN7rocprim17ROCPRIM_400000_NS6detail17trampoline_kernelINS0_14default_configENS1_35radix_sort_onesweep_config_selectorIdNS0_10empty_typeEEEZNS1_34radix_sort_onesweep_global_offsetsIS3_Lb0EPdPS5_mNS0_19identity_decomposerEEE10hipError_tT1_T2_PT3_SE_jT4_jjP12ihipStream_tbEUlT_E0_NS1_11comp_targetILNS1_3genE4ELNS1_11target_archE910ELNS1_3gpuE8ELNS1_3repE0EEENS1_52radix_sort_onesweep_histogram_config_static_selectorELNS0_4arch9wavefront6targetE1EEEvSC_
	.globl	_ZN7rocprim17ROCPRIM_400000_NS6detail17trampoline_kernelINS0_14default_configENS1_35radix_sort_onesweep_config_selectorIdNS0_10empty_typeEEEZNS1_34radix_sort_onesweep_global_offsetsIS3_Lb0EPdPS5_mNS0_19identity_decomposerEEE10hipError_tT1_T2_PT3_SE_jT4_jjP12ihipStream_tbEUlT_E0_NS1_11comp_targetILNS1_3genE4ELNS1_11target_archE910ELNS1_3gpuE8ELNS1_3repE0EEENS1_52radix_sort_onesweep_histogram_config_static_selectorELNS0_4arch9wavefront6targetE1EEEvSC_
	.p2align	8
	.type	_ZN7rocprim17ROCPRIM_400000_NS6detail17trampoline_kernelINS0_14default_configENS1_35radix_sort_onesweep_config_selectorIdNS0_10empty_typeEEEZNS1_34radix_sort_onesweep_global_offsetsIS3_Lb0EPdPS5_mNS0_19identity_decomposerEEE10hipError_tT1_T2_PT3_SE_jT4_jjP12ihipStream_tbEUlT_E0_NS1_11comp_targetILNS1_3genE4ELNS1_11target_archE910ELNS1_3gpuE8ELNS1_3repE0EEENS1_52radix_sort_onesweep_histogram_config_static_selectorELNS0_4arch9wavefront6targetE1EEEvSC_,@function
_ZN7rocprim17ROCPRIM_400000_NS6detail17trampoline_kernelINS0_14default_configENS1_35radix_sort_onesweep_config_selectorIdNS0_10empty_typeEEEZNS1_34radix_sort_onesweep_global_offsetsIS3_Lb0EPdPS5_mNS0_19identity_decomposerEEE10hipError_tT1_T2_PT3_SE_jT4_jjP12ihipStream_tbEUlT_E0_NS1_11comp_targetILNS1_3genE4ELNS1_11target_archE910ELNS1_3gpuE8ELNS1_3repE0EEENS1_52radix_sort_onesweep_histogram_config_static_selectorELNS0_4arch9wavefront6targetE1EEEvSC_: ; @_ZN7rocprim17ROCPRIM_400000_NS6detail17trampoline_kernelINS0_14default_configENS1_35radix_sort_onesweep_config_selectorIdNS0_10empty_typeEEEZNS1_34radix_sort_onesweep_global_offsetsIS3_Lb0EPdPS5_mNS0_19identity_decomposerEEE10hipError_tT1_T2_PT3_SE_jT4_jjP12ihipStream_tbEUlT_E0_NS1_11comp_targetILNS1_3genE4ELNS1_11target_archE910ELNS1_3gpuE8ELNS1_3repE0EEENS1_52radix_sort_onesweep_histogram_config_static_selectorELNS0_4arch9wavefront6targetE1EEEvSC_
; %bb.0:
	s_load_dwordx2 s[0:1], s[4:5], 0x0
	s_lshl_b32 s2, s6, 8
	s_mov_b32 s3, 0
	s_lshl_b64 s[2:3], s[2:3], 3
	v_lshlrev_b32_e32 v5, 3, v0
	s_waitcnt lgkmcnt(0)
	s_add_u32 s14, s0, s2
	s_movk_i32 s0, 0x100
	s_addc_u32 s15, s1, s3
	v_cmp_gt_u32_e32 vcc, s0, v0
                                        ; implicit-def: $vgpr2_vgpr3
	s_and_saveexec_b64 s[0:1], vcc
	s_cbranch_execz .LBB1367_2
; %bb.1:
	global_load_dwordx2 v[2:3], v5, s[14:15]
.LBB1367_2:
	s_or_b64 exec, exec, s[0:1]
	s_waitcnt vmcnt(0)
	v_mov_b32_dpp v4, v2 row_shr:1 row_mask:0xf bank_mask:0xf
	v_add_co_u32_e64 v4, s[0:1], v2, v4
	v_mbcnt_lo_u32_b32 v1, -1, 0
	v_addc_co_u32_e64 v8, s[0:1], 0, v3, s[0:1]
	v_mbcnt_hi_u32_b32 v6, -1, v1
	v_mov_b32_dpp v7, v3 row_shr:1 row_mask:0xf bank_mask:0xf
	v_add_co_u32_e64 v9, s[0:1], 0, v4
	v_and_b32_e32 v1, 15, v6
	v_addc_co_u32_e64 v7, s[0:1], v7, v8, s[0:1]
	v_cmp_eq_u32_e64 s[0:1], 0, v1
	v_cndmask_b32_e64 v4, v4, v2, s[0:1]
	v_cndmask_b32_e64 v7, v7, v3, s[0:1]
	v_cndmask_b32_e64 v8, v9, v2, s[0:1]
	v_mov_b32_dpp v9, v4 row_shr:2 row_mask:0xf bank_mask:0xf
	v_mov_b32_dpp v10, v7 row_shr:2 row_mask:0xf bank_mask:0xf
	v_add_co_u32_e64 v9, s[2:3], v9, v8
	v_cmp_lt_u32_e64 s[4:5], 1, v1
	v_addc_co_u32_e64 v10, s[2:3], v10, v7, s[2:3]
	v_cndmask_b32_e64 v4, v4, v9, s[4:5]
	v_cndmask_b32_e64 v7, v7, v10, s[4:5]
	v_cndmask_b32_e64 v8, v8, v9, s[4:5]
	v_mov_b32_dpp v9, v4 row_shr:4 row_mask:0xf bank_mask:0xf
	v_mov_b32_dpp v10, v7 row_shr:4 row_mask:0xf bank_mask:0xf
	v_add_co_u32_e64 v9, s[2:3], v9, v8
	v_cmp_lt_u32_e64 s[6:7], 3, v1
	v_addc_co_u32_e64 v10, s[2:3], v10, v7, s[2:3]
	;; [unrolled: 8-line block ×3, first 2 shown]
	v_cndmask_b32_e64 v11, v4, v9, s[8:9]
	v_cndmask_b32_e64 v1, v7, v10, s[8:9]
	;; [unrolled: 1-line block ×3, first 2 shown]
	v_mov_b32_dpp v7, v11 row_bcast:15 row_mask:0xf bank_mask:0xf
	v_mov_b32_dpp v8, v1 row_bcast:15 row_mask:0xf bank_mask:0xf
	v_and_b32_e32 v10, 16, v6
	v_add_co_u32_e64 v7, s[2:3], v7, v4
	v_addc_co_u32_e64 v9, s[2:3], v8, v1, s[2:3]
	v_cmp_eq_u32_e64 s[10:11], 0, v10
	v_cndmask_b32_e64 v10, v9, v1, s[10:11]
	v_cndmask_b32_e64 v8, v7, v11, s[10:11]
	v_cmp_eq_u32_e64 s[2:3], 0, v6
	v_mov_b32_dpp v10, v10 row_bcast:31 row_mask:0xf bank_mask:0xf
	v_mov_b32_dpp v8, v8 row_bcast:31 row_mask:0xf bank_mask:0xf
	v_cmp_ne_u32_e64 s[12:13], 0, v6
	s_and_saveexec_b64 s[16:17], s[12:13]
; %bb.3:
	v_cndmask_b32_e64 v1, v9, v1, s[10:11]
	v_cndmask_b32_e64 v2, v7, v4, s[10:11]
	v_cmp_lt_u32_e64 s[10:11], 31, v6
	v_cndmask_b32_e64 v4, 0, v8, s[10:11]
	v_cndmask_b32_e64 v3, 0, v10, s[10:11]
	v_add_co_u32_e64 v2, s[10:11], v4, v2
	v_addc_co_u32_e64 v3, s[10:11], v3, v1, s[10:11]
; %bb.4:
	s_or_b64 exec, exec, s[16:17]
	v_and_b32_e32 v1, 63, v0
	v_lshrrev_b32_e32 v4, 6, v0
	v_cmp_eq_u32_e64 s[10:11], 63, v1
	s_and_saveexec_b64 s[12:13], s[10:11]
	s_cbranch_execz .LBB1367_6
; %bb.5:
	v_lshlrev_b32_e32 v1, 3, v4
	ds_write_b64 v1, v[2:3]
.LBB1367_6:
	s_or_b64 exec, exec, s[12:13]
	v_cmp_gt_u32_e64 s[10:11], 16, v0
	s_waitcnt lgkmcnt(0)
	s_barrier
	s_and_saveexec_b64 s[12:13], s[10:11]
	s_cbranch_execz .LBB1367_8
; %bb.7:
	ds_read_b64 v[8:9], v5
	s_waitcnt lgkmcnt(0)
	s_nop 0
	v_mov_b32_dpp v1, v8 row_shr:1 row_mask:0xf bank_mask:0xf
	v_add_co_u32_e64 v1, s[10:11], v8, v1
	v_addc_co_u32_e64 v10, s[10:11], 0, v9, s[10:11]
	v_mov_b32_dpp v7, v9 row_shr:1 row_mask:0xf bank_mask:0xf
	v_add_co_u32_e64 v11, s[10:11], 0, v1
	v_addc_co_u32_e64 v7, s[10:11], v7, v10, s[10:11]
	v_cndmask_b32_e64 v1, v1, v8, s[0:1]
	v_cndmask_b32_e64 v7, v7, v9, s[0:1]
	v_cndmask_b32_e64 v10, v11, v8, s[0:1]
	v_mov_b32_dpp v11, v1 row_shr:2 row_mask:0xf bank_mask:0xf
	v_mov_b32_dpp v12, v7 row_shr:2 row_mask:0xf bank_mask:0xf
	v_add_co_u32_e64 v11, s[10:11], v11, v10
	v_addc_co_u32_e64 v12, s[10:11], v12, v7, s[10:11]
	v_cndmask_b32_e64 v1, v1, v11, s[4:5]
	v_cndmask_b32_e64 v7, v7, v12, s[4:5]
	v_cndmask_b32_e64 v10, v10, v11, s[4:5]
	v_mov_b32_dpp v11, v1 row_shr:4 row_mask:0xf bank_mask:0xf
	;; [unrolled: 7-line block ×3, first 2 shown]
	v_mov_b32_dpp v12, v7 row_shr:8 row_mask:0xf bank_mask:0xf
	v_cndmask_b32_e64 v1, 0, v1, s[8:9]
	v_cndmask_b32_e64 v11, 0, v12, s[8:9]
	v_add_co_u32_e64 v1, s[4:5], v1, v10
	v_addc_co_u32_e64 v7, s[4:5], v11, v7, s[4:5]
	v_cndmask_b32_e64 v9, v7, v9, s[0:1]
	v_cndmask_b32_e64 v8, v1, v8, s[0:1]
	ds_write_b64 v5, v[8:9]
.LBB1367_8:
	s_or_b64 exec, exec, s[12:13]
	v_cmp_lt_u32_e64 s[0:1], 63, v0
	v_pk_mov_b32 v[0:1], 0, 0
	s_waitcnt lgkmcnt(0)
	s_barrier
	s_and_saveexec_b64 s[4:5], s[0:1]
	s_cbranch_execz .LBB1367_10
; %bb.9:
	v_lshl_add_u32 v0, v4, 3, -8
	ds_read_b64 v[0:1], v0
.LBB1367_10:
	s_or_b64 exec, exec, s[4:5]
	s_waitcnt lgkmcnt(0)
	v_add_co_u32_e64 v2, s[0:1], v0, v2
	v_addc_co_u32_e64 v3, s[0:1], v1, v3, s[0:1]
	v_add_u32_e32 v4, -1, v6
	v_and_b32_e32 v7, 64, v6
	v_cmp_lt_i32_e64 s[0:1], v4, v7
	v_cndmask_b32_e64 v4, v4, v6, s[0:1]
	v_lshlrev_b32_e32 v4, 2, v4
	ds_bpermute_b32 v2, v4, v2
	ds_bpermute_b32 v3, v4, v3
	s_and_saveexec_b64 s[0:1], vcc
	s_cbranch_execz .LBB1367_12
; %bb.11:
	s_waitcnt lgkmcnt(0)
	v_cndmask_b32_e64 v1, v3, v1, s[2:3]
	v_cndmask_b32_e64 v0, v2, v0, s[2:3]
	global_store_dwordx2 v5, v[0:1], s[14:15]
.LBB1367_12:
	s_endpgm
	.section	.rodata,"a",@progbits
	.p2align	6, 0x0
	.amdhsa_kernel _ZN7rocprim17ROCPRIM_400000_NS6detail17trampoline_kernelINS0_14default_configENS1_35radix_sort_onesweep_config_selectorIdNS0_10empty_typeEEEZNS1_34radix_sort_onesweep_global_offsetsIS3_Lb0EPdPS5_mNS0_19identity_decomposerEEE10hipError_tT1_T2_PT3_SE_jT4_jjP12ihipStream_tbEUlT_E0_NS1_11comp_targetILNS1_3genE4ELNS1_11target_archE910ELNS1_3gpuE8ELNS1_3repE0EEENS1_52radix_sort_onesweep_histogram_config_static_selectorELNS0_4arch9wavefront6targetE1EEEvSC_
		.amdhsa_group_segment_fixed_size 128
		.amdhsa_private_segment_fixed_size 0
		.amdhsa_kernarg_size 8
		.amdhsa_user_sgpr_count 6
		.amdhsa_user_sgpr_private_segment_buffer 1
		.amdhsa_user_sgpr_dispatch_ptr 0
		.amdhsa_user_sgpr_queue_ptr 0
		.amdhsa_user_sgpr_kernarg_segment_ptr 1
		.amdhsa_user_sgpr_dispatch_id 0
		.amdhsa_user_sgpr_flat_scratch_init 0
		.amdhsa_user_sgpr_kernarg_preload_length 0
		.amdhsa_user_sgpr_kernarg_preload_offset 0
		.amdhsa_user_sgpr_private_segment_size 0
		.amdhsa_uses_dynamic_stack 0
		.amdhsa_system_sgpr_private_segment_wavefront_offset 0
		.amdhsa_system_sgpr_workgroup_id_x 1
		.amdhsa_system_sgpr_workgroup_id_y 0
		.amdhsa_system_sgpr_workgroup_id_z 0
		.amdhsa_system_sgpr_workgroup_info 0
		.amdhsa_system_vgpr_workitem_id 0
		.amdhsa_next_free_vgpr 13
		.amdhsa_next_free_sgpr 18
		.amdhsa_accum_offset 16
		.amdhsa_reserve_vcc 1
		.amdhsa_reserve_flat_scratch 0
		.amdhsa_float_round_mode_32 0
		.amdhsa_float_round_mode_16_64 0
		.amdhsa_float_denorm_mode_32 3
		.amdhsa_float_denorm_mode_16_64 3
		.amdhsa_dx10_clamp 1
		.amdhsa_ieee_mode 1
		.amdhsa_fp16_overflow 0
		.amdhsa_tg_split 0
		.amdhsa_exception_fp_ieee_invalid_op 0
		.amdhsa_exception_fp_denorm_src 0
		.amdhsa_exception_fp_ieee_div_zero 0
		.amdhsa_exception_fp_ieee_overflow 0
		.amdhsa_exception_fp_ieee_underflow 0
		.amdhsa_exception_fp_ieee_inexact 0
		.amdhsa_exception_int_div_zero 0
	.end_amdhsa_kernel
	.section	.text._ZN7rocprim17ROCPRIM_400000_NS6detail17trampoline_kernelINS0_14default_configENS1_35radix_sort_onesweep_config_selectorIdNS0_10empty_typeEEEZNS1_34radix_sort_onesweep_global_offsetsIS3_Lb0EPdPS5_mNS0_19identity_decomposerEEE10hipError_tT1_T2_PT3_SE_jT4_jjP12ihipStream_tbEUlT_E0_NS1_11comp_targetILNS1_3genE4ELNS1_11target_archE910ELNS1_3gpuE8ELNS1_3repE0EEENS1_52radix_sort_onesweep_histogram_config_static_selectorELNS0_4arch9wavefront6targetE1EEEvSC_,"axG",@progbits,_ZN7rocprim17ROCPRIM_400000_NS6detail17trampoline_kernelINS0_14default_configENS1_35radix_sort_onesweep_config_selectorIdNS0_10empty_typeEEEZNS1_34radix_sort_onesweep_global_offsetsIS3_Lb0EPdPS5_mNS0_19identity_decomposerEEE10hipError_tT1_T2_PT3_SE_jT4_jjP12ihipStream_tbEUlT_E0_NS1_11comp_targetILNS1_3genE4ELNS1_11target_archE910ELNS1_3gpuE8ELNS1_3repE0EEENS1_52radix_sort_onesweep_histogram_config_static_selectorELNS0_4arch9wavefront6targetE1EEEvSC_,comdat
.Lfunc_end1367:
	.size	_ZN7rocprim17ROCPRIM_400000_NS6detail17trampoline_kernelINS0_14default_configENS1_35radix_sort_onesweep_config_selectorIdNS0_10empty_typeEEEZNS1_34radix_sort_onesweep_global_offsetsIS3_Lb0EPdPS5_mNS0_19identity_decomposerEEE10hipError_tT1_T2_PT3_SE_jT4_jjP12ihipStream_tbEUlT_E0_NS1_11comp_targetILNS1_3genE4ELNS1_11target_archE910ELNS1_3gpuE8ELNS1_3repE0EEENS1_52radix_sort_onesweep_histogram_config_static_selectorELNS0_4arch9wavefront6targetE1EEEvSC_, .Lfunc_end1367-_ZN7rocprim17ROCPRIM_400000_NS6detail17trampoline_kernelINS0_14default_configENS1_35radix_sort_onesweep_config_selectorIdNS0_10empty_typeEEEZNS1_34radix_sort_onesweep_global_offsetsIS3_Lb0EPdPS5_mNS0_19identity_decomposerEEE10hipError_tT1_T2_PT3_SE_jT4_jjP12ihipStream_tbEUlT_E0_NS1_11comp_targetILNS1_3genE4ELNS1_11target_archE910ELNS1_3gpuE8ELNS1_3repE0EEENS1_52radix_sort_onesweep_histogram_config_static_selectorELNS0_4arch9wavefront6targetE1EEEvSC_
                                        ; -- End function
	.section	.AMDGPU.csdata,"",@progbits
; Kernel info:
; codeLenInByte = 1012
; NumSgprs: 22
; NumVgprs: 13
; NumAgprs: 0
; TotalNumVgprs: 13
; ScratchSize: 0
; MemoryBound: 0
; FloatMode: 240
; IeeeMode: 1
; LDSByteSize: 128 bytes/workgroup (compile time only)
; SGPRBlocks: 2
; VGPRBlocks: 1
; NumSGPRsForWavesPerEU: 22
; NumVGPRsForWavesPerEU: 13
; AccumOffset: 16
; Occupancy: 8
; WaveLimiterHint : 0
; COMPUTE_PGM_RSRC2:SCRATCH_EN: 0
; COMPUTE_PGM_RSRC2:USER_SGPR: 6
; COMPUTE_PGM_RSRC2:TRAP_HANDLER: 0
; COMPUTE_PGM_RSRC2:TGID_X_EN: 1
; COMPUTE_PGM_RSRC2:TGID_Y_EN: 0
; COMPUTE_PGM_RSRC2:TGID_Z_EN: 0
; COMPUTE_PGM_RSRC2:TIDIG_COMP_CNT: 0
; COMPUTE_PGM_RSRC3_GFX90A:ACCUM_OFFSET: 3
; COMPUTE_PGM_RSRC3_GFX90A:TG_SPLIT: 0
	.section	.text._ZN7rocprim17ROCPRIM_400000_NS6detail17trampoline_kernelINS0_14default_configENS1_35radix_sort_onesweep_config_selectorIdNS0_10empty_typeEEEZNS1_34radix_sort_onesweep_global_offsetsIS3_Lb0EPdPS5_mNS0_19identity_decomposerEEE10hipError_tT1_T2_PT3_SE_jT4_jjP12ihipStream_tbEUlT_E0_NS1_11comp_targetILNS1_3genE3ELNS1_11target_archE908ELNS1_3gpuE7ELNS1_3repE0EEENS1_52radix_sort_onesweep_histogram_config_static_selectorELNS0_4arch9wavefront6targetE1EEEvSC_,"axG",@progbits,_ZN7rocprim17ROCPRIM_400000_NS6detail17trampoline_kernelINS0_14default_configENS1_35radix_sort_onesweep_config_selectorIdNS0_10empty_typeEEEZNS1_34radix_sort_onesweep_global_offsetsIS3_Lb0EPdPS5_mNS0_19identity_decomposerEEE10hipError_tT1_T2_PT3_SE_jT4_jjP12ihipStream_tbEUlT_E0_NS1_11comp_targetILNS1_3genE3ELNS1_11target_archE908ELNS1_3gpuE7ELNS1_3repE0EEENS1_52radix_sort_onesweep_histogram_config_static_selectorELNS0_4arch9wavefront6targetE1EEEvSC_,comdat
	.protected	_ZN7rocprim17ROCPRIM_400000_NS6detail17trampoline_kernelINS0_14default_configENS1_35radix_sort_onesweep_config_selectorIdNS0_10empty_typeEEEZNS1_34radix_sort_onesweep_global_offsetsIS3_Lb0EPdPS5_mNS0_19identity_decomposerEEE10hipError_tT1_T2_PT3_SE_jT4_jjP12ihipStream_tbEUlT_E0_NS1_11comp_targetILNS1_3genE3ELNS1_11target_archE908ELNS1_3gpuE7ELNS1_3repE0EEENS1_52radix_sort_onesweep_histogram_config_static_selectorELNS0_4arch9wavefront6targetE1EEEvSC_ ; -- Begin function _ZN7rocprim17ROCPRIM_400000_NS6detail17trampoline_kernelINS0_14default_configENS1_35radix_sort_onesweep_config_selectorIdNS0_10empty_typeEEEZNS1_34radix_sort_onesweep_global_offsetsIS3_Lb0EPdPS5_mNS0_19identity_decomposerEEE10hipError_tT1_T2_PT3_SE_jT4_jjP12ihipStream_tbEUlT_E0_NS1_11comp_targetILNS1_3genE3ELNS1_11target_archE908ELNS1_3gpuE7ELNS1_3repE0EEENS1_52radix_sort_onesweep_histogram_config_static_selectorELNS0_4arch9wavefront6targetE1EEEvSC_
	.globl	_ZN7rocprim17ROCPRIM_400000_NS6detail17trampoline_kernelINS0_14default_configENS1_35radix_sort_onesweep_config_selectorIdNS0_10empty_typeEEEZNS1_34radix_sort_onesweep_global_offsetsIS3_Lb0EPdPS5_mNS0_19identity_decomposerEEE10hipError_tT1_T2_PT3_SE_jT4_jjP12ihipStream_tbEUlT_E0_NS1_11comp_targetILNS1_3genE3ELNS1_11target_archE908ELNS1_3gpuE7ELNS1_3repE0EEENS1_52radix_sort_onesweep_histogram_config_static_selectorELNS0_4arch9wavefront6targetE1EEEvSC_
	.p2align	8
	.type	_ZN7rocprim17ROCPRIM_400000_NS6detail17trampoline_kernelINS0_14default_configENS1_35radix_sort_onesweep_config_selectorIdNS0_10empty_typeEEEZNS1_34radix_sort_onesweep_global_offsetsIS3_Lb0EPdPS5_mNS0_19identity_decomposerEEE10hipError_tT1_T2_PT3_SE_jT4_jjP12ihipStream_tbEUlT_E0_NS1_11comp_targetILNS1_3genE3ELNS1_11target_archE908ELNS1_3gpuE7ELNS1_3repE0EEENS1_52radix_sort_onesweep_histogram_config_static_selectorELNS0_4arch9wavefront6targetE1EEEvSC_,@function
_ZN7rocprim17ROCPRIM_400000_NS6detail17trampoline_kernelINS0_14default_configENS1_35radix_sort_onesweep_config_selectorIdNS0_10empty_typeEEEZNS1_34radix_sort_onesweep_global_offsetsIS3_Lb0EPdPS5_mNS0_19identity_decomposerEEE10hipError_tT1_T2_PT3_SE_jT4_jjP12ihipStream_tbEUlT_E0_NS1_11comp_targetILNS1_3genE3ELNS1_11target_archE908ELNS1_3gpuE7ELNS1_3repE0EEENS1_52radix_sort_onesweep_histogram_config_static_selectorELNS0_4arch9wavefront6targetE1EEEvSC_: ; @_ZN7rocprim17ROCPRIM_400000_NS6detail17trampoline_kernelINS0_14default_configENS1_35radix_sort_onesweep_config_selectorIdNS0_10empty_typeEEEZNS1_34radix_sort_onesweep_global_offsetsIS3_Lb0EPdPS5_mNS0_19identity_decomposerEEE10hipError_tT1_T2_PT3_SE_jT4_jjP12ihipStream_tbEUlT_E0_NS1_11comp_targetILNS1_3genE3ELNS1_11target_archE908ELNS1_3gpuE7ELNS1_3repE0EEENS1_52radix_sort_onesweep_histogram_config_static_selectorELNS0_4arch9wavefront6targetE1EEEvSC_
; %bb.0:
	.section	.rodata,"a",@progbits
	.p2align	6, 0x0
	.amdhsa_kernel _ZN7rocprim17ROCPRIM_400000_NS6detail17trampoline_kernelINS0_14default_configENS1_35radix_sort_onesweep_config_selectorIdNS0_10empty_typeEEEZNS1_34radix_sort_onesweep_global_offsetsIS3_Lb0EPdPS5_mNS0_19identity_decomposerEEE10hipError_tT1_T2_PT3_SE_jT4_jjP12ihipStream_tbEUlT_E0_NS1_11comp_targetILNS1_3genE3ELNS1_11target_archE908ELNS1_3gpuE7ELNS1_3repE0EEENS1_52radix_sort_onesweep_histogram_config_static_selectorELNS0_4arch9wavefront6targetE1EEEvSC_
		.amdhsa_group_segment_fixed_size 0
		.amdhsa_private_segment_fixed_size 0
		.amdhsa_kernarg_size 8
		.amdhsa_user_sgpr_count 6
		.amdhsa_user_sgpr_private_segment_buffer 1
		.amdhsa_user_sgpr_dispatch_ptr 0
		.amdhsa_user_sgpr_queue_ptr 0
		.amdhsa_user_sgpr_kernarg_segment_ptr 1
		.amdhsa_user_sgpr_dispatch_id 0
		.amdhsa_user_sgpr_flat_scratch_init 0
		.amdhsa_user_sgpr_kernarg_preload_length 0
		.amdhsa_user_sgpr_kernarg_preload_offset 0
		.amdhsa_user_sgpr_private_segment_size 0
		.amdhsa_uses_dynamic_stack 0
		.amdhsa_system_sgpr_private_segment_wavefront_offset 0
		.amdhsa_system_sgpr_workgroup_id_x 1
		.amdhsa_system_sgpr_workgroup_id_y 0
		.amdhsa_system_sgpr_workgroup_id_z 0
		.amdhsa_system_sgpr_workgroup_info 0
		.amdhsa_system_vgpr_workitem_id 0
		.amdhsa_next_free_vgpr 1
		.amdhsa_next_free_sgpr 0
		.amdhsa_accum_offset 4
		.amdhsa_reserve_vcc 0
		.amdhsa_reserve_flat_scratch 0
		.amdhsa_float_round_mode_32 0
		.amdhsa_float_round_mode_16_64 0
		.amdhsa_float_denorm_mode_32 3
		.amdhsa_float_denorm_mode_16_64 3
		.amdhsa_dx10_clamp 1
		.amdhsa_ieee_mode 1
		.amdhsa_fp16_overflow 0
		.amdhsa_tg_split 0
		.amdhsa_exception_fp_ieee_invalid_op 0
		.amdhsa_exception_fp_denorm_src 0
		.amdhsa_exception_fp_ieee_div_zero 0
		.amdhsa_exception_fp_ieee_overflow 0
		.amdhsa_exception_fp_ieee_underflow 0
		.amdhsa_exception_fp_ieee_inexact 0
		.amdhsa_exception_int_div_zero 0
	.end_amdhsa_kernel
	.section	.text._ZN7rocprim17ROCPRIM_400000_NS6detail17trampoline_kernelINS0_14default_configENS1_35radix_sort_onesweep_config_selectorIdNS0_10empty_typeEEEZNS1_34radix_sort_onesweep_global_offsetsIS3_Lb0EPdPS5_mNS0_19identity_decomposerEEE10hipError_tT1_T2_PT3_SE_jT4_jjP12ihipStream_tbEUlT_E0_NS1_11comp_targetILNS1_3genE3ELNS1_11target_archE908ELNS1_3gpuE7ELNS1_3repE0EEENS1_52radix_sort_onesweep_histogram_config_static_selectorELNS0_4arch9wavefront6targetE1EEEvSC_,"axG",@progbits,_ZN7rocprim17ROCPRIM_400000_NS6detail17trampoline_kernelINS0_14default_configENS1_35radix_sort_onesweep_config_selectorIdNS0_10empty_typeEEEZNS1_34radix_sort_onesweep_global_offsetsIS3_Lb0EPdPS5_mNS0_19identity_decomposerEEE10hipError_tT1_T2_PT3_SE_jT4_jjP12ihipStream_tbEUlT_E0_NS1_11comp_targetILNS1_3genE3ELNS1_11target_archE908ELNS1_3gpuE7ELNS1_3repE0EEENS1_52radix_sort_onesweep_histogram_config_static_selectorELNS0_4arch9wavefront6targetE1EEEvSC_,comdat
.Lfunc_end1368:
	.size	_ZN7rocprim17ROCPRIM_400000_NS6detail17trampoline_kernelINS0_14default_configENS1_35radix_sort_onesweep_config_selectorIdNS0_10empty_typeEEEZNS1_34radix_sort_onesweep_global_offsetsIS3_Lb0EPdPS5_mNS0_19identity_decomposerEEE10hipError_tT1_T2_PT3_SE_jT4_jjP12ihipStream_tbEUlT_E0_NS1_11comp_targetILNS1_3genE3ELNS1_11target_archE908ELNS1_3gpuE7ELNS1_3repE0EEENS1_52radix_sort_onesweep_histogram_config_static_selectorELNS0_4arch9wavefront6targetE1EEEvSC_, .Lfunc_end1368-_ZN7rocprim17ROCPRIM_400000_NS6detail17trampoline_kernelINS0_14default_configENS1_35radix_sort_onesweep_config_selectorIdNS0_10empty_typeEEEZNS1_34radix_sort_onesweep_global_offsetsIS3_Lb0EPdPS5_mNS0_19identity_decomposerEEE10hipError_tT1_T2_PT3_SE_jT4_jjP12ihipStream_tbEUlT_E0_NS1_11comp_targetILNS1_3genE3ELNS1_11target_archE908ELNS1_3gpuE7ELNS1_3repE0EEENS1_52radix_sort_onesweep_histogram_config_static_selectorELNS0_4arch9wavefront6targetE1EEEvSC_
                                        ; -- End function
	.section	.AMDGPU.csdata,"",@progbits
; Kernel info:
; codeLenInByte = 0
; NumSgprs: 4
; NumVgprs: 0
; NumAgprs: 0
; TotalNumVgprs: 0
; ScratchSize: 0
; MemoryBound: 0
; FloatMode: 240
; IeeeMode: 1
; LDSByteSize: 0 bytes/workgroup (compile time only)
; SGPRBlocks: 0
; VGPRBlocks: 0
; NumSGPRsForWavesPerEU: 4
; NumVGPRsForWavesPerEU: 1
; AccumOffset: 4
; Occupancy: 8
; WaveLimiterHint : 0
; COMPUTE_PGM_RSRC2:SCRATCH_EN: 0
; COMPUTE_PGM_RSRC2:USER_SGPR: 6
; COMPUTE_PGM_RSRC2:TRAP_HANDLER: 0
; COMPUTE_PGM_RSRC2:TGID_X_EN: 1
; COMPUTE_PGM_RSRC2:TGID_Y_EN: 0
; COMPUTE_PGM_RSRC2:TGID_Z_EN: 0
; COMPUTE_PGM_RSRC2:TIDIG_COMP_CNT: 0
; COMPUTE_PGM_RSRC3_GFX90A:ACCUM_OFFSET: 0
; COMPUTE_PGM_RSRC3_GFX90A:TG_SPLIT: 0
	.section	.text._ZN7rocprim17ROCPRIM_400000_NS6detail17trampoline_kernelINS0_14default_configENS1_35radix_sort_onesweep_config_selectorIdNS0_10empty_typeEEEZNS1_34radix_sort_onesweep_global_offsetsIS3_Lb0EPdPS5_mNS0_19identity_decomposerEEE10hipError_tT1_T2_PT3_SE_jT4_jjP12ihipStream_tbEUlT_E0_NS1_11comp_targetILNS1_3genE10ELNS1_11target_archE1201ELNS1_3gpuE5ELNS1_3repE0EEENS1_52radix_sort_onesweep_histogram_config_static_selectorELNS0_4arch9wavefront6targetE1EEEvSC_,"axG",@progbits,_ZN7rocprim17ROCPRIM_400000_NS6detail17trampoline_kernelINS0_14default_configENS1_35radix_sort_onesweep_config_selectorIdNS0_10empty_typeEEEZNS1_34radix_sort_onesweep_global_offsetsIS3_Lb0EPdPS5_mNS0_19identity_decomposerEEE10hipError_tT1_T2_PT3_SE_jT4_jjP12ihipStream_tbEUlT_E0_NS1_11comp_targetILNS1_3genE10ELNS1_11target_archE1201ELNS1_3gpuE5ELNS1_3repE0EEENS1_52radix_sort_onesweep_histogram_config_static_selectorELNS0_4arch9wavefront6targetE1EEEvSC_,comdat
	.protected	_ZN7rocprim17ROCPRIM_400000_NS6detail17trampoline_kernelINS0_14default_configENS1_35radix_sort_onesweep_config_selectorIdNS0_10empty_typeEEEZNS1_34radix_sort_onesweep_global_offsetsIS3_Lb0EPdPS5_mNS0_19identity_decomposerEEE10hipError_tT1_T2_PT3_SE_jT4_jjP12ihipStream_tbEUlT_E0_NS1_11comp_targetILNS1_3genE10ELNS1_11target_archE1201ELNS1_3gpuE5ELNS1_3repE0EEENS1_52radix_sort_onesweep_histogram_config_static_selectorELNS0_4arch9wavefront6targetE1EEEvSC_ ; -- Begin function _ZN7rocprim17ROCPRIM_400000_NS6detail17trampoline_kernelINS0_14default_configENS1_35radix_sort_onesweep_config_selectorIdNS0_10empty_typeEEEZNS1_34radix_sort_onesweep_global_offsetsIS3_Lb0EPdPS5_mNS0_19identity_decomposerEEE10hipError_tT1_T2_PT3_SE_jT4_jjP12ihipStream_tbEUlT_E0_NS1_11comp_targetILNS1_3genE10ELNS1_11target_archE1201ELNS1_3gpuE5ELNS1_3repE0EEENS1_52radix_sort_onesweep_histogram_config_static_selectorELNS0_4arch9wavefront6targetE1EEEvSC_
	.globl	_ZN7rocprim17ROCPRIM_400000_NS6detail17trampoline_kernelINS0_14default_configENS1_35radix_sort_onesweep_config_selectorIdNS0_10empty_typeEEEZNS1_34radix_sort_onesweep_global_offsetsIS3_Lb0EPdPS5_mNS0_19identity_decomposerEEE10hipError_tT1_T2_PT3_SE_jT4_jjP12ihipStream_tbEUlT_E0_NS1_11comp_targetILNS1_3genE10ELNS1_11target_archE1201ELNS1_3gpuE5ELNS1_3repE0EEENS1_52radix_sort_onesweep_histogram_config_static_selectorELNS0_4arch9wavefront6targetE1EEEvSC_
	.p2align	8
	.type	_ZN7rocprim17ROCPRIM_400000_NS6detail17trampoline_kernelINS0_14default_configENS1_35radix_sort_onesweep_config_selectorIdNS0_10empty_typeEEEZNS1_34radix_sort_onesweep_global_offsetsIS3_Lb0EPdPS5_mNS0_19identity_decomposerEEE10hipError_tT1_T2_PT3_SE_jT4_jjP12ihipStream_tbEUlT_E0_NS1_11comp_targetILNS1_3genE10ELNS1_11target_archE1201ELNS1_3gpuE5ELNS1_3repE0EEENS1_52radix_sort_onesweep_histogram_config_static_selectorELNS0_4arch9wavefront6targetE1EEEvSC_,@function
_ZN7rocprim17ROCPRIM_400000_NS6detail17trampoline_kernelINS0_14default_configENS1_35radix_sort_onesweep_config_selectorIdNS0_10empty_typeEEEZNS1_34radix_sort_onesweep_global_offsetsIS3_Lb0EPdPS5_mNS0_19identity_decomposerEEE10hipError_tT1_T2_PT3_SE_jT4_jjP12ihipStream_tbEUlT_E0_NS1_11comp_targetILNS1_3genE10ELNS1_11target_archE1201ELNS1_3gpuE5ELNS1_3repE0EEENS1_52radix_sort_onesweep_histogram_config_static_selectorELNS0_4arch9wavefront6targetE1EEEvSC_: ; @_ZN7rocprim17ROCPRIM_400000_NS6detail17trampoline_kernelINS0_14default_configENS1_35radix_sort_onesweep_config_selectorIdNS0_10empty_typeEEEZNS1_34radix_sort_onesweep_global_offsetsIS3_Lb0EPdPS5_mNS0_19identity_decomposerEEE10hipError_tT1_T2_PT3_SE_jT4_jjP12ihipStream_tbEUlT_E0_NS1_11comp_targetILNS1_3genE10ELNS1_11target_archE1201ELNS1_3gpuE5ELNS1_3repE0EEENS1_52radix_sort_onesweep_histogram_config_static_selectorELNS0_4arch9wavefront6targetE1EEEvSC_
; %bb.0:
	.section	.rodata,"a",@progbits
	.p2align	6, 0x0
	.amdhsa_kernel _ZN7rocprim17ROCPRIM_400000_NS6detail17trampoline_kernelINS0_14default_configENS1_35radix_sort_onesweep_config_selectorIdNS0_10empty_typeEEEZNS1_34radix_sort_onesweep_global_offsetsIS3_Lb0EPdPS5_mNS0_19identity_decomposerEEE10hipError_tT1_T2_PT3_SE_jT4_jjP12ihipStream_tbEUlT_E0_NS1_11comp_targetILNS1_3genE10ELNS1_11target_archE1201ELNS1_3gpuE5ELNS1_3repE0EEENS1_52radix_sort_onesweep_histogram_config_static_selectorELNS0_4arch9wavefront6targetE1EEEvSC_
		.amdhsa_group_segment_fixed_size 0
		.amdhsa_private_segment_fixed_size 0
		.amdhsa_kernarg_size 8
		.amdhsa_user_sgpr_count 6
		.amdhsa_user_sgpr_private_segment_buffer 1
		.amdhsa_user_sgpr_dispatch_ptr 0
		.amdhsa_user_sgpr_queue_ptr 0
		.amdhsa_user_sgpr_kernarg_segment_ptr 1
		.amdhsa_user_sgpr_dispatch_id 0
		.amdhsa_user_sgpr_flat_scratch_init 0
		.amdhsa_user_sgpr_kernarg_preload_length 0
		.amdhsa_user_sgpr_kernarg_preload_offset 0
		.amdhsa_user_sgpr_private_segment_size 0
		.amdhsa_uses_dynamic_stack 0
		.amdhsa_system_sgpr_private_segment_wavefront_offset 0
		.amdhsa_system_sgpr_workgroup_id_x 1
		.amdhsa_system_sgpr_workgroup_id_y 0
		.amdhsa_system_sgpr_workgroup_id_z 0
		.amdhsa_system_sgpr_workgroup_info 0
		.amdhsa_system_vgpr_workitem_id 0
		.amdhsa_next_free_vgpr 1
		.amdhsa_next_free_sgpr 0
		.amdhsa_accum_offset 4
		.amdhsa_reserve_vcc 0
		.amdhsa_reserve_flat_scratch 0
		.amdhsa_float_round_mode_32 0
		.amdhsa_float_round_mode_16_64 0
		.amdhsa_float_denorm_mode_32 3
		.amdhsa_float_denorm_mode_16_64 3
		.amdhsa_dx10_clamp 1
		.amdhsa_ieee_mode 1
		.amdhsa_fp16_overflow 0
		.amdhsa_tg_split 0
		.amdhsa_exception_fp_ieee_invalid_op 0
		.amdhsa_exception_fp_denorm_src 0
		.amdhsa_exception_fp_ieee_div_zero 0
		.amdhsa_exception_fp_ieee_overflow 0
		.amdhsa_exception_fp_ieee_underflow 0
		.amdhsa_exception_fp_ieee_inexact 0
		.amdhsa_exception_int_div_zero 0
	.end_amdhsa_kernel
	.section	.text._ZN7rocprim17ROCPRIM_400000_NS6detail17trampoline_kernelINS0_14default_configENS1_35radix_sort_onesweep_config_selectorIdNS0_10empty_typeEEEZNS1_34radix_sort_onesweep_global_offsetsIS3_Lb0EPdPS5_mNS0_19identity_decomposerEEE10hipError_tT1_T2_PT3_SE_jT4_jjP12ihipStream_tbEUlT_E0_NS1_11comp_targetILNS1_3genE10ELNS1_11target_archE1201ELNS1_3gpuE5ELNS1_3repE0EEENS1_52radix_sort_onesweep_histogram_config_static_selectorELNS0_4arch9wavefront6targetE1EEEvSC_,"axG",@progbits,_ZN7rocprim17ROCPRIM_400000_NS6detail17trampoline_kernelINS0_14default_configENS1_35radix_sort_onesweep_config_selectorIdNS0_10empty_typeEEEZNS1_34radix_sort_onesweep_global_offsetsIS3_Lb0EPdPS5_mNS0_19identity_decomposerEEE10hipError_tT1_T2_PT3_SE_jT4_jjP12ihipStream_tbEUlT_E0_NS1_11comp_targetILNS1_3genE10ELNS1_11target_archE1201ELNS1_3gpuE5ELNS1_3repE0EEENS1_52radix_sort_onesweep_histogram_config_static_selectorELNS0_4arch9wavefront6targetE1EEEvSC_,comdat
.Lfunc_end1369:
	.size	_ZN7rocprim17ROCPRIM_400000_NS6detail17trampoline_kernelINS0_14default_configENS1_35radix_sort_onesweep_config_selectorIdNS0_10empty_typeEEEZNS1_34radix_sort_onesweep_global_offsetsIS3_Lb0EPdPS5_mNS0_19identity_decomposerEEE10hipError_tT1_T2_PT3_SE_jT4_jjP12ihipStream_tbEUlT_E0_NS1_11comp_targetILNS1_3genE10ELNS1_11target_archE1201ELNS1_3gpuE5ELNS1_3repE0EEENS1_52radix_sort_onesweep_histogram_config_static_selectorELNS0_4arch9wavefront6targetE1EEEvSC_, .Lfunc_end1369-_ZN7rocprim17ROCPRIM_400000_NS6detail17trampoline_kernelINS0_14default_configENS1_35radix_sort_onesweep_config_selectorIdNS0_10empty_typeEEEZNS1_34radix_sort_onesweep_global_offsetsIS3_Lb0EPdPS5_mNS0_19identity_decomposerEEE10hipError_tT1_T2_PT3_SE_jT4_jjP12ihipStream_tbEUlT_E0_NS1_11comp_targetILNS1_3genE10ELNS1_11target_archE1201ELNS1_3gpuE5ELNS1_3repE0EEENS1_52radix_sort_onesweep_histogram_config_static_selectorELNS0_4arch9wavefront6targetE1EEEvSC_
                                        ; -- End function
	.section	.AMDGPU.csdata,"",@progbits
; Kernel info:
; codeLenInByte = 0
; NumSgprs: 4
; NumVgprs: 0
; NumAgprs: 0
; TotalNumVgprs: 0
; ScratchSize: 0
; MemoryBound: 0
; FloatMode: 240
; IeeeMode: 1
; LDSByteSize: 0 bytes/workgroup (compile time only)
; SGPRBlocks: 0
; VGPRBlocks: 0
; NumSGPRsForWavesPerEU: 4
; NumVGPRsForWavesPerEU: 1
; AccumOffset: 4
; Occupancy: 8
; WaveLimiterHint : 0
; COMPUTE_PGM_RSRC2:SCRATCH_EN: 0
; COMPUTE_PGM_RSRC2:USER_SGPR: 6
; COMPUTE_PGM_RSRC2:TRAP_HANDLER: 0
; COMPUTE_PGM_RSRC2:TGID_X_EN: 1
; COMPUTE_PGM_RSRC2:TGID_Y_EN: 0
; COMPUTE_PGM_RSRC2:TGID_Z_EN: 0
; COMPUTE_PGM_RSRC2:TIDIG_COMP_CNT: 0
; COMPUTE_PGM_RSRC3_GFX90A:ACCUM_OFFSET: 0
; COMPUTE_PGM_RSRC3_GFX90A:TG_SPLIT: 0
	.section	.text._ZN7rocprim17ROCPRIM_400000_NS6detail17trampoline_kernelINS0_14default_configENS1_35radix_sort_onesweep_config_selectorIdNS0_10empty_typeEEEZNS1_34radix_sort_onesweep_global_offsetsIS3_Lb0EPdPS5_mNS0_19identity_decomposerEEE10hipError_tT1_T2_PT3_SE_jT4_jjP12ihipStream_tbEUlT_E0_NS1_11comp_targetILNS1_3genE9ELNS1_11target_archE1100ELNS1_3gpuE3ELNS1_3repE0EEENS1_52radix_sort_onesweep_histogram_config_static_selectorELNS0_4arch9wavefront6targetE1EEEvSC_,"axG",@progbits,_ZN7rocprim17ROCPRIM_400000_NS6detail17trampoline_kernelINS0_14default_configENS1_35radix_sort_onesweep_config_selectorIdNS0_10empty_typeEEEZNS1_34radix_sort_onesweep_global_offsetsIS3_Lb0EPdPS5_mNS0_19identity_decomposerEEE10hipError_tT1_T2_PT3_SE_jT4_jjP12ihipStream_tbEUlT_E0_NS1_11comp_targetILNS1_3genE9ELNS1_11target_archE1100ELNS1_3gpuE3ELNS1_3repE0EEENS1_52radix_sort_onesweep_histogram_config_static_selectorELNS0_4arch9wavefront6targetE1EEEvSC_,comdat
	.protected	_ZN7rocprim17ROCPRIM_400000_NS6detail17trampoline_kernelINS0_14default_configENS1_35radix_sort_onesweep_config_selectorIdNS0_10empty_typeEEEZNS1_34radix_sort_onesweep_global_offsetsIS3_Lb0EPdPS5_mNS0_19identity_decomposerEEE10hipError_tT1_T2_PT3_SE_jT4_jjP12ihipStream_tbEUlT_E0_NS1_11comp_targetILNS1_3genE9ELNS1_11target_archE1100ELNS1_3gpuE3ELNS1_3repE0EEENS1_52radix_sort_onesweep_histogram_config_static_selectorELNS0_4arch9wavefront6targetE1EEEvSC_ ; -- Begin function _ZN7rocprim17ROCPRIM_400000_NS6detail17trampoline_kernelINS0_14default_configENS1_35radix_sort_onesweep_config_selectorIdNS0_10empty_typeEEEZNS1_34radix_sort_onesweep_global_offsetsIS3_Lb0EPdPS5_mNS0_19identity_decomposerEEE10hipError_tT1_T2_PT3_SE_jT4_jjP12ihipStream_tbEUlT_E0_NS1_11comp_targetILNS1_3genE9ELNS1_11target_archE1100ELNS1_3gpuE3ELNS1_3repE0EEENS1_52radix_sort_onesweep_histogram_config_static_selectorELNS0_4arch9wavefront6targetE1EEEvSC_
	.globl	_ZN7rocprim17ROCPRIM_400000_NS6detail17trampoline_kernelINS0_14default_configENS1_35radix_sort_onesweep_config_selectorIdNS0_10empty_typeEEEZNS1_34radix_sort_onesweep_global_offsetsIS3_Lb0EPdPS5_mNS0_19identity_decomposerEEE10hipError_tT1_T2_PT3_SE_jT4_jjP12ihipStream_tbEUlT_E0_NS1_11comp_targetILNS1_3genE9ELNS1_11target_archE1100ELNS1_3gpuE3ELNS1_3repE0EEENS1_52radix_sort_onesweep_histogram_config_static_selectorELNS0_4arch9wavefront6targetE1EEEvSC_
	.p2align	8
	.type	_ZN7rocprim17ROCPRIM_400000_NS6detail17trampoline_kernelINS0_14default_configENS1_35radix_sort_onesweep_config_selectorIdNS0_10empty_typeEEEZNS1_34radix_sort_onesweep_global_offsetsIS3_Lb0EPdPS5_mNS0_19identity_decomposerEEE10hipError_tT1_T2_PT3_SE_jT4_jjP12ihipStream_tbEUlT_E0_NS1_11comp_targetILNS1_3genE9ELNS1_11target_archE1100ELNS1_3gpuE3ELNS1_3repE0EEENS1_52radix_sort_onesweep_histogram_config_static_selectorELNS0_4arch9wavefront6targetE1EEEvSC_,@function
_ZN7rocprim17ROCPRIM_400000_NS6detail17trampoline_kernelINS0_14default_configENS1_35radix_sort_onesweep_config_selectorIdNS0_10empty_typeEEEZNS1_34radix_sort_onesweep_global_offsetsIS3_Lb0EPdPS5_mNS0_19identity_decomposerEEE10hipError_tT1_T2_PT3_SE_jT4_jjP12ihipStream_tbEUlT_E0_NS1_11comp_targetILNS1_3genE9ELNS1_11target_archE1100ELNS1_3gpuE3ELNS1_3repE0EEENS1_52radix_sort_onesweep_histogram_config_static_selectorELNS0_4arch9wavefront6targetE1EEEvSC_: ; @_ZN7rocprim17ROCPRIM_400000_NS6detail17trampoline_kernelINS0_14default_configENS1_35radix_sort_onesweep_config_selectorIdNS0_10empty_typeEEEZNS1_34radix_sort_onesweep_global_offsetsIS3_Lb0EPdPS5_mNS0_19identity_decomposerEEE10hipError_tT1_T2_PT3_SE_jT4_jjP12ihipStream_tbEUlT_E0_NS1_11comp_targetILNS1_3genE9ELNS1_11target_archE1100ELNS1_3gpuE3ELNS1_3repE0EEENS1_52radix_sort_onesweep_histogram_config_static_selectorELNS0_4arch9wavefront6targetE1EEEvSC_
; %bb.0:
	.section	.rodata,"a",@progbits
	.p2align	6, 0x0
	.amdhsa_kernel _ZN7rocprim17ROCPRIM_400000_NS6detail17trampoline_kernelINS0_14default_configENS1_35radix_sort_onesweep_config_selectorIdNS0_10empty_typeEEEZNS1_34radix_sort_onesweep_global_offsetsIS3_Lb0EPdPS5_mNS0_19identity_decomposerEEE10hipError_tT1_T2_PT3_SE_jT4_jjP12ihipStream_tbEUlT_E0_NS1_11comp_targetILNS1_3genE9ELNS1_11target_archE1100ELNS1_3gpuE3ELNS1_3repE0EEENS1_52radix_sort_onesweep_histogram_config_static_selectorELNS0_4arch9wavefront6targetE1EEEvSC_
		.amdhsa_group_segment_fixed_size 0
		.amdhsa_private_segment_fixed_size 0
		.amdhsa_kernarg_size 8
		.amdhsa_user_sgpr_count 6
		.amdhsa_user_sgpr_private_segment_buffer 1
		.amdhsa_user_sgpr_dispatch_ptr 0
		.amdhsa_user_sgpr_queue_ptr 0
		.amdhsa_user_sgpr_kernarg_segment_ptr 1
		.amdhsa_user_sgpr_dispatch_id 0
		.amdhsa_user_sgpr_flat_scratch_init 0
		.amdhsa_user_sgpr_kernarg_preload_length 0
		.amdhsa_user_sgpr_kernarg_preload_offset 0
		.amdhsa_user_sgpr_private_segment_size 0
		.amdhsa_uses_dynamic_stack 0
		.amdhsa_system_sgpr_private_segment_wavefront_offset 0
		.amdhsa_system_sgpr_workgroup_id_x 1
		.amdhsa_system_sgpr_workgroup_id_y 0
		.amdhsa_system_sgpr_workgroup_id_z 0
		.amdhsa_system_sgpr_workgroup_info 0
		.amdhsa_system_vgpr_workitem_id 0
		.amdhsa_next_free_vgpr 1
		.amdhsa_next_free_sgpr 0
		.amdhsa_accum_offset 4
		.amdhsa_reserve_vcc 0
		.amdhsa_reserve_flat_scratch 0
		.amdhsa_float_round_mode_32 0
		.amdhsa_float_round_mode_16_64 0
		.amdhsa_float_denorm_mode_32 3
		.amdhsa_float_denorm_mode_16_64 3
		.amdhsa_dx10_clamp 1
		.amdhsa_ieee_mode 1
		.amdhsa_fp16_overflow 0
		.amdhsa_tg_split 0
		.amdhsa_exception_fp_ieee_invalid_op 0
		.amdhsa_exception_fp_denorm_src 0
		.amdhsa_exception_fp_ieee_div_zero 0
		.amdhsa_exception_fp_ieee_overflow 0
		.amdhsa_exception_fp_ieee_underflow 0
		.amdhsa_exception_fp_ieee_inexact 0
		.amdhsa_exception_int_div_zero 0
	.end_amdhsa_kernel
	.section	.text._ZN7rocprim17ROCPRIM_400000_NS6detail17trampoline_kernelINS0_14default_configENS1_35radix_sort_onesweep_config_selectorIdNS0_10empty_typeEEEZNS1_34radix_sort_onesweep_global_offsetsIS3_Lb0EPdPS5_mNS0_19identity_decomposerEEE10hipError_tT1_T2_PT3_SE_jT4_jjP12ihipStream_tbEUlT_E0_NS1_11comp_targetILNS1_3genE9ELNS1_11target_archE1100ELNS1_3gpuE3ELNS1_3repE0EEENS1_52radix_sort_onesweep_histogram_config_static_selectorELNS0_4arch9wavefront6targetE1EEEvSC_,"axG",@progbits,_ZN7rocprim17ROCPRIM_400000_NS6detail17trampoline_kernelINS0_14default_configENS1_35radix_sort_onesweep_config_selectorIdNS0_10empty_typeEEEZNS1_34radix_sort_onesweep_global_offsetsIS3_Lb0EPdPS5_mNS0_19identity_decomposerEEE10hipError_tT1_T2_PT3_SE_jT4_jjP12ihipStream_tbEUlT_E0_NS1_11comp_targetILNS1_3genE9ELNS1_11target_archE1100ELNS1_3gpuE3ELNS1_3repE0EEENS1_52radix_sort_onesweep_histogram_config_static_selectorELNS0_4arch9wavefront6targetE1EEEvSC_,comdat
.Lfunc_end1370:
	.size	_ZN7rocprim17ROCPRIM_400000_NS6detail17trampoline_kernelINS0_14default_configENS1_35radix_sort_onesweep_config_selectorIdNS0_10empty_typeEEEZNS1_34radix_sort_onesweep_global_offsetsIS3_Lb0EPdPS5_mNS0_19identity_decomposerEEE10hipError_tT1_T2_PT3_SE_jT4_jjP12ihipStream_tbEUlT_E0_NS1_11comp_targetILNS1_3genE9ELNS1_11target_archE1100ELNS1_3gpuE3ELNS1_3repE0EEENS1_52radix_sort_onesweep_histogram_config_static_selectorELNS0_4arch9wavefront6targetE1EEEvSC_, .Lfunc_end1370-_ZN7rocprim17ROCPRIM_400000_NS6detail17trampoline_kernelINS0_14default_configENS1_35radix_sort_onesweep_config_selectorIdNS0_10empty_typeEEEZNS1_34radix_sort_onesweep_global_offsetsIS3_Lb0EPdPS5_mNS0_19identity_decomposerEEE10hipError_tT1_T2_PT3_SE_jT4_jjP12ihipStream_tbEUlT_E0_NS1_11comp_targetILNS1_3genE9ELNS1_11target_archE1100ELNS1_3gpuE3ELNS1_3repE0EEENS1_52radix_sort_onesweep_histogram_config_static_selectorELNS0_4arch9wavefront6targetE1EEEvSC_
                                        ; -- End function
	.section	.AMDGPU.csdata,"",@progbits
; Kernel info:
; codeLenInByte = 0
; NumSgprs: 4
; NumVgprs: 0
; NumAgprs: 0
; TotalNumVgprs: 0
; ScratchSize: 0
; MemoryBound: 0
; FloatMode: 240
; IeeeMode: 1
; LDSByteSize: 0 bytes/workgroup (compile time only)
; SGPRBlocks: 0
; VGPRBlocks: 0
; NumSGPRsForWavesPerEU: 4
; NumVGPRsForWavesPerEU: 1
; AccumOffset: 4
; Occupancy: 8
; WaveLimiterHint : 0
; COMPUTE_PGM_RSRC2:SCRATCH_EN: 0
; COMPUTE_PGM_RSRC2:USER_SGPR: 6
; COMPUTE_PGM_RSRC2:TRAP_HANDLER: 0
; COMPUTE_PGM_RSRC2:TGID_X_EN: 1
; COMPUTE_PGM_RSRC2:TGID_Y_EN: 0
; COMPUTE_PGM_RSRC2:TGID_Z_EN: 0
; COMPUTE_PGM_RSRC2:TIDIG_COMP_CNT: 0
; COMPUTE_PGM_RSRC3_GFX90A:ACCUM_OFFSET: 0
; COMPUTE_PGM_RSRC3_GFX90A:TG_SPLIT: 0
	.section	.text._ZN7rocprim17ROCPRIM_400000_NS6detail17trampoline_kernelINS0_14default_configENS1_35radix_sort_onesweep_config_selectorIdNS0_10empty_typeEEEZNS1_34radix_sort_onesweep_global_offsetsIS3_Lb0EPdPS5_mNS0_19identity_decomposerEEE10hipError_tT1_T2_PT3_SE_jT4_jjP12ihipStream_tbEUlT_E0_NS1_11comp_targetILNS1_3genE8ELNS1_11target_archE1030ELNS1_3gpuE2ELNS1_3repE0EEENS1_52radix_sort_onesweep_histogram_config_static_selectorELNS0_4arch9wavefront6targetE1EEEvSC_,"axG",@progbits,_ZN7rocprim17ROCPRIM_400000_NS6detail17trampoline_kernelINS0_14default_configENS1_35radix_sort_onesweep_config_selectorIdNS0_10empty_typeEEEZNS1_34radix_sort_onesweep_global_offsetsIS3_Lb0EPdPS5_mNS0_19identity_decomposerEEE10hipError_tT1_T2_PT3_SE_jT4_jjP12ihipStream_tbEUlT_E0_NS1_11comp_targetILNS1_3genE8ELNS1_11target_archE1030ELNS1_3gpuE2ELNS1_3repE0EEENS1_52radix_sort_onesweep_histogram_config_static_selectorELNS0_4arch9wavefront6targetE1EEEvSC_,comdat
	.protected	_ZN7rocprim17ROCPRIM_400000_NS6detail17trampoline_kernelINS0_14default_configENS1_35radix_sort_onesweep_config_selectorIdNS0_10empty_typeEEEZNS1_34radix_sort_onesweep_global_offsetsIS3_Lb0EPdPS5_mNS0_19identity_decomposerEEE10hipError_tT1_T2_PT3_SE_jT4_jjP12ihipStream_tbEUlT_E0_NS1_11comp_targetILNS1_3genE8ELNS1_11target_archE1030ELNS1_3gpuE2ELNS1_3repE0EEENS1_52radix_sort_onesweep_histogram_config_static_selectorELNS0_4arch9wavefront6targetE1EEEvSC_ ; -- Begin function _ZN7rocprim17ROCPRIM_400000_NS6detail17trampoline_kernelINS0_14default_configENS1_35radix_sort_onesweep_config_selectorIdNS0_10empty_typeEEEZNS1_34radix_sort_onesweep_global_offsetsIS3_Lb0EPdPS5_mNS0_19identity_decomposerEEE10hipError_tT1_T2_PT3_SE_jT4_jjP12ihipStream_tbEUlT_E0_NS1_11comp_targetILNS1_3genE8ELNS1_11target_archE1030ELNS1_3gpuE2ELNS1_3repE0EEENS1_52radix_sort_onesweep_histogram_config_static_selectorELNS0_4arch9wavefront6targetE1EEEvSC_
	.globl	_ZN7rocprim17ROCPRIM_400000_NS6detail17trampoline_kernelINS0_14default_configENS1_35radix_sort_onesweep_config_selectorIdNS0_10empty_typeEEEZNS1_34radix_sort_onesweep_global_offsetsIS3_Lb0EPdPS5_mNS0_19identity_decomposerEEE10hipError_tT1_T2_PT3_SE_jT4_jjP12ihipStream_tbEUlT_E0_NS1_11comp_targetILNS1_3genE8ELNS1_11target_archE1030ELNS1_3gpuE2ELNS1_3repE0EEENS1_52radix_sort_onesweep_histogram_config_static_selectorELNS0_4arch9wavefront6targetE1EEEvSC_
	.p2align	8
	.type	_ZN7rocprim17ROCPRIM_400000_NS6detail17trampoline_kernelINS0_14default_configENS1_35radix_sort_onesweep_config_selectorIdNS0_10empty_typeEEEZNS1_34radix_sort_onesweep_global_offsetsIS3_Lb0EPdPS5_mNS0_19identity_decomposerEEE10hipError_tT1_T2_PT3_SE_jT4_jjP12ihipStream_tbEUlT_E0_NS1_11comp_targetILNS1_3genE8ELNS1_11target_archE1030ELNS1_3gpuE2ELNS1_3repE0EEENS1_52radix_sort_onesweep_histogram_config_static_selectorELNS0_4arch9wavefront6targetE1EEEvSC_,@function
_ZN7rocprim17ROCPRIM_400000_NS6detail17trampoline_kernelINS0_14default_configENS1_35radix_sort_onesweep_config_selectorIdNS0_10empty_typeEEEZNS1_34radix_sort_onesweep_global_offsetsIS3_Lb0EPdPS5_mNS0_19identity_decomposerEEE10hipError_tT1_T2_PT3_SE_jT4_jjP12ihipStream_tbEUlT_E0_NS1_11comp_targetILNS1_3genE8ELNS1_11target_archE1030ELNS1_3gpuE2ELNS1_3repE0EEENS1_52radix_sort_onesweep_histogram_config_static_selectorELNS0_4arch9wavefront6targetE1EEEvSC_: ; @_ZN7rocprim17ROCPRIM_400000_NS6detail17trampoline_kernelINS0_14default_configENS1_35radix_sort_onesweep_config_selectorIdNS0_10empty_typeEEEZNS1_34radix_sort_onesweep_global_offsetsIS3_Lb0EPdPS5_mNS0_19identity_decomposerEEE10hipError_tT1_T2_PT3_SE_jT4_jjP12ihipStream_tbEUlT_E0_NS1_11comp_targetILNS1_3genE8ELNS1_11target_archE1030ELNS1_3gpuE2ELNS1_3repE0EEENS1_52radix_sort_onesweep_histogram_config_static_selectorELNS0_4arch9wavefront6targetE1EEEvSC_
; %bb.0:
	.section	.rodata,"a",@progbits
	.p2align	6, 0x0
	.amdhsa_kernel _ZN7rocprim17ROCPRIM_400000_NS6detail17trampoline_kernelINS0_14default_configENS1_35radix_sort_onesweep_config_selectorIdNS0_10empty_typeEEEZNS1_34radix_sort_onesweep_global_offsetsIS3_Lb0EPdPS5_mNS0_19identity_decomposerEEE10hipError_tT1_T2_PT3_SE_jT4_jjP12ihipStream_tbEUlT_E0_NS1_11comp_targetILNS1_3genE8ELNS1_11target_archE1030ELNS1_3gpuE2ELNS1_3repE0EEENS1_52radix_sort_onesweep_histogram_config_static_selectorELNS0_4arch9wavefront6targetE1EEEvSC_
		.amdhsa_group_segment_fixed_size 0
		.amdhsa_private_segment_fixed_size 0
		.amdhsa_kernarg_size 8
		.amdhsa_user_sgpr_count 6
		.amdhsa_user_sgpr_private_segment_buffer 1
		.amdhsa_user_sgpr_dispatch_ptr 0
		.amdhsa_user_sgpr_queue_ptr 0
		.amdhsa_user_sgpr_kernarg_segment_ptr 1
		.amdhsa_user_sgpr_dispatch_id 0
		.amdhsa_user_sgpr_flat_scratch_init 0
		.amdhsa_user_sgpr_kernarg_preload_length 0
		.amdhsa_user_sgpr_kernarg_preload_offset 0
		.amdhsa_user_sgpr_private_segment_size 0
		.amdhsa_uses_dynamic_stack 0
		.amdhsa_system_sgpr_private_segment_wavefront_offset 0
		.amdhsa_system_sgpr_workgroup_id_x 1
		.amdhsa_system_sgpr_workgroup_id_y 0
		.amdhsa_system_sgpr_workgroup_id_z 0
		.amdhsa_system_sgpr_workgroup_info 0
		.amdhsa_system_vgpr_workitem_id 0
		.amdhsa_next_free_vgpr 1
		.amdhsa_next_free_sgpr 0
		.amdhsa_accum_offset 4
		.amdhsa_reserve_vcc 0
		.amdhsa_reserve_flat_scratch 0
		.amdhsa_float_round_mode_32 0
		.amdhsa_float_round_mode_16_64 0
		.amdhsa_float_denorm_mode_32 3
		.amdhsa_float_denorm_mode_16_64 3
		.amdhsa_dx10_clamp 1
		.amdhsa_ieee_mode 1
		.amdhsa_fp16_overflow 0
		.amdhsa_tg_split 0
		.amdhsa_exception_fp_ieee_invalid_op 0
		.amdhsa_exception_fp_denorm_src 0
		.amdhsa_exception_fp_ieee_div_zero 0
		.amdhsa_exception_fp_ieee_overflow 0
		.amdhsa_exception_fp_ieee_underflow 0
		.amdhsa_exception_fp_ieee_inexact 0
		.amdhsa_exception_int_div_zero 0
	.end_amdhsa_kernel
	.section	.text._ZN7rocprim17ROCPRIM_400000_NS6detail17trampoline_kernelINS0_14default_configENS1_35radix_sort_onesweep_config_selectorIdNS0_10empty_typeEEEZNS1_34radix_sort_onesweep_global_offsetsIS3_Lb0EPdPS5_mNS0_19identity_decomposerEEE10hipError_tT1_T2_PT3_SE_jT4_jjP12ihipStream_tbEUlT_E0_NS1_11comp_targetILNS1_3genE8ELNS1_11target_archE1030ELNS1_3gpuE2ELNS1_3repE0EEENS1_52radix_sort_onesweep_histogram_config_static_selectorELNS0_4arch9wavefront6targetE1EEEvSC_,"axG",@progbits,_ZN7rocprim17ROCPRIM_400000_NS6detail17trampoline_kernelINS0_14default_configENS1_35radix_sort_onesweep_config_selectorIdNS0_10empty_typeEEEZNS1_34radix_sort_onesweep_global_offsetsIS3_Lb0EPdPS5_mNS0_19identity_decomposerEEE10hipError_tT1_T2_PT3_SE_jT4_jjP12ihipStream_tbEUlT_E0_NS1_11comp_targetILNS1_3genE8ELNS1_11target_archE1030ELNS1_3gpuE2ELNS1_3repE0EEENS1_52radix_sort_onesweep_histogram_config_static_selectorELNS0_4arch9wavefront6targetE1EEEvSC_,comdat
.Lfunc_end1371:
	.size	_ZN7rocprim17ROCPRIM_400000_NS6detail17trampoline_kernelINS0_14default_configENS1_35radix_sort_onesweep_config_selectorIdNS0_10empty_typeEEEZNS1_34radix_sort_onesweep_global_offsetsIS3_Lb0EPdPS5_mNS0_19identity_decomposerEEE10hipError_tT1_T2_PT3_SE_jT4_jjP12ihipStream_tbEUlT_E0_NS1_11comp_targetILNS1_3genE8ELNS1_11target_archE1030ELNS1_3gpuE2ELNS1_3repE0EEENS1_52radix_sort_onesweep_histogram_config_static_selectorELNS0_4arch9wavefront6targetE1EEEvSC_, .Lfunc_end1371-_ZN7rocprim17ROCPRIM_400000_NS6detail17trampoline_kernelINS0_14default_configENS1_35radix_sort_onesweep_config_selectorIdNS0_10empty_typeEEEZNS1_34radix_sort_onesweep_global_offsetsIS3_Lb0EPdPS5_mNS0_19identity_decomposerEEE10hipError_tT1_T2_PT3_SE_jT4_jjP12ihipStream_tbEUlT_E0_NS1_11comp_targetILNS1_3genE8ELNS1_11target_archE1030ELNS1_3gpuE2ELNS1_3repE0EEENS1_52radix_sort_onesweep_histogram_config_static_selectorELNS0_4arch9wavefront6targetE1EEEvSC_
                                        ; -- End function
	.section	.AMDGPU.csdata,"",@progbits
; Kernel info:
; codeLenInByte = 0
; NumSgprs: 4
; NumVgprs: 0
; NumAgprs: 0
; TotalNumVgprs: 0
; ScratchSize: 0
; MemoryBound: 0
; FloatMode: 240
; IeeeMode: 1
; LDSByteSize: 0 bytes/workgroup (compile time only)
; SGPRBlocks: 0
; VGPRBlocks: 0
; NumSGPRsForWavesPerEU: 4
; NumVGPRsForWavesPerEU: 1
; AccumOffset: 4
; Occupancy: 8
; WaveLimiterHint : 0
; COMPUTE_PGM_RSRC2:SCRATCH_EN: 0
; COMPUTE_PGM_RSRC2:USER_SGPR: 6
; COMPUTE_PGM_RSRC2:TRAP_HANDLER: 0
; COMPUTE_PGM_RSRC2:TGID_X_EN: 1
; COMPUTE_PGM_RSRC2:TGID_Y_EN: 0
; COMPUTE_PGM_RSRC2:TGID_Z_EN: 0
; COMPUTE_PGM_RSRC2:TIDIG_COMP_CNT: 0
; COMPUTE_PGM_RSRC3_GFX90A:ACCUM_OFFSET: 0
; COMPUTE_PGM_RSRC3_GFX90A:TG_SPLIT: 0
	.section	.text._ZN7rocprim17ROCPRIM_400000_NS6detail17trampoline_kernelINS0_14default_configENS1_35radix_sort_onesweep_config_selectorIdNS0_10empty_typeEEEZZNS1_29radix_sort_onesweep_iterationIS3_Lb0EPdS8_PS5_S9_mNS0_19identity_decomposerENS1_16block_id_wrapperIjLb1EEEEE10hipError_tT1_PNSt15iterator_traitsISE_E10value_typeET2_T3_PNSF_ISK_E10value_typeET4_T5_PSP_SQ_PNS1_23onesweep_lookback_stateEbbT6_jjT7_P12ihipStream_tbENKUlT_T0_SE_SJ_E_clIS8_S8_S9_S9_EEDaSX_SY_SE_SJ_EUlSX_E_NS1_11comp_targetILNS1_3genE0ELNS1_11target_archE4294967295ELNS1_3gpuE0ELNS1_3repE0EEENS1_47radix_sort_onesweep_sort_config_static_selectorELNS0_4arch9wavefront6targetE1EEEvSE_,"axG",@progbits,_ZN7rocprim17ROCPRIM_400000_NS6detail17trampoline_kernelINS0_14default_configENS1_35radix_sort_onesweep_config_selectorIdNS0_10empty_typeEEEZZNS1_29radix_sort_onesweep_iterationIS3_Lb0EPdS8_PS5_S9_mNS0_19identity_decomposerENS1_16block_id_wrapperIjLb1EEEEE10hipError_tT1_PNSt15iterator_traitsISE_E10value_typeET2_T3_PNSF_ISK_E10value_typeET4_T5_PSP_SQ_PNS1_23onesweep_lookback_stateEbbT6_jjT7_P12ihipStream_tbENKUlT_T0_SE_SJ_E_clIS8_S8_S9_S9_EEDaSX_SY_SE_SJ_EUlSX_E_NS1_11comp_targetILNS1_3genE0ELNS1_11target_archE4294967295ELNS1_3gpuE0ELNS1_3repE0EEENS1_47radix_sort_onesweep_sort_config_static_selectorELNS0_4arch9wavefront6targetE1EEEvSE_,comdat
	.protected	_ZN7rocprim17ROCPRIM_400000_NS6detail17trampoline_kernelINS0_14default_configENS1_35radix_sort_onesweep_config_selectorIdNS0_10empty_typeEEEZZNS1_29radix_sort_onesweep_iterationIS3_Lb0EPdS8_PS5_S9_mNS0_19identity_decomposerENS1_16block_id_wrapperIjLb1EEEEE10hipError_tT1_PNSt15iterator_traitsISE_E10value_typeET2_T3_PNSF_ISK_E10value_typeET4_T5_PSP_SQ_PNS1_23onesweep_lookback_stateEbbT6_jjT7_P12ihipStream_tbENKUlT_T0_SE_SJ_E_clIS8_S8_S9_S9_EEDaSX_SY_SE_SJ_EUlSX_E_NS1_11comp_targetILNS1_3genE0ELNS1_11target_archE4294967295ELNS1_3gpuE0ELNS1_3repE0EEENS1_47radix_sort_onesweep_sort_config_static_selectorELNS0_4arch9wavefront6targetE1EEEvSE_ ; -- Begin function _ZN7rocprim17ROCPRIM_400000_NS6detail17trampoline_kernelINS0_14default_configENS1_35radix_sort_onesweep_config_selectorIdNS0_10empty_typeEEEZZNS1_29radix_sort_onesweep_iterationIS3_Lb0EPdS8_PS5_S9_mNS0_19identity_decomposerENS1_16block_id_wrapperIjLb1EEEEE10hipError_tT1_PNSt15iterator_traitsISE_E10value_typeET2_T3_PNSF_ISK_E10value_typeET4_T5_PSP_SQ_PNS1_23onesweep_lookback_stateEbbT6_jjT7_P12ihipStream_tbENKUlT_T0_SE_SJ_E_clIS8_S8_S9_S9_EEDaSX_SY_SE_SJ_EUlSX_E_NS1_11comp_targetILNS1_3genE0ELNS1_11target_archE4294967295ELNS1_3gpuE0ELNS1_3repE0EEENS1_47radix_sort_onesweep_sort_config_static_selectorELNS0_4arch9wavefront6targetE1EEEvSE_
	.globl	_ZN7rocprim17ROCPRIM_400000_NS6detail17trampoline_kernelINS0_14default_configENS1_35radix_sort_onesweep_config_selectorIdNS0_10empty_typeEEEZZNS1_29radix_sort_onesweep_iterationIS3_Lb0EPdS8_PS5_S9_mNS0_19identity_decomposerENS1_16block_id_wrapperIjLb1EEEEE10hipError_tT1_PNSt15iterator_traitsISE_E10value_typeET2_T3_PNSF_ISK_E10value_typeET4_T5_PSP_SQ_PNS1_23onesweep_lookback_stateEbbT6_jjT7_P12ihipStream_tbENKUlT_T0_SE_SJ_E_clIS8_S8_S9_S9_EEDaSX_SY_SE_SJ_EUlSX_E_NS1_11comp_targetILNS1_3genE0ELNS1_11target_archE4294967295ELNS1_3gpuE0ELNS1_3repE0EEENS1_47radix_sort_onesweep_sort_config_static_selectorELNS0_4arch9wavefront6targetE1EEEvSE_
	.p2align	8
	.type	_ZN7rocprim17ROCPRIM_400000_NS6detail17trampoline_kernelINS0_14default_configENS1_35radix_sort_onesweep_config_selectorIdNS0_10empty_typeEEEZZNS1_29radix_sort_onesweep_iterationIS3_Lb0EPdS8_PS5_S9_mNS0_19identity_decomposerENS1_16block_id_wrapperIjLb1EEEEE10hipError_tT1_PNSt15iterator_traitsISE_E10value_typeET2_T3_PNSF_ISK_E10value_typeET4_T5_PSP_SQ_PNS1_23onesweep_lookback_stateEbbT6_jjT7_P12ihipStream_tbENKUlT_T0_SE_SJ_E_clIS8_S8_S9_S9_EEDaSX_SY_SE_SJ_EUlSX_E_NS1_11comp_targetILNS1_3genE0ELNS1_11target_archE4294967295ELNS1_3gpuE0ELNS1_3repE0EEENS1_47radix_sort_onesweep_sort_config_static_selectorELNS0_4arch9wavefront6targetE1EEEvSE_,@function
_ZN7rocprim17ROCPRIM_400000_NS6detail17trampoline_kernelINS0_14default_configENS1_35radix_sort_onesweep_config_selectorIdNS0_10empty_typeEEEZZNS1_29radix_sort_onesweep_iterationIS3_Lb0EPdS8_PS5_S9_mNS0_19identity_decomposerENS1_16block_id_wrapperIjLb1EEEEE10hipError_tT1_PNSt15iterator_traitsISE_E10value_typeET2_T3_PNSF_ISK_E10value_typeET4_T5_PSP_SQ_PNS1_23onesweep_lookback_stateEbbT6_jjT7_P12ihipStream_tbENKUlT_T0_SE_SJ_E_clIS8_S8_S9_S9_EEDaSX_SY_SE_SJ_EUlSX_E_NS1_11comp_targetILNS1_3genE0ELNS1_11target_archE4294967295ELNS1_3gpuE0ELNS1_3repE0EEENS1_47radix_sort_onesweep_sort_config_static_selectorELNS0_4arch9wavefront6targetE1EEEvSE_: ; @_ZN7rocprim17ROCPRIM_400000_NS6detail17trampoline_kernelINS0_14default_configENS1_35radix_sort_onesweep_config_selectorIdNS0_10empty_typeEEEZZNS1_29radix_sort_onesweep_iterationIS3_Lb0EPdS8_PS5_S9_mNS0_19identity_decomposerENS1_16block_id_wrapperIjLb1EEEEE10hipError_tT1_PNSt15iterator_traitsISE_E10value_typeET2_T3_PNSF_ISK_E10value_typeET4_T5_PSP_SQ_PNS1_23onesweep_lookback_stateEbbT6_jjT7_P12ihipStream_tbENKUlT_T0_SE_SJ_E_clIS8_S8_S9_S9_EEDaSX_SY_SE_SJ_EUlSX_E_NS1_11comp_targetILNS1_3genE0ELNS1_11target_archE4294967295ELNS1_3gpuE0ELNS1_3repE0EEENS1_47radix_sort_onesweep_sort_config_static_selectorELNS0_4arch9wavefront6targetE1EEEvSE_
; %bb.0:
	.section	.rodata,"a",@progbits
	.p2align	6, 0x0
	.amdhsa_kernel _ZN7rocprim17ROCPRIM_400000_NS6detail17trampoline_kernelINS0_14default_configENS1_35radix_sort_onesweep_config_selectorIdNS0_10empty_typeEEEZZNS1_29radix_sort_onesweep_iterationIS3_Lb0EPdS8_PS5_S9_mNS0_19identity_decomposerENS1_16block_id_wrapperIjLb1EEEEE10hipError_tT1_PNSt15iterator_traitsISE_E10value_typeET2_T3_PNSF_ISK_E10value_typeET4_T5_PSP_SQ_PNS1_23onesweep_lookback_stateEbbT6_jjT7_P12ihipStream_tbENKUlT_T0_SE_SJ_E_clIS8_S8_S9_S9_EEDaSX_SY_SE_SJ_EUlSX_E_NS1_11comp_targetILNS1_3genE0ELNS1_11target_archE4294967295ELNS1_3gpuE0ELNS1_3repE0EEENS1_47radix_sort_onesweep_sort_config_static_selectorELNS0_4arch9wavefront6targetE1EEEvSE_
		.amdhsa_group_segment_fixed_size 0
		.amdhsa_private_segment_fixed_size 0
		.amdhsa_kernarg_size 88
		.amdhsa_user_sgpr_count 6
		.amdhsa_user_sgpr_private_segment_buffer 1
		.amdhsa_user_sgpr_dispatch_ptr 0
		.amdhsa_user_sgpr_queue_ptr 0
		.amdhsa_user_sgpr_kernarg_segment_ptr 1
		.amdhsa_user_sgpr_dispatch_id 0
		.amdhsa_user_sgpr_flat_scratch_init 0
		.amdhsa_user_sgpr_kernarg_preload_length 0
		.amdhsa_user_sgpr_kernarg_preload_offset 0
		.amdhsa_user_sgpr_private_segment_size 0
		.amdhsa_uses_dynamic_stack 0
		.amdhsa_system_sgpr_private_segment_wavefront_offset 0
		.amdhsa_system_sgpr_workgroup_id_x 1
		.amdhsa_system_sgpr_workgroup_id_y 0
		.amdhsa_system_sgpr_workgroup_id_z 0
		.amdhsa_system_sgpr_workgroup_info 0
		.amdhsa_system_vgpr_workitem_id 0
		.amdhsa_next_free_vgpr 1
		.amdhsa_next_free_sgpr 0
		.amdhsa_accum_offset 4
		.amdhsa_reserve_vcc 0
		.amdhsa_reserve_flat_scratch 0
		.amdhsa_float_round_mode_32 0
		.amdhsa_float_round_mode_16_64 0
		.amdhsa_float_denorm_mode_32 3
		.amdhsa_float_denorm_mode_16_64 3
		.amdhsa_dx10_clamp 1
		.amdhsa_ieee_mode 1
		.amdhsa_fp16_overflow 0
		.amdhsa_tg_split 0
		.amdhsa_exception_fp_ieee_invalid_op 0
		.amdhsa_exception_fp_denorm_src 0
		.amdhsa_exception_fp_ieee_div_zero 0
		.amdhsa_exception_fp_ieee_overflow 0
		.amdhsa_exception_fp_ieee_underflow 0
		.amdhsa_exception_fp_ieee_inexact 0
		.amdhsa_exception_int_div_zero 0
	.end_amdhsa_kernel
	.section	.text._ZN7rocprim17ROCPRIM_400000_NS6detail17trampoline_kernelINS0_14default_configENS1_35radix_sort_onesweep_config_selectorIdNS0_10empty_typeEEEZZNS1_29radix_sort_onesweep_iterationIS3_Lb0EPdS8_PS5_S9_mNS0_19identity_decomposerENS1_16block_id_wrapperIjLb1EEEEE10hipError_tT1_PNSt15iterator_traitsISE_E10value_typeET2_T3_PNSF_ISK_E10value_typeET4_T5_PSP_SQ_PNS1_23onesweep_lookback_stateEbbT6_jjT7_P12ihipStream_tbENKUlT_T0_SE_SJ_E_clIS8_S8_S9_S9_EEDaSX_SY_SE_SJ_EUlSX_E_NS1_11comp_targetILNS1_3genE0ELNS1_11target_archE4294967295ELNS1_3gpuE0ELNS1_3repE0EEENS1_47radix_sort_onesweep_sort_config_static_selectorELNS0_4arch9wavefront6targetE1EEEvSE_,"axG",@progbits,_ZN7rocprim17ROCPRIM_400000_NS6detail17trampoline_kernelINS0_14default_configENS1_35radix_sort_onesweep_config_selectorIdNS0_10empty_typeEEEZZNS1_29radix_sort_onesweep_iterationIS3_Lb0EPdS8_PS5_S9_mNS0_19identity_decomposerENS1_16block_id_wrapperIjLb1EEEEE10hipError_tT1_PNSt15iterator_traitsISE_E10value_typeET2_T3_PNSF_ISK_E10value_typeET4_T5_PSP_SQ_PNS1_23onesweep_lookback_stateEbbT6_jjT7_P12ihipStream_tbENKUlT_T0_SE_SJ_E_clIS8_S8_S9_S9_EEDaSX_SY_SE_SJ_EUlSX_E_NS1_11comp_targetILNS1_3genE0ELNS1_11target_archE4294967295ELNS1_3gpuE0ELNS1_3repE0EEENS1_47radix_sort_onesweep_sort_config_static_selectorELNS0_4arch9wavefront6targetE1EEEvSE_,comdat
.Lfunc_end1372:
	.size	_ZN7rocprim17ROCPRIM_400000_NS6detail17trampoline_kernelINS0_14default_configENS1_35radix_sort_onesweep_config_selectorIdNS0_10empty_typeEEEZZNS1_29radix_sort_onesweep_iterationIS3_Lb0EPdS8_PS5_S9_mNS0_19identity_decomposerENS1_16block_id_wrapperIjLb1EEEEE10hipError_tT1_PNSt15iterator_traitsISE_E10value_typeET2_T3_PNSF_ISK_E10value_typeET4_T5_PSP_SQ_PNS1_23onesweep_lookback_stateEbbT6_jjT7_P12ihipStream_tbENKUlT_T0_SE_SJ_E_clIS8_S8_S9_S9_EEDaSX_SY_SE_SJ_EUlSX_E_NS1_11comp_targetILNS1_3genE0ELNS1_11target_archE4294967295ELNS1_3gpuE0ELNS1_3repE0EEENS1_47radix_sort_onesweep_sort_config_static_selectorELNS0_4arch9wavefront6targetE1EEEvSE_, .Lfunc_end1372-_ZN7rocprim17ROCPRIM_400000_NS6detail17trampoline_kernelINS0_14default_configENS1_35radix_sort_onesweep_config_selectorIdNS0_10empty_typeEEEZZNS1_29radix_sort_onesweep_iterationIS3_Lb0EPdS8_PS5_S9_mNS0_19identity_decomposerENS1_16block_id_wrapperIjLb1EEEEE10hipError_tT1_PNSt15iterator_traitsISE_E10value_typeET2_T3_PNSF_ISK_E10value_typeET4_T5_PSP_SQ_PNS1_23onesweep_lookback_stateEbbT6_jjT7_P12ihipStream_tbENKUlT_T0_SE_SJ_E_clIS8_S8_S9_S9_EEDaSX_SY_SE_SJ_EUlSX_E_NS1_11comp_targetILNS1_3genE0ELNS1_11target_archE4294967295ELNS1_3gpuE0ELNS1_3repE0EEENS1_47radix_sort_onesweep_sort_config_static_selectorELNS0_4arch9wavefront6targetE1EEEvSE_
                                        ; -- End function
	.section	.AMDGPU.csdata,"",@progbits
; Kernel info:
; codeLenInByte = 0
; NumSgprs: 4
; NumVgprs: 0
; NumAgprs: 0
; TotalNumVgprs: 0
; ScratchSize: 0
; MemoryBound: 0
; FloatMode: 240
; IeeeMode: 1
; LDSByteSize: 0 bytes/workgroup (compile time only)
; SGPRBlocks: 0
; VGPRBlocks: 0
; NumSGPRsForWavesPerEU: 4
; NumVGPRsForWavesPerEU: 1
; AccumOffset: 4
; Occupancy: 8
; WaveLimiterHint : 0
; COMPUTE_PGM_RSRC2:SCRATCH_EN: 0
; COMPUTE_PGM_RSRC2:USER_SGPR: 6
; COMPUTE_PGM_RSRC2:TRAP_HANDLER: 0
; COMPUTE_PGM_RSRC2:TGID_X_EN: 1
; COMPUTE_PGM_RSRC2:TGID_Y_EN: 0
; COMPUTE_PGM_RSRC2:TGID_Z_EN: 0
; COMPUTE_PGM_RSRC2:TIDIG_COMP_CNT: 0
; COMPUTE_PGM_RSRC3_GFX90A:ACCUM_OFFSET: 0
; COMPUTE_PGM_RSRC3_GFX90A:TG_SPLIT: 0
	.section	.text._ZN7rocprim17ROCPRIM_400000_NS6detail17trampoline_kernelINS0_14default_configENS1_35radix_sort_onesweep_config_selectorIdNS0_10empty_typeEEEZZNS1_29radix_sort_onesweep_iterationIS3_Lb0EPdS8_PS5_S9_mNS0_19identity_decomposerENS1_16block_id_wrapperIjLb1EEEEE10hipError_tT1_PNSt15iterator_traitsISE_E10value_typeET2_T3_PNSF_ISK_E10value_typeET4_T5_PSP_SQ_PNS1_23onesweep_lookback_stateEbbT6_jjT7_P12ihipStream_tbENKUlT_T0_SE_SJ_E_clIS8_S8_S9_S9_EEDaSX_SY_SE_SJ_EUlSX_E_NS1_11comp_targetILNS1_3genE6ELNS1_11target_archE950ELNS1_3gpuE13ELNS1_3repE0EEENS1_47radix_sort_onesweep_sort_config_static_selectorELNS0_4arch9wavefront6targetE1EEEvSE_,"axG",@progbits,_ZN7rocprim17ROCPRIM_400000_NS6detail17trampoline_kernelINS0_14default_configENS1_35radix_sort_onesweep_config_selectorIdNS0_10empty_typeEEEZZNS1_29radix_sort_onesweep_iterationIS3_Lb0EPdS8_PS5_S9_mNS0_19identity_decomposerENS1_16block_id_wrapperIjLb1EEEEE10hipError_tT1_PNSt15iterator_traitsISE_E10value_typeET2_T3_PNSF_ISK_E10value_typeET4_T5_PSP_SQ_PNS1_23onesweep_lookback_stateEbbT6_jjT7_P12ihipStream_tbENKUlT_T0_SE_SJ_E_clIS8_S8_S9_S9_EEDaSX_SY_SE_SJ_EUlSX_E_NS1_11comp_targetILNS1_3genE6ELNS1_11target_archE950ELNS1_3gpuE13ELNS1_3repE0EEENS1_47radix_sort_onesweep_sort_config_static_selectorELNS0_4arch9wavefront6targetE1EEEvSE_,comdat
	.protected	_ZN7rocprim17ROCPRIM_400000_NS6detail17trampoline_kernelINS0_14default_configENS1_35radix_sort_onesweep_config_selectorIdNS0_10empty_typeEEEZZNS1_29radix_sort_onesweep_iterationIS3_Lb0EPdS8_PS5_S9_mNS0_19identity_decomposerENS1_16block_id_wrapperIjLb1EEEEE10hipError_tT1_PNSt15iterator_traitsISE_E10value_typeET2_T3_PNSF_ISK_E10value_typeET4_T5_PSP_SQ_PNS1_23onesweep_lookback_stateEbbT6_jjT7_P12ihipStream_tbENKUlT_T0_SE_SJ_E_clIS8_S8_S9_S9_EEDaSX_SY_SE_SJ_EUlSX_E_NS1_11comp_targetILNS1_3genE6ELNS1_11target_archE950ELNS1_3gpuE13ELNS1_3repE0EEENS1_47radix_sort_onesweep_sort_config_static_selectorELNS0_4arch9wavefront6targetE1EEEvSE_ ; -- Begin function _ZN7rocprim17ROCPRIM_400000_NS6detail17trampoline_kernelINS0_14default_configENS1_35radix_sort_onesweep_config_selectorIdNS0_10empty_typeEEEZZNS1_29radix_sort_onesweep_iterationIS3_Lb0EPdS8_PS5_S9_mNS0_19identity_decomposerENS1_16block_id_wrapperIjLb1EEEEE10hipError_tT1_PNSt15iterator_traitsISE_E10value_typeET2_T3_PNSF_ISK_E10value_typeET4_T5_PSP_SQ_PNS1_23onesweep_lookback_stateEbbT6_jjT7_P12ihipStream_tbENKUlT_T0_SE_SJ_E_clIS8_S8_S9_S9_EEDaSX_SY_SE_SJ_EUlSX_E_NS1_11comp_targetILNS1_3genE6ELNS1_11target_archE950ELNS1_3gpuE13ELNS1_3repE0EEENS1_47radix_sort_onesweep_sort_config_static_selectorELNS0_4arch9wavefront6targetE1EEEvSE_
	.globl	_ZN7rocprim17ROCPRIM_400000_NS6detail17trampoline_kernelINS0_14default_configENS1_35radix_sort_onesweep_config_selectorIdNS0_10empty_typeEEEZZNS1_29radix_sort_onesweep_iterationIS3_Lb0EPdS8_PS5_S9_mNS0_19identity_decomposerENS1_16block_id_wrapperIjLb1EEEEE10hipError_tT1_PNSt15iterator_traitsISE_E10value_typeET2_T3_PNSF_ISK_E10value_typeET4_T5_PSP_SQ_PNS1_23onesweep_lookback_stateEbbT6_jjT7_P12ihipStream_tbENKUlT_T0_SE_SJ_E_clIS8_S8_S9_S9_EEDaSX_SY_SE_SJ_EUlSX_E_NS1_11comp_targetILNS1_3genE6ELNS1_11target_archE950ELNS1_3gpuE13ELNS1_3repE0EEENS1_47radix_sort_onesweep_sort_config_static_selectorELNS0_4arch9wavefront6targetE1EEEvSE_
	.p2align	8
	.type	_ZN7rocprim17ROCPRIM_400000_NS6detail17trampoline_kernelINS0_14default_configENS1_35radix_sort_onesweep_config_selectorIdNS0_10empty_typeEEEZZNS1_29radix_sort_onesweep_iterationIS3_Lb0EPdS8_PS5_S9_mNS0_19identity_decomposerENS1_16block_id_wrapperIjLb1EEEEE10hipError_tT1_PNSt15iterator_traitsISE_E10value_typeET2_T3_PNSF_ISK_E10value_typeET4_T5_PSP_SQ_PNS1_23onesweep_lookback_stateEbbT6_jjT7_P12ihipStream_tbENKUlT_T0_SE_SJ_E_clIS8_S8_S9_S9_EEDaSX_SY_SE_SJ_EUlSX_E_NS1_11comp_targetILNS1_3genE6ELNS1_11target_archE950ELNS1_3gpuE13ELNS1_3repE0EEENS1_47radix_sort_onesweep_sort_config_static_selectorELNS0_4arch9wavefront6targetE1EEEvSE_,@function
_ZN7rocprim17ROCPRIM_400000_NS6detail17trampoline_kernelINS0_14default_configENS1_35radix_sort_onesweep_config_selectorIdNS0_10empty_typeEEEZZNS1_29radix_sort_onesweep_iterationIS3_Lb0EPdS8_PS5_S9_mNS0_19identity_decomposerENS1_16block_id_wrapperIjLb1EEEEE10hipError_tT1_PNSt15iterator_traitsISE_E10value_typeET2_T3_PNSF_ISK_E10value_typeET4_T5_PSP_SQ_PNS1_23onesweep_lookback_stateEbbT6_jjT7_P12ihipStream_tbENKUlT_T0_SE_SJ_E_clIS8_S8_S9_S9_EEDaSX_SY_SE_SJ_EUlSX_E_NS1_11comp_targetILNS1_3genE6ELNS1_11target_archE950ELNS1_3gpuE13ELNS1_3repE0EEENS1_47radix_sort_onesweep_sort_config_static_selectorELNS0_4arch9wavefront6targetE1EEEvSE_: ; @_ZN7rocprim17ROCPRIM_400000_NS6detail17trampoline_kernelINS0_14default_configENS1_35radix_sort_onesweep_config_selectorIdNS0_10empty_typeEEEZZNS1_29radix_sort_onesweep_iterationIS3_Lb0EPdS8_PS5_S9_mNS0_19identity_decomposerENS1_16block_id_wrapperIjLb1EEEEE10hipError_tT1_PNSt15iterator_traitsISE_E10value_typeET2_T3_PNSF_ISK_E10value_typeET4_T5_PSP_SQ_PNS1_23onesweep_lookback_stateEbbT6_jjT7_P12ihipStream_tbENKUlT_T0_SE_SJ_E_clIS8_S8_S9_S9_EEDaSX_SY_SE_SJ_EUlSX_E_NS1_11comp_targetILNS1_3genE6ELNS1_11target_archE950ELNS1_3gpuE13ELNS1_3repE0EEENS1_47radix_sort_onesweep_sort_config_static_selectorELNS0_4arch9wavefront6targetE1EEEvSE_
; %bb.0:
	.section	.rodata,"a",@progbits
	.p2align	6, 0x0
	.amdhsa_kernel _ZN7rocprim17ROCPRIM_400000_NS6detail17trampoline_kernelINS0_14default_configENS1_35radix_sort_onesweep_config_selectorIdNS0_10empty_typeEEEZZNS1_29radix_sort_onesweep_iterationIS3_Lb0EPdS8_PS5_S9_mNS0_19identity_decomposerENS1_16block_id_wrapperIjLb1EEEEE10hipError_tT1_PNSt15iterator_traitsISE_E10value_typeET2_T3_PNSF_ISK_E10value_typeET4_T5_PSP_SQ_PNS1_23onesweep_lookback_stateEbbT6_jjT7_P12ihipStream_tbENKUlT_T0_SE_SJ_E_clIS8_S8_S9_S9_EEDaSX_SY_SE_SJ_EUlSX_E_NS1_11comp_targetILNS1_3genE6ELNS1_11target_archE950ELNS1_3gpuE13ELNS1_3repE0EEENS1_47radix_sort_onesweep_sort_config_static_selectorELNS0_4arch9wavefront6targetE1EEEvSE_
		.amdhsa_group_segment_fixed_size 0
		.amdhsa_private_segment_fixed_size 0
		.amdhsa_kernarg_size 88
		.amdhsa_user_sgpr_count 6
		.amdhsa_user_sgpr_private_segment_buffer 1
		.amdhsa_user_sgpr_dispatch_ptr 0
		.amdhsa_user_sgpr_queue_ptr 0
		.amdhsa_user_sgpr_kernarg_segment_ptr 1
		.amdhsa_user_sgpr_dispatch_id 0
		.amdhsa_user_sgpr_flat_scratch_init 0
		.amdhsa_user_sgpr_kernarg_preload_length 0
		.amdhsa_user_sgpr_kernarg_preload_offset 0
		.amdhsa_user_sgpr_private_segment_size 0
		.amdhsa_uses_dynamic_stack 0
		.amdhsa_system_sgpr_private_segment_wavefront_offset 0
		.amdhsa_system_sgpr_workgroup_id_x 1
		.amdhsa_system_sgpr_workgroup_id_y 0
		.amdhsa_system_sgpr_workgroup_id_z 0
		.amdhsa_system_sgpr_workgroup_info 0
		.amdhsa_system_vgpr_workitem_id 0
		.amdhsa_next_free_vgpr 1
		.amdhsa_next_free_sgpr 0
		.amdhsa_accum_offset 4
		.amdhsa_reserve_vcc 0
		.amdhsa_reserve_flat_scratch 0
		.amdhsa_float_round_mode_32 0
		.amdhsa_float_round_mode_16_64 0
		.amdhsa_float_denorm_mode_32 3
		.amdhsa_float_denorm_mode_16_64 3
		.amdhsa_dx10_clamp 1
		.amdhsa_ieee_mode 1
		.amdhsa_fp16_overflow 0
		.amdhsa_tg_split 0
		.amdhsa_exception_fp_ieee_invalid_op 0
		.amdhsa_exception_fp_denorm_src 0
		.amdhsa_exception_fp_ieee_div_zero 0
		.amdhsa_exception_fp_ieee_overflow 0
		.amdhsa_exception_fp_ieee_underflow 0
		.amdhsa_exception_fp_ieee_inexact 0
		.amdhsa_exception_int_div_zero 0
	.end_amdhsa_kernel
	.section	.text._ZN7rocprim17ROCPRIM_400000_NS6detail17trampoline_kernelINS0_14default_configENS1_35radix_sort_onesweep_config_selectorIdNS0_10empty_typeEEEZZNS1_29radix_sort_onesweep_iterationIS3_Lb0EPdS8_PS5_S9_mNS0_19identity_decomposerENS1_16block_id_wrapperIjLb1EEEEE10hipError_tT1_PNSt15iterator_traitsISE_E10value_typeET2_T3_PNSF_ISK_E10value_typeET4_T5_PSP_SQ_PNS1_23onesweep_lookback_stateEbbT6_jjT7_P12ihipStream_tbENKUlT_T0_SE_SJ_E_clIS8_S8_S9_S9_EEDaSX_SY_SE_SJ_EUlSX_E_NS1_11comp_targetILNS1_3genE6ELNS1_11target_archE950ELNS1_3gpuE13ELNS1_3repE0EEENS1_47radix_sort_onesweep_sort_config_static_selectorELNS0_4arch9wavefront6targetE1EEEvSE_,"axG",@progbits,_ZN7rocprim17ROCPRIM_400000_NS6detail17trampoline_kernelINS0_14default_configENS1_35radix_sort_onesweep_config_selectorIdNS0_10empty_typeEEEZZNS1_29radix_sort_onesweep_iterationIS3_Lb0EPdS8_PS5_S9_mNS0_19identity_decomposerENS1_16block_id_wrapperIjLb1EEEEE10hipError_tT1_PNSt15iterator_traitsISE_E10value_typeET2_T3_PNSF_ISK_E10value_typeET4_T5_PSP_SQ_PNS1_23onesweep_lookback_stateEbbT6_jjT7_P12ihipStream_tbENKUlT_T0_SE_SJ_E_clIS8_S8_S9_S9_EEDaSX_SY_SE_SJ_EUlSX_E_NS1_11comp_targetILNS1_3genE6ELNS1_11target_archE950ELNS1_3gpuE13ELNS1_3repE0EEENS1_47radix_sort_onesweep_sort_config_static_selectorELNS0_4arch9wavefront6targetE1EEEvSE_,comdat
.Lfunc_end1373:
	.size	_ZN7rocprim17ROCPRIM_400000_NS6detail17trampoline_kernelINS0_14default_configENS1_35radix_sort_onesweep_config_selectorIdNS0_10empty_typeEEEZZNS1_29radix_sort_onesweep_iterationIS3_Lb0EPdS8_PS5_S9_mNS0_19identity_decomposerENS1_16block_id_wrapperIjLb1EEEEE10hipError_tT1_PNSt15iterator_traitsISE_E10value_typeET2_T3_PNSF_ISK_E10value_typeET4_T5_PSP_SQ_PNS1_23onesweep_lookback_stateEbbT6_jjT7_P12ihipStream_tbENKUlT_T0_SE_SJ_E_clIS8_S8_S9_S9_EEDaSX_SY_SE_SJ_EUlSX_E_NS1_11comp_targetILNS1_3genE6ELNS1_11target_archE950ELNS1_3gpuE13ELNS1_3repE0EEENS1_47radix_sort_onesweep_sort_config_static_selectorELNS0_4arch9wavefront6targetE1EEEvSE_, .Lfunc_end1373-_ZN7rocprim17ROCPRIM_400000_NS6detail17trampoline_kernelINS0_14default_configENS1_35radix_sort_onesweep_config_selectorIdNS0_10empty_typeEEEZZNS1_29radix_sort_onesweep_iterationIS3_Lb0EPdS8_PS5_S9_mNS0_19identity_decomposerENS1_16block_id_wrapperIjLb1EEEEE10hipError_tT1_PNSt15iterator_traitsISE_E10value_typeET2_T3_PNSF_ISK_E10value_typeET4_T5_PSP_SQ_PNS1_23onesweep_lookback_stateEbbT6_jjT7_P12ihipStream_tbENKUlT_T0_SE_SJ_E_clIS8_S8_S9_S9_EEDaSX_SY_SE_SJ_EUlSX_E_NS1_11comp_targetILNS1_3genE6ELNS1_11target_archE950ELNS1_3gpuE13ELNS1_3repE0EEENS1_47radix_sort_onesweep_sort_config_static_selectorELNS0_4arch9wavefront6targetE1EEEvSE_
                                        ; -- End function
	.section	.AMDGPU.csdata,"",@progbits
; Kernel info:
; codeLenInByte = 0
; NumSgprs: 4
; NumVgprs: 0
; NumAgprs: 0
; TotalNumVgprs: 0
; ScratchSize: 0
; MemoryBound: 0
; FloatMode: 240
; IeeeMode: 1
; LDSByteSize: 0 bytes/workgroup (compile time only)
; SGPRBlocks: 0
; VGPRBlocks: 0
; NumSGPRsForWavesPerEU: 4
; NumVGPRsForWavesPerEU: 1
; AccumOffset: 4
; Occupancy: 8
; WaveLimiterHint : 0
; COMPUTE_PGM_RSRC2:SCRATCH_EN: 0
; COMPUTE_PGM_RSRC2:USER_SGPR: 6
; COMPUTE_PGM_RSRC2:TRAP_HANDLER: 0
; COMPUTE_PGM_RSRC2:TGID_X_EN: 1
; COMPUTE_PGM_RSRC2:TGID_Y_EN: 0
; COMPUTE_PGM_RSRC2:TGID_Z_EN: 0
; COMPUTE_PGM_RSRC2:TIDIG_COMP_CNT: 0
; COMPUTE_PGM_RSRC3_GFX90A:ACCUM_OFFSET: 0
; COMPUTE_PGM_RSRC3_GFX90A:TG_SPLIT: 0
	.section	.text._ZN7rocprim17ROCPRIM_400000_NS6detail17trampoline_kernelINS0_14default_configENS1_35radix_sort_onesweep_config_selectorIdNS0_10empty_typeEEEZZNS1_29radix_sort_onesweep_iterationIS3_Lb0EPdS8_PS5_S9_mNS0_19identity_decomposerENS1_16block_id_wrapperIjLb1EEEEE10hipError_tT1_PNSt15iterator_traitsISE_E10value_typeET2_T3_PNSF_ISK_E10value_typeET4_T5_PSP_SQ_PNS1_23onesweep_lookback_stateEbbT6_jjT7_P12ihipStream_tbENKUlT_T0_SE_SJ_E_clIS8_S8_S9_S9_EEDaSX_SY_SE_SJ_EUlSX_E_NS1_11comp_targetILNS1_3genE5ELNS1_11target_archE942ELNS1_3gpuE9ELNS1_3repE0EEENS1_47radix_sort_onesweep_sort_config_static_selectorELNS0_4arch9wavefront6targetE1EEEvSE_,"axG",@progbits,_ZN7rocprim17ROCPRIM_400000_NS6detail17trampoline_kernelINS0_14default_configENS1_35radix_sort_onesweep_config_selectorIdNS0_10empty_typeEEEZZNS1_29radix_sort_onesweep_iterationIS3_Lb0EPdS8_PS5_S9_mNS0_19identity_decomposerENS1_16block_id_wrapperIjLb1EEEEE10hipError_tT1_PNSt15iterator_traitsISE_E10value_typeET2_T3_PNSF_ISK_E10value_typeET4_T5_PSP_SQ_PNS1_23onesweep_lookback_stateEbbT6_jjT7_P12ihipStream_tbENKUlT_T0_SE_SJ_E_clIS8_S8_S9_S9_EEDaSX_SY_SE_SJ_EUlSX_E_NS1_11comp_targetILNS1_3genE5ELNS1_11target_archE942ELNS1_3gpuE9ELNS1_3repE0EEENS1_47radix_sort_onesweep_sort_config_static_selectorELNS0_4arch9wavefront6targetE1EEEvSE_,comdat
	.protected	_ZN7rocprim17ROCPRIM_400000_NS6detail17trampoline_kernelINS0_14default_configENS1_35radix_sort_onesweep_config_selectorIdNS0_10empty_typeEEEZZNS1_29radix_sort_onesweep_iterationIS3_Lb0EPdS8_PS5_S9_mNS0_19identity_decomposerENS1_16block_id_wrapperIjLb1EEEEE10hipError_tT1_PNSt15iterator_traitsISE_E10value_typeET2_T3_PNSF_ISK_E10value_typeET4_T5_PSP_SQ_PNS1_23onesweep_lookback_stateEbbT6_jjT7_P12ihipStream_tbENKUlT_T0_SE_SJ_E_clIS8_S8_S9_S9_EEDaSX_SY_SE_SJ_EUlSX_E_NS1_11comp_targetILNS1_3genE5ELNS1_11target_archE942ELNS1_3gpuE9ELNS1_3repE0EEENS1_47radix_sort_onesweep_sort_config_static_selectorELNS0_4arch9wavefront6targetE1EEEvSE_ ; -- Begin function _ZN7rocprim17ROCPRIM_400000_NS6detail17trampoline_kernelINS0_14default_configENS1_35radix_sort_onesweep_config_selectorIdNS0_10empty_typeEEEZZNS1_29radix_sort_onesweep_iterationIS3_Lb0EPdS8_PS5_S9_mNS0_19identity_decomposerENS1_16block_id_wrapperIjLb1EEEEE10hipError_tT1_PNSt15iterator_traitsISE_E10value_typeET2_T3_PNSF_ISK_E10value_typeET4_T5_PSP_SQ_PNS1_23onesweep_lookback_stateEbbT6_jjT7_P12ihipStream_tbENKUlT_T0_SE_SJ_E_clIS8_S8_S9_S9_EEDaSX_SY_SE_SJ_EUlSX_E_NS1_11comp_targetILNS1_3genE5ELNS1_11target_archE942ELNS1_3gpuE9ELNS1_3repE0EEENS1_47radix_sort_onesweep_sort_config_static_selectorELNS0_4arch9wavefront6targetE1EEEvSE_
	.globl	_ZN7rocprim17ROCPRIM_400000_NS6detail17trampoline_kernelINS0_14default_configENS1_35radix_sort_onesweep_config_selectorIdNS0_10empty_typeEEEZZNS1_29radix_sort_onesweep_iterationIS3_Lb0EPdS8_PS5_S9_mNS0_19identity_decomposerENS1_16block_id_wrapperIjLb1EEEEE10hipError_tT1_PNSt15iterator_traitsISE_E10value_typeET2_T3_PNSF_ISK_E10value_typeET4_T5_PSP_SQ_PNS1_23onesweep_lookback_stateEbbT6_jjT7_P12ihipStream_tbENKUlT_T0_SE_SJ_E_clIS8_S8_S9_S9_EEDaSX_SY_SE_SJ_EUlSX_E_NS1_11comp_targetILNS1_3genE5ELNS1_11target_archE942ELNS1_3gpuE9ELNS1_3repE0EEENS1_47radix_sort_onesweep_sort_config_static_selectorELNS0_4arch9wavefront6targetE1EEEvSE_
	.p2align	8
	.type	_ZN7rocprim17ROCPRIM_400000_NS6detail17trampoline_kernelINS0_14default_configENS1_35radix_sort_onesweep_config_selectorIdNS0_10empty_typeEEEZZNS1_29radix_sort_onesweep_iterationIS3_Lb0EPdS8_PS5_S9_mNS0_19identity_decomposerENS1_16block_id_wrapperIjLb1EEEEE10hipError_tT1_PNSt15iterator_traitsISE_E10value_typeET2_T3_PNSF_ISK_E10value_typeET4_T5_PSP_SQ_PNS1_23onesweep_lookback_stateEbbT6_jjT7_P12ihipStream_tbENKUlT_T0_SE_SJ_E_clIS8_S8_S9_S9_EEDaSX_SY_SE_SJ_EUlSX_E_NS1_11comp_targetILNS1_3genE5ELNS1_11target_archE942ELNS1_3gpuE9ELNS1_3repE0EEENS1_47radix_sort_onesweep_sort_config_static_selectorELNS0_4arch9wavefront6targetE1EEEvSE_,@function
_ZN7rocprim17ROCPRIM_400000_NS6detail17trampoline_kernelINS0_14default_configENS1_35radix_sort_onesweep_config_selectorIdNS0_10empty_typeEEEZZNS1_29radix_sort_onesweep_iterationIS3_Lb0EPdS8_PS5_S9_mNS0_19identity_decomposerENS1_16block_id_wrapperIjLb1EEEEE10hipError_tT1_PNSt15iterator_traitsISE_E10value_typeET2_T3_PNSF_ISK_E10value_typeET4_T5_PSP_SQ_PNS1_23onesweep_lookback_stateEbbT6_jjT7_P12ihipStream_tbENKUlT_T0_SE_SJ_E_clIS8_S8_S9_S9_EEDaSX_SY_SE_SJ_EUlSX_E_NS1_11comp_targetILNS1_3genE5ELNS1_11target_archE942ELNS1_3gpuE9ELNS1_3repE0EEENS1_47radix_sort_onesweep_sort_config_static_selectorELNS0_4arch9wavefront6targetE1EEEvSE_: ; @_ZN7rocprim17ROCPRIM_400000_NS6detail17trampoline_kernelINS0_14default_configENS1_35radix_sort_onesweep_config_selectorIdNS0_10empty_typeEEEZZNS1_29radix_sort_onesweep_iterationIS3_Lb0EPdS8_PS5_S9_mNS0_19identity_decomposerENS1_16block_id_wrapperIjLb1EEEEE10hipError_tT1_PNSt15iterator_traitsISE_E10value_typeET2_T3_PNSF_ISK_E10value_typeET4_T5_PSP_SQ_PNS1_23onesweep_lookback_stateEbbT6_jjT7_P12ihipStream_tbENKUlT_T0_SE_SJ_E_clIS8_S8_S9_S9_EEDaSX_SY_SE_SJ_EUlSX_E_NS1_11comp_targetILNS1_3genE5ELNS1_11target_archE942ELNS1_3gpuE9ELNS1_3repE0EEENS1_47radix_sort_onesweep_sort_config_static_selectorELNS0_4arch9wavefront6targetE1EEEvSE_
; %bb.0:
	.section	.rodata,"a",@progbits
	.p2align	6, 0x0
	.amdhsa_kernel _ZN7rocprim17ROCPRIM_400000_NS6detail17trampoline_kernelINS0_14default_configENS1_35radix_sort_onesweep_config_selectorIdNS0_10empty_typeEEEZZNS1_29radix_sort_onesweep_iterationIS3_Lb0EPdS8_PS5_S9_mNS0_19identity_decomposerENS1_16block_id_wrapperIjLb1EEEEE10hipError_tT1_PNSt15iterator_traitsISE_E10value_typeET2_T3_PNSF_ISK_E10value_typeET4_T5_PSP_SQ_PNS1_23onesweep_lookback_stateEbbT6_jjT7_P12ihipStream_tbENKUlT_T0_SE_SJ_E_clIS8_S8_S9_S9_EEDaSX_SY_SE_SJ_EUlSX_E_NS1_11comp_targetILNS1_3genE5ELNS1_11target_archE942ELNS1_3gpuE9ELNS1_3repE0EEENS1_47radix_sort_onesweep_sort_config_static_selectorELNS0_4arch9wavefront6targetE1EEEvSE_
		.amdhsa_group_segment_fixed_size 0
		.amdhsa_private_segment_fixed_size 0
		.amdhsa_kernarg_size 88
		.amdhsa_user_sgpr_count 6
		.amdhsa_user_sgpr_private_segment_buffer 1
		.amdhsa_user_sgpr_dispatch_ptr 0
		.amdhsa_user_sgpr_queue_ptr 0
		.amdhsa_user_sgpr_kernarg_segment_ptr 1
		.amdhsa_user_sgpr_dispatch_id 0
		.amdhsa_user_sgpr_flat_scratch_init 0
		.amdhsa_user_sgpr_kernarg_preload_length 0
		.amdhsa_user_sgpr_kernarg_preload_offset 0
		.amdhsa_user_sgpr_private_segment_size 0
		.amdhsa_uses_dynamic_stack 0
		.amdhsa_system_sgpr_private_segment_wavefront_offset 0
		.amdhsa_system_sgpr_workgroup_id_x 1
		.amdhsa_system_sgpr_workgroup_id_y 0
		.amdhsa_system_sgpr_workgroup_id_z 0
		.amdhsa_system_sgpr_workgroup_info 0
		.amdhsa_system_vgpr_workitem_id 0
		.amdhsa_next_free_vgpr 1
		.amdhsa_next_free_sgpr 0
		.amdhsa_accum_offset 4
		.amdhsa_reserve_vcc 0
		.amdhsa_reserve_flat_scratch 0
		.amdhsa_float_round_mode_32 0
		.amdhsa_float_round_mode_16_64 0
		.amdhsa_float_denorm_mode_32 3
		.amdhsa_float_denorm_mode_16_64 3
		.amdhsa_dx10_clamp 1
		.amdhsa_ieee_mode 1
		.amdhsa_fp16_overflow 0
		.amdhsa_tg_split 0
		.amdhsa_exception_fp_ieee_invalid_op 0
		.amdhsa_exception_fp_denorm_src 0
		.amdhsa_exception_fp_ieee_div_zero 0
		.amdhsa_exception_fp_ieee_overflow 0
		.amdhsa_exception_fp_ieee_underflow 0
		.amdhsa_exception_fp_ieee_inexact 0
		.amdhsa_exception_int_div_zero 0
	.end_amdhsa_kernel
	.section	.text._ZN7rocprim17ROCPRIM_400000_NS6detail17trampoline_kernelINS0_14default_configENS1_35radix_sort_onesweep_config_selectorIdNS0_10empty_typeEEEZZNS1_29radix_sort_onesweep_iterationIS3_Lb0EPdS8_PS5_S9_mNS0_19identity_decomposerENS1_16block_id_wrapperIjLb1EEEEE10hipError_tT1_PNSt15iterator_traitsISE_E10value_typeET2_T3_PNSF_ISK_E10value_typeET4_T5_PSP_SQ_PNS1_23onesweep_lookback_stateEbbT6_jjT7_P12ihipStream_tbENKUlT_T0_SE_SJ_E_clIS8_S8_S9_S9_EEDaSX_SY_SE_SJ_EUlSX_E_NS1_11comp_targetILNS1_3genE5ELNS1_11target_archE942ELNS1_3gpuE9ELNS1_3repE0EEENS1_47radix_sort_onesweep_sort_config_static_selectorELNS0_4arch9wavefront6targetE1EEEvSE_,"axG",@progbits,_ZN7rocprim17ROCPRIM_400000_NS6detail17trampoline_kernelINS0_14default_configENS1_35radix_sort_onesweep_config_selectorIdNS0_10empty_typeEEEZZNS1_29radix_sort_onesweep_iterationIS3_Lb0EPdS8_PS5_S9_mNS0_19identity_decomposerENS1_16block_id_wrapperIjLb1EEEEE10hipError_tT1_PNSt15iterator_traitsISE_E10value_typeET2_T3_PNSF_ISK_E10value_typeET4_T5_PSP_SQ_PNS1_23onesweep_lookback_stateEbbT6_jjT7_P12ihipStream_tbENKUlT_T0_SE_SJ_E_clIS8_S8_S9_S9_EEDaSX_SY_SE_SJ_EUlSX_E_NS1_11comp_targetILNS1_3genE5ELNS1_11target_archE942ELNS1_3gpuE9ELNS1_3repE0EEENS1_47radix_sort_onesweep_sort_config_static_selectorELNS0_4arch9wavefront6targetE1EEEvSE_,comdat
.Lfunc_end1374:
	.size	_ZN7rocprim17ROCPRIM_400000_NS6detail17trampoline_kernelINS0_14default_configENS1_35radix_sort_onesweep_config_selectorIdNS0_10empty_typeEEEZZNS1_29radix_sort_onesweep_iterationIS3_Lb0EPdS8_PS5_S9_mNS0_19identity_decomposerENS1_16block_id_wrapperIjLb1EEEEE10hipError_tT1_PNSt15iterator_traitsISE_E10value_typeET2_T3_PNSF_ISK_E10value_typeET4_T5_PSP_SQ_PNS1_23onesweep_lookback_stateEbbT6_jjT7_P12ihipStream_tbENKUlT_T0_SE_SJ_E_clIS8_S8_S9_S9_EEDaSX_SY_SE_SJ_EUlSX_E_NS1_11comp_targetILNS1_3genE5ELNS1_11target_archE942ELNS1_3gpuE9ELNS1_3repE0EEENS1_47radix_sort_onesweep_sort_config_static_selectorELNS0_4arch9wavefront6targetE1EEEvSE_, .Lfunc_end1374-_ZN7rocprim17ROCPRIM_400000_NS6detail17trampoline_kernelINS0_14default_configENS1_35radix_sort_onesweep_config_selectorIdNS0_10empty_typeEEEZZNS1_29radix_sort_onesweep_iterationIS3_Lb0EPdS8_PS5_S9_mNS0_19identity_decomposerENS1_16block_id_wrapperIjLb1EEEEE10hipError_tT1_PNSt15iterator_traitsISE_E10value_typeET2_T3_PNSF_ISK_E10value_typeET4_T5_PSP_SQ_PNS1_23onesweep_lookback_stateEbbT6_jjT7_P12ihipStream_tbENKUlT_T0_SE_SJ_E_clIS8_S8_S9_S9_EEDaSX_SY_SE_SJ_EUlSX_E_NS1_11comp_targetILNS1_3genE5ELNS1_11target_archE942ELNS1_3gpuE9ELNS1_3repE0EEENS1_47radix_sort_onesweep_sort_config_static_selectorELNS0_4arch9wavefront6targetE1EEEvSE_
                                        ; -- End function
	.section	.AMDGPU.csdata,"",@progbits
; Kernel info:
; codeLenInByte = 0
; NumSgprs: 4
; NumVgprs: 0
; NumAgprs: 0
; TotalNumVgprs: 0
; ScratchSize: 0
; MemoryBound: 0
; FloatMode: 240
; IeeeMode: 1
; LDSByteSize: 0 bytes/workgroup (compile time only)
; SGPRBlocks: 0
; VGPRBlocks: 0
; NumSGPRsForWavesPerEU: 4
; NumVGPRsForWavesPerEU: 1
; AccumOffset: 4
; Occupancy: 8
; WaveLimiterHint : 0
; COMPUTE_PGM_RSRC2:SCRATCH_EN: 0
; COMPUTE_PGM_RSRC2:USER_SGPR: 6
; COMPUTE_PGM_RSRC2:TRAP_HANDLER: 0
; COMPUTE_PGM_RSRC2:TGID_X_EN: 1
; COMPUTE_PGM_RSRC2:TGID_Y_EN: 0
; COMPUTE_PGM_RSRC2:TGID_Z_EN: 0
; COMPUTE_PGM_RSRC2:TIDIG_COMP_CNT: 0
; COMPUTE_PGM_RSRC3_GFX90A:ACCUM_OFFSET: 0
; COMPUTE_PGM_RSRC3_GFX90A:TG_SPLIT: 0
	.section	.text._ZN7rocprim17ROCPRIM_400000_NS6detail17trampoline_kernelINS0_14default_configENS1_35radix_sort_onesweep_config_selectorIdNS0_10empty_typeEEEZZNS1_29radix_sort_onesweep_iterationIS3_Lb0EPdS8_PS5_S9_mNS0_19identity_decomposerENS1_16block_id_wrapperIjLb1EEEEE10hipError_tT1_PNSt15iterator_traitsISE_E10value_typeET2_T3_PNSF_ISK_E10value_typeET4_T5_PSP_SQ_PNS1_23onesweep_lookback_stateEbbT6_jjT7_P12ihipStream_tbENKUlT_T0_SE_SJ_E_clIS8_S8_S9_S9_EEDaSX_SY_SE_SJ_EUlSX_E_NS1_11comp_targetILNS1_3genE2ELNS1_11target_archE906ELNS1_3gpuE6ELNS1_3repE0EEENS1_47radix_sort_onesweep_sort_config_static_selectorELNS0_4arch9wavefront6targetE1EEEvSE_,"axG",@progbits,_ZN7rocprim17ROCPRIM_400000_NS6detail17trampoline_kernelINS0_14default_configENS1_35radix_sort_onesweep_config_selectorIdNS0_10empty_typeEEEZZNS1_29radix_sort_onesweep_iterationIS3_Lb0EPdS8_PS5_S9_mNS0_19identity_decomposerENS1_16block_id_wrapperIjLb1EEEEE10hipError_tT1_PNSt15iterator_traitsISE_E10value_typeET2_T3_PNSF_ISK_E10value_typeET4_T5_PSP_SQ_PNS1_23onesweep_lookback_stateEbbT6_jjT7_P12ihipStream_tbENKUlT_T0_SE_SJ_E_clIS8_S8_S9_S9_EEDaSX_SY_SE_SJ_EUlSX_E_NS1_11comp_targetILNS1_3genE2ELNS1_11target_archE906ELNS1_3gpuE6ELNS1_3repE0EEENS1_47radix_sort_onesweep_sort_config_static_selectorELNS0_4arch9wavefront6targetE1EEEvSE_,comdat
	.protected	_ZN7rocprim17ROCPRIM_400000_NS6detail17trampoline_kernelINS0_14default_configENS1_35radix_sort_onesweep_config_selectorIdNS0_10empty_typeEEEZZNS1_29radix_sort_onesweep_iterationIS3_Lb0EPdS8_PS5_S9_mNS0_19identity_decomposerENS1_16block_id_wrapperIjLb1EEEEE10hipError_tT1_PNSt15iterator_traitsISE_E10value_typeET2_T3_PNSF_ISK_E10value_typeET4_T5_PSP_SQ_PNS1_23onesweep_lookback_stateEbbT6_jjT7_P12ihipStream_tbENKUlT_T0_SE_SJ_E_clIS8_S8_S9_S9_EEDaSX_SY_SE_SJ_EUlSX_E_NS1_11comp_targetILNS1_3genE2ELNS1_11target_archE906ELNS1_3gpuE6ELNS1_3repE0EEENS1_47radix_sort_onesweep_sort_config_static_selectorELNS0_4arch9wavefront6targetE1EEEvSE_ ; -- Begin function _ZN7rocprim17ROCPRIM_400000_NS6detail17trampoline_kernelINS0_14default_configENS1_35radix_sort_onesweep_config_selectorIdNS0_10empty_typeEEEZZNS1_29radix_sort_onesweep_iterationIS3_Lb0EPdS8_PS5_S9_mNS0_19identity_decomposerENS1_16block_id_wrapperIjLb1EEEEE10hipError_tT1_PNSt15iterator_traitsISE_E10value_typeET2_T3_PNSF_ISK_E10value_typeET4_T5_PSP_SQ_PNS1_23onesweep_lookback_stateEbbT6_jjT7_P12ihipStream_tbENKUlT_T0_SE_SJ_E_clIS8_S8_S9_S9_EEDaSX_SY_SE_SJ_EUlSX_E_NS1_11comp_targetILNS1_3genE2ELNS1_11target_archE906ELNS1_3gpuE6ELNS1_3repE0EEENS1_47radix_sort_onesweep_sort_config_static_selectorELNS0_4arch9wavefront6targetE1EEEvSE_
	.globl	_ZN7rocprim17ROCPRIM_400000_NS6detail17trampoline_kernelINS0_14default_configENS1_35radix_sort_onesweep_config_selectorIdNS0_10empty_typeEEEZZNS1_29radix_sort_onesweep_iterationIS3_Lb0EPdS8_PS5_S9_mNS0_19identity_decomposerENS1_16block_id_wrapperIjLb1EEEEE10hipError_tT1_PNSt15iterator_traitsISE_E10value_typeET2_T3_PNSF_ISK_E10value_typeET4_T5_PSP_SQ_PNS1_23onesweep_lookback_stateEbbT6_jjT7_P12ihipStream_tbENKUlT_T0_SE_SJ_E_clIS8_S8_S9_S9_EEDaSX_SY_SE_SJ_EUlSX_E_NS1_11comp_targetILNS1_3genE2ELNS1_11target_archE906ELNS1_3gpuE6ELNS1_3repE0EEENS1_47radix_sort_onesweep_sort_config_static_selectorELNS0_4arch9wavefront6targetE1EEEvSE_
	.p2align	8
	.type	_ZN7rocprim17ROCPRIM_400000_NS6detail17trampoline_kernelINS0_14default_configENS1_35radix_sort_onesweep_config_selectorIdNS0_10empty_typeEEEZZNS1_29radix_sort_onesweep_iterationIS3_Lb0EPdS8_PS5_S9_mNS0_19identity_decomposerENS1_16block_id_wrapperIjLb1EEEEE10hipError_tT1_PNSt15iterator_traitsISE_E10value_typeET2_T3_PNSF_ISK_E10value_typeET4_T5_PSP_SQ_PNS1_23onesweep_lookback_stateEbbT6_jjT7_P12ihipStream_tbENKUlT_T0_SE_SJ_E_clIS8_S8_S9_S9_EEDaSX_SY_SE_SJ_EUlSX_E_NS1_11comp_targetILNS1_3genE2ELNS1_11target_archE906ELNS1_3gpuE6ELNS1_3repE0EEENS1_47radix_sort_onesweep_sort_config_static_selectorELNS0_4arch9wavefront6targetE1EEEvSE_,@function
_ZN7rocprim17ROCPRIM_400000_NS6detail17trampoline_kernelINS0_14default_configENS1_35radix_sort_onesweep_config_selectorIdNS0_10empty_typeEEEZZNS1_29radix_sort_onesweep_iterationIS3_Lb0EPdS8_PS5_S9_mNS0_19identity_decomposerENS1_16block_id_wrapperIjLb1EEEEE10hipError_tT1_PNSt15iterator_traitsISE_E10value_typeET2_T3_PNSF_ISK_E10value_typeET4_T5_PSP_SQ_PNS1_23onesweep_lookback_stateEbbT6_jjT7_P12ihipStream_tbENKUlT_T0_SE_SJ_E_clIS8_S8_S9_S9_EEDaSX_SY_SE_SJ_EUlSX_E_NS1_11comp_targetILNS1_3genE2ELNS1_11target_archE906ELNS1_3gpuE6ELNS1_3repE0EEENS1_47radix_sort_onesweep_sort_config_static_selectorELNS0_4arch9wavefront6targetE1EEEvSE_: ; @_ZN7rocprim17ROCPRIM_400000_NS6detail17trampoline_kernelINS0_14default_configENS1_35radix_sort_onesweep_config_selectorIdNS0_10empty_typeEEEZZNS1_29radix_sort_onesweep_iterationIS3_Lb0EPdS8_PS5_S9_mNS0_19identity_decomposerENS1_16block_id_wrapperIjLb1EEEEE10hipError_tT1_PNSt15iterator_traitsISE_E10value_typeET2_T3_PNSF_ISK_E10value_typeET4_T5_PSP_SQ_PNS1_23onesweep_lookback_stateEbbT6_jjT7_P12ihipStream_tbENKUlT_T0_SE_SJ_E_clIS8_S8_S9_S9_EEDaSX_SY_SE_SJ_EUlSX_E_NS1_11comp_targetILNS1_3genE2ELNS1_11target_archE906ELNS1_3gpuE6ELNS1_3repE0EEENS1_47radix_sort_onesweep_sort_config_static_selectorELNS0_4arch9wavefront6targetE1EEEvSE_
; %bb.0:
	.section	.rodata,"a",@progbits
	.p2align	6, 0x0
	.amdhsa_kernel _ZN7rocprim17ROCPRIM_400000_NS6detail17trampoline_kernelINS0_14default_configENS1_35radix_sort_onesweep_config_selectorIdNS0_10empty_typeEEEZZNS1_29radix_sort_onesweep_iterationIS3_Lb0EPdS8_PS5_S9_mNS0_19identity_decomposerENS1_16block_id_wrapperIjLb1EEEEE10hipError_tT1_PNSt15iterator_traitsISE_E10value_typeET2_T3_PNSF_ISK_E10value_typeET4_T5_PSP_SQ_PNS1_23onesweep_lookback_stateEbbT6_jjT7_P12ihipStream_tbENKUlT_T0_SE_SJ_E_clIS8_S8_S9_S9_EEDaSX_SY_SE_SJ_EUlSX_E_NS1_11comp_targetILNS1_3genE2ELNS1_11target_archE906ELNS1_3gpuE6ELNS1_3repE0EEENS1_47radix_sort_onesweep_sort_config_static_selectorELNS0_4arch9wavefront6targetE1EEEvSE_
		.amdhsa_group_segment_fixed_size 0
		.amdhsa_private_segment_fixed_size 0
		.amdhsa_kernarg_size 88
		.amdhsa_user_sgpr_count 6
		.amdhsa_user_sgpr_private_segment_buffer 1
		.amdhsa_user_sgpr_dispatch_ptr 0
		.amdhsa_user_sgpr_queue_ptr 0
		.amdhsa_user_sgpr_kernarg_segment_ptr 1
		.amdhsa_user_sgpr_dispatch_id 0
		.amdhsa_user_sgpr_flat_scratch_init 0
		.amdhsa_user_sgpr_kernarg_preload_length 0
		.amdhsa_user_sgpr_kernarg_preload_offset 0
		.amdhsa_user_sgpr_private_segment_size 0
		.amdhsa_uses_dynamic_stack 0
		.amdhsa_system_sgpr_private_segment_wavefront_offset 0
		.amdhsa_system_sgpr_workgroup_id_x 1
		.amdhsa_system_sgpr_workgroup_id_y 0
		.amdhsa_system_sgpr_workgroup_id_z 0
		.amdhsa_system_sgpr_workgroup_info 0
		.amdhsa_system_vgpr_workitem_id 0
		.amdhsa_next_free_vgpr 1
		.amdhsa_next_free_sgpr 0
		.amdhsa_accum_offset 4
		.amdhsa_reserve_vcc 0
		.amdhsa_reserve_flat_scratch 0
		.amdhsa_float_round_mode_32 0
		.amdhsa_float_round_mode_16_64 0
		.amdhsa_float_denorm_mode_32 3
		.amdhsa_float_denorm_mode_16_64 3
		.amdhsa_dx10_clamp 1
		.amdhsa_ieee_mode 1
		.amdhsa_fp16_overflow 0
		.amdhsa_tg_split 0
		.amdhsa_exception_fp_ieee_invalid_op 0
		.amdhsa_exception_fp_denorm_src 0
		.amdhsa_exception_fp_ieee_div_zero 0
		.amdhsa_exception_fp_ieee_overflow 0
		.amdhsa_exception_fp_ieee_underflow 0
		.amdhsa_exception_fp_ieee_inexact 0
		.amdhsa_exception_int_div_zero 0
	.end_amdhsa_kernel
	.section	.text._ZN7rocprim17ROCPRIM_400000_NS6detail17trampoline_kernelINS0_14default_configENS1_35radix_sort_onesweep_config_selectorIdNS0_10empty_typeEEEZZNS1_29radix_sort_onesweep_iterationIS3_Lb0EPdS8_PS5_S9_mNS0_19identity_decomposerENS1_16block_id_wrapperIjLb1EEEEE10hipError_tT1_PNSt15iterator_traitsISE_E10value_typeET2_T3_PNSF_ISK_E10value_typeET4_T5_PSP_SQ_PNS1_23onesweep_lookback_stateEbbT6_jjT7_P12ihipStream_tbENKUlT_T0_SE_SJ_E_clIS8_S8_S9_S9_EEDaSX_SY_SE_SJ_EUlSX_E_NS1_11comp_targetILNS1_3genE2ELNS1_11target_archE906ELNS1_3gpuE6ELNS1_3repE0EEENS1_47radix_sort_onesweep_sort_config_static_selectorELNS0_4arch9wavefront6targetE1EEEvSE_,"axG",@progbits,_ZN7rocprim17ROCPRIM_400000_NS6detail17trampoline_kernelINS0_14default_configENS1_35radix_sort_onesweep_config_selectorIdNS0_10empty_typeEEEZZNS1_29radix_sort_onesweep_iterationIS3_Lb0EPdS8_PS5_S9_mNS0_19identity_decomposerENS1_16block_id_wrapperIjLb1EEEEE10hipError_tT1_PNSt15iterator_traitsISE_E10value_typeET2_T3_PNSF_ISK_E10value_typeET4_T5_PSP_SQ_PNS1_23onesweep_lookback_stateEbbT6_jjT7_P12ihipStream_tbENKUlT_T0_SE_SJ_E_clIS8_S8_S9_S9_EEDaSX_SY_SE_SJ_EUlSX_E_NS1_11comp_targetILNS1_3genE2ELNS1_11target_archE906ELNS1_3gpuE6ELNS1_3repE0EEENS1_47radix_sort_onesweep_sort_config_static_selectorELNS0_4arch9wavefront6targetE1EEEvSE_,comdat
.Lfunc_end1375:
	.size	_ZN7rocprim17ROCPRIM_400000_NS6detail17trampoline_kernelINS0_14default_configENS1_35radix_sort_onesweep_config_selectorIdNS0_10empty_typeEEEZZNS1_29radix_sort_onesweep_iterationIS3_Lb0EPdS8_PS5_S9_mNS0_19identity_decomposerENS1_16block_id_wrapperIjLb1EEEEE10hipError_tT1_PNSt15iterator_traitsISE_E10value_typeET2_T3_PNSF_ISK_E10value_typeET4_T5_PSP_SQ_PNS1_23onesweep_lookback_stateEbbT6_jjT7_P12ihipStream_tbENKUlT_T0_SE_SJ_E_clIS8_S8_S9_S9_EEDaSX_SY_SE_SJ_EUlSX_E_NS1_11comp_targetILNS1_3genE2ELNS1_11target_archE906ELNS1_3gpuE6ELNS1_3repE0EEENS1_47radix_sort_onesweep_sort_config_static_selectorELNS0_4arch9wavefront6targetE1EEEvSE_, .Lfunc_end1375-_ZN7rocprim17ROCPRIM_400000_NS6detail17trampoline_kernelINS0_14default_configENS1_35radix_sort_onesweep_config_selectorIdNS0_10empty_typeEEEZZNS1_29radix_sort_onesweep_iterationIS3_Lb0EPdS8_PS5_S9_mNS0_19identity_decomposerENS1_16block_id_wrapperIjLb1EEEEE10hipError_tT1_PNSt15iterator_traitsISE_E10value_typeET2_T3_PNSF_ISK_E10value_typeET4_T5_PSP_SQ_PNS1_23onesweep_lookback_stateEbbT6_jjT7_P12ihipStream_tbENKUlT_T0_SE_SJ_E_clIS8_S8_S9_S9_EEDaSX_SY_SE_SJ_EUlSX_E_NS1_11comp_targetILNS1_3genE2ELNS1_11target_archE906ELNS1_3gpuE6ELNS1_3repE0EEENS1_47radix_sort_onesweep_sort_config_static_selectorELNS0_4arch9wavefront6targetE1EEEvSE_
                                        ; -- End function
	.section	.AMDGPU.csdata,"",@progbits
; Kernel info:
; codeLenInByte = 0
; NumSgprs: 4
; NumVgprs: 0
; NumAgprs: 0
; TotalNumVgprs: 0
; ScratchSize: 0
; MemoryBound: 0
; FloatMode: 240
; IeeeMode: 1
; LDSByteSize: 0 bytes/workgroup (compile time only)
; SGPRBlocks: 0
; VGPRBlocks: 0
; NumSGPRsForWavesPerEU: 4
; NumVGPRsForWavesPerEU: 1
; AccumOffset: 4
; Occupancy: 8
; WaveLimiterHint : 0
; COMPUTE_PGM_RSRC2:SCRATCH_EN: 0
; COMPUTE_PGM_RSRC2:USER_SGPR: 6
; COMPUTE_PGM_RSRC2:TRAP_HANDLER: 0
; COMPUTE_PGM_RSRC2:TGID_X_EN: 1
; COMPUTE_PGM_RSRC2:TGID_Y_EN: 0
; COMPUTE_PGM_RSRC2:TGID_Z_EN: 0
; COMPUTE_PGM_RSRC2:TIDIG_COMP_CNT: 0
; COMPUTE_PGM_RSRC3_GFX90A:ACCUM_OFFSET: 0
; COMPUTE_PGM_RSRC3_GFX90A:TG_SPLIT: 0
	.section	.text._ZN7rocprim17ROCPRIM_400000_NS6detail17trampoline_kernelINS0_14default_configENS1_35radix_sort_onesweep_config_selectorIdNS0_10empty_typeEEEZZNS1_29radix_sort_onesweep_iterationIS3_Lb0EPdS8_PS5_S9_mNS0_19identity_decomposerENS1_16block_id_wrapperIjLb1EEEEE10hipError_tT1_PNSt15iterator_traitsISE_E10value_typeET2_T3_PNSF_ISK_E10value_typeET4_T5_PSP_SQ_PNS1_23onesweep_lookback_stateEbbT6_jjT7_P12ihipStream_tbENKUlT_T0_SE_SJ_E_clIS8_S8_S9_S9_EEDaSX_SY_SE_SJ_EUlSX_E_NS1_11comp_targetILNS1_3genE4ELNS1_11target_archE910ELNS1_3gpuE8ELNS1_3repE0EEENS1_47radix_sort_onesweep_sort_config_static_selectorELNS0_4arch9wavefront6targetE1EEEvSE_,"axG",@progbits,_ZN7rocprim17ROCPRIM_400000_NS6detail17trampoline_kernelINS0_14default_configENS1_35radix_sort_onesweep_config_selectorIdNS0_10empty_typeEEEZZNS1_29radix_sort_onesweep_iterationIS3_Lb0EPdS8_PS5_S9_mNS0_19identity_decomposerENS1_16block_id_wrapperIjLb1EEEEE10hipError_tT1_PNSt15iterator_traitsISE_E10value_typeET2_T3_PNSF_ISK_E10value_typeET4_T5_PSP_SQ_PNS1_23onesweep_lookback_stateEbbT6_jjT7_P12ihipStream_tbENKUlT_T0_SE_SJ_E_clIS8_S8_S9_S9_EEDaSX_SY_SE_SJ_EUlSX_E_NS1_11comp_targetILNS1_3genE4ELNS1_11target_archE910ELNS1_3gpuE8ELNS1_3repE0EEENS1_47radix_sort_onesweep_sort_config_static_selectorELNS0_4arch9wavefront6targetE1EEEvSE_,comdat
	.protected	_ZN7rocprim17ROCPRIM_400000_NS6detail17trampoline_kernelINS0_14default_configENS1_35radix_sort_onesweep_config_selectorIdNS0_10empty_typeEEEZZNS1_29radix_sort_onesweep_iterationIS3_Lb0EPdS8_PS5_S9_mNS0_19identity_decomposerENS1_16block_id_wrapperIjLb1EEEEE10hipError_tT1_PNSt15iterator_traitsISE_E10value_typeET2_T3_PNSF_ISK_E10value_typeET4_T5_PSP_SQ_PNS1_23onesweep_lookback_stateEbbT6_jjT7_P12ihipStream_tbENKUlT_T0_SE_SJ_E_clIS8_S8_S9_S9_EEDaSX_SY_SE_SJ_EUlSX_E_NS1_11comp_targetILNS1_3genE4ELNS1_11target_archE910ELNS1_3gpuE8ELNS1_3repE0EEENS1_47radix_sort_onesweep_sort_config_static_selectorELNS0_4arch9wavefront6targetE1EEEvSE_ ; -- Begin function _ZN7rocprim17ROCPRIM_400000_NS6detail17trampoline_kernelINS0_14default_configENS1_35radix_sort_onesweep_config_selectorIdNS0_10empty_typeEEEZZNS1_29radix_sort_onesweep_iterationIS3_Lb0EPdS8_PS5_S9_mNS0_19identity_decomposerENS1_16block_id_wrapperIjLb1EEEEE10hipError_tT1_PNSt15iterator_traitsISE_E10value_typeET2_T3_PNSF_ISK_E10value_typeET4_T5_PSP_SQ_PNS1_23onesweep_lookback_stateEbbT6_jjT7_P12ihipStream_tbENKUlT_T0_SE_SJ_E_clIS8_S8_S9_S9_EEDaSX_SY_SE_SJ_EUlSX_E_NS1_11comp_targetILNS1_3genE4ELNS1_11target_archE910ELNS1_3gpuE8ELNS1_3repE0EEENS1_47radix_sort_onesweep_sort_config_static_selectorELNS0_4arch9wavefront6targetE1EEEvSE_
	.globl	_ZN7rocprim17ROCPRIM_400000_NS6detail17trampoline_kernelINS0_14default_configENS1_35radix_sort_onesweep_config_selectorIdNS0_10empty_typeEEEZZNS1_29radix_sort_onesweep_iterationIS3_Lb0EPdS8_PS5_S9_mNS0_19identity_decomposerENS1_16block_id_wrapperIjLb1EEEEE10hipError_tT1_PNSt15iterator_traitsISE_E10value_typeET2_T3_PNSF_ISK_E10value_typeET4_T5_PSP_SQ_PNS1_23onesweep_lookback_stateEbbT6_jjT7_P12ihipStream_tbENKUlT_T0_SE_SJ_E_clIS8_S8_S9_S9_EEDaSX_SY_SE_SJ_EUlSX_E_NS1_11comp_targetILNS1_3genE4ELNS1_11target_archE910ELNS1_3gpuE8ELNS1_3repE0EEENS1_47radix_sort_onesweep_sort_config_static_selectorELNS0_4arch9wavefront6targetE1EEEvSE_
	.p2align	8
	.type	_ZN7rocprim17ROCPRIM_400000_NS6detail17trampoline_kernelINS0_14default_configENS1_35radix_sort_onesweep_config_selectorIdNS0_10empty_typeEEEZZNS1_29radix_sort_onesweep_iterationIS3_Lb0EPdS8_PS5_S9_mNS0_19identity_decomposerENS1_16block_id_wrapperIjLb1EEEEE10hipError_tT1_PNSt15iterator_traitsISE_E10value_typeET2_T3_PNSF_ISK_E10value_typeET4_T5_PSP_SQ_PNS1_23onesweep_lookback_stateEbbT6_jjT7_P12ihipStream_tbENKUlT_T0_SE_SJ_E_clIS8_S8_S9_S9_EEDaSX_SY_SE_SJ_EUlSX_E_NS1_11comp_targetILNS1_3genE4ELNS1_11target_archE910ELNS1_3gpuE8ELNS1_3repE0EEENS1_47radix_sort_onesweep_sort_config_static_selectorELNS0_4arch9wavefront6targetE1EEEvSE_,@function
_ZN7rocprim17ROCPRIM_400000_NS6detail17trampoline_kernelINS0_14default_configENS1_35radix_sort_onesweep_config_selectorIdNS0_10empty_typeEEEZZNS1_29radix_sort_onesweep_iterationIS3_Lb0EPdS8_PS5_S9_mNS0_19identity_decomposerENS1_16block_id_wrapperIjLb1EEEEE10hipError_tT1_PNSt15iterator_traitsISE_E10value_typeET2_T3_PNSF_ISK_E10value_typeET4_T5_PSP_SQ_PNS1_23onesweep_lookback_stateEbbT6_jjT7_P12ihipStream_tbENKUlT_T0_SE_SJ_E_clIS8_S8_S9_S9_EEDaSX_SY_SE_SJ_EUlSX_E_NS1_11comp_targetILNS1_3genE4ELNS1_11target_archE910ELNS1_3gpuE8ELNS1_3repE0EEENS1_47radix_sort_onesweep_sort_config_static_selectorELNS0_4arch9wavefront6targetE1EEEvSE_: ; @_ZN7rocprim17ROCPRIM_400000_NS6detail17trampoline_kernelINS0_14default_configENS1_35radix_sort_onesweep_config_selectorIdNS0_10empty_typeEEEZZNS1_29radix_sort_onesweep_iterationIS3_Lb0EPdS8_PS5_S9_mNS0_19identity_decomposerENS1_16block_id_wrapperIjLb1EEEEE10hipError_tT1_PNSt15iterator_traitsISE_E10value_typeET2_T3_PNSF_ISK_E10value_typeET4_T5_PSP_SQ_PNS1_23onesweep_lookback_stateEbbT6_jjT7_P12ihipStream_tbENKUlT_T0_SE_SJ_E_clIS8_S8_S9_S9_EEDaSX_SY_SE_SJ_EUlSX_E_NS1_11comp_targetILNS1_3genE4ELNS1_11target_archE910ELNS1_3gpuE8ELNS1_3repE0EEENS1_47radix_sort_onesweep_sort_config_static_selectorELNS0_4arch9wavefront6targetE1EEEvSE_
; %bb.0:
	s_load_dwordx4 s[16:19], s[4:5], 0x28
	s_load_dwordx2 s[14:15], s[4:5], 0x38
	s_load_dwordx4 s[20:23], s[4:5], 0x44
	v_and_b32_e32 v2, 0x3ff, v0
	v_cmp_eq_u32_e64 s[0:1], 0, v2
	s_and_saveexec_b64 s[2:3], s[0:1]
	s_cbranch_execz .LBB1376_4
; %bb.1:
	s_mov_b64 s[10:11], exec
	v_mbcnt_lo_u32_b32 v1, s10, 0
	v_mbcnt_hi_u32_b32 v1, s11, v1
	v_cmp_eq_u32_e32 vcc, 0, v1
                                        ; implicit-def: $vgpr3
	s_and_saveexec_b64 s[8:9], vcc
	s_cbranch_execz .LBB1376_3
; %bb.2:
	s_load_dwordx2 s[12:13], s[4:5], 0x50
	s_bcnt1_i32_b64 s7, s[10:11]
	v_mov_b32_e32 v3, 0
	v_mov_b32_e32 v4, s7
	s_waitcnt lgkmcnt(0)
	global_atomic_add v3, v3, v4, s[12:13] glc
.LBB1376_3:
	s_or_b64 exec, exec, s[8:9]
	s_waitcnt vmcnt(0)
	v_readfirstlane_b32 s7, v3
	v_add_u32_e32 v1, s7, v1
	v_mov_b32_e32 v3, 0
	ds_write_b32 v3, v1 offset:20544
.LBB1376_4:
	s_or_b64 exec, exec, s[2:3]
	v_mov_b32_e32 v1, 0
	s_load_dwordx4 s[24:27], s[4:5], 0x0
	s_load_dword s2, s[4:5], 0x20
	s_waitcnt lgkmcnt(0)
	s_barrier
	ds_read_b32 v1, v1 offset:20544
	v_mbcnt_lo_u32_b32 v24, -1, 0
	s_waitcnt lgkmcnt(0)
	s_barrier
	v_readfirstlane_b32 s30, v1
	v_cmp_le_u32_e32 vcc, s22, v1
	s_mul_i32 s28, s30, 0x1800
	s_cbranch_vccz .LBB1376_57
; %bb.5:
	s_mul_i32 s7, s22, 0xffffe800
	s_mov_b32 s29, 0
	s_add_i32 s7, s7, s2
	s_lshl_b64 s[2:3], s[28:29], 3
	v_mbcnt_hi_u32_b32 v1, -1, v24
	s_add_u32 s8, s24, s2
	v_and_b32_e32 v3, 63, v1
	s_addc_u32 s9, s25, s3
	v_and_b32_e32 v4, 0x3c0, v2
	v_lshlrev_b32_e32 v5, 3, v3
	v_mul_u32_u24_e32 v4, 6, v4
	v_mov_b32_e32 v6, s9
	v_add_co_u32_e32 v5, vcc, s8, v5
	v_addc_co_u32_e32 v6, vcc, 0, v6, vcc
	v_lshlrev_b32_e32 v7, 3, v4
	s_mov_b32 s2, -1
	v_add_co_u32_e32 v16, vcc, v5, v7
	s_brev_b32 s3, -2
	v_addc_co_u32_e32 v17, vcc, 0, v6, vcc
	v_or_b32_e32 v3, v3, v4
	v_cmp_gt_u32_e32 vcc, s7, v3
	v_pk_mov_b32 v[4:5], s[2:3], s[2:3] op_sel:[0,1]
	s_and_saveexec_b64 s[8:9], vcc
	s_cbranch_execz .LBB1376_7
; %bb.6:
	global_load_dwordx2 v[4:5], v[16:17], off
.LBB1376_7:
	s_or_b64 exec, exec, s[8:9]
	v_or_b32_e32 v6, 64, v3
	v_cmp_gt_u32_e32 vcc, s7, v6
	v_pk_mov_b32 v[6:7], s[2:3], s[2:3] op_sel:[0,1]
	s_and_saveexec_b64 s[2:3], vcc
	s_cbranch_execz .LBB1376_9
; %bb.8:
	global_load_dwordx2 v[6:7], v[16:17], off offset:512
.LBB1376_9:
	s_or_b64 exec, exec, s[2:3]
	s_mov_b32 s2, -1
	v_add_u32_e32 v8, 0x80, v3
	s_brev_b32 s3, -2
	v_cmp_gt_u32_e32 vcc, s7, v8
	v_pk_mov_b32 v[8:9], s[2:3], s[2:3] op_sel:[0,1]
	s_and_saveexec_b64 s[8:9], vcc
	s_cbranch_execz .LBB1376_11
; %bb.10:
	global_load_dwordx2 v[8:9], v[16:17], off offset:1024
.LBB1376_11:
	s_or_b64 exec, exec, s[8:9]
	v_add_u32_e32 v10, 0xc0, v3
	v_cmp_gt_u32_e32 vcc, s7, v10
	v_pk_mov_b32 v[10:11], s[2:3], s[2:3] op_sel:[0,1]
	s_and_saveexec_b64 s[2:3], vcc
	s_cbranch_execz .LBB1376_13
; %bb.12:
	global_load_dwordx2 v[10:11], v[16:17], off offset:1536
.LBB1376_13:
	s_or_b64 exec, exec, s[2:3]
	s_mov_b32 s2, -1
	v_add_u32_e32 v12, 0x100, v3
	s_brev_b32 s3, -2
	v_cmp_gt_u32_e32 vcc, s7, v12
	v_pk_mov_b32 v[14:15], s[2:3], s[2:3] op_sel:[0,1]
	s_and_saveexec_b64 s[8:9], vcc
	s_cbranch_execz .LBB1376_15
; %bb.14:
	global_load_dwordx2 v[14:15], v[16:17], off offset:2048
.LBB1376_15:
	s_or_b64 exec, exec, s[8:9]
	v_add_u32_e32 v3, 0x140, v3
	v_cmp_gt_u32_e32 vcc, s7, v3
	v_pk_mov_b32 v[12:13], s[2:3], s[2:3] op_sel:[0,1]
	s_and_saveexec_b64 s[2:3], vcc
	s_cbranch_execz .LBB1376_17
; %bb.16:
	global_load_dwordx2 v[12:13], v[16:17], off offset:2560
.LBB1376_17:
	s_or_b64 exec, exec, s[2:3]
	s_load_dword s2, s[4:5], 0x64
	s_load_dword s29, s[4:5], 0x58
	s_add_u32 s3, s4, 0x58
	s_addc_u32 s8, s5, 0
	v_mov_b32_e32 v16, 0
	s_waitcnt lgkmcnt(0)
	s_lshr_b32 s10, s2, 16
	s_cmp_lt_u32 s6, s29
	s_cselect_b32 s2, 12, 18
	s_add_u32 s2, s3, s2
	s_addc_u32 s3, s8, 0
	global_load_ushort v20, v16, s[2:3]
	v_bfrev_b32_e32 v21, 1
	s_waitcnt vmcnt(1)
	v_cmp_lt_i64_e32 vcc, -1, v[4:5]
	s_mov_b32 s8, -1
	v_ashrrev_i32_e32 v3, 31, v5
	v_cndmask_b32_e32 v19, -1, v21, vcc
	s_brev_b32 s9, -2
	v_xor_b32_e32 v4, v3, v4
	v_xor_b32_e32 v5, v19, v5
	v_mul_u32_u24_e32 v18, 5, v2
	v_cmp_ne_u64_e32 vcc, s[8:9], v[4:5]
	v_lshlrev_b32_e32 v3, 2, v18
	v_cndmask_b32_e32 v19, v21, v5, vcc
	v_cndmask_b32_e32 v18, 0, v4, vcc
	s_lshl_b32 s2, -1, s21
	v_bfe_u32 v17, v0, 10, 10
	v_bfe_u32 v22, v0, 20, 10
	v_lshrrev_b64 v[18:19], s20, v[18:19]
	s_not_b32 s31, s2
	v_mad_u32_u24 v19, v22, s10, v17
	v_and_b32_e32 v22, s31, v18
	v_and_b32_e32 v18, 1, v22
	v_add_co_u32_e32 v23, vcc, -1, v18
	v_lshlrev_b32_e32 v17, 30, v22
	v_addc_co_u32_e64 v26, s[2:3], 0, -1, vcc
	v_cmp_ne_u32_e32 vcc, 0, v18
	v_cmp_gt_i64_e64 s[2:3], 0, v[16:17]
	v_not_b32_e32 v18, v17
	v_lshlrev_b32_e32 v17, 29, v22
	v_xor_b32_e32 v26, vcc_hi, v26
	v_xor_b32_e32 v23, vcc_lo, v23
	v_ashrrev_i32_e32 v18, 31, v18
	v_cmp_gt_i64_e32 vcc, 0, v[16:17]
	v_not_b32_e32 v27, v17
	v_lshlrev_b32_e32 v17, 28, v22
	v_and_b32_e32 v26, exec_hi, v26
	v_and_b32_e32 v23, exec_lo, v23
	v_xor_b32_e32 v28, s3, v18
	v_xor_b32_e32 v18, s2, v18
	v_ashrrev_i32_e32 v27, 31, v27
	v_cmp_gt_i64_e64 s[2:3], 0, v[16:17]
	v_not_b32_e32 v29, v17
	v_lshlrev_b32_e32 v17, 27, v22
	v_and_b32_e32 v26, v26, v28
	v_and_b32_e32 v18, v23, v18
	v_xor_b32_e32 v23, vcc_hi, v27
	v_xor_b32_e32 v27, vcc_lo, v27
	v_ashrrev_i32_e32 v28, 31, v29
	v_cmp_gt_i64_e32 vcc, 0, v[16:17]
	v_not_b32_e32 v29, v17
	v_lshlrev_b32_e32 v17, 26, v22
	v_and_b32_e32 v23, v26, v23
	v_and_b32_e32 v18, v18, v27
	v_xor_b32_e32 v26, s3, v28
	v_xor_b32_e32 v27, s2, v28
	v_ashrrev_i32_e32 v28, 31, v29
	v_not_b32_e32 v29, v17
	v_cmp_gt_i64_e64 s[2:3], 0, v[16:17]
	v_lshlrev_b32_e32 v17, 25, v22
	v_and_b32_e32 v23, v23, v26
	v_and_b32_e32 v18, v18, v27
	v_xor_b32_e32 v26, vcc_hi, v28
	v_xor_b32_e32 v27, vcc_lo, v28
	v_ashrrev_i32_e32 v28, 31, v29
	v_and_b32_e32 v18, v18, v27
	v_xor_b32_e32 v27, s2, v28
	v_cmp_gt_i64_e32 vcc, 0, v[16:17]
	v_not_b32_e32 v17, v17
	v_and_b32_e32 v23, v23, v26
	v_xor_b32_e32 v26, s3, v28
	v_and_b32_e32 v27, v18, v27
	v_ashrrev_i32_e32 v17, 31, v17
	v_lshl_add_u32 v25, v22, 4, v22
	v_and_b32_e32 v26, v23, v26
	ds_write2_b32 v3, v16, v16 offset0:16 offset1:17
	ds_write2_b32 v3, v16, v16 offset0:18 offset1:19
	ds_write_b32 v3, v16 offset:80
	s_waitcnt lgkmcnt(0)
	s_barrier
	s_waitcnt vmcnt(0)
	v_mad_u64_u32 v[18:19], s[2:3], v19, v20, v[2:3]
	v_lshrrev_b32_e32 v23, 6, v18
	v_xor_b32_e32 v18, vcc_hi, v17
	v_xor_b32_e32 v17, vcc_lo, v17
	v_add_lshl_u32 v20, v23, v25, 2
	v_and_b32_e32 v25, v27, v17
	v_lshlrev_b32_e32 v17, 24, v22
	v_cmp_gt_i64_e32 vcc, 0, v[16:17]
	v_not_b32_e32 v17, v17
	v_ashrrev_i32_e32 v17, 31, v17
	v_and_b32_e32 v18, v26, v18
	v_xor_b32_e32 v19, vcc_hi, v17
	v_xor_b32_e32 v17, vcc_lo, v17
	v_and_b32_e32 v19, v18, v19
	v_and_b32_e32 v18, v25, v17
	v_mbcnt_lo_u32_b32 v17, v18, 0
	v_mbcnt_hi_u32_b32 v25, v19, v17
	v_cmp_eq_u32_e32 vcc, 0, v25
	v_cmp_ne_u64_e64 s[2:3], 0, v[18:19]
	s_and_b64 s[10:11], s[2:3], vcc
	; wave barrier
	s_and_saveexec_b64 s[2:3], s[10:11]
	s_cbranch_execz .LBB1376_19
; %bb.18:
	v_bcnt_u32_b32 v17, v18, 0
	v_bcnt_u32_b32 v17, v19, v17
	ds_write_b32 v20, v17 offset:64
.LBB1376_19:
	s_or_b64 exec, exec, s[2:3]
	v_cmp_lt_i64_e32 vcc, -1, v[6:7]
	v_cndmask_b32_e32 v17, -1, v21, vcc
	v_ashrrev_i32_e32 v18, 31, v7
	v_xor_b32_e32 v7, v17, v7
	v_xor_b32_e32 v6, v18, v6
	v_cmp_ne_u64_e32 vcc, s[8:9], v[6:7]
	v_cndmask_b32_e32 v19, v21, v7, vcc
	v_cndmask_b32_e32 v18, 0, v6, vcc
	v_lshrrev_b64 v[18:19], s20, v[18:19]
	v_and_b32_e32 v18, s31, v18
	v_lshl_add_u32 v17, v18, 4, v18
	v_add_lshl_u32 v21, v23, v17, 2
	v_and_b32_e32 v17, 1, v18
	v_add_co_u32_e32 v19, vcc, -1, v17
	v_addc_co_u32_e64 v22, s[2:3], 0, -1, vcc
	v_cmp_ne_u32_e32 vcc, 0, v17
	v_xor_b32_e32 v17, vcc_hi, v22
	v_and_b32_e32 v22, exec_hi, v17
	v_lshlrev_b32_e32 v17, 30, v18
	v_xor_b32_e32 v19, vcc_lo, v19
	v_cmp_gt_i64_e32 vcc, 0, v[16:17]
	v_not_b32_e32 v17, v17
	v_ashrrev_i32_e32 v17, 31, v17
	v_and_b32_e32 v19, exec_lo, v19
	v_xor_b32_e32 v27, vcc_hi, v17
	v_xor_b32_e32 v17, vcc_lo, v17
	v_and_b32_e32 v19, v19, v17
	v_lshlrev_b32_e32 v17, 29, v18
	v_cmp_gt_i64_e32 vcc, 0, v[16:17]
	v_not_b32_e32 v17, v17
	v_ashrrev_i32_e32 v17, 31, v17
	v_and_b32_e32 v22, v22, v27
	v_xor_b32_e32 v27, vcc_hi, v17
	v_xor_b32_e32 v17, vcc_lo, v17
	v_and_b32_e32 v19, v19, v17
	v_lshlrev_b32_e32 v17, 28, v18
	v_cmp_gt_i64_e32 vcc, 0, v[16:17]
	v_not_b32_e32 v17, v17
	v_ashrrev_i32_e32 v17, 31, v17
	v_and_b32_e32 v22, v22, v27
	;; [unrolled: 8-line block ×5, first 2 shown]
	v_xor_b32_e32 v27, vcc_hi, v17
	v_xor_b32_e32 v17, vcc_lo, v17
	v_and_b32_e32 v19, v19, v17
	v_lshlrev_b32_e32 v17, 24, v18
	v_cmp_gt_i64_e32 vcc, 0, v[16:17]
	v_not_b32_e32 v16, v17
	v_ashrrev_i32_e32 v16, 31, v16
	v_xor_b32_e32 v17, vcc_hi, v16
	v_xor_b32_e32 v16, vcc_lo, v16
	; wave barrier
	ds_read_b32 v26, v21 offset:64
	v_and_b32_e32 v22, v22, v27
	v_and_b32_e32 v16, v19, v16
	;; [unrolled: 1-line block ×3, first 2 shown]
	v_mbcnt_lo_u32_b32 v18, v16, 0
	v_mbcnt_hi_u32_b32 v27, v17, v18
	v_cmp_eq_u32_e32 vcc, 0, v27
	v_cmp_ne_u64_e64 s[2:3], 0, v[16:17]
	s_and_b64 s[8:9], s[2:3], vcc
	; wave barrier
	s_and_saveexec_b64 s[2:3], s[8:9]
	s_cbranch_execz .LBB1376_21
; %bb.20:
	v_bcnt_u32_b32 v16, v16, 0
	v_bcnt_u32_b32 v16, v17, v16
	s_waitcnt lgkmcnt(0)
	v_add_u32_e32 v16, v26, v16
	ds_write_b32 v21, v16 offset:64
.LBB1376_21:
	s_or_b64 exec, exec, s[2:3]
	v_bfrev_b32_e32 v29, 1
	v_cmp_lt_i64_e32 vcc, -1, v[8:9]
	s_mov_b32 s8, -1
	v_cndmask_b32_e32 v16, -1, v29, vcc
	v_ashrrev_i32_e32 v17, 31, v9
	s_brev_b32 s9, -2
	v_xor_b32_e32 v9, v16, v9
	v_xor_b32_e32 v8, v17, v8
	v_cmp_ne_u64_e32 vcc, s[8:9], v[8:9]
	v_cndmask_b32_e32 v19, v29, v9, vcc
	v_cndmask_b32_e32 v18, 0, v8, vcc
	v_lshrrev_b64 v[18:19], s20, v[18:19]
	v_and_b32_e32 v18, s31, v18
	v_lshl_add_u32 v17, v18, 4, v18
	v_add_lshl_u32 v22, v23, v17, 2
	v_and_b32_e32 v17, 1, v18
	v_add_co_u32_e32 v19, vcc, -1, v17
	v_addc_co_u32_e64 v30, s[2:3], 0, -1, vcc
	v_cmp_ne_u32_e32 vcc, 0, v17
	v_xor_b32_e32 v17, vcc_hi, v30
	v_mov_b32_e32 v16, 0
	v_and_b32_e32 v30, exec_hi, v17
	v_lshlrev_b32_e32 v17, 30, v18
	v_xor_b32_e32 v19, vcc_lo, v19
	v_cmp_gt_i64_e32 vcc, 0, v[16:17]
	v_not_b32_e32 v17, v17
	v_ashrrev_i32_e32 v17, 31, v17
	v_and_b32_e32 v19, exec_lo, v19
	v_xor_b32_e32 v31, vcc_hi, v17
	v_xor_b32_e32 v17, vcc_lo, v17
	v_and_b32_e32 v19, v19, v17
	v_lshlrev_b32_e32 v17, 29, v18
	v_cmp_gt_i64_e32 vcc, 0, v[16:17]
	v_not_b32_e32 v17, v17
	v_ashrrev_i32_e32 v17, 31, v17
	v_and_b32_e32 v30, v30, v31
	v_xor_b32_e32 v31, vcc_hi, v17
	v_xor_b32_e32 v17, vcc_lo, v17
	v_and_b32_e32 v19, v19, v17
	v_lshlrev_b32_e32 v17, 28, v18
	v_cmp_gt_i64_e32 vcc, 0, v[16:17]
	v_not_b32_e32 v17, v17
	v_ashrrev_i32_e32 v17, 31, v17
	v_and_b32_e32 v30, v30, v31
	;; [unrolled: 8-line block ×5, first 2 shown]
	v_xor_b32_e32 v31, vcc_hi, v17
	v_xor_b32_e32 v17, vcc_lo, v17
	v_and_b32_e32 v30, v30, v31
	v_and_b32_e32 v31, v19, v17
	v_lshlrev_b32_e32 v17, 24, v18
	v_cmp_gt_i64_e32 vcc, 0, v[16:17]
	v_not_b32_e32 v17, v17
	v_ashrrev_i32_e32 v17, 31, v17
	v_xor_b32_e32 v18, vcc_hi, v17
	v_xor_b32_e32 v17, vcc_lo, v17
	; wave barrier
	ds_read_b32 v28, v22 offset:64
	v_and_b32_e32 v19, v30, v18
	v_and_b32_e32 v18, v31, v17
	v_mbcnt_lo_u32_b32 v17, v18, 0
	v_mbcnt_hi_u32_b32 v30, v19, v17
	v_cmp_eq_u32_e32 vcc, 0, v30
	v_cmp_ne_u64_e64 s[2:3], 0, v[18:19]
	s_and_b64 s[10:11], s[2:3], vcc
	; wave barrier
	s_and_saveexec_b64 s[2:3], s[10:11]
	s_cbranch_execz .LBB1376_23
; %bb.22:
	v_bcnt_u32_b32 v17, v18, 0
	v_bcnt_u32_b32 v17, v19, v17
	s_waitcnt lgkmcnt(0)
	v_add_u32_e32 v17, v28, v17
	ds_write_b32 v22, v17 offset:64
.LBB1376_23:
	s_or_b64 exec, exec, s[2:3]
	v_cmp_lt_i64_e32 vcc, -1, v[10:11]
	v_cndmask_b32_e32 v17, -1, v29, vcc
	v_ashrrev_i32_e32 v18, 31, v11
	v_xor_b32_e32 v11, v17, v11
	v_xor_b32_e32 v10, v18, v10
	v_cmp_ne_u64_e32 vcc, s[8:9], v[10:11]
	v_cndmask_b32_e32 v19, v29, v11, vcc
	v_cndmask_b32_e32 v18, 0, v10, vcc
	v_lshrrev_b64 v[18:19], s20, v[18:19]
	v_and_b32_e32 v18, s31, v18
	v_lshl_add_u32 v17, v18, 4, v18
	v_add_lshl_u32 v29, v23, v17, 2
	v_and_b32_e32 v17, 1, v18
	v_add_co_u32_e32 v19, vcc, -1, v17
	v_addc_co_u32_e64 v32, s[2:3], 0, -1, vcc
	v_cmp_ne_u32_e32 vcc, 0, v17
	v_xor_b32_e32 v17, vcc_hi, v32
	v_and_b32_e32 v32, exec_hi, v17
	v_lshlrev_b32_e32 v17, 30, v18
	v_xor_b32_e32 v19, vcc_lo, v19
	v_cmp_gt_i64_e32 vcc, 0, v[16:17]
	v_not_b32_e32 v17, v17
	v_ashrrev_i32_e32 v17, 31, v17
	v_and_b32_e32 v19, exec_lo, v19
	v_xor_b32_e32 v33, vcc_hi, v17
	v_xor_b32_e32 v17, vcc_lo, v17
	v_and_b32_e32 v19, v19, v17
	v_lshlrev_b32_e32 v17, 29, v18
	v_cmp_gt_i64_e32 vcc, 0, v[16:17]
	v_not_b32_e32 v17, v17
	v_ashrrev_i32_e32 v17, 31, v17
	v_and_b32_e32 v32, v32, v33
	v_xor_b32_e32 v33, vcc_hi, v17
	v_xor_b32_e32 v17, vcc_lo, v17
	v_and_b32_e32 v19, v19, v17
	v_lshlrev_b32_e32 v17, 28, v18
	v_cmp_gt_i64_e32 vcc, 0, v[16:17]
	v_not_b32_e32 v17, v17
	v_ashrrev_i32_e32 v17, 31, v17
	v_and_b32_e32 v32, v32, v33
	;; [unrolled: 8-line block ×5, first 2 shown]
	v_xor_b32_e32 v33, vcc_hi, v17
	v_xor_b32_e32 v17, vcc_lo, v17
	v_and_b32_e32 v19, v19, v17
	v_lshlrev_b32_e32 v17, 24, v18
	v_cmp_gt_i64_e32 vcc, 0, v[16:17]
	v_not_b32_e32 v16, v17
	v_ashrrev_i32_e32 v16, 31, v16
	v_xor_b32_e32 v17, vcc_hi, v16
	v_xor_b32_e32 v16, vcc_lo, v16
	; wave barrier
	ds_read_b32 v31, v29 offset:64
	v_and_b32_e32 v32, v32, v33
	v_and_b32_e32 v16, v19, v16
	;; [unrolled: 1-line block ×3, first 2 shown]
	v_mbcnt_lo_u32_b32 v18, v16, 0
	v_mbcnt_hi_u32_b32 v32, v17, v18
	v_cmp_eq_u32_e32 vcc, 0, v32
	v_cmp_ne_u64_e64 s[2:3], 0, v[16:17]
	s_and_b64 s[8:9], s[2:3], vcc
	; wave barrier
	s_and_saveexec_b64 s[2:3], s[8:9]
	s_cbranch_execz .LBB1376_25
; %bb.24:
	v_bcnt_u32_b32 v16, v16, 0
	v_bcnt_u32_b32 v16, v17, v16
	s_waitcnt lgkmcnt(0)
	v_add_u32_e32 v16, v31, v16
	ds_write_b32 v29, v16 offset:64
.LBB1376_25:
	s_or_b64 exec, exec, s[2:3]
	v_bfrev_b32_e32 v35, 1
	v_cmp_lt_i64_e32 vcc, -1, v[14:15]
	s_mov_b32 s8, -1
	v_cndmask_b32_e32 v16, -1, v35, vcc
	v_ashrrev_i32_e32 v17, 31, v15
	s_brev_b32 s9, -2
	v_xor_b32_e32 v15, v16, v15
	v_xor_b32_e32 v14, v17, v14
	v_cmp_ne_u64_e32 vcc, s[8:9], v[14:15]
	v_cndmask_b32_e32 v17, v35, v15, vcc
	v_cndmask_b32_e32 v16, 0, v14, vcc
	v_lshrrev_b64 v[16:17], s20, v[16:17]
	v_and_b32_e32 v16, s31, v16
	v_lshl_add_u32 v17, v16, 4, v16
	v_add_lshl_u32 v36, v23, v17, 2
	v_and_b32_e32 v17, 1, v16
	v_add_co_u32_e32 v19, vcc, -1, v17
	v_addc_co_u32_e64 v34, s[2:3], 0, -1, vcc
	v_cmp_ne_u32_e32 vcc, 0, v17
	v_xor_b32_e32 v19, vcc_lo, v19
	v_mov_b32_e32 v18, 0
	v_xor_b32_e32 v17, vcc_hi, v34
	v_and_b32_e32 v34, exec_lo, v19
	v_lshlrev_b32_e32 v19, 30, v16
	v_cmp_gt_i64_e32 vcc, 0, v[18:19]
	v_not_b32_e32 v19, v19
	v_ashrrev_i32_e32 v19, 31, v19
	v_xor_b32_e32 v37, vcc_hi, v19
	v_xor_b32_e32 v19, vcc_lo, v19
	v_and_b32_e32 v34, v34, v19
	v_lshlrev_b32_e32 v19, 29, v16
	v_cmp_gt_i64_e32 vcc, 0, v[18:19]
	v_not_b32_e32 v19, v19
	v_and_b32_e32 v17, exec_hi, v17
	v_ashrrev_i32_e32 v19, 31, v19
	v_and_b32_e32 v17, v17, v37
	v_xor_b32_e32 v37, vcc_hi, v19
	v_xor_b32_e32 v19, vcc_lo, v19
	v_and_b32_e32 v34, v34, v19
	v_lshlrev_b32_e32 v19, 28, v16
	v_cmp_gt_i64_e32 vcc, 0, v[18:19]
	v_not_b32_e32 v19, v19
	v_ashrrev_i32_e32 v19, 31, v19
	v_and_b32_e32 v17, v17, v37
	v_xor_b32_e32 v37, vcc_hi, v19
	v_xor_b32_e32 v19, vcc_lo, v19
	v_and_b32_e32 v34, v34, v19
	v_lshlrev_b32_e32 v19, 27, v16
	v_cmp_gt_i64_e32 vcc, 0, v[18:19]
	v_not_b32_e32 v19, v19
	;; [unrolled: 8-line block ×4, first 2 shown]
	v_ashrrev_i32_e32 v19, 31, v19
	v_and_b32_e32 v17, v17, v37
	v_xor_b32_e32 v37, vcc_hi, v19
	v_xor_b32_e32 v19, vcc_lo, v19
	v_and_b32_e32 v34, v34, v19
	v_lshlrev_b32_e32 v19, 24, v16
	v_not_b32_e32 v16, v19
	v_cmp_gt_i64_e32 vcc, 0, v[18:19]
	v_ashrrev_i32_e32 v16, 31, v16
	v_xor_b32_e32 v19, vcc_hi, v16
	v_xor_b32_e32 v16, vcc_lo, v16
	; wave barrier
	ds_read_b32 v33, v36 offset:64
	v_and_b32_e32 v17, v17, v37
	v_and_b32_e32 v16, v34, v16
	;; [unrolled: 1-line block ×3, first 2 shown]
	v_mbcnt_lo_u32_b32 v19, v16, 0
	v_mbcnt_hi_u32_b32 v34, v17, v19
	v_cmp_eq_u32_e32 vcc, 0, v34
	v_cmp_ne_u64_e64 s[2:3], 0, v[16:17]
	s_and_b64 s[10:11], s[2:3], vcc
	; wave barrier
	s_and_saveexec_b64 s[2:3], s[10:11]
	s_cbranch_execz .LBB1376_27
; %bb.26:
	v_bcnt_u32_b32 v16, v16, 0
	v_bcnt_u32_b32 v16, v17, v16
	s_waitcnt lgkmcnt(0)
	v_add_u32_e32 v16, v33, v16
	ds_write_b32 v36, v16 offset:64
.LBB1376_27:
	s_or_b64 exec, exec, s[2:3]
	v_cmp_lt_i64_e32 vcc, -1, v[12:13]
	v_cndmask_b32_e32 v16, -1, v35, vcc
	v_ashrrev_i32_e32 v19, 31, v13
	v_xor_b32_e32 v17, v16, v13
	v_xor_b32_e32 v16, v19, v12
	v_cmp_ne_u64_e32 vcc, s[8:9], v[16:17]
	v_cndmask_b32_e32 v13, v35, v17, vcc
	v_cndmask_b32_e32 v12, 0, v16, vcc
	v_lshrrev_b64 v[12:13], s20, v[12:13]
	v_and_b32_e32 v12, s31, v12
	v_lshl_add_u32 v13, v12, 4, v12
	v_add_lshl_u32 v23, v13, v23, 2
	v_and_b32_e32 v13, 1, v12
	v_add_co_u32_e32 v19, vcc, -1, v13
	v_addc_co_u32_e64 v37, s[2:3], 0, -1, vcc
	v_cmp_ne_u32_e32 vcc, 0, v13
	v_xor_b32_e32 v19, vcc_lo, v19
	v_xor_b32_e32 v13, vcc_hi, v37
	v_and_b32_e32 v37, exec_lo, v19
	v_lshlrev_b32_e32 v19, 30, v12
	v_cmp_gt_i64_e32 vcc, 0, v[18:19]
	v_not_b32_e32 v19, v19
	v_ashrrev_i32_e32 v19, 31, v19
	v_xor_b32_e32 v39, vcc_hi, v19
	v_xor_b32_e32 v19, vcc_lo, v19
	v_and_b32_e32 v37, v37, v19
	v_lshlrev_b32_e32 v19, 29, v12
	v_cmp_gt_i64_e32 vcc, 0, v[18:19]
	v_not_b32_e32 v19, v19
	v_and_b32_e32 v13, exec_hi, v13
	v_ashrrev_i32_e32 v19, 31, v19
	v_and_b32_e32 v13, v13, v39
	v_xor_b32_e32 v39, vcc_hi, v19
	v_xor_b32_e32 v19, vcc_lo, v19
	v_and_b32_e32 v37, v37, v19
	v_lshlrev_b32_e32 v19, 28, v12
	v_cmp_gt_i64_e32 vcc, 0, v[18:19]
	v_not_b32_e32 v19, v19
	v_ashrrev_i32_e32 v19, 31, v19
	v_and_b32_e32 v13, v13, v39
	v_xor_b32_e32 v39, vcc_hi, v19
	v_xor_b32_e32 v19, vcc_lo, v19
	v_and_b32_e32 v37, v37, v19
	v_lshlrev_b32_e32 v19, 27, v12
	v_cmp_gt_i64_e32 vcc, 0, v[18:19]
	v_not_b32_e32 v19, v19
	v_ashrrev_i32_e32 v19, 31, v19
	v_and_b32_e32 v13, v13, v39
	v_xor_b32_e32 v39, vcc_hi, v19
	v_xor_b32_e32 v19, vcc_lo, v19
	v_and_b32_e32 v37, v37, v19
	v_lshlrev_b32_e32 v19, 26, v12
	v_cmp_gt_i64_e32 vcc, 0, v[18:19]
	v_not_b32_e32 v19, v19
	v_ashrrev_i32_e32 v19, 31, v19
	v_and_b32_e32 v13, v13, v39
	v_xor_b32_e32 v39, vcc_hi, v19
	v_xor_b32_e32 v19, vcc_lo, v19
	v_and_b32_e32 v37, v37, v19
	v_lshlrev_b32_e32 v19, 25, v12
	v_cmp_gt_i64_e32 vcc, 0, v[18:19]
	v_not_b32_e32 v19, v19
	v_ashrrev_i32_e32 v19, 31, v19
	v_and_b32_e32 v13, v13, v39
	v_xor_b32_e32 v39, vcc_hi, v19
	v_xor_b32_e32 v19, vcc_lo, v19
	v_and_b32_e32 v37, v37, v19
	v_lshlrev_b32_e32 v19, 24, v12
	v_not_b32_e32 v12, v19
	v_cmp_gt_i64_e32 vcc, 0, v[18:19]
	v_ashrrev_i32_e32 v12, 31, v12
	v_xor_b32_e32 v18, vcc_hi, v12
	v_xor_b32_e32 v12, vcc_lo, v12
	; wave barrier
	ds_read_b32 v35, v23 offset:64
	v_and_b32_e32 v13, v13, v39
	v_and_b32_e32 v12, v37, v12
	;; [unrolled: 1-line block ×3, first 2 shown]
	v_mbcnt_lo_u32_b32 v18, v12, 0
	v_mbcnt_hi_u32_b32 v37, v13, v18
	v_cmp_eq_u32_e32 vcc, 0, v37
	v_cmp_ne_u64_e64 s[2:3], 0, v[12:13]
	v_add_u32_e32 v38, 64, v3
	s_and_b64 s[8:9], s[2:3], vcc
	; wave barrier
	s_and_saveexec_b64 s[2:3], s[8:9]
	s_cbranch_execz .LBB1376_29
; %bb.28:
	v_bcnt_u32_b32 v12, v12, 0
	v_bcnt_u32_b32 v12, v13, v12
	s_waitcnt lgkmcnt(0)
	v_add_u32_e32 v12, v35, v12
	ds_write_b32 v23, v12 offset:64
.LBB1376_29:
	s_or_b64 exec, exec, s[2:3]
	; wave barrier
	s_waitcnt lgkmcnt(0)
	s_barrier
	ds_read2_b32 v[18:19], v3 offset0:16 offset1:17
	ds_read2_b32 v[12:13], v38 offset0:2 offset1:3
	ds_read_b32 v39, v38 offset:16
	v_cmp_lt_u32_e64 s[12:13], 31, v1
	s_waitcnt lgkmcnt(1)
	v_add3_u32 v40, v19, v18, v12
	s_waitcnt lgkmcnt(0)
	v_add3_u32 v39, v40, v13, v39
	v_and_b32_e32 v40, 15, v1
	v_cmp_eq_u32_e32 vcc, 0, v40
	v_mov_b32_dpp v41, v39 row_shr:1 row_mask:0xf bank_mask:0xf
	v_cndmask_b32_e64 v41, v41, 0, vcc
	v_add_u32_e32 v39, v41, v39
	v_cmp_lt_u32_e64 s[2:3], 1, v40
	v_cmp_lt_u32_e64 s[10:11], 3, v40
	v_mov_b32_dpp v41, v39 row_shr:2 row_mask:0xf bank_mask:0xf
	v_cndmask_b32_e64 v41, 0, v41, s[2:3]
	v_add_u32_e32 v39, v39, v41
	v_cmp_lt_u32_e64 s[8:9], 7, v40
	s_nop 0
	v_mov_b32_dpp v41, v39 row_shr:4 row_mask:0xf bank_mask:0xf
	v_cndmask_b32_e64 v41, 0, v41, s[10:11]
	v_add_u32_e32 v39, v39, v41
	s_nop 1
	v_mov_b32_dpp v41, v39 row_shr:8 row_mask:0xf bank_mask:0xf
	v_cndmask_b32_e64 v40, 0, v41, s[8:9]
	v_add_u32_e32 v39, v39, v40
	v_bfe_i32 v41, v1, 4, 1
	s_nop 0
	v_mov_b32_dpp v40, v39 row_bcast:15 row_mask:0xf bank_mask:0xf
	v_and_b32_e32 v40, v41, v40
	v_add_u32_e32 v39, v39, v40
	v_and_b32_e32 v41, 63, v2
	s_nop 0
	v_mov_b32_dpp v40, v39 row_bcast:31 row_mask:0xf bank_mask:0xf
	v_cndmask_b32_e64 v40, 0, v40, s[12:13]
	v_add_u32_e32 v39, v39, v40
	v_lshrrev_b32_e32 v40, 6, v2
	v_cmp_eq_u32_e64 s[12:13], 63, v41
	s_and_saveexec_b64 s[22:23], s[12:13]
	s_cbranch_execz .LBB1376_31
; %bb.30:
	v_lshlrev_b32_e32 v41, 2, v40
	ds_write_b32 v41, v39
.LBB1376_31:
	s_or_b64 exec, exec, s[22:23]
	v_cmp_gt_u32_e64 s[12:13], 16, v2
	s_waitcnt lgkmcnt(0)
	s_barrier
	s_and_saveexec_b64 s[22:23], s[12:13]
	s_cbranch_execz .LBB1376_33
; %bb.32:
	v_lshlrev_b32_e32 v41, 2, v2
	ds_read_b32 v42, v41
	s_waitcnt lgkmcnt(0)
	s_nop 0
	v_mov_b32_dpp v43, v42 row_shr:1 row_mask:0xf bank_mask:0xf
	v_cndmask_b32_e64 v43, v43, 0, vcc
	v_add_u32_e32 v42, v43, v42
	s_nop 1
	v_mov_b32_dpp v43, v42 row_shr:2 row_mask:0xf bank_mask:0xf
	v_cndmask_b32_e64 v43, 0, v43, s[2:3]
	v_add_u32_e32 v42, v42, v43
	s_nop 1
	v_mov_b32_dpp v43, v42 row_shr:4 row_mask:0xf bank_mask:0xf
	v_cndmask_b32_e64 v43, 0, v43, s[10:11]
	;; [unrolled: 4-line block ×3, first 2 shown]
	v_add_u32_e32 v42, v42, v43
	ds_write_b32 v41, v42
.LBB1376_33:
	s_or_b64 exec, exec, s[22:23]
	v_cmp_lt_u32_e32 vcc, 63, v2
	v_mov_b32_e32 v41, 0
	s_waitcnt lgkmcnt(0)
	s_barrier
	s_and_saveexec_b64 s[2:3], vcc
	s_cbranch_execz .LBB1376_35
; %bb.34:
	v_lshl_add_u32 v40, v40, 2, -4
	ds_read_b32 v41, v40
.LBB1376_35:
	s_or_b64 exec, exec, s[2:3]
	v_add_u32_e32 v40, -1, v1
	v_and_b32_e32 v42, 64, v1
	v_cmp_lt_i32_e32 vcc, v40, v42
	v_cndmask_b32_e32 v40, v40, v1, vcc
	s_waitcnt lgkmcnt(0)
	v_add_u32_e32 v39, v41, v39
	v_lshlrev_b32_e32 v40, 2, v40
	ds_bpermute_b32 v39, v40, v39
	v_cmp_eq_u32_e32 vcc, 0, v1
	s_movk_i32 s8, 0xff
	s_movk_i32 s2, 0x100
	v_cmp_gt_u32_e64 s[2:3], s2, v2
	s_waitcnt lgkmcnt(0)
	v_cndmask_b32_e32 v1, v39, v41, vcc
	v_cndmask_b32_e64 v1, v1, 0, s[0:1]
	v_add_u32_e32 v18, v1, v18
	v_add_u32_e32 v19, v18, v19
	;; [unrolled: 1-line block ×4, first 2 shown]
	ds_write2_b32 v3, v1, v18 offset0:16 offset1:17
	ds_write2_b32 v38, v19, v12 offset0:2 offset1:3
	ds_write_b32 v38, v13 offset:16
	s_waitcnt lgkmcnt(0)
	s_barrier
	ds_read_b32 v40, v20 offset:64
	ds_read_b32 v1, v21 offset:64
	;; [unrolled: 1-line block ×6, first 2 shown]
	v_cmp_lt_u32_e32 vcc, s8, v2
	v_pk_mov_b32 v[12:13], 0, 0
                                        ; implicit-def: $vgpr29
	s_and_saveexec_b64 s[10:11], s[2:3]
	s_cbranch_execz .LBB1376_39
; %bb.36:
	v_mul_u32_u24_e32 v3, 17, v2
	v_lshlrev_b32_e32 v13, 2, v3
	ds_read_b32 v12, v13 offset:64
	v_cmp_ne_u32_e64 s[8:9], s8, v2
	v_mov_b32_e32 v3, 0x1800
	s_and_saveexec_b64 s[12:13], s[8:9]
	s_cbranch_execz .LBB1376_38
; %bb.37:
	ds_read_b32 v3, v13 offset:132
.LBB1376_38:
	s_or_b64 exec, exec, s[12:13]
	s_waitcnt lgkmcnt(0)
	v_sub_u32_e32 v29, v3, v12
	v_mov_b32_e32 v13, 0
.LBB1376_39:
	s_or_b64 exec, exec, s[10:11]
	s_waitcnt lgkmcnt(0)
	s_barrier
	s_and_saveexec_b64 s[8:9], vcc
	s_xor_b64 s[8:9], exec, s[8:9]
; %bb.40:
	v_mov_b32_e32 v3, 0
; %bb.41:
	s_andn2_saveexec_b64 s[8:9], s[8:9]
	s_cbranch_execz .LBB1376_51
; %bb.42:
	v_lshl_or_b32 v18, s30, 8, v2
	v_mov_b32_e32 v19, 0
	v_lshlrev_b64 v[20:21], 2, v[18:19]
	v_mov_b32_e32 v3, s15
	v_add_co_u32_e32 v20, vcc, s14, v20
	v_addc_co_u32_e32 v21, vcc, v3, v21, vcc
	v_or_b32_e32 v18, 2.0, v29
	s_mov_b64 s[10:11], 0
	s_brev_b32 s33, 1
	s_mov_b32 s34, s30
	v_mov_b32_e32 v42, 0
	global_store_dword v[20:21], v18, off
                                        ; implicit-def: $sgpr12_sgpr13
	s_branch .LBB1376_44
.LBB1376_43:                            ;   in Loop: Header=BB1376_44 Depth=1
	s_or_b64 exec, exec, s[12:13]
	v_and_b32_e32 v22, 0x3fffffff, v43
	v_add_u32_e32 v42, v22, v42
	v_cmp_eq_u32_e64 s[12:13], s33, v18
	s_and_b64 s[22:23], exec, s[12:13]
	s_or_b64 s[10:11], s[22:23], s[10:11]
	s_andn2_b64 exec, exec, s[10:11]
	s_cbranch_execz .LBB1376_50
.LBB1376_44:                            ; =>This Loop Header: Depth=1
                                        ;     Child Loop BB1376_47 Depth 2
	s_or_b64 s[12:13], s[12:13], exec
	s_cmp_eq_u32 s34, 0
	s_cbranch_scc1 .LBB1376_49
; %bb.45:                               ;   in Loop: Header=BB1376_44 Depth=1
	s_add_i32 s34, s34, -1
	v_lshl_or_b32 v18, s34, 8, v2
	v_lshlrev_b64 v[22:23], 2, v[18:19]
	v_add_co_u32_e32 v22, vcc, s14, v22
	v_addc_co_u32_e32 v23, vcc, v3, v23, vcc
	global_load_dword v43, v[22:23], off glc
	s_waitcnt vmcnt(0)
	v_and_b32_e32 v18, -2.0, v43
	v_cmp_eq_u32_e32 vcc, 0, v18
	s_and_saveexec_b64 s[12:13], vcc
	s_cbranch_execz .LBB1376_43
; %bb.46:                               ;   in Loop: Header=BB1376_44 Depth=1
	s_mov_b64 s[22:23], 0
.LBB1376_47:                            ;   Parent Loop BB1376_44 Depth=1
                                        ; =>  This Inner Loop Header: Depth=2
	global_load_dword v43, v[22:23], off glc
	s_waitcnt vmcnt(0)
	v_and_b32_e32 v18, -2.0, v43
	v_cmp_ne_u32_e32 vcc, 0, v18
	s_or_b64 s[22:23], vcc, s[22:23]
	s_andn2_b64 exec, exec, s[22:23]
	s_cbranch_execnz .LBB1376_47
; %bb.48:                               ;   in Loop: Header=BB1376_44 Depth=1
	s_or_b64 exec, exec, s[22:23]
	s_branch .LBB1376_43
.LBB1376_49:                            ;   in Loop: Header=BB1376_44 Depth=1
                                        ; implicit-def: $sgpr34
	s_and_b64 s[22:23], exec, s[12:13]
	s_or_b64 s[10:11], s[22:23], s[10:11]
	s_andn2_b64 exec, exec, s[10:11]
	s_cbranch_execnz .LBB1376_44
.LBB1376_50:
	s_or_b64 exec, exec, s[10:11]
	v_add_u32_e32 v3, v42, v29
	v_or_b32_e32 v3, 0x80000000, v3
	global_store_dword v[20:21], v3, off
	v_lshlrev_b32_e32 v20, 3, v2
	global_load_dwordx2 v[18:19], v20, s[16:17]
	v_sub_co_u32_e32 v21, vcc, v42, v12
	v_subb_co_u32_e32 v22, vcc, 0, v13, vcc
	v_mov_b32_e32 v3, 0
	s_waitcnt vmcnt(0)
	v_add_co_u32_e32 v18, vcc, v21, v18
	v_addc_co_u32_e32 v19, vcc, v22, v19, vcc
	ds_write_b64 v20, v[18:19]
.LBB1376_51:
	s_or_b64 exec, exec, s[8:9]
	v_add_u32_e32 v19, v40, v25
	v_add3_u32 v25, v32, v39, v31
	v_add3_u32 v28, v30, v38, v28
	v_lshlrev_b64 v[30:31], 3, v[2:3]
	v_lshlrev_b32_e32 v20, 3, v2
	v_add3_u32 v26, v27, v1, v26
	v_mov_b32_e32 v1, s27
	v_add_co_u32_e32 v18, vcc, s26, v30
	s_mov_b32 s10, -1
	v_add_u32_e32 v21, 0x800, v20
	v_add3_u32 v22, v37, v41, v35
	v_add3_u32 v23, v34, v36, v33
	v_addc_co_u32_e32 v1, vcc, v1, v31, vcc
	s_mov_b32 s22, 0
	s_brev_b32 s11, -2
	v_bfrev_b32_e32 v27, 1
	v_mov_b32_e32 v30, v2
	s_branch .LBB1376_53
.LBB1376_52:                            ;   in Loop: Header=BB1376_53 Depth=1
	s_or_b64 exec, exec, s[12:13]
	s_addk_i32 s22, 0xf800
	v_add_co_u32_e32 v18, vcc, 0x4000, v18
	v_addc_co_u32_e32 v1, vcc, 0, v1, vcc
	s_cmpk_eq_i32 s22, 0xe800
	v_add_u32_e32 v30, 0x800, v30
	s_barrier
	s_cbranch_scc1 .LBB1376_58
.LBB1376_53:                            ; =>This Inner Loop Header: Depth=1
	v_add_u32_e32 v31, s22, v19
	v_min_u32_e32 v31, 0x800, v31
	v_lshlrev_b32_e32 v31, 3, v31
	ds_write_b64 v31, v[4:5] offset:2048
	v_add_u32_e32 v31, s22, v26
	v_min_u32_e32 v31, 0x800, v31
	v_lshlrev_b32_e32 v31, 3, v31
	ds_write_b64 v31, v[6:7] offset:2048
	;; [unrolled: 4-line block ×5, first 2 shown]
	v_add_u32_e32 v31, s22, v22
	v_min_u32_e32 v31, 0x800, v31
	v_lshlrev_b32_e32 v31, 3, v31
	v_cmp_gt_u32_e32 vcc, s7, v30
	ds_write_b64 v31, v[16:17] offset:2048
	s_waitcnt lgkmcnt(0)
	s_barrier
	s_and_saveexec_b64 s[12:13], vcc
	s_cbranch_execz .LBB1376_55
; %bb.54:                               ;   in Loop: Header=BB1376_53 Depth=1
	ds_read_b64 v[32:33], v20 offset:2048
	s_waitcnt lgkmcnt(0)
	v_cmp_ne_u64_e32 vcc, s[10:11], v[32:33]
	v_cndmask_b32_e32 v35, v27, v33, vcc
	v_cndmask_b32_e32 v34, 0, v32, vcc
	v_lshrrev_b64 v[34:35], s20, v[34:35]
	v_and_b32_e32 v34, s31, v34
	v_lshlrev_b32_e32 v34, 3, v34
	ds_read_b64 v[34:35], v34
	v_cmp_lt_i64_e64 s[8:9], -1, v[32:33]
	v_ashrrev_i32_e32 v36, 31, v33
	v_cndmask_b32_e64 v31, v27, -1, s[8:9]
	v_not_b32_e32 v36, v36
	s_waitcnt lgkmcnt(0)
	v_lshlrev_b64 v[34:35], 3, v[34:35]
	v_add_co_u32_e32 v34, vcc, v18, v34
	v_xor_b32_e32 v33, v31, v33
	v_xor_b32_e32 v32, v36, v32
	v_addc_co_u32_e32 v35, vcc, v1, v35, vcc
	global_store_dwordx2 v[34:35], v[32:33], off
.LBB1376_55:                            ;   in Loop: Header=BB1376_53 Depth=1
	s_or_b64 exec, exec, s[12:13]
	v_add_u32_e32 v31, 0x400, v30
	v_cmp_gt_u32_e32 vcc, s7, v31
	s_and_saveexec_b64 s[12:13], vcc
	s_cbranch_execz .LBB1376_52
; %bb.56:                               ;   in Loop: Header=BB1376_53 Depth=1
	ds_read_b64 v[32:33], v21 offset:8192
	s_waitcnt lgkmcnt(0)
	v_cmp_ne_u64_e32 vcc, s[10:11], v[32:33]
	v_cndmask_b32_e32 v35, v27, v33, vcc
	v_cndmask_b32_e32 v34, 0, v32, vcc
	v_lshrrev_b64 v[34:35], s20, v[34:35]
	v_and_b32_e32 v34, s31, v34
	v_lshlrev_b32_e32 v34, 3, v34
	ds_read_b64 v[34:35], v34
	v_cmp_lt_i64_e64 s[8:9], -1, v[32:33]
	v_cndmask_b32_e64 v31, v27, -1, s[8:9]
	v_ashrrev_i32_e32 v36, 31, v33
	v_xor_b32_e32 v33, v31, v33
	s_waitcnt lgkmcnt(0)
	v_lshlrev_b64 v[34:35], 3, v[34:35]
	v_add_co_u32_e32 v31, vcc, v18, v34
	v_addc_co_u32_e32 v35, vcc, v1, v35, vcc
	v_not_b32_e32 v36, v36
	v_add_co_u32_e32 v34, vcc, 0x2000, v31
	v_xor_b32_e32 v32, v36, v32
	v_addc_co_u32_e32 v35, vcc, 0, v35, vcc
	global_store_dwordx2 v[34:35], v[32:33], off
	s_branch .LBB1376_52
.LBB1376_57:
	s_mov_b64 s[2:3], 0
                                        ; implicit-def: $vgpr12_vgpr13
                                        ; implicit-def: $vgpr29
	s_cbranch_execnz .LBB1376_59
	s_branch .LBB1376_96
.LBB1376_58:
	s_add_i32 s29, s29, -1
	s_cmp_eq_u32 s29, s30
	s_cselect_b64 s[8:9], -1, 0
	s_and_b64 s[2:3], s[2:3], s[8:9]
	s_branch .LBB1376_96
.LBB1376_59:
	s_mov_b32 s29, 0
	s_lshl_b64 s[2:3], s[28:29], 3
	v_mbcnt_hi_u32_b32 v3, -1, v24
	s_add_u32 s2, s24, s2
	v_and_b32_e32 v1, 63, v3
	s_addc_u32 s3, s25, s3
	v_and_b32_e32 v4, 0x3c0, v2
	v_lshlrev_b32_e32 v1, 3, v1
	v_mul_u32_u24_e32 v4, 6, v4
	v_mov_b32_e32 v5, s3
	v_add_co_u32_e32 v1, vcc, s2, v1
	s_load_dword s12, s[4:5], 0x58
	s_load_dword s2, s[4:5], 0x64
	v_addc_co_u32_e32 v5, vcc, 0, v5, vcc
	v_lshlrev_b32_e32 v4, 3, v4
	v_add_co_u32_e32 v16, vcc, v1, v4
	v_addc_co_u32_e32 v17, vcc, 0, v5, vcc
	global_load_dwordx2 v[22:23], v[16:17], off
	s_add_u32 s3, s4, 0x58
	s_addc_u32 s4, s5, 0
	s_waitcnt lgkmcnt(0)
	s_lshr_b32 s7, s2, 16
	s_cmp_lt_u32 s6, s12
	s_cselect_b32 s2, 12, 18
	s_add_u32 s2, s3, s2
	v_mov_b32_e32 v6, 0
	s_addc_u32 s3, s4, 0
	global_load_ushort v7, v6, s[2:3]
	v_mul_u32_u24_e32 v4, 5, v2
	v_lshlrev_b32_e32 v18, 2, v4
	ds_write2_b32 v18, v6, v6 offset0:16 offset1:17
	ds_write2_b32 v18, v6, v6 offset0:18 offset1:19
	ds_write_b32 v18, v6 offset:80
	global_load_dwordx2 v[4:5], v[16:17], off offset:512
	global_load_dwordx2 v[14:15], v[16:17], off offset:1024
	;; [unrolled: 1-line block ×5, first 2 shown]
	v_bfrev_b32_e32 v20, 1
	v_bfe_u32 v1, v0, 10, 10
	v_bfe_u32 v0, v0, 20, 10
	s_mov_b32 s4, -1
	v_mad_u32_u24 v19, v0, s7, v1
	s_brev_b32 s5, -2
	s_lshl_b32 s2, -1, s21
	s_not_b32 s13, s2
	s_waitcnt lgkmcnt(0)
	s_barrier
	s_waitcnt lgkmcnt(0)
	; wave barrier
	s_waitcnt vmcnt(6)
	v_cmp_lt_i64_e32 vcc, -1, v[22:23]
	v_cndmask_b32_e32 v0, -1, v20, vcc
	v_ashrrev_i32_e32 v16, 31, v23
	v_xor_b32_e32 v1, v0, v23
	v_xor_b32_e32 v0, v16, v22
	v_cmp_ne_u64_e32 vcc, s[4:5], v[0:1]
	v_cndmask_b32_e32 v17, v20, v1, vcc
	v_cndmask_b32_e32 v16, 0, v0, vcc
	v_lshrrev_b64 v[16:17], s20, v[16:17]
	s_waitcnt vmcnt(5)
	v_mad_u64_u32 v[22:23], s[2:3], v19, v7, v[2:3]
	v_and_b32_e32 v16, s13, v16
	v_lshrrev_b32_e32 v21, 6, v22
	v_lshl_add_u32 v17, v16, 4, v16
	v_and_b32_e32 v22, 1, v16
	v_add_lshl_u32 v19, v21, v17, 2
	v_add_co_u32_e32 v17, vcc, -1, v22
	v_lshlrev_b32_e32 v7, 30, v16
	v_addc_co_u32_e64 v23, s[2:3], 0, -1, vcc
	v_cmp_ne_u32_e32 vcc, 0, v22
	v_cmp_gt_i64_e64 s[2:3], 0, v[6:7]
	v_not_b32_e32 v22, v7
	v_lshlrev_b32_e32 v7, 29, v16
	v_xor_b32_e32 v23, vcc_hi, v23
	v_xor_b32_e32 v17, vcc_lo, v17
	v_ashrrev_i32_e32 v22, 31, v22
	v_cmp_gt_i64_e32 vcc, 0, v[6:7]
	v_not_b32_e32 v24, v7
	v_lshlrev_b32_e32 v7, 28, v16
	v_and_b32_e32 v23, exec_hi, v23
	v_and_b32_e32 v17, exec_lo, v17
	v_xor_b32_e32 v25, s3, v22
	v_xor_b32_e32 v22, s2, v22
	v_ashrrev_i32_e32 v24, 31, v24
	v_cmp_gt_i64_e64 s[2:3], 0, v[6:7]
	v_not_b32_e32 v7, v7
	v_and_b32_e32 v23, v23, v25
	v_and_b32_e32 v17, v17, v22
	v_xor_b32_e32 v22, vcc_hi, v24
	v_xor_b32_e32 v24, vcc_lo, v24
	v_ashrrev_i32_e32 v7, 31, v7
	v_and_b32_e32 v22, v23, v22
	v_and_b32_e32 v17, v17, v24
	v_xor_b32_e32 v23, s3, v7
	v_xor_b32_e32 v7, s2, v7
	v_and_b32_e32 v17, v17, v7
	v_lshlrev_b32_e32 v7, 27, v16
	v_cmp_gt_i64_e32 vcc, 0, v[6:7]
	v_not_b32_e32 v7, v7
	v_ashrrev_i32_e32 v7, 31, v7
	v_and_b32_e32 v22, v22, v23
	v_xor_b32_e32 v23, vcc_hi, v7
	v_xor_b32_e32 v7, vcc_lo, v7
	v_and_b32_e32 v17, v17, v7
	v_lshlrev_b32_e32 v7, 26, v16
	v_cmp_gt_i64_e32 vcc, 0, v[6:7]
	v_not_b32_e32 v7, v7
	v_ashrrev_i32_e32 v7, 31, v7
	v_and_b32_e32 v22, v22, v23
	v_xor_b32_e32 v23, vcc_hi, v7
	v_xor_b32_e32 v7, vcc_lo, v7
	;; [unrolled: 8-line block ×3, first 2 shown]
	v_and_b32_e32 v22, v22, v23
	v_and_b32_e32 v23, v17, v7
	v_lshlrev_b32_e32 v7, 24, v16
	v_cmp_gt_i64_e32 vcc, 0, v[6:7]
	v_not_b32_e32 v7, v7
	v_ashrrev_i32_e32 v7, 31, v7
	v_xor_b32_e32 v16, vcc_hi, v7
	v_xor_b32_e32 v7, vcc_lo, v7
	v_and_b32_e32 v17, v22, v16
	v_and_b32_e32 v16, v23, v7
	v_mbcnt_lo_u32_b32 v7, v16, 0
	v_mbcnt_hi_u32_b32 v22, v17, v7
	v_cmp_eq_u32_e32 vcc, 0, v22
	v_cmp_ne_u64_e64 s[2:3], 0, v[16:17]
	s_and_b64 s[6:7], s[2:3], vcc
	s_and_saveexec_b64 s[2:3], s[6:7]
	s_cbranch_execz .LBB1376_61
; %bb.60:
	v_bcnt_u32_b32 v7, v16, 0
	v_bcnt_u32_b32 v7, v17, v7
	ds_write_b32 v19, v7 offset:64
.LBB1376_61:
	s_or_b64 exec, exec, s[2:3]
	s_waitcnt vmcnt(4)
	v_cmp_lt_i64_e32 vcc, -1, v[4:5]
	v_cndmask_b32_e32 v7, -1, v20, vcc
	v_ashrrev_i32_e32 v16, 31, v5
	v_xor_b32_e32 v5, v7, v5
	v_xor_b32_e32 v4, v16, v4
	v_cmp_ne_u64_e32 vcc, s[4:5], v[4:5]
	v_cndmask_b32_e32 v17, v20, v5, vcc
	v_cndmask_b32_e32 v16, 0, v4, vcc
	v_lshrrev_b64 v[16:17], s20, v[16:17]
	v_and_b32_e32 v16, s13, v16
	v_lshl_add_u32 v7, v16, 4, v16
	v_add_lshl_u32 v20, v21, v7, 2
	v_and_b32_e32 v7, 1, v16
	v_add_co_u32_e32 v17, vcc, -1, v7
	v_addc_co_u32_e64 v24, s[2:3], 0, -1, vcc
	v_cmp_ne_u32_e32 vcc, 0, v7
	v_xor_b32_e32 v7, vcc_hi, v24
	v_and_b32_e32 v24, exec_hi, v7
	v_lshlrev_b32_e32 v7, 30, v16
	v_xor_b32_e32 v17, vcc_lo, v17
	v_cmp_gt_i64_e32 vcc, 0, v[6:7]
	v_not_b32_e32 v7, v7
	v_ashrrev_i32_e32 v7, 31, v7
	v_and_b32_e32 v17, exec_lo, v17
	v_xor_b32_e32 v25, vcc_hi, v7
	v_xor_b32_e32 v7, vcc_lo, v7
	v_and_b32_e32 v17, v17, v7
	v_lshlrev_b32_e32 v7, 29, v16
	v_cmp_gt_i64_e32 vcc, 0, v[6:7]
	v_not_b32_e32 v7, v7
	v_ashrrev_i32_e32 v7, 31, v7
	v_and_b32_e32 v24, v24, v25
	v_xor_b32_e32 v25, vcc_hi, v7
	v_xor_b32_e32 v7, vcc_lo, v7
	v_and_b32_e32 v17, v17, v7
	v_lshlrev_b32_e32 v7, 28, v16
	v_cmp_gt_i64_e32 vcc, 0, v[6:7]
	v_not_b32_e32 v7, v7
	v_ashrrev_i32_e32 v7, 31, v7
	v_and_b32_e32 v24, v24, v25
	;; [unrolled: 8-line block ×5, first 2 shown]
	v_xor_b32_e32 v25, vcc_hi, v7
	v_xor_b32_e32 v7, vcc_lo, v7
	v_and_b32_e32 v17, v17, v7
	v_lshlrev_b32_e32 v7, 24, v16
	v_cmp_gt_i64_e32 vcc, 0, v[6:7]
	v_not_b32_e32 v6, v7
	v_ashrrev_i32_e32 v6, 31, v6
	v_xor_b32_e32 v7, vcc_hi, v6
	v_xor_b32_e32 v6, vcc_lo, v6
	; wave barrier
	ds_read_b32 v23, v20 offset:64
	v_and_b32_e32 v24, v24, v25
	v_and_b32_e32 v6, v17, v6
	v_and_b32_e32 v7, v24, v7
	v_mbcnt_lo_u32_b32 v16, v6, 0
	v_mbcnt_hi_u32_b32 v24, v7, v16
	v_cmp_eq_u32_e32 vcc, 0, v24
	v_cmp_ne_u64_e64 s[2:3], 0, v[6:7]
	s_and_b64 s[4:5], s[2:3], vcc
	; wave barrier
	s_and_saveexec_b64 s[2:3], s[4:5]
	s_cbranch_execz .LBB1376_63
; %bb.62:
	v_bcnt_u32_b32 v6, v6, 0
	v_bcnt_u32_b32 v6, v7, v6
	s_waitcnt lgkmcnt(0)
	v_add_u32_e32 v6, v23, v6
	ds_write_b32 v20, v6 offset:64
.LBB1376_63:
	s_or_b64 exec, exec, s[2:3]
	v_bfrev_b32_e32 v27, 1
	s_waitcnt vmcnt(3)
	v_cmp_lt_i64_e32 vcc, -1, v[14:15]
	s_mov_b32 s4, -1
	v_cndmask_b32_e32 v6, -1, v27, vcc
	v_ashrrev_i32_e32 v16, 31, v15
	s_brev_b32 s5, -2
	v_xor_b32_e32 v7, v6, v15
	v_xor_b32_e32 v6, v16, v14
	v_cmp_ne_u64_e32 vcc, s[4:5], v[6:7]
	v_cndmask_b32_e32 v17, v27, v7, vcc
	v_cndmask_b32_e32 v16, 0, v6, vcc
	v_lshrrev_b64 v[16:17], s20, v[16:17]
	v_and_b32_e32 v16, s13, v16
	v_lshl_add_u32 v15, v16, 4, v16
	v_add_lshl_u32 v28, v21, v15, 2
	v_and_b32_e32 v15, 1, v16
	v_add_co_u32_e32 v17, vcc, -1, v15
	v_addc_co_u32_e64 v26, s[2:3], 0, -1, vcc
	v_cmp_ne_u32_e32 vcc, 0, v15
	v_xor_b32_e32 v15, vcc_hi, v26
	v_mov_b32_e32 v14, 0
	v_and_b32_e32 v26, exec_hi, v15
	v_lshlrev_b32_e32 v15, 30, v16
	v_xor_b32_e32 v17, vcc_lo, v17
	v_cmp_gt_i64_e32 vcc, 0, v[14:15]
	v_not_b32_e32 v15, v15
	v_ashrrev_i32_e32 v15, 31, v15
	v_and_b32_e32 v17, exec_lo, v17
	v_xor_b32_e32 v29, vcc_hi, v15
	v_xor_b32_e32 v15, vcc_lo, v15
	v_and_b32_e32 v17, v17, v15
	v_lshlrev_b32_e32 v15, 29, v16
	v_cmp_gt_i64_e32 vcc, 0, v[14:15]
	v_not_b32_e32 v15, v15
	v_ashrrev_i32_e32 v15, 31, v15
	v_and_b32_e32 v26, v26, v29
	v_xor_b32_e32 v29, vcc_hi, v15
	v_xor_b32_e32 v15, vcc_lo, v15
	v_and_b32_e32 v17, v17, v15
	v_lshlrev_b32_e32 v15, 28, v16
	v_cmp_gt_i64_e32 vcc, 0, v[14:15]
	v_not_b32_e32 v15, v15
	v_ashrrev_i32_e32 v15, 31, v15
	v_and_b32_e32 v26, v26, v29
	;; [unrolled: 8-line block ×5, first 2 shown]
	v_xor_b32_e32 v29, vcc_hi, v15
	v_xor_b32_e32 v15, vcc_lo, v15
	v_and_b32_e32 v26, v26, v29
	v_and_b32_e32 v29, v17, v15
	v_lshlrev_b32_e32 v15, 24, v16
	v_cmp_gt_i64_e32 vcc, 0, v[14:15]
	v_not_b32_e32 v15, v15
	v_ashrrev_i32_e32 v15, 31, v15
	v_xor_b32_e32 v16, vcc_hi, v15
	v_xor_b32_e32 v15, vcc_lo, v15
	; wave barrier
	ds_read_b32 v25, v28 offset:64
	v_and_b32_e32 v17, v26, v16
	v_and_b32_e32 v16, v29, v15
	v_mbcnt_lo_u32_b32 v15, v16, 0
	v_mbcnt_hi_u32_b32 v26, v17, v15
	v_cmp_eq_u32_e32 vcc, 0, v26
	v_cmp_ne_u64_e64 s[2:3], 0, v[16:17]
	s_and_b64 s[6:7], s[2:3], vcc
	; wave barrier
	s_and_saveexec_b64 s[2:3], s[6:7]
	s_cbranch_execz .LBB1376_65
; %bb.64:
	v_bcnt_u32_b32 v15, v16, 0
	v_bcnt_u32_b32 v15, v17, v15
	s_waitcnt lgkmcnt(0)
	v_add_u32_e32 v15, v25, v15
	ds_write_b32 v28, v15 offset:64
.LBB1376_65:
	s_or_b64 exec, exec, s[2:3]
	s_waitcnt vmcnt(2)
	v_cmp_lt_i64_e32 vcc, -1, v[8:9]
	v_cndmask_b32_e32 v15, -1, v27, vcc
	v_ashrrev_i32_e32 v16, 31, v9
	v_xor_b32_e32 v9, v15, v9
	v_xor_b32_e32 v8, v16, v8
	v_cmp_ne_u64_e32 vcc, s[4:5], v[8:9]
	v_cndmask_b32_e32 v17, v27, v9, vcc
	v_cndmask_b32_e32 v16, 0, v8, vcc
	v_lshrrev_b64 v[16:17], s20, v[16:17]
	v_and_b32_e32 v16, s13, v16
	v_lshl_add_u32 v15, v16, 4, v16
	v_add_lshl_u32 v29, v21, v15, 2
	v_and_b32_e32 v15, 1, v16
	v_add_co_u32_e32 v17, vcc, -1, v15
	v_addc_co_u32_e64 v30, s[2:3], 0, -1, vcc
	v_cmp_ne_u32_e32 vcc, 0, v15
	v_xor_b32_e32 v15, vcc_hi, v30
	v_and_b32_e32 v30, exec_hi, v15
	v_lshlrev_b32_e32 v15, 30, v16
	v_xor_b32_e32 v17, vcc_lo, v17
	v_cmp_gt_i64_e32 vcc, 0, v[14:15]
	v_not_b32_e32 v15, v15
	v_ashrrev_i32_e32 v15, 31, v15
	v_and_b32_e32 v17, exec_lo, v17
	v_xor_b32_e32 v31, vcc_hi, v15
	v_xor_b32_e32 v15, vcc_lo, v15
	v_and_b32_e32 v17, v17, v15
	v_lshlrev_b32_e32 v15, 29, v16
	v_cmp_gt_i64_e32 vcc, 0, v[14:15]
	v_not_b32_e32 v15, v15
	v_ashrrev_i32_e32 v15, 31, v15
	v_and_b32_e32 v30, v30, v31
	v_xor_b32_e32 v31, vcc_hi, v15
	v_xor_b32_e32 v15, vcc_lo, v15
	v_and_b32_e32 v17, v17, v15
	v_lshlrev_b32_e32 v15, 28, v16
	v_cmp_gt_i64_e32 vcc, 0, v[14:15]
	v_not_b32_e32 v15, v15
	v_ashrrev_i32_e32 v15, 31, v15
	v_and_b32_e32 v30, v30, v31
	v_xor_b32_e32 v31, vcc_hi, v15
	v_xor_b32_e32 v15, vcc_lo, v15
	v_and_b32_e32 v17, v17, v15
	v_lshlrev_b32_e32 v15, 27, v16
	v_cmp_gt_i64_e32 vcc, 0, v[14:15]
	v_not_b32_e32 v15, v15
	v_ashrrev_i32_e32 v15, 31, v15
	v_and_b32_e32 v30, v30, v31
	v_xor_b32_e32 v31, vcc_hi, v15
	v_xor_b32_e32 v15, vcc_lo, v15
	v_and_b32_e32 v17, v17, v15
	v_lshlrev_b32_e32 v15, 26, v16
	v_cmp_gt_i64_e32 vcc, 0, v[14:15]
	v_not_b32_e32 v15, v15
	v_ashrrev_i32_e32 v15, 31, v15
	v_and_b32_e32 v30, v30, v31
	v_xor_b32_e32 v31, vcc_hi, v15
	v_xor_b32_e32 v15, vcc_lo, v15
	v_and_b32_e32 v17, v17, v15
	v_lshlrev_b32_e32 v15, 25, v16
	v_cmp_gt_i64_e32 vcc, 0, v[14:15]
	v_not_b32_e32 v15, v15
	v_ashrrev_i32_e32 v15, 31, v15
	v_and_b32_e32 v30, v30, v31
	v_xor_b32_e32 v31, vcc_hi, v15
	v_xor_b32_e32 v15, vcc_lo, v15
	v_and_b32_e32 v17, v17, v15
	v_lshlrev_b32_e32 v15, 24, v16
	v_cmp_gt_i64_e32 vcc, 0, v[14:15]
	v_not_b32_e32 v14, v15
	v_ashrrev_i32_e32 v14, 31, v14
	v_xor_b32_e32 v15, vcc_hi, v14
	v_xor_b32_e32 v14, vcc_lo, v14
	; wave barrier
	ds_read_b32 v27, v29 offset:64
	v_and_b32_e32 v30, v30, v31
	v_and_b32_e32 v14, v17, v14
	;; [unrolled: 1-line block ×3, first 2 shown]
	v_mbcnt_lo_u32_b32 v16, v14, 0
	v_mbcnt_hi_u32_b32 v30, v15, v16
	v_cmp_eq_u32_e32 vcc, 0, v30
	v_cmp_ne_u64_e64 s[2:3], 0, v[14:15]
	s_and_b64 s[4:5], s[2:3], vcc
	; wave barrier
	s_and_saveexec_b64 s[2:3], s[4:5]
	s_cbranch_execz .LBB1376_67
; %bb.66:
	v_bcnt_u32_b32 v14, v14, 0
	v_bcnt_u32_b32 v14, v15, v14
	s_waitcnt lgkmcnt(0)
	v_add_u32_e32 v14, v27, v14
	ds_write_b32 v29, v14 offset:64
.LBB1376_67:
	s_or_b64 exec, exec, s[2:3]
	v_bfrev_b32_e32 v33, 1
	s_waitcnt vmcnt(1)
	v_cmp_lt_i64_e32 vcc, -1, v[10:11]
	s_mov_b32 s4, -1
	v_cndmask_b32_e32 v14, -1, v33, vcc
	v_ashrrev_i32_e32 v15, 31, v11
	s_brev_b32 s5, -2
	v_xor_b32_e32 v11, v14, v11
	v_xor_b32_e32 v10, v15, v10
	v_cmp_ne_u64_e32 vcc, s[4:5], v[10:11]
	v_cndmask_b32_e32 v15, v33, v11, vcc
	v_cndmask_b32_e32 v14, 0, v10, vcc
	v_lshrrev_b64 v[14:15], s20, v[14:15]
	v_and_b32_e32 v14, s13, v14
	v_lshl_add_u32 v15, v14, 4, v14
	v_add_lshl_u32 v34, v15, v21, 2
	v_and_b32_e32 v15, 1, v14
	v_add_co_u32_e32 v17, vcc, -1, v15
	v_addc_co_u32_e64 v32, s[2:3], 0, -1, vcc
	v_cmp_ne_u32_e32 vcc, 0, v15
	v_xor_b32_e32 v17, vcc_lo, v17
	v_mov_b32_e32 v16, 0
	v_xor_b32_e32 v15, vcc_hi, v32
	v_and_b32_e32 v32, exec_lo, v17
	v_lshlrev_b32_e32 v17, 30, v14
	v_cmp_gt_i64_e32 vcc, 0, v[16:17]
	v_not_b32_e32 v17, v17
	v_ashrrev_i32_e32 v17, 31, v17
	v_xor_b32_e32 v35, vcc_hi, v17
	v_xor_b32_e32 v17, vcc_lo, v17
	v_and_b32_e32 v32, v32, v17
	v_lshlrev_b32_e32 v17, 29, v14
	v_cmp_gt_i64_e32 vcc, 0, v[16:17]
	v_not_b32_e32 v17, v17
	v_and_b32_e32 v15, exec_hi, v15
	v_ashrrev_i32_e32 v17, 31, v17
	v_and_b32_e32 v15, v15, v35
	v_xor_b32_e32 v35, vcc_hi, v17
	v_xor_b32_e32 v17, vcc_lo, v17
	v_and_b32_e32 v32, v32, v17
	v_lshlrev_b32_e32 v17, 28, v14
	v_cmp_gt_i64_e32 vcc, 0, v[16:17]
	v_not_b32_e32 v17, v17
	v_ashrrev_i32_e32 v17, 31, v17
	v_and_b32_e32 v15, v15, v35
	v_xor_b32_e32 v35, vcc_hi, v17
	v_xor_b32_e32 v17, vcc_lo, v17
	v_and_b32_e32 v32, v32, v17
	v_lshlrev_b32_e32 v17, 27, v14
	v_cmp_gt_i64_e32 vcc, 0, v[16:17]
	v_not_b32_e32 v17, v17
	v_ashrrev_i32_e32 v17, 31, v17
	v_and_b32_e32 v15, v15, v35
	v_xor_b32_e32 v35, vcc_hi, v17
	v_xor_b32_e32 v17, vcc_lo, v17
	v_and_b32_e32 v32, v32, v17
	v_lshlrev_b32_e32 v17, 26, v14
	v_cmp_gt_i64_e32 vcc, 0, v[16:17]
	v_not_b32_e32 v17, v17
	v_ashrrev_i32_e32 v17, 31, v17
	v_and_b32_e32 v15, v15, v35
	v_xor_b32_e32 v35, vcc_hi, v17
	v_xor_b32_e32 v17, vcc_lo, v17
	v_and_b32_e32 v32, v32, v17
	v_lshlrev_b32_e32 v17, 25, v14
	v_cmp_gt_i64_e32 vcc, 0, v[16:17]
	v_not_b32_e32 v17, v17
	v_ashrrev_i32_e32 v17, 31, v17
	v_and_b32_e32 v15, v15, v35
	v_xor_b32_e32 v35, vcc_hi, v17
	v_xor_b32_e32 v17, vcc_lo, v17
	v_and_b32_e32 v32, v32, v17
	v_lshlrev_b32_e32 v17, 24, v14
	v_not_b32_e32 v14, v17
	v_cmp_gt_i64_e32 vcc, 0, v[16:17]
	v_ashrrev_i32_e32 v14, 31, v14
	v_xor_b32_e32 v17, vcc_hi, v14
	v_xor_b32_e32 v14, vcc_lo, v14
	; wave barrier
	ds_read_b32 v31, v34 offset:64
	v_and_b32_e32 v15, v15, v35
	v_and_b32_e32 v14, v32, v14
	;; [unrolled: 1-line block ×3, first 2 shown]
	v_mbcnt_lo_u32_b32 v17, v14, 0
	v_mbcnt_hi_u32_b32 v32, v15, v17
	v_cmp_eq_u32_e32 vcc, 0, v32
	v_cmp_ne_u64_e64 s[2:3], 0, v[14:15]
	s_and_b64 s[6:7], s[2:3], vcc
	; wave barrier
	s_and_saveexec_b64 s[2:3], s[6:7]
	s_cbranch_execz .LBB1376_69
; %bb.68:
	v_bcnt_u32_b32 v14, v14, 0
	v_bcnt_u32_b32 v14, v15, v14
	s_waitcnt lgkmcnt(0)
	v_add_u32_e32 v14, v31, v14
	ds_write_b32 v34, v14 offset:64
.LBB1376_69:
	s_or_b64 exec, exec, s[2:3]
	s_waitcnt vmcnt(0)
	v_cmp_lt_i64_e32 vcc, -1, v[12:13]
	v_cndmask_b32_e32 v14, -1, v33, vcc
	v_ashrrev_i32_e32 v17, 31, v13
	v_xor_b32_e32 v15, v14, v13
	v_xor_b32_e32 v14, v17, v12
	v_cmp_ne_u64_e32 vcc, s[4:5], v[14:15]
	v_cndmask_b32_e32 v13, v33, v15, vcc
	v_cndmask_b32_e32 v12, 0, v14, vcc
	v_lshrrev_b64 v[12:13], s20, v[12:13]
	v_and_b32_e32 v12, s13, v12
	v_lshl_add_u32 v13, v12, 4, v12
	v_add_lshl_u32 v21, v13, v21, 2
	v_and_b32_e32 v13, 1, v12
	v_add_co_u32_e32 v17, vcc, -1, v13
	v_addc_co_u32_e64 v35, s[2:3], 0, -1, vcc
	v_cmp_ne_u32_e32 vcc, 0, v13
	v_xor_b32_e32 v17, vcc_lo, v17
	v_xor_b32_e32 v13, vcc_hi, v35
	v_and_b32_e32 v35, exec_lo, v17
	v_lshlrev_b32_e32 v17, 30, v12
	v_cmp_gt_i64_e32 vcc, 0, v[16:17]
	v_not_b32_e32 v17, v17
	v_ashrrev_i32_e32 v17, 31, v17
	v_xor_b32_e32 v37, vcc_hi, v17
	v_xor_b32_e32 v17, vcc_lo, v17
	v_and_b32_e32 v35, v35, v17
	v_lshlrev_b32_e32 v17, 29, v12
	v_cmp_gt_i64_e32 vcc, 0, v[16:17]
	v_not_b32_e32 v17, v17
	v_and_b32_e32 v13, exec_hi, v13
	v_ashrrev_i32_e32 v17, 31, v17
	v_and_b32_e32 v13, v13, v37
	v_xor_b32_e32 v37, vcc_hi, v17
	v_xor_b32_e32 v17, vcc_lo, v17
	v_and_b32_e32 v35, v35, v17
	v_lshlrev_b32_e32 v17, 28, v12
	v_cmp_gt_i64_e32 vcc, 0, v[16:17]
	v_not_b32_e32 v17, v17
	v_ashrrev_i32_e32 v17, 31, v17
	v_and_b32_e32 v13, v13, v37
	v_xor_b32_e32 v37, vcc_hi, v17
	v_xor_b32_e32 v17, vcc_lo, v17
	v_and_b32_e32 v35, v35, v17
	v_lshlrev_b32_e32 v17, 27, v12
	v_cmp_gt_i64_e32 vcc, 0, v[16:17]
	v_not_b32_e32 v17, v17
	;; [unrolled: 8-line block ×4, first 2 shown]
	v_ashrrev_i32_e32 v17, 31, v17
	v_and_b32_e32 v13, v13, v37
	v_xor_b32_e32 v37, vcc_hi, v17
	v_xor_b32_e32 v17, vcc_lo, v17
	v_and_b32_e32 v35, v35, v17
	v_lshlrev_b32_e32 v17, 24, v12
	v_not_b32_e32 v12, v17
	v_cmp_gt_i64_e32 vcc, 0, v[16:17]
	v_ashrrev_i32_e32 v12, 31, v12
	v_xor_b32_e32 v16, vcc_hi, v12
	v_xor_b32_e32 v12, vcc_lo, v12
	; wave barrier
	ds_read_b32 v33, v21 offset:64
	v_and_b32_e32 v13, v13, v37
	v_and_b32_e32 v12, v35, v12
	v_and_b32_e32 v13, v13, v16
	v_mbcnt_lo_u32_b32 v16, v12, 0
	v_mbcnt_hi_u32_b32 v35, v13, v16
	v_cmp_eq_u32_e32 vcc, 0, v35
	v_cmp_ne_u64_e64 s[2:3], 0, v[12:13]
	v_add_u32_e32 v36, 64, v18
	s_and_b64 s[4:5], s[2:3], vcc
	; wave barrier
	s_and_saveexec_b64 s[2:3], s[4:5]
	s_cbranch_execz .LBB1376_71
; %bb.70:
	v_bcnt_u32_b32 v12, v12, 0
	v_bcnt_u32_b32 v12, v13, v12
	s_waitcnt lgkmcnt(0)
	v_add_u32_e32 v12, v33, v12
	ds_write_b32 v21, v12 offset:64
.LBB1376_71:
	s_or_b64 exec, exec, s[2:3]
	; wave barrier
	s_waitcnt lgkmcnt(0)
	s_barrier
	ds_read2_b32 v[16:17], v18 offset0:16 offset1:17
	ds_read2_b32 v[12:13], v36 offset0:2 offset1:3
	ds_read_b32 v37, v36 offset:16
	v_cmp_lt_u32_e64 s[8:9], 31, v3
	s_waitcnt lgkmcnt(1)
	v_add3_u32 v38, v17, v16, v12
	s_waitcnt lgkmcnt(0)
	v_add3_u32 v37, v38, v13, v37
	v_and_b32_e32 v38, 15, v3
	v_cmp_eq_u32_e32 vcc, 0, v38
	v_mov_b32_dpp v39, v37 row_shr:1 row_mask:0xf bank_mask:0xf
	v_cndmask_b32_e64 v39, v39, 0, vcc
	v_add_u32_e32 v37, v39, v37
	v_cmp_lt_u32_e64 s[2:3], 1, v38
	v_cmp_lt_u32_e64 s[4:5], 3, v38
	v_mov_b32_dpp v39, v37 row_shr:2 row_mask:0xf bank_mask:0xf
	v_cndmask_b32_e64 v39, 0, v39, s[2:3]
	v_add_u32_e32 v37, v37, v39
	v_cmp_lt_u32_e64 s[6:7], 7, v38
	s_nop 0
	v_mov_b32_dpp v39, v37 row_shr:4 row_mask:0xf bank_mask:0xf
	v_cndmask_b32_e64 v39, 0, v39, s[4:5]
	v_add_u32_e32 v37, v37, v39
	s_nop 1
	v_mov_b32_dpp v39, v37 row_shr:8 row_mask:0xf bank_mask:0xf
	v_cndmask_b32_e64 v38, 0, v39, s[6:7]
	v_add_u32_e32 v37, v37, v38
	v_bfe_i32 v39, v3, 4, 1
	s_nop 0
	v_mov_b32_dpp v38, v37 row_bcast:15 row_mask:0xf bank_mask:0xf
	v_and_b32_e32 v38, v39, v38
	v_add_u32_e32 v37, v37, v38
	v_and_b32_e32 v39, 63, v2
	s_nop 0
	v_mov_b32_dpp v38, v37 row_bcast:31 row_mask:0xf bank_mask:0xf
	v_cndmask_b32_e64 v38, 0, v38, s[8:9]
	v_add_u32_e32 v37, v37, v38
	v_lshrrev_b32_e32 v38, 6, v2
	v_cmp_eq_u32_e64 s[8:9], 63, v39
	s_and_saveexec_b64 s[10:11], s[8:9]
	s_cbranch_execz .LBB1376_73
; %bb.72:
	v_lshlrev_b32_e32 v39, 2, v38
	ds_write_b32 v39, v37
.LBB1376_73:
	s_or_b64 exec, exec, s[10:11]
	v_cmp_gt_u32_e64 s[8:9], 16, v2
	s_waitcnt lgkmcnt(0)
	s_barrier
	s_and_saveexec_b64 s[10:11], s[8:9]
	s_cbranch_execz .LBB1376_75
; %bb.74:
	v_lshlrev_b32_e32 v39, 2, v2
	ds_read_b32 v40, v39
	s_waitcnt lgkmcnt(0)
	s_nop 0
	v_mov_b32_dpp v41, v40 row_shr:1 row_mask:0xf bank_mask:0xf
	v_cndmask_b32_e64 v41, v41, 0, vcc
	v_add_u32_e32 v40, v41, v40
	s_nop 1
	v_mov_b32_dpp v41, v40 row_shr:2 row_mask:0xf bank_mask:0xf
	v_cndmask_b32_e64 v41, 0, v41, s[2:3]
	v_add_u32_e32 v40, v40, v41
	s_nop 1
	v_mov_b32_dpp v41, v40 row_shr:4 row_mask:0xf bank_mask:0xf
	v_cndmask_b32_e64 v41, 0, v41, s[4:5]
	;; [unrolled: 4-line block ×3, first 2 shown]
	v_add_u32_e32 v40, v40, v41
	ds_write_b32 v39, v40
.LBB1376_75:
	s_or_b64 exec, exec, s[10:11]
	v_cmp_lt_u32_e32 vcc, 63, v2
	v_mov_b32_e32 v39, 0
	s_waitcnt lgkmcnt(0)
	s_barrier
	s_and_saveexec_b64 s[2:3], vcc
	s_cbranch_execz .LBB1376_77
; %bb.76:
	v_lshl_add_u32 v38, v38, 2, -4
	ds_read_b32 v39, v38
.LBB1376_77:
	s_or_b64 exec, exec, s[2:3]
	v_add_u32_e32 v38, -1, v3
	v_and_b32_e32 v40, 64, v3
	v_cmp_lt_i32_e32 vcc, v38, v40
	v_cndmask_b32_e32 v38, v38, v3, vcc
	s_waitcnt lgkmcnt(0)
	v_add_u32_e32 v37, v39, v37
	v_lshlrev_b32_e32 v38, 2, v38
	ds_bpermute_b32 v37, v38, v37
	v_cmp_eq_u32_e32 vcc, 0, v3
	s_movk_i32 s2, 0xff
	s_waitcnt lgkmcnt(0)
	v_cndmask_b32_e32 v3, v37, v39, vcc
	v_cndmask_b32_e64 v3, v3, 0, s[0:1]
	v_add_u32_e32 v16, v3, v16
	v_add_u32_e32 v17, v16, v17
	;; [unrolled: 1-line block ×4, first 2 shown]
	ds_write2_b32 v18, v3, v16 offset0:16 offset1:17
	ds_write2_b32 v36, v17, v12 offset0:2 offset1:3
	ds_write_b32 v36, v13 offset:16
	s_waitcnt lgkmcnt(0)
	s_barrier
	ds_read_b32 v38, v19 offset:64
	ds_read_b32 v36, v20 offset:64
	;; [unrolled: 1-line block ×6, first 2 shown]
	s_movk_i32 s0, 0x100
	v_cmp_lt_u32_e32 vcc, s2, v2
	v_cmp_gt_u32_e64 s[0:1], s0, v2
	v_pk_mov_b32 v[12:13], 0, 0
                                        ; implicit-def: $vgpr29
	s_and_saveexec_b64 s[4:5], s[0:1]
	s_cbranch_execz .LBB1376_81
; %bb.78:
	v_mul_u32_u24_e32 v3, 17, v2
	v_lshlrev_b32_e32 v13, 2, v3
	ds_read_b32 v12, v13 offset:64
	v_cmp_ne_u32_e64 s[2:3], s2, v2
	v_mov_b32_e32 v3, 0x1800
	s_and_saveexec_b64 s[6:7], s[2:3]
	s_cbranch_execz .LBB1376_80
; %bb.79:
	ds_read_b32 v3, v13 offset:132
.LBB1376_80:
	s_or_b64 exec, exec, s[6:7]
	s_waitcnt lgkmcnt(0)
	v_sub_u32_e32 v29, v3, v12
	v_mov_b32_e32 v13, 0
.LBB1376_81:
	s_or_b64 exec, exec, s[4:5]
	s_waitcnt lgkmcnt(0)
	s_barrier
	s_and_saveexec_b64 s[2:3], vcc
	s_xor_b64 s[2:3], exec, s[2:3]
; %bb.82:
	v_mov_b32_e32 v3, 0
; %bb.83:
	s_andn2_saveexec_b64 s[2:3], s[2:3]
	s_cbranch_execz .LBB1376_93
; %bb.84:
	v_lshl_or_b32 v16, s30, 8, v2
	v_mov_b32_e32 v17, 0
	v_lshlrev_b64 v[18:19], 2, v[16:17]
	v_mov_b32_e32 v3, s15
	v_add_co_u32_e32 v18, vcc, s14, v18
	v_addc_co_u32_e32 v19, vcc, v3, v19, vcc
	v_or_b32_e32 v16, 2.0, v29
	s_mov_b64 s[4:5], 0
	s_brev_b32 s10, 1
	s_mov_b32 s11, s30
	v_mov_b32_e32 v40, 0
	global_store_dword v[18:19], v16, off
                                        ; implicit-def: $sgpr6_sgpr7
	s_branch .LBB1376_87
.LBB1376_85:                            ;   in Loop: Header=BB1376_87 Depth=1
	s_or_b64 exec, exec, s[8:9]
.LBB1376_86:                            ;   in Loop: Header=BB1376_87 Depth=1
	s_or_b64 exec, exec, s[6:7]
	v_and_b32_e32 v20, 0x3fffffff, v41
	v_add_u32_e32 v40, v20, v40
	v_cmp_eq_u32_e64 s[6:7], s10, v16
	s_and_b64 s[8:9], exec, s[6:7]
	s_or_b64 s[4:5], s[8:9], s[4:5]
	s_andn2_b64 exec, exec, s[4:5]
	s_cbranch_execz .LBB1376_92
.LBB1376_87:                            ; =>This Loop Header: Depth=1
                                        ;     Child Loop BB1376_90 Depth 2
	s_or_b64 s[6:7], s[6:7], exec
	s_cmp_eq_u32 s11, 0
	s_cbranch_scc1 .LBB1376_91
; %bb.88:                               ;   in Loop: Header=BB1376_87 Depth=1
	s_add_i32 s11, s11, -1
	v_lshl_or_b32 v16, s11, 8, v2
	v_lshlrev_b64 v[20:21], 2, v[16:17]
	v_add_co_u32_e32 v20, vcc, s14, v20
	v_addc_co_u32_e32 v21, vcc, v3, v21, vcc
	global_load_dword v41, v[20:21], off glc
	s_waitcnt vmcnt(0)
	v_and_b32_e32 v16, -2.0, v41
	v_cmp_eq_u32_e32 vcc, 0, v16
	s_and_saveexec_b64 s[6:7], vcc
	s_cbranch_execz .LBB1376_86
; %bb.89:                               ;   in Loop: Header=BB1376_87 Depth=1
	s_mov_b64 s[8:9], 0
.LBB1376_90:                            ;   Parent Loop BB1376_87 Depth=1
                                        ; =>  This Inner Loop Header: Depth=2
	global_load_dword v41, v[20:21], off glc
	s_waitcnt vmcnt(0)
	v_and_b32_e32 v16, -2.0, v41
	v_cmp_ne_u32_e32 vcc, 0, v16
	s_or_b64 s[8:9], vcc, s[8:9]
	s_andn2_b64 exec, exec, s[8:9]
	s_cbranch_execnz .LBB1376_90
	s_branch .LBB1376_85
.LBB1376_91:                            ;   in Loop: Header=BB1376_87 Depth=1
                                        ; implicit-def: $sgpr11
	s_and_b64 s[8:9], exec, s[6:7]
	s_or_b64 s[4:5], s[8:9], s[4:5]
	s_andn2_b64 exec, exec, s[4:5]
	s_cbranch_execnz .LBB1376_87
.LBB1376_92:
	s_or_b64 exec, exec, s[4:5]
	v_add_u32_e32 v3, v40, v29
	v_or_b32_e32 v3, 0x80000000, v3
	global_store_dword v[18:19], v3, off
	v_lshlrev_b32_e32 v18, 3, v2
	global_load_dwordx2 v[16:17], v18, s[16:17]
	v_sub_co_u32_e32 v19, vcc, v40, v12
	v_subb_co_u32_e32 v20, vcc, 0, v13, vcc
	v_mov_b32_e32 v3, 0
	s_waitcnt vmcnt(0)
	v_add_co_u32_e32 v16, vcc, v19, v16
	v_addc_co_u32_e32 v17, vcc, v20, v17, vcc
	ds_write_b64 v18, v[16:17]
.LBB1376_93:
	s_or_b64 exec, exec, s[2:3]
	v_lshlrev_b64 v[16:17], 3, v[2:3]
	v_lshlrev_b32_e32 v19, 3, v2
	v_add3_u32 v23, v24, v36, v23
	v_mov_b32_e32 v24, s27
	v_add_co_u32_e32 v16, vcc, s26, v16
	s_mov_b32 s6, -1
	v_add_u32_e32 v18, v38, v22
	v_add_u32_e32 v20, 0x800, v19
	v_add3_u32 v21, v35, v39, v33
	v_add3_u32 v22, v32, v34, v31
	v_add3_u32 v27, v30, v37, v27
	v_add3_u32 v25, v26, v28, v25
	v_addc_co_u32_e32 v17, vcc, v24, v17, vcc
	s_mov_b32 s8, 0
	s_brev_b32 s7, -2
	v_bfrev_b32_e32 v24, 1
.LBB1376_94:                            ; =>This Inner Loop Header: Depth=1
	v_add_u32_e32 v26, s8, v18
	v_add_u32_e32 v30, s8, v25
	;; [unrolled: 1-line block ×6, first 2 shown]
	v_min_u32_e32 v26, 0x800, v26
	v_min_u32_e32 v30, 0x800, v30
	;; [unrolled: 1-line block ×6, first 2 shown]
	v_lshlrev_b32_e32 v26, 3, v26
	v_lshlrev_b32_e32 v30, 3, v30
	;; [unrolled: 1-line block ×6, first 2 shown]
	ds_write_b64 v26, v[0:1] offset:2048
	ds_write_b64 v28, v[4:5] offset:2048
	;; [unrolled: 1-line block ×6, first 2 shown]
	s_waitcnt lgkmcnt(0)
	s_barrier
	ds_read_b64 v[30:31], v19 offset:2048
	ds_read_b64 v[32:33], v20 offset:8192
	s_addk_i32 s8, 0xf800
	s_cmpk_lg_i32 s8, 0xe800
	s_waitcnt lgkmcnt(1)
	v_cmp_ne_u64_e32 vcc, s[6:7], v[30:31]
	v_cmp_lt_i64_e64 s[2:3], -1, v[30:31]
	v_cndmask_b32_e32 v35, v24, v31, vcc
	v_cndmask_b32_e64 v26, v24, -1, s[2:3]
	s_waitcnt lgkmcnt(0)
	v_cmp_ne_u64_e64 s[2:3], s[6:7], v[32:33]
	v_ashrrev_i32_e32 v39, 31, v33
	v_cndmask_b32_e32 v34, 0, v30, vcc
	v_ashrrev_i32_e32 v28, 31, v31
	v_cndmask_b32_e64 v37, v24, v33, s[2:3]
	v_xor_b32_e32 v31, v26, v31
	v_cndmask_b32_e64 v36, 0, v32, s[2:3]
	v_not_b32_e32 v26, v39
	v_lshrrev_b64 v[34:35], s20, v[34:35]
	v_cmp_lt_i64_e64 s[4:5], -1, v[32:33]
	v_not_b32_e32 v28, v28
	v_lshrrev_b64 v[36:37], s20, v[36:37]
	v_xor_b32_e32 v32, v26, v32
	v_and_b32_e32 v26, s13, v34
	v_xor_b32_e32 v30, v28, v30
	v_and_b32_e32 v28, s13, v36
	v_lshlrev_b32_e32 v26, 3, v26
	v_lshlrev_b32_e32 v28, 3, v28
	ds_read_b64 v[34:35], v26
	ds_read_b64 v[36:37], v28
	v_cndmask_b32_e64 v38, v24, -1, s[4:5]
	v_xor_b32_e32 v33, v38, v33
	s_waitcnt lgkmcnt(1)
	v_lshlrev_b64 v[34:35], 3, v[34:35]
	v_add_co_u32_e32 v34, vcc, v16, v34
	s_waitcnt lgkmcnt(0)
	v_lshlrev_b64 v[36:37], 3, v[36:37]
	v_addc_co_u32_e32 v35, vcc, v17, v35, vcc
	v_add_co_u32_e32 v26, vcc, v16, v36
	v_addc_co_u32_e32 v28, vcc, v17, v37, vcc
	global_store_dwordx2 v[34:35], v[30:31], off
	v_add_co_u32_e32 v30, vcc, 0x2000, v26
	v_addc_co_u32_e32 v31, vcc, 0, v28, vcc
	v_add_co_u32_e32 v16, vcc, 0x4000, v16
	v_addc_co_u32_e32 v17, vcc, 0, v17, vcc
	global_store_dwordx2 v[30:31], v[32:33], off
	s_barrier
	s_cbranch_scc1 .LBB1376_94
; %bb.95:
	s_add_i32 s12, s12, -1
	s_cmp_eq_u32 s12, s30
	s_cselect_b64 s[2:3], -1, 0
	s_and_b64 s[2:3], s[0:1], s[2:3]
.LBB1376_96:
	s_and_saveexec_b64 s[0:1], s[2:3]
	s_cbranch_execnz .LBB1376_98
; %bb.97:
	s_endpgm
.LBB1376_98:
	v_lshlrev_b32_e32 v6, 3, v2
	v_lshlrev_b64 v[0:1], 3, v[2:3]
	ds_read_b64 v[2:3], v6
	v_add_co_u32_e32 v4, vcc, v12, v29
	v_addc_co_u32_e32 v5, vcc, 0, v13, vcc
	v_mov_b32_e32 v7, s19
	v_add_co_u32_e32 v0, vcc, s18, v0
	v_addc_co_u32_e32 v1, vcc, v7, v1, vcc
	s_waitcnt lgkmcnt(0)
	v_add_co_u32_e32 v2, vcc, v4, v2
	v_addc_co_u32_e32 v3, vcc, v5, v3, vcc
	global_store_dwordx2 v[0:1], v[2:3], off
	s_endpgm
	.section	.rodata,"a",@progbits
	.p2align	6, 0x0
	.amdhsa_kernel _ZN7rocprim17ROCPRIM_400000_NS6detail17trampoline_kernelINS0_14default_configENS1_35radix_sort_onesweep_config_selectorIdNS0_10empty_typeEEEZZNS1_29radix_sort_onesweep_iterationIS3_Lb0EPdS8_PS5_S9_mNS0_19identity_decomposerENS1_16block_id_wrapperIjLb1EEEEE10hipError_tT1_PNSt15iterator_traitsISE_E10value_typeET2_T3_PNSF_ISK_E10value_typeET4_T5_PSP_SQ_PNS1_23onesweep_lookback_stateEbbT6_jjT7_P12ihipStream_tbENKUlT_T0_SE_SJ_E_clIS8_S8_S9_S9_EEDaSX_SY_SE_SJ_EUlSX_E_NS1_11comp_targetILNS1_3genE4ELNS1_11target_archE910ELNS1_3gpuE8ELNS1_3repE0EEENS1_47radix_sort_onesweep_sort_config_static_selectorELNS0_4arch9wavefront6targetE1EEEvSE_
		.amdhsa_group_segment_fixed_size 20552
		.amdhsa_private_segment_fixed_size 0
		.amdhsa_kernarg_size 344
		.amdhsa_user_sgpr_count 6
		.amdhsa_user_sgpr_private_segment_buffer 1
		.amdhsa_user_sgpr_dispatch_ptr 0
		.amdhsa_user_sgpr_queue_ptr 0
		.amdhsa_user_sgpr_kernarg_segment_ptr 1
		.amdhsa_user_sgpr_dispatch_id 0
		.amdhsa_user_sgpr_flat_scratch_init 0
		.amdhsa_user_sgpr_kernarg_preload_length 0
		.amdhsa_user_sgpr_kernarg_preload_offset 0
		.amdhsa_user_sgpr_private_segment_size 0
		.amdhsa_uses_dynamic_stack 0
		.amdhsa_system_sgpr_private_segment_wavefront_offset 0
		.amdhsa_system_sgpr_workgroup_id_x 1
		.amdhsa_system_sgpr_workgroup_id_y 0
		.amdhsa_system_sgpr_workgroup_id_z 0
		.amdhsa_system_sgpr_workgroup_info 0
		.amdhsa_system_vgpr_workitem_id 2
		.amdhsa_next_free_vgpr 44
		.amdhsa_next_free_sgpr 35
		.amdhsa_accum_offset 44
		.amdhsa_reserve_vcc 1
		.amdhsa_reserve_flat_scratch 0
		.amdhsa_float_round_mode_32 0
		.amdhsa_float_round_mode_16_64 0
		.amdhsa_float_denorm_mode_32 3
		.amdhsa_float_denorm_mode_16_64 3
		.amdhsa_dx10_clamp 1
		.amdhsa_ieee_mode 1
		.amdhsa_fp16_overflow 0
		.amdhsa_tg_split 0
		.amdhsa_exception_fp_ieee_invalid_op 0
		.amdhsa_exception_fp_denorm_src 0
		.amdhsa_exception_fp_ieee_div_zero 0
		.amdhsa_exception_fp_ieee_overflow 0
		.amdhsa_exception_fp_ieee_underflow 0
		.amdhsa_exception_fp_ieee_inexact 0
		.amdhsa_exception_int_div_zero 0
	.end_amdhsa_kernel
	.section	.text._ZN7rocprim17ROCPRIM_400000_NS6detail17trampoline_kernelINS0_14default_configENS1_35radix_sort_onesweep_config_selectorIdNS0_10empty_typeEEEZZNS1_29radix_sort_onesweep_iterationIS3_Lb0EPdS8_PS5_S9_mNS0_19identity_decomposerENS1_16block_id_wrapperIjLb1EEEEE10hipError_tT1_PNSt15iterator_traitsISE_E10value_typeET2_T3_PNSF_ISK_E10value_typeET4_T5_PSP_SQ_PNS1_23onesweep_lookback_stateEbbT6_jjT7_P12ihipStream_tbENKUlT_T0_SE_SJ_E_clIS8_S8_S9_S9_EEDaSX_SY_SE_SJ_EUlSX_E_NS1_11comp_targetILNS1_3genE4ELNS1_11target_archE910ELNS1_3gpuE8ELNS1_3repE0EEENS1_47radix_sort_onesweep_sort_config_static_selectorELNS0_4arch9wavefront6targetE1EEEvSE_,"axG",@progbits,_ZN7rocprim17ROCPRIM_400000_NS6detail17trampoline_kernelINS0_14default_configENS1_35radix_sort_onesweep_config_selectorIdNS0_10empty_typeEEEZZNS1_29radix_sort_onesweep_iterationIS3_Lb0EPdS8_PS5_S9_mNS0_19identity_decomposerENS1_16block_id_wrapperIjLb1EEEEE10hipError_tT1_PNSt15iterator_traitsISE_E10value_typeET2_T3_PNSF_ISK_E10value_typeET4_T5_PSP_SQ_PNS1_23onesweep_lookback_stateEbbT6_jjT7_P12ihipStream_tbENKUlT_T0_SE_SJ_E_clIS8_S8_S9_S9_EEDaSX_SY_SE_SJ_EUlSX_E_NS1_11comp_targetILNS1_3genE4ELNS1_11target_archE910ELNS1_3gpuE8ELNS1_3repE0EEENS1_47radix_sort_onesweep_sort_config_static_selectorELNS0_4arch9wavefront6targetE1EEEvSE_,comdat
.Lfunc_end1376:
	.size	_ZN7rocprim17ROCPRIM_400000_NS6detail17trampoline_kernelINS0_14default_configENS1_35radix_sort_onesweep_config_selectorIdNS0_10empty_typeEEEZZNS1_29radix_sort_onesweep_iterationIS3_Lb0EPdS8_PS5_S9_mNS0_19identity_decomposerENS1_16block_id_wrapperIjLb1EEEEE10hipError_tT1_PNSt15iterator_traitsISE_E10value_typeET2_T3_PNSF_ISK_E10value_typeET4_T5_PSP_SQ_PNS1_23onesweep_lookback_stateEbbT6_jjT7_P12ihipStream_tbENKUlT_T0_SE_SJ_E_clIS8_S8_S9_S9_EEDaSX_SY_SE_SJ_EUlSX_E_NS1_11comp_targetILNS1_3genE4ELNS1_11target_archE910ELNS1_3gpuE8ELNS1_3repE0EEENS1_47radix_sort_onesweep_sort_config_static_selectorELNS0_4arch9wavefront6targetE1EEEvSE_, .Lfunc_end1376-_ZN7rocprim17ROCPRIM_400000_NS6detail17trampoline_kernelINS0_14default_configENS1_35radix_sort_onesweep_config_selectorIdNS0_10empty_typeEEEZZNS1_29radix_sort_onesweep_iterationIS3_Lb0EPdS8_PS5_S9_mNS0_19identity_decomposerENS1_16block_id_wrapperIjLb1EEEEE10hipError_tT1_PNSt15iterator_traitsISE_E10value_typeET2_T3_PNSF_ISK_E10value_typeET4_T5_PSP_SQ_PNS1_23onesweep_lookback_stateEbbT6_jjT7_P12ihipStream_tbENKUlT_T0_SE_SJ_E_clIS8_S8_S9_S9_EEDaSX_SY_SE_SJ_EUlSX_E_NS1_11comp_targetILNS1_3genE4ELNS1_11target_archE910ELNS1_3gpuE8ELNS1_3repE0EEENS1_47radix_sort_onesweep_sort_config_static_selectorELNS0_4arch9wavefront6targetE1EEEvSE_
                                        ; -- End function
	.section	.AMDGPU.csdata,"",@progbits
; Kernel info:
; codeLenInByte = 9244
; NumSgprs: 39
; NumVgprs: 44
; NumAgprs: 0
; TotalNumVgprs: 44
; ScratchSize: 0
; MemoryBound: 0
; FloatMode: 240
; IeeeMode: 1
; LDSByteSize: 20552 bytes/workgroup (compile time only)
; SGPRBlocks: 4
; VGPRBlocks: 5
; NumSGPRsForWavesPerEU: 39
; NumVGPRsForWavesPerEU: 44
; AccumOffset: 44
; Occupancy: 8
; WaveLimiterHint : 1
; COMPUTE_PGM_RSRC2:SCRATCH_EN: 0
; COMPUTE_PGM_RSRC2:USER_SGPR: 6
; COMPUTE_PGM_RSRC2:TRAP_HANDLER: 0
; COMPUTE_PGM_RSRC2:TGID_X_EN: 1
; COMPUTE_PGM_RSRC2:TGID_Y_EN: 0
; COMPUTE_PGM_RSRC2:TGID_Z_EN: 0
; COMPUTE_PGM_RSRC2:TIDIG_COMP_CNT: 2
; COMPUTE_PGM_RSRC3_GFX90A:ACCUM_OFFSET: 10
; COMPUTE_PGM_RSRC3_GFX90A:TG_SPLIT: 0
	.section	.text._ZN7rocprim17ROCPRIM_400000_NS6detail17trampoline_kernelINS0_14default_configENS1_35radix_sort_onesweep_config_selectorIdNS0_10empty_typeEEEZZNS1_29radix_sort_onesweep_iterationIS3_Lb0EPdS8_PS5_S9_mNS0_19identity_decomposerENS1_16block_id_wrapperIjLb1EEEEE10hipError_tT1_PNSt15iterator_traitsISE_E10value_typeET2_T3_PNSF_ISK_E10value_typeET4_T5_PSP_SQ_PNS1_23onesweep_lookback_stateEbbT6_jjT7_P12ihipStream_tbENKUlT_T0_SE_SJ_E_clIS8_S8_S9_S9_EEDaSX_SY_SE_SJ_EUlSX_E_NS1_11comp_targetILNS1_3genE3ELNS1_11target_archE908ELNS1_3gpuE7ELNS1_3repE0EEENS1_47radix_sort_onesweep_sort_config_static_selectorELNS0_4arch9wavefront6targetE1EEEvSE_,"axG",@progbits,_ZN7rocprim17ROCPRIM_400000_NS6detail17trampoline_kernelINS0_14default_configENS1_35radix_sort_onesweep_config_selectorIdNS0_10empty_typeEEEZZNS1_29radix_sort_onesweep_iterationIS3_Lb0EPdS8_PS5_S9_mNS0_19identity_decomposerENS1_16block_id_wrapperIjLb1EEEEE10hipError_tT1_PNSt15iterator_traitsISE_E10value_typeET2_T3_PNSF_ISK_E10value_typeET4_T5_PSP_SQ_PNS1_23onesweep_lookback_stateEbbT6_jjT7_P12ihipStream_tbENKUlT_T0_SE_SJ_E_clIS8_S8_S9_S9_EEDaSX_SY_SE_SJ_EUlSX_E_NS1_11comp_targetILNS1_3genE3ELNS1_11target_archE908ELNS1_3gpuE7ELNS1_3repE0EEENS1_47radix_sort_onesweep_sort_config_static_selectorELNS0_4arch9wavefront6targetE1EEEvSE_,comdat
	.protected	_ZN7rocprim17ROCPRIM_400000_NS6detail17trampoline_kernelINS0_14default_configENS1_35radix_sort_onesweep_config_selectorIdNS0_10empty_typeEEEZZNS1_29radix_sort_onesweep_iterationIS3_Lb0EPdS8_PS5_S9_mNS0_19identity_decomposerENS1_16block_id_wrapperIjLb1EEEEE10hipError_tT1_PNSt15iterator_traitsISE_E10value_typeET2_T3_PNSF_ISK_E10value_typeET4_T5_PSP_SQ_PNS1_23onesweep_lookback_stateEbbT6_jjT7_P12ihipStream_tbENKUlT_T0_SE_SJ_E_clIS8_S8_S9_S9_EEDaSX_SY_SE_SJ_EUlSX_E_NS1_11comp_targetILNS1_3genE3ELNS1_11target_archE908ELNS1_3gpuE7ELNS1_3repE0EEENS1_47radix_sort_onesweep_sort_config_static_selectorELNS0_4arch9wavefront6targetE1EEEvSE_ ; -- Begin function _ZN7rocprim17ROCPRIM_400000_NS6detail17trampoline_kernelINS0_14default_configENS1_35radix_sort_onesweep_config_selectorIdNS0_10empty_typeEEEZZNS1_29radix_sort_onesweep_iterationIS3_Lb0EPdS8_PS5_S9_mNS0_19identity_decomposerENS1_16block_id_wrapperIjLb1EEEEE10hipError_tT1_PNSt15iterator_traitsISE_E10value_typeET2_T3_PNSF_ISK_E10value_typeET4_T5_PSP_SQ_PNS1_23onesweep_lookback_stateEbbT6_jjT7_P12ihipStream_tbENKUlT_T0_SE_SJ_E_clIS8_S8_S9_S9_EEDaSX_SY_SE_SJ_EUlSX_E_NS1_11comp_targetILNS1_3genE3ELNS1_11target_archE908ELNS1_3gpuE7ELNS1_3repE0EEENS1_47radix_sort_onesweep_sort_config_static_selectorELNS0_4arch9wavefront6targetE1EEEvSE_
	.globl	_ZN7rocprim17ROCPRIM_400000_NS6detail17trampoline_kernelINS0_14default_configENS1_35radix_sort_onesweep_config_selectorIdNS0_10empty_typeEEEZZNS1_29radix_sort_onesweep_iterationIS3_Lb0EPdS8_PS5_S9_mNS0_19identity_decomposerENS1_16block_id_wrapperIjLb1EEEEE10hipError_tT1_PNSt15iterator_traitsISE_E10value_typeET2_T3_PNSF_ISK_E10value_typeET4_T5_PSP_SQ_PNS1_23onesweep_lookback_stateEbbT6_jjT7_P12ihipStream_tbENKUlT_T0_SE_SJ_E_clIS8_S8_S9_S9_EEDaSX_SY_SE_SJ_EUlSX_E_NS1_11comp_targetILNS1_3genE3ELNS1_11target_archE908ELNS1_3gpuE7ELNS1_3repE0EEENS1_47radix_sort_onesweep_sort_config_static_selectorELNS0_4arch9wavefront6targetE1EEEvSE_
	.p2align	8
	.type	_ZN7rocprim17ROCPRIM_400000_NS6detail17trampoline_kernelINS0_14default_configENS1_35radix_sort_onesweep_config_selectorIdNS0_10empty_typeEEEZZNS1_29radix_sort_onesweep_iterationIS3_Lb0EPdS8_PS5_S9_mNS0_19identity_decomposerENS1_16block_id_wrapperIjLb1EEEEE10hipError_tT1_PNSt15iterator_traitsISE_E10value_typeET2_T3_PNSF_ISK_E10value_typeET4_T5_PSP_SQ_PNS1_23onesweep_lookback_stateEbbT6_jjT7_P12ihipStream_tbENKUlT_T0_SE_SJ_E_clIS8_S8_S9_S9_EEDaSX_SY_SE_SJ_EUlSX_E_NS1_11comp_targetILNS1_3genE3ELNS1_11target_archE908ELNS1_3gpuE7ELNS1_3repE0EEENS1_47radix_sort_onesweep_sort_config_static_selectorELNS0_4arch9wavefront6targetE1EEEvSE_,@function
_ZN7rocprim17ROCPRIM_400000_NS6detail17trampoline_kernelINS0_14default_configENS1_35radix_sort_onesweep_config_selectorIdNS0_10empty_typeEEEZZNS1_29radix_sort_onesweep_iterationIS3_Lb0EPdS8_PS5_S9_mNS0_19identity_decomposerENS1_16block_id_wrapperIjLb1EEEEE10hipError_tT1_PNSt15iterator_traitsISE_E10value_typeET2_T3_PNSF_ISK_E10value_typeET4_T5_PSP_SQ_PNS1_23onesweep_lookback_stateEbbT6_jjT7_P12ihipStream_tbENKUlT_T0_SE_SJ_E_clIS8_S8_S9_S9_EEDaSX_SY_SE_SJ_EUlSX_E_NS1_11comp_targetILNS1_3genE3ELNS1_11target_archE908ELNS1_3gpuE7ELNS1_3repE0EEENS1_47radix_sort_onesweep_sort_config_static_selectorELNS0_4arch9wavefront6targetE1EEEvSE_: ; @_ZN7rocprim17ROCPRIM_400000_NS6detail17trampoline_kernelINS0_14default_configENS1_35radix_sort_onesweep_config_selectorIdNS0_10empty_typeEEEZZNS1_29radix_sort_onesweep_iterationIS3_Lb0EPdS8_PS5_S9_mNS0_19identity_decomposerENS1_16block_id_wrapperIjLb1EEEEE10hipError_tT1_PNSt15iterator_traitsISE_E10value_typeET2_T3_PNSF_ISK_E10value_typeET4_T5_PSP_SQ_PNS1_23onesweep_lookback_stateEbbT6_jjT7_P12ihipStream_tbENKUlT_T0_SE_SJ_E_clIS8_S8_S9_S9_EEDaSX_SY_SE_SJ_EUlSX_E_NS1_11comp_targetILNS1_3genE3ELNS1_11target_archE908ELNS1_3gpuE7ELNS1_3repE0EEENS1_47radix_sort_onesweep_sort_config_static_selectorELNS0_4arch9wavefront6targetE1EEEvSE_
; %bb.0:
	.section	.rodata,"a",@progbits
	.p2align	6, 0x0
	.amdhsa_kernel _ZN7rocprim17ROCPRIM_400000_NS6detail17trampoline_kernelINS0_14default_configENS1_35radix_sort_onesweep_config_selectorIdNS0_10empty_typeEEEZZNS1_29radix_sort_onesweep_iterationIS3_Lb0EPdS8_PS5_S9_mNS0_19identity_decomposerENS1_16block_id_wrapperIjLb1EEEEE10hipError_tT1_PNSt15iterator_traitsISE_E10value_typeET2_T3_PNSF_ISK_E10value_typeET4_T5_PSP_SQ_PNS1_23onesweep_lookback_stateEbbT6_jjT7_P12ihipStream_tbENKUlT_T0_SE_SJ_E_clIS8_S8_S9_S9_EEDaSX_SY_SE_SJ_EUlSX_E_NS1_11comp_targetILNS1_3genE3ELNS1_11target_archE908ELNS1_3gpuE7ELNS1_3repE0EEENS1_47radix_sort_onesweep_sort_config_static_selectorELNS0_4arch9wavefront6targetE1EEEvSE_
		.amdhsa_group_segment_fixed_size 0
		.amdhsa_private_segment_fixed_size 0
		.amdhsa_kernarg_size 88
		.amdhsa_user_sgpr_count 6
		.amdhsa_user_sgpr_private_segment_buffer 1
		.amdhsa_user_sgpr_dispatch_ptr 0
		.amdhsa_user_sgpr_queue_ptr 0
		.amdhsa_user_sgpr_kernarg_segment_ptr 1
		.amdhsa_user_sgpr_dispatch_id 0
		.amdhsa_user_sgpr_flat_scratch_init 0
		.amdhsa_user_sgpr_kernarg_preload_length 0
		.amdhsa_user_sgpr_kernarg_preload_offset 0
		.amdhsa_user_sgpr_private_segment_size 0
		.amdhsa_uses_dynamic_stack 0
		.amdhsa_system_sgpr_private_segment_wavefront_offset 0
		.amdhsa_system_sgpr_workgroup_id_x 1
		.amdhsa_system_sgpr_workgroup_id_y 0
		.amdhsa_system_sgpr_workgroup_id_z 0
		.amdhsa_system_sgpr_workgroup_info 0
		.amdhsa_system_vgpr_workitem_id 0
		.amdhsa_next_free_vgpr 1
		.amdhsa_next_free_sgpr 0
		.amdhsa_accum_offset 4
		.amdhsa_reserve_vcc 0
		.amdhsa_reserve_flat_scratch 0
		.amdhsa_float_round_mode_32 0
		.amdhsa_float_round_mode_16_64 0
		.amdhsa_float_denorm_mode_32 3
		.amdhsa_float_denorm_mode_16_64 3
		.amdhsa_dx10_clamp 1
		.amdhsa_ieee_mode 1
		.amdhsa_fp16_overflow 0
		.amdhsa_tg_split 0
		.amdhsa_exception_fp_ieee_invalid_op 0
		.amdhsa_exception_fp_denorm_src 0
		.amdhsa_exception_fp_ieee_div_zero 0
		.amdhsa_exception_fp_ieee_overflow 0
		.amdhsa_exception_fp_ieee_underflow 0
		.amdhsa_exception_fp_ieee_inexact 0
		.amdhsa_exception_int_div_zero 0
	.end_amdhsa_kernel
	.section	.text._ZN7rocprim17ROCPRIM_400000_NS6detail17trampoline_kernelINS0_14default_configENS1_35radix_sort_onesweep_config_selectorIdNS0_10empty_typeEEEZZNS1_29radix_sort_onesweep_iterationIS3_Lb0EPdS8_PS5_S9_mNS0_19identity_decomposerENS1_16block_id_wrapperIjLb1EEEEE10hipError_tT1_PNSt15iterator_traitsISE_E10value_typeET2_T3_PNSF_ISK_E10value_typeET4_T5_PSP_SQ_PNS1_23onesweep_lookback_stateEbbT6_jjT7_P12ihipStream_tbENKUlT_T0_SE_SJ_E_clIS8_S8_S9_S9_EEDaSX_SY_SE_SJ_EUlSX_E_NS1_11comp_targetILNS1_3genE3ELNS1_11target_archE908ELNS1_3gpuE7ELNS1_3repE0EEENS1_47radix_sort_onesweep_sort_config_static_selectorELNS0_4arch9wavefront6targetE1EEEvSE_,"axG",@progbits,_ZN7rocprim17ROCPRIM_400000_NS6detail17trampoline_kernelINS0_14default_configENS1_35radix_sort_onesweep_config_selectorIdNS0_10empty_typeEEEZZNS1_29radix_sort_onesweep_iterationIS3_Lb0EPdS8_PS5_S9_mNS0_19identity_decomposerENS1_16block_id_wrapperIjLb1EEEEE10hipError_tT1_PNSt15iterator_traitsISE_E10value_typeET2_T3_PNSF_ISK_E10value_typeET4_T5_PSP_SQ_PNS1_23onesweep_lookback_stateEbbT6_jjT7_P12ihipStream_tbENKUlT_T0_SE_SJ_E_clIS8_S8_S9_S9_EEDaSX_SY_SE_SJ_EUlSX_E_NS1_11comp_targetILNS1_3genE3ELNS1_11target_archE908ELNS1_3gpuE7ELNS1_3repE0EEENS1_47radix_sort_onesweep_sort_config_static_selectorELNS0_4arch9wavefront6targetE1EEEvSE_,comdat
.Lfunc_end1377:
	.size	_ZN7rocprim17ROCPRIM_400000_NS6detail17trampoline_kernelINS0_14default_configENS1_35radix_sort_onesweep_config_selectorIdNS0_10empty_typeEEEZZNS1_29radix_sort_onesweep_iterationIS3_Lb0EPdS8_PS5_S9_mNS0_19identity_decomposerENS1_16block_id_wrapperIjLb1EEEEE10hipError_tT1_PNSt15iterator_traitsISE_E10value_typeET2_T3_PNSF_ISK_E10value_typeET4_T5_PSP_SQ_PNS1_23onesweep_lookback_stateEbbT6_jjT7_P12ihipStream_tbENKUlT_T0_SE_SJ_E_clIS8_S8_S9_S9_EEDaSX_SY_SE_SJ_EUlSX_E_NS1_11comp_targetILNS1_3genE3ELNS1_11target_archE908ELNS1_3gpuE7ELNS1_3repE0EEENS1_47radix_sort_onesweep_sort_config_static_selectorELNS0_4arch9wavefront6targetE1EEEvSE_, .Lfunc_end1377-_ZN7rocprim17ROCPRIM_400000_NS6detail17trampoline_kernelINS0_14default_configENS1_35radix_sort_onesweep_config_selectorIdNS0_10empty_typeEEEZZNS1_29radix_sort_onesweep_iterationIS3_Lb0EPdS8_PS5_S9_mNS0_19identity_decomposerENS1_16block_id_wrapperIjLb1EEEEE10hipError_tT1_PNSt15iterator_traitsISE_E10value_typeET2_T3_PNSF_ISK_E10value_typeET4_T5_PSP_SQ_PNS1_23onesweep_lookback_stateEbbT6_jjT7_P12ihipStream_tbENKUlT_T0_SE_SJ_E_clIS8_S8_S9_S9_EEDaSX_SY_SE_SJ_EUlSX_E_NS1_11comp_targetILNS1_3genE3ELNS1_11target_archE908ELNS1_3gpuE7ELNS1_3repE0EEENS1_47radix_sort_onesweep_sort_config_static_selectorELNS0_4arch9wavefront6targetE1EEEvSE_
                                        ; -- End function
	.section	.AMDGPU.csdata,"",@progbits
; Kernel info:
; codeLenInByte = 0
; NumSgprs: 4
; NumVgprs: 0
; NumAgprs: 0
; TotalNumVgprs: 0
; ScratchSize: 0
; MemoryBound: 0
; FloatMode: 240
; IeeeMode: 1
; LDSByteSize: 0 bytes/workgroup (compile time only)
; SGPRBlocks: 0
; VGPRBlocks: 0
; NumSGPRsForWavesPerEU: 4
; NumVGPRsForWavesPerEU: 1
; AccumOffset: 4
; Occupancy: 8
; WaveLimiterHint : 0
; COMPUTE_PGM_RSRC2:SCRATCH_EN: 0
; COMPUTE_PGM_RSRC2:USER_SGPR: 6
; COMPUTE_PGM_RSRC2:TRAP_HANDLER: 0
; COMPUTE_PGM_RSRC2:TGID_X_EN: 1
; COMPUTE_PGM_RSRC2:TGID_Y_EN: 0
; COMPUTE_PGM_RSRC2:TGID_Z_EN: 0
; COMPUTE_PGM_RSRC2:TIDIG_COMP_CNT: 0
; COMPUTE_PGM_RSRC3_GFX90A:ACCUM_OFFSET: 0
; COMPUTE_PGM_RSRC3_GFX90A:TG_SPLIT: 0
	.section	.text._ZN7rocprim17ROCPRIM_400000_NS6detail17trampoline_kernelINS0_14default_configENS1_35radix_sort_onesweep_config_selectorIdNS0_10empty_typeEEEZZNS1_29radix_sort_onesweep_iterationIS3_Lb0EPdS8_PS5_S9_mNS0_19identity_decomposerENS1_16block_id_wrapperIjLb1EEEEE10hipError_tT1_PNSt15iterator_traitsISE_E10value_typeET2_T3_PNSF_ISK_E10value_typeET4_T5_PSP_SQ_PNS1_23onesweep_lookback_stateEbbT6_jjT7_P12ihipStream_tbENKUlT_T0_SE_SJ_E_clIS8_S8_S9_S9_EEDaSX_SY_SE_SJ_EUlSX_E_NS1_11comp_targetILNS1_3genE10ELNS1_11target_archE1201ELNS1_3gpuE5ELNS1_3repE0EEENS1_47radix_sort_onesweep_sort_config_static_selectorELNS0_4arch9wavefront6targetE1EEEvSE_,"axG",@progbits,_ZN7rocprim17ROCPRIM_400000_NS6detail17trampoline_kernelINS0_14default_configENS1_35radix_sort_onesweep_config_selectorIdNS0_10empty_typeEEEZZNS1_29radix_sort_onesweep_iterationIS3_Lb0EPdS8_PS5_S9_mNS0_19identity_decomposerENS1_16block_id_wrapperIjLb1EEEEE10hipError_tT1_PNSt15iterator_traitsISE_E10value_typeET2_T3_PNSF_ISK_E10value_typeET4_T5_PSP_SQ_PNS1_23onesweep_lookback_stateEbbT6_jjT7_P12ihipStream_tbENKUlT_T0_SE_SJ_E_clIS8_S8_S9_S9_EEDaSX_SY_SE_SJ_EUlSX_E_NS1_11comp_targetILNS1_3genE10ELNS1_11target_archE1201ELNS1_3gpuE5ELNS1_3repE0EEENS1_47radix_sort_onesweep_sort_config_static_selectorELNS0_4arch9wavefront6targetE1EEEvSE_,comdat
	.protected	_ZN7rocprim17ROCPRIM_400000_NS6detail17trampoline_kernelINS0_14default_configENS1_35radix_sort_onesweep_config_selectorIdNS0_10empty_typeEEEZZNS1_29radix_sort_onesweep_iterationIS3_Lb0EPdS8_PS5_S9_mNS0_19identity_decomposerENS1_16block_id_wrapperIjLb1EEEEE10hipError_tT1_PNSt15iterator_traitsISE_E10value_typeET2_T3_PNSF_ISK_E10value_typeET4_T5_PSP_SQ_PNS1_23onesweep_lookback_stateEbbT6_jjT7_P12ihipStream_tbENKUlT_T0_SE_SJ_E_clIS8_S8_S9_S9_EEDaSX_SY_SE_SJ_EUlSX_E_NS1_11comp_targetILNS1_3genE10ELNS1_11target_archE1201ELNS1_3gpuE5ELNS1_3repE0EEENS1_47radix_sort_onesweep_sort_config_static_selectorELNS0_4arch9wavefront6targetE1EEEvSE_ ; -- Begin function _ZN7rocprim17ROCPRIM_400000_NS6detail17trampoline_kernelINS0_14default_configENS1_35radix_sort_onesweep_config_selectorIdNS0_10empty_typeEEEZZNS1_29radix_sort_onesweep_iterationIS3_Lb0EPdS8_PS5_S9_mNS0_19identity_decomposerENS1_16block_id_wrapperIjLb1EEEEE10hipError_tT1_PNSt15iterator_traitsISE_E10value_typeET2_T3_PNSF_ISK_E10value_typeET4_T5_PSP_SQ_PNS1_23onesweep_lookback_stateEbbT6_jjT7_P12ihipStream_tbENKUlT_T0_SE_SJ_E_clIS8_S8_S9_S9_EEDaSX_SY_SE_SJ_EUlSX_E_NS1_11comp_targetILNS1_3genE10ELNS1_11target_archE1201ELNS1_3gpuE5ELNS1_3repE0EEENS1_47radix_sort_onesweep_sort_config_static_selectorELNS0_4arch9wavefront6targetE1EEEvSE_
	.globl	_ZN7rocprim17ROCPRIM_400000_NS6detail17trampoline_kernelINS0_14default_configENS1_35radix_sort_onesweep_config_selectorIdNS0_10empty_typeEEEZZNS1_29radix_sort_onesweep_iterationIS3_Lb0EPdS8_PS5_S9_mNS0_19identity_decomposerENS1_16block_id_wrapperIjLb1EEEEE10hipError_tT1_PNSt15iterator_traitsISE_E10value_typeET2_T3_PNSF_ISK_E10value_typeET4_T5_PSP_SQ_PNS1_23onesweep_lookback_stateEbbT6_jjT7_P12ihipStream_tbENKUlT_T0_SE_SJ_E_clIS8_S8_S9_S9_EEDaSX_SY_SE_SJ_EUlSX_E_NS1_11comp_targetILNS1_3genE10ELNS1_11target_archE1201ELNS1_3gpuE5ELNS1_3repE0EEENS1_47radix_sort_onesweep_sort_config_static_selectorELNS0_4arch9wavefront6targetE1EEEvSE_
	.p2align	8
	.type	_ZN7rocprim17ROCPRIM_400000_NS6detail17trampoline_kernelINS0_14default_configENS1_35radix_sort_onesweep_config_selectorIdNS0_10empty_typeEEEZZNS1_29radix_sort_onesweep_iterationIS3_Lb0EPdS8_PS5_S9_mNS0_19identity_decomposerENS1_16block_id_wrapperIjLb1EEEEE10hipError_tT1_PNSt15iterator_traitsISE_E10value_typeET2_T3_PNSF_ISK_E10value_typeET4_T5_PSP_SQ_PNS1_23onesweep_lookback_stateEbbT6_jjT7_P12ihipStream_tbENKUlT_T0_SE_SJ_E_clIS8_S8_S9_S9_EEDaSX_SY_SE_SJ_EUlSX_E_NS1_11comp_targetILNS1_3genE10ELNS1_11target_archE1201ELNS1_3gpuE5ELNS1_3repE0EEENS1_47radix_sort_onesweep_sort_config_static_selectorELNS0_4arch9wavefront6targetE1EEEvSE_,@function
_ZN7rocprim17ROCPRIM_400000_NS6detail17trampoline_kernelINS0_14default_configENS1_35radix_sort_onesweep_config_selectorIdNS0_10empty_typeEEEZZNS1_29radix_sort_onesweep_iterationIS3_Lb0EPdS8_PS5_S9_mNS0_19identity_decomposerENS1_16block_id_wrapperIjLb1EEEEE10hipError_tT1_PNSt15iterator_traitsISE_E10value_typeET2_T3_PNSF_ISK_E10value_typeET4_T5_PSP_SQ_PNS1_23onesweep_lookback_stateEbbT6_jjT7_P12ihipStream_tbENKUlT_T0_SE_SJ_E_clIS8_S8_S9_S9_EEDaSX_SY_SE_SJ_EUlSX_E_NS1_11comp_targetILNS1_3genE10ELNS1_11target_archE1201ELNS1_3gpuE5ELNS1_3repE0EEENS1_47radix_sort_onesweep_sort_config_static_selectorELNS0_4arch9wavefront6targetE1EEEvSE_: ; @_ZN7rocprim17ROCPRIM_400000_NS6detail17trampoline_kernelINS0_14default_configENS1_35radix_sort_onesweep_config_selectorIdNS0_10empty_typeEEEZZNS1_29radix_sort_onesweep_iterationIS3_Lb0EPdS8_PS5_S9_mNS0_19identity_decomposerENS1_16block_id_wrapperIjLb1EEEEE10hipError_tT1_PNSt15iterator_traitsISE_E10value_typeET2_T3_PNSF_ISK_E10value_typeET4_T5_PSP_SQ_PNS1_23onesweep_lookback_stateEbbT6_jjT7_P12ihipStream_tbENKUlT_T0_SE_SJ_E_clIS8_S8_S9_S9_EEDaSX_SY_SE_SJ_EUlSX_E_NS1_11comp_targetILNS1_3genE10ELNS1_11target_archE1201ELNS1_3gpuE5ELNS1_3repE0EEENS1_47radix_sort_onesweep_sort_config_static_selectorELNS0_4arch9wavefront6targetE1EEEvSE_
; %bb.0:
	.section	.rodata,"a",@progbits
	.p2align	6, 0x0
	.amdhsa_kernel _ZN7rocprim17ROCPRIM_400000_NS6detail17trampoline_kernelINS0_14default_configENS1_35radix_sort_onesweep_config_selectorIdNS0_10empty_typeEEEZZNS1_29radix_sort_onesweep_iterationIS3_Lb0EPdS8_PS5_S9_mNS0_19identity_decomposerENS1_16block_id_wrapperIjLb1EEEEE10hipError_tT1_PNSt15iterator_traitsISE_E10value_typeET2_T3_PNSF_ISK_E10value_typeET4_T5_PSP_SQ_PNS1_23onesweep_lookback_stateEbbT6_jjT7_P12ihipStream_tbENKUlT_T0_SE_SJ_E_clIS8_S8_S9_S9_EEDaSX_SY_SE_SJ_EUlSX_E_NS1_11comp_targetILNS1_3genE10ELNS1_11target_archE1201ELNS1_3gpuE5ELNS1_3repE0EEENS1_47radix_sort_onesweep_sort_config_static_selectorELNS0_4arch9wavefront6targetE1EEEvSE_
		.amdhsa_group_segment_fixed_size 0
		.amdhsa_private_segment_fixed_size 0
		.amdhsa_kernarg_size 88
		.amdhsa_user_sgpr_count 6
		.amdhsa_user_sgpr_private_segment_buffer 1
		.amdhsa_user_sgpr_dispatch_ptr 0
		.amdhsa_user_sgpr_queue_ptr 0
		.amdhsa_user_sgpr_kernarg_segment_ptr 1
		.amdhsa_user_sgpr_dispatch_id 0
		.amdhsa_user_sgpr_flat_scratch_init 0
		.amdhsa_user_sgpr_kernarg_preload_length 0
		.amdhsa_user_sgpr_kernarg_preload_offset 0
		.amdhsa_user_sgpr_private_segment_size 0
		.amdhsa_uses_dynamic_stack 0
		.amdhsa_system_sgpr_private_segment_wavefront_offset 0
		.amdhsa_system_sgpr_workgroup_id_x 1
		.amdhsa_system_sgpr_workgroup_id_y 0
		.amdhsa_system_sgpr_workgroup_id_z 0
		.amdhsa_system_sgpr_workgroup_info 0
		.amdhsa_system_vgpr_workitem_id 0
		.amdhsa_next_free_vgpr 1
		.amdhsa_next_free_sgpr 0
		.amdhsa_accum_offset 4
		.amdhsa_reserve_vcc 0
		.amdhsa_reserve_flat_scratch 0
		.amdhsa_float_round_mode_32 0
		.amdhsa_float_round_mode_16_64 0
		.amdhsa_float_denorm_mode_32 3
		.amdhsa_float_denorm_mode_16_64 3
		.amdhsa_dx10_clamp 1
		.amdhsa_ieee_mode 1
		.amdhsa_fp16_overflow 0
		.amdhsa_tg_split 0
		.amdhsa_exception_fp_ieee_invalid_op 0
		.amdhsa_exception_fp_denorm_src 0
		.amdhsa_exception_fp_ieee_div_zero 0
		.amdhsa_exception_fp_ieee_overflow 0
		.amdhsa_exception_fp_ieee_underflow 0
		.amdhsa_exception_fp_ieee_inexact 0
		.amdhsa_exception_int_div_zero 0
	.end_amdhsa_kernel
	.section	.text._ZN7rocprim17ROCPRIM_400000_NS6detail17trampoline_kernelINS0_14default_configENS1_35radix_sort_onesweep_config_selectorIdNS0_10empty_typeEEEZZNS1_29radix_sort_onesweep_iterationIS3_Lb0EPdS8_PS5_S9_mNS0_19identity_decomposerENS1_16block_id_wrapperIjLb1EEEEE10hipError_tT1_PNSt15iterator_traitsISE_E10value_typeET2_T3_PNSF_ISK_E10value_typeET4_T5_PSP_SQ_PNS1_23onesweep_lookback_stateEbbT6_jjT7_P12ihipStream_tbENKUlT_T0_SE_SJ_E_clIS8_S8_S9_S9_EEDaSX_SY_SE_SJ_EUlSX_E_NS1_11comp_targetILNS1_3genE10ELNS1_11target_archE1201ELNS1_3gpuE5ELNS1_3repE0EEENS1_47radix_sort_onesweep_sort_config_static_selectorELNS0_4arch9wavefront6targetE1EEEvSE_,"axG",@progbits,_ZN7rocprim17ROCPRIM_400000_NS6detail17trampoline_kernelINS0_14default_configENS1_35radix_sort_onesweep_config_selectorIdNS0_10empty_typeEEEZZNS1_29radix_sort_onesweep_iterationIS3_Lb0EPdS8_PS5_S9_mNS0_19identity_decomposerENS1_16block_id_wrapperIjLb1EEEEE10hipError_tT1_PNSt15iterator_traitsISE_E10value_typeET2_T3_PNSF_ISK_E10value_typeET4_T5_PSP_SQ_PNS1_23onesweep_lookback_stateEbbT6_jjT7_P12ihipStream_tbENKUlT_T0_SE_SJ_E_clIS8_S8_S9_S9_EEDaSX_SY_SE_SJ_EUlSX_E_NS1_11comp_targetILNS1_3genE10ELNS1_11target_archE1201ELNS1_3gpuE5ELNS1_3repE0EEENS1_47radix_sort_onesweep_sort_config_static_selectorELNS0_4arch9wavefront6targetE1EEEvSE_,comdat
.Lfunc_end1378:
	.size	_ZN7rocprim17ROCPRIM_400000_NS6detail17trampoline_kernelINS0_14default_configENS1_35radix_sort_onesweep_config_selectorIdNS0_10empty_typeEEEZZNS1_29radix_sort_onesweep_iterationIS3_Lb0EPdS8_PS5_S9_mNS0_19identity_decomposerENS1_16block_id_wrapperIjLb1EEEEE10hipError_tT1_PNSt15iterator_traitsISE_E10value_typeET2_T3_PNSF_ISK_E10value_typeET4_T5_PSP_SQ_PNS1_23onesweep_lookback_stateEbbT6_jjT7_P12ihipStream_tbENKUlT_T0_SE_SJ_E_clIS8_S8_S9_S9_EEDaSX_SY_SE_SJ_EUlSX_E_NS1_11comp_targetILNS1_3genE10ELNS1_11target_archE1201ELNS1_3gpuE5ELNS1_3repE0EEENS1_47radix_sort_onesweep_sort_config_static_selectorELNS0_4arch9wavefront6targetE1EEEvSE_, .Lfunc_end1378-_ZN7rocprim17ROCPRIM_400000_NS6detail17trampoline_kernelINS0_14default_configENS1_35radix_sort_onesweep_config_selectorIdNS0_10empty_typeEEEZZNS1_29radix_sort_onesweep_iterationIS3_Lb0EPdS8_PS5_S9_mNS0_19identity_decomposerENS1_16block_id_wrapperIjLb1EEEEE10hipError_tT1_PNSt15iterator_traitsISE_E10value_typeET2_T3_PNSF_ISK_E10value_typeET4_T5_PSP_SQ_PNS1_23onesweep_lookback_stateEbbT6_jjT7_P12ihipStream_tbENKUlT_T0_SE_SJ_E_clIS8_S8_S9_S9_EEDaSX_SY_SE_SJ_EUlSX_E_NS1_11comp_targetILNS1_3genE10ELNS1_11target_archE1201ELNS1_3gpuE5ELNS1_3repE0EEENS1_47radix_sort_onesweep_sort_config_static_selectorELNS0_4arch9wavefront6targetE1EEEvSE_
                                        ; -- End function
	.section	.AMDGPU.csdata,"",@progbits
; Kernel info:
; codeLenInByte = 0
; NumSgprs: 4
; NumVgprs: 0
; NumAgprs: 0
; TotalNumVgprs: 0
; ScratchSize: 0
; MemoryBound: 0
; FloatMode: 240
; IeeeMode: 1
; LDSByteSize: 0 bytes/workgroup (compile time only)
; SGPRBlocks: 0
; VGPRBlocks: 0
; NumSGPRsForWavesPerEU: 4
; NumVGPRsForWavesPerEU: 1
; AccumOffset: 4
; Occupancy: 8
; WaveLimiterHint : 0
; COMPUTE_PGM_RSRC2:SCRATCH_EN: 0
; COMPUTE_PGM_RSRC2:USER_SGPR: 6
; COMPUTE_PGM_RSRC2:TRAP_HANDLER: 0
; COMPUTE_PGM_RSRC2:TGID_X_EN: 1
; COMPUTE_PGM_RSRC2:TGID_Y_EN: 0
; COMPUTE_PGM_RSRC2:TGID_Z_EN: 0
; COMPUTE_PGM_RSRC2:TIDIG_COMP_CNT: 0
; COMPUTE_PGM_RSRC3_GFX90A:ACCUM_OFFSET: 0
; COMPUTE_PGM_RSRC3_GFX90A:TG_SPLIT: 0
	.section	.text._ZN7rocprim17ROCPRIM_400000_NS6detail17trampoline_kernelINS0_14default_configENS1_35radix_sort_onesweep_config_selectorIdNS0_10empty_typeEEEZZNS1_29radix_sort_onesweep_iterationIS3_Lb0EPdS8_PS5_S9_mNS0_19identity_decomposerENS1_16block_id_wrapperIjLb1EEEEE10hipError_tT1_PNSt15iterator_traitsISE_E10value_typeET2_T3_PNSF_ISK_E10value_typeET4_T5_PSP_SQ_PNS1_23onesweep_lookback_stateEbbT6_jjT7_P12ihipStream_tbENKUlT_T0_SE_SJ_E_clIS8_S8_S9_S9_EEDaSX_SY_SE_SJ_EUlSX_E_NS1_11comp_targetILNS1_3genE9ELNS1_11target_archE1100ELNS1_3gpuE3ELNS1_3repE0EEENS1_47radix_sort_onesweep_sort_config_static_selectorELNS0_4arch9wavefront6targetE1EEEvSE_,"axG",@progbits,_ZN7rocprim17ROCPRIM_400000_NS6detail17trampoline_kernelINS0_14default_configENS1_35radix_sort_onesweep_config_selectorIdNS0_10empty_typeEEEZZNS1_29radix_sort_onesweep_iterationIS3_Lb0EPdS8_PS5_S9_mNS0_19identity_decomposerENS1_16block_id_wrapperIjLb1EEEEE10hipError_tT1_PNSt15iterator_traitsISE_E10value_typeET2_T3_PNSF_ISK_E10value_typeET4_T5_PSP_SQ_PNS1_23onesweep_lookback_stateEbbT6_jjT7_P12ihipStream_tbENKUlT_T0_SE_SJ_E_clIS8_S8_S9_S9_EEDaSX_SY_SE_SJ_EUlSX_E_NS1_11comp_targetILNS1_3genE9ELNS1_11target_archE1100ELNS1_3gpuE3ELNS1_3repE0EEENS1_47radix_sort_onesweep_sort_config_static_selectorELNS0_4arch9wavefront6targetE1EEEvSE_,comdat
	.protected	_ZN7rocprim17ROCPRIM_400000_NS6detail17trampoline_kernelINS0_14default_configENS1_35radix_sort_onesweep_config_selectorIdNS0_10empty_typeEEEZZNS1_29radix_sort_onesweep_iterationIS3_Lb0EPdS8_PS5_S9_mNS0_19identity_decomposerENS1_16block_id_wrapperIjLb1EEEEE10hipError_tT1_PNSt15iterator_traitsISE_E10value_typeET2_T3_PNSF_ISK_E10value_typeET4_T5_PSP_SQ_PNS1_23onesweep_lookback_stateEbbT6_jjT7_P12ihipStream_tbENKUlT_T0_SE_SJ_E_clIS8_S8_S9_S9_EEDaSX_SY_SE_SJ_EUlSX_E_NS1_11comp_targetILNS1_3genE9ELNS1_11target_archE1100ELNS1_3gpuE3ELNS1_3repE0EEENS1_47radix_sort_onesweep_sort_config_static_selectorELNS0_4arch9wavefront6targetE1EEEvSE_ ; -- Begin function _ZN7rocprim17ROCPRIM_400000_NS6detail17trampoline_kernelINS0_14default_configENS1_35radix_sort_onesweep_config_selectorIdNS0_10empty_typeEEEZZNS1_29radix_sort_onesweep_iterationIS3_Lb0EPdS8_PS5_S9_mNS0_19identity_decomposerENS1_16block_id_wrapperIjLb1EEEEE10hipError_tT1_PNSt15iterator_traitsISE_E10value_typeET2_T3_PNSF_ISK_E10value_typeET4_T5_PSP_SQ_PNS1_23onesweep_lookback_stateEbbT6_jjT7_P12ihipStream_tbENKUlT_T0_SE_SJ_E_clIS8_S8_S9_S9_EEDaSX_SY_SE_SJ_EUlSX_E_NS1_11comp_targetILNS1_3genE9ELNS1_11target_archE1100ELNS1_3gpuE3ELNS1_3repE0EEENS1_47radix_sort_onesweep_sort_config_static_selectorELNS0_4arch9wavefront6targetE1EEEvSE_
	.globl	_ZN7rocprim17ROCPRIM_400000_NS6detail17trampoline_kernelINS0_14default_configENS1_35radix_sort_onesweep_config_selectorIdNS0_10empty_typeEEEZZNS1_29radix_sort_onesweep_iterationIS3_Lb0EPdS8_PS5_S9_mNS0_19identity_decomposerENS1_16block_id_wrapperIjLb1EEEEE10hipError_tT1_PNSt15iterator_traitsISE_E10value_typeET2_T3_PNSF_ISK_E10value_typeET4_T5_PSP_SQ_PNS1_23onesweep_lookback_stateEbbT6_jjT7_P12ihipStream_tbENKUlT_T0_SE_SJ_E_clIS8_S8_S9_S9_EEDaSX_SY_SE_SJ_EUlSX_E_NS1_11comp_targetILNS1_3genE9ELNS1_11target_archE1100ELNS1_3gpuE3ELNS1_3repE0EEENS1_47radix_sort_onesweep_sort_config_static_selectorELNS0_4arch9wavefront6targetE1EEEvSE_
	.p2align	8
	.type	_ZN7rocprim17ROCPRIM_400000_NS6detail17trampoline_kernelINS0_14default_configENS1_35radix_sort_onesweep_config_selectorIdNS0_10empty_typeEEEZZNS1_29radix_sort_onesweep_iterationIS3_Lb0EPdS8_PS5_S9_mNS0_19identity_decomposerENS1_16block_id_wrapperIjLb1EEEEE10hipError_tT1_PNSt15iterator_traitsISE_E10value_typeET2_T3_PNSF_ISK_E10value_typeET4_T5_PSP_SQ_PNS1_23onesweep_lookback_stateEbbT6_jjT7_P12ihipStream_tbENKUlT_T0_SE_SJ_E_clIS8_S8_S9_S9_EEDaSX_SY_SE_SJ_EUlSX_E_NS1_11comp_targetILNS1_3genE9ELNS1_11target_archE1100ELNS1_3gpuE3ELNS1_3repE0EEENS1_47radix_sort_onesweep_sort_config_static_selectorELNS0_4arch9wavefront6targetE1EEEvSE_,@function
_ZN7rocprim17ROCPRIM_400000_NS6detail17trampoline_kernelINS0_14default_configENS1_35radix_sort_onesweep_config_selectorIdNS0_10empty_typeEEEZZNS1_29radix_sort_onesweep_iterationIS3_Lb0EPdS8_PS5_S9_mNS0_19identity_decomposerENS1_16block_id_wrapperIjLb1EEEEE10hipError_tT1_PNSt15iterator_traitsISE_E10value_typeET2_T3_PNSF_ISK_E10value_typeET4_T5_PSP_SQ_PNS1_23onesweep_lookback_stateEbbT6_jjT7_P12ihipStream_tbENKUlT_T0_SE_SJ_E_clIS8_S8_S9_S9_EEDaSX_SY_SE_SJ_EUlSX_E_NS1_11comp_targetILNS1_3genE9ELNS1_11target_archE1100ELNS1_3gpuE3ELNS1_3repE0EEENS1_47radix_sort_onesweep_sort_config_static_selectorELNS0_4arch9wavefront6targetE1EEEvSE_: ; @_ZN7rocprim17ROCPRIM_400000_NS6detail17trampoline_kernelINS0_14default_configENS1_35radix_sort_onesweep_config_selectorIdNS0_10empty_typeEEEZZNS1_29radix_sort_onesweep_iterationIS3_Lb0EPdS8_PS5_S9_mNS0_19identity_decomposerENS1_16block_id_wrapperIjLb1EEEEE10hipError_tT1_PNSt15iterator_traitsISE_E10value_typeET2_T3_PNSF_ISK_E10value_typeET4_T5_PSP_SQ_PNS1_23onesweep_lookback_stateEbbT6_jjT7_P12ihipStream_tbENKUlT_T0_SE_SJ_E_clIS8_S8_S9_S9_EEDaSX_SY_SE_SJ_EUlSX_E_NS1_11comp_targetILNS1_3genE9ELNS1_11target_archE1100ELNS1_3gpuE3ELNS1_3repE0EEENS1_47radix_sort_onesweep_sort_config_static_selectorELNS0_4arch9wavefront6targetE1EEEvSE_
; %bb.0:
	.section	.rodata,"a",@progbits
	.p2align	6, 0x0
	.amdhsa_kernel _ZN7rocprim17ROCPRIM_400000_NS6detail17trampoline_kernelINS0_14default_configENS1_35radix_sort_onesweep_config_selectorIdNS0_10empty_typeEEEZZNS1_29radix_sort_onesweep_iterationIS3_Lb0EPdS8_PS5_S9_mNS0_19identity_decomposerENS1_16block_id_wrapperIjLb1EEEEE10hipError_tT1_PNSt15iterator_traitsISE_E10value_typeET2_T3_PNSF_ISK_E10value_typeET4_T5_PSP_SQ_PNS1_23onesweep_lookback_stateEbbT6_jjT7_P12ihipStream_tbENKUlT_T0_SE_SJ_E_clIS8_S8_S9_S9_EEDaSX_SY_SE_SJ_EUlSX_E_NS1_11comp_targetILNS1_3genE9ELNS1_11target_archE1100ELNS1_3gpuE3ELNS1_3repE0EEENS1_47radix_sort_onesweep_sort_config_static_selectorELNS0_4arch9wavefront6targetE1EEEvSE_
		.amdhsa_group_segment_fixed_size 0
		.amdhsa_private_segment_fixed_size 0
		.amdhsa_kernarg_size 88
		.amdhsa_user_sgpr_count 6
		.amdhsa_user_sgpr_private_segment_buffer 1
		.amdhsa_user_sgpr_dispatch_ptr 0
		.amdhsa_user_sgpr_queue_ptr 0
		.amdhsa_user_sgpr_kernarg_segment_ptr 1
		.amdhsa_user_sgpr_dispatch_id 0
		.amdhsa_user_sgpr_flat_scratch_init 0
		.amdhsa_user_sgpr_kernarg_preload_length 0
		.amdhsa_user_sgpr_kernarg_preload_offset 0
		.amdhsa_user_sgpr_private_segment_size 0
		.amdhsa_uses_dynamic_stack 0
		.amdhsa_system_sgpr_private_segment_wavefront_offset 0
		.amdhsa_system_sgpr_workgroup_id_x 1
		.amdhsa_system_sgpr_workgroup_id_y 0
		.amdhsa_system_sgpr_workgroup_id_z 0
		.amdhsa_system_sgpr_workgroup_info 0
		.amdhsa_system_vgpr_workitem_id 0
		.amdhsa_next_free_vgpr 1
		.amdhsa_next_free_sgpr 0
		.amdhsa_accum_offset 4
		.amdhsa_reserve_vcc 0
		.amdhsa_reserve_flat_scratch 0
		.amdhsa_float_round_mode_32 0
		.amdhsa_float_round_mode_16_64 0
		.amdhsa_float_denorm_mode_32 3
		.amdhsa_float_denorm_mode_16_64 3
		.amdhsa_dx10_clamp 1
		.amdhsa_ieee_mode 1
		.amdhsa_fp16_overflow 0
		.amdhsa_tg_split 0
		.amdhsa_exception_fp_ieee_invalid_op 0
		.amdhsa_exception_fp_denorm_src 0
		.amdhsa_exception_fp_ieee_div_zero 0
		.amdhsa_exception_fp_ieee_overflow 0
		.amdhsa_exception_fp_ieee_underflow 0
		.amdhsa_exception_fp_ieee_inexact 0
		.amdhsa_exception_int_div_zero 0
	.end_amdhsa_kernel
	.section	.text._ZN7rocprim17ROCPRIM_400000_NS6detail17trampoline_kernelINS0_14default_configENS1_35radix_sort_onesweep_config_selectorIdNS0_10empty_typeEEEZZNS1_29radix_sort_onesweep_iterationIS3_Lb0EPdS8_PS5_S9_mNS0_19identity_decomposerENS1_16block_id_wrapperIjLb1EEEEE10hipError_tT1_PNSt15iterator_traitsISE_E10value_typeET2_T3_PNSF_ISK_E10value_typeET4_T5_PSP_SQ_PNS1_23onesweep_lookback_stateEbbT6_jjT7_P12ihipStream_tbENKUlT_T0_SE_SJ_E_clIS8_S8_S9_S9_EEDaSX_SY_SE_SJ_EUlSX_E_NS1_11comp_targetILNS1_3genE9ELNS1_11target_archE1100ELNS1_3gpuE3ELNS1_3repE0EEENS1_47radix_sort_onesweep_sort_config_static_selectorELNS0_4arch9wavefront6targetE1EEEvSE_,"axG",@progbits,_ZN7rocprim17ROCPRIM_400000_NS6detail17trampoline_kernelINS0_14default_configENS1_35radix_sort_onesweep_config_selectorIdNS0_10empty_typeEEEZZNS1_29radix_sort_onesweep_iterationIS3_Lb0EPdS8_PS5_S9_mNS0_19identity_decomposerENS1_16block_id_wrapperIjLb1EEEEE10hipError_tT1_PNSt15iterator_traitsISE_E10value_typeET2_T3_PNSF_ISK_E10value_typeET4_T5_PSP_SQ_PNS1_23onesweep_lookback_stateEbbT6_jjT7_P12ihipStream_tbENKUlT_T0_SE_SJ_E_clIS8_S8_S9_S9_EEDaSX_SY_SE_SJ_EUlSX_E_NS1_11comp_targetILNS1_3genE9ELNS1_11target_archE1100ELNS1_3gpuE3ELNS1_3repE0EEENS1_47radix_sort_onesweep_sort_config_static_selectorELNS0_4arch9wavefront6targetE1EEEvSE_,comdat
.Lfunc_end1379:
	.size	_ZN7rocprim17ROCPRIM_400000_NS6detail17trampoline_kernelINS0_14default_configENS1_35radix_sort_onesweep_config_selectorIdNS0_10empty_typeEEEZZNS1_29radix_sort_onesweep_iterationIS3_Lb0EPdS8_PS5_S9_mNS0_19identity_decomposerENS1_16block_id_wrapperIjLb1EEEEE10hipError_tT1_PNSt15iterator_traitsISE_E10value_typeET2_T3_PNSF_ISK_E10value_typeET4_T5_PSP_SQ_PNS1_23onesweep_lookback_stateEbbT6_jjT7_P12ihipStream_tbENKUlT_T0_SE_SJ_E_clIS8_S8_S9_S9_EEDaSX_SY_SE_SJ_EUlSX_E_NS1_11comp_targetILNS1_3genE9ELNS1_11target_archE1100ELNS1_3gpuE3ELNS1_3repE0EEENS1_47radix_sort_onesweep_sort_config_static_selectorELNS0_4arch9wavefront6targetE1EEEvSE_, .Lfunc_end1379-_ZN7rocprim17ROCPRIM_400000_NS6detail17trampoline_kernelINS0_14default_configENS1_35radix_sort_onesweep_config_selectorIdNS0_10empty_typeEEEZZNS1_29radix_sort_onesweep_iterationIS3_Lb0EPdS8_PS5_S9_mNS0_19identity_decomposerENS1_16block_id_wrapperIjLb1EEEEE10hipError_tT1_PNSt15iterator_traitsISE_E10value_typeET2_T3_PNSF_ISK_E10value_typeET4_T5_PSP_SQ_PNS1_23onesweep_lookback_stateEbbT6_jjT7_P12ihipStream_tbENKUlT_T0_SE_SJ_E_clIS8_S8_S9_S9_EEDaSX_SY_SE_SJ_EUlSX_E_NS1_11comp_targetILNS1_3genE9ELNS1_11target_archE1100ELNS1_3gpuE3ELNS1_3repE0EEENS1_47radix_sort_onesweep_sort_config_static_selectorELNS0_4arch9wavefront6targetE1EEEvSE_
                                        ; -- End function
	.section	.AMDGPU.csdata,"",@progbits
; Kernel info:
; codeLenInByte = 0
; NumSgprs: 4
; NumVgprs: 0
; NumAgprs: 0
; TotalNumVgprs: 0
; ScratchSize: 0
; MemoryBound: 0
; FloatMode: 240
; IeeeMode: 1
; LDSByteSize: 0 bytes/workgroup (compile time only)
; SGPRBlocks: 0
; VGPRBlocks: 0
; NumSGPRsForWavesPerEU: 4
; NumVGPRsForWavesPerEU: 1
; AccumOffset: 4
; Occupancy: 8
; WaveLimiterHint : 0
; COMPUTE_PGM_RSRC2:SCRATCH_EN: 0
; COMPUTE_PGM_RSRC2:USER_SGPR: 6
; COMPUTE_PGM_RSRC2:TRAP_HANDLER: 0
; COMPUTE_PGM_RSRC2:TGID_X_EN: 1
; COMPUTE_PGM_RSRC2:TGID_Y_EN: 0
; COMPUTE_PGM_RSRC2:TGID_Z_EN: 0
; COMPUTE_PGM_RSRC2:TIDIG_COMP_CNT: 0
; COMPUTE_PGM_RSRC3_GFX90A:ACCUM_OFFSET: 0
; COMPUTE_PGM_RSRC3_GFX90A:TG_SPLIT: 0
	.section	.text._ZN7rocprim17ROCPRIM_400000_NS6detail17trampoline_kernelINS0_14default_configENS1_35radix_sort_onesweep_config_selectorIdNS0_10empty_typeEEEZZNS1_29radix_sort_onesweep_iterationIS3_Lb0EPdS8_PS5_S9_mNS0_19identity_decomposerENS1_16block_id_wrapperIjLb1EEEEE10hipError_tT1_PNSt15iterator_traitsISE_E10value_typeET2_T3_PNSF_ISK_E10value_typeET4_T5_PSP_SQ_PNS1_23onesweep_lookback_stateEbbT6_jjT7_P12ihipStream_tbENKUlT_T0_SE_SJ_E_clIS8_S8_S9_S9_EEDaSX_SY_SE_SJ_EUlSX_E_NS1_11comp_targetILNS1_3genE8ELNS1_11target_archE1030ELNS1_3gpuE2ELNS1_3repE0EEENS1_47radix_sort_onesweep_sort_config_static_selectorELNS0_4arch9wavefront6targetE1EEEvSE_,"axG",@progbits,_ZN7rocprim17ROCPRIM_400000_NS6detail17trampoline_kernelINS0_14default_configENS1_35radix_sort_onesweep_config_selectorIdNS0_10empty_typeEEEZZNS1_29radix_sort_onesweep_iterationIS3_Lb0EPdS8_PS5_S9_mNS0_19identity_decomposerENS1_16block_id_wrapperIjLb1EEEEE10hipError_tT1_PNSt15iterator_traitsISE_E10value_typeET2_T3_PNSF_ISK_E10value_typeET4_T5_PSP_SQ_PNS1_23onesweep_lookback_stateEbbT6_jjT7_P12ihipStream_tbENKUlT_T0_SE_SJ_E_clIS8_S8_S9_S9_EEDaSX_SY_SE_SJ_EUlSX_E_NS1_11comp_targetILNS1_3genE8ELNS1_11target_archE1030ELNS1_3gpuE2ELNS1_3repE0EEENS1_47radix_sort_onesweep_sort_config_static_selectorELNS0_4arch9wavefront6targetE1EEEvSE_,comdat
	.protected	_ZN7rocprim17ROCPRIM_400000_NS6detail17trampoline_kernelINS0_14default_configENS1_35radix_sort_onesweep_config_selectorIdNS0_10empty_typeEEEZZNS1_29radix_sort_onesweep_iterationIS3_Lb0EPdS8_PS5_S9_mNS0_19identity_decomposerENS1_16block_id_wrapperIjLb1EEEEE10hipError_tT1_PNSt15iterator_traitsISE_E10value_typeET2_T3_PNSF_ISK_E10value_typeET4_T5_PSP_SQ_PNS1_23onesweep_lookback_stateEbbT6_jjT7_P12ihipStream_tbENKUlT_T0_SE_SJ_E_clIS8_S8_S9_S9_EEDaSX_SY_SE_SJ_EUlSX_E_NS1_11comp_targetILNS1_3genE8ELNS1_11target_archE1030ELNS1_3gpuE2ELNS1_3repE0EEENS1_47radix_sort_onesweep_sort_config_static_selectorELNS0_4arch9wavefront6targetE1EEEvSE_ ; -- Begin function _ZN7rocprim17ROCPRIM_400000_NS6detail17trampoline_kernelINS0_14default_configENS1_35radix_sort_onesweep_config_selectorIdNS0_10empty_typeEEEZZNS1_29radix_sort_onesweep_iterationIS3_Lb0EPdS8_PS5_S9_mNS0_19identity_decomposerENS1_16block_id_wrapperIjLb1EEEEE10hipError_tT1_PNSt15iterator_traitsISE_E10value_typeET2_T3_PNSF_ISK_E10value_typeET4_T5_PSP_SQ_PNS1_23onesweep_lookback_stateEbbT6_jjT7_P12ihipStream_tbENKUlT_T0_SE_SJ_E_clIS8_S8_S9_S9_EEDaSX_SY_SE_SJ_EUlSX_E_NS1_11comp_targetILNS1_3genE8ELNS1_11target_archE1030ELNS1_3gpuE2ELNS1_3repE0EEENS1_47radix_sort_onesweep_sort_config_static_selectorELNS0_4arch9wavefront6targetE1EEEvSE_
	.globl	_ZN7rocprim17ROCPRIM_400000_NS6detail17trampoline_kernelINS0_14default_configENS1_35radix_sort_onesweep_config_selectorIdNS0_10empty_typeEEEZZNS1_29radix_sort_onesweep_iterationIS3_Lb0EPdS8_PS5_S9_mNS0_19identity_decomposerENS1_16block_id_wrapperIjLb1EEEEE10hipError_tT1_PNSt15iterator_traitsISE_E10value_typeET2_T3_PNSF_ISK_E10value_typeET4_T5_PSP_SQ_PNS1_23onesweep_lookback_stateEbbT6_jjT7_P12ihipStream_tbENKUlT_T0_SE_SJ_E_clIS8_S8_S9_S9_EEDaSX_SY_SE_SJ_EUlSX_E_NS1_11comp_targetILNS1_3genE8ELNS1_11target_archE1030ELNS1_3gpuE2ELNS1_3repE0EEENS1_47radix_sort_onesweep_sort_config_static_selectorELNS0_4arch9wavefront6targetE1EEEvSE_
	.p2align	8
	.type	_ZN7rocprim17ROCPRIM_400000_NS6detail17trampoline_kernelINS0_14default_configENS1_35radix_sort_onesweep_config_selectorIdNS0_10empty_typeEEEZZNS1_29radix_sort_onesweep_iterationIS3_Lb0EPdS8_PS5_S9_mNS0_19identity_decomposerENS1_16block_id_wrapperIjLb1EEEEE10hipError_tT1_PNSt15iterator_traitsISE_E10value_typeET2_T3_PNSF_ISK_E10value_typeET4_T5_PSP_SQ_PNS1_23onesweep_lookback_stateEbbT6_jjT7_P12ihipStream_tbENKUlT_T0_SE_SJ_E_clIS8_S8_S9_S9_EEDaSX_SY_SE_SJ_EUlSX_E_NS1_11comp_targetILNS1_3genE8ELNS1_11target_archE1030ELNS1_3gpuE2ELNS1_3repE0EEENS1_47radix_sort_onesweep_sort_config_static_selectorELNS0_4arch9wavefront6targetE1EEEvSE_,@function
_ZN7rocprim17ROCPRIM_400000_NS6detail17trampoline_kernelINS0_14default_configENS1_35radix_sort_onesweep_config_selectorIdNS0_10empty_typeEEEZZNS1_29radix_sort_onesweep_iterationIS3_Lb0EPdS8_PS5_S9_mNS0_19identity_decomposerENS1_16block_id_wrapperIjLb1EEEEE10hipError_tT1_PNSt15iterator_traitsISE_E10value_typeET2_T3_PNSF_ISK_E10value_typeET4_T5_PSP_SQ_PNS1_23onesweep_lookback_stateEbbT6_jjT7_P12ihipStream_tbENKUlT_T0_SE_SJ_E_clIS8_S8_S9_S9_EEDaSX_SY_SE_SJ_EUlSX_E_NS1_11comp_targetILNS1_3genE8ELNS1_11target_archE1030ELNS1_3gpuE2ELNS1_3repE0EEENS1_47radix_sort_onesweep_sort_config_static_selectorELNS0_4arch9wavefront6targetE1EEEvSE_: ; @_ZN7rocprim17ROCPRIM_400000_NS6detail17trampoline_kernelINS0_14default_configENS1_35radix_sort_onesweep_config_selectorIdNS0_10empty_typeEEEZZNS1_29radix_sort_onesweep_iterationIS3_Lb0EPdS8_PS5_S9_mNS0_19identity_decomposerENS1_16block_id_wrapperIjLb1EEEEE10hipError_tT1_PNSt15iterator_traitsISE_E10value_typeET2_T3_PNSF_ISK_E10value_typeET4_T5_PSP_SQ_PNS1_23onesweep_lookback_stateEbbT6_jjT7_P12ihipStream_tbENKUlT_T0_SE_SJ_E_clIS8_S8_S9_S9_EEDaSX_SY_SE_SJ_EUlSX_E_NS1_11comp_targetILNS1_3genE8ELNS1_11target_archE1030ELNS1_3gpuE2ELNS1_3repE0EEENS1_47radix_sort_onesweep_sort_config_static_selectorELNS0_4arch9wavefront6targetE1EEEvSE_
; %bb.0:
	.section	.rodata,"a",@progbits
	.p2align	6, 0x0
	.amdhsa_kernel _ZN7rocprim17ROCPRIM_400000_NS6detail17trampoline_kernelINS0_14default_configENS1_35radix_sort_onesweep_config_selectorIdNS0_10empty_typeEEEZZNS1_29radix_sort_onesweep_iterationIS3_Lb0EPdS8_PS5_S9_mNS0_19identity_decomposerENS1_16block_id_wrapperIjLb1EEEEE10hipError_tT1_PNSt15iterator_traitsISE_E10value_typeET2_T3_PNSF_ISK_E10value_typeET4_T5_PSP_SQ_PNS1_23onesweep_lookback_stateEbbT6_jjT7_P12ihipStream_tbENKUlT_T0_SE_SJ_E_clIS8_S8_S9_S9_EEDaSX_SY_SE_SJ_EUlSX_E_NS1_11comp_targetILNS1_3genE8ELNS1_11target_archE1030ELNS1_3gpuE2ELNS1_3repE0EEENS1_47radix_sort_onesweep_sort_config_static_selectorELNS0_4arch9wavefront6targetE1EEEvSE_
		.amdhsa_group_segment_fixed_size 0
		.amdhsa_private_segment_fixed_size 0
		.amdhsa_kernarg_size 88
		.amdhsa_user_sgpr_count 6
		.amdhsa_user_sgpr_private_segment_buffer 1
		.amdhsa_user_sgpr_dispatch_ptr 0
		.amdhsa_user_sgpr_queue_ptr 0
		.amdhsa_user_sgpr_kernarg_segment_ptr 1
		.amdhsa_user_sgpr_dispatch_id 0
		.amdhsa_user_sgpr_flat_scratch_init 0
		.amdhsa_user_sgpr_kernarg_preload_length 0
		.amdhsa_user_sgpr_kernarg_preload_offset 0
		.amdhsa_user_sgpr_private_segment_size 0
		.amdhsa_uses_dynamic_stack 0
		.amdhsa_system_sgpr_private_segment_wavefront_offset 0
		.amdhsa_system_sgpr_workgroup_id_x 1
		.amdhsa_system_sgpr_workgroup_id_y 0
		.amdhsa_system_sgpr_workgroup_id_z 0
		.amdhsa_system_sgpr_workgroup_info 0
		.amdhsa_system_vgpr_workitem_id 0
		.amdhsa_next_free_vgpr 1
		.amdhsa_next_free_sgpr 0
		.amdhsa_accum_offset 4
		.amdhsa_reserve_vcc 0
		.amdhsa_reserve_flat_scratch 0
		.amdhsa_float_round_mode_32 0
		.amdhsa_float_round_mode_16_64 0
		.amdhsa_float_denorm_mode_32 3
		.amdhsa_float_denorm_mode_16_64 3
		.amdhsa_dx10_clamp 1
		.amdhsa_ieee_mode 1
		.amdhsa_fp16_overflow 0
		.amdhsa_tg_split 0
		.amdhsa_exception_fp_ieee_invalid_op 0
		.amdhsa_exception_fp_denorm_src 0
		.amdhsa_exception_fp_ieee_div_zero 0
		.amdhsa_exception_fp_ieee_overflow 0
		.amdhsa_exception_fp_ieee_underflow 0
		.amdhsa_exception_fp_ieee_inexact 0
		.amdhsa_exception_int_div_zero 0
	.end_amdhsa_kernel
	.section	.text._ZN7rocprim17ROCPRIM_400000_NS6detail17trampoline_kernelINS0_14default_configENS1_35radix_sort_onesweep_config_selectorIdNS0_10empty_typeEEEZZNS1_29radix_sort_onesweep_iterationIS3_Lb0EPdS8_PS5_S9_mNS0_19identity_decomposerENS1_16block_id_wrapperIjLb1EEEEE10hipError_tT1_PNSt15iterator_traitsISE_E10value_typeET2_T3_PNSF_ISK_E10value_typeET4_T5_PSP_SQ_PNS1_23onesweep_lookback_stateEbbT6_jjT7_P12ihipStream_tbENKUlT_T0_SE_SJ_E_clIS8_S8_S9_S9_EEDaSX_SY_SE_SJ_EUlSX_E_NS1_11comp_targetILNS1_3genE8ELNS1_11target_archE1030ELNS1_3gpuE2ELNS1_3repE0EEENS1_47radix_sort_onesweep_sort_config_static_selectorELNS0_4arch9wavefront6targetE1EEEvSE_,"axG",@progbits,_ZN7rocprim17ROCPRIM_400000_NS6detail17trampoline_kernelINS0_14default_configENS1_35radix_sort_onesweep_config_selectorIdNS0_10empty_typeEEEZZNS1_29radix_sort_onesweep_iterationIS3_Lb0EPdS8_PS5_S9_mNS0_19identity_decomposerENS1_16block_id_wrapperIjLb1EEEEE10hipError_tT1_PNSt15iterator_traitsISE_E10value_typeET2_T3_PNSF_ISK_E10value_typeET4_T5_PSP_SQ_PNS1_23onesweep_lookback_stateEbbT6_jjT7_P12ihipStream_tbENKUlT_T0_SE_SJ_E_clIS8_S8_S9_S9_EEDaSX_SY_SE_SJ_EUlSX_E_NS1_11comp_targetILNS1_3genE8ELNS1_11target_archE1030ELNS1_3gpuE2ELNS1_3repE0EEENS1_47radix_sort_onesweep_sort_config_static_selectorELNS0_4arch9wavefront6targetE1EEEvSE_,comdat
.Lfunc_end1380:
	.size	_ZN7rocprim17ROCPRIM_400000_NS6detail17trampoline_kernelINS0_14default_configENS1_35radix_sort_onesweep_config_selectorIdNS0_10empty_typeEEEZZNS1_29radix_sort_onesweep_iterationIS3_Lb0EPdS8_PS5_S9_mNS0_19identity_decomposerENS1_16block_id_wrapperIjLb1EEEEE10hipError_tT1_PNSt15iterator_traitsISE_E10value_typeET2_T3_PNSF_ISK_E10value_typeET4_T5_PSP_SQ_PNS1_23onesweep_lookback_stateEbbT6_jjT7_P12ihipStream_tbENKUlT_T0_SE_SJ_E_clIS8_S8_S9_S9_EEDaSX_SY_SE_SJ_EUlSX_E_NS1_11comp_targetILNS1_3genE8ELNS1_11target_archE1030ELNS1_3gpuE2ELNS1_3repE0EEENS1_47radix_sort_onesweep_sort_config_static_selectorELNS0_4arch9wavefront6targetE1EEEvSE_, .Lfunc_end1380-_ZN7rocprim17ROCPRIM_400000_NS6detail17trampoline_kernelINS0_14default_configENS1_35radix_sort_onesweep_config_selectorIdNS0_10empty_typeEEEZZNS1_29radix_sort_onesweep_iterationIS3_Lb0EPdS8_PS5_S9_mNS0_19identity_decomposerENS1_16block_id_wrapperIjLb1EEEEE10hipError_tT1_PNSt15iterator_traitsISE_E10value_typeET2_T3_PNSF_ISK_E10value_typeET4_T5_PSP_SQ_PNS1_23onesweep_lookback_stateEbbT6_jjT7_P12ihipStream_tbENKUlT_T0_SE_SJ_E_clIS8_S8_S9_S9_EEDaSX_SY_SE_SJ_EUlSX_E_NS1_11comp_targetILNS1_3genE8ELNS1_11target_archE1030ELNS1_3gpuE2ELNS1_3repE0EEENS1_47radix_sort_onesweep_sort_config_static_selectorELNS0_4arch9wavefront6targetE1EEEvSE_
                                        ; -- End function
	.section	.AMDGPU.csdata,"",@progbits
; Kernel info:
; codeLenInByte = 0
; NumSgprs: 4
; NumVgprs: 0
; NumAgprs: 0
; TotalNumVgprs: 0
; ScratchSize: 0
; MemoryBound: 0
; FloatMode: 240
; IeeeMode: 1
; LDSByteSize: 0 bytes/workgroup (compile time only)
; SGPRBlocks: 0
; VGPRBlocks: 0
; NumSGPRsForWavesPerEU: 4
; NumVGPRsForWavesPerEU: 1
; AccumOffset: 4
; Occupancy: 8
; WaveLimiterHint : 0
; COMPUTE_PGM_RSRC2:SCRATCH_EN: 0
; COMPUTE_PGM_RSRC2:USER_SGPR: 6
; COMPUTE_PGM_RSRC2:TRAP_HANDLER: 0
; COMPUTE_PGM_RSRC2:TGID_X_EN: 1
; COMPUTE_PGM_RSRC2:TGID_Y_EN: 0
; COMPUTE_PGM_RSRC2:TGID_Z_EN: 0
; COMPUTE_PGM_RSRC2:TIDIG_COMP_CNT: 0
; COMPUTE_PGM_RSRC3_GFX90A:ACCUM_OFFSET: 0
; COMPUTE_PGM_RSRC3_GFX90A:TG_SPLIT: 0
	.section	.text._ZN7rocprim17ROCPRIM_400000_NS6detail17trampoline_kernelINS0_14default_configENS1_35radix_sort_onesweep_config_selectorIdNS0_10empty_typeEEEZZNS1_29radix_sort_onesweep_iterationIS3_Lb0EPdS8_PS5_S9_mNS0_19identity_decomposerENS1_16block_id_wrapperIjLb0EEEEE10hipError_tT1_PNSt15iterator_traitsISE_E10value_typeET2_T3_PNSF_ISK_E10value_typeET4_T5_PSP_SQ_PNS1_23onesweep_lookback_stateEbbT6_jjT7_P12ihipStream_tbENKUlT_T0_SE_SJ_E_clIS8_S8_S9_S9_EEDaSX_SY_SE_SJ_EUlSX_E_NS1_11comp_targetILNS1_3genE0ELNS1_11target_archE4294967295ELNS1_3gpuE0ELNS1_3repE0EEENS1_47radix_sort_onesweep_sort_config_static_selectorELNS0_4arch9wavefront6targetE1EEEvSE_,"axG",@progbits,_ZN7rocprim17ROCPRIM_400000_NS6detail17trampoline_kernelINS0_14default_configENS1_35radix_sort_onesweep_config_selectorIdNS0_10empty_typeEEEZZNS1_29radix_sort_onesweep_iterationIS3_Lb0EPdS8_PS5_S9_mNS0_19identity_decomposerENS1_16block_id_wrapperIjLb0EEEEE10hipError_tT1_PNSt15iterator_traitsISE_E10value_typeET2_T3_PNSF_ISK_E10value_typeET4_T5_PSP_SQ_PNS1_23onesweep_lookback_stateEbbT6_jjT7_P12ihipStream_tbENKUlT_T0_SE_SJ_E_clIS8_S8_S9_S9_EEDaSX_SY_SE_SJ_EUlSX_E_NS1_11comp_targetILNS1_3genE0ELNS1_11target_archE4294967295ELNS1_3gpuE0ELNS1_3repE0EEENS1_47radix_sort_onesweep_sort_config_static_selectorELNS0_4arch9wavefront6targetE1EEEvSE_,comdat
	.protected	_ZN7rocprim17ROCPRIM_400000_NS6detail17trampoline_kernelINS0_14default_configENS1_35radix_sort_onesweep_config_selectorIdNS0_10empty_typeEEEZZNS1_29radix_sort_onesweep_iterationIS3_Lb0EPdS8_PS5_S9_mNS0_19identity_decomposerENS1_16block_id_wrapperIjLb0EEEEE10hipError_tT1_PNSt15iterator_traitsISE_E10value_typeET2_T3_PNSF_ISK_E10value_typeET4_T5_PSP_SQ_PNS1_23onesweep_lookback_stateEbbT6_jjT7_P12ihipStream_tbENKUlT_T0_SE_SJ_E_clIS8_S8_S9_S9_EEDaSX_SY_SE_SJ_EUlSX_E_NS1_11comp_targetILNS1_3genE0ELNS1_11target_archE4294967295ELNS1_3gpuE0ELNS1_3repE0EEENS1_47radix_sort_onesweep_sort_config_static_selectorELNS0_4arch9wavefront6targetE1EEEvSE_ ; -- Begin function _ZN7rocprim17ROCPRIM_400000_NS6detail17trampoline_kernelINS0_14default_configENS1_35radix_sort_onesweep_config_selectorIdNS0_10empty_typeEEEZZNS1_29radix_sort_onesweep_iterationIS3_Lb0EPdS8_PS5_S9_mNS0_19identity_decomposerENS1_16block_id_wrapperIjLb0EEEEE10hipError_tT1_PNSt15iterator_traitsISE_E10value_typeET2_T3_PNSF_ISK_E10value_typeET4_T5_PSP_SQ_PNS1_23onesweep_lookback_stateEbbT6_jjT7_P12ihipStream_tbENKUlT_T0_SE_SJ_E_clIS8_S8_S9_S9_EEDaSX_SY_SE_SJ_EUlSX_E_NS1_11comp_targetILNS1_3genE0ELNS1_11target_archE4294967295ELNS1_3gpuE0ELNS1_3repE0EEENS1_47radix_sort_onesweep_sort_config_static_selectorELNS0_4arch9wavefront6targetE1EEEvSE_
	.globl	_ZN7rocprim17ROCPRIM_400000_NS6detail17trampoline_kernelINS0_14default_configENS1_35radix_sort_onesweep_config_selectorIdNS0_10empty_typeEEEZZNS1_29radix_sort_onesweep_iterationIS3_Lb0EPdS8_PS5_S9_mNS0_19identity_decomposerENS1_16block_id_wrapperIjLb0EEEEE10hipError_tT1_PNSt15iterator_traitsISE_E10value_typeET2_T3_PNSF_ISK_E10value_typeET4_T5_PSP_SQ_PNS1_23onesweep_lookback_stateEbbT6_jjT7_P12ihipStream_tbENKUlT_T0_SE_SJ_E_clIS8_S8_S9_S9_EEDaSX_SY_SE_SJ_EUlSX_E_NS1_11comp_targetILNS1_3genE0ELNS1_11target_archE4294967295ELNS1_3gpuE0ELNS1_3repE0EEENS1_47radix_sort_onesweep_sort_config_static_selectorELNS0_4arch9wavefront6targetE1EEEvSE_
	.p2align	8
	.type	_ZN7rocprim17ROCPRIM_400000_NS6detail17trampoline_kernelINS0_14default_configENS1_35radix_sort_onesweep_config_selectorIdNS0_10empty_typeEEEZZNS1_29radix_sort_onesweep_iterationIS3_Lb0EPdS8_PS5_S9_mNS0_19identity_decomposerENS1_16block_id_wrapperIjLb0EEEEE10hipError_tT1_PNSt15iterator_traitsISE_E10value_typeET2_T3_PNSF_ISK_E10value_typeET4_T5_PSP_SQ_PNS1_23onesweep_lookback_stateEbbT6_jjT7_P12ihipStream_tbENKUlT_T0_SE_SJ_E_clIS8_S8_S9_S9_EEDaSX_SY_SE_SJ_EUlSX_E_NS1_11comp_targetILNS1_3genE0ELNS1_11target_archE4294967295ELNS1_3gpuE0ELNS1_3repE0EEENS1_47radix_sort_onesweep_sort_config_static_selectorELNS0_4arch9wavefront6targetE1EEEvSE_,@function
_ZN7rocprim17ROCPRIM_400000_NS6detail17trampoline_kernelINS0_14default_configENS1_35radix_sort_onesweep_config_selectorIdNS0_10empty_typeEEEZZNS1_29radix_sort_onesweep_iterationIS3_Lb0EPdS8_PS5_S9_mNS0_19identity_decomposerENS1_16block_id_wrapperIjLb0EEEEE10hipError_tT1_PNSt15iterator_traitsISE_E10value_typeET2_T3_PNSF_ISK_E10value_typeET4_T5_PSP_SQ_PNS1_23onesweep_lookback_stateEbbT6_jjT7_P12ihipStream_tbENKUlT_T0_SE_SJ_E_clIS8_S8_S9_S9_EEDaSX_SY_SE_SJ_EUlSX_E_NS1_11comp_targetILNS1_3genE0ELNS1_11target_archE4294967295ELNS1_3gpuE0ELNS1_3repE0EEENS1_47radix_sort_onesweep_sort_config_static_selectorELNS0_4arch9wavefront6targetE1EEEvSE_: ; @_ZN7rocprim17ROCPRIM_400000_NS6detail17trampoline_kernelINS0_14default_configENS1_35radix_sort_onesweep_config_selectorIdNS0_10empty_typeEEEZZNS1_29radix_sort_onesweep_iterationIS3_Lb0EPdS8_PS5_S9_mNS0_19identity_decomposerENS1_16block_id_wrapperIjLb0EEEEE10hipError_tT1_PNSt15iterator_traitsISE_E10value_typeET2_T3_PNSF_ISK_E10value_typeET4_T5_PSP_SQ_PNS1_23onesweep_lookback_stateEbbT6_jjT7_P12ihipStream_tbENKUlT_T0_SE_SJ_E_clIS8_S8_S9_S9_EEDaSX_SY_SE_SJ_EUlSX_E_NS1_11comp_targetILNS1_3genE0ELNS1_11target_archE4294967295ELNS1_3gpuE0ELNS1_3repE0EEENS1_47radix_sort_onesweep_sort_config_static_selectorELNS0_4arch9wavefront6targetE1EEEvSE_
; %bb.0:
	.section	.rodata,"a",@progbits
	.p2align	6, 0x0
	.amdhsa_kernel _ZN7rocprim17ROCPRIM_400000_NS6detail17trampoline_kernelINS0_14default_configENS1_35radix_sort_onesweep_config_selectorIdNS0_10empty_typeEEEZZNS1_29radix_sort_onesweep_iterationIS3_Lb0EPdS8_PS5_S9_mNS0_19identity_decomposerENS1_16block_id_wrapperIjLb0EEEEE10hipError_tT1_PNSt15iterator_traitsISE_E10value_typeET2_T3_PNSF_ISK_E10value_typeET4_T5_PSP_SQ_PNS1_23onesweep_lookback_stateEbbT6_jjT7_P12ihipStream_tbENKUlT_T0_SE_SJ_E_clIS8_S8_S9_S9_EEDaSX_SY_SE_SJ_EUlSX_E_NS1_11comp_targetILNS1_3genE0ELNS1_11target_archE4294967295ELNS1_3gpuE0ELNS1_3repE0EEENS1_47radix_sort_onesweep_sort_config_static_selectorELNS0_4arch9wavefront6targetE1EEEvSE_
		.amdhsa_group_segment_fixed_size 0
		.amdhsa_private_segment_fixed_size 0
		.amdhsa_kernarg_size 88
		.amdhsa_user_sgpr_count 6
		.amdhsa_user_sgpr_private_segment_buffer 1
		.amdhsa_user_sgpr_dispatch_ptr 0
		.amdhsa_user_sgpr_queue_ptr 0
		.amdhsa_user_sgpr_kernarg_segment_ptr 1
		.amdhsa_user_sgpr_dispatch_id 0
		.amdhsa_user_sgpr_flat_scratch_init 0
		.amdhsa_user_sgpr_kernarg_preload_length 0
		.amdhsa_user_sgpr_kernarg_preload_offset 0
		.amdhsa_user_sgpr_private_segment_size 0
		.amdhsa_uses_dynamic_stack 0
		.amdhsa_system_sgpr_private_segment_wavefront_offset 0
		.amdhsa_system_sgpr_workgroup_id_x 1
		.amdhsa_system_sgpr_workgroup_id_y 0
		.amdhsa_system_sgpr_workgroup_id_z 0
		.amdhsa_system_sgpr_workgroup_info 0
		.amdhsa_system_vgpr_workitem_id 0
		.amdhsa_next_free_vgpr 1
		.amdhsa_next_free_sgpr 0
		.amdhsa_accum_offset 4
		.amdhsa_reserve_vcc 0
		.amdhsa_reserve_flat_scratch 0
		.amdhsa_float_round_mode_32 0
		.amdhsa_float_round_mode_16_64 0
		.amdhsa_float_denorm_mode_32 3
		.amdhsa_float_denorm_mode_16_64 3
		.amdhsa_dx10_clamp 1
		.amdhsa_ieee_mode 1
		.amdhsa_fp16_overflow 0
		.amdhsa_tg_split 0
		.amdhsa_exception_fp_ieee_invalid_op 0
		.amdhsa_exception_fp_denorm_src 0
		.amdhsa_exception_fp_ieee_div_zero 0
		.amdhsa_exception_fp_ieee_overflow 0
		.amdhsa_exception_fp_ieee_underflow 0
		.amdhsa_exception_fp_ieee_inexact 0
		.amdhsa_exception_int_div_zero 0
	.end_amdhsa_kernel
	.section	.text._ZN7rocprim17ROCPRIM_400000_NS6detail17trampoline_kernelINS0_14default_configENS1_35radix_sort_onesweep_config_selectorIdNS0_10empty_typeEEEZZNS1_29radix_sort_onesweep_iterationIS3_Lb0EPdS8_PS5_S9_mNS0_19identity_decomposerENS1_16block_id_wrapperIjLb0EEEEE10hipError_tT1_PNSt15iterator_traitsISE_E10value_typeET2_T3_PNSF_ISK_E10value_typeET4_T5_PSP_SQ_PNS1_23onesweep_lookback_stateEbbT6_jjT7_P12ihipStream_tbENKUlT_T0_SE_SJ_E_clIS8_S8_S9_S9_EEDaSX_SY_SE_SJ_EUlSX_E_NS1_11comp_targetILNS1_3genE0ELNS1_11target_archE4294967295ELNS1_3gpuE0ELNS1_3repE0EEENS1_47radix_sort_onesweep_sort_config_static_selectorELNS0_4arch9wavefront6targetE1EEEvSE_,"axG",@progbits,_ZN7rocprim17ROCPRIM_400000_NS6detail17trampoline_kernelINS0_14default_configENS1_35radix_sort_onesweep_config_selectorIdNS0_10empty_typeEEEZZNS1_29radix_sort_onesweep_iterationIS3_Lb0EPdS8_PS5_S9_mNS0_19identity_decomposerENS1_16block_id_wrapperIjLb0EEEEE10hipError_tT1_PNSt15iterator_traitsISE_E10value_typeET2_T3_PNSF_ISK_E10value_typeET4_T5_PSP_SQ_PNS1_23onesweep_lookback_stateEbbT6_jjT7_P12ihipStream_tbENKUlT_T0_SE_SJ_E_clIS8_S8_S9_S9_EEDaSX_SY_SE_SJ_EUlSX_E_NS1_11comp_targetILNS1_3genE0ELNS1_11target_archE4294967295ELNS1_3gpuE0ELNS1_3repE0EEENS1_47radix_sort_onesweep_sort_config_static_selectorELNS0_4arch9wavefront6targetE1EEEvSE_,comdat
.Lfunc_end1381:
	.size	_ZN7rocprim17ROCPRIM_400000_NS6detail17trampoline_kernelINS0_14default_configENS1_35radix_sort_onesweep_config_selectorIdNS0_10empty_typeEEEZZNS1_29radix_sort_onesweep_iterationIS3_Lb0EPdS8_PS5_S9_mNS0_19identity_decomposerENS1_16block_id_wrapperIjLb0EEEEE10hipError_tT1_PNSt15iterator_traitsISE_E10value_typeET2_T3_PNSF_ISK_E10value_typeET4_T5_PSP_SQ_PNS1_23onesweep_lookback_stateEbbT6_jjT7_P12ihipStream_tbENKUlT_T0_SE_SJ_E_clIS8_S8_S9_S9_EEDaSX_SY_SE_SJ_EUlSX_E_NS1_11comp_targetILNS1_3genE0ELNS1_11target_archE4294967295ELNS1_3gpuE0ELNS1_3repE0EEENS1_47radix_sort_onesweep_sort_config_static_selectorELNS0_4arch9wavefront6targetE1EEEvSE_, .Lfunc_end1381-_ZN7rocprim17ROCPRIM_400000_NS6detail17trampoline_kernelINS0_14default_configENS1_35radix_sort_onesweep_config_selectorIdNS0_10empty_typeEEEZZNS1_29radix_sort_onesweep_iterationIS3_Lb0EPdS8_PS5_S9_mNS0_19identity_decomposerENS1_16block_id_wrapperIjLb0EEEEE10hipError_tT1_PNSt15iterator_traitsISE_E10value_typeET2_T3_PNSF_ISK_E10value_typeET4_T5_PSP_SQ_PNS1_23onesweep_lookback_stateEbbT6_jjT7_P12ihipStream_tbENKUlT_T0_SE_SJ_E_clIS8_S8_S9_S9_EEDaSX_SY_SE_SJ_EUlSX_E_NS1_11comp_targetILNS1_3genE0ELNS1_11target_archE4294967295ELNS1_3gpuE0ELNS1_3repE0EEENS1_47radix_sort_onesweep_sort_config_static_selectorELNS0_4arch9wavefront6targetE1EEEvSE_
                                        ; -- End function
	.section	.AMDGPU.csdata,"",@progbits
; Kernel info:
; codeLenInByte = 0
; NumSgprs: 4
; NumVgprs: 0
; NumAgprs: 0
; TotalNumVgprs: 0
; ScratchSize: 0
; MemoryBound: 0
; FloatMode: 240
; IeeeMode: 1
; LDSByteSize: 0 bytes/workgroup (compile time only)
; SGPRBlocks: 0
; VGPRBlocks: 0
; NumSGPRsForWavesPerEU: 4
; NumVGPRsForWavesPerEU: 1
; AccumOffset: 4
; Occupancy: 8
; WaveLimiterHint : 0
; COMPUTE_PGM_RSRC2:SCRATCH_EN: 0
; COMPUTE_PGM_RSRC2:USER_SGPR: 6
; COMPUTE_PGM_RSRC2:TRAP_HANDLER: 0
; COMPUTE_PGM_RSRC2:TGID_X_EN: 1
; COMPUTE_PGM_RSRC2:TGID_Y_EN: 0
; COMPUTE_PGM_RSRC2:TGID_Z_EN: 0
; COMPUTE_PGM_RSRC2:TIDIG_COMP_CNT: 0
; COMPUTE_PGM_RSRC3_GFX90A:ACCUM_OFFSET: 0
; COMPUTE_PGM_RSRC3_GFX90A:TG_SPLIT: 0
	.section	.text._ZN7rocprim17ROCPRIM_400000_NS6detail17trampoline_kernelINS0_14default_configENS1_35radix_sort_onesweep_config_selectorIdNS0_10empty_typeEEEZZNS1_29radix_sort_onesweep_iterationIS3_Lb0EPdS8_PS5_S9_mNS0_19identity_decomposerENS1_16block_id_wrapperIjLb0EEEEE10hipError_tT1_PNSt15iterator_traitsISE_E10value_typeET2_T3_PNSF_ISK_E10value_typeET4_T5_PSP_SQ_PNS1_23onesweep_lookback_stateEbbT6_jjT7_P12ihipStream_tbENKUlT_T0_SE_SJ_E_clIS8_S8_S9_S9_EEDaSX_SY_SE_SJ_EUlSX_E_NS1_11comp_targetILNS1_3genE6ELNS1_11target_archE950ELNS1_3gpuE13ELNS1_3repE0EEENS1_47radix_sort_onesweep_sort_config_static_selectorELNS0_4arch9wavefront6targetE1EEEvSE_,"axG",@progbits,_ZN7rocprim17ROCPRIM_400000_NS6detail17trampoline_kernelINS0_14default_configENS1_35radix_sort_onesweep_config_selectorIdNS0_10empty_typeEEEZZNS1_29radix_sort_onesweep_iterationIS3_Lb0EPdS8_PS5_S9_mNS0_19identity_decomposerENS1_16block_id_wrapperIjLb0EEEEE10hipError_tT1_PNSt15iterator_traitsISE_E10value_typeET2_T3_PNSF_ISK_E10value_typeET4_T5_PSP_SQ_PNS1_23onesweep_lookback_stateEbbT6_jjT7_P12ihipStream_tbENKUlT_T0_SE_SJ_E_clIS8_S8_S9_S9_EEDaSX_SY_SE_SJ_EUlSX_E_NS1_11comp_targetILNS1_3genE6ELNS1_11target_archE950ELNS1_3gpuE13ELNS1_3repE0EEENS1_47radix_sort_onesweep_sort_config_static_selectorELNS0_4arch9wavefront6targetE1EEEvSE_,comdat
	.protected	_ZN7rocprim17ROCPRIM_400000_NS6detail17trampoline_kernelINS0_14default_configENS1_35radix_sort_onesweep_config_selectorIdNS0_10empty_typeEEEZZNS1_29radix_sort_onesweep_iterationIS3_Lb0EPdS8_PS5_S9_mNS0_19identity_decomposerENS1_16block_id_wrapperIjLb0EEEEE10hipError_tT1_PNSt15iterator_traitsISE_E10value_typeET2_T3_PNSF_ISK_E10value_typeET4_T5_PSP_SQ_PNS1_23onesweep_lookback_stateEbbT6_jjT7_P12ihipStream_tbENKUlT_T0_SE_SJ_E_clIS8_S8_S9_S9_EEDaSX_SY_SE_SJ_EUlSX_E_NS1_11comp_targetILNS1_3genE6ELNS1_11target_archE950ELNS1_3gpuE13ELNS1_3repE0EEENS1_47radix_sort_onesweep_sort_config_static_selectorELNS0_4arch9wavefront6targetE1EEEvSE_ ; -- Begin function _ZN7rocprim17ROCPRIM_400000_NS6detail17trampoline_kernelINS0_14default_configENS1_35radix_sort_onesweep_config_selectorIdNS0_10empty_typeEEEZZNS1_29radix_sort_onesweep_iterationIS3_Lb0EPdS8_PS5_S9_mNS0_19identity_decomposerENS1_16block_id_wrapperIjLb0EEEEE10hipError_tT1_PNSt15iterator_traitsISE_E10value_typeET2_T3_PNSF_ISK_E10value_typeET4_T5_PSP_SQ_PNS1_23onesweep_lookback_stateEbbT6_jjT7_P12ihipStream_tbENKUlT_T0_SE_SJ_E_clIS8_S8_S9_S9_EEDaSX_SY_SE_SJ_EUlSX_E_NS1_11comp_targetILNS1_3genE6ELNS1_11target_archE950ELNS1_3gpuE13ELNS1_3repE0EEENS1_47radix_sort_onesweep_sort_config_static_selectorELNS0_4arch9wavefront6targetE1EEEvSE_
	.globl	_ZN7rocprim17ROCPRIM_400000_NS6detail17trampoline_kernelINS0_14default_configENS1_35radix_sort_onesweep_config_selectorIdNS0_10empty_typeEEEZZNS1_29radix_sort_onesweep_iterationIS3_Lb0EPdS8_PS5_S9_mNS0_19identity_decomposerENS1_16block_id_wrapperIjLb0EEEEE10hipError_tT1_PNSt15iterator_traitsISE_E10value_typeET2_T3_PNSF_ISK_E10value_typeET4_T5_PSP_SQ_PNS1_23onesweep_lookback_stateEbbT6_jjT7_P12ihipStream_tbENKUlT_T0_SE_SJ_E_clIS8_S8_S9_S9_EEDaSX_SY_SE_SJ_EUlSX_E_NS1_11comp_targetILNS1_3genE6ELNS1_11target_archE950ELNS1_3gpuE13ELNS1_3repE0EEENS1_47radix_sort_onesweep_sort_config_static_selectorELNS0_4arch9wavefront6targetE1EEEvSE_
	.p2align	8
	.type	_ZN7rocprim17ROCPRIM_400000_NS6detail17trampoline_kernelINS0_14default_configENS1_35radix_sort_onesweep_config_selectorIdNS0_10empty_typeEEEZZNS1_29radix_sort_onesweep_iterationIS3_Lb0EPdS8_PS5_S9_mNS0_19identity_decomposerENS1_16block_id_wrapperIjLb0EEEEE10hipError_tT1_PNSt15iterator_traitsISE_E10value_typeET2_T3_PNSF_ISK_E10value_typeET4_T5_PSP_SQ_PNS1_23onesweep_lookback_stateEbbT6_jjT7_P12ihipStream_tbENKUlT_T0_SE_SJ_E_clIS8_S8_S9_S9_EEDaSX_SY_SE_SJ_EUlSX_E_NS1_11comp_targetILNS1_3genE6ELNS1_11target_archE950ELNS1_3gpuE13ELNS1_3repE0EEENS1_47radix_sort_onesweep_sort_config_static_selectorELNS0_4arch9wavefront6targetE1EEEvSE_,@function
_ZN7rocprim17ROCPRIM_400000_NS6detail17trampoline_kernelINS0_14default_configENS1_35radix_sort_onesweep_config_selectorIdNS0_10empty_typeEEEZZNS1_29radix_sort_onesweep_iterationIS3_Lb0EPdS8_PS5_S9_mNS0_19identity_decomposerENS1_16block_id_wrapperIjLb0EEEEE10hipError_tT1_PNSt15iterator_traitsISE_E10value_typeET2_T3_PNSF_ISK_E10value_typeET4_T5_PSP_SQ_PNS1_23onesweep_lookback_stateEbbT6_jjT7_P12ihipStream_tbENKUlT_T0_SE_SJ_E_clIS8_S8_S9_S9_EEDaSX_SY_SE_SJ_EUlSX_E_NS1_11comp_targetILNS1_3genE6ELNS1_11target_archE950ELNS1_3gpuE13ELNS1_3repE0EEENS1_47radix_sort_onesweep_sort_config_static_selectorELNS0_4arch9wavefront6targetE1EEEvSE_: ; @_ZN7rocprim17ROCPRIM_400000_NS6detail17trampoline_kernelINS0_14default_configENS1_35radix_sort_onesweep_config_selectorIdNS0_10empty_typeEEEZZNS1_29radix_sort_onesweep_iterationIS3_Lb0EPdS8_PS5_S9_mNS0_19identity_decomposerENS1_16block_id_wrapperIjLb0EEEEE10hipError_tT1_PNSt15iterator_traitsISE_E10value_typeET2_T3_PNSF_ISK_E10value_typeET4_T5_PSP_SQ_PNS1_23onesweep_lookback_stateEbbT6_jjT7_P12ihipStream_tbENKUlT_T0_SE_SJ_E_clIS8_S8_S9_S9_EEDaSX_SY_SE_SJ_EUlSX_E_NS1_11comp_targetILNS1_3genE6ELNS1_11target_archE950ELNS1_3gpuE13ELNS1_3repE0EEENS1_47radix_sort_onesweep_sort_config_static_selectorELNS0_4arch9wavefront6targetE1EEEvSE_
; %bb.0:
	.section	.rodata,"a",@progbits
	.p2align	6, 0x0
	.amdhsa_kernel _ZN7rocprim17ROCPRIM_400000_NS6detail17trampoline_kernelINS0_14default_configENS1_35radix_sort_onesweep_config_selectorIdNS0_10empty_typeEEEZZNS1_29radix_sort_onesweep_iterationIS3_Lb0EPdS8_PS5_S9_mNS0_19identity_decomposerENS1_16block_id_wrapperIjLb0EEEEE10hipError_tT1_PNSt15iterator_traitsISE_E10value_typeET2_T3_PNSF_ISK_E10value_typeET4_T5_PSP_SQ_PNS1_23onesweep_lookback_stateEbbT6_jjT7_P12ihipStream_tbENKUlT_T0_SE_SJ_E_clIS8_S8_S9_S9_EEDaSX_SY_SE_SJ_EUlSX_E_NS1_11comp_targetILNS1_3genE6ELNS1_11target_archE950ELNS1_3gpuE13ELNS1_3repE0EEENS1_47radix_sort_onesweep_sort_config_static_selectorELNS0_4arch9wavefront6targetE1EEEvSE_
		.amdhsa_group_segment_fixed_size 0
		.amdhsa_private_segment_fixed_size 0
		.amdhsa_kernarg_size 88
		.amdhsa_user_sgpr_count 6
		.amdhsa_user_sgpr_private_segment_buffer 1
		.amdhsa_user_sgpr_dispatch_ptr 0
		.amdhsa_user_sgpr_queue_ptr 0
		.amdhsa_user_sgpr_kernarg_segment_ptr 1
		.amdhsa_user_sgpr_dispatch_id 0
		.amdhsa_user_sgpr_flat_scratch_init 0
		.amdhsa_user_sgpr_kernarg_preload_length 0
		.amdhsa_user_sgpr_kernarg_preload_offset 0
		.amdhsa_user_sgpr_private_segment_size 0
		.amdhsa_uses_dynamic_stack 0
		.amdhsa_system_sgpr_private_segment_wavefront_offset 0
		.amdhsa_system_sgpr_workgroup_id_x 1
		.amdhsa_system_sgpr_workgroup_id_y 0
		.amdhsa_system_sgpr_workgroup_id_z 0
		.amdhsa_system_sgpr_workgroup_info 0
		.amdhsa_system_vgpr_workitem_id 0
		.amdhsa_next_free_vgpr 1
		.amdhsa_next_free_sgpr 0
		.amdhsa_accum_offset 4
		.amdhsa_reserve_vcc 0
		.amdhsa_reserve_flat_scratch 0
		.amdhsa_float_round_mode_32 0
		.amdhsa_float_round_mode_16_64 0
		.amdhsa_float_denorm_mode_32 3
		.amdhsa_float_denorm_mode_16_64 3
		.amdhsa_dx10_clamp 1
		.amdhsa_ieee_mode 1
		.amdhsa_fp16_overflow 0
		.amdhsa_tg_split 0
		.amdhsa_exception_fp_ieee_invalid_op 0
		.amdhsa_exception_fp_denorm_src 0
		.amdhsa_exception_fp_ieee_div_zero 0
		.amdhsa_exception_fp_ieee_overflow 0
		.amdhsa_exception_fp_ieee_underflow 0
		.amdhsa_exception_fp_ieee_inexact 0
		.amdhsa_exception_int_div_zero 0
	.end_amdhsa_kernel
	.section	.text._ZN7rocprim17ROCPRIM_400000_NS6detail17trampoline_kernelINS0_14default_configENS1_35radix_sort_onesweep_config_selectorIdNS0_10empty_typeEEEZZNS1_29radix_sort_onesweep_iterationIS3_Lb0EPdS8_PS5_S9_mNS0_19identity_decomposerENS1_16block_id_wrapperIjLb0EEEEE10hipError_tT1_PNSt15iterator_traitsISE_E10value_typeET2_T3_PNSF_ISK_E10value_typeET4_T5_PSP_SQ_PNS1_23onesweep_lookback_stateEbbT6_jjT7_P12ihipStream_tbENKUlT_T0_SE_SJ_E_clIS8_S8_S9_S9_EEDaSX_SY_SE_SJ_EUlSX_E_NS1_11comp_targetILNS1_3genE6ELNS1_11target_archE950ELNS1_3gpuE13ELNS1_3repE0EEENS1_47radix_sort_onesweep_sort_config_static_selectorELNS0_4arch9wavefront6targetE1EEEvSE_,"axG",@progbits,_ZN7rocprim17ROCPRIM_400000_NS6detail17trampoline_kernelINS0_14default_configENS1_35radix_sort_onesweep_config_selectorIdNS0_10empty_typeEEEZZNS1_29radix_sort_onesweep_iterationIS3_Lb0EPdS8_PS5_S9_mNS0_19identity_decomposerENS1_16block_id_wrapperIjLb0EEEEE10hipError_tT1_PNSt15iterator_traitsISE_E10value_typeET2_T3_PNSF_ISK_E10value_typeET4_T5_PSP_SQ_PNS1_23onesweep_lookback_stateEbbT6_jjT7_P12ihipStream_tbENKUlT_T0_SE_SJ_E_clIS8_S8_S9_S9_EEDaSX_SY_SE_SJ_EUlSX_E_NS1_11comp_targetILNS1_3genE6ELNS1_11target_archE950ELNS1_3gpuE13ELNS1_3repE0EEENS1_47radix_sort_onesweep_sort_config_static_selectorELNS0_4arch9wavefront6targetE1EEEvSE_,comdat
.Lfunc_end1382:
	.size	_ZN7rocprim17ROCPRIM_400000_NS6detail17trampoline_kernelINS0_14default_configENS1_35radix_sort_onesweep_config_selectorIdNS0_10empty_typeEEEZZNS1_29radix_sort_onesweep_iterationIS3_Lb0EPdS8_PS5_S9_mNS0_19identity_decomposerENS1_16block_id_wrapperIjLb0EEEEE10hipError_tT1_PNSt15iterator_traitsISE_E10value_typeET2_T3_PNSF_ISK_E10value_typeET4_T5_PSP_SQ_PNS1_23onesweep_lookback_stateEbbT6_jjT7_P12ihipStream_tbENKUlT_T0_SE_SJ_E_clIS8_S8_S9_S9_EEDaSX_SY_SE_SJ_EUlSX_E_NS1_11comp_targetILNS1_3genE6ELNS1_11target_archE950ELNS1_3gpuE13ELNS1_3repE0EEENS1_47radix_sort_onesweep_sort_config_static_selectorELNS0_4arch9wavefront6targetE1EEEvSE_, .Lfunc_end1382-_ZN7rocprim17ROCPRIM_400000_NS6detail17trampoline_kernelINS0_14default_configENS1_35radix_sort_onesweep_config_selectorIdNS0_10empty_typeEEEZZNS1_29radix_sort_onesweep_iterationIS3_Lb0EPdS8_PS5_S9_mNS0_19identity_decomposerENS1_16block_id_wrapperIjLb0EEEEE10hipError_tT1_PNSt15iterator_traitsISE_E10value_typeET2_T3_PNSF_ISK_E10value_typeET4_T5_PSP_SQ_PNS1_23onesweep_lookback_stateEbbT6_jjT7_P12ihipStream_tbENKUlT_T0_SE_SJ_E_clIS8_S8_S9_S9_EEDaSX_SY_SE_SJ_EUlSX_E_NS1_11comp_targetILNS1_3genE6ELNS1_11target_archE950ELNS1_3gpuE13ELNS1_3repE0EEENS1_47radix_sort_onesweep_sort_config_static_selectorELNS0_4arch9wavefront6targetE1EEEvSE_
                                        ; -- End function
	.section	.AMDGPU.csdata,"",@progbits
; Kernel info:
; codeLenInByte = 0
; NumSgprs: 4
; NumVgprs: 0
; NumAgprs: 0
; TotalNumVgprs: 0
; ScratchSize: 0
; MemoryBound: 0
; FloatMode: 240
; IeeeMode: 1
; LDSByteSize: 0 bytes/workgroup (compile time only)
; SGPRBlocks: 0
; VGPRBlocks: 0
; NumSGPRsForWavesPerEU: 4
; NumVGPRsForWavesPerEU: 1
; AccumOffset: 4
; Occupancy: 8
; WaveLimiterHint : 0
; COMPUTE_PGM_RSRC2:SCRATCH_EN: 0
; COMPUTE_PGM_RSRC2:USER_SGPR: 6
; COMPUTE_PGM_RSRC2:TRAP_HANDLER: 0
; COMPUTE_PGM_RSRC2:TGID_X_EN: 1
; COMPUTE_PGM_RSRC2:TGID_Y_EN: 0
; COMPUTE_PGM_RSRC2:TGID_Z_EN: 0
; COMPUTE_PGM_RSRC2:TIDIG_COMP_CNT: 0
; COMPUTE_PGM_RSRC3_GFX90A:ACCUM_OFFSET: 0
; COMPUTE_PGM_RSRC3_GFX90A:TG_SPLIT: 0
	.section	.text._ZN7rocprim17ROCPRIM_400000_NS6detail17trampoline_kernelINS0_14default_configENS1_35radix_sort_onesweep_config_selectorIdNS0_10empty_typeEEEZZNS1_29radix_sort_onesweep_iterationIS3_Lb0EPdS8_PS5_S9_mNS0_19identity_decomposerENS1_16block_id_wrapperIjLb0EEEEE10hipError_tT1_PNSt15iterator_traitsISE_E10value_typeET2_T3_PNSF_ISK_E10value_typeET4_T5_PSP_SQ_PNS1_23onesweep_lookback_stateEbbT6_jjT7_P12ihipStream_tbENKUlT_T0_SE_SJ_E_clIS8_S8_S9_S9_EEDaSX_SY_SE_SJ_EUlSX_E_NS1_11comp_targetILNS1_3genE5ELNS1_11target_archE942ELNS1_3gpuE9ELNS1_3repE0EEENS1_47radix_sort_onesweep_sort_config_static_selectorELNS0_4arch9wavefront6targetE1EEEvSE_,"axG",@progbits,_ZN7rocprim17ROCPRIM_400000_NS6detail17trampoline_kernelINS0_14default_configENS1_35radix_sort_onesweep_config_selectorIdNS0_10empty_typeEEEZZNS1_29radix_sort_onesweep_iterationIS3_Lb0EPdS8_PS5_S9_mNS0_19identity_decomposerENS1_16block_id_wrapperIjLb0EEEEE10hipError_tT1_PNSt15iterator_traitsISE_E10value_typeET2_T3_PNSF_ISK_E10value_typeET4_T5_PSP_SQ_PNS1_23onesweep_lookback_stateEbbT6_jjT7_P12ihipStream_tbENKUlT_T0_SE_SJ_E_clIS8_S8_S9_S9_EEDaSX_SY_SE_SJ_EUlSX_E_NS1_11comp_targetILNS1_3genE5ELNS1_11target_archE942ELNS1_3gpuE9ELNS1_3repE0EEENS1_47radix_sort_onesweep_sort_config_static_selectorELNS0_4arch9wavefront6targetE1EEEvSE_,comdat
	.protected	_ZN7rocprim17ROCPRIM_400000_NS6detail17trampoline_kernelINS0_14default_configENS1_35radix_sort_onesweep_config_selectorIdNS0_10empty_typeEEEZZNS1_29radix_sort_onesweep_iterationIS3_Lb0EPdS8_PS5_S9_mNS0_19identity_decomposerENS1_16block_id_wrapperIjLb0EEEEE10hipError_tT1_PNSt15iterator_traitsISE_E10value_typeET2_T3_PNSF_ISK_E10value_typeET4_T5_PSP_SQ_PNS1_23onesweep_lookback_stateEbbT6_jjT7_P12ihipStream_tbENKUlT_T0_SE_SJ_E_clIS8_S8_S9_S9_EEDaSX_SY_SE_SJ_EUlSX_E_NS1_11comp_targetILNS1_3genE5ELNS1_11target_archE942ELNS1_3gpuE9ELNS1_3repE0EEENS1_47radix_sort_onesweep_sort_config_static_selectorELNS0_4arch9wavefront6targetE1EEEvSE_ ; -- Begin function _ZN7rocprim17ROCPRIM_400000_NS6detail17trampoline_kernelINS0_14default_configENS1_35radix_sort_onesweep_config_selectorIdNS0_10empty_typeEEEZZNS1_29radix_sort_onesweep_iterationIS3_Lb0EPdS8_PS5_S9_mNS0_19identity_decomposerENS1_16block_id_wrapperIjLb0EEEEE10hipError_tT1_PNSt15iterator_traitsISE_E10value_typeET2_T3_PNSF_ISK_E10value_typeET4_T5_PSP_SQ_PNS1_23onesweep_lookback_stateEbbT6_jjT7_P12ihipStream_tbENKUlT_T0_SE_SJ_E_clIS8_S8_S9_S9_EEDaSX_SY_SE_SJ_EUlSX_E_NS1_11comp_targetILNS1_3genE5ELNS1_11target_archE942ELNS1_3gpuE9ELNS1_3repE0EEENS1_47radix_sort_onesweep_sort_config_static_selectorELNS0_4arch9wavefront6targetE1EEEvSE_
	.globl	_ZN7rocprim17ROCPRIM_400000_NS6detail17trampoline_kernelINS0_14default_configENS1_35radix_sort_onesweep_config_selectorIdNS0_10empty_typeEEEZZNS1_29radix_sort_onesweep_iterationIS3_Lb0EPdS8_PS5_S9_mNS0_19identity_decomposerENS1_16block_id_wrapperIjLb0EEEEE10hipError_tT1_PNSt15iterator_traitsISE_E10value_typeET2_T3_PNSF_ISK_E10value_typeET4_T5_PSP_SQ_PNS1_23onesweep_lookback_stateEbbT6_jjT7_P12ihipStream_tbENKUlT_T0_SE_SJ_E_clIS8_S8_S9_S9_EEDaSX_SY_SE_SJ_EUlSX_E_NS1_11comp_targetILNS1_3genE5ELNS1_11target_archE942ELNS1_3gpuE9ELNS1_3repE0EEENS1_47radix_sort_onesweep_sort_config_static_selectorELNS0_4arch9wavefront6targetE1EEEvSE_
	.p2align	8
	.type	_ZN7rocprim17ROCPRIM_400000_NS6detail17trampoline_kernelINS0_14default_configENS1_35radix_sort_onesweep_config_selectorIdNS0_10empty_typeEEEZZNS1_29radix_sort_onesweep_iterationIS3_Lb0EPdS8_PS5_S9_mNS0_19identity_decomposerENS1_16block_id_wrapperIjLb0EEEEE10hipError_tT1_PNSt15iterator_traitsISE_E10value_typeET2_T3_PNSF_ISK_E10value_typeET4_T5_PSP_SQ_PNS1_23onesweep_lookback_stateEbbT6_jjT7_P12ihipStream_tbENKUlT_T0_SE_SJ_E_clIS8_S8_S9_S9_EEDaSX_SY_SE_SJ_EUlSX_E_NS1_11comp_targetILNS1_3genE5ELNS1_11target_archE942ELNS1_3gpuE9ELNS1_3repE0EEENS1_47radix_sort_onesweep_sort_config_static_selectorELNS0_4arch9wavefront6targetE1EEEvSE_,@function
_ZN7rocprim17ROCPRIM_400000_NS6detail17trampoline_kernelINS0_14default_configENS1_35radix_sort_onesweep_config_selectorIdNS0_10empty_typeEEEZZNS1_29radix_sort_onesweep_iterationIS3_Lb0EPdS8_PS5_S9_mNS0_19identity_decomposerENS1_16block_id_wrapperIjLb0EEEEE10hipError_tT1_PNSt15iterator_traitsISE_E10value_typeET2_T3_PNSF_ISK_E10value_typeET4_T5_PSP_SQ_PNS1_23onesweep_lookback_stateEbbT6_jjT7_P12ihipStream_tbENKUlT_T0_SE_SJ_E_clIS8_S8_S9_S9_EEDaSX_SY_SE_SJ_EUlSX_E_NS1_11comp_targetILNS1_3genE5ELNS1_11target_archE942ELNS1_3gpuE9ELNS1_3repE0EEENS1_47radix_sort_onesweep_sort_config_static_selectorELNS0_4arch9wavefront6targetE1EEEvSE_: ; @_ZN7rocprim17ROCPRIM_400000_NS6detail17trampoline_kernelINS0_14default_configENS1_35radix_sort_onesweep_config_selectorIdNS0_10empty_typeEEEZZNS1_29radix_sort_onesweep_iterationIS3_Lb0EPdS8_PS5_S9_mNS0_19identity_decomposerENS1_16block_id_wrapperIjLb0EEEEE10hipError_tT1_PNSt15iterator_traitsISE_E10value_typeET2_T3_PNSF_ISK_E10value_typeET4_T5_PSP_SQ_PNS1_23onesweep_lookback_stateEbbT6_jjT7_P12ihipStream_tbENKUlT_T0_SE_SJ_E_clIS8_S8_S9_S9_EEDaSX_SY_SE_SJ_EUlSX_E_NS1_11comp_targetILNS1_3genE5ELNS1_11target_archE942ELNS1_3gpuE9ELNS1_3repE0EEENS1_47radix_sort_onesweep_sort_config_static_selectorELNS0_4arch9wavefront6targetE1EEEvSE_
; %bb.0:
	.section	.rodata,"a",@progbits
	.p2align	6, 0x0
	.amdhsa_kernel _ZN7rocprim17ROCPRIM_400000_NS6detail17trampoline_kernelINS0_14default_configENS1_35radix_sort_onesweep_config_selectorIdNS0_10empty_typeEEEZZNS1_29radix_sort_onesweep_iterationIS3_Lb0EPdS8_PS5_S9_mNS0_19identity_decomposerENS1_16block_id_wrapperIjLb0EEEEE10hipError_tT1_PNSt15iterator_traitsISE_E10value_typeET2_T3_PNSF_ISK_E10value_typeET4_T5_PSP_SQ_PNS1_23onesweep_lookback_stateEbbT6_jjT7_P12ihipStream_tbENKUlT_T0_SE_SJ_E_clIS8_S8_S9_S9_EEDaSX_SY_SE_SJ_EUlSX_E_NS1_11comp_targetILNS1_3genE5ELNS1_11target_archE942ELNS1_3gpuE9ELNS1_3repE0EEENS1_47radix_sort_onesweep_sort_config_static_selectorELNS0_4arch9wavefront6targetE1EEEvSE_
		.amdhsa_group_segment_fixed_size 0
		.amdhsa_private_segment_fixed_size 0
		.amdhsa_kernarg_size 88
		.amdhsa_user_sgpr_count 6
		.amdhsa_user_sgpr_private_segment_buffer 1
		.amdhsa_user_sgpr_dispatch_ptr 0
		.amdhsa_user_sgpr_queue_ptr 0
		.amdhsa_user_sgpr_kernarg_segment_ptr 1
		.amdhsa_user_sgpr_dispatch_id 0
		.amdhsa_user_sgpr_flat_scratch_init 0
		.amdhsa_user_sgpr_kernarg_preload_length 0
		.amdhsa_user_sgpr_kernarg_preload_offset 0
		.amdhsa_user_sgpr_private_segment_size 0
		.amdhsa_uses_dynamic_stack 0
		.amdhsa_system_sgpr_private_segment_wavefront_offset 0
		.amdhsa_system_sgpr_workgroup_id_x 1
		.amdhsa_system_sgpr_workgroup_id_y 0
		.amdhsa_system_sgpr_workgroup_id_z 0
		.amdhsa_system_sgpr_workgroup_info 0
		.amdhsa_system_vgpr_workitem_id 0
		.amdhsa_next_free_vgpr 1
		.amdhsa_next_free_sgpr 0
		.amdhsa_accum_offset 4
		.amdhsa_reserve_vcc 0
		.amdhsa_reserve_flat_scratch 0
		.amdhsa_float_round_mode_32 0
		.amdhsa_float_round_mode_16_64 0
		.amdhsa_float_denorm_mode_32 3
		.amdhsa_float_denorm_mode_16_64 3
		.amdhsa_dx10_clamp 1
		.amdhsa_ieee_mode 1
		.amdhsa_fp16_overflow 0
		.amdhsa_tg_split 0
		.amdhsa_exception_fp_ieee_invalid_op 0
		.amdhsa_exception_fp_denorm_src 0
		.amdhsa_exception_fp_ieee_div_zero 0
		.amdhsa_exception_fp_ieee_overflow 0
		.amdhsa_exception_fp_ieee_underflow 0
		.amdhsa_exception_fp_ieee_inexact 0
		.amdhsa_exception_int_div_zero 0
	.end_amdhsa_kernel
	.section	.text._ZN7rocprim17ROCPRIM_400000_NS6detail17trampoline_kernelINS0_14default_configENS1_35radix_sort_onesweep_config_selectorIdNS0_10empty_typeEEEZZNS1_29radix_sort_onesweep_iterationIS3_Lb0EPdS8_PS5_S9_mNS0_19identity_decomposerENS1_16block_id_wrapperIjLb0EEEEE10hipError_tT1_PNSt15iterator_traitsISE_E10value_typeET2_T3_PNSF_ISK_E10value_typeET4_T5_PSP_SQ_PNS1_23onesweep_lookback_stateEbbT6_jjT7_P12ihipStream_tbENKUlT_T0_SE_SJ_E_clIS8_S8_S9_S9_EEDaSX_SY_SE_SJ_EUlSX_E_NS1_11comp_targetILNS1_3genE5ELNS1_11target_archE942ELNS1_3gpuE9ELNS1_3repE0EEENS1_47radix_sort_onesweep_sort_config_static_selectorELNS0_4arch9wavefront6targetE1EEEvSE_,"axG",@progbits,_ZN7rocprim17ROCPRIM_400000_NS6detail17trampoline_kernelINS0_14default_configENS1_35radix_sort_onesweep_config_selectorIdNS0_10empty_typeEEEZZNS1_29radix_sort_onesweep_iterationIS3_Lb0EPdS8_PS5_S9_mNS0_19identity_decomposerENS1_16block_id_wrapperIjLb0EEEEE10hipError_tT1_PNSt15iterator_traitsISE_E10value_typeET2_T3_PNSF_ISK_E10value_typeET4_T5_PSP_SQ_PNS1_23onesweep_lookback_stateEbbT6_jjT7_P12ihipStream_tbENKUlT_T0_SE_SJ_E_clIS8_S8_S9_S9_EEDaSX_SY_SE_SJ_EUlSX_E_NS1_11comp_targetILNS1_3genE5ELNS1_11target_archE942ELNS1_3gpuE9ELNS1_3repE0EEENS1_47radix_sort_onesweep_sort_config_static_selectorELNS0_4arch9wavefront6targetE1EEEvSE_,comdat
.Lfunc_end1383:
	.size	_ZN7rocprim17ROCPRIM_400000_NS6detail17trampoline_kernelINS0_14default_configENS1_35radix_sort_onesweep_config_selectorIdNS0_10empty_typeEEEZZNS1_29radix_sort_onesweep_iterationIS3_Lb0EPdS8_PS5_S9_mNS0_19identity_decomposerENS1_16block_id_wrapperIjLb0EEEEE10hipError_tT1_PNSt15iterator_traitsISE_E10value_typeET2_T3_PNSF_ISK_E10value_typeET4_T5_PSP_SQ_PNS1_23onesweep_lookback_stateEbbT6_jjT7_P12ihipStream_tbENKUlT_T0_SE_SJ_E_clIS8_S8_S9_S9_EEDaSX_SY_SE_SJ_EUlSX_E_NS1_11comp_targetILNS1_3genE5ELNS1_11target_archE942ELNS1_3gpuE9ELNS1_3repE0EEENS1_47radix_sort_onesweep_sort_config_static_selectorELNS0_4arch9wavefront6targetE1EEEvSE_, .Lfunc_end1383-_ZN7rocprim17ROCPRIM_400000_NS6detail17trampoline_kernelINS0_14default_configENS1_35radix_sort_onesweep_config_selectorIdNS0_10empty_typeEEEZZNS1_29radix_sort_onesweep_iterationIS3_Lb0EPdS8_PS5_S9_mNS0_19identity_decomposerENS1_16block_id_wrapperIjLb0EEEEE10hipError_tT1_PNSt15iterator_traitsISE_E10value_typeET2_T3_PNSF_ISK_E10value_typeET4_T5_PSP_SQ_PNS1_23onesweep_lookback_stateEbbT6_jjT7_P12ihipStream_tbENKUlT_T0_SE_SJ_E_clIS8_S8_S9_S9_EEDaSX_SY_SE_SJ_EUlSX_E_NS1_11comp_targetILNS1_3genE5ELNS1_11target_archE942ELNS1_3gpuE9ELNS1_3repE0EEENS1_47radix_sort_onesweep_sort_config_static_selectorELNS0_4arch9wavefront6targetE1EEEvSE_
                                        ; -- End function
	.section	.AMDGPU.csdata,"",@progbits
; Kernel info:
; codeLenInByte = 0
; NumSgprs: 4
; NumVgprs: 0
; NumAgprs: 0
; TotalNumVgprs: 0
; ScratchSize: 0
; MemoryBound: 0
; FloatMode: 240
; IeeeMode: 1
; LDSByteSize: 0 bytes/workgroup (compile time only)
; SGPRBlocks: 0
; VGPRBlocks: 0
; NumSGPRsForWavesPerEU: 4
; NumVGPRsForWavesPerEU: 1
; AccumOffset: 4
; Occupancy: 8
; WaveLimiterHint : 0
; COMPUTE_PGM_RSRC2:SCRATCH_EN: 0
; COMPUTE_PGM_RSRC2:USER_SGPR: 6
; COMPUTE_PGM_RSRC2:TRAP_HANDLER: 0
; COMPUTE_PGM_RSRC2:TGID_X_EN: 1
; COMPUTE_PGM_RSRC2:TGID_Y_EN: 0
; COMPUTE_PGM_RSRC2:TGID_Z_EN: 0
; COMPUTE_PGM_RSRC2:TIDIG_COMP_CNT: 0
; COMPUTE_PGM_RSRC3_GFX90A:ACCUM_OFFSET: 0
; COMPUTE_PGM_RSRC3_GFX90A:TG_SPLIT: 0
	.section	.text._ZN7rocprim17ROCPRIM_400000_NS6detail17trampoline_kernelINS0_14default_configENS1_35radix_sort_onesweep_config_selectorIdNS0_10empty_typeEEEZZNS1_29radix_sort_onesweep_iterationIS3_Lb0EPdS8_PS5_S9_mNS0_19identity_decomposerENS1_16block_id_wrapperIjLb0EEEEE10hipError_tT1_PNSt15iterator_traitsISE_E10value_typeET2_T3_PNSF_ISK_E10value_typeET4_T5_PSP_SQ_PNS1_23onesweep_lookback_stateEbbT6_jjT7_P12ihipStream_tbENKUlT_T0_SE_SJ_E_clIS8_S8_S9_S9_EEDaSX_SY_SE_SJ_EUlSX_E_NS1_11comp_targetILNS1_3genE2ELNS1_11target_archE906ELNS1_3gpuE6ELNS1_3repE0EEENS1_47radix_sort_onesweep_sort_config_static_selectorELNS0_4arch9wavefront6targetE1EEEvSE_,"axG",@progbits,_ZN7rocprim17ROCPRIM_400000_NS6detail17trampoline_kernelINS0_14default_configENS1_35radix_sort_onesweep_config_selectorIdNS0_10empty_typeEEEZZNS1_29radix_sort_onesweep_iterationIS3_Lb0EPdS8_PS5_S9_mNS0_19identity_decomposerENS1_16block_id_wrapperIjLb0EEEEE10hipError_tT1_PNSt15iterator_traitsISE_E10value_typeET2_T3_PNSF_ISK_E10value_typeET4_T5_PSP_SQ_PNS1_23onesweep_lookback_stateEbbT6_jjT7_P12ihipStream_tbENKUlT_T0_SE_SJ_E_clIS8_S8_S9_S9_EEDaSX_SY_SE_SJ_EUlSX_E_NS1_11comp_targetILNS1_3genE2ELNS1_11target_archE906ELNS1_3gpuE6ELNS1_3repE0EEENS1_47radix_sort_onesweep_sort_config_static_selectorELNS0_4arch9wavefront6targetE1EEEvSE_,comdat
	.protected	_ZN7rocprim17ROCPRIM_400000_NS6detail17trampoline_kernelINS0_14default_configENS1_35radix_sort_onesweep_config_selectorIdNS0_10empty_typeEEEZZNS1_29radix_sort_onesweep_iterationIS3_Lb0EPdS8_PS5_S9_mNS0_19identity_decomposerENS1_16block_id_wrapperIjLb0EEEEE10hipError_tT1_PNSt15iterator_traitsISE_E10value_typeET2_T3_PNSF_ISK_E10value_typeET4_T5_PSP_SQ_PNS1_23onesweep_lookback_stateEbbT6_jjT7_P12ihipStream_tbENKUlT_T0_SE_SJ_E_clIS8_S8_S9_S9_EEDaSX_SY_SE_SJ_EUlSX_E_NS1_11comp_targetILNS1_3genE2ELNS1_11target_archE906ELNS1_3gpuE6ELNS1_3repE0EEENS1_47radix_sort_onesweep_sort_config_static_selectorELNS0_4arch9wavefront6targetE1EEEvSE_ ; -- Begin function _ZN7rocprim17ROCPRIM_400000_NS6detail17trampoline_kernelINS0_14default_configENS1_35radix_sort_onesweep_config_selectorIdNS0_10empty_typeEEEZZNS1_29radix_sort_onesweep_iterationIS3_Lb0EPdS8_PS5_S9_mNS0_19identity_decomposerENS1_16block_id_wrapperIjLb0EEEEE10hipError_tT1_PNSt15iterator_traitsISE_E10value_typeET2_T3_PNSF_ISK_E10value_typeET4_T5_PSP_SQ_PNS1_23onesweep_lookback_stateEbbT6_jjT7_P12ihipStream_tbENKUlT_T0_SE_SJ_E_clIS8_S8_S9_S9_EEDaSX_SY_SE_SJ_EUlSX_E_NS1_11comp_targetILNS1_3genE2ELNS1_11target_archE906ELNS1_3gpuE6ELNS1_3repE0EEENS1_47radix_sort_onesweep_sort_config_static_selectorELNS0_4arch9wavefront6targetE1EEEvSE_
	.globl	_ZN7rocprim17ROCPRIM_400000_NS6detail17trampoline_kernelINS0_14default_configENS1_35radix_sort_onesweep_config_selectorIdNS0_10empty_typeEEEZZNS1_29radix_sort_onesweep_iterationIS3_Lb0EPdS8_PS5_S9_mNS0_19identity_decomposerENS1_16block_id_wrapperIjLb0EEEEE10hipError_tT1_PNSt15iterator_traitsISE_E10value_typeET2_T3_PNSF_ISK_E10value_typeET4_T5_PSP_SQ_PNS1_23onesweep_lookback_stateEbbT6_jjT7_P12ihipStream_tbENKUlT_T0_SE_SJ_E_clIS8_S8_S9_S9_EEDaSX_SY_SE_SJ_EUlSX_E_NS1_11comp_targetILNS1_3genE2ELNS1_11target_archE906ELNS1_3gpuE6ELNS1_3repE0EEENS1_47radix_sort_onesweep_sort_config_static_selectorELNS0_4arch9wavefront6targetE1EEEvSE_
	.p2align	8
	.type	_ZN7rocprim17ROCPRIM_400000_NS6detail17trampoline_kernelINS0_14default_configENS1_35radix_sort_onesweep_config_selectorIdNS0_10empty_typeEEEZZNS1_29radix_sort_onesweep_iterationIS3_Lb0EPdS8_PS5_S9_mNS0_19identity_decomposerENS1_16block_id_wrapperIjLb0EEEEE10hipError_tT1_PNSt15iterator_traitsISE_E10value_typeET2_T3_PNSF_ISK_E10value_typeET4_T5_PSP_SQ_PNS1_23onesweep_lookback_stateEbbT6_jjT7_P12ihipStream_tbENKUlT_T0_SE_SJ_E_clIS8_S8_S9_S9_EEDaSX_SY_SE_SJ_EUlSX_E_NS1_11comp_targetILNS1_3genE2ELNS1_11target_archE906ELNS1_3gpuE6ELNS1_3repE0EEENS1_47radix_sort_onesweep_sort_config_static_selectorELNS0_4arch9wavefront6targetE1EEEvSE_,@function
_ZN7rocprim17ROCPRIM_400000_NS6detail17trampoline_kernelINS0_14default_configENS1_35radix_sort_onesweep_config_selectorIdNS0_10empty_typeEEEZZNS1_29radix_sort_onesweep_iterationIS3_Lb0EPdS8_PS5_S9_mNS0_19identity_decomposerENS1_16block_id_wrapperIjLb0EEEEE10hipError_tT1_PNSt15iterator_traitsISE_E10value_typeET2_T3_PNSF_ISK_E10value_typeET4_T5_PSP_SQ_PNS1_23onesweep_lookback_stateEbbT6_jjT7_P12ihipStream_tbENKUlT_T0_SE_SJ_E_clIS8_S8_S9_S9_EEDaSX_SY_SE_SJ_EUlSX_E_NS1_11comp_targetILNS1_3genE2ELNS1_11target_archE906ELNS1_3gpuE6ELNS1_3repE0EEENS1_47radix_sort_onesweep_sort_config_static_selectorELNS0_4arch9wavefront6targetE1EEEvSE_: ; @_ZN7rocprim17ROCPRIM_400000_NS6detail17trampoline_kernelINS0_14default_configENS1_35radix_sort_onesweep_config_selectorIdNS0_10empty_typeEEEZZNS1_29radix_sort_onesweep_iterationIS3_Lb0EPdS8_PS5_S9_mNS0_19identity_decomposerENS1_16block_id_wrapperIjLb0EEEEE10hipError_tT1_PNSt15iterator_traitsISE_E10value_typeET2_T3_PNSF_ISK_E10value_typeET4_T5_PSP_SQ_PNS1_23onesweep_lookback_stateEbbT6_jjT7_P12ihipStream_tbENKUlT_T0_SE_SJ_E_clIS8_S8_S9_S9_EEDaSX_SY_SE_SJ_EUlSX_E_NS1_11comp_targetILNS1_3genE2ELNS1_11target_archE906ELNS1_3gpuE6ELNS1_3repE0EEENS1_47radix_sort_onesweep_sort_config_static_selectorELNS0_4arch9wavefront6targetE1EEEvSE_
; %bb.0:
	.section	.rodata,"a",@progbits
	.p2align	6, 0x0
	.amdhsa_kernel _ZN7rocprim17ROCPRIM_400000_NS6detail17trampoline_kernelINS0_14default_configENS1_35radix_sort_onesweep_config_selectorIdNS0_10empty_typeEEEZZNS1_29radix_sort_onesweep_iterationIS3_Lb0EPdS8_PS5_S9_mNS0_19identity_decomposerENS1_16block_id_wrapperIjLb0EEEEE10hipError_tT1_PNSt15iterator_traitsISE_E10value_typeET2_T3_PNSF_ISK_E10value_typeET4_T5_PSP_SQ_PNS1_23onesweep_lookback_stateEbbT6_jjT7_P12ihipStream_tbENKUlT_T0_SE_SJ_E_clIS8_S8_S9_S9_EEDaSX_SY_SE_SJ_EUlSX_E_NS1_11comp_targetILNS1_3genE2ELNS1_11target_archE906ELNS1_3gpuE6ELNS1_3repE0EEENS1_47radix_sort_onesweep_sort_config_static_selectorELNS0_4arch9wavefront6targetE1EEEvSE_
		.amdhsa_group_segment_fixed_size 0
		.amdhsa_private_segment_fixed_size 0
		.amdhsa_kernarg_size 88
		.amdhsa_user_sgpr_count 6
		.amdhsa_user_sgpr_private_segment_buffer 1
		.amdhsa_user_sgpr_dispatch_ptr 0
		.amdhsa_user_sgpr_queue_ptr 0
		.amdhsa_user_sgpr_kernarg_segment_ptr 1
		.amdhsa_user_sgpr_dispatch_id 0
		.amdhsa_user_sgpr_flat_scratch_init 0
		.amdhsa_user_sgpr_kernarg_preload_length 0
		.amdhsa_user_sgpr_kernarg_preload_offset 0
		.amdhsa_user_sgpr_private_segment_size 0
		.amdhsa_uses_dynamic_stack 0
		.amdhsa_system_sgpr_private_segment_wavefront_offset 0
		.amdhsa_system_sgpr_workgroup_id_x 1
		.amdhsa_system_sgpr_workgroup_id_y 0
		.amdhsa_system_sgpr_workgroup_id_z 0
		.amdhsa_system_sgpr_workgroup_info 0
		.amdhsa_system_vgpr_workitem_id 0
		.amdhsa_next_free_vgpr 1
		.amdhsa_next_free_sgpr 0
		.amdhsa_accum_offset 4
		.amdhsa_reserve_vcc 0
		.amdhsa_reserve_flat_scratch 0
		.amdhsa_float_round_mode_32 0
		.amdhsa_float_round_mode_16_64 0
		.amdhsa_float_denorm_mode_32 3
		.amdhsa_float_denorm_mode_16_64 3
		.amdhsa_dx10_clamp 1
		.amdhsa_ieee_mode 1
		.amdhsa_fp16_overflow 0
		.amdhsa_tg_split 0
		.amdhsa_exception_fp_ieee_invalid_op 0
		.amdhsa_exception_fp_denorm_src 0
		.amdhsa_exception_fp_ieee_div_zero 0
		.amdhsa_exception_fp_ieee_overflow 0
		.amdhsa_exception_fp_ieee_underflow 0
		.amdhsa_exception_fp_ieee_inexact 0
		.amdhsa_exception_int_div_zero 0
	.end_amdhsa_kernel
	.section	.text._ZN7rocprim17ROCPRIM_400000_NS6detail17trampoline_kernelINS0_14default_configENS1_35radix_sort_onesweep_config_selectorIdNS0_10empty_typeEEEZZNS1_29radix_sort_onesweep_iterationIS3_Lb0EPdS8_PS5_S9_mNS0_19identity_decomposerENS1_16block_id_wrapperIjLb0EEEEE10hipError_tT1_PNSt15iterator_traitsISE_E10value_typeET2_T3_PNSF_ISK_E10value_typeET4_T5_PSP_SQ_PNS1_23onesweep_lookback_stateEbbT6_jjT7_P12ihipStream_tbENKUlT_T0_SE_SJ_E_clIS8_S8_S9_S9_EEDaSX_SY_SE_SJ_EUlSX_E_NS1_11comp_targetILNS1_3genE2ELNS1_11target_archE906ELNS1_3gpuE6ELNS1_3repE0EEENS1_47radix_sort_onesweep_sort_config_static_selectorELNS0_4arch9wavefront6targetE1EEEvSE_,"axG",@progbits,_ZN7rocprim17ROCPRIM_400000_NS6detail17trampoline_kernelINS0_14default_configENS1_35radix_sort_onesweep_config_selectorIdNS0_10empty_typeEEEZZNS1_29radix_sort_onesweep_iterationIS3_Lb0EPdS8_PS5_S9_mNS0_19identity_decomposerENS1_16block_id_wrapperIjLb0EEEEE10hipError_tT1_PNSt15iterator_traitsISE_E10value_typeET2_T3_PNSF_ISK_E10value_typeET4_T5_PSP_SQ_PNS1_23onesweep_lookback_stateEbbT6_jjT7_P12ihipStream_tbENKUlT_T0_SE_SJ_E_clIS8_S8_S9_S9_EEDaSX_SY_SE_SJ_EUlSX_E_NS1_11comp_targetILNS1_3genE2ELNS1_11target_archE906ELNS1_3gpuE6ELNS1_3repE0EEENS1_47radix_sort_onesweep_sort_config_static_selectorELNS0_4arch9wavefront6targetE1EEEvSE_,comdat
.Lfunc_end1384:
	.size	_ZN7rocprim17ROCPRIM_400000_NS6detail17trampoline_kernelINS0_14default_configENS1_35radix_sort_onesweep_config_selectorIdNS0_10empty_typeEEEZZNS1_29radix_sort_onesweep_iterationIS3_Lb0EPdS8_PS5_S9_mNS0_19identity_decomposerENS1_16block_id_wrapperIjLb0EEEEE10hipError_tT1_PNSt15iterator_traitsISE_E10value_typeET2_T3_PNSF_ISK_E10value_typeET4_T5_PSP_SQ_PNS1_23onesweep_lookback_stateEbbT6_jjT7_P12ihipStream_tbENKUlT_T0_SE_SJ_E_clIS8_S8_S9_S9_EEDaSX_SY_SE_SJ_EUlSX_E_NS1_11comp_targetILNS1_3genE2ELNS1_11target_archE906ELNS1_3gpuE6ELNS1_3repE0EEENS1_47radix_sort_onesweep_sort_config_static_selectorELNS0_4arch9wavefront6targetE1EEEvSE_, .Lfunc_end1384-_ZN7rocprim17ROCPRIM_400000_NS6detail17trampoline_kernelINS0_14default_configENS1_35radix_sort_onesweep_config_selectorIdNS0_10empty_typeEEEZZNS1_29radix_sort_onesweep_iterationIS3_Lb0EPdS8_PS5_S9_mNS0_19identity_decomposerENS1_16block_id_wrapperIjLb0EEEEE10hipError_tT1_PNSt15iterator_traitsISE_E10value_typeET2_T3_PNSF_ISK_E10value_typeET4_T5_PSP_SQ_PNS1_23onesweep_lookback_stateEbbT6_jjT7_P12ihipStream_tbENKUlT_T0_SE_SJ_E_clIS8_S8_S9_S9_EEDaSX_SY_SE_SJ_EUlSX_E_NS1_11comp_targetILNS1_3genE2ELNS1_11target_archE906ELNS1_3gpuE6ELNS1_3repE0EEENS1_47radix_sort_onesweep_sort_config_static_selectorELNS0_4arch9wavefront6targetE1EEEvSE_
                                        ; -- End function
	.section	.AMDGPU.csdata,"",@progbits
; Kernel info:
; codeLenInByte = 0
; NumSgprs: 4
; NumVgprs: 0
; NumAgprs: 0
; TotalNumVgprs: 0
; ScratchSize: 0
; MemoryBound: 0
; FloatMode: 240
; IeeeMode: 1
; LDSByteSize: 0 bytes/workgroup (compile time only)
; SGPRBlocks: 0
; VGPRBlocks: 0
; NumSGPRsForWavesPerEU: 4
; NumVGPRsForWavesPerEU: 1
; AccumOffset: 4
; Occupancy: 8
; WaveLimiterHint : 0
; COMPUTE_PGM_RSRC2:SCRATCH_EN: 0
; COMPUTE_PGM_RSRC2:USER_SGPR: 6
; COMPUTE_PGM_RSRC2:TRAP_HANDLER: 0
; COMPUTE_PGM_RSRC2:TGID_X_EN: 1
; COMPUTE_PGM_RSRC2:TGID_Y_EN: 0
; COMPUTE_PGM_RSRC2:TGID_Z_EN: 0
; COMPUTE_PGM_RSRC2:TIDIG_COMP_CNT: 0
; COMPUTE_PGM_RSRC3_GFX90A:ACCUM_OFFSET: 0
; COMPUTE_PGM_RSRC3_GFX90A:TG_SPLIT: 0
	.section	.text._ZN7rocprim17ROCPRIM_400000_NS6detail17trampoline_kernelINS0_14default_configENS1_35radix_sort_onesweep_config_selectorIdNS0_10empty_typeEEEZZNS1_29radix_sort_onesweep_iterationIS3_Lb0EPdS8_PS5_S9_mNS0_19identity_decomposerENS1_16block_id_wrapperIjLb0EEEEE10hipError_tT1_PNSt15iterator_traitsISE_E10value_typeET2_T3_PNSF_ISK_E10value_typeET4_T5_PSP_SQ_PNS1_23onesweep_lookback_stateEbbT6_jjT7_P12ihipStream_tbENKUlT_T0_SE_SJ_E_clIS8_S8_S9_S9_EEDaSX_SY_SE_SJ_EUlSX_E_NS1_11comp_targetILNS1_3genE4ELNS1_11target_archE910ELNS1_3gpuE8ELNS1_3repE0EEENS1_47radix_sort_onesweep_sort_config_static_selectorELNS0_4arch9wavefront6targetE1EEEvSE_,"axG",@progbits,_ZN7rocprim17ROCPRIM_400000_NS6detail17trampoline_kernelINS0_14default_configENS1_35radix_sort_onesweep_config_selectorIdNS0_10empty_typeEEEZZNS1_29radix_sort_onesweep_iterationIS3_Lb0EPdS8_PS5_S9_mNS0_19identity_decomposerENS1_16block_id_wrapperIjLb0EEEEE10hipError_tT1_PNSt15iterator_traitsISE_E10value_typeET2_T3_PNSF_ISK_E10value_typeET4_T5_PSP_SQ_PNS1_23onesweep_lookback_stateEbbT6_jjT7_P12ihipStream_tbENKUlT_T0_SE_SJ_E_clIS8_S8_S9_S9_EEDaSX_SY_SE_SJ_EUlSX_E_NS1_11comp_targetILNS1_3genE4ELNS1_11target_archE910ELNS1_3gpuE8ELNS1_3repE0EEENS1_47radix_sort_onesweep_sort_config_static_selectorELNS0_4arch9wavefront6targetE1EEEvSE_,comdat
	.protected	_ZN7rocprim17ROCPRIM_400000_NS6detail17trampoline_kernelINS0_14default_configENS1_35radix_sort_onesweep_config_selectorIdNS0_10empty_typeEEEZZNS1_29radix_sort_onesweep_iterationIS3_Lb0EPdS8_PS5_S9_mNS0_19identity_decomposerENS1_16block_id_wrapperIjLb0EEEEE10hipError_tT1_PNSt15iterator_traitsISE_E10value_typeET2_T3_PNSF_ISK_E10value_typeET4_T5_PSP_SQ_PNS1_23onesweep_lookback_stateEbbT6_jjT7_P12ihipStream_tbENKUlT_T0_SE_SJ_E_clIS8_S8_S9_S9_EEDaSX_SY_SE_SJ_EUlSX_E_NS1_11comp_targetILNS1_3genE4ELNS1_11target_archE910ELNS1_3gpuE8ELNS1_3repE0EEENS1_47radix_sort_onesweep_sort_config_static_selectorELNS0_4arch9wavefront6targetE1EEEvSE_ ; -- Begin function _ZN7rocprim17ROCPRIM_400000_NS6detail17trampoline_kernelINS0_14default_configENS1_35radix_sort_onesweep_config_selectorIdNS0_10empty_typeEEEZZNS1_29radix_sort_onesweep_iterationIS3_Lb0EPdS8_PS5_S9_mNS0_19identity_decomposerENS1_16block_id_wrapperIjLb0EEEEE10hipError_tT1_PNSt15iterator_traitsISE_E10value_typeET2_T3_PNSF_ISK_E10value_typeET4_T5_PSP_SQ_PNS1_23onesweep_lookback_stateEbbT6_jjT7_P12ihipStream_tbENKUlT_T0_SE_SJ_E_clIS8_S8_S9_S9_EEDaSX_SY_SE_SJ_EUlSX_E_NS1_11comp_targetILNS1_3genE4ELNS1_11target_archE910ELNS1_3gpuE8ELNS1_3repE0EEENS1_47radix_sort_onesweep_sort_config_static_selectorELNS0_4arch9wavefront6targetE1EEEvSE_
	.globl	_ZN7rocprim17ROCPRIM_400000_NS6detail17trampoline_kernelINS0_14default_configENS1_35radix_sort_onesweep_config_selectorIdNS0_10empty_typeEEEZZNS1_29radix_sort_onesweep_iterationIS3_Lb0EPdS8_PS5_S9_mNS0_19identity_decomposerENS1_16block_id_wrapperIjLb0EEEEE10hipError_tT1_PNSt15iterator_traitsISE_E10value_typeET2_T3_PNSF_ISK_E10value_typeET4_T5_PSP_SQ_PNS1_23onesweep_lookback_stateEbbT6_jjT7_P12ihipStream_tbENKUlT_T0_SE_SJ_E_clIS8_S8_S9_S9_EEDaSX_SY_SE_SJ_EUlSX_E_NS1_11comp_targetILNS1_3genE4ELNS1_11target_archE910ELNS1_3gpuE8ELNS1_3repE0EEENS1_47radix_sort_onesweep_sort_config_static_selectorELNS0_4arch9wavefront6targetE1EEEvSE_
	.p2align	8
	.type	_ZN7rocprim17ROCPRIM_400000_NS6detail17trampoline_kernelINS0_14default_configENS1_35radix_sort_onesweep_config_selectorIdNS0_10empty_typeEEEZZNS1_29radix_sort_onesweep_iterationIS3_Lb0EPdS8_PS5_S9_mNS0_19identity_decomposerENS1_16block_id_wrapperIjLb0EEEEE10hipError_tT1_PNSt15iterator_traitsISE_E10value_typeET2_T3_PNSF_ISK_E10value_typeET4_T5_PSP_SQ_PNS1_23onesweep_lookback_stateEbbT6_jjT7_P12ihipStream_tbENKUlT_T0_SE_SJ_E_clIS8_S8_S9_S9_EEDaSX_SY_SE_SJ_EUlSX_E_NS1_11comp_targetILNS1_3genE4ELNS1_11target_archE910ELNS1_3gpuE8ELNS1_3repE0EEENS1_47radix_sort_onesweep_sort_config_static_selectorELNS0_4arch9wavefront6targetE1EEEvSE_,@function
_ZN7rocprim17ROCPRIM_400000_NS6detail17trampoline_kernelINS0_14default_configENS1_35radix_sort_onesweep_config_selectorIdNS0_10empty_typeEEEZZNS1_29radix_sort_onesweep_iterationIS3_Lb0EPdS8_PS5_S9_mNS0_19identity_decomposerENS1_16block_id_wrapperIjLb0EEEEE10hipError_tT1_PNSt15iterator_traitsISE_E10value_typeET2_T3_PNSF_ISK_E10value_typeET4_T5_PSP_SQ_PNS1_23onesweep_lookback_stateEbbT6_jjT7_P12ihipStream_tbENKUlT_T0_SE_SJ_E_clIS8_S8_S9_S9_EEDaSX_SY_SE_SJ_EUlSX_E_NS1_11comp_targetILNS1_3genE4ELNS1_11target_archE910ELNS1_3gpuE8ELNS1_3repE0EEENS1_47radix_sort_onesweep_sort_config_static_selectorELNS0_4arch9wavefront6targetE1EEEvSE_: ; @_ZN7rocprim17ROCPRIM_400000_NS6detail17trampoline_kernelINS0_14default_configENS1_35radix_sort_onesweep_config_selectorIdNS0_10empty_typeEEEZZNS1_29radix_sort_onesweep_iterationIS3_Lb0EPdS8_PS5_S9_mNS0_19identity_decomposerENS1_16block_id_wrapperIjLb0EEEEE10hipError_tT1_PNSt15iterator_traitsISE_E10value_typeET2_T3_PNSF_ISK_E10value_typeET4_T5_PSP_SQ_PNS1_23onesweep_lookback_stateEbbT6_jjT7_P12ihipStream_tbENKUlT_T0_SE_SJ_E_clIS8_S8_S9_S9_EEDaSX_SY_SE_SJ_EUlSX_E_NS1_11comp_targetILNS1_3genE4ELNS1_11target_archE910ELNS1_3gpuE8ELNS1_3repE0EEENS1_47radix_sort_onesweep_sort_config_static_selectorELNS0_4arch9wavefront6targetE1EEEvSE_
; %bb.0:
	s_load_dwordx4 s[16:19], s[4:5], 0x44
	s_load_dwordx2 s[24:25], s[4:5], 0x38
	s_load_dwordx4 s[20:23], s[4:5], 0x0
	s_load_dwordx4 s[12:15], s[4:5], 0x28
	s_mul_i32 s26, s6, 0x1800
	s_waitcnt lgkmcnt(0)
	s_cmp_ge_u32 s6, s18
	v_mbcnt_lo_u32_b32 v24, -1, 0
	s_cbranch_scc0 .LBB1385_53
; %bb.1:
	s_load_dword s7, s[4:5], 0x20
	s_mul_i32 s2, s18, 0xffffe800
	s_mov_b32 s27, 0
	s_lshl_b64 s[0:1], s[26:27], 3
	v_mbcnt_hi_u32_b32 v1, -1, v24
	s_waitcnt lgkmcnt(0)
	s_add_i32 s7, s7, s2
	v_and_b32_e32 v2, 0x3ff, v0
	s_add_u32 s2, s20, s0
	v_and_b32_e32 v3, 63, v1
	s_addc_u32 s3, s21, s1
	v_and_b32_e32 v4, 0x3c0, v2
	v_lshlrev_b32_e32 v5, 3, v3
	v_mul_u32_u24_e32 v4, 6, v4
	v_mov_b32_e32 v6, s3
	v_add_co_u32_e32 v5, vcc, s2, v5
	v_addc_co_u32_e32 v6, vcc, 0, v6, vcc
	v_lshlrev_b32_e32 v7, 3, v4
	s_mov_b32 s0, -1
	v_add_co_u32_e32 v16, vcc, v5, v7
	s_brev_b32 s1, -2
	v_addc_co_u32_e32 v17, vcc, 0, v6, vcc
	v_or_b32_e32 v3, v3, v4
	v_cmp_gt_u32_e32 vcc, s7, v3
	v_pk_mov_b32 v[4:5], s[0:1], s[0:1] op_sel:[0,1]
	s_and_saveexec_b64 s[2:3], vcc
	s_cbranch_execz .LBB1385_3
; %bb.2:
	global_load_dwordx2 v[4:5], v[16:17], off
.LBB1385_3:
	s_or_b64 exec, exec, s[2:3]
	v_or_b32_e32 v6, 64, v3
	v_cmp_gt_u32_e32 vcc, s7, v6
	v_pk_mov_b32 v[6:7], s[0:1], s[0:1] op_sel:[0,1]
	s_and_saveexec_b64 s[0:1], vcc
	s_cbranch_execz .LBB1385_5
; %bb.4:
	global_load_dwordx2 v[6:7], v[16:17], off offset:512
.LBB1385_5:
	s_or_b64 exec, exec, s[0:1]
	s_mov_b32 s0, -1
	v_add_u32_e32 v8, 0x80, v3
	s_brev_b32 s1, -2
	v_cmp_gt_u32_e32 vcc, s7, v8
	v_pk_mov_b32 v[8:9], s[0:1], s[0:1] op_sel:[0,1]
	s_and_saveexec_b64 s[2:3], vcc
	s_cbranch_execz .LBB1385_7
; %bb.6:
	global_load_dwordx2 v[8:9], v[16:17], off offset:1024
.LBB1385_7:
	s_or_b64 exec, exec, s[2:3]
	v_add_u32_e32 v10, 0xc0, v3
	v_cmp_gt_u32_e32 vcc, s7, v10
	v_pk_mov_b32 v[10:11], s[0:1], s[0:1] op_sel:[0,1]
	s_and_saveexec_b64 s[0:1], vcc
	s_cbranch_execz .LBB1385_9
; %bb.8:
	global_load_dwordx2 v[10:11], v[16:17], off offset:1536
.LBB1385_9:
	s_or_b64 exec, exec, s[0:1]
	s_mov_b32 s0, -1
	v_add_u32_e32 v12, 0x100, v3
	s_brev_b32 s1, -2
	v_cmp_gt_u32_e32 vcc, s7, v12
	v_pk_mov_b32 v[14:15], s[0:1], s[0:1] op_sel:[0,1]
	s_and_saveexec_b64 s[2:3], vcc
	s_cbranch_execz .LBB1385_11
; %bb.10:
	global_load_dwordx2 v[14:15], v[16:17], off offset:2048
.LBB1385_11:
	s_or_b64 exec, exec, s[2:3]
	v_add_u32_e32 v3, 0x140, v3
	v_cmp_gt_u32_e32 vcc, s7, v3
	v_pk_mov_b32 v[12:13], s[0:1], s[0:1] op_sel:[0,1]
	s_and_saveexec_b64 s[0:1], vcc
	s_cbranch_execz .LBB1385_13
; %bb.12:
	global_load_dwordx2 v[12:13], v[16:17], off offset:2560
.LBB1385_13:
	s_or_b64 exec, exec, s[0:1]
	s_load_dword s0, s[4:5], 0x64
	s_load_dword s27, s[4:5], 0x58
	s_add_u32 s1, s4, 0x58
	s_addc_u32 s2, s5, 0
	v_mov_b32_e32 v16, 0
	s_waitcnt lgkmcnt(0)
	s_lshr_b32 s8, s0, 16
	s_cmp_lt_u32 s6, s27
	s_cselect_b32 s0, 12, 18
	s_add_u32 s0, s1, s0
	s_addc_u32 s1, s2, 0
	global_load_ushort v20, v16, s[0:1]
	v_bfrev_b32_e32 v21, 1
	s_waitcnt vmcnt(1)
	v_cmp_lt_i64_e32 vcc, -1, v[4:5]
	s_mov_b32 s2, -1
	v_ashrrev_i32_e32 v3, 31, v5
	v_cndmask_b32_e32 v19, -1, v21, vcc
	s_brev_b32 s3, -2
	v_xor_b32_e32 v4, v3, v4
	v_xor_b32_e32 v5, v19, v5
	v_mul_u32_u24_e32 v18, 5, v2
	v_cmp_ne_u64_e32 vcc, s[2:3], v[4:5]
	v_lshlrev_b32_e32 v3, 2, v18
	v_cndmask_b32_e32 v19, v21, v5, vcc
	v_cndmask_b32_e32 v18, 0, v4, vcc
	s_lshl_b32 s0, -1, s17
	v_bfe_u32 v17, v0, 10, 10
	v_bfe_u32 v22, v0, 20, 10
	v_lshrrev_b64 v[18:19], s16, v[18:19]
	s_not_b32 s28, s0
	v_mad_u32_u24 v19, v22, s8, v17
	v_and_b32_e32 v22, s28, v18
	v_and_b32_e32 v18, 1, v22
	v_add_co_u32_e32 v23, vcc, -1, v18
	v_lshlrev_b32_e32 v17, 30, v22
	v_addc_co_u32_e64 v26, s[0:1], 0, -1, vcc
	v_cmp_ne_u32_e32 vcc, 0, v18
	v_cmp_gt_i64_e64 s[0:1], 0, v[16:17]
	v_not_b32_e32 v18, v17
	v_lshlrev_b32_e32 v17, 29, v22
	v_xor_b32_e32 v26, vcc_hi, v26
	v_xor_b32_e32 v23, vcc_lo, v23
	v_ashrrev_i32_e32 v18, 31, v18
	v_cmp_gt_i64_e32 vcc, 0, v[16:17]
	v_not_b32_e32 v27, v17
	v_lshlrev_b32_e32 v17, 28, v22
	v_and_b32_e32 v26, exec_hi, v26
	v_and_b32_e32 v23, exec_lo, v23
	v_xor_b32_e32 v28, s1, v18
	v_xor_b32_e32 v18, s0, v18
	v_ashrrev_i32_e32 v27, 31, v27
	v_cmp_gt_i64_e64 s[0:1], 0, v[16:17]
	v_not_b32_e32 v29, v17
	v_lshlrev_b32_e32 v17, 27, v22
	v_and_b32_e32 v26, v26, v28
	v_and_b32_e32 v18, v23, v18
	v_xor_b32_e32 v23, vcc_hi, v27
	v_xor_b32_e32 v27, vcc_lo, v27
	v_ashrrev_i32_e32 v28, 31, v29
	v_cmp_gt_i64_e32 vcc, 0, v[16:17]
	v_not_b32_e32 v29, v17
	v_lshlrev_b32_e32 v17, 26, v22
	v_and_b32_e32 v23, v26, v23
	v_and_b32_e32 v18, v18, v27
	v_xor_b32_e32 v26, s1, v28
	v_xor_b32_e32 v27, s0, v28
	v_ashrrev_i32_e32 v28, 31, v29
	v_not_b32_e32 v29, v17
	v_cmp_gt_i64_e64 s[0:1], 0, v[16:17]
	v_lshlrev_b32_e32 v17, 25, v22
	v_and_b32_e32 v23, v23, v26
	v_and_b32_e32 v18, v18, v27
	v_xor_b32_e32 v26, vcc_hi, v28
	v_xor_b32_e32 v27, vcc_lo, v28
	v_ashrrev_i32_e32 v28, 31, v29
	v_and_b32_e32 v18, v18, v27
	v_xor_b32_e32 v27, s0, v28
	v_cmp_gt_i64_e32 vcc, 0, v[16:17]
	v_not_b32_e32 v17, v17
	v_and_b32_e32 v23, v23, v26
	v_xor_b32_e32 v26, s1, v28
	v_and_b32_e32 v27, v18, v27
	v_ashrrev_i32_e32 v17, 31, v17
	v_lshl_add_u32 v25, v22, 4, v22
	v_and_b32_e32 v26, v23, v26
	ds_write2_b32 v3, v16, v16 offset0:16 offset1:17
	ds_write2_b32 v3, v16, v16 offset0:18 offset1:19
	ds_write_b32 v3, v16 offset:80
	s_waitcnt lgkmcnt(0)
	s_barrier
	s_waitcnt vmcnt(0)
	v_mad_u64_u32 v[18:19], s[0:1], v19, v20, v[2:3]
	v_lshrrev_b32_e32 v23, 6, v18
	v_xor_b32_e32 v18, vcc_hi, v17
	v_xor_b32_e32 v17, vcc_lo, v17
	v_add_lshl_u32 v20, v23, v25, 2
	v_and_b32_e32 v25, v27, v17
	v_lshlrev_b32_e32 v17, 24, v22
	v_cmp_gt_i64_e32 vcc, 0, v[16:17]
	v_not_b32_e32 v17, v17
	v_ashrrev_i32_e32 v17, 31, v17
	v_and_b32_e32 v18, v26, v18
	v_xor_b32_e32 v19, vcc_hi, v17
	v_xor_b32_e32 v17, vcc_lo, v17
	v_and_b32_e32 v19, v18, v19
	v_and_b32_e32 v18, v25, v17
	v_mbcnt_lo_u32_b32 v17, v18, 0
	v_mbcnt_hi_u32_b32 v25, v19, v17
	v_cmp_eq_u32_e32 vcc, 0, v25
	v_cmp_ne_u64_e64 s[0:1], 0, v[18:19]
	s_and_b64 s[8:9], s[0:1], vcc
	; wave barrier
	s_and_saveexec_b64 s[0:1], s[8:9]
	s_cbranch_execz .LBB1385_15
; %bb.14:
	v_bcnt_u32_b32 v17, v18, 0
	v_bcnt_u32_b32 v17, v19, v17
	ds_write_b32 v20, v17 offset:64
.LBB1385_15:
	s_or_b64 exec, exec, s[0:1]
	v_cmp_lt_i64_e32 vcc, -1, v[6:7]
	v_cndmask_b32_e32 v17, -1, v21, vcc
	v_ashrrev_i32_e32 v18, 31, v7
	v_xor_b32_e32 v7, v17, v7
	v_xor_b32_e32 v6, v18, v6
	v_cmp_ne_u64_e32 vcc, s[2:3], v[6:7]
	v_cndmask_b32_e32 v19, v21, v7, vcc
	v_cndmask_b32_e32 v18, 0, v6, vcc
	v_lshrrev_b64 v[18:19], s16, v[18:19]
	v_and_b32_e32 v18, s28, v18
	v_lshl_add_u32 v17, v18, 4, v18
	v_add_lshl_u32 v21, v23, v17, 2
	v_and_b32_e32 v17, 1, v18
	v_add_co_u32_e32 v19, vcc, -1, v17
	v_addc_co_u32_e64 v22, s[0:1], 0, -1, vcc
	v_cmp_ne_u32_e32 vcc, 0, v17
	v_xor_b32_e32 v17, vcc_hi, v22
	v_and_b32_e32 v22, exec_hi, v17
	v_lshlrev_b32_e32 v17, 30, v18
	v_xor_b32_e32 v19, vcc_lo, v19
	v_cmp_gt_i64_e32 vcc, 0, v[16:17]
	v_not_b32_e32 v17, v17
	v_ashrrev_i32_e32 v17, 31, v17
	v_and_b32_e32 v19, exec_lo, v19
	v_xor_b32_e32 v27, vcc_hi, v17
	v_xor_b32_e32 v17, vcc_lo, v17
	v_and_b32_e32 v19, v19, v17
	v_lshlrev_b32_e32 v17, 29, v18
	v_cmp_gt_i64_e32 vcc, 0, v[16:17]
	v_not_b32_e32 v17, v17
	v_ashrrev_i32_e32 v17, 31, v17
	v_and_b32_e32 v22, v22, v27
	v_xor_b32_e32 v27, vcc_hi, v17
	v_xor_b32_e32 v17, vcc_lo, v17
	v_and_b32_e32 v19, v19, v17
	v_lshlrev_b32_e32 v17, 28, v18
	v_cmp_gt_i64_e32 vcc, 0, v[16:17]
	v_not_b32_e32 v17, v17
	v_ashrrev_i32_e32 v17, 31, v17
	v_and_b32_e32 v22, v22, v27
	;; [unrolled: 8-line block ×5, first 2 shown]
	v_xor_b32_e32 v27, vcc_hi, v17
	v_xor_b32_e32 v17, vcc_lo, v17
	v_and_b32_e32 v19, v19, v17
	v_lshlrev_b32_e32 v17, 24, v18
	v_cmp_gt_i64_e32 vcc, 0, v[16:17]
	v_not_b32_e32 v16, v17
	v_ashrrev_i32_e32 v16, 31, v16
	v_xor_b32_e32 v17, vcc_hi, v16
	v_xor_b32_e32 v16, vcc_lo, v16
	; wave barrier
	ds_read_b32 v26, v21 offset:64
	v_and_b32_e32 v22, v22, v27
	v_and_b32_e32 v16, v19, v16
	;; [unrolled: 1-line block ×3, first 2 shown]
	v_mbcnt_lo_u32_b32 v18, v16, 0
	v_mbcnt_hi_u32_b32 v27, v17, v18
	v_cmp_eq_u32_e32 vcc, 0, v27
	v_cmp_ne_u64_e64 s[0:1], 0, v[16:17]
	s_and_b64 s[2:3], s[0:1], vcc
	; wave barrier
	s_and_saveexec_b64 s[0:1], s[2:3]
	s_cbranch_execz .LBB1385_17
; %bb.16:
	v_bcnt_u32_b32 v16, v16, 0
	v_bcnt_u32_b32 v16, v17, v16
	s_waitcnt lgkmcnt(0)
	v_add_u32_e32 v16, v26, v16
	ds_write_b32 v21, v16 offset:64
.LBB1385_17:
	s_or_b64 exec, exec, s[0:1]
	v_bfrev_b32_e32 v29, 1
	v_cmp_lt_i64_e32 vcc, -1, v[8:9]
	s_mov_b32 s2, -1
	v_cndmask_b32_e32 v16, -1, v29, vcc
	v_ashrrev_i32_e32 v17, 31, v9
	s_brev_b32 s3, -2
	v_xor_b32_e32 v9, v16, v9
	v_xor_b32_e32 v8, v17, v8
	v_cmp_ne_u64_e32 vcc, s[2:3], v[8:9]
	v_cndmask_b32_e32 v19, v29, v9, vcc
	v_cndmask_b32_e32 v18, 0, v8, vcc
	v_lshrrev_b64 v[18:19], s16, v[18:19]
	v_and_b32_e32 v18, s28, v18
	v_lshl_add_u32 v17, v18, 4, v18
	v_add_lshl_u32 v22, v23, v17, 2
	v_and_b32_e32 v17, 1, v18
	v_add_co_u32_e32 v19, vcc, -1, v17
	v_addc_co_u32_e64 v30, s[0:1], 0, -1, vcc
	v_cmp_ne_u32_e32 vcc, 0, v17
	v_xor_b32_e32 v17, vcc_hi, v30
	v_mov_b32_e32 v16, 0
	v_and_b32_e32 v30, exec_hi, v17
	v_lshlrev_b32_e32 v17, 30, v18
	v_xor_b32_e32 v19, vcc_lo, v19
	v_cmp_gt_i64_e32 vcc, 0, v[16:17]
	v_not_b32_e32 v17, v17
	v_ashrrev_i32_e32 v17, 31, v17
	v_and_b32_e32 v19, exec_lo, v19
	v_xor_b32_e32 v31, vcc_hi, v17
	v_xor_b32_e32 v17, vcc_lo, v17
	v_and_b32_e32 v19, v19, v17
	v_lshlrev_b32_e32 v17, 29, v18
	v_cmp_gt_i64_e32 vcc, 0, v[16:17]
	v_not_b32_e32 v17, v17
	v_ashrrev_i32_e32 v17, 31, v17
	v_and_b32_e32 v30, v30, v31
	v_xor_b32_e32 v31, vcc_hi, v17
	v_xor_b32_e32 v17, vcc_lo, v17
	v_and_b32_e32 v19, v19, v17
	v_lshlrev_b32_e32 v17, 28, v18
	v_cmp_gt_i64_e32 vcc, 0, v[16:17]
	v_not_b32_e32 v17, v17
	v_ashrrev_i32_e32 v17, 31, v17
	v_and_b32_e32 v30, v30, v31
	v_xor_b32_e32 v31, vcc_hi, v17
	v_xor_b32_e32 v17, vcc_lo, v17
	v_and_b32_e32 v19, v19, v17
	v_lshlrev_b32_e32 v17, 27, v18
	v_cmp_gt_i64_e32 vcc, 0, v[16:17]
	v_not_b32_e32 v17, v17
	v_ashrrev_i32_e32 v17, 31, v17
	v_and_b32_e32 v30, v30, v31
	v_xor_b32_e32 v31, vcc_hi, v17
	v_xor_b32_e32 v17, vcc_lo, v17
	v_and_b32_e32 v19, v19, v17
	v_lshlrev_b32_e32 v17, 26, v18
	v_cmp_gt_i64_e32 vcc, 0, v[16:17]
	v_not_b32_e32 v17, v17
	v_ashrrev_i32_e32 v17, 31, v17
	v_and_b32_e32 v30, v30, v31
	v_xor_b32_e32 v31, vcc_hi, v17
	v_xor_b32_e32 v17, vcc_lo, v17
	v_and_b32_e32 v19, v19, v17
	v_lshlrev_b32_e32 v17, 25, v18
	v_cmp_gt_i64_e32 vcc, 0, v[16:17]
	v_not_b32_e32 v17, v17
	v_ashrrev_i32_e32 v17, 31, v17
	v_and_b32_e32 v30, v30, v31
	v_xor_b32_e32 v31, vcc_hi, v17
	v_xor_b32_e32 v17, vcc_lo, v17
	v_and_b32_e32 v30, v30, v31
	v_and_b32_e32 v31, v19, v17
	v_lshlrev_b32_e32 v17, 24, v18
	v_cmp_gt_i64_e32 vcc, 0, v[16:17]
	v_not_b32_e32 v17, v17
	v_ashrrev_i32_e32 v17, 31, v17
	v_xor_b32_e32 v18, vcc_hi, v17
	v_xor_b32_e32 v17, vcc_lo, v17
	; wave barrier
	ds_read_b32 v28, v22 offset:64
	v_and_b32_e32 v19, v30, v18
	v_and_b32_e32 v18, v31, v17
	v_mbcnt_lo_u32_b32 v17, v18, 0
	v_mbcnt_hi_u32_b32 v30, v19, v17
	v_cmp_eq_u32_e32 vcc, 0, v30
	v_cmp_ne_u64_e64 s[0:1], 0, v[18:19]
	s_and_b64 s[8:9], s[0:1], vcc
	; wave barrier
	s_and_saveexec_b64 s[0:1], s[8:9]
	s_cbranch_execz .LBB1385_19
; %bb.18:
	v_bcnt_u32_b32 v17, v18, 0
	v_bcnt_u32_b32 v17, v19, v17
	s_waitcnt lgkmcnt(0)
	v_add_u32_e32 v17, v28, v17
	ds_write_b32 v22, v17 offset:64
.LBB1385_19:
	s_or_b64 exec, exec, s[0:1]
	v_cmp_lt_i64_e32 vcc, -1, v[10:11]
	v_cndmask_b32_e32 v17, -1, v29, vcc
	v_ashrrev_i32_e32 v18, 31, v11
	v_xor_b32_e32 v11, v17, v11
	v_xor_b32_e32 v10, v18, v10
	v_cmp_ne_u64_e32 vcc, s[2:3], v[10:11]
	v_cndmask_b32_e32 v19, v29, v11, vcc
	v_cndmask_b32_e32 v18, 0, v10, vcc
	v_lshrrev_b64 v[18:19], s16, v[18:19]
	v_and_b32_e32 v18, s28, v18
	v_lshl_add_u32 v17, v18, 4, v18
	v_add_lshl_u32 v29, v23, v17, 2
	v_and_b32_e32 v17, 1, v18
	v_add_co_u32_e32 v19, vcc, -1, v17
	v_addc_co_u32_e64 v32, s[0:1], 0, -1, vcc
	v_cmp_ne_u32_e32 vcc, 0, v17
	v_xor_b32_e32 v17, vcc_hi, v32
	v_and_b32_e32 v32, exec_hi, v17
	v_lshlrev_b32_e32 v17, 30, v18
	v_xor_b32_e32 v19, vcc_lo, v19
	v_cmp_gt_i64_e32 vcc, 0, v[16:17]
	v_not_b32_e32 v17, v17
	v_ashrrev_i32_e32 v17, 31, v17
	v_and_b32_e32 v19, exec_lo, v19
	v_xor_b32_e32 v33, vcc_hi, v17
	v_xor_b32_e32 v17, vcc_lo, v17
	v_and_b32_e32 v19, v19, v17
	v_lshlrev_b32_e32 v17, 29, v18
	v_cmp_gt_i64_e32 vcc, 0, v[16:17]
	v_not_b32_e32 v17, v17
	v_ashrrev_i32_e32 v17, 31, v17
	v_and_b32_e32 v32, v32, v33
	v_xor_b32_e32 v33, vcc_hi, v17
	v_xor_b32_e32 v17, vcc_lo, v17
	v_and_b32_e32 v19, v19, v17
	v_lshlrev_b32_e32 v17, 28, v18
	v_cmp_gt_i64_e32 vcc, 0, v[16:17]
	v_not_b32_e32 v17, v17
	v_ashrrev_i32_e32 v17, 31, v17
	v_and_b32_e32 v32, v32, v33
	;; [unrolled: 8-line block ×5, first 2 shown]
	v_xor_b32_e32 v33, vcc_hi, v17
	v_xor_b32_e32 v17, vcc_lo, v17
	v_and_b32_e32 v19, v19, v17
	v_lshlrev_b32_e32 v17, 24, v18
	v_cmp_gt_i64_e32 vcc, 0, v[16:17]
	v_not_b32_e32 v16, v17
	v_ashrrev_i32_e32 v16, 31, v16
	v_xor_b32_e32 v17, vcc_hi, v16
	v_xor_b32_e32 v16, vcc_lo, v16
	; wave barrier
	ds_read_b32 v31, v29 offset:64
	v_and_b32_e32 v32, v32, v33
	v_and_b32_e32 v16, v19, v16
	;; [unrolled: 1-line block ×3, first 2 shown]
	v_mbcnt_lo_u32_b32 v18, v16, 0
	v_mbcnt_hi_u32_b32 v32, v17, v18
	v_cmp_eq_u32_e32 vcc, 0, v32
	v_cmp_ne_u64_e64 s[0:1], 0, v[16:17]
	s_and_b64 s[2:3], s[0:1], vcc
	; wave barrier
	s_and_saveexec_b64 s[0:1], s[2:3]
	s_cbranch_execz .LBB1385_21
; %bb.20:
	v_bcnt_u32_b32 v16, v16, 0
	v_bcnt_u32_b32 v16, v17, v16
	s_waitcnt lgkmcnt(0)
	v_add_u32_e32 v16, v31, v16
	ds_write_b32 v29, v16 offset:64
.LBB1385_21:
	s_or_b64 exec, exec, s[0:1]
	v_bfrev_b32_e32 v35, 1
	v_cmp_lt_i64_e32 vcc, -1, v[14:15]
	s_mov_b32 s2, -1
	v_cndmask_b32_e32 v16, -1, v35, vcc
	v_ashrrev_i32_e32 v17, 31, v15
	s_brev_b32 s3, -2
	v_xor_b32_e32 v15, v16, v15
	v_xor_b32_e32 v14, v17, v14
	v_cmp_ne_u64_e32 vcc, s[2:3], v[14:15]
	v_cndmask_b32_e32 v17, v35, v15, vcc
	v_cndmask_b32_e32 v16, 0, v14, vcc
	v_lshrrev_b64 v[16:17], s16, v[16:17]
	v_and_b32_e32 v16, s28, v16
	v_lshl_add_u32 v17, v16, 4, v16
	v_add_lshl_u32 v36, v23, v17, 2
	v_and_b32_e32 v17, 1, v16
	v_add_co_u32_e32 v19, vcc, -1, v17
	v_addc_co_u32_e64 v34, s[0:1], 0, -1, vcc
	v_cmp_ne_u32_e32 vcc, 0, v17
	v_xor_b32_e32 v19, vcc_lo, v19
	v_mov_b32_e32 v18, 0
	v_xor_b32_e32 v17, vcc_hi, v34
	v_and_b32_e32 v34, exec_lo, v19
	v_lshlrev_b32_e32 v19, 30, v16
	v_cmp_gt_i64_e32 vcc, 0, v[18:19]
	v_not_b32_e32 v19, v19
	v_ashrrev_i32_e32 v19, 31, v19
	v_xor_b32_e32 v37, vcc_hi, v19
	v_xor_b32_e32 v19, vcc_lo, v19
	v_and_b32_e32 v34, v34, v19
	v_lshlrev_b32_e32 v19, 29, v16
	v_cmp_gt_i64_e32 vcc, 0, v[18:19]
	v_not_b32_e32 v19, v19
	v_and_b32_e32 v17, exec_hi, v17
	v_ashrrev_i32_e32 v19, 31, v19
	v_and_b32_e32 v17, v17, v37
	v_xor_b32_e32 v37, vcc_hi, v19
	v_xor_b32_e32 v19, vcc_lo, v19
	v_and_b32_e32 v34, v34, v19
	v_lshlrev_b32_e32 v19, 28, v16
	v_cmp_gt_i64_e32 vcc, 0, v[18:19]
	v_not_b32_e32 v19, v19
	v_ashrrev_i32_e32 v19, 31, v19
	v_and_b32_e32 v17, v17, v37
	v_xor_b32_e32 v37, vcc_hi, v19
	v_xor_b32_e32 v19, vcc_lo, v19
	v_and_b32_e32 v34, v34, v19
	v_lshlrev_b32_e32 v19, 27, v16
	v_cmp_gt_i64_e32 vcc, 0, v[18:19]
	v_not_b32_e32 v19, v19
	;; [unrolled: 8-line block ×4, first 2 shown]
	v_ashrrev_i32_e32 v19, 31, v19
	v_and_b32_e32 v17, v17, v37
	v_xor_b32_e32 v37, vcc_hi, v19
	v_xor_b32_e32 v19, vcc_lo, v19
	v_and_b32_e32 v34, v34, v19
	v_lshlrev_b32_e32 v19, 24, v16
	v_not_b32_e32 v16, v19
	v_cmp_gt_i64_e32 vcc, 0, v[18:19]
	v_ashrrev_i32_e32 v16, 31, v16
	v_xor_b32_e32 v19, vcc_hi, v16
	v_xor_b32_e32 v16, vcc_lo, v16
	; wave barrier
	ds_read_b32 v33, v36 offset:64
	v_and_b32_e32 v17, v17, v37
	v_and_b32_e32 v16, v34, v16
	;; [unrolled: 1-line block ×3, first 2 shown]
	v_mbcnt_lo_u32_b32 v19, v16, 0
	v_mbcnt_hi_u32_b32 v34, v17, v19
	v_cmp_eq_u32_e32 vcc, 0, v34
	v_cmp_ne_u64_e64 s[0:1], 0, v[16:17]
	s_and_b64 s[8:9], s[0:1], vcc
	; wave barrier
	s_and_saveexec_b64 s[0:1], s[8:9]
	s_cbranch_execz .LBB1385_23
; %bb.22:
	v_bcnt_u32_b32 v16, v16, 0
	v_bcnt_u32_b32 v16, v17, v16
	s_waitcnt lgkmcnt(0)
	v_add_u32_e32 v16, v33, v16
	ds_write_b32 v36, v16 offset:64
.LBB1385_23:
	s_or_b64 exec, exec, s[0:1]
	v_cmp_lt_i64_e32 vcc, -1, v[12:13]
	v_cndmask_b32_e32 v16, -1, v35, vcc
	v_ashrrev_i32_e32 v19, 31, v13
	v_xor_b32_e32 v17, v16, v13
	v_xor_b32_e32 v16, v19, v12
	v_cmp_ne_u64_e32 vcc, s[2:3], v[16:17]
	v_cndmask_b32_e32 v13, v35, v17, vcc
	v_cndmask_b32_e32 v12, 0, v16, vcc
	v_lshrrev_b64 v[12:13], s16, v[12:13]
	v_and_b32_e32 v12, s28, v12
	v_lshl_add_u32 v13, v12, 4, v12
	v_add_lshl_u32 v23, v13, v23, 2
	v_and_b32_e32 v13, 1, v12
	v_add_co_u32_e32 v19, vcc, -1, v13
	v_addc_co_u32_e64 v37, s[0:1], 0, -1, vcc
	v_cmp_ne_u32_e32 vcc, 0, v13
	v_xor_b32_e32 v19, vcc_lo, v19
	v_xor_b32_e32 v13, vcc_hi, v37
	v_and_b32_e32 v37, exec_lo, v19
	v_lshlrev_b32_e32 v19, 30, v12
	v_cmp_gt_i64_e32 vcc, 0, v[18:19]
	v_not_b32_e32 v19, v19
	v_ashrrev_i32_e32 v19, 31, v19
	v_xor_b32_e32 v39, vcc_hi, v19
	v_xor_b32_e32 v19, vcc_lo, v19
	v_and_b32_e32 v37, v37, v19
	v_lshlrev_b32_e32 v19, 29, v12
	v_cmp_gt_i64_e32 vcc, 0, v[18:19]
	v_not_b32_e32 v19, v19
	v_and_b32_e32 v13, exec_hi, v13
	v_ashrrev_i32_e32 v19, 31, v19
	v_and_b32_e32 v13, v13, v39
	v_xor_b32_e32 v39, vcc_hi, v19
	v_xor_b32_e32 v19, vcc_lo, v19
	v_and_b32_e32 v37, v37, v19
	v_lshlrev_b32_e32 v19, 28, v12
	v_cmp_gt_i64_e32 vcc, 0, v[18:19]
	v_not_b32_e32 v19, v19
	v_ashrrev_i32_e32 v19, 31, v19
	v_and_b32_e32 v13, v13, v39
	v_xor_b32_e32 v39, vcc_hi, v19
	v_xor_b32_e32 v19, vcc_lo, v19
	v_and_b32_e32 v37, v37, v19
	v_lshlrev_b32_e32 v19, 27, v12
	v_cmp_gt_i64_e32 vcc, 0, v[18:19]
	v_not_b32_e32 v19, v19
	;; [unrolled: 8-line block ×4, first 2 shown]
	v_ashrrev_i32_e32 v19, 31, v19
	v_and_b32_e32 v13, v13, v39
	v_xor_b32_e32 v39, vcc_hi, v19
	v_xor_b32_e32 v19, vcc_lo, v19
	v_and_b32_e32 v37, v37, v19
	v_lshlrev_b32_e32 v19, 24, v12
	v_not_b32_e32 v12, v19
	v_cmp_gt_i64_e32 vcc, 0, v[18:19]
	v_ashrrev_i32_e32 v12, 31, v12
	v_xor_b32_e32 v18, vcc_hi, v12
	v_xor_b32_e32 v12, vcc_lo, v12
	; wave barrier
	ds_read_b32 v35, v23 offset:64
	v_and_b32_e32 v13, v13, v39
	v_and_b32_e32 v12, v37, v12
	;; [unrolled: 1-line block ×3, first 2 shown]
	v_mbcnt_lo_u32_b32 v18, v12, 0
	v_mbcnt_hi_u32_b32 v37, v13, v18
	v_cmp_eq_u32_e32 vcc, 0, v37
	v_cmp_ne_u64_e64 s[0:1], 0, v[12:13]
	v_add_u32_e32 v38, 64, v3
	s_and_b64 s[2:3], s[0:1], vcc
	; wave barrier
	s_and_saveexec_b64 s[0:1], s[2:3]
	s_cbranch_execz .LBB1385_25
; %bb.24:
	v_bcnt_u32_b32 v12, v12, 0
	v_bcnt_u32_b32 v12, v13, v12
	s_waitcnt lgkmcnt(0)
	v_add_u32_e32 v12, v35, v12
	ds_write_b32 v23, v12 offset:64
.LBB1385_25:
	s_or_b64 exec, exec, s[0:1]
	; wave barrier
	s_waitcnt lgkmcnt(0)
	s_barrier
	ds_read2_b32 v[18:19], v3 offset0:16 offset1:17
	ds_read2_b32 v[12:13], v38 offset0:2 offset1:3
	ds_read_b32 v39, v38 offset:16
	v_cmp_lt_u32_e64 s[10:11], 31, v1
	s_waitcnt lgkmcnt(1)
	v_add3_u32 v40, v19, v18, v12
	s_waitcnt lgkmcnt(0)
	v_add3_u32 v39, v40, v13, v39
	v_and_b32_e32 v40, 15, v1
	v_cmp_eq_u32_e32 vcc, 0, v40
	v_mov_b32_dpp v41, v39 row_shr:1 row_mask:0xf bank_mask:0xf
	v_cndmask_b32_e64 v41, v41, 0, vcc
	v_add_u32_e32 v39, v41, v39
	v_cmp_lt_u32_e64 s[0:1], 1, v40
	v_cmp_lt_u32_e64 s[2:3], 3, v40
	v_mov_b32_dpp v41, v39 row_shr:2 row_mask:0xf bank_mask:0xf
	v_cndmask_b32_e64 v41, 0, v41, s[0:1]
	v_add_u32_e32 v39, v39, v41
	v_cmp_lt_u32_e64 s[8:9], 7, v40
	s_nop 0
	v_mov_b32_dpp v41, v39 row_shr:4 row_mask:0xf bank_mask:0xf
	v_cndmask_b32_e64 v41, 0, v41, s[2:3]
	v_add_u32_e32 v39, v39, v41
	s_nop 1
	v_mov_b32_dpp v41, v39 row_shr:8 row_mask:0xf bank_mask:0xf
	v_cndmask_b32_e64 v40, 0, v41, s[8:9]
	v_add_u32_e32 v39, v39, v40
	v_bfe_i32 v41, v1, 4, 1
	s_nop 0
	v_mov_b32_dpp v40, v39 row_bcast:15 row_mask:0xf bank_mask:0xf
	v_and_b32_e32 v40, v41, v40
	v_add_u32_e32 v39, v39, v40
	v_and_b32_e32 v41, 63, v2
	s_nop 0
	v_mov_b32_dpp v40, v39 row_bcast:31 row_mask:0xf bank_mask:0xf
	v_cndmask_b32_e64 v40, 0, v40, s[10:11]
	v_add_u32_e32 v39, v39, v40
	v_lshrrev_b32_e32 v40, 6, v2
	v_cmp_eq_u32_e64 s[10:11], 63, v41
	s_and_saveexec_b64 s[18:19], s[10:11]
	s_cbranch_execz .LBB1385_27
; %bb.26:
	v_lshlrev_b32_e32 v41, 2, v40
	ds_write_b32 v41, v39
.LBB1385_27:
	s_or_b64 exec, exec, s[18:19]
	v_cmp_gt_u32_e64 s[10:11], 16, v2
	s_waitcnt lgkmcnt(0)
	s_barrier
	s_and_saveexec_b64 s[18:19], s[10:11]
	s_cbranch_execz .LBB1385_29
; %bb.28:
	v_lshlrev_b32_e32 v41, 2, v2
	ds_read_b32 v42, v41
	s_waitcnt lgkmcnt(0)
	s_nop 0
	v_mov_b32_dpp v43, v42 row_shr:1 row_mask:0xf bank_mask:0xf
	v_cndmask_b32_e64 v43, v43, 0, vcc
	v_add_u32_e32 v42, v43, v42
	s_nop 1
	v_mov_b32_dpp v43, v42 row_shr:2 row_mask:0xf bank_mask:0xf
	v_cndmask_b32_e64 v43, 0, v43, s[0:1]
	v_add_u32_e32 v42, v42, v43
	s_nop 1
	v_mov_b32_dpp v43, v42 row_shr:4 row_mask:0xf bank_mask:0xf
	v_cndmask_b32_e64 v43, 0, v43, s[2:3]
	;; [unrolled: 4-line block ×3, first 2 shown]
	v_add_u32_e32 v42, v42, v43
	ds_write_b32 v41, v42
.LBB1385_29:
	s_or_b64 exec, exec, s[18:19]
	v_cmp_lt_u32_e32 vcc, 63, v2
	v_mov_b32_e32 v41, 0
	s_waitcnt lgkmcnt(0)
	s_barrier
	s_and_saveexec_b64 s[0:1], vcc
	s_cbranch_execz .LBB1385_31
; %bb.30:
	v_lshl_add_u32 v40, v40, 2, -4
	ds_read_b32 v41, v40
.LBB1385_31:
	s_or_b64 exec, exec, s[0:1]
	v_add_u32_e32 v40, -1, v1
	v_and_b32_e32 v42, 64, v1
	v_cmp_lt_i32_e32 vcc, v40, v42
	v_cndmask_b32_e32 v40, v40, v1, vcc
	s_waitcnt lgkmcnt(0)
	v_add_u32_e32 v39, v41, v39
	v_lshlrev_b32_e32 v40, 2, v40
	ds_bpermute_b32 v39, v40, v39
	v_cmp_eq_u32_e32 vcc, 0, v1
	s_movk_i32 s2, 0xff
	s_movk_i32 s0, 0x100
	v_cmp_gt_u32_e64 s[0:1], s0, v2
	s_waitcnt lgkmcnt(0)
	v_cndmask_b32_e32 v1, v39, v41, vcc
	v_cmp_ne_u32_e32 vcc, 0, v2
	v_cndmask_b32_e32 v1, 0, v1, vcc
	v_add_u32_e32 v18, v1, v18
	v_add_u32_e32 v19, v18, v19
	;; [unrolled: 1-line block ×4, first 2 shown]
	ds_write2_b32 v3, v1, v18 offset0:16 offset1:17
	ds_write2_b32 v38, v19, v12 offset0:2 offset1:3
	ds_write_b32 v38, v13 offset:16
	s_waitcnt lgkmcnt(0)
	s_barrier
	ds_read_b32 v40, v20 offset:64
	ds_read_b32 v1, v21 offset:64
	;; [unrolled: 1-line block ×6, first 2 shown]
	v_cmp_lt_u32_e32 vcc, s2, v2
	v_pk_mov_b32 v[12:13], 0, 0
                                        ; implicit-def: $vgpr29
	s_and_saveexec_b64 s[8:9], s[0:1]
	s_cbranch_execz .LBB1385_35
; %bb.32:
	v_mul_u32_u24_e32 v3, 17, v2
	v_lshlrev_b32_e32 v13, 2, v3
	ds_read_b32 v12, v13 offset:64
	v_cmp_ne_u32_e64 s[2:3], s2, v2
	v_mov_b32_e32 v3, 0x1800
	s_and_saveexec_b64 s[10:11], s[2:3]
	s_cbranch_execz .LBB1385_34
; %bb.33:
	ds_read_b32 v3, v13 offset:132
.LBB1385_34:
	s_or_b64 exec, exec, s[10:11]
	s_waitcnt lgkmcnt(0)
	v_sub_u32_e32 v29, v3, v12
	v_mov_b32_e32 v13, 0
.LBB1385_35:
	s_or_b64 exec, exec, s[8:9]
	s_waitcnt lgkmcnt(0)
	s_barrier
	s_and_saveexec_b64 s[2:3], vcc
	s_xor_b64 s[2:3], exec, s[2:3]
; %bb.36:
	v_mov_b32_e32 v3, 0
; %bb.37:
	s_andn2_saveexec_b64 s[2:3], s[2:3]
	s_cbranch_execz .LBB1385_47
; %bb.38:
	v_lshl_or_b32 v18, s6, 8, v2
	v_mov_b32_e32 v19, 0
	v_lshlrev_b64 v[20:21], 2, v[18:19]
	v_mov_b32_e32 v3, s25
	v_add_co_u32_e32 v20, vcc, s24, v20
	v_addc_co_u32_e32 v21, vcc, v3, v21, vcc
	v_or_b32_e32 v18, 2.0, v29
	s_mov_b64 s[8:9], 0
	s_brev_b32 s29, 1
	s_mov_b32 s30, s6
	v_mov_b32_e32 v42, 0
	global_store_dword v[20:21], v18, off
                                        ; implicit-def: $sgpr10_sgpr11
	s_branch .LBB1385_40
.LBB1385_39:                            ;   in Loop: Header=BB1385_40 Depth=1
	s_or_b64 exec, exec, s[10:11]
	v_and_b32_e32 v22, 0x3fffffff, v43
	v_add_u32_e32 v42, v22, v42
	v_cmp_eq_u32_e64 s[10:11], s29, v18
	s_and_b64 s[18:19], exec, s[10:11]
	s_or_b64 s[8:9], s[18:19], s[8:9]
	s_andn2_b64 exec, exec, s[8:9]
	s_cbranch_execz .LBB1385_46
.LBB1385_40:                            ; =>This Loop Header: Depth=1
                                        ;     Child Loop BB1385_43 Depth 2
	s_or_b64 s[10:11], s[10:11], exec
	s_cmp_eq_u32 s30, 0
	s_cbranch_scc1 .LBB1385_45
; %bb.41:                               ;   in Loop: Header=BB1385_40 Depth=1
	s_add_i32 s30, s30, -1
	v_lshl_or_b32 v18, s30, 8, v2
	v_lshlrev_b64 v[22:23], 2, v[18:19]
	v_add_co_u32_e32 v22, vcc, s24, v22
	v_addc_co_u32_e32 v23, vcc, v3, v23, vcc
	global_load_dword v43, v[22:23], off glc
	s_waitcnt vmcnt(0)
	v_and_b32_e32 v18, -2.0, v43
	v_cmp_eq_u32_e32 vcc, 0, v18
	s_and_saveexec_b64 s[10:11], vcc
	s_cbranch_execz .LBB1385_39
; %bb.42:                               ;   in Loop: Header=BB1385_40 Depth=1
	s_mov_b64 s[18:19], 0
.LBB1385_43:                            ;   Parent Loop BB1385_40 Depth=1
                                        ; =>  This Inner Loop Header: Depth=2
	global_load_dword v43, v[22:23], off glc
	s_waitcnt vmcnt(0)
	v_and_b32_e32 v18, -2.0, v43
	v_cmp_ne_u32_e32 vcc, 0, v18
	s_or_b64 s[18:19], vcc, s[18:19]
	s_andn2_b64 exec, exec, s[18:19]
	s_cbranch_execnz .LBB1385_43
; %bb.44:                               ;   in Loop: Header=BB1385_40 Depth=1
	s_or_b64 exec, exec, s[18:19]
	s_branch .LBB1385_39
.LBB1385_45:                            ;   in Loop: Header=BB1385_40 Depth=1
                                        ; implicit-def: $sgpr30
	s_and_b64 s[18:19], exec, s[10:11]
	s_or_b64 s[8:9], s[18:19], s[8:9]
	s_andn2_b64 exec, exec, s[8:9]
	s_cbranch_execnz .LBB1385_40
.LBB1385_46:
	s_or_b64 exec, exec, s[8:9]
	v_add_u32_e32 v3, v42, v29
	v_or_b32_e32 v3, 0x80000000, v3
	global_store_dword v[20:21], v3, off
	v_lshlrev_b32_e32 v20, 3, v2
	global_load_dwordx2 v[18:19], v20, s[12:13]
	v_sub_co_u32_e32 v21, vcc, v42, v12
	v_subb_co_u32_e32 v22, vcc, 0, v13, vcc
	v_mov_b32_e32 v3, 0
	s_waitcnt vmcnt(0)
	v_add_co_u32_e32 v18, vcc, v21, v18
	v_addc_co_u32_e32 v19, vcc, v22, v19, vcc
	ds_write_b64 v20, v[18:19]
.LBB1385_47:
	s_or_b64 exec, exec, s[2:3]
	v_add_u32_e32 v19, v40, v25
	v_add3_u32 v25, v32, v39, v31
	v_add3_u32 v28, v30, v38, v28
	v_lshlrev_b64 v[30:31], 3, v[2:3]
	v_lshlrev_b32_e32 v20, 3, v2
	v_add3_u32 v26, v27, v1, v26
	v_mov_b32_e32 v1, s23
	v_add_co_u32_e32 v18, vcc, s22, v30
	s_mov_b32 s8, -1
	v_add_u32_e32 v21, 0x800, v20
	v_add3_u32 v22, v37, v41, v35
	v_add3_u32 v23, v34, v36, v33
	v_addc_co_u32_e32 v1, vcc, v1, v31, vcc
	s_mov_b32 s18, 0
	s_brev_b32 s9, -2
	v_bfrev_b32_e32 v27, 1
	v_mov_b32_e32 v30, v2
	s_branch .LBB1385_49
.LBB1385_48:                            ;   in Loop: Header=BB1385_49 Depth=1
	s_or_b64 exec, exec, s[10:11]
	s_addk_i32 s18, 0xf800
	v_add_co_u32_e32 v18, vcc, 0x4000, v18
	v_addc_co_u32_e32 v1, vcc, 0, v1, vcc
	s_cmpk_eq_i32 s18, 0xe800
	v_add_u32_e32 v30, 0x800, v30
	s_barrier
	s_cbranch_scc1 .LBB1385_54
.LBB1385_49:                            ; =>This Inner Loop Header: Depth=1
	v_add_u32_e32 v31, s18, v19
	v_min_u32_e32 v31, 0x800, v31
	v_lshlrev_b32_e32 v31, 3, v31
	ds_write_b64 v31, v[4:5] offset:2048
	v_add_u32_e32 v31, s18, v26
	v_min_u32_e32 v31, 0x800, v31
	v_lshlrev_b32_e32 v31, 3, v31
	ds_write_b64 v31, v[6:7] offset:2048
	;; [unrolled: 4-line block ×5, first 2 shown]
	v_add_u32_e32 v31, s18, v22
	v_min_u32_e32 v31, 0x800, v31
	v_lshlrev_b32_e32 v31, 3, v31
	v_cmp_gt_u32_e32 vcc, s7, v30
	ds_write_b64 v31, v[16:17] offset:2048
	s_waitcnt lgkmcnt(0)
	s_barrier
	s_and_saveexec_b64 s[10:11], vcc
	s_cbranch_execz .LBB1385_51
; %bb.50:                               ;   in Loop: Header=BB1385_49 Depth=1
	ds_read_b64 v[32:33], v20 offset:2048
	s_waitcnt lgkmcnt(0)
	v_cmp_ne_u64_e32 vcc, s[8:9], v[32:33]
	v_cndmask_b32_e32 v35, v27, v33, vcc
	v_cndmask_b32_e32 v34, 0, v32, vcc
	v_lshrrev_b64 v[34:35], s16, v[34:35]
	v_and_b32_e32 v34, s28, v34
	v_lshlrev_b32_e32 v34, 3, v34
	ds_read_b64 v[34:35], v34
	v_cmp_lt_i64_e64 s[2:3], -1, v[32:33]
	v_ashrrev_i32_e32 v36, 31, v33
	v_cndmask_b32_e64 v31, v27, -1, s[2:3]
	v_not_b32_e32 v36, v36
	s_waitcnt lgkmcnt(0)
	v_lshlrev_b64 v[34:35], 3, v[34:35]
	v_add_co_u32_e32 v34, vcc, v18, v34
	v_xor_b32_e32 v33, v31, v33
	v_xor_b32_e32 v32, v36, v32
	v_addc_co_u32_e32 v35, vcc, v1, v35, vcc
	global_store_dwordx2 v[34:35], v[32:33], off
.LBB1385_51:                            ;   in Loop: Header=BB1385_49 Depth=1
	s_or_b64 exec, exec, s[10:11]
	v_add_u32_e32 v31, 0x400, v30
	v_cmp_gt_u32_e32 vcc, s7, v31
	s_and_saveexec_b64 s[10:11], vcc
	s_cbranch_execz .LBB1385_48
; %bb.52:                               ;   in Loop: Header=BB1385_49 Depth=1
	ds_read_b64 v[32:33], v21 offset:8192
	s_waitcnt lgkmcnt(0)
	v_cmp_ne_u64_e32 vcc, s[8:9], v[32:33]
	v_cndmask_b32_e32 v35, v27, v33, vcc
	v_cndmask_b32_e32 v34, 0, v32, vcc
	v_lshrrev_b64 v[34:35], s16, v[34:35]
	v_and_b32_e32 v34, s28, v34
	v_lshlrev_b32_e32 v34, 3, v34
	ds_read_b64 v[34:35], v34
	v_cmp_lt_i64_e64 s[2:3], -1, v[32:33]
	v_cndmask_b32_e64 v31, v27, -1, s[2:3]
	v_ashrrev_i32_e32 v36, 31, v33
	v_xor_b32_e32 v33, v31, v33
	s_waitcnt lgkmcnt(0)
	v_lshlrev_b64 v[34:35], 3, v[34:35]
	v_add_co_u32_e32 v31, vcc, v18, v34
	v_addc_co_u32_e32 v35, vcc, v1, v35, vcc
	v_not_b32_e32 v36, v36
	v_add_co_u32_e32 v34, vcc, 0x2000, v31
	v_xor_b32_e32 v32, v36, v32
	v_addc_co_u32_e32 v35, vcc, 0, v35, vcc
	global_store_dwordx2 v[34:35], v[32:33], off
	s_branch .LBB1385_48
.LBB1385_53:
	s_mov_b64 s[0:1], 0
                                        ; implicit-def: $vgpr2
                                        ; implicit-def: $vgpr12_vgpr13
                                        ; implicit-def: $vgpr29
	s_cbranch_execnz .LBB1385_55
	s_branch .LBB1385_92
.LBB1385_54:
	s_add_i32 s27, s27, -1
	s_cmp_eq_u32 s27, s6
	s_cselect_b64 s[2:3], -1, 0
	s_and_b64 s[0:1], s[0:1], s[2:3]
	s_branch .LBB1385_92
.LBB1385_55:
	s_mov_b32 s27, 0
	s_lshl_b64 s[0:1], s[26:27], 3
	v_mbcnt_hi_u32_b32 v3, -1, v24
	v_and_b32_e32 v2, 0x3ff, v0
	s_add_u32 s0, s20, s0
	v_and_b32_e32 v1, 63, v3
	s_addc_u32 s1, s21, s1
	v_and_b32_e32 v4, 0x3c0, v2
	v_lshlrev_b32_e32 v1, 3, v1
	v_mul_u32_u24_e32 v4, 6, v4
	v_mov_b32_e32 v5, s1
	v_add_co_u32_e32 v1, vcc, s0, v1
	s_load_dword s7, s[4:5], 0x58
	s_load_dword s0, s[4:5], 0x64
	v_addc_co_u32_e32 v5, vcc, 0, v5, vcc
	v_lshlrev_b32_e32 v4, 3, v4
	v_add_co_u32_e32 v16, vcc, v1, v4
	v_addc_co_u32_e32 v17, vcc, 0, v5, vcc
	global_load_dwordx2 v[22:23], v[16:17], off
	s_add_u32 s1, s4, 0x58
	s_addc_u32 s2, s5, 0
	s_waitcnt lgkmcnt(0)
	s_lshr_b32 s4, s0, 16
	s_cmp_lt_u32 s6, s7
	s_cselect_b32 s0, 12, 18
	s_add_u32 s0, s1, s0
	v_mov_b32_e32 v6, 0
	s_addc_u32 s1, s2, 0
	global_load_ushort v7, v6, s[0:1]
	v_mul_u32_u24_e32 v4, 5, v2
	v_lshlrev_b32_e32 v18, 2, v4
	ds_write2_b32 v18, v6, v6 offset0:16 offset1:17
	ds_write2_b32 v18, v6, v6 offset0:18 offset1:19
	ds_write_b32 v18, v6 offset:80
	global_load_dwordx2 v[4:5], v[16:17], off offset:512
	global_load_dwordx2 v[14:15], v[16:17], off offset:1024
	;; [unrolled: 1-line block ×5, first 2 shown]
	v_bfrev_b32_e32 v20, 1
	v_bfe_u32 v1, v0, 10, 10
	v_bfe_u32 v0, v0, 20, 10
	s_mov_b32 s2, -1
	v_mad_u32_u24 v19, v0, s4, v1
	s_brev_b32 s3, -2
	s_lshl_b32 s0, -1, s17
	s_not_b32 s17, s0
	s_waitcnt lgkmcnt(0)
	s_barrier
	s_waitcnt lgkmcnt(0)
	; wave barrier
	s_waitcnt vmcnt(6)
	v_cmp_lt_i64_e32 vcc, -1, v[22:23]
	v_cndmask_b32_e32 v0, -1, v20, vcc
	v_ashrrev_i32_e32 v16, 31, v23
	v_xor_b32_e32 v1, v0, v23
	v_xor_b32_e32 v0, v16, v22
	v_cmp_ne_u64_e32 vcc, s[2:3], v[0:1]
	v_cndmask_b32_e32 v17, v20, v1, vcc
	v_cndmask_b32_e32 v16, 0, v0, vcc
	v_lshrrev_b64 v[16:17], s16, v[16:17]
	s_waitcnt vmcnt(5)
	v_mad_u64_u32 v[22:23], s[0:1], v19, v7, v[2:3]
	v_and_b32_e32 v16, s17, v16
	v_lshrrev_b32_e32 v21, 6, v22
	v_lshl_add_u32 v17, v16, 4, v16
	v_and_b32_e32 v22, 1, v16
	v_add_lshl_u32 v19, v21, v17, 2
	v_add_co_u32_e32 v17, vcc, -1, v22
	v_lshlrev_b32_e32 v7, 30, v16
	v_addc_co_u32_e64 v23, s[0:1], 0, -1, vcc
	v_cmp_ne_u32_e32 vcc, 0, v22
	v_cmp_gt_i64_e64 s[0:1], 0, v[6:7]
	v_not_b32_e32 v22, v7
	v_lshlrev_b32_e32 v7, 29, v16
	v_xor_b32_e32 v23, vcc_hi, v23
	v_xor_b32_e32 v17, vcc_lo, v17
	v_ashrrev_i32_e32 v22, 31, v22
	v_cmp_gt_i64_e32 vcc, 0, v[6:7]
	v_not_b32_e32 v24, v7
	v_lshlrev_b32_e32 v7, 28, v16
	v_and_b32_e32 v23, exec_hi, v23
	v_and_b32_e32 v17, exec_lo, v17
	v_xor_b32_e32 v25, s1, v22
	v_xor_b32_e32 v22, s0, v22
	v_ashrrev_i32_e32 v24, 31, v24
	v_cmp_gt_i64_e64 s[0:1], 0, v[6:7]
	v_not_b32_e32 v7, v7
	v_and_b32_e32 v23, v23, v25
	v_and_b32_e32 v17, v17, v22
	v_xor_b32_e32 v22, vcc_hi, v24
	v_xor_b32_e32 v24, vcc_lo, v24
	v_ashrrev_i32_e32 v7, 31, v7
	v_and_b32_e32 v22, v23, v22
	v_and_b32_e32 v17, v17, v24
	v_xor_b32_e32 v23, s1, v7
	v_xor_b32_e32 v7, s0, v7
	v_and_b32_e32 v17, v17, v7
	v_lshlrev_b32_e32 v7, 27, v16
	v_cmp_gt_i64_e32 vcc, 0, v[6:7]
	v_not_b32_e32 v7, v7
	v_ashrrev_i32_e32 v7, 31, v7
	v_and_b32_e32 v22, v22, v23
	v_xor_b32_e32 v23, vcc_hi, v7
	v_xor_b32_e32 v7, vcc_lo, v7
	v_and_b32_e32 v17, v17, v7
	v_lshlrev_b32_e32 v7, 26, v16
	v_cmp_gt_i64_e32 vcc, 0, v[6:7]
	v_not_b32_e32 v7, v7
	v_ashrrev_i32_e32 v7, 31, v7
	v_and_b32_e32 v22, v22, v23
	v_xor_b32_e32 v23, vcc_hi, v7
	v_xor_b32_e32 v7, vcc_lo, v7
	;; [unrolled: 8-line block ×3, first 2 shown]
	v_and_b32_e32 v22, v22, v23
	v_and_b32_e32 v23, v17, v7
	v_lshlrev_b32_e32 v7, 24, v16
	v_cmp_gt_i64_e32 vcc, 0, v[6:7]
	v_not_b32_e32 v7, v7
	v_ashrrev_i32_e32 v7, 31, v7
	v_xor_b32_e32 v16, vcc_hi, v7
	v_xor_b32_e32 v7, vcc_lo, v7
	v_and_b32_e32 v17, v22, v16
	v_and_b32_e32 v16, v23, v7
	v_mbcnt_lo_u32_b32 v7, v16, 0
	v_mbcnt_hi_u32_b32 v22, v17, v7
	v_cmp_eq_u32_e32 vcc, 0, v22
	v_cmp_ne_u64_e64 s[0:1], 0, v[16:17]
	s_and_b64 s[4:5], s[0:1], vcc
	s_and_saveexec_b64 s[0:1], s[4:5]
	s_cbranch_execz .LBB1385_57
; %bb.56:
	v_bcnt_u32_b32 v7, v16, 0
	v_bcnt_u32_b32 v7, v17, v7
	ds_write_b32 v19, v7 offset:64
.LBB1385_57:
	s_or_b64 exec, exec, s[0:1]
	s_waitcnt vmcnt(4)
	v_cmp_lt_i64_e32 vcc, -1, v[4:5]
	v_cndmask_b32_e32 v7, -1, v20, vcc
	v_ashrrev_i32_e32 v16, 31, v5
	v_xor_b32_e32 v5, v7, v5
	v_xor_b32_e32 v4, v16, v4
	v_cmp_ne_u64_e32 vcc, s[2:3], v[4:5]
	v_cndmask_b32_e32 v17, v20, v5, vcc
	v_cndmask_b32_e32 v16, 0, v4, vcc
	v_lshrrev_b64 v[16:17], s16, v[16:17]
	v_and_b32_e32 v16, s17, v16
	v_lshl_add_u32 v7, v16, 4, v16
	v_add_lshl_u32 v20, v21, v7, 2
	v_and_b32_e32 v7, 1, v16
	v_add_co_u32_e32 v17, vcc, -1, v7
	v_addc_co_u32_e64 v24, s[0:1], 0, -1, vcc
	v_cmp_ne_u32_e32 vcc, 0, v7
	v_xor_b32_e32 v7, vcc_hi, v24
	v_and_b32_e32 v24, exec_hi, v7
	v_lshlrev_b32_e32 v7, 30, v16
	v_xor_b32_e32 v17, vcc_lo, v17
	v_cmp_gt_i64_e32 vcc, 0, v[6:7]
	v_not_b32_e32 v7, v7
	v_ashrrev_i32_e32 v7, 31, v7
	v_and_b32_e32 v17, exec_lo, v17
	v_xor_b32_e32 v25, vcc_hi, v7
	v_xor_b32_e32 v7, vcc_lo, v7
	v_and_b32_e32 v17, v17, v7
	v_lshlrev_b32_e32 v7, 29, v16
	v_cmp_gt_i64_e32 vcc, 0, v[6:7]
	v_not_b32_e32 v7, v7
	v_ashrrev_i32_e32 v7, 31, v7
	v_and_b32_e32 v24, v24, v25
	v_xor_b32_e32 v25, vcc_hi, v7
	v_xor_b32_e32 v7, vcc_lo, v7
	v_and_b32_e32 v17, v17, v7
	v_lshlrev_b32_e32 v7, 28, v16
	v_cmp_gt_i64_e32 vcc, 0, v[6:7]
	v_not_b32_e32 v7, v7
	v_ashrrev_i32_e32 v7, 31, v7
	v_and_b32_e32 v24, v24, v25
	;; [unrolled: 8-line block ×5, first 2 shown]
	v_xor_b32_e32 v25, vcc_hi, v7
	v_xor_b32_e32 v7, vcc_lo, v7
	v_and_b32_e32 v17, v17, v7
	v_lshlrev_b32_e32 v7, 24, v16
	v_cmp_gt_i64_e32 vcc, 0, v[6:7]
	v_not_b32_e32 v6, v7
	v_ashrrev_i32_e32 v6, 31, v6
	v_xor_b32_e32 v7, vcc_hi, v6
	v_xor_b32_e32 v6, vcc_lo, v6
	; wave barrier
	ds_read_b32 v23, v20 offset:64
	v_and_b32_e32 v24, v24, v25
	v_and_b32_e32 v6, v17, v6
	v_and_b32_e32 v7, v24, v7
	v_mbcnt_lo_u32_b32 v16, v6, 0
	v_mbcnt_hi_u32_b32 v24, v7, v16
	v_cmp_eq_u32_e32 vcc, 0, v24
	v_cmp_ne_u64_e64 s[0:1], 0, v[6:7]
	s_and_b64 s[2:3], s[0:1], vcc
	; wave barrier
	s_and_saveexec_b64 s[0:1], s[2:3]
	s_cbranch_execz .LBB1385_59
; %bb.58:
	v_bcnt_u32_b32 v6, v6, 0
	v_bcnt_u32_b32 v6, v7, v6
	s_waitcnt lgkmcnt(0)
	v_add_u32_e32 v6, v23, v6
	ds_write_b32 v20, v6 offset:64
.LBB1385_59:
	s_or_b64 exec, exec, s[0:1]
	v_bfrev_b32_e32 v27, 1
	s_waitcnt vmcnt(3)
	v_cmp_lt_i64_e32 vcc, -1, v[14:15]
	s_mov_b32 s2, -1
	v_cndmask_b32_e32 v6, -1, v27, vcc
	v_ashrrev_i32_e32 v16, 31, v15
	s_brev_b32 s3, -2
	v_xor_b32_e32 v7, v6, v15
	v_xor_b32_e32 v6, v16, v14
	v_cmp_ne_u64_e32 vcc, s[2:3], v[6:7]
	v_cndmask_b32_e32 v17, v27, v7, vcc
	v_cndmask_b32_e32 v16, 0, v6, vcc
	v_lshrrev_b64 v[16:17], s16, v[16:17]
	v_and_b32_e32 v16, s17, v16
	v_lshl_add_u32 v15, v16, 4, v16
	v_add_lshl_u32 v28, v21, v15, 2
	v_and_b32_e32 v15, 1, v16
	v_add_co_u32_e32 v17, vcc, -1, v15
	v_addc_co_u32_e64 v26, s[0:1], 0, -1, vcc
	v_cmp_ne_u32_e32 vcc, 0, v15
	v_xor_b32_e32 v15, vcc_hi, v26
	v_mov_b32_e32 v14, 0
	v_and_b32_e32 v26, exec_hi, v15
	v_lshlrev_b32_e32 v15, 30, v16
	v_xor_b32_e32 v17, vcc_lo, v17
	v_cmp_gt_i64_e32 vcc, 0, v[14:15]
	v_not_b32_e32 v15, v15
	v_ashrrev_i32_e32 v15, 31, v15
	v_and_b32_e32 v17, exec_lo, v17
	v_xor_b32_e32 v29, vcc_hi, v15
	v_xor_b32_e32 v15, vcc_lo, v15
	v_and_b32_e32 v17, v17, v15
	v_lshlrev_b32_e32 v15, 29, v16
	v_cmp_gt_i64_e32 vcc, 0, v[14:15]
	v_not_b32_e32 v15, v15
	v_ashrrev_i32_e32 v15, 31, v15
	v_and_b32_e32 v26, v26, v29
	v_xor_b32_e32 v29, vcc_hi, v15
	v_xor_b32_e32 v15, vcc_lo, v15
	v_and_b32_e32 v17, v17, v15
	v_lshlrev_b32_e32 v15, 28, v16
	v_cmp_gt_i64_e32 vcc, 0, v[14:15]
	v_not_b32_e32 v15, v15
	v_ashrrev_i32_e32 v15, 31, v15
	v_and_b32_e32 v26, v26, v29
	;; [unrolled: 8-line block ×5, first 2 shown]
	v_xor_b32_e32 v29, vcc_hi, v15
	v_xor_b32_e32 v15, vcc_lo, v15
	v_and_b32_e32 v26, v26, v29
	v_and_b32_e32 v29, v17, v15
	v_lshlrev_b32_e32 v15, 24, v16
	v_cmp_gt_i64_e32 vcc, 0, v[14:15]
	v_not_b32_e32 v15, v15
	v_ashrrev_i32_e32 v15, 31, v15
	v_xor_b32_e32 v16, vcc_hi, v15
	v_xor_b32_e32 v15, vcc_lo, v15
	; wave barrier
	ds_read_b32 v25, v28 offset:64
	v_and_b32_e32 v17, v26, v16
	v_and_b32_e32 v16, v29, v15
	v_mbcnt_lo_u32_b32 v15, v16, 0
	v_mbcnt_hi_u32_b32 v26, v17, v15
	v_cmp_eq_u32_e32 vcc, 0, v26
	v_cmp_ne_u64_e64 s[0:1], 0, v[16:17]
	s_and_b64 s[4:5], s[0:1], vcc
	; wave barrier
	s_and_saveexec_b64 s[0:1], s[4:5]
	s_cbranch_execz .LBB1385_61
; %bb.60:
	v_bcnt_u32_b32 v15, v16, 0
	v_bcnt_u32_b32 v15, v17, v15
	s_waitcnt lgkmcnt(0)
	v_add_u32_e32 v15, v25, v15
	ds_write_b32 v28, v15 offset:64
.LBB1385_61:
	s_or_b64 exec, exec, s[0:1]
	s_waitcnt vmcnt(2)
	v_cmp_lt_i64_e32 vcc, -1, v[8:9]
	v_cndmask_b32_e32 v15, -1, v27, vcc
	v_ashrrev_i32_e32 v16, 31, v9
	v_xor_b32_e32 v9, v15, v9
	v_xor_b32_e32 v8, v16, v8
	v_cmp_ne_u64_e32 vcc, s[2:3], v[8:9]
	v_cndmask_b32_e32 v17, v27, v9, vcc
	v_cndmask_b32_e32 v16, 0, v8, vcc
	v_lshrrev_b64 v[16:17], s16, v[16:17]
	v_and_b32_e32 v16, s17, v16
	v_lshl_add_u32 v15, v16, 4, v16
	v_add_lshl_u32 v29, v21, v15, 2
	v_and_b32_e32 v15, 1, v16
	v_add_co_u32_e32 v17, vcc, -1, v15
	v_addc_co_u32_e64 v30, s[0:1], 0, -1, vcc
	v_cmp_ne_u32_e32 vcc, 0, v15
	v_xor_b32_e32 v15, vcc_hi, v30
	v_and_b32_e32 v30, exec_hi, v15
	v_lshlrev_b32_e32 v15, 30, v16
	v_xor_b32_e32 v17, vcc_lo, v17
	v_cmp_gt_i64_e32 vcc, 0, v[14:15]
	v_not_b32_e32 v15, v15
	v_ashrrev_i32_e32 v15, 31, v15
	v_and_b32_e32 v17, exec_lo, v17
	v_xor_b32_e32 v31, vcc_hi, v15
	v_xor_b32_e32 v15, vcc_lo, v15
	v_and_b32_e32 v17, v17, v15
	v_lshlrev_b32_e32 v15, 29, v16
	v_cmp_gt_i64_e32 vcc, 0, v[14:15]
	v_not_b32_e32 v15, v15
	v_ashrrev_i32_e32 v15, 31, v15
	v_and_b32_e32 v30, v30, v31
	v_xor_b32_e32 v31, vcc_hi, v15
	v_xor_b32_e32 v15, vcc_lo, v15
	v_and_b32_e32 v17, v17, v15
	v_lshlrev_b32_e32 v15, 28, v16
	v_cmp_gt_i64_e32 vcc, 0, v[14:15]
	v_not_b32_e32 v15, v15
	v_ashrrev_i32_e32 v15, 31, v15
	v_and_b32_e32 v30, v30, v31
	;; [unrolled: 8-line block ×5, first 2 shown]
	v_xor_b32_e32 v31, vcc_hi, v15
	v_xor_b32_e32 v15, vcc_lo, v15
	v_and_b32_e32 v17, v17, v15
	v_lshlrev_b32_e32 v15, 24, v16
	v_cmp_gt_i64_e32 vcc, 0, v[14:15]
	v_not_b32_e32 v14, v15
	v_ashrrev_i32_e32 v14, 31, v14
	v_xor_b32_e32 v15, vcc_hi, v14
	v_xor_b32_e32 v14, vcc_lo, v14
	; wave barrier
	ds_read_b32 v27, v29 offset:64
	v_and_b32_e32 v30, v30, v31
	v_and_b32_e32 v14, v17, v14
	;; [unrolled: 1-line block ×3, first 2 shown]
	v_mbcnt_lo_u32_b32 v16, v14, 0
	v_mbcnt_hi_u32_b32 v30, v15, v16
	v_cmp_eq_u32_e32 vcc, 0, v30
	v_cmp_ne_u64_e64 s[0:1], 0, v[14:15]
	s_and_b64 s[2:3], s[0:1], vcc
	; wave barrier
	s_and_saveexec_b64 s[0:1], s[2:3]
	s_cbranch_execz .LBB1385_63
; %bb.62:
	v_bcnt_u32_b32 v14, v14, 0
	v_bcnt_u32_b32 v14, v15, v14
	s_waitcnt lgkmcnt(0)
	v_add_u32_e32 v14, v27, v14
	ds_write_b32 v29, v14 offset:64
.LBB1385_63:
	s_or_b64 exec, exec, s[0:1]
	v_bfrev_b32_e32 v33, 1
	s_waitcnt vmcnt(1)
	v_cmp_lt_i64_e32 vcc, -1, v[10:11]
	s_mov_b32 s2, -1
	v_cndmask_b32_e32 v14, -1, v33, vcc
	v_ashrrev_i32_e32 v15, 31, v11
	s_brev_b32 s3, -2
	v_xor_b32_e32 v11, v14, v11
	v_xor_b32_e32 v10, v15, v10
	v_cmp_ne_u64_e32 vcc, s[2:3], v[10:11]
	v_cndmask_b32_e32 v15, v33, v11, vcc
	v_cndmask_b32_e32 v14, 0, v10, vcc
	v_lshrrev_b64 v[14:15], s16, v[14:15]
	v_and_b32_e32 v14, s17, v14
	v_lshl_add_u32 v15, v14, 4, v14
	v_add_lshl_u32 v34, v15, v21, 2
	v_and_b32_e32 v15, 1, v14
	v_add_co_u32_e32 v17, vcc, -1, v15
	v_addc_co_u32_e64 v32, s[0:1], 0, -1, vcc
	v_cmp_ne_u32_e32 vcc, 0, v15
	v_xor_b32_e32 v17, vcc_lo, v17
	v_mov_b32_e32 v16, 0
	v_xor_b32_e32 v15, vcc_hi, v32
	v_and_b32_e32 v32, exec_lo, v17
	v_lshlrev_b32_e32 v17, 30, v14
	v_cmp_gt_i64_e32 vcc, 0, v[16:17]
	v_not_b32_e32 v17, v17
	v_ashrrev_i32_e32 v17, 31, v17
	v_xor_b32_e32 v35, vcc_hi, v17
	v_xor_b32_e32 v17, vcc_lo, v17
	v_and_b32_e32 v32, v32, v17
	v_lshlrev_b32_e32 v17, 29, v14
	v_cmp_gt_i64_e32 vcc, 0, v[16:17]
	v_not_b32_e32 v17, v17
	v_and_b32_e32 v15, exec_hi, v15
	v_ashrrev_i32_e32 v17, 31, v17
	v_and_b32_e32 v15, v15, v35
	v_xor_b32_e32 v35, vcc_hi, v17
	v_xor_b32_e32 v17, vcc_lo, v17
	v_and_b32_e32 v32, v32, v17
	v_lshlrev_b32_e32 v17, 28, v14
	v_cmp_gt_i64_e32 vcc, 0, v[16:17]
	v_not_b32_e32 v17, v17
	v_ashrrev_i32_e32 v17, 31, v17
	v_and_b32_e32 v15, v15, v35
	v_xor_b32_e32 v35, vcc_hi, v17
	v_xor_b32_e32 v17, vcc_lo, v17
	v_and_b32_e32 v32, v32, v17
	v_lshlrev_b32_e32 v17, 27, v14
	v_cmp_gt_i64_e32 vcc, 0, v[16:17]
	v_not_b32_e32 v17, v17
	v_ashrrev_i32_e32 v17, 31, v17
	v_and_b32_e32 v15, v15, v35
	v_xor_b32_e32 v35, vcc_hi, v17
	v_xor_b32_e32 v17, vcc_lo, v17
	v_and_b32_e32 v32, v32, v17
	v_lshlrev_b32_e32 v17, 26, v14
	v_cmp_gt_i64_e32 vcc, 0, v[16:17]
	v_not_b32_e32 v17, v17
	v_ashrrev_i32_e32 v17, 31, v17
	v_and_b32_e32 v15, v15, v35
	v_xor_b32_e32 v35, vcc_hi, v17
	v_xor_b32_e32 v17, vcc_lo, v17
	v_and_b32_e32 v32, v32, v17
	v_lshlrev_b32_e32 v17, 25, v14
	v_cmp_gt_i64_e32 vcc, 0, v[16:17]
	v_not_b32_e32 v17, v17
	v_ashrrev_i32_e32 v17, 31, v17
	v_and_b32_e32 v15, v15, v35
	v_xor_b32_e32 v35, vcc_hi, v17
	v_xor_b32_e32 v17, vcc_lo, v17
	v_and_b32_e32 v32, v32, v17
	v_lshlrev_b32_e32 v17, 24, v14
	v_not_b32_e32 v14, v17
	v_cmp_gt_i64_e32 vcc, 0, v[16:17]
	v_ashrrev_i32_e32 v14, 31, v14
	v_xor_b32_e32 v17, vcc_hi, v14
	v_xor_b32_e32 v14, vcc_lo, v14
	; wave barrier
	ds_read_b32 v31, v34 offset:64
	v_and_b32_e32 v15, v15, v35
	v_and_b32_e32 v14, v32, v14
	;; [unrolled: 1-line block ×3, first 2 shown]
	v_mbcnt_lo_u32_b32 v17, v14, 0
	v_mbcnt_hi_u32_b32 v32, v15, v17
	v_cmp_eq_u32_e32 vcc, 0, v32
	v_cmp_ne_u64_e64 s[0:1], 0, v[14:15]
	s_and_b64 s[4:5], s[0:1], vcc
	; wave barrier
	s_and_saveexec_b64 s[0:1], s[4:5]
	s_cbranch_execz .LBB1385_65
; %bb.64:
	v_bcnt_u32_b32 v14, v14, 0
	v_bcnt_u32_b32 v14, v15, v14
	s_waitcnt lgkmcnt(0)
	v_add_u32_e32 v14, v31, v14
	ds_write_b32 v34, v14 offset:64
.LBB1385_65:
	s_or_b64 exec, exec, s[0:1]
	s_waitcnt vmcnt(0)
	v_cmp_lt_i64_e32 vcc, -1, v[12:13]
	v_cndmask_b32_e32 v14, -1, v33, vcc
	v_ashrrev_i32_e32 v17, 31, v13
	v_xor_b32_e32 v15, v14, v13
	v_xor_b32_e32 v14, v17, v12
	v_cmp_ne_u64_e32 vcc, s[2:3], v[14:15]
	v_cndmask_b32_e32 v13, v33, v15, vcc
	v_cndmask_b32_e32 v12, 0, v14, vcc
	v_lshrrev_b64 v[12:13], s16, v[12:13]
	v_and_b32_e32 v12, s17, v12
	v_lshl_add_u32 v13, v12, 4, v12
	v_add_lshl_u32 v21, v13, v21, 2
	v_and_b32_e32 v13, 1, v12
	v_add_co_u32_e32 v17, vcc, -1, v13
	v_addc_co_u32_e64 v35, s[0:1], 0, -1, vcc
	v_cmp_ne_u32_e32 vcc, 0, v13
	v_xor_b32_e32 v17, vcc_lo, v17
	v_xor_b32_e32 v13, vcc_hi, v35
	v_and_b32_e32 v35, exec_lo, v17
	v_lshlrev_b32_e32 v17, 30, v12
	v_cmp_gt_i64_e32 vcc, 0, v[16:17]
	v_not_b32_e32 v17, v17
	v_ashrrev_i32_e32 v17, 31, v17
	v_xor_b32_e32 v37, vcc_hi, v17
	v_xor_b32_e32 v17, vcc_lo, v17
	v_and_b32_e32 v35, v35, v17
	v_lshlrev_b32_e32 v17, 29, v12
	v_cmp_gt_i64_e32 vcc, 0, v[16:17]
	v_not_b32_e32 v17, v17
	v_and_b32_e32 v13, exec_hi, v13
	v_ashrrev_i32_e32 v17, 31, v17
	v_and_b32_e32 v13, v13, v37
	v_xor_b32_e32 v37, vcc_hi, v17
	v_xor_b32_e32 v17, vcc_lo, v17
	v_and_b32_e32 v35, v35, v17
	v_lshlrev_b32_e32 v17, 28, v12
	v_cmp_gt_i64_e32 vcc, 0, v[16:17]
	v_not_b32_e32 v17, v17
	v_ashrrev_i32_e32 v17, 31, v17
	v_and_b32_e32 v13, v13, v37
	v_xor_b32_e32 v37, vcc_hi, v17
	v_xor_b32_e32 v17, vcc_lo, v17
	v_and_b32_e32 v35, v35, v17
	v_lshlrev_b32_e32 v17, 27, v12
	v_cmp_gt_i64_e32 vcc, 0, v[16:17]
	v_not_b32_e32 v17, v17
	;; [unrolled: 8-line block ×4, first 2 shown]
	v_ashrrev_i32_e32 v17, 31, v17
	v_and_b32_e32 v13, v13, v37
	v_xor_b32_e32 v37, vcc_hi, v17
	v_xor_b32_e32 v17, vcc_lo, v17
	v_and_b32_e32 v35, v35, v17
	v_lshlrev_b32_e32 v17, 24, v12
	v_not_b32_e32 v12, v17
	v_cmp_gt_i64_e32 vcc, 0, v[16:17]
	v_ashrrev_i32_e32 v12, 31, v12
	v_xor_b32_e32 v16, vcc_hi, v12
	v_xor_b32_e32 v12, vcc_lo, v12
	; wave barrier
	ds_read_b32 v33, v21 offset:64
	v_and_b32_e32 v13, v13, v37
	v_and_b32_e32 v12, v35, v12
	;; [unrolled: 1-line block ×3, first 2 shown]
	v_mbcnt_lo_u32_b32 v16, v12, 0
	v_mbcnt_hi_u32_b32 v35, v13, v16
	v_cmp_eq_u32_e32 vcc, 0, v35
	v_cmp_ne_u64_e64 s[0:1], 0, v[12:13]
	v_add_u32_e32 v36, 64, v18
	s_and_b64 s[2:3], s[0:1], vcc
	; wave barrier
	s_and_saveexec_b64 s[0:1], s[2:3]
	s_cbranch_execz .LBB1385_67
; %bb.66:
	v_bcnt_u32_b32 v12, v12, 0
	v_bcnt_u32_b32 v12, v13, v12
	s_waitcnt lgkmcnt(0)
	v_add_u32_e32 v12, v33, v12
	ds_write_b32 v21, v12 offset:64
.LBB1385_67:
	s_or_b64 exec, exec, s[0:1]
	; wave barrier
	s_waitcnt lgkmcnt(0)
	s_barrier
	ds_read2_b32 v[16:17], v18 offset0:16 offset1:17
	ds_read2_b32 v[12:13], v36 offset0:2 offset1:3
	ds_read_b32 v37, v36 offset:16
	v_cmp_lt_u32_e64 s[8:9], 31, v3
	s_waitcnt lgkmcnt(1)
	v_add3_u32 v38, v17, v16, v12
	s_waitcnt lgkmcnt(0)
	v_add3_u32 v37, v38, v13, v37
	v_and_b32_e32 v38, 15, v3
	v_cmp_eq_u32_e32 vcc, 0, v38
	v_mov_b32_dpp v39, v37 row_shr:1 row_mask:0xf bank_mask:0xf
	v_cndmask_b32_e64 v39, v39, 0, vcc
	v_add_u32_e32 v37, v39, v37
	v_cmp_lt_u32_e64 s[0:1], 1, v38
	v_cmp_lt_u32_e64 s[2:3], 3, v38
	v_mov_b32_dpp v39, v37 row_shr:2 row_mask:0xf bank_mask:0xf
	v_cndmask_b32_e64 v39, 0, v39, s[0:1]
	v_add_u32_e32 v37, v37, v39
	v_cmp_lt_u32_e64 s[4:5], 7, v38
	s_nop 0
	v_mov_b32_dpp v39, v37 row_shr:4 row_mask:0xf bank_mask:0xf
	v_cndmask_b32_e64 v39, 0, v39, s[2:3]
	v_add_u32_e32 v37, v37, v39
	s_nop 1
	v_mov_b32_dpp v39, v37 row_shr:8 row_mask:0xf bank_mask:0xf
	v_cndmask_b32_e64 v38, 0, v39, s[4:5]
	v_add_u32_e32 v37, v37, v38
	v_bfe_i32 v39, v3, 4, 1
	s_nop 0
	v_mov_b32_dpp v38, v37 row_bcast:15 row_mask:0xf bank_mask:0xf
	v_and_b32_e32 v38, v39, v38
	v_add_u32_e32 v37, v37, v38
	v_and_b32_e32 v39, 63, v2
	s_nop 0
	v_mov_b32_dpp v38, v37 row_bcast:31 row_mask:0xf bank_mask:0xf
	v_cndmask_b32_e64 v38, 0, v38, s[8:9]
	v_add_u32_e32 v37, v37, v38
	v_lshrrev_b32_e32 v38, 6, v2
	v_cmp_eq_u32_e64 s[8:9], 63, v39
	s_and_saveexec_b64 s[10:11], s[8:9]
	s_cbranch_execz .LBB1385_69
; %bb.68:
	v_lshlrev_b32_e32 v39, 2, v38
	ds_write_b32 v39, v37
.LBB1385_69:
	s_or_b64 exec, exec, s[10:11]
	v_cmp_gt_u32_e64 s[8:9], 16, v2
	s_waitcnt lgkmcnt(0)
	s_barrier
	s_and_saveexec_b64 s[10:11], s[8:9]
	s_cbranch_execz .LBB1385_71
; %bb.70:
	v_lshlrev_b32_e32 v39, 2, v2
	ds_read_b32 v40, v39
	s_waitcnt lgkmcnt(0)
	s_nop 0
	v_mov_b32_dpp v41, v40 row_shr:1 row_mask:0xf bank_mask:0xf
	v_cndmask_b32_e64 v41, v41, 0, vcc
	v_add_u32_e32 v40, v41, v40
	s_nop 1
	v_mov_b32_dpp v41, v40 row_shr:2 row_mask:0xf bank_mask:0xf
	v_cndmask_b32_e64 v41, 0, v41, s[0:1]
	v_add_u32_e32 v40, v40, v41
	s_nop 1
	v_mov_b32_dpp v41, v40 row_shr:4 row_mask:0xf bank_mask:0xf
	v_cndmask_b32_e64 v41, 0, v41, s[2:3]
	;; [unrolled: 4-line block ×3, first 2 shown]
	v_add_u32_e32 v40, v40, v41
	ds_write_b32 v39, v40
.LBB1385_71:
	s_or_b64 exec, exec, s[10:11]
	v_cmp_lt_u32_e32 vcc, 63, v2
	v_mov_b32_e32 v39, 0
	s_waitcnt lgkmcnt(0)
	s_barrier
	s_and_saveexec_b64 s[0:1], vcc
	s_cbranch_execz .LBB1385_73
; %bb.72:
	v_lshl_add_u32 v38, v38, 2, -4
	ds_read_b32 v39, v38
.LBB1385_73:
	s_or_b64 exec, exec, s[0:1]
	v_add_u32_e32 v38, -1, v3
	v_and_b32_e32 v40, 64, v3
	v_cmp_lt_i32_e32 vcc, v38, v40
	v_cndmask_b32_e32 v38, v38, v3, vcc
	s_waitcnt lgkmcnt(0)
	v_add_u32_e32 v37, v39, v37
	v_lshlrev_b32_e32 v38, 2, v38
	ds_bpermute_b32 v37, v38, v37
	v_cmp_eq_u32_e32 vcc, 0, v3
	s_movk_i32 s2, 0xff
	s_movk_i32 s0, 0x100
	v_cmp_gt_u32_e64 s[0:1], s0, v2
	s_waitcnt lgkmcnt(0)
	v_cndmask_b32_e32 v3, v37, v39, vcc
	v_cmp_ne_u32_e32 vcc, 0, v2
	v_cndmask_b32_e32 v3, 0, v3, vcc
	v_add_u32_e32 v16, v3, v16
	v_add_u32_e32 v17, v16, v17
	;; [unrolled: 1-line block ×4, first 2 shown]
	ds_write2_b32 v18, v3, v16 offset0:16 offset1:17
	ds_write2_b32 v36, v17, v12 offset0:2 offset1:3
	ds_write_b32 v36, v13 offset:16
	s_waitcnt lgkmcnt(0)
	s_barrier
	ds_read_b32 v38, v19 offset:64
	ds_read_b32 v36, v20 offset:64
	;; [unrolled: 1-line block ×6, first 2 shown]
	v_cmp_lt_u32_e32 vcc, s2, v2
	v_pk_mov_b32 v[12:13], 0, 0
                                        ; implicit-def: $vgpr29
	s_and_saveexec_b64 s[4:5], s[0:1]
	s_cbranch_execz .LBB1385_77
; %bb.74:
	v_mul_u32_u24_e32 v3, 17, v2
	v_lshlrev_b32_e32 v13, 2, v3
	ds_read_b32 v12, v13 offset:64
	v_cmp_ne_u32_e64 s[2:3], s2, v2
	v_mov_b32_e32 v3, 0x1800
	s_and_saveexec_b64 s[8:9], s[2:3]
	s_cbranch_execz .LBB1385_76
; %bb.75:
	ds_read_b32 v3, v13 offset:132
.LBB1385_76:
	s_or_b64 exec, exec, s[8:9]
	s_waitcnt lgkmcnt(0)
	v_sub_u32_e32 v29, v3, v12
	v_mov_b32_e32 v13, 0
.LBB1385_77:
	s_or_b64 exec, exec, s[4:5]
	s_waitcnt lgkmcnt(0)
	s_barrier
	s_and_saveexec_b64 s[2:3], vcc
	s_xor_b64 s[2:3], exec, s[2:3]
; %bb.78:
	v_mov_b32_e32 v3, 0
; %bb.79:
	s_andn2_saveexec_b64 s[2:3], s[2:3]
	s_cbranch_execz .LBB1385_89
; %bb.80:
	v_lshl_or_b32 v16, s6, 8, v2
	v_mov_b32_e32 v17, 0
	v_lshlrev_b64 v[18:19], 2, v[16:17]
	v_mov_b32_e32 v3, s25
	v_add_co_u32_e32 v18, vcc, s24, v18
	v_addc_co_u32_e32 v19, vcc, v3, v19, vcc
	v_or_b32_e32 v16, 2.0, v29
	s_mov_b64 s[4:5], 0
	s_brev_b32 s18, 1
	s_mov_b32 s19, s6
	v_mov_b32_e32 v40, 0
	global_store_dword v[18:19], v16, off
                                        ; implicit-def: $sgpr8_sgpr9
	s_branch .LBB1385_83
.LBB1385_81:                            ;   in Loop: Header=BB1385_83 Depth=1
	s_or_b64 exec, exec, s[10:11]
.LBB1385_82:                            ;   in Loop: Header=BB1385_83 Depth=1
	s_or_b64 exec, exec, s[8:9]
	v_and_b32_e32 v20, 0x3fffffff, v41
	v_add_u32_e32 v40, v20, v40
	v_cmp_eq_u32_e64 s[8:9], s18, v16
	s_and_b64 s[10:11], exec, s[8:9]
	s_or_b64 s[4:5], s[10:11], s[4:5]
	s_andn2_b64 exec, exec, s[4:5]
	s_cbranch_execz .LBB1385_88
.LBB1385_83:                            ; =>This Loop Header: Depth=1
                                        ;     Child Loop BB1385_86 Depth 2
	s_or_b64 s[8:9], s[8:9], exec
	s_cmp_eq_u32 s19, 0
	s_cbranch_scc1 .LBB1385_87
; %bb.84:                               ;   in Loop: Header=BB1385_83 Depth=1
	s_add_i32 s19, s19, -1
	v_lshl_or_b32 v16, s19, 8, v2
	v_lshlrev_b64 v[20:21], 2, v[16:17]
	v_add_co_u32_e32 v20, vcc, s24, v20
	v_addc_co_u32_e32 v21, vcc, v3, v21, vcc
	global_load_dword v41, v[20:21], off glc
	s_waitcnt vmcnt(0)
	v_and_b32_e32 v16, -2.0, v41
	v_cmp_eq_u32_e32 vcc, 0, v16
	s_and_saveexec_b64 s[8:9], vcc
	s_cbranch_execz .LBB1385_82
; %bb.85:                               ;   in Loop: Header=BB1385_83 Depth=1
	s_mov_b64 s[10:11], 0
.LBB1385_86:                            ;   Parent Loop BB1385_83 Depth=1
                                        ; =>  This Inner Loop Header: Depth=2
	global_load_dword v41, v[20:21], off glc
	s_waitcnt vmcnt(0)
	v_and_b32_e32 v16, -2.0, v41
	v_cmp_ne_u32_e32 vcc, 0, v16
	s_or_b64 s[10:11], vcc, s[10:11]
	s_andn2_b64 exec, exec, s[10:11]
	s_cbranch_execnz .LBB1385_86
	s_branch .LBB1385_81
.LBB1385_87:                            ;   in Loop: Header=BB1385_83 Depth=1
                                        ; implicit-def: $sgpr19
	s_and_b64 s[10:11], exec, s[8:9]
	s_or_b64 s[4:5], s[10:11], s[4:5]
	s_andn2_b64 exec, exec, s[4:5]
	s_cbranch_execnz .LBB1385_83
.LBB1385_88:
	s_or_b64 exec, exec, s[4:5]
	v_add_u32_e32 v3, v40, v29
	v_or_b32_e32 v3, 0x80000000, v3
	global_store_dword v[18:19], v3, off
	v_lshlrev_b32_e32 v18, 3, v2
	global_load_dwordx2 v[16:17], v18, s[12:13]
	v_sub_co_u32_e32 v19, vcc, v40, v12
	v_subb_co_u32_e32 v20, vcc, 0, v13, vcc
	v_mov_b32_e32 v3, 0
	s_waitcnt vmcnt(0)
	v_add_co_u32_e32 v16, vcc, v19, v16
	v_addc_co_u32_e32 v17, vcc, v20, v17, vcc
	ds_write_b64 v18, v[16:17]
.LBB1385_89:
	s_or_b64 exec, exec, s[2:3]
	v_lshlrev_b64 v[16:17], 3, v[2:3]
	v_lshlrev_b32_e32 v19, 3, v2
	v_add3_u32 v23, v24, v36, v23
	v_mov_b32_e32 v24, s23
	v_add_co_u32_e32 v16, vcc, s22, v16
	s_mov_b32 s8, -1
	v_add_u32_e32 v18, v38, v22
	v_add_u32_e32 v20, 0x800, v19
	v_add3_u32 v21, v35, v39, v33
	v_add3_u32 v22, v32, v34, v31
	v_add3_u32 v27, v30, v37, v27
	v_add3_u32 v25, v26, v28, v25
	v_addc_co_u32_e32 v17, vcc, v24, v17, vcc
	s_mov_b32 s10, 0
	s_brev_b32 s9, -2
	v_bfrev_b32_e32 v24, 1
.LBB1385_90:                            ; =>This Inner Loop Header: Depth=1
	v_add_u32_e32 v26, s10, v18
	v_add_u32_e32 v30, s10, v25
	;; [unrolled: 1-line block ×6, first 2 shown]
	v_min_u32_e32 v26, 0x800, v26
	v_min_u32_e32 v30, 0x800, v30
	;; [unrolled: 1-line block ×6, first 2 shown]
	v_lshlrev_b32_e32 v26, 3, v26
	v_lshlrev_b32_e32 v30, 3, v30
	;; [unrolled: 1-line block ×6, first 2 shown]
	ds_write_b64 v26, v[0:1] offset:2048
	ds_write_b64 v28, v[4:5] offset:2048
	;; [unrolled: 1-line block ×6, first 2 shown]
	s_waitcnt lgkmcnt(0)
	s_barrier
	ds_read_b64 v[30:31], v19 offset:2048
	ds_read_b64 v[32:33], v20 offset:8192
	s_addk_i32 s10, 0xf800
	s_cmpk_lg_i32 s10, 0xe800
	s_waitcnt lgkmcnt(1)
	v_cmp_ne_u64_e32 vcc, s[8:9], v[30:31]
	v_cmp_lt_i64_e64 s[2:3], -1, v[30:31]
	v_cndmask_b32_e32 v35, v24, v31, vcc
	v_cndmask_b32_e64 v26, v24, -1, s[2:3]
	s_waitcnt lgkmcnt(0)
	v_cmp_ne_u64_e64 s[2:3], s[8:9], v[32:33]
	v_ashrrev_i32_e32 v39, 31, v33
	v_cndmask_b32_e32 v34, 0, v30, vcc
	v_ashrrev_i32_e32 v28, 31, v31
	v_cndmask_b32_e64 v37, v24, v33, s[2:3]
	v_xor_b32_e32 v31, v26, v31
	v_cndmask_b32_e64 v36, 0, v32, s[2:3]
	v_not_b32_e32 v26, v39
	v_lshrrev_b64 v[34:35], s16, v[34:35]
	v_cmp_lt_i64_e64 s[4:5], -1, v[32:33]
	v_not_b32_e32 v28, v28
	v_lshrrev_b64 v[36:37], s16, v[36:37]
	v_xor_b32_e32 v32, v26, v32
	v_and_b32_e32 v26, s17, v34
	v_xor_b32_e32 v30, v28, v30
	v_and_b32_e32 v28, s17, v36
	v_lshlrev_b32_e32 v26, 3, v26
	v_lshlrev_b32_e32 v28, 3, v28
	ds_read_b64 v[34:35], v26
	ds_read_b64 v[36:37], v28
	v_cndmask_b32_e64 v38, v24, -1, s[4:5]
	v_xor_b32_e32 v33, v38, v33
	s_waitcnt lgkmcnt(1)
	v_lshlrev_b64 v[34:35], 3, v[34:35]
	v_add_co_u32_e32 v34, vcc, v16, v34
	s_waitcnt lgkmcnt(0)
	v_lshlrev_b64 v[36:37], 3, v[36:37]
	v_addc_co_u32_e32 v35, vcc, v17, v35, vcc
	v_add_co_u32_e32 v26, vcc, v16, v36
	v_addc_co_u32_e32 v28, vcc, v17, v37, vcc
	global_store_dwordx2 v[34:35], v[30:31], off
	v_add_co_u32_e32 v30, vcc, 0x2000, v26
	v_addc_co_u32_e32 v31, vcc, 0, v28, vcc
	v_add_co_u32_e32 v16, vcc, 0x4000, v16
	v_addc_co_u32_e32 v17, vcc, 0, v17, vcc
	global_store_dwordx2 v[30:31], v[32:33], off
	s_barrier
	s_cbranch_scc1 .LBB1385_90
; %bb.91:
	s_add_i32 s7, s7, -1
	s_cmp_eq_u32 s7, s6
	s_cselect_b64 s[2:3], -1, 0
	s_and_b64 s[0:1], s[0:1], s[2:3]
.LBB1385_92:
	s_and_saveexec_b64 s[2:3], s[0:1]
	s_cbranch_execnz .LBB1385_94
; %bb.93:
	s_endpgm
.LBB1385_94:
	v_lshlrev_b32_e32 v6, 3, v2
	v_lshlrev_b64 v[0:1], 3, v[2:3]
	ds_read_b64 v[2:3], v6
	v_add_co_u32_e32 v4, vcc, v12, v29
	v_addc_co_u32_e32 v5, vcc, 0, v13, vcc
	v_mov_b32_e32 v7, s15
	v_add_co_u32_e32 v0, vcc, s14, v0
	v_addc_co_u32_e32 v1, vcc, v7, v1, vcc
	s_waitcnt lgkmcnt(0)
	v_add_co_u32_e32 v2, vcc, v4, v2
	v_addc_co_u32_e32 v3, vcc, v5, v3, vcc
	global_store_dwordx2 v[0:1], v[2:3], off
	s_endpgm
	.section	.rodata,"a",@progbits
	.p2align	6, 0x0
	.amdhsa_kernel _ZN7rocprim17ROCPRIM_400000_NS6detail17trampoline_kernelINS0_14default_configENS1_35radix_sort_onesweep_config_selectorIdNS0_10empty_typeEEEZZNS1_29radix_sort_onesweep_iterationIS3_Lb0EPdS8_PS5_S9_mNS0_19identity_decomposerENS1_16block_id_wrapperIjLb0EEEEE10hipError_tT1_PNSt15iterator_traitsISE_E10value_typeET2_T3_PNSF_ISK_E10value_typeET4_T5_PSP_SQ_PNS1_23onesweep_lookback_stateEbbT6_jjT7_P12ihipStream_tbENKUlT_T0_SE_SJ_E_clIS8_S8_S9_S9_EEDaSX_SY_SE_SJ_EUlSX_E_NS1_11comp_targetILNS1_3genE4ELNS1_11target_archE910ELNS1_3gpuE8ELNS1_3repE0EEENS1_47radix_sort_onesweep_sort_config_static_selectorELNS0_4arch9wavefront6targetE1EEEvSE_
		.amdhsa_group_segment_fixed_size 20552
		.amdhsa_private_segment_fixed_size 0
		.amdhsa_kernarg_size 344
		.amdhsa_user_sgpr_count 6
		.amdhsa_user_sgpr_private_segment_buffer 1
		.amdhsa_user_sgpr_dispatch_ptr 0
		.amdhsa_user_sgpr_queue_ptr 0
		.amdhsa_user_sgpr_kernarg_segment_ptr 1
		.amdhsa_user_sgpr_dispatch_id 0
		.amdhsa_user_sgpr_flat_scratch_init 0
		.amdhsa_user_sgpr_kernarg_preload_length 0
		.amdhsa_user_sgpr_kernarg_preload_offset 0
		.amdhsa_user_sgpr_private_segment_size 0
		.amdhsa_uses_dynamic_stack 0
		.amdhsa_system_sgpr_private_segment_wavefront_offset 0
		.amdhsa_system_sgpr_workgroup_id_x 1
		.amdhsa_system_sgpr_workgroup_id_y 0
		.amdhsa_system_sgpr_workgroup_id_z 0
		.amdhsa_system_sgpr_workgroup_info 0
		.amdhsa_system_vgpr_workitem_id 2
		.amdhsa_next_free_vgpr 44
		.amdhsa_next_free_sgpr 31
		.amdhsa_accum_offset 44
		.amdhsa_reserve_vcc 1
		.amdhsa_reserve_flat_scratch 0
		.amdhsa_float_round_mode_32 0
		.amdhsa_float_round_mode_16_64 0
		.amdhsa_float_denorm_mode_32 3
		.amdhsa_float_denorm_mode_16_64 3
		.amdhsa_dx10_clamp 1
		.amdhsa_ieee_mode 1
		.amdhsa_fp16_overflow 0
		.amdhsa_tg_split 0
		.amdhsa_exception_fp_ieee_invalid_op 0
		.amdhsa_exception_fp_denorm_src 0
		.amdhsa_exception_fp_ieee_div_zero 0
		.amdhsa_exception_fp_ieee_overflow 0
		.amdhsa_exception_fp_ieee_underflow 0
		.amdhsa_exception_fp_ieee_inexact 0
		.amdhsa_exception_int_div_zero 0
	.end_amdhsa_kernel
	.section	.text._ZN7rocprim17ROCPRIM_400000_NS6detail17trampoline_kernelINS0_14default_configENS1_35radix_sort_onesweep_config_selectorIdNS0_10empty_typeEEEZZNS1_29radix_sort_onesweep_iterationIS3_Lb0EPdS8_PS5_S9_mNS0_19identity_decomposerENS1_16block_id_wrapperIjLb0EEEEE10hipError_tT1_PNSt15iterator_traitsISE_E10value_typeET2_T3_PNSF_ISK_E10value_typeET4_T5_PSP_SQ_PNS1_23onesweep_lookback_stateEbbT6_jjT7_P12ihipStream_tbENKUlT_T0_SE_SJ_E_clIS8_S8_S9_S9_EEDaSX_SY_SE_SJ_EUlSX_E_NS1_11comp_targetILNS1_3genE4ELNS1_11target_archE910ELNS1_3gpuE8ELNS1_3repE0EEENS1_47radix_sort_onesweep_sort_config_static_selectorELNS0_4arch9wavefront6targetE1EEEvSE_,"axG",@progbits,_ZN7rocprim17ROCPRIM_400000_NS6detail17trampoline_kernelINS0_14default_configENS1_35radix_sort_onesweep_config_selectorIdNS0_10empty_typeEEEZZNS1_29radix_sort_onesweep_iterationIS3_Lb0EPdS8_PS5_S9_mNS0_19identity_decomposerENS1_16block_id_wrapperIjLb0EEEEE10hipError_tT1_PNSt15iterator_traitsISE_E10value_typeET2_T3_PNSF_ISK_E10value_typeET4_T5_PSP_SQ_PNS1_23onesweep_lookback_stateEbbT6_jjT7_P12ihipStream_tbENKUlT_T0_SE_SJ_E_clIS8_S8_S9_S9_EEDaSX_SY_SE_SJ_EUlSX_E_NS1_11comp_targetILNS1_3genE4ELNS1_11target_archE910ELNS1_3gpuE8ELNS1_3repE0EEENS1_47radix_sort_onesweep_sort_config_static_selectorELNS0_4arch9wavefront6targetE1EEEvSE_,comdat
.Lfunc_end1385:
	.size	_ZN7rocprim17ROCPRIM_400000_NS6detail17trampoline_kernelINS0_14default_configENS1_35radix_sort_onesweep_config_selectorIdNS0_10empty_typeEEEZZNS1_29radix_sort_onesweep_iterationIS3_Lb0EPdS8_PS5_S9_mNS0_19identity_decomposerENS1_16block_id_wrapperIjLb0EEEEE10hipError_tT1_PNSt15iterator_traitsISE_E10value_typeET2_T3_PNSF_ISK_E10value_typeET4_T5_PSP_SQ_PNS1_23onesweep_lookback_stateEbbT6_jjT7_P12ihipStream_tbENKUlT_T0_SE_SJ_E_clIS8_S8_S9_S9_EEDaSX_SY_SE_SJ_EUlSX_E_NS1_11comp_targetILNS1_3genE4ELNS1_11target_archE910ELNS1_3gpuE8ELNS1_3repE0EEENS1_47radix_sort_onesweep_sort_config_static_selectorELNS0_4arch9wavefront6targetE1EEEvSE_, .Lfunc_end1385-_ZN7rocprim17ROCPRIM_400000_NS6detail17trampoline_kernelINS0_14default_configENS1_35radix_sort_onesweep_config_selectorIdNS0_10empty_typeEEEZZNS1_29radix_sort_onesweep_iterationIS3_Lb0EPdS8_PS5_S9_mNS0_19identity_decomposerENS1_16block_id_wrapperIjLb0EEEEE10hipError_tT1_PNSt15iterator_traitsISE_E10value_typeET2_T3_PNSF_ISK_E10value_typeET4_T5_PSP_SQ_PNS1_23onesweep_lookback_stateEbbT6_jjT7_P12ihipStream_tbENKUlT_T0_SE_SJ_E_clIS8_S8_S9_S9_EEDaSX_SY_SE_SJ_EUlSX_E_NS1_11comp_targetILNS1_3genE4ELNS1_11target_archE910ELNS1_3gpuE8ELNS1_3repE0EEENS1_47radix_sort_onesweep_sort_config_static_selectorELNS0_4arch9wavefront6targetE1EEEvSE_
                                        ; -- End function
	.section	.AMDGPU.csdata,"",@progbits
; Kernel info:
; codeLenInByte = 9116
; NumSgprs: 35
; NumVgprs: 44
; NumAgprs: 0
; TotalNumVgprs: 44
; ScratchSize: 0
; MemoryBound: 0
; FloatMode: 240
; IeeeMode: 1
; LDSByteSize: 20552 bytes/workgroup (compile time only)
; SGPRBlocks: 4
; VGPRBlocks: 5
; NumSGPRsForWavesPerEU: 35
; NumVGPRsForWavesPerEU: 44
; AccumOffset: 44
; Occupancy: 8
; WaveLimiterHint : 1
; COMPUTE_PGM_RSRC2:SCRATCH_EN: 0
; COMPUTE_PGM_RSRC2:USER_SGPR: 6
; COMPUTE_PGM_RSRC2:TRAP_HANDLER: 0
; COMPUTE_PGM_RSRC2:TGID_X_EN: 1
; COMPUTE_PGM_RSRC2:TGID_Y_EN: 0
; COMPUTE_PGM_RSRC2:TGID_Z_EN: 0
; COMPUTE_PGM_RSRC2:TIDIG_COMP_CNT: 2
; COMPUTE_PGM_RSRC3_GFX90A:ACCUM_OFFSET: 10
; COMPUTE_PGM_RSRC3_GFX90A:TG_SPLIT: 0
	.section	.text._ZN7rocprim17ROCPRIM_400000_NS6detail17trampoline_kernelINS0_14default_configENS1_35radix_sort_onesweep_config_selectorIdNS0_10empty_typeEEEZZNS1_29radix_sort_onesweep_iterationIS3_Lb0EPdS8_PS5_S9_mNS0_19identity_decomposerENS1_16block_id_wrapperIjLb0EEEEE10hipError_tT1_PNSt15iterator_traitsISE_E10value_typeET2_T3_PNSF_ISK_E10value_typeET4_T5_PSP_SQ_PNS1_23onesweep_lookback_stateEbbT6_jjT7_P12ihipStream_tbENKUlT_T0_SE_SJ_E_clIS8_S8_S9_S9_EEDaSX_SY_SE_SJ_EUlSX_E_NS1_11comp_targetILNS1_3genE3ELNS1_11target_archE908ELNS1_3gpuE7ELNS1_3repE0EEENS1_47radix_sort_onesweep_sort_config_static_selectorELNS0_4arch9wavefront6targetE1EEEvSE_,"axG",@progbits,_ZN7rocprim17ROCPRIM_400000_NS6detail17trampoline_kernelINS0_14default_configENS1_35radix_sort_onesweep_config_selectorIdNS0_10empty_typeEEEZZNS1_29radix_sort_onesweep_iterationIS3_Lb0EPdS8_PS5_S9_mNS0_19identity_decomposerENS1_16block_id_wrapperIjLb0EEEEE10hipError_tT1_PNSt15iterator_traitsISE_E10value_typeET2_T3_PNSF_ISK_E10value_typeET4_T5_PSP_SQ_PNS1_23onesweep_lookback_stateEbbT6_jjT7_P12ihipStream_tbENKUlT_T0_SE_SJ_E_clIS8_S8_S9_S9_EEDaSX_SY_SE_SJ_EUlSX_E_NS1_11comp_targetILNS1_3genE3ELNS1_11target_archE908ELNS1_3gpuE7ELNS1_3repE0EEENS1_47radix_sort_onesweep_sort_config_static_selectorELNS0_4arch9wavefront6targetE1EEEvSE_,comdat
	.protected	_ZN7rocprim17ROCPRIM_400000_NS6detail17trampoline_kernelINS0_14default_configENS1_35radix_sort_onesweep_config_selectorIdNS0_10empty_typeEEEZZNS1_29radix_sort_onesweep_iterationIS3_Lb0EPdS8_PS5_S9_mNS0_19identity_decomposerENS1_16block_id_wrapperIjLb0EEEEE10hipError_tT1_PNSt15iterator_traitsISE_E10value_typeET2_T3_PNSF_ISK_E10value_typeET4_T5_PSP_SQ_PNS1_23onesweep_lookback_stateEbbT6_jjT7_P12ihipStream_tbENKUlT_T0_SE_SJ_E_clIS8_S8_S9_S9_EEDaSX_SY_SE_SJ_EUlSX_E_NS1_11comp_targetILNS1_3genE3ELNS1_11target_archE908ELNS1_3gpuE7ELNS1_3repE0EEENS1_47radix_sort_onesweep_sort_config_static_selectorELNS0_4arch9wavefront6targetE1EEEvSE_ ; -- Begin function _ZN7rocprim17ROCPRIM_400000_NS6detail17trampoline_kernelINS0_14default_configENS1_35radix_sort_onesweep_config_selectorIdNS0_10empty_typeEEEZZNS1_29radix_sort_onesweep_iterationIS3_Lb0EPdS8_PS5_S9_mNS0_19identity_decomposerENS1_16block_id_wrapperIjLb0EEEEE10hipError_tT1_PNSt15iterator_traitsISE_E10value_typeET2_T3_PNSF_ISK_E10value_typeET4_T5_PSP_SQ_PNS1_23onesweep_lookback_stateEbbT6_jjT7_P12ihipStream_tbENKUlT_T0_SE_SJ_E_clIS8_S8_S9_S9_EEDaSX_SY_SE_SJ_EUlSX_E_NS1_11comp_targetILNS1_3genE3ELNS1_11target_archE908ELNS1_3gpuE7ELNS1_3repE0EEENS1_47radix_sort_onesweep_sort_config_static_selectorELNS0_4arch9wavefront6targetE1EEEvSE_
	.globl	_ZN7rocprim17ROCPRIM_400000_NS6detail17trampoline_kernelINS0_14default_configENS1_35radix_sort_onesweep_config_selectorIdNS0_10empty_typeEEEZZNS1_29radix_sort_onesweep_iterationIS3_Lb0EPdS8_PS5_S9_mNS0_19identity_decomposerENS1_16block_id_wrapperIjLb0EEEEE10hipError_tT1_PNSt15iterator_traitsISE_E10value_typeET2_T3_PNSF_ISK_E10value_typeET4_T5_PSP_SQ_PNS1_23onesweep_lookback_stateEbbT6_jjT7_P12ihipStream_tbENKUlT_T0_SE_SJ_E_clIS8_S8_S9_S9_EEDaSX_SY_SE_SJ_EUlSX_E_NS1_11comp_targetILNS1_3genE3ELNS1_11target_archE908ELNS1_3gpuE7ELNS1_3repE0EEENS1_47radix_sort_onesweep_sort_config_static_selectorELNS0_4arch9wavefront6targetE1EEEvSE_
	.p2align	8
	.type	_ZN7rocprim17ROCPRIM_400000_NS6detail17trampoline_kernelINS0_14default_configENS1_35radix_sort_onesweep_config_selectorIdNS0_10empty_typeEEEZZNS1_29radix_sort_onesweep_iterationIS3_Lb0EPdS8_PS5_S9_mNS0_19identity_decomposerENS1_16block_id_wrapperIjLb0EEEEE10hipError_tT1_PNSt15iterator_traitsISE_E10value_typeET2_T3_PNSF_ISK_E10value_typeET4_T5_PSP_SQ_PNS1_23onesweep_lookback_stateEbbT6_jjT7_P12ihipStream_tbENKUlT_T0_SE_SJ_E_clIS8_S8_S9_S9_EEDaSX_SY_SE_SJ_EUlSX_E_NS1_11comp_targetILNS1_3genE3ELNS1_11target_archE908ELNS1_3gpuE7ELNS1_3repE0EEENS1_47radix_sort_onesweep_sort_config_static_selectorELNS0_4arch9wavefront6targetE1EEEvSE_,@function
_ZN7rocprim17ROCPRIM_400000_NS6detail17trampoline_kernelINS0_14default_configENS1_35radix_sort_onesweep_config_selectorIdNS0_10empty_typeEEEZZNS1_29radix_sort_onesweep_iterationIS3_Lb0EPdS8_PS5_S9_mNS0_19identity_decomposerENS1_16block_id_wrapperIjLb0EEEEE10hipError_tT1_PNSt15iterator_traitsISE_E10value_typeET2_T3_PNSF_ISK_E10value_typeET4_T5_PSP_SQ_PNS1_23onesweep_lookback_stateEbbT6_jjT7_P12ihipStream_tbENKUlT_T0_SE_SJ_E_clIS8_S8_S9_S9_EEDaSX_SY_SE_SJ_EUlSX_E_NS1_11comp_targetILNS1_3genE3ELNS1_11target_archE908ELNS1_3gpuE7ELNS1_3repE0EEENS1_47radix_sort_onesweep_sort_config_static_selectorELNS0_4arch9wavefront6targetE1EEEvSE_: ; @_ZN7rocprim17ROCPRIM_400000_NS6detail17trampoline_kernelINS0_14default_configENS1_35radix_sort_onesweep_config_selectorIdNS0_10empty_typeEEEZZNS1_29radix_sort_onesweep_iterationIS3_Lb0EPdS8_PS5_S9_mNS0_19identity_decomposerENS1_16block_id_wrapperIjLb0EEEEE10hipError_tT1_PNSt15iterator_traitsISE_E10value_typeET2_T3_PNSF_ISK_E10value_typeET4_T5_PSP_SQ_PNS1_23onesweep_lookback_stateEbbT6_jjT7_P12ihipStream_tbENKUlT_T0_SE_SJ_E_clIS8_S8_S9_S9_EEDaSX_SY_SE_SJ_EUlSX_E_NS1_11comp_targetILNS1_3genE3ELNS1_11target_archE908ELNS1_3gpuE7ELNS1_3repE0EEENS1_47radix_sort_onesweep_sort_config_static_selectorELNS0_4arch9wavefront6targetE1EEEvSE_
; %bb.0:
	.section	.rodata,"a",@progbits
	.p2align	6, 0x0
	.amdhsa_kernel _ZN7rocprim17ROCPRIM_400000_NS6detail17trampoline_kernelINS0_14default_configENS1_35radix_sort_onesweep_config_selectorIdNS0_10empty_typeEEEZZNS1_29radix_sort_onesweep_iterationIS3_Lb0EPdS8_PS5_S9_mNS0_19identity_decomposerENS1_16block_id_wrapperIjLb0EEEEE10hipError_tT1_PNSt15iterator_traitsISE_E10value_typeET2_T3_PNSF_ISK_E10value_typeET4_T5_PSP_SQ_PNS1_23onesweep_lookback_stateEbbT6_jjT7_P12ihipStream_tbENKUlT_T0_SE_SJ_E_clIS8_S8_S9_S9_EEDaSX_SY_SE_SJ_EUlSX_E_NS1_11comp_targetILNS1_3genE3ELNS1_11target_archE908ELNS1_3gpuE7ELNS1_3repE0EEENS1_47radix_sort_onesweep_sort_config_static_selectorELNS0_4arch9wavefront6targetE1EEEvSE_
		.amdhsa_group_segment_fixed_size 0
		.amdhsa_private_segment_fixed_size 0
		.amdhsa_kernarg_size 88
		.amdhsa_user_sgpr_count 6
		.amdhsa_user_sgpr_private_segment_buffer 1
		.amdhsa_user_sgpr_dispatch_ptr 0
		.amdhsa_user_sgpr_queue_ptr 0
		.amdhsa_user_sgpr_kernarg_segment_ptr 1
		.amdhsa_user_sgpr_dispatch_id 0
		.amdhsa_user_sgpr_flat_scratch_init 0
		.amdhsa_user_sgpr_kernarg_preload_length 0
		.amdhsa_user_sgpr_kernarg_preload_offset 0
		.amdhsa_user_sgpr_private_segment_size 0
		.amdhsa_uses_dynamic_stack 0
		.amdhsa_system_sgpr_private_segment_wavefront_offset 0
		.amdhsa_system_sgpr_workgroup_id_x 1
		.amdhsa_system_sgpr_workgroup_id_y 0
		.amdhsa_system_sgpr_workgroup_id_z 0
		.amdhsa_system_sgpr_workgroup_info 0
		.amdhsa_system_vgpr_workitem_id 0
		.amdhsa_next_free_vgpr 1
		.amdhsa_next_free_sgpr 0
		.amdhsa_accum_offset 4
		.amdhsa_reserve_vcc 0
		.amdhsa_reserve_flat_scratch 0
		.amdhsa_float_round_mode_32 0
		.amdhsa_float_round_mode_16_64 0
		.amdhsa_float_denorm_mode_32 3
		.amdhsa_float_denorm_mode_16_64 3
		.amdhsa_dx10_clamp 1
		.amdhsa_ieee_mode 1
		.amdhsa_fp16_overflow 0
		.amdhsa_tg_split 0
		.amdhsa_exception_fp_ieee_invalid_op 0
		.amdhsa_exception_fp_denorm_src 0
		.amdhsa_exception_fp_ieee_div_zero 0
		.amdhsa_exception_fp_ieee_overflow 0
		.amdhsa_exception_fp_ieee_underflow 0
		.amdhsa_exception_fp_ieee_inexact 0
		.amdhsa_exception_int_div_zero 0
	.end_amdhsa_kernel
	.section	.text._ZN7rocprim17ROCPRIM_400000_NS6detail17trampoline_kernelINS0_14default_configENS1_35radix_sort_onesweep_config_selectorIdNS0_10empty_typeEEEZZNS1_29radix_sort_onesweep_iterationIS3_Lb0EPdS8_PS5_S9_mNS0_19identity_decomposerENS1_16block_id_wrapperIjLb0EEEEE10hipError_tT1_PNSt15iterator_traitsISE_E10value_typeET2_T3_PNSF_ISK_E10value_typeET4_T5_PSP_SQ_PNS1_23onesweep_lookback_stateEbbT6_jjT7_P12ihipStream_tbENKUlT_T0_SE_SJ_E_clIS8_S8_S9_S9_EEDaSX_SY_SE_SJ_EUlSX_E_NS1_11comp_targetILNS1_3genE3ELNS1_11target_archE908ELNS1_3gpuE7ELNS1_3repE0EEENS1_47radix_sort_onesweep_sort_config_static_selectorELNS0_4arch9wavefront6targetE1EEEvSE_,"axG",@progbits,_ZN7rocprim17ROCPRIM_400000_NS6detail17trampoline_kernelINS0_14default_configENS1_35radix_sort_onesweep_config_selectorIdNS0_10empty_typeEEEZZNS1_29radix_sort_onesweep_iterationIS3_Lb0EPdS8_PS5_S9_mNS0_19identity_decomposerENS1_16block_id_wrapperIjLb0EEEEE10hipError_tT1_PNSt15iterator_traitsISE_E10value_typeET2_T3_PNSF_ISK_E10value_typeET4_T5_PSP_SQ_PNS1_23onesweep_lookback_stateEbbT6_jjT7_P12ihipStream_tbENKUlT_T0_SE_SJ_E_clIS8_S8_S9_S9_EEDaSX_SY_SE_SJ_EUlSX_E_NS1_11comp_targetILNS1_3genE3ELNS1_11target_archE908ELNS1_3gpuE7ELNS1_3repE0EEENS1_47radix_sort_onesweep_sort_config_static_selectorELNS0_4arch9wavefront6targetE1EEEvSE_,comdat
.Lfunc_end1386:
	.size	_ZN7rocprim17ROCPRIM_400000_NS6detail17trampoline_kernelINS0_14default_configENS1_35radix_sort_onesweep_config_selectorIdNS0_10empty_typeEEEZZNS1_29radix_sort_onesweep_iterationIS3_Lb0EPdS8_PS5_S9_mNS0_19identity_decomposerENS1_16block_id_wrapperIjLb0EEEEE10hipError_tT1_PNSt15iterator_traitsISE_E10value_typeET2_T3_PNSF_ISK_E10value_typeET4_T5_PSP_SQ_PNS1_23onesweep_lookback_stateEbbT6_jjT7_P12ihipStream_tbENKUlT_T0_SE_SJ_E_clIS8_S8_S9_S9_EEDaSX_SY_SE_SJ_EUlSX_E_NS1_11comp_targetILNS1_3genE3ELNS1_11target_archE908ELNS1_3gpuE7ELNS1_3repE0EEENS1_47radix_sort_onesweep_sort_config_static_selectorELNS0_4arch9wavefront6targetE1EEEvSE_, .Lfunc_end1386-_ZN7rocprim17ROCPRIM_400000_NS6detail17trampoline_kernelINS0_14default_configENS1_35radix_sort_onesweep_config_selectorIdNS0_10empty_typeEEEZZNS1_29radix_sort_onesweep_iterationIS3_Lb0EPdS8_PS5_S9_mNS0_19identity_decomposerENS1_16block_id_wrapperIjLb0EEEEE10hipError_tT1_PNSt15iterator_traitsISE_E10value_typeET2_T3_PNSF_ISK_E10value_typeET4_T5_PSP_SQ_PNS1_23onesweep_lookback_stateEbbT6_jjT7_P12ihipStream_tbENKUlT_T0_SE_SJ_E_clIS8_S8_S9_S9_EEDaSX_SY_SE_SJ_EUlSX_E_NS1_11comp_targetILNS1_3genE3ELNS1_11target_archE908ELNS1_3gpuE7ELNS1_3repE0EEENS1_47radix_sort_onesweep_sort_config_static_selectorELNS0_4arch9wavefront6targetE1EEEvSE_
                                        ; -- End function
	.section	.AMDGPU.csdata,"",@progbits
; Kernel info:
; codeLenInByte = 0
; NumSgprs: 4
; NumVgprs: 0
; NumAgprs: 0
; TotalNumVgprs: 0
; ScratchSize: 0
; MemoryBound: 0
; FloatMode: 240
; IeeeMode: 1
; LDSByteSize: 0 bytes/workgroup (compile time only)
; SGPRBlocks: 0
; VGPRBlocks: 0
; NumSGPRsForWavesPerEU: 4
; NumVGPRsForWavesPerEU: 1
; AccumOffset: 4
; Occupancy: 8
; WaveLimiterHint : 0
; COMPUTE_PGM_RSRC2:SCRATCH_EN: 0
; COMPUTE_PGM_RSRC2:USER_SGPR: 6
; COMPUTE_PGM_RSRC2:TRAP_HANDLER: 0
; COMPUTE_PGM_RSRC2:TGID_X_EN: 1
; COMPUTE_PGM_RSRC2:TGID_Y_EN: 0
; COMPUTE_PGM_RSRC2:TGID_Z_EN: 0
; COMPUTE_PGM_RSRC2:TIDIG_COMP_CNT: 0
; COMPUTE_PGM_RSRC3_GFX90A:ACCUM_OFFSET: 0
; COMPUTE_PGM_RSRC3_GFX90A:TG_SPLIT: 0
	.section	.text._ZN7rocprim17ROCPRIM_400000_NS6detail17trampoline_kernelINS0_14default_configENS1_35radix_sort_onesweep_config_selectorIdNS0_10empty_typeEEEZZNS1_29radix_sort_onesweep_iterationIS3_Lb0EPdS8_PS5_S9_mNS0_19identity_decomposerENS1_16block_id_wrapperIjLb0EEEEE10hipError_tT1_PNSt15iterator_traitsISE_E10value_typeET2_T3_PNSF_ISK_E10value_typeET4_T5_PSP_SQ_PNS1_23onesweep_lookback_stateEbbT6_jjT7_P12ihipStream_tbENKUlT_T0_SE_SJ_E_clIS8_S8_S9_S9_EEDaSX_SY_SE_SJ_EUlSX_E_NS1_11comp_targetILNS1_3genE10ELNS1_11target_archE1201ELNS1_3gpuE5ELNS1_3repE0EEENS1_47radix_sort_onesweep_sort_config_static_selectorELNS0_4arch9wavefront6targetE1EEEvSE_,"axG",@progbits,_ZN7rocprim17ROCPRIM_400000_NS6detail17trampoline_kernelINS0_14default_configENS1_35radix_sort_onesweep_config_selectorIdNS0_10empty_typeEEEZZNS1_29radix_sort_onesweep_iterationIS3_Lb0EPdS8_PS5_S9_mNS0_19identity_decomposerENS1_16block_id_wrapperIjLb0EEEEE10hipError_tT1_PNSt15iterator_traitsISE_E10value_typeET2_T3_PNSF_ISK_E10value_typeET4_T5_PSP_SQ_PNS1_23onesweep_lookback_stateEbbT6_jjT7_P12ihipStream_tbENKUlT_T0_SE_SJ_E_clIS8_S8_S9_S9_EEDaSX_SY_SE_SJ_EUlSX_E_NS1_11comp_targetILNS1_3genE10ELNS1_11target_archE1201ELNS1_3gpuE5ELNS1_3repE0EEENS1_47radix_sort_onesweep_sort_config_static_selectorELNS0_4arch9wavefront6targetE1EEEvSE_,comdat
	.protected	_ZN7rocprim17ROCPRIM_400000_NS6detail17trampoline_kernelINS0_14default_configENS1_35radix_sort_onesweep_config_selectorIdNS0_10empty_typeEEEZZNS1_29radix_sort_onesweep_iterationIS3_Lb0EPdS8_PS5_S9_mNS0_19identity_decomposerENS1_16block_id_wrapperIjLb0EEEEE10hipError_tT1_PNSt15iterator_traitsISE_E10value_typeET2_T3_PNSF_ISK_E10value_typeET4_T5_PSP_SQ_PNS1_23onesweep_lookback_stateEbbT6_jjT7_P12ihipStream_tbENKUlT_T0_SE_SJ_E_clIS8_S8_S9_S9_EEDaSX_SY_SE_SJ_EUlSX_E_NS1_11comp_targetILNS1_3genE10ELNS1_11target_archE1201ELNS1_3gpuE5ELNS1_3repE0EEENS1_47radix_sort_onesweep_sort_config_static_selectorELNS0_4arch9wavefront6targetE1EEEvSE_ ; -- Begin function _ZN7rocprim17ROCPRIM_400000_NS6detail17trampoline_kernelINS0_14default_configENS1_35radix_sort_onesweep_config_selectorIdNS0_10empty_typeEEEZZNS1_29radix_sort_onesweep_iterationIS3_Lb0EPdS8_PS5_S9_mNS0_19identity_decomposerENS1_16block_id_wrapperIjLb0EEEEE10hipError_tT1_PNSt15iterator_traitsISE_E10value_typeET2_T3_PNSF_ISK_E10value_typeET4_T5_PSP_SQ_PNS1_23onesweep_lookback_stateEbbT6_jjT7_P12ihipStream_tbENKUlT_T0_SE_SJ_E_clIS8_S8_S9_S9_EEDaSX_SY_SE_SJ_EUlSX_E_NS1_11comp_targetILNS1_3genE10ELNS1_11target_archE1201ELNS1_3gpuE5ELNS1_3repE0EEENS1_47radix_sort_onesweep_sort_config_static_selectorELNS0_4arch9wavefront6targetE1EEEvSE_
	.globl	_ZN7rocprim17ROCPRIM_400000_NS6detail17trampoline_kernelINS0_14default_configENS1_35radix_sort_onesweep_config_selectorIdNS0_10empty_typeEEEZZNS1_29radix_sort_onesweep_iterationIS3_Lb0EPdS8_PS5_S9_mNS0_19identity_decomposerENS1_16block_id_wrapperIjLb0EEEEE10hipError_tT1_PNSt15iterator_traitsISE_E10value_typeET2_T3_PNSF_ISK_E10value_typeET4_T5_PSP_SQ_PNS1_23onesweep_lookback_stateEbbT6_jjT7_P12ihipStream_tbENKUlT_T0_SE_SJ_E_clIS8_S8_S9_S9_EEDaSX_SY_SE_SJ_EUlSX_E_NS1_11comp_targetILNS1_3genE10ELNS1_11target_archE1201ELNS1_3gpuE5ELNS1_3repE0EEENS1_47radix_sort_onesweep_sort_config_static_selectorELNS0_4arch9wavefront6targetE1EEEvSE_
	.p2align	8
	.type	_ZN7rocprim17ROCPRIM_400000_NS6detail17trampoline_kernelINS0_14default_configENS1_35radix_sort_onesweep_config_selectorIdNS0_10empty_typeEEEZZNS1_29radix_sort_onesweep_iterationIS3_Lb0EPdS8_PS5_S9_mNS0_19identity_decomposerENS1_16block_id_wrapperIjLb0EEEEE10hipError_tT1_PNSt15iterator_traitsISE_E10value_typeET2_T3_PNSF_ISK_E10value_typeET4_T5_PSP_SQ_PNS1_23onesweep_lookback_stateEbbT6_jjT7_P12ihipStream_tbENKUlT_T0_SE_SJ_E_clIS8_S8_S9_S9_EEDaSX_SY_SE_SJ_EUlSX_E_NS1_11comp_targetILNS1_3genE10ELNS1_11target_archE1201ELNS1_3gpuE5ELNS1_3repE0EEENS1_47radix_sort_onesweep_sort_config_static_selectorELNS0_4arch9wavefront6targetE1EEEvSE_,@function
_ZN7rocprim17ROCPRIM_400000_NS6detail17trampoline_kernelINS0_14default_configENS1_35radix_sort_onesweep_config_selectorIdNS0_10empty_typeEEEZZNS1_29radix_sort_onesweep_iterationIS3_Lb0EPdS8_PS5_S9_mNS0_19identity_decomposerENS1_16block_id_wrapperIjLb0EEEEE10hipError_tT1_PNSt15iterator_traitsISE_E10value_typeET2_T3_PNSF_ISK_E10value_typeET4_T5_PSP_SQ_PNS1_23onesweep_lookback_stateEbbT6_jjT7_P12ihipStream_tbENKUlT_T0_SE_SJ_E_clIS8_S8_S9_S9_EEDaSX_SY_SE_SJ_EUlSX_E_NS1_11comp_targetILNS1_3genE10ELNS1_11target_archE1201ELNS1_3gpuE5ELNS1_3repE0EEENS1_47radix_sort_onesweep_sort_config_static_selectorELNS0_4arch9wavefront6targetE1EEEvSE_: ; @_ZN7rocprim17ROCPRIM_400000_NS6detail17trampoline_kernelINS0_14default_configENS1_35radix_sort_onesweep_config_selectorIdNS0_10empty_typeEEEZZNS1_29radix_sort_onesweep_iterationIS3_Lb0EPdS8_PS5_S9_mNS0_19identity_decomposerENS1_16block_id_wrapperIjLb0EEEEE10hipError_tT1_PNSt15iterator_traitsISE_E10value_typeET2_T3_PNSF_ISK_E10value_typeET4_T5_PSP_SQ_PNS1_23onesweep_lookback_stateEbbT6_jjT7_P12ihipStream_tbENKUlT_T0_SE_SJ_E_clIS8_S8_S9_S9_EEDaSX_SY_SE_SJ_EUlSX_E_NS1_11comp_targetILNS1_3genE10ELNS1_11target_archE1201ELNS1_3gpuE5ELNS1_3repE0EEENS1_47radix_sort_onesweep_sort_config_static_selectorELNS0_4arch9wavefront6targetE1EEEvSE_
; %bb.0:
	.section	.rodata,"a",@progbits
	.p2align	6, 0x0
	.amdhsa_kernel _ZN7rocprim17ROCPRIM_400000_NS6detail17trampoline_kernelINS0_14default_configENS1_35radix_sort_onesweep_config_selectorIdNS0_10empty_typeEEEZZNS1_29radix_sort_onesweep_iterationIS3_Lb0EPdS8_PS5_S9_mNS0_19identity_decomposerENS1_16block_id_wrapperIjLb0EEEEE10hipError_tT1_PNSt15iterator_traitsISE_E10value_typeET2_T3_PNSF_ISK_E10value_typeET4_T5_PSP_SQ_PNS1_23onesweep_lookback_stateEbbT6_jjT7_P12ihipStream_tbENKUlT_T0_SE_SJ_E_clIS8_S8_S9_S9_EEDaSX_SY_SE_SJ_EUlSX_E_NS1_11comp_targetILNS1_3genE10ELNS1_11target_archE1201ELNS1_3gpuE5ELNS1_3repE0EEENS1_47radix_sort_onesweep_sort_config_static_selectorELNS0_4arch9wavefront6targetE1EEEvSE_
		.amdhsa_group_segment_fixed_size 0
		.amdhsa_private_segment_fixed_size 0
		.amdhsa_kernarg_size 88
		.amdhsa_user_sgpr_count 6
		.amdhsa_user_sgpr_private_segment_buffer 1
		.amdhsa_user_sgpr_dispatch_ptr 0
		.amdhsa_user_sgpr_queue_ptr 0
		.amdhsa_user_sgpr_kernarg_segment_ptr 1
		.amdhsa_user_sgpr_dispatch_id 0
		.amdhsa_user_sgpr_flat_scratch_init 0
		.amdhsa_user_sgpr_kernarg_preload_length 0
		.amdhsa_user_sgpr_kernarg_preload_offset 0
		.amdhsa_user_sgpr_private_segment_size 0
		.amdhsa_uses_dynamic_stack 0
		.amdhsa_system_sgpr_private_segment_wavefront_offset 0
		.amdhsa_system_sgpr_workgroup_id_x 1
		.amdhsa_system_sgpr_workgroup_id_y 0
		.amdhsa_system_sgpr_workgroup_id_z 0
		.amdhsa_system_sgpr_workgroup_info 0
		.amdhsa_system_vgpr_workitem_id 0
		.amdhsa_next_free_vgpr 1
		.amdhsa_next_free_sgpr 0
		.amdhsa_accum_offset 4
		.amdhsa_reserve_vcc 0
		.amdhsa_reserve_flat_scratch 0
		.amdhsa_float_round_mode_32 0
		.amdhsa_float_round_mode_16_64 0
		.amdhsa_float_denorm_mode_32 3
		.amdhsa_float_denorm_mode_16_64 3
		.amdhsa_dx10_clamp 1
		.amdhsa_ieee_mode 1
		.amdhsa_fp16_overflow 0
		.amdhsa_tg_split 0
		.amdhsa_exception_fp_ieee_invalid_op 0
		.amdhsa_exception_fp_denorm_src 0
		.amdhsa_exception_fp_ieee_div_zero 0
		.amdhsa_exception_fp_ieee_overflow 0
		.amdhsa_exception_fp_ieee_underflow 0
		.amdhsa_exception_fp_ieee_inexact 0
		.amdhsa_exception_int_div_zero 0
	.end_amdhsa_kernel
	.section	.text._ZN7rocprim17ROCPRIM_400000_NS6detail17trampoline_kernelINS0_14default_configENS1_35radix_sort_onesweep_config_selectorIdNS0_10empty_typeEEEZZNS1_29radix_sort_onesweep_iterationIS3_Lb0EPdS8_PS5_S9_mNS0_19identity_decomposerENS1_16block_id_wrapperIjLb0EEEEE10hipError_tT1_PNSt15iterator_traitsISE_E10value_typeET2_T3_PNSF_ISK_E10value_typeET4_T5_PSP_SQ_PNS1_23onesweep_lookback_stateEbbT6_jjT7_P12ihipStream_tbENKUlT_T0_SE_SJ_E_clIS8_S8_S9_S9_EEDaSX_SY_SE_SJ_EUlSX_E_NS1_11comp_targetILNS1_3genE10ELNS1_11target_archE1201ELNS1_3gpuE5ELNS1_3repE0EEENS1_47radix_sort_onesweep_sort_config_static_selectorELNS0_4arch9wavefront6targetE1EEEvSE_,"axG",@progbits,_ZN7rocprim17ROCPRIM_400000_NS6detail17trampoline_kernelINS0_14default_configENS1_35radix_sort_onesweep_config_selectorIdNS0_10empty_typeEEEZZNS1_29radix_sort_onesweep_iterationIS3_Lb0EPdS8_PS5_S9_mNS0_19identity_decomposerENS1_16block_id_wrapperIjLb0EEEEE10hipError_tT1_PNSt15iterator_traitsISE_E10value_typeET2_T3_PNSF_ISK_E10value_typeET4_T5_PSP_SQ_PNS1_23onesweep_lookback_stateEbbT6_jjT7_P12ihipStream_tbENKUlT_T0_SE_SJ_E_clIS8_S8_S9_S9_EEDaSX_SY_SE_SJ_EUlSX_E_NS1_11comp_targetILNS1_3genE10ELNS1_11target_archE1201ELNS1_3gpuE5ELNS1_3repE0EEENS1_47radix_sort_onesweep_sort_config_static_selectorELNS0_4arch9wavefront6targetE1EEEvSE_,comdat
.Lfunc_end1387:
	.size	_ZN7rocprim17ROCPRIM_400000_NS6detail17trampoline_kernelINS0_14default_configENS1_35radix_sort_onesweep_config_selectorIdNS0_10empty_typeEEEZZNS1_29radix_sort_onesweep_iterationIS3_Lb0EPdS8_PS5_S9_mNS0_19identity_decomposerENS1_16block_id_wrapperIjLb0EEEEE10hipError_tT1_PNSt15iterator_traitsISE_E10value_typeET2_T3_PNSF_ISK_E10value_typeET4_T5_PSP_SQ_PNS1_23onesweep_lookback_stateEbbT6_jjT7_P12ihipStream_tbENKUlT_T0_SE_SJ_E_clIS8_S8_S9_S9_EEDaSX_SY_SE_SJ_EUlSX_E_NS1_11comp_targetILNS1_3genE10ELNS1_11target_archE1201ELNS1_3gpuE5ELNS1_3repE0EEENS1_47radix_sort_onesweep_sort_config_static_selectorELNS0_4arch9wavefront6targetE1EEEvSE_, .Lfunc_end1387-_ZN7rocprim17ROCPRIM_400000_NS6detail17trampoline_kernelINS0_14default_configENS1_35radix_sort_onesweep_config_selectorIdNS0_10empty_typeEEEZZNS1_29radix_sort_onesweep_iterationIS3_Lb0EPdS8_PS5_S9_mNS0_19identity_decomposerENS1_16block_id_wrapperIjLb0EEEEE10hipError_tT1_PNSt15iterator_traitsISE_E10value_typeET2_T3_PNSF_ISK_E10value_typeET4_T5_PSP_SQ_PNS1_23onesweep_lookback_stateEbbT6_jjT7_P12ihipStream_tbENKUlT_T0_SE_SJ_E_clIS8_S8_S9_S9_EEDaSX_SY_SE_SJ_EUlSX_E_NS1_11comp_targetILNS1_3genE10ELNS1_11target_archE1201ELNS1_3gpuE5ELNS1_3repE0EEENS1_47radix_sort_onesweep_sort_config_static_selectorELNS0_4arch9wavefront6targetE1EEEvSE_
                                        ; -- End function
	.section	.AMDGPU.csdata,"",@progbits
; Kernel info:
; codeLenInByte = 0
; NumSgprs: 4
; NumVgprs: 0
; NumAgprs: 0
; TotalNumVgprs: 0
; ScratchSize: 0
; MemoryBound: 0
; FloatMode: 240
; IeeeMode: 1
; LDSByteSize: 0 bytes/workgroup (compile time only)
; SGPRBlocks: 0
; VGPRBlocks: 0
; NumSGPRsForWavesPerEU: 4
; NumVGPRsForWavesPerEU: 1
; AccumOffset: 4
; Occupancy: 8
; WaveLimiterHint : 0
; COMPUTE_PGM_RSRC2:SCRATCH_EN: 0
; COMPUTE_PGM_RSRC2:USER_SGPR: 6
; COMPUTE_PGM_RSRC2:TRAP_HANDLER: 0
; COMPUTE_PGM_RSRC2:TGID_X_EN: 1
; COMPUTE_PGM_RSRC2:TGID_Y_EN: 0
; COMPUTE_PGM_RSRC2:TGID_Z_EN: 0
; COMPUTE_PGM_RSRC2:TIDIG_COMP_CNT: 0
; COMPUTE_PGM_RSRC3_GFX90A:ACCUM_OFFSET: 0
; COMPUTE_PGM_RSRC3_GFX90A:TG_SPLIT: 0
	.section	.text._ZN7rocprim17ROCPRIM_400000_NS6detail17trampoline_kernelINS0_14default_configENS1_35radix_sort_onesweep_config_selectorIdNS0_10empty_typeEEEZZNS1_29radix_sort_onesweep_iterationIS3_Lb0EPdS8_PS5_S9_mNS0_19identity_decomposerENS1_16block_id_wrapperIjLb0EEEEE10hipError_tT1_PNSt15iterator_traitsISE_E10value_typeET2_T3_PNSF_ISK_E10value_typeET4_T5_PSP_SQ_PNS1_23onesweep_lookback_stateEbbT6_jjT7_P12ihipStream_tbENKUlT_T0_SE_SJ_E_clIS8_S8_S9_S9_EEDaSX_SY_SE_SJ_EUlSX_E_NS1_11comp_targetILNS1_3genE9ELNS1_11target_archE1100ELNS1_3gpuE3ELNS1_3repE0EEENS1_47radix_sort_onesweep_sort_config_static_selectorELNS0_4arch9wavefront6targetE1EEEvSE_,"axG",@progbits,_ZN7rocprim17ROCPRIM_400000_NS6detail17trampoline_kernelINS0_14default_configENS1_35radix_sort_onesweep_config_selectorIdNS0_10empty_typeEEEZZNS1_29radix_sort_onesweep_iterationIS3_Lb0EPdS8_PS5_S9_mNS0_19identity_decomposerENS1_16block_id_wrapperIjLb0EEEEE10hipError_tT1_PNSt15iterator_traitsISE_E10value_typeET2_T3_PNSF_ISK_E10value_typeET4_T5_PSP_SQ_PNS1_23onesweep_lookback_stateEbbT6_jjT7_P12ihipStream_tbENKUlT_T0_SE_SJ_E_clIS8_S8_S9_S9_EEDaSX_SY_SE_SJ_EUlSX_E_NS1_11comp_targetILNS1_3genE9ELNS1_11target_archE1100ELNS1_3gpuE3ELNS1_3repE0EEENS1_47radix_sort_onesweep_sort_config_static_selectorELNS0_4arch9wavefront6targetE1EEEvSE_,comdat
	.protected	_ZN7rocprim17ROCPRIM_400000_NS6detail17trampoline_kernelINS0_14default_configENS1_35radix_sort_onesweep_config_selectorIdNS0_10empty_typeEEEZZNS1_29radix_sort_onesweep_iterationIS3_Lb0EPdS8_PS5_S9_mNS0_19identity_decomposerENS1_16block_id_wrapperIjLb0EEEEE10hipError_tT1_PNSt15iterator_traitsISE_E10value_typeET2_T3_PNSF_ISK_E10value_typeET4_T5_PSP_SQ_PNS1_23onesweep_lookback_stateEbbT6_jjT7_P12ihipStream_tbENKUlT_T0_SE_SJ_E_clIS8_S8_S9_S9_EEDaSX_SY_SE_SJ_EUlSX_E_NS1_11comp_targetILNS1_3genE9ELNS1_11target_archE1100ELNS1_3gpuE3ELNS1_3repE0EEENS1_47radix_sort_onesweep_sort_config_static_selectorELNS0_4arch9wavefront6targetE1EEEvSE_ ; -- Begin function _ZN7rocprim17ROCPRIM_400000_NS6detail17trampoline_kernelINS0_14default_configENS1_35radix_sort_onesweep_config_selectorIdNS0_10empty_typeEEEZZNS1_29radix_sort_onesweep_iterationIS3_Lb0EPdS8_PS5_S9_mNS0_19identity_decomposerENS1_16block_id_wrapperIjLb0EEEEE10hipError_tT1_PNSt15iterator_traitsISE_E10value_typeET2_T3_PNSF_ISK_E10value_typeET4_T5_PSP_SQ_PNS1_23onesweep_lookback_stateEbbT6_jjT7_P12ihipStream_tbENKUlT_T0_SE_SJ_E_clIS8_S8_S9_S9_EEDaSX_SY_SE_SJ_EUlSX_E_NS1_11comp_targetILNS1_3genE9ELNS1_11target_archE1100ELNS1_3gpuE3ELNS1_3repE0EEENS1_47radix_sort_onesweep_sort_config_static_selectorELNS0_4arch9wavefront6targetE1EEEvSE_
	.globl	_ZN7rocprim17ROCPRIM_400000_NS6detail17trampoline_kernelINS0_14default_configENS1_35radix_sort_onesweep_config_selectorIdNS0_10empty_typeEEEZZNS1_29radix_sort_onesweep_iterationIS3_Lb0EPdS8_PS5_S9_mNS0_19identity_decomposerENS1_16block_id_wrapperIjLb0EEEEE10hipError_tT1_PNSt15iterator_traitsISE_E10value_typeET2_T3_PNSF_ISK_E10value_typeET4_T5_PSP_SQ_PNS1_23onesweep_lookback_stateEbbT6_jjT7_P12ihipStream_tbENKUlT_T0_SE_SJ_E_clIS8_S8_S9_S9_EEDaSX_SY_SE_SJ_EUlSX_E_NS1_11comp_targetILNS1_3genE9ELNS1_11target_archE1100ELNS1_3gpuE3ELNS1_3repE0EEENS1_47radix_sort_onesweep_sort_config_static_selectorELNS0_4arch9wavefront6targetE1EEEvSE_
	.p2align	8
	.type	_ZN7rocprim17ROCPRIM_400000_NS6detail17trampoline_kernelINS0_14default_configENS1_35radix_sort_onesweep_config_selectorIdNS0_10empty_typeEEEZZNS1_29radix_sort_onesweep_iterationIS3_Lb0EPdS8_PS5_S9_mNS0_19identity_decomposerENS1_16block_id_wrapperIjLb0EEEEE10hipError_tT1_PNSt15iterator_traitsISE_E10value_typeET2_T3_PNSF_ISK_E10value_typeET4_T5_PSP_SQ_PNS1_23onesweep_lookback_stateEbbT6_jjT7_P12ihipStream_tbENKUlT_T0_SE_SJ_E_clIS8_S8_S9_S9_EEDaSX_SY_SE_SJ_EUlSX_E_NS1_11comp_targetILNS1_3genE9ELNS1_11target_archE1100ELNS1_3gpuE3ELNS1_3repE0EEENS1_47radix_sort_onesweep_sort_config_static_selectorELNS0_4arch9wavefront6targetE1EEEvSE_,@function
_ZN7rocprim17ROCPRIM_400000_NS6detail17trampoline_kernelINS0_14default_configENS1_35radix_sort_onesweep_config_selectorIdNS0_10empty_typeEEEZZNS1_29radix_sort_onesweep_iterationIS3_Lb0EPdS8_PS5_S9_mNS0_19identity_decomposerENS1_16block_id_wrapperIjLb0EEEEE10hipError_tT1_PNSt15iterator_traitsISE_E10value_typeET2_T3_PNSF_ISK_E10value_typeET4_T5_PSP_SQ_PNS1_23onesweep_lookback_stateEbbT6_jjT7_P12ihipStream_tbENKUlT_T0_SE_SJ_E_clIS8_S8_S9_S9_EEDaSX_SY_SE_SJ_EUlSX_E_NS1_11comp_targetILNS1_3genE9ELNS1_11target_archE1100ELNS1_3gpuE3ELNS1_3repE0EEENS1_47radix_sort_onesweep_sort_config_static_selectorELNS0_4arch9wavefront6targetE1EEEvSE_: ; @_ZN7rocprim17ROCPRIM_400000_NS6detail17trampoline_kernelINS0_14default_configENS1_35radix_sort_onesweep_config_selectorIdNS0_10empty_typeEEEZZNS1_29radix_sort_onesweep_iterationIS3_Lb0EPdS8_PS5_S9_mNS0_19identity_decomposerENS1_16block_id_wrapperIjLb0EEEEE10hipError_tT1_PNSt15iterator_traitsISE_E10value_typeET2_T3_PNSF_ISK_E10value_typeET4_T5_PSP_SQ_PNS1_23onesweep_lookback_stateEbbT6_jjT7_P12ihipStream_tbENKUlT_T0_SE_SJ_E_clIS8_S8_S9_S9_EEDaSX_SY_SE_SJ_EUlSX_E_NS1_11comp_targetILNS1_3genE9ELNS1_11target_archE1100ELNS1_3gpuE3ELNS1_3repE0EEENS1_47radix_sort_onesweep_sort_config_static_selectorELNS0_4arch9wavefront6targetE1EEEvSE_
; %bb.0:
	.section	.rodata,"a",@progbits
	.p2align	6, 0x0
	.amdhsa_kernel _ZN7rocprim17ROCPRIM_400000_NS6detail17trampoline_kernelINS0_14default_configENS1_35radix_sort_onesweep_config_selectorIdNS0_10empty_typeEEEZZNS1_29radix_sort_onesweep_iterationIS3_Lb0EPdS8_PS5_S9_mNS0_19identity_decomposerENS1_16block_id_wrapperIjLb0EEEEE10hipError_tT1_PNSt15iterator_traitsISE_E10value_typeET2_T3_PNSF_ISK_E10value_typeET4_T5_PSP_SQ_PNS1_23onesweep_lookback_stateEbbT6_jjT7_P12ihipStream_tbENKUlT_T0_SE_SJ_E_clIS8_S8_S9_S9_EEDaSX_SY_SE_SJ_EUlSX_E_NS1_11comp_targetILNS1_3genE9ELNS1_11target_archE1100ELNS1_3gpuE3ELNS1_3repE0EEENS1_47radix_sort_onesweep_sort_config_static_selectorELNS0_4arch9wavefront6targetE1EEEvSE_
		.amdhsa_group_segment_fixed_size 0
		.amdhsa_private_segment_fixed_size 0
		.amdhsa_kernarg_size 88
		.amdhsa_user_sgpr_count 6
		.amdhsa_user_sgpr_private_segment_buffer 1
		.amdhsa_user_sgpr_dispatch_ptr 0
		.amdhsa_user_sgpr_queue_ptr 0
		.amdhsa_user_sgpr_kernarg_segment_ptr 1
		.amdhsa_user_sgpr_dispatch_id 0
		.amdhsa_user_sgpr_flat_scratch_init 0
		.amdhsa_user_sgpr_kernarg_preload_length 0
		.amdhsa_user_sgpr_kernarg_preload_offset 0
		.amdhsa_user_sgpr_private_segment_size 0
		.amdhsa_uses_dynamic_stack 0
		.amdhsa_system_sgpr_private_segment_wavefront_offset 0
		.amdhsa_system_sgpr_workgroup_id_x 1
		.amdhsa_system_sgpr_workgroup_id_y 0
		.amdhsa_system_sgpr_workgroup_id_z 0
		.amdhsa_system_sgpr_workgroup_info 0
		.amdhsa_system_vgpr_workitem_id 0
		.amdhsa_next_free_vgpr 1
		.amdhsa_next_free_sgpr 0
		.amdhsa_accum_offset 4
		.amdhsa_reserve_vcc 0
		.amdhsa_reserve_flat_scratch 0
		.amdhsa_float_round_mode_32 0
		.amdhsa_float_round_mode_16_64 0
		.amdhsa_float_denorm_mode_32 3
		.amdhsa_float_denorm_mode_16_64 3
		.amdhsa_dx10_clamp 1
		.amdhsa_ieee_mode 1
		.amdhsa_fp16_overflow 0
		.amdhsa_tg_split 0
		.amdhsa_exception_fp_ieee_invalid_op 0
		.amdhsa_exception_fp_denorm_src 0
		.amdhsa_exception_fp_ieee_div_zero 0
		.amdhsa_exception_fp_ieee_overflow 0
		.amdhsa_exception_fp_ieee_underflow 0
		.amdhsa_exception_fp_ieee_inexact 0
		.amdhsa_exception_int_div_zero 0
	.end_amdhsa_kernel
	.section	.text._ZN7rocprim17ROCPRIM_400000_NS6detail17trampoline_kernelINS0_14default_configENS1_35radix_sort_onesweep_config_selectorIdNS0_10empty_typeEEEZZNS1_29radix_sort_onesweep_iterationIS3_Lb0EPdS8_PS5_S9_mNS0_19identity_decomposerENS1_16block_id_wrapperIjLb0EEEEE10hipError_tT1_PNSt15iterator_traitsISE_E10value_typeET2_T3_PNSF_ISK_E10value_typeET4_T5_PSP_SQ_PNS1_23onesweep_lookback_stateEbbT6_jjT7_P12ihipStream_tbENKUlT_T0_SE_SJ_E_clIS8_S8_S9_S9_EEDaSX_SY_SE_SJ_EUlSX_E_NS1_11comp_targetILNS1_3genE9ELNS1_11target_archE1100ELNS1_3gpuE3ELNS1_3repE0EEENS1_47radix_sort_onesweep_sort_config_static_selectorELNS0_4arch9wavefront6targetE1EEEvSE_,"axG",@progbits,_ZN7rocprim17ROCPRIM_400000_NS6detail17trampoline_kernelINS0_14default_configENS1_35radix_sort_onesweep_config_selectorIdNS0_10empty_typeEEEZZNS1_29radix_sort_onesweep_iterationIS3_Lb0EPdS8_PS5_S9_mNS0_19identity_decomposerENS1_16block_id_wrapperIjLb0EEEEE10hipError_tT1_PNSt15iterator_traitsISE_E10value_typeET2_T3_PNSF_ISK_E10value_typeET4_T5_PSP_SQ_PNS1_23onesweep_lookback_stateEbbT6_jjT7_P12ihipStream_tbENKUlT_T0_SE_SJ_E_clIS8_S8_S9_S9_EEDaSX_SY_SE_SJ_EUlSX_E_NS1_11comp_targetILNS1_3genE9ELNS1_11target_archE1100ELNS1_3gpuE3ELNS1_3repE0EEENS1_47radix_sort_onesweep_sort_config_static_selectorELNS0_4arch9wavefront6targetE1EEEvSE_,comdat
.Lfunc_end1388:
	.size	_ZN7rocprim17ROCPRIM_400000_NS6detail17trampoline_kernelINS0_14default_configENS1_35radix_sort_onesweep_config_selectorIdNS0_10empty_typeEEEZZNS1_29radix_sort_onesweep_iterationIS3_Lb0EPdS8_PS5_S9_mNS0_19identity_decomposerENS1_16block_id_wrapperIjLb0EEEEE10hipError_tT1_PNSt15iterator_traitsISE_E10value_typeET2_T3_PNSF_ISK_E10value_typeET4_T5_PSP_SQ_PNS1_23onesweep_lookback_stateEbbT6_jjT7_P12ihipStream_tbENKUlT_T0_SE_SJ_E_clIS8_S8_S9_S9_EEDaSX_SY_SE_SJ_EUlSX_E_NS1_11comp_targetILNS1_3genE9ELNS1_11target_archE1100ELNS1_3gpuE3ELNS1_3repE0EEENS1_47radix_sort_onesweep_sort_config_static_selectorELNS0_4arch9wavefront6targetE1EEEvSE_, .Lfunc_end1388-_ZN7rocprim17ROCPRIM_400000_NS6detail17trampoline_kernelINS0_14default_configENS1_35radix_sort_onesweep_config_selectorIdNS0_10empty_typeEEEZZNS1_29radix_sort_onesweep_iterationIS3_Lb0EPdS8_PS5_S9_mNS0_19identity_decomposerENS1_16block_id_wrapperIjLb0EEEEE10hipError_tT1_PNSt15iterator_traitsISE_E10value_typeET2_T3_PNSF_ISK_E10value_typeET4_T5_PSP_SQ_PNS1_23onesweep_lookback_stateEbbT6_jjT7_P12ihipStream_tbENKUlT_T0_SE_SJ_E_clIS8_S8_S9_S9_EEDaSX_SY_SE_SJ_EUlSX_E_NS1_11comp_targetILNS1_3genE9ELNS1_11target_archE1100ELNS1_3gpuE3ELNS1_3repE0EEENS1_47radix_sort_onesweep_sort_config_static_selectorELNS0_4arch9wavefront6targetE1EEEvSE_
                                        ; -- End function
	.section	.AMDGPU.csdata,"",@progbits
; Kernel info:
; codeLenInByte = 0
; NumSgprs: 4
; NumVgprs: 0
; NumAgprs: 0
; TotalNumVgprs: 0
; ScratchSize: 0
; MemoryBound: 0
; FloatMode: 240
; IeeeMode: 1
; LDSByteSize: 0 bytes/workgroup (compile time only)
; SGPRBlocks: 0
; VGPRBlocks: 0
; NumSGPRsForWavesPerEU: 4
; NumVGPRsForWavesPerEU: 1
; AccumOffset: 4
; Occupancy: 8
; WaveLimiterHint : 0
; COMPUTE_PGM_RSRC2:SCRATCH_EN: 0
; COMPUTE_PGM_RSRC2:USER_SGPR: 6
; COMPUTE_PGM_RSRC2:TRAP_HANDLER: 0
; COMPUTE_PGM_RSRC2:TGID_X_EN: 1
; COMPUTE_PGM_RSRC2:TGID_Y_EN: 0
; COMPUTE_PGM_RSRC2:TGID_Z_EN: 0
; COMPUTE_PGM_RSRC2:TIDIG_COMP_CNT: 0
; COMPUTE_PGM_RSRC3_GFX90A:ACCUM_OFFSET: 0
; COMPUTE_PGM_RSRC3_GFX90A:TG_SPLIT: 0
	.section	.text._ZN7rocprim17ROCPRIM_400000_NS6detail17trampoline_kernelINS0_14default_configENS1_35radix_sort_onesweep_config_selectorIdNS0_10empty_typeEEEZZNS1_29radix_sort_onesweep_iterationIS3_Lb0EPdS8_PS5_S9_mNS0_19identity_decomposerENS1_16block_id_wrapperIjLb0EEEEE10hipError_tT1_PNSt15iterator_traitsISE_E10value_typeET2_T3_PNSF_ISK_E10value_typeET4_T5_PSP_SQ_PNS1_23onesweep_lookback_stateEbbT6_jjT7_P12ihipStream_tbENKUlT_T0_SE_SJ_E_clIS8_S8_S9_S9_EEDaSX_SY_SE_SJ_EUlSX_E_NS1_11comp_targetILNS1_3genE8ELNS1_11target_archE1030ELNS1_3gpuE2ELNS1_3repE0EEENS1_47radix_sort_onesweep_sort_config_static_selectorELNS0_4arch9wavefront6targetE1EEEvSE_,"axG",@progbits,_ZN7rocprim17ROCPRIM_400000_NS6detail17trampoline_kernelINS0_14default_configENS1_35radix_sort_onesweep_config_selectorIdNS0_10empty_typeEEEZZNS1_29radix_sort_onesweep_iterationIS3_Lb0EPdS8_PS5_S9_mNS0_19identity_decomposerENS1_16block_id_wrapperIjLb0EEEEE10hipError_tT1_PNSt15iterator_traitsISE_E10value_typeET2_T3_PNSF_ISK_E10value_typeET4_T5_PSP_SQ_PNS1_23onesweep_lookback_stateEbbT6_jjT7_P12ihipStream_tbENKUlT_T0_SE_SJ_E_clIS8_S8_S9_S9_EEDaSX_SY_SE_SJ_EUlSX_E_NS1_11comp_targetILNS1_3genE8ELNS1_11target_archE1030ELNS1_3gpuE2ELNS1_3repE0EEENS1_47radix_sort_onesweep_sort_config_static_selectorELNS0_4arch9wavefront6targetE1EEEvSE_,comdat
	.protected	_ZN7rocprim17ROCPRIM_400000_NS6detail17trampoline_kernelINS0_14default_configENS1_35radix_sort_onesweep_config_selectorIdNS0_10empty_typeEEEZZNS1_29radix_sort_onesweep_iterationIS3_Lb0EPdS8_PS5_S9_mNS0_19identity_decomposerENS1_16block_id_wrapperIjLb0EEEEE10hipError_tT1_PNSt15iterator_traitsISE_E10value_typeET2_T3_PNSF_ISK_E10value_typeET4_T5_PSP_SQ_PNS1_23onesweep_lookback_stateEbbT6_jjT7_P12ihipStream_tbENKUlT_T0_SE_SJ_E_clIS8_S8_S9_S9_EEDaSX_SY_SE_SJ_EUlSX_E_NS1_11comp_targetILNS1_3genE8ELNS1_11target_archE1030ELNS1_3gpuE2ELNS1_3repE0EEENS1_47radix_sort_onesweep_sort_config_static_selectorELNS0_4arch9wavefront6targetE1EEEvSE_ ; -- Begin function _ZN7rocprim17ROCPRIM_400000_NS6detail17trampoline_kernelINS0_14default_configENS1_35radix_sort_onesweep_config_selectorIdNS0_10empty_typeEEEZZNS1_29radix_sort_onesweep_iterationIS3_Lb0EPdS8_PS5_S9_mNS0_19identity_decomposerENS1_16block_id_wrapperIjLb0EEEEE10hipError_tT1_PNSt15iterator_traitsISE_E10value_typeET2_T3_PNSF_ISK_E10value_typeET4_T5_PSP_SQ_PNS1_23onesweep_lookback_stateEbbT6_jjT7_P12ihipStream_tbENKUlT_T0_SE_SJ_E_clIS8_S8_S9_S9_EEDaSX_SY_SE_SJ_EUlSX_E_NS1_11comp_targetILNS1_3genE8ELNS1_11target_archE1030ELNS1_3gpuE2ELNS1_3repE0EEENS1_47radix_sort_onesweep_sort_config_static_selectorELNS0_4arch9wavefront6targetE1EEEvSE_
	.globl	_ZN7rocprim17ROCPRIM_400000_NS6detail17trampoline_kernelINS0_14default_configENS1_35radix_sort_onesweep_config_selectorIdNS0_10empty_typeEEEZZNS1_29radix_sort_onesweep_iterationIS3_Lb0EPdS8_PS5_S9_mNS0_19identity_decomposerENS1_16block_id_wrapperIjLb0EEEEE10hipError_tT1_PNSt15iterator_traitsISE_E10value_typeET2_T3_PNSF_ISK_E10value_typeET4_T5_PSP_SQ_PNS1_23onesweep_lookback_stateEbbT6_jjT7_P12ihipStream_tbENKUlT_T0_SE_SJ_E_clIS8_S8_S9_S9_EEDaSX_SY_SE_SJ_EUlSX_E_NS1_11comp_targetILNS1_3genE8ELNS1_11target_archE1030ELNS1_3gpuE2ELNS1_3repE0EEENS1_47radix_sort_onesweep_sort_config_static_selectorELNS0_4arch9wavefront6targetE1EEEvSE_
	.p2align	8
	.type	_ZN7rocprim17ROCPRIM_400000_NS6detail17trampoline_kernelINS0_14default_configENS1_35radix_sort_onesweep_config_selectorIdNS0_10empty_typeEEEZZNS1_29radix_sort_onesweep_iterationIS3_Lb0EPdS8_PS5_S9_mNS0_19identity_decomposerENS1_16block_id_wrapperIjLb0EEEEE10hipError_tT1_PNSt15iterator_traitsISE_E10value_typeET2_T3_PNSF_ISK_E10value_typeET4_T5_PSP_SQ_PNS1_23onesweep_lookback_stateEbbT6_jjT7_P12ihipStream_tbENKUlT_T0_SE_SJ_E_clIS8_S8_S9_S9_EEDaSX_SY_SE_SJ_EUlSX_E_NS1_11comp_targetILNS1_3genE8ELNS1_11target_archE1030ELNS1_3gpuE2ELNS1_3repE0EEENS1_47radix_sort_onesweep_sort_config_static_selectorELNS0_4arch9wavefront6targetE1EEEvSE_,@function
_ZN7rocprim17ROCPRIM_400000_NS6detail17trampoline_kernelINS0_14default_configENS1_35radix_sort_onesweep_config_selectorIdNS0_10empty_typeEEEZZNS1_29radix_sort_onesweep_iterationIS3_Lb0EPdS8_PS5_S9_mNS0_19identity_decomposerENS1_16block_id_wrapperIjLb0EEEEE10hipError_tT1_PNSt15iterator_traitsISE_E10value_typeET2_T3_PNSF_ISK_E10value_typeET4_T5_PSP_SQ_PNS1_23onesweep_lookback_stateEbbT6_jjT7_P12ihipStream_tbENKUlT_T0_SE_SJ_E_clIS8_S8_S9_S9_EEDaSX_SY_SE_SJ_EUlSX_E_NS1_11comp_targetILNS1_3genE8ELNS1_11target_archE1030ELNS1_3gpuE2ELNS1_3repE0EEENS1_47radix_sort_onesweep_sort_config_static_selectorELNS0_4arch9wavefront6targetE1EEEvSE_: ; @_ZN7rocprim17ROCPRIM_400000_NS6detail17trampoline_kernelINS0_14default_configENS1_35radix_sort_onesweep_config_selectorIdNS0_10empty_typeEEEZZNS1_29radix_sort_onesweep_iterationIS3_Lb0EPdS8_PS5_S9_mNS0_19identity_decomposerENS1_16block_id_wrapperIjLb0EEEEE10hipError_tT1_PNSt15iterator_traitsISE_E10value_typeET2_T3_PNSF_ISK_E10value_typeET4_T5_PSP_SQ_PNS1_23onesweep_lookback_stateEbbT6_jjT7_P12ihipStream_tbENKUlT_T0_SE_SJ_E_clIS8_S8_S9_S9_EEDaSX_SY_SE_SJ_EUlSX_E_NS1_11comp_targetILNS1_3genE8ELNS1_11target_archE1030ELNS1_3gpuE2ELNS1_3repE0EEENS1_47radix_sort_onesweep_sort_config_static_selectorELNS0_4arch9wavefront6targetE1EEEvSE_
; %bb.0:
	.section	.rodata,"a",@progbits
	.p2align	6, 0x0
	.amdhsa_kernel _ZN7rocprim17ROCPRIM_400000_NS6detail17trampoline_kernelINS0_14default_configENS1_35radix_sort_onesweep_config_selectorIdNS0_10empty_typeEEEZZNS1_29radix_sort_onesweep_iterationIS3_Lb0EPdS8_PS5_S9_mNS0_19identity_decomposerENS1_16block_id_wrapperIjLb0EEEEE10hipError_tT1_PNSt15iterator_traitsISE_E10value_typeET2_T3_PNSF_ISK_E10value_typeET4_T5_PSP_SQ_PNS1_23onesweep_lookback_stateEbbT6_jjT7_P12ihipStream_tbENKUlT_T0_SE_SJ_E_clIS8_S8_S9_S9_EEDaSX_SY_SE_SJ_EUlSX_E_NS1_11comp_targetILNS1_3genE8ELNS1_11target_archE1030ELNS1_3gpuE2ELNS1_3repE0EEENS1_47radix_sort_onesweep_sort_config_static_selectorELNS0_4arch9wavefront6targetE1EEEvSE_
		.amdhsa_group_segment_fixed_size 0
		.amdhsa_private_segment_fixed_size 0
		.amdhsa_kernarg_size 88
		.amdhsa_user_sgpr_count 6
		.amdhsa_user_sgpr_private_segment_buffer 1
		.amdhsa_user_sgpr_dispatch_ptr 0
		.amdhsa_user_sgpr_queue_ptr 0
		.amdhsa_user_sgpr_kernarg_segment_ptr 1
		.amdhsa_user_sgpr_dispatch_id 0
		.amdhsa_user_sgpr_flat_scratch_init 0
		.amdhsa_user_sgpr_kernarg_preload_length 0
		.amdhsa_user_sgpr_kernarg_preload_offset 0
		.amdhsa_user_sgpr_private_segment_size 0
		.amdhsa_uses_dynamic_stack 0
		.amdhsa_system_sgpr_private_segment_wavefront_offset 0
		.amdhsa_system_sgpr_workgroup_id_x 1
		.amdhsa_system_sgpr_workgroup_id_y 0
		.amdhsa_system_sgpr_workgroup_id_z 0
		.amdhsa_system_sgpr_workgroup_info 0
		.amdhsa_system_vgpr_workitem_id 0
		.amdhsa_next_free_vgpr 1
		.amdhsa_next_free_sgpr 0
		.amdhsa_accum_offset 4
		.amdhsa_reserve_vcc 0
		.amdhsa_reserve_flat_scratch 0
		.amdhsa_float_round_mode_32 0
		.amdhsa_float_round_mode_16_64 0
		.amdhsa_float_denorm_mode_32 3
		.amdhsa_float_denorm_mode_16_64 3
		.amdhsa_dx10_clamp 1
		.amdhsa_ieee_mode 1
		.amdhsa_fp16_overflow 0
		.amdhsa_tg_split 0
		.amdhsa_exception_fp_ieee_invalid_op 0
		.amdhsa_exception_fp_denorm_src 0
		.amdhsa_exception_fp_ieee_div_zero 0
		.amdhsa_exception_fp_ieee_overflow 0
		.amdhsa_exception_fp_ieee_underflow 0
		.amdhsa_exception_fp_ieee_inexact 0
		.amdhsa_exception_int_div_zero 0
	.end_amdhsa_kernel
	.section	.text._ZN7rocprim17ROCPRIM_400000_NS6detail17trampoline_kernelINS0_14default_configENS1_35radix_sort_onesweep_config_selectorIdNS0_10empty_typeEEEZZNS1_29radix_sort_onesweep_iterationIS3_Lb0EPdS8_PS5_S9_mNS0_19identity_decomposerENS1_16block_id_wrapperIjLb0EEEEE10hipError_tT1_PNSt15iterator_traitsISE_E10value_typeET2_T3_PNSF_ISK_E10value_typeET4_T5_PSP_SQ_PNS1_23onesweep_lookback_stateEbbT6_jjT7_P12ihipStream_tbENKUlT_T0_SE_SJ_E_clIS8_S8_S9_S9_EEDaSX_SY_SE_SJ_EUlSX_E_NS1_11comp_targetILNS1_3genE8ELNS1_11target_archE1030ELNS1_3gpuE2ELNS1_3repE0EEENS1_47radix_sort_onesweep_sort_config_static_selectorELNS0_4arch9wavefront6targetE1EEEvSE_,"axG",@progbits,_ZN7rocprim17ROCPRIM_400000_NS6detail17trampoline_kernelINS0_14default_configENS1_35radix_sort_onesweep_config_selectorIdNS0_10empty_typeEEEZZNS1_29radix_sort_onesweep_iterationIS3_Lb0EPdS8_PS5_S9_mNS0_19identity_decomposerENS1_16block_id_wrapperIjLb0EEEEE10hipError_tT1_PNSt15iterator_traitsISE_E10value_typeET2_T3_PNSF_ISK_E10value_typeET4_T5_PSP_SQ_PNS1_23onesweep_lookback_stateEbbT6_jjT7_P12ihipStream_tbENKUlT_T0_SE_SJ_E_clIS8_S8_S9_S9_EEDaSX_SY_SE_SJ_EUlSX_E_NS1_11comp_targetILNS1_3genE8ELNS1_11target_archE1030ELNS1_3gpuE2ELNS1_3repE0EEENS1_47radix_sort_onesweep_sort_config_static_selectorELNS0_4arch9wavefront6targetE1EEEvSE_,comdat
.Lfunc_end1389:
	.size	_ZN7rocprim17ROCPRIM_400000_NS6detail17trampoline_kernelINS0_14default_configENS1_35radix_sort_onesweep_config_selectorIdNS0_10empty_typeEEEZZNS1_29radix_sort_onesweep_iterationIS3_Lb0EPdS8_PS5_S9_mNS0_19identity_decomposerENS1_16block_id_wrapperIjLb0EEEEE10hipError_tT1_PNSt15iterator_traitsISE_E10value_typeET2_T3_PNSF_ISK_E10value_typeET4_T5_PSP_SQ_PNS1_23onesweep_lookback_stateEbbT6_jjT7_P12ihipStream_tbENKUlT_T0_SE_SJ_E_clIS8_S8_S9_S9_EEDaSX_SY_SE_SJ_EUlSX_E_NS1_11comp_targetILNS1_3genE8ELNS1_11target_archE1030ELNS1_3gpuE2ELNS1_3repE0EEENS1_47radix_sort_onesweep_sort_config_static_selectorELNS0_4arch9wavefront6targetE1EEEvSE_, .Lfunc_end1389-_ZN7rocprim17ROCPRIM_400000_NS6detail17trampoline_kernelINS0_14default_configENS1_35radix_sort_onesweep_config_selectorIdNS0_10empty_typeEEEZZNS1_29radix_sort_onesweep_iterationIS3_Lb0EPdS8_PS5_S9_mNS0_19identity_decomposerENS1_16block_id_wrapperIjLb0EEEEE10hipError_tT1_PNSt15iterator_traitsISE_E10value_typeET2_T3_PNSF_ISK_E10value_typeET4_T5_PSP_SQ_PNS1_23onesweep_lookback_stateEbbT6_jjT7_P12ihipStream_tbENKUlT_T0_SE_SJ_E_clIS8_S8_S9_S9_EEDaSX_SY_SE_SJ_EUlSX_E_NS1_11comp_targetILNS1_3genE8ELNS1_11target_archE1030ELNS1_3gpuE2ELNS1_3repE0EEENS1_47radix_sort_onesweep_sort_config_static_selectorELNS0_4arch9wavefront6targetE1EEEvSE_
                                        ; -- End function
	.section	.AMDGPU.csdata,"",@progbits
; Kernel info:
; codeLenInByte = 0
; NumSgprs: 4
; NumVgprs: 0
; NumAgprs: 0
; TotalNumVgprs: 0
; ScratchSize: 0
; MemoryBound: 0
; FloatMode: 240
; IeeeMode: 1
; LDSByteSize: 0 bytes/workgroup (compile time only)
; SGPRBlocks: 0
; VGPRBlocks: 0
; NumSGPRsForWavesPerEU: 4
; NumVGPRsForWavesPerEU: 1
; AccumOffset: 4
; Occupancy: 8
; WaveLimiterHint : 0
; COMPUTE_PGM_RSRC2:SCRATCH_EN: 0
; COMPUTE_PGM_RSRC2:USER_SGPR: 6
; COMPUTE_PGM_RSRC2:TRAP_HANDLER: 0
; COMPUTE_PGM_RSRC2:TGID_X_EN: 1
; COMPUTE_PGM_RSRC2:TGID_Y_EN: 0
; COMPUTE_PGM_RSRC2:TGID_Z_EN: 0
; COMPUTE_PGM_RSRC2:TIDIG_COMP_CNT: 0
; COMPUTE_PGM_RSRC3_GFX90A:ACCUM_OFFSET: 0
; COMPUTE_PGM_RSRC3_GFX90A:TG_SPLIT: 0
	.section	.text._ZN6thrust23THRUST_200600_302600_NS11hip_rocprim14__parallel_for6kernelILj256ENS1_10for_each_fINS0_7pointerI14custom_numericNS1_3tagENS0_11use_defaultES8_EENS0_6detail16wrapped_functionINSA_23allocator_traits_detail24construct1_via_allocatorINSA_18no_throw_allocatorINSA_19temporary_allocatorIS6_S7_EEEEEEvEEEEmLj1EEEvT0_T1_SM_,"axG",@progbits,_ZN6thrust23THRUST_200600_302600_NS11hip_rocprim14__parallel_for6kernelILj256ENS1_10for_each_fINS0_7pointerI14custom_numericNS1_3tagENS0_11use_defaultES8_EENS0_6detail16wrapped_functionINSA_23allocator_traits_detail24construct1_via_allocatorINSA_18no_throw_allocatorINSA_19temporary_allocatorIS6_S7_EEEEEEvEEEEmLj1EEEvT0_T1_SM_,comdat
	.protected	_ZN6thrust23THRUST_200600_302600_NS11hip_rocprim14__parallel_for6kernelILj256ENS1_10for_each_fINS0_7pointerI14custom_numericNS1_3tagENS0_11use_defaultES8_EENS0_6detail16wrapped_functionINSA_23allocator_traits_detail24construct1_via_allocatorINSA_18no_throw_allocatorINSA_19temporary_allocatorIS6_S7_EEEEEEvEEEEmLj1EEEvT0_T1_SM_ ; -- Begin function _ZN6thrust23THRUST_200600_302600_NS11hip_rocprim14__parallel_for6kernelILj256ENS1_10for_each_fINS0_7pointerI14custom_numericNS1_3tagENS0_11use_defaultES8_EENS0_6detail16wrapped_functionINSA_23allocator_traits_detail24construct1_via_allocatorINSA_18no_throw_allocatorINSA_19temporary_allocatorIS6_S7_EEEEEEvEEEEmLj1EEEvT0_T1_SM_
	.globl	_ZN6thrust23THRUST_200600_302600_NS11hip_rocprim14__parallel_for6kernelILj256ENS1_10for_each_fINS0_7pointerI14custom_numericNS1_3tagENS0_11use_defaultES8_EENS0_6detail16wrapped_functionINSA_23allocator_traits_detail24construct1_via_allocatorINSA_18no_throw_allocatorINSA_19temporary_allocatorIS6_S7_EEEEEEvEEEEmLj1EEEvT0_T1_SM_
	.p2align	8
	.type	_ZN6thrust23THRUST_200600_302600_NS11hip_rocprim14__parallel_for6kernelILj256ENS1_10for_each_fINS0_7pointerI14custom_numericNS1_3tagENS0_11use_defaultES8_EENS0_6detail16wrapped_functionINSA_23allocator_traits_detail24construct1_via_allocatorINSA_18no_throw_allocatorINSA_19temporary_allocatorIS6_S7_EEEEEEvEEEEmLj1EEEvT0_T1_SM_,@function
_ZN6thrust23THRUST_200600_302600_NS11hip_rocprim14__parallel_for6kernelILj256ENS1_10for_each_fINS0_7pointerI14custom_numericNS1_3tagENS0_11use_defaultES8_EENS0_6detail16wrapped_functionINSA_23allocator_traits_detail24construct1_via_allocatorINSA_18no_throw_allocatorINSA_19temporary_allocatorIS6_S7_EEEEEEvEEEEmLj1EEEvT0_T1_SM_: ; @_ZN6thrust23THRUST_200600_302600_NS11hip_rocprim14__parallel_for6kernelILj256ENS1_10for_each_fINS0_7pointerI14custom_numericNS1_3tagENS0_11use_defaultES8_EENS0_6detail16wrapped_functionINSA_23allocator_traits_detail24construct1_via_allocatorINSA_18no_throw_allocatorINSA_19temporary_allocatorIS6_S7_EEEEEEvEEEEmLj1EEEvT0_T1_SM_
; %bb.0:
	s_load_dwordx4 s[0:3], s[4:5], 0x10
	s_lshl_b32 s6, s6, 8
	v_mov_b32_e32 v2, 0x100
	v_mov_b32_e32 v3, 0
	s_waitcnt lgkmcnt(0)
	s_add_u32 s6, s6, s2
	s_addc_u32 s7, 0, s3
	s_sub_u32 s0, s0, s6
	s_subb_u32 s1, s1, s7
	v_cmp_lt_u64_e32 vcc, s[0:1], v[2:3]
	s_cbranch_vccz .LBB1390_2
; %bb.1:
	v_cmp_gt_u32_e32 vcc, s0, v0
	s_and_b64 s[0:1], vcc, exec
	s_cbranch_execz .LBB1390_3
	s_branch .LBB1390_4
.LBB1390_2:
	s_mov_b64 s[0:1], 0
.LBB1390_3:
	s_or_b64 s[0:1], s[0:1], exec
.LBB1390_4:
	s_and_saveexec_b64 s[2:3], s[0:1]
	s_cbranch_execnz .LBB1390_6
; %bb.5:
	s_endpgm
.LBB1390_6:
	s_load_dwordx2 s[0:1], s[4:5], 0x0
	s_mul_i32 s7, s7, 20
	s_mul_hi_u32 s2, s6, 20
	s_mul_i32 s6, s6, 20
	s_add_i32 s2, s2, s7
	s_waitcnt lgkmcnt(0)
	s_add_u32 s0, s0, s6
	s_addc_u32 s1, s1, s2
	v_mad_u64_u32 v[4:5], s[0:1], v0, 20, s[0:1]
	v_mov_b32_e32 v0, 0
	v_mov_b32_e32 v1, v0
	;; [unrolled: 1-line block ×4, first 2 shown]
	flat_store_dwordx4 v[4:5], v[0:3]
	flat_store_dword v[4:5], v0 offset:16
	s_endpgm
	.section	.rodata,"a",@progbits
	.p2align	6, 0x0
	.amdhsa_kernel _ZN6thrust23THRUST_200600_302600_NS11hip_rocprim14__parallel_for6kernelILj256ENS1_10for_each_fINS0_7pointerI14custom_numericNS1_3tagENS0_11use_defaultES8_EENS0_6detail16wrapped_functionINSA_23allocator_traits_detail24construct1_via_allocatorINSA_18no_throw_allocatorINSA_19temporary_allocatorIS6_S7_EEEEEEvEEEEmLj1EEEvT0_T1_SM_
		.amdhsa_group_segment_fixed_size 0
		.amdhsa_private_segment_fixed_size 0
		.amdhsa_kernarg_size 32
		.amdhsa_user_sgpr_count 6
		.amdhsa_user_sgpr_private_segment_buffer 1
		.amdhsa_user_sgpr_dispatch_ptr 0
		.amdhsa_user_sgpr_queue_ptr 0
		.amdhsa_user_sgpr_kernarg_segment_ptr 1
		.amdhsa_user_sgpr_dispatch_id 0
		.amdhsa_user_sgpr_flat_scratch_init 0
		.amdhsa_user_sgpr_kernarg_preload_length 0
		.amdhsa_user_sgpr_kernarg_preload_offset 0
		.amdhsa_user_sgpr_private_segment_size 0
		.amdhsa_uses_dynamic_stack 0
		.amdhsa_system_sgpr_private_segment_wavefront_offset 0
		.amdhsa_system_sgpr_workgroup_id_x 1
		.amdhsa_system_sgpr_workgroup_id_y 0
		.amdhsa_system_sgpr_workgroup_id_z 0
		.amdhsa_system_sgpr_workgroup_info 0
		.amdhsa_system_vgpr_workitem_id 0
		.amdhsa_next_free_vgpr 6
		.amdhsa_next_free_sgpr 8
		.amdhsa_accum_offset 8
		.amdhsa_reserve_vcc 1
		.amdhsa_reserve_flat_scratch 0
		.amdhsa_float_round_mode_32 0
		.amdhsa_float_round_mode_16_64 0
		.amdhsa_float_denorm_mode_32 3
		.amdhsa_float_denorm_mode_16_64 3
		.amdhsa_dx10_clamp 1
		.amdhsa_ieee_mode 1
		.amdhsa_fp16_overflow 0
		.amdhsa_tg_split 0
		.amdhsa_exception_fp_ieee_invalid_op 0
		.amdhsa_exception_fp_denorm_src 0
		.amdhsa_exception_fp_ieee_div_zero 0
		.amdhsa_exception_fp_ieee_overflow 0
		.amdhsa_exception_fp_ieee_underflow 0
		.amdhsa_exception_fp_ieee_inexact 0
		.amdhsa_exception_int_div_zero 0
	.end_amdhsa_kernel
	.section	.text._ZN6thrust23THRUST_200600_302600_NS11hip_rocprim14__parallel_for6kernelILj256ENS1_10for_each_fINS0_7pointerI14custom_numericNS1_3tagENS0_11use_defaultES8_EENS0_6detail16wrapped_functionINSA_23allocator_traits_detail24construct1_via_allocatorINSA_18no_throw_allocatorINSA_19temporary_allocatorIS6_S7_EEEEEEvEEEEmLj1EEEvT0_T1_SM_,"axG",@progbits,_ZN6thrust23THRUST_200600_302600_NS11hip_rocprim14__parallel_for6kernelILj256ENS1_10for_each_fINS0_7pointerI14custom_numericNS1_3tagENS0_11use_defaultES8_EENS0_6detail16wrapped_functionINSA_23allocator_traits_detail24construct1_via_allocatorINSA_18no_throw_allocatorINSA_19temporary_allocatorIS6_S7_EEEEEEvEEEEmLj1EEEvT0_T1_SM_,comdat
.Lfunc_end1390:
	.size	_ZN6thrust23THRUST_200600_302600_NS11hip_rocprim14__parallel_for6kernelILj256ENS1_10for_each_fINS0_7pointerI14custom_numericNS1_3tagENS0_11use_defaultES8_EENS0_6detail16wrapped_functionINSA_23allocator_traits_detail24construct1_via_allocatorINSA_18no_throw_allocatorINSA_19temporary_allocatorIS6_S7_EEEEEEvEEEEmLj1EEEvT0_T1_SM_, .Lfunc_end1390-_ZN6thrust23THRUST_200600_302600_NS11hip_rocprim14__parallel_for6kernelILj256ENS1_10for_each_fINS0_7pointerI14custom_numericNS1_3tagENS0_11use_defaultES8_EENS0_6detail16wrapped_functionINSA_23allocator_traits_detail24construct1_via_allocatorINSA_18no_throw_allocatorINSA_19temporary_allocatorIS6_S7_EEEEEEvEEEEmLj1EEEvT0_T1_SM_
                                        ; -- End function
	.section	.AMDGPU.csdata,"",@progbits
; Kernel info:
; codeLenInByte = 168
; NumSgprs: 12
; NumVgprs: 6
; NumAgprs: 0
; TotalNumVgprs: 6
; ScratchSize: 0
; MemoryBound: 0
; FloatMode: 240
; IeeeMode: 1
; LDSByteSize: 0 bytes/workgroup (compile time only)
; SGPRBlocks: 1
; VGPRBlocks: 0
; NumSGPRsForWavesPerEU: 12
; NumVGPRsForWavesPerEU: 6
; AccumOffset: 8
; Occupancy: 8
; WaveLimiterHint : 0
; COMPUTE_PGM_RSRC2:SCRATCH_EN: 0
; COMPUTE_PGM_RSRC2:USER_SGPR: 6
; COMPUTE_PGM_RSRC2:TRAP_HANDLER: 0
; COMPUTE_PGM_RSRC2:TGID_X_EN: 1
; COMPUTE_PGM_RSRC2:TGID_Y_EN: 0
; COMPUTE_PGM_RSRC2:TGID_Z_EN: 0
; COMPUTE_PGM_RSRC2:TIDIG_COMP_CNT: 0
; COMPUTE_PGM_RSRC3_GFX90A:ACCUM_OFFSET: 1
; COMPUTE_PGM_RSRC3_GFX90A:TG_SPLIT: 0
	.section	.text._ZN6thrust23THRUST_200600_302600_NS11hip_rocprim14__parallel_for6kernelILj256ENS1_10for_each_fINS0_7pointerI14custom_numericNS1_3tagENS0_11use_defaultES8_EENS0_6detail16wrapped_functionINSA_23allocator_traits_detail5gozerEvEEEElLj1EEEvT0_T1_SH_,"axG",@progbits,_ZN6thrust23THRUST_200600_302600_NS11hip_rocprim14__parallel_for6kernelILj256ENS1_10for_each_fINS0_7pointerI14custom_numericNS1_3tagENS0_11use_defaultES8_EENS0_6detail16wrapped_functionINSA_23allocator_traits_detail5gozerEvEEEElLj1EEEvT0_T1_SH_,comdat
	.protected	_ZN6thrust23THRUST_200600_302600_NS11hip_rocprim14__parallel_for6kernelILj256ENS1_10for_each_fINS0_7pointerI14custom_numericNS1_3tagENS0_11use_defaultES8_EENS0_6detail16wrapped_functionINSA_23allocator_traits_detail5gozerEvEEEElLj1EEEvT0_T1_SH_ ; -- Begin function _ZN6thrust23THRUST_200600_302600_NS11hip_rocprim14__parallel_for6kernelILj256ENS1_10for_each_fINS0_7pointerI14custom_numericNS1_3tagENS0_11use_defaultES8_EENS0_6detail16wrapped_functionINSA_23allocator_traits_detail5gozerEvEEEElLj1EEEvT0_T1_SH_
	.globl	_ZN6thrust23THRUST_200600_302600_NS11hip_rocprim14__parallel_for6kernelILj256ENS1_10for_each_fINS0_7pointerI14custom_numericNS1_3tagENS0_11use_defaultES8_EENS0_6detail16wrapped_functionINSA_23allocator_traits_detail5gozerEvEEEElLj1EEEvT0_T1_SH_
	.p2align	8
	.type	_ZN6thrust23THRUST_200600_302600_NS11hip_rocprim14__parallel_for6kernelILj256ENS1_10for_each_fINS0_7pointerI14custom_numericNS1_3tagENS0_11use_defaultES8_EENS0_6detail16wrapped_functionINSA_23allocator_traits_detail5gozerEvEEEElLj1EEEvT0_T1_SH_,@function
_ZN6thrust23THRUST_200600_302600_NS11hip_rocprim14__parallel_for6kernelILj256ENS1_10for_each_fINS0_7pointerI14custom_numericNS1_3tagENS0_11use_defaultES8_EENS0_6detail16wrapped_functionINSA_23allocator_traits_detail5gozerEvEEEElLj1EEEvT0_T1_SH_: ; @_ZN6thrust23THRUST_200600_302600_NS11hip_rocprim14__parallel_for6kernelILj256ENS1_10for_each_fINS0_7pointerI14custom_numericNS1_3tagENS0_11use_defaultES8_EENS0_6detail16wrapped_functionINSA_23allocator_traits_detail5gozerEvEEEElLj1EEEvT0_T1_SH_
; %bb.0:
	s_endpgm
	.section	.rodata,"a",@progbits
	.p2align	6, 0x0
	.amdhsa_kernel _ZN6thrust23THRUST_200600_302600_NS11hip_rocprim14__parallel_for6kernelILj256ENS1_10for_each_fINS0_7pointerI14custom_numericNS1_3tagENS0_11use_defaultES8_EENS0_6detail16wrapped_functionINSA_23allocator_traits_detail5gozerEvEEEElLj1EEEvT0_T1_SH_
		.amdhsa_group_segment_fixed_size 0
		.amdhsa_private_segment_fixed_size 0
		.amdhsa_kernarg_size 32
		.amdhsa_user_sgpr_count 6
		.amdhsa_user_sgpr_private_segment_buffer 1
		.amdhsa_user_sgpr_dispatch_ptr 0
		.amdhsa_user_sgpr_queue_ptr 0
		.amdhsa_user_sgpr_kernarg_segment_ptr 1
		.amdhsa_user_sgpr_dispatch_id 0
		.amdhsa_user_sgpr_flat_scratch_init 0
		.amdhsa_user_sgpr_kernarg_preload_length 0
		.amdhsa_user_sgpr_kernarg_preload_offset 0
		.amdhsa_user_sgpr_private_segment_size 0
		.amdhsa_uses_dynamic_stack 0
		.amdhsa_system_sgpr_private_segment_wavefront_offset 0
		.amdhsa_system_sgpr_workgroup_id_x 1
		.amdhsa_system_sgpr_workgroup_id_y 0
		.amdhsa_system_sgpr_workgroup_id_z 0
		.amdhsa_system_sgpr_workgroup_info 0
		.amdhsa_system_vgpr_workitem_id 0
		.amdhsa_next_free_vgpr 1
		.amdhsa_next_free_sgpr 0
		.amdhsa_accum_offset 4
		.amdhsa_reserve_vcc 0
		.amdhsa_reserve_flat_scratch 0
		.amdhsa_float_round_mode_32 0
		.amdhsa_float_round_mode_16_64 0
		.amdhsa_float_denorm_mode_32 3
		.amdhsa_float_denorm_mode_16_64 3
		.amdhsa_dx10_clamp 1
		.amdhsa_ieee_mode 1
		.amdhsa_fp16_overflow 0
		.amdhsa_tg_split 0
		.amdhsa_exception_fp_ieee_invalid_op 0
		.amdhsa_exception_fp_denorm_src 0
		.amdhsa_exception_fp_ieee_div_zero 0
		.amdhsa_exception_fp_ieee_overflow 0
		.amdhsa_exception_fp_ieee_underflow 0
		.amdhsa_exception_fp_ieee_inexact 0
		.amdhsa_exception_int_div_zero 0
	.end_amdhsa_kernel
	.section	.text._ZN6thrust23THRUST_200600_302600_NS11hip_rocprim14__parallel_for6kernelILj256ENS1_10for_each_fINS0_7pointerI14custom_numericNS1_3tagENS0_11use_defaultES8_EENS0_6detail16wrapped_functionINSA_23allocator_traits_detail5gozerEvEEEElLj1EEEvT0_T1_SH_,"axG",@progbits,_ZN6thrust23THRUST_200600_302600_NS11hip_rocprim14__parallel_for6kernelILj256ENS1_10for_each_fINS0_7pointerI14custom_numericNS1_3tagENS0_11use_defaultES8_EENS0_6detail16wrapped_functionINSA_23allocator_traits_detail5gozerEvEEEElLj1EEEvT0_T1_SH_,comdat
.Lfunc_end1391:
	.size	_ZN6thrust23THRUST_200600_302600_NS11hip_rocprim14__parallel_for6kernelILj256ENS1_10for_each_fINS0_7pointerI14custom_numericNS1_3tagENS0_11use_defaultES8_EENS0_6detail16wrapped_functionINSA_23allocator_traits_detail5gozerEvEEEElLj1EEEvT0_T1_SH_, .Lfunc_end1391-_ZN6thrust23THRUST_200600_302600_NS11hip_rocprim14__parallel_for6kernelILj256ENS1_10for_each_fINS0_7pointerI14custom_numericNS1_3tagENS0_11use_defaultES8_EENS0_6detail16wrapped_functionINSA_23allocator_traits_detail5gozerEvEEEElLj1EEEvT0_T1_SH_
                                        ; -- End function
	.section	.AMDGPU.csdata,"",@progbits
; Kernel info:
; codeLenInByte = 4
; NumSgprs: 4
; NumVgprs: 0
; NumAgprs: 0
; TotalNumVgprs: 0
; ScratchSize: 0
; MemoryBound: 0
; FloatMode: 240
; IeeeMode: 1
; LDSByteSize: 0 bytes/workgroup (compile time only)
; SGPRBlocks: 0
; VGPRBlocks: 0
; NumSGPRsForWavesPerEU: 4
; NumVGPRsForWavesPerEU: 1
; AccumOffset: 4
; Occupancy: 8
; WaveLimiterHint : 0
; COMPUTE_PGM_RSRC2:SCRATCH_EN: 0
; COMPUTE_PGM_RSRC2:USER_SGPR: 6
; COMPUTE_PGM_RSRC2:TRAP_HANDLER: 0
; COMPUTE_PGM_RSRC2:TGID_X_EN: 1
; COMPUTE_PGM_RSRC2:TGID_Y_EN: 0
; COMPUTE_PGM_RSRC2:TGID_Z_EN: 0
; COMPUTE_PGM_RSRC2:TIDIG_COMP_CNT: 0
; COMPUTE_PGM_RSRC3_GFX90A:ACCUM_OFFSET: 0
; COMPUTE_PGM_RSRC3_GFX90A:TG_SPLIT: 0
	.section	.text._ZN6thrust23THRUST_200600_302600_NS11hip_rocprim14__parallel_for6kernelILj256ENS1_11__transform17unary_transform_fINS0_7pointerI14custom_numericNS1_3tagENS0_11use_defaultES9_EENS0_10device_ptrIS7_EENS4_14no_stencil_tagENS0_8identityIS7_EENS4_21always_true_predicateEEElLj1EEEvT0_T1_SJ_,"axG",@progbits,_ZN6thrust23THRUST_200600_302600_NS11hip_rocprim14__parallel_for6kernelILj256ENS1_11__transform17unary_transform_fINS0_7pointerI14custom_numericNS1_3tagENS0_11use_defaultES9_EENS0_10device_ptrIS7_EENS4_14no_stencil_tagENS0_8identityIS7_EENS4_21always_true_predicateEEElLj1EEEvT0_T1_SJ_,comdat
	.protected	_ZN6thrust23THRUST_200600_302600_NS11hip_rocprim14__parallel_for6kernelILj256ENS1_11__transform17unary_transform_fINS0_7pointerI14custom_numericNS1_3tagENS0_11use_defaultES9_EENS0_10device_ptrIS7_EENS4_14no_stencil_tagENS0_8identityIS7_EENS4_21always_true_predicateEEElLj1EEEvT0_T1_SJ_ ; -- Begin function _ZN6thrust23THRUST_200600_302600_NS11hip_rocprim14__parallel_for6kernelILj256ENS1_11__transform17unary_transform_fINS0_7pointerI14custom_numericNS1_3tagENS0_11use_defaultES9_EENS0_10device_ptrIS7_EENS4_14no_stencil_tagENS0_8identityIS7_EENS4_21always_true_predicateEEElLj1EEEvT0_T1_SJ_
	.globl	_ZN6thrust23THRUST_200600_302600_NS11hip_rocprim14__parallel_for6kernelILj256ENS1_11__transform17unary_transform_fINS0_7pointerI14custom_numericNS1_3tagENS0_11use_defaultES9_EENS0_10device_ptrIS7_EENS4_14no_stencil_tagENS0_8identityIS7_EENS4_21always_true_predicateEEElLj1EEEvT0_T1_SJ_
	.p2align	8
	.type	_ZN6thrust23THRUST_200600_302600_NS11hip_rocprim14__parallel_for6kernelILj256ENS1_11__transform17unary_transform_fINS0_7pointerI14custom_numericNS1_3tagENS0_11use_defaultES9_EENS0_10device_ptrIS7_EENS4_14no_stencil_tagENS0_8identityIS7_EENS4_21always_true_predicateEEElLj1EEEvT0_T1_SJ_,@function
_ZN6thrust23THRUST_200600_302600_NS11hip_rocprim14__parallel_for6kernelILj256ENS1_11__transform17unary_transform_fINS0_7pointerI14custom_numericNS1_3tagENS0_11use_defaultES9_EENS0_10device_ptrIS7_EENS4_14no_stencil_tagENS0_8identityIS7_EENS4_21always_true_predicateEEElLj1EEEvT0_T1_SJ_: ; @_ZN6thrust23THRUST_200600_302600_NS11hip_rocprim14__parallel_for6kernelILj256ENS1_11__transform17unary_transform_fINS0_7pointerI14custom_numericNS1_3tagENS0_11use_defaultES9_EENS0_10device_ptrIS7_EENS4_14no_stencil_tagENS0_8identityIS7_EENS4_21always_true_predicateEEElLj1EEEvT0_T1_SJ_
; %bb.0:
	s_load_dwordx4 s[8:11], s[4:5], 0x18
	s_lshl_b32 s0, s6, 8
	v_mov_b32_e32 v2, 0x100
	v_mov_b32_e32 v3, 0
	s_waitcnt lgkmcnt(0)
	s_add_u32 s0, s0, s10
	s_addc_u32 s1, 0, s11
	s_sub_u32 s2, s8, s0
	s_subb_u32 s3, s9, s1
	v_cmp_lt_i64_e32 vcc, s[2:3], v[2:3]
	s_and_b64 s[6:7], vcc, exec
	s_cselect_b32 s6, s2, 0x100
	s_cmpk_eq_i32 s6, 0x100
	s_cselect_b64 s[2:3], -1, 0
	v_cmp_gt_u32_e32 vcc, s6, v0
	s_or_b64 s[2:3], s[2:3], vcc
	s_and_saveexec_b64 s[6:7], s[2:3]
	s_cbranch_execz .LBB1392_2
; %bb.1:
	s_load_dwordx4 s[4:7], s[4:5], 0x0
	v_mov_b32_e32 v1, s1
	v_add_co_u32_e32 v4, vcc, s0, v0
	v_addc_co_u32_e32 v5, vcc, 0, v1, vcc
	s_waitcnt lgkmcnt(0)
	v_mov_b32_e32 v2, s4
	v_mov_b32_e32 v3, s5
	v_mad_u64_u32 v[0:1], s[0:1], v4, 20, v[2:3]
	v_mul_lo_u32 v6, v5, 20
	v_add_u32_e32 v1, v6, v1
	flat_load_dword v0, v[0:1]
	v_mov_b32_e32 v2, s6
	v_mov_b32_e32 v3, s7
	v_mad_u64_u32 v[4:5], s[0:1], v4, 20, v[2:3]
	v_add_u32_e32 v5, v6, v5
	s_waitcnt vmcnt(0) lgkmcnt(0)
	v_mov_b32_e32 v1, v0
	v_mov_b32_e32 v2, v0
	;; [unrolled: 1-line block ×3, first 2 shown]
	flat_store_dwordx4 v[4:5], v[0:3]
	flat_store_dword v[4:5], v0 offset:16
.LBB1392_2:
	s_endpgm
	.section	.rodata,"a",@progbits
	.p2align	6, 0x0
	.amdhsa_kernel _ZN6thrust23THRUST_200600_302600_NS11hip_rocprim14__parallel_for6kernelILj256ENS1_11__transform17unary_transform_fINS0_7pointerI14custom_numericNS1_3tagENS0_11use_defaultES9_EENS0_10device_ptrIS7_EENS4_14no_stencil_tagENS0_8identityIS7_EENS4_21always_true_predicateEEElLj1EEEvT0_T1_SJ_
		.amdhsa_group_segment_fixed_size 0
		.amdhsa_private_segment_fixed_size 0
		.amdhsa_kernarg_size 40
		.amdhsa_user_sgpr_count 6
		.amdhsa_user_sgpr_private_segment_buffer 1
		.amdhsa_user_sgpr_dispatch_ptr 0
		.amdhsa_user_sgpr_queue_ptr 0
		.amdhsa_user_sgpr_kernarg_segment_ptr 1
		.amdhsa_user_sgpr_dispatch_id 0
		.amdhsa_user_sgpr_flat_scratch_init 0
		.amdhsa_user_sgpr_kernarg_preload_length 0
		.amdhsa_user_sgpr_kernarg_preload_offset 0
		.amdhsa_user_sgpr_private_segment_size 0
		.amdhsa_uses_dynamic_stack 0
		.amdhsa_system_sgpr_private_segment_wavefront_offset 0
		.amdhsa_system_sgpr_workgroup_id_x 1
		.amdhsa_system_sgpr_workgroup_id_y 0
		.amdhsa_system_sgpr_workgroup_id_z 0
		.amdhsa_system_sgpr_workgroup_info 0
		.amdhsa_system_vgpr_workitem_id 0
		.amdhsa_next_free_vgpr 7
		.amdhsa_next_free_sgpr 12
		.amdhsa_accum_offset 8
		.amdhsa_reserve_vcc 1
		.amdhsa_reserve_flat_scratch 0
		.amdhsa_float_round_mode_32 0
		.amdhsa_float_round_mode_16_64 0
		.amdhsa_float_denorm_mode_32 3
		.amdhsa_float_denorm_mode_16_64 3
		.amdhsa_dx10_clamp 1
		.amdhsa_ieee_mode 1
		.amdhsa_fp16_overflow 0
		.amdhsa_tg_split 0
		.amdhsa_exception_fp_ieee_invalid_op 0
		.amdhsa_exception_fp_denorm_src 0
		.amdhsa_exception_fp_ieee_div_zero 0
		.amdhsa_exception_fp_ieee_overflow 0
		.amdhsa_exception_fp_ieee_underflow 0
		.amdhsa_exception_fp_ieee_inexact 0
		.amdhsa_exception_int_div_zero 0
	.end_amdhsa_kernel
	.section	.text._ZN6thrust23THRUST_200600_302600_NS11hip_rocprim14__parallel_for6kernelILj256ENS1_11__transform17unary_transform_fINS0_7pointerI14custom_numericNS1_3tagENS0_11use_defaultES9_EENS0_10device_ptrIS7_EENS4_14no_stencil_tagENS0_8identityIS7_EENS4_21always_true_predicateEEElLj1EEEvT0_T1_SJ_,"axG",@progbits,_ZN6thrust23THRUST_200600_302600_NS11hip_rocprim14__parallel_for6kernelILj256ENS1_11__transform17unary_transform_fINS0_7pointerI14custom_numericNS1_3tagENS0_11use_defaultES9_EENS0_10device_ptrIS7_EENS4_14no_stencil_tagENS0_8identityIS7_EENS4_21always_true_predicateEEElLj1EEEvT0_T1_SJ_,comdat
.Lfunc_end1392:
	.size	_ZN6thrust23THRUST_200600_302600_NS11hip_rocprim14__parallel_for6kernelILj256ENS1_11__transform17unary_transform_fINS0_7pointerI14custom_numericNS1_3tagENS0_11use_defaultES9_EENS0_10device_ptrIS7_EENS4_14no_stencil_tagENS0_8identityIS7_EENS4_21always_true_predicateEEElLj1EEEvT0_T1_SJ_, .Lfunc_end1392-_ZN6thrust23THRUST_200600_302600_NS11hip_rocprim14__parallel_for6kernelILj256ENS1_11__transform17unary_transform_fINS0_7pointerI14custom_numericNS1_3tagENS0_11use_defaultES9_EENS0_10device_ptrIS7_EENS4_14no_stencil_tagENS0_8identityIS7_EENS4_21always_true_predicateEEElLj1EEEvT0_T1_SJ_
                                        ; -- End function
	.section	.AMDGPU.csdata,"",@progbits
; Kernel info:
; codeLenInByte = 200
; NumSgprs: 16
; NumVgprs: 7
; NumAgprs: 0
; TotalNumVgprs: 7
; ScratchSize: 0
; MemoryBound: 0
; FloatMode: 240
; IeeeMode: 1
; LDSByteSize: 0 bytes/workgroup (compile time only)
; SGPRBlocks: 1
; VGPRBlocks: 0
; NumSGPRsForWavesPerEU: 16
; NumVGPRsForWavesPerEU: 7
; AccumOffset: 8
; Occupancy: 8
; WaveLimiterHint : 0
; COMPUTE_PGM_RSRC2:SCRATCH_EN: 0
; COMPUTE_PGM_RSRC2:USER_SGPR: 6
; COMPUTE_PGM_RSRC2:TRAP_HANDLER: 0
; COMPUTE_PGM_RSRC2:TGID_X_EN: 1
; COMPUTE_PGM_RSRC2:TGID_Y_EN: 0
; COMPUTE_PGM_RSRC2:TGID_Z_EN: 0
; COMPUTE_PGM_RSRC2:TIDIG_COMP_CNT: 0
; COMPUTE_PGM_RSRC3_GFX90A:ACCUM_OFFSET: 1
; COMPUTE_PGM_RSRC3_GFX90A:TG_SPLIT: 0
	.section	.text._ZN6thrust23THRUST_200600_302600_NS11hip_rocprim14__parallel_for6kernelILj256ENS1_20__uninitialized_copy7functorINS0_7pointerI14custom_numericNS1_3tagENS0_11use_defaultES9_EESA_EEmLj1EEEvT0_T1_SD_,"axG",@progbits,_ZN6thrust23THRUST_200600_302600_NS11hip_rocprim14__parallel_for6kernelILj256ENS1_20__uninitialized_copy7functorINS0_7pointerI14custom_numericNS1_3tagENS0_11use_defaultES9_EESA_EEmLj1EEEvT0_T1_SD_,comdat
	.protected	_ZN6thrust23THRUST_200600_302600_NS11hip_rocprim14__parallel_for6kernelILj256ENS1_20__uninitialized_copy7functorINS0_7pointerI14custom_numericNS1_3tagENS0_11use_defaultES9_EESA_EEmLj1EEEvT0_T1_SD_ ; -- Begin function _ZN6thrust23THRUST_200600_302600_NS11hip_rocprim14__parallel_for6kernelILj256ENS1_20__uninitialized_copy7functorINS0_7pointerI14custom_numericNS1_3tagENS0_11use_defaultES9_EESA_EEmLj1EEEvT0_T1_SD_
	.globl	_ZN6thrust23THRUST_200600_302600_NS11hip_rocprim14__parallel_for6kernelILj256ENS1_20__uninitialized_copy7functorINS0_7pointerI14custom_numericNS1_3tagENS0_11use_defaultES9_EESA_EEmLj1EEEvT0_T1_SD_
	.p2align	8
	.type	_ZN6thrust23THRUST_200600_302600_NS11hip_rocprim14__parallel_for6kernelILj256ENS1_20__uninitialized_copy7functorINS0_7pointerI14custom_numericNS1_3tagENS0_11use_defaultES9_EESA_EEmLj1EEEvT0_T1_SD_,@function
_ZN6thrust23THRUST_200600_302600_NS11hip_rocprim14__parallel_for6kernelILj256ENS1_20__uninitialized_copy7functorINS0_7pointerI14custom_numericNS1_3tagENS0_11use_defaultES9_EESA_EEmLj1EEEvT0_T1_SD_: ; @_ZN6thrust23THRUST_200600_302600_NS11hip_rocprim14__parallel_for6kernelILj256ENS1_20__uninitialized_copy7functorINS0_7pointerI14custom_numericNS1_3tagENS0_11use_defaultES9_EESA_EEmLj1EEEvT0_T1_SD_
; %bb.0:
	s_load_dwordx8 s[8:15], s[4:5], 0x0
	s_lshl_b32 s0, s6, 8
	v_mov_b32_e32 v2, 0x100
	v_mov_b32_e32 v3, 0
	s_waitcnt lgkmcnt(0)
	s_add_u32 s4, s0, s14
	s_addc_u32 s5, 0, s15
	s_sub_u32 s0, s12, s4
	s_subb_u32 s1, s13, s5
	v_cmp_lt_u64_e32 vcc, s[0:1], v[2:3]
	s_cbranch_vccz .LBB1393_2
; %bb.1:
	v_cmp_gt_u32_e32 vcc, s0, v0
	s_and_b64 s[0:1], vcc, exec
	s_cbranch_execz .LBB1393_3
	s_branch .LBB1393_4
.LBB1393_2:
	s_mov_b64 s[0:1], 0
.LBB1393_3:
	s_or_b64 s[0:1], s[0:1], exec
.LBB1393_4:
	s_and_saveexec_b64 s[2:3], s[0:1]
	s_cbranch_execnz .LBB1393_6
; %bb.5:
	s_endpgm
.LBB1393_6:
	v_mov_b32_e32 v1, s5
	v_add_co_u32_e32 v4, vcc, s4, v0
	v_mov_b32_e32 v2, s8
	v_mov_b32_e32 v3, s9
	v_addc_co_u32_e32 v5, vcc, 0, v1, vcc
	v_mad_u64_u32 v[0:1], s[0:1], v4, 20, v[2:3]
	v_mul_lo_u32 v6, v5, 20
	v_add_u32_e32 v1, v6, v1
	flat_load_dword v0, v[0:1]
	v_mov_b32_e32 v2, s10
	v_mov_b32_e32 v3, s11
	v_mad_u64_u32 v[4:5], s[0:1], v4, 20, v[2:3]
	v_add_u32_e32 v5, v6, v5
	s_waitcnt vmcnt(0) lgkmcnt(0)
	v_mov_b32_e32 v1, v0
	v_mov_b32_e32 v2, v0
	v_mov_b32_e32 v3, v0
	flat_store_dwordx4 v[4:5], v[0:3]
	flat_store_dword v[4:5], v0 offset:16
	s_endpgm
	.section	.rodata,"a",@progbits
	.p2align	6, 0x0
	.amdhsa_kernel _ZN6thrust23THRUST_200600_302600_NS11hip_rocprim14__parallel_for6kernelILj256ENS1_20__uninitialized_copy7functorINS0_7pointerI14custom_numericNS1_3tagENS0_11use_defaultES9_EESA_EEmLj1EEEvT0_T1_SD_
		.amdhsa_group_segment_fixed_size 0
		.amdhsa_private_segment_fixed_size 0
		.amdhsa_kernarg_size 32
		.amdhsa_user_sgpr_count 6
		.amdhsa_user_sgpr_private_segment_buffer 1
		.amdhsa_user_sgpr_dispatch_ptr 0
		.amdhsa_user_sgpr_queue_ptr 0
		.amdhsa_user_sgpr_kernarg_segment_ptr 1
		.amdhsa_user_sgpr_dispatch_id 0
		.amdhsa_user_sgpr_flat_scratch_init 0
		.amdhsa_user_sgpr_kernarg_preload_length 0
		.amdhsa_user_sgpr_kernarg_preload_offset 0
		.amdhsa_user_sgpr_private_segment_size 0
		.amdhsa_uses_dynamic_stack 0
		.amdhsa_system_sgpr_private_segment_wavefront_offset 0
		.amdhsa_system_sgpr_workgroup_id_x 1
		.amdhsa_system_sgpr_workgroup_id_y 0
		.amdhsa_system_sgpr_workgroup_id_z 0
		.amdhsa_system_sgpr_workgroup_info 0
		.amdhsa_system_vgpr_workitem_id 0
		.amdhsa_next_free_vgpr 7
		.amdhsa_next_free_sgpr 16
		.amdhsa_accum_offset 8
		.amdhsa_reserve_vcc 1
		.amdhsa_reserve_flat_scratch 0
		.amdhsa_float_round_mode_32 0
		.amdhsa_float_round_mode_16_64 0
		.amdhsa_float_denorm_mode_32 3
		.amdhsa_float_denorm_mode_16_64 3
		.amdhsa_dx10_clamp 1
		.amdhsa_ieee_mode 1
		.amdhsa_fp16_overflow 0
		.amdhsa_tg_split 0
		.amdhsa_exception_fp_ieee_invalid_op 0
		.amdhsa_exception_fp_denorm_src 0
		.amdhsa_exception_fp_ieee_div_zero 0
		.amdhsa_exception_fp_ieee_overflow 0
		.amdhsa_exception_fp_ieee_underflow 0
		.amdhsa_exception_fp_ieee_inexact 0
		.amdhsa_exception_int_div_zero 0
	.end_amdhsa_kernel
	.section	.text._ZN6thrust23THRUST_200600_302600_NS11hip_rocprim14__parallel_for6kernelILj256ENS1_20__uninitialized_copy7functorINS0_7pointerI14custom_numericNS1_3tagENS0_11use_defaultES9_EESA_EEmLj1EEEvT0_T1_SD_,"axG",@progbits,_ZN6thrust23THRUST_200600_302600_NS11hip_rocprim14__parallel_for6kernelILj256ENS1_20__uninitialized_copy7functorINS0_7pointerI14custom_numericNS1_3tagENS0_11use_defaultES9_EESA_EEmLj1EEEvT0_T1_SD_,comdat
.Lfunc_end1393:
	.size	_ZN6thrust23THRUST_200600_302600_NS11hip_rocprim14__parallel_for6kernelILj256ENS1_20__uninitialized_copy7functorINS0_7pointerI14custom_numericNS1_3tagENS0_11use_defaultES9_EESA_EEmLj1EEEvT0_T1_SD_, .Lfunc_end1393-_ZN6thrust23THRUST_200600_302600_NS11hip_rocprim14__parallel_for6kernelILj256ENS1_20__uninitialized_copy7functorINS0_7pointerI14custom_numericNS1_3tagENS0_11use_defaultES9_EESA_EEmLj1EEEvT0_T1_SD_
                                        ; -- End function
	.section	.AMDGPU.csdata,"",@progbits
; Kernel info:
; codeLenInByte = 192
; NumSgprs: 20
; NumVgprs: 7
; NumAgprs: 0
; TotalNumVgprs: 7
; ScratchSize: 0
; MemoryBound: 0
; FloatMode: 240
; IeeeMode: 1
; LDSByteSize: 0 bytes/workgroup (compile time only)
; SGPRBlocks: 2
; VGPRBlocks: 0
; NumSGPRsForWavesPerEU: 20
; NumVGPRsForWavesPerEU: 7
; AccumOffset: 8
; Occupancy: 8
; WaveLimiterHint : 0
; COMPUTE_PGM_RSRC2:SCRATCH_EN: 0
; COMPUTE_PGM_RSRC2:USER_SGPR: 6
; COMPUTE_PGM_RSRC2:TRAP_HANDLER: 0
; COMPUTE_PGM_RSRC2:TGID_X_EN: 1
; COMPUTE_PGM_RSRC2:TGID_Y_EN: 0
; COMPUTE_PGM_RSRC2:TGID_Z_EN: 0
; COMPUTE_PGM_RSRC2:TIDIG_COMP_CNT: 0
; COMPUTE_PGM_RSRC3_GFX90A:ACCUM_OFFSET: 1
; COMPUTE_PGM_RSRC3_GFX90A:TG_SPLIT: 0
	.section	.text._ZN6thrust23THRUST_200600_302600_NS11hip_rocprim14__parallel_for6kernelILj256ENS1_10for_each_fINS0_10device_ptrI14custom_numericEENS0_6detail16wrapped_functionINS8_23allocator_traits_detail5gozerEvEEEElLj1EEEvT0_T1_SF_,"axG",@progbits,_ZN6thrust23THRUST_200600_302600_NS11hip_rocprim14__parallel_for6kernelILj256ENS1_10for_each_fINS0_10device_ptrI14custom_numericEENS0_6detail16wrapped_functionINS8_23allocator_traits_detail5gozerEvEEEElLj1EEEvT0_T1_SF_,comdat
	.protected	_ZN6thrust23THRUST_200600_302600_NS11hip_rocprim14__parallel_for6kernelILj256ENS1_10for_each_fINS0_10device_ptrI14custom_numericEENS0_6detail16wrapped_functionINS8_23allocator_traits_detail5gozerEvEEEElLj1EEEvT0_T1_SF_ ; -- Begin function _ZN6thrust23THRUST_200600_302600_NS11hip_rocprim14__parallel_for6kernelILj256ENS1_10for_each_fINS0_10device_ptrI14custom_numericEENS0_6detail16wrapped_functionINS8_23allocator_traits_detail5gozerEvEEEElLj1EEEvT0_T1_SF_
	.globl	_ZN6thrust23THRUST_200600_302600_NS11hip_rocprim14__parallel_for6kernelILj256ENS1_10for_each_fINS0_10device_ptrI14custom_numericEENS0_6detail16wrapped_functionINS8_23allocator_traits_detail5gozerEvEEEElLj1EEEvT0_T1_SF_
	.p2align	8
	.type	_ZN6thrust23THRUST_200600_302600_NS11hip_rocprim14__parallel_for6kernelILj256ENS1_10for_each_fINS0_10device_ptrI14custom_numericEENS0_6detail16wrapped_functionINS8_23allocator_traits_detail5gozerEvEEEElLj1EEEvT0_T1_SF_,@function
_ZN6thrust23THRUST_200600_302600_NS11hip_rocprim14__parallel_for6kernelILj256ENS1_10for_each_fINS0_10device_ptrI14custom_numericEENS0_6detail16wrapped_functionINS8_23allocator_traits_detail5gozerEvEEEElLj1EEEvT0_T1_SF_: ; @_ZN6thrust23THRUST_200600_302600_NS11hip_rocprim14__parallel_for6kernelILj256ENS1_10for_each_fINS0_10device_ptrI14custom_numericEENS0_6detail16wrapped_functionINS8_23allocator_traits_detail5gozerEvEEEElLj1EEEvT0_T1_SF_
; %bb.0:
	s_endpgm
	.section	.rodata,"a",@progbits
	.p2align	6, 0x0
	.amdhsa_kernel _ZN6thrust23THRUST_200600_302600_NS11hip_rocprim14__parallel_for6kernelILj256ENS1_10for_each_fINS0_10device_ptrI14custom_numericEENS0_6detail16wrapped_functionINS8_23allocator_traits_detail5gozerEvEEEElLj1EEEvT0_T1_SF_
		.amdhsa_group_segment_fixed_size 0
		.amdhsa_private_segment_fixed_size 0
		.amdhsa_kernarg_size 32
		.amdhsa_user_sgpr_count 6
		.amdhsa_user_sgpr_private_segment_buffer 1
		.amdhsa_user_sgpr_dispatch_ptr 0
		.amdhsa_user_sgpr_queue_ptr 0
		.amdhsa_user_sgpr_kernarg_segment_ptr 1
		.amdhsa_user_sgpr_dispatch_id 0
		.amdhsa_user_sgpr_flat_scratch_init 0
		.amdhsa_user_sgpr_kernarg_preload_length 0
		.amdhsa_user_sgpr_kernarg_preload_offset 0
		.amdhsa_user_sgpr_private_segment_size 0
		.amdhsa_uses_dynamic_stack 0
		.amdhsa_system_sgpr_private_segment_wavefront_offset 0
		.amdhsa_system_sgpr_workgroup_id_x 1
		.amdhsa_system_sgpr_workgroup_id_y 0
		.amdhsa_system_sgpr_workgroup_id_z 0
		.amdhsa_system_sgpr_workgroup_info 0
		.amdhsa_system_vgpr_workitem_id 0
		.amdhsa_next_free_vgpr 1
		.amdhsa_next_free_sgpr 0
		.amdhsa_accum_offset 4
		.amdhsa_reserve_vcc 0
		.amdhsa_reserve_flat_scratch 0
		.amdhsa_float_round_mode_32 0
		.amdhsa_float_round_mode_16_64 0
		.amdhsa_float_denorm_mode_32 3
		.amdhsa_float_denorm_mode_16_64 3
		.amdhsa_dx10_clamp 1
		.amdhsa_ieee_mode 1
		.amdhsa_fp16_overflow 0
		.amdhsa_tg_split 0
		.amdhsa_exception_fp_ieee_invalid_op 0
		.amdhsa_exception_fp_denorm_src 0
		.amdhsa_exception_fp_ieee_div_zero 0
		.amdhsa_exception_fp_ieee_overflow 0
		.amdhsa_exception_fp_ieee_underflow 0
		.amdhsa_exception_fp_ieee_inexact 0
		.amdhsa_exception_int_div_zero 0
	.end_amdhsa_kernel
	.section	.text._ZN6thrust23THRUST_200600_302600_NS11hip_rocprim14__parallel_for6kernelILj256ENS1_10for_each_fINS0_10device_ptrI14custom_numericEENS0_6detail16wrapped_functionINS8_23allocator_traits_detail5gozerEvEEEElLj1EEEvT0_T1_SF_,"axG",@progbits,_ZN6thrust23THRUST_200600_302600_NS11hip_rocprim14__parallel_for6kernelILj256ENS1_10for_each_fINS0_10device_ptrI14custom_numericEENS0_6detail16wrapped_functionINS8_23allocator_traits_detail5gozerEvEEEElLj1EEEvT0_T1_SF_,comdat
.Lfunc_end1394:
	.size	_ZN6thrust23THRUST_200600_302600_NS11hip_rocprim14__parallel_for6kernelILj256ENS1_10for_each_fINS0_10device_ptrI14custom_numericEENS0_6detail16wrapped_functionINS8_23allocator_traits_detail5gozerEvEEEElLj1EEEvT0_T1_SF_, .Lfunc_end1394-_ZN6thrust23THRUST_200600_302600_NS11hip_rocprim14__parallel_for6kernelILj256ENS1_10for_each_fINS0_10device_ptrI14custom_numericEENS0_6detail16wrapped_functionINS8_23allocator_traits_detail5gozerEvEEEElLj1EEEvT0_T1_SF_
                                        ; -- End function
	.section	.AMDGPU.csdata,"",@progbits
; Kernel info:
; codeLenInByte = 4
; NumSgprs: 4
; NumVgprs: 0
; NumAgprs: 0
; TotalNumVgprs: 0
; ScratchSize: 0
; MemoryBound: 0
; FloatMode: 240
; IeeeMode: 1
; LDSByteSize: 0 bytes/workgroup (compile time only)
; SGPRBlocks: 0
; VGPRBlocks: 0
; NumSGPRsForWavesPerEU: 4
; NumVGPRsForWavesPerEU: 1
; AccumOffset: 4
; Occupancy: 8
; WaveLimiterHint : 0
; COMPUTE_PGM_RSRC2:SCRATCH_EN: 0
; COMPUTE_PGM_RSRC2:USER_SGPR: 6
; COMPUTE_PGM_RSRC2:TRAP_HANDLER: 0
; COMPUTE_PGM_RSRC2:TGID_X_EN: 1
; COMPUTE_PGM_RSRC2:TGID_Y_EN: 0
; COMPUTE_PGM_RSRC2:TGID_Z_EN: 0
; COMPUTE_PGM_RSRC2:TIDIG_COMP_CNT: 0
; COMPUTE_PGM_RSRC3_GFX90A:ACCUM_OFFSET: 0
; COMPUTE_PGM_RSRC3_GFX90A:TG_SPLIT: 0
	.section	.text._ZN6thrust23THRUST_200600_302600_NS11hip_rocprim14__parallel_for6kernelILj256ENS1_20__uninitialized_copy7functorINS0_6detail15normal_iteratorINS0_10device_ptrIK14custom_numericEEEENS0_7pointerIS9_NS1_3tagENS0_11use_defaultESF_EEEEmLj1EEEvT0_T1_SJ_,"axG",@progbits,_ZN6thrust23THRUST_200600_302600_NS11hip_rocprim14__parallel_for6kernelILj256ENS1_20__uninitialized_copy7functorINS0_6detail15normal_iteratorINS0_10device_ptrIK14custom_numericEEEENS0_7pointerIS9_NS1_3tagENS0_11use_defaultESF_EEEEmLj1EEEvT0_T1_SJ_,comdat
	.protected	_ZN6thrust23THRUST_200600_302600_NS11hip_rocprim14__parallel_for6kernelILj256ENS1_20__uninitialized_copy7functorINS0_6detail15normal_iteratorINS0_10device_ptrIK14custom_numericEEEENS0_7pointerIS9_NS1_3tagENS0_11use_defaultESF_EEEEmLj1EEEvT0_T1_SJ_ ; -- Begin function _ZN6thrust23THRUST_200600_302600_NS11hip_rocprim14__parallel_for6kernelILj256ENS1_20__uninitialized_copy7functorINS0_6detail15normal_iteratorINS0_10device_ptrIK14custom_numericEEEENS0_7pointerIS9_NS1_3tagENS0_11use_defaultESF_EEEEmLj1EEEvT0_T1_SJ_
	.globl	_ZN6thrust23THRUST_200600_302600_NS11hip_rocprim14__parallel_for6kernelILj256ENS1_20__uninitialized_copy7functorINS0_6detail15normal_iteratorINS0_10device_ptrIK14custom_numericEEEENS0_7pointerIS9_NS1_3tagENS0_11use_defaultESF_EEEEmLj1EEEvT0_T1_SJ_
	.p2align	8
	.type	_ZN6thrust23THRUST_200600_302600_NS11hip_rocprim14__parallel_for6kernelILj256ENS1_20__uninitialized_copy7functorINS0_6detail15normal_iteratorINS0_10device_ptrIK14custom_numericEEEENS0_7pointerIS9_NS1_3tagENS0_11use_defaultESF_EEEEmLj1EEEvT0_T1_SJ_,@function
_ZN6thrust23THRUST_200600_302600_NS11hip_rocprim14__parallel_for6kernelILj256ENS1_20__uninitialized_copy7functorINS0_6detail15normal_iteratorINS0_10device_ptrIK14custom_numericEEEENS0_7pointerIS9_NS1_3tagENS0_11use_defaultESF_EEEEmLj1EEEvT0_T1_SJ_: ; @_ZN6thrust23THRUST_200600_302600_NS11hip_rocprim14__parallel_for6kernelILj256ENS1_20__uninitialized_copy7functorINS0_6detail15normal_iteratorINS0_10device_ptrIK14custom_numericEEEENS0_7pointerIS9_NS1_3tagENS0_11use_defaultESF_EEEEmLj1EEEvT0_T1_SJ_
; %bb.0:
	s_load_dwordx8 s[8:15], s[4:5], 0x0
	s_lshl_b32 s0, s6, 8
	v_mov_b32_e32 v2, 0x100
	v_mov_b32_e32 v3, 0
	s_waitcnt lgkmcnt(0)
	s_add_u32 s4, s0, s14
	s_addc_u32 s5, 0, s15
	s_sub_u32 s0, s12, s4
	s_subb_u32 s1, s13, s5
	v_cmp_lt_u64_e32 vcc, s[0:1], v[2:3]
	s_cbranch_vccz .LBB1395_2
; %bb.1:
	v_cmp_gt_u32_e32 vcc, s0, v0
	s_and_b64 s[0:1], vcc, exec
	s_cbranch_execz .LBB1395_3
	s_branch .LBB1395_4
.LBB1395_2:
	s_mov_b64 s[0:1], 0
.LBB1395_3:
	s_or_b64 s[0:1], s[0:1], exec
.LBB1395_4:
	s_and_saveexec_b64 s[2:3], s[0:1]
	s_cbranch_execnz .LBB1395_6
; %bb.5:
	s_endpgm
.LBB1395_6:
	v_mov_b32_e32 v1, s5
	v_add_co_u32_e32 v4, vcc, s4, v0
	v_mov_b32_e32 v2, s8
	v_mov_b32_e32 v3, s9
	v_addc_co_u32_e32 v5, vcc, 0, v1, vcc
	v_mad_u64_u32 v[0:1], s[0:1], v4, 20, v[2:3]
	v_mul_lo_u32 v6, v5, 20
	v_add_u32_e32 v1, v6, v1
	flat_load_dword v0, v[0:1]
	v_mov_b32_e32 v2, s10
	v_mov_b32_e32 v3, s11
	v_mad_u64_u32 v[4:5], s[0:1], v4, 20, v[2:3]
	v_add_u32_e32 v5, v6, v5
	s_waitcnt vmcnt(0) lgkmcnt(0)
	v_mov_b32_e32 v1, v0
	v_mov_b32_e32 v2, v0
	;; [unrolled: 1-line block ×3, first 2 shown]
	flat_store_dwordx4 v[4:5], v[0:3]
	flat_store_dword v[4:5], v0 offset:16
	s_endpgm
	.section	.rodata,"a",@progbits
	.p2align	6, 0x0
	.amdhsa_kernel _ZN6thrust23THRUST_200600_302600_NS11hip_rocprim14__parallel_for6kernelILj256ENS1_20__uninitialized_copy7functorINS0_6detail15normal_iteratorINS0_10device_ptrIK14custom_numericEEEENS0_7pointerIS9_NS1_3tagENS0_11use_defaultESF_EEEEmLj1EEEvT0_T1_SJ_
		.amdhsa_group_segment_fixed_size 0
		.amdhsa_private_segment_fixed_size 0
		.amdhsa_kernarg_size 32
		.amdhsa_user_sgpr_count 6
		.amdhsa_user_sgpr_private_segment_buffer 1
		.amdhsa_user_sgpr_dispatch_ptr 0
		.amdhsa_user_sgpr_queue_ptr 0
		.amdhsa_user_sgpr_kernarg_segment_ptr 1
		.amdhsa_user_sgpr_dispatch_id 0
		.amdhsa_user_sgpr_flat_scratch_init 0
		.amdhsa_user_sgpr_kernarg_preload_length 0
		.amdhsa_user_sgpr_kernarg_preload_offset 0
		.amdhsa_user_sgpr_private_segment_size 0
		.amdhsa_uses_dynamic_stack 0
		.amdhsa_system_sgpr_private_segment_wavefront_offset 0
		.amdhsa_system_sgpr_workgroup_id_x 1
		.amdhsa_system_sgpr_workgroup_id_y 0
		.amdhsa_system_sgpr_workgroup_id_z 0
		.amdhsa_system_sgpr_workgroup_info 0
		.amdhsa_system_vgpr_workitem_id 0
		.amdhsa_next_free_vgpr 7
		.amdhsa_next_free_sgpr 16
		.amdhsa_accum_offset 8
		.amdhsa_reserve_vcc 1
		.amdhsa_reserve_flat_scratch 0
		.amdhsa_float_round_mode_32 0
		.amdhsa_float_round_mode_16_64 0
		.amdhsa_float_denorm_mode_32 3
		.amdhsa_float_denorm_mode_16_64 3
		.amdhsa_dx10_clamp 1
		.amdhsa_ieee_mode 1
		.amdhsa_fp16_overflow 0
		.amdhsa_tg_split 0
		.amdhsa_exception_fp_ieee_invalid_op 0
		.amdhsa_exception_fp_denorm_src 0
		.amdhsa_exception_fp_ieee_div_zero 0
		.amdhsa_exception_fp_ieee_overflow 0
		.amdhsa_exception_fp_ieee_underflow 0
		.amdhsa_exception_fp_ieee_inexact 0
		.amdhsa_exception_int_div_zero 0
	.end_amdhsa_kernel
	.section	.text._ZN6thrust23THRUST_200600_302600_NS11hip_rocprim14__parallel_for6kernelILj256ENS1_20__uninitialized_copy7functorINS0_6detail15normal_iteratorINS0_10device_ptrIK14custom_numericEEEENS0_7pointerIS9_NS1_3tagENS0_11use_defaultESF_EEEEmLj1EEEvT0_T1_SJ_,"axG",@progbits,_ZN6thrust23THRUST_200600_302600_NS11hip_rocprim14__parallel_for6kernelILj256ENS1_20__uninitialized_copy7functorINS0_6detail15normal_iteratorINS0_10device_ptrIK14custom_numericEEEENS0_7pointerIS9_NS1_3tagENS0_11use_defaultESF_EEEEmLj1EEEvT0_T1_SJ_,comdat
.Lfunc_end1395:
	.size	_ZN6thrust23THRUST_200600_302600_NS11hip_rocprim14__parallel_for6kernelILj256ENS1_20__uninitialized_copy7functorINS0_6detail15normal_iteratorINS0_10device_ptrIK14custom_numericEEEENS0_7pointerIS9_NS1_3tagENS0_11use_defaultESF_EEEEmLj1EEEvT0_T1_SJ_, .Lfunc_end1395-_ZN6thrust23THRUST_200600_302600_NS11hip_rocprim14__parallel_for6kernelILj256ENS1_20__uninitialized_copy7functorINS0_6detail15normal_iteratorINS0_10device_ptrIK14custom_numericEEEENS0_7pointerIS9_NS1_3tagENS0_11use_defaultESF_EEEEmLj1EEEvT0_T1_SJ_
                                        ; -- End function
	.section	.AMDGPU.csdata,"",@progbits
; Kernel info:
; codeLenInByte = 192
; NumSgprs: 20
; NumVgprs: 7
; NumAgprs: 0
; TotalNumVgprs: 7
; ScratchSize: 0
; MemoryBound: 0
; FloatMode: 240
; IeeeMode: 1
; LDSByteSize: 0 bytes/workgroup (compile time only)
; SGPRBlocks: 2
; VGPRBlocks: 0
; NumSGPRsForWavesPerEU: 20
; NumVGPRsForWavesPerEU: 7
; AccumOffset: 8
; Occupancy: 8
; WaveLimiterHint : 0
; COMPUTE_PGM_RSRC2:SCRATCH_EN: 0
; COMPUTE_PGM_RSRC2:USER_SGPR: 6
; COMPUTE_PGM_RSRC2:TRAP_HANDLER: 0
; COMPUTE_PGM_RSRC2:TGID_X_EN: 1
; COMPUTE_PGM_RSRC2:TGID_Y_EN: 0
; COMPUTE_PGM_RSRC2:TGID_Z_EN: 0
; COMPUTE_PGM_RSRC2:TIDIG_COMP_CNT: 0
; COMPUTE_PGM_RSRC3_GFX90A:ACCUM_OFFSET: 1
; COMPUTE_PGM_RSRC3_GFX90A:TG_SPLIT: 0
	.section	.text._ZN7rocprim17ROCPRIM_400000_NS6detail44device_merge_sort_compile_time_verifier_archINS1_11comp_targetILNS1_3genE0ELNS1_11target_archE4294967295ELNS1_3gpuE0ELNS1_3repE0EEES8_NS0_14default_configES9_NS1_37merge_sort_block_sort_config_selectorI14custom_numericNS0_10empty_typeEEENS1_38merge_sort_block_merge_config_selectorISB_SC_EEEEvv,"axG",@progbits,_ZN7rocprim17ROCPRIM_400000_NS6detail44device_merge_sort_compile_time_verifier_archINS1_11comp_targetILNS1_3genE0ELNS1_11target_archE4294967295ELNS1_3gpuE0ELNS1_3repE0EEES8_NS0_14default_configES9_NS1_37merge_sort_block_sort_config_selectorI14custom_numericNS0_10empty_typeEEENS1_38merge_sort_block_merge_config_selectorISB_SC_EEEEvv,comdat
	.protected	_ZN7rocprim17ROCPRIM_400000_NS6detail44device_merge_sort_compile_time_verifier_archINS1_11comp_targetILNS1_3genE0ELNS1_11target_archE4294967295ELNS1_3gpuE0ELNS1_3repE0EEES8_NS0_14default_configES9_NS1_37merge_sort_block_sort_config_selectorI14custom_numericNS0_10empty_typeEEENS1_38merge_sort_block_merge_config_selectorISB_SC_EEEEvv ; -- Begin function _ZN7rocprim17ROCPRIM_400000_NS6detail44device_merge_sort_compile_time_verifier_archINS1_11comp_targetILNS1_3genE0ELNS1_11target_archE4294967295ELNS1_3gpuE0ELNS1_3repE0EEES8_NS0_14default_configES9_NS1_37merge_sort_block_sort_config_selectorI14custom_numericNS0_10empty_typeEEENS1_38merge_sort_block_merge_config_selectorISB_SC_EEEEvv
	.globl	_ZN7rocprim17ROCPRIM_400000_NS6detail44device_merge_sort_compile_time_verifier_archINS1_11comp_targetILNS1_3genE0ELNS1_11target_archE4294967295ELNS1_3gpuE0ELNS1_3repE0EEES8_NS0_14default_configES9_NS1_37merge_sort_block_sort_config_selectorI14custom_numericNS0_10empty_typeEEENS1_38merge_sort_block_merge_config_selectorISB_SC_EEEEvv
	.p2align	8
	.type	_ZN7rocprim17ROCPRIM_400000_NS6detail44device_merge_sort_compile_time_verifier_archINS1_11comp_targetILNS1_3genE0ELNS1_11target_archE4294967295ELNS1_3gpuE0ELNS1_3repE0EEES8_NS0_14default_configES9_NS1_37merge_sort_block_sort_config_selectorI14custom_numericNS0_10empty_typeEEENS1_38merge_sort_block_merge_config_selectorISB_SC_EEEEvv,@function
_ZN7rocprim17ROCPRIM_400000_NS6detail44device_merge_sort_compile_time_verifier_archINS1_11comp_targetILNS1_3genE0ELNS1_11target_archE4294967295ELNS1_3gpuE0ELNS1_3repE0EEES8_NS0_14default_configES9_NS1_37merge_sort_block_sort_config_selectorI14custom_numericNS0_10empty_typeEEENS1_38merge_sort_block_merge_config_selectorISB_SC_EEEEvv: ; @_ZN7rocprim17ROCPRIM_400000_NS6detail44device_merge_sort_compile_time_verifier_archINS1_11comp_targetILNS1_3genE0ELNS1_11target_archE4294967295ELNS1_3gpuE0ELNS1_3repE0EEES8_NS0_14default_configES9_NS1_37merge_sort_block_sort_config_selectorI14custom_numericNS0_10empty_typeEEENS1_38merge_sort_block_merge_config_selectorISB_SC_EEEEvv
; %bb.0:
	s_endpgm
	.section	.rodata,"a",@progbits
	.p2align	6, 0x0
	.amdhsa_kernel _ZN7rocprim17ROCPRIM_400000_NS6detail44device_merge_sort_compile_time_verifier_archINS1_11comp_targetILNS1_3genE0ELNS1_11target_archE4294967295ELNS1_3gpuE0ELNS1_3repE0EEES8_NS0_14default_configES9_NS1_37merge_sort_block_sort_config_selectorI14custom_numericNS0_10empty_typeEEENS1_38merge_sort_block_merge_config_selectorISB_SC_EEEEvv
		.amdhsa_group_segment_fixed_size 0
		.amdhsa_private_segment_fixed_size 0
		.amdhsa_kernarg_size 0
		.amdhsa_user_sgpr_count 4
		.amdhsa_user_sgpr_private_segment_buffer 1
		.amdhsa_user_sgpr_dispatch_ptr 0
		.amdhsa_user_sgpr_queue_ptr 0
		.amdhsa_user_sgpr_kernarg_segment_ptr 0
		.amdhsa_user_sgpr_dispatch_id 0
		.amdhsa_user_sgpr_flat_scratch_init 0
		.amdhsa_user_sgpr_kernarg_preload_length 0
		.amdhsa_user_sgpr_kernarg_preload_offset 0
		.amdhsa_user_sgpr_private_segment_size 0
		.amdhsa_uses_dynamic_stack 0
		.amdhsa_system_sgpr_private_segment_wavefront_offset 0
		.amdhsa_system_sgpr_workgroup_id_x 1
		.amdhsa_system_sgpr_workgroup_id_y 0
		.amdhsa_system_sgpr_workgroup_id_z 0
		.amdhsa_system_sgpr_workgroup_info 0
		.amdhsa_system_vgpr_workitem_id 0
		.amdhsa_next_free_vgpr 1
		.amdhsa_next_free_sgpr 0
		.amdhsa_accum_offset 4
		.amdhsa_reserve_vcc 0
		.amdhsa_reserve_flat_scratch 0
		.amdhsa_float_round_mode_32 0
		.amdhsa_float_round_mode_16_64 0
		.amdhsa_float_denorm_mode_32 3
		.amdhsa_float_denorm_mode_16_64 3
		.amdhsa_dx10_clamp 1
		.amdhsa_ieee_mode 1
		.amdhsa_fp16_overflow 0
		.amdhsa_tg_split 0
		.amdhsa_exception_fp_ieee_invalid_op 0
		.amdhsa_exception_fp_denorm_src 0
		.amdhsa_exception_fp_ieee_div_zero 0
		.amdhsa_exception_fp_ieee_overflow 0
		.amdhsa_exception_fp_ieee_underflow 0
		.amdhsa_exception_fp_ieee_inexact 0
		.amdhsa_exception_int_div_zero 0
	.end_amdhsa_kernel
	.section	.text._ZN7rocprim17ROCPRIM_400000_NS6detail44device_merge_sort_compile_time_verifier_archINS1_11comp_targetILNS1_3genE0ELNS1_11target_archE4294967295ELNS1_3gpuE0ELNS1_3repE0EEES8_NS0_14default_configES9_NS1_37merge_sort_block_sort_config_selectorI14custom_numericNS0_10empty_typeEEENS1_38merge_sort_block_merge_config_selectorISB_SC_EEEEvv,"axG",@progbits,_ZN7rocprim17ROCPRIM_400000_NS6detail44device_merge_sort_compile_time_verifier_archINS1_11comp_targetILNS1_3genE0ELNS1_11target_archE4294967295ELNS1_3gpuE0ELNS1_3repE0EEES8_NS0_14default_configES9_NS1_37merge_sort_block_sort_config_selectorI14custom_numericNS0_10empty_typeEEENS1_38merge_sort_block_merge_config_selectorISB_SC_EEEEvv,comdat
.Lfunc_end1396:
	.size	_ZN7rocprim17ROCPRIM_400000_NS6detail44device_merge_sort_compile_time_verifier_archINS1_11comp_targetILNS1_3genE0ELNS1_11target_archE4294967295ELNS1_3gpuE0ELNS1_3repE0EEES8_NS0_14default_configES9_NS1_37merge_sort_block_sort_config_selectorI14custom_numericNS0_10empty_typeEEENS1_38merge_sort_block_merge_config_selectorISB_SC_EEEEvv, .Lfunc_end1396-_ZN7rocprim17ROCPRIM_400000_NS6detail44device_merge_sort_compile_time_verifier_archINS1_11comp_targetILNS1_3genE0ELNS1_11target_archE4294967295ELNS1_3gpuE0ELNS1_3repE0EEES8_NS0_14default_configES9_NS1_37merge_sort_block_sort_config_selectorI14custom_numericNS0_10empty_typeEEENS1_38merge_sort_block_merge_config_selectorISB_SC_EEEEvv
                                        ; -- End function
	.section	.AMDGPU.csdata,"",@progbits
; Kernel info:
; codeLenInByte = 4
; NumSgprs: 4
; NumVgprs: 0
; NumAgprs: 0
; TotalNumVgprs: 0
; ScratchSize: 0
; MemoryBound: 0
; FloatMode: 240
; IeeeMode: 1
; LDSByteSize: 0 bytes/workgroup (compile time only)
; SGPRBlocks: 0
; VGPRBlocks: 0
; NumSGPRsForWavesPerEU: 4
; NumVGPRsForWavesPerEU: 1
; AccumOffset: 4
; Occupancy: 8
; WaveLimiterHint : 0
; COMPUTE_PGM_RSRC2:SCRATCH_EN: 0
; COMPUTE_PGM_RSRC2:USER_SGPR: 4
; COMPUTE_PGM_RSRC2:TRAP_HANDLER: 0
; COMPUTE_PGM_RSRC2:TGID_X_EN: 1
; COMPUTE_PGM_RSRC2:TGID_Y_EN: 0
; COMPUTE_PGM_RSRC2:TGID_Z_EN: 0
; COMPUTE_PGM_RSRC2:TIDIG_COMP_CNT: 0
; COMPUTE_PGM_RSRC3_GFX90A:ACCUM_OFFSET: 0
; COMPUTE_PGM_RSRC3_GFX90A:TG_SPLIT: 0
	.section	.text._ZN7rocprim17ROCPRIM_400000_NS6detail44device_merge_sort_compile_time_verifier_archINS1_11comp_targetILNS1_3genE5ELNS1_11target_archE942ELNS1_3gpuE9ELNS1_3repE0EEES8_NS0_14default_configES9_NS1_37merge_sort_block_sort_config_selectorI14custom_numericNS0_10empty_typeEEENS1_38merge_sort_block_merge_config_selectorISB_SC_EEEEvv,"axG",@progbits,_ZN7rocprim17ROCPRIM_400000_NS6detail44device_merge_sort_compile_time_verifier_archINS1_11comp_targetILNS1_3genE5ELNS1_11target_archE942ELNS1_3gpuE9ELNS1_3repE0EEES8_NS0_14default_configES9_NS1_37merge_sort_block_sort_config_selectorI14custom_numericNS0_10empty_typeEEENS1_38merge_sort_block_merge_config_selectorISB_SC_EEEEvv,comdat
	.protected	_ZN7rocprim17ROCPRIM_400000_NS6detail44device_merge_sort_compile_time_verifier_archINS1_11comp_targetILNS1_3genE5ELNS1_11target_archE942ELNS1_3gpuE9ELNS1_3repE0EEES8_NS0_14default_configES9_NS1_37merge_sort_block_sort_config_selectorI14custom_numericNS0_10empty_typeEEENS1_38merge_sort_block_merge_config_selectorISB_SC_EEEEvv ; -- Begin function _ZN7rocprim17ROCPRIM_400000_NS6detail44device_merge_sort_compile_time_verifier_archINS1_11comp_targetILNS1_3genE5ELNS1_11target_archE942ELNS1_3gpuE9ELNS1_3repE0EEES8_NS0_14default_configES9_NS1_37merge_sort_block_sort_config_selectorI14custom_numericNS0_10empty_typeEEENS1_38merge_sort_block_merge_config_selectorISB_SC_EEEEvv
	.globl	_ZN7rocprim17ROCPRIM_400000_NS6detail44device_merge_sort_compile_time_verifier_archINS1_11comp_targetILNS1_3genE5ELNS1_11target_archE942ELNS1_3gpuE9ELNS1_3repE0EEES8_NS0_14default_configES9_NS1_37merge_sort_block_sort_config_selectorI14custom_numericNS0_10empty_typeEEENS1_38merge_sort_block_merge_config_selectorISB_SC_EEEEvv
	.p2align	8
	.type	_ZN7rocprim17ROCPRIM_400000_NS6detail44device_merge_sort_compile_time_verifier_archINS1_11comp_targetILNS1_3genE5ELNS1_11target_archE942ELNS1_3gpuE9ELNS1_3repE0EEES8_NS0_14default_configES9_NS1_37merge_sort_block_sort_config_selectorI14custom_numericNS0_10empty_typeEEENS1_38merge_sort_block_merge_config_selectorISB_SC_EEEEvv,@function
_ZN7rocprim17ROCPRIM_400000_NS6detail44device_merge_sort_compile_time_verifier_archINS1_11comp_targetILNS1_3genE5ELNS1_11target_archE942ELNS1_3gpuE9ELNS1_3repE0EEES8_NS0_14default_configES9_NS1_37merge_sort_block_sort_config_selectorI14custom_numericNS0_10empty_typeEEENS1_38merge_sort_block_merge_config_selectorISB_SC_EEEEvv: ; @_ZN7rocprim17ROCPRIM_400000_NS6detail44device_merge_sort_compile_time_verifier_archINS1_11comp_targetILNS1_3genE5ELNS1_11target_archE942ELNS1_3gpuE9ELNS1_3repE0EEES8_NS0_14default_configES9_NS1_37merge_sort_block_sort_config_selectorI14custom_numericNS0_10empty_typeEEENS1_38merge_sort_block_merge_config_selectorISB_SC_EEEEvv
; %bb.0:
	s_endpgm
	.section	.rodata,"a",@progbits
	.p2align	6, 0x0
	.amdhsa_kernel _ZN7rocprim17ROCPRIM_400000_NS6detail44device_merge_sort_compile_time_verifier_archINS1_11comp_targetILNS1_3genE5ELNS1_11target_archE942ELNS1_3gpuE9ELNS1_3repE0EEES8_NS0_14default_configES9_NS1_37merge_sort_block_sort_config_selectorI14custom_numericNS0_10empty_typeEEENS1_38merge_sort_block_merge_config_selectorISB_SC_EEEEvv
		.amdhsa_group_segment_fixed_size 0
		.amdhsa_private_segment_fixed_size 0
		.amdhsa_kernarg_size 0
		.amdhsa_user_sgpr_count 4
		.amdhsa_user_sgpr_private_segment_buffer 1
		.amdhsa_user_sgpr_dispatch_ptr 0
		.amdhsa_user_sgpr_queue_ptr 0
		.amdhsa_user_sgpr_kernarg_segment_ptr 0
		.amdhsa_user_sgpr_dispatch_id 0
		.amdhsa_user_sgpr_flat_scratch_init 0
		.amdhsa_user_sgpr_kernarg_preload_length 0
		.amdhsa_user_sgpr_kernarg_preload_offset 0
		.amdhsa_user_sgpr_private_segment_size 0
		.amdhsa_uses_dynamic_stack 0
		.amdhsa_system_sgpr_private_segment_wavefront_offset 0
		.amdhsa_system_sgpr_workgroup_id_x 1
		.amdhsa_system_sgpr_workgroup_id_y 0
		.amdhsa_system_sgpr_workgroup_id_z 0
		.amdhsa_system_sgpr_workgroup_info 0
		.amdhsa_system_vgpr_workitem_id 0
		.amdhsa_next_free_vgpr 1
		.amdhsa_next_free_sgpr 0
		.amdhsa_accum_offset 4
		.amdhsa_reserve_vcc 0
		.amdhsa_reserve_flat_scratch 0
		.amdhsa_float_round_mode_32 0
		.amdhsa_float_round_mode_16_64 0
		.amdhsa_float_denorm_mode_32 3
		.amdhsa_float_denorm_mode_16_64 3
		.amdhsa_dx10_clamp 1
		.amdhsa_ieee_mode 1
		.amdhsa_fp16_overflow 0
		.amdhsa_tg_split 0
		.amdhsa_exception_fp_ieee_invalid_op 0
		.amdhsa_exception_fp_denorm_src 0
		.amdhsa_exception_fp_ieee_div_zero 0
		.amdhsa_exception_fp_ieee_overflow 0
		.amdhsa_exception_fp_ieee_underflow 0
		.amdhsa_exception_fp_ieee_inexact 0
		.amdhsa_exception_int_div_zero 0
	.end_amdhsa_kernel
	.section	.text._ZN7rocprim17ROCPRIM_400000_NS6detail44device_merge_sort_compile_time_verifier_archINS1_11comp_targetILNS1_3genE5ELNS1_11target_archE942ELNS1_3gpuE9ELNS1_3repE0EEES8_NS0_14default_configES9_NS1_37merge_sort_block_sort_config_selectorI14custom_numericNS0_10empty_typeEEENS1_38merge_sort_block_merge_config_selectorISB_SC_EEEEvv,"axG",@progbits,_ZN7rocprim17ROCPRIM_400000_NS6detail44device_merge_sort_compile_time_verifier_archINS1_11comp_targetILNS1_3genE5ELNS1_11target_archE942ELNS1_3gpuE9ELNS1_3repE0EEES8_NS0_14default_configES9_NS1_37merge_sort_block_sort_config_selectorI14custom_numericNS0_10empty_typeEEENS1_38merge_sort_block_merge_config_selectorISB_SC_EEEEvv,comdat
.Lfunc_end1397:
	.size	_ZN7rocprim17ROCPRIM_400000_NS6detail44device_merge_sort_compile_time_verifier_archINS1_11comp_targetILNS1_3genE5ELNS1_11target_archE942ELNS1_3gpuE9ELNS1_3repE0EEES8_NS0_14default_configES9_NS1_37merge_sort_block_sort_config_selectorI14custom_numericNS0_10empty_typeEEENS1_38merge_sort_block_merge_config_selectorISB_SC_EEEEvv, .Lfunc_end1397-_ZN7rocprim17ROCPRIM_400000_NS6detail44device_merge_sort_compile_time_verifier_archINS1_11comp_targetILNS1_3genE5ELNS1_11target_archE942ELNS1_3gpuE9ELNS1_3repE0EEES8_NS0_14default_configES9_NS1_37merge_sort_block_sort_config_selectorI14custom_numericNS0_10empty_typeEEENS1_38merge_sort_block_merge_config_selectorISB_SC_EEEEvv
                                        ; -- End function
	.section	.AMDGPU.csdata,"",@progbits
; Kernel info:
; codeLenInByte = 4
; NumSgprs: 4
; NumVgprs: 0
; NumAgprs: 0
; TotalNumVgprs: 0
; ScratchSize: 0
; MemoryBound: 0
; FloatMode: 240
; IeeeMode: 1
; LDSByteSize: 0 bytes/workgroup (compile time only)
; SGPRBlocks: 0
; VGPRBlocks: 0
; NumSGPRsForWavesPerEU: 4
; NumVGPRsForWavesPerEU: 1
; AccumOffset: 4
; Occupancy: 8
; WaveLimiterHint : 0
; COMPUTE_PGM_RSRC2:SCRATCH_EN: 0
; COMPUTE_PGM_RSRC2:USER_SGPR: 4
; COMPUTE_PGM_RSRC2:TRAP_HANDLER: 0
; COMPUTE_PGM_RSRC2:TGID_X_EN: 1
; COMPUTE_PGM_RSRC2:TGID_Y_EN: 0
; COMPUTE_PGM_RSRC2:TGID_Z_EN: 0
; COMPUTE_PGM_RSRC2:TIDIG_COMP_CNT: 0
; COMPUTE_PGM_RSRC3_GFX90A:ACCUM_OFFSET: 0
; COMPUTE_PGM_RSRC3_GFX90A:TG_SPLIT: 0
	.section	.text._ZN7rocprim17ROCPRIM_400000_NS6detail44device_merge_sort_compile_time_verifier_archINS1_11comp_targetILNS1_3genE4ELNS1_11target_archE910ELNS1_3gpuE8ELNS1_3repE0EEES8_NS0_14default_configES9_NS1_37merge_sort_block_sort_config_selectorI14custom_numericNS0_10empty_typeEEENS1_38merge_sort_block_merge_config_selectorISB_SC_EEEEvv,"axG",@progbits,_ZN7rocprim17ROCPRIM_400000_NS6detail44device_merge_sort_compile_time_verifier_archINS1_11comp_targetILNS1_3genE4ELNS1_11target_archE910ELNS1_3gpuE8ELNS1_3repE0EEES8_NS0_14default_configES9_NS1_37merge_sort_block_sort_config_selectorI14custom_numericNS0_10empty_typeEEENS1_38merge_sort_block_merge_config_selectorISB_SC_EEEEvv,comdat
	.protected	_ZN7rocprim17ROCPRIM_400000_NS6detail44device_merge_sort_compile_time_verifier_archINS1_11comp_targetILNS1_3genE4ELNS1_11target_archE910ELNS1_3gpuE8ELNS1_3repE0EEES8_NS0_14default_configES9_NS1_37merge_sort_block_sort_config_selectorI14custom_numericNS0_10empty_typeEEENS1_38merge_sort_block_merge_config_selectorISB_SC_EEEEvv ; -- Begin function _ZN7rocprim17ROCPRIM_400000_NS6detail44device_merge_sort_compile_time_verifier_archINS1_11comp_targetILNS1_3genE4ELNS1_11target_archE910ELNS1_3gpuE8ELNS1_3repE0EEES8_NS0_14default_configES9_NS1_37merge_sort_block_sort_config_selectorI14custom_numericNS0_10empty_typeEEENS1_38merge_sort_block_merge_config_selectorISB_SC_EEEEvv
	.globl	_ZN7rocprim17ROCPRIM_400000_NS6detail44device_merge_sort_compile_time_verifier_archINS1_11comp_targetILNS1_3genE4ELNS1_11target_archE910ELNS1_3gpuE8ELNS1_3repE0EEES8_NS0_14default_configES9_NS1_37merge_sort_block_sort_config_selectorI14custom_numericNS0_10empty_typeEEENS1_38merge_sort_block_merge_config_selectorISB_SC_EEEEvv
	.p2align	8
	.type	_ZN7rocprim17ROCPRIM_400000_NS6detail44device_merge_sort_compile_time_verifier_archINS1_11comp_targetILNS1_3genE4ELNS1_11target_archE910ELNS1_3gpuE8ELNS1_3repE0EEES8_NS0_14default_configES9_NS1_37merge_sort_block_sort_config_selectorI14custom_numericNS0_10empty_typeEEENS1_38merge_sort_block_merge_config_selectorISB_SC_EEEEvv,@function
_ZN7rocprim17ROCPRIM_400000_NS6detail44device_merge_sort_compile_time_verifier_archINS1_11comp_targetILNS1_3genE4ELNS1_11target_archE910ELNS1_3gpuE8ELNS1_3repE0EEES8_NS0_14default_configES9_NS1_37merge_sort_block_sort_config_selectorI14custom_numericNS0_10empty_typeEEENS1_38merge_sort_block_merge_config_selectorISB_SC_EEEEvv: ; @_ZN7rocprim17ROCPRIM_400000_NS6detail44device_merge_sort_compile_time_verifier_archINS1_11comp_targetILNS1_3genE4ELNS1_11target_archE910ELNS1_3gpuE8ELNS1_3repE0EEES8_NS0_14default_configES9_NS1_37merge_sort_block_sort_config_selectorI14custom_numericNS0_10empty_typeEEENS1_38merge_sort_block_merge_config_selectorISB_SC_EEEEvv
; %bb.0:
	s_endpgm
	.section	.rodata,"a",@progbits
	.p2align	6, 0x0
	.amdhsa_kernel _ZN7rocprim17ROCPRIM_400000_NS6detail44device_merge_sort_compile_time_verifier_archINS1_11comp_targetILNS1_3genE4ELNS1_11target_archE910ELNS1_3gpuE8ELNS1_3repE0EEES8_NS0_14default_configES9_NS1_37merge_sort_block_sort_config_selectorI14custom_numericNS0_10empty_typeEEENS1_38merge_sort_block_merge_config_selectorISB_SC_EEEEvv
		.amdhsa_group_segment_fixed_size 0
		.amdhsa_private_segment_fixed_size 0
		.amdhsa_kernarg_size 0
		.amdhsa_user_sgpr_count 4
		.amdhsa_user_sgpr_private_segment_buffer 1
		.amdhsa_user_sgpr_dispatch_ptr 0
		.amdhsa_user_sgpr_queue_ptr 0
		.amdhsa_user_sgpr_kernarg_segment_ptr 0
		.amdhsa_user_sgpr_dispatch_id 0
		.amdhsa_user_sgpr_flat_scratch_init 0
		.amdhsa_user_sgpr_kernarg_preload_length 0
		.amdhsa_user_sgpr_kernarg_preload_offset 0
		.amdhsa_user_sgpr_private_segment_size 0
		.amdhsa_uses_dynamic_stack 0
		.amdhsa_system_sgpr_private_segment_wavefront_offset 0
		.amdhsa_system_sgpr_workgroup_id_x 1
		.amdhsa_system_sgpr_workgroup_id_y 0
		.amdhsa_system_sgpr_workgroup_id_z 0
		.amdhsa_system_sgpr_workgroup_info 0
		.amdhsa_system_vgpr_workitem_id 0
		.amdhsa_next_free_vgpr 1
		.amdhsa_next_free_sgpr 0
		.amdhsa_accum_offset 4
		.amdhsa_reserve_vcc 0
		.amdhsa_reserve_flat_scratch 0
		.amdhsa_float_round_mode_32 0
		.amdhsa_float_round_mode_16_64 0
		.amdhsa_float_denorm_mode_32 3
		.amdhsa_float_denorm_mode_16_64 3
		.amdhsa_dx10_clamp 1
		.amdhsa_ieee_mode 1
		.amdhsa_fp16_overflow 0
		.amdhsa_tg_split 0
		.amdhsa_exception_fp_ieee_invalid_op 0
		.amdhsa_exception_fp_denorm_src 0
		.amdhsa_exception_fp_ieee_div_zero 0
		.amdhsa_exception_fp_ieee_overflow 0
		.amdhsa_exception_fp_ieee_underflow 0
		.amdhsa_exception_fp_ieee_inexact 0
		.amdhsa_exception_int_div_zero 0
	.end_amdhsa_kernel
	.section	.text._ZN7rocprim17ROCPRIM_400000_NS6detail44device_merge_sort_compile_time_verifier_archINS1_11comp_targetILNS1_3genE4ELNS1_11target_archE910ELNS1_3gpuE8ELNS1_3repE0EEES8_NS0_14default_configES9_NS1_37merge_sort_block_sort_config_selectorI14custom_numericNS0_10empty_typeEEENS1_38merge_sort_block_merge_config_selectorISB_SC_EEEEvv,"axG",@progbits,_ZN7rocprim17ROCPRIM_400000_NS6detail44device_merge_sort_compile_time_verifier_archINS1_11comp_targetILNS1_3genE4ELNS1_11target_archE910ELNS1_3gpuE8ELNS1_3repE0EEES8_NS0_14default_configES9_NS1_37merge_sort_block_sort_config_selectorI14custom_numericNS0_10empty_typeEEENS1_38merge_sort_block_merge_config_selectorISB_SC_EEEEvv,comdat
.Lfunc_end1398:
	.size	_ZN7rocprim17ROCPRIM_400000_NS6detail44device_merge_sort_compile_time_verifier_archINS1_11comp_targetILNS1_3genE4ELNS1_11target_archE910ELNS1_3gpuE8ELNS1_3repE0EEES8_NS0_14default_configES9_NS1_37merge_sort_block_sort_config_selectorI14custom_numericNS0_10empty_typeEEENS1_38merge_sort_block_merge_config_selectorISB_SC_EEEEvv, .Lfunc_end1398-_ZN7rocprim17ROCPRIM_400000_NS6detail44device_merge_sort_compile_time_verifier_archINS1_11comp_targetILNS1_3genE4ELNS1_11target_archE910ELNS1_3gpuE8ELNS1_3repE0EEES8_NS0_14default_configES9_NS1_37merge_sort_block_sort_config_selectorI14custom_numericNS0_10empty_typeEEENS1_38merge_sort_block_merge_config_selectorISB_SC_EEEEvv
                                        ; -- End function
	.section	.AMDGPU.csdata,"",@progbits
; Kernel info:
; codeLenInByte = 4
; NumSgprs: 4
; NumVgprs: 0
; NumAgprs: 0
; TotalNumVgprs: 0
; ScratchSize: 0
; MemoryBound: 0
; FloatMode: 240
; IeeeMode: 1
; LDSByteSize: 0 bytes/workgroup (compile time only)
; SGPRBlocks: 0
; VGPRBlocks: 0
; NumSGPRsForWavesPerEU: 4
; NumVGPRsForWavesPerEU: 1
; AccumOffset: 4
; Occupancy: 8
; WaveLimiterHint : 0
; COMPUTE_PGM_RSRC2:SCRATCH_EN: 0
; COMPUTE_PGM_RSRC2:USER_SGPR: 4
; COMPUTE_PGM_RSRC2:TRAP_HANDLER: 0
; COMPUTE_PGM_RSRC2:TGID_X_EN: 1
; COMPUTE_PGM_RSRC2:TGID_Y_EN: 0
; COMPUTE_PGM_RSRC2:TGID_Z_EN: 0
; COMPUTE_PGM_RSRC2:TIDIG_COMP_CNT: 0
; COMPUTE_PGM_RSRC3_GFX90A:ACCUM_OFFSET: 0
; COMPUTE_PGM_RSRC3_GFX90A:TG_SPLIT: 0
	.section	.text._ZN7rocprim17ROCPRIM_400000_NS6detail44device_merge_sort_compile_time_verifier_archINS1_11comp_targetILNS1_3genE3ELNS1_11target_archE908ELNS1_3gpuE7ELNS1_3repE0EEES8_NS0_14default_configES9_NS1_37merge_sort_block_sort_config_selectorI14custom_numericNS0_10empty_typeEEENS1_38merge_sort_block_merge_config_selectorISB_SC_EEEEvv,"axG",@progbits,_ZN7rocprim17ROCPRIM_400000_NS6detail44device_merge_sort_compile_time_verifier_archINS1_11comp_targetILNS1_3genE3ELNS1_11target_archE908ELNS1_3gpuE7ELNS1_3repE0EEES8_NS0_14default_configES9_NS1_37merge_sort_block_sort_config_selectorI14custom_numericNS0_10empty_typeEEENS1_38merge_sort_block_merge_config_selectorISB_SC_EEEEvv,comdat
	.protected	_ZN7rocprim17ROCPRIM_400000_NS6detail44device_merge_sort_compile_time_verifier_archINS1_11comp_targetILNS1_3genE3ELNS1_11target_archE908ELNS1_3gpuE7ELNS1_3repE0EEES8_NS0_14default_configES9_NS1_37merge_sort_block_sort_config_selectorI14custom_numericNS0_10empty_typeEEENS1_38merge_sort_block_merge_config_selectorISB_SC_EEEEvv ; -- Begin function _ZN7rocprim17ROCPRIM_400000_NS6detail44device_merge_sort_compile_time_verifier_archINS1_11comp_targetILNS1_3genE3ELNS1_11target_archE908ELNS1_3gpuE7ELNS1_3repE0EEES8_NS0_14default_configES9_NS1_37merge_sort_block_sort_config_selectorI14custom_numericNS0_10empty_typeEEENS1_38merge_sort_block_merge_config_selectorISB_SC_EEEEvv
	.globl	_ZN7rocprim17ROCPRIM_400000_NS6detail44device_merge_sort_compile_time_verifier_archINS1_11comp_targetILNS1_3genE3ELNS1_11target_archE908ELNS1_3gpuE7ELNS1_3repE0EEES8_NS0_14default_configES9_NS1_37merge_sort_block_sort_config_selectorI14custom_numericNS0_10empty_typeEEENS1_38merge_sort_block_merge_config_selectorISB_SC_EEEEvv
	.p2align	8
	.type	_ZN7rocprim17ROCPRIM_400000_NS6detail44device_merge_sort_compile_time_verifier_archINS1_11comp_targetILNS1_3genE3ELNS1_11target_archE908ELNS1_3gpuE7ELNS1_3repE0EEES8_NS0_14default_configES9_NS1_37merge_sort_block_sort_config_selectorI14custom_numericNS0_10empty_typeEEENS1_38merge_sort_block_merge_config_selectorISB_SC_EEEEvv,@function
_ZN7rocprim17ROCPRIM_400000_NS6detail44device_merge_sort_compile_time_verifier_archINS1_11comp_targetILNS1_3genE3ELNS1_11target_archE908ELNS1_3gpuE7ELNS1_3repE0EEES8_NS0_14default_configES9_NS1_37merge_sort_block_sort_config_selectorI14custom_numericNS0_10empty_typeEEENS1_38merge_sort_block_merge_config_selectorISB_SC_EEEEvv: ; @_ZN7rocprim17ROCPRIM_400000_NS6detail44device_merge_sort_compile_time_verifier_archINS1_11comp_targetILNS1_3genE3ELNS1_11target_archE908ELNS1_3gpuE7ELNS1_3repE0EEES8_NS0_14default_configES9_NS1_37merge_sort_block_sort_config_selectorI14custom_numericNS0_10empty_typeEEENS1_38merge_sort_block_merge_config_selectorISB_SC_EEEEvv
; %bb.0:
	s_endpgm
	.section	.rodata,"a",@progbits
	.p2align	6, 0x0
	.amdhsa_kernel _ZN7rocprim17ROCPRIM_400000_NS6detail44device_merge_sort_compile_time_verifier_archINS1_11comp_targetILNS1_3genE3ELNS1_11target_archE908ELNS1_3gpuE7ELNS1_3repE0EEES8_NS0_14default_configES9_NS1_37merge_sort_block_sort_config_selectorI14custom_numericNS0_10empty_typeEEENS1_38merge_sort_block_merge_config_selectorISB_SC_EEEEvv
		.amdhsa_group_segment_fixed_size 0
		.amdhsa_private_segment_fixed_size 0
		.amdhsa_kernarg_size 0
		.amdhsa_user_sgpr_count 4
		.amdhsa_user_sgpr_private_segment_buffer 1
		.amdhsa_user_sgpr_dispatch_ptr 0
		.amdhsa_user_sgpr_queue_ptr 0
		.amdhsa_user_sgpr_kernarg_segment_ptr 0
		.amdhsa_user_sgpr_dispatch_id 0
		.amdhsa_user_sgpr_flat_scratch_init 0
		.amdhsa_user_sgpr_kernarg_preload_length 0
		.amdhsa_user_sgpr_kernarg_preload_offset 0
		.amdhsa_user_sgpr_private_segment_size 0
		.amdhsa_uses_dynamic_stack 0
		.amdhsa_system_sgpr_private_segment_wavefront_offset 0
		.amdhsa_system_sgpr_workgroup_id_x 1
		.amdhsa_system_sgpr_workgroup_id_y 0
		.amdhsa_system_sgpr_workgroup_id_z 0
		.amdhsa_system_sgpr_workgroup_info 0
		.amdhsa_system_vgpr_workitem_id 0
		.amdhsa_next_free_vgpr 1
		.amdhsa_next_free_sgpr 0
		.amdhsa_accum_offset 4
		.amdhsa_reserve_vcc 0
		.amdhsa_reserve_flat_scratch 0
		.amdhsa_float_round_mode_32 0
		.amdhsa_float_round_mode_16_64 0
		.amdhsa_float_denorm_mode_32 3
		.amdhsa_float_denorm_mode_16_64 3
		.amdhsa_dx10_clamp 1
		.amdhsa_ieee_mode 1
		.amdhsa_fp16_overflow 0
		.amdhsa_tg_split 0
		.amdhsa_exception_fp_ieee_invalid_op 0
		.amdhsa_exception_fp_denorm_src 0
		.amdhsa_exception_fp_ieee_div_zero 0
		.amdhsa_exception_fp_ieee_overflow 0
		.amdhsa_exception_fp_ieee_underflow 0
		.amdhsa_exception_fp_ieee_inexact 0
		.amdhsa_exception_int_div_zero 0
	.end_amdhsa_kernel
	.section	.text._ZN7rocprim17ROCPRIM_400000_NS6detail44device_merge_sort_compile_time_verifier_archINS1_11comp_targetILNS1_3genE3ELNS1_11target_archE908ELNS1_3gpuE7ELNS1_3repE0EEES8_NS0_14default_configES9_NS1_37merge_sort_block_sort_config_selectorI14custom_numericNS0_10empty_typeEEENS1_38merge_sort_block_merge_config_selectorISB_SC_EEEEvv,"axG",@progbits,_ZN7rocprim17ROCPRIM_400000_NS6detail44device_merge_sort_compile_time_verifier_archINS1_11comp_targetILNS1_3genE3ELNS1_11target_archE908ELNS1_3gpuE7ELNS1_3repE0EEES8_NS0_14default_configES9_NS1_37merge_sort_block_sort_config_selectorI14custom_numericNS0_10empty_typeEEENS1_38merge_sort_block_merge_config_selectorISB_SC_EEEEvv,comdat
.Lfunc_end1399:
	.size	_ZN7rocprim17ROCPRIM_400000_NS6detail44device_merge_sort_compile_time_verifier_archINS1_11comp_targetILNS1_3genE3ELNS1_11target_archE908ELNS1_3gpuE7ELNS1_3repE0EEES8_NS0_14default_configES9_NS1_37merge_sort_block_sort_config_selectorI14custom_numericNS0_10empty_typeEEENS1_38merge_sort_block_merge_config_selectorISB_SC_EEEEvv, .Lfunc_end1399-_ZN7rocprim17ROCPRIM_400000_NS6detail44device_merge_sort_compile_time_verifier_archINS1_11comp_targetILNS1_3genE3ELNS1_11target_archE908ELNS1_3gpuE7ELNS1_3repE0EEES8_NS0_14default_configES9_NS1_37merge_sort_block_sort_config_selectorI14custom_numericNS0_10empty_typeEEENS1_38merge_sort_block_merge_config_selectorISB_SC_EEEEvv
                                        ; -- End function
	.section	.AMDGPU.csdata,"",@progbits
; Kernel info:
; codeLenInByte = 4
; NumSgprs: 4
; NumVgprs: 0
; NumAgprs: 0
; TotalNumVgprs: 0
; ScratchSize: 0
; MemoryBound: 0
; FloatMode: 240
; IeeeMode: 1
; LDSByteSize: 0 bytes/workgroup (compile time only)
; SGPRBlocks: 0
; VGPRBlocks: 0
; NumSGPRsForWavesPerEU: 4
; NumVGPRsForWavesPerEU: 1
; AccumOffset: 4
; Occupancy: 8
; WaveLimiterHint : 0
; COMPUTE_PGM_RSRC2:SCRATCH_EN: 0
; COMPUTE_PGM_RSRC2:USER_SGPR: 4
; COMPUTE_PGM_RSRC2:TRAP_HANDLER: 0
; COMPUTE_PGM_RSRC2:TGID_X_EN: 1
; COMPUTE_PGM_RSRC2:TGID_Y_EN: 0
; COMPUTE_PGM_RSRC2:TGID_Z_EN: 0
; COMPUTE_PGM_RSRC2:TIDIG_COMP_CNT: 0
; COMPUTE_PGM_RSRC3_GFX90A:ACCUM_OFFSET: 0
; COMPUTE_PGM_RSRC3_GFX90A:TG_SPLIT: 0
	.section	.text._ZN7rocprim17ROCPRIM_400000_NS6detail44device_merge_sort_compile_time_verifier_archINS1_11comp_targetILNS1_3genE2ELNS1_11target_archE906ELNS1_3gpuE6ELNS1_3repE0EEES8_NS0_14default_configES9_NS1_37merge_sort_block_sort_config_selectorI14custom_numericNS0_10empty_typeEEENS1_38merge_sort_block_merge_config_selectorISB_SC_EEEEvv,"axG",@progbits,_ZN7rocprim17ROCPRIM_400000_NS6detail44device_merge_sort_compile_time_verifier_archINS1_11comp_targetILNS1_3genE2ELNS1_11target_archE906ELNS1_3gpuE6ELNS1_3repE0EEES8_NS0_14default_configES9_NS1_37merge_sort_block_sort_config_selectorI14custom_numericNS0_10empty_typeEEENS1_38merge_sort_block_merge_config_selectorISB_SC_EEEEvv,comdat
	.protected	_ZN7rocprim17ROCPRIM_400000_NS6detail44device_merge_sort_compile_time_verifier_archINS1_11comp_targetILNS1_3genE2ELNS1_11target_archE906ELNS1_3gpuE6ELNS1_3repE0EEES8_NS0_14default_configES9_NS1_37merge_sort_block_sort_config_selectorI14custom_numericNS0_10empty_typeEEENS1_38merge_sort_block_merge_config_selectorISB_SC_EEEEvv ; -- Begin function _ZN7rocprim17ROCPRIM_400000_NS6detail44device_merge_sort_compile_time_verifier_archINS1_11comp_targetILNS1_3genE2ELNS1_11target_archE906ELNS1_3gpuE6ELNS1_3repE0EEES8_NS0_14default_configES9_NS1_37merge_sort_block_sort_config_selectorI14custom_numericNS0_10empty_typeEEENS1_38merge_sort_block_merge_config_selectorISB_SC_EEEEvv
	.globl	_ZN7rocprim17ROCPRIM_400000_NS6detail44device_merge_sort_compile_time_verifier_archINS1_11comp_targetILNS1_3genE2ELNS1_11target_archE906ELNS1_3gpuE6ELNS1_3repE0EEES8_NS0_14default_configES9_NS1_37merge_sort_block_sort_config_selectorI14custom_numericNS0_10empty_typeEEENS1_38merge_sort_block_merge_config_selectorISB_SC_EEEEvv
	.p2align	8
	.type	_ZN7rocprim17ROCPRIM_400000_NS6detail44device_merge_sort_compile_time_verifier_archINS1_11comp_targetILNS1_3genE2ELNS1_11target_archE906ELNS1_3gpuE6ELNS1_3repE0EEES8_NS0_14default_configES9_NS1_37merge_sort_block_sort_config_selectorI14custom_numericNS0_10empty_typeEEENS1_38merge_sort_block_merge_config_selectorISB_SC_EEEEvv,@function
_ZN7rocprim17ROCPRIM_400000_NS6detail44device_merge_sort_compile_time_verifier_archINS1_11comp_targetILNS1_3genE2ELNS1_11target_archE906ELNS1_3gpuE6ELNS1_3repE0EEES8_NS0_14default_configES9_NS1_37merge_sort_block_sort_config_selectorI14custom_numericNS0_10empty_typeEEENS1_38merge_sort_block_merge_config_selectorISB_SC_EEEEvv: ; @_ZN7rocprim17ROCPRIM_400000_NS6detail44device_merge_sort_compile_time_verifier_archINS1_11comp_targetILNS1_3genE2ELNS1_11target_archE906ELNS1_3gpuE6ELNS1_3repE0EEES8_NS0_14default_configES9_NS1_37merge_sort_block_sort_config_selectorI14custom_numericNS0_10empty_typeEEENS1_38merge_sort_block_merge_config_selectorISB_SC_EEEEvv
; %bb.0:
	s_endpgm
	.section	.rodata,"a",@progbits
	.p2align	6, 0x0
	.amdhsa_kernel _ZN7rocprim17ROCPRIM_400000_NS6detail44device_merge_sort_compile_time_verifier_archINS1_11comp_targetILNS1_3genE2ELNS1_11target_archE906ELNS1_3gpuE6ELNS1_3repE0EEES8_NS0_14default_configES9_NS1_37merge_sort_block_sort_config_selectorI14custom_numericNS0_10empty_typeEEENS1_38merge_sort_block_merge_config_selectorISB_SC_EEEEvv
		.amdhsa_group_segment_fixed_size 0
		.amdhsa_private_segment_fixed_size 0
		.amdhsa_kernarg_size 0
		.amdhsa_user_sgpr_count 4
		.amdhsa_user_sgpr_private_segment_buffer 1
		.amdhsa_user_sgpr_dispatch_ptr 0
		.amdhsa_user_sgpr_queue_ptr 0
		.amdhsa_user_sgpr_kernarg_segment_ptr 0
		.amdhsa_user_sgpr_dispatch_id 0
		.amdhsa_user_sgpr_flat_scratch_init 0
		.amdhsa_user_sgpr_kernarg_preload_length 0
		.amdhsa_user_sgpr_kernarg_preload_offset 0
		.amdhsa_user_sgpr_private_segment_size 0
		.amdhsa_uses_dynamic_stack 0
		.amdhsa_system_sgpr_private_segment_wavefront_offset 0
		.amdhsa_system_sgpr_workgroup_id_x 1
		.amdhsa_system_sgpr_workgroup_id_y 0
		.amdhsa_system_sgpr_workgroup_id_z 0
		.amdhsa_system_sgpr_workgroup_info 0
		.amdhsa_system_vgpr_workitem_id 0
		.amdhsa_next_free_vgpr 1
		.amdhsa_next_free_sgpr 0
		.amdhsa_accum_offset 4
		.amdhsa_reserve_vcc 0
		.amdhsa_reserve_flat_scratch 0
		.amdhsa_float_round_mode_32 0
		.amdhsa_float_round_mode_16_64 0
		.amdhsa_float_denorm_mode_32 3
		.amdhsa_float_denorm_mode_16_64 3
		.amdhsa_dx10_clamp 1
		.amdhsa_ieee_mode 1
		.amdhsa_fp16_overflow 0
		.amdhsa_tg_split 0
		.amdhsa_exception_fp_ieee_invalid_op 0
		.amdhsa_exception_fp_denorm_src 0
		.amdhsa_exception_fp_ieee_div_zero 0
		.amdhsa_exception_fp_ieee_overflow 0
		.amdhsa_exception_fp_ieee_underflow 0
		.amdhsa_exception_fp_ieee_inexact 0
		.amdhsa_exception_int_div_zero 0
	.end_amdhsa_kernel
	.section	.text._ZN7rocprim17ROCPRIM_400000_NS6detail44device_merge_sort_compile_time_verifier_archINS1_11comp_targetILNS1_3genE2ELNS1_11target_archE906ELNS1_3gpuE6ELNS1_3repE0EEES8_NS0_14default_configES9_NS1_37merge_sort_block_sort_config_selectorI14custom_numericNS0_10empty_typeEEENS1_38merge_sort_block_merge_config_selectorISB_SC_EEEEvv,"axG",@progbits,_ZN7rocprim17ROCPRIM_400000_NS6detail44device_merge_sort_compile_time_verifier_archINS1_11comp_targetILNS1_3genE2ELNS1_11target_archE906ELNS1_3gpuE6ELNS1_3repE0EEES8_NS0_14default_configES9_NS1_37merge_sort_block_sort_config_selectorI14custom_numericNS0_10empty_typeEEENS1_38merge_sort_block_merge_config_selectorISB_SC_EEEEvv,comdat
.Lfunc_end1400:
	.size	_ZN7rocprim17ROCPRIM_400000_NS6detail44device_merge_sort_compile_time_verifier_archINS1_11comp_targetILNS1_3genE2ELNS1_11target_archE906ELNS1_3gpuE6ELNS1_3repE0EEES8_NS0_14default_configES9_NS1_37merge_sort_block_sort_config_selectorI14custom_numericNS0_10empty_typeEEENS1_38merge_sort_block_merge_config_selectorISB_SC_EEEEvv, .Lfunc_end1400-_ZN7rocprim17ROCPRIM_400000_NS6detail44device_merge_sort_compile_time_verifier_archINS1_11comp_targetILNS1_3genE2ELNS1_11target_archE906ELNS1_3gpuE6ELNS1_3repE0EEES8_NS0_14default_configES9_NS1_37merge_sort_block_sort_config_selectorI14custom_numericNS0_10empty_typeEEENS1_38merge_sort_block_merge_config_selectorISB_SC_EEEEvv
                                        ; -- End function
	.section	.AMDGPU.csdata,"",@progbits
; Kernel info:
; codeLenInByte = 4
; NumSgprs: 4
; NumVgprs: 0
; NumAgprs: 0
; TotalNumVgprs: 0
; ScratchSize: 0
; MemoryBound: 0
; FloatMode: 240
; IeeeMode: 1
; LDSByteSize: 0 bytes/workgroup (compile time only)
; SGPRBlocks: 0
; VGPRBlocks: 0
; NumSGPRsForWavesPerEU: 4
; NumVGPRsForWavesPerEU: 1
; AccumOffset: 4
; Occupancy: 8
; WaveLimiterHint : 0
; COMPUTE_PGM_RSRC2:SCRATCH_EN: 0
; COMPUTE_PGM_RSRC2:USER_SGPR: 4
; COMPUTE_PGM_RSRC2:TRAP_HANDLER: 0
; COMPUTE_PGM_RSRC2:TGID_X_EN: 1
; COMPUTE_PGM_RSRC2:TGID_Y_EN: 0
; COMPUTE_PGM_RSRC2:TGID_Z_EN: 0
; COMPUTE_PGM_RSRC2:TIDIG_COMP_CNT: 0
; COMPUTE_PGM_RSRC3_GFX90A:ACCUM_OFFSET: 0
; COMPUTE_PGM_RSRC3_GFX90A:TG_SPLIT: 0
	.section	.text._ZN7rocprim17ROCPRIM_400000_NS6detail44device_merge_sort_compile_time_verifier_archINS1_11comp_targetILNS1_3genE10ELNS1_11target_archE1201ELNS1_3gpuE5ELNS1_3repE0EEES8_NS0_14default_configES9_NS1_37merge_sort_block_sort_config_selectorI14custom_numericNS0_10empty_typeEEENS1_38merge_sort_block_merge_config_selectorISB_SC_EEEEvv,"axG",@progbits,_ZN7rocprim17ROCPRIM_400000_NS6detail44device_merge_sort_compile_time_verifier_archINS1_11comp_targetILNS1_3genE10ELNS1_11target_archE1201ELNS1_3gpuE5ELNS1_3repE0EEES8_NS0_14default_configES9_NS1_37merge_sort_block_sort_config_selectorI14custom_numericNS0_10empty_typeEEENS1_38merge_sort_block_merge_config_selectorISB_SC_EEEEvv,comdat
	.protected	_ZN7rocprim17ROCPRIM_400000_NS6detail44device_merge_sort_compile_time_verifier_archINS1_11comp_targetILNS1_3genE10ELNS1_11target_archE1201ELNS1_3gpuE5ELNS1_3repE0EEES8_NS0_14default_configES9_NS1_37merge_sort_block_sort_config_selectorI14custom_numericNS0_10empty_typeEEENS1_38merge_sort_block_merge_config_selectorISB_SC_EEEEvv ; -- Begin function _ZN7rocprim17ROCPRIM_400000_NS6detail44device_merge_sort_compile_time_verifier_archINS1_11comp_targetILNS1_3genE10ELNS1_11target_archE1201ELNS1_3gpuE5ELNS1_3repE0EEES8_NS0_14default_configES9_NS1_37merge_sort_block_sort_config_selectorI14custom_numericNS0_10empty_typeEEENS1_38merge_sort_block_merge_config_selectorISB_SC_EEEEvv
	.globl	_ZN7rocprim17ROCPRIM_400000_NS6detail44device_merge_sort_compile_time_verifier_archINS1_11comp_targetILNS1_3genE10ELNS1_11target_archE1201ELNS1_3gpuE5ELNS1_3repE0EEES8_NS0_14default_configES9_NS1_37merge_sort_block_sort_config_selectorI14custom_numericNS0_10empty_typeEEENS1_38merge_sort_block_merge_config_selectorISB_SC_EEEEvv
	.p2align	8
	.type	_ZN7rocprim17ROCPRIM_400000_NS6detail44device_merge_sort_compile_time_verifier_archINS1_11comp_targetILNS1_3genE10ELNS1_11target_archE1201ELNS1_3gpuE5ELNS1_3repE0EEES8_NS0_14default_configES9_NS1_37merge_sort_block_sort_config_selectorI14custom_numericNS0_10empty_typeEEENS1_38merge_sort_block_merge_config_selectorISB_SC_EEEEvv,@function
_ZN7rocprim17ROCPRIM_400000_NS6detail44device_merge_sort_compile_time_verifier_archINS1_11comp_targetILNS1_3genE10ELNS1_11target_archE1201ELNS1_3gpuE5ELNS1_3repE0EEES8_NS0_14default_configES9_NS1_37merge_sort_block_sort_config_selectorI14custom_numericNS0_10empty_typeEEENS1_38merge_sort_block_merge_config_selectorISB_SC_EEEEvv: ; @_ZN7rocprim17ROCPRIM_400000_NS6detail44device_merge_sort_compile_time_verifier_archINS1_11comp_targetILNS1_3genE10ELNS1_11target_archE1201ELNS1_3gpuE5ELNS1_3repE0EEES8_NS0_14default_configES9_NS1_37merge_sort_block_sort_config_selectorI14custom_numericNS0_10empty_typeEEENS1_38merge_sort_block_merge_config_selectorISB_SC_EEEEvv
; %bb.0:
	s_endpgm
	.section	.rodata,"a",@progbits
	.p2align	6, 0x0
	.amdhsa_kernel _ZN7rocprim17ROCPRIM_400000_NS6detail44device_merge_sort_compile_time_verifier_archINS1_11comp_targetILNS1_3genE10ELNS1_11target_archE1201ELNS1_3gpuE5ELNS1_3repE0EEES8_NS0_14default_configES9_NS1_37merge_sort_block_sort_config_selectorI14custom_numericNS0_10empty_typeEEENS1_38merge_sort_block_merge_config_selectorISB_SC_EEEEvv
		.amdhsa_group_segment_fixed_size 0
		.amdhsa_private_segment_fixed_size 0
		.amdhsa_kernarg_size 0
		.amdhsa_user_sgpr_count 4
		.amdhsa_user_sgpr_private_segment_buffer 1
		.amdhsa_user_sgpr_dispatch_ptr 0
		.amdhsa_user_sgpr_queue_ptr 0
		.amdhsa_user_sgpr_kernarg_segment_ptr 0
		.amdhsa_user_sgpr_dispatch_id 0
		.amdhsa_user_sgpr_flat_scratch_init 0
		.amdhsa_user_sgpr_kernarg_preload_length 0
		.amdhsa_user_sgpr_kernarg_preload_offset 0
		.amdhsa_user_sgpr_private_segment_size 0
		.amdhsa_uses_dynamic_stack 0
		.amdhsa_system_sgpr_private_segment_wavefront_offset 0
		.amdhsa_system_sgpr_workgroup_id_x 1
		.amdhsa_system_sgpr_workgroup_id_y 0
		.amdhsa_system_sgpr_workgroup_id_z 0
		.amdhsa_system_sgpr_workgroup_info 0
		.amdhsa_system_vgpr_workitem_id 0
		.amdhsa_next_free_vgpr 1
		.amdhsa_next_free_sgpr 0
		.amdhsa_accum_offset 4
		.amdhsa_reserve_vcc 0
		.amdhsa_reserve_flat_scratch 0
		.amdhsa_float_round_mode_32 0
		.amdhsa_float_round_mode_16_64 0
		.amdhsa_float_denorm_mode_32 3
		.amdhsa_float_denorm_mode_16_64 3
		.amdhsa_dx10_clamp 1
		.amdhsa_ieee_mode 1
		.amdhsa_fp16_overflow 0
		.amdhsa_tg_split 0
		.amdhsa_exception_fp_ieee_invalid_op 0
		.amdhsa_exception_fp_denorm_src 0
		.amdhsa_exception_fp_ieee_div_zero 0
		.amdhsa_exception_fp_ieee_overflow 0
		.amdhsa_exception_fp_ieee_underflow 0
		.amdhsa_exception_fp_ieee_inexact 0
		.amdhsa_exception_int_div_zero 0
	.end_amdhsa_kernel
	.section	.text._ZN7rocprim17ROCPRIM_400000_NS6detail44device_merge_sort_compile_time_verifier_archINS1_11comp_targetILNS1_3genE10ELNS1_11target_archE1201ELNS1_3gpuE5ELNS1_3repE0EEES8_NS0_14default_configES9_NS1_37merge_sort_block_sort_config_selectorI14custom_numericNS0_10empty_typeEEENS1_38merge_sort_block_merge_config_selectorISB_SC_EEEEvv,"axG",@progbits,_ZN7rocprim17ROCPRIM_400000_NS6detail44device_merge_sort_compile_time_verifier_archINS1_11comp_targetILNS1_3genE10ELNS1_11target_archE1201ELNS1_3gpuE5ELNS1_3repE0EEES8_NS0_14default_configES9_NS1_37merge_sort_block_sort_config_selectorI14custom_numericNS0_10empty_typeEEENS1_38merge_sort_block_merge_config_selectorISB_SC_EEEEvv,comdat
.Lfunc_end1401:
	.size	_ZN7rocprim17ROCPRIM_400000_NS6detail44device_merge_sort_compile_time_verifier_archINS1_11comp_targetILNS1_3genE10ELNS1_11target_archE1201ELNS1_3gpuE5ELNS1_3repE0EEES8_NS0_14default_configES9_NS1_37merge_sort_block_sort_config_selectorI14custom_numericNS0_10empty_typeEEENS1_38merge_sort_block_merge_config_selectorISB_SC_EEEEvv, .Lfunc_end1401-_ZN7rocprim17ROCPRIM_400000_NS6detail44device_merge_sort_compile_time_verifier_archINS1_11comp_targetILNS1_3genE10ELNS1_11target_archE1201ELNS1_3gpuE5ELNS1_3repE0EEES8_NS0_14default_configES9_NS1_37merge_sort_block_sort_config_selectorI14custom_numericNS0_10empty_typeEEENS1_38merge_sort_block_merge_config_selectorISB_SC_EEEEvv
                                        ; -- End function
	.section	.AMDGPU.csdata,"",@progbits
; Kernel info:
; codeLenInByte = 4
; NumSgprs: 4
; NumVgprs: 0
; NumAgprs: 0
; TotalNumVgprs: 0
; ScratchSize: 0
; MemoryBound: 0
; FloatMode: 240
; IeeeMode: 1
; LDSByteSize: 0 bytes/workgroup (compile time only)
; SGPRBlocks: 0
; VGPRBlocks: 0
; NumSGPRsForWavesPerEU: 4
; NumVGPRsForWavesPerEU: 1
; AccumOffset: 4
; Occupancy: 8
; WaveLimiterHint : 0
; COMPUTE_PGM_RSRC2:SCRATCH_EN: 0
; COMPUTE_PGM_RSRC2:USER_SGPR: 4
; COMPUTE_PGM_RSRC2:TRAP_HANDLER: 0
; COMPUTE_PGM_RSRC2:TGID_X_EN: 1
; COMPUTE_PGM_RSRC2:TGID_Y_EN: 0
; COMPUTE_PGM_RSRC2:TGID_Z_EN: 0
; COMPUTE_PGM_RSRC2:TIDIG_COMP_CNT: 0
; COMPUTE_PGM_RSRC3_GFX90A:ACCUM_OFFSET: 0
; COMPUTE_PGM_RSRC3_GFX90A:TG_SPLIT: 0
	.section	.text._ZN7rocprim17ROCPRIM_400000_NS6detail44device_merge_sort_compile_time_verifier_archINS1_11comp_targetILNS1_3genE10ELNS1_11target_archE1200ELNS1_3gpuE4ELNS1_3repE0EEENS3_ILS4_10ELS5_1201ELS6_5ELS7_0EEENS0_14default_configESA_NS1_37merge_sort_block_sort_config_selectorI14custom_numericNS0_10empty_typeEEENS1_38merge_sort_block_merge_config_selectorISC_SD_EEEEvv,"axG",@progbits,_ZN7rocprim17ROCPRIM_400000_NS6detail44device_merge_sort_compile_time_verifier_archINS1_11comp_targetILNS1_3genE10ELNS1_11target_archE1200ELNS1_3gpuE4ELNS1_3repE0EEENS3_ILS4_10ELS5_1201ELS6_5ELS7_0EEENS0_14default_configESA_NS1_37merge_sort_block_sort_config_selectorI14custom_numericNS0_10empty_typeEEENS1_38merge_sort_block_merge_config_selectorISC_SD_EEEEvv,comdat
	.protected	_ZN7rocprim17ROCPRIM_400000_NS6detail44device_merge_sort_compile_time_verifier_archINS1_11comp_targetILNS1_3genE10ELNS1_11target_archE1200ELNS1_3gpuE4ELNS1_3repE0EEENS3_ILS4_10ELS5_1201ELS6_5ELS7_0EEENS0_14default_configESA_NS1_37merge_sort_block_sort_config_selectorI14custom_numericNS0_10empty_typeEEENS1_38merge_sort_block_merge_config_selectorISC_SD_EEEEvv ; -- Begin function _ZN7rocprim17ROCPRIM_400000_NS6detail44device_merge_sort_compile_time_verifier_archINS1_11comp_targetILNS1_3genE10ELNS1_11target_archE1200ELNS1_3gpuE4ELNS1_3repE0EEENS3_ILS4_10ELS5_1201ELS6_5ELS7_0EEENS0_14default_configESA_NS1_37merge_sort_block_sort_config_selectorI14custom_numericNS0_10empty_typeEEENS1_38merge_sort_block_merge_config_selectorISC_SD_EEEEvv
	.globl	_ZN7rocprim17ROCPRIM_400000_NS6detail44device_merge_sort_compile_time_verifier_archINS1_11comp_targetILNS1_3genE10ELNS1_11target_archE1200ELNS1_3gpuE4ELNS1_3repE0EEENS3_ILS4_10ELS5_1201ELS6_5ELS7_0EEENS0_14default_configESA_NS1_37merge_sort_block_sort_config_selectorI14custom_numericNS0_10empty_typeEEENS1_38merge_sort_block_merge_config_selectorISC_SD_EEEEvv
	.p2align	8
	.type	_ZN7rocprim17ROCPRIM_400000_NS6detail44device_merge_sort_compile_time_verifier_archINS1_11comp_targetILNS1_3genE10ELNS1_11target_archE1200ELNS1_3gpuE4ELNS1_3repE0EEENS3_ILS4_10ELS5_1201ELS6_5ELS7_0EEENS0_14default_configESA_NS1_37merge_sort_block_sort_config_selectorI14custom_numericNS0_10empty_typeEEENS1_38merge_sort_block_merge_config_selectorISC_SD_EEEEvv,@function
_ZN7rocprim17ROCPRIM_400000_NS6detail44device_merge_sort_compile_time_verifier_archINS1_11comp_targetILNS1_3genE10ELNS1_11target_archE1200ELNS1_3gpuE4ELNS1_3repE0EEENS3_ILS4_10ELS5_1201ELS6_5ELS7_0EEENS0_14default_configESA_NS1_37merge_sort_block_sort_config_selectorI14custom_numericNS0_10empty_typeEEENS1_38merge_sort_block_merge_config_selectorISC_SD_EEEEvv: ; @_ZN7rocprim17ROCPRIM_400000_NS6detail44device_merge_sort_compile_time_verifier_archINS1_11comp_targetILNS1_3genE10ELNS1_11target_archE1200ELNS1_3gpuE4ELNS1_3repE0EEENS3_ILS4_10ELS5_1201ELS6_5ELS7_0EEENS0_14default_configESA_NS1_37merge_sort_block_sort_config_selectorI14custom_numericNS0_10empty_typeEEENS1_38merge_sort_block_merge_config_selectorISC_SD_EEEEvv
; %bb.0:
	s_endpgm
	.section	.rodata,"a",@progbits
	.p2align	6, 0x0
	.amdhsa_kernel _ZN7rocprim17ROCPRIM_400000_NS6detail44device_merge_sort_compile_time_verifier_archINS1_11comp_targetILNS1_3genE10ELNS1_11target_archE1200ELNS1_3gpuE4ELNS1_3repE0EEENS3_ILS4_10ELS5_1201ELS6_5ELS7_0EEENS0_14default_configESA_NS1_37merge_sort_block_sort_config_selectorI14custom_numericNS0_10empty_typeEEENS1_38merge_sort_block_merge_config_selectorISC_SD_EEEEvv
		.amdhsa_group_segment_fixed_size 0
		.amdhsa_private_segment_fixed_size 0
		.amdhsa_kernarg_size 0
		.amdhsa_user_sgpr_count 4
		.amdhsa_user_sgpr_private_segment_buffer 1
		.amdhsa_user_sgpr_dispatch_ptr 0
		.amdhsa_user_sgpr_queue_ptr 0
		.amdhsa_user_sgpr_kernarg_segment_ptr 0
		.amdhsa_user_sgpr_dispatch_id 0
		.amdhsa_user_sgpr_flat_scratch_init 0
		.amdhsa_user_sgpr_kernarg_preload_length 0
		.amdhsa_user_sgpr_kernarg_preload_offset 0
		.amdhsa_user_sgpr_private_segment_size 0
		.amdhsa_uses_dynamic_stack 0
		.amdhsa_system_sgpr_private_segment_wavefront_offset 0
		.amdhsa_system_sgpr_workgroup_id_x 1
		.amdhsa_system_sgpr_workgroup_id_y 0
		.amdhsa_system_sgpr_workgroup_id_z 0
		.amdhsa_system_sgpr_workgroup_info 0
		.amdhsa_system_vgpr_workitem_id 0
		.amdhsa_next_free_vgpr 1
		.amdhsa_next_free_sgpr 0
		.amdhsa_accum_offset 4
		.amdhsa_reserve_vcc 0
		.amdhsa_reserve_flat_scratch 0
		.amdhsa_float_round_mode_32 0
		.amdhsa_float_round_mode_16_64 0
		.amdhsa_float_denorm_mode_32 3
		.amdhsa_float_denorm_mode_16_64 3
		.amdhsa_dx10_clamp 1
		.amdhsa_ieee_mode 1
		.amdhsa_fp16_overflow 0
		.amdhsa_tg_split 0
		.amdhsa_exception_fp_ieee_invalid_op 0
		.amdhsa_exception_fp_denorm_src 0
		.amdhsa_exception_fp_ieee_div_zero 0
		.amdhsa_exception_fp_ieee_overflow 0
		.amdhsa_exception_fp_ieee_underflow 0
		.amdhsa_exception_fp_ieee_inexact 0
		.amdhsa_exception_int_div_zero 0
	.end_amdhsa_kernel
	.section	.text._ZN7rocprim17ROCPRIM_400000_NS6detail44device_merge_sort_compile_time_verifier_archINS1_11comp_targetILNS1_3genE10ELNS1_11target_archE1200ELNS1_3gpuE4ELNS1_3repE0EEENS3_ILS4_10ELS5_1201ELS6_5ELS7_0EEENS0_14default_configESA_NS1_37merge_sort_block_sort_config_selectorI14custom_numericNS0_10empty_typeEEENS1_38merge_sort_block_merge_config_selectorISC_SD_EEEEvv,"axG",@progbits,_ZN7rocprim17ROCPRIM_400000_NS6detail44device_merge_sort_compile_time_verifier_archINS1_11comp_targetILNS1_3genE10ELNS1_11target_archE1200ELNS1_3gpuE4ELNS1_3repE0EEENS3_ILS4_10ELS5_1201ELS6_5ELS7_0EEENS0_14default_configESA_NS1_37merge_sort_block_sort_config_selectorI14custom_numericNS0_10empty_typeEEENS1_38merge_sort_block_merge_config_selectorISC_SD_EEEEvv,comdat
.Lfunc_end1402:
	.size	_ZN7rocprim17ROCPRIM_400000_NS6detail44device_merge_sort_compile_time_verifier_archINS1_11comp_targetILNS1_3genE10ELNS1_11target_archE1200ELNS1_3gpuE4ELNS1_3repE0EEENS3_ILS4_10ELS5_1201ELS6_5ELS7_0EEENS0_14default_configESA_NS1_37merge_sort_block_sort_config_selectorI14custom_numericNS0_10empty_typeEEENS1_38merge_sort_block_merge_config_selectorISC_SD_EEEEvv, .Lfunc_end1402-_ZN7rocprim17ROCPRIM_400000_NS6detail44device_merge_sort_compile_time_verifier_archINS1_11comp_targetILNS1_3genE10ELNS1_11target_archE1200ELNS1_3gpuE4ELNS1_3repE0EEENS3_ILS4_10ELS5_1201ELS6_5ELS7_0EEENS0_14default_configESA_NS1_37merge_sort_block_sort_config_selectorI14custom_numericNS0_10empty_typeEEENS1_38merge_sort_block_merge_config_selectorISC_SD_EEEEvv
                                        ; -- End function
	.section	.AMDGPU.csdata,"",@progbits
; Kernel info:
; codeLenInByte = 4
; NumSgprs: 4
; NumVgprs: 0
; NumAgprs: 0
; TotalNumVgprs: 0
; ScratchSize: 0
; MemoryBound: 0
; FloatMode: 240
; IeeeMode: 1
; LDSByteSize: 0 bytes/workgroup (compile time only)
; SGPRBlocks: 0
; VGPRBlocks: 0
; NumSGPRsForWavesPerEU: 4
; NumVGPRsForWavesPerEU: 1
; AccumOffset: 4
; Occupancy: 8
; WaveLimiterHint : 0
; COMPUTE_PGM_RSRC2:SCRATCH_EN: 0
; COMPUTE_PGM_RSRC2:USER_SGPR: 4
; COMPUTE_PGM_RSRC2:TRAP_HANDLER: 0
; COMPUTE_PGM_RSRC2:TGID_X_EN: 1
; COMPUTE_PGM_RSRC2:TGID_Y_EN: 0
; COMPUTE_PGM_RSRC2:TGID_Z_EN: 0
; COMPUTE_PGM_RSRC2:TIDIG_COMP_CNT: 0
; COMPUTE_PGM_RSRC3_GFX90A:ACCUM_OFFSET: 0
; COMPUTE_PGM_RSRC3_GFX90A:TG_SPLIT: 0
	.section	.text._ZN7rocprim17ROCPRIM_400000_NS6detail44device_merge_sort_compile_time_verifier_archINS1_11comp_targetILNS1_3genE9ELNS1_11target_archE1100ELNS1_3gpuE3ELNS1_3repE0EEES8_NS0_14default_configES9_NS1_37merge_sort_block_sort_config_selectorI14custom_numericNS0_10empty_typeEEENS1_38merge_sort_block_merge_config_selectorISB_SC_EEEEvv,"axG",@progbits,_ZN7rocprim17ROCPRIM_400000_NS6detail44device_merge_sort_compile_time_verifier_archINS1_11comp_targetILNS1_3genE9ELNS1_11target_archE1100ELNS1_3gpuE3ELNS1_3repE0EEES8_NS0_14default_configES9_NS1_37merge_sort_block_sort_config_selectorI14custom_numericNS0_10empty_typeEEENS1_38merge_sort_block_merge_config_selectorISB_SC_EEEEvv,comdat
	.protected	_ZN7rocprim17ROCPRIM_400000_NS6detail44device_merge_sort_compile_time_verifier_archINS1_11comp_targetILNS1_3genE9ELNS1_11target_archE1100ELNS1_3gpuE3ELNS1_3repE0EEES8_NS0_14default_configES9_NS1_37merge_sort_block_sort_config_selectorI14custom_numericNS0_10empty_typeEEENS1_38merge_sort_block_merge_config_selectorISB_SC_EEEEvv ; -- Begin function _ZN7rocprim17ROCPRIM_400000_NS6detail44device_merge_sort_compile_time_verifier_archINS1_11comp_targetILNS1_3genE9ELNS1_11target_archE1100ELNS1_3gpuE3ELNS1_3repE0EEES8_NS0_14default_configES9_NS1_37merge_sort_block_sort_config_selectorI14custom_numericNS0_10empty_typeEEENS1_38merge_sort_block_merge_config_selectorISB_SC_EEEEvv
	.globl	_ZN7rocprim17ROCPRIM_400000_NS6detail44device_merge_sort_compile_time_verifier_archINS1_11comp_targetILNS1_3genE9ELNS1_11target_archE1100ELNS1_3gpuE3ELNS1_3repE0EEES8_NS0_14default_configES9_NS1_37merge_sort_block_sort_config_selectorI14custom_numericNS0_10empty_typeEEENS1_38merge_sort_block_merge_config_selectorISB_SC_EEEEvv
	.p2align	8
	.type	_ZN7rocprim17ROCPRIM_400000_NS6detail44device_merge_sort_compile_time_verifier_archINS1_11comp_targetILNS1_3genE9ELNS1_11target_archE1100ELNS1_3gpuE3ELNS1_3repE0EEES8_NS0_14default_configES9_NS1_37merge_sort_block_sort_config_selectorI14custom_numericNS0_10empty_typeEEENS1_38merge_sort_block_merge_config_selectorISB_SC_EEEEvv,@function
_ZN7rocprim17ROCPRIM_400000_NS6detail44device_merge_sort_compile_time_verifier_archINS1_11comp_targetILNS1_3genE9ELNS1_11target_archE1100ELNS1_3gpuE3ELNS1_3repE0EEES8_NS0_14default_configES9_NS1_37merge_sort_block_sort_config_selectorI14custom_numericNS0_10empty_typeEEENS1_38merge_sort_block_merge_config_selectorISB_SC_EEEEvv: ; @_ZN7rocprim17ROCPRIM_400000_NS6detail44device_merge_sort_compile_time_verifier_archINS1_11comp_targetILNS1_3genE9ELNS1_11target_archE1100ELNS1_3gpuE3ELNS1_3repE0EEES8_NS0_14default_configES9_NS1_37merge_sort_block_sort_config_selectorI14custom_numericNS0_10empty_typeEEENS1_38merge_sort_block_merge_config_selectorISB_SC_EEEEvv
; %bb.0:
	s_endpgm
	.section	.rodata,"a",@progbits
	.p2align	6, 0x0
	.amdhsa_kernel _ZN7rocprim17ROCPRIM_400000_NS6detail44device_merge_sort_compile_time_verifier_archINS1_11comp_targetILNS1_3genE9ELNS1_11target_archE1100ELNS1_3gpuE3ELNS1_3repE0EEES8_NS0_14default_configES9_NS1_37merge_sort_block_sort_config_selectorI14custom_numericNS0_10empty_typeEEENS1_38merge_sort_block_merge_config_selectorISB_SC_EEEEvv
		.amdhsa_group_segment_fixed_size 0
		.amdhsa_private_segment_fixed_size 0
		.amdhsa_kernarg_size 0
		.amdhsa_user_sgpr_count 4
		.amdhsa_user_sgpr_private_segment_buffer 1
		.amdhsa_user_sgpr_dispatch_ptr 0
		.amdhsa_user_sgpr_queue_ptr 0
		.amdhsa_user_sgpr_kernarg_segment_ptr 0
		.amdhsa_user_sgpr_dispatch_id 0
		.amdhsa_user_sgpr_flat_scratch_init 0
		.amdhsa_user_sgpr_kernarg_preload_length 0
		.amdhsa_user_sgpr_kernarg_preload_offset 0
		.amdhsa_user_sgpr_private_segment_size 0
		.amdhsa_uses_dynamic_stack 0
		.amdhsa_system_sgpr_private_segment_wavefront_offset 0
		.amdhsa_system_sgpr_workgroup_id_x 1
		.amdhsa_system_sgpr_workgroup_id_y 0
		.amdhsa_system_sgpr_workgroup_id_z 0
		.amdhsa_system_sgpr_workgroup_info 0
		.amdhsa_system_vgpr_workitem_id 0
		.amdhsa_next_free_vgpr 1
		.amdhsa_next_free_sgpr 0
		.amdhsa_accum_offset 4
		.amdhsa_reserve_vcc 0
		.amdhsa_reserve_flat_scratch 0
		.amdhsa_float_round_mode_32 0
		.amdhsa_float_round_mode_16_64 0
		.amdhsa_float_denorm_mode_32 3
		.amdhsa_float_denorm_mode_16_64 3
		.amdhsa_dx10_clamp 1
		.amdhsa_ieee_mode 1
		.amdhsa_fp16_overflow 0
		.amdhsa_tg_split 0
		.amdhsa_exception_fp_ieee_invalid_op 0
		.amdhsa_exception_fp_denorm_src 0
		.amdhsa_exception_fp_ieee_div_zero 0
		.amdhsa_exception_fp_ieee_overflow 0
		.amdhsa_exception_fp_ieee_underflow 0
		.amdhsa_exception_fp_ieee_inexact 0
		.amdhsa_exception_int_div_zero 0
	.end_amdhsa_kernel
	.section	.text._ZN7rocprim17ROCPRIM_400000_NS6detail44device_merge_sort_compile_time_verifier_archINS1_11comp_targetILNS1_3genE9ELNS1_11target_archE1100ELNS1_3gpuE3ELNS1_3repE0EEES8_NS0_14default_configES9_NS1_37merge_sort_block_sort_config_selectorI14custom_numericNS0_10empty_typeEEENS1_38merge_sort_block_merge_config_selectorISB_SC_EEEEvv,"axG",@progbits,_ZN7rocprim17ROCPRIM_400000_NS6detail44device_merge_sort_compile_time_verifier_archINS1_11comp_targetILNS1_3genE9ELNS1_11target_archE1100ELNS1_3gpuE3ELNS1_3repE0EEES8_NS0_14default_configES9_NS1_37merge_sort_block_sort_config_selectorI14custom_numericNS0_10empty_typeEEENS1_38merge_sort_block_merge_config_selectorISB_SC_EEEEvv,comdat
.Lfunc_end1403:
	.size	_ZN7rocprim17ROCPRIM_400000_NS6detail44device_merge_sort_compile_time_verifier_archINS1_11comp_targetILNS1_3genE9ELNS1_11target_archE1100ELNS1_3gpuE3ELNS1_3repE0EEES8_NS0_14default_configES9_NS1_37merge_sort_block_sort_config_selectorI14custom_numericNS0_10empty_typeEEENS1_38merge_sort_block_merge_config_selectorISB_SC_EEEEvv, .Lfunc_end1403-_ZN7rocprim17ROCPRIM_400000_NS6detail44device_merge_sort_compile_time_verifier_archINS1_11comp_targetILNS1_3genE9ELNS1_11target_archE1100ELNS1_3gpuE3ELNS1_3repE0EEES8_NS0_14default_configES9_NS1_37merge_sort_block_sort_config_selectorI14custom_numericNS0_10empty_typeEEENS1_38merge_sort_block_merge_config_selectorISB_SC_EEEEvv
                                        ; -- End function
	.section	.AMDGPU.csdata,"",@progbits
; Kernel info:
; codeLenInByte = 4
; NumSgprs: 4
; NumVgprs: 0
; NumAgprs: 0
; TotalNumVgprs: 0
; ScratchSize: 0
; MemoryBound: 0
; FloatMode: 240
; IeeeMode: 1
; LDSByteSize: 0 bytes/workgroup (compile time only)
; SGPRBlocks: 0
; VGPRBlocks: 0
; NumSGPRsForWavesPerEU: 4
; NumVGPRsForWavesPerEU: 1
; AccumOffset: 4
; Occupancy: 8
; WaveLimiterHint : 0
; COMPUTE_PGM_RSRC2:SCRATCH_EN: 0
; COMPUTE_PGM_RSRC2:USER_SGPR: 4
; COMPUTE_PGM_RSRC2:TRAP_HANDLER: 0
; COMPUTE_PGM_RSRC2:TGID_X_EN: 1
; COMPUTE_PGM_RSRC2:TGID_Y_EN: 0
; COMPUTE_PGM_RSRC2:TGID_Z_EN: 0
; COMPUTE_PGM_RSRC2:TIDIG_COMP_CNT: 0
; COMPUTE_PGM_RSRC3_GFX90A:ACCUM_OFFSET: 0
; COMPUTE_PGM_RSRC3_GFX90A:TG_SPLIT: 0
	.section	.text._ZN7rocprim17ROCPRIM_400000_NS6detail44device_merge_sort_compile_time_verifier_archINS1_11comp_targetILNS1_3genE8ELNS1_11target_archE1030ELNS1_3gpuE2ELNS1_3repE0EEES8_NS0_14default_configES9_NS1_37merge_sort_block_sort_config_selectorI14custom_numericNS0_10empty_typeEEENS1_38merge_sort_block_merge_config_selectorISB_SC_EEEEvv,"axG",@progbits,_ZN7rocprim17ROCPRIM_400000_NS6detail44device_merge_sort_compile_time_verifier_archINS1_11comp_targetILNS1_3genE8ELNS1_11target_archE1030ELNS1_3gpuE2ELNS1_3repE0EEES8_NS0_14default_configES9_NS1_37merge_sort_block_sort_config_selectorI14custom_numericNS0_10empty_typeEEENS1_38merge_sort_block_merge_config_selectorISB_SC_EEEEvv,comdat
	.protected	_ZN7rocprim17ROCPRIM_400000_NS6detail44device_merge_sort_compile_time_verifier_archINS1_11comp_targetILNS1_3genE8ELNS1_11target_archE1030ELNS1_3gpuE2ELNS1_3repE0EEES8_NS0_14default_configES9_NS1_37merge_sort_block_sort_config_selectorI14custom_numericNS0_10empty_typeEEENS1_38merge_sort_block_merge_config_selectorISB_SC_EEEEvv ; -- Begin function _ZN7rocprim17ROCPRIM_400000_NS6detail44device_merge_sort_compile_time_verifier_archINS1_11comp_targetILNS1_3genE8ELNS1_11target_archE1030ELNS1_3gpuE2ELNS1_3repE0EEES8_NS0_14default_configES9_NS1_37merge_sort_block_sort_config_selectorI14custom_numericNS0_10empty_typeEEENS1_38merge_sort_block_merge_config_selectorISB_SC_EEEEvv
	.globl	_ZN7rocprim17ROCPRIM_400000_NS6detail44device_merge_sort_compile_time_verifier_archINS1_11comp_targetILNS1_3genE8ELNS1_11target_archE1030ELNS1_3gpuE2ELNS1_3repE0EEES8_NS0_14default_configES9_NS1_37merge_sort_block_sort_config_selectorI14custom_numericNS0_10empty_typeEEENS1_38merge_sort_block_merge_config_selectorISB_SC_EEEEvv
	.p2align	8
	.type	_ZN7rocprim17ROCPRIM_400000_NS6detail44device_merge_sort_compile_time_verifier_archINS1_11comp_targetILNS1_3genE8ELNS1_11target_archE1030ELNS1_3gpuE2ELNS1_3repE0EEES8_NS0_14default_configES9_NS1_37merge_sort_block_sort_config_selectorI14custom_numericNS0_10empty_typeEEENS1_38merge_sort_block_merge_config_selectorISB_SC_EEEEvv,@function
_ZN7rocprim17ROCPRIM_400000_NS6detail44device_merge_sort_compile_time_verifier_archINS1_11comp_targetILNS1_3genE8ELNS1_11target_archE1030ELNS1_3gpuE2ELNS1_3repE0EEES8_NS0_14default_configES9_NS1_37merge_sort_block_sort_config_selectorI14custom_numericNS0_10empty_typeEEENS1_38merge_sort_block_merge_config_selectorISB_SC_EEEEvv: ; @_ZN7rocprim17ROCPRIM_400000_NS6detail44device_merge_sort_compile_time_verifier_archINS1_11comp_targetILNS1_3genE8ELNS1_11target_archE1030ELNS1_3gpuE2ELNS1_3repE0EEES8_NS0_14default_configES9_NS1_37merge_sort_block_sort_config_selectorI14custom_numericNS0_10empty_typeEEENS1_38merge_sort_block_merge_config_selectorISB_SC_EEEEvv
; %bb.0:
	s_endpgm
	.section	.rodata,"a",@progbits
	.p2align	6, 0x0
	.amdhsa_kernel _ZN7rocprim17ROCPRIM_400000_NS6detail44device_merge_sort_compile_time_verifier_archINS1_11comp_targetILNS1_3genE8ELNS1_11target_archE1030ELNS1_3gpuE2ELNS1_3repE0EEES8_NS0_14default_configES9_NS1_37merge_sort_block_sort_config_selectorI14custom_numericNS0_10empty_typeEEENS1_38merge_sort_block_merge_config_selectorISB_SC_EEEEvv
		.amdhsa_group_segment_fixed_size 0
		.amdhsa_private_segment_fixed_size 0
		.amdhsa_kernarg_size 0
		.amdhsa_user_sgpr_count 4
		.amdhsa_user_sgpr_private_segment_buffer 1
		.amdhsa_user_sgpr_dispatch_ptr 0
		.amdhsa_user_sgpr_queue_ptr 0
		.amdhsa_user_sgpr_kernarg_segment_ptr 0
		.amdhsa_user_sgpr_dispatch_id 0
		.amdhsa_user_sgpr_flat_scratch_init 0
		.amdhsa_user_sgpr_kernarg_preload_length 0
		.amdhsa_user_sgpr_kernarg_preload_offset 0
		.amdhsa_user_sgpr_private_segment_size 0
		.amdhsa_uses_dynamic_stack 0
		.amdhsa_system_sgpr_private_segment_wavefront_offset 0
		.amdhsa_system_sgpr_workgroup_id_x 1
		.amdhsa_system_sgpr_workgroup_id_y 0
		.amdhsa_system_sgpr_workgroup_id_z 0
		.amdhsa_system_sgpr_workgroup_info 0
		.amdhsa_system_vgpr_workitem_id 0
		.amdhsa_next_free_vgpr 1
		.amdhsa_next_free_sgpr 0
		.amdhsa_accum_offset 4
		.amdhsa_reserve_vcc 0
		.amdhsa_reserve_flat_scratch 0
		.amdhsa_float_round_mode_32 0
		.amdhsa_float_round_mode_16_64 0
		.amdhsa_float_denorm_mode_32 3
		.amdhsa_float_denorm_mode_16_64 3
		.amdhsa_dx10_clamp 1
		.amdhsa_ieee_mode 1
		.amdhsa_fp16_overflow 0
		.amdhsa_tg_split 0
		.amdhsa_exception_fp_ieee_invalid_op 0
		.amdhsa_exception_fp_denorm_src 0
		.amdhsa_exception_fp_ieee_div_zero 0
		.amdhsa_exception_fp_ieee_overflow 0
		.amdhsa_exception_fp_ieee_underflow 0
		.amdhsa_exception_fp_ieee_inexact 0
		.amdhsa_exception_int_div_zero 0
	.end_amdhsa_kernel
	.section	.text._ZN7rocprim17ROCPRIM_400000_NS6detail44device_merge_sort_compile_time_verifier_archINS1_11comp_targetILNS1_3genE8ELNS1_11target_archE1030ELNS1_3gpuE2ELNS1_3repE0EEES8_NS0_14default_configES9_NS1_37merge_sort_block_sort_config_selectorI14custom_numericNS0_10empty_typeEEENS1_38merge_sort_block_merge_config_selectorISB_SC_EEEEvv,"axG",@progbits,_ZN7rocprim17ROCPRIM_400000_NS6detail44device_merge_sort_compile_time_verifier_archINS1_11comp_targetILNS1_3genE8ELNS1_11target_archE1030ELNS1_3gpuE2ELNS1_3repE0EEES8_NS0_14default_configES9_NS1_37merge_sort_block_sort_config_selectorI14custom_numericNS0_10empty_typeEEENS1_38merge_sort_block_merge_config_selectorISB_SC_EEEEvv,comdat
.Lfunc_end1404:
	.size	_ZN7rocprim17ROCPRIM_400000_NS6detail44device_merge_sort_compile_time_verifier_archINS1_11comp_targetILNS1_3genE8ELNS1_11target_archE1030ELNS1_3gpuE2ELNS1_3repE0EEES8_NS0_14default_configES9_NS1_37merge_sort_block_sort_config_selectorI14custom_numericNS0_10empty_typeEEENS1_38merge_sort_block_merge_config_selectorISB_SC_EEEEvv, .Lfunc_end1404-_ZN7rocprim17ROCPRIM_400000_NS6detail44device_merge_sort_compile_time_verifier_archINS1_11comp_targetILNS1_3genE8ELNS1_11target_archE1030ELNS1_3gpuE2ELNS1_3repE0EEES8_NS0_14default_configES9_NS1_37merge_sort_block_sort_config_selectorI14custom_numericNS0_10empty_typeEEENS1_38merge_sort_block_merge_config_selectorISB_SC_EEEEvv
                                        ; -- End function
	.section	.AMDGPU.csdata,"",@progbits
; Kernel info:
; codeLenInByte = 4
; NumSgprs: 4
; NumVgprs: 0
; NumAgprs: 0
; TotalNumVgprs: 0
; ScratchSize: 0
; MemoryBound: 0
; FloatMode: 240
; IeeeMode: 1
; LDSByteSize: 0 bytes/workgroup (compile time only)
; SGPRBlocks: 0
; VGPRBlocks: 0
; NumSGPRsForWavesPerEU: 4
; NumVGPRsForWavesPerEU: 1
; AccumOffset: 4
; Occupancy: 8
; WaveLimiterHint : 0
; COMPUTE_PGM_RSRC2:SCRATCH_EN: 0
; COMPUTE_PGM_RSRC2:USER_SGPR: 4
; COMPUTE_PGM_RSRC2:TRAP_HANDLER: 0
; COMPUTE_PGM_RSRC2:TGID_X_EN: 1
; COMPUTE_PGM_RSRC2:TGID_Y_EN: 0
; COMPUTE_PGM_RSRC2:TGID_Z_EN: 0
; COMPUTE_PGM_RSRC2:TIDIG_COMP_CNT: 0
; COMPUTE_PGM_RSRC3_GFX90A:ACCUM_OFFSET: 0
; COMPUTE_PGM_RSRC3_GFX90A:TG_SPLIT: 0
	.section	.text._ZN7rocprim17ROCPRIM_400000_NS6detail17trampoline_kernelINS0_14default_configENS1_37merge_sort_block_sort_config_selectorI14custom_numericNS0_10empty_typeEEEZNS1_21merge_sort_block_sortIS3_N6thrust23THRUST_200600_302600_NS6detail15normal_iteratorINSA_10device_ptrIS5_EEEESF_PS6_SG_NSA_4lessIS5_EEEE10hipError_tT0_T1_T2_T3_mRjT4_P12ihipStream_tbNS1_7vsmem_tEEUlT_E_NS1_11comp_targetILNS1_3genE0ELNS1_11target_archE4294967295ELNS1_3gpuE0ELNS1_3repE0EEENS1_30default_config_static_selectorELNS0_4arch9wavefront6targetE1EEEvSL_,"axG",@progbits,_ZN7rocprim17ROCPRIM_400000_NS6detail17trampoline_kernelINS0_14default_configENS1_37merge_sort_block_sort_config_selectorI14custom_numericNS0_10empty_typeEEEZNS1_21merge_sort_block_sortIS3_N6thrust23THRUST_200600_302600_NS6detail15normal_iteratorINSA_10device_ptrIS5_EEEESF_PS6_SG_NSA_4lessIS5_EEEE10hipError_tT0_T1_T2_T3_mRjT4_P12ihipStream_tbNS1_7vsmem_tEEUlT_E_NS1_11comp_targetILNS1_3genE0ELNS1_11target_archE4294967295ELNS1_3gpuE0ELNS1_3repE0EEENS1_30default_config_static_selectorELNS0_4arch9wavefront6targetE1EEEvSL_,comdat
	.protected	_ZN7rocprim17ROCPRIM_400000_NS6detail17trampoline_kernelINS0_14default_configENS1_37merge_sort_block_sort_config_selectorI14custom_numericNS0_10empty_typeEEEZNS1_21merge_sort_block_sortIS3_N6thrust23THRUST_200600_302600_NS6detail15normal_iteratorINSA_10device_ptrIS5_EEEESF_PS6_SG_NSA_4lessIS5_EEEE10hipError_tT0_T1_T2_T3_mRjT4_P12ihipStream_tbNS1_7vsmem_tEEUlT_E_NS1_11comp_targetILNS1_3genE0ELNS1_11target_archE4294967295ELNS1_3gpuE0ELNS1_3repE0EEENS1_30default_config_static_selectorELNS0_4arch9wavefront6targetE1EEEvSL_ ; -- Begin function _ZN7rocprim17ROCPRIM_400000_NS6detail17trampoline_kernelINS0_14default_configENS1_37merge_sort_block_sort_config_selectorI14custom_numericNS0_10empty_typeEEEZNS1_21merge_sort_block_sortIS3_N6thrust23THRUST_200600_302600_NS6detail15normal_iteratorINSA_10device_ptrIS5_EEEESF_PS6_SG_NSA_4lessIS5_EEEE10hipError_tT0_T1_T2_T3_mRjT4_P12ihipStream_tbNS1_7vsmem_tEEUlT_E_NS1_11comp_targetILNS1_3genE0ELNS1_11target_archE4294967295ELNS1_3gpuE0ELNS1_3repE0EEENS1_30default_config_static_selectorELNS0_4arch9wavefront6targetE1EEEvSL_
	.globl	_ZN7rocprim17ROCPRIM_400000_NS6detail17trampoline_kernelINS0_14default_configENS1_37merge_sort_block_sort_config_selectorI14custom_numericNS0_10empty_typeEEEZNS1_21merge_sort_block_sortIS3_N6thrust23THRUST_200600_302600_NS6detail15normal_iteratorINSA_10device_ptrIS5_EEEESF_PS6_SG_NSA_4lessIS5_EEEE10hipError_tT0_T1_T2_T3_mRjT4_P12ihipStream_tbNS1_7vsmem_tEEUlT_E_NS1_11comp_targetILNS1_3genE0ELNS1_11target_archE4294967295ELNS1_3gpuE0ELNS1_3repE0EEENS1_30default_config_static_selectorELNS0_4arch9wavefront6targetE1EEEvSL_
	.p2align	8
	.type	_ZN7rocprim17ROCPRIM_400000_NS6detail17trampoline_kernelINS0_14default_configENS1_37merge_sort_block_sort_config_selectorI14custom_numericNS0_10empty_typeEEEZNS1_21merge_sort_block_sortIS3_N6thrust23THRUST_200600_302600_NS6detail15normal_iteratorINSA_10device_ptrIS5_EEEESF_PS6_SG_NSA_4lessIS5_EEEE10hipError_tT0_T1_T2_T3_mRjT4_P12ihipStream_tbNS1_7vsmem_tEEUlT_E_NS1_11comp_targetILNS1_3genE0ELNS1_11target_archE4294967295ELNS1_3gpuE0ELNS1_3repE0EEENS1_30default_config_static_selectorELNS0_4arch9wavefront6targetE1EEEvSL_,@function
_ZN7rocprim17ROCPRIM_400000_NS6detail17trampoline_kernelINS0_14default_configENS1_37merge_sort_block_sort_config_selectorI14custom_numericNS0_10empty_typeEEEZNS1_21merge_sort_block_sortIS3_N6thrust23THRUST_200600_302600_NS6detail15normal_iteratorINSA_10device_ptrIS5_EEEESF_PS6_SG_NSA_4lessIS5_EEEE10hipError_tT0_T1_T2_T3_mRjT4_P12ihipStream_tbNS1_7vsmem_tEEUlT_E_NS1_11comp_targetILNS1_3genE0ELNS1_11target_archE4294967295ELNS1_3gpuE0ELNS1_3repE0EEENS1_30default_config_static_selectorELNS0_4arch9wavefront6targetE1EEEvSL_: ; @_ZN7rocprim17ROCPRIM_400000_NS6detail17trampoline_kernelINS0_14default_configENS1_37merge_sort_block_sort_config_selectorI14custom_numericNS0_10empty_typeEEEZNS1_21merge_sort_block_sortIS3_N6thrust23THRUST_200600_302600_NS6detail15normal_iteratorINSA_10device_ptrIS5_EEEESF_PS6_SG_NSA_4lessIS5_EEEE10hipError_tT0_T1_T2_T3_mRjT4_P12ihipStream_tbNS1_7vsmem_tEEUlT_E_NS1_11comp_targetILNS1_3genE0ELNS1_11target_archE4294967295ELNS1_3gpuE0ELNS1_3repE0EEENS1_30default_config_static_selectorELNS0_4arch9wavefront6targetE1EEEvSL_
; %bb.0:
	.section	.rodata,"a",@progbits
	.p2align	6, 0x0
	.amdhsa_kernel _ZN7rocprim17ROCPRIM_400000_NS6detail17trampoline_kernelINS0_14default_configENS1_37merge_sort_block_sort_config_selectorI14custom_numericNS0_10empty_typeEEEZNS1_21merge_sort_block_sortIS3_N6thrust23THRUST_200600_302600_NS6detail15normal_iteratorINSA_10device_ptrIS5_EEEESF_PS6_SG_NSA_4lessIS5_EEEE10hipError_tT0_T1_T2_T3_mRjT4_P12ihipStream_tbNS1_7vsmem_tEEUlT_E_NS1_11comp_targetILNS1_3genE0ELNS1_11target_archE4294967295ELNS1_3gpuE0ELNS1_3repE0EEENS1_30default_config_static_selectorELNS0_4arch9wavefront6targetE1EEEvSL_
		.amdhsa_group_segment_fixed_size 0
		.amdhsa_private_segment_fixed_size 0
		.amdhsa_kernarg_size 64
		.amdhsa_user_sgpr_count 6
		.amdhsa_user_sgpr_private_segment_buffer 1
		.amdhsa_user_sgpr_dispatch_ptr 0
		.amdhsa_user_sgpr_queue_ptr 0
		.amdhsa_user_sgpr_kernarg_segment_ptr 1
		.amdhsa_user_sgpr_dispatch_id 0
		.amdhsa_user_sgpr_flat_scratch_init 0
		.amdhsa_user_sgpr_kernarg_preload_length 0
		.amdhsa_user_sgpr_kernarg_preload_offset 0
		.amdhsa_user_sgpr_private_segment_size 0
		.amdhsa_uses_dynamic_stack 0
		.amdhsa_system_sgpr_private_segment_wavefront_offset 0
		.amdhsa_system_sgpr_workgroup_id_x 1
		.amdhsa_system_sgpr_workgroup_id_y 0
		.amdhsa_system_sgpr_workgroup_id_z 0
		.amdhsa_system_sgpr_workgroup_info 0
		.amdhsa_system_vgpr_workitem_id 0
		.amdhsa_next_free_vgpr 1
		.amdhsa_next_free_sgpr 0
		.amdhsa_accum_offset 4
		.amdhsa_reserve_vcc 0
		.amdhsa_reserve_flat_scratch 0
		.amdhsa_float_round_mode_32 0
		.amdhsa_float_round_mode_16_64 0
		.amdhsa_float_denorm_mode_32 3
		.amdhsa_float_denorm_mode_16_64 3
		.amdhsa_dx10_clamp 1
		.amdhsa_ieee_mode 1
		.amdhsa_fp16_overflow 0
		.amdhsa_tg_split 0
		.amdhsa_exception_fp_ieee_invalid_op 0
		.amdhsa_exception_fp_denorm_src 0
		.amdhsa_exception_fp_ieee_div_zero 0
		.amdhsa_exception_fp_ieee_overflow 0
		.amdhsa_exception_fp_ieee_underflow 0
		.amdhsa_exception_fp_ieee_inexact 0
		.amdhsa_exception_int_div_zero 0
	.end_amdhsa_kernel
	.section	.text._ZN7rocprim17ROCPRIM_400000_NS6detail17trampoline_kernelINS0_14default_configENS1_37merge_sort_block_sort_config_selectorI14custom_numericNS0_10empty_typeEEEZNS1_21merge_sort_block_sortIS3_N6thrust23THRUST_200600_302600_NS6detail15normal_iteratorINSA_10device_ptrIS5_EEEESF_PS6_SG_NSA_4lessIS5_EEEE10hipError_tT0_T1_T2_T3_mRjT4_P12ihipStream_tbNS1_7vsmem_tEEUlT_E_NS1_11comp_targetILNS1_3genE0ELNS1_11target_archE4294967295ELNS1_3gpuE0ELNS1_3repE0EEENS1_30default_config_static_selectorELNS0_4arch9wavefront6targetE1EEEvSL_,"axG",@progbits,_ZN7rocprim17ROCPRIM_400000_NS6detail17trampoline_kernelINS0_14default_configENS1_37merge_sort_block_sort_config_selectorI14custom_numericNS0_10empty_typeEEEZNS1_21merge_sort_block_sortIS3_N6thrust23THRUST_200600_302600_NS6detail15normal_iteratorINSA_10device_ptrIS5_EEEESF_PS6_SG_NSA_4lessIS5_EEEE10hipError_tT0_T1_T2_T3_mRjT4_P12ihipStream_tbNS1_7vsmem_tEEUlT_E_NS1_11comp_targetILNS1_3genE0ELNS1_11target_archE4294967295ELNS1_3gpuE0ELNS1_3repE0EEENS1_30default_config_static_selectorELNS0_4arch9wavefront6targetE1EEEvSL_,comdat
.Lfunc_end1405:
	.size	_ZN7rocprim17ROCPRIM_400000_NS6detail17trampoline_kernelINS0_14default_configENS1_37merge_sort_block_sort_config_selectorI14custom_numericNS0_10empty_typeEEEZNS1_21merge_sort_block_sortIS3_N6thrust23THRUST_200600_302600_NS6detail15normal_iteratorINSA_10device_ptrIS5_EEEESF_PS6_SG_NSA_4lessIS5_EEEE10hipError_tT0_T1_T2_T3_mRjT4_P12ihipStream_tbNS1_7vsmem_tEEUlT_E_NS1_11comp_targetILNS1_3genE0ELNS1_11target_archE4294967295ELNS1_3gpuE0ELNS1_3repE0EEENS1_30default_config_static_selectorELNS0_4arch9wavefront6targetE1EEEvSL_, .Lfunc_end1405-_ZN7rocprim17ROCPRIM_400000_NS6detail17trampoline_kernelINS0_14default_configENS1_37merge_sort_block_sort_config_selectorI14custom_numericNS0_10empty_typeEEEZNS1_21merge_sort_block_sortIS3_N6thrust23THRUST_200600_302600_NS6detail15normal_iteratorINSA_10device_ptrIS5_EEEESF_PS6_SG_NSA_4lessIS5_EEEE10hipError_tT0_T1_T2_T3_mRjT4_P12ihipStream_tbNS1_7vsmem_tEEUlT_E_NS1_11comp_targetILNS1_3genE0ELNS1_11target_archE4294967295ELNS1_3gpuE0ELNS1_3repE0EEENS1_30default_config_static_selectorELNS0_4arch9wavefront6targetE1EEEvSL_
                                        ; -- End function
	.section	.AMDGPU.csdata,"",@progbits
; Kernel info:
; codeLenInByte = 0
; NumSgprs: 4
; NumVgprs: 0
; NumAgprs: 0
; TotalNumVgprs: 0
; ScratchSize: 0
; MemoryBound: 0
; FloatMode: 240
; IeeeMode: 1
; LDSByteSize: 0 bytes/workgroup (compile time only)
; SGPRBlocks: 0
; VGPRBlocks: 0
; NumSGPRsForWavesPerEU: 4
; NumVGPRsForWavesPerEU: 1
; AccumOffset: 4
; Occupancy: 8
; WaveLimiterHint : 0
; COMPUTE_PGM_RSRC2:SCRATCH_EN: 0
; COMPUTE_PGM_RSRC2:USER_SGPR: 6
; COMPUTE_PGM_RSRC2:TRAP_HANDLER: 0
; COMPUTE_PGM_RSRC2:TGID_X_EN: 1
; COMPUTE_PGM_RSRC2:TGID_Y_EN: 0
; COMPUTE_PGM_RSRC2:TGID_Z_EN: 0
; COMPUTE_PGM_RSRC2:TIDIG_COMP_CNT: 0
; COMPUTE_PGM_RSRC3_GFX90A:ACCUM_OFFSET: 0
; COMPUTE_PGM_RSRC3_GFX90A:TG_SPLIT: 0
	.section	.text._ZN7rocprim17ROCPRIM_400000_NS6detail17trampoline_kernelINS0_14default_configENS1_37merge_sort_block_sort_config_selectorI14custom_numericNS0_10empty_typeEEEZNS1_21merge_sort_block_sortIS3_N6thrust23THRUST_200600_302600_NS6detail15normal_iteratorINSA_10device_ptrIS5_EEEESF_PS6_SG_NSA_4lessIS5_EEEE10hipError_tT0_T1_T2_T3_mRjT4_P12ihipStream_tbNS1_7vsmem_tEEUlT_E_NS1_11comp_targetILNS1_3genE5ELNS1_11target_archE942ELNS1_3gpuE9ELNS1_3repE0EEENS1_30default_config_static_selectorELNS0_4arch9wavefront6targetE1EEEvSL_,"axG",@progbits,_ZN7rocprim17ROCPRIM_400000_NS6detail17trampoline_kernelINS0_14default_configENS1_37merge_sort_block_sort_config_selectorI14custom_numericNS0_10empty_typeEEEZNS1_21merge_sort_block_sortIS3_N6thrust23THRUST_200600_302600_NS6detail15normal_iteratorINSA_10device_ptrIS5_EEEESF_PS6_SG_NSA_4lessIS5_EEEE10hipError_tT0_T1_T2_T3_mRjT4_P12ihipStream_tbNS1_7vsmem_tEEUlT_E_NS1_11comp_targetILNS1_3genE5ELNS1_11target_archE942ELNS1_3gpuE9ELNS1_3repE0EEENS1_30default_config_static_selectorELNS0_4arch9wavefront6targetE1EEEvSL_,comdat
	.protected	_ZN7rocprim17ROCPRIM_400000_NS6detail17trampoline_kernelINS0_14default_configENS1_37merge_sort_block_sort_config_selectorI14custom_numericNS0_10empty_typeEEEZNS1_21merge_sort_block_sortIS3_N6thrust23THRUST_200600_302600_NS6detail15normal_iteratorINSA_10device_ptrIS5_EEEESF_PS6_SG_NSA_4lessIS5_EEEE10hipError_tT0_T1_T2_T3_mRjT4_P12ihipStream_tbNS1_7vsmem_tEEUlT_E_NS1_11comp_targetILNS1_3genE5ELNS1_11target_archE942ELNS1_3gpuE9ELNS1_3repE0EEENS1_30default_config_static_selectorELNS0_4arch9wavefront6targetE1EEEvSL_ ; -- Begin function _ZN7rocprim17ROCPRIM_400000_NS6detail17trampoline_kernelINS0_14default_configENS1_37merge_sort_block_sort_config_selectorI14custom_numericNS0_10empty_typeEEEZNS1_21merge_sort_block_sortIS3_N6thrust23THRUST_200600_302600_NS6detail15normal_iteratorINSA_10device_ptrIS5_EEEESF_PS6_SG_NSA_4lessIS5_EEEE10hipError_tT0_T1_T2_T3_mRjT4_P12ihipStream_tbNS1_7vsmem_tEEUlT_E_NS1_11comp_targetILNS1_3genE5ELNS1_11target_archE942ELNS1_3gpuE9ELNS1_3repE0EEENS1_30default_config_static_selectorELNS0_4arch9wavefront6targetE1EEEvSL_
	.globl	_ZN7rocprim17ROCPRIM_400000_NS6detail17trampoline_kernelINS0_14default_configENS1_37merge_sort_block_sort_config_selectorI14custom_numericNS0_10empty_typeEEEZNS1_21merge_sort_block_sortIS3_N6thrust23THRUST_200600_302600_NS6detail15normal_iteratorINSA_10device_ptrIS5_EEEESF_PS6_SG_NSA_4lessIS5_EEEE10hipError_tT0_T1_T2_T3_mRjT4_P12ihipStream_tbNS1_7vsmem_tEEUlT_E_NS1_11comp_targetILNS1_3genE5ELNS1_11target_archE942ELNS1_3gpuE9ELNS1_3repE0EEENS1_30default_config_static_selectorELNS0_4arch9wavefront6targetE1EEEvSL_
	.p2align	8
	.type	_ZN7rocprim17ROCPRIM_400000_NS6detail17trampoline_kernelINS0_14default_configENS1_37merge_sort_block_sort_config_selectorI14custom_numericNS0_10empty_typeEEEZNS1_21merge_sort_block_sortIS3_N6thrust23THRUST_200600_302600_NS6detail15normal_iteratorINSA_10device_ptrIS5_EEEESF_PS6_SG_NSA_4lessIS5_EEEE10hipError_tT0_T1_T2_T3_mRjT4_P12ihipStream_tbNS1_7vsmem_tEEUlT_E_NS1_11comp_targetILNS1_3genE5ELNS1_11target_archE942ELNS1_3gpuE9ELNS1_3repE0EEENS1_30default_config_static_selectorELNS0_4arch9wavefront6targetE1EEEvSL_,@function
_ZN7rocprim17ROCPRIM_400000_NS6detail17trampoline_kernelINS0_14default_configENS1_37merge_sort_block_sort_config_selectorI14custom_numericNS0_10empty_typeEEEZNS1_21merge_sort_block_sortIS3_N6thrust23THRUST_200600_302600_NS6detail15normal_iteratorINSA_10device_ptrIS5_EEEESF_PS6_SG_NSA_4lessIS5_EEEE10hipError_tT0_T1_T2_T3_mRjT4_P12ihipStream_tbNS1_7vsmem_tEEUlT_E_NS1_11comp_targetILNS1_3genE5ELNS1_11target_archE942ELNS1_3gpuE9ELNS1_3repE0EEENS1_30default_config_static_selectorELNS0_4arch9wavefront6targetE1EEEvSL_: ; @_ZN7rocprim17ROCPRIM_400000_NS6detail17trampoline_kernelINS0_14default_configENS1_37merge_sort_block_sort_config_selectorI14custom_numericNS0_10empty_typeEEEZNS1_21merge_sort_block_sortIS3_N6thrust23THRUST_200600_302600_NS6detail15normal_iteratorINSA_10device_ptrIS5_EEEESF_PS6_SG_NSA_4lessIS5_EEEE10hipError_tT0_T1_T2_T3_mRjT4_P12ihipStream_tbNS1_7vsmem_tEEUlT_E_NS1_11comp_targetILNS1_3genE5ELNS1_11target_archE942ELNS1_3gpuE9ELNS1_3repE0EEENS1_30default_config_static_selectorELNS0_4arch9wavefront6targetE1EEEvSL_
; %bb.0:
	.section	.rodata,"a",@progbits
	.p2align	6, 0x0
	.amdhsa_kernel _ZN7rocprim17ROCPRIM_400000_NS6detail17trampoline_kernelINS0_14default_configENS1_37merge_sort_block_sort_config_selectorI14custom_numericNS0_10empty_typeEEEZNS1_21merge_sort_block_sortIS3_N6thrust23THRUST_200600_302600_NS6detail15normal_iteratorINSA_10device_ptrIS5_EEEESF_PS6_SG_NSA_4lessIS5_EEEE10hipError_tT0_T1_T2_T3_mRjT4_P12ihipStream_tbNS1_7vsmem_tEEUlT_E_NS1_11comp_targetILNS1_3genE5ELNS1_11target_archE942ELNS1_3gpuE9ELNS1_3repE0EEENS1_30default_config_static_selectorELNS0_4arch9wavefront6targetE1EEEvSL_
		.amdhsa_group_segment_fixed_size 0
		.amdhsa_private_segment_fixed_size 0
		.amdhsa_kernarg_size 64
		.amdhsa_user_sgpr_count 6
		.amdhsa_user_sgpr_private_segment_buffer 1
		.amdhsa_user_sgpr_dispatch_ptr 0
		.amdhsa_user_sgpr_queue_ptr 0
		.amdhsa_user_sgpr_kernarg_segment_ptr 1
		.amdhsa_user_sgpr_dispatch_id 0
		.amdhsa_user_sgpr_flat_scratch_init 0
		.amdhsa_user_sgpr_kernarg_preload_length 0
		.amdhsa_user_sgpr_kernarg_preload_offset 0
		.amdhsa_user_sgpr_private_segment_size 0
		.amdhsa_uses_dynamic_stack 0
		.amdhsa_system_sgpr_private_segment_wavefront_offset 0
		.amdhsa_system_sgpr_workgroup_id_x 1
		.amdhsa_system_sgpr_workgroup_id_y 0
		.amdhsa_system_sgpr_workgroup_id_z 0
		.amdhsa_system_sgpr_workgroup_info 0
		.amdhsa_system_vgpr_workitem_id 0
		.amdhsa_next_free_vgpr 1
		.amdhsa_next_free_sgpr 0
		.amdhsa_accum_offset 4
		.amdhsa_reserve_vcc 0
		.amdhsa_reserve_flat_scratch 0
		.amdhsa_float_round_mode_32 0
		.amdhsa_float_round_mode_16_64 0
		.amdhsa_float_denorm_mode_32 3
		.amdhsa_float_denorm_mode_16_64 3
		.amdhsa_dx10_clamp 1
		.amdhsa_ieee_mode 1
		.amdhsa_fp16_overflow 0
		.amdhsa_tg_split 0
		.amdhsa_exception_fp_ieee_invalid_op 0
		.amdhsa_exception_fp_denorm_src 0
		.amdhsa_exception_fp_ieee_div_zero 0
		.amdhsa_exception_fp_ieee_overflow 0
		.amdhsa_exception_fp_ieee_underflow 0
		.amdhsa_exception_fp_ieee_inexact 0
		.amdhsa_exception_int_div_zero 0
	.end_amdhsa_kernel
	.section	.text._ZN7rocprim17ROCPRIM_400000_NS6detail17trampoline_kernelINS0_14default_configENS1_37merge_sort_block_sort_config_selectorI14custom_numericNS0_10empty_typeEEEZNS1_21merge_sort_block_sortIS3_N6thrust23THRUST_200600_302600_NS6detail15normal_iteratorINSA_10device_ptrIS5_EEEESF_PS6_SG_NSA_4lessIS5_EEEE10hipError_tT0_T1_T2_T3_mRjT4_P12ihipStream_tbNS1_7vsmem_tEEUlT_E_NS1_11comp_targetILNS1_3genE5ELNS1_11target_archE942ELNS1_3gpuE9ELNS1_3repE0EEENS1_30default_config_static_selectorELNS0_4arch9wavefront6targetE1EEEvSL_,"axG",@progbits,_ZN7rocprim17ROCPRIM_400000_NS6detail17trampoline_kernelINS0_14default_configENS1_37merge_sort_block_sort_config_selectorI14custom_numericNS0_10empty_typeEEEZNS1_21merge_sort_block_sortIS3_N6thrust23THRUST_200600_302600_NS6detail15normal_iteratorINSA_10device_ptrIS5_EEEESF_PS6_SG_NSA_4lessIS5_EEEE10hipError_tT0_T1_T2_T3_mRjT4_P12ihipStream_tbNS1_7vsmem_tEEUlT_E_NS1_11comp_targetILNS1_3genE5ELNS1_11target_archE942ELNS1_3gpuE9ELNS1_3repE0EEENS1_30default_config_static_selectorELNS0_4arch9wavefront6targetE1EEEvSL_,comdat
.Lfunc_end1406:
	.size	_ZN7rocprim17ROCPRIM_400000_NS6detail17trampoline_kernelINS0_14default_configENS1_37merge_sort_block_sort_config_selectorI14custom_numericNS0_10empty_typeEEEZNS1_21merge_sort_block_sortIS3_N6thrust23THRUST_200600_302600_NS6detail15normal_iteratorINSA_10device_ptrIS5_EEEESF_PS6_SG_NSA_4lessIS5_EEEE10hipError_tT0_T1_T2_T3_mRjT4_P12ihipStream_tbNS1_7vsmem_tEEUlT_E_NS1_11comp_targetILNS1_3genE5ELNS1_11target_archE942ELNS1_3gpuE9ELNS1_3repE0EEENS1_30default_config_static_selectorELNS0_4arch9wavefront6targetE1EEEvSL_, .Lfunc_end1406-_ZN7rocprim17ROCPRIM_400000_NS6detail17trampoline_kernelINS0_14default_configENS1_37merge_sort_block_sort_config_selectorI14custom_numericNS0_10empty_typeEEEZNS1_21merge_sort_block_sortIS3_N6thrust23THRUST_200600_302600_NS6detail15normal_iteratorINSA_10device_ptrIS5_EEEESF_PS6_SG_NSA_4lessIS5_EEEE10hipError_tT0_T1_T2_T3_mRjT4_P12ihipStream_tbNS1_7vsmem_tEEUlT_E_NS1_11comp_targetILNS1_3genE5ELNS1_11target_archE942ELNS1_3gpuE9ELNS1_3repE0EEENS1_30default_config_static_selectorELNS0_4arch9wavefront6targetE1EEEvSL_
                                        ; -- End function
	.section	.AMDGPU.csdata,"",@progbits
; Kernel info:
; codeLenInByte = 0
; NumSgprs: 4
; NumVgprs: 0
; NumAgprs: 0
; TotalNumVgprs: 0
; ScratchSize: 0
; MemoryBound: 0
; FloatMode: 240
; IeeeMode: 1
; LDSByteSize: 0 bytes/workgroup (compile time only)
; SGPRBlocks: 0
; VGPRBlocks: 0
; NumSGPRsForWavesPerEU: 4
; NumVGPRsForWavesPerEU: 1
; AccumOffset: 4
; Occupancy: 8
; WaveLimiterHint : 0
; COMPUTE_PGM_RSRC2:SCRATCH_EN: 0
; COMPUTE_PGM_RSRC2:USER_SGPR: 6
; COMPUTE_PGM_RSRC2:TRAP_HANDLER: 0
; COMPUTE_PGM_RSRC2:TGID_X_EN: 1
; COMPUTE_PGM_RSRC2:TGID_Y_EN: 0
; COMPUTE_PGM_RSRC2:TGID_Z_EN: 0
; COMPUTE_PGM_RSRC2:TIDIG_COMP_CNT: 0
; COMPUTE_PGM_RSRC3_GFX90A:ACCUM_OFFSET: 0
; COMPUTE_PGM_RSRC3_GFX90A:TG_SPLIT: 0
	.section	.text._ZN7rocprim17ROCPRIM_400000_NS6detail17trampoline_kernelINS0_14default_configENS1_37merge_sort_block_sort_config_selectorI14custom_numericNS0_10empty_typeEEEZNS1_21merge_sort_block_sortIS3_N6thrust23THRUST_200600_302600_NS6detail15normal_iteratorINSA_10device_ptrIS5_EEEESF_PS6_SG_NSA_4lessIS5_EEEE10hipError_tT0_T1_T2_T3_mRjT4_P12ihipStream_tbNS1_7vsmem_tEEUlT_E_NS1_11comp_targetILNS1_3genE4ELNS1_11target_archE910ELNS1_3gpuE8ELNS1_3repE0EEENS1_30default_config_static_selectorELNS0_4arch9wavefront6targetE1EEEvSL_,"axG",@progbits,_ZN7rocprim17ROCPRIM_400000_NS6detail17trampoline_kernelINS0_14default_configENS1_37merge_sort_block_sort_config_selectorI14custom_numericNS0_10empty_typeEEEZNS1_21merge_sort_block_sortIS3_N6thrust23THRUST_200600_302600_NS6detail15normal_iteratorINSA_10device_ptrIS5_EEEESF_PS6_SG_NSA_4lessIS5_EEEE10hipError_tT0_T1_T2_T3_mRjT4_P12ihipStream_tbNS1_7vsmem_tEEUlT_E_NS1_11comp_targetILNS1_3genE4ELNS1_11target_archE910ELNS1_3gpuE8ELNS1_3repE0EEENS1_30default_config_static_selectorELNS0_4arch9wavefront6targetE1EEEvSL_,comdat
	.protected	_ZN7rocprim17ROCPRIM_400000_NS6detail17trampoline_kernelINS0_14default_configENS1_37merge_sort_block_sort_config_selectorI14custom_numericNS0_10empty_typeEEEZNS1_21merge_sort_block_sortIS3_N6thrust23THRUST_200600_302600_NS6detail15normal_iteratorINSA_10device_ptrIS5_EEEESF_PS6_SG_NSA_4lessIS5_EEEE10hipError_tT0_T1_T2_T3_mRjT4_P12ihipStream_tbNS1_7vsmem_tEEUlT_E_NS1_11comp_targetILNS1_3genE4ELNS1_11target_archE910ELNS1_3gpuE8ELNS1_3repE0EEENS1_30default_config_static_selectorELNS0_4arch9wavefront6targetE1EEEvSL_ ; -- Begin function _ZN7rocprim17ROCPRIM_400000_NS6detail17trampoline_kernelINS0_14default_configENS1_37merge_sort_block_sort_config_selectorI14custom_numericNS0_10empty_typeEEEZNS1_21merge_sort_block_sortIS3_N6thrust23THRUST_200600_302600_NS6detail15normal_iteratorINSA_10device_ptrIS5_EEEESF_PS6_SG_NSA_4lessIS5_EEEE10hipError_tT0_T1_T2_T3_mRjT4_P12ihipStream_tbNS1_7vsmem_tEEUlT_E_NS1_11comp_targetILNS1_3genE4ELNS1_11target_archE910ELNS1_3gpuE8ELNS1_3repE0EEENS1_30default_config_static_selectorELNS0_4arch9wavefront6targetE1EEEvSL_
	.globl	_ZN7rocprim17ROCPRIM_400000_NS6detail17trampoline_kernelINS0_14default_configENS1_37merge_sort_block_sort_config_selectorI14custom_numericNS0_10empty_typeEEEZNS1_21merge_sort_block_sortIS3_N6thrust23THRUST_200600_302600_NS6detail15normal_iteratorINSA_10device_ptrIS5_EEEESF_PS6_SG_NSA_4lessIS5_EEEE10hipError_tT0_T1_T2_T3_mRjT4_P12ihipStream_tbNS1_7vsmem_tEEUlT_E_NS1_11comp_targetILNS1_3genE4ELNS1_11target_archE910ELNS1_3gpuE8ELNS1_3repE0EEENS1_30default_config_static_selectorELNS0_4arch9wavefront6targetE1EEEvSL_
	.p2align	8
	.type	_ZN7rocprim17ROCPRIM_400000_NS6detail17trampoline_kernelINS0_14default_configENS1_37merge_sort_block_sort_config_selectorI14custom_numericNS0_10empty_typeEEEZNS1_21merge_sort_block_sortIS3_N6thrust23THRUST_200600_302600_NS6detail15normal_iteratorINSA_10device_ptrIS5_EEEESF_PS6_SG_NSA_4lessIS5_EEEE10hipError_tT0_T1_T2_T3_mRjT4_P12ihipStream_tbNS1_7vsmem_tEEUlT_E_NS1_11comp_targetILNS1_3genE4ELNS1_11target_archE910ELNS1_3gpuE8ELNS1_3repE0EEENS1_30default_config_static_selectorELNS0_4arch9wavefront6targetE1EEEvSL_,@function
_ZN7rocprim17ROCPRIM_400000_NS6detail17trampoline_kernelINS0_14default_configENS1_37merge_sort_block_sort_config_selectorI14custom_numericNS0_10empty_typeEEEZNS1_21merge_sort_block_sortIS3_N6thrust23THRUST_200600_302600_NS6detail15normal_iteratorINSA_10device_ptrIS5_EEEESF_PS6_SG_NSA_4lessIS5_EEEE10hipError_tT0_T1_T2_T3_mRjT4_P12ihipStream_tbNS1_7vsmem_tEEUlT_E_NS1_11comp_targetILNS1_3genE4ELNS1_11target_archE910ELNS1_3gpuE8ELNS1_3repE0EEENS1_30default_config_static_selectorELNS0_4arch9wavefront6targetE1EEEvSL_: ; @_ZN7rocprim17ROCPRIM_400000_NS6detail17trampoline_kernelINS0_14default_configENS1_37merge_sort_block_sort_config_selectorI14custom_numericNS0_10empty_typeEEEZNS1_21merge_sort_block_sortIS3_N6thrust23THRUST_200600_302600_NS6detail15normal_iteratorINSA_10device_ptrIS5_EEEESF_PS6_SG_NSA_4lessIS5_EEEE10hipError_tT0_T1_T2_T3_mRjT4_P12ihipStream_tbNS1_7vsmem_tEEUlT_E_NS1_11comp_targetILNS1_3genE4ELNS1_11target_archE910ELNS1_3gpuE8ELNS1_3repE0EEENS1_30default_config_static_selectorELNS0_4arch9wavefront6targetE1EEEvSL_
; %bb.0:
	s_load_dwordx2 s[12:13], s[4:5], 0x40
	s_load_dword s0, s[4:5], 0x0
	s_add_u32 s10, s4, 64
	s_addc_u32 s11, s5, 0
	s_waitcnt lgkmcnt(0)
	s_mul_i32 s1, s13, s8
	s_add_i32 s1, s1, s7
	s_mul_i32 s1, s1, s12
	s_add_i32 s18, s1, s6
	s_cmp_ge_u32 s18, s0
	s_cbranch_scc1 .LBB1407_154
; %bb.1:
	s_load_dwordx2 s[20:21], s[4:5], 0x8
	s_load_dwordx4 s[0:3], s[4:5], 0x18
	s_mul_i32 s8, s18, 0x5000
	s_mul_hi_u32 s7, s18, 0x5000
	s_mov_b32 s19, 0
	s_waitcnt lgkmcnt(0)
	s_lshr_b64 s[4:5], s[20:21], 10
	s_add_u32 s16, s0, s8
	s_addc_u32 s17, s1, s7
	s_add_u32 s14, s2, s8
	s_addc_u32 s15, s3, s7
	v_and_b32_e32 v13, 0x3ff, v0
	s_cmp_lg_u64 s[4:5], s[18:19]
	v_bfe_u32 v19, v0, 10, 10
	v_bfe_u32 v23, v0, 20, 10
	v_lshrrev_b32_e32 v26, 5, v13
	v_mul_u32_u24_e32 v25, 20, v13
	v_lshlrev_b32_e32 v15, 2, v13
	v_lshrrev_b32_e32 v24, 3, v13
	s_cbranch_scc0 .LBB1407_85
; %bb.2:
	v_mad_u64_u32 v[0:1], s[0:1], v13, 20, s[16:17]
	v_add_co_u32_e32 v2, vcc, 0x1000, v0
	v_addc_co_u32_e32 v3, vcc, 0, v1, vcc
	v_add_co_u32_e32 v4, vcc, 0x2000, v0
	flat_load_dword v6, v[0:1]
	v_addc_co_u32_e32 v5, vcc, 0, v1, vcc
	flat_load_dword v7, v[2:3] offset:1024
	flat_load_dword v8, v[4:5] offset:2048
	v_add_co_u32_e32 v0, vcc, 0x3000, v0
	v_addc_co_u32_e32 v1, vcc, 0, v1, vcc
	flat_load_dword v0, v[0:1] offset:3072
	v_add_u32_e32 v2, 0x200, v13
	v_add_u32_e32 v3, 0x300, v13
	;; [unrolled: 1-line block ×3, first 2 shown]
	v_lshrrev_b32_e32 v2, 5, v2
	v_lshrrev_b32_e32 v3, 5, v3
	v_add_u32_e32 v4, v24, v15
	v_lshrrev_b32_e32 v1, 5, v1
	v_mad_u32_u24 v29, v2, 20, v25
	v_mad_u32_u24 v30, v3, 20, v25
	;; [unrolled: 1-line block ×3, first 2 shown]
	v_mul_u32_u24_e32 v31, 20, v4
	v_mad_u32_u24 v28, v1, 20, v25
	v_add_u32_e32 v4, 0x2808, v29
	v_add_u32_e32 v5, 0x3c00, v30
	;; [unrolled: 1-line block ×6, first 2 shown]
	s_movk_i32 s2, 0x400
	s_waitcnt vmcnt(0) lgkmcnt(0)
	ds_write2_b32 v27, v6, v6 offset1:1
	ds_write2_b32 v27, v6, v6 offset0:2 offset1:3
	ds_write_b32 v27, v6 offset:16
	ds_write2_b32 v1, v7, v7 offset1:1
	ds_write2_b32 v2, v7, v7 offset1:1
	ds_write_b32 v28, v7 offset:5136
	ds_write2_b32 v3, v8, v8 offset1:1
	ds_write2_b32 v4, v8, v8 offset1:1
	;; [unrolled: 3-line block ×3, first 2 shown]
	ds_write_b32 v30, v0 offset:15376
	s_waitcnt lgkmcnt(0)
	s_barrier
	ds_read2_b32 v[6:7], v31 offset1:5
	ds_read2_b32 v[4:5], v31 offset0:10 offset1:15
	s_waitcnt lgkmcnt(0)
	s_barrier
	s_load_dword s0, s[10:11], 0xc
	v_mov_b32_e32 v0, 0
	v_pk_mov_b32 v[20:21], v[4:5], v[4:5] op_sel:[0,1]
	v_mov_b32_e32 v10, v6
	v_mov_b32_e32 v14, v7
	s_waitcnt lgkmcnt(0)
	s_lshr_b32 s3, s0, 16
	s_cmp_lt_u32 s6, s12
	s_cselect_b32 s0, 12, 18
	s_add_u32 s0, s10, s0
	s_addc_u32 s1, s11, 0
	global_load_ushort v2, v0, s[0:1]
	v_pk_mov_b32 v[0:1], v[6:7], v[6:7] op_sel:[0,1]
	v_mad_u32_u24 v1, v23, s3, v19
	v_mov_b32_e32 v16, v4
	v_mov_b32_e32 v18, v5
	s_waitcnt vmcnt(0)
	v_mul_lo_u32 v1, v1, v2
	v_add_lshl_u32 v2, v1, v13, 2
	v_cmp_gt_u32_e32 vcc, s2, v2
	s_and_saveexec_b64 s[0:1], vcc
	s_cbranch_execz .LBB1407_4
; %bb.3:
	v_max_i32_e32 v0, v7, v6
	v_min_i32_e32 v1, v7, v6
	v_max_i32_e32 v3, v5, v4
	v_min_i32_e32 v4, v5, v4
	v_min_i32_e32 v5, v4, v0
	v_cmp_lt_i32_e32 vcc, v4, v1
	v_max_i32_e32 v7, v4, v0
	v_cndmask_b32_e32 v8, v5, v1, vcc
	v_cndmask_b32_e32 v6, v1, v5, vcc
	v_cmp_gt_i32_e32 vcc, v0, v3
	v_cndmask_b32_e32 v0, v7, v3, vcc
	v_cndmask_b32_e32 v5, v3, v7, vcc
	v_max_i32_e32 v4, v0, v8
	v_min_i32_e32 v7, v0, v8
	v_pk_mov_b32 v[0:1], v[6:7], v[6:7] op_sel:[0,1]
	v_pk_mov_b32 v[20:21], v[4:5], v[4:5] op_sel:[0,1]
	v_mov_b32_e32 v10, v6
	v_mov_b32_e32 v14, v7
	;; [unrolled: 1-line block ×4, first 2 shown]
.LBB1407_4:
	s_or_b64 exec, exec, s[0:1]
	v_mbcnt_lo_u32_b32 v1, -1, 0
	v_mbcnt_hi_u32_b32 v1, -1, v1
	v_and_b32_e32 v2, 0xffffff00, v2
	v_mul_lo_u32 v22, v2, 20
	v_lshlrev_b32_e32 v33, 2, v1
	s_movk_i32 s0, 0x50
	v_sub_u32_e64 v32, s2, v2 clamp
	v_mad_u32_u24 v34, v1, s0, v22
	v_mov_b32_e32 v8, v7
	v_mov_b32_e32 v9, v7
	;; [unrolled: 1-line block ×4, first 2 shown]
	v_or_b32_e32 v1, 4, v33
	ds_write_b128 v34, v[6:9] offset:16
	v_mov_b32_e32 v8, v4
	v_mov_b32_e32 v9, v4
	ds_write_b128 v34, v[2:5] offset:48
	v_mov_b32_e32 v2, v5
	v_mov_b32_e32 v3, v5
	;; [unrolled: 1-line block ×3, first 2 shown]
	v_min_u32_e32 v1, v32, v1
	v_mov_b32_e32 v36, v6
	v_mov_b32_e32 v37, v6
	;; [unrolled: 1-line block ×5, first 2 shown]
	ds_write_b128 v34, v[2:5] offset:64
	v_add_u32_e32 v2, 4, v1
	ds_write_b128 v34, v[6:9] offset:32
	v_and_b32_e32 v6, 0x1f8, v33
	v_min_u32_e32 v3, v32, v2
	v_and_b32_e32 v2, 4, v33
	v_min_u32_e32 v7, v32, v2
	v_sub_u32_e32 v4, v1, v6
	v_sub_u32_e32 v5, v3, v1
	v_sub_u32_e64 v5, v7, v5 clamp
	v_min_u32_e32 v8, v7, v4
	v_mad_u32_u24 v2, v6, 20, v22
	v_cmp_lt_u32_e32 vcc, v5, v8
	ds_write_b128 v34, v[36:39]
	; wave barrier
	s_and_saveexec_b64 s[0:1], vcc
	s_cbranch_execz .LBB1407_8
; %bb.5:
	v_mul_u32_u24_e32 v4, 20, v1
	v_mul_u32_u24_e32 v9, 20, v7
	v_add3_u32 v4, v22, v4, v9
	s_mov_b64 s[2:3], 0
.LBB1407_6:                             ; =>This Inner Loop Header: Depth=1
	v_add_u32_e32 v9, v8, v5
	v_lshrrev_b32_e32 v9, 1, v9
	v_not_b32_e32 v11, v9
	v_mad_u64_u32 v[36:37], s[4:5], v9, 20, v[2:3]
	v_mad_u64_u32 v[38:39], s[4:5], v11, 20, v[4:5]
	ds_read_b32 v11, v36
	ds_read_b32 v12, v38
	v_add_u32_e32 v17, 1, v9
	s_waitcnt lgkmcnt(0)
	v_cmp_lt_i32_e32 vcc, v12, v11
	v_cndmask_b32_e32 v8, v8, v9, vcc
	v_cndmask_b32_e32 v5, v17, v5, vcc
	v_cmp_ge_u32_e32 vcc, v5, v8
	s_or_b64 s[2:3], vcc, s[2:3]
	s_andn2_b64 exec, exec, s[2:3]
	s_cbranch_execnz .LBB1407_6
; %bb.7:
	s_or_b64 exec, exec, s[2:3]
.LBB1407_8:
	s_or_b64 exec, exec, s[0:1]
	v_add_u32_e32 v4, v1, v7
	v_add_u32_e32 v6, v5, v6
	v_sub_u32_e32 v7, v4, v5
	v_cmp_le_u32_e32 vcc, v6, v1
	v_cmp_le_u32_e64 s[0:1], v7, v3
	s_or_b64 s[0:1], vcc, s[0:1]
	s_and_saveexec_b64 s[22:23], s[0:1]
	s_cbranch_execz .LBB1407_14
; %bb.9:
	v_cmp_lt_u32_e32 vcc, v6, v1
	v_mov_b32_e32 v0, 0
	v_mov_b32_e32 v4, 0
	s_and_saveexec_b64 s[0:1], vcc
	s_cbranch_execz .LBB1407_11
; %bb.10:
	v_mad_u64_u32 v[4:5], s[2:3], v5, 20, v[2:3]
	ds_read_b32 v4, v4
.LBB1407_11:
	s_or_b64 exec, exec, s[0:1]
	v_cmp_ge_u32_e64 s[0:1], v7, v3
	v_cmp_lt_u32_e64 s[2:3], v7, v3
	s_and_saveexec_b64 s[4:5], s[2:3]
	s_cbranch_execz .LBB1407_13
; %bb.12:
	v_mad_u64_u32 v[8:9], s[2:3], v7, 20, v[22:23]
	ds_read_b32 v0, v8
.LBB1407_13:
	s_or_b64 exec, exec, s[4:5]
	s_waitcnt lgkmcnt(0)
	v_cmp_ge_i32_e64 s[2:3], v0, v4
	s_and_b64 s[2:3], vcc, s[2:3]
	s_or_b64 vcc, s[0:1], s[2:3]
	v_cndmask_b32_e32 v2, v7, v6, vcc
	v_cndmask_b32_e32 v5, v3, v1, vcc
	v_add_u32_e32 v2, 1, v2
	v_add_u32_e32 v5, -1, v5
	v_min_u32_e32 v5, v2, v5
	v_mad_u64_u32 v[8:9], s[0:1], v5, 20, v[22:23]
	ds_read_b32 v5, v8
	v_cndmask_b32_e32 v9, v2, v7, vcc
	v_cndmask_b32_e32 v2, v6, v2, vcc
	v_cmp_lt_u32_e64 s[2:3], v2, v1
	v_cmp_ge_u32_e64 s[0:1], v9, v3
	s_waitcnt lgkmcnt(0)
	v_cndmask_b32_e32 v8, v5, v0, vcc
	v_cndmask_b32_e32 v5, v4, v5, vcc
	v_cmp_ge_i32_e64 s[4:5], v8, v5
	s_and_b64 s[2:3], s[2:3], s[4:5]
	s_or_b64 s[0:1], s[0:1], s[2:3]
	v_cndmask_b32_e64 v6, v9, v2, s[0:1]
	v_cndmask_b32_e64 v7, v3, v1, s[0:1]
	v_add_u32_e32 v10, 1, v6
	v_add_u32_e32 v6, -1, v7
	v_min_u32_e32 v6, v10, v6
	v_mad_u64_u32 v[6:7], s[2:3], v6, 20, v[22:23]
	ds_read_b32 v6, v6
	v_cndmask_b32_e64 v2, v2, v10, s[0:1]
	v_cndmask_b32_e64 v9, v10, v9, s[0:1]
	v_cmp_lt_u32_e64 s[4:5], v2, v1
	v_cmp_ge_u32_e64 s[2:3], v9, v3
	s_waitcnt lgkmcnt(0)
	v_cndmask_b32_e64 v11, v6, v8, s[0:1]
	v_cndmask_b32_e64 v12, v5, v6, s[0:1]
	v_cmp_ge_i32_e64 s[8:9], v11, v12
	s_and_b64 s[4:5], s[4:5], s[8:9]
	s_or_b64 s[2:3], s[2:3], s[4:5]
	v_cndmask_b32_e64 v6, v9, v2, s[2:3]
	v_cndmask_b32_e64 v7, v3, v1, s[2:3]
	v_add_u32_e32 v17, 1, v6
	v_add_u32_e32 v6, -1, v7
	v_min_u32_e32 v6, v17, v6
	v_mad_u64_u32 v[6:7], s[4:5], v6, 20, v[22:23]
	ds_read_b32 v6, v6
	v_cndmask_b32_e32 v10, v0, v4, vcc
	v_cndmask_b32_e64 v14, v8, v5, s[0:1]
	v_cndmask_b32_e64 v2, v2, v17, s[2:3]
	;; [unrolled: 1-line block ×3, first 2 shown]
	s_waitcnt lgkmcnt(0)
	v_cndmask_b32_e64 v0, v12, v6, s[2:3]
	v_cndmask_b32_e64 v5, v6, v11, s[2:3]
	v_min_i32_e32 v6, v5, v0
	v_cmp_lt_u32_e32 vcc, v2, v1
	v_cndmask_b32_e64 v16, v11, v12, s[2:3]
	v_cndmask_b32_e32 v1, v5, v6, vcc
	v_cmp_lt_u32_e32 vcc, v4, v3
	v_cndmask_b32_e32 v18, v0, v1, vcc
	v_pk_mov_b32 v[0:1], v[10:11], v[10:11] op_sel:[0,1]
	v_pk_mov_b32 v[20:21], v[16:17], v[16:17] op_sel:[0,1]
.LBB1407_14:
	s_or_b64 exec, exec, s[22:23]
	v_mov_b32_e32 v1, v0
	v_mov_b32_e32 v2, v0
	;; [unrolled: 1-line block ×3, first 2 shown]
	v_and_b32_e32 v6, 0x1f0, v33
	; wave barrier
	ds_write_b128 v34, v[0:3]
	v_or_b32_e32 v1, 8, v6
	v_mov_b32_e32 v11, v14
	v_mov_b32_e32 v12, v14
	;; [unrolled: 1-line block ×5, first 2 shown]
	v_min_u32_e32 v1, v32, v1
	ds_write_b96 v34, v[10:12] offset:16
	ds_write2_b32 v34, v14, v14 offset0:7 offset1:8
	ds_write2_b64 v34, v[20:21], v[2:3] offset0:5 offset1:6
	ds_write2_b32 v34, v14, v16 offset0:9 offset1:14
	ds_write2_b32 v34, v18, v18 offset0:15 offset1:16
	;; [unrolled: 1-line block ×3, first 2 shown]
	ds_write_b32 v34, v18 offset:76
	v_add_u32_e32 v2, 8, v1
	v_min_u32_e32 v3, v32, v2
	v_and_b32_e32 v2, 12, v33
	v_min_u32_e32 v7, v32, v2
	v_sub_u32_e32 v4, v1, v6
	v_sub_u32_e32 v5, v3, v1
	v_sub_u32_e64 v5, v7, v5 clamp
	v_min_u32_e32 v8, v7, v4
	v_mad_u32_u24 v2, v6, 20, v22
	v_cmp_lt_u32_e32 vcc, v5, v8
	; wave barrier
	s_and_saveexec_b64 s[0:1], vcc
	s_cbranch_execz .LBB1407_18
; %bb.15:
	v_mul_u32_u24_e32 v4, 20, v1
	v_mul_u32_u24_e32 v9, 20, v7
	v_add3_u32 v4, v22, v4, v9
	s_mov_b64 s[2:3], 0
.LBB1407_16:                            ; =>This Inner Loop Header: Depth=1
	v_add_u32_e32 v9, v8, v5
	v_lshrrev_b32_e32 v9, 1, v9
	v_not_b32_e32 v11, v9
	v_mad_u64_u32 v[36:37], s[4:5], v9, 20, v[2:3]
	v_mad_u64_u32 v[38:39], s[4:5], v11, 20, v[4:5]
	ds_read_b32 v11, v36
	ds_read_b32 v12, v38
	v_add_u32_e32 v17, 1, v9
	s_waitcnt lgkmcnt(0)
	v_cmp_lt_i32_e32 vcc, v12, v11
	v_cndmask_b32_e32 v8, v8, v9, vcc
	v_cndmask_b32_e32 v5, v17, v5, vcc
	v_cmp_ge_u32_e32 vcc, v5, v8
	s_or_b64 s[2:3], vcc, s[2:3]
	s_andn2_b64 exec, exec, s[2:3]
	s_cbranch_execnz .LBB1407_16
; %bb.17:
	s_or_b64 exec, exec, s[2:3]
.LBB1407_18:
	s_or_b64 exec, exec, s[0:1]
	v_add_u32_e32 v4, v1, v7
	v_add_u32_e32 v6, v5, v6
	v_sub_u32_e32 v7, v4, v5
	v_cmp_le_u32_e32 vcc, v6, v1
	v_cmp_le_u32_e64 s[0:1], v7, v3
	s_or_b64 s[0:1], vcc, s[0:1]
	s_and_saveexec_b64 s[22:23], s[0:1]
	s_cbranch_execz .LBB1407_24
; %bb.19:
	v_cmp_lt_u32_e32 vcc, v6, v1
	v_mov_b32_e32 v0, 0
	v_mov_b32_e32 v4, 0
	s_and_saveexec_b64 s[0:1], vcc
	s_cbranch_execz .LBB1407_21
; %bb.20:
	v_mad_u64_u32 v[4:5], s[2:3], v5, 20, v[2:3]
	ds_read_b32 v4, v4
.LBB1407_21:
	s_or_b64 exec, exec, s[0:1]
	v_cmp_ge_u32_e64 s[0:1], v7, v3
	v_cmp_lt_u32_e64 s[2:3], v7, v3
	s_and_saveexec_b64 s[4:5], s[2:3]
	s_cbranch_execz .LBB1407_23
; %bb.22:
	v_mad_u64_u32 v[8:9], s[2:3], v7, 20, v[22:23]
	ds_read_b32 v0, v8
.LBB1407_23:
	s_or_b64 exec, exec, s[4:5]
	s_waitcnt lgkmcnt(0)
	v_cmp_ge_i32_e64 s[2:3], v0, v4
	s_and_b64 s[2:3], vcc, s[2:3]
	s_or_b64 vcc, s[0:1], s[2:3]
	v_cndmask_b32_e32 v2, v7, v6, vcc
	v_cndmask_b32_e32 v5, v3, v1, vcc
	v_add_u32_e32 v2, 1, v2
	v_add_u32_e32 v5, -1, v5
	v_min_u32_e32 v5, v2, v5
	v_mad_u64_u32 v[8:9], s[0:1], v5, 20, v[22:23]
	ds_read_b32 v5, v8
	v_cndmask_b32_e32 v9, v2, v7, vcc
	v_cndmask_b32_e32 v2, v6, v2, vcc
	v_cmp_lt_u32_e64 s[2:3], v2, v1
	v_cmp_ge_u32_e64 s[0:1], v9, v3
	s_waitcnt lgkmcnt(0)
	v_cndmask_b32_e32 v8, v5, v0, vcc
	v_cndmask_b32_e32 v5, v4, v5, vcc
	v_cmp_ge_i32_e64 s[4:5], v8, v5
	s_and_b64 s[2:3], s[2:3], s[4:5]
	s_or_b64 s[0:1], s[0:1], s[2:3]
	v_cndmask_b32_e64 v6, v9, v2, s[0:1]
	v_cndmask_b32_e64 v7, v3, v1, s[0:1]
	v_add_u32_e32 v10, 1, v6
	v_add_u32_e32 v6, -1, v7
	v_min_u32_e32 v6, v10, v6
	v_mad_u64_u32 v[6:7], s[2:3], v6, 20, v[22:23]
	ds_read_b32 v6, v6
	v_cndmask_b32_e64 v2, v2, v10, s[0:1]
	v_cndmask_b32_e64 v9, v10, v9, s[0:1]
	v_cmp_lt_u32_e64 s[4:5], v2, v1
	v_cmp_ge_u32_e64 s[2:3], v9, v3
	s_waitcnt lgkmcnt(0)
	v_cndmask_b32_e64 v11, v6, v8, s[0:1]
	v_cndmask_b32_e64 v12, v5, v6, s[0:1]
	v_cmp_ge_i32_e64 s[8:9], v11, v12
	s_and_b64 s[4:5], s[4:5], s[8:9]
	s_or_b64 s[2:3], s[2:3], s[4:5]
	v_cndmask_b32_e64 v6, v9, v2, s[2:3]
	v_cndmask_b32_e64 v7, v3, v1, s[2:3]
	v_add_u32_e32 v17, 1, v6
	v_add_u32_e32 v6, -1, v7
	v_min_u32_e32 v6, v17, v6
	v_mad_u64_u32 v[6:7], s[4:5], v6, 20, v[22:23]
	ds_read_b32 v6, v6
	v_cndmask_b32_e32 v10, v0, v4, vcc
	v_cndmask_b32_e64 v14, v8, v5, s[0:1]
	v_cndmask_b32_e64 v2, v2, v17, s[2:3]
	;; [unrolled: 1-line block ×3, first 2 shown]
	s_waitcnt lgkmcnt(0)
	v_cndmask_b32_e64 v0, v12, v6, s[2:3]
	v_cndmask_b32_e64 v5, v6, v11, s[2:3]
	v_min_i32_e32 v6, v5, v0
	v_cmp_lt_u32_e32 vcc, v2, v1
	v_cndmask_b32_e64 v16, v11, v12, s[2:3]
	v_cndmask_b32_e32 v1, v5, v6, vcc
	v_cmp_lt_u32_e32 vcc, v4, v3
	v_cndmask_b32_e32 v18, v0, v1, vcc
	v_pk_mov_b32 v[0:1], v[10:11], v[10:11] op_sel:[0,1]
	v_pk_mov_b32 v[20:21], v[16:17], v[16:17] op_sel:[0,1]
.LBB1407_24:
	s_or_b64 exec, exec, s[22:23]
	v_mov_b32_e32 v1, v10
	v_mov_b32_e32 v2, v0
	;; [unrolled: 1-line block ×3, first 2 shown]
	v_and_b32_e32 v9, 0x1e0, v33
	; wave barrier
	ds_write_b128 v34, v[0:3]
	v_mov_b32_e32 v11, v14
	v_mov_b32_e32 v12, v14
	;; [unrolled: 1-line block ×5, first 2 shown]
	v_or_b32_e32 v1, 16, v9
	ds_write_b96 v34, v[10:12] offset:16
	ds_write2_b32 v34, v14, v14 offset0:7 offset1:8
	ds_write2_b64 v34, v[20:21], v[2:3] offset0:5 offset1:6
	ds_write2_b32 v34, v14, v16 offset0:9 offset1:14
	ds_write2_b32 v34, v18, v18 offset0:15 offset1:16
	;; [unrolled: 1-line block ×3, first 2 shown]
	ds_write_b32 v34, v18 offset:76
	v_min_u32_e32 v3, v32, v1
	v_add_u32_e32 v1, 16, v3
	v_min_u32_e32 v6, v32, v1
	v_and_b32_e32 v1, 28, v33
	v_min_u32_e32 v11, v32, v1
	v_sub_u32_e32 v1, v3, v9
	v_sub_u32_e32 v4, v6, v3
	v_sub_u32_e64 v8, v11, v4 clamp
	v_min_u32_e32 v1, v11, v1
	v_mov_b32_e32 v5, v14
	v_mov_b32_e32 v7, v18
	v_mad_u32_u24 v2, v9, 20, v22
	v_cmp_lt_u32_e32 vcc, v8, v1
	; wave barrier
	s_and_saveexec_b64 s[0:1], vcc
	s_cbranch_execz .LBB1407_28
; %bb.25:
	v_mul_u32_u24_e32 v4, 20, v3
	v_mul_u32_u24_e32 v12, 20, v11
	v_add3_u32 v4, v22, v4, v12
	s_mov_b64 s[2:3], 0
.LBB1407_26:                            ; =>This Inner Loop Header: Depth=1
	v_add_u32_e32 v12, v1, v8
	v_lshrrev_b32_e32 v12, 1, v12
	v_not_b32_e32 v17, v12
	v_mad_u64_u32 v[36:37], s[4:5], v12, 20, v[2:3]
	v_mad_u64_u32 v[38:39], s[4:5], v17, 20, v[4:5]
	ds_read_b32 v17, v36
	ds_read_b32 v21, v38
	v_add_u32_e32 v35, 1, v12
	s_waitcnt lgkmcnt(0)
	v_cmp_lt_i32_e32 vcc, v21, v17
	v_cndmask_b32_e32 v1, v1, v12, vcc
	v_cndmask_b32_e32 v8, v35, v8, vcc
	v_cmp_ge_u32_e32 vcc, v8, v1
	s_or_b64 s[2:3], vcc, s[2:3]
	s_andn2_b64 exec, exec, s[2:3]
	s_cbranch_execnz .LBB1407_26
; %bb.27:
	s_or_b64 exec, exec, s[2:3]
.LBB1407_28:
	s_or_b64 exec, exec, s[0:1]
	v_add_u32_e32 v4, v8, v9
	v_add_u32_e32 v9, v3, v11
	v_sub_u32_e32 v9, v9, v8
	v_cmp_le_u32_e32 vcc, v4, v3
	v_cmp_le_u32_e64 s[0:1], v9, v6
	v_mov_b32_e32 v1, v10
	v_mov_b32_e32 v21, v16
	s_or_b64 s[0:1], vcc, s[0:1]
	s_and_saveexec_b64 s[22:23], s[0:1]
	s_cbranch_execz .LBB1407_34
; %bb.29:
	v_cmp_lt_u32_e32 vcc, v4, v3
	v_mov_b32_e32 v0, 0
	v_mov_b32_e32 v1, 0
	s_and_saveexec_b64 s[0:1], vcc
	s_cbranch_execz .LBB1407_31
; %bb.30:
	v_mad_u64_u32 v[10:11], s[2:3], v8, 20, v[2:3]
	ds_read_b32 v1, v10
.LBB1407_31:
	s_or_b64 exec, exec, s[0:1]
	v_cmp_ge_u32_e64 s[0:1], v9, v6
	v_cmp_lt_u32_e64 s[2:3], v9, v6
	s_and_saveexec_b64 s[4:5], s[2:3]
	s_cbranch_execz .LBB1407_33
; %bb.32:
	v_mad_u64_u32 v[10:11], s[2:3], v9, 20, v[22:23]
	ds_read_b32 v0, v10
.LBB1407_33:
	s_or_b64 exec, exec, s[4:5]
	s_waitcnt lgkmcnt(0)
	v_cmp_ge_i32_e64 s[2:3], v0, v1
	s_and_b64 s[2:3], vcc, s[2:3]
	s_or_b64 vcc, s[0:1], s[2:3]
	v_cndmask_b32_e32 v2, v9, v4, vcc
	v_cndmask_b32_e32 v5, v6, v3, vcc
	v_add_u32_e32 v2, 1, v2
	v_add_u32_e32 v5, -1, v5
	v_min_u32_e32 v5, v2, v5
	v_mad_u64_u32 v[10:11], s[0:1], v5, 20, v[22:23]
	ds_read_b32 v5, v10
	v_cndmask_b32_e32 v9, v2, v9, vcc
	v_cndmask_b32_e32 v2, v4, v2, vcc
	v_cmp_lt_u32_e64 s[2:3], v2, v3
	v_cmp_ge_u32_e64 s[0:1], v9, v6
	s_waitcnt lgkmcnt(0)
	v_cndmask_b32_e32 v7, v5, v0, vcc
	v_cndmask_b32_e32 v8, v1, v5, vcc
	v_cmp_ge_i32_e64 s[4:5], v7, v8
	s_and_b64 s[2:3], s[2:3], s[4:5]
	s_or_b64 s[0:1], s[0:1], s[2:3]
	v_cndmask_b32_e64 v4, v9, v2, s[0:1]
	v_cndmask_b32_e64 v5, v6, v3, s[0:1]
	v_add_u32_e32 v10, 1, v4
	v_add_u32_e32 v4, -1, v5
	v_min_u32_e32 v4, v10, v4
	v_mad_u64_u32 v[4:5], s[2:3], v4, 20, v[22:23]
	ds_read_b32 v4, v4
	v_cndmask_b32_e64 v2, v2, v10, s[0:1]
	v_cndmask_b32_e64 v9, v10, v9, s[0:1]
	v_cmp_lt_u32_e64 s[4:5], v2, v3
	v_cmp_ge_u32_e64 s[2:3], v9, v6
	s_waitcnt lgkmcnt(0)
	v_cndmask_b32_e64 v11, v4, v7, s[0:1]
	v_cndmask_b32_e64 v12, v8, v4, s[0:1]
	v_cmp_ge_i32_e64 s[8:9], v11, v12
	s_and_b64 s[4:5], s[4:5], s[8:9]
	s_or_b64 s[2:3], s[2:3], s[4:5]
	v_cndmask_b32_e64 v4, v9, v2, s[2:3]
	v_cndmask_b32_e64 v5, v6, v3, s[2:3]
	v_add_u32_e32 v17, 1, v4
	v_add_u32_e32 v4, -1, v5
	v_min_u32_e32 v4, v17, v4
	v_mad_u64_u32 v[4:5], s[4:5], v4, 20, v[22:23]
	ds_read_b32 v4, v4
	v_cndmask_b32_e32 v10, v0, v1, vcc
	v_cndmask_b32_e64 v2, v2, v17, s[2:3]
	v_cndmask_b32_e64 v1, v17, v9, s[2:3]
	v_cmp_lt_u32_e32 vcc, v2, v3
	s_waitcnt lgkmcnt(0)
	v_cndmask_b32_e64 v0, v12, v4, s[2:3]
	v_cndmask_b32_e64 v4, v4, v11, s[2:3]
	v_min_i32_e32 v5, v4, v0
	v_cndmask_b32_e64 v16, v11, v12, s[2:3]
	v_cndmask_b32_e32 v2, v4, v5, vcc
	v_cmp_lt_u32_e32 vcc, v1, v6
	v_cndmask_b32_e64 v14, v7, v8, s[0:1]
	v_cndmask_b32_e32 v18, v0, v2, vcc
	v_mov_b32_e32 v11, v10
	v_mov_b32_e32 v17, v16
	;; [unrolled: 1-line block ×4, first 2 shown]
	v_pk_mov_b32 v[0:1], v[10:11], v[10:11] op_sel:[0,1]
	v_pk_mov_b32 v[20:21], v[16:17], v[16:17] op_sel:[0,1]
.LBB1407_34:
	s_or_b64 exec, exec, s[22:23]
	v_mov_b32_e32 v2, v0
	v_mov_b32_e32 v3, v1
	; wave barrier
	ds_write_b128 v34, v[0:3]
	v_mov_b32_e32 v11, v14
	v_mov_b32_e32 v12, v5
	;; [unrolled: 1-line block ×4, first 2 shown]
	v_and_b32_e32 v9, 0x1c0, v33
	ds_write_b96 v34, v[10:12] offset:16
	ds_write2_b32 v34, v14, v5 offset0:7 offset1:8
	ds_write2_b64 v34, v[20:21], v[2:3] offset0:5 offset1:6
	ds_write2_b32 v34, v14, v16 offset0:9 offset1:14
	ds_write2_b32 v34, v18, v7 offset0:15 offset1:16
	;; [unrolled: 1-line block ×3, first 2 shown]
	ds_write_b32 v34, v18 offset:76
	v_or_b32_e32 v2, 32, v9
	v_min_u32_e32 v3, v32, v2
	v_add_u32_e32 v2, 32, v3
	v_min_u32_e32 v6, v32, v2
	v_and_b32_e32 v2, 60, v33
	v_min_u32_e32 v11, v32, v2
	v_sub_u32_e32 v4, v3, v9
	v_sub_u32_e32 v8, v6, v3
	v_sub_u32_e64 v8, v11, v8 clamp
	v_min_u32_e32 v12, v11, v4
	v_mad_u32_u24 v2, v9, 20, v22
	v_cmp_lt_u32_e32 vcc, v8, v12
	; wave barrier
	s_and_saveexec_b64 s[0:1], vcc
	s_cbranch_execz .LBB1407_38
; %bb.35:
	v_mul_u32_u24_e32 v4, 20, v3
	v_mul_u32_u24_e32 v17, 20, v11
	v_add3_u32 v4, v22, v4, v17
	s_mov_b64 s[2:3], 0
.LBB1407_36:                            ; =>This Inner Loop Header: Depth=1
	v_add_u32_e32 v17, v12, v8
	v_lshrrev_b32_e32 v17, 1, v17
	v_not_b32_e32 v34, v17
	v_mad_u64_u32 v[32:33], s[4:5], v17, 20, v[2:3]
	v_mad_u64_u32 v[34:35], s[4:5], v34, 20, v[4:5]
	ds_read_b32 v32, v32
	ds_read_b32 v33, v34
	v_add_u32_e32 v34, 1, v17
	s_waitcnt lgkmcnt(0)
	v_cmp_lt_i32_e32 vcc, v33, v32
	v_cndmask_b32_e32 v12, v12, v17, vcc
	v_cndmask_b32_e32 v8, v34, v8, vcc
	v_cmp_ge_u32_e32 vcc, v8, v12
	s_or_b64 s[2:3], vcc, s[2:3]
	s_andn2_b64 exec, exec, s[2:3]
	s_cbranch_execnz .LBB1407_36
; %bb.37:
	s_or_b64 exec, exec, s[2:3]
.LBB1407_38:
	s_or_b64 exec, exec, s[0:1]
	v_add_u32_e32 v4, v8, v9
	v_add_u32_e32 v9, v3, v11
	v_sub_u32_e32 v9, v9, v8
	v_cmp_le_u32_e32 vcc, v4, v3
	v_cmp_le_u32_e64 s[0:1], v9, v6
	s_or_b64 s[0:1], vcc, s[0:1]
	s_and_saveexec_b64 s[22:23], s[0:1]
	s_cbranch_execz .LBB1407_44
; %bb.39:
	v_cmp_lt_u32_e32 vcc, v4, v3
	v_mov_b32_e32 v0, 0
	v_mov_b32_e32 v1, 0
	s_and_saveexec_b64 s[0:1], vcc
	s_cbranch_execz .LBB1407_41
; %bb.40:
	v_mad_u64_u32 v[10:11], s[2:3], v8, 20, v[2:3]
	ds_read_b32 v1, v10
.LBB1407_41:
	s_or_b64 exec, exec, s[0:1]
	v_cmp_ge_u32_e64 s[0:1], v9, v6
	v_cmp_lt_u32_e64 s[2:3], v9, v6
	s_and_saveexec_b64 s[4:5], s[2:3]
	s_cbranch_execz .LBB1407_43
; %bb.42:
	v_mad_u64_u32 v[10:11], s[2:3], v9, 20, v[22:23]
	ds_read_b32 v0, v10
.LBB1407_43:
	s_or_b64 exec, exec, s[4:5]
	s_waitcnt lgkmcnt(0)
	v_cmp_ge_i32_e64 s[2:3], v0, v1
	s_and_b64 s[2:3], vcc, s[2:3]
	s_or_b64 vcc, s[0:1], s[2:3]
	v_cndmask_b32_e32 v2, v9, v4, vcc
	v_cndmask_b32_e32 v5, v6, v3, vcc
	v_add_u32_e32 v2, 1, v2
	v_add_u32_e32 v5, -1, v5
	v_min_u32_e32 v5, v2, v5
	v_mad_u64_u32 v[10:11], s[0:1], v5, 20, v[22:23]
	ds_read_b32 v5, v10
	v_cndmask_b32_e32 v9, v2, v9, vcc
	v_cndmask_b32_e32 v2, v4, v2, vcc
	v_cmp_lt_u32_e64 s[2:3], v2, v3
	v_cmp_ge_u32_e64 s[0:1], v9, v6
	s_waitcnt lgkmcnt(0)
	v_cndmask_b32_e32 v7, v5, v0, vcc
	v_cndmask_b32_e32 v8, v1, v5, vcc
	v_cmp_ge_i32_e64 s[4:5], v7, v8
	s_and_b64 s[2:3], s[2:3], s[4:5]
	s_or_b64 s[0:1], s[0:1], s[2:3]
	v_cndmask_b32_e64 v4, v9, v2, s[0:1]
	v_cndmask_b32_e64 v5, v6, v3, s[0:1]
	v_add_u32_e32 v10, 1, v4
	v_add_u32_e32 v4, -1, v5
	v_min_u32_e32 v4, v10, v4
	v_mad_u64_u32 v[4:5], s[2:3], v4, 20, v[22:23]
	ds_read_b32 v4, v4
	v_cndmask_b32_e64 v2, v2, v10, s[0:1]
	v_cndmask_b32_e64 v9, v10, v9, s[0:1]
	v_cmp_lt_u32_e64 s[4:5], v2, v3
	v_cmp_ge_u32_e64 s[2:3], v9, v6
	s_waitcnt lgkmcnt(0)
	v_cndmask_b32_e64 v11, v4, v7, s[0:1]
	v_cndmask_b32_e64 v12, v8, v4, s[0:1]
	v_cmp_ge_i32_e64 s[8:9], v11, v12
	s_and_b64 s[4:5], s[4:5], s[8:9]
	s_or_b64 s[2:3], s[2:3], s[4:5]
	v_cndmask_b32_e64 v4, v9, v2, s[2:3]
	v_cndmask_b32_e64 v5, v6, v3, s[2:3]
	v_add_u32_e32 v17, 1, v4
	v_add_u32_e32 v4, -1, v5
	v_min_u32_e32 v4, v17, v4
	v_mad_u64_u32 v[4:5], s[4:5], v4, 20, v[22:23]
	ds_read_b32 v4, v4
	v_cndmask_b32_e32 v10, v0, v1, vcc
	v_cndmask_b32_e64 v2, v2, v17, s[2:3]
	v_cndmask_b32_e64 v1, v17, v9, s[2:3]
	v_cmp_lt_u32_e32 vcc, v2, v3
	s_waitcnt lgkmcnt(0)
	v_cndmask_b32_e64 v0, v12, v4, s[2:3]
	v_cndmask_b32_e64 v4, v4, v11, s[2:3]
	v_min_i32_e32 v5, v4, v0
	v_cndmask_b32_e64 v16, v11, v12, s[2:3]
	v_cndmask_b32_e32 v2, v4, v5, vcc
	v_cmp_lt_u32_e32 vcc, v1, v6
	v_cndmask_b32_e64 v14, v7, v8, s[0:1]
	v_cndmask_b32_e32 v18, v0, v2, vcc
	v_mov_b32_e32 v11, v10
	v_mov_b32_e32 v17, v16
	;; [unrolled: 1-line block ×4, first 2 shown]
	v_pk_mov_b32 v[0:1], v[10:11], v[10:11] op_sel:[0,1]
	v_pk_mov_b32 v[20:21], v[16:17], v[16:17] op_sel:[0,1]
.LBB1407_44:
	s_or_b64 exec, exec, s[22:23]
	v_mul_u32_u24_e32 v6, 20, v15
	v_mov_b32_e32 v2, v0
	v_mov_b32_e32 v3, v1
	;; [unrolled: 1-line block ×4, first 2 shown]
	; wave barrier
	s_waitcnt lgkmcnt(0)
	s_barrier
	ds_write_b128 v6, v[0:3]
	ds_write_b96 v6, v[10:12] offset:16
	ds_write2_b32 v6, v14, v5 offset0:7 offset1:8
	v_mov_b32_e32 v2, v20
	v_mov_b32_e32 v3, v21
	v_and_b32_e32 v11, 0xf80, v15
	ds_write2_b64 v6, v[20:21], v[2:3] offset0:5 offset1:6
	ds_write2_b32 v6, v14, v16 offset0:9 offset1:14
	ds_write2_b32 v6, v18, v7 offset0:15 offset1:16
	;; [unrolled: 1-line block ×3, first 2 shown]
	ds_write_b32 v6, v18 offset:76
	v_or_b32_e32 v2, 64, v11
	v_min_u32_e32 v3, 0x400, v2
	v_min_u32_e32 v2, 0x3c0, v2
	v_add_u32_e32 v8, 64, v2
	v_and_b32_e32 v12, 0x7c, v15
	v_sub_u32_e32 v4, v3, v11
	v_sub_u32_e32 v9, v8, v3
	v_sub_u32_e64 v9, v12, v9 clamp
	v_min_u32_e32 v17, v12, v4
	v_mul_u32_u24_e32 v2, 20, v11
	v_cmp_lt_u32_e32 vcc, v9, v17
	s_waitcnt lgkmcnt(0)
	s_barrier
	s_and_saveexec_b64 s[0:1], vcc
	s_cbranch_execz .LBB1407_48
; %bb.45:
	v_mul_u32_u24_e32 v4, 20, v12
	v_mad_u32_u24 v4, v3, 20, v4
	s_mov_b64 s[2:3], 0
.LBB1407_46:                            ; =>This Inner Loop Header: Depth=1
	v_add_u32_e32 v22, v17, v9
	v_lshrrev_b32_e32 v22, 1, v22
	v_not_b32_e32 v34, v22
	v_mad_u64_u32 v[32:33], s[4:5], v22, 20, v[2:3]
	v_mad_u64_u32 v[34:35], s[4:5], v34, 20, v[4:5]
	ds_read_b32 v32, v32
	ds_read_b32 v33, v34
	v_add_u32_e32 v34, 1, v22
	s_waitcnt lgkmcnt(0)
	v_cmp_lt_i32_e32 vcc, v33, v32
	v_cndmask_b32_e32 v17, v17, v22, vcc
	v_cndmask_b32_e32 v9, v34, v9, vcc
	v_cmp_ge_u32_e32 vcc, v9, v17
	s_or_b64 s[2:3], vcc, s[2:3]
	s_andn2_b64 exec, exec, s[2:3]
	s_cbranch_execnz .LBB1407_46
; %bb.47:
	s_or_b64 exec, exec, s[2:3]
.LBB1407_48:
	s_or_b64 exec, exec, s[0:1]
	v_sub_u32_e32 v12, v12, v9
	v_add_u32_e32 v4, v9, v11
	v_add_u32_e32 v11, v12, v3
	v_cmp_le_u32_e32 vcc, v4, v3
	v_cmp_le_u32_e64 s[0:1], v11, v8
	s_or_b64 s[0:1], vcc, s[0:1]
	s_and_saveexec_b64 s[22:23], s[0:1]
	s_cbranch_execz .LBB1407_54
; %bb.49:
	v_cmp_lt_u32_e32 vcc, v4, v3
	v_mov_b32_e32 v0, 0
	v_mov_b32_e32 v1, 0
	s_and_saveexec_b64 s[0:1], vcc
	s_cbranch_execz .LBB1407_51
; %bb.50:
	v_mad_u64_u32 v[16:17], s[2:3], v9, 20, v[2:3]
	ds_read_b32 v1, v16
.LBB1407_51:
	s_or_b64 exec, exec, s[0:1]
	v_cmp_ge_u32_e64 s[0:1], v11, v8
	v_cmp_lt_u32_e64 s[2:3], v11, v8
	s_and_saveexec_b64 s[4:5], s[2:3]
	s_cbranch_execz .LBB1407_53
; %bb.52:
	v_mul_lo_u32 v0, v11, 20
	ds_read_b32 v0, v0
.LBB1407_53:
	s_or_b64 exec, exec, s[4:5]
	s_waitcnt lgkmcnt(0)
	v_cmp_ge_i32_e64 s[2:3], v0, v1
	s_and_b64 s[2:3], vcc, s[2:3]
	s_or_b64 vcc, s[0:1], s[2:3]
	v_cndmask_b32_e32 v2, v11, v4, vcc
	v_cndmask_b32_e32 v5, v8, v3, vcc
	v_add_u32_e32 v2, 1, v2
	v_add_u32_e32 v5, -1, v5
	v_min_u32_e32 v5, v2, v5
	v_mul_lo_u32 v5, v5, 20
	ds_read_b32 v5, v5
	v_cndmask_b32_e32 v7, v2, v11, vcc
	v_cndmask_b32_e32 v2, v4, v2, vcc
	v_cmp_lt_u32_e64 s[2:3], v2, v3
	v_cmp_ge_u32_e64 s[0:1], v7, v8
	s_waitcnt lgkmcnt(0)
	v_cndmask_b32_e32 v9, v5, v0, vcc
	v_cndmask_b32_e32 v5, v1, v5, vcc
	v_cmp_ge_i32_e64 s[4:5], v9, v5
	s_and_b64 s[2:3], s[2:3], s[4:5]
	s_or_b64 s[0:1], s[0:1], s[2:3]
	v_cndmask_b32_e64 v4, v7, v2, s[0:1]
	v_cndmask_b32_e64 v10, v8, v3, s[0:1]
	v_add_u32_e32 v4, 1, v4
	v_add_u32_e32 v10, -1, v10
	v_min_u32_e32 v10, v4, v10
	v_mul_lo_u32 v10, v10, 20
	ds_read_b32 v10, v10
	v_cndmask_b32_e64 v2, v2, v4, s[0:1]
	v_cndmask_b32_e64 v7, v4, v7, s[0:1]
	v_cmp_lt_u32_e64 s[4:5], v2, v3
	v_cmp_ge_u32_e64 s[2:3], v7, v8
	s_waitcnt lgkmcnt(0)
	v_cndmask_b32_e64 v11, v10, v9, s[0:1]
	v_cndmask_b32_e64 v12, v5, v10, s[0:1]
	v_cmp_ge_i32_e64 s[8:9], v11, v12
	s_and_b64 s[4:5], s[4:5], s[8:9]
	s_or_b64 s[2:3], s[2:3], s[4:5]
	v_cndmask_b32_e64 v4, v7, v2, s[2:3]
	v_cndmask_b32_e64 v10, v8, v3, s[2:3]
	v_add_u32_e32 v4, 1, v4
	v_add_u32_e32 v10, -1, v10
	v_min_u32_e32 v10, v4, v10
	v_mul_lo_u32 v10, v10, 20
	ds_read_b32 v17, v10
	v_cndmask_b32_e32 v10, v0, v1, vcc
	v_cndmask_b32_e64 v14, v9, v5, s[0:1]
	v_cndmask_b32_e64 v2, v2, v4, s[2:3]
	;; [unrolled: 1-line block ×3, first 2 shown]
	s_waitcnt lgkmcnt(0)
	v_cndmask_b32_e64 v0, v12, v17, s[2:3]
	v_cndmask_b32_e64 v5, v17, v11, s[2:3]
	v_min_i32_e32 v4, v5, v0
	v_cmp_lt_u32_e32 vcc, v2, v3
	v_cndmask_b32_e64 v16, v11, v12, s[2:3]
	v_cndmask_b32_e32 v2, v5, v4, vcc
	v_cmp_lt_u32_e32 vcc, v1, v8
	v_cndmask_b32_e32 v18, v0, v2, vcc
	v_mov_b32_e32 v11, v10
	v_mov_b32_e32 v17, v16
	;; [unrolled: 1-line block ×4, first 2 shown]
	v_pk_mov_b32 v[0:1], v[10:11], v[10:11] op_sel:[0,1]
	v_pk_mov_b32 v[20:21], v[16:17], v[16:17] op_sel:[0,1]
.LBB1407_54:
	s_or_b64 exec, exec, s[22:23]
	v_mov_b32_e32 v2, v0
	v_mov_b32_e32 v3, v1
	;; [unrolled: 1-line block ×4, first 2 shown]
	s_barrier
	ds_write_b128 v6, v[0:3]
	ds_write_b96 v6, v[10:12] offset:16
	ds_write2_b32 v6, v14, v5 offset0:7 offset1:8
	v_mov_b32_e32 v2, v20
	v_mov_b32_e32 v3, v21
	v_and_b32_e32 v11, 0xf00, v15
	ds_write2_b64 v6, v[20:21], v[2:3] offset0:5 offset1:6
	ds_write2_b32 v6, v14, v16 offset0:9 offset1:14
	ds_write2_b32 v6, v18, v7 offset0:15 offset1:16
	;; [unrolled: 1-line block ×3, first 2 shown]
	ds_write_b32 v6, v18 offset:76
	v_or_b32_e32 v2, 0x80, v11
	v_min_u32_e32 v3, 0x400, v2
	v_min_u32_e32 v2, 0x380, v2
	v_add_u32_e32 v8, 0x80, v2
	v_and_b32_e32 v12, 0xfc, v15
	v_sub_u32_e32 v4, v3, v11
	v_sub_u32_e32 v9, v8, v3
	v_sub_u32_e64 v9, v12, v9 clamp
	v_min_u32_e32 v17, v12, v4
	v_mul_u32_u24_e32 v2, 20, v11
	v_cmp_lt_u32_e32 vcc, v9, v17
	s_waitcnt lgkmcnt(0)
	s_barrier
	s_and_saveexec_b64 s[0:1], vcc
	s_cbranch_execz .LBB1407_58
; %bb.55:
	v_mul_u32_u24_e32 v4, 20, v12
	v_mad_u32_u24 v4, v3, 20, v4
	s_mov_b64 s[2:3], 0
.LBB1407_56:                            ; =>This Inner Loop Header: Depth=1
	v_add_u32_e32 v22, v17, v9
	v_lshrrev_b32_e32 v22, 1, v22
	v_not_b32_e32 v34, v22
	v_mad_u64_u32 v[32:33], s[4:5], v22, 20, v[2:3]
	v_mad_u64_u32 v[34:35], s[4:5], v34, 20, v[4:5]
	ds_read_b32 v32, v32
	ds_read_b32 v33, v34
	v_add_u32_e32 v34, 1, v22
	s_waitcnt lgkmcnt(0)
	v_cmp_lt_i32_e32 vcc, v33, v32
	v_cndmask_b32_e32 v17, v17, v22, vcc
	v_cndmask_b32_e32 v9, v34, v9, vcc
	v_cmp_ge_u32_e32 vcc, v9, v17
	s_or_b64 s[2:3], vcc, s[2:3]
	s_andn2_b64 exec, exec, s[2:3]
	s_cbranch_execnz .LBB1407_56
; %bb.57:
	s_or_b64 exec, exec, s[2:3]
.LBB1407_58:
	s_or_b64 exec, exec, s[0:1]
	v_sub_u32_e32 v12, v12, v9
	v_add_u32_e32 v4, v9, v11
	v_add_u32_e32 v11, v12, v3
	v_cmp_le_u32_e32 vcc, v4, v3
	v_cmp_le_u32_e64 s[0:1], v11, v8
	s_or_b64 s[0:1], vcc, s[0:1]
	s_and_saveexec_b64 s[22:23], s[0:1]
	s_cbranch_execz .LBB1407_64
; %bb.59:
	v_cmp_lt_u32_e32 vcc, v4, v3
	v_mov_b32_e32 v0, 0
	v_mov_b32_e32 v1, 0
	s_and_saveexec_b64 s[0:1], vcc
	s_cbranch_execz .LBB1407_61
; %bb.60:
	v_mad_u64_u32 v[16:17], s[2:3], v9, 20, v[2:3]
	ds_read_b32 v1, v16
.LBB1407_61:
	s_or_b64 exec, exec, s[0:1]
	v_cmp_ge_u32_e64 s[0:1], v11, v8
	v_cmp_lt_u32_e64 s[2:3], v11, v8
	s_and_saveexec_b64 s[4:5], s[2:3]
	s_cbranch_execz .LBB1407_63
; %bb.62:
	v_mul_lo_u32 v0, v11, 20
	ds_read_b32 v0, v0
.LBB1407_63:
	s_or_b64 exec, exec, s[4:5]
	s_waitcnt lgkmcnt(0)
	v_cmp_ge_i32_e64 s[2:3], v0, v1
	s_and_b64 s[2:3], vcc, s[2:3]
	s_or_b64 vcc, s[0:1], s[2:3]
	v_cndmask_b32_e32 v2, v11, v4, vcc
	v_cndmask_b32_e32 v5, v8, v3, vcc
	v_add_u32_e32 v2, 1, v2
	v_add_u32_e32 v5, -1, v5
	v_min_u32_e32 v5, v2, v5
	v_mul_lo_u32 v5, v5, 20
	ds_read_b32 v5, v5
	v_cndmask_b32_e32 v7, v2, v11, vcc
	v_cndmask_b32_e32 v2, v4, v2, vcc
	v_cmp_lt_u32_e64 s[2:3], v2, v3
	v_cmp_ge_u32_e64 s[0:1], v7, v8
	s_waitcnt lgkmcnt(0)
	v_cndmask_b32_e32 v9, v5, v0, vcc
	v_cndmask_b32_e32 v5, v1, v5, vcc
	v_cmp_ge_i32_e64 s[4:5], v9, v5
	s_and_b64 s[2:3], s[2:3], s[4:5]
	s_or_b64 s[0:1], s[0:1], s[2:3]
	v_cndmask_b32_e64 v4, v7, v2, s[0:1]
	v_cndmask_b32_e64 v10, v8, v3, s[0:1]
	v_add_u32_e32 v4, 1, v4
	v_add_u32_e32 v10, -1, v10
	v_min_u32_e32 v10, v4, v10
	v_mul_lo_u32 v10, v10, 20
	ds_read_b32 v10, v10
	v_cndmask_b32_e64 v2, v2, v4, s[0:1]
	v_cndmask_b32_e64 v7, v4, v7, s[0:1]
	v_cmp_lt_u32_e64 s[4:5], v2, v3
	v_cmp_ge_u32_e64 s[2:3], v7, v8
	s_waitcnt lgkmcnt(0)
	v_cndmask_b32_e64 v11, v10, v9, s[0:1]
	v_cndmask_b32_e64 v12, v5, v10, s[0:1]
	v_cmp_ge_i32_e64 s[8:9], v11, v12
	s_and_b64 s[4:5], s[4:5], s[8:9]
	s_or_b64 s[2:3], s[2:3], s[4:5]
	v_cndmask_b32_e64 v4, v7, v2, s[2:3]
	v_cndmask_b32_e64 v10, v8, v3, s[2:3]
	v_add_u32_e32 v4, 1, v4
	v_add_u32_e32 v10, -1, v10
	v_min_u32_e32 v10, v4, v10
	v_mul_lo_u32 v10, v10, 20
	ds_read_b32 v17, v10
	v_cndmask_b32_e32 v10, v0, v1, vcc
	v_cndmask_b32_e64 v14, v9, v5, s[0:1]
	v_cndmask_b32_e64 v2, v2, v4, s[2:3]
	;; [unrolled: 1-line block ×3, first 2 shown]
	s_waitcnt lgkmcnt(0)
	v_cndmask_b32_e64 v0, v12, v17, s[2:3]
	v_cndmask_b32_e64 v5, v17, v11, s[2:3]
	v_min_i32_e32 v4, v5, v0
	v_cmp_lt_u32_e32 vcc, v2, v3
	v_cndmask_b32_e64 v16, v11, v12, s[2:3]
	v_cndmask_b32_e32 v2, v5, v4, vcc
	v_cmp_lt_u32_e32 vcc, v1, v8
	v_cndmask_b32_e32 v18, v0, v2, vcc
	v_mov_b32_e32 v11, v10
	v_mov_b32_e32 v17, v16
	;; [unrolled: 1-line block ×4, first 2 shown]
	v_pk_mov_b32 v[0:1], v[10:11], v[10:11] op_sel:[0,1]
	v_pk_mov_b32 v[20:21], v[16:17], v[16:17] op_sel:[0,1]
.LBB1407_64:
	s_or_b64 exec, exec, s[22:23]
	v_mov_b32_e32 v2, v0
	v_mov_b32_e32 v3, v1
	;; [unrolled: 1-line block ×4, first 2 shown]
	s_barrier
	ds_write_b128 v6, v[0:3]
	ds_write_b96 v6, v[10:12] offset:16
	ds_write2_b32 v6, v14, v5 offset0:7 offset1:8
	v_mov_b32_e32 v2, v20
	v_mov_b32_e32 v3, v21
	v_and_b32_e32 v11, 0xe00, v15
	ds_write2_b64 v6, v[20:21], v[2:3] offset0:5 offset1:6
	ds_write2_b32 v6, v14, v16 offset0:9 offset1:14
	ds_write2_b32 v6, v18, v7 offset0:15 offset1:16
	;; [unrolled: 1-line block ×3, first 2 shown]
	ds_write_b32 v6, v18 offset:76
	v_or_b32_e32 v2, 0x100, v11
	v_min_u32_e32 v3, 0x400, v2
	v_min_u32_e32 v2, 0x300, v2
	v_add_u32_e32 v8, 0x100, v2
	v_and_b32_e32 v12, 0x1fc, v15
	v_sub_u32_e32 v4, v3, v11
	v_sub_u32_e32 v9, v8, v3
	v_sub_u32_e64 v9, v12, v9 clamp
	v_min_u32_e32 v17, v12, v4
	v_mul_u32_u24_e32 v2, 20, v11
	v_cmp_lt_u32_e32 vcc, v9, v17
	s_waitcnt lgkmcnt(0)
	s_barrier
	s_and_saveexec_b64 s[0:1], vcc
	s_cbranch_execz .LBB1407_68
; %bb.65:
	v_mul_u32_u24_e32 v4, 20, v12
	v_mad_u32_u24 v4, v3, 20, v4
	s_mov_b64 s[2:3], 0
.LBB1407_66:                            ; =>This Inner Loop Header: Depth=1
	v_add_u32_e32 v22, v17, v9
	v_lshrrev_b32_e32 v22, 1, v22
	v_not_b32_e32 v34, v22
	v_mad_u64_u32 v[32:33], s[4:5], v22, 20, v[2:3]
	v_mad_u64_u32 v[34:35], s[4:5], v34, 20, v[4:5]
	ds_read_b32 v32, v32
	ds_read_b32 v33, v34
	v_add_u32_e32 v34, 1, v22
	s_waitcnt lgkmcnt(0)
	v_cmp_lt_i32_e32 vcc, v33, v32
	v_cndmask_b32_e32 v17, v17, v22, vcc
	v_cndmask_b32_e32 v9, v34, v9, vcc
	v_cmp_ge_u32_e32 vcc, v9, v17
	s_or_b64 s[2:3], vcc, s[2:3]
	s_andn2_b64 exec, exec, s[2:3]
	s_cbranch_execnz .LBB1407_66
; %bb.67:
	s_or_b64 exec, exec, s[2:3]
.LBB1407_68:
	s_or_b64 exec, exec, s[0:1]
	v_sub_u32_e32 v12, v12, v9
	v_add_u32_e32 v4, v9, v11
	v_add_u32_e32 v11, v12, v3
	v_cmp_le_u32_e32 vcc, v4, v3
	v_cmp_le_u32_e64 s[0:1], v11, v8
	s_or_b64 s[0:1], vcc, s[0:1]
	s_and_saveexec_b64 s[22:23], s[0:1]
	s_cbranch_execz .LBB1407_74
; %bb.69:
	v_cmp_lt_u32_e32 vcc, v4, v3
	v_mov_b32_e32 v0, 0
	v_mov_b32_e32 v1, 0
	s_and_saveexec_b64 s[0:1], vcc
	s_cbranch_execz .LBB1407_71
; %bb.70:
	v_mad_u64_u32 v[16:17], s[2:3], v9, 20, v[2:3]
	ds_read_b32 v1, v16
.LBB1407_71:
	s_or_b64 exec, exec, s[0:1]
	v_cmp_ge_u32_e64 s[0:1], v11, v8
	v_cmp_lt_u32_e64 s[2:3], v11, v8
	s_and_saveexec_b64 s[4:5], s[2:3]
	s_cbranch_execz .LBB1407_73
; %bb.72:
	v_mul_lo_u32 v0, v11, 20
	ds_read_b32 v0, v0
.LBB1407_73:
	s_or_b64 exec, exec, s[4:5]
	s_waitcnt lgkmcnt(0)
	v_cmp_ge_i32_e64 s[2:3], v0, v1
	s_and_b64 s[2:3], vcc, s[2:3]
	s_or_b64 vcc, s[0:1], s[2:3]
	v_cndmask_b32_e32 v2, v11, v4, vcc
	v_cndmask_b32_e32 v5, v8, v3, vcc
	v_add_u32_e32 v2, 1, v2
	v_add_u32_e32 v5, -1, v5
	v_min_u32_e32 v5, v2, v5
	v_mul_lo_u32 v5, v5, 20
	ds_read_b32 v5, v5
	v_cndmask_b32_e32 v7, v2, v11, vcc
	v_cndmask_b32_e32 v2, v4, v2, vcc
	v_cmp_lt_u32_e64 s[2:3], v2, v3
	v_cmp_ge_u32_e64 s[0:1], v7, v8
	s_waitcnt lgkmcnt(0)
	v_cndmask_b32_e32 v9, v5, v0, vcc
	v_cndmask_b32_e32 v5, v1, v5, vcc
	v_cmp_ge_i32_e64 s[4:5], v9, v5
	s_and_b64 s[2:3], s[2:3], s[4:5]
	s_or_b64 s[0:1], s[0:1], s[2:3]
	v_cndmask_b32_e64 v4, v7, v2, s[0:1]
	v_cndmask_b32_e64 v10, v8, v3, s[0:1]
	v_add_u32_e32 v4, 1, v4
	v_add_u32_e32 v10, -1, v10
	v_min_u32_e32 v10, v4, v10
	v_mul_lo_u32 v10, v10, 20
	ds_read_b32 v10, v10
	v_cndmask_b32_e64 v2, v2, v4, s[0:1]
	v_cndmask_b32_e64 v7, v4, v7, s[0:1]
	v_cmp_lt_u32_e64 s[4:5], v2, v3
	v_cmp_ge_u32_e64 s[2:3], v7, v8
	s_waitcnt lgkmcnt(0)
	v_cndmask_b32_e64 v11, v10, v9, s[0:1]
	v_cndmask_b32_e64 v12, v5, v10, s[0:1]
	v_cmp_ge_i32_e64 s[8:9], v11, v12
	s_and_b64 s[4:5], s[4:5], s[8:9]
	s_or_b64 s[2:3], s[2:3], s[4:5]
	v_cndmask_b32_e64 v4, v7, v2, s[2:3]
	v_cndmask_b32_e64 v10, v8, v3, s[2:3]
	v_add_u32_e32 v4, 1, v4
	v_add_u32_e32 v10, -1, v10
	v_min_u32_e32 v10, v4, v10
	v_mul_lo_u32 v10, v10, 20
	ds_read_b32 v17, v10
	v_cndmask_b32_e32 v10, v0, v1, vcc
	v_cndmask_b32_e64 v14, v9, v5, s[0:1]
	v_cndmask_b32_e64 v2, v2, v4, s[2:3]
	;; [unrolled: 1-line block ×3, first 2 shown]
	s_waitcnt lgkmcnt(0)
	v_cndmask_b32_e64 v0, v12, v17, s[2:3]
	v_cndmask_b32_e64 v5, v17, v11, s[2:3]
	v_min_i32_e32 v4, v5, v0
	v_cmp_lt_u32_e32 vcc, v2, v3
	v_cndmask_b32_e64 v16, v11, v12, s[2:3]
	v_cndmask_b32_e32 v2, v5, v4, vcc
	v_cmp_lt_u32_e32 vcc, v1, v8
	v_cndmask_b32_e32 v18, v0, v2, vcc
	v_mov_b32_e32 v11, v10
	v_mov_b32_e32 v17, v16
	v_mov_b32_e32 v5, v14
	v_mov_b32_e32 v7, v18
	v_pk_mov_b32 v[0:1], v[10:11], v[10:11] op_sel:[0,1]
	v_pk_mov_b32 v[20:21], v[16:17], v[16:17] op_sel:[0,1]
.LBB1407_74:
	s_or_b64 exec, exec, s[22:23]
	v_mov_b32_e32 v2, v0
	v_mov_b32_e32 v3, v1
	s_barrier
	ds_write_b128 v6, v[0:3]
	v_mov_b32_e32 v11, v14
	v_mov_b32_e32 v12, v5
	;; [unrolled: 1-line block ×4, first 2 shown]
	v_and_b32_e32 v8, 0xc00, v15
	ds_write_b96 v6, v[10:12] offset:16
	ds_write2_b32 v6, v14, v5 offset0:7 offset1:8
	ds_write2_b64 v6, v[20:21], v[2:3] offset0:5 offset1:6
	ds_write2_b32 v6, v14, v16 offset0:9 offset1:14
	ds_write2_b32 v6, v18, v7 offset0:15 offset1:16
	;; [unrolled: 1-line block ×3, first 2 shown]
	ds_write_b32 v6, v18 offset:76
	v_or_b32_e32 v2, 0x200, v8
	v_min_u32_e32 v3, 0x400, v2
	v_and_b32_e32 v9, 0x3fc, v15
	v_sub_u32_e32 v4, v3, v8
	v_sub_u32_e32 v6, 0x400, v3
	v_sub_u32_e64 v6, v9, v6 clamp
	v_min_u32_e32 v11, v9, v4
	v_mul_u32_u24_e32 v2, 20, v8
	v_cmp_lt_u32_e32 vcc, v6, v11
	s_waitcnt lgkmcnt(0)
	s_barrier
	s_and_saveexec_b64 s[0:1], vcc
	s_cbranch_execz .LBB1407_78
; %bb.75:
	v_mul_u32_u24_e32 v4, 20, v9
	v_mad_u32_u24 v4, v3, 20, v4
	s_mov_b64 s[2:3], 0
.LBB1407_76:                            ; =>This Inner Loop Header: Depth=1
	v_add_u32_e32 v12, v11, v6
	v_lshrrev_b32_e32 v12, 1, v12
	v_not_b32_e32 v17, v12
	v_mad_u64_u32 v[32:33], s[4:5], v12, 20, v[2:3]
	v_mad_u64_u32 v[34:35], s[4:5], v17, 20, v[4:5]
	ds_read_b32 v17, v32
	ds_read_b32 v22, v34
	v_add_u32_e32 v32, 1, v12
	s_waitcnt lgkmcnt(0)
	v_cmp_lt_i32_e32 vcc, v22, v17
	v_cndmask_b32_e32 v11, v11, v12, vcc
	v_cndmask_b32_e32 v6, v32, v6, vcc
	v_cmp_ge_u32_e32 vcc, v6, v11
	s_or_b64 s[2:3], vcc, s[2:3]
	s_andn2_b64 exec, exec, s[2:3]
	s_cbranch_execnz .LBB1407_76
; %bb.77:
	s_or_b64 exec, exec, s[2:3]
.LBB1407_78:
	s_or_b64 exec, exec, s[0:1]
	v_sub_u32_e32 v9, v9, v6
	v_add_u32_e32 v4, v6, v8
	v_add_u32_e32 v8, v9, v3
	s_movk_i32 s0, 0x401
	v_cmp_le_u32_e32 vcc, v4, v3
	v_cmp_gt_u32_e64 s[0:1], s0, v8
	s_or_b64 s[0:1], vcc, s[0:1]
	s_and_saveexec_b64 s[22:23], s[0:1]
	s_cbranch_execz .LBB1407_84
; %bb.79:
	v_cmp_lt_u32_e32 vcc, v4, v3
	v_mov_b32_e32 v0, 0
	v_mov_b32_e32 v1, 0
	s_and_saveexec_b64 s[0:1], vcc
	s_cbranch_execz .LBB1407_81
; %bb.80:
	v_mad_u64_u32 v[6:7], s[2:3], v6, 20, v[2:3]
	ds_read_b32 v1, v6
.LBB1407_81:
	s_or_b64 exec, exec, s[0:1]
	s_movk_i32 s8, 0x3ff
	s_movk_i32 s7, 0x400
	v_cmp_lt_u32_e64 s[0:1], s8, v8
	v_cmp_gt_u32_e64 s[2:3], s7, v8
	s_and_saveexec_b64 s[4:5], s[2:3]
	s_cbranch_execz .LBB1407_83
; %bb.82:
	v_mul_lo_u32 v0, v8, 20
	ds_read_b32 v0, v0
.LBB1407_83:
	s_or_b64 exec, exec, s[4:5]
	s_waitcnt lgkmcnt(0)
	v_cmp_ge_i32_e64 s[2:3], v0, v1
	s_and_b64 s[2:3], vcc, s[2:3]
	s_or_b64 vcc, s[0:1], s[2:3]
	v_cndmask_b32_e32 v2, v8, v4, vcc
	v_add_u32_e32 v5, -1, v3
	v_mov_b32_e32 v6, 0x3ff
	v_add_u32_e32 v2, 1, v2
	v_cndmask_b32_e32 v7, v6, v5, vcc
	v_min_u32_e32 v7, v2, v7
	v_mul_lo_u32 v7, v7, 20
	ds_read_b32 v7, v7
	v_cndmask_b32_e32 v8, v2, v8, vcc
	v_cndmask_b32_e32 v2, v4, v2, vcc
	v_cmp_lt_u32_e64 s[2:3], v2, v3
	v_cmp_lt_u32_e64 s[0:1], s8, v8
	s_waitcnt lgkmcnt(0)
	v_cndmask_b32_e32 v9, v7, v0, vcc
	v_cndmask_b32_e32 v7, v1, v7, vcc
	v_cmp_ge_i32_e64 s[4:5], v9, v7
	s_and_b64 s[2:3], s[2:3], s[4:5]
	s_or_b64 s[0:1], s[0:1], s[2:3]
	v_cndmask_b32_e64 v4, v8, v2, s[0:1]
	v_add_u32_e32 v4, 1, v4
	v_cndmask_b32_e64 v10, v6, v5, s[0:1]
	v_min_u32_e32 v10, v4, v10
	v_mul_lo_u32 v10, v10, 20
	ds_read_b32 v10, v10
	v_cndmask_b32_e64 v8, v4, v8, s[0:1]
	v_cndmask_b32_e64 v2, v2, v4, s[0:1]
	v_cmp_lt_u32_e64 s[2:3], s8, v8
	v_cmp_lt_u32_e64 s[4:5], v2, v3
	s_waitcnt lgkmcnt(0)
	v_cndmask_b32_e64 v11, v10, v9, s[0:1]
	v_cndmask_b32_e64 v12, v7, v10, s[0:1]
	v_cmp_ge_i32_e64 s[8:9], v11, v12
	s_and_b64 s[4:5], s[4:5], s[8:9]
	s_or_b64 s[2:3], s[2:3], s[4:5]
	v_cndmask_b32_e64 v4, v8, v2, s[2:3]
	v_add_u32_e32 v4, 1, v4
	v_cndmask_b32_e64 v5, v6, v5, s[2:3]
	v_min_u32_e32 v5, v4, v5
	v_mul_lo_u32 v5, v5, 20
	ds_read_b32 v5, v5
	v_cndmask_b32_e32 v10, v0, v1, vcc
	v_cndmask_b32_e64 v2, v2, v4, s[2:3]
	v_cndmask_b32_e64 v1, v4, v8, s[2:3]
	v_cmp_lt_u32_e32 vcc, v2, v3
	s_waitcnt lgkmcnt(0)
	v_cndmask_b32_e64 v0, v12, v5, s[2:3]
	v_cndmask_b32_e64 v5, v5, v11, s[2:3]
	v_min_i32_e32 v4, v5, v0
	v_cndmask_b32_e64 v16, v11, v12, s[2:3]
	v_cndmask_b32_e32 v2, v5, v4, vcc
	v_cmp_gt_u32_e32 vcc, s7, v1
	v_cndmask_b32_e64 v14, v9, v7, s[0:1]
	v_cndmask_b32_e32 v18, v0, v2, vcc
	v_mov_b32_e32 v11, v10
	v_mov_b32_e32 v17, v16
	;; [unrolled: 1-line block ×4, first 2 shown]
	v_pk_mov_b32 v[0:1], v[10:11], v[10:11] op_sel:[0,1]
	v_pk_mov_b32 v[20:21], v[16:17], v[16:17] op_sel:[0,1]
.LBB1407_84:
	s_or_b64 exec, exec, s[22:23]
	s_barrier
	s_barrier
	ds_write2_b32 v31, v0, v1 offset1:1
	ds_write2_b32 v31, v0, v1 offset0:2 offset1:3
	ds_write2_b32 v31, v14, v5 offset0:5 offset1:6
	;; [unrolled: 1-line block ×9, first 2 shown]
	s_waitcnt lgkmcnt(0)
	s_barrier
	ds_read_b32 v2, v27
	ds_read_b32 v28, v28 offset:5120
	ds_read_b32 v32, v29 offset:10240
	;; [unrolled: 1-line block ×3, first 2 shown]
	v_mad_u64_u32 v[8:9], s[0:1], v13, 20, s[14:15]
	s_waitcnt lgkmcnt(3)
	v_mov_b32_e32 v3, v2
	v_mov_b32_e32 v4, v2
	;; [unrolled: 1-line block ×3, first 2 shown]
	s_movk_i32 s0, 0x1000
	flat_store_dwordx4 v[8:9], v[2:5]
	flat_store_dword v[8:9], v2 offset:16
	v_add_co_u32_e32 v2, vcc, s0, v8
	s_waitcnt lgkmcnt(0)
	v_mov_b32_e32 v29, v28
	v_mov_b32_e32 v30, v28
	;; [unrolled: 1-line block ×3, first 2 shown]
	v_addc_co_u32_e32 v3, vcc, 0, v9, vcc
	flat_store_dwordx4 v[2:3], v[28:31] offset:1024
	flat_store_dword v[2:3], v28 offset:1040
	v_add_co_u32_e32 v2, vcc, 0x2000, v8
	v_mov_b32_e32 v33, v32
	v_mov_b32_e32 v34, v32
	;; [unrolled: 1-line block ×3, first 2 shown]
	v_addc_co_u32_e32 v3, vcc, 0, v9, vcc
	flat_store_dwordx4 v[2:3], v[32:35] offset:2048
	flat_store_dword v[2:3], v32 offset:2064
	s_mov_b64 s[22:23], -1
	s_branch .LBB1407_152
.LBB1407_85:
	s_mov_b64 s[22:23], 0
                                        ; implicit-def: $vgpr0
                                        ; implicit-def: $vgpr8_vgpr9
	s_cbranch_execz .LBB1407_152
; %bb.86:
	s_lshl_b64 s[0:1], s[18:19], 10
	s_sub_i32 s18, s20, s0
	v_cmp_gt_u32_e32 vcc, s18, v13
	v_mov_b32_e32 v0, 0
	v_mov_b32_e32 v1, 0
	s_and_saveexec_b64 s[0:1], vcc
	s_cbranch_execz .LBB1407_88
; %bb.87:
	v_mad_u64_u32 v[2:3], s[2:3], v13, 20, s[16:17]
	flat_load_dword v1, v[2:3]
.LBB1407_88:
	s_or_b64 exec, exec, s[0:1]
	v_add_u32_e32 v3, 0x100, v13
	v_cmp_gt_u32_e64 s[2:3], s18, v3
	s_and_saveexec_b64 s[0:1], s[2:3]
	s_cbranch_execz .LBB1407_90
; %bb.89:
	v_mad_u64_u32 v[4:5], s[4:5], v3, 20, s[16:17]
	flat_load_dword v0, v[4:5]
.LBB1407_90:
	s_or_b64 exec, exec, s[0:1]
	v_add_u32_e32 v5, 0x200, v13
	v_cmp_gt_u32_e64 s[0:1], s18, v5
	v_mov_b32_e32 v2, 0
	v_mov_b32_e32 v4, 0
	s_and_saveexec_b64 s[4:5], s[0:1]
	s_cbranch_execz .LBB1407_92
; %bb.91:
	v_mad_u64_u32 v[6:7], s[8:9], v5, 20, s[16:17]
	flat_load_dword v4, v[6:7]
.LBB1407_92:
	s_or_b64 exec, exec, s[4:5]
	v_add_u32_e32 v6, 0x300, v13
	v_cmp_gt_u32_e64 s[22:23], s18, v6
	s_and_saveexec_b64 s[4:5], s[22:23]
	s_cbranch_execz .LBB1407_94
; %bb.93:
	v_mad_u64_u32 v[8:9], s[8:9], v6, 20, s[16:17]
	flat_load_dword v2, v[8:9]
.LBB1407_94:
	s_or_b64 exec, exec, s[4:5]
	v_mad_u32_u24 v16, v26, 20, v25
	s_waitcnt vmcnt(0) lgkmcnt(0)
	ds_write2_b32 v16, v1, v1 offset1:1
	ds_write2_b32 v16, v1, v1 offset0:2 offset1:3
	ds_write_b32 v16, v1 offset:16
	v_lshrrev_b32_e32 v1, 5, v3
	v_mad_u32_u24 v17, v1, 20, v25
	v_add_u32_e32 v1, 0x1400, v17
	ds_write2_b32 v1, v0, v0 offset1:1
	v_add_u32_e32 v1, 0x1408, v17
	ds_write2_b32 v1, v0, v0 offset1:1
	ds_write_b32 v17, v0 offset:5136
	v_lshrrev_b32_e32 v0, 5, v5
	v_mad_u32_u24 v18, v0, 20, v25
	v_add_u32_e32 v0, 0x2800, v18
	ds_write2_b32 v0, v4, v4 offset1:1
	v_add_u32_e32 v0, 0x2808, v18
	ds_write2_b32 v0, v4, v4 offset1:1
	;; [unrolled: 7-line block ×3, first 2 shown]
	ds_write_b32 v20, v2 offset:15376
	v_add_u32_e32 v0, v24, v15
	v_mul_u32_u24_e32 v21, 20, v0
	s_waitcnt lgkmcnt(0)
	s_barrier
	ds_read2_b32 v[0:1], v21 offset1:5
	ds_read2_b32 v[2:3], v21 offset0:10 offset1:15
	s_waitcnt lgkmcnt(0)
	s_barrier
	s_load_dword s4, s[10:11], 0xc
	v_mov_b32_e32 v4, 0
	s_movk_i32 s16, 0x50
	s_waitcnt lgkmcnt(0)
	s_lshr_b32 s8, s4, 16
	s_cmp_lt_u32 s6, s12
	s_cselect_b32 s4, 12, 18
	s_add_u32 s4, s10, s4
	s_addc_u32 s5, s11, 0
	global_load_ushort v5, v4, s[4:5]
	v_mad_u32_u24 v8, v23, s8, v19
	v_mbcnt_lo_u32_b32 v4, -1, 0
	v_mbcnt_hi_u32_b32 v6, -1, v4
	v_cmp_lt_i32_e64 s[4:5], v1, v0
	v_cmp_lt_i32_e64 s[6:7], v3, v2
	v_lshlrev_b32_e32 v22, 2, v6
	v_or_b32_e32 v7, 4, v22
	v_and_b32_e32 v9, 4, v22
	v_and_b32_e32 v4, 0x1f8, v22
	s_waitcnt vmcnt(0)
	v_mul_lo_u32 v5, v8, v5
	v_add_lshl_u32 v5, v5, v13, 2
	v_sub_u32_e64 v8, s18, v5 clamp
	v_cmp_lt_u32_e64 s[8:9], 1, v8
	v_cmp_lt_u32_e64 s[10:11], 3, v8
	v_and_b32_e32 v5, 0xffffff00, v5
	s_and_b64 s[4:5], s[8:9], s[4:5]
	s_and_b64 s[6:7], s[10:11], s[6:7]
	v_sub_u32_e64 v19, s18, v5 clamp
	v_cndmask_b32_e64 v10, v1, v0, s[4:5]
	v_cndmask_b32_e64 v0, v0, v1, s[4:5]
	;; [unrolled: 1-line block ×3, first 2 shown]
	v_cmp_lt_u32_e64 s[12:13], 2, v8
	v_min_u32_e32 v7, v19, v7
	v_cmp_lt_i32_e64 s[4:5], v1, v10
	v_cndmask_b32_e64 v11, v3, v2, s[6:7]
	v_add_u32_e32 v2, 4, v7
	s_and_b64 s[4:5], s[12:13], s[4:5]
	v_mul_lo_u32 v8, v5, 20
	v_min_u32_e32 v5, v19, v9
	v_min_u32_e32 v9, v19, v2
	v_cndmask_b32_e64 v2, v1, v10, s[4:5]
	v_cndmask_b32_e64 v1, v10, v1, s[4:5]
	v_cmp_lt_i32_e64 s[4:5], v11, v2
	v_cmp_lt_i32_e64 s[6:7], v1, v0
	s_and_b64 s[4:5], s[10:11], s[4:5]
	s_and_b64 s[6:7], s[8:9], s[6:7]
	v_cndmask_b32_e64 v14, v11, v2, s[4:5]
	v_cndmask_b32_e64 v12, v1, v0, s[6:7]
	;; [unrolled: 1-line block ×3, first 2 shown]
	v_cmp_lt_i32_e64 s[4:5], v11, v12
	v_cndmask_b32_e64 v0, v0, v1, s[6:7]
	s_and_b64 s[4:5], s[12:13], s[4:5]
	v_mad_u32_u24 v23, v6, s16, v8
	v_cndmask_b32_e64 v10, v11, v12, s[4:5]
	v_mov_b32_e32 v1, v0
	v_mov_b32_e32 v2, v0
	;; [unrolled: 1-line block ×3, first 2 shown]
	v_cndmask_b32_e64 v12, v12, v11, s[4:5]
	ds_write2_b32 v23, v14, v14 offset0:15 offset1:16
	ds_write2_b32 v23, v14, v14 offset0:17 offset1:18
	ds_write_b32 v23, v14 offset:76
	ds_write_b128 v23, v[0:3]
	v_mov_b32_e32 v1, v12
	v_sub_u32_e32 v26, v7, v4
	v_mov_b32_e32 v11, v10
	v_mov_b32_e32 v24, v10
	;; [unrolled: 1-line block ×4, first 2 shown]
	ds_write2_b32 v23, v12, v12 offset0:7 offset1:8
	ds_write2_b64 v23, v[10:11], v[24:25] offset0:5 offset1:6
	ds_write2_b32 v23, v12, v10 offset0:9 offset1:14
	ds_write_b96 v23, v[0:2] offset:16
	v_sub_u32_e32 v1, v9, v7
	v_sub_u32_e64 v1, v5, v1 clamp
	v_min_u32_e32 v3, v5, v26
	v_mad_u32_u24 v6, v4, 20, v8
	v_cmp_lt_u32_e64 s[4:5], v1, v3
	; wave barrier
	s_and_saveexec_b64 s[6:7], s[4:5]
	s_cbranch_execz .LBB1407_98
; %bb.95:
	v_mul_u32_u24_e32 v2, 20, v7
	v_mul_u32_u24_e32 v11, 20, v5
	v_add3_u32 v2, v8, v2, v11
	s_mov_b64 s[8:9], 0
.LBB1407_96:                            ; =>This Inner Loop Header: Depth=1
	v_add_u32_e32 v11, v3, v1
	v_lshrrev_b32_e32 v11, 1, v11
	v_not_b32_e32 v26, v11
	v_mad_u64_u32 v[24:25], s[4:5], v11, 20, v[6:7]
	v_mad_u64_u32 v[26:27], s[4:5], v26, 20, v[2:3]
	ds_read_b32 v24, v24
	ds_read_b32 v25, v26
	v_add_u32_e32 v26, 1, v11
	s_waitcnt lgkmcnt(0)
	v_cmp_lt_i32_e64 s[4:5], v25, v24
	v_cndmask_b32_e64 v3, v3, v11, s[4:5]
	v_cndmask_b32_e64 v1, v26, v1, s[4:5]
	v_cmp_ge_u32_e64 s[4:5], v1, v3
	s_or_b64 s[8:9], s[4:5], s[8:9]
	s_andn2_b64 exec, exec, s[8:9]
	s_cbranch_execnz .LBB1407_96
; %bb.97:
	s_or_b64 exec, exec, s[8:9]
.LBB1407_98:
	s_or_b64 exec, exec, s[6:7]
	v_add_u32_e32 v2, v7, v5
	v_add_u32_e32 v3, v1, v4
	v_sub_u32_e32 v11, v2, v1
	v_cmp_le_u32_e64 s[4:5], v3, v7
	v_cmp_le_u32_e64 s[6:7], v11, v9
	s_or_b64 s[4:5], s[4:5], s[6:7]
	v_pk_mov_b32 v[4:5], v[0:1], v[0:1] op_sel:[0,1]
	s_and_saveexec_b64 s[16:17], s[4:5]
	s_cbranch_execz .LBB1407_104
; %bb.99:
	v_cmp_lt_u32_e64 s[4:5], v3, v7
	v_mov_b32_e32 v0, 0
	v_mov_b32_e32 v2, 0
	s_and_saveexec_b64 s[6:7], s[4:5]
	s_cbranch_execz .LBB1407_101
; %bb.100:
	v_mad_u64_u32 v[4:5], s[8:9], v1, 20, v[6:7]
	ds_read_b32 v2, v4
.LBB1407_101:
	s_or_b64 exec, exec, s[6:7]
	v_cmp_ge_u32_e64 s[6:7], v11, v9
	v_cmp_lt_u32_e64 s[8:9], v11, v9
	s_and_saveexec_b64 s[10:11], s[8:9]
	s_cbranch_execz .LBB1407_103
; %bb.102:
	v_mad_u64_u32 v[0:1], s[8:9], v11, 20, v[8:9]
	ds_read_b32 v0, v0
.LBB1407_103:
	s_or_b64 exec, exec, s[10:11]
	s_waitcnt lgkmcnt(0)
	v_cmp_ge_i32_e64 s[8:9], v0, v2
	s_and_b64 s[4:5], s[4:5], s[8:9]
	s_or_b64 s[4:5], s[6:7], s[4:5]
	v_cndmask_b32_e64 v1, v11, v3, s[4:5]
	v_cndmask_b32_e64 v4, v9, v7, s[4:5]
	v_add_u32_e32 v1, 1, v1
	v_add_u32_e32 v4, -1, v4
	v_min_u32_e32 v4, v1, v4
	v_mad_u64_u32 v[4:5], s[6:7], v4, 20, v[8:9]
	ds_read_b32 v4, v4
	v_cndmask_b32_e64 v11, v1, v11, s[4:5]
	v_cndmask_b32_e64 v1, v3, v1, s[4:5]
	v_cmp_lt_u32_e64 s[8:9], v1, v7
	v_cmp_ge_u32_e64 s[6:7], v11, v9
	s_waitcnt lgkmcnt(0)
	v_cndmask_b32_e64 v6, v4, v0, s[4:5]
	v_cndmask_b32_e64 v10, v2, v4, s[4:5]
	v_cmp_ge_i32_e64 s[10:11], v6, v10
	s_and_b64 s[8:9], s[8:9], s[10:11]
	s_or_b64 s[6:7], s[6:7], s[8:9]
	v_cndmask_b32_e64 v3, v11, v1, s[6:7]
	v_cndmask_b32_e64 v4, v9, v7, s[6:7]
	v_add_u32_e32 v3, 1, v3
	v_add_u32_e32 v4, -1, v4
	v_min_u32_e32 v4, v3, v4
	v_mad_u64_u32 v[4:5], s[8:9], v4, 20, v[8:9]
	ds_read_b32 v4, v4
	v_cndmask_b32_e64 v1, v1, v3, s[6:7]
	v_cndmask_b32_e64 v11, v3, v11, s[6:7]
	v_cmp_lt_u32_e64 s[10:11], v1, v7
	v_cmp_ge_u32_e64 s[8:9], v11, v9
	s_waitcnt lgkmcnt(0)
	v_cndmask_b32_e64 v14, v4, v6, s[6:7]
	v_cndmask_b32_e64 v24, v10, v4, s[6:7]
	v_cmp_ge_i32_e64 s[12:13], v14, v24
	s_and_b64 s[10:11], s[10:11], s[12:13]
	s_or_b64 s[8:9], s[8:9], s[10:11]
	v_cndmask_b32_e64 v3, v11, v1, s[8:9]
	v_cndmask_b32_e64 v4, v9, v7, s[8:9]
	v_add_u32_e32 v3, 1, v3
	v_add_u32_e32 v4, -1, v4
	v_min_u32_e32 v4, v3, v4
	v_mad_u64_u32 v[4:5], s[10:11], v4, 20, v[8:9]
	ds_read_b32 v4, v4
	v_cndmask_b32_e64 v0, v0, v2, s[4:5]
	v_cndmask_b32_e64 v1, v1, v3, s[8:9]
	v_cndmask_b32_e64 v5, v3, v11, s[8:9]
	v_cmp_lt_u32_e64 s[4:5], v1, v7
	s_waitcnt lgkmcnt(0)
	v_cndmask_b32_e64 v2, v24, v4, s[8:9]
	v_cndmask_b32_e64 v4, v4, v14, s[8:9]
	v_min_i32_e32 v3, v4, v2
	v_cndmask_b32_e64 v1, v4, v3, s[4:5]
	v_cmp_lt_u32_e64 s[4:5], v5, v9
	v_cndmask_b32_e64 v12, v6, v10, s[6:7]
	v_cndmask_b32_e64 v10, v14, v24, s[8:9]
	;; [unrolled: 1-line block ×3, first 2 shown]
	v_pk_mov_b32 v[4:5], v[0:1], v[0:1] op_sel:[0,1]
.LBB1407_104:
	s_or_b64 exec, exec, s[16:17]
	v_mov_b32_e32 v5, v0
	v_mov_b32_e32 v6, v4
	;; [unrolled: 1-line block ×5, first 2 shown]
	v_and_b32_e32 v25, 0x1f0, v22
	; wave barrier
	ds_write_b128 v23, v[4:7]
	ds_write_b96 v23, v[0:2] offset:16
	ds_write2_b32 v23, v12, v12 offset0:7 offset1:8
	v_or_b32_e32 v1, 8, v25
	v_min_u32_e32 v1, v19, v1
	v_mov_b32_e32 v11, v10
	v_mov_b32_e32 v6, v10
	;; [unrolled: 1-line block ×3, first 2 shown]
	v_add_u32_e32 v2, 8, v1
	ds_write2_b64 v23, v[10:11], v[6:7] offset0:5 offset1:6
	ds_write2_b32 v23, v12, v10 offset0:9 offset1:14
	ds_write2_b32 v23, v14, v14 offset0:15 offset1:16
	;; [unrolled: 1-line block ×3, first 2 shown]
	ds_write_b32 v23, v14 offset:76
	v_min_u32_e32 v7, v19, v2
	v_and_b32_e32 v2, 12, v22
	v_min_u32_e32 v26, v19, v2
	v_sub_u32_e32 v5, v1, v25
	v_sub_u32_e32 v6, v7, v1
	v_sub_u32_e64 v24, v26, v6 clamp
	v_min_u32_e32 v5, v26, v5
	v_mov_b32_e32 v3, v12
	v_mov_b32_e32 v9, v14
	v_mad_u32_u24 v2, v25, 20, v8
	v_cmp_lt_u32_e64 s[4:5], v24, v5
	; wave barrier
	s_and_saveexec_b64 s[6:7], s[4:5]
	s_cbranch_execz .LBB1407_108
; %bb.105:
	v_mul_u32_u24_e32 v6, 20, v1
	v_mul_u32_u24_e32 v11, 20, v26
	v_add3_u32 v6, v8, v6, v11
	s_mov_b64 s[8:9], 0
.LBB1407_106:                           ; =>This Inner Loop Header: Depth=1
	v_add_u32_e32 v11, v5, v24
	v_lshrrev_b32_e32 v11, 1, v11
	v_not_b32_e32 v27, v11
	v_mad_u64_u32 v[28:29], s[4:5], v11, 20, v[2:3]
	v_mad_u64_u32 v[30:31], s[4:5], v27, 20, v[6:7]
	ds_read_b32 v27, v28
	ds_read_b32 v28, v30
	v_add_u32_e32 v29, 1, v11
	s_waitcnt lgkmcnt(0)
	v_cmp_lt_i32_e64 s[4:5], v28, v27
	v_cndmask_b32_e64 v5, v5, v11, s[4:5]
	v_cndmask_b32_e64 v24, v29, v24, s[4:5]
	v_cmp_ge_u32_e64 s[4:5], v24, v5
	s_or_b64 s[8:9], s[4:5], s[8:9]
	s_andn2_b64 exec, exec, s[8:9]
	s_cbranch_execnz .LBB1407_106
; %bb.107:
	s_or_b64 exec, exec, s[8:9]
.LBB1407_108:
	s_or_b64 exec, exec, s[6:7]
	v_add_u32_e32 v6, v24, v25
	v_add_u32_e32 v25, v1, v26
	v_sub_u32_e32 v25, v25, v24
	v_cmp_le_u32_e64 s[4:5], v6, v1
	v_cmp_le_u32_e64 s[6:7], v25, v7
	v_mov_b32_e32 v5, v0
	v_mov_b32_e32 v11, v10
	s_or_b64 s[4:5], s[4:5], s[6:7]
	s_and_saveexec_b64 s[16:17], s[4:5]
	s_cbranch_execz .LBB1407_114
; %bb.109:
	v_cmp_lt_u32_e64 s[4:5], v6, v1
	v_mov_b32_e32 v0, 0
	v_mov_b32_e32 v3, 0
	s_and_saveexec_b64 s[6:7], s[4:5]
	s_cbranch_execz .LBB1407_111
; %bb.110:
	v_mad_u64_u32 v[2:3], s[8:9], v24, 20, v[2:3]
	ds_read_b32 v3, v2
.LBB1407_111:
	s_or_b64 exec, exec, s[6:7]
	v_cmp_ge_u32_e64 s[6:7], v25, v7
	v_cmp_lt_u32_e64 s[8:9], v25, v7
	s_and_saveexec_b64 s[10:11], s[8:9]
	s_cbranch_execz .LBB1407_113
; %bb.112:
	v_mad_u64_u32 v[4:5], s[8:9], v25, 20, v[8:9]
	ds_read_b32 v0, v4
.LBB1407_113:
	s_or_b64 exec, exec, s[10:11]
	s_waitcnt lgkmcnt(0)
	v_cmp_ge_i32_e64 s[8:9], v0, v3
	s_and_b64 s[4:5], s[4:5], s[8:9]
	s_or_b64 s[4:5], s[6:7], s[4:5]
	v_cndmask_b32_e64 v2, v25, v6, s[4:5]
	v_cndmask_b32_e64 v4, v7, v1, s[4:5]
	v_add_u32_e32 v2, 1, v2
	v_add_u32_e32 v4, -1, v4
	v_min_u32_e32 v4, v2, v4
	v_mad_u64_u32 v[4:5], s[6:7], v4, 20, v[8:9]
	ds_read_b32 v4, v4
	v_cndmask_b32_e64 v11, v2, v25, s[4:5]
	v_cndmask_b32_e64 v2, v6, v2, s[4:5]
	v_cmp_lt_u32_e64 s[8:9], v2, v1
	v_cmp_ge_u32_e64 s[6:7], v11, v7
	s_waitcnt lgkmcnt(0)
	v_cndmask_b32_e64 v9, v4, v0, s[4:5]
	v_cndmask_b32_e64 v10, v3, v4, s[4:5]
	v_cmp_ge_i32_e64 s[10:11], v9, v10
	s_and_b64 s[8:9], s[8:9], s[10:11]
	s_or_b64 s[6:7], s[6:7], s[8:9]
	v_cndmask_b32_e64 v4, v11, v2, s[6:7]
	v_cndmask_b32_e64 v5, v7, v1, s[6:7]
	v_add_u32_e32 v6, 1, v4
	v_add_u32_e32 v4, -1, v5
	v_min_u32_e32 v4, v6, v4
	v_mad_u64_u32 v[4:5], s[8:9], v4, 20, v[8:9]
	ds_read_b32 v4, v4
	v_cndmask_b32_e64 v2, v2, v6, s[6:7]
	v_cndmask_b32_e64 v11, v6, v11, s[6:7]
	v_cmp_lt_u32_e64 s[10:11], v2, v1
	v_cmp_ge_u32_e64 s[8:9], v11, v7
	s_waitcnt lgkmcnt(0)
	v_cndmask_b32_e64 v14, v4, v9, s[6:7]
	v_cndmask_b32_e64 v24, v10, v4, s[6:7]
	v_cmp_ge_i32_e64 s[12:13], v14, v24
	s_and_b64 s[10:11], s[10:11], s[12:13]
	s_or_b64 s[8:9], s[8:9], s[10:11]
	v_cndmask_b32_e64 v4, v11, v2, s[8:9]
	v_cndmask_b32_e64 v5, v7, v1, s[8:9]
	v_add_u32_e32 v6, 1, v4
	v_add_u32_e32 v4, -1, v5
	v_min_u32_e32 v4, v6, v4
	v_mad_u64_u32 v[4:5], s[10:11], v4, 20, v[8:9]
	ds_read_b32 v4, v4
	v_cndmask_b32_e64 v0, v0, v3, s[4:5]
	v_cndmask_b32_e64 v2, v2, v6, s[8:9]
	;; [unrolled: 1-line block ×3, first 2 shown]
	v_cmp_lt_u32_e64 s[4:5], v2, v1
	s_waitcnt lgkmcnt(0)
	v_cndmask_b32_e64 v3, v24, v4, s[8:9]
	v_cndmask_b32_e64 v4, v4, v14, s[8:9]
	v_min_i32_e32 v6, v4, v3
	v_cndmask_b32_e64 v1, v4, v6, s[4:5]
	v_cmp_lt_u32_e64 s[4:5], v5, v7
	v_cndmask_b32_e64 v12, v9, v10, s[6:7]
	v_cndmask_b32_e64 v10, v14, v24, s[8:9]
	;; [unrolled: 1-line block ×3, first 2 shown]
	v_mov_b32_e32 v1, v0
	v_mov_b32_e32 v3, v12
	v_mov_b32_e32 v11, v10
	v_mov_b32_e32 v9, v14
	v_pk_mov_b32 v[4:5], v[0:1], v[0:1] op_sel:[0,1]
.LBB1407_114:
	s_or_b64 exec, exec, s[16:17]
	v_mov_b32_e32 v6, v4
	v_mov_b32_e32 v7, v5
	;; [unrolled: 1-line block ×4, first 2 shown]
	v_and_b32_e32 v25, 0x1e0, v22
	; wave barrier
	ds_write_b128 v23, v[4:7]
	ds_write_b96 v23, v[0:2] offset:16
	ds_write2_b32 v23, v12, v3 offset0:7 offset1:8
	v_or_b32_e32 v1, 16, v25
	v_min_u32_e32 v1, v19, v1
	v_mov_b32_e32 v6, v10
	v_mov_b32_e32 v7, v11
	v_add_u32_e32 v2, 16, v1
	ds_write2_b64 v23, v[10:11], v[6:7] offset0:5 offset1:6
	ds_write2_b32 v23, v12, v10 offset0:9 offset1:14
	ds_write2_b32 v23, v14, v9 offset0:15 offset1:16
	;; [unrolled: 1-line block ×3, first 2 shown]
	ds_write_b32 v23, v14 offset:76
	v_min_u32_e32 v7, v19, v2
	v_and_b32_e32 v2, 28, v22
	v_min_u32_e32 v26, v19, v2
	v_sub_u32_e32 v6, v1, v25
	v_sub_u32_e32 v24, v7, v1
	v_sub_u32_e64 v24, v26, v24 clamp
	v_min_u32_e32 v27, v26, v6
	v_mad_u32_u24 v2, v25, 20, v8
	v_cmp_lt_u32_e64 s[4:5], v24, v27
	; wave barrier
	s_and_saveexec_b64 s[6:7], s[4:5]
	s_cbranch_execz .LBB1407_118
; %bb.115:
	v_mul_u32_u24_e32 v6, 20, v1
	v_mul_u32_u24_e32 v28, 20, v26
	v_add3_u32 v6, v8, v6, v28
	s_mov_b64 s[8:9], 0
.LBB1407_116:                           ; =>This Inner Loop Header: Depth=1
	v_add_u32_e32 v28, v27, v24
	v_lshrrev_b32_e32 v32, 1, v28
	v_not_b32_e32 v30, v32
	v_mad_u64_u32 v[28:29], s[4:5], v32, 20, v[2:3]
	v_mad_u64_u32 v[30:31], s[4:5], v30, 20, v[6:7]
	ds_read_b32 v28, v28
	ds_read_b32 v29, v30
	v_add_u32_e32 v30, 1, v32
	s_waitcnt lgkmcnt(0)
	v_cmp_lt_i32_e64 s[4:5], v29, v28
	v_cndmask_b32_e64 v27, v27, v32, s[4:5]
	v_cndmask_b32_e64 v24, v30, v24, s[4:5]
	v_cmp_ge_u32_e64 s[4:5], v24, v27
	s_or_b64 s[8:9], s[4:5], s[8:9]
	s_andn2_b64 exec, exec, s[8:9]
	s_cbranch_execnz .LBB1407_116
; %bb.117:
	s_or_b64 exec, exec, s[8:9]
.LBB1407_118:
	s_or_b64 exec, exec, s[6:7]
	v_add_u32_e32 v6, v24, v25
	v_add_u32_e32 v25, v1, v26
	v_sub_u32_e32 v25, v25, v24
	v_cmp_le_u32_e64 s[4:5], v6, v1
	v_cmp_le_u32_e64 s[6:7], v25, v7
	s_or_b64 s[4:5], s[4:5], s[6:7]
	s_and_saveexec_b64 s[16:17], s[4:5]
	s_cbranch_execz .LBB1407_124
; %bb.119:
	v_cmp_lt_u32_e64 s[4:5], v6, v1
	v_mov_b32_e32 v0, 0
	v_mov_b32_e32 v3, 0
	s_and_saveexec_b64 s[6:7], s[4:5]
	s_cbranch_execz .LBB1407_121
; %bb.120:
	v_mad_u64_u32 v[2:3], s[8:9], v24, 20, v[2:3]
	ds_read_b32 v3, v2
.LBB1407_121:
	s_or_b64 exec, exec, s[6:7]
	v_cmp_ge_u32_e64 s[6:7], v25, v7
	v_cmp_lt_u32_e64 s[8:9], v25, v7
	s_and_saveexec_b64 s[10:11], s[8:9]
	s_cbranch_execz .LBB1407_123
; %bb.122:
	v_mad_u64_u32 v[4:5], s[8:9], v25, 20, v[8:9]
	ds_read_b32 v0, v4
.LBB1407_123:
	s_or_b64 exec, exec, s[10:11]
	s_waitcnt lgkmcnt(0)
	v_cmp_ge_i32_e64 s[8:9], v0, v3
	s_and_b64 s[4:5], s[4:5], s[8:9]
	s_or_b64 s[4:5], s[6:7], s[4:5]
	v_cndmask_b32_e64 v2, v25, v6, s[4:5]
	v_cndmask_b32_e64 v4, v7, v1, s[4:5]
	v_add_u32_e32 v2, 1, v2
	v_add_u32_e32 v4, -1, v4
	v_min_u32_e32 v4, v2, v4
	v_mad_u64_u32 v[4:5], s[6:7], v4, 20, v[8:9]
	ds_read_b32 v4, v4
	v_cndmask_b32_e64 v11, v2, v25, s[4:5]
	v_cndmask_b32_e64 v2, v6, v2, s[4:5]
	v_cmp_lt_u32_e64 s[8:9], v2, v1
	v_cmp_ge_u32_e64 s[6:7], v11, v7
	s_waitcnt lgkmcnt(0)
	v_cndmask_b32_e64 v9, v4, v0, s[4:5]
	v_cndmask_b32_e64 v10, v3, v4, s[4:5]
	v_cmp_ge_i32_e64 s[10:11], v9, v10
	s_and_b64 s[8:9], s[8:9], s[10:11]
	s_or_b64 s[6:7], s[6:7], s[8:9]
	v_cndmask_b32_e64 v4, v11, v2, s[6:7]
	v_cndmask_b32_e64 v5, v7, v1, s[6:7]
	v_add_u32_e32 v6, 1, v4
	v_add_u32_e32 v4, -1, v5
	v_min_u32_e32 v4, v6, v4
	v_mad_u64_u32 v[4:5], s[8:9], v4, 20, v[8:9]
	ds_read_b32 v4, v4
	v_cndmask_b32_e64 v2, v2, v6, s[6:7]
	v_cndmask_b32_e64 v11, v6, v11, s[6:7]
	v_cmp_lt_u32_e64 s[10:11], v2, v1
	v_cmp_ge_u32_e64 s[8:9], v11, v7
	s_waitcnt lgkmcnt(0)
	v_cndmask_b32_e64 v14, v4, v9, s[6:7]
	v_cndmask_b32_e64 v24, v10, v4, s[6:7]
	v_cmp_ge_i32_e64 s[12:13], v14, v24
	s_and_b64 s[10:11], s[10:11], s[12:13]
	s_or_b64 s[8:9], s[8:9], s[10:11]
	v_cndmask_b32_e64 v4, v11, v2, s[8:9]
	v_cndmask_b32_e64 v5, v7, v1, s[8:9]
	v_add_u32_e32 v6, 1, v4
	v_add_u32_e32 v4, -1, v5
	v_min_u32_e32 v4, v6, v4
	v_mad_u64_u32 v[4:5], s[10:11], v4, 20, v[8:9]
	ds_read_b32 v4, v4
	v_cndmask_b32_e64 v0, v0, v3, s[4:5]
	v_cndmask_b32_e64 v2, v2, v6, s[8:9]
	;; [unrolled: 1-line block ×3, first 2 shown]
	v_cmp_lt_u32_e64 s[4:5], v2, v1
	s_waitcnt lgkmcnt(0)
	v_cndmask_b32_e64 v3, v24, v4, s[8:9]
	v_cndmask_b32_e64 v4, v4, v14, s[8:9]
	v_min_i32_e32 v6, v4, v3
	v_cndmask_b32_e64 v1, v4, v6, s[4:5]
	v_cmp_lt_u32_e64 s[4:5], v5, v7
	v_cndmask_b32_e64 v12, v9, v10, s[6:7]
	v_cndmask_b32_e64 v10, v14, v24, s[8:9]
	;; [unrolled: 1-line block ×3, first 2 shown]
	v_mov_b32_e32 v1, v0
	v_mov_b32_e32 v3, v12
	v_mov_b32_e32 v11, v10
	v_mov_b32_e32 v9, v14
	v_pk_mov_b32 v[4:5], v[0:1], v[0:1] op_sel:[0,1]
.LBB1407_124:
	s_or_b64 exec, exec, s[16:17]
	v_mov_b32_e32 v6, v4
	v_mov_b32_e32 v7, v5
	; wave barrier
	ds_write_b128 v23, v[4:7]
	v_mov_b32_e32 v1, v12
	v_mov_b32_e32 v2, v3
	v_and_b32_e32 v6, 0x1c0, v22
	ds_write_b96 v23, v[0:2] offset:16
	ds_write2_b32 v23, v12, v3 offset0:7 offset1:8
	v_or_b32_e32 v1, 32, v6
	v_mov_b32_e32 v2, v10
	v_mov_b32_e32 v3, v11
	v_min_u32_e32 v1, v19, v1
	ds_write2_b64 v23, v[10:11], v[2:3] offset0:5 offset1:6
	ds_write2_b32 v23, v12, v10 offset0:9 offset1:14
	ds_write2_b32 v23, v14, v9 offset0:15 offset1:16
	;; [unrolled: 1-line block ×3, first 2 shown]
	ds_write_b32 v23, v14 offset:76
	v_add_u32_e32 v2, 32, v1
	v_min_u32_e32 v3, v19, v2
	v_and_b32_e32 v2, 60, v22
	v_min_u32_e32 v7, v19, v2
	v_sub_u32_e32 v4, v1, v6
	v_sub_u32_e32 v5, v3, v1
	v_sub_u32_e64 v5, v7, v5 clamp
	v_min_u32_e32 v9, v7, v4
	v_mad_u32_u24 v2, v6, 20, v8
	v_cmp_lt_u32_e64 s[4:5], v5, v9
	; wave barrier
	s_and_saveexec_b64 s[6:7], s[4:5]
	s_cbranch_execz .LBB1407_128
; %bb.125:
	v_mul_u32_u24_e32 v4, 20, v1
	v_mul_u32_u24_e32 v11, 20, v7
	v_add3_u32 v4, v8, v4, v11
	s_mov_b64 s[8:9], 0
.LBB1407_126:                           ; =>This Inner Loop Header: Depth=1
	v_add_u32_e32 v11, v9, v5
	v_lshrrev_b32_e32 v11, 1, v11
	v_not_b32_e32 v19, v11
	v_mad_u64_u32 v[22:23], s[4:5], v11, 20, v[2:3]
	v_mad_u64_u32 v[24:25], s[4:5], v19, 20, v[4:5]
	ds_read_b32 v19, v22
	ds_read_b32 v22, v24
	v_add_u32_e32 v23, 1, v11
	s_waitcnt lgkmcnt(0)
	v_cmp_lt_i32_e64 s[4:5], v22, v19
	v_cndmask_b32_e64 v9, v9, v11, s[4:5]
	v_cndmask_b32_e64 v5, v23, v5, s[4:5]
	v_cmp_ge_u32_e64 s[4:5], v5, v9
	s_or_b64 s[8:9], s[4:5], s[8:9]
	s_andn2_b64 exec, exec, s[8:9]
	s_cbranch_execnz .LBB1407_126
; %bb.127:
	s_or_b64 exec, exec, s[8:9]
.LBB1407_128:
	s_or_b64 exec, exec, s[6:7]
	v_add_u32_e32 v4, v1, v7
	v_add_u32_e32 v6, v5, v6
	v_sub_u32_e32 v7, v4, v5
	v_cmp_le_u32_e64 s[4:5], v6, v1
	v_cmp_le_u32_e64 s[6:7], v7, v3
	s_or_b64 s[4:5], s[4:5], s[6:7]
	s_and_saveexec_b64 s[16:17], s[4:5]
	s_cbranch_execz .LBB1407_134
; %bb.129:
	v_cmp_lt_u32_e64 s[4:5], v6, v1
	v_mov_b32_e32 v0, 0
	v_mov_b32_e32 v4, 0
	s_and_saveexec_b64 s[6:7], s[4:5]
	s_cbranch_execz .LBB1407_131
; %bb.130:
	v_mad_u64_u32 v[4:5], s[8:9], v5, 20, v[2:3]
	ds_read_b32 v4, v4
.LBB1407_131:
	s_or_b64 exec, exec, s[6:7]
	v_cmp_ge_u32_e64 s[6:7], v7, v3
	v_cmp_lt_u32_e64 s[8:9], v7, v3
	s_and_saveexec_b64 s[10:11], s[8:9]
	s_cbranch_execz .LBB1407_133
; %bb.132:
	v_mad_u64_u32 v[10:11], s[8:9], v7, 20, v[8:9]
	ds_read_b32 v0, v10
.LBB1407_133:
	s_or_b64 exec, exec, s[10:11]
	s_waitcnt lgkmcnt(0)
	v_cmp_ge_i32_e64 s[8:9], v0, v4
	s_and_b64 s[4:5], s[4:5], s[8:9]
	s_or_b64 s[4:5], s[6:7], s[4:5]
	v_cndmask_b32_e64 v2, v7, v6, s[4:5]
	v_cndmask_b32_e64 v5, v3, v1, s[4:5]
	v_add_u32_e32 v2, 1, v2
	v_add_u32_e32 v5, -1, v5
	v_min_u32_e32 v5, v2, v5
	v_mad_u64_u32 v[10:11], s[6:7], v5, 20, v[8:9]
	ds_read_b32 v5, v10
	v_cndmask_b32_e64 v10, v2, v7, s[4:5]
	v_cndmask_b32_e64 v2, v6, v2, s[4:5]
	v_cmp_lt_u32_e64 s[8:9], v2, v1
	v_cmp_ge_u32_e64 s[6:7], v10, v3
	s_waitcnt lgkmcnt(0)
	v_cndmask_b32_e64 v9, v5, v0, s[4:5]
	v_cndmask_b32_e64 v5, v4, v5, s[4:5]
	v_cmp_ge_i32_e64 s[10:11], v9, v5
	s_and_b64 s[8:9], s[8:9], s[10:11]
	s_or_b64 s[6:7], s[6:7], s[8:9]
	v_cndmask_b32_e64 v6, v10, v2, s[6:7]
	v_cndmask_b32_e64 v7, v3, v1, s[6:7]
	v_add_u32_e32 v11, 1, v6
	v_add_u32_e32 v6, -1, v7
	v_min_u32_e32 v6, v11, v6
	v_mad_u64_u32 v[6:7], s[8:9], v6, 20, v[8:9]
	ds_read_b32 v6, v6
	v_cndmask_b32_e64 v2, v2, v11, s[6:7]
	v_cndmask_b32_e64 v22, v11, v10, s[6:7]
	v_cmp_lt_u32_e64 s[10:11], v2, v1
	v_cmp_ge_u32_e64 s[8:9], v22, v3
	s_waitcnt lgkmcnt(0)
	v_cndmask_b32_e64 v14, v6, v9, s[6:7]
	v_cndmask_b32_e64 v19, v5, v6, s[6:7]
	v_cmp_ge_i32_e64 s[12:13], v14, v19
	s_and_b64 s[10:11], s[10:11], s[12:13]
	s_or_b64 s[8:9], s[8:9], s[10:11]
	v_cndmask_b32_e64 v6, v22, v2, s[8:9]
	v_cndmask_b32_e64 v7, v3, v1, s[8:9]
	v_add_u32_e32 v11, 1, v6
	v_add_u32_e32 v6, -1, v7
	v_min_u32_e32 v6, v11, v6
	v_mad_u64_u32 v[6:7], s[10:11], v6, 20, v[8:9]
	ds_read_b32 v6, v6
	v_cndmask_b32_e64 v0, v0, v4, s[4:5]
	v_cndmask_b32_e64 v2, v2, v11, s[8:9]
	;; [unrolled: 1-line block ×4, first 2 shown]
	s_waitcnt lgkmcnt(0)
	v_cndmask_b32_e64 v4, v19, v6, s[8:9]
	v_cndmask_b32_e64 v6, v6, v14, s[8:9]
	v_min_i32_e32 v7, v6, v4
	v_cmp_lt_u32_e64 s[4:5], v2, v1
	v_cndmask_b32_e64 v1, v6, v7, s[4:5]
	v_cmp_lt_u32_e64 s[4:5], v5, v3
	v_cndmask_b32_e64 v10, v14, v19, s[8:9]
	v_cndmask_b32_e64 v14, v4, v1, s[4:5]
.LBB1407_134:
	s_or_b64 exec, exec, s[16:17]
	s_cmpk_lt_u32 s18, 0x41
	; wave barrier
	s_waitcnt lgkmcnt(0)
	s_barrier
	s_cbranch_scc1 .LBB1407_147
; %bb.135:
	v_mul_u32_u24_e32 v5, 20, v15
	s_mov_b32 s19, 64
	s_branch .LBB1407_138
.LBB1407_136:                           ;   in Loop: Header=BB1407_138 Depth=1
	s_or_b64 exec, exec, s[10:11]
	s_waitcnt lgkmcnt(0)
	v_cmp_ge_i32_e64 s[8:9], v0, v4
	s_and_b64 s[4:5], s[4:5], s[8:9]
	s_or_b64 s[4:5], s[6:7], s[4:5]
	v_cndmask_b32_e64 v2, v8, v7, s[4:5]
	v_cndmask_b32_e64 v6, v3, v1, s[4:5]
	v_add_u32_e32 v2, 1, v2
	v_add_u32_e32 v6, -1, v6
	v_min_u32_e32 v6, v2, v6
	v_mul_lo_u32 v6, v6, 20
	ds_read_b32 v6, v6
	v_cndmask_b32_e64 v8, v2, v8, s[4:5]
	v_cndmask_b32_e64 v2, v7, v2, s[4:5]
	v_cmp_lt_u32_e64 s[8:9], v2, v1
	v_cmp_ge_u32_e64 s[6:7], v8, v3
	s_waitcnt lgkmcnt(0)
	v_cndmask_b32_e64 v9, v6, v0, s[4:5]
	v_cndmask_b32_e64 v6, v4, v6, s[4:5]
	v_cmp_ge_i32_e64 s[10:11], v9, v6
	s_and_b64 s[8:9], s[8:9], s[10:11]
	s_or_b64 s[6:7], s[6:7], s[8:9]
	v_cndmask_b32_e64 v7, v8, v2, s[6:7]
	v_cndmask_b32_e64 v10, v3, v1, s[6:7]
	v_add_u32_e32 v7, 1, v7
	v_add_u32_e32 v10, -1, v10
	v_min_u32_e32 v10, v7, v10
	v_mul_lo_u32 v10, v10, 20
	ds_read_b32 v10, v10
	v_cndmask_b32_e64 v2, v2, v7, s[6:7]
	v_cndmask_b32_e64 v8, v7, v8, s[6:7]
	v_cmp_lt_u32_e64 s[10:11], v2, v1
	v_cmp_ge_u32_e64 s[8:9], v8, v3
	s_waitcnt lgkmcnt(0)
	v_cndmask_b32_e64 v11, v10, v9, s[6:7]
	v_cndmask_b32_e64 v14, v6, v10, s[6:7]
	v_cmp_ge_i32_e64 s[12:13], v11, v14
	s_and_b64 s[10:11], s[10:11], s[12:13]
	s_or_b64 s[8:9], s[8:9], s[10:11]
	v_cndmask_b32_e64 v7, v8, v2, s[8:9]
	v_cndmask_b32_e64 v10, v3, v1, s[8:9]
	v_add_u32_e32 v7, 1, v7
	v_add_u32_e32 v10, -1, v10
	v_min_u32_e32 v10, v7, v10
	v_mul_lo_u32 v10, v10, 20
	ds_read_b32 v19, v10
	v_cndmask_b32_e64 v0, v0, v4, s[4:5]
	v_cndmask_b32_e64 v12, v9, v6, s[6:7]
	;; [unrolled: 1-line block ×4, first 2 shown]
	s_waitcnt lgkmcnt(0)
	v_cndmask_b32_e64 v4, v14, v19, s[8:9]
	v_cndmask_b32_e64 v8, v19, v11, s[8:9]
	v_min_i32_e32 v7, v8, v4
	v_cmp_lt_u32_e64 s[4:5], v2, v1
	v_cndmask_b32_e64 v1, v8, v7, s[4:5]
	v_cmp_lt_u32_e64 s[4:5], v6, v3
	v_cndmask_b32_e64 v10, v11, v14, s[8:9]
	v_cndmask_b32_e64 v14, v4, v1, s[4:5]
.LBB1407_137:                           ;   in Loop: Header=BB1407_138 Depth=1
	s_or_b64 exec, exec, s[16:17]
	s_cmp_lt_u32 s19, s18
	s_barrier
	s_cbranch_scc0 .LBB1407_147
.LBB1407_138:                           ; =>This Loop Header: Depth=1
                                        ;     Child Loop BB1407_140 Depth 2
	s_mov_b32 s4, s19
	s_lshl_b32 s19, s19, 1
	v_mov_b32_e32 v1, v0
	v_mov_b32_e32 v2, v0
	;; [unrolled: 1-line block ×3, first 2 shown]
	s_sub_i32 s6, 0, s19
	ds_write_b128 v5, v[0:3]
	v_mov_b32_e32 v1, v12
	v_mov_b32_e32 v2, v12
	v_and_b32_e32 v7, s6, v15
	ds_write_b96 v5, v[0:2] offset:16
	ds_write2_b32 v5, v12, v12 offset0:7 offset1:8
	v_add_u32_e32 v1, s4, v7
	v_mov_b32_e32 v11, v10
	v_mov_b32_e32 v2, v10
	;; [unrolled: 1-line block ×3, first 2 shown]
	v_min_u32_e32 v1, s18, v1
	ds_write2_b64 v5, v[10:11], v[2:3] offset0:5 offset1:6
	ds_write2_b32 v5, v12, v10 offset0:9 offset1:14
	ds_write2_b32 v5, v14, v14 offset0:15 offset1:16
	;; [unrolled: 1-line block ×3, first 2 shown]
	ds_write_b32 v5, v14 offset:76
	s_add_i32 s5, s19, -1
	v_add_u32_e32 v2, s4, v1
	v_min_u32_e32 v3, s18, v2
	v_and_b32_e32 v2, s5, v15
	v_min_u32_e32 v8, s18, v2
	v_sub_u32_e32 v4, v1, v7
	v_sub_u32_e32 v6, v3, v1
	v_sub_u32_e64 v6, v8, v6 clamp
	v_min_u32_e32 v9, v8, v4
	v_mul_u32_u24_e32 v2, 20, v7
	v_cmp_lt_u32_e64 s[4:5], v6, v9
	s_waitcnt lgkmcnt(0)
	s_barrier
	s_and_saveexec_b64 s[6:7], s[4:5]
	s_cbranch_execz .LBB1407_142
; %bb.139:                              ;   in Loop: Header=BB1407_138 Depth=1
	v_mul_lo_u32 v4, v1, 20
	v_mad_u32_u24 v4, v8, 20, v4
	s_mov_b64 s[8:9], 0
.LBB1407_140:                           ;   Parent Loop BB1407_138 Depth=1
                                        ; =>  This Inner Loop Header: Depth=2
	v_add_u32_e32 v11, v9, v6
	v_lshrrev_b32_e32 v11, 1, v11
	v_not_b32_e32 v19, v11
	v_mad_u64_u32 v[22:23], s[4:5], v11, 20, v[2:3]
	v_mad_u64_u32 v[24:25], s[4:5], v19, 20, v[4:5]
	ds_read_b32 v19, v22
	ds_read_b32 v22, v24
	v_add_u32_e32 v23, 1, v11
	s_waitcnt lgkmcnt(0)
	v_cmp_lt_i32_e64 s[4:5], v22, v19
	v_cndmask_b32_e64 v9, v9, v11, s[4:5]
	v_cndmask_b32_e64 v6, v23, v6, s[4:5]
	v_cmp_ge_u32_e64 s[4:5], v6, v9
	s_or_b64 s[8:9], s[4:5], s[8:9]
	s_andn2_b64 exec, exec, s[8:9]
	s_cbranch_execnz .LBB1407_140
; %bb.141:                              ;   in Loop: Header=BB1407_138 Depth=1
	s_or_b64 exec, exec, s[8:9]
.LBB1407_142:                           ;   in Loop: Header=BB1407_138 Depth=1
	s_or_b64 exec, exec, s[6:7]
	v_sub_u32_e32 v4, v8, v6
	v_add_u32_e32 v7, v6, v7
	v_add_u32_e32 v8, v4, v1
	v_cmp_le_u32_e64 s[4:5], v7, v1
	v_cmp_le_u32_e64 s[6:7], v8, v3
	s_or_b64 s[4:5], s[4:5], s[6:7]
	s_and_saveexec_b64 s[16:17], s[4:5]
	s_cbranch_execz .LBB1407_137
; %bb.143:                              ;   in Loop: Header=BB1407_138 Depth=1
	v_cmp_lt_u32_e64 s[4:5], v7, v1
	v_mov_b32_e32 v0, 0
	v_mov_b32_e32 v4, 0
	s_and_saveexec_b64 s[6:7], s[4:5]
	s_cbranch_execz .LBB1407_145
; %bb.144:                              ;   in Loop: Header=BB1407_138 Depth=1
	v_mad_u64_u32 v[10:11], s[8:9], v6, 20, v[2:3]
	ds_read_b32 v4, v10
.LBB1407_145:                           ;   in Loop: Header=BB1407_138 Depth=1
	s_or_b64 exec, exec, s[6:7]
	v_cmp_ge_u32_e64 s[6:7], v8, v3
	v_cmp_lt_u32_e64 s[8:9], v8, v3
	s_and_saveexec_b64 s[10:11], s[8:9]
	s_cbranch_execz .LBB1407_136
; %bb.146:                              ;   in Loop: Header=BB1407_138 Depth=1
	v_mul_lo_u32 v0, v8, 20
	ds_read_b32 v0, v0
	s_branch .LBB1407_136
.LBB1407_147:
	s_barrier
	ds_write2_b32 v21, v0, v0 offset1:1
	ds_write2_b32 v21, v0, v0 offset0:2 offset1:3
	ds_write2_b32 v21, v12, v12 offset0:5 offset1:6
	;; [unrolled: 1-line block ×9, first 2 shown]
	s_waitcnt lgkmcnt(0)
	s_barrier
	ds_read_b32 v4, v17 offset:5120
	ds_read_b32 v2, v18 offset:10240
	;; [unrolled: 1-line block ×3, first 2 shown]
	v_mad_u64_u32 v[8:9], s[4:5], v13, 20, s[14:15]
	s_and_saveexec_b64 s[4:5], vcc
	s_cbranch_execnz .LBB1407_155
; %bb.148:
	s_or_b64 exec, exec, s[4:5]
	s_and_saveexec_b64 s[4:5], s[2:3]
	s_cbranch_execnz .LBB1407_156
.LBB1407_149:
	s_or_b64 exec, exec, s[4:5]
	s_and_saveexec_b64 s[2:3], s[0:1]
	s_cbranch_execz .LBB1407_151
.LBB1407_150:
	v_add_co_u32_e32 v6, vcc, 0x2000, v8
	s_waitcnt lgkmcnt(0)
	v_mov_b32_e32 v3, v2
	v_mov_b32_e32 v4, v2
	;; [unrolled: 1-line block ×3, first 2 shown]
	v_addc_co_u32_e32 v7, vcc, 0, v9, vcc
	flat_store_dwordx4 v[6:7], v[2:5] offset:2048
	flat_store_dword v[6:7], v2 offset:2064
.LBB1407_151:
	s_or_b64 exec, exec, s[2:3]
.LBB1407_152:
	s_and_saveexec_b64 s[0:1], s[22:23]
	s_cbranch_execz .LBB1407_154
; %bb.153:
	s_waitcnt lgkmcnt(0)
	v_add_co_u32_e32 v4, vcc, 0x3000, v8
	v_mov_b32_e32 v1, v0
	v_mov_b32_e32 v2, v0
	v_mov_b32_e32 v3, v0
	v_addc_co_u32_e32 v5, vcc, 0, v9, vcc
	flat_store_dwordx4 v[4:5], v[0:3] offset:3072
	flat_store_dword v[4:5], v0 offset:3088
.LBB1407_154:
	s_endpgm
.LBB1407_155:
	ds_read_b32 v10, v16
	s_waitcnt lgkmcnt(0)
	v_mov_b32_e32 v11, v10
	v_mov_b32_e32 v12, v10
	;; [unrolled: 1-line block ×3, first 2 shown]
	flat_store_dwordx4 v[8:9], v[10:13]
	flat_store_dword v[8:9], v10 offset:16
	s_or_b64 exec, exec, s[4:5]
	s_and_saveexec_b64 s[4:5], s[2:3]
	s_cbranch_execz .LBB1407_149
.LBB1407_156:
	v_add_co_u32_e32 v10, vcc, 0x1000, v8
	s_waitcnt lgkmcnt(0)
	v_mov_b32_e32 v5, v4
	v_mov_b32_e32 v6, v4
	;; [unrolled: 1-line block ×3, first 2 shown]
	v_addc_co_u32_e32 v11, vcc, 0, v9, vcc
	flat_store_dwordx4 v[10:11], v[4:7] offset:1024
	flat_store_dword v[10:11], v4 offset:1040
	s_or_b64 exec, exec, s[4:5]
	s_and_saveexec_b64 s[2:3], s[0:1]
	s_cbranch_execnz .LBB1407_150
	s_branch .LBB1407_151
	.section	.rodata,"a",@progbits
	.p2align	6, 0x0
	.amdhsa_kernel _ZN7rocprim17ROCPRIM_400000_NS6detail17trampoline_kernelINS0_14default_configENS1_37merge_sort_block_sort_config_selectorI14custom_numericNS0_10empty_typeEEEZNS1_21merge_sort_block_sortIS3_N6thrust23THRUST_200600_302600_NS6detail15normal_iteratorINSA_10device_ptrIS5_EEEESF_PS6_SG_NSA_4lessIS5_EEEE10hipError_tT0_T1_T2_T3_mRjT4_P12ihipStream_tbNS1_7vsmem_tEEUlT_E_NS1_11comp_targetILNS1_3genE4ELNS1_11target_archE910ELNS1_3gpuE8ELNS1_3repE0EEENS1_30default_config_static_selectorELNS0_4arch9wavefront6targetE1EEEvSL_
		.amdhsa_group_segment_fixed_size 21120
		.amdhsa_private_segment_fixed_size 0
		.amdhsa_kernarg_size 320
		.amdhsa_user_sgpr_count 6
		.amdhsa_user_sgpr_private_segment_buffer 1
		.amdhsa_user_sgpr_dispatch_ptr 0
		.amdhsa_user_sgpr_queue_ptr 0
		.amdhsa_user_sgpr_kernarg_segment_ptr 1
		.amdhsa_user_sgpr_dispatch_id 0
		.amdhsa_user_sgpr_flat_scratch_init 0
		.amdhsa_user_sgpr_kernarg_preload_length 0
		.amdhsa_user_sgpr_kernarg_preload_offset 0
		.amdhsa_user_sgpr_private_segment_size 0
		.amdhsa_uses_dynamic_stack 0
		.amdhsa_system_sgpr_private_segment_wavefront_offset 0
		.amdhsa_system_sgpr_workgroup_id_x 1
		.amdhsa_system_sgpr_workgroup_id_y 1
		.amdhsa_system_sgpr_workgroup_id_z 1
		.amdhsa_system_sgpr_workgroup_info 0
		.amdhsa_system_vgpr_workitem_id 2
		.amdhsa_next_free_vgpr 40
		.amdhsa_next_free_sgpr 24
		.amdhsa_accum_offset 40
		.amdhsa_reserve_vcc 1
		.amdhsa_reserve_flat_scratch 0
		.amdhsa_float_round_mode_32 0
		.amdhsa_float_round_mode_16_64 0
		.amdhsa_float_denorm_mode_32 3
		.amdhsa_float_denorm_mode_16_64 3
		.amdhsa_dx10_clamp 1
		.amdhsa_ieee_mode 1
		.amdhsa_fp16_overflow 0
		.amdhsa_tg_split 0
		.amdhsa_exception_fp_ieee_invalid_op 0
		.amdhsa_exception_fp_denorm_src 0
		.amdhsa_exception_fp_ieee_div_zero 0
		.amdhsa_exception_fp_ieee_overflow 0
		.amdhsa_exception_fp_ieee_underflow 0
		.amdhsa_exception_fp_ieee_inexact 0
		.amdhsa_exception_int_div_zero 0
	.end_amdhsa_kernel
	.section	.text._ZN7rocprim17ROCPRIM_400000_NS6detail17trampoline_kernelINS0_14default_configENS1_37merge_sort_block_sort_config_selectorI14custom_numericNS0_10empty_typeEEEZNS1_21merge_sort_block_sortIS3_N6thrust23THRUST_200600_302600_NS6detail15normal_iteratorINSA_10device_ptrIS5_EEEESF_PS6_SG_NSA_4lessIS5_EEEE10hipError_tT0_T1_T2_T3_mRjT4_P12ihipStream_tbNS1_7vsmem_tEEUlT_E_NS1_11comp_targetILNS1_3genE4ELNS1_11target_archE910ELNS1_3gpuE8ELNS1_3repE0EEENS1_30default_config_static_selectorELNS0_4arch9wavefront6targetE1EEEvSL_,"axG",@progbits,_ZN7rocprim17ROCPRIM_400000_NS6detail17trampoline_kernelINS0_14default_configENS1_37merge_sort_block_sort_config_selectorI14custom_numericNS0_10empty_typeEEEZNS1_21merge_sort_block_sortIS3_N6thrust23THRUST_200600_302600_NS6detail15normal_iteratorINSA_10device_ptrIS5_EEEESF_PS6_SG_NSA_4lessIS5_EEEE10hipError_tT0_T1_T2_T3_mRjT4_P12ihipStream_tbNS1_7vsmem_tEEUlT_E_NS1_11comp_targetILNS1_3genE4ELNS1_11target_archE910ELNS1_3gpuE8ELNS1_3repE0EEENS1_30default_config_static_selectorELNS0_4arch9wavefront6targetE1EEEvSL_,comdat
.Lfunc_end1407:
	.size	_ZN7rocprim17ROCPRIM_400000_NS6detail17trampoline_kernelINS0_14default_configENS1_37merge_sort_block_sort_config_selectorI14custom_numericNS0_10empty_typeEEEZNS1_21merge_sort_block_sortIS3_N6thrust23THRUST_200600_302600_NS6detail15normal_iteratorINSA_10device_ptrIS5_EEEESF_PS6_SG_NSA_4lessIS5_EEEE10hipError_tT0_T1_T2_T3_mRjT4_P12ihipStream_tbNS1_7vsmem_tEEUlT_E_NS1_11comp_targetILNS1_3genE4ELNS1_11target_archE910ELNS1_3gpuE8ELNS1_3repE0EEENS1_30default_config_static_selectorELNS0_4arch9wavefront6targetE1EEEvSL_, .Lfunc_end1407-_ZN7rocprim17ROCPRIM_400000_NS6detail17trampoline_kernelINS0_14default_configENS1_37merge_sort_block_sort_config_selectorI14custom_numericNS0_10empty_typeEEEZNS1_21merge_sort_block_sortIS3_N6thrust23THRUST_200600_302600_NS6detail15normal_iteratorINSA_10device_ptrIS5_EEEESF_PS6_SG_NSA_4lessIS5_EEEE10hipError_tT0_T1_T2_T3_mRjT4_P12ihipStream_tbNS1_7vsmem_tEEUlT_E_NS1_11comp_targetILNS1_3genE4ELNS1_11target_archE910ELNS1_3gpuE8ELNS1_3repE0EEENS1_30default_config_static_selectorELNS0_4arch9wavefront6targetE1EEEvSL_
                                        ; -- End function
	.section	.AMDGPU.csdata,"",@progbits
; Kernel info:
; codeLenInByte = 12532
; NumSgprs: 28
; NumVgprs: 40
; NumAgprs: 0
; TotalNumVgprs: 40
; ScratchSize: 0
; MemoryBound: 0
; FloatMode: 240
; IeeeMode: 1
; LDSByteSize: 21120 bytes/workgroup (compile time only)
; SGPRBlocks: 3
; VGPRBlocks: 4
; NumSGPRsForWavesPerEU: 28
; NumVGPRsForWavesPerEU: 40
; AccumOffset: 40
; Occupancy: 3
; WaveLimiterHint : 1
; COMPUTE_PGM_RSRC2:SCRATCH_EN: 0
; COMPUTE_PGM_RSRC2:USER_SGPR: 6
; COMPUTE_PGM_RSRC2:TRAP_HANDLER: 0
; COMPUTE_PGM_RSRC2:TGID_X_EN: 1
; COMPUTE_PGM_RSRC2:TGID_Y_EN: 1
; COMPUTE_PGM_RSRC2:TGID_Z_EN: 1
; COMPUTE_PGM_RSRC2:TIDIG_COMP_CNT: 2
; COMPUTE_PGM_RSRC3_GFX90A:ACCUM_OFFSET: 9
; COMPUTE_PGM_RSRC3_GFX90A:TG_SPLIT: 0
	.section	.text._ZN6thrust23THRUST_200600_302600_NS11hip_rocprim14__parallel_for6kernelILj256ENS1_20__uninitialized_copy7functorINS0_10device_ptrI14custom_numericEENS0_7pointerIS7_NS1_3tagENS0_11use_defaultESB_EEEEmLj1EEEvT0_T1_SF_,"axG",@progbits,_ZN6thrust23THRUST_200600_302600_NS11hip_rocprim14__parallel_for6kernelILj256ENS1_20__uninitialized_copy7functorINS0_10device_ptrI14custom_numericEENS0_7pointerIS7_NS1_3tagENS0_11use_defaultESB_EEEEmLj1EEEvT0_T1_SF_,comdat
	.protected	_ZN6thrust23THRUST_200600_302600_NS11hip_rocprim14__parallel_for6kernelILj256ENS1_20__uninitialized_copy7functorINS0_10device_ptrI14custom_numericEENS0_7pointerIS7_NS1_3tagENS0_11use_defaultESB_EEEEmLj1EEEvT0_T1_SF_ ; -- Begin function _ZN6thrust23THRUST_200600_302600_NS11hip_rocprim14__parallel_for6kernelILj256ENS1_20__uninitialized_copy7functorINS0_10device_ptrI14custom_numericEENS0_7pointerIS7_NS1_3tagENS0_11use_defaultESB_EEEEmLj1EEEvT0_T1_SF_
	.globl	_ZN6thrust23THRUST_200600_302600_NS11hip_rocprim14__parallel_for6kernelILj256ENS1_20__uninitialized_copy7functorINS0_10device_ptrI14custom_numericEENS0_7pointerIS7_NS1_3tagENS0_11use_defaultESB_EEEEmLj1EEEvT0_T1_SF_
	.p2align	8
	.type	_ZN6thrust23THRUST_200600_302600_NS11hip_rocprim14__parallel_for6kernelILj256ENS1_20__uninitialized_copy7functorINS0_10device_ptrI14custom_numericEENS0_7pointerIS7_NS1_3tagENS0_11use_defaultESB_EEEEmLj1EEEvT0_T1_SF_,@function
_ZN6thrust23THRUST_200600_302600_NS11hip_rocprim14__parallel_for6kernelILj256ENS1_20__uninitialized_copy7functorINS0_10device_ptrI14custom_numericEENS0_7pointerIS7_NS1_3tagENS0_11use_defaultESB_EEEEmLj1EEEvT0_T1_SF_: ; @_ZN6thrust23THRUST_200600_302600_NS11hip_rocprim14__parallel_for6kernelILj256ENS1_20__uninitialized_copy7functorINS0_10device_ptrI14custom_numericEENS0_7pointerIS7_NS1_3tagENS0_11use_defaultESB_EEEEmLj1EEEvT0_T1_SF_
; %bb.0:
	s_load_dwordx8 s[8:15], s[4:5], 0x0
	s_lshl_b32 s0, s6, 8
	v_mov_b32_e32 v2, 0x100
	v_mov_b32_e32 v3, 0
	s_waitcnt lgkmcnt(0)
	s_add_u32 s4, s0, s14
	s_addc_u32 s5, 0, s15
	s_sub_u32 s0, s12, s4
	s_subb_u32 s1, s13, s5
	v_cmp_lt_u64_e32 vcc, s[0:1], v[2:3]
	s_cbranch_vccz .LBB1408_2
; %bb.1:
	v_cmp_gt_u32_e32 vcc, s0, v0
	s_and_b64 s[0:1], vcc, exec
	s_cbranch_execz .LBB1408_3
	s_branch .LBB1408_4
.LBB1408_2:
	s_mov_b64 s[0:1], 0
.LBB1408_3:
	s_or_b64 s[0:1], s[0:1], exec
.LBB1408_4:
	s_and_saveexec_b64 s[2:3], s[0:1]
	s_cbranch_execnz .LBB1408_6
; %bb.5:
	s_endpgm
.LBB1408_6:
	v_mov_b32_e32 v1, s5
	v_add_co_u32_e32 v4, vcc, s4, v0
	v_mov_b32_e32 v2, s8
	v_mov_b32_e32 v3, s9
	v_addc_co_u32_e32 v5, vcc, 0, v1, vcc
	v_mad_u64_u32 v[0:1], s[0:1], v4, 20, v[2:3]
	v_mul_lo_u32 v6, v5, 20
	v_add_u32_e32 v1, v6, v1
	flat_load_dword v0, v[0:1]
	v_mov_b32_e32 v2, s10
	v_mov_b32_e32 v3, s11
	v_mad_u64_u32 v[4:5], s[0:1], v4, 20, v[2:3]
	v_add_u32_e32 v5, v6, v5
	s_waitcnt vmcnt(0) lgkmcnt(0)
	v_mov_b32_e32 v1, v0
	v_mov_b32_e32 v2, v0
	;; [unrolled: 1-line block ×3, first 2 shown]
	flat_store_dwordx4 v[4:5], v[0:3]
	flat_store_dword v[4:5], v0 offset:16
	s_endpgm
	.section	.rodata,"a",@progbits
	.p2align	6, 0x0
	.amdhsa_kernel _ZN6thrust23THRUST_200600_302600_NS11hip_rocprim14__parallel_for6kernelILj256ENS1_20__uninitialized_copy7functorINS0_10device_ptrI14custom_numericEENS0_7pointerIS7_NS1_3tagENS0_11use_defaultESB_EEEEmLj1EEEvT0_T1_SF_
		.amdhsa_group_segment_fixed_size 0
		.amdhsa_private_segment_fixed_size 0
		.amdhsa_kernarg_size 32
		.amdhsa_user_sgpr_count 6
		.amdhsa_user_sgpr_private_segment_buffer 1
		.amdhsa_user_sgpr_dispatch_ptr 0
		.amdhsa_user_sgpr_queue_ptr 0
		.amdhsa_user_sgpr_kernarg_segment_ptr 1
		.amdhsa_user_sgpr_dispatch_id 0
		.amdhsa_user_sgpr_flat_scratch_init 0
		.amdhsa_user_sgpr_kernarg_preload_length 0
		.amdhsa_user_sgpr_kernarg_preload_offset 0
		.amdhsa_user_sgpr_private_segment_size 0
		.amdhsa_uses_dynamic_stack 0
		.amdhsa_system_sgpr_private_segment_wavefront_offset 0
		.amdhsa_system_sgpr_workgroup_id_x 1
		.amdhsa_system_sgpr_workgroup_id_y 0
		.amdhsa_system_sgpr_workgroup_id_z 0
		.amdhsa_system_sgpr_workgroup_info 0
		.amdhsa_system_vgpr_workitem_id 0
		.amdhsa_next_free_vgpr 7
		.amdhsa_next_free_sgpr 16
		.amdhsa_accum_offset 8
		.amdhsa_reserve_vcc 1
		.amdhsa_reserve_flat_scratch 0
		.amdhsa_float_round_mode_32 0
		.amdhsa_float_round_mode_16_64 0
		.amdhsa_float_denorm_mode_32 3
		.amdhsa_float_denorm_mode_16_64 3
		.amdhsa_dx10_clamp 1
		.amdhsa_ieee_mode 1
		.amdhsa_fp16_overflow 0
		.amdhsa_tg_split 0
		.amdhsa_exception_fp_ieee_invalid_op 0
		.amdhsa_exception_fp_denorm_src 0
		.amdhsa_exception_fp_ieee_div_zero 0
		.amdhsa_exception_fp_ieee_overflow 0
		.amdhsa_exception_fp_ieee_underflow 0
		.amdhsa_exception_fp_ieee_inexact 0
		.amdhsa_exception_int_div_zero 0
	.end_amdhsa_kernel
	.section	.text._ZN6thrust23THRUST_200600_302600_NS11hip_rocprim14__parallel_for6kernelILj256ENS1_20__uninitialized_copy7functorINS0_10device_ptrI14custom_numericEENS0_7pointerIS7_NS1_3tagENS0_11use_defaultESB_EEEEmLj1EEEvT0_T1_SF_,"axG",@progbits,_ZN6thrust23THRUST_200600_302600_NS11hip_rocprim14__parallel_for6kernelILj256ENS1_20__uninitialized_copy7functorINS0_10device_ptrI14custom_numericEENS0_7pointerIS7_NS1_3tagENS0_11use_defaultESB_EEEEmLj1EEEvT0_T1_SF_,comdat
.Lfunc_end1408:
	.size	_ZN6thrust23THRUST_200600_302600_NS11hip_rocprim14__parallel_for6kernelILj256ENS1_20__uninitialized_copy7functorINS0_10device_ptrI14custom_numericEENS0_7pointerIS7_NS1_3tagENS0_11use_defaultESB_EEEEmLj1EEEvT0_T1_SF_, .Lfunc_end1408-_ZN6thrust23THRUST_200600_302600_NS11hip_rocprim14__parallel_for6kernelILj256ENS1_20__uninitialized_copy7functorINS0_10device_ptrI14custom_numericEENS0_7pointerIS7_NS1_3tagENS0_11use_defaultESB_EEEEmLj1EEEvT0_T1_SF_
                                        ; -- End function
	.section	.AMDGPU.csdata,"",@progbits
; Kernel info:
; codeLenInByte = 192
; NumSgprs: 20
; NumVgprs: 7
; NumAgprs: 0
; TotalNumVgprs: 7
; ScratchSize: 0
; MemoryBound: 0
; FloatMode: 240
; IeeeMode: 1
; LDSByteSize: 0 bytes/workgroup (compile time only)
; SGPRBlocks: 2
; VGPRBlocks: 0
; NumSGPRsForWavesPerEU: 20
; NumVGPRsForWavesPerEU: 7
; AccumOffset: 8
; Occupancy: 8
; WaveLimiterHint : 0
; COMPUTE_PGM_RSRC2:SCRATCH_EN: 0
; COMPUTE_PGM_RSRC2:USER_SGPR: 6
; COMPUTE_PGM_RSRC2:TRAP_HANDLER: 0
; COMPUTE_PGM_RSRC2:TGID_X_EN: 1
; COMPUTE_PGM_RSRC2:TGID_Y_EN: 0
; COMPUTE_PGM_RSRC2:TGID_Z_EN: 0
; COMPUTE_PGM_RSRC2:TIDIG_COMP_CNT: 0
; COMPUTE_PGM_RSRC3_GFX90A:ACCUM_OFFSET: 1
; COMPUTE_PGM_RSRC3_GFX90A:TG_SPLIT: 0
	.section	.text._ZN7rocprim17ROCPRIM_400000_NS6detail17trampoline_kernelINS0_14default_configENS1_37merge_sort_block_sort_config_selectorI14custom_numericNS0_10empty_typeEEEZNS1_21merge_sort_block_sortIS3_N6thrust23THRUST_200600_302600_NS6detail15normal_iteratorINSA_10device_ptrIS5_EEEESF_PS6_SG_NSA_4lessIS5_EEEE10hipError_tT0_T1_T2_T3_mRjT4_P12ihipStream_tbNS1_7vsmem_tEEUlT_E_NS1_11comp_targetILNS1_3genE3ELNS1_11target_archE908ELNS1_3gpuE7ELNS1_3repE0EEENS1_30default_config_static_selectorELNS0_4arch9wavefront6targetE1EEEvSL_,"axG",@progbits,_ZN7rocprim17ROCPRIM_400000_NS6detail17trampoline_kernelINS0_14default_configENS1_37merge_sort_block_sort_config_selectorI14custom_numericNS0_10empty_typeEEEZNS1_21merge_sort_block_sortIS3_N6thrust23THRUST_200600_302600_NS6detail15normal_iteratorINSA_10device_ptrIS5_EEEESF_PS6_SG_NSA_4lessIS5_EEEE10hipError_tT0_T1_T2_T3_mRjT4_P12ihipStream_tbNS1_7vsmem_tEEUlT_E_NS1_11comp_targetILNS1_3genE3ELNS1_11target_archE908ELNS1_3gpuE7ELNS1_3repE0EEENS1_30default_config_static_selectorELNS0_4arch9wavefront6targetE1EEEvSL_,comdat
	.protected	_ZN7rocprim17ROCPRIM_400000_NS6detail17trampoline_kernelINS0_14default_configENS1_37merge_sort_block_sort_config_selectorI14custom_numericNS0_10empty_typeEEEZNS1_21merge_sort_block_sortIS3_N6thrust23THRUST_200600_302600_NS6detail15normal_iteratorINSA_10device_ptrIS5_EEEESF_PS6_SG_NSA_4lessIS5_EEEE10hipError_tT0_T1_T2_T3_mRjT4_P12ihipStream_tbNS1_7vsmem_tEEUlT_E_NS1_11comp_targetILNS1_3genE3ELNS1_11target_archE908ELNS1_3gpuE7ELNS1_3repE0EEENS1_30default_config_static_selectorELNS0_4arch9wavefront6targetE1EEEvSL_ ; -- Begin function _ZN7rocprim17ROCPRIM_400000_NS6detail17trampoline_kernelINS0_14default_configENS1_37merge_sort_block_sort_config_selectorI14custom_numericNS0_10empty_typeEEEZNS1_21merge_sort_block_sortIS3_N6thrust23THRUST_200600_302600_NS6detail15normal_iteratorINSA_10device_ptrIS5_EEEESF_PS6_SG_NSA_4lessIS5_EEEE10hipError_tT0_T1_T2_T3_mRjT4_P12ihipStream_tbNS1_7vsmem_tEEUlT_E_NS1_11comp_targetILNS1_3genE3ELNS1_11target_archE908ELNS1_3gpuE7ELNS1_3repE0EEENS1_30default_config_static_selectorELNS0_4arch9wavefront6targetE1EEEvSL_
	.globl	_ZN7rocprim17ROCPRIM_400000_NS6detail17trampoline_kernelINS0_14default_configENS1_37merge_sort_block_sort_config_selectorI14custom_numericNS0_10empty_typeEEEZNS1_21merge_sort_block_sortIS3_N6thrust23THRUST_200600_302600_NS6detail15normal_iteratorINSA_10device_ptrIS5_EEEESF_PS6_SG_NSA_4lessIS5_EEEE10hipError_tT0_T1_T2_T3_mRjT4_P12ihipStream_tbNS1_7vsmem_tEEUlT_E_NS1_11comp_targetILNS1_3genE3ELNS1_11target_archE908ELNS1_3gpuE7ELNS1_3repE0EEENS1_30default_config_static_selectorELNS0_4arch9wavefront6targetE1EEEvSL_
	.p2align	8
	.type	_ZN7rocprim17ROCPRIM_400000_NS6detail17trampoline_kernelINS0_14default_configENS1_37merge_sort_block_sort_config_selectorI14custom_numericNS0_10empty_typeEEEZNS1_21merge_sort_block_sortIS3_N6thrust23THRUST_200600_302600_NS6detail15normal_iteratorINSA_10device_ptrIS5_EEEESF_PS6_SG_NSA_4lessIS5_EEEE10hipError_tT0_T1_T2_T3_mRjT4_P12ihipStream_tbNS1_7vsmem_tEEUlT_E_NS1_11comp_targetILNS1_3genE3ELNS1_11target_archE908ELNS1_3gpuE7ELNS1_3repE0EEENS1_30default_config_static_selectorELNS0_4arch9wavefront6targetE1EEEvSL_,@function
_ZN7rocprim17ROCPRIM_400000_NS6detail17trampoline_kernelINS0_14default_configENS1_37merge_sort_block_sort_config_selectorI14custom_numericNS0_10empty_typeEEEZNS1_21merge_sort_block_sortIS3_N6thrust23THRUST_200600_302600_NS6detail15normal_iteratorINSA_10device_ptrIS5_EEEESF_PS6_SG_NSA_4lessIS5_EEEE10hipError_tT0_T1_T2_T3_mRjT4_P12ihipStream_tbNS1_7vsmem_tEEUlT_E_NS1_11comp_targetILNS1_3genE3ELNS1_11target_archE908ELNS1_3gpuE7ELNS1_3repE0EEENS1_30default_config_static_selectorELNS0_4arch9wavefront6targetE1EEEvSL_: ; @_ZN7rocprim17ROCPRIM_400000_NS6detail17trampoline_kernelINS0_14default_configENS1_37merge_sort_block_sort_config_selectorI14custom_numericNS0_10empty_typeEEEZNS1_21merge_sort_block_sortIS3_N6thrust23THRUST_200600_302600_NS6detail15normal_iteratorINSA_10device_ptrIS5_EEEESF_PS6_SG_NSA_4lessIS5_EEEE10hipError_tT0_T1_T2_T3_mRjT4_P12ihipStream_tbNS1_7vsmem_tEEUlT_E_NS1_11comp_targetILNS1_3genE3ELNS1_11target_archE908ELNS1_3gpuE7ELNS1_3repE0EEENS1_30default_config_static_selectorELNS0_4arch9wavefront6targetE1EEEvSL_
; %bb.0:
	.section	.rodata,"a",@progbits
	.p2align	6, 0x0
	.amdhsa_kernel _ZN7rocprim17ROCPRIM_400000_NS6detail17trampoline_kernelINS0_14default_configENS1_37merge_sort_block_sort_config_selectorI14custom_numericNS0_10empty_typeEEEZNS1_21merge_sort_block_sortIS3_N6thrust23THRUST_200600_302600_NS6detail15normal_iteratorINSA_10device_ptrIS5_EEEESF_PS6_SG_NSA_4lessIS5_EEEE10hipError_tT0_T1_T2_T3_mRjT4_P12ihipStream_tbNS1_7vsmem_tEEUlT_E_NS1_11comp_targetILNS1_3genE3ELNS1_11target_archE908ELNS1_3gpuE7ELNS1_3repE0EEENS1_30default_config_static_selectorELNS0_4arch9wavefront6targetE1EEEvSL_
		.amdhsa_group_segment_fixed_size 0
		.amdhsa_private_segment_fixed_size 0
		.amdhsa_kernarg_size 64
		.amdhsa_user_sgpr_count 6
		.amdhsa_user_sgpr_private_segment_buffer 1
		.amdhsa_user_sgpr_dispatch_ptr 0
		.amdhsa_user_sgpr_queue_ptr 0
		.amdhsa_user_sgpr_kernarg_segment_ptr 1
		.amdhsa_user_sgpr_dispatch_id 0
		.amdhsa_user_sgpr_flat_scratch_init 0
		.amdhsa_user_sgpr_kernarg_preload_length 0
		.amdhsa_user_sgpr_kernarg_preload_offset 0
		.amdhsa_user_sgpr_private_segment_size 0
		.amdhsa_uses_dynamic_stack 0
		.amdhsa_system_sgpr_private_segment_wavefront_offset 0
		.amdhsa_system_sgpr_workgroup_id_x 1
		.amdhsa_system_sgpr_workgroup_id_y 0
		.amdhsa_system_sgpr_workgroup_id_z 0
		.amdhsa_system_sgpr_workgroup_info 0
		.amdhsa_system_vgpr_workitem_id 0
		.amdhsa_next_free_vgpr 1
		.amdhsa_next_free_sgpr 0
		.amdhsa_accum_offset 4
		.amdhsa_reserve_vcc 0
		.amdhsa_reserve_flat_scratch 0
		.amdhsa_float_round_mode_32 0
		.amdhsa_float_round_mode_16_64 0
		.amdhsa_float_denorm_mode_32 3
		.amdhsa_float_denorm_mode_16_64 3
		.amdhsa_dx10_clamp 1
		.amdhsa_ieee_mode 1
		.amdhsa_fp16_overflow 0
		.amdhsa_tg_split 0
		.amdhsa_exception_fp_ieee_invalid_op 0
		.amdhsa_exception_fp_denorm_src 0
		.amdhsa_exception_fp_ieee_div_zero 0
		.amdhsa_exception_fp_ieee_overflow 0
		.amdhsa_exception_fp_ieee_underflow 0
		.amdhsa_exception_fp_ieee_inexact 0
		.amdhsa_exception_int_div_zero 0
	.end_amdhsa_kernel
	.section	.text._ZN7rocprim17ROCPRIM_400000_NS6detail17trampoline_kernelINS0_14default_configENS1_37merge_sort_block_sort_config_selectorI14custom_numericNS0_10empty_typeEEEZNS1_21merge_sort_block_sortIS3_N6thrust23THRUST_200600_302600_NS6detail15normal_iteratorINSA_10device_ptrIS5_EEEESF_PS6_SG_NSA_4lessIS5_EEEE10hipError_tT0_T1_T2_T3_mRjT4_P12ihipStream_tbNS1_7vsmem_tEEUlT_E_NS1_11comp_targetILNS1_3genE3ELNS1_11target_archE908ELNS1_3gpuE7ELNS1_3repE0EEENS1_30default_config_static_selectorELNS0_4arch9wavefront6targetE1EEEvSL_,"axG",@progbits,_ZN7rocprim17ROCPRIM_400000_NS6detail17trampoline_kernelINS0_14default_configENS1_37merge_sort_block_sort_config_selectorI14custom_numericNS0_10empty_typeEEEZNS1_21merge_sort_block_sortIS3_N6thrust23THRUST_200600_302600_NS6detail15normal_iteratorINSA_10device_ptrIS5_EEEESF_PS6_SG_NSA_4lessIS5_EEEE10hipError_tT0_T1_T2_T3_mRjT4_P12ihipStream_tbNS1_7vsmem_tEEUlT_E_NS1_11comp_targetILNS1_3genE3ELNS1_11target_archE908ELNS1_3gpuE7ELNS1_3repE0EEENS1_30default_config_static_selectorELNS0_4arch9wavefront6targetE1EEEvSL_,comdat
.Lfunc_end1409:
	.size	_ZN7rocprim17ROCPRIM_400000_NS6detail17trampoline_kernelINS0_14default_configENS1_37merge_sort_block_sort_config_selectorI14custom_numericNS0_10empty_typeEEEZNS1_21merge_sort_block_sortIS3_N6thrust23THRUST_200600_302600_NS6detail15normal_iteratorINSA_10device_ptrIS5_EEEESF_PS6_SG_NSA_4lessIS5_EEEE10hipError_tT0_T1_T2_T3_mRjT4_P12ihipStream_tbNS1_7vsmem_tEEUlT_E_NS1_11comp_targetILNS1_3genE3ELNS1_11target_archE908ELNS1_3gpuE7ELNS1_3repE0EEENS1_30default_config_static_selectorELNS0_4arch9wavefront6targetE1EEEvSL_, .Lfunc_end1409-_ZN7rocprim17ROCPRIM_400000_NS6detail17trampoline_kernelINS0_14default_configENS1_37merge_sort_block_sort_config_selectorI14custom_numericNS0_10empty_typeEEEZNS1_21merge_sort_block_sortIS3_N6thrust23THRUST_200600_302600_NS6detail15normal_iteratorINSA_10device_ptrIS5_EEEESF_PS6_SG_NSA_4lessIS5_EEEE10hipError_tT0_T1_T2_T3_mRjT4_P12ihipStream_tbNS1_7vsmem_tEEUlT_E_NS1_11comp_targetILNS1_3genE3ELNS1_11target_archE908ELNS1_3gpuE7ELNS1_3repE0EEENS1_30default_config_static_selectorELNS0_4arch9wavefront6targetE1EEEvSL_
                                        ; -- End function
	.section	.AMDGPU.csdata,"",@progbits
; Kernel info:
; codeLenInByte = 0
; NumSgprs: 4
; NumVgprs: 0
; NumAgprs: 0
; TotalNumVgprs: 0
; ScratchSize: 0
; MemoryBound: 0
; FloatMode: 240
; IeeeMode: 1
; LDSByteSize: 0 bytes/workgroup (compile time only)
; SGPRBlocks: 0
; VGPRBlocks: 0
; NumSGPRsForWavesPerEU: 4
; NumVGPRsForWavesPerEU: 1
; AccumOffset: 4
; Occupancy: 8
; WaveLimiterHint : 0
; COMPUTE_PGM_RSRC2:SCRATCH_EN: 0
; COMPUTE_PGM_RSRC2:USER_SGPR: 6
; COMPUTE_PGM_RSRC2:TRAP_HANDLER: 0
; COMPUTE_PGM_RSRC2:TGID_X_EN: 1
; COMPUTE_PGM_RSRC2:TGID_Y_EN: 0
; COMPUTE_PGM_RSRC2:TGID_Z_EN: 0
; COMPUTE_PGM_RSRC2:TIDIG_COMP_CNT: 0
; COMPUTE_PGM_RSRC3_GFX90A:ACCUM_OFFSET: 0
; COMPUTE_PGM_RSRC3_GFX90A:TG_SPLIT: 0
	.section	.text._ZN7rocprim17ROCPRIM_400000_NS6detail17trampoline_kernelINS0_14default_configENS1_37merge_sort_block_sort_config_selectorI14custom_numericNS0_10empty_typeEEEZNS1_21merge_sort_block_sortIS3_N6thrust23THRUST_200600_302600_NS6detail15normal_iteratorINSA_10device_ptrIS5_EEEESF_PS6_SG_NSA_4lessIS5_EEEE10hipError_tT0_T1_T2_T3_mRjT4_P12ihipStream_tbNS1_7vsmem_tEEUlT_E_NS1_11comp_targetILNS1_3genE2ELNS1_11target_archE906ELNS1_3gpuE6ELNS1_3repE0EEENS1_30default_config_static_selectorELNS0_4arch9wavefront6targetE1EEEvSL_,"axG",@progbits,_ZN7rocprim17ROCPRIM_400000_NS6detail17trampoline_kernelINS0_14default_configENS1_37merge_sort_block_sort_config_selectorI14custom_numericNS0_10empty_typeEEEZNS1_21merge_sort_block_sortIS3_N6thrust23THRUST_200600_302600_NS6detail15normal_iteratorINSA_10device_ptrIS5_EEEESF_PS6_SG_NSA_4lessIS5_EEEE10hipError_tT0_T1_T2_T3_mRjT4_P12ihipStream_tbNS1_7vsmem_tEEUlT_E_NS1_11comp_targetILNS1_3genE2ELNS1_11target_archE906ELNS1_3gpuE6ELNS1_3repE0EEENS1_30default_config_static_selectorELNS0_4arch9wavefront6targetE1EEEvSL_,comdat
	.protected	_ZN7rocprim17ROCPRIM_400000_NS6detail17trampoline_kernelINS0_14default_configENS1_37merge_sort_block_sort_config_selectorI14custom_numericNS0_10empty_typeEEEZNS1_21merge_sort_block_sortIS3_N6thrust23THRUST_200600_302600_NS6detail15normal_iteratorINSA_10device_ptrIS5_EEEESF_PS6_SG_NSA_4lessIS5_EEEE10hipError_tT0_T1_T2_T3_mRjT4_P12ihipStream_tbNS1_7vsmem_tEEUlT_E_NS1_11comp_targetILNS1_3genE2ELNS1_11target_archE906ELNS1_3gpuE6ELNS1_3repE0EEENS1_30default_config_static_selectorELNS0_4arch9wavefront6targetE1EEEvSL_ ; -- Begin function _ZN7rocprim17ROCPRIM_400000_NS6detail17trampoline_kernelINS0_14default_configENS1_37merge_sort_block_sort_config_selectorI14custom_numericNS0_10empty_typeEEEZNS1_21merge_sort_block_sortIS3_N6thrust23THRUST_200600_302600_NS6detail15normal_iteratorINSA_10device_ptrIS5_EEEESF_PS6_SG_NSA_4lessIS5_EEEE10hipError_tT0_T1_T2_T3_mRjT4_P12ihipStream_tbNS1_7vsmem_tEEUlT_E_NS1_11comp_targetILNS1_3genE2ELNS1_11target_archE906ELNS1_3gpuE6ELNS1_3repE0EEENS1_30default_config_static_selectorELNS0_4arch9wavefront6targetE1EEEvSL_
	.globl	_ZN7rocprim17ROCPRIM_400000_NS6detail17trampoline_kernelINS0_14default_configENS1_37merge_sort_block_sort_config_selectorI14custom_numericNS0_10empty_typeEEEZNS1_21merge_sort_block_sortIS3_N6thrust23THRUST_200600_302600_NS6detail15normal_iteratorINSA_10device_ptrIS5_EEEESF_PS6_SG_NSA_4lessIS5_EEEE10hipError_tT0_T1_T2_T3_mRjT4_P12ihipStream_tbNS1_7vsmem_tEEUlT_E_NS1_11comp_targetILNS1_3genE2ELNS1_11target_archE906ELNS1_3gpuE6ELNS1_3repE0EEENS1_30default_config_static_selectorELNS0_4arch9wavefront6targetE1EEEvSL_
	.p2align	8
	.type	_ZN7rocprim17ROCPRIM_400000_NS6detail17trampoline_kernelINS0_14default_configENS1_37merge_sort_block_sort_config_selectorI14custom_numericNS0_10empty_typeEEEZNS1_21merge_sort_block_sortIS3_N6thrust23THRUST_200600_302600_NS6detail15normal_iteratorINSA_10device_ptrIS5_EEEESF_PS6_SG_NSA_4lessIS5_EEEE10hipError_tT0_T1_T2_T3_mRjT4_P12ihipStream_tbNS1_7vsmem_tEEUlT_E_NS1_11comp_targetILNS1_3genE2ELNS1_11target_archE906ELNS1_3gpuE6ELNS1_3repE0EEENS1_30default_config_static_selectorELNS0_4arch9wavefront6targetE1EEEvSL_,@function
_ZN7rocprim17ROCPRIM_400000_NS6detail17trampoline_kernelINS0_14default_configENS1_37merge_sort_block_sort_config_selectorI14custom_numericNS0_10empty_typeEEEZNS1_21merge_sort_block_sortIS3_N6thrust23THRUST_200600_302600_NS6detail15normal_iteratorINSA_10device_ptrIS5_EEEESF_PS6_SG_NSA_4lessIS5_EEEE10hipError_tT0_T1_T2_T3_mRjT4_P12ihipStream_tbNS1_7vsmem_tEEUlT_E_NS1_11comp_targetILNS1_3genE2ELNS1_11target_archE906ELNS1_3gpuE6ELNS1_3repE0EEENS1_30default_config_static_selectorELNS0_4arch9wavefront6targetE1EEEvSL_: ; @_ZN7rocprim17ROCPRIM_400000_NS6detail17trampoline_kernelINS0_14default_configENS1_37merge_sort_block_sort_config_selectorI14custom_numericNS0_10empty_typeEEEZNS1_21merge_sort_block_sortIS3_N6thrust23THRUST_200600_302600_NS6detail15normal_iteratorINSA_10device_ptrIS5_EEEESF_PS6_SG_NSA_4lessIS5_EEEE10hipError_tT0_T1_T2_T3_mRjT4_P12ihipStream_tbNS1_7vsmem_tEEUlT_E_NS1_11comp_targetILNS1_3genE2ELNS1_11target_archE906ELNS1_3gpuE6ELNS1_3repE0EEENS1_30default_config_static_selectorELNS0_4arch9wavefront6targetE1EEEvSL_
; %bb.0:
	.section	.rodata,"a",@progbits
	.p2align	6, 0x0
	.amdhsa_kernel _ZN7rocprim17ROCPRIM_400000_NS6detail17trampoline_kernelINS0_14default_configENS1_37merge_sort_block_sort_config_selectorI14custom_numericNS0_10empty_typeEEEZNS1_21merge_sort_block_sortIS3_N6thrust23THRUST_200600_302600_NS6detail15normal_iteratorINSA_10device_ptrIS5_EEEESF_PS6_SG_NSA_4lessIS5_EEEE10hipError_tT0_T1_T2_T3_mRjT4_P12ihipStream_tbNS1_7vsmem_tEEUlT_E_NS1_11comp_targetILNS1_3genE2ELNS1_11target_archE906ELNS1_3gpuE6ELNS1_3repE0EEENS1_30default_config_static_selectorELNS0_4arch9wavefront6targetE1EEEvSL_
		.amdhsa_group_segment_fixed_size 0
		.amdhsa_private_segment_fixed_size 0
		.amdhsa_kernarg_size 64
		.amdhsa_user_sgpr_count 6
		.amdhsa_user_sgpr_private_segment_buffer 1
		.amdhsa_user_sgpr_dispatch_ptr 0
		.amdhsa_user_sgpr_queue_ptr 0
		.amdhsa_user_sgpr_kernarg_segment_ptr 1
		.amdhsa_user_sgpr_dispatch_id 0
		.amdhsa_user_sgpr_flat_scratch_init 0
		.amdhsa_user_sgpr_kernarg_preload_length 0
		.amdhsa_user_sgpr_kernarg_preload_offset 0
		.amdhsa_user_sgpr_private_segment_size 0
		.amdhsa_uses_dynamic_stack 0
		.amdhsa_system_sgpr_private_segment_wavefront_offset 0
		.amdhsa_system_sgpr_workgroup_id_x 1
		.amdhsa_system_sgpr_workgroup_id_y 0
		.amdhsa_system_sgpr_workgroup_id_z 0
		.amdhsa_system_sgpr_workgroup_info 0
		.amdhsa_system_vgpr_workitem_id 0
		.amdhsa_next_free_vgpr 1
		.amdhsa_next_free_sgpr 0
		.amdhsa_accum_offset 4
		.amdhsa_reserve_vcc 0
		.amdhsa_reserve_flat_scratch 0
		.amdhsa_float_round_mode_32 0
		.amdhsa_float_round_mode_16_64 0
		.amdhsa_float_denorm_mode_32 3
		.amdhsa_float_denorm_mode_16_64 3
		.amdhsa_dx10_clamp 1
		.amdhsa_ieee_mode 1
		.amdhsa_fp16_overflow 0
		.amdhsa_tg_split 0
		.amdhsa_exception_fp_ieee_invalid_op 0
		.amdhsa_exception_fp_denorm_src 0
		.amdhsa_exception_fp_ieee_div_zero 0
		.amdhsa_exception_fp_ieee_overflow 0
		.amdhsa_exception_fp_ieee_underflow 0
		.amdhsa_exception_fp_ieee_inexact 0
		.amdhsa_exception_int_div_zero 0
	.end_amdhsa_kernel
	.section	.text._ZN7rocprim17ROCPRIM_400000_NS6detail17trampoline_kernelINS0_14default_configENS1_37merge_sort_block_sort_config_selectorI14custom_numericNS0_10empty_typeEEEZNS1_21merge_sort_block_sortIS3_N6thrust23THRUST_200600_302600_NS6detail15normal_iteratorINSA_10device_ptrIS5_EEEESF_PS6_SG_NSA_4lessIS5_EEEE10hipError_tT0_T1_T2_T3_mRjT4_P12ihipStream_tbNS1_7vsmem_tEEUlT_E_NS1_11comp_targetILNS1_3genE2ELNS1_11target_archE906ELNS1_3gpuE6ELNS1_3repE0EEENS1_30default_config_static_selectorELNS0_4arch9wavefront6targetE1EEEvSL_,"axG",@progbits,_ZN7rocprim17ROCPRIM_400000_NS6detail17trampoline_kernelINS0_14default_configENS1_37merge_sort_block_sort_config_selectorI14custom_numericNS0_10empty_typeEEEZNS1_21merge_sort_block_sortIS3_N6thrust23THRUST_200600_302600_NS6detail15normal_iteratorINSA_10device_ptrIS5_EEEESF_PS6_SG_NSA_4lessIS5_EEEE10hipError_tT0_T1_T2_T3_mRjT4_P12ihipStream_tbNS1_7vsmem_tEEUlT_E_NS1_11comp_targetILNS1_3genE2ELNS1_11target_archE906ELNS1_3gpuE6ELNS1_3repE0EEENS1_30default_config_static_selectorELNS0_4arch9wavefront6targetE1EEEvSL_,comdat
.Lfunc_end1410:
	.size	_ZN7rocprim17ROCPRIM_400000_NS6detail17trampoline_kernelINS0_14default_configENS1_37merge_sort_block_sort_config_selectorI14custom_numericNS0_10empty_typeEEEZNS1_21merge_sort_block_sortIS3_N6thrust23THRUST_200600_302600_NS6detail15normal_iteratorINSA_10device_ptrIS5_EEEESF_PS6_SG_NSA_4lessIS5_EEEE10hipError_tT0_T1_T2_T3_mRjT4_P12ihipStream_tbNS1_7vsmem_tEEUlT_E_NS1_11comp_targetILNS1_3genE2ELNS1_11target_archE906ELNS1_3gpuE6ELNS1_3repE0EEENS1_30default_config_static_selectorELNS0_4arch9wavefront6targetE1EEEvSL_, .Lfunc_end1410-_ZN7rocprim17ROCPRIM_400000_NS6detail17trampoline_kernelINS0_14default_configENS1_37merge_sort_block_sort_config_selectorI14custom_numericNS0_10empty_typeEEEZNS1_21merge_sort_block_sortIS3_N6thrust23THRUST_200600_302600_NS6detail15normal_iteratorINSA_10device_ptrIS5_EEEESF_PS6_SG_NSA_4lessIS5_EEEE10hipError_tT0_T1_T2_T3_mRjT4_P12ihipStream_tbNS1_7vsmem_tEEUlT_E_NS1_11comp_targetILNS1_3genE2ELNS1_11target_archE906ELNS1_3gpuE6ELNS1_3repE0EEENS1_30default_config_static_selectorELNS0_4arch9wavefront6targetE1EEEvSL_
                                        ; -- End function
	.section	.AMDGPU.csdata,"",@progbits
; Kernel info:
; codeLenInByte = 0
; NumSgprs: 4
; NumVgprs: 0
; NumAgprs: 0
; TotalNumVgprs: 0
; ScratchSize: 0
; MemoryBound: 0
; FloatMode: 240
; IeeeMode: 1
; LDSByteSize: 0 bytes/workgroup (compile time only)
; SGPRBlocks: 0
; VGPRBlocks: 0
; NumSGPRsForWavesPerEU: 4
; NumVGPRsForWavesPerEU: 1
; AccumOffset: 4
; Occupancy: 8
; WaveLimiterHint : 0
; COMPUTE_PGM_RSRC2:SCRATCH_EN: 0
; COMPUTE_PGM_RSRC2:USER_SGPR: 6
; COMPUTE_PGM_RSRC2:TRAP_HANDLER: 0
; COMPUTE_PGM_RSRC2:TGID_X_EN: 1
; COMPUTE_PGM_RSRC2:TGID_Y_EN: 0
; COMPUTE_PGM_RSRC2:TGID_Z_EN: 0
; COMPUTE_PGM_RSRC2:TIDIG_COMP_CNT: 0
; COMPUTE_PGM_RSRC3_GFX90A:ACCUM_OFFSET: 0
; COMPUTE_PGM_RSRC3_GFX90A:TG_SPLIT: 0
	.section	.text._ZN7rocprim17ROCPRIM_400000_NS6detail17trampoline_kernelINS0_14default_configENS1_37merge_sort_block_sort_config_selectorI14custom_numericNS0_10empty_typeEEEZNS1_21merge_sort_block_sortIS3_N6thrust23THRUST_200600_302600_NS6detail15normal_iteratorINSA_10device_ptrIS5_EEEESF_PS6_SG_NSA_4lessIS5_EEEE10hipError_tT0_T1_T2_T3_mRjT4_P12ihipStream_tbNS1_7vsmem_tEEUlT_E_NS1_11comp_targetILNS1_3genE10ELNS1_11target_archE1201ELNS1_3gpuE5ELNS1_3repE0EEENS1_30default_config_static_selectorELNS0_4arch9wavefront6targetE1EEEvSL_,"axG",@progbits,_ZN7rocprim17ROCPRIM_400000_NS6detail17trampoline_kernelINS0_14default_configENS1_37merge_sort_block_sort_config_selectorI14custom_numericNS0_10empty_typeEEEZNS1_21merge_sort_block_sortIS3_N6thrust23THRUST_200600_302600_NS6detail15normal_iteratorINSA_10device_ptrIS5_EEEESF_PS6_SG_NSA_4lessIS5_EEEE10hipError_tT0_T1_T2_T3_mRjT4_P12ihipStream_tbNS1_7vsmem_tEEUlT_E_NS1_11comp_targetILNS1_3genE10ELNS1_11target_archE1201ELNS1_3gpuE5ELNS1_3repE0EEENS1_30default_config_static_selectorELNS0_4arch9wavefront6targetE1EEEvSL_,comdat
	.protected	_ZN7rocprim17ROCPRIM_400000_NS6detail17trampoline_kernelINS0_14default_configENS1_37merge_sort_block_sort_config_selectorI14custom_numericNS0_10empty_typeEEEZNS1_21merge_sort_block_sortIS3_N6thrust23THRUST_200600_302600_NS6detail15normal_iteratorINSA_10device_ptrIS5_EEEESF_PS6_SG_NSA_4lessIS5_EEEE10hipError_tT0_T1_T2_T3_mRjT4_P12ihipStream_tbNS1_7vsmem_tEEUlT_E_NS1_11comp_targetILNS1_3genE10ELNS1_11target_archE1201ELNS1_3gpuE5ELNS1_3repE0EEENS1_30default_config_static_selectorELNS0_4arch9wavefront6targetE1EEEvSL_ ; -- Begin function _ZN7rocprim17ROCPRIM_400000_NS6detail17trampoline_kernelINS0_14default_configENS1_37merge_sort_block_sort_config_selectorI14custom_numericNS0_10empty_typeEEEZNS1_21merge_sort_block_sortIS3_N6thrust23THRUST_200600_302600_NS6detail15normal_iteratorINSA_10device_ptrIS5_EEEESF_PS6_SG_NSA_4lessIS5_EEEE10hipError_tT0_T1_T2_T3_mRjT4_P12ihipStream_tbNS1_7vsmem_tEEUlT_E_NS1_11comp_targetILNS1_3genE10ELNS1_11target_archE1201ELNS1_3gpuE5ELNS1_3repE0EEENS1_30default_config_static_selectorELNS0_4arch9wavefront6targetE1EEEvSL_
	.globl	_ZN7rocprim17ROCPRIM_400000_NS6detail17trampoline_kernelINS0_14default_configENS1_37merge_sort_block_sort_config_selectorI14custom_numericNS0_10empty_typeEEEZNS1_21merge_sort_block_sortIS3_N6thrust23THRUST_200600_302600_NS6detail15normal_iteratorINSA_10device_ptrIS5_EEEESF_PS6_SG_NSA_4lessIS5_EEEE10hipError_tT0_T1_T2_T3_mRjT4_P12ihipStream_tbNS1_7vsmem_tEEUlT_E_NS1_11comp_targetILNS1_3genE10ELNS1_11target_archE1201ELNS1_3gpuE5ELNS1_3repE0EEENS1_30default_config_static_selectorELNS0_4arch9wavefront6targetE1EEEvSL_
	.p2align	8
	.type	_ZN7rocprim17ROCPRIM_400000_NS6detail17trampoline_kernelINS0_14default_configENS1_37merge_sort_block_sort_config_selectorI14custom_numericNS0_10empty_typeEEEZNS1_21merge_sort_block_sortIS3_N6thrust23THRUST_200600_302600_NS6detail15normal_iteratorINSA_10device_ptrIS5_EEEESF_PS6_SG_NSA_4lessIS5_EEEE10hipError_tT0_T1_T2_T3_mRjT4_P12ihipStream_tbNS1_7vsmem_tEEUlT_E_NS1_11comp_targetILNS1_3genE10ELNS1_11target_archE1201ELNS1_3gpuE5ELNS1_3repE0EEENS1_30default_config_static_selectorELNS0_4arch9wavefront6targetE1EEEvSL_,@function
_ZN7rocprim17ROCPRIM_400000_NS6detail17trampoline_kernelINS0_14default_configENS1_37merge_sort_block_sort_config_selectorI14custom_numericNS0_10empty_typeEEEZNS1_21merge_sort_block_sortIS3_N6thrust23THRUST_200600_302600_NS6detail15normal_iteratorINSA_10device_ptrIS5_EEEESF_PS6_SG_NSA_4lessIS5_EEEE10hipError_tT0_T1_T2_T3_mRjT4_P12ihipStream_tbNS1_7vsmem_tEEUlT_E_NS1_11comp_targetILNS1_3genE10ELNS1_11target_archE1201ELNS1_3gpuE5ELNS1_3repE0EEENS1_30default_config_static_selectorELNS0_4arch9wavefront6targetE1EEEvSL_: ; @_ZN7rocprim17ROCPRIM_400000_NS6detail17trampoline_kernelINS0_14default_configENS1_37merge_sort_block_sort_config_selectorI14custom_numericNS0_10empty_typeEEEZNS1_21merge_sort_block_sortIS3_N6thrust23THRUST_200600_302600_NS6detail15normal_iteratorINSA_10device_ptrIS5_EEEESF_PS6_SG_NSA_4lessIS5_EEEE10hipError_tT0_T1_T2_T3_mRjT4_P12ihipStream_tbNS1_7vsmem_tEEUlT_E_NS1_11comp_targetILNS1_3genE10ELNS1_11target_archE1201ELNS1_3gpuE5ELNS1_3repE0EEENS1_30default_config_static_selectorELNS0_4arch9wavefront6targetE1EEEvSL_
; %bb.0:
	.section	.rodata,"a",@progbits
	.p2align	6, 0x0
	.amdhsa_kernel _ZN7rocprim17ROCPRIM_400000_NS6detail17trampoline_kernelINS0_14default_configENS1_37merge_sort_block_sort_config_selectorI14custom_numericNS0_10empty_typeEEEZNS1_21merge_sort_block_sortIS3_N6thrust23THRUST_200600_302600_NS6detail15normal_iteratorINSA_10device_ptrIS5_EEEESF_PS6_SG_NSA_4lessIS5_EEEE10hipError_tT0_T1_T2_T3_mRjT4_P12ihipStream_tbNS1_7vsmem_tEEUlT_E_NS1_11comp_targetILNS1_3genE10ELNS1_11target_archE1201ELNS1_3gpuE5ELNS1_3repE0EEENS1_30default_config_static_selectorELNS0_4arch9wavefront6targetE1EEEvSL_
		.amdhsa_group_segment_fixed_size 0
		.amdhsa_private_segment_fixed_size 0
		.amdhsa_kernarg_size 64
		.amdhsa_user_sgpr_count 6
		.amdhsa_user_sgpr_private_segment_buffer 1
		.amdhsa_user_sgpr_dispatch_ptr 0
		.amdhsa_user_sgpr_queue_ptr 0
		.amdhsa_user_sgpr_kernarg_segment_ptr 1
		.amdhsa_user_sgpr_dispatch_id 0
		.amdhsa_user_sgpr_flat_scratch_init 0
		.amdhsa_user_sgpr_kernarg_preload_length 0
		.amdhsa_user_sgpr_kernarg_preload_offset 0
		.amdhsa_user_sgpr_private_segment_size 0
		.amdhsa_uses_dynamic_stack 0
		.amdhsa_system_sgpr_private_segment_wavefront_offset 0
		.amdhsa_system_sgpr_workgroup_id_x 1
		.amdhsa_system_sgpr_workgroup_id_y 0
		.amdhsa_system_sgpr_workgroup_id_z 0
		.amdhsa_system_sgpr_workgroup_info 0
		.amdhsa_system_vgpr_workitem_id 0
		.amdhsa_next_free_vgpr 1
		.amdhsa_next_free_sgpr 0
		.amdhsa_accum_offset 4
		.amdhsa_reserve_vcc 0
		.amdhsa_reserve_flat_scratch 0
		.amdhsa_float_round_mode_32 0
		.amdhsa_float_round_mode_16_64 0
		.amdhsa_float_denorm_mode_32 3
		.amdhsa_float_denorm_mode_16_64 3
		.amdhsa_dx10_clamp 1
		.amdhsa_ieee_mode 1
		.amdhsa_fp16_overflow 0
		.amdhsa_tg_split 0
		.amdhsa_exception_fp_ieee_invalid_op 0
		.amdhsa_exception_fp_denorm_src 0
		.amdhsa_exception_fp_ieee_div_zero 0
		.amdhsa_exception_fp_ieee_overflow 0
		.amdhsa_exception_fp_ieee_underflow 0
		.amdhsa_exception_fp_ieee_inexact 0
		.amdhsa_exception_int_div_zero 0
	.end_amdhsa_kernel
	.section	.text._ZN7rocprim17ROCPRIM_400000_NS6detail17trampoline_kernelINS0_14default_configENS1_37merge_sort_block_sort_config_selectorI14custom_numericNS0_10empty_typeEEEZNS1_21merge_sort_block_sortIS3_N6thrust23THRUST_200600_302600_NS6detail15normal_iteratorINSA_10device_ptrIS5_EEEESF_PS6_SG_NSA_4lessIS5_EEEE10hipError_tT0_T1_T2_T3_mRjT4_P12ihipStream_tbNS1_7vsmem_tEEUlT_E_NS1_11comp_targetILNS1_3genE10ELNS1_11target_archE1201ELNS1_3gpuE5ELNS1_3repE0EEENS1_30default_config_static_selectorELNS0_4arch9wavefront6targetE1EEEvSL_,"axG",@progbits,_ZN7rocprim17ROCPRIM_400000_NS6detail17trampoline_kernelINS0_14default_configENS1_37merge_sort_block_sort_config_selectorI14custom_numericNS0_10empty_typeEEEZNS1_21merge_sort_block_sortIS3_N6thrust23THRUST_200600_302600_NS6detail15normal_iteratorINSA_10device_ptrIS5_EEEESF_PS6_SG_NSA_4lessIS5_EEEE10hipError_tT0_T1_T2_T3_mRjT4_P12ihipStream_tbNS1_7vsmem_tEEUlT_E_NS1_11comp_targetILNS1_3genE10ELNS1_11target_archE1201ELNS1_3gpuE5ELNS1_3repE0EEENS1_30default_config_static_selectorELNS0_4arch9wavefront6targetE1EEEvSL_,comdat
.Lfunc_end1411:
	.size	_ZN7rocprim17ROCPRIM_400000_NS6detail17trampoline_kernelINS0_14default_configENS1_37merge_sort_block_sort_config_selectorI14custom_numericNS0_10empty_typeEEEZNS1_21merge_sort_block_sortIS3_N6thrust23THRUST_200600_302600_NS6detail15normal_iteratorINSA_10device_ptrIS5_EEEESF_PS6_SG_NSA_4lessIS5_EEEE10hipError_tT0_T1_T2_T3_mRjT4_P12ihipStream_tbNS1_7vsmem_tEEUlT_E_NS1_11comp_targetILNS1_3genE10ELNS1_11target_archE1201ELNS1_3gpuE5ELNS1_3repE0EEENS1_30default_config_static_selectorELNS0_4arch9wavefront6targetE1EEEvSL_, .Lfunc_end1411-_ZN7rocprim17ROCPRIM_400000_NS6detail17trampoline_kernelINS0_14default_configENS1_37merge_sort_block_sort_config_selectorI14custom_numericNS0_10empty_typeEEEZNS1_21merge_sort_block_sortIS3_N6thrust23THRUST_200600_302600_NS6detail15normal_iteratorINSA_10device_ptrIS5_EEEESF_PS6_SG_NSA_4lessIS5_EEEE10hipError_tT0_T1_T2_T3_mRjT4_P12ihipStream_tbNS1_7vsmem_tEEUlT_E_NS1_11comp_targetILNS1_3genE10ELNS1_11target_archE1201ELNS1_3gpuE5ELNS1_3repE0EEENS1_30default_config_static_selectorELNS0_4arch9wavefront6targetE1EEEvSL_
                                        ; -- End function
	.section	.AMDGPU.csdata,"",@progbits
; Kernel info:
; codeLenInByte = 0
; NumSgprs: 4
; NumVgprs: 0
; NumAgprs: 0
; TotalNumVgprs: 0
; ScratchSize: 0
; MemoryBound: 0
; FloatMode: 240
; IeeeMode: 1
; LDSByteSize: 0 bytes/workgroup (compile time only)
; SGPRBlocks: 0
; VGPRBlocks: 0
; NumSGPRsForWavesPerEU: 4
; NumVGPRsForWavesPerEU: 1
; AccumOffset: 4
; Occupancy: 8
; WaveLimiterHint : 0
; COMPUTE_PGM_RSRC2:SCRATCH_EN: 0
; COMPUTE_PGM_RSRC2:USER_SGPR: 6
; COMPUTE_PGM_RSRC2:TRAP_HANDLER: 0
; COMPUTE_PGM_RSRC2:TGID_X_EN: 1
; COMPUTE_PGM_RSRC2:TGID_Y_EN: 0
; COMPUTE_PGM_RSRC2:TGID_Z_EN: 0
; COMPUTE_PGM_RSRC2:TIDIG_COMP_CNT: 0
; COMPUTE_PGM_RSRC3_GFX90A:ACCUM_OFFSET: 0
; COMPUTE_PGM_RSRC3_GFX90A:TG_SPLIT: 0
	.section	.text._ZN7rocprim17ROCPRIM_400000_NS6detail17trampoline_kernelINS0_14default_configENS1_37merge_sort_block_sort_config_selectorI14custom_numericNS0_10empty_typeEEEZNS1_21merge_sort_block_sortIS3_N6thrust23THRUST_200600_302600_NS6detail15normal_iteratorINSA_10device_ptrIS5_EEEESF_PS6_SG_NSA_4lessIS5_EEEE10hipError_tT0_T1_T2_T3_mRjT4_P12ihipStream_tbNS1_7vsmem_tEEUlT_E_NS1_11comp_targetILNS1_3genE10ELNS1_11target_archE1200ELNS1_3gpuE4ELNS1_3repE0EEENS1_30default_config_static_selectorELNS0_4arch9wavefront6targetE1EEEvSL_,"axG",@progbits,_ZN7rocprim17ROCPRIM_400000_NS6detail17trampoline_kernelINS0_14default_configENS1_37merge_sort_block_sort_config_selectorI14custom_numericNS0_10empty_typeEEEZNS1_21merge_sort_block_sortIS3_N6thrust23THRUST_200600_302600_NS6detail15normal_iteratorINSA_10device_ptrIS5_EEEESF_PS6_SG_NSA_4lessIS5_EEEE10hipError_tT0_T1_T2_T3_mRjT4_P12ihipStream_tbNS1_7vsmem_tEEUlT_E_NS1_11comp_targetILNS1_3genE10ELNS1_11target_archE1200ELNS1_3gpuE4ELNS1_3repE0EEENS1_30default_config_static_selectorELNS0_4arch9wavefront6targetE1EEEvSL_,comdat
	.protected	_ZN7rocprim17ROCPRIM_400000_NS6detail17trampoline_kernelINS0_14default_configENS1_37merge_sort_block_sort_config_selectorI14custom_numericNS0_10empty_typeEEEZNS1_21merge_sort_block_sortIS3_N6thrust23THRUST_200600_302600_NS6detail15normal_iteratorINSA_10device_ptrIS5_EEEESF_PS6_SG_NSA_4lessIS5_EEEE10hipError_tT0_T1_T2_T3_mRjT4_P12ihipStream_tbNS1_7vsmem_tEEUlT_E_NS1_11comp_targetILNS1_3genE10ELNS1_11target_archE1200ELNS1_3gpuE4ELNS1_3repE0EEENS1_30default_config_static_selectorELNS0_4arch9wavefront6targetE1EEEvSL_ ; -- Begin function _ZN7rocprim17ROCPRIM_400000_NS6detail17trampoline_kernelINS0_14default_configENS1_37merge_sort_block_sort_config_selectorI14custom_numericNS0_10empty_typeEEEZNS1_21merge_sort_block_sortIS3_N6thrust23THRUST_200600_302600_NS6detail15normal_iteratorINSA_10device_ptrIS5_EEEESF_PS6_SG_NSA_4lessIS5_EEEE10hipError_tT0_T1_T2_T3_mRjT4_P12ihipStream_tbNS1_7vsmem_tEEUlT_E_NS1_11comp_targetILNS1_3genE10ELNS1_11target_archE1200ELNS1_3gpuE4ELNS1_3repE0EEENS1_30default_config_static_selectorELNS0_4arch9wavefront6targetE1EEEvSL_
	.globl	_ZN7rocprim17ROCPRIM_400000_NS6detail17trampoline_kernelINS0_14default_configENS1_37merge_sort_block_sort_config_selectorI14custom_numericNS0_10empty_typeEEEZNS1_21merge_sort_block_sortIS3_N6thrust23THRUST_200600_302600_NS6detail15normal_iteratorINSA_10device_ptrIS5_EEEESF_PS6_SG_NSA_4lessIS5_EEEE10hipError_tT0_T1_T2_T3_mRjT4_P12ihipStream_tbNS1_7vsmem_tEEUlT_E_NS1_11comp_targetILNS1_3genE10ELNS1_11target_archE1200ELNS1_3gpuE4ELNS1_3repE0EEENS1_30default_config_static_selectorELNS0_4arch9wavefront6targetE1EEEvSL_
	.p2align	8
	.type	_ZN7rocprim17ROCPRIM_400000_NS6detail17trampoline_kernelINS0_14default_configENS1_37merge_sort_block_sort_config_selectorI14custom_numericNS0_10empty_typeEEEZNS1_21merge_sort_block_sortIS3_N6thrust23THRUST_200600_302600_NS6detail15normal_iteratorINSA_10device_ptrIS5_EEEESF_PS6_SG_NSA_4lessIS5_EEEE10hipError_tT0_T1_T2_T3_mRjT4_P12ihipStream_tbNS1_7vsmem_tEEUlT_E_NS1_11comp_targetILNS1_3genE10ELNS1_11target_archE1200ELNS1_3gpuE4ELNS1_3repE0EEENS1_30default_config_static_selectorELNS0_4arch9wavefront6targetE1EEEvSL_,@function
_ZN7rocprim17ROCPRIM_400000_NS6detail17trampoline_kernelINS0_14default_configENS1_37merge_sort_block_sort_config_selectorI14custom_numericNS0_10empty_typeEEEZNS1_21merge_sort_block_sortIS3_N6thrust23THRUST_200600_302600_NS6detail15normal_iteratorINSA_10device_ptrIS5_EEEESF_PS6_SG_NSA_4lessIS5_EEEE10hipError_tT0_T1_T2_T3_mRjT4_P12ihipStream_tbNS1_7vsmem_tEEUlT_E_NS1_11comp_targetILNS1_3genE10ELNS1_11target_archE1200ELNS1_3gpuE4ELNS1_3repE0EEENS1_30default_config_static_selectorELNS0_4arch9wavefront6targetE1EEEvSL_: ; @_ZN7rocprim17ROCPRIM_400000_NS6detail17trampoline_kernelINS0_14default_configENS1_37merge_sort_block_sort_config_selectorI14custom_numericNS0_10empty_typeEEEZNS1_21merge_sort_block_sortIS3_N6thrust23THRUST_200600_302600_NS6detail15normal_iteratorINSA_10device_ptrIS5_EEEESF_PS6_SG_NSA_4lessIS5_EEEE10hipError_tT0_T1_T2_T3_mRjT4_P12ihipStream_tbNS1_7vsmem_tEEUlT_E_NS1_11comp_targetILNS1_3genE10ELNS1_11target_archE1200ELNS1_3gpuE4ELNS1_3repE0EEENS1_30default_config_static_selectorELNS0_4arch9wavefront6targetE1EEEvSL_
; %bb.0:
	.section	.rodata,"a",@progbits
	.p2align	6, 0x0
	.amdhsa_kernel _ZN7rocprim17ROCPRIM_400000_NS6detail17trampoline_kernelINS0_14default_configENS1_37merge_sort_block_sort_config_selectorI14custom_numericNS0_10empty_typeEEEZNS1_21merge_sort_block_sortIS3_N6thrust23THRUST_200600_302600_NS6detail15normal_iteratorINSA_10device_ptrIS5_EEEESF_PS6_SG_NSA_4lessIS5_EEEE10hipError_tT0_T1_T2_T3_mRjT4_P12ihipStream_tbNS1_7vsmem_tEEUlT_E_NS1_11comp_targetILNS1_3genE10ELNS1_11target_archE1200ELNS1_3gpuE4ELNS1_3repE0EEENS1_30default_config_static_selectorELNS0_4arch9wavefront6targetE1EEEvSL_
		.amdhsa_group_segment_fixed_size 0
		.amdhsa_private_segment_fixed_size 0
		.amdhsa_kernarg_size 64
		.amdhsa_user_sgpr_count 6
		.amdhsa_user_sgpr_private_segment_buffer 1
		.amdhsa_user_sgpr_dispatch_ptr 0
		.amdhsa_user_sgpr_queue_ptr 0
		.amdhsa_user_sgpr_kernarg_segment_ptr 1
		.amdhsa_user_sgpr_dispatch_id 0
		.amdhsa_user_sgpr_flat_scratch_init 0
		.amdhsa_user_sgpr_kernarg_preload_length 0
		.amdhsa_user_sgpr_kernarg_preload_offset 0
		.amdhsa_user_sgpr_private_segment_size 0
		.amdhsa_uses_dynamic_stack 0
		.amdhsa_system_sgpr_private_segment_wavefront_offset 0
		.amdhsa_system_sgpr_workgroup_id_x 1
		.amdhsa_system_sgpr_workgroup_id_y 0
		.amdhsa_system_sgpr_workgroup_id_z 0
		.amdhsa_system_sgpr_workgroup_info 0
		.amdhsa_system_vgpr_workitem_id 0
		.amdhsa_next_free_vgpr 1
		.amdhsa_next_free_sgpr 0
		.amdhsa_accum_offset 4
		.amdhsa_reserve_vcc 0
		.amdhsa_reserve_flat_scratch 0
		.amdhsa_float_round_mode_32 0
		.amdhsa_float_round_mode_16_64 0
		.amdhsa_float_denorm_mode_32 3
		.amdhsa_float_denorm_mode_16_64 3
		.amdhsa_dx10_clamp 1
		.amdhsa_ieee_mode 1
		.amdhsa_fp16_overflow 0
		.amdhsa_tg_split 0
		.amdhsa_exception_fp_ieee_invalid_op 0
		.amdhsa_exception_fp_denorm_src 0
		.amdhsa_exception_fp_ieee_div_zero 0
		.amdhsa_exception_fp_ieee_overflow 0
		.amdhsa_exception_fp_ieee_underflow 0
		.amdhsa_exception_fp_ieee_inexact 0
		.amdhsa_exception_int_div_zero 0
	.end_amdhsa_kernel
	.section	.text._ZN7rocprim17ROCPRIM_400000_NS6detail17trampoline_kernelINS0_14default_configENS1_37merge_sort_block_sort_config_selectorI14custom_numericNS0_10empty_typeEEEZNS1_21merge_sort_block_sortIS3_N6thrust23THRUST_200600_302600_NS6detail15normal_iteratorINSA_10device_ptrIS5_EEEESF_PS6_SG_NSA_4lessIS5_EEEE10hipError_tT0_T1_T2_T3_mRjT4_P12ihipStream_tbNS1_7vsmem_tEEUlT_E_NS1_11comp_targetILNS1_3genE10ELNS1_11target_archE1200ELNS1_3gpuE4ELNS1_3repE0EEENS1_30default_config_static_selectorELNS0_4arch9wavefront6targetE1EEEvSL_,"axG",@progbits,_ZN7rocprim17ROCPRIM_400000_NS6detail17trampoline_kernelINS0_14default_configENS1_37merge_sort_block_sort_config_selectorI14custom_numericNS0_10empty_typeEEEZNS1_21merge_sort_block_sortIS3_N6thrust23THRUST_200600_302600_NS6detail15normal_iteratorINSA_10device_ptrIS5_EEEESF_PS6_SG_NSA_4lessIS5_EEEE10hipError_tT0_T1_T2_T3_mRjT4_P12ihipStream_tbNS1_7vsmem_tEEUlT_E_NS1_11comp_targetILNS1_3genE10ELNS1_11target_archE1200ELNS1_3gpuE4ELNS1_3repE0EEENS1_30default_config_static_selectorELNS0_4arch9wavefront6targetE1EEEvSL_,comdat
.Lfunc_end1412:
	.size	_ZN7rocprim17ROCPRIM_400000_NS6detail17trampoline_kernelINS0_14default_configENS1_37merge_sort_block_sort_config_selectorI14custom_numericNS0_10empty_typeEEEZNS1_21merge_sort_block_sortIS3_N6thrust23THRUST_200600_302600_NS6detail15normal_iteratorINSA_10device_ptrIS5_EEEESF_PS6_SG_NSA_4lessIS5_EEEE10hipError_tT0_T1_T2_T3_mRjT4_P12ihipStream_tbNS1_7vsmem_tEEUlT_E_NS1_11comp_targetILNS1_3genE10ELNS1_11target_archE1200ELNS1_3gpuE4ELNS1_3repE0EEENS1_30default_config_static_selectorELNS0_4arch9wavefront6targetE1EEEvSL_, .Lfunc_end1412-_ZN7rocprim17ROCPRIM_400000_NS6detail17trampoline_kernelINS0_14default_configENS1_37merge_sort_block_sort_config_selectorI14custom_numericNS0_10empty_typeEEEZNS1_21merge_sort_block_sortIS3_N6thrust23THRUST_200600_302600_NS6detail15normal_iteratorINSA_10device_ptrIS5_EEEESF_PS6_SG_NSA_4lessIS5_EEEE10hipError_tT0_T1_T2_T3_mRjT4_P12ihipStream_tbNS1_7vsmem_tEEUlT_E_NS1_11comp_targetILNS1_3genE10ELNS1_11target_archE1200ELNS1_3gpuE4ELNS1_3repE0EEENS1_30default_config_static_selectorELNS0_4arch9wavefront6targetE1EEEvSL_
                                        ; -- End function
	.section	.AMDGPU.csdata,"",@progbits
; Kernel info:
; codeLenInByte = 0
; NumSgprs: 4
; NumVgprs: 0
; NumAgprs: 0
; TotalNumVgprs: 0
; ScratchSize: 0
; MemoryBound: 0
; FloatMode: 240
; IeeeMode: 1
; LDSByteSize: 0 bytes/workgroup (compile time only)
; SGPRBlocks: 0
; VGPRBlocks: 0
; NumSGPRsForWavesPerEU: 4
; NumVGPRsForWavesPerEU: 1
; AccumOffset: 4
; Occupancy: 8
; WaveLimiterHint : 0
; COMPUTE_PGM_RSRC2:SCRATCH_EN: 0
; COMPUTE_PGM_RSRC2:USER_SGPR: 6
; COMPUTE_PGM_RSRC2:TRAP_HANDLER: 0
; COMPUTE_PGM_RSRC2:TGID_X_EN: 1
; COMPUTE_PGM_RSRC2:TGID_Y_EN: 0
; COMPUTE_PGM_RSRC2:TGID_Z_EN: 0
; COMPUTE_PGM_RSRC2:TIDIG_COMP_CNT: 0
; COMPUTE_PGM_RSRC3_GFX90A:ACCUM_OFFSET: 0
; COMPUTE_PGM_RSRC3_GFX90A:TG_SPLIT: 0
	.section	.text._ZN7rocprim17ROCPRIM_400000_NS6detail17trampoline_kernelINS0_14default_configENS1_37merge_sort_block_sort_config_selectorI14custom_numericNS0_10empty_typeEEEZNS1_21merge_sort_block_sortIS3_N6thrust23THRUST_200600_302600_NS6detail15normal_iteratorINSA_10device_ptrIS5_EEEESF_PS6_SG_NSA_4lessIS5_EEEE10hipError_tT0_T1_T2_T3_mRjT4_P12ihipStream_tbNS1_7vsmem_tEEUlT_E_NS1_11comp_targetILNS1_3genE9ELNS1_11target_archE1100ELNS1_3gpuE3ELNS1_3repE0EEENS1_30default_config_static_selectorELNS0_4arch9wavefront6targetE1EEEvSL_,"axG",@progbits,_ZN7rocprim17ROCPRIM_400000_NS6detail17trampoline_kernelINS0_14default_configENS1_37merge_sort_block_sort_config_selectorI14custom_numericNS0_10empty_typeEEEZNS1_21merge_sort_block_sortIS3_N6thrust23THRUST_200600_302600_NS6detail15normal_iteratorINSA_10device_ptrIS5_EEEESF_PS6_SG_NSA_4lessIS5_EEEE10hipError_tT0_T1_T2_T3_mRjT4_P12ihipStream_tbNS1_7vsmem_tEEUlT_E_NS1_11comp_targetILNS1_3genE9ELNS1_11target_archE1100ELNS1_3gpuE3ELNS1_3repE0EEENS1_30default_config_static_selectorELNS0_4arch9wavefront6targetE1EEEvSL_,comdat
	.protected	_ZN7rocprim17ROCPRIM_400000_NS6detail17trampoline_kernelINS0_14default_configENS1_37merge_sort_block_sort_config_selectorI14custom_numericNS0_10empty_typeEEEZNS1_21merge_sort_block_sortIS3_N6thrust23THRUST_200600_302600_NS6detail15normal_iteratorINSA_10device_ptrIS5_EEEESF_PS6_SG_NSA_4lessIS5_EEEE10hipError_tT0_T1_T2_T3_mRjT4_P12ihipStream_tbNS1_7vsmem_tEEUlT_E_NS1_11comp_targetILNS1_3genE9ELNS1_11target_archE1100ELNS1_3gpuE3ELNS1_3repE0EEENS1_30default_config_static_selectorELNS0_4arch9wavefront6targetE1EEEvSL_ ; -- Begin function _ZN7rocprim17ROCPRIM_400000_NS6detail17trampoline_kernelINS0_14default_configENS1_37merge_sort_block_sort_config_selectorI14custom_numericNS0_10empty_typeEEEZNS1_21merge_sort_block_sortIS3_N6thrust23THRUST_200600_302600_NS6detail15normal_iteratorINSA_10device_ptrIS5_EEEESF_PS6_SG_NSA_4lessIS5_EEEE10hipError_tT0_T1_T2_T3_mRjT4_P12ihipStream_tbNS1_7vsmem_tEEUlT_E_NS1_11comp_targetILNS1_3genE9ELNS1_11target_archE1100ELNS1_3gpuE3ELNS1_3repE0EEENS1_30default_config_static_selectorELNS0_4arch9wavefront6targetE1EEEvSL_
	.globl	_ZN7rocprim17ROCPRIM_400000_NS6detail17trampoline_kernelINS0_14default_configENS1_37merge_sort_block_sort_config_selectorI14custom_numericNS0_10empty_typeEEEZNS1_21merge_sort_block_sortIS3_N6thrust23THRUST_200600_302600_NS6detail15normal_iteratorINSA_10device_ptrIS5_EEEESF_PS6_SG_NSA_4lessIS5_EEEE10hipError_tT0_T1_T2_T3_mRjT4_P12ihipStream_tbNS1_7vsmem_tEEUlT_E_NS1_11comp_targetILNS1_3genE9ELNS1_11target_archE1100ELNS1_3gpuE3ELNS1_3repE0EEENS1_30default_config_static_selectorELNS0_4arch9wavefront6targetE1EEEvSL_
	.p2align	8
	.type	_ZN7rocprim17ROCPRIM_400000_NS6detail17trampoline_kernelINS0_14default_configENS1_37merge_sort_block_sort_config_selectorI14custom_numericNS0_10empty_typeEEEZNS1_21merge_sort_block_sortIS3_N6thrust23THRUST_200600_302600_NS6detail15normal_iteratorINSA_10device_ptrIS5_EEEESF_PS6_SG_NSA_4lessIS5_EEEE10hipError_tT0_T1_T2_T3_mRjT4_P12ihipStream_tbNS1_7vsmem_tEEUlT_E_NS1_11comp_targetILNS1_3genE9ELNS1_11target_archE1100ELNS1_3gpuE3ELNS1_3repE0EEENS1_30default_config_static_selectorELNS0_4arch9wavefront6targetE1EEEvSL_,@function
_ZN7rocprim17ROCPRIM_400000_NS6detail17trampoline_kernelINS0_14default_configENS1_37merge_sort_block_sort_config_selectorI14custom_numericNS0_10empty_typeEEEZNS1_21merge_sort_block_sortIS3_N6thrust23THRUST_200600_302600_NS6detail15normal_iteratorINSA_10device_ptrIS5_EEEESF_PS6_SG_NSA_4lessIS5_EEEE10hipError_tT0_T1_T2_T3_mRjT4_P12ihipStream_tbNS1_7vsmem_tEEUlT_E_NS1_11comp_targetILNS1_3genE9ELNS1_11target_archE1100ELNS1_3gpuE3ELNS1_3repE0EEENS1_30default_config_static_selectorELNS0_4arch9wavefront6targetE1EEEvSL_: ; @_ZN7rocprim17ROCPRIM_400000_NS6detail17trampoline_kernelINS0_14default_configENS1_37merge_sort_block_sort_config_selectorI14custom_numericNS0_10empty_typeEEEZNS1_21merge_sort_block_sortIS3_N6thrust23THRUST_200600_302600_NS6detail15normal_iteratorINSA_10device_ptrIS5_EEEESF_PS6_SG_NSA_4lessIS5_EEEE10hipError_tT0_T1_T2_T3_mRjT4_P12ihipStream_tbNS1_7vsmem_tEEUlT_E_NS1_11comp_targetILNS1_3genE9ELNS1_11target_archE1100ELNS1_3gpuE3ELNS1_3repE0EEENS1_30default_config_static_selectorELNS0_4arch9wavefront6targetE1EEEvSL_
; %bb.0:
	.section	.rodata,"a",@progbits
	.p2align	6, 0x0
	.amdhsa_kernel _ZN7rocprim17ROCPRIM_400000_NS6detail17trampoline_kernelINS0_14default_configENS1_37merge_sort_block_sort_config_selectorI14custom_numericNS0_10empty_typeEEEZNS1_21merge_sort_block_sortIS3_N6thrust23THRUST_200600_302600_NS6detail15normal_iteratorINSA_10device_ptrIS5_EEEESF_PS6_SG_NSA_4lessIS5_EEEE10hipError_tT0_T1_T2_T3_mRjT4_P12ihipStream_tbNS1_7vsmem_tEEUlT_E_NS1_11comp_targetILNS1_3genE9ELNS1_11target_archE1100ELNS1_3gpuE3ELNS1_3repE0EEENS1_30default_config_static_selectorELNS0_4arch9wavefront6targetE1EEEvSL_
		.amdhsa_group_segment_fixed_size 0
		.amdhsa_private_segment_fixed_size 0
		.amdhsa_kernarg_size 64
		.amdhsa_user_sgpr_count 6
		.amdhsa_user_sgpr_private_segment_buffer 1
		.amdhsa_user_sgpr_dispatch_ptr 0
		.amdhsa_user_sgpr_queue_ptr 0
		.amdhsa_user_sgpr_kernarg_segment_ptr 1
		.amdhsa_user_sgpr_dispatch_id 0
		.amdhsa_user_sgpr_flat_scratch_init 0
		.amdhsa_user_sgpr_kernarg_preload_length 0
		.amdhsa_user_sgpr_kernarg_preload_offset 0
		.amdhsa_user_sgpr_private_segment_size 0
		.amdhsa_uses_dynamic_stack 0
		.amdhsa_system_sgpr_private_segment_wavefront_offset 0
		.amdhsa_system_sgpr_workgroup_id_x 1
		.amdhsa_system_sgpr_workgroup_id_y 0
		.amdhsa_system_sgpr_workgroup_id_z 0
		.amdhsa_system_sgpr_workgroup_info 0
		.amdhsa_system_vgpr_workitem_id 0
		.amdhsa_next_free_vgpr 1
		.amdhsa_next_free_sgpr 0
		.amdhsa_accum_offset 4
		.amdhsa_reserve_vcc 0
		.amdhsa_reserve_flat_scratch 0
		.amdhsa_float_round_mode_32 0
		.amdhsa_float_round_mode_16_64 0
		.amdhsa_float_denorm_mode_32 3
		.amdhsa_float_denorm_mode_16_64 3
		.amdhsa_dx10_clamp 1
		.amdhsa_ieee_mode 1
		.amdhsa_fp16_overflow 0
		.amdhsa_tg_split 0
		.amdhsa_exception_fp_ieee_invalid_op 0
		.amdhsa_exception_fp_denorm_src 0
		.amdhsa_exception_fp_ieee_div_zero 0
		.amdhsa_exception_fp_ieee_overflow 0
		.amdhsa_exception_fp_ieee_underflow 0
		.amdhsa_exception_fp_ieee_inexact 0
		.amdhsa_exception_int_div_zero 0
	.end_amdhsa_kernel
	.section	.text._ZN7rocprim17ROCPRIM_400000_NS6detail17trampoline_kernelINS0_14default_configENS1_37merge_sort_block_sort_config_selectorI14custom_numericNS0_10empty_typeEEEZNS1_21merge_sort_block_sortIS3_N6thrust23THRUST_200600_302600_NS6detail15normal_iteratorINSA_10device_ptrIS5_EEEESF_PS6_SG_NSA_4lessIS5_EEEE10hipError_tT0_T1_T2_T3_mRjT4_P12ihipStream_tbNS1_7vsmem_tEEUlT_E_NS1_11comp_targetILNS1_3genE9ELNS1_11target_archE1100ELNS1_3gpuE3ELNS1_3repE0EEENS1_30default_config_static_selectorELNS0_4arch9wavefront6targetE1EEEvSL_,"axG",@progbits,_ZN7rocprim17ROCPRIM_400000_NS6detail17trampoline_kernelINS0_14default_configENS1_37merge_sort_block_sort_config_selectorI14custom_numericNS0_10empty_typeEEEZNS1_21merge_sort_block_sortIS3_N6thrust23THRUST_200600_302600_NS6detail15normal_iteratorINSA_10device_ptrIS5_EEEESF_PS6_SG_NSA_4lessIS5_EEEE10hipError_tT0_T1_T2_T3_mRjT4_P12ihipStream_tbNS1_7vsmem_tEEUlT_E_NS1_11comp_targetILNS1_3genE9ELNS1_11target_archE1100ELNS1_3gpuE3ELNS1_3repE0EEENS1_30default_config_static_selectorELNS0_4arch9wavefront6targetE1EEEvSL_,comdat
.Lfunc_end1413:
	.size	_ZN7rocprim17ROCPRIM_400000_NS6detail17trampoline_kernelINS0_14default_configENS1_37merge_sort_block_sort_config_selectorI14custom_numericNS0_10empty_typeEEEZNS1_21merge_sort_block_sortIS3_N6thrust23THRUST_200600_302600_NS6detail15normal_iteratorINSA_10device_ptrIS5_EEEESF_PS6_SG_NSA_4lessIS5_EEEE10hipError_tT0_T1_T2_T3_mRjT4_P12ihipStream_tbNS1_7vsmem_tEEUlT_E_NS1_11comp_targetILNS1_3genE9ELNS1_11target_archE1100ELNS1_3gpuE3ELNS1_3repE0EEENS1_30default_config_static_selectorELNS0_4arch9wavefront6targetE1EEEvSL_, .Lfunc_end1413-_ZN7rocprim17ROCPRIM_400000_NS6detail17trampoline_kernelINS0_14default_configENS1_37merge_sort_block_sort_config_selectorI14custom_numericNS0_10empty_typeEEEZNS1_21merge_sort_block_sortIS3_N6thrust23THRUST_200600_302600_NS6detail15normal_iteratorINSA_10device_ptrIS5_EEEESF_PS6_SG_NSA_4lessIS5_EEEE10hipError_tT0_T1_T2_T3_mRjT4_P12ihipStream_tbNS1_7vsmem_tEEUlT_E_NS1_11comp_targetILNS1_3genE9ELNS1_11target_archE1100ELNS1_3gpuE3ELNS1_3repE0EEENS1_30default_config_static_selectorELNS0_4arch9wavefront6targetE1EEEvSL_
                                        ; -- End function
	.section	.AMDGPU.csdata,"",@progbits
; Kernel info:
; codeLenInByte = 0
; NumSgprs: 4
; NumVgprs: 0
; NumAgprs: 0
; TotalNumVgprs: 0
; ScratchSize: 0
; MemoryBound: 0
; FloatMode: 240
; IeeeMode: 1
; LDSByteSize: 0 bytes/workgroup (compile time only)
; SGPRBlocks: 0
; VGPRBlocks: 0
; NumSGPRsForWavesPerEU: 4
; NumVGPRsForWavesPerEU: 1
; AccumOffset: 4
; Occupancy: 8
; WaveLimiterHint : 0
; COMPUTE_PGM_RSRC2:SCRATCH_EN: 0
; COMPUTE_PGM_RSRC2:USER_SGPR: 6
; COMPUTE_PGM_RSRC2:TRAP_HANDLER: 0
; COMPUTE_PGM_RSRC2:TGID_X_EN: 1
; COMPUTE_PGM_RSRC2:TGID_Y_EN: 0
; COMPUTE_PGM_RSRC2:TGID_Z_EN: 0
; COMPUTE_PGM_RSRC2:TIDIG_COMP_CNT: 0
; COMPUTE_PGM_RSRC3_GFX90A:ACCUM_OFFSET: 0
; COMPUTE_PGM_RSRC3_GFX90A:TG_SPLIT: 0
	.section	.text._ZN7rocprim17ROCPRIM_400000_NS6detail17trampoline_kernelINS0_14default_configENS1_37merge_sort_block_sort_config_selectorI14custom_numericNS0_10empty_typeEEEZNS1_21merge_sort_block_sortIS3_N6thrust23THRUST_200600_302600_NS6detail15normal_iteratorINSA_10device_ptrIS5_EEEESF_PS6_SG_NSA_4lessIS5_EEEE10hipError_tT0_T1_T2_T3_mRjT4_P12ihipStream_tbNS1_7vsmem_tEEUlT_E_NS1_11comp_targetILNS1_3genE8ELNS1_11target_archE1030ELNS1_3gpuE2ELNS1_3repE0EEENS1_30default_config_static_selectorELNS0_4arch9wavefront6targetE1EEEvSL_,"axG",@progbits,_ZN7rocprim17ROCPRIM_400000_NS6detail17trampoline_kernelINS0_14default_configENS1_37merge_sort_block_sort_config_selectorI14custom_numericNS0_10empty_typeEEEZNS1_21merge_sort_block_sortIS3_N6thrust23THRUST_200600_302600_NS6detail15normal_iteratorINSA_10device_ptrIS5_EEEESF_PS6_SG_NSA_4lessIS5_EEEE10hipError_tT0_T1_T2_T3_mRjT4_P12ihipStream_tbNS1_7vsmem_tEEUlT_E_NS1_11comp_targetILNS1_3genE8ELNS1_11target_archE1030ELNS1_3gpuE2ELNS1_3repE0EEENS1_30default_config_static_selectorELNS0_4arch9wavefront6targetE1EEEvSL_,comdat
	.protected	_ZN7rocprim17ROCPRIM_400000_NS6detail17trampoline_kernelINS0_14default_configENS1_37merge_sort_block_sort_config_selectorI14custom_numericNS0_10empty_typeEEEZNS1_21merge_sort_block_sortIS3_N6thrust23THRUST_200600_302600_NS6detail15normal_iteratorINSA_10device_ptrIS5_EEEESF_PS6_SG_NSA_4lessIS5_EEEE10hipError_tT0_T1_T2_T3_mRjT4_P12ihipStream_tbNS1_7vsmem_tEEUlT_E_NS1_11comp_targetILNS1_3genE8ELNS1_11target_archE1030ELNS1_3gpuE2ELNS1_3repE0EEENS1_30default_config_static_selectorELNS0_4arch9wavefront6targetE1EEEvSL_ ; -- Begin function _ZN7rocprim17ROCPRIM_400000_NS6detail17trampoline_kernelINS0_14default_configENS1_37merge_sort_block_sort_config_selectorI14custom_numericNS0_10empty_typeEEEZNS1_21merge_sort_block_sortIS3_N6thrust23THRUST_200600_302600_NS6detail15normal_iteratorINSA_10device_ptrIS5_EEEESF_PS6_SG_NSA_4lessIS5_EEEE10hipError_tT0_T1_T2_T3_mRjT4_P12ihipStream_tbNS1_7vsmem_tEEUlT_E_NS1_11comp_targetILNS1_3genE8ELNS1_11target_archE1030ELNS1_3gpuE2ELNS1_3repE0EEENS1_30default_config_static_selectorELNS0_4arch9wavefront6targetE1EEEvSL_
	.globl	_ZN7rocprim17ROCPRIM_400000_NS6detail17trampoline_kernelINS0_14default_configENS1_37merge_sort_block_sort_config_selectorI14custom_numericNS0_10empty_typeEEEZNS1_21merge_sort_block_sortIS3_N6thrust23THRUST_200600_302600_NS6detail15normal_iteratorINSA_10device_ptrIS5_EEEESF_PS6_SG_NSA_4lessIS5_EEEE10hipError_tT0_T1_T2_T3_mRjT4_P12ihipStream_tbNS1_7vsmem_tEEUlT_E_NS1_11comp_targetILNS1_3genE8ELNS1_11target_archE1030ELNS1_3gpuE2ELNS1_3repE0EEENS1_30default_config_static_selectorELNS0_4arch9wavefront6targetE1EEEvSL_
	.p2align	8
	.type	_ZN7rocprim17ROCPRIM_400000_NS6detail17trampoline_kernelINS0_14default_configENS1_37merge_sort_block_sort_config_selectorI14custom_numericNS0_10empty_typeEEEZNS1_21merge_sort_block_sortIS3_N6thrust23THRUST_200600_302600_NS6detail15normal_iteratorINSA_10device_ptrIS5_EEEESF_PS6_SG_NSA_4lessIS5_EEEE10hipError_tT0_T1_T2_T3_mRjT4_P12ihipStream_tbNS1_7vsmem_tEEUlT_E_NS1_11comp_targetILNS1_3genE8ELNS1_11target_archE1030ELNS1_3gpuE2ELNS1_3repE0EEENS1_30default_config_static_selectorELNS0_4arch9wavefront6targetE1EEEvSL_,@function
_ZN7rocprim17ROCPRIM_400000_NS6detail17trampoline_kernelINS0_14default_configENS1_37merge_sort_block_sort_config_selectorI14custom_numericNS0_10empty_typeEEEZNS1_21merge_sort_block_sortIS3_N6thrust23THRUST_200600_302600_NS6detail15normal_iteratorINSA_10device_ptrIS5_EEEESF_PS6_SG_NSA_4lessIS5_EEEE10hipError_tT0_T1_T2_T3_mRjT4_P12ihipStream_tbNS1_7vsmem_tEEUlT_E_NS1_11comp_targetILNS1_3genE8ELNS1_11target_archE1030ELNS1_3gpuE2ELNS1_3repE0EEENS1_30default_config_static_selectorELNS0_4arch9wavefront6targetE1EEEvSL_: ; @_ZN7rocprim17ROCPRIM_400000_NS6detail17trampoline_kernelINS0_14default_configENS1_37merge_sort_block_sort_config_selectorI14custom_numericNS0_10empty_typeEEEZNS1_21merge_sort_block_sortIS3_N6thrust23THRUST_200600_302600_NS6detail15normal_iteratorINSA_10device_ptrIS5_EEEESF_PS6_SG_NSA_4lessIS5_EEEE10hipError_tT0_T1_T2_T3_mRjT4_P12ihipStream_tbNS1_7vsmem_tEEUlT_E_NS1_11comp_targetILNS1_3genE8ELNS1_11target_archE1030ELNS1_3gpuE2ELNS1_3repE0EEENS1_30default_config_static_selectorELNS0_4arch9wavefront6targetE1EEEvSL_
; %bb.0:
	.section	.rodata,"a",@progbits
	.p2align	6, 0x0
	.amdhsa_kernel _ZN7rocprim17ROCPRIM_400000_NS6detail17trampoline_kernelINS0_14default_configENS1_37merge_sort_block_sort_config_selectorI14custom_numericNS0_10empty_typeEEEZNS1_21merge_sort_block_sortIS3_N6thrust23THRUST_200600_302600_NS6detail15normal_iteratorINSA_10device_ptrIS5_EEEESF_PS6_SG_NSA_4lessIS5_EEEE10hipError_tT0_T1_T2_T3_mRjT4_P12ihipStream_tbNS1_7vsmem_tEEUlT_E_NS1_11comp_targetILNS1_3genE8ELNS1_11target_archE1030ELNS1_3gpuE2ELNS1_3repE0EEENS1_30default_config_static_selectorELNS0_4arch9wavefront6targetE1EEEvSL_
		.amdhsa_group_segment_fixed_size 0
		.amdhsa_private_segment_fixed_size 0
		.amdhsa_kernarg_size 64
		.amdhsa_user_sgpr_count 6
		.amdhsa_user_sgpr_private_segment_buffer 1
		.amdhsa_user_sgpr_dispatch_ptr 0
		.amdhsa_user_sgpr_queue_ptr 0
		.amdhsa_user_sgpr_kernarg_segment_ptr 1
		.amdhsa_user_sgpr_dispatch_id 0
		.amdhsa_user_sgpr_flat_scratch_init 0
		.amdhsa_user_sgpr_kernarg_preload_length 0
		.amdhsa_user_sgpr_kernarg_preload_offset 0
		.amdhsa_user_sgpr_private_segment_size 0
		.amdhsa_uses_dynamic_stack 0
		.amdhsa_system_sgpr_private_segment_wavefront_offset 0
		.amdhsa_system_sgpr_workgroup_id_x 1
		.amdhsa_system_sgpr_workgroup_id_y 0
		.amdhsa_system_sgpr_workgroup_id_z 0
		.amdhsa_system_sgpr_workgroup_info 0
		.amdhsa_system_vgpr_workitem_id 0
		.amdhsa_next_free_vgpr 1
		.amdhsa_next_free_sgpr 0
		.amdhsa_accum_offset 4
		.amdhsa_reserve_vcc 0
		.amdhsa_reserve_flat_scratch 0
		.amdhsa_float_round_mode_32 0
		.amdhsa_float_round_mode_16_64 0
		.amdhsa_float_denorm_mode_32 3
		.amdhsa_float_denorm_mode_16_64 3
		.amdhsa_dx10_clamp 1
		.amdhsa_ieee_mode 1
		.amdhsa_fp16_overflow 0
		.amdhsa_tg_split 0
		.amdhsa_exception_fp_ieee_invalid_op 0
		.amdhsa_exception_fp_denorm_src 0
		.amdhsa_exception_fp_ieee_div_zero 0
		.amdhsa_exception_fp_ieee_overflow 0
		.amdhsa_exception_fp_ieee_underflow 0
		.amdhsa_exception_fp_ieee_inexact 0
		.amdhsa_exception_int_div_zero 0
	.end_amdhsa_kernel
	.section	.text._ZN7rocprim17ROCPRIM_400000_NS6detail17trampoline_kernelINS0_14default_configENS1_37merge_sort_block_sort_config_selectorI14custom_numericNS0_10empty_typeEEEZNS1_21merge_sort_block_sortIS3_N6thrust23THRUST_200600_302600_NS6detail15normal_iteratorINSA_10device_ptrIS5_EEEESF_PS6_SG_NSA_4lessIS5_EEEE10hipError_tT0_T1_T2_T3_mRjT4_P12ihipStream_tbNS1_7vsmem_tEEUlT_E_NS1_11comp_targetILNS1_3genE8ELNS1_11target_archE1030ELNS1_3gpuE2ELNS1_3repE0EEENS1_30default_config_static_selectorELNS0_4arch9wavefront6targetE1EEEvSL_,"axG",@progbits,_ZN7rocprim17ROCPRIM_400000_NS6detail17trampoline_kernelINS0_14default_configENS1_37merge_sort_block_sort_config_selectorI14custom_numericNS0_10empty_typeEEEZNS1_21merge_sort_block_sortIS3_N6thrust23THRUST_200600_302600_NS6detail15normal_iteratorINSA_10device_ptrIS5_EEEESF_PS6_SG_NSA_4lessIS5_EEEE10hipError_tT0_T1_T2_T3_mRjT4_P12ihipStream_tbNS1_7vsmem_tEEUlT_E_NS1_11comp_targetILNS1_3genE8ELNS1_11target_archE1030ELNS1_3gpuE2ELNS1_3repE0EEENS1_30default_config_static_selectorELNS0_4arch9wavefront6targetE1EEEvSL_,comdat
.Lfunc_end1414:
	.size	_ZN7rocprim17ROCPRIM_400000_NS6detail17trampoline_kernelINS0_14default_configENS1_37merge_sort_block_sort_config_selectorI14custom_numericNS0_10empty_typeEEEZNS1_21merge_sort_block_sortIS3_N6thrust23THRUST_200600_302600_NS6detail15normal_iteratorINSA_10device_ptrIS5_EEEESF_PS6_SG_NSA_4lessIS5_EEEE10hipError_tT0_T1_T2_T3_mRjT4_P12ihipStream_tbNS1_7vsmem_tEEUlT_E_NS1_11comp_targetILNS1_3genE8ELNS1_11target_archE1030ELNS1_3gpuE2ELNS1_3repE0EEENS1_30default_config_static_selectorELNS0_4arch9wavefront6targetE1EEEvSL_, .Lfunc_end1414-_ZN7rocprim17ROCPRIM_400000_NS6detail17trampoline_kernelINS0_14default_configENS1_37merge_sort_block_sort_config_selectorI14custom_numericNS0_10empty_typeEEEZNS1_21merge_sort_block_sortIS3_N6thrust23THRUST_200600_302600_NS6detail15normal_iteratorINSA_10device_ptrIS5_EEEESF_PS6_SG_NSA_4lessIS5_EEEE10hipError_tT0_T1_T2_T3_mRjT4_P12ihipStream_tbNS1_7vsmem_tEEUlT_E_NS1_11comp_targetILNS1_3genE8ELNS1_11target_archE1030ELNS1_3gpuE2ELNS1_3repE0EEENS1_30default_config_static_selectorELNS0_4arch9wavefront6targetE1EEEvSL_
                                        ; -- End function
	.section	.AMDGPU.csdata,"",@progbits
; Kernel info:
; codeLenInByte = 0
; NumSgprs: 4
; NumVgprs: 0
; NumAgprs: 0
; TotalNumVgprs: 0
; ScratchSize: 0
; MemoryBound: 0
; FloatMode: 240
; IeeeMode: 1
; LDSByteSize: 0 bytes/workgroup (compile time only)
; SGPRBlocks: 0
; VGPRBlocks: 0
; NumSGPRsForWavesPerEU: 4
; NumVGPRsForWavesPerEU: 1
; AccumOffset: 4
; Occupancy: 8
; WaveLimiterHint : 0
; COMPUTE_PGM_RSRC2:SCRATCH_EN: 0
; COMPUTE_PGM_RSRC2:USER_SGPR: 6
; COMPUTE_PGM_RSRC2:TRAP_HANDLER: 0
; COMPUTE_PGM_RSRC2:TGID_X_EN: 1
; COMPUTE_PGM_RSRC2:TGID_Y_EN: 0
; COMPUTE_PGM_RSRC2:TGID_Z_EN: 0
; COMPUTE_PGM_RSRC2:TIDIG_COMP_CNT: 0
; COMPUTE_PGM_RSRC3_GFX90A:ACCUM_OFFSET: 0
; COMPUTE_PGM_RSRC3_GFX90A:TG_SPLIT: 0
	.section	.text._ZN7rocprim17ROCPRIM_400000_NS6detail17trampoline_kernelINS0_14default_configENS1_38merge_sort_block_merge_config_selectorI14custom_numericNS0_10empty_typeEEEZZNS1_27merge_sort_block_merge_implIS3_N6thrust23THRUST_200600_302600_NS6detail15normal_iteratorINSA_10device_ptrIS5_EEEEPS6_mNSA_4lessIS5_EEEE10hipError_tT0_T1_T2_jT3_P12ihipStream_tbPNSt15iterator_traitsISK_E10value_typeEPNSQ_ISL_E10value_typeEPSM_NS1_7vsmem_tEENKUlT_SK_SL_SM_E_clIPS5_SF_SG_SG_EESJ_SZ_SK_SL_SM_EUlSZ_E_NS1_11comp_targetILNS1_3genE0ELNS1_11target_archE4294967295ELNS1_3gpuE0ELNS1_3repE0EEENS1_48merge_mergepath_partition_config_static_selectorELNS0_4arch9wavefront6targetE1EEEvSL_,"axG",@progbits,_ZN7rocprim17ROCPRIM_400000_NS6detail17trampoline_kernelINS0_14default_configENS1_38merge_sort_block_merge_config_selectorI14custom_numericNS0_10empty_typeEEEZZNS1_27merge_sort_block_merge_implIS3_N6thrust23THRUST_200600_302600_NS6detail15normal_iteratorINSA_10device_ptrIS5_EEEEPS6_mNSA_4lessIS5_EEEE10hipError_tT0_T1_T2_jT3_P12ihipStream_tbPNSt15iterator_traitsISK_E10value_typeEPNSQ_ISL_E10value_typeEPSM_NS1_7vsmem_tEENKUlT_SK_SL_SM_E_clIPS5_SF_SG_SG_EESJ_SZ_SK_SL_SM_EUlSZ_E_NS1_11comp_targetILNS1_3genE0ELNS1_11target_archE4294967295ELNS1_3gpuE0ELNS1_3repE0EEENS1_48merge_mergepath_partition_config_static_selectorELNS0_4arch9wavefront6targetE1EEEvSL_,comdat
	.protected	_ZN7rocprim17ROCPRIM_400000_NS6detail17trampoline_kernelINS0_14default_configENS1_38merge_sort_block_merge_config_selectorI14custom_numericNS0_10empty_typeEEEZZNS1_27merge_sort_block_merge_implIS3_N6thrust23THRUST_200600_302600_NS6detail15normal_iteratorINSA_10device_ptrIS5_EEEEPS6_mNSA_4lessIS5_EEEE10hipError_tT0_T1_T2_jT3_P12ihipStream_tbPNSt15iterator_traitsISK_E10value_typeEPNSQ_ISL_E10value_typeEPSM_NS1_7vsmem_tEENKUlT_SK_SL_SM_E_clIPS5_SF_SG_SG_EESJ_SZ_SK_SL_SM_EUlSZ_E_NS1_11comp_targetILNS1_3genE0ELNS1_11target_archE4294967295ELNS1_3gpuE0ELNS1_3repE0EEENS1_48merge_mergepath_partition_config_static_selectorELNS0_4arch9wavefront6targetE1EEEvSL_ ; -- Begin function _ZN7rocprim17ROCPRIM_400000_NS6detail17trampoline_kernelINS0_14default_configENS1_38merge_sort_block_merge_config_selectorI14custom_numericNS0_10empty_typeEEEZZNS1_27merge_sort_block_merge_implIS3_N6thrust23THRUST_200600_302600_NS6detail15normal_iteratorINSA_10device_ptrIS5_EEEEPS6_mNSA_4lessIS5_EEEE10hipError_tT0_T1_T2_jT3_P12ihipStream_tbPNSt15iterator_traitsISK_E10value_typeEPNSQ_ISL_E10value_typeEPSM_NS1_7vsmem_tEENKUlT_SK_SL_SM_E_clIPS5_SF_SG_SG_EESJ_SZ_SK_SL_SM_EUlSZ_E_NS1_11comp_targetILNS1_3genE0ELNS1_11target_archE4294967295ELNS1_3gpuE0ELNS1_3repE0EEENS1_48merge_mergepath_partition_config_static_selectorELNS0_4arch9wavefront6targetE1EEEvSL_
	.globl	_ZN7rocprim17ROCPRIM_400000_NS6detail17trampoline_kernelINS0_14default_configENS1_38merge_sort_block_merge_config_selectorI14custom_numericNS0_10empty_typeEEEZZNS1_27merge_sort_block_merge_implIS3_N6thrust23THRUST_200600_302600_NS6detail15normal_iteratorINSA_10device_ptrIS5_EEEEPS6_mNSA_4lessIS5_EEEE10hipError_tT0_T1_T2_jT3_P12ihipStream_tbPNSt15iterator_traitsISK_E10value_typeEPNSQ_ISL_E10value_typeEPSM_NS1_7vsmem_tEENKUlT_SK_SL_SM_E_clIPS5_SF_SG_SG_EESJ_SZ_SK_SL_SM_EUlSZ_E_NS1_11comp_targetILNS1_3genE0ELNS1_11target_archE4294967295ELNS1_3gpuE0ELNS1_3repE0EEENS1_48merge_mergepath_partition_config_static_selectorELNS0_4arch9wavefront6targetE1EEEvSL_
	.p2align	8
	.type	_ZN7rocprim17ROCPRIM_400000_NS6detail17trampoline_kernelINS0_14default_configENS1_38merge_sort_block_merge_config_selectorI14custom_numericNS0_10empty_typeEEEZZNS1_27merge_sort_block_merge_implIS3_N6thrust23THRUST_200600_302600_NS6detail15normal_iteratorINSA_10device_ptrIS5_EEEEPS6_mNSA_4lessIS5_EEEE10hipError_tT0_T1_T2_jT3_P12ihipStream_tbPNSt15iterator_traitsISK_E10value_typeEPNSQ_ISL_E10value_typeEPSM_NS1_7vsmem_tEENKUlT_SK_SL_SM_E_clIPS5_SF_SG_SG_EESJ_SZ_SK_SL_SM_EUlSZ_E_NS1_11comp_targetILNS1_3genE0ELNS1_11target_archE4294967295ELNS1_3gpuE0ELNS1_3repE0EEENS1_48merge_mergepath_partition_config_static_selectorELNS0_4arch9wavefront6targetE1EEEvSL_,@function
_ZN7rocprim17ROCPRIM_400000_NS6detail17trampoline_kernelINS0_14default_configENS1_38merge_sort_block_merge_config_selectorI14custom_numericNS0_10empty_typeEEEZZNS1_27merge_sort_block_merge_implIS3_N6thrust23THRUST_200600_302600_NS6detail15normal_iteratorINSA_10device_ptrIS5_EEEEPS6_mNSA_4lessIS5_EEEE10hipError_tT0_T1_T2_jT3_P12ihipStream_tbPNSt15iterator_traitsISK_E10value_typeEPNSQ_ISL_E10value_typeEPSM_NS1_7vsmem_tEENKUlT_SK_SL_SM_E_clIPS5_SF_SG_SG_EESJ_SZ_SK_SL_SM_EUlSZ_E_NS1_11comp_targetILNS1_3genE0ELNS1_11target_archE4294967295ELNS1_3gpuE0ELNS1_3repE0EEENS1_48merge_mergepath_partition_config_static_selectorELNS0_4arch9wavefront6targetE1EEEvSL_: ; @_ZN7rocprim17ROCPRIM_400000_NS6detail17trampoline_kernelINS0_14default_configENS1_38merge_sort_block_merge_config_selectorI14custom_numericNS0_10empty_typeEEEZZNS1_27merge_sort_block_merge_implIS3_N6thrust23THRUST_200600_302600_NS6detail15normal_iteratorINSA_10device_ptrIS5_EEEEPS6_mNSA_4lessIS5_EEEE10hipError_tT0_T1_T2_jT3_P12ihipStream_tbPNSt15iterator_traitsISK_E10value_typeEPNSQ_ISL_E10value_typeEPSM_NS1_7vsmem_tEENKUlT_SK_SL_SM_E_clIPS5_SF_SG_SG_EESJ_SZ_SK_SL_SM_EUlSZ_E_NS1_11comp_targetILNS1_3genE0ELNS1_11target_archE4294967295ELNS1_3gpuE0ELNS1_3repE0EEENS1_48merge_mergepath_partition_config_static_selectorELNS0_4arch9wavefront6targetE1EEEvSL_
; %bb.0:
	.section	.rodata,"a",@progbits
	.p2align	6, 0x0
	.amdhsa_kernel _ZN7rocprim17ROCPRIM_400000_NS6detail17trampoline_kernelINS0_14default_configENS1_38merge_sort_block_merge_config_selectorI14custom_numericNS0_10empty_typeEEEZZNS1_27merge_sort_block_merge_implIS3_N6thrust23THRUST_200600_302600_NS6detail15normal_iteratorINSA_10device_ptrIS5_EEEEPS6_mNSA_4lessIS5_EEEE10hipError_tT0_T1_T2_jT3_P12ihipStream_tbPNSt15iterator_traitsISK_E10value_typeEPNSQ_ISL_E10value_typeEPSM_NS1_7vsmem_tEENKUlT_SK_SL_SM_E_clIPS5_SF_SG_SG_EESJ_SZ_SK_SL_SM_EUlSZ_E_NS1_11comp_targetILNS1_3genE0ELNS1_11target_archE4294967295ELNS1_3gpuE0ELNS1_3repE0EEENS1_48merge_mergepath_partition_config_static_selectorELNS0_4arch9wavefront6targetE1EEEvSL_
		.amdhsa_group_segment_fixed_size 0
		.amdhsa_private_segment_fixed_size 0
		.amdhsa_kernarg_size 48
		.amdhsa_user_sgpr_count 6
		.amdhsa_user_sgpr_private_segment_buffer 1
		.amdhsa_user_sgpr_dispatch_ptr 0
		.amdhsa_user_sgpr_queue_ptr 0
		.amdhsa_user_sgpr_kernarg_segment_ptr 1
		.amdhsa_user_sgpr_dispatch_id 0
		.amdhsa_user_sgpr_flat_scratch_init 0
		.amdhsa_user_sgpr_kernarg_preload_length 0
		.amdhsa_user_sgpr_kernarg_preload_offset 0
		.amdhsa_user_sgpr_private_segment_size 0
		.amdhsa_uses_dynamic_stack 0
		.amdhsa_system_sgpr_private_segment_wavefront_offset 0
		.amdhsa_system_sgpr_workgroup_id_x 1
		.amdhsa_system_sgpr_workgroup_id_y 0
		.amdhsa_system_sgpr_workgroup_id_z 0
		.amdhsa_system_sgpr_workgroup_info 0
		.amdhsa_system_vgpr_workitem_id 0
		.amdhsa_next_free_vgpr 1
		.amdhsa_next_free_sgpr 0
		.amdhsa_accum_offset 4
		.amdhsa_reserve_vcc 0
		.amdhsa_reserve_flat_scratch 0
		.amdhsa_float_round_mode_32 0
		.amdhsa_float_round_mode_16_64 0
		.amdhsa_float_denorm_mode_32 3
		.amdhsa_float_denorm_mode_16_64 3
		.amdhsa_dx10_clamp 1
		.amdhsa_ieee_mode 1
		.amdhsa_fp16_overflow 0
		.amdhsa_tg_split 0
		.amdhsa_exception_fp_ieee_invalid_op 0
		.amdhsa_exception_fp_denorm_src 0
		.amdhsa_exception_fp_ieee_div_zero 0
		.amdhsa_exception_fp_ieee_overflow 0
		.amdhsa_exception_fp_ieee_underflow 0
		.amdhsa_exception_fp_ieee_inexact 0
		.amdhsa_exception_int_div_zero 0
	.end_amdhsa_kernel
	.section	.text._ZN7rocprim17ROCPRIM_400000_NS6detail17trampoline_kernelINS0_14default_configENS1_38merge_sort_block_merge_config_selectorI14custom_numericNS0_10empty_typeEEEZZNS1_27merge_sort_block_merge_implIS3_N6thrust23THRUST_200600_302600_NS6detail15normal_iteratorINSA_10device_ptrIS5_EEEEPS6_mNSA_4lessIS5_EEEE10hipError_tT0_T1_T2_jT3_P12ihipStream_tbPNSt15iterator_traitsISK_E10value_typeEPNSQ_ISL_E10value_typeEPSM_NS1_7vsmem_tEENKUlT_SK_SL_SM_E_clIPS5_SF_SG_SG_EESJ_SZ_SK_SL_SM_EUlSZ_E_NS1_11comp_targetILNS1_3genE0ELNS1_11target_archE4294967295ELNS1_3gpuE0ELNS1_3repE0EEENS1_48merge_mergepath_partition_config_static_selectorELNS0_4arch9wavefront6targetE1EEEvSL_,"axG",@progbits,_ZN7rocprim17ROCPRIM_400000_NS6detail17trampoline_kernelINS0_14default_configENS1_38merge_sort_block_merge_config_selectorI14custom_numericNS0_10empty_typeEEEZZNS1_27merge_sort_block_merge_implIS3_N6thrust23THRUST_200600_302600_NS6detail15normal_iteratorINSA_10device_ptrIS5_EEEEPS6_mNSA_4lessIS5_EEEE10hipError_tT0_T1_T2_jT3_P12ihipStream_tbPNSt15iterator_traitsISK_E10value_typeEPNSQ_ISL_E10value_typeEPSM_NS1_7vsmem_tEENKUlT_SK_SL_SM_E_clIPS5_SF_SG_SG_EESJ_SZ_SK_SL_SM_EUlSZ_E_NS1_11comp_targetILNS1_3genE0ELNS1_11target_archE4294967295ELNS1_3gpuE0ELNS1_3repE0EEENS1_48merge_mergepath_partition_config_static_selectorELNS0_4arch9wavefront6targetE1EEEvSL_,comdat
.Lfunc_end1415:
	.size	_ZN7rocprim17ROCPRIM_400000_NS6detail17trampoline_kernelINS0_14default_configENS1_38merge_sort_block_merge_config_selectorI14custom_numericNS0_10empty_typeEEEZZNS1_27merge_sort_block_merge_implIS3_N6thrust23THRUST_200600_302600_NS6detail15normal_iteratorINSA_10device_ptrIS5_EEEEPS6_mNSA_4lessIS5_EEEE10hipError_tT0_T1_T2_jT3_P12ihipStream_tbPNSt15iterator_traitsISK_E10value_typeEPNSQ_ISL_E10value_typeEPSM_NS1_7vsmem_tEENKUlT_SK_SL_SM_E_clIPS5_SF_SG_SG_EESJ_SZ_SK_SL_SM_EUlSZ_E_NS1_11comp_targetILNS1_3genE0ELNS1_11target_archE4294967295ELNS1_3gpuE0ELNS1_3repE0EEENS1_48merge_mergepath_partition_config_static_selectorELNS0_4arch9wavefront6targetE1EEEvSL_, .Lfunc_end1415-_ZN7rocprim17ROCPRIM_400000_NS6detail17trampoline_kernelINS0_14default_configENS1_38merge_sort_block_merge_config_selectorI14custom_numericNS0_10empty_typeEEEZZNS1_27merge_sort_block_merge_implIS3_N6thrust23THRUST_200600_302600_NS6detail15normal_iteratorINSA_10device_ptrIS5_EEEEPS6_mNSA_4lessIS5_EEEE10hipError_tT0_T1_T2_jT3_P12ihipStream_tbPNSt15iterator_traitsISK_E10value_typeEPNSQ_ISL_E10value_typeEPSM_NS1_7vsmem_tEENKUlT_SK_SL_SM_E_clIPS5_SF_SG_SG_EESJ_SZ_SK_SL_SM_EUlSZ_E_NS1_11comp_targetILNS1_3genE0ELNS1_11target_archE4294967295ELNS1_3gpuE0ELNS1_3repE0EEENS1_48merge_mergepath_partition_config_static_selectorELNS0_4arch9wavefront6targetE1EEEvSL_
                                        ; -- End function
	.section	.AMDGPU.csdata,"",@progbits
; Kernel info:
; codeLenInByte = 0
; NumSgprs: 4
; NumVgprs: 0
; NumAgprs: 0
; TotalNumVgprs: 0
; ScratchSize: 0
; MemoryBound: 0
; FloatMode: 240
; IeeeMode: 1
; LDSByteSize: 0 bytes/workgroup (compile time only)
; SGPRBlocks: 0
; VGPRBlocks: 0
; NumSGPRsForWavesPerEU: 4
; NumVGPRsForWavesPerEU: 1
; AccumOffset: 4
; Occupancy: 8
; WaveLimiterHint : 0
; COMPUTE_PGM_RSRC2:SCRATCH_EN: 0
; COMPUTE_PGM_RSRC2:USER_SGPR: 6
; COMPUTE_PGM_RSRC2:TRAP_HANDLER: 0
; COMPUTE_PGM_RSRC2:TGID_X_EN: 1
; COMPUTE_PGM_RSRC2:TGID_Y_EN: 0
; COMPUTE_PGM_RSRC2:TGID_Z_EN: 0
; COMPUTE_PGM_RSRC2:TIDIG_COMP_CNT: 0
; COMPUTE_PGM_RSRC3_GFX90A:ACCUM_OFFSET: 0
; COMPUTE_PGM_RSRC3_GFX90A:TG_SPLIT: 0
	.section	.text._ZN7rocprim17ROCPRIM_400000_NS6detail17trampoline_kernelINS0_14default_configENS1_38merge_sort_block_merge_config_selectorI14custom_numericNS0_10empty_typeEEEZZNS1_27merge_sort_block_merge_implIS3_N6thrust23THRUST_200600_302600_NS6detail15normal_iteratorINSA_10device_ptrIS5_EEEEPS6_mNSA_4lessIS5_EEEE10hipError_tT0_T1_T2_jT3_P12ihipStream_tbPNSt15iterator_traitsISK_E10value_typeEPNSQ_ISL_E10value_typeEPSM_NS1_7vsmem_tEENKUlT_SK_SL_SM_E_clIPS5_SF_SG_SG_EESJ_SZ_SK_SL_SM_EUlSZ_E_NS1_11comp_targetILNS1_3genE10ELNS1_11target_archE1201ELNS1_3gpuE5ELNS1_3repE0EEENS1_48merge_mergepath_partition_config_static_selectorELNS0_4arch9wavefront6targetE1EEEvSL_,"axG",@progbits,_ZN7rocprim17ROCPRIM_400000_NS6detail17trampoline_kernelINS0_14default_configENS1_38merge_sort_block_merge_config_selectorI14custom_numericNS0_10empty_typeEEEZZNS1_27merge_sort_block_merge_implIS3_N6thrust23THRUST_200600_302600_NS6detail15normal_iteratorINSA_10device_ptrIS5_EEEEPS6_mNSA_4lessIS5_EEEE10hipError_tT0_T1_T2_jT3_P12ihipStream_tbPNSt15iterator_traitsISK_E10value_typeEPNSQ_ISL_E10value_typeEPSM_NS1_7vsmem_tEENKUlT_SK_SL_SM_E_clIPS5_SF_SG_SG_EESJ_SZ_SK_SL_SM_EUlSZ_E_NS1_11comp_targetILNS1_3genE10ELNS1_11target_archE1201ELNS1_3gpuE5ELNS1_3repE0EEENS1_48merge_mergepath_partition_config_static_selectorELNS0_4arch9wavefront6targetE1EEEvSL_,comdat
	.protected	_ZN7rocprim17ROCPRIM_400000_NS6detail17trampoline_kernelINS0_14default_configENS1_38merge_sort_block_merge_config_selectorI14custom_numericNS0_10empty_typeEEEZZNS1_27merge_sort_block_merge_implIS3_N6thrust23THRUST_200600_302600_NS6detail15normal_iteratorINSA_10device_ptrIS5_EEEEPS6_mNSA_4lessIS5_EEEE10hipError_tT0_T1_T2_jT3_P12ihipStream_tbPNSt15iterator_traitsISK_E10value_typeEPNSQ_ISL_E10value_typeEPSM_NS1_7vsmem_tEENKUlT_SK_SL_SM_E_clIPS5_SF_SG_SG_EESJ_SZ_SK_SL_SM_EUlSZ_E_NS1_11comp_targetILNS1_3genE10ELNS1_11target_archE1201ELNS1_3gpuE5ELNS1_3repE0EEENS1_48merge_mergepath_partition_config_static_selectorELNS0_4arch9wavefront6targetE1EEEvSL_ ; -- Begin function _ZN7rocprim17ROCPRIM_400000_NS6detail17trampoline_kernelINS0_14default_configENS1_38merge_sort_block_merge_config_selectorI14custom_numericNS0_10empty_typeEEEZZNS1_27merge_sort_block_merge_implIS3_N6thrust23THRUST_200600_302600_NS6detail15normal_iteratorINSA_10device_ptrIS5_EEEEPS6_mNSA_4lessIS5_EEEE10hipError_tT0_T1_T2_jT3_P12ihipStream_tbPNSt15iterator_traitsISK_E10value_typeEPNSQ_ISL_E10value_typeEPSM_NS1_7vsmem_tEENKUlT_SK_SL_SM_E_clIPS5_SF_SG_SG_EESJ_SZ_SK_SL_SM_EUlSZ_E_NS1_11comp_targetILNS1_3genE10ELNS1_11target_archE1201ELNS1_3gpuE5ELNS1_3repE0EEENS1_48merge_mergepath_partition_config_static_selectorELNS0_4arch9wavefront6targetE1EEEvSL_
	.globl	_ZN7rocprim17ROCPRIM_400000_NS6detail17trampoline_kernelINS0_14default_configENS1_38merge_sort_block_merge_config_selectorI14custom_numericNS0_10empty_typeEEEZZNS1_27merge_sort_block_merge_implIS3_N6thrust23THRUST_200600_302600_NS6detail15normal_iteratorINSA_10device_ptrIS5_EEEEPS6_mNSA_4lessIS5_EEEE10hipError_tT0_T1_T2_jT3_P12ihipStream_tbPNSt15iterator_traitsISK_E10value_typeEPNSQ_ISL_E10value_typeEPSM_NS1_7vsmem_tEENKUlT_SK_SL_SM_E_clIPS5_SF_SG_SG_EESJ_SZ_SK_SL_SM_EUlSZ_E_NS1_11comp_targetILNS1_3genE10ELNS1_11target_archE1201ELNS1_3gpuE5ELNS1_3repE0EEENS1_48merge_mergepath_partition_config_static_selectorELNS0_4arch9wavefront6targetE1EEEvSL_
	.p2align	8
	.type	_ZN7rocprim17ROCPRIM_400000_NS6detail17trampoline_kernelINS0_14default_configENS1_38merge_sort_block_merge_config_selectorI14custom_numericNS0_10empty_typeEEEZZNS1_27merge_sort_block_merge_implIS3_N6thrust23THRUST_200600_302600_NS6detail15normal_iteratorINSA_10device_ptrIS5_EEEEPS6_mNSA_4lessIS5_EEEE10hipError_tT0_T1_T2_jT3_P12ihipStream_tbPNSt15iterator_traitsISK_E10value_typeEPNSQ_ISL_E10value_typeEPSM_NS1_7vsmem_tEENKUlT_SK_SL_SM_E_clIPS5_SF_SG_SG_EESJ_SZ_SK_SL_SM_EUlSZ_E_NS1_11comp_targetILNS1_3genE10ELNS1_11target_archE1201ELNS1_3gpuE5ELNS1_3repE0EEENS1_48merge_mergepath_partition_config_static_selectorELNS0_4arch9wavefront6targetE1EEEvSL_,@function
_ZN7rocprim17ROCPRIM_400000_NS6detail17trampoline_kernelINS0_14default_configENS1_38merge_sort_block_merge_config_selectorI14custom_numericNS0_10empty_typeEEEZZNS1_27merge_sort_block_merge_implIS3_N6thrust23THRUST_200600_302600_NS6detail15normal_iteratorINSA_10device_ptrIS5_EEEEPS6_mNSA_4lessIS5_EEEE10hipError_tT0_T1_T2_jT3_P12ihipStream_tbPNSt15iterator_traitsISK_E10value_typeEPNSQ_ISL_E10value_typeEPSM_NS1_7vsmem_tEENKUlT_SK_SL_SM_E_clIPS5_SF_SG_SG_EESJ_SZ_SK_SL_SM_EUlSZ_E_NS1_11comp_targetILNS1_3genE10ELNS1_11target_archE1201ELNS1_3gpuE5ELNS1_3repE0EEENS1_48merge_mergepath_partition_config_static_selectorELNS0_4arch9wavefront6targetE1EEEvSL_: ; @_ZN7rocprim17ROCPRIM_400000_NS6detail17trampoline_kernelINS0_14default_configENS1_38merge_sort_block_merge_config_selectorI14custom_numericNS0_10empty_typeEEEZZNS1_27merge_sort_block_merge_implIS3_N6thrust23THRUST_200600_302600_NS6detail15normal_iteratorINSA_10device_ptrIS5_EEEEPS6_mNSA_4lessIS5_EEEE10hipError_tT0_T1_T2_jT3_P12ihipStream_tbPNSt15iterator_traitsISK_E10value_typeEPNSQ_ISL_E10value_typeEPSM_NS1_7vsmem_tEENKUlT_SK_SL_SM_E_clIPS5_SF_SG_SG_EESJ_SZ_SK_SL_SM_EUlSZ_E_NS1_11comp_targetILNS1_3genE10ELNS1_11target_archE1201ELNS1_3gpuE5ELNS1_3repE0EEENS1_48merge_mergepath_partition_config_static_selectorELNS0_4arch9wavefront6targetE1EEEvSL_
; %bb.0:
	.section	.rodata,"a",@progbits
	.p2align	6, 0x0
	.amdhsa_kernel _ZN7rocprim17ROCPRIM_400000_NS6detail17trampoline_kernelINS0_14default_configENS1_38merge_sort_block_merge_config_selectorI14custom_numericNS0_10empty_typeEEEZZNS1_27merge_sort_block_merge_implIS3_N6thrust23THRUST_200600_302600_NS6detail15normal_iteratorINSA_10device_ptrIS5_EEEEPS6_mNSA_4lessIS5_EEEE10hipError_tT0_T1_T2_jT3_P12ihipStream_tbPNSt15iterator_traitsISK_E10value_typeEPNSQ_ISL_E10value_typeEPSM_NS1_7vsmem_tEENKUlT_SK_SL_SM_E_clIPS5_SF_SG_SG_EESJ_SZ_SK_SL_SM_EUlSZ_E_NS1_11comp_targetILNS1_3genE10ELNS1_11target_archE1201ELNS1_3gpuE5ELNS1_3repE0EEENS1_48merge_mergepath_partition_config_static_selectorELNS0_4arch9wavefront6targetE1EEEvSL_
		.amdhsa_group_segment_fixed_size 0
		.amdhsa_private_segment_fixed_size 0
		.amdhsa_kernarg_size 48
		.amdhsa_user_sgpr_count 6
		.amdhsa_user_sgpr_private_segment_buffer 1
		.amdhsa_user_sgpr_dispatch_ptr 0
		.amdhsa_user_sgpr_queue_ptr 0
		.amdhsa_user_sgpr_kernarg_segment_ptr 1
		.amdhsa_user_sgpr_dispatch_id 0
		.amdhsa_user_sgpr_flat_scratch_init 0
		.amdhsa_user_sgpr_kernarg_preload_length 0
		.amdhsa_user_sgpr_kernarg_preload_offset 0
		.amdhsa_user_sgpr_private_segment_size 0
		.amdhsa_uses_dynamic_stack 0
		.amdhsa_system_sgpr_private_segment_wavefront_offset 0
		.amdhsa_system_sgpr_workgroup_id_x 1
		.amdhsa_system_sgpr_workgroup_id_y 0
		.amdhsa_system_sgpr_workgroup_id_z 0
		.amdhsa_system_sgpr_workgroup_info 0
		.amdhsa_system_vgpr_workitem_id 0
		.amdhsa_next_free_vgpr 1
		.amdhsa_next_free_sgpr 0
		.amdhsa_accum_offset 4
		.amdhsa_reserve_vcc 0
		.amdhsa_reserve_flat_scratch 0
		.amdhsa_float_round_mode_32 0
		.amdhsa_float_round_mode_16_64 0
		.amdhsa_float_denorm_mode_32 3
		.amdhsa_float_denorm_mode_16_64 3
		.amdhsa_dx10_clamp 1
		.amdhsa_ieee_mode 1
		.amdhsa_fp16_overflow 0
		.amdhsa_tg_split 0
		.amdhsa_exception_fp_ieee_invalid_op 0
		.amdhsa_exception_fp_denorm_src 0
		.amdhsa_exception_fp_ieee_div_zero 0
		.amdhsa_exception_fp_ieee_overflow 0
		.amdhsa_exception_fp_ieee_underflow 0
		.amdhsa_exception_fp_ieee_inexact 0
		.amdhsa_exception_int_div_zero 0
	.end_amdhsa_kernel
	.section	.text._ZN7rocprim17ROCPRIM_400000_NS6detail17trampoline_kernelINS0_14default_configENS1_38merge_sort_block_merge_config_selectorI14custom_numericNS0_10empty_typeEEEZZNS1_27merge_sort_block_merge_implIS3_N6thrust23THRUST_200600_302600_NS6detail15normal_iteratorINSA_10device_ptrIS5_EEEEPS6_mNSA_4lessIS5_EEEE10hipError_tT0_T1_T2_jT3_P12ihipStream_tbPNSt15iterator_traitsISK_E10value_typeEPNSQ_ISL_E10value_typeEPSM_NS1_7vsmem_tEENKUlT_SK_SL_SM_E_clIPS5_SF_SG_SG_EESJ_SZ_SK_SL_SM_EUlSZ_E_NS1_11comp_targetILNS1_3genE10ELNS1_11target_archE1201ELNS1_3gpuE5ELNS1_3repE0EEENS1_48merge_mergepath_partition_config_static_selectorELNS0_4arch9wavefront6targetE1EEEvSL_,"axG",@progbits,_ZN7rocprim17ROCPRIM_400000_NS6detail17trampoline_kernelINS0_14default_configENS1_38merge_sort_block_merge_config_selectorI14custom_numericNS0_10empty_typeEEEZZNS1_27merge_sort_block_merge_implIS3_N6thrust23THRUST_200600_302600_NS6detail15normal_iteratorINSA_10device_ptrIS5_EEEEPS6_mNSA_4lessIS5_EEEE10hipError_tT0_T1_T2_jT3_P12ihipStream_tbPNSt15iterator_traitsISK_E10value_typeEPNSQ_ISL_E10value_typeEPSM_NS1_7vsmem_tEENKUlT_SK_SL_SM_E_clIPS5_SF_SG_SG_EESJ_SZ_SK_SL_SM_EUlSZ_E_NS1_11comp_targetILNS1_3genE10ELNS1_11target_archE1201ELNS1_3gpuE5ELNS1_3repE0EEENS1_48merge_mergepath_partition_config_static_selectorELNS0_4arch9wavefront6targetE1EEEvSL_,comdat
.Lfunc_end1416:
	.size	_ZN7rocprim17ROCPRIM_400000_NS6detail17trampoline_kernelINS0_14default_configENS1_38merge_sort_block_merge_config_selectorI14custom_numericNS0_10empty_typeEEEZZNS1_27merge_sort_block_merge_implIS3_N6thrust23THRUST_200600_302600_NS6detail15normal_iteratorINSA_10device_ptrIS5_EEEEPS6_mNSA_4lessIS5_EEEE10hipError_tT0_T1_T2_jT3_P12ihipStream_tbPNSt15iterator_traitsISK_E10value_typeEPNSQ_ISL_E10value_typeEPSM_NS1_7vsmem_tEENKUlT_SK_SL_SM_E_clIPS5_SF_SG_SG_EESJ_SZ_SK_SL_SM_EUlSZ_E_NS1_11comp_targetILNS1_3genE10ELNS1_11target_archE1201ELNS1_3gpuE5ELNS1_3repE0EEENS1_48merge_mergepath_partition_config_static_selectorELNS0_4arch9wavefront6targetE1EEEvSL_, .Lfunc_end1416-_ZN7rocprim17ROCPRIM_400000_NS6detail17trampoline_kernelINS0_14default_configENS1_38merge_sort_block_merge_config_selectorI14custom_numericNS0_10empty_typeEEEZZNS1_27merge_sort_block_merge_implIS3_N6thrust23THRUST_200600_302600_NS6detail15normal_iteratorINSA_10device_ptrIS5_EEEEPS6_mNSA_4lessIS5_EEEE10hipError_tT0_T1_T2_jT3_P12ihipStream_tbPNSt15iterator_traitsISK_E10value_typeEPNSQ_ISL_E10value_typeEPSM_NS1_7vsmem_tEENKUlT_SK_SL_SM_E_clIPS5_SF_SG_SG_EESJ_SZ_SK_SL_SM_EUlSZ_E_NS1_11comp_targetILNS1_3genE10ELNS1_11target_archE1201ELNS1_3gpuE5ELNS1_3repE0EEENS1_48merge_mergepath_partition_config_static_selectorELNS0_4arch9wavefront6targetE1EEEvSL_
                                        ; -- End function
	.section	.AMDGPU.csdata,"",@progbits
; Kernel info:
; codeLenInByte = 0
; NumSgprs: 4
; NumVgprs: 0
; NumAgprs: 0
; TotalNumVgprs: 0
; ScratchSize: 0
; MemoryBound: 0
; FloatMode: 240
; IeeeMode: 1
; LDSByteSize: 0 bytes/workgroup (compile time only)
; SGPRBlocks: 0
; VGPRBlocks: 0
; NumSGPRsForWavesPerEU: 4
; NumVGPRsForWavesPerEU: 1
; AccumOffset: 4
; Occupancy: 8
; WaveLimiterHint : 0
; COMPUTE_PGM_RSRC2:SCRATCH_EN: 0
; COMPUTE_PGM_RSRC2:USER_SGPR: 6
; COMPUTE_PGM_RSRC2:TRAP_HANDLER: 0
; COMPUTE_PGM_RSRC2:TGID_X_EN: 1
; COMPUTE_PGM_RSRC2:TGID_Y_EN: 0
; COMPUTE_PGM_RSRC2:TGID_Z_EN: 0
; COMPUTE_PGM_RSRC2:TIDIG_COMP_CNT: 0
; COMPUTE_PGM_RSRC3_GFX90A:ACCUM_OFFSET: 0
; COMPUTE_PGM_RSRC3_GFX90A:TG_SPLIT: 0
	.section	.text._ZN7rocprim17ROCPRIM_400000_NS6detail17trampoline_kernelINS0_14default_configENS1_38merge_sort_block_merge_config_selectorI14custom_numericNS0_10empty_typeEEEZZNS1_27merge_sort_block_merge_implIS3_N6thrust23THRUST_200600_302600_NS6detail15normal_iteratorINSA_10device_ptrIS5_EEEEPS6_mNSA_4lessIS5_EEEE10hipError_tT0_T1_T2_jT3_P12ihipStream_tbPNSt15iterator_traitsISK_E10value_typeEPNSQ_ISL_E10value_typeEPSM_NS1_7vsmem_tEENKUlT_SK_SL_SM_E_clIPS5_SF_SG_SG_EESJ_SZ_SK_SL_SM_EUlSZ_E_NS1_11comp_targetILNS1_3genE5ELNS1_11target_archE942ELNS1_3gpuE9ELNS1_3repE0EEENS1_48merge_mergepath_partition_config_static_selectorELNS0_4arch9wavefront6targetE1EEEvSL_,"axG",@progbits,_ZN7rocprim17ROCPRIM_400000_NS6detail17trampoline_kernelINS0_14default_configENS1_38merge_sort_block_merge_config_selectorI14custom_numericNS0_10empty_typeEEEZZNS1_27merge_sort_block_merge_implIS3_N6thrust23THRUST_200600_302600_NS6detail15normal_iteratorINSA_10device_ptrIS5_EEEEPS6_mNSA_4lessIS5_EEEE10hipError_tT0_T1_T2_jT3_P12ihipStream_tbPNSt15iterator_traitsISK_E10value_typeEPNSQ_ISL_E10value_typeEPSM_NS1_7vsmem_tEENKUlT_SK_SL_SM_E_clIPS5_SF_SG_SG_EESJ_SZ_SK_SL_SM_EUlSZ_E_NS1_11comp_targetILNS1_3genE5ELNS1_11target_archE942ELNS1_3gpuE9ELNS1_3repE0EEENS1_48merge_mergepath_partition_config_static_selectorELNS0_4arch9wavefront6targetE1EEEvSL_,comdat
	.protected	_ZN7rocprim17ROCPRIM_400000_NS6detail17trampoline_kernelINS0_14default_configENS1_38merge_sort_block_merge_config_selectorI14custom_numericNS0_10empty_typeEEEZZNS1_27merge_sort_block_merge_implIS3_N6thrust23THRUST_200600_302600_NS6detail15normal_iteratorINSA_10device_ptrIS5_EEEEPS6_mNSA_4lessIS5_EEEE10hipError_tT0_T1_T2_jT3_P12ihipStream_tbPNSt15iterator_traitsISK_E10value_typeEPNSQ_ISL_E10value_typeEPSM_NS1_7vsmem_tEENKUlT_SK_SL_SM_E_clIPS5_SF_SG_SG_EESJ_SZ_SK_SL_SM_EUlSZ_E_NS1_11comp_targetILNS1_3genE5ELNS1_11target_archE942ELNS1_3gpuE9ELNS1_3repE0EEENS1_48merge_mergepath_partition_config_static_selectorELNS0_4arch9wavefront6targetE1EEEvSL_ ; -- Begin function _ZN7rocprim17ROCPRIM_400000_NS6detail17trampoline_kernelINS0_14default_configENS1_38merge_sort_block_merge_config_selectorI14custom_numericNS0_10empty_typeEEEZZNS1_27merge_sort_block_merge_implIS3_N6thrust23THRUST_200600_302600_NS6detail15normal_iteratorINSA_10device_ptrIS5_EEEEPS6_mNSA_4lessIS5_EEEE10hipError_tT0_T1_T2_jT3_P12ihipStream_tbPNSt15iterator_traitsISK_E10value_typeEPNSQ_ISL_E10value_typeEPSM_NS1_7vsmem_tEENKUlT_SK_SL_SM_E_clIPS5_SF_SG_SG_EESJ_SZ_SK_SL_SM_EUlSZ_E_NS1_11comp_targetILNS1_3genE5ELNS1_11target_archE942ELNS1_3gpuE9ELNS1_3repE0EEENS1_48merge_mergepath_partition_config_static_selectorELNS0_4arch9wavefront6targetE1EEEvSL_
	.globl	_ZN7rocprim17ROCPRIM_400000_NS6detail17trampoline_kernelINS0_14default_configENS1_38merge_sort_block_merge_config_selectorI14custom_numericNS0_10empty_typeEEEZZNS1_27merge_sort_block_merge_implIS3_N6thrust23THRUST_200600_302600_NS6detail15normal_iteratorINSA_10device_ptrIS5_EEEEPS6_mNSA_4lessIS5_EEEE10hipError_tT0_T1_T2_jT3_P12ihipStream_tbPNSt15iterator_traitsISK_E10value_typeEPNSQ_ISL_E10value_typeEPSM_NS1_7vsmem_tEENKUlT_SK_SL_SM_E_clIPS5_SF_SG_SG_EESJ_SZ_SK_SL_SM_EUlSZ_E_NS1_11comp_targetILNS1_3genE5ELNS1_11target_archE942ELNS1_3gpuE9ELNS1_3repE0EEENS1_48merge_mergepath_partition_config_static_selectorELNS0_4arch9wavefront6targetE1EEEvSL_
	.p2align	8
	.type	_ZN7rocprim17ROCPRIM_400000_NS6detail17trampoline_kernelINS0_14default_configENS1_38merge_sort_block_merge_config_selectorI14custom_numericNS0_10empty_typeEEEZZNS1_27merge_sort_block_merge_implIS3_N6thrust23THRUST_200600_302600_NS6detail15normal_iteratorINSA_10device_ptrIS5_EEEEPS6_mNSA_4lessIS5_EEEE10hipError_tT0_T1_T2_jT3_P12ihipStream_tbPNSt15iterator_traitsISK_E10value_typeEPNSQ_ISL_E10value_typeEPSM_NS1_7vsmem_tEENKUlT_SK_SL_SM_E_clIPS5_SF_SG_SG_EESJ_SZ_SK_SL_SM_EUlSZ_E_NS1_11comp_targetILNS1_3genE5ELNS1_11target_archE942ELNS1_3gpuE9ELNS1_3repE0EEENS1_48merge_mergepath_partition_config_static_selectorELNS0_4arch9wavefront6targetE1EEEvSL_,@function
_ZN7rocprim17ROCPRIM_400000_NS6detail17trampoline_kernelINS0_14default_configENS1_38merge_sort_block_merge_config_selectorI14custom_numericNS0_10empty_typeEEEZZNS1_27merge_sort_block_merge_implIS3_N6thrust23THRUST_200600_302600_NS6detail15normal_iteratorINSA_10device_ptrIS5_EEEEPS6_mNSA_4lessIS5_EEEE10hipError_tT0_T1_T2_jT3_P12ihipStream_tbPNSt15iterator_traitsISK_E10value_typeEPNSQ_ISL_E10value_typeEPSM_NS1_7vsmem_tEENKUlT_SK_SL_SM_E_clIPS5_SF_SG_SG_EESJ_SZ_SK_SL_SM_EUlSZ_E_NS1_11comp_targetILNS1_3genE5ELNS1_11target_archE942ELNS1_3gpuE9ELNS1_3repE0EEENS1_48merge_mergepath_partition_config_static_selectorELNS0_4arch9wavefront6targetE1EEEvSL_: ; @_ZN7rocprim17ROCPRIM_400000_NS6detail17trampoline_kernelINS0_14default_configENS1_38merge_sort_block_merge_config_selectorI14custom_numericNS0_10empty_typeEEEZZNS1_27merge_sort_block_merge_implIS3_N6thrust23THRUST_200600_302600_NS6detail15normal_iteratorINSA_10device_ptrIS5_EEEEPS6_mNSA_4lessIS5_EEEE10hipError_tT0_T1_T2_jT3_P12ihipStream_tbPNSt15iterator_traitsISK_E10value_typeEPNSQ_ISL_E10value_typeEPSM_NS1_7vsmem_tEENKUlT_SK_SL_SM_E_clIPS5_SF_SG_SG_EESJ_SZ_SK_SL_SM_EUlSZ_E_NS1_11comp_targetILNS1_3genE5ELNS1_11target_archE942ELNS1_3gpuE9ELNS1_3repE0EEENS1_48merge_mergepath_partition_config_static_selectorELNS0_4arch9wavefront6targetE1EEEvSL_
; %bb.0:
	.section	.rodata,"a",@progbits
	.p2align	6, 0x0
	.amdhsa_kernel _ZN7rocprim17ROCPRIM_400000_NS6detail17trampoline_kernelINS0_14default_configENS1_38merge_sort_block_merge_config_selectorI14custom_numericNS0_10empty_typeEEEZZNS1_27merge_sort_block_merge_implIS3_N6thrust23THRUST_200600_302600_NS6detail15normal_iteratorINSA_10device_ptrIS5_EEEEPS6_mNSA_4lessIS5_EEEE10hipError_tT0_T1_T2_jT3_P12ihipStream_tbPNSt15iterator_traitsISK_E10value_typeEPNSQ_ISL_E10value_typeEPSM_NS1_7vsmem_tEENKUlT_SK_SL_SM_E_clIPS5_SF_SG_SG_EESJ_SZ_SK_SL_SM_EUlSZ_E_NS1_11comp_targetILNS1_3genE5ELNS1_11target_archE942ELNS1_3gpuE9ELNS1_3repE0EEENS1_48merge_mergepath_partition_config_static_selectorELNS0_4arch9wavefront6targetE1EEEvSL_
		.amdhsa_group_segment_fixed_size 0
		.amdhsa_private_segment_fixed_size 0
		.amdhsa_kernarg_size 48
		.amdhsa_user_sgpr_count 6
		.amdhsa_user_sgpr_private_segment_buffer 1
		.amdhsa_user_sgpr_dispatch_ptr 0
		.amdhsa_user_sgpr_queue_ptr 0
		.amdhsa_user_sgpr_kernarg_segment_ptr 1
		.amdhsa_user_sgpr_dispatch_id 0
		.amdhsa_user_sgpr_flat_scratch_init 0
		.amdhsa_user_sgpr_kernarg_preload_length 0
		.amdhsa_user_sgpr_kernarg_preload_offset 0
		.amdhsa_user_sgpr_private_segment_size 0
		.amdhsa_uses_dynamic_stack 0
		.amdhsa_system_sgpr_private_segment_wavefront_offset 0
		.amdhsa_system_sgpr_workgroup_id_x 1
		.amdhsa_system_sgpr_workgroup_id_y 0
		.amdhsa_system_sgpr_workgroup_id_z 0
		.amdhsa_system_sgpr_workgroup_info 0
		.amdhsa_system_vgpr_workitem_id 0
		.amdhsa_next_free_vgpr 1
		.amdhsa_next_free_sgpr 0
		.amdhsa_accum_offset 4
		.amdhsa_reserve_vcc 0
		.amdhsa_reserve_flat_scratch 0
		.amdhsa_float_round_mode_32 0
		.amdhsa_float_round_mode_16_64 0
		.amdhsa_float_denorm_mode_32 3
		.amdhsa_float_denorm_mode_16_64 3
		.amdhsa_dx10_clamp 1
		.amdhsa_ieee_mode 1
		.amdhsa_fp16_overflow 0
		.amdhsa_tg_split 0
		.amdhsa_exception_fp_ieee_invalid_op 0
		.amdhsa_exception_fp_denorm_src 0
		.amdhsa_exception_fp_ieee_div_zero 0
		.amdhsa_exception_fp_ieee_overflow 0
		.amdhsa_exception_fp_ieee_underflow 0
		.amdhsa_exception_fp_ieee_inexact 0
		.amdhsa_exception_int_div_zero 0
	.end_amdhsa_kernel
	.section	.text._ZN7rocprim17ROCPRIM_400000_NS6detail17trampoline_kernelINS0_14default_configENS1_38merge_sort_block_merge_config_selectorI14custom_numericNS0_10empty_typeEEEZZNS1_27merge_sort_block_merge_implIS3_N6thrust23THRUST_200600_302600_NS6detail15normal_iteratorINSA_10device_ptrIS5_EEEEPS6_mNSA_4lessIS5_EEEE10hipError_tT0_T1_T2_jT3_P12ihipStream_tbPNSt15iterator_traitsISK_E10value_typeEPNSQ_ISL_E10value_typeEPSM_NS1_7vsmem_tEENKUlT_SK_SL_SM_E_clIPS5_SF_SG_SG_EESJ_SZ_SK_SL_SM_EUlSZ_E_NS1_11comp_targetILNS1_3genE5ELNS1_11target_archE942ELNS1_3gpuE9ELNS1_3repE0EEENS1_48merge_mergepath_partition_config_static_selectorELNS0_4arch9wavefront6targetE1EEEvSL_,"axG",@progbits,_ZN7rocprim17ROCPRIM_400000_NS6detail17trampoline_kernelINS0_14default_configENS1_38merge_sort_block_merge_config_selectorI14custom_numericNS0_10empty_typeEEEZZNS1_27merge_sort_block_merge_implIS3_N6thrust23THRUST_200600_302600_NS6detail15normal_iteratorINSA_10device_ptrIS5_EEEEPS6_mNSA_4lessIS5_EEEE10hipError_tT0_T1_T2_jT3_P12ihipStream_tbPNSt15iterator_traitsISK_E10value_typeEPNSQ_ISL_E10value_typeEPSM_NS1_7vsmem_tEENKUlT_SK_SL_SM_E_clIPS5_SF_SG_SG_EESJ_SZ_SK_SL_SM_EUlSZ_E_NS1_11comp_targetILNS1_3genE5ELNS1_11target_archE942ELNS1_3gpuE9ELNS1_3repE0EEENS1_48merge_mergepath_partition_config_static_selectorELNS0_4arch9wavefront6targetE1EEEvSL_,comdat
.Lfunc_end1417:
	.size	_ZN7rocprim17ROCPRIM_400000_NS6detail17trampoline_kernelINS0_14default_configENS1_38merge_sort_block_merge_config_selectorI14custom_numericNS0_10empty_typeEEEZZNS1_27merge_sort_block_merge_implIS3_N6thrust23THRUST_200600_302600_NS6detail15normal_iteratorINSA_10device_ptrIS5_EEEEPS6_mNSA_4lessIS5_EEEE10hipError_tT0_T1_T2_jT3_P12ihipStream_tbPNSt15iterator_traitsISK_E10value_typeEPNSQ_ISL_E10value_typeEPSM_NS1_7vsmem_tEENKUlT_SK_SL_SM_E_clIPS5_SF_SG_SG_EESJ_SZ_SK_SL_SM_EUlSZ_E_NS1_11comp_targetILNS1_3genE5ELNS1_11target_archE942ELNS1_3gpuE9ELNS1_3repE0EEENS1_48merge_mergepath_partition_config_static_selectorELNS0_4arch9wavefront6targetE1EEEvSL_, .Lfunc_end1417-_ZN7rocprim17ROCPRIM_400000_NS6detail17trampoline_kernelINS0_14default_configENS1_38merge_sort_block_merge_config_selectorI14custom_numericNS0_10empty_typeEEEZZNS1_27merge_sort_block_merge_implIS3_N6thrust23THRUST_200600_302600_NS6detail15normal_iteratorINSA_10device_ptrIS5_EEEEPS6_mNSA_4lessIS5_EEEE10hipError_tT0_T1_T2_jT3_P12ihipStream_tbPNSt15iterator_traitsISK_E10value_typeEPNSQ_ISL_E10value_typeEPSM_NS1_7vsmem_tEENKUlT_SK_SL_SM_E_clIPS5_SF_SG_SG_EESJ_SZ_SK_SL_SM_EUlSZ_E_NS1_11comp_targetILNS1_3genE5ELNS1_11target_archE942ELNS1_3gpuE9ELNS1_3repE0EEENS1_48merge_mergepath_partition_config_static_selectorELNS0_4arch9wavefront6targetE1EEEvSL_
                                        ; -- End function
	.section	.AMDGPU.csdata,"",@progbits
; Kernel info:
; codeLenInByte = 0
; NumSgprs: 4
; NumVgprs: 0
; NumAgprs: 0
; TotalNumVgprs: 0
; ScratchSize: 0
; MemoryBound: 0
; FloatMode: 240
; IeeeMode: 1
; LDSByteSize: 0 bytes/workgroup (compile time only)
; SGPRBlocks: 0
; VGPRBlocks: 0
; NumSGPRsForWavesPerEU: 4
; NumVGPRsForWavesPerEU: 1
; AccumOffset: 4
; Occupancy: 8
; WaveLimiterHint : 0
; COMPUTE_PGM_RSRC2:SCRATCH_EN: 0
; COMPUTE_PGM_RSRC2:USER_SGPR: 6
; COMPUTE_PGM_RSRC2:TRAP_HANDLER: 0
; COMPUTE_PGM_RSRC2:TGID_X_EN: 1
; COMPUTE_PGM_RSRC2:TGID_Y_EN: 0
; COMPUTE_PGM_RSRC2:TGID_Z_EN: 0
; COMPUTE_PGM_RSRC2:TIDIG_COMP_CNT: 0
; COMPUTE_PGM_RSRC3_GFX90A:ACCUM_OFFSET: 0
; COMPUTE_PGM_RSRC3_GFX90A:TG_SPLIT: 0
	.section	.text._ZN7rocprim17ROCPRIM_400000_NS6detail17trampoline_kernelINS0_14default_configENS1_38merge_sort_block_merge_config_selectorI14custom_numericNS0_10empty_typeEEEZZNS1_27merge_sort_block_merge_implIS3_N6thrust23THRUST_200600_302600_NS6detail15normal_iteratorINSA_10device_ptrIS5_EEEEPS6_mNSA_4lessIS5_EEEE10hipError_tT0_T1_T2_jT3_P12ihipStream_tbPNSt15iterator_traitsISK_E10value_typeEPNSQ_ISL_E10value_typeEPSM_NS1_7vsmem_tEENKUlT_SK_SL_SM_E_clIPS5_SF_SG_SG_EESJ_SZ_SK_SL_SM_EUlSZ_E_NS1_11comp_targetILNS1_3genE4ELNS1_11target_archE910ELNS1_3gpuE8ELNS1_3repE0EEENS1_48merge_mergepath_partition_config_static_selectorELNS0_4arch9wavefront6targetE1EEEvSL_,"axG",@progbits,_ZN7rocprim17ROCPRIM_400000_NS6detail17trampoline_kernelINS0_14default_configENS1_38merge_sort_block_merge_config_selectorI14custom_numericNS0_10empty_typeEEEZZNS1_27merge_sort_block_merge_implIS3_N6thrust23THRUST_200600_302600_NS6detail15normal_iteratorINSA_10device_ptrIS5_EEEEPS6_mNSA_4lessIS5_EEEE10hipError_tT0_T1_T2_jT3_P12ihipStream_tbPNSt15iterator_traitsISK_E10value_typeEPNSQ_ISL_E10value_typeEPSM_NS1_7vsmem_tEENKUlT_SK_SL_SM_E_clIPS5_SF_SG_SG_EESJ_SZ_SK_SL_SM_EUlSZ_E_NS1_11comp_targetILNS1_3genE4ELNS1_11target_archE910ELNS1_3gpuE8ELNS1_3repE0EEENS1_48merge_mergepath_partition_config_static_selectorELNS0_4arch9wavefront6targetE1EEEvSL_,comdat
	.protected	_ZN7rocprim17ROCPRIM_400000_NS6detail17trampoline_kernelINS0_14default_configENS1_38merge_sort_block_merge_config_selectorI14custom_numericNS0_10empty_typeEEEZZNS1_27merge_sort_block_merge_implIS3_N6thrust23THRUST_200600_302600_NS6detail15normal_iteratorINSA_10device_ptrIS5_EEEEPS6_mNSA_4lessIS5_EEEE10hipError_tT0_T1_T2_jT3_P12ihipStream_tbPNSt15iterator_traitsISK_E10value_typeEPNSQ_ISL_E10value_typeEPSM_NS1_7vsmem_tEENKUlT_SK_SL_SM_E_clIPS5_SF_SG_SG_EESJ_SZ_SK_SL_SM_EUlSZ_E_NS1_11comp_targetILNS1_3genE4ELNS1_11target_archE910ELNS1_3gpuE8ELNS1_3repE0EEENS1_48merge_mergepath_partition_config_static_selectorELNS0_4arch9wavefront6targetE1EEEvSL_ ; -- Begin function _ZN7rocprim17ROCPRIM_400000_NS6detail17trampoline_kernelINS0_14default_configENS1_38merge_sort_block_merge_config_selectorI14custom_numericNS0_10empty_typeEEEZZNS1_27merge_sort_block_merge_implIS3_N6thrust23THRUST_200600_302600_NS6detail15normal_iteratorINSA_10device_ptrIS5_EEEEPS6_mNSA_4lessIS5_EEEE10hipError_tT0_T1_T2_jT3_P12ihipStream_tbPNSt15iterator_traitsISK_E10value_typeEPNSQ_ISL_E10value_typeEPSM_NS1_7vsmem_tEENKUlT_SK_SL_SM_E_clIPS5_SF_SG_SG_EESJ_SZ_SK_SL_SM_EUlSZ_E_NS1_11comp_targetILNS1_3genE4ELNS1_11target_archE910ELNS1_3gpuE8ELNS1_3repE0EEENS1_48merge_mergepath_partition_config_static_selectorELNS0_4arch9wavefront6targetE1EEEvSL_
	.globl	_ZN7rocprim17ROCPRIM_400000_NS6detail17trampoline_kernelINS0_14default_configENS1_38merge_sort_block_merge_config_selectorI14custom_numericNS0_10empty_typeEEEZZNS1_27merge_sort_block_merge_implIS3_N6thrust23THRUST_200600_302600_NS6detail15normal_iteratorINSA_10device_ptrIS5_EEEEPS6_mNSA_4lessIS5_EEEE10hipError_tT0_T1_T2_jT3_P12ihipStream_tbPNSt15iterator_traitsISK_E10value_typeEPNSQ_ISL_E10value_typeEPSM_NS1_7vsmem_tEENKUlT_SK_SL_SM_E_clIPS5_SF_SG_SG_EESJ_SZ_SK_SL_SM_EUlSZ_E_NS1_11comp_targetILNS1_3genE4ELNS1_11target_archE910ELNS1_3gpuE8ELNS1_3repE0EEENS1_48merge_mergepath_partition_config_static_selectorELNS0_4arch9wavefront6targetE1EEEvSL_
	.p2align	8
	.type	_ZN7rocprim17ROCPRIM_400000_NS6detail17trampoline_kernelINS0_14default_configENS1_38merge_sort_block_merge_config_selectorI14custom_numericNS0_10empty_typeEEEZZNS1_27merge_sort_block_merge_implIS3_N6thrust23THRUST_200600_302600_NS6detail15normal_iteratorINSA_10device_ptrIS5_EEEEPS6_mNSA_4lessIS5_EEEE10hipError_tT0_T1_T2_jT3_P12ihipStream_tbPNSt15iterator_traitsISK_E10value_typeEPNSQ_ISL_E10value_typeEPSM_NS1_7vsmem_tEENKUlT_SK_SL_SM_E_clIPS5_SF_SG_SG_EESJ_SZ_SK_SL_SM_EUlSZ_E_NS1_11comp_targetILNS1_3genE4ELNS1_11target_archE910ELNS1_3gpuE8ELNS1_3repE0EEENS1_48merge_mergepath_partition_config_static_selectorELNS0_4arch9wavefront6targetE1EEEvSL_,@function
_ZN7rocprim17ROCPRIM_400000_NS6detail17trampoline_kernelINS0_14default_configENS1_38merge_sort_block_merge_config_selectorI14custom_numericNS0_10empty_typeEEEZZNS1_27merge_sort_block_merge_implIS3_N6thrust23THRUST_200600_302600_NS6detail15normal_iteratorINSA_10device_ptrIS5_EEEEPS6_mNSA_4lessIS5_EEEE10hipError_tT0_T1_T2_jT3_P12ihipStream_tbPNSt15iterator_traitsISK_E10value_typeEPNSQ_ISL_E10value_typeEPSM_NS1_7vsmem_tEENKUlT_SK_SL_SM_E_clIPS5_SF_SG_SG_EESJ_SZ_SK_SL_SM_EUlSZ_E_NS1_11comp_targetILNS1_3genE4ELNS1_11target_archE910ELNS1_3gpuE8ELNS1_3repE0EEENS1_48merge_mergepath_partition_config_static_selectorELNS0_4arch9wavefront6targetE1EEEvSL_: ; @_ZN7rocprim17ROCPRIM_400000_NS6detail17trampoline_kernelINS0_14default_configENS1_38merge_sort_block_merge_config_selectorI14custom_numericNS0_10empty_typeEEEZZNS1_27merge_sort_block_merge_implIS3_N6thrust23THRUST_200600_302600_NS6detail15normal_iteratorINSA_10device_ptrIS5_EEEEPS6_mNSA_4lessIS5_EEEE10hipError_tT0_T1_T2_jT3_P12ihipStream_tbPNSt15iterator_traitsISK_E10value_typeEPNSQ_ISL_E10value_typeEPSM_NS1_7vsmem_tEENKUlT_SK_SL_SM_E_clIPS5_SF_SG_SG_EESJ_SZ_SK_SL_SM_EUlSZ_E_NS1_11comp_targetILNS1_3genE4ELNS1_11target_archE910ELNS1_3gpuE8ELNS1_3repE0EEENS1_48merge_mergepath_partition_config_static_selectorELNS0_4arch9wavefront6targetE1EEEvSL_
; %bb.0:
	s_load_dword s0, s[4:5], 0x0
	v_lshl_or_b32 v0, s6, 7, v0
	s_waitcnt lgkmcnt(0)
	v_cmp_gt_u32_e32 vcc, s0, v0
	s_and_saveexec_b64 s[0:1], vcc
	s_cbranch_execz .LBB1418_6
; %bb.1:
	s_load_dwordx4 s[0:3], s[4:5], 0x8
	s_load_dwordx2 s[6:7], s[4:5], 0x28
	v_mov_b32_e32 v5, 0
	s_waitcnt lgkmcnt(0)
	v_mov_b32_e32 v1, s0
	v_alignbit_b32 v1, s1, v1, 8
	v_and_b32_e32 v1, -2, v1
	v_add_u32_e32 v2, -1, v1
	v_sub_u32_e32 v1, 0, v1
	v_and_b32_e32 v4, v0, v1
	v_lshlrev_b64 v[8:9], 9, v[4:5]
	v_mov_b32_e32 v4, s3
	v_cmp_lt_u64_e32 vcc, s[2:3], v[8:9]
	v_mov_b32_e32 v7, s2
	v_and_b32_e32 v6, v2, v0
	v_cndmask_b32_e32 v1, v9, v4, vcc
	v_cndmask_b32_e32 v2, v8, v7, vcc
	v_mov_b32_e32 v3, s1
	v_add_co_u32_e32 v8, vcc, s0, v8
	v_addc_co_u32_e32 v9, vcc, v9, v3, vcc
	v_cmp_lt_u64_e32 vcc, s[2:3], v[8:9]
	v_cndmask_b32_e32 v10, v8, v7, vcc
	v_cndmask_b32_e32 v3, v9, v4, vcc
	v_mov_b32_e32 v9, s1
	v_add_co_u32_e32 v8, vcc, s0, v10
	v_addc_co_u32_e32 v9, vcc, v3, v9, vcc
	v_cmp_lt_u64_e32 vcc, s[2:3], v[8:9]
	v_cndmask_b32_e32 v14, v8, v7, vcc
	v_cndmask_b32_e32 v11, v9, v4, vcc
	v_sub_co_u32_e32 v8, vcc, v14, v2
	v_mov_b32_e32 v7, v5
	v_subb_co_u32_e32 v9, vcc, v11, v1, vcc
	v_lshlrev_b64 v[4:5], 9, v[6:7]
	v_cmp_lt_u64_e32 vcc, v[8:9], v[4:5]
	v_cndmask_b32_e32 v13, v5, v9, vcc
	v_cndmask_b32_e32 v12, v4, v8, vcc
	v_sub_co_u32_e32 v6, vcc, v10, v2
	v_subb_co_u32_e32 v7, vcc, v3, v1, vcc
	v_sub_co_u32_e32 v4, vcc, v10, v14
	v_subb_co_u32_e32 v5, vcc, v3, v11, vcc
	v_add_co_u32_e32 v4, vcc, v12, v4
	v_addc_co_u32_e32 v5, vcc, v13, v5, vcc
	v_cmp_gt_u64_e32 vcc, v[4:5], v[12:13]
	v_cndmask_b32_e64 v5, v5, 0, vcc
	v_cndmask_b32_e64 v4, v4, 0, vcc
	v_cmp_lt_u64_e32 vcc, v[12:13], v[6:7]
	v_cndmask_b32_e32 v7, v7, v13, vcc
	v_cndmask_b32_e32 v6, v6, v12, vcc
	v_cmp_lt_u64_e32 vcc, v[4:5], v[6:7]
	s_and_saveexec_b64 s[0:1], vcc
	s_cbranch_execz .LBB1418_5
; %bb.2:
	s_load_dwordx2 s[2:3], s[4:5], 0x18
	s_waitcnt lgkmcnt(0)
	v_mad_u64_u32 v[8:9], s[4:5], v2, 20, s[2:3]
	v_mov_b32_e32 v14, v9
	v_mad_u64_u32 v[10:11], s[2:3], v10, 20, s[2:3]
	v_mad_u64_u32 v[14:15], s[2:3], v1, 20, v[14:15]
	v_mov_b32_e32 v9, v14
	v_mov_b32_e32 v14, v11
	v_mad_u64_u32 v[14:15], s[2:3], v3, 20, v[14:15]
	v_mov_b32_e32 v11, v14
	v_mad_u64_u32 v[10:11], s[2:3], v12, 20, v[10:11]
	;; [unrolled: 2-line block ×3, first 2 shown]
	v_mov_b32_e32 v11, v12
	s_mov_b64 s[2:3], 0
.LBB1418_3:                             ; =>This Inner Loop Header: Depth=1
	v_add_co_u32_e32 v12, vcc, v6, v4
	v_addc_co_u32_e32 v13, vcc, v7, v5, vcc
	v_lshrrev_b64 v[14:15], 1, v[12:13]
	v_alignbit_b32 v3, v13, v12, 1
	v_lshrrev_b32_e32 v17, 1, v13
	v_not_b32_e32 v18, v14
	v_mad_u64_u32 v[12:13], s[4:5], v3, 20, v[8:9]
	v_mov_b32_e32 v16, v13
	v_mad_u64_u32 v[18:19], s[4:5], v18, 20, v[10:11]
	v_not_b32_e32 v21, v15
	v_mad_u64_u32 v[16:17], s[4:5], v17, 20, v[16:17]
	v_mov_b32_e32 v20, v19
	v_mov_b32_e32 v13, v16
	v_mad_u64_u32 v[16:17], s[4:5], v21, 20, v[20:21]
	v_mov_b32_e32 v19, v16
	global_load_dword v3, v[12:13], off
	global_load_dword v16, v[18:19], off
	v_add_co_u32_e32 v12, vcc, 1, v14
	v_addc_co_u32_e32 v13, vcc, 0, v15, vcc
	s_waitcnt vmcnt(0)
	v_cmp_lt_i32_e32 vcc, v16, v3
	v_cndmask_b32_e32 v7, v7, v15, vcc
	v_cndmask_b32_e32 v6, v6, v14, vcc
	;; [unrolled: 1-line block ×4, first 2 shown]
	v_cmp_ge_u64_e32 vcc, v[4:5], v[6:7]
	s_or_b64 s[2:3], vcc, s[2:3]
	s_andn2_b64 exec, exec, s[2:3]
	s_cbranch_execnz .LBB1418_3
; %bb.4:
	s_or_b64 exec, exec, s[2:3]
.LBB1418_5:
	s_or_b64 exec, exec, s[0:1]
	v_add_co_u32_e32 v2, vcc, v4, v2
	v_addc_co_u32_e32 v3, vcc, v5, v1, vcc
	v_mov_b32_e32 v1, 0
	v_lshlrev_b64 v[0:1], 3, v[0:1]
	v_mov_b32_e32 v4, s7
	v_add_co_u32_e32 v0, vcc, s6, v0
	v_addc_co_u32_e32 v1, vcc, v4, v1, vcc
	global_store_dwordx2 v[0:1], v[2:3], off
.LBB1418_6:
	s_endpgm
	.section	.rodata,"a",@progbits
	.p2align	6, 0x0
	.amdhsa_kernel _ZN7rocprim17ROCPRIM_400000_NS6detail17trampoline_kernelINS0_14default_configENS1_38merge_sort_block_merge_config_selectorI14custom_numericNS0_10empty_typeEEEZZNS1_27merge_sort_block_merge_implIS3_N6thrust23THRUST_200600_302600_NS6detail15normal_iteratorINSA_10device_ptrIS5_EEEEPS6_mNSA_4lessIS5_EEEE10hipError_tT0_T1_T2_jT3_P12ihipStream_tbPNSt15iterator_traitsISK_E10value_typeEPNSQ_ISL_E10value_typeEPSM_NS1_7vsmem_tEENKUlT_SK_SL_SM_E_clIPS5_SF_SG_SG_EESJ_SZ_SK_SL_SM_EUlSZ_E_NS1_11comp_targetILNS1_3genE4ELNS1_11target_archE910ELNS1_3gpuE8ELNS1_3repE0EEENS1_48merge_mergepath_partition_config_static_selectorELNS0_4arch9wavefront6targetE1EEEvSL_
		.amdhsa_group_segment_fixed_size 0
		.amdhsa_private_segment_fixed_size 0
		.amdhsa_kernarg_size 48
		.amdhsa_user_sgpr_count 6
		.amdhsa_user_sgpr_private_segment_buffer 1
		.amdhsa_user_sgpr_dispatch_ptr 0
		.amdhsa_user_sgpr_queue_ptr 0
		.amdhsa_user_sgpr_kernarg_segment_ptr 1
		.amdhsa_user_sgpr_dispatch_id 0
		.amdhsa_user_sgpr_flat_scratch_init 0
		.amdhsa_user_sgpr_kernarg_preload_length 0
		.amdhsa_user_sgpr_kernarg_preload_offset 0
		.amdhsa_user_sgpr_private_segment_size 0
		.amdhsa_uses_dynamic_stack 0
		.amdhsa_system_sgpr_private_segment_wavefront_offset 0
		.amdhsa_system_sgpr_workgroup_id_x 1
		.amdhsa_system_sgpr_workgroup_id_y 0
		.amdhsa_system_sgpr_workgroup_id_z 0
		.amdhsa_system_sgpr_workgroup_info 0
		.amdhsa_system_vgpr_workitem_id 0
		.amdhsa_next_free_vgpr 22
		.amdhsa_next_free_sgpr 8
		.amdhsa_accum_offset 24
		.amdhsa_reserve_vcc 1
		.amdhsa_reserve_flat_scratch 0
		.amdhsa_float_round_mode_32 0
		.amdhsa_float_round_mode_16_64 0
		.amdhsa_float_denorm_mode_32 3
		.amdhsa_float_denorm_mode_16_64 3
		.amdhsa_dx10_clamp 1
		.amdhsa_ieee_mode 1
		.amdhsa_fp16_overflow 0
		.amdhsa_tg_split 0
		.amdhsa_exception_fp_ieee_invalid_op 0
		.amdhsa_exception_fp_denorm_src 0
		.amdhsa_exception_fp_ieee_div_zero 0
		.amdhsa_exception_fp_ieee_overflow 0
		.amdhsa_exception_fp_ieee_underflow 0
		.amdhsa_exception_fp_ieee_inexact 0
		.amdhsa_exception_int_div_zero 0
	.end_amdhsa_kernel
	.section	.text._ZN7rocprim17ROCPRIM_400000_NS6detail17trampoline_kernelINS0_14default_configENS1_38merge_sort_block_merge_config_selectorI14custom_numericNS0_10empty_typeEEEZZNS1_27merge_sort_block_merge_implIS3_N6thrust23THRUST_200600_302600_NS6detail15normal_iteratorINSA_10device_ptrIS5_EEEEPS6_mNSA_4lessIS5_EEEE10hipError_tT0_T1_T2_jT3_P12ihipStream_tbPNSt15iterator_traitsISK_E10value_typeEPNSQ_ISL_E10value_typeEPSM_NS1_7vsmem_tEENKUlT_SK_SL_SM_E_clIPS5_SF_SG_SG_EESJ_SZ_SK_SL_SM_EUlSZ_E_NS1_11comp_targetILNS1_3genE4ELNS1_11target_archE910ELNS1_3gpuE8ELNS1_3repE0EEENS1_48merge_mergepath_partition_config_static_selectorELNS0_4arch9wavefront6targetE1EEEvSL_,"axG",@progbits,_ZN7rocprim17ROCPRIM_400000_NS6detail17trampoline_kernelINS0_14default_configENS1_38merge_sort_block_merge_config_selectorI14custom_numericNS0_10empty_typeEEEZZNS1_27merge_sort_block_merge_implIS3_N6thrust23THRUST_200600_302600_NS6detail15normal_iteratorINSA_10device_ptrIS5_EEEEPS6_mNSA_4lessIS5_EEEE10hipError_tT0_T1_T2_jT3_P12ihipStream_tbPNSt15iterator_traitsISK_E10value_typeEPNSQ_ISL_E10value_typeEPSM_NS1_7vsmem_tEENKUlT_SK_SL_SM_E_clIPS5_SF_SG_SG_EESJ_SZ_SK_SL_SM_EUlSZ_E_NS1_11comp_targetILNS1_3genE4ELNS1_11target_archE910ELNS1_3gpuE8ELNS1_3repE0EEENS1_48merge_mergepath_partition_config_static_selectorELNS0_4arch9wavefront6targetE1EEEvSL_,comdat
.Lfunc_end1418:
	.size	_ZN7rocprim17ROCPRIM_400000_NS6detail17trampoline_kernelINS0_14default_configENS1_38merge_sort_block_merge_config_selectorI14custom_numericNS0_10empty_typeEEEZZNS1_27merge_sort_block_merge_implIS3_N6thrust23THRUST_200600_302600_NS6detail15normal_iteratorINSA_10device_ptrIS5_EEEEPS6_mNSA_4lessIS5_EEEE10hipError_tT0_T1_T2_jT3_P12ihipStream_tbPNSt15iterator_traitsISK_E10value_typeEPNSQ_ISL_E10value_typeEPSM_NS1_7vsmem_tEENKUlT_SK_SL_SM_E_clIPS5_SF_SG_SG_EESJ_SZ_SK_SL_SM_EUlSZ_E_NS1_11comp_targetILNS1_3genE4ELNS1_11target_archE910ELNS1_3gpuE8ELNS1_3repE0EEENS1_48merge_mergepath_partition_config_static_selectorELNS0_4arch9wavefront6targetE1EEEvSL_, .Lfunc_end1418-_ZN7rocprim17ROCPRIM_400000_NS6detail17trampoline_kernelINS0_14default_configENS1_38merge_sort_block_merge_config_selectorI14custom_numericNS0_10empty_typeEEEZZNS1_27merge_sort_block_merge_implIS3_N6thrust23THRUST_200600_302600_NS6detail15normal_iteratorINSA_10device_ptrIS5_EEEEPS6_mNSA_4lessIS5_EEEE10hipError_tT0_T1_T2_jT3_P12ihipStream_tbPNSt15iterator_traitsISK_E10value_typeEPNSQ_ISL_E10value_typeEPSM_NS1_7vsmem_tEENKUlT_SK_SL_SM_E_clIPS5_SF_SG_SG_EESJ_SZ_SK_SL_SM_EUlSZ_E_NS1_11comp_targetILNS1_3genE4ELNS1_11target_archE910ELNS1_3gpuE8ELNS1_3repE0EEENS1_48merge_mergepath_partition_config_static_selectorELNS0_4arch9wavefront6targetE1EEEvSL_
                                        ; -- End function
	.section	.AMDGPU.csdata,"",@progbits
; Kernel info:
; codeLenInByte = 552
; NumSgprs: 12
; NumVgprs: 22
; NumAgprs: 0
; TotalNumVgprs: 22
; ScratchSize: 0
; MemoryBound: 0
; FloatMode: 240
; IeeeMode: 1
; LDSByteSize: 0 bytes/workgroup (compile time only)
; SGPRBlocks: 1
; VGPRBlocks: 2
; NumSGPRsForWavesPerEU: 12
; NumVGPRsForWavesPerEU: 22
; AccumOffset: 24
; Occupancy: 8
; WaveLimiterHint : 0
; COMPUTE_PGM_RSRC2:SCRATCH_EN: 0
; COMPUTE_PGM_RSRC2:USER_SGPR: 6
; COMPUTE_PGM_RSRC2:TRAP_HANDLER: 0
; COMPUTE_PGM_RSRC2:TGID_X_EN: 1
; COMPUTE_PGM_RSRC2:TGID_Y_EN: 0
; COMPUTE_PGM_RSRC2:TGID_Z_EN: 0
; COMPUTE_PGM_RSRC2:TIDIG_COMP_CNT: 0
; COMPUTE_PGM_RSRC3_GFX90A:ACCUM_OFFSET: 5
; COMPUTE_PGM_RSRC3_GFX90A:TG_SPLIT: 0
	.section	.text._ZN7rocprim17ROCPRIM_400000_NS6detail17trampoline_kernelINS0_14default_configENS1_38merge_sort_block_merge_config_selectorI14custom_numericNS0_10empty_typeEEEZZNS1_27merge_sort_block_merge_implIS3_N6thrust23THRUST_200600_302600_NS6detail15normal_iteratorINSA_10device_ptrIS5_EEEEPS6_mNSA_4lessIS5_EEEE10hipError_tT0_T1_T2_jT3_P12ihipStream_tbPNSt15iterator_traitsISK_E10value_typeEPNSQ_ISL_E10value_typeEPSM_NS1_7vsmem_tEENKUlT_SK_SL_SM_E_clIPS5_SF_SG_SG_EESJ_SZ_SK_SL_SM_EUlSZ_E_NS1_11comp_targetILNS1_3genE3ELNS1_11target_archE908ELNS1_3gpuE7ELNS1_3repE0EEENS1_48merge_mergepath_partition_config_static_selectorELNS0_4arch9wavefront6targetE1EEEvSL_,"axG",@progbits,_ZN7rocprim17ROCPRIM_400000_NS6detail17trampoline_kernelINS0_14default_configENS1_38merge_sort_block_merge_config_selectorI14custom_numericNS0_10empty_typeEEEZZNS1_27merge_sort_block_merge_implIS3_N6thrust23THRUST_200600_302600_NS6detail15normal_iteratorINSA_10device_ptrIS5_EEEEPS6_mNSA_4lessIS5_EEEE10hipError_tT0_T1_T2_jT3_P12ihipStream_tbPNSt15iterator_traitsISK_E10value_typeEPNSQ_ISL_E10value_typeEPSM_NS1_7vsmem_tEENKUlT_SK_SL_SM_E_clIPS5_SF_SG_SG_EESJ_SZ_SK_SL_SM_EUlSZ_E_NS1_11comp_targetILNS1_3genE3ELNS1_11target_archE908ELNS1_3gpuE7ELNS1_3repE0EEENS1_48merge_mergepath_partition_config_static_selectorELNS0_4arch9wavefront6targetE1EEEvSL_,comdat
	.protected	_ZN7rocprim17ROCPRIM_400000_NS6detail17trampoline_kernelINS0_14default_configENS1_38merge_sort_block_merge_config_selectorI14custom_numericNS0_10empty_typeEEEZZNS1_27merge_sort_block_merge_implIS3_N6thrust23THRUST_200600_302600_NS6detail15normal_iteratorINSA_10device_ptrIS5_EEEEPS6_mNSA_4lessIS5_EEEE10hipError_tT0_T1_T2_jT3_P12ihipStream_tbPNSt15iterator_traitsISK_E10value_typeEPNSQ_ISL_E10value_typeEPSM_NS1_7vsmem_tEENKUlT_SK_SL_SM_E_clIPS5_SF_SG_SG_EESJ_SZ_SK_SL_SM_EUlSZ_E_NS1_11comp_targetILNS1_3genE3ELNS1_11target_archE908ELNS1_3gpuE7ELNS1_3repE0EEENS1_48merge_mergepath_partition_config_static_selectorELNS0_4arch9wavefront6targetE1EEEvSL_ ; -- Begin function _ZN7rocprim17ROCPRIM_400000_NS6detail17trampoline_kernelINS0_14default_configENS1_38merge_sort_block_merge_config_selectorI14custom_numericNS0_10empty_typeEEEZZNS1_27merge_sort_block_merge_implIS3_N6thrust23THRUST_200600_302600_NS6detail15normal_iteratorINSA_10device_ptrIS5_EEEEPS6_mNSA_4lessIS5_EEEE10hipError_tT0_T1_T2_jT3_P12ihipStream_tbPNSt15iterator_traitsISK_E10value_typeEPNSQ_ISL_E10value_typeEPSM_NS1_7vsmem_tEENKUlT_SK_SL_SM_E_clIPS5_SF_SG_SG_EESJ_SZ_SK_SL_SM_EUlSZ_E_NS1_11comp_targetILNS1_3genE3ELNS1_11target_archE908ELNS1_3gpuE7ELNS1_3repE0EEENS1_48merge_mergepath_partition_config_static_selectorELNS0_4arch9wavefront6targetE1EEEvSL_
	.globl	_ZN7rocprim17ROCPRIM_400000_NS6detail17trampoline_kernelINS0_14default_configENS1_38merge_sort_block_merge_config_selectorI14custom_numericNS0_10empty_typeEEEZZNS1_27merge_sort_block_merge_implIS3_N6thrust23THRUST_200600_302600_NS6detail15normal_iteratorINSA_10device_ptrIS5_EEEEPS6_mNSA_4lessIS5_EEEE10hipError_tT0_T1_T2_jT3_P12ihipStream_tbPNSt15iterator_traitsISK_E10value_typeEPNSQ_ISL_E10value_typeEPSM_NS1_7vsmem_tEENKUlT_SK_SL_SM_E_clIPS5_SF_SG_SG_EESJ_SZ_SK_SL_SM_EUlSZ_E_NS1_11comp_targetILNS1_3genE3ELNS1_11target_archE908ELNS1_3gpuE7ELNS1_3repE0EEENS1_48merge_mergepath_partition_config_static_selectorELNS0_4arch9wavefront6targetE1EEEvSL_
	.p2align	8
	.type	_ZN7rocprim17ROCPRIM_400000_NS6detail17trampoline_kernelINS0_14default_configENS1_38merge_sort_block_merge_config_selectorI14custom_numericNS0_10empty_typeEEEZZNS1_27merge_sort_block_merge_implIS3_N6thrust23THRUST_200600_302600_NS6detail15normal_iteratorINSA_10device_ptrIS5_EEEEPS6_mNSA_4lessIS5_EEEE10hipError_tT0_T1_T2_jT3_P12ihipStream_tbPNSt15iterator_traitsISK_E10value_typeEPNSQ_ISL_E10value_typeEPSM_NS1_7vsmem_tEENKUlT_SK_SL_SM_E_clIPS5_SF_SG_SG_EESJ_SZ_SK_SL_SM_EUlSZ_E_NS1_11comp_targetILNS1_3genE3ELNS1_11target_archE908ELNS1_3gpuE7ELNS1_3repE0EEENS1_48merge_mergepath_partition_config_static_selectorELNS0_4arch9wavefront6targetE1EEEvSL_,@function
_ZN7rocprim17ROCPRIM_400000_NS6detail17trampoline_kernelINS0_14default_configENS1_38merge_sort_block_merge_config_selectorI14custom_numericNS0_10empty_typeEEEZZNS1_27merge_sort_block_merge_implIS3_N6thrust23THRUST_200600_302600_NS6detail15normal_iteratorINSA_10device_ptrIS5_EEEEPS6_mNSA_4lessIS5_EEEE10hipError_tT0_T1_T2_jT3_P12ihipStream_tbPNSt15iterator_traitsISK_E10value_typeEPNSQ_ISL_E10value_typeEPSM_NS1_7vsmem_tEENKUlT_SK_SL_SM_E_clIPS5_SF_SG_SG_EESJ_SZ_SK_SL_SM_EUlSZ_E_NS1_11comp_targetILNS1_3genE3ELNS1_11target_archE908ELNS1_3gpuE7ELNS1_3repE0EEENS1_48merge_mergepath_partition_config_static_selectorELNS0_4arch9wavefront6targetE1EEEvSL_: ; @_ZN7rocprim17ROCPRIM_400000_NS6detail17trampoline_kernelINS0_14default_configENS1_38merge_sort_block_merge_config_selectorI14custom_numericNS0_10empty_typeEEEZZNS1_27merge_sort_block_merge_implIS3_N6thrust23THRUST_200600_302600_NS6detail15normal_iteratorINSA_10device_ptrIS5_EEEEPS6_mNSA_4lessIS5_EEEE10hipError_tT0_T1_T2_jT3_P12ihipStream_tbPNSt15iterator_traitsISK_E10value_typeEPNSQ_ISL_E10value_typeEPSM_NS1_7vsmem_tEENKUlT_SK_SL_SM_E_clIPS5_SF_SG_SG_EESJ_SZ_SK_SL_SM_EUlSZ_E_NS1_11comp_targetILNS1_3genE3ELNS1_11target_archE908ELNS1_3gpuE7ELNS1_3repE0EEENS1_48merge_mergepath_partition_config_static_selectorELNS0_4arch9wavefront6targetE1EEEvSL_
; %bb.0:
	.section	.rodata,"a",@progbits
	.p2align	6, 0x0
	.amdhsa_kernel _ZN7rocprim17ROCPRIM_400000_NS6detail17trampoline_kernelINS0_14default_configENS1_38merge_sort_block_merge_config_selectorI14custom_numericNS0_10empty_typeEEEZZNS1_27merge_sort_block_merge_implIS3_N6thrust23THRUST_200600_302600_NS6detail15normal_iteratorINSA_10device_ptrIS5_EEEEPS6_mNSA_4lessIS5_EEEE10hipError_tT0_T1_T2_jT3_P12ihipStream_tbPNSt15iterator_traitsISK_E10value_typeEPNSQ_ISL_E10value_typeEPSM_NS1_7vsmem_tEENKUlT_SK_SL_SM_E_clIPS5_SF_SG_SG_EESJ_SZ_SK_SL_SM_EUlSZ_E_NS1_11comp_targetILNS1_3genE3ELNS1_11target_archE908ELNS1_3gpuE7ELNS1_3repE0EEENS1_48merge_mergepath_partition_config_static_selectorELNS0_4arch9wavefront6targetE1EEEvSL_
		.amdhsa_group_segment_fixed_size 0
		.amdhsa_private_segment_fixed_size 0
		.amdhsa_kernarg_size 48
		.amdhsa_user_sgpr_count 6
		.amdhsa_user_sgpr_private_segment_buffer 1
		.amdhsa_user_sgpr_dispatch_ptr 0
		.amdhsa_user_sgpr_queue_ptr 0
		.amdhsa_user_sgpr_kernarg_segment_ptr 1
		.amdhsa_user_sgpr_dispatch_id 0
		.amdhsa_user_sgpr_flat_scratch_init 0
		.amdhsa_user_sgpr_kernarg_preload_length 0
		.amdhsa_user_sgpr_kernarg_preload_offset 0
		.amdhsa_user_sgpr_private_segment_size 0
		.amdhsa_uses_dynamic_stack 0
		.amdhsa_system_sgpr_private_segment_wavefront_offset 0
		.amdhsa_system_sgpr_workgroup_id_x 1
		.amdhsa_system_sgpr_workgroup_id_y 0
		.amdhsa_system_sgpr_workgroup_id_z 0
		.amdhsa_system_sgpr_workgroup_info 0
		.amdhsa_system_vgpr_workitem_id 0
		.amdhsa_next_free_vgpr 1
		.amdhsa_next_free_sgpr 0
		.amdhsa_accum_offset 4
		.amdhsa_reserve_vcc 0
		.amdhsa_reserve_flat_scratch 0
		.amdhsa_float_round_mode_32 0
		.amdhsa_float_round_mode_16_64 0
		.amdhsa_float_denorm_mode_32 3
		.amdhsa_float_denorm_mode_16_64 3
		.amdhsa_dx10_clamp 1
		.amdhsa_ieee_mode 1
		.amdhsa_fp16_overflow 0
		.amdhsa_tg_split 0
		.amdhsa_exception_fp_ieee_invalid_op 0
		.amdhsa_exception_fp_denorm_src 0
		.amdhsa_exception_fp_ieee_div_zero 0
		.amdhsa_exception_fp_ieee_overflow 0
		.amdhsa_exception_fp_ieee_underflow 0
		.amdhsa_exception_fp_ieee_inexact 0
		.amdhsa_exception_int_div_zero 0
	.end_amdhsa_kernel
	.section	.text._ZN7rocprim17ROCPRIM_400000_NS6detail17trampoline_kernelINS0_14default_configENS1_38merge_sort_block_merge_config_selectorI14custom_numericNS0_10empty_typeEEEZZNS1_27merge_sort_block_merge_implIS3_N6thrust23THRUST_200600_302600_NS6detail15normal_iteratorINSA_10device_ptrIS5_EEEEPS6_mNSA_4lessIS5_EEEE10hipError_tT0_T1_T2_jT3_P12ihipStream_tbPNSt15iterator_traitsISK_E10value_typeEPNSQ_ISL_E10value_typeEPSM_NS1_7vsmem_tEENKUlT_SK_SL_SM_E_clIPS5_SF_SG_SG_EESJ_SZ_SK_SL_SM_EUlSZ_E_NS1_11comp_targetILNS1_3genE3ELNS1_11target_archE908ELNS1_3gpuE7ELNS1_3repE0EEENS1_48merge_mergepath_partition_config_static_selectorELNS0_4arch9wavefront6targetE1EEEvSL_,"axG",@progbits,_ZN7rocprim17ROCPRIM_400000_NS6detail17trampoline_kernelINS0_14default_configENS1_38merge_sort_block_merge_config_selectorI14custom_numericNS0_10empty_typeEEEZZNS1_27merge_sort_block_merge_implIS3_N6thrust23THRUST_200600_302600_NS6detail15normal_iteratorINSA_10device_ptrIS5_EEEEPS6_mNSA_4lessIS5_EEEE10hipError_tT0_T1_T2_jT3_P12ihipStream_tbPNSt15iterator_traitsISK_E10value_typeEPNSQ_ISL_E10value_typeEPSM_NS1_7vsmem_tEENKUlT_SK_SL_SM_E_clIPS5_SF_SG_SG_EESJ_SZ_SK_SL_SM_EUlSZ_E_NS1_11comp_targetILNS1_3genE3ELNS1_11target_archE908ELNS1_3gpuE7ELNS1_3repE0EEENS1_48merge_mergepath_partition_config_static_selectorELNS0_4arch9wavefront6targetE1EEEvSL_,comdat
.Lfunc_end1419:
	.size	_ZN7rocprim17ROCPRIM_400000_NS6detail17trampoline_kernelINS0_14default_configENS1_38merge_sort_block_merge_config_selectorI14custom_numericNS0_10empty_typeEEEZZNS1_27merge_sort_block_merge_implIS3_N6thrust23THRUST_200600_302600_NS6detail15normal_iteratorINSA_10device_ptrIS5_EEEEPS6_mNSA_4lessIS5_EEEE10hipError_tT0_T1_T2_jT3_P12ihipStream_tbPNSt15iterator_traitsISK_E10value_typeEPNSQ_ISL_E10value_typeEPSM_NS1_7vsmem_tEENKUlT_SK_SL_SM_E_clIPS5_SF_SG_SG_EESJ_SZ_SK_SL_SM_EUlSZ_E_NS1_11comp_targetILNS1_3genE3ELNS1_11target_archE908ELNS1_3gpuE7ELNS1_3repE0EEENS1_48merge_mergepath_partition_config_static_selectorELNS0_4arch9wavefront6targetE1EEEvSL_, .Lfunc_end1419-_ZN7rocprim17ROCPRIM_400000_NS6detail17trampoline_kernelINS0_14default_configENS1_38merge_sort_block_merge_config_selectorI14custom_numericNS0_10empty_typeEEEZZNS1_27merge_sort_block_merge_implIS3_N6thrust23THRUST_200600_302600_NS6detail15normal_iteratorINSA_10device_ptrIS5_EEEEPS6_mNSA_4lessIS5_EEEE10hipError_tT0_T1_T2_jT3_P12ihipStream_tbPNSt15iterator_traitsISK_E10value_typeEPNSQ_ISL_E10value_typeEPSM_NS1_7vsmem_tEENKUlT_SK_SL_SM_E_clIPS5_SF_SG_SG_EESJ_SZ_SK_SL_SM_EUlSZ_E_NS1_11comp_targetILNS1_3genE3ELNS1_11target_archE908ELNS1_3gpuE7ELNS1_3repE0EEENS1_48merge_mergepath_partition_config_static_selectorELNS0_4arch9wavefront6targetE1EEEvSL_
                                        ; -- End function
	.section	.AMDGPU.csdata,"",@progbits
; Kernel info:
; codeLenInByte = 0
; NumSgprs: 4
; NumVgprs: 0
; NumAgprs: 0
; TotalNumVgprs: 0
; ScratchSize: 0
; MemoryBound: 0
; FloatMode: 240
; IeeeMode: 1
; LDSByteSize: 0 bytes/workgroup (compile time only)
; SGPRBlocks: 0
; VGPRBlocks: 0
; NumSGPRsForWavesPerEU: 4
; NumVGPRsForWavesPerEU: 1
; AccumOffset: 4
; Occupancy: 8
; WaveLimiterHint : 0
; COMPUTE_PGM_RSRC2:SCRATCH_EN: 0
; COMPUTE_PGM_RSRC2:USER_SGPR: 6
; COMPUTE_PGM_RSRC2:TRAP_HANDLER: 0
; COMPUTE_PGM_RSRC2:TGID_X_EN: 1
; COMPUTE_PGM_RSRC2:TGID_Y_EN: 0
; COMPUTE_PGM_RSRC2:TGID_Z_EN: 0
; COMPUTE_PGM_RSRC2:TIDIG_COMP_CNT: 0
; COMPUTE_PGM_RSRC3_GFX90A:ACCUM_OFFSET: 0
; COMPUTE_PGM_RSRC3_GFX90A:TG_SPLIT: 0
	.section	.text._ZN7rocprim17ROCPRIM_400000_NS6detail17trampoline_kernelINS0_14default_configENS1_38merge_sort_block_merge_config_selectorI14custom_numericNS0_10empty_typeEEEZZNS1_27merge_sort_block_merge_implIS3_N6thrust23THRUST_200600_302600_NS6detail15normal_iteratorINSA_10device_ptrIS5_EEEEPS6_mNSA_4lessIS5_EEEE10hipError_tT0_T1_T2_jT3_P12ihipStream_tbPNSt15iterator_traitsISK_E10value_typeEPNSQ_ISL_E10value_typeEPSM_NS1_7vsmem_tEENKUlT_SK_SL_SM_E_clIPS5_SF_SG_SG_EESJ_SZ_SK_SL_SM_EUlSZ_E_NS1_11comp_targetILNS1_3genE2ELNS1_11target_archE906ELNS1_3gpuE6ELNS1_3repE0EEENS1_48merge_mergepath_partition_config_static_selectorELNS0_4arch9wavefront6targetE1EEEvSL_,"axG",@progbits,_ZN7rocprim17ROCPRIM_400000_NS6detail17trampoline_kernelINS0_14default_configENS1_38merge_sort_block_merge_config_selectorI14custom_numericNS0_10empty_typeEEEZZNS1_27merge_sort_block_merge_implIS3_N6thrust23THRUST_200600_302600_NS6detail15normal_iteratorINSA_10device_ptrIS5_EEEEPS6_mNSA_4lessIS5_EEEE10hipError_tT0_T1_T2_jT3_P12ihipStream_tbPNSt15iterator_traitsISK_E10value_typeEPNSQ_ISL_E10value_typeEPSM_NS1_7vsmem_tEENKUlT_SK_SL_SM_E_clIPS5_SF_SG_SG_EESJ_SZ_SK_SL_SM_EUlSZ_E_NS1_11comp_targetILNS1_3genE2ELNS1_11target_archE906ELNS1_3gpuE6ELNS1_3repE0EEENS1_48merge_mergepath_partition_config_static_selectorELNS0_4arch9wavefront6targetE1EEEvSL_,comdat
	.protected	_ZN7rocprim17ROCPRIM_400000_NS6detail17trampoline_kernelINS0_14default_configENS1_38merge_sort_block_merge_config_selectorI14custom_numericNS0_10empty_typeEEEZZNS1_27merge_sort_block_merge_implIS3_N6thrust23THRUST_200600_302600_NS6detail15normal_iteratorINSA_10device_ptrIS5_EEEEPS6_mNSA_4lessIS5_EEEE10hipError_tT0_T1_T2_jT3_P12ihipStream_tbPNSt15iterator_traitsISK_E10value_typeEPNSQ_ISL_E10value_typeEPSM_NS1_7vsmem_tEENKUlT_SK_SL_SM_E_clIPS5_SF_SG_SG_EESJ_SZ_SK_SL_SM_EUlSZ_E_NS1_11comp_targetILNS1_3genE2ELNS1_11target_archE906ELNS1_3gpuE6ELNS1_3repE0EEENS1_48merge_mergepath_partition_config_static_selectorELNS0_4arch9wavefront6targetE1EEEvSL_ ; -- Begin function _ZN7rocprim17ROCPRIM_400000_NS6detail17trampoline_kernelINS0_14default_configENS1_38merge_sort_block_merge_config_selectorI14custom_numericNS0_10empty_typeEEEZZNS1_27merge_sort_block_merge_implIS3_N6thrust23THRUST_200600_302600_NS6detail15normal_iteratorINSA_10device_ptrIS5_EEEEPS6_mNSA_4lessIS5_EEEE10hipError_tT0_T1_T2_jT3_P12ihipStream_tbPNSt15iterator_traitsISK_E10value_typeEPNSQ_ISL_E10value_typeEPSM_NS1_7vsmem_tEENKUlT_SK_SL_SM_E_clIPS5_SF_SG_SG_EESJ_SZ_SK_SL_SM_EUlSZ_E_NS1_11comp_targetILNS1_3genE2ELNS1_11target_archE906ELNS1_3gpuE6ELNS1_3repE0EEENS1_48merge_mergepath_partition_config_static_selectorELNS0_4arch9wavefront6targetE1EEEvSL_
	.globl	_ZN7rocprim17ROCPRIM_400000_NS6detail17trampoline_kernelINS0_14default_configENS1_38merge_sort_block_merge_config_selectorI14custom_numericNS0_10empty_typeEEEZZNS1_27merge_sort_block_merge_implIS3_N6thrust23THRUST_200600_302600_NS6detail15normal_iteratorINSA_10device_ptrIS5_EEEEPS6_mNSA_4lessIS5_EEEE10hipError_tT0_T1_T2_jT3_P12ihipStream_tbPNSt15iterator_traitsISK_E10value_typeEPNSQ_ISL_E10value_typeEPSM_NS1_7vsmem_tEENKUlT_SK_SL_SM_E_clIPS5_SF_SG_SG_EESJ_SZ_SK_SL_SM_EUlSZ_E_NS1_11comp_targetILNS1_3genE2ELNS1_11target_archE906ELNS1_3gpuE6ELNS1_3repE0EEENS1_48merge_mergepath_partition_config_static_selectorELNS0_4arch9wavefront6targetE1EEEvSL_
	.p2align	8
	.type	_ZN7rocprim17ROCPRIM_400000_NS6detail17trampoline_kernelINS0_14default_configENS1_38merge_sort_block_merge_config_selectorI14custom_numericNS0_10empty_typeEEEZZNS1_27merge_sort_block_merge_implIS3_N6thrust23THRUST_200600_302600_NS6detail15normal_iteratorINSA_10device_ptrIS5_EEEEPS6_mNSA_4lessIS5_EEEE10hipError_tT0_T1_T2_jT3_P12ihipStream_tbPNSt15iterator_traitsISK_E10value_typeEPNSQ_ISL_E10value_typeEPSM_NS1_7vsmem_tEENKUlT_SK_SL_SM_E_clIPS5_SF_SG_SG_EESJ_SZ_SK_SL_SM_EUlSZ_E_NS1_11comp_targetILNS1_3genE2ELNS1_11target_archE906ELNS1_3gpuE6ELNS1_3repE0EEENS1_48merge_mergepath_partition_config_static_selectorELNS0_4arch9wavefront6targetE1EEEvSL_,@function
_ZN7rocprim17ROCPRIM_400000_NS6detail17trampoline_kernelINS0_14default_configENS1_38merge_sort_block_merge_config_selectorI14custom_numericNS0_10empty_typeEEEZZNS1_27merge_sort_block_merge_implIS3_N6thrust23THRUST_200600_302600_NS6detail15normal_iteratorINSA_10device_ptrIS5_EEEEPS6_mNSA_4lessIS5_EEEE10hipError_tT0_T1_T2_jT3_P12ihipStream_tbPNSt15iterator_traitsISK_E10value_typeEPNSQ_ISL_E10value_typeEPSM_NS1_7vsmem_tEENKUlT_SK_SL_SM_E_clIPS5_SF_SG_SG_EESJ_SZ_SK_SL_SM_EUlSZ_E_NS1_11comp_targetILNS1_3genE2ELNS1_11target_archE906ELNS1_3gpuE6ELNS1_3repE0EEENS1_48merge_mergepath_partition_config_static_selectorELNS0_4arch9wavefront6targetE1EEEvSL_: ; @_ZN7rocprim17ROCPRIM_400000_NS6detail17trampoline_kernelINS0_14default_configENS1_38merge_sort_block_merge_config_selectorI14custom_numericNS0_10empty_typeEEEZZNS1_27merge_sort_block_merge_implIS3_N6thrust23THRUST_200600_302600_NS6detail15normal_iteratorINSA_10device_ptrIS5_EEEEPS6_mNSA_4lessIS5_EEEE10hipError_tT0_T1_T2_jT3_P12ihipStream_tbPNSt15iterator_traitsISK_E10value_typeEPNSQ_ISL_E10value_typeEPSM_NS1_7vsmem_tEENKUlT_SK_SL_SM_E_clIPS5_SF_SG_SG_EESJ_SZ_SK_SL_SM_EUlSZ_E_NS1_11comp_targetILNS1_3genE2ELNS1_11target_archE906ELNS1_3gpuE6ELNS1_3repE0EEENS1_48merge_mergepath_partition_config_static_selectorELNS0_4arch9wavefront6targetE1EEEvSL_
; %bb.0:
	.section	.rodata,"a",@progbits
	.p2align	6, 0x0
	.amdhsa_kernel _ZN7rocprim17ROCPRIM_400000_NS6detail17trampoline_kernelINS0_14default_configENS1_38merge_sort_block_merge_config_selectorI14custom_numericNS0_10empty_typeEEEZZNS1_27merge_sort_block_merge_implIS3_N6thrust23THRUST_200600_302600_NS6detail15normal_iteratorINSA_10device_ptrIS5_EEEEPS6_mNSA_4lessIS5_EEEE10hipError_tT0_T1_T2_jT3_P12ihipStream_tbPNSt15iterator_traitsISK_E10value_typeEPNSQ_ISL_E10value_typeEPSM_NS1_7vsmem_tEENKUlT_SK_SL_SM_E_clIPS5_SF_SG_SG_EESJ_SZ_SK_SL_SM_EUlSZ_E_NS1_11comp_targetILNS1_3genE2ELNS1_11target_archE906ELNS1_3gpuE6ELNS1_3repE0EEENS1_48merge_mergepath_partition_config_static_selectorELNS0_4arch9wavefront6targetE1EEEvSL_
		.amdhsa_group_segment_fixed_size 0
		.amdhsa_private_segment_fixed_size 0
		.amdhsa_kernarg_size 48
		.amdhsa_user_sgpr_count 6
		.amdhsa_user_sgpr_private_segment_buffer 1
		.amdhsa_user_sgpr_dispatch_ptr 0
		.amdhsa_user_sgpr_queue_ptr 0
		.amdhsa_user_sgpr_kernarg_segment_ptr 1
		.amdhsa_user_sgpr_dispatch_id 0
		.amdhsa_user_sgpr_flat_scratch_init 0
		.amdhsa_user_sgpr_kernarg_preload_length 0
		.amdhsa_user_sgpr_kernarg_preload_offset 0
		.amdhsa_user_sgpr_private_segment_size 0
		.amdhsa_uses_dynamic_stack 0
		.amdhsa_system_sgpr_private_segment_wavefront_offset 0
		.amdhsa_system_sgpr_workgroup_id_x 1
		.amdhsa_system_sgpr_workgroup_id_y 0
		.amdhsa_system_sgpr_workgroup_id_z 0
		.amdhsa_system_sgpr_workgroup_info 0
		.amdhsa_system_vgpr_workitem_id 0
		.amdhsa_next_free_vgpr 1
		.amdhsa_next_free_sgpr 0
		.amdhsa_accum_offset 4
		.amdhsa_reserve_vcc 0
		.amdhsa_reserve_flat_scratch 0
		.amdhsa_float_round_mode_32 0
		.amdhsa_float_round_mode_16_64 0
		.amdhsa_float_denorm_mode_32 3
		.amdhsa_float_denorm_mode_16_64 3
		.amdhsa_dx10_clamp 1
		.amdhsa_ieee_mode 1
		.amdhsa_fp16_overflow 0
		.amdhsa_tg_split 0
		.amdhsa_exception_fp_ieee_invalid_op 0
		.amdhsa_exception_fp_denorm_src 0
		.amdhsa_exception_fp_ieee_div_zero 0
		.amdhsa_exception_fp_ieee_overflow 0
		.amdhsa_exception_fp_ieee_underflow 0
		.amdhsa_exception_fp_ieee_inexact 0
		.amdhsa_exception_int_div_zero 0
	.end_amdhsa_kernel
	.section	.text._ZN7rocprim17ROCPRIM_400000_NS6detail17trampoline_kernelINS0_14default_configENS1_38merge_sort_block_merge_config_selectorI14custom_numericNS0_10empty_typeEEEZZNS1_27merge_sort_block_merge_implIS3_N6thrust23THRUST_200600_302600_NS6detail15normal_iteratorINSA_10device_ptrIS5_EEEEPS6_mNSA_4lessIS5_EEEE10hipError_tT0_T1_T2_jT3_P12ihipStream_tbPNSt15iterator_traitsISK_E10value_typeEPNSQ_ISL_E10value_typeEPSM_NS1_7vsmem_tEENKUlT_SK_SL_SM_E_clIPS5_SF_SG_SG_EESJ_SZ_SK_SL_SM_EUlSZ_E_NS1_11comp_targetILNS1_3genE2ELNS1_11target_archE906ELNS1_3gpuE6ELNS1_3repE0EEENS1_48merge_mergepath_partition_config_static_selectorELNS0_4arch9wavefront6targetE1EEEvSL_,"axG",@progbits,_ZN7rocprim17ROCPRIM_400000_NS6detail17trampoline_kernelINS0_14default_configENS1_38merge_sort_block_merge_config_selectorI14custom_numericNS0_10empty_typeEEEZZNS1_27merge_sort_block_merge_implIS3_N6thrust23THRUST_200600_302600_NS6detail15normal_iteratorINSA_10device_ptrIS5_EEEEPS6_mNSA_4lessIS5_EEEE10hipError_tT0_T1_T2_jT3_P12ihipStream_tbPNSt15iterator_traitsISK_E10value_typeEPNSQ_ISL_E10value_typeEPSM_NS1_7vsmem_tEENKUlT_SK_SL_SM_E_clIPS5_SF_SG_SG_EESJ_SZ_SK_SL_SM_EUlSZ_E_NS1_11comp_targetILNS1_3genE2ELNS1_11target_archE906ELNS1_3gpuE6ELNS1_3repE0EEENS1_48merge_mergepath_partition_config_static_selectorELNS0_4arch9wavefront6targetE1EEEvSL_,comdat
.Lfunc_end1420:
	.size	_ZN7rocprim17ROCPRIM_400000_NS6detail17trampoline_kernelINS0_14default_configENS1_38merge_sort_block_merge_config_selectorI14custom_numericNS0_10empty_typeEEEZZNS1_27merge_sort_block_merge_implIS3_N6thrust23THRUST_200600_302600_NS6detail15normal_iteratorINSA_10device_ptrIS5_EEEEPS6_mNSA_4lessIS5_EEEE10hipError_tT0_T1_T2_jT3_P12ihipStream_tbPNSt15iterator_traitsISK_E10value_typeEPNSQ_ISL_E10value_typeEPSM_NS1_7vsmem_tEENKUlT_SK_SL_SM_E_clIPS5_SF_SG_SG_EESJ_SZ_SK_SL_SM_EUlSZ_E_NS1_11comp_targetILNS1_3genE2ELNS1_11target_archE906ELNS1_3gpuE6ELNS1_3repE0EEENS1_48merge_mergepath_partition_config_static_selectorELNS0_4arch9wavefront6targetE1EEEvSL_, .Lfunc_end1420-_ZN7rocprim17ROCPRIM_400000_NS6detail17trampoline_kernelINS0_14default_configENS1_38merge_sort_block_merge_config_selectorI14custom_numericNS0_10empty_typeEEEZZNS1_27merge_sort_block_merge_implIS3_N6thrust23THRUST_200600_302600_NS6detail15normal_iteratorINSA_10device_ptrIS5_EEEEPS6_mNSA_4lessIS5_EEEE10hipError_tT0_T1_T2_jT3_P12ihipStream_tbPNSt15iterator_traitsISK_E10value_typeEPNSQ_ISL_E10value_typeEPSM_NS1_7vsmem_tEENKUlT_SK_SL_SM_E_clIPS5_SF_SG_SG_EESJ_SZ_SK_SL_SM_EUlSZ_E_NS1_11comp_targetILNS1_3genE2ELNS1_11target_archE906ELNS1_3gpuE6ELNS1_3repE0EEENS1_48merge_mergepath_partition_config_static_selectorELNS0_4arch9wavefront6targetE1EEEvSL_
                                        ; -- End function
	.section	.AMDGPU.csdata,"",@progbits
; Kernel info:
; codeLenInByte = 0
; NumSgprs: 4
; NumVgprs: 0
; NumAgprs: 0
; TotalNumVgprs: 0
; ScratchSize: 0
; MemoryBound: 0
; FloatMode: 240
; IeeeMode: 1
; LDSByteSize: 0 bytes/workgroup (compile time only)
; SGPRBlocks: 0
; VGPRBlocks: 0
; NumSGPRsForWavesPerEU: 4
; NumVGPRsForWavesPerEU: 1
; AccumOffset: 4
; Occupancy: 8
; WaveLimiterHint : 0
; COMPUTE_PGM_RSRC2:SCRATCH_EN: 0
; COMPUTE_PGM_RSRC2:USER_SGPR: 6
; COMPUTE_PGM_RSRC2:TRAP_HANDLER: 0
; COMPUTE_PGM_RSRC2:TGID_X_EN: 1
; COMPUTE_PGM_RSRC2:TGID_Y_EN: 0
; COMPUTE_PGM_RSRC2:TGID_Z_EN: 0
; COMPUTE_PGM_RSRC2:TIDIG_COMP_CNT: 0
; COMPUTE_PGM_RSRC3_GFX90A:ACCUM_OFFSET: 0
; COMPUTE_PGM_RSRC3_GFX90A:TG_SPLIT: 0
	.section	.text._ZN7rocprim17ROCPRIM_400000_NS6detail17trampoline_kernelINS0_14default_configENS1_38merge_sort_block_merge_config_selectorI14custom_numericNS0_10empty_typeEEEZZNS1_27merge_sort_block_merge_implIS3_N6thrust23THRUST_200600_302600_NS6detail15normal_iteratorINSA_10device_ptrIS5_EEEEPS6_mNSA_4lessIS5_EEEE10hipError_tT0_T1_T2_jT3_P12ihipStream_tbPNSt15iterator_traitsISK_E10value_typeEPNSQ_ISL_E10value_typeEPSM_NS1_7vsmem_tEENKUlT_SK_SL_SM_E_clIPS5_SF_SG_SG_EESJ_SZ_SK_SL_SM_EUlSZ_E_NS1_11comp_targetILNS1_3genE9ELNS1_11target_archE1100ELNS1_3gpuE3ELNS1_3repE0EEENS1_48merge_mergepath_partition_config_static_selectorELNS0_4arch9wavefront6targetE1EEEvSL_,"axG",@progbits,_ZN7rocprim17ROCPRIM_400000_NS6detail17trampoline_kernelINS0_14default_configENS1_38merge_sort_block_merge_config_selectorI14custom_numericNS0_10empty_typeEEEZZNS1_27merge_sort_block_merge_implIS3_N6thrust23THRUST_200600_302600_NS6detail15normal_iteratorINSA_10device_ptrIS5_EEEEPS6_mNSA_4lessIS5_EEEE10hipError_tT0_T1_T2_jT3_P12ihipStream_tbPNSt15iterator_traitsISK_E10value_typeEPNSQ_ISL_E10value_typeEPSM_NS1_7vsmem_tEENKUlT_SK_SL_SM_E_clIPS5_SF_SG_SG_EESJ_SZ_SK_SL_SM_EUlSZ_E_NS1_11comp_targetILNS1_3genE9ELNS1_11target_archE1100ELNS1_3gpuE3ELNS1_3repE0EEENS1_48merge_mergepath_partition_config_static_selectorELNS0_4arch9wavefront6targetE1EEEvSL_,comdat
	.protected	_ZN7rocprim17ROCPRIM_400000_NS6detail17trampoline_kernelINS0_14default_configENS1_38merge_sort_block_merge_config_selectorI14custom_numericNS0_10empty_typeEEEZZNS1_27merge_sort_block_merge_implIS3_N6thrust23THRUST_200600_302600_NS6detail15normal_iteratorINSA_10device_ptrIS5_EEEEPS6_mNSA_4lessIS5_EEEE10hipError_tT0_T1_T2_jT3_P12ihipStream_tbPNSt15iterator_traitsISK_E10value_typeEPNSQ_ISL_E10value_typeEPSM_NS1_7vsmem_tEENKUlT_SK_SL_SM_E_clIPS5_SF_SG_SG_EESJ_SZ_SK_SL_SM_EUlSZ_E_NS1_11comp_targetILNS1_3genE9ELNS1_11target_archE1100ELNS1_3gpuE3ELNS1_3repE0EEENS1_48merge_mergepath_partition_config_static_selectorELNS0_4arch9wavefront6targetE1EEEvSL_ ; -- Begin function _ZN7rocprim17ROCPRIM_400000_NS6detail17trampoline_kernelINS0_14default_configENS1_38merge_sort_block_merge_config_selectorI14custom_numericNS0_10empty_typeEEEZZNS1_27merge_sort_block_merge_implIS3_N6thrust23THRUST_200600_302600_NS6detail15normal_iteratorINSA_10device_ptrIS5_EEEEPS6_mNSA_4lessIS5_EEEE10hipError_tT0_T1_T2_jT3_P12ihipStream_tbPNSt15iterator_traitsISK_E10value_typeEPNSQ_ISL_E10value_typeEPSM_NS1_7vsmem_tEENKUlT_SK_SL_SM_E_clIPS5_SF_SG_SG_EESJ_SZ_SK_SL_SM_EUlSZ_E_NS1_11comp_targetILNS1_3genE9ELNS1_11target_archE1100ELNS1_3gpuE3ELNS1_3repE0EEENS1_48merge_mergepath_partition_config_static_selectorELNS0_4arch9wavefront6targetE1EEEvSL_
	.globl	_ZN7rocprim17ROCPRIM_400000_NS6detail17trampoline_kernelINS0_14default_configENS1_38merge_sort_block_merge_config_selectorI14custom_numericNS0_10empty_typeEEEZZNS1_27merge_sort_block_merge_implIS3_N6thrust23THRUST_200600_302600_NS6detail15normal_iteratorINSA_10device_ptrIS5_EEEEPS6_mNSA_4lessIS5_EEEE10hipError_tT0_T1_T2_jT3_P12ihipStream_tbPNSt15iterator_traitsISK_E10value_typeEPNSQ_ISL_E10value_typeEPSM_NS1_7vsmem_tEENKUlT_SK_SL_SM_E_clIPS5_SF_SG_SG_EESJ_SZ_SK_SL_SM_EUlSZ_E_NS1_11comp_targetILNS1_3genE9ELNS1_11target_archE1100ELNS1_3gpuE3ELNS1_3repE0EEENS1_48merge_mergepath_partition_config_static_selectorELNS0_4arch9wavefront6targetE1EEEvSL_
	.p2align	8
	.type	_ZN7rocprim17ROCPRIM_400000_NS6detail17trampoline_kernelINS0_14default_configENS1_38merge_sort_block_merge_config_selectorI14custom_numericNS0_10empty_typeEEEZZNS1_27merge_sort_block_merge_implIS3_N6thrust23THRUST_200600_302600_NS6detail15normal_iteratorINSA_10device_ptrIS5_EEEEPS6_mNSA_4lessIS5_EEEE10hipError_tT0_T1_T2_jT3_P12ihipStream_tbPNSt15iterator_traitsISK_E10value_typeEPNSQ_ISL_E10value_typeEPSM_NS1_7vsmem_tEENKUlT_SK_SL_SM_E_clIPS5_SF_SG_SG_EESJ_SZ_SK_SL_SM_EUlSZ_E_NS1_11comp_targetILNS1_3genE9ELNS1_11target_archE1100ELNS1_3gpuE3ELNS1_3repE0EEENS1_48merge_mergepath_partition_config_static_selectorELNS0_4arch9wavefront6targetE1EEEvSL_,@function
_ZN7rocprim17ROCPRIM_400000_NS6detail17trampoline_kernelINS0_14default_configENS1_38merge_sort_block_merge_config_selectorI14custom_numericNS0_10empty_typeEEEZZNS1_27merge_sort_block_merge_implIS3_N6thrust23THRUST_200600_302600_NS6detail15normal_iteratorINSA_10device_ptrIS5_EEEEPS6_mNSA_4lessIS5_EEEE10hipError_tT0_T1_T2_jT3_P12ihipStream_tbPNSt15iterator_traitsISK_E10value_typeEPNSQ_ISL_E10value_typeEPSM_NS1_7vsmem_tEENKUlT_SK_SL_SM_E_clIPS5_SF_SG_SG_EESJ_SZ_SK_SL_SM_EUlSZ_E_NS1_11comp_targetILNS1_3genE9ELNS1_11target_archE1100ELNS1_3gpuE3ELNS1_3repE0EEENS1_48merge_mergepath_partition_config_static_selectorELNS0_4arch9wavefront6targetE1EEEvSL_: ; @_ZN7rocprim17ROCPRIM_400000_NS6detail17trampoline_kernelINS0_14default_configENS1_38merge_sort_block_merge_config_selectorI14custom_numericNS0_10empty_typeEEEZZNS1_27merge_sort_block_merge_implIS3_N6thrust23THRUST_200600_302600_NS6detail15normal_iteratorINSA_10device_ptrIS5_EEEEPS6_mNSA_4lessIS5_EEEE10hipError_tT0_T1_T2_jT3_P12ihipStream_tbPNSt15iterator_traitsISK_E10value_typeEPNSQ_ISL_E10value_typeEPSM_NS1_7vsmem_tEENKUlT_SK_SL_SM_E_clIPS5_SF_SG_SG_EESJ_SZ_SK_SL_SM_EUlSZ_E_NS1_11comp_targetILNS1_3genE9ELNS1_11target_archE1100ELNS1_3gpuE3ELNS1_3repE0EEENS1_48merge_mergepath_partition_config_static_selectorELNS0_4arch9wavefront6targetE1EEEvSL_
; %bb.0:
	.section	.rodata,"a",@progbits
	.p2align	6, 0x0
	.amdhsa_kernel _ZN7rocprim17ROCPRIM_400000_NS6detail17trampoline_kernelINS0_14default_configENS1_38merge_sort_block_merge_config_selectorI14custom_numericNS0_10empty_typeEEEZZNS1_27merge_sort_block_merge_implIS3_N6thrust23THRUST_200600_302600_NS6detail15normal_iteratorINSA_10device_ptrIS5_EEEEPS6_mNSA_4lessIS5_EEEE10hipError_tT0_T1_T2_jT3_P12ihipStream_tbPNSt15iterator_traitsISK_E10value_typeEPNSQ_ISL_E10value_typeEPSM_NS1_7vsmem_tEENKUlT_SK_SL_SM_E_clIPS5_SF_SG_SG_EESJ_SZ_SK_SL_SM_EUlSZ_E_NS1_11comp_targetILNS1_3genE9ELNS1_11target_archE1100ELNS1_3gpuE3ELNS1_3repE0EEENS1_48merge_mergepath_partition_config_static_selectorELNS0_4arch9wavefront6targetE1EEEvSL_
		.amdhsa_group_segment_fixed_size 0
		.amdhsa_private_segment_fixed_size 0
		.amdhsa_kernarg_size 48
		.amdhsa_user_sgpr_count 6
		.amdhsa_user_sgpr_private_segment_buffer 1
		.amdhsa_user_sgpr_dispatch_ptr 0
		.amdhsa_user_sgpr_queue_ptr 0
		.amdhsa_user_sgpr_kernarg_segment_ptr 1
		.amdhsa_user_sgpr_dispatch_id 0
		.amdhsa_user_sgpr_flat_scratch_init 0
		.amdhsa_user_sgpr_kernarg_preload_length 0
		.amdhsa_user_sgpr_kernarg_preload_offset 0
		.amdhsa_user_sgpr_private_segment_size 0
		.amdhsa_uses_dynamic_stack 0
		.amdhsa_system_sgpr_private_segment_wavefront_offset 0
		.amdhsa_system_sgpr_workgroup_id_x 1
		.amdhsa_system_sgpr_workgroup_id_y 0
		.amdhsa_system_sgpr_workgroup_id_z 0
		.amdhsa_system_sgpr_workgroup_info 0
		.amdhsa_system_vgpr_workitem_id 0
		.amdhsa_next_free_vgpr 1
		.amdhsa_next_free_sgpr 0
		.amdhsa_accum_offset 4
		.amdhsa_reserve_vcc 0
		.amdhsa_reserve_flat_scratch 0
		.amdhsa_float_round_mode_32 0
		.amdhsa_float_round_mode_16_64 0
		.amdhsa_float_denorm_mode_32 3
		.amdhsa_float_denorm_mode_16_64 3
		.amdhsa_dx10_clamp 1
		.amdhsa_ieee_mode 1
		.amdhsa_fp16_overflow 0
		.amdhsa_tg_split 0
		.amdhsa_exception_fp_ieee_invalid_op 0
		.amdhsa_exception_fp_denorm_src 0
		.amdhsa_exception_fp_ieee_div_zero 0
		.amdhsa_exception_fp_ieee_overflow 0
		.amdhsa_exception_fp_ieee_underflow 0
		.amdhsa_exception_fp_ieee_inexact 0
		.amdhsa_exception_int_div_zero 0
	.end_amdhsa_kernel
	.section	.text._ZN7rocprim17ROCPRIM_400000_NS6detail17trampoline_kernelINS0_14default_configENS1_38merge_sort_block_merge_config_selectorI14custom_numericNS0_10empty_typeEEEZZNS1_27merge_sort_block_merge_implIS3_N6thrust23THRUST_200600_302600_NS6detail15normal_iteratorINSA_10device_ptrIS5_EEEEPS6_mNSA_4lessIS5_EEEE10hipError_tT0_T1_T2_jT3_P12ihipStream_tbPNSt15iterator_traitsISK_E10value_typeEPNSQ_ISL_E10value_typeEPSM_NS1_7vsmem_tEENKUlT_SK_SL_SM_E_clIPS5_SF_SG_SG_EESJ_SZ_SK_SL_SM_EUlSZ_E_NS1_11comp_targetILNS1_3genE9ELNS1_11target_archE1100ELNS1_3gpuE3ELNS1_3repE0EEENS1_48merge_mergepath_partition_config_static_selectorELNS0_4arch9wavefront6targetE1EEEvSL_,"axG",@progbits,_ZN7rocprim17ROCPRIM_400000_NS6detail17trampoline_kernelINS0_14default_configENS1_38merge_sort_block_merge_config_selectorI14custom_numericNS0_10empty_typeEEEZZNS1_27merge_sort_block_merge_implIS3_N6thrust23THRUST_200600_302600_NS6detail15normal_iteratorINSA_10device_ptrIS5_EEEEPS6_mNSA_4lessIS5_EEEE10hipError_tT0_T1_T2_jT3_P12ihipStream_tbPNSt15iterator_traitsISK_E10value_typeEPNSQ_ISL_E10value_typeEPSM_NS1_7vsmem_tEENKUlT_SK_SL_SM_E_clIPS5_SF_SG_SG_EESJ_SZ_SK_SL_SM_EUlSZ_E_NS1_11comp_targetILNS1_3genE9ELNS1_11target_archE1100ELNS1_3gpuE3ELNS1_3repE0EEENS1_48merge_mergepath_partition_config_static_selectorELNS0_4arch9wavefront6targetE1EEEvSL_,comdat
.Lfunc_end1421:
	.size	_ZN7rocprim17ROCPRIM_400000_NS6detail17trampoline_kernelINS0_14default_configENS1_38merge_sort_block_merge_config_selectorI14custom_numericNS0_10empty_typeEEEZZNS1_27merge_sort_block_merge_implIS3_N6thrust23THRUST_200600_302600_NS6detail15normal_iteratorINSA_10device_ptrIS5_EEEEPS6_mNSA_4lessIS5_EEEE10hipError_tT0_T1_T2_jT3_P12ihipStream_tbPNSt15iterator_traitsISK_E10value_typeEPNSQ_ISL_E10value_typeEPSM_NS1_7vsmem_tEENKUlT_SK_SL_SM_E_clIPS5_SF_SG_SG_EESJ_SZ_SK_SL_SM_EUlSZ_E_NS1_11comp_targetILNS1_3genE9ELNS1_11target_archE1100ELNS1_3gpuE3ELNS1_3repE0EEENS1_48merge_mergepath_partition_config_static_selectorELNS0_4arch9wavefront6targetE1EEEvSL_, .Lfunc_end1421-_ZN7rocprim17ROCPRIM_400000_NS6detail17trampoline_kernelINS0_14default_configENS1_38merge_sort_block_merge_config_selectorI14custom_numericNS0_10empty_typeEEEZZNS1_27merge_sort_block_merge_implIS3_N6thrust23THRUST_200600_302600_NS6detail15normal_iteratorINSA_10device_ptrIS5_EEEEPS6_mNSA_4lessIS5_EEEE10hipError_tT0_T1_T2_jT3_P12ihipStream_tbPNSt15iterator_traitsISK_E10value_typeEPNSQ_ISL_E10value_typeEPSM_NS1_7vsmem_tEENKUlT_SK_SL_SM_E_clIPS5_SF_SG_SG_EESJ_SZ_SK_SL_SM_EUlSZ_E_NS1_11comp_targetILNS1_3genE9ELNS1_11target_archE1100ELNS1_3gpuE3ELNS1_3repE0EEENS1_48merge_mergepath_partition_config_static_selectorELNS0_4arch9wavefront6targetE1EEEvSL_
                                        ; -- End function
	.section	.AMDGPU.csdata,"",@progbits
; Kernel info:
; codeLenInByte = 0
; NumSgprs: 4
; NumVgprs: 0
; NumAgprs: 0
; TotalNumVgprs: 0
; ScratchSize: 0
; MemoryBound: 0
; FloatMode: 240
; IeeeMode: 1
; LDSByteSize: 0 bytes/workgroup (compile time only)
; SGPRBlocks: 0
; VGPRBlocks: 0
; NumSGPRsForWavesPerEU: 4
; NumVGPRsForWavesPerEU: 1
; AccumOffset: 4
; Occupancy: 8
; WaveLimiterHint : 0
; COMPUTE_PGM_RSRC2:SCRATCH_EN: 0
; COMPUTE_PGM_RSRC2:USER_SGPR: 6
; COMPUTE_PGM_RSRC2:TRAP_HANDLER: 0
; COMPUTE_PGM_RSRC2:TGID_X_EN: 1
; COMPUTE_PGM_RSRC2:TGID_Y_EN: 0
; COMPUTE_PGM_RSRC2:TGID_Z_EN: 0
; COMPUTE_PGM_RSRC2:TIDIG_COMP_CNT: 0
; COMPUTE_PGM_RSRC3_GFX90A:ACCUM_OFFSET: 0
; COMPUTE_PGM_RSRC3_GFX90A:TG_SPLIT: 0
	.section	.text._ZN7rocprim17ROCPRIM_400000_NS6detail17trampoline_kernelINS0_14default_configENS1_38merge_sort_block_merge_config_selectorI14custom_numericNS0_10empty_typeEEEZZNS1_27merge_sort_block_merge_implIS3_N6thrust23THRUST_200600_302600_NS6detail15normal_iteratorINSA_10device_ptrIS5_EEEEPS6_mNSA_4lessIS5_EEEE10hipError_tT0_T1_T2_jT3_P12ihipStream_tbPNSt15iterator_traitsISK_E10value_typeEPNSQ_ISL_E10value_typeEPSM_NS1_7vsmem_tEENKUlT_SK_SL_SM_E_clIPS5_SF_SG_SG_EESJ_SZ_SK_SL_SM_EUlSZ_E_NS1_11comp_targetILNS1_3genE8ELNS1_11target_archE1030ELNS1_3gpuE2ELNS1_3repE0EEENS1_48merge_mergepath_partition_config_static_selectorELNS0_4arch9wavefront6targetE1EEEvSL_,"axG",@progbits,_ZN7rocprim17ROCPRIM_400000_NS6detail17trampoline_kernelINS0_14default_configENS1_38merge_sort_block_merge_config_selectorI14custom_numericNS0_10empty_typeEEEZZNS1_27merge_sort_block_merge_implIS3_N6thrust23THRUST_200600_302600_NS6detail15normal_iteratorINSA_10device_ptrIS5_EEEEPS6_mNSA_4lessIS5_EEEE10hipError_tT0_T1_T2_jT3_P12ihipStream_tbPNSt15iterator_traitsISK_E10value_typeEPNSQ_ISL_E10value_typeEPSM_NS1_7vsmem_tEENKUlT_SK_SL_SM_E_clIPS5_SF_SG_SG_EESJ_SZ_SK_SL_SM_EUlSZ_E_NS1_11comp_targetILNS1_3genE8ELNS1_11target_archE1030ELNS1_3gpuE2ELNS1_3repE0EEENS1_48merge_mergepath_partition_config_static_selectorELNS0_4arch9wavefront6targetE1EEEvSL_,comdat
	.protected	_ZN7rocprim17ROCPRIM_400000_NS6detail17trampoline_kernelINS0_14default_configENS1_38merge_sort_block_merge_config_selectorI14custom_numericNS0_10empty_typeEEEZZNS1_27merge_sort_block_merge_implIS3_N6thrust23THRUST_200600_302600_NS6detail15normal_iteratorINSA_10device_ptrIS5_EEEEPS6_mNSA_4lessIS5_EEEE10hipError_tT0_T1_T2_jT3_P12ihipStream_tbPNSt15iterator_traitsISK_E10value_typeEPNSQ_ISL_E10value_typeEPSM_NS1_7vsmem_tEENKUlT_SK_SL_SM_E_clIPS5_SF_SG_SG_EESJ_SZ_SK_SL_SM_EUlSZ_E_NS1_11comp_targetILNS1_3genE8ELNS1_11target_archE1030ELNS1_3gpuE2ELNS1_3repE0EEENS1_48merge_mergepath_partition_config_static_selectorELNS0_4arch9wavefront6targetE1EEEvSL_ ; -- Begin function _ZN7rocprim17ROCPRIM_400000_NS6detail17trampoline_kernelINS0_14default_configENS1_38merge_sort_block_merge_config_selectorI14custom_numericNS0_10empty_typeEEEZZNS1_27merge_sort_block_merge_implIS3_N6thrust23THRUST_200600_302600_NS6detail15normal_iteratorINSA_10device_ptrIS5_EEEEPS6_mNSA_4lessIS5_EEEE10hipError_tT0_T1_T2_jT3_P12ihipStream_tbPNSt15iterator_traitsISK_E10value_typeEPNSQ_ISL_E10value_typeEPSM_NS1_7vsmem_tEENKUlT_SK_SL_SM_E_clIPS5_SF_SG_SG_EESJ_SZ_SK_SL_SM_EUlSZ_E_NS1_11comp_targetILNS1_3genE8ELNS1_11target_archE1030ELNS1_3gpuE2ELNS1_3repE0EEENS1_48merge_mergepath_partition_config_static_selectorELNS0_4arch9wavefront6targetE1EEEvSL_
	.globl	_ZN7rocprim17ROCPRIM_400000_NS6detail17trampoline_kernelINS0_14default_configENS1_38merge_sort_block_merge_config_selectorI14custom_numericNS0_10empty_typeEEEZZNS1_27merge_sort_block_merge_implIS3_N6thrust23THRUST_200600_302600_NS6detail15normal_iteratorINSA_10device_ptrIS5_EEEEPS6_mNSA_4lessIS5_EEEE10hipError_tT0_T1_T2_jT3_P12ihipStream_tbPNSt15iterator_traitsISK_E10value_typeEPNSQ_ISL_E10value_typeEPSM_NS1_7vsmem_tEENKUlT_SK_SL_SM_E_clIPS5_SF_SG_SG_EESJ_SZ_SK_SL_SM_EUlSZ_E_NS1_11comp_targetILNS1_3genE8ELNS1_11target_archE1030ELNS1_3gpuE2ELNS1_3repE0EEENS1_48merge_mergepath_partition_config_static_selectorELNS0_4arch9wavefront6targetE1EEEvSL_
	.p2align	8
	.type	_ZN7rocprim17ROCPRIM_400000_NS6detail17trampoline_kernelINS0_14default_configENS1_38merge_sort_block_merge_config_selectorI14custom_numericNS0_10empty_typeEEEZZNS1_27merge_sort_block_merge_implIS3_N6thrust23THRUST_200600_302600_NS6detail15normal_iteratorINSA_10device_ptrIS5_EEEEPS6_mNSA_4lessIS5_EEEE10hipError_tT0_T1_T2_jT3_P12ihipStream_tbPNSt15iterator_traitsISK_E10value_typeEPNSQ_ISL_E10value_typeEPSM_NS1_7vsmem_tEENKUlT_SK_SL_SM_E_clIPS5_SF_SG_SG_EESJ_SZ_SK_SL_SM_EUlSZ_E_NS1_11comp_targetILNS1_3genE8ELNS1_11target_archE1030ELNS1_3gpuE2ELNS1_3repE0EEENS1_48merge_mergepath_partition_config_static_selectorELNS0_4arch9wavefront6targetE1EEEvSL_,@function
_ZN7rocprim17ROCPRIM_400000_NS6detail17trampoline_kernelINS0_14default_configENS1_38merge_sort_block_merge_config_selectorI14custom_numericNS0_10empty_typeEEEZZNS1_27merge_sort_block_merge_implIS3_N6thrust23THRUST_200600_302600_NS6detail15normal_iteratorINSA_10device_ptrIS5_EEEEPS6_mNSA_4lessIS5_EEEE10hipError_tT0_T1_T2_jT3_P12ihipStream_tbPNSt15iterator_traitsISK_E10value_typeEPNSQ_ISL_E10value_typeEPSM_NS1_7vsmem_tEENKUlT_SK_SL_SM_E_clIPS5_SF_SG_SG_EESJ_SZ_SK_SL_SM_EUlSZ_E_NS1_11comp_targetILNS1_3genE8ELNS1_11target_archE1030ELNS1_3gpuE2ELNS1_3repE0EEENS1_48merge_mergepath_partition_config_static_selectorELNS0_4arch9wavefront6targetE1EEEvSL_: ; @_ZN7rocprim17ROCPRIM_400000_NS6detail17trampoline_kernelINS0_14default_configENS1_38merge_sort_block_merge_config_selectorI14custom_numericNS0_10empty_typeEEEZZNS1_27merge_sort_block_merge_implIS3_N6thrust23THRUST_200600_302600_NS6detail15normal_iteratorINSA_10device_ptrIS5_EEEEPS6_mNSA_4lessIS5_EEEE10hipError_tT0_T1_T2_jT3_P12ihipStream_tbPNSt15iterator_traitsISK_E10value_typeEPNSQ_ISL_E10value_typeEPSM_NS1_7vsmem_tEENKUlT_SK_SL_SM_E_clIPS5_SF_SG_SG_EESJ_SZ_SK_SL_SM_EUlSZ_E_NS1_11comp_targetILNS1_3genE8ELNS1_11target_archE1030ELNS1_3gpuE2ELNS1_3repE0EEENS1_48merge_mergepath_partition_config_static_selectorELNS0_4arch9wavefront6targetE1EEEvSL_
; %bb.0:
	.section	.rodata,"a",@progbits
	.p2align	6, 0x0
	.amdhsa_kernel _ZN7rocprim17ROCPRIM_400000_NS6detail17trampoline_kernelINS0_14default_configENS1_38merge_sort_block_merge_config_selectorI14custom_numericNS0_10empty_typeEEEZZNS1_27merge_sort_block_merge_implIS3_N6thrust23THRUST_200600_302600_NS6detail15normal_iteratorINSA_10device_ptrIS5_EEEEPS6_mNSA_4lessIS5_EEEE10hipError_tT0_T1_T2_jT3_P12ihipStream_tbPNSt15iterator_traitsISK_E10value_typeEPNSQ_ISL_E10value_typeEPSM_NS1_7vsmem_tEENKUlT_SK_SL_SM_E_clIPS5_SF_SG_SG_EESJ_SZ_SK_SL_SM_EUlSZ_E_NS1_11comp_targetILNS1_3genE8ELNS1_11target_archE1030ELNS1_3gpuE2ELNS1_3repE0EEENS1_48merge_mergepath_partition_config_static_selectorELNS0_4arch9wavefront6targetE1EEEvSL_
		.amdhsa_group_segment_fixed_size 0
		.amdhsa_private_segment_fixed_size 0
		.amdhsa_kernarg_size 48
		.amdhsa_user_sgpr_count 6
		.amdhsa_user_sgpr_private_segment_buffer 1
		.amdhsa_user_sgpr_dispatch_ptr 0
		.amdhsa_user_sgpr_queue_ptr 0
		.amdhsa_user_sgpr_kernarg_segment_ptr 1
		.amdhsa_user_sgpr_dispatch_id 0
		.amdhsa_user_sgpr_flat_scratch_init 0
		.amdhsa_user_sgpr_kernarg_preload_length 0
		.amdhsa_user_sgpr_kernarg_preload_offset 0
		.amdhsa_user_sgpr_private_segment_size 0
		.amdhsa_uses_dynamic_stack 0
		.amdhsa_system_sgpr_private_segment_wavefront_offset 0
		.amdhsa_system_sgpr_workgroup_id_x 1
		.amdhsa_system_sgpr_workgroup_id_y 0
		.amdhsa_system_sgpr_workgroup_id_z 0
		.amdhsa_system_sgpr_workgroup_info 0
		.amdhsa_system_vgpr_workitem_id 0
		.amdhsa_next_free_vgpr 1
		.amdhsa_next_free_sgpr 0
		.amdhsa_accum_offset 4
		.amdhsa_reserve_vcc 0
		.amdhsa_reserve_flat_scratch 0
		.amdhsa_float_round_mode_32 0
		.amdhsa_float_round_mode_16_64 0
		.amdhsa_float_denorm_mode_32 3
		.amdhsa_float_denorm_mode_16_64 3
		.amdhsa_dx10_clamp 1
		.amdhsa_ieee_mode 1
		.amdhsa_fp16_overflow 0
		.amdhsa_tg_split 0
		.amdhsa_exception_fp_ieee_invalid_op 0
		.amdhsa_exception_fp_denorm_src 0
		.amdhsa_exception_fp_ieee_div_zero 0
		.amdhsa_exception_fp_ieee_overflow 0
		.amdhsa_exception_fp_ieee_underflow 0
		.amdhsa_exception_fp_ieee_inexact 0
		.amdhsa_exception_int_div_zero 0
	.end_amdhsa_kernel
	.section	.text._ZN7rocprim17ROCPRIM_400000_NS6detail17trampoline_kernelINS0_14default_configENS1_38merge_sort_block_merge_config_selectorI14custom_numericNS0_10empty_typeEEEZZNS1_27merge_sort_block_merge_implIS3_N6thrust23THRUST_200600_302600_NS6detail15normal_iteratorINSA_10device_ptrIS5_EEEEPS6_mNSA_4lessIS5_EEEE10hipError_tT0_T1_T2_jT3_P12ihipStream_tbPNSt15iterator_traitsISK_E10value_typeEPNSQ_ISL_E10value_typeEPSM_NS1_7vsmem_tEENKUlT_SK_SL_SM_E_clIPS5_SF_SG_SG_EESJ_SZ_SK_SL_SM_EUlSZ_E_NS1_11comp_targetILNS1_3genE8ELNS1_11target_archE1030ELNS1_3gpuE2ELNS1_3repE0EEENS1_48merge_mergepath_partition_config_static_selectorELNS0_4arch9wavefront6targetE1EEEvSL_,"axG",@progbits,_ZN7rocprim17ROCPRIM_400000_NS6detail17trampoline_kernelINS0_14default_configENS1_38merge_sort_block_merge_config_selectorI14custom_numericNS0_10empty_typeEEEZZNS1_27merge_sort_block_merge_implIS3_N6thrust23THRUST_200600_302600_NS6detail15normal_iteratorINSA_10device_ptrIS5_EEEEPS6_mNSA_4lessIS5_EEEE10hipError_tT0_T1_T2_jT3_P12ihipStream_tbPNSt15iterator_traitsISK_E10value_typeEPNSQ_ISL_E10value_typeEPSM_NS1_7vsmem_tEENKUlT_SK_SL_SM_E_clIPS5_SF_SG_SG_EESJ_SZ_SK_SL_SM_EUlSZ_E_NS1_11comp_targetILNS1_3genE8ELNS1_11target_archE1030ELNS1_3gpuE2ELNS1_3repE0EEENS1_48merge_mergepath_partition_config_static_selectorELNS0_4arch9wavefront6targetE1EEEvSL_,comdat
.Lfunc_end1422:
	.size	_ZN7rocprim17ROCPRIM_400000_NS6detail17trampoline_kernelINS0_14default_configENS1_38merge_sort_block_merge_config_selectorI14custom_numericNS0_10empty_typeEEEZZNS1_27merge_sort_block_merge_implIS3_N6thrust23THRUST_200600_302600_NS6detail15normal_iteratorINSA_10device_ptrIS5_EEEEPS6_mNSA_4lessIS5_EEEE10hipError_tT0_T1_T2_jT3_P12ihipStream_tbPNSt15iterator_traitsISK_E10value_typeEPNSQ_ISL_E10value_typeEPSM_NS1_7vsmem_tEENKUlT_SK_SL_SM_E_clIPS5_SF_SG_SG_EESJ_SZ_SK_SL_SM_EUlSZ_E_NS1_11comp_targetILNS1_3genE8ELNS1_11target_archE1030ELNS1_3gpuE2ELNS1_3repE0EEENS1_48merge_mergepath_partition_config_static_selectorELNS0_4arch9wavefront6targetE1EEEvSL_, .Lfunc_end1422-_ZN7rocprim17ROCPRIM_400000_NS6detail17trampoline_kernelINS0_14default_configENS1_38merge_sort_block_merge_config_selectorI14custom_numericNS0_10empty_typeEEEZZNS1_27merge_sort_block_merge_implIS3_N6thrust23THRUST_200600_302600_NS6detail15normal_iteratorINSA_10device_ptrIS5_EEEEPS6_mNSA_4lessIS5_EEEE10hipError_tT0_T1_T2_jT3_P12ihipStream_tbPNSt15iterator_traitsISK_E10value_typeEPNSQ_ISL_E10value_typeEPSM_NS1_7vsmem_tEENKUlT_SK_SL_SM_E_clIPS5_SF_SG_SG_EESJ_SZ_SK_SL_SM_EUlSZ_E_NS1_11comp_targetILNS1_3genE8ELNS1_11target_archE1030ELNS1_3gpuE2ELNS1_3repE0EEENS1_48merge_mergepath_partition_config_static_selectorELNS0_4arch9wavefront6targetE1EEEvSL_
                                        ; -- End function
	.section	.AMDGPU.csdata,"",@progbits
; Kernel info:
; codeLenInByte = 0
; NumSgprs: 4
; NumVgprs: 0
; NumAgprs: 0
; TotalNumVgprs: 0
; ScratchSize: 0
; MemoryBound: 0
; FloatMode: 240
; IeeeMode: 1
; LDSByteSize: 0 bytes/workgroup (compile time only)
; SGPRBlocks: 0
; VGPRBlocks: 0
; NumSGPRsForWavesPerEU: 4
; NumVGPRsForWavesPerEU: 1
; AccumOffset: 4
; Occupancy: 8
; WaveLimiterHint : 0
; COMPUTE_PGM_RSRC2:SCRATCH_EN: 0
; COMPUTE_PGM_RSRC2:USER_SGPR: 6
; COMPUTE_PGM_RSRC2:TRAP_HANDLER: 0
; COMPUTE_PGM_RSRC2:TGID_X_EN: 1
; COMPUTE_PGM_RSRC2:TGID_Y_EN: 0
; COMPUTE_PGM_RSRC2:TGID_Z_EN: 0
; COMPUTE_PGM_RSRC2:TIDIG_COMP_CNT: 0
; COMPUTE_PGM_RSRC3_GFX90A:ACCUM_OFFSET: 0
; COMPUTE_PGM_RSRC3_GFX90A:TG_SPLIT: 0
	.section	.text._ZN7rocprim17ROCPRIM_400000_NS6detail17trampoline_kernelINS0_14default_configENS1_38merge_sort_block_merge_config_selectorI14custom_numericNS0_10empty_typeEEEZZNS1_27merge_sort_block_merge_implIS3_N6thrust23THRUST_200600_302600_NS6detail15normal_iteratorINSA_10device_ptrIS5_EEEEPS6_mNSA_4lessIS5_EEEE10hipError_tT0_T1_T2_jT3_P12ihipStream_tbPNSt15iterator_traitsISK_E10value_typeEPNSQ_ISL_E10value_typeEPSM_NS1_7vsmem_tEENKUlT_SK_SL_SM_E_clIPS5_SF_SG_SG_EESJ_SZ_SK_SL_SM_EUlSZ_E0_NS1_11comp_targetILNS1_3genE0ELNS1_11target_archE4294967295ELNS1_3gpuE0ELNS1_3repE0EEENS1_38merge_mergepath_config_static_selectorELNS0_4arch9wavefront6targetE1EEEvSL_,"axG",@progbits,_ZN7rocprim17ROCPRIM_400000_NS6detail17trampoline_kernelINS0_14default_configENS1_38merge_sort_block_merge_config_selectorI14custom_numericNS0_10empty_typeEEEZZNS1_27merge_sort_block_merge_implIS3_N6thrust23THRUST_200600_302600_NS6detail15normal_iteratorINSA_10device_ptrIS5_EEEEPS6_mNSA_4lessIS5_EEEE10hipError_tT0_T1_T2_jT3_P12ihipStream_tbPNSt15iterator_traitsISK_E10value_typeEPNSQ_ISL_E10value_typeEPSM_NS1_7vsmem_tEENKUlT_SK_SL_SM_E_clIPS5_SF_SG_SG_EESJ_SZ_SK_SL_SM_EUlSZ_E0_NS1_11comp_targetILNS1_3genE0ELNS1_11target_archE4294967295ELNS1_3gpuE0ELNS1_3repE0EEENS1_38merge_mergepath_config_static_selectorELNS0_4arch9wavefront6targetE1EEEvSL_,comdat
	.protected	_ZN7rocprim17ROCPRIM_400000_NS6detail17trampoline_kernelINS0_14default_configENS1_38merge_sort_block_merge_config_selectorI14custom_numericNS0_10empty_typeEEEZZNS1_27merge_sort_block_merge_implIS3_N6thrust23THRUST_200600_302600_NS6detail15normal_iteratorINSA_10device_ptrIS5_EEEEPS6_mNSA_4lessIS5_EEEE10hipError_tT0_T1_T2_jT3_P12ihipStream_tbPNSt15iterator_traitsISK_E10value_typeEPNSQ_ISL_E10value_typeEPSM_NS1_7vsmem_tEENKUlT_SK_SL_SM_E_clIPS5_SF_SG_SG_EESJ_SZ_SK_SL_SM_EUlSZ_E0_NS1_11comp_targetILNS1_3genE0ELNS1_11target_archE4294967295ELNS1_3gpuE0ELNS1_3repE0EEENS1_38merge_mergepath_config_static_selectorELNS0_4arch9wavefront6targetE1EEEvSL_ ; -- Begin function _ZN7rocprim17ROCPRIM_400000_NS6detail17trampoline_kernelINS0_14default_configENS1_38merge_sort_block_merge_config_selectorI14custom_numericNS0_10empty_typeEEEZZNS1_27merge_sort_block_merge_implIS3_N6thrust23THRUST_200600_302600_NS6detail15normal_iteratorINSA_10device_ptrIS5_EEEEPS6_mNSA_4lessIS5_EEEE10hipError_tT0_T1_T2_jT3_P12ihipStream_tbPNSt15iterator_traitsISK_E10value_typeEPNSQ_ISL_E10value_typeEPSM_NS1_7vsmem_tEENKUlT_SK_SL_SM_E_clIPS5_SF_SG_SG_EESJ_SZ_SK_SL_SM_EUlSZ_E0_NS1_11comp_targetILNS1_3genE0ELNS1_11target_archE4294967295ELNS1_3gpuE0ELNS1_3repE0EEENS1_38merge_mergepath_config_static_selectorELNS0_4arch9wavefront6targetE1EEEvSL_
	.globl	_ZN7rocprim17ROCPRIM_400000_NS6detail17trampoline_kernelINS0_14default_configENS1_38merge_sort_block_merge_config_selectorI14custom_numericNS0_10empty_typeEEEZZNS1_27merge_sort_block_merge_implIS3_N6thrust23THRUST_200600_302600_NS6detail15normal_iteratorINSA_10device_ptrIS5_EEEEPS6_mNSA_4lessIS5_EEEE10hipError_tT0_T1_T2_jT3_P12ihipStream_tbPNSt15iterator_traitsISK_E10value_typeEPNSQ_ISL_E10value_typeEPSM_NS1_7vsmem_tEENKUlT_SK_SL_SM_E_clIPS5_SF_SG_SG_EESJ_SZ_SK_SL_SM_EUlSZ_E0_NS1_11comp_targetILNS1_3genE0ELNS1_11target_archE4294967295ELNS1_3gpuE0ELNS1_3repE0EEENS1_38merge_mergepath_config_static_selectorELNS0_4arch9wavefront6targetE1EEEvSL_
	.p2align	8
	.type	_ZN7rocprim17ROCPRIM_400000_NS6detail17trampoline_kernelINS0_14default_configENS1_38merge_sort_block_merge_config_selectorI14custom_numericNS0_10empty_typeEEEZZNS1_27merge_sort_block_merge_implIS3_N6thrust23THRUST_200600_302600_NS6detail15normal_iteratorINSA_10device_ptrIS5_EEEEPS6_mNSA_4lessIS5_EEEE10hipError_tT0_T1_T2_jT3_P12ihipStream_tbPNSt15iterator_traitsISK_E10value_typeEPNSQ_ISL_E10value_typeEPSM_NS1_7vsmem_tEENKUlT_SK_SL_SM_E_clIPS5_SF_SG_SG_EESJ_SZ_SK_SL_SM_EUlSZ_E0_NS1_11comp_targetILNS1_3genE0ELNS1_11target_archE4294967295ELNS1_3gpuE0ELNS1_3repE0EEENS1_38merge_mergepath_config_static_selectorELNS0_4arch9wavefront6targetE1EEEvSL_,@function
_ZN7rocprim17ROCPRIM_400000_NS6detail17trampoline_kernelINS0_14default_configENS1_38merge_sort_block_merge_config_selectorI14custom_numericNS0_10empty_typeEEEZZNS1_27merge_sort_block_merge_implIS3_N6thrust23THRUST_200600_302600_NS6detail15normal_iteratorINSA_10device_ptrIS5_EEEEPS6_mNSA_4lessIS5_EEEE10hipError_tT0_T1_T2_jT3_P12ihipStream_tbPNSt15iterator_traitsISK_E10value_typeEPNSQ_ISL_E10value_typeEPSM_NS1_7vsmem_tEENKUlT_SK_SL_SM_E_clIPS5_SF_SG_SG_EESJ_SZ_SK_SL_SM_EUlSZ_E0_NS1_11comp_targetILNS1_3genE0ELNS1_11target_archE4294967295ELNS1_3gpuE0ELNS1_3repE0EEENS1_38merge_mergepath_config_static_selectorELNS0_4arch9wavefront6targetE1EEEvSL_: ; @_ZN7rocprim17ROCPRIM_400000_NS6detail17trampoline_kernelINS0_14default_configENS1_38merge_sort_block_merge_config_selectorI14custom_numericNS0_10empty_typeEEEZZNS1_27merge_sort_block_merge_implIS3_N6thrust23THRUST_200600_302600_NS6detail15normal_iteratorINSA_10device_ptrIS5_EEEEPS6_mNSA_4lessIS5_EEEE10hipError_tT0_T1_T2_jT3_P12ihipStream_tbPNSt15iterator_traitsISK_E10value_typeEPNSQ_ISL_E10value_typeEPSM_NS1_7vsmem_tEENKUlT_SK_SL_SM_E_clIPS5_SF_SG_SG_EESJ_SZ_SK_SL_SM_EUlSZ_E0_NS1_11comp_targetILNS1_3genE0ELNS1_11target_archE4294967295ELNS1_3gpuE0ELNS1_3repE0EEENS1_38merge_mergepath_config_static_selectorELNS0_4arch9wavefront6targetE1EEEvSL_
; %bb.0:
	.section	.rodata,"a",@progbits
	.p2align	6, 0x0
	.amdhsa_kernel _ZN7rocprim17ROCPRIM_400000_NS6detail17trampoline_kernelINS0_14default_configENS1_38merge_sort_block_merge_config_selectorI14custom_numericNS0_10empty_typeEEEZZNS1_27merge_sort_block_merge_implIS3_N6thrust23THRUST_200600_302600_NS6detail15normal_iteratorINSA_10device_ptrIS5_EEEEPS6_mNSA_4lessIS5_EEEE10hipError_tT0_T1_T2_jT3_P12ihipStream_tbPNSt15iterator_traitsISK_E10value_typeEPNSQ_ISL_E10value_typeEPSM_NS1_7vsmem_tEENKUlT_SK_SL_SM_E_clIPS5_SF_SG_SG_EESJ_SZ_SK_SL_SM_EUlSZ_E0_NS1_11comp_targetILNS1_3genE0ELNS1_11target_archE4294967295ELNS1_3gpuE0ELNS1_3repE0EEENS1_38merge_mergepath_config_static_selectorELNS0_4arch9wavefront6targetE1EEEvSL_
		.amdhsa_group_segment_fixed_size 0
		.amdhsa_private_segment_fixed_size 0
		.amdhsa_kernarg_size 72
		.amdhsa_user_sgpr_count 6
		.amdhsa_user_sgpr_private_segment_buffer 1
		.amdhsa_user_sgpr_dispatch_ptr 0
		.amdhsa_user_sgpr_queue_ptr 0
		.amdhsa_user_sgpr_kernarg_segment_ptr 1
		.amdhsa_user_sgpr_dispatch_id 0
		.amdhsa_user_sgpr_flat_scratch_init 0
		.amdhsa_user_sgpr_kernarg_preload_length 0
		.amdhsa_user_sgpr_kernarg_preload_offset 0
		.amdhsa_user_sgpr_private_segment_size 0
		.amdhsa_uses_dynamic_stack 0
		.amdhsa_system_sgpr_private_segment_wavefront_offset 0
		.amdhsa_system_sgpr_workgroup_id_x 1
		.amdhsa_system_sgpr_workgroup_id_y 0
		.amdhsa_system_sgpr_workgroup_id_z 0
		.amdhsa_system_sgpr_workgroup_info 0
		.amdhsa_system_vgpr_workitem_id 0
		.amdhsa_next_free_vgpr 1
		.amdhsa_next_free_sgpr 0
		.amdhsa_accum_offset 4
		.amdhsa_reserve_vcc 0
		.amdhsa_reserve_flat_scratch 0
		.amdhsa_float_round_mode_32 0
		.amdhsa_float_round_mode_16_64 0
		.amdhsa_float_denorm_mode_32 3
		.amdhsa_float_denorm_mode_16_64 3
		.amdhsa_dx10_clamp 1
		.amdhsa_ieee_mode 1
		.amdhsa_fp16_overflow 0
		.amdhsa_tg_split 0
		.amdhsa_exception_fp_ieee_invalid_op 0
		.amdhsa_exception_fp_denorm_src 0
		.amdhsa_exception_fp_ieee_div_zero 0
		.amdhsa_exception_fp_ieee_overflow 0
		.amdhsa_exception_fp_ieee_underflow 0
		.amdhsa_exception_fp_ieee_inexact 0
		.amdhsa_exception_int_div_zero 0
	.end_amdhsa_kernel
	.section	.text._ZN7rocprim17ROCPRIM_400000_NS6detail17trampoline_kernelINS0_14default_configENS1_38merge_sort_block_merge_config_selectorI14custom_numericNS0_10empty_typeEEEZZNS1_27merge_sort_block_merge_implIS3_N6thrust23THRUST_200600_302600_NS6detail15normal_iteratorINSA_10device_ptrIS5_EEEEPS6_mNSA_4lessIS5_EEEE10hipError_tT0_T1_T2_jT3_P12ihipStream_tbPNSt15iterator_traitsISK_E10value_typeEPNSQ_ISL_E10value_typeEPSM_NS1_7vsmem_tEENKUlT_SK_SL_SM_E_clIPS5_SF_SG_SG_EESJ_SZ_SK_SL_SM_EUlSZ_E0_NS1_11comp_targetILNS1_3genE0ELNS1_11target_archE4294967295ELNS1_3gpuE0ELNS1_3repE0EEENS1_38merge_mergepath_config_static_selectorELNS0_4arch9wavefront6targetE1EEEvSL_,"axG",@progbits,_ZN7rocprim17ROCPRIM_400000_NS6detail17trampoline_kernelINS0_14default_configENS1_38merge_sort_block_merge_config_selectorI14custom_numericNS0_10empty_typeEEEZZNS1_27merge_sort_block_merge_implIS3_N6thrust23THRUST_200600_302600_NS6detail15normal_iteratorINSA_10device_ptrIS5_EEEEPS6_mNSA_4lessIS5_EEEE10hipError_tT0_T1_T2_jT3_P12ihipStream_tbPNSt15iterator_traitsISK_E10value_typeEPNSQ_ISL_E10value_typeEPSM_NS1_7vsmem_tEENKUlT_SK_SL_SM_E_clIPS5_SF_SG_SG_EESJ_SZ_SK_SL_SM_EUlSZ_E0_NS1_11comp_targetILNS1_3genE0ELNS1_11target_archE4294967295ELNS1_3gpuE0ELNS1_3repE0EEENS1_38merge_mergepath_config_static_selectorELNS0_4arch9wavefront6targetE1EEEvSL_,comdat
.Lfunc_end1423:
	.size	_ZN7rocprim17ROCPRIM_400000_NS6detail17trampoline_kernelINS0_14default_configENS1_38merge_sort_block_merge_config_selectorI14custom_numericNS0_10empty_typeEEEZZNS1_27merge_sort_block_merge_implIS3_N6thrust23THRUST_200600_302600_NS6detail15normal_iteratorINSA_10device_ptrIS5_EEEEPS6_mNSA_4lessIS5_EEEE10hipError_tT0_T1_T2_jT3_P12ihipStream_tbPNSt15iterator_traitsISK_E10value_typeEPNSQ_ISL_E10value_typeEPSM_NS1_7vsmem_tEENKUlT_SK_SL_SM_E_clIPS5_SF_SG_SG_EESJ_SZ_SK_SL_SM_EUlSZ_E0_NS1_11comp_targetILNS1_3genE0ELNS1_11target_archE4294967295ELNS1_3gpuE0ELNS1_3repE0EEENS1_38merge_mergepath_config_static_selectorELNS0_4arch9wavefront6targetE1EEEvSL_, .Lfunc_end1423-_ZN7rocprim17ROCPRIM_400000_NS6detail17trampoline_kernelINS0_14default_configENS1_38merge_sort_block_merge_config_selectorI14custom_numericNS0_10empty_typeEEEZZNS1_27merge_sort_block_merge_implIS3_N6thrust23THRUST_200600_302600_NS6detail15normal_iteratorINSA_10device_ptrIS5_EEEEPS6_mNSA_4lessIS5_EEEE10hipError_tT0_T1_T2_jT3_P12ihipStream_tbPNSt15iterator_traitsISK_E10value_typeEPNSQ_ISL_E10value_typeEPSM_NS1_7vsmem_tEENKUlT_SK_SL_SM_E_clIPS5_SF_SG_SG_EESJ_SZ_SK_SL_SM_EUlSZ_E0_NS1_11comp_targetILNS1_3genE0ELNS1_11target_archE4294967295ELNS1_3gpuE0ELNS1_3repE0EEENS1_38merge_mergepath_config_static_selectorELNS0_4arch9wavefront6targetE1EEEvSL_
                                        ; -- End function
	.section	.AMDGPU.csdata,"",@progbits
; Kernel info:
; codeLenInByte = 0
; NumSgprs: 4
; NumVgprs: 0
; NumAgprs: 0
; TotalNumVgprs: 0
; ScratchSize: 0
; MemoryBound: 0
; FloatMode: 240
; IeeeMode: 1
; LDSByteSize: 0 bytes/workgroup (compile time only)
; SGPRBlocks: 0
; VGPRBlocks: 0
; NumSGPRsForWavesPerEU: 4
; NumVGPRsForWavesPerEU: 1
; AccumOffset: 4
; Occupancy: 8
; WaveLimiterHint : 0
; COMPUTE_PGM_RSRC2:SCRATCH_EN: 0
; COMPUTE_PGM_RSRC2:USER_SGPR: 6
; COMPUTE_PGM_RSRC2:TRAP_HANDLER: 0
; COMPUTE_PGM_RSRC2:TGID_X_EN: 1
; COMPUTE_PGM_RSRC2:TGID_Y_EN: 0
; COMPUTE_PGM_RSRC2:TGID_Z_EN: 0
; COMPUTE_PGM_RSRC2:TIDIG_COMP_CNT: 0
; COMPUTE_PGM_RSRC3_GFX90A:ACCUM_OFFSET: 0
; COMPUTE_PGM_RSRC3_GFX90A:TG_SPLIT: 0
	.section	.text._ZN7rocprim17ROCPRIM_400000_NS6detail17trampoline_kernelINS0_14default_configENS1_38merge_sort_block_merge_config_selectorI14custom_numericNS0_10empty_typeEEEZZNS1_27merge_sort_block_merge_implIS3_N6thrust23THRUST_200600_302600_NS6detail15normal_iteratorINSA_10device_ptrIS5_EEEEPS6_mNSA_4lessIS5_EEEE10hipError_tT0_T1_T2_jT3_P12ihipStream_tbPNSt15iterator_traitsISK_E10value_typeEPNSQ_ISL_E10value_typeEPSM_NS1_7vsmem_tEENKUlT_SK_SL_SM_E_clIPS5_SF_SG_SG_EESJ_SZ_SK_SL_SM_EUlSZ_E0_NS1_11comp_targetILNS1_3genE10ELNS1_11target_archE1201ELNS1_3gpuE5ELNS1_3repE0EEENS1_38merge_mergepath_config_static_selectorELNS0_4arch9wavefront6targetE1EEEvSL_,"axG",@progbits,_ZN7rocprim17ROCPRIM_400000_NS6detail17trampoline_kernelINS0_14default_configENS1_38merge_sort_block_merge_config_selectorI14custom_numericNS0_10empty_typeEEEZZNS1_27merge_sort_block_merge_implIS3_N6thrust23THRUST_200600_302600_NS6detail15normal_iteratorINSA_10device_ptrIS5_EEEEPS6_mNSA_4lessIS5_EEEE10hipError_tT0_T1_T2_jT3_P12ihipStream_tbPNSt15iterator_traitsISK_E10value_typeEPNSQ_ISL_E10value_typeEPSM_NS1_7vsmem_tEENKUlT_SK_SL_SM_E_clIPS5_SF_SG_SG_EESJ_SZ_SK_SL_SM_EUlSZ_E0_NS1_11comp_targetILNS1_3genE10ELNS1_11target_archE1201ELNS1_3gpuE5ELNS1_3repE0EEENS1_38merge_mergepath_config_static_selectorELNS0_4arch9wavefront6targetE1EEEvSL_,comdat
	.protected	_ZN7rocprim17ROCPRIM_400000_NS6detail17trampoline_kernelINS0_14default_configENS1_38merge_sort_block_merge_config_selectorI14custom_numericNS0_10empty_typeEEEZZNS1_27merge_sort_block_merge_implIS3_N6thrust23THRUST_200600_302600_NS6detail15normal_iteratorINSA_10device_ptrIS5_EEEEPS6_mNSA_4lessIS5_EEEE10hipError_tT0_T1_T2_jT3_P12ihipStream_tbPNSt15iterator_traitsISK_E10value_typeEPNSQ_ISL_E10value_typeEPSM_NS1_7vsmem_tEENKUlT_SK_SL_SM_E_clIPS5_SF_SG_SG_EESJ_SZ_SK_SL_SM_EUlSZ_E0_NS1_11comp_targetILNS1_3genE10ELNS1_11target_archE1201ELNS1_3gpuE5ELNS1_3repE0EEENS1_38merge_mergepath_config_static_selectorELNS0_4arch9wavefront6targetE1EEEvSL_ ; -- Begin function _ZN7rocprim17ROCPRIM_400000_NS6detail17trampoline_kernelINS0_14default_configENS1_38merge_sort_block_merge_config_selectorI14custom_numericNS0_10empty_typeEEEZZNS1_27merge_sort_block_merge_implIS3_N6thrust23THRUST_200600_302600_NS6detail15normal_iteratorINSA_10device_ptrIS5_EEEEPS6_mNSA_4lessIS5_EEEE10hipError_tT0_T1_T2_jT3_P12ihipStream_tbPNSt15iterator_traitsISK_E10value_typeEPNSQ_ISL_E10value_typeEPSM_NS1_7vsmem_tEENKUlT_SK_SL_SM_E_clIPS5_SF_SG_SG_EESJ_SZ_SK_SL_SM_EUlSZ_E0_NS1_11comp_targetILNS1_3genE10ELNS1_11target_archE1201ELNS1_3gpuE5ELNS1_3repE0EEENS1_38merge_mergepath_config_static_selectorELNS0_4arch9wavefront6targetE1EEEvSL_
	.globl	_ZN7rocprim17ROCPRIM_400000_NS6detail17trampoline_kernelINS0_14default_configENS1_38merge_sort_block_merge_config_selectorI14custom_numericNS0_10empty_typeEEEZZNS1_27merge_sort_block_merge_implIS3_N6thrust23THRUST_200600_302600_NS6detail15normal_iteratorINSA_10device_ptrIS5_EEEEPS6_mNSA_4lessIS5_EEEE10hipError_tT0_T1_T2_jT3_P12ihipStream_tbPNSt15iterator_traitsISK_E10value_typeEPNSQ_ISL_E10value_typeEPSM_NS1_7vsmem_tEENKUlT_SK_SL_SM_E_clIPS5_SF_SG_SG_EESJ_SZ_SK_SL_SM_EUlSZ_E0_NS1_11comp_targetILNS1_3genE10ELNS1_11target_archE1201ELNS1_3gpuE5ELNS1_3repE0EEENS1_38merge_mergepath_config_static_selectorELNS0_4arch9wavefront6targetE1EEEvSL_
	.p2align	8
	.type	_ZN7rocprim17ROCPRIM_400000_NS6detail17trampoline_kernelINS0_14default_configENS1_38merge_sort_block_merge_config_selectorI14custom_numericNS0_10empty_typeEEEZZNS1_27merge_sort_block_merge_implIS3_N6thrust23THRUST_200600_302600_NS6detail15normal_iteratorINSA_10device_ptrIS5_EEEEPS6_mNSA_4lessIS5_EEEE10hipError_tT0_T1_T2_jT3_P12ihipStream_tbPNSt15iterator_traitsISK_E10value_typeEPNSQ_ISL_E10value_typeEPSM_NS1_7vsmem_tEENKUlT_SK_SL_SM_E_clIPS5_SF_SG_SG_EESJ_SZ_SK_SL_SM_EUlSZ_E0_NS1_11comp_targetILNS1_3genE10ELNS1_11target_archE1201ELNS1_3gpuE5ELNS1_3repE0EEENS1_38merge_mergepath_config_static_selectorELNS0_4arch9wavefront6targetE1EEEvSL_,@function
_ZN7rocprim17ROCPRIM_400000_NS6detail17trampoline_kernelINS0_14default_configENS1_38merge_sort_block_merge_config_selectorI14custom_numericNS0_10empty_typeEEEZZNS1_27merge_sort_block_merge_implIS3_N6thrust23THRUST_200600_302600_NS6detail15normal_iteratorINSA_10device_ptrIS5_EEEEPS6_mNSA_4lessIS5_EEEE10hipError_tT0_T1_T2_jT3_P12ihipStream_tbPNSt15iterator_traitsISK_E10value_typeEPNSQ_ISL_E10value_typeEPSM_NS1_7vsmem_tEENKUlT_SK_SL_SM_E_clIPS5_SF_SG_SG_EESJ_SZ_SK_SL_SM_EUlSZ_E0_NS1_11comp_targetILNS1_3genE10ELNS1_11target_archE1201ELNS1_3gpuE5ELNS1_3repE0EEENS1_38merge_mergepath_config_static_selectorELNS0_4arch9wavefront6targetE1EEEvSL_: ; @_ZN7rocprim17ROCPRIM_400000_NS6detail17trampoline_kernelINS0_14default_configENS1_38merge_sort_block_merge_config_selectorI14custom_numericNS0_10empty_typeEEEZZNS1_27merge_sort_block_merge_implIS3_N6thrust23THRUST_200600_302600_NS6detail15normal_iteratorINSA_10device_ptrIS5_EEEEPS6_mNSA_4lessIS5_EEEE10hipError_tT0_T1_T2_jT3_P12ihipStream_tbPNSt15iterator_traitsISK_E10value_typeEPNSQ_ISL_E10value_typeEPSM_NS1_7vsmem_tEENKUlT_SK_SL_SM_E_clIPS5_SF_SG_SG_EESJ_SZ_SK_SL_SM_EUlSZ_E0_NS1_11comp_targetILNS1_3genE10ELNS1_11target_archE1201ELNS1_3gpuE5ELNS1_3repE0EEENS1_38merge_mergepath_config_static_selectorELNS0_4arch9wavefront6targetE1EEEvSL_
; %bb.0:
	.section	.rodata,"a",@progbits
	.p2align	6, 0x0
	.amdhsa_kernel _ZN7rocprim17ROCPRIM_400000_NS6detail17trampoline_kernelINS0_14default_configENS1_38merge_sort_block_merge_config_selectorI14custom_numericNS0_10empty_typeEEEZZNS1_27merge_sort_block_merge_implIS3_N6thrust23THRUST_200600_302600_NS6detail15normal_iteratorINSA_10device_ptrIS5_EEEEPS6_mNSA_4lessIS5_EEEE10hipError_tT0_T1_T2_jT3_P12ihipStream_tbPNSt15iterator_traitsISK_E10value_typeEPNSQ_ISL_E10value_typeEPSM_NS1_7vsmem_tEENKUlT_SK_SL_SM_E_clIPS5_SF_SG_SG_EESJ_SZ_SK_SL_SM_EUlSZ_E0_NS1_11comp_targetILNS1_3genE10ELNS1_11target_archE1201ELNS1_3gpuE5ELNS1_3repE0EEENS1_38merge_mergepath_config_static_selectorELNS0_4arch9wavefront6targetE1EEEvSL_
		.amdhsa_group_segment_fixed_size 0
		.amdhsa_private_segment_fixed_size 0
		.amdhsa_kernarg_size 72
		.amdhsa_user_sgpr_count 6
		.amdhsa_user_sgpr_private_segment_buffer 1
		.amdhsa_user_sgpr_dispatch_ptr 0
		.amdhsa_user_sgpr_queue_ptr 0
		.amdhsa_user_sgpr_kernarg_segment_ptr 1
		.amdhsa_user_sgpr_dispatch_id 0
		.amdhsa_user_sgpr_flat_scratch_init 0
		.amdhsa_user_sgpr_kernarg_preload_length 0
		.amdhsa_user_sgpr_kernarg_preload_offset 0
		.amdhsa_user_sgpr_private_segment_size 0
		.amdhsa_uses_dynamic_stack 0
		.amdhsa_system_sgpr_private_segment_wavefront_offset 0
		.amdhsa_system_sgpr_workgroup_id_x 1
		.amdhsa_system_sgpr_workgroup_id_y 0
		.amdhsa_system_sgpr_workgroup_id_z 0
		.amdhsa_system_sgpr_workgroup_info 0
		.amdhsa_system_vgpr_workitem_id 0
		.amdhsa_next_free_vgpr 1
		.amdhsa_next_free_sgpr 0
		.amdhsa_accum_offset 4
		.amdhsa_reserve_vcc 0
		.amdhsa_reserve_flat_scratch 0
		.amdhsa_float_round_mode_32 0
		.amdhsa_float_round_mode_16_64 0
		.amdhsa_float_denorm_mode_32 3
		.amdhsa_float_denorm_mode_16_64 3
		.amdhsa_dx10_clamp 1
		.amdhsa_ieee_mode 1
		.amdhsa_fp16_overflow 0
		.amdhsa_tg_split 0
		.amdhsa_exception_fp_ieee_invalid_op 0
		.amdhsa_exception_fp_denorm_src 0
		.amdhsa_exception_fp_ieee_div_zero 0
		.amdhsa_exception_fp_ieee_overflow 0
		.amdhsa_exception_fp_ieee_underflow 0
		.amdhsa_exception_fp_ieee_inexact 0
		.amdhsa_exception_int_div_zero 0
	.end_amdhsa_kernel
	.section	.text._ZN7rocprim17ROCPRIM_400000_NS6detail17trampoline_kernelINS0_14default_configENS1_38merge_sort_block_merge_config_selectorI14custom_numericNS0_10empty_typeEEEZZNS1_27merge_sort_block_merge_implIS3_N6thrust23THRUST_200600_302600_NS6detail15normal_iteratorINSA_10device_ptrIS5_EEEEPS6_mNSA_4lessIS5_EEEE10hipError_tT0_T1_T2_jT3_P12ihipStream_tbPNSt15iterator_traitsISK_E10value_typeEPNSQ_ISL_E10value_typeEPSM_NS1_7vsmem_tEENKUlT_SK_SL_SM_E_clIPS5_SF_SG_SG_EESJ_SZ_SK_SL_SM_EUlSZ_E0_NS1_11comp_targetILNS1_3genE10ELNS1_11target_archE1201ELNS1_3gpuE5ELNS1_3repE0EEENS1_38merge_mergepath_config_static_selectorELNS0_4arch9wavefront6targetE1EEEvSL_,"axG",@progbits,_ZN7rocprim17ROCPRIM_400000_NS6detail17trampoline_kernelINS0_14default_configENS1_38merge_sort_block_merge_config_selectorI14custom_numericNS0_10empty_typeEEEZZNS1_27merge_sort_block_merge_implIS3_N6thrust23THRUST_200600_302600_NS6detail15normal_iteratorINSA_10device_ptrIS5_EEEEPS6_mNSA_4lessIS5_EEEE10hipError_tT0_T1_T2_jT3_P12ihipStream_tbPNSt15iterator_traitsISK_E10value_typeEPNSQ_ISL_E10value_typeEPSM_NS1_7vsmem_tEENKUlT_SK_SL_SM_E_clIPS5_SF_SG_SG_EESJ_SZ_SK_SL_SM_EUlSZ_E0_NS1_11comp_targetILNS1_3genE10ELNS1_11target_archE1201ELNS1_3gpuE5ELNS1_3repE0EEENS1_38merge_mergepath_config_static_selectorELNS0_4arch9wavefront6targetE1EEEvSL_,comdat
.Lfunc_end1424:
	.size	_ZN7rocprim17ROCPRIM_400000_NS6detail17trampoline_kernelINS0_14default_configENS1_38merge_sort_block_merge_config_selectorI14custom_numericNS0_10empty_typeEEEZZNS1_27merge_sort_block_merge_implIS3_N6thrust23THRUST_200600_302600_NS6detail15normal_iteratorINSA_10device_ptrIS5_EEEEPS6_mNSA_4lessIS5_EEEE10hipError_tT0_T1_T2_jT3_P12ihipStream_tbPNSt15iterator_traitsISK_E10value_typeEPNSQ_ISL_E10value_typeEPSM_NS1_7vsmem_tEENKUlT_SK_SL_SM_E_clIPS5_SF_SG_SG_EESJ_SZ_SK_SL_SM_EUlSZ_E0_NS1_11comp_targetILNS1_3genE10ELNS1_11target_archE1201ELNS1_3gpuE5ELNS1_3repE0EEENS1_38merge_mergepath_config_static_selectorELNS0_4arch9wavefront6targetE1EEEvSL_, .Lfunc_end1424-_ZN7rocprim17ROCPRIM_400000_NS6detail17trampoline_kernelINS0_14default_configENS1_38merge_sort_block_merge_config_selectorI14custom_numericNS0_10empty_typeEEEZZNS1_27merge_sort_block_merge_implIS3_N6thrust23THRUST_200600_302600_NS6detail15normal_iteratorINSA_10device_ptrIS5_EEEEPS6_mNSA_4lessIS5_EEEE10hipError_tT0_T1_T2_jT3_P12ihipStream_tbPNSt15iterator_traitsISK_E10value_typeEPNSQ_ISL_E10value_typeEPSM_NS1_7vsmem_tEENKUlT_SK_SL_SM_E_clIPS5_SF_SG_SG_EESJ_SZ_SK_SL_SM_EUlSZ_E0_NS1_11comp_targetILNS1_3genE10ELNS1_11target_archE1201ELNS1_3gpuE5ELNS1_3repE0EEENS1_38merge_mergepath_config_static_selectorELNS0_4arch9wavefront6targetE1EEEvSL_
                                        ; -- End function
	.section	.AMDGPU.csdata,"",@progbits
; Kernel info:
; codeLenInByte = 0
; NumSgprs: 4
; NumVgprs: 0
; NumAgprs: 0
; TotalNumVgprs: 0
; ScratchSize: 0
; MemoryBound: 0
; FloatMode: 240
; IeeeMode: 1
; LDSByteSize: 0 bytes/workgroup (compile time only)
; SGPRBlocks: 0
; VGPRBlocks: 0
; NumSGPRsForWavesPerEU: 4
; NumVGPRsForWavesPerEU: 1
; AccumOffset: 4
; Occupancy: 8
; WaveLimiterHint : 0
; COMPUTE_PGM_RSRC2:SCRATCH_EN: 0
; COMPUTE_PGM_RSRC2:USER_SGPR: 6
; COMPUTE_PGM_RSRC2:TRAP_HANDLER: 0
; COMPUTE_PGM_RSRC2:TGID_X_EN: 1
; COMPUTE_PGM_RSRC2:TGID_Y_EN: 0
; COMPUTE_PGM_RSRC2:TGID_Z_EN: 0
; COMPUTE_PGM_RSRC2:TIDIG_COMP_CNT: 0
; COMPUTE_PGM_RSRC3_GFX90A:ACCUM_OFFSET: 0
; COMPUTE_PGM_RSRC3_GFX90A:TG_SPLIT: 0
	.section	.text._ZN7rocprim17ROCPRIM_400000_NS6detail17trampoline_kernelINS0_14default_configENS1_38merge_sort_block_merge_config_selectorI14custom_numericNS0_10empty_typeEEEZZNS1_27merge_sort_block_merge_implIS3_N6thrust23THRUST_200600_302600_NS6detail15normal_iteratorINSA_10device_ptrIS5_EEEEPS6_mNSA_4lessIS5_EEEE10hipError_tT0_T1_T2_jT3_P12ihipStream_tbPNSt15iterator_traitsISK_E10value_typeEPNSQ_ISL_E10value_typeEPSM_NS1_7vsmem_tEENKUlT_SK_SL_SM_E_clIPS5_SF_SG_SG_EESJ_SZ_SK_SL_SM_EUlSZ_E0_NS1_11comp_targetILNS1_3genE5ELNS1_11target_archE942ELNS1_3gpuE9ELNS1_3repE0EEENS1_38merge_mergepath_config_static_selectorELNS0_4arch9wavefront6targetE1EEEvSL_,"axG",@progbits,_ZN7rocprim17ROCPRIM_400000_NS6detail17trampoline_kernelINS0_14default_configENS1_38merge_sort_block_merge_config_selectorI14custom_numericNS0_10empty_typeEEEZZNS1_27merge_sort_block_merge_implIS3_N6thrust23THRUST_200600_302600_NS6detail15normal_iteratorINSA_10device_ptrIS5_EEEEPS6_mNSA_4lessIS5_EEEE10hipError_tT0_T1_T2_jT3_P12ihipStream_tbPNSt15iterator_traitsISK_E10value_typeEPNSQ_ISL_E10value_typeEPSM_NS1_7vsmem_tEENKUlT_SK_SL_SM_E_clIPS5_SF_SG_SG_EESJ_SZ_SK_SL_SM_EUlSZ_E0_NS1_11comp_targetILNS1_3genE5ELNS1_11target_archE942ELNS1_3gpuE9ELNS1_3repE0EEENS1_38merge_mergepath_config_static_selectorELNS0_4arch9wavefront6targetE1EEEvSL_,comdat
	.protected	_ZN7rocprim17ROCPRIM_400000_NS6detail17trampoline_kernelINS0_14default_configENS1_38merge_sort_block_merge_config_selectorI14custom_numericNS0_10empty_typeEEEZZNS1_27merge_sort_block_merge_implIS3_N6thrust23THRUST_200600_302600_NS6detail15normal_iteratorINSA_10device_ptrIS5_EEEEPS6_mNSA_4lessIS5_EEEE10hipError_tT0_T1_T2_jT3_P12ihipStream_tbPNSt15iterator_traitsISK_E10value_typeEPNSQ_ISL_E10value_typeEPSM_NS1_7vsmem_tEENKUlT_SK_SL_SM_E_clIPS5_SF_SG_SG_EESJ_SZ_SK_SL_SM_EUlSZ_E0_NS1_11comp_targetILNS1_3genE5ELNS1_11target_archE942ELNS1_3gpuE9ELNS1_3repE0EEENS1_38merge_mergepath_config_static_selectorELNS0_4arch9wavefront6targetE1EEEvSL_ ; -- Begin function _ZN7rocprim17ROCPRIM_400000_NS6detail17trampoline_kernelINS0_14default_configENS1_38merge_sort_block_merge_config_selectorI14custom_numericNS0_10empty_typeEEEZZNS1_27merge_sort_block_merge_implIS3_N6thrust23THRUST_200600_302600_NS6detail15normal_iteratorINSA_10device_ptrIS5_EEEEPS6_mNSA_4lessIS5_EEEE10hipError_tT0_T1_T2_jT3_P12ihipStream_tbPNSt15iterator_traitsISK_E10value_typeEPNSQ_ISL_E10value_typeEPSM_NS1_7vsmem_tEENKUlT_SK_SL_SM_E_clIPS5_SF_SG_SG_EESJ_SZ_SK_SL_SM_EUlSZ_E0_NS1_11comp_targetILNS1_3genE5ELNS1_11target_archE942ELNS1_3gpuE9ELNS1_3repE0EEENS1_38merge_mergepath_config_static_selectorELNS0_4arch9wavefront6targetE1EEEvSL_
	.globl	_ZN7rocprim17ROCPRIM_400000_NS6detail17trampoline_kernelINS0_14default_configENS1_38merge_sort_block_merge_config_selectorI14custom_numericNS0_10empty_typeEEEZZNS1_27merge_sort_block_merge_implIS3_N6thrust23THRUST_200600_302600_NS6detail15normal_iteratorINSA_10device_ptrIS5_EEEEPS6_mNSA_4lessIS5_EEEE10hipError_tT0_T1_T2_jT3_P12ihipStream_tbPNSt15iterator_traitsISK_E10value_typeEPNSQ_ISL_E10value_typeEPSM_NS1_7vsmem_tEENKUlT_SK_SL_SM_E_clIPS5_SF_SG_SG_EESJ_SZ_SK_SL_SM_EUlSZ_E0_NS1_11comp_targetILNS1_3genE5ELNS1_11target_archE942ELNS1_3gpuE9ELNS1_3repE0EEENS1_38merge_mergepath_config_static_selectorELNS0_4arch9wavefront6targetE1EEEvSL_
	.p2align	8
	.type	_ZN7rocprim17ROCPRIM_400000_NS6detail17trampoline_kernelINS0_14default_configENS1_38merge_sort_block_merge_config_selectorI14custom_numericNS0_10empty_typeEEEZZNS1_27merge_sort_block_merge_implIS3_N6thrust23THRUST_200600_302600_NS6detail15normal_iteratorINSA_10device_ptrIS5_EEEEPS6_mNSA_4lessIS5_EEEE10hipError_tT0_T1_T2_jT3_P12ihipStream_tbPNSt15iterator_traitsISK_E10value_typeEPNSQ_ISL_E10value_typeEPSM_NS1_7vsmem_tEENKUlT_SK_SL_SM_E_clIPS5_SF_SG_SG_EESJ_SZ_SK_SL_SM_EUlSZ_E0_NS1_11comp_targetILNS1_3genE5ELNS1_11target_archE942ELNS1_3gpuE9ELNS1_3repE0EEENS1_38merge_mergepath_config_static_selectorELNS0_4arch9wavefront6targetE1EEEvSL_,@function
_ZN7rocprim17ROCPRIM_400000_NS6detail17trampoline_kernelINS0_14default_configENS1_38merge_sort_block_merge_config_selectorI14custom_numericNS0_10empty_typeEEEZZNS1_27merge_sort_block_merge_implIS3_N6thrust23THRUST_200600_302600_NS6detail15normal_iteratorINSA_10device_ptrIS5_EEEEPS6_mNSA_4lessIS5_EEEE10hipError_tT0_T1_T2_jT3_P12ihipStream_tbPNSt15iterator_traitsISK_E10value_typeEPNSQ_ISL_E10value_typeEPSM_NS1_7vsmem_tEENKUlT_SK_SL_SM_E_clIPS5_SF_SG_SG_EESJ_SZ_SK_SL_SM_EUlSZ_E0_NS1_11comp_targetILNS1_3genE5ELNS1_11target_archE942ELNS1_3gpuE9ELNS1_3repE0EEENS1_38merge_mergepath_config_static_selectorELNS0_4arch9wavefront6targetE1EEEvSL_: ; @_ZN7rocprim17ROCPRIM_400000_NS6detail17trampoline_kernelINS0_14default_configENS1_38merge_sort_block_merge_config_selectorI14custom_numericNS0_10empty_typeEEEZZNS1_27merge_sort_block_merge_implIS3_N6thrust23THRUST_200600_302600_NS6detail15normal_iteratorINSA_10device_ptrIS5_EEEEPS6_mNSA_4lessIS5_EEEE10hipError_tT0_T1_T2_jT3_P12ihipStream_tbPNSt15iterator_traitsISK_E10value_typeEPNSQ_ISL_E10value_typeEPSM_NS1_7vsmem_tEENKUlT_SK_SL_SM_E_clIPS5_SF_SG_SG_EESJ_SZ_SK_SL_SM_EUlSZ_E0_NS1_11comp_targetILNS1_3genE5ELNS1_11target_archE942ELNS1_3gpuE9ELNS1_3repE0EEENS1_38merge_mergepath_config_static_selectorELNS0_4arch9wavefront6targetE1EEEvSL_
; %bb.0:
	.section	.rodata,"a",@progbits
	.p2align	6, 0x0
	.amdhsa_kernel _ZN7rocprim17ROCPRIM_400000_NS6detail17trampoline_kernelINS0_14default_configENS1_38merge_sort_block_merge_config_selectorI14custom_numericNS0_10empty_typeEEEZZNS1_27merge_sort_block_merge_implIS3_N6thrust23THRUST_200600_302600_NS6detail15normal_iteratorINSA_10device_ptrIS5_EEEEPS6_mNSA_4lessIS5_EEEE10hipError_tT0_T1_T2_jT3_P12ihipStream_tbPNSt15iterator_traitsISK_E10value_typeEPNSQ_ISL_E10value_typeEPSM_NS1_7vsmem_tEENKUlT_SK_SL_SM_E_clIPS5_SF_SG_SG_EESJ_SZ_SK_SL_SM_EUlSZ_E0_NS1_11comp_targetILNS1_3genE5ELNS1_11target_archE942ELNS1_3gpuE9ELNS1_3repE0EEENS1_38merge_mergepath_config_static_selectorELNS0_4arch9wavefront6targetE1EEEvSL_
		.amdhsa_group_segment_fixed_size 0
		.amdhsa_private_segment_fixed_size 0
		.amdhsa_kernarg_size 72
		.amdhsa_user_sgpr_count 6
		.amdhsa_user_sgpr_private_segment_buffer 1
		.amdhsa_user_sgpr_dispatch_ptr 0
		.amdhsa_user_sgpr_queue_ptr 0
		.amdhsa_user_sgpr_kernarg_segment_ptr 1
		.amdhsa_user_sgpr_dispatch_id 0
		.amdhsa_user_sgpr_flat_scratch_init 0
		.amdhsa_user_sgpr_kernarg_preload_length 0
		.amdhsa_user_sgpr_kernarg_preload_offset 0
		.amdhsa_user_sgpr_private_segment_size 0
		.amdhsa_uses_dynamic_stack 0
		.amdhsa_system_sgpr_private_segment_wavefront_offset 0
		.amdhsa_system_sgpr_workgroup_id_x 1
		.amdhsa_system_sgpr_workgroup_id_y 0
		.amdhsa_system_sgpr_workgroup_id_z 0
		.amdhsa_system_sgpr_workgroup_info 0
		.amdhsa_system_vgpr_workitem_id 0
		.amdhsa_next_free_vgpr 1
		.amdhsa_next_free_sgpr 0
		.amdhsa_accum_offset 4
		.amdhsa_reserve_vcc 0
		.amdhsa_reserve_flat_scratch 0
		.amdhsa_float_round_mode_32 0
		.amdhsa_float_round_mode_16_64 0
		.amdhsa_float_denorm_mode_32 3
		.amdhsa_float_denorm_mode_16_64 3
		.amdhsa_dx10_clamp 1
		.amdhsa_ieee_mode 1
		.amdhsa_fp16_overflow 0
		.amdhsa_tg_split 0
		.amdhsa_exception_fp_ieee_invalid_op 0
		.amdhsa_exception_fp_denorm_src 0
		.amdhsa_exception_fp_ieee_div_zero 0
		.amdhsa_exception_fp_ieee_overflow 0
		.amdhsa_exception_fp_ieee_underflow 0
		.amdhsa_exception_fp_ieee_inexact 0
		.amdhsa_exception_int_div_zero 0
	.end_amdhsa_kernel
	.section	.text._ZN7rocprim17ROCPRIM_400000_NS6detail17trampoline_kernelINS0_14default_configENS1_38merge_sort_block_merge_config_selectorI14custom_numericNS0_10empty_typeEEEZZNS1_27merge_sort_block_merge_implIS3_N6thrust23THRUST_200600_302600_NS6detail15normal_iteratorINSA_10device_ptrIS5_EEEEPS6_mNSA_4lessIS5_EEEE10hipError_tT0_T1_T2_jT3_P12ihipStream_tbPNSt15iterator_traitsISK_E10value_typeEPNSQ_ISL_E10value_typeEPSM_NS1_7vsmem_tEENKUlT_SK_SL_SM_E_clIPS5_SF_SG_SG_EESJ_SZ_SK_SL_SM_EUlSZ_E0_NS1_11comp_targetILNS1_3genE5ELNS1_11target_archE942ELNS1_3gpuE9ELNS1_3repE0EEENS1_38merge_mergepath_config_static_selectorELNS0_4arch9wavefront6targetE1EEEvSL_,"axG",@progbits,_ZN7rocprim17ROCPRIM_400000_NS6detail17trampoline_kernelINS0_14default_configENS1_38merge_sort_block_merge_config_selectorI14custom_numericNS0_10empty_typeEEEZZNS1_27merge_sort_block_merge_implIS3_N6thrust23THRUST_200600_302600_NS6detail15normal_iteratorINSA_10device_ptrIS5_EEEEPS6_mNSA_4lessIS5_EEEE10hipError_tT0_T1_T2_jT3_P12ihipStream_tbPNSt15iterator_traitsISK_E10value_typeEPNSQ_ISL_E10value_typeEPSM_NS1_7vsmem_tEENKUlT_SK_SL_SM_E_clIPS5_SF_SG_SG_EESJ_SZ_SK_SL_SM_EUlSZ_E0_NS1_11comp_targetILNS1_3genE5ELNS1_11target_archE942ELNS1_3gpuE9ELNS1_3repE0EEENS1_38merge_mergepath_config_static_selectorELNS0_4arch9wavefront6targetE1EEEvSL_,comdat
.Lfunc_end1425:
	.size	_ZN7rocprim17ROCPRIM_400000_NS6detail17trampoline_kernelINS0_14default_configENS1_38merge_sort_block_merge_config_selectorI14custom_numericNS0_10empty_typeEEEZZNS1_27merge_sort_block_merge_implIS3_N6thrust23THRUST_200600_302600_NS6detail15normal_iteratorINSA_10device_ptrIS5_EEEEPS6_mNSA_4lessIS5_EEEE10hipError_tT0_T1_T2_jT3_P12ihipStream_tbPNSt15iterator_traitsISK_E10value_typeEPNSQ_ISL_E10value_typeEPSM_NS1_7vsmem_tEENKUlT_SK_SL_SM_E_clIPS5_SF_SG_SG_EESJ_SZ_SK_SL_SM_EUlSZ_E0_NS1_11comp_targetILNS1_3genE5ELNS1_11target_archE942ELNS1_3gpuE9ELNS1_3repE0EEENS1_38merge_mergepath_config_static_selectorELNS0_4arch9wavefront6targetE1EEEvSL_, .Lfunc_end1425-_ZN7rocprim17ROCPRIM_400000_NS6detail17trampoline_kernelINS0_14default_configENS1_38merge_sort_block_merge_config_selectorI14custom_numericNS0_10empty_typeEEEZZNS1_27merge_sort_block_merge_implIS3_N6thrust23THRUST_200600_302600_NS6detail15normal_iteratorINSA_10device_ptrIS5_EEEEPS6_mNSA_4lessIS5_EEEE10hipError_tT0_T1_T2_jT3_P12ihipStream_tbPNSt15iterator_traitsISK_E10value_typeEPNSQ_ISL_E10value_typeEPSM_NS1_7vsmem_tEENKUlT_SK_SL_SM_E_clIPS5_SF_SG_SG_EESJ_SZ_SK_SL_SM_EUlSZ_E0_NS1_11comp_targetILNS1_3genE5ELNS1_11target_archE942ELNS1_3gpuE9ELNS1_3repE0EEENS1_38merge_mergepath_config_static_selectorELNS0_4arch9wavefront6targetE1EEEvSL_
                                        ; -- End function
	.section	.AMDGPU.csdata,"",@progbits
; Kernel info:
; codeLenInByte = 0
; NumSgprs: 4
; NumVgprs: 0
; NumAgprs: 0
; TotalNumVgprs: 0
; ScratchSize: 0
; MemoryBound: 0
; FloatMode: 240
; IeeeMode: 1
; LDSByteSize: 0 bytes/workgroup (compile time only)
; SGPRBlocks: 0
; VGPRBlocks: 0
; NumSGPRsForWavesPerEU: 4
; NumVGPRsForWavesPerEU: 1
; AccumOffset: 4
; Occupancy: 8
; WaveLimiterHint : 0
; COMPUTE_PGM_RSRC2:SCRATCH_EN: 0
; COMPUTE_PGM_RSRC2:USER_SGPR: 6
; COMPUTE_PGM_RSRC2:TRAP_HANDLER: 0
; COMPUTE_PGM_RSRC2:TGID_X_EN: 1
; COMPUTE_PGM_RSRC2:TGID_Y_EN: 0
; COMPUTE_PGM_RSRC2:TGID_Z_EN: 0
; COMPUTE_PGM_RSRC2:TIDIG_COMP_CNT: 0
; COMPUTE_PGM_RSRC3_GFX90A:ACCUM_OFFSET: 0
; COMPUTE_PGM_RSRC3_GFX90A:TG_SPLIT: 0
	.section	.text._ZN7rocprim17ROCPRIM_400000_NS6detail17trampoline_kernelINS0_14default_configENS1_38merge_sort_block_merge_config_selectorI14custom_numericNS0_10empty_typeEEEZZNS1_27merge_sort_block_merge_implIS3_N6thrust23THRUST_200600_302600_NS6detail15normal_iteratorINSA_10device_ptrIS5_EEEEPS6_mNSA_4lessIS5_EEEE10hipError_tT0_T1_T2_jT3_P12ihipStream_tbPNSt15iterator_traitsISK_E10value_typeEPNSQ_ISL_E10value_typeEPSM_NS1_7vsmem_tEENKUlT_SK_SL_SM_E_clIPS5_SF_SG_SG_EESJ_SZ_SK_SL_SM_EUlSZ_E0_NS1_11comp_targetILNS1_3genE4ELNS1_11target_archE910ELNS1_3gpuE8ELNS1_3repE0EEENS1_38merge_mergepath_config_static_selectorELNS0_4arch9wavefront6targetE1EEEvSL_,"axG",@progbits,_ZN7rocprim17ROCPRIM_400000_NS6detail17trampoline_kernelINS0_14default_configENS1_38merge_sort_block_merge_config_selectorI14custom_numericNS0_10empty_typeEEEZZNS1_27merge_sort_block_merge_implIS3_N6thrust23THRUST_200600_302600_NS6detail15normal_iteratorINSA_10device_ptrIS5_EEEEPS6_mNSA_4lessIS5_EEEE10hipError_tT0_T1_T2_jT3_P12ihipStream_tbPNSt15iterator_traitsISK_E10value_typeEPNSQ_ISL_E10value_typeEPSM_NS1_7vsmem_tEENKUlT_SK_SL_SM_E_clIPS5_SF_SG_SG_EESJ_SZ_SK_SL_SM_EUlSZ_E0_NS1_11comp_targetILNS1_3genE4ELNS1_11target_archE910ELNS1_3gpuE8ELNS1_3repE0EEENS1_38merge_mergepath_config_static_selectorELNS0_4arch9wavefront6targetE1EEEvSL_,comdat
	.protected	_ZN7rocprim17ROCPRIM_400000_NS6detail17trampoline_kernelINS0_14default_configENS1_38merge_sort_block_merge_config_selectorI14custom_numericNS0_10empty_typeEEEZZNS1_27merge_sort_block_merge_implIS3_N6thrust23THRUST_200600_302600_NS6detail15normal_iteratorINSA_10device_ptrIS5_EEEEPS6_mNSA_4lessIS5_EEEE10hipError_tT0_T1_T2_jT3_P12ihipStream_tbPNSt15iterator_traitsISK_E10value_typeEPNSQ_ISL_E10value_typeEPSM_NS1_7vsmem_tEENKUlT_SK_SL_SM_E_clIPS5_SF_SG_SG_EESJ_SZ_SK_SL_SM_EUlSZ_E0_NS1_11comp_targetILNS1_3genE4ELNS1_11target_archE910ELNS1_3gpuE8ELNS1_3repE0EEENS1_38merge_mergepath_config_static_selectorELNS0_4arch9wavefront6targetE1EEEvSL_ ; -- Begin function _ZN7rocprim17ROCPRIM_400000_NS6detail17trampoline_kernelINS0_14default_configENS1_38merge_sort_block_merge_config_selectorI14custom_numericNS0_10empty_typeEEEZZNS1_27merge_sort_block_merge_implIS3_N6thrust23THRUST_200600_302600_NS6detail15normal_iteratorINSA_10device_ptrIS5_EEEEPS6_mNSA_4lessIS5_EEEE10hipError_tT0_T1_T2_jT3_P12ihipStream_tbPNSt15iterator_traitsISK_E10value_typeEPNSQ_ISL_E10value_typeEPSM_NS1_7vsmem_tEENKUlT_SK_SL_SM_E_clIPS5_SF_SG_SG_EESJ_SZ_SK_SL_SM_EUlSZ_E0_NS1_11comp_targetILNS1_3genE4ELNS1_11target_archE910ELNS1_3gpuE8ELNS1_3repE0EEENS1_38merge_mergepath_config_static_selectorELNS0_4arch9wavefront6targetE1EEEvSL_
	.globl	_ZN7rocprim17ROCPRIM_400000_NS6detail17trampoline_kernelINS0_14default_configENS1_38merge_sort_block_merge_config_selectorI14custom_numericNS0_10empty_typeEEEZZNS1_27merge_sort_block_merge_implIS3_N6thrust23THRUST_200600_302600_NS6detail15normal_iteratorINSA_10device_ptrIS5_EEEEPS6_mNSA_4lessIS5_EEEE10hipError_tT0_T1_T2_jT3_P12ihipStream_tbPNSt15iterator_traitsISK_E10value_typeEPNSQ_ISL_E10value_typeEPSM_NS1_7vsmem_tEENKUlT_SK_SL_SM_E_clIPS5_SF_SG_SG_EESJ_SZ_SK_SL_SM_EUlSZ_E0_NS1_11comp_targetILNS1_3genE4ELNS1_11target_archE910ELNS1_3gpuE8ELNS1_3repE0EEENS1_38merge_mergepath_config_static_selectorELNS0_4arch9wavefront6targetE1EEEvSL_
	.p2align	8
	.type	_ZN7rocprim17ROCPRIM_400000_NS6detail17trampoline_kernelINS0_14default_configENS1_38merge_sort_block_merge_config_selectorI14custom_numericNS0_10empty_typeEEEZZNS1_27merge_sort_block_merge_implIS3_N6thrust23THRUST_200600_302600_NS6detail15normal_iteratorINSA_10device_ptrIS5_EEEEPS6_mNSA_4lessIS5_EEEE10hipError_tT0_T1_T2_jT3_P12ihipStream_tbPNSt15iterator_traitsISK_E10value_typeEPNSQ_ISL_E10value_typeEPSM_NS1_7vsmem_tEENKUlT_SK_SL_SM_E_clIPS5_SF_SG_SG_EESJ_SZ_SK_SL_SM_EUlSZ_E0_NS1_11comp_targetILNS1_3genE4ELNS1_11target_archE910ELNS1_3gpuE8ELNS1_3repE0EEENS1_38merge_mergepath_config_static_selectorELNS0_4arch9wavefront6targetE1EEEvSL_,@function
_ZN7rocprim17ROCPRIM_400000_NS6detail17trampoline_kernelINS0_14default_configENS1_38merge_sort_block_merge_config_selectorI14custom_numericNS0_10empty_typeEEEZZNS1_27merge_sort_block_merge_implIS3_N6thrust23THRUST_200600_302600_NS6detail15normal_iteratorINSA_10device_ptrIS5_EEEEPS6_mNSA_4lessIS5_EEEE10hipError_tT0_T1_T2_jT3_P12ihipStream_tbPNSt15iterator_traitsISK_E10value_typeEPNSQ_ISL_E10value_typeEPSM_NS1_7vsmem_tEENKUlT_SK_SL_SM_E_clIPS5_SF_SG_SG_EESJ_SZ_SK_SL_SM_EUlSZ_E0_NS1_11comp_targetILNS1_3genE4ELNS1_11target_archE910ELNS1_3gpuE8ELNS1_3repE0EEENS1_38merge_mergepath_config_static_selectorELNS0_4arch9wavefront6targetE1EEEvSL_: ; @_ZN7rocprim17ROCPRIM_400000_NS6detail17trampoline_kernelINS0_14default_configENS1_38merge_sort_block_merge_config_selectorI14custom_numericNS0_10empty_typeEEEZZNS1_27merge_sort_block_merge_implIS3_N6thrust23THRUST_200600_302600_NS6detail15normal_iteratorINSA_10device_ptrIS5_EEEEPS6_mNSA_4lessIS5_EEEE10hipError_tT0_T1_T2_jT3_P12ihipStream_tbPNSt15iterator_traitsISK_E10value_typeEPNSQ_ISL_E10value_typeEPSM_NS1_7vsmem_tEENKUlT_SK_SL_SM_E_clIPS5_SF_SG_SG_EESJ_SZ_SK_SL_SM_EUlSZ_E0_NS1_11comp_targetILNS1_3genE4ELNS1_11target_archE910ELNS1_3gpuE8ELNS1_3repE0EEENS1_38merge_mergepath_config_static_selectorELNS0_4arch9wavefront6targetE1EEEvSL_
; %bb.0:
	s_load_dwordx2 s[22:23], s[4:5], 0x48
	s_load_dword s0, s[4:5], 0x38
	s_add_u32 s20, s4, 0x48
	s_addc_u32 s21, s5, 0
	s_waitcnt lgkmcnt(0)
	s_mul_i32 s1, s23, s8
	s_add_i32 s1, s1, s7
	s_mul_i32 s1, s1, s22
	s_add_i32 s18, s1, s6
	s_cmp_ge_u32 s18, s0
	s_cbranch_scc1 .LBB1426_35
; %bb.1:
	s_load_dwordx2 s[0:1], s[4:5], 0x40
	s_load_dwordx4 s[12:15], s[4:5], 0x8
	s_load_dwordx4 s[8:11], s[4:5], 0x28
	s_mov_b32 s19, 0
	s_lshl_b64 s[2:3], s[18:19], 3
	s_waitcnt lgkmcnt(0)
	s_add_u32 s0, s0, s2
	s_addc_u32 s1, s1, s3
	v_mov_b32_e32 v1, s10
	v_alignbit_b32 v1, s11, v1, 8
	v_readfirstlane_b32 s4, v1
	s_and_b32 s4, s4, -2
	s_sub_i32 s30, 0, s4
	s_and_b32 s24, s18, s30
	s_mov_b32 s25, s19
	s_lshl_b64 s[4:5], s[24:25], 9
	s_lshl_b64 s[16:17], s[18:19], 9
	s_sub_u32 s7, s16, s4
	s_load_dwordx4 s[0:3], s[0:1], 0x0
	s_subb_u32 s23, s17, s5
	s_lshl_b64 s[24:25], s[24:25], 10
	s_add_u32 s24, s24, s10
	s_addc_u32 s25, s25, s11
	s_add_u32 s7, s24, s7
	s_addc_u32 s23, s25, s23
	s_waitcnt lgkmcnt(0)
	s_sub_u32 s26, s7, s2
	s_subb_u32 s3, s23, s3
	s_add_u32 s26, s26, 0x200
	s_addc_u32 s27, s3, 0
	v_pk_mov_b32 v[2:3], s[26:27], s[26:27] op_sel:[0,1]
	v_cmp_lt_u64_e32 vcc, s[8:9], v[2:3]
	s_and_b64 s[28:29], vcc, exec
	s_cselect_b32 s3, s8, s26
	s_or_b32 s26, s18, s30
	s_cmp_lg_u32 s26, -1
	s_cbranch_scc1 .LBB1426_3
; %bb.2:
	s_sub_u32 s4, s24, s4
	s_subb_u32 s5, s25, s5
	v_pk_mov_b32 v[2:3], s[4:5], s[4:5] op_sel:[0,1]
	v_cmp_lt_u64_e32 vcc, s[8:9], v[2:3]
	s_and_b64 s[2:3], vcc, exec
	s_cselect_b32 s2, s8, s4
	s_add_u32 s4, s4, s10
	s_addc_u32 s5, s5, s11
	v_pk_mov_b32 v[2:3], s[4:5], s[4:5] op_sel:[0,1]
	v_cmp_lt_u64_e32 vcc, s[8:9], v[2:3]
	s_and_b64 s[10:11], vcc, exec
	s_cselect_b32 s3, s8, s4
.LBB1426_3:
	s_lshr_b64 s[4:5], s[8:9], 9
	s_cmp_lg_u64 s[4:5], s[18:19]
	s_cselect_b64 s[10:11], -1, 0
	s_sub_u32 s24, s7, s0
	s_subb_u32 s25, s23, s1
	v_pk_mov_b32 v[2:3], s[24:25], s[24:25] op_sel:[0,1]
	v_cmp_lt_u64_e32 vcc, s[8:9], v[2:3]
	s_and_b64 s[26:27], vcc, exec
	s_cselect_b32 s7, s9, s25
	s_cselect_b32 s24, s8, s24
	s_sub_i32 s9, s2, s0
	s_mul_i32 s1, s1, 20
	s_mul_hi_u32 s2, s0, 20
	s_sub_i32 s23, s3, s24
	s_add_i32 s2, s2, s1
	s_mul_i32 s0, s0, 20
	s_add_u32 s0, s12, s0
	s_addc_u32 s1, s13, s2
	s_mul_i32 s7, s7, 20
	s_mul_hi_u32 s2, s24, 20
	s_add_i32 s3, s2, s7
	s_mul_i32 s24, s24, 20
	s_add_u32 s2, s12, s24
	s_addc_u32 s3, s13, s3
	s_cmp_lt_u32 s6, s22
	v_mov_b32_e32 v1, 0
	s_cselect_b32 s6, 12, 18
	global_load_dword v2, v1, s[20:21] offset:14
	s_add_u32 s6, s20, s6
	s_addc_u32 s7, s21, 0
	global_load_ushort v1, v1, s[6:7]
	s_cmp_eq_u64 s[4:5], s[18:19]
	s_waitcnt vmcnt(1)
	v_lshrrev_b32_e32 v3, 16, v2
	v_and_b32_e32 v2, 0xffff, v2
	v_mul_lo_u32 v2, v2, v3
	s_waitcnt vmcnt(0)
	v_mul_lo_u32 v1, v2, v1
	v_add_u32_e32 v5, v1, v0
	v_add_u32_e32 v3, v5, v1
	s_cbranch_scc1 .LBB1426_6
; %bb.4:
	v_subrev_u32_e32 v2, s9, v0
	v_mad_u64_u32 v[6:7], s[4:5], v0, 20, s[0:1]
	v_mad_u64_u32 v[8:9], s[4:5], v2, 20, s[2:3]
	v_cmp_gt_u32_e32 vcc, s9, v0
	v_cndmask_b32_e32 v7, v9, v7, vcc
	v_cndmask_b32_e32 v6, v8, v6, vcc
	v_subrev_u32_e32 v4, s9, v5
	global_load_dword v2, v[6:7], off
	v_mad_u64_u32 v[6:7], s[4:5], v5, 20, s[0:1]
	v_mad_u64_u32 v[8:9], s[4:5], v4, 20, s[2:3]
	v_cmp_gt_u32_e32 vcc, s9, v5
	v_cndmask_b32_e32 v7, v9, v7, vcc
	v_cndmask_b32_e32 v6, v8, v6, vcc
	v_subrev_u32_e32 v8, s9, v3
	global_load_dword v4, v[6:7], off
	v_mad_u64_u32 v[6:7], s[4:5], v3, 20, s[0:1]
	v_mad_u64_u32 v[8:9], s[4:5], v8, 20, s[2:3]
	v_cmp_gt_u32_e32 vcc, s9, v3
	v_cndmask_b32_e32 v7, v9, v7, vcc
	v_cndmask_b32_e32 v6, v8, v6, vcc
	global_load_dword v6, v[6:7], off
	v_add_u32_e32 v7, v3, v1
	s_add_i32 s12, s9, s23
	s_mov_b64 s[4:5], -1
	s_cbranch_execz .LBB1426_7
; %bb.5:
                                        ; implicit-def: $sgpr6
	v_mov_b32_e32 v5, s12
	v_mov_b32_e32 v8, s6
	s_and_saveexec_b64 s[6:7], s[4:5]
	s_cbranch_execnz .LBB1426_14
	s_branch .LBB1426_15
.LBB1426_6:
	s_mov_b64 s[4:5], 0
                                        ; implicit-def: $vgpr7
                                        ; implicit-def: $vgpr2
                                        ; implicit-def: $vgpr4
                                        ; implicit-def: $vgpr6
                                        ; implicit-def: $sgpr12
.LBB1426_7:
	s_add_i32 s12, s9, s23
	v_cmp_gt_u32_e32 vcc, s12, v0
	s_waitcnt vmcnt(1)
	v_mov_b32_e32 v4, 0
	v_mov_b32_e32 v2, 0
	s_and_saveexec_b64 s[4:5], vcc
	s_cbranch_execz .LBB1426_9
; %bb.8:
	v_subrev_u32_e32 v2, s9, v0
	s_waitcnt vmcnt(0)
	v_mad_u64_u32 v[6:7], s[6:7], v0, 20, s[0:1]
	v_mad_u64_u32 v[8:9], s[6:7], v2, 20, s[2:3]
	v_cmp_gt_u32_e32 vcc, s9, v0
	v_cndmask_b32_e32 v7, v9, v7, vcc
	v_cndmask_b32_e32 v6, v8, v6, vcc
	global_load_dword v2, v[6:7], off
.LBB1426_9:
	s_or_b64 exec, exec, s[4:5]
	v_cmp_gt_u32_e32 vcc, s12, v5
	s_and_saveexec_b64 s[4:5], vcc
	s_cbranch_execz .LBB1426_11
; %bb.10:
	v_subrev_u32_e32 v4, s9, v5
	s_waitcnt vmcnt(0)
	v_mad_u64_u32 v[6:7], s[6:7], v5, 20, s[0:1]
	v_mad_u64_u32 v[8:9], s[6:7], v4, 20, s[2:3]
	v_cmp_gt_u32_e32 vcc, s9, v5
	v_cndmask_b32_e32 v5, v9, v7, vcc
	v_cndmask_b32_e32 v4, v8, v6, vcc
	global_load_dword v4, v[4:5], off
.LBB1426_11:
	s_or_b64 exec, exec, s[4:5]
	v_cmp_gt_u32_e32 vcc, s12, v3
	s_waitcnt vmcnt(0)
	v_mov_b32_e32 v6, 0
	s_and_saveexec_b64 s[4:5], vcc
	s_cbranch_execz .LBB1426_13
; %bb.12:
	v_subrev_u32_e32 v5, s9, v3
	v_mad_u64_u32 v[6:7], s[6:7], v3, 20, s[0:1]
	v_mad_u64_u32 v[8:9], s[6:7], v5, 20, s[2:3]
	v_cmp_gt_u32_e32 vcc, s9, v3
	v_cndmask_b32_e32 v7, v9, v7, vcc
	v_cndmask_b32_e32 v6, v8, v6, vcc
	global_load_dword v6, v[6:7], off
.LBB1426_13:
	s_or_b64 exec, exec, s[4:5]
	v_add_u32_e32 v7, v3, v1
	v_cmp_gt_u32_e64 s[4:5], s12, v7
	s_mov_b32 s6, 0
	v_mov_b32_e32 v5, s12
	v_mov_b32_e32 v8, s6
	s_and_saveexec_b64 s[6:7], s[4:5]
	s_cbranch_execz .LBB1426_15
.LBB1426_14:
	v_subrev_u32_e32 v1, s9, v7
	v_mad_u64_u32 v[8:9], s[0:1], v7, 20, s[0:1]
	v_mad_u64_u32 v[10:11], s[0:1], v1, 20, s[2:3]
	v_cmp_gt_u32_e32 vcc, s9, v7
	v_cndmask_b32_e32 v9, v11, v9, vcc
	v_cndmask_b32_e32 v8, v10, v8, vcc
	global_load_dword v8, v[8:9], off
	v_mov_b32_e32 v5, s12
.LBB1426_15:
	s_or_b64 exec, exec, s[6:7]
	v_mov_b32_e32 v7, 0x1400
	v_mul_u32_u24_e32 v1, 20, v0
	v_mad_u32_u24 v7, v0, 20, v7
	s_waitcnt vmcnt(2)
	ds_write2_b32 v1, v2, v2 offset1:1
	ds_write2_b32 v1, v2, v2 offset0:2 offset1:3
	s_waitcnt vmcnt(0)
	ds_write2_b32 v7, v6, v6 offset1:1
	v_mov_b32_e32 v7, 0x1408
	v_mov_b32_e32 v3, 0xa00
	v_mad_u32_u24 v7, v0, 20, v7
	v_mad_u32_u24 v3, v0, 20, v3
	ds_write2_b32 v7, v6, v6 offset1:1
	v_mov_b32_e32 v7, 0x1e00
	ds_write2_b32 v3, v4, v4 offset1:1
	v_mov_b32_e32 v3, 0xa08
	v_mad_u32_u24 v7, v0, 20, v7
	v_mad_u32_u24 v3, v0, 20, v3
	ds_write2_b32 v7, v8, v8 offset1:1
	v_mov_b32_e32 v7, 0x1e08
	ds_write2_b32 v3, v4, v4 offset1:1
	v_add_u32_e32 v3, 16, v1
	v_mad_u32_u24 v7, v0, 20, v7
	ds_write2st64_b32 v3, v2, v4 offset1:10
	ds_write2_b32 v7, v8, v8 offset1:1
	ds_write2st64_b32 v3, v6, v8 offset0:20 offset1:30
	v_lshlrev_b32_e32 v3, 2, v0
	v_min_u32_e32 v9, v5, v3
	v_sub_u32_e64 v7, v9, s23 clamp
	v_min_u32_e32 v11, s9, v9
	v_cmp_lt_u32_e32 vcc, v7, v11
	s_waitcnt lgkmcnt(0)
	s_barrier
	s_and_saveexec_b64 s[0:1], vcc
	s_cbranch_execz .LBB1426_19
; %bb.16:
	s_mul_i32 s2, s9, 20
	v_mad_u32_u24 v10, v9, 20, s2
	s_mov_b64 s[2:3], 0
.LBB1426_17:                            ; =>This Inner Loop Header: Depth=1
	v_add_u32_e32 v12, v11, v7
	v_lshrrev_b32_e32 v14, 1, v12
	v_not_b32_e32 v12, v14
	v_mul_lo_u32 v15, v14, 20
	v_mad_u64_u32 v[12:13], s[4:5], v12, 20, v[10:11]
	ds_read_b32 v13, v15
	ds_read_b32 v12, v12
	v_add_u32_e32 v15, 1, v14
	s_waitcnt lgkmcnt(0)
	v_cmp_lt_i32_e32 vcc, v12, v13
	v_cndmask_b32_e32 v11, v11, v14, vcc
	v_cndmask_b32_e32 v7, v15, v7, vcc
	v_cmp_ge_u32_e32 vcc, v7, v11
	s_or_b64 s[2:3], vcc, s[2:3]
	s_andn2_b64 exec, exec, s[2:3]
	s_cbranch_execnz .LBB1426_17
; %bb.18:
	s_or_b64 exec, exec, s[2:3]
.LBB1426_19:
	s_or_b64 exec, exec, s[0:1]
	v_sub_u32_e32 v9, v9, v7
	v_add_u32_e32 v9, s9, v9
	v_cmp_ge_u32_e32 vcc, s9, v7
	v_cmp_le_u32_e64 s[0:1], v9, v5
	s_or_b64 s[0:1], vcc, s[0:1]
	s_and_saveexec_b64 s[12:13], s[0:1]
	s_cbranch_execz .LBB1426_25
; %bb.20:
	v_cmp_gt_u32_e32 vcc, s9, v7
	v_mov_b32_e32 v2, 0
	v_mov_b32_e32 v4, 0
	s_and_saveexec_b64 s[0:1], vcc
	s_cbranch_execz .LBB1426_22
; %bb.21:
	v_mul_lo_u32 v4, v7, 20
	ds_read_b32 v4, v4
.LBB1426_22:
	s_or_b64 exec, exec, s[0:1]
	v_cmp_ge_u32_e64 s[0:1], v9, v5
	v_cmp_lt_u32_e64 s[2:3], v9, v5
	s_and_saveexec_b64 s[4:5], s[2:3]
	s_cbranch_execz .LBB1426_24
; %bb.23:
	v_mul_lo_u32 v2, v9, 20
	ds_read_b32 v2, v2
.LBB1426_24:
	s_or_b64 exec, exec, s[4:5]
	s_waitcnt lgkmcnt(0)
	v_cmp_ge_i32_e64 s[2:3], v2, v4
	s_and_b64 s[2:3], vcc, s[2:3]
	s_or_b64 vcc, s[0:1], s[2:3]
	v_mov_b32_e32 v8, s9
	v_cndmask_b32_e32 v6, v9, v7, vcc
	v_cndmask_b32_e32 v10, v5, v8, vcc
	v_add_u32_e32 v6, 1, v6
	v_add_u32_e32 v10, -1, v10
	v_min_u32_e32 v10, v6, v10
	v_mul_lo_u32 v10, v10, 20
	ds_read_b32 v10, v10
	v_cndmask_b32_e32 v9, v6, v9, vcc
	v_cndmask_b32_e32 v6, v7, v6, vcc
	v_cmp_gt_u32_e64 s[2:3], s9, v6
	v_cmp_ge_u32_e64 s[0:1], v9, v5
	s_waitcnt lgkmcnt(0)
	v_cndmask_b32_e32 v11, v10, v2, vcc
	v_cndmask_b32_e32 v10, v4, v10, vcc
	v_cmp_ge_i32_e64 s[4:5], v11, v10
	s_and_b64 s[2:3], s[2:3], s[4:5]
	s_or_b64 s[0:1], s[0:1], s[2:3]
	v_cndmask_b32_e64 v7, v9, v6, s[0:1]
	v_cndmask_b32_e64 v12, v5, v8, s[0:1]
	v_add_u32_e32 v7, 1, v7
	v_add_u32_e32 v12, -1, v12
	v_min_u32_e32 v12, v7, v12
	v_mul_lo_u32 v12, v12, 20
	ds_read_b32 v12, v12
	v_cndmask_b32_e64 v9, v7, v9, s[0:1]
	v_cndmask_b32_e64 v7, v6, v7, s[0:1]
	v_cmp_gt_u32_e64 s[4:5], s9, v7
	v_cmp_ge_u32_e64 s[2:3], v9, v5
	s_waitcnt lgkmcnt(0)
	v_cndmask_b32_e64 v13, v12, v11, s[0:1]
	v_cndmask_b32_e64 v12, v10, v12, s[0:1]
	v_cmp_ge_i32_e64 s[6:7], v13, v12
	s_and_b64 s[4:5], s[4:5], s[6:7]
	s_or_b64 s[2:3], s[2:3], s[4:5]
	v_cndmask_b32_e64 v6, v9, v7, s[2:3]
	v_cndmask_b32_e64 v8, v5, v8, s[2:3]
	v_add_u32_e32 v14, 1, v6
	v_add_u32_e32 v6, -1, v8
	v_min_u32_e32 v6, v14, v6
	v_mul_lo_u32 v6, v6, 20
	ds_read_b32 v8, v6
	v_cndmask_b32_e32 v2, v2, v4, vcc
	v_cndmask_b32_e64 v4, v11, v10, s[0:1]
	v_cndmask_b32_e64 v7, v7, v14, s[2:3]
	;; [unrolled: 1-line block ×3, first 2 shown]
	s_waitcnt lgkmcnt(0)
	v_cndmask_b32_e64 v10, v8, v13, s[2:3]
	v_cndmask_b32_e64 v8, v12, v8, s[2:3]
	;; [unrolled: 1-line block ×3, first 2 shown]
	v_cmp_gt_u32_e64 s[0:1], s9, v7
	v_cmp_ge_i32_e64 s[2:3], v10, v8
	v_cmp_ge_u32_e32 vcc, v9, v5
	s_and_b64 s[0:1], s[0:1], s[2:3]
	s_or_b64 vcc, vcc, s[0:1]
	v_cndmask_b32_e32 v8, v10, v8, vcc
.LBB1426_25:
	s_or_b64 exec, exec, s[12:13]
	v_lshrrev_b32_e32 v5, 3, v0
	v_mul_u32_u24_e32 v3, 20, v3
	v_mad_u32_u24 v3, v5, 20, v3
	s_barrier
	s_barrier
	ds_write2_b32 v3, v2, v2 offset1:1
	ds_write2_b32 v3, v2, v2 offset0:2 offset1:3
	ds_write2_b32 v3, v4, v4 offset0:5 offset1:6
	;; [unrolled: 1-line block ×9, first 2 shown]
	v_lshrrev_b32_e32 v2, 5, v0
	v_or_b32_e32 v7, 0x80, v0
	s_mul_i32 s0, s17, 20
	s_mul_hi_u32 s1, s16, 20
	v_mad_u32_u24 v8, v2, 20, v1
	v_lshrrev_b32_e32 v2, 5, v7
	v_or_b32_e32 v5, 0x100, v0
	s_add_i32 s1, s1, s0
	s_mul_i32 s0, s16, 20
	v_mad_u32_u24 v4, v2, 20, v1
	v_lshrrev_b32_e32 v2, 5, v5
	v_or_b32_e32 v3, 0x180, v0
	s_add_u32 s0, s14, s0
	v_mad_u32_u24 v9, v2, 20, v1
	v_lshrrev_b32_e32 v2, 5, v3
	s_addc_u32 s1, s15, s1
	v_mad_u32_u24 v1, v2, 20, v1
	s_and_b64 vcc, exec, s[10:11]
	s_waitcnt lgkmcnt(0)
	s_cbranch_vccz .LBB1426_27
; %bb.26:
	s_barrier
	ds_read_b32 v10, v8
	ds_read_b32 v14, v4 offset:2560
	ds_read_b32 v18, v9 offset:5120
	;; [unrolled: 1-line block ×3, first 2 shown]
	v_mad_u64_u32 v[22:23], s[2:3], v0, 20, s[0:1]
	s_waitcnt lgkmcnt(3)
	v_mov_b32_e32 v11, v10
	v_mov_b32_e32 v12, v10
	;; [unrolled: 1-line block ×3, first 2 shown]
	global_store_dwordx4 v[22:23], v[10:13], off
	global_store_dword v[22:23], v10, off offset:16
	v_add_co_u32_e32 v10, vcc, 0x1000, v22
	s_waitcnt lgkmcnt(2)
	v_mov_b32_e32 v15, v14
	v_mov_b32_e32 v16, v14
	;; [unrolled: 1-line block ×3, first 2 shown]
	s_waitcnt lgkmcnt(1)
	v_mov_b32_e32 v19, v18
	v_mov_b32_e32 v20, v18
	;; [unrolled: 1-line block ×3, first 2 shown]
	v_addc_co_u32_e32 v11, vcc, 0, v23, vcc
	global_store_dwordx4 v[22:23], v[14:17], off offset:2560
	global_store_dword v[22:23], v14, off offset:2576
	global_store_dwordx4 v[10:11], v[18:21], off offset:1024
	global_store_dword v[10:11], v18, off offset:1040
	s_mov_b64 s[2:3], -1
	s_cbranch_execz .LBB1426_28
	s_branch .LBB1426_33
.LBB1426_27:
	s_mov_b64 s[2:3], 0
                                        ; implicit-def: $vgpr2
.LBB1426_28:
	s_barrier
	s_waitcnt lgkmcnt(0)
	ds_read_b32 v6, v4 offset:2560
	ds_read_b32 v4, v9 offset:5120
	;; [unrolled: 1-line block ×3, first 2 shown]
	s_sub_i32 s4, s8, s16
	v_mad_u64_u32 v[10:11], s[2:3], v0, 20, s[0:1]
	v_cmp_gt_u32_e32 vcc, s4, v0
	s_and_saveexec_b64 s[2:3], vcc
	s_cbranch_execnz .LBB1426_36
; %bb.29:
	s_or_b64 exec, exec, s[2:3]
	v_cmp_gt_u32_e32 vcc, s4, v7
	s_and_saveexec_b64 s[2:3], vcc
	s_cbranch_execnz .LBB1426_37
.LBB1426_30:
	s_or_b64 exec, exec, s[2:3]
	v_cmp_gt_u32_e32 vcc, s4, v5
	s_and_saveexec_b64 s[2:3], vcc
	s_cbranch_execz .LBB1426_32
.LBB1426_31:
	v_add_co_u32_e32 v8, vcc, 0x1000, v10
	s_waitcnt lgkmcnt(1)
	v_mov_b32_e32 v5, v4
	v_mov_b32_e32 v6, v4
	;; [unrolled: 1-line block ×3, first 2 shown]
	v_addc_co_u32_e32 v9, vcc, 0, v11, vcc
	global_store_dwordx4 v[8:9], v[4:7], off offset:1024
	global_store_dword v[8:9], v4, off offset:1040
.LBB1426_32:
	s_or_b64 exec, exec, s[2:3]
	v_cmp_gt_u32_e64 s[2:3], s4, v3
.LBB1426_33:
	s_and_saveexec_b64 s[4:5], s[2:3]
	s_cbranch_execz .LBB1426_35
; %bb.34:
	v_mad_u64_u32 v[0:1], s[0:1], v0, 20, s[0:1]
	v_add_co_u32_e32 v0, vcc, 0x1000, v0
	s_waitcnt lgkmcnt(0)
	v_mov_b32_e32 v3, v2
	v_mov_b32_e32 v4, v2
	;; [unrolled: 1-line block ×3, first 2 shown]
	v_addc_co_u32_e32 v1, vcc, 0, v1, vcc
	global_store_dwordx4 v[0:1], v[2:5], off offset:3584
	global_store_dword v[0:1], v2, off offset:3600
.LBB1426_35:
	s_endpgm
.LBB1426_36:
	ds_read_b32 v12, v8
	s_waitcnt lgkmcnt(0)
	v_mov_b32_e32 v13, v12
	v_mov_b32_e32 v14, v12
	v_mov_b32_e32 v15, v12
	global_store_dwordx4 v[10:11], v[12:15], off
	global_store_dword v[10:11], v12, off offset:16
	s_or_b64 exec, exec, s[2:3]
	v_cmp_gt_u32_e32 vcc, s4, v7
	s_and_saveexec_b64 s[2:3], vcc
	s_cbranch_execz .LBB1426_30
.LBB1426_37:
	s_waitcnt lgkmcnt(2)
	v_mov_b32_e32 v7, v6
	v_mov_b32_e32 v8, v6
	;; [unrolled: 1-line block ×3, first 2 shown]
	global_store_dwordx4 v[10:11], v[6:9], off offset:2560
	global_store_dword v[10:11], v6, off offset:2576
	s_or_b64 exec, exec, s[2:3]
	v_cmp_gt_u32_e32 vcc, s4, v5
	s_and_saveexec_b64 s[2:3], vcc
	s_cbranch_execnz .LBB1426_31
	s_branch .LBB1426_32
	.section	.rodata,"a",@progbits
	.p2align	6, 0x0
	.amdhsa_kernel _ZN7rocprim17ROCPRIM_400000_NS6detail17trampoline_kernelINS0_14default_configENS1_38merge_sort_block_merge_config_selectorI14custom_numericNS0_10empty_typeEEEZZNS1_27merge_sort_block_merge_implIS3_N6thrust23THRUST_200600_302600_NS6detail15normal_iteratorINSA_10device_ptrIS5_EEEEPS6_mNSA_4lessIS5_EEEE10hipError_tT0_T1_T2_jT3_P12ihipStream_tbPNSt15iterator_traitsISK_E10value_typeEPNSQ_ISL_E10value_typeEPSM_NS1_7vsmem_tEENKUlT_SK_SL_SM_E_clIPS5_SF_SG_SG_EESJ_SZ_SK_SL_SM_EUlSZ_E0_NS1_11comp_targetILNS1_3genE4ELNS1_11target_archE910ELNS1_3gpuE8ELNS1_3repE0EEENS1_38merge_mergepath_config_static_selectorELNS0_4arch9wavefront6targetE1EEEvSL_
		.amdhsa_group_segment_fixed_size 10560
		.amdhsa_private_segment_fixed_size 0
		.amdhsa_kernarg_size 328
		.amdhsa_user_sgpr_count 6
		.amdhsa_user_sgpr_private_segment_buffer 1
		.amdhsa_user_sgpr_dispatch_ptr 0
		.amdhsa_user_sgpr_queue_ptr 0
		.amdhsa_user_sgpr_kernarg_segment_ptr 1
		.amdhsa_user_sgpr_dispatch_id 0
		.amdhsa_user_sgpr_flat_scratch_init 0
		.amdhsa_user_sgpr_kernarg_preload_length 0
		.amdhsa_user_sgpr_kernarg_preload_offset 0
		.amdhsa_user_sgpr_private_segment_size 0
		.amdhsa_uses_dynamic_stack 0
		.amdhsa_system_sgpr_private_segment_wavefront_offset 0
		.amdhsa_system_sgpr_workgroup_id_x 1
		.amdhsa_system_sgpr_workgroup_id_y 1
		.amdhsa_system_sgpr_workgroup_id_z 1
		.amdhsa_system_sgpr_workgroup_info 0
		.amdhsa_system_vgpr_workitem_id 0
		.amdhsa_next_free_vgpr 24
		.amdhsa_next_free_sgpr 31
		.amdhsa_accum_offset 24
		.amdhsa_reserve_vcc 1
		.amdhsa_reserve_flat_scratch 0
		.amdhsa_float_round_mode_32 0
		.amdhsa_float_round_mode_16_64 0
		.amdhsa_float_denorm_mode_32 3
		.amdhsa_float_denorm_mode_16_64 3
		.amdhsa_dx10_clamp 1
		.amdhsa_ieee_mode 1
		.amdhsa_fp16_overflow 0
		.amdhsa_tg_split 0
		.amdhsa_exception_fp_ieee_invalid_op 0
		.amdhsa_exception_fp_denorm_src 0
		.amdhsa_exception_fp_ieee_div_zero 0
		.amdhsa_exception_fp_ieee_overflow 0
		.amdhsa_exception_fp_ieee_underflow 0
		.amdhsa_exception_fp_ieee_inexact 0
		.amdhsa_exception_int_div_zero 0
	.end_amdhsa_kernel
	.section	.text._ZN7rocprim17ROCPRIM_400000_NS6detail17trampoline_kernelINS0_14default_configENS1_38merge_sort_block_merge_config_selectorI14custom_numericNS0_10empty_typeEEEZZNS1_27merge_sort_block_merge_implIS3_N6thrust23THRUST_200600_302600_NS6detail15normal_iteratorINSA_10device_ptrIS5_EEEEPS6_mNSA_4lessIS5_EEEE10hipError_tT0_T1_T2_jT3_P12ihipStream_tbPNSt15iterator_traitsISK_E10value_typeEPNSQ_ISL_E10value_typeEPSM_NS1_7vsmem_tEENKUlT_SK_SL_SM_E_clIPS5_SF_SG_SG_EESJ_SZ_SK_SL_SM_EUlSZ_E0_NS1_11comp_targetILNS1_3genE4ELNS1_11target_archE910ELNS1_3gpuE8ELNS1_3repE0EEENS1_38merge_mergepath_config_static_selectorELNS0_4arch9wavefront6targetE1EEEvSL_,"axG",@progbits,_ZN7rocprim17ROCPRIM_400000_NS6detail17trampoline_kernelINS0_14default_configENS1_38merge_sort_block_merge_config_selectorI14custom_numericNS0_10empty_typeEEEZZNS1_27merge_sort_block_merge_implIS3_N6thrust23THRUST_200600_302600_NS6detail15normal_iteratorINSA_10device_ptrIS5_EEEEPS6_mNSA_4lessIS5_EEEE10hipError_tT0_T1_T2_jT3_P12ihipStream_tbPNSt15iterator_traitsISK_E10value_typeEPNSQ_ISL_E10value_typeEPSM_NS1_7vsmem_tEENKUlT_SK_SL_SM_E_clIPS5_SF_SG_SG_EESJ_SZ_SK_SL_SM_EUlSZ_E0_NS1_11comp_targetILNS1_3genE4ELNS1_11target_archE910ELNS1_3gpuE8ELNS1_3repE0EEENS1_38merge_mergepath_config_static_selectorELNS0_4arch9wavefront6targetE1EEEvSL_,comdat
.Lfunc_end1426:
	.size	_ZN7rocprim17ROCPRIM_400000_NS6detail17trampoline_kernelINS0_14default_configENS1_38merge_sort_block_merge_config_selectorI14custom_numericNS0_10empty_typeEEEZZNS1_27merge_sort_block_merge_implIS3_N6thrust23THRUST_200600_302600_NS6detail15normal_iteratorINSA_10device_ptrIS5_EEEEPS6_mNSA_4lessIS5_EEEE10hipError_tT0_T1_T2_jT3_P12ihipStream_tbPNSt15iterator_traitsISK_E10value_typeEPNSQ_ISL_E10value_typeEPSM_NS1_7vsmem_tEENKUlT_SK_SL_SM_E_clIPS5_SF_SG_SG_EESJ_SZ_SK_SL_SM_EUlSZ_E0_NS1_11comp_targetILNS1_3genE4ELNS1_11target_archE910ELNS1_3gpuE8ELNS1_3repE0EEENS1_38merge_mergepath_config_static_selectorELNS0_4arch9wavefront6targetE1EEEvSL_, .Lfunc_end1426-_ZN7rocprim17ROCPRIM_400000_NS6detail17trampoline_kernelINS0_14default_configENS1_38merge_sort_block_merge_config_selectorI14custom_numericNS0_10empty_typeEEEZZNS1_27merge_sort_block_merge_implIS3_N6thrust23THRUST_200600_302600_NS6detail15normal_iteratorINSA_10device_ptrIS5_EEEEPS6_mNSA_4lessIS5_EEEE10hipError_tT0_T1_T2_jT3_P12ihipStream_tbPNSt15iterator_traitsISK_E10value_typeEPNSQ_ISL_E10value_typeEPSM_NS1_7vsmem_tEENKUlT_SK_SL_SM_E_clIPS5_SF_SG_SG_EESJ_SZ_SK_SL_SM_EUlSZ_E0_NS1_11comp_targetILNS1_3genE4ELNS1_11target_archE910ELNS1_3gpuE8ELNS1_3repE0EEENS1_38merge_mergepath_config_static_selectorELNS0_4arch9wavefront6targetE1EEEvSL_
                                        ; -- End function
	.section	.AMDGPU.csdata,"",@progbits
; Kernel info:
; codeLenInByte = 2424
; NumSgprs: 35
; NumVgprs: 24
; NumAgprs: 0
; TotalNumVgprs: 24
; ScratchSize: 0
; MemoryBound: 0
; FloatMode: 240
; IeeeMode: 1
; LDSByteSize: 10560 bytes/workgroup (compile time only)
; SGPRBlocks: 4
; VGPRBlocks: 2
; NumSGPRsForWavesPerEU: 35
; NumVGPRsForWavesPerEU: 24
; AccumOffset: 24
; Occupancy: 3
; WaveLimiterHint : 1
; COMPUTE_PGM_RSRC2:SCRATCH_EN: 0
; COMPUTE_PGM_RSRC2:USER_SGPR: 6
; COMPUTE_PGM_RSRC2:TRAP_HANDLER: 0
; COMPUTE_PGM_RSRC2:TGID_X_EN: 1
; COMPUTE_PGM_RSRC2:TGID_Y_EN: 1
; COMPUTE_PGM_RSRC2:TGID_Z_EN: 1
; COMPUTE_PGM_RSRC2:TIDIG_COMP_CNT: 0
; COMPUTE_PGM_RSRC3_GFX90A:ACCUM_OFFSET: 5
; COMPUTE_PGM_RSRC3_GFX90A:TG_SPLIT: 0
	.section	.text._ZN7rocprim17ROCPRIM_400000_NS6detail17trampoline_kernelINS0_14default_configENS1_38merge_sort_block_merge_config_selectorI14custom_numericNS0_10empty_typeEEEZZNS1_27merge_sort_block_merge_implIS3_N6thrust23THRUST_200600_302600_NS6detail15normal_iteratorINSA_10device_ptrIS5_EEEEPS6_mNSA_4lessIS5_EEEE10hipError_tT0_T1_T2_jT3_P12ihipStream_tbPNSt15iterator_traitsISK_E10value_typeEPNSQ_ISL_E10value_typeEPSM_NS1_7vsmem_tEENKUlT_SK_SL_SM_E_clIPS5_SF_SG_SG_EESJ_SZ_SK_SL_SM_EUlSZ_E0_NS1_11comp_targetILNS1_3genE3ELNS1_11target_archE908ELNS1_3gpuE7ELNS1_3repE0EEENS1_38merge_mergepath_config_static_selectorELNS0_4arch9wavefront6targetE1EEEvSL_,"axG",@progbits,_ZN7rocprim17ROCPRIM_400000_NS6detail17trampoline_kernelINS0_14default_configENS1_38merge_sort_block_merge_config_selectorI14custom_numericNS0_10empty_typeEEEZZNS1_27merge_sort_block_merge_implIS3_N6thrust23THRUST_200600_302600_NS6detail15normal_iteratorINSA_10device_ptrIS5_EEEEPS6_mNSA_4lessIS5_EEEE10hipError_tT0_T1_T2_jT3_P12ihipStream_tbPNSt15iterator_traitsISK_E10value_typeEPNSQ_ISL_E10value_typeEPSM_NS1_7vsmem_tEENKUlT_SK_SL_SM_E_clIPS5_SF_SG_SG_EESJ_SZ_SK_SL_SM_EUlSZ_E0_NS1_11comp_targetILNS1_3genE3ELNS1_11target_archE908ELNS1_3gpuE7ELNS1_3repE0EEENS1_38merge_mergepath_config_static_selectorELNS0_4arch9wavefront6targetE1EEEvSL_,comdat
	.protected	_ZN7rocprim17ROCPRIM_400000_NS6detail17trampoline_kernelINS0_14default_configENS1_38merge_sort_block_merge_config_selectorI14custom_numericNS0_10empty_typeEEEZZNS1_27merge_sort_block_merge_implIS3_N6thrust23THRUST_200600_302600_NS6detail15normal_iteratorINSA_10device_ptrIS5_EEEEPS6_mNSA_4lessIS5_EEEE10hipError_tT0_T1_T2_jT3_P12ihipStream_tbPNSt15iterator_traitsISK_E10value_typeEPNSQ_ISL_E10value_typeEPSM_NS1_7vsmem_tEENKUlT_SK_SL_SM_E_clIPS5_SF_SG_SG_EESJ_SZ_SK_SL_SM_EUlSZ_E0_NS1_11comp_targetILNS1_3genE3ELNS1_11target_archE908ELNS1_3gpuE7ELNS1_3repE0EEENS1_38merge_mergepath_config_static_selectorELNS0_4arch9wavefront6targetE1EEEvSL_ ; -- Begin function _ZN7rocprim17ROCPRIM_400000_NS6detail17trampoline_kernelINS0_14default_configENS1_38merge_sort_block_merge_config_selectorI14custom_numericNS0_10empty_typeEEEZZNS1_27merge_sort_block_merge_implIS3_N6thrust23THRUST_200600_302600_NS6detail15normal_iteratorINSA_10device_ptrIS5_EEEEPS6_mNSA_4lessIS5_EEEE10hipError_tT0_T1_T2_jT3_P12ihipStream_tbPNSt15iterator_traitsISK_E10value_typeEPNSQ_ISL_E10value_typeEPSM_NS1_7vsmem_tEENKUlT_SK_SL_SM_E_clIPS5_SF_SG_SG_EESJ_SZ_SK_SL_SM_EUlSZ_E0_NS1_11comp_targetILNS1_3genE3ELNS1_11target_archE908ELNS1_3gpuE7ELNS1_3repE0EEENS1_38merge_mergepath_config_static_selectorELNS0_4arch9wavefront6targetE1EEEvSL_
	.globl	_ZN7rocprim17ROCPRIM_400000_NS6detail17trampoline_kernelINS0_14default_configENS1_38merge_sort_block_merge_config_selectorI14custom_numericNS0_10empty_typeEEEZZNS1_27merge_sort_block_merge_implIS3_N6thrust23THRUST_200600_302600_NS6detail15normal_iteratorINSA_10device_ptrIS5_EEEEPS6_mNSA_4lessIS5_EEEE10hipError_tT0_T1_T2_jT3_P12ihipStream_tbPNSt15iterator_traitsISK_E10value_typeEPNSQ_ISL_E10value_typeEPSM_NS1_7vsmem_tEENKUlT_SK_SL_SM_E_clIPS5_SF_SG_SG_EESJ_SZ_SK_SL_SM_EUlSZ_E0_NS1_11comp_targetILNS1_3genE3ELNS1_11target_archE908ELNS1_3gpuE7ELNS1_3repE0EEENS1_38merge_mergepath_config_static_selectorELNS0_4arch9wavefront6targetE1EEEvSL_
	.p2align	8
	.type	_ZN7rocprim17ROCPRIM_400000_NS6detail17trampoline_kernelINS0_14default_configENS1_38merge_sort_block_merge_config_selectorI14custom_numericNS0_10empty_typeEEEZZNS1_27merge_sort_block_merge_implIS3_N6thrust23THRUST_200600_302600_NS6detail15normal_iteratorINSA_10device_ptrIS5_EEEEPS6_mNSA_4lessIS5_EEEE10hipError_tT0_T1_T2_jT3_P12ihipStream_tbPNSt15iterator_traitsISK_E10value_typeEPNSQ_ISL_E10value_typeEPSM_NS1_7vsmem_tEENKUlT_SK_SL_SM_E_clIPS5_SF_SG_SG_EESJ_SZ_SK_SL_SM_EUlSZ_E0_NS1_11comp_targetILNS1_3genE3ELNS1_11target_archE908ELNS1_3gpuE7ELNS1_3repE0EEENS1_38merge_mergepath_config_static_selectorELNS0_4arch9wavefront6targetE1EEEvSL_,@function
_ZN7rocprim17ROCPRIM_400000_NS6detail17trampoline_kernelINS0_14default_configENS1_38merge_sort_block_merge_config_selectorI14custom_numericNS0_10empty_typeEEEZZNS1_27merge_sort_block_merge_implIS3_N6thrust23THRUST_200600_302600_NS6detail15normal_iteratorINSA_10device_ptrIS5_EEEEPS6_mNSA_4lessIS5_EEEE10hipError_tT0_T1_T2_jT3_P12ihipStream_tbPNSt15iterator_traitsISK_E10value_typeEPNSQ_ISL_E10value_typeEPSM_NS1_7vsmem_tEENKUlT_SK_SL_SM_E_clIPS5_SF_SG_SG_EESJ_SZ_SK_SL_SM_EUlSZ_E0_NS1_11comp_targetILNS1_3genE3ELNS1_11target_archE908ELNS1_3gpuE7ELNS1_3repE0EEENS1_38merge_mergepath_config_static_selectorELNS0_4arch9wavefront6targetE1EEEvSL_: ; @_ZN7rocprim17ROCPRIM_400000_NS6detail17trampoline_kernelINS0_14default_configENS1_38merge_sort_block_merge_config_selectorI14custom_numericNS0_10empty_typeEEEZZNS1_27merge_sort_block_merge_implIS3_N6thrust23THRUST_200600_302600_NS6detail15normal_iteratorINSA_10device_ptrIS5_EEEEPS6_mNSA_4lessIS5_EEEE10hipError_tT0_T1_T2_jT3_P12ihipStream_tbPNSt15iterator_traitsISK_E10value_typeEPNSQ_ISL_E10value_typeEPSM_NS1_7vsmem_tEENKUlT_SK_SL_SM_E_clIPS5_SF_SG_SG_EESJ_SZ_SK_SL_SM_EUlSZ_E0_NS1_11comp_targetILNS1_3genE3ELNS1_11target_archE908ELNS1_3gpuE7ELNS1_3repE0EEENS1_38merge_mergepath_config_static_selectorELNS0_4arch9wavefront6targetE1EEEvSL_
; %bb.0:
	.section	.rodata,"a",@progbits
	.p2align	6, 0x0
	.amdhsa_kernel _ZN7rocprim17ROCPRIM_400000_NS6detail17trampoline_kernelINS0_14default_configENS1_38merge_sort_block_merge_config_selectorI14custom_numericNS0_10empty_typeEEEZZNS1_27merge_sort_block_merge_implIS3_N6thrust23THRUST_200600_302600_NS6detail15normal_iteratorINSA_10device_ptrIS5_EEEEPS6_mNSA_4lessIS5_EEEE10hipError_tT0_T1_T2_jT3_P12ihipStream_tbPNSt15iterator_traitsISK_E10value_typeEPNSQ_ISL_E10value_typeEPSM_NS1_7vsmem_tEENKUlT_SK_SL_SM_E_clIPS5_SF_SG_SG_EESJ_SZ_SK_SL_SM_EUlSZ_E0_NS1_11comp_targetILNS1_3genE3ELNS1_11target_archE908ELNS1_3gpuE7ELNS1_3repE0EEENS1_38merge_mergepath_config_static_selectorELNS0_4arch9wavefront6targetE1EEEvSL_
		.amdhsa_group_segment_fixed_size 0
		.amdhsa_private_segment_fixed_size 0
		.amdhsa_kernarg_size 72
		.amdhsa_user_sgpr_count 6
		.amdhsa_user_sgpr_private_segment_buffer 1
		.amdhsa_user_sgpr_dispatch_ptr 0
		.amdhsa_user_sgpr_queue_ptr 0
		.amdhsa_user_sgpr_kernarg_segment_ptr 1
		.amdhsa_user_sgpr_dispatch_id 0
		.amdhsa_user_sgpr_flat_scratch_init 0
		.amdhsa_user_sgpr_kernarg_preload_length 0
		.amdhsa_user_sgpr_kernarg_preload_offset 0
		.amdhsa_user_sgpr_private_segment_size 0
		.amdhsa_uses_dynamic_stack 0
		.amdhsa_system_sgpr_private_segment_wavefront_offset 0
		.amdhsa_system_sgpr_workgroup_id_x 1
		.amdhsa_system_sgpr_workgroup_id_y 0
		.amdhsa_system_sgpr_workgroup_id_z 0
		.amdhsa_system_sgpr_workgroup_info 0
		.amdhsa_system_vgpr_workitem_id 0
		.amdhsa_next_free_vgpr 1
		.amdhsa_next_free_sgpr 0
		.amdhsa_accum_offset 4
		.amdhsa_reserve_vcc 0
		.amdhsa_reserve_flat_scratch 0
		.amdhsa_float_round_mode_32 0
		.amdhsa_float_round_mode_16_64 0
		.amdhsa_float_denorm_mode_32 3
		.amdhsa_float_denorm_mode_16_64 3
		.amdhsa_dx10_clamp 1
		.amdhsa_ieee_mode 1
		.amdhsa_fp16_overflow 0
		.amdhsa_tg_split 0
		.amdhsa_exception_fp_ieee_invalid_op 0
		.amdhsa_exception_fp_denorm_src 0
		.amdhsa_exception_fp_ieee_div_zero 0
		.amdhsa_exception_fp_ieee_overflow 0
		.amdhsa_exception_fp_ieee_underflow 0
		.amdhsa_exception_fp_ieee_inexact 0
		.amdhsa_exception_int_div_zero 0
	.end_amdhsa_kernel
	.section	.text._ZN7rocprim17ROCPRIM_400000_NS6detail17trampoline_kernelINS0_14default_configENS1_38merge_sort_block_merge_config_selectorI14custom_numericNS0_10empty_typeEEEZZNS1_27merge_sort_block_merge_implIS3_N6thrust23THRUST_200600_302600_NS6detail15normal_iteratorINSA_10device_ptrIS5_EEEEPS6_mNSA_4lessIS5_EEEE10hipError_tT0_T1_T2_jT3_P12ihipStream_tbPNSt15iterator_traitsISK_E10value_typeEPNSQ_ISL_E10value_typeEPSM_NS1_7vsmem_tEENKUlT_SK_SL_SM_E_clIPS5_SF_SG_SG_EESJ_SZ_SK_SL_SM_EUlSZ_E0_NS1_11comp_targetILNS1_3genE3ELNS1_11target_archE908ELNS1_3gpuE7ELNS1_3repE0EEENS1_38merge_mergepath_config_static_selectorELNS0_4arch9wavefront6targetE1EEEvSL_,"axG",@progbits,_ZN7rocprim17ROCPRIM_400000_NS6detail17trampoline_kernelINS0_14default_configENS1_38merge_sort_block_merge_config_selectorI14custom_numericNS0_10empty_typeEEEZZNS1_27merge_sort_block_merge_implIS3_N6thrust23THRUST_200600_302600_NS6detail15normal_iteratorINSA_10device_ptrIS5_EEEEPS6_mNSA_4lessIS5_EEEE10hipError_tT0_T1_T2_jT3_P12ihipStream_tbPNSt15iterator_traitsISK_E10value_typeEPNSQ_ISL_E10value_typeEPSM_NS1_7vsmem_tEENKUlT_SK_SL_SM_E_clIPS5_SF_SG_SG_EESJ_SZ_SK_SL_SM_EUlSZ_E0_NS1_11comp_targetILNS1_3genE3ELNS1_11target_archE908ELNS1_3gpuE7ELNS1_3repE0EEENS1_38merge_mergepath_config_static_selectorELNS0_4arch9wavefront6targetE1EEEvSL_,comdat
.Lfunc_end1427:
	.size	_ZN7rocprim17ROCPRIM_400000_NS6detail17trampoline_kernelINS0_14default_configENS1_38merge_sort_block_merge_config_selectorI14custom_numericNS0_10empty_typeEEEZZNS1_27merge_sort_block_merge_implIS3_N6thrust23THRUST_200600_302600_NS6detail15normal_iteratorINSA_10device_ptrIS5_EEEEPS6_mNSA_4lessIS5_EEEE10hipError_tT0_T1_T2_jT3_P12ihipStream_tbPNSt15iterator_traitsISK_E10value_typeEPNSQ_ISL_E10value_typeEPSM_NS1_7vsmem_tEENKUlT_SK_SL_SM_E_clIPS5_SF_SG_SG_EESJ_SZ_SK_SL_SM_EUlSZ_E0_NS1_11comp_targetILNS1_3genE3ELNS1_11target_archE908ELNS1_3gpuE7ELNS1_3repE0EEENS1_38merge_mergepath_config_static_selectorELNS0_4arch9wavefront6targetE1EEEvSL_, .Lfunc_end1427-_ZN7rocprim17ROCPRIM_400000_NS6detail17trampoline_kernelINS0_14default_configENS1_38merge_sort_block_merge_config_selectorI14custom_numericNS0_10empty_typeEEEZZNS1_27merge_sort_block_merge_implIS3_N6thrust23THRUST_200600_302600_NS6detail15normal_iteratorINSA_10device_ptrIS5_EEEEPS6_mNSA_4lessIS5_EEEE10hipError_tT0_T1_T2_jT3_P12ihipStream_tbPNSt15iterator_traitsISK_E10value_typeEPNSQ_ISL_E10value_typeEPSM_NS1_7vsmem_tEENKUlT_SK_SL_SM_E_clIPS5_SF_SG_SG_EESJ_SZ_SK_SL_SM_EUlSZ_E0_NS1_11comp_targetILNS1_3genE3ELNS1_11target_archE908ELNS1_3gpuE7ELNS1_3repE0EEENS1_38merge_mergepath_config_static_selectorELNS0_4arch9wavefront6targetE1EEEvSL_
                                        ; -- End function
	.section	.AMDGPU.csdata,"",@progbits
; Kernel info:
; codeLenInByte = 0
; NumSgprs: 4
; NumVgprs: 0
; NumAgprs: 0
; TotalNumVgprs: 0
; ScratchSize: 0
; MemoryBound: 0
; FloatMode: 240
; IeeeMode: 1
; LDSByteSize: 0 bytes/workgroup (compile time only)
; SGPRBlocks: 0
; VGPRBlocks: 0
; NumSGPRsForWavesPerEU: 4
; NumVGPRsForWavesPerEU: 1
; AccumOffset: 4
; Occupancy: 8
; WaveLimiterHint : 0
; COMPUTE_PGM_RSRC2:SCRATCH_EN: 0
; COMPUTE_PGM_RSRC2:USER_SGPR: 6
; COMPUTE_PGM_RSRC2:TRAP_HANDLER: 0
; COMPUTE_PGM_RSRC2:TGID_X_EN: 1
; COMPUTE_PGM_RSRC2:TGID_Y_EN: 0
; COMPUTE_PGM_RSRC2:TGID_Z_EN: 0
; COMPUTE_PGM_RSRC2:TIDIG_COMP_CNT: 0
; COMPUTE_PGM_RSRC3_GFX90A:ACCUM_OFFSET: 0
; COMPUTE_PGM_RSRC3_GFX90A:TG_SPLIT: 0
	.section	.text._ZN7rocprim17ROCPRIM_400000_NS6detail17trampoline_kernelINS0_14default_configENS1_38merge_sort_block_merge_config_selectorI14custom_numericNS0_10empty_typeEEEZZNS1_27merge_sort_block_merge_implIS3_N6thrust23THRUST_200600_302600_NS6detail15normal_iteratorINSA_10device_ptrIS5_EEEEPS6_mNSA_4lessIS5_EEEE10hipError_tT0_T1_T2_jT3_P12ihipStream_tbPNSt15iterator_traitsISK_E10value_typeEPNSQ_ISL_E10value_typeEPSM_NS1_7vsmem_tEENKUlT_SK_SL_SM_E_clIPS5_SF_SG_SG_EESJ_SZ_SK_SL_SM_EUlSZ_E0_NS1_11comp_targetILNS1_3genE2ELNS1_11target_archE906ELNS1_3gpuE6ELNS1_3repE0EEENS1_38merge_mergepath_config_static_selectorELNS0_4arch9wavefront6targetE1EEEvSL_,"axG",@progbits,_ZN7rocprim17ROCPRIM_400000_NS6detail17trampoline_kernelINS0_14default_configENS1_38merge_sort_block_merge_config_selectorI14custom_numericNS0_10empty_typeEEEZZNS1_27merge_sort_block_merge_implIS3_N6thrust23THRUST_200600_302600_NS6detail15normal_iteratorINSA_10device_ptrIS5_EEEEPS6_mNSA_4lessIS5_EEEE10hipError_tT0_T1_T2_jT3_P12ihipStream_tbPNSt15iterator_traitsISK_E10value_typeEPNSQ_ISL_E10value_typeEPSM_NS1_7vsmem_tEENKUlT_SK_SL_SM_E_clIPS5_SF_SG_SG_EESJ_SZ_SK_SL_SM_EUlSZ_E0_NS1_11comp_targetILNS1_3genE2ELNS1_11target_archE906ELNS1_3gpuE6ELNS1_3repE0EEENS1_38merge_mergepath_config_static_selectorELNS0_4arch9wavefront6targetE1EEEvSL_,comdat
	.protected	_ZN7rocprim17ROCPRIM_400000_NS6detail17trampoline_kernelINS0_14default_configENS1_38merge_sort_block_merge_config_selectorI14custom_numericNS0_10empty_typeEEEZZNS1_27merge_sort_block_merge_implIS3_N6thrust23THRUST_200600_302600_NS6detail15normal_iteratorINSA_10device_ptrIS5_EEEEPS6_mNSA_4lessIS5_EEEE10hipError_tT0_T1_T2_jT3_P12ihipStream_tbPNSt15iterator_traitsISK_E10value_typeEPNSQ_ISL_E10value_typeEPSM_NS1_7vsmem_tEENKUlT_SK_SL_SM_E_clIPS5_SF_SG_SG_EESJ_SZ_SK_SL_SM_EUlSZ_E0_NS1_11comp_targetILNS1_3genE2ELNS1_11target_archE906ELNS1_3gpuE6ELNS1_3repE0EEENS1_38merge_mergepath_config_static_selectorELNS0_4arch9wavefront6targetE1EEEvSL_ ; -- Begin function _ZN7rocprim17ROCPRIM_400000_NS6detail17trampoline_kernelINS0_14default_configENS1_38merge_sort_block_merge_config_selectorI14custom_numericNS0_10empty_typeEEEZZNS1_27merge_sort_block_merge_implIS3_N6thrust23THRUST_200600_302600_NS6detail15normal_iteratorINSA_10device_ptrIS5_EEEEPS6_mNSA_4lessIS5_EEEE10hipError_tT0_T1_T2_jT3_P12ihipStream_tbPNSt15iterator_traitsISK_E10value_typeEPNSQ_ISL_E10value_typeEPSM_NS1_7vsmem_tEENKUlT_SK_SL_SM_E_clIPS5_SF_SG_SG_EESJ_SZ_SK_SL_SM_EUlSZ_E0_NS1_11comp_targetILNS1_3genE2ELNS1_11target_archE906ELNS1_3gpuE6ELNS1_3repE0EEENS1_38merge_mergepath_config_static_selectorELNS0_4arch9wavefront6targetE1EEEvSL_
	.globl	_ZN7rocprim17ROCPRIM_400000_NS6detail17trampoline_kernelINS0_14default_configENS1_38merge_sort_block_merge_config_selectorI14custom_numericNS0_10empty_typeEEEZZNS1_27merge_sort_block_merge_implIS3_N6thrust23THRUST_200600_302600_NS6detail15normal_iteratorINSA_10device_ptrIS5_EEEEPS6_mNSA_4lessIS5_EEEE10hipError_tT0_T1_T2_jT3_P12ihipStream_tbPNSt15iterator_traitsISK_E10value_typeEPNSQ_ISL_E10value_typeEPSM_NS1_7vsmem_tEENKUlT_SK_SL_SM_E_clIPS5_SF_SG_SG_EESJ_SZ_SK_SL_SM_EUlSZ_E0_NS1_11comp_targetILNS1_3genE2ELNS1_11target_archE906ELNS1_3gpuE6ELNS1_3repE0EEENS1_38merge_mergepath_config_static_selectorELNS0_4arch9wavefront6targetE1EEEvSL_
	.p2align	8
	.type	_ZN7rocprim17ROCPRIM_400000_NS6detail17trampoline_kernelINS0_14default_configENS1_38merge_sort_block_merge_config_selectorI14custom_numericNS0_10empty_typeEEEZZNS1_27merge_sort_block_merge_implIS3_N6thrust23THRUST_200600_302600_NS6detail15normal_iteratorINSA_10device_ptrIS5_EEEEPS6_mNSA_4lessIS5_EEEE10hipError_tT0_T1_T2_jT3_P12ihipStream_tbPNSt15iterator_traitsISK_E10value_typeEPNSQ_ISL_E10value_typeEPSM_NS1_7vsmem_tEENKUlT_SK_SL_SM_E_clIPS5_SF_SG_SG_EESJ_SZ_SK_SL_SM_EUlSZ_E0_NS1_11comp_targetILNS1_3genE2ELNS1_11target_archE906ELNS1_3gpuE6ELNS1_3repE0EEENS1_38merge_mergepath_config_static_selectorELNS0_4arch9wavefront6targetE1EEEvSL_,@function
_ZN7rocprim17ROCPRIM_400000_NS6detail17trampoline_kernelINS0_14default_configENS1_38merge_sort_block_merge_config_selectorI14custom_numericNS0_10empty_typeEEEZZNS1_27merge_sort_block_merge_implIS3_N6thrust23THRUST_200600_302600_NS6detail15normal_iteratorINSA_10device_ptrIS5_EEEEPS6_mNSA_4lessIS5_EEEE10hipError_tT0_T1_T2_jT3_P12ihipStream_tbPNSt15iterator_traitsISK_E10value_typeEPNSQ_ISL_E10value_typeEPSM_NS1_7vsmem_tEENKUlT_SK_SL_SM_E_clIPS5_SF_SG_SG_EESJ_SZ_SK_SL_SM_EUlSZ_E0_NS1_11comp_targetILNS1_3genE2ELNS1_11target_archE906ELNS1_3gpuE6ELNS1_3repE0EEENS1_38merge_mergepath_config_static_selectorELNS0_4arch9wavefront6targetE1EEEvSL_: ; @_ZN7rocprim17ROCPRIM_400000_NS6detail17trampoline_kernelINS0_14default_configENS1_38merge_sort_block_merge_config_selectorI14custom_numericNS0_10empty_typeEEEZZNS1_27merge_sort_block_merge_implIS3_N6thrust23THRUST_200600_302600_NS6detail15normal_iteratorINSA_10device_ptrIS5_EEEEPS6_mNSA_4lessIS5_EEEE10hipError_tT0_T1_T2_jT3_P12ihipStream_tbPNSt15iterator_traitsISK_E10value_typeEPNSQ_ISL_E10value_typeEPSM_NS1_7vsmem_tEENKUlT_SK_SL_SM_E_clIPS5_SF_SG_SG_EESJ_SZ_SK_SL_SM_EUlSZ_E0_NS1_11comp_targetILNS1_3genE2ELNS1_11target_archE906ELNS1_3gpuE6ELNS1_3repE0EEENS1_38merge_mergepath_config_static_selectorELNS0_4arch9wavefront6targetE1EEEvSL_
; %bb.0:
	.section	.rodata,"a",@progbits
	.p2align	6, 0x0
	.amdhsa_kernel _ZN7rocprim17ROCPRIM_400000_NS6detail17trampoline_kernelINS0_14default_configENS1_38merge_sort_block_merge_config_selectorI14custom_numericNS0_10empty_typeEEEZZNS1_27merge_sort_block_merge_implIS3_N6thrust23THRUST_200600_302600_NS6detail15normal_iteratorINSA_10device_ptrIS5_EEEEPS6_mNSA_4lessIS5_EEEE10hipError_tT0_T1_T2_jT3_P12ihipStream_tbPNSt15iterator_traitsISK_E10value_typeEPNSQ_ISL_E10value_typeEPSM_NS1_7vsmem_tEENKUlT_SK_SL_SM_E_clIPS5_SF_SG_SG_EESJ_SZ_SK_SL_SM_EUlSZ_E0_NS1_11comp_targetILNS1_3genE2ELNS1_11target_archE906ELNS1_3gpuE6ELNS1_3repE0EEENS1_38merge_mergepath_config_static_selectorELNS0_4arch9wavefront6targetE1EEEvSL_
		.amdhsa_group_segment_fixed_size 0
		.amdhsa_private_segment_fixed_size 0
		.amdhsa_kernarg_size 72
		.amdhsa_user_sgpr_count 6
		.amdhsa_user_sgpr_private_segment_buffer 1
		.amdhsa_user_sgpr_dispatch_ptr 0
		.amdhsa_user_sgpr_queue_ptr 0
		.amdhsa_user_sgpr_kernarg_segment_ptr 1
		.amdhsa_user_sgpr_dispatch_id 0
		.amdhsa_user_sgpr_flat_scratch_init 0
		.amdhsa_user_sgpr_kernarg_preload_length 0
		.amdhsa_user_sgpr_kernarg_preload_offset 0
		.amdhsa_user_sgpr_private_segment_size 0
		.amdhsa_uses_dynamic_stack 0
		.amdhsa_system_sgpr_private_segment_wavefront_offset 0
		.amdhsa_system_sgpr_workgroup_id_x 1
		.amdhsa_system_sgpr_workgroup_id_y 0
		.amdhsa_system_sgpr_workgroup_id_z 0
		.amdhsa_system_sgpr_workgroup_info 0
		.amdhsa_system_vgpr_workitem_id 0
		.amdhsa_next_free_vgpr 1
		.amdhsa_next_free_sgpr 0
		.amdhsa_accum_offset 4
		.amdhsa_reserve_vcc 0
		.amdhsa_reserve_flat_scratch 0
		.amdhsa_float_round_mode_32 0
		.amdhsa_float_round_mode_16_64 0
		.amdhsa_float_denorm_mode_32 3
		.amdhsa_float_denorm_mode_16_64 3
		.amdhsa_dx10_clamp 1
		.amdhsa_ieee_mode 1
		.amdhsa_fp16_overflow 0
		.amdhsa_tg_split 0
		.amdhsa_exception_fp_ieee_invalid_op 0
		.amdhsa_exception_fp_denorm_src 0
		.amdhsa_exception_fp_ieee_div_zero 0
		.amdhsa_exception_fp_ieee_overflow 0
		.amdhsa_exception_fp_ieee_underflow 0
		.amdhsa_exception_fp_ieee_inexact 0
		.amdhsa_exception_int_div_zero 0
	.end_amdhsa_kernel
	.section	.text._ZN7rocprim17ROCPRIM_400000_NS6detail17trampoline_kernelINS0_14default_configENS1_38merge_sort_block_merge_config_selectorI14custom_numericNS0_10empty_typeEEEZZNS1_27merge_sort_block_merge_implIS3_N6thrust23THRUST_200600_302600_NS6detail15normal_iteratorINSA_10device_ptrIS5_EEEEPS6_mNSA_4lessIS5_EEEE10hipError_tT0_T1_T2_jT3_P12ihipStream_tbPNSt15iterator_traitsISK_E10value_typeEPNSQ_ISL_E10value_typeEPSM_NS1_7vsmem_tEENKUlT_SK_SL_SM_E_clIPS5_SF_SG_SG_EESJ_SZ_SK_SL_SM_EUlSZ_E0_NS1_11comp_targetILNS1_3genE2ELNS1_11target_archE906ELNS1_3gpuE6ELNS1_3repE0EEENS1_38merge_mergepath_config_static_selectorELNS0_4arch9wavefront6targetE1EEEvSL_,"axG",@progbits,_ZN7rocprim17ROCPRIM_400000_NS6detail17trampoline_kernelINS0_14default_configENS1_38merge_sort_block_merge_config_selectorI14custom_numericNS0_10empty_typeEEEZZNS1_27merge_sort_block_merge_implIS3_N6thrust23THRUST_200600_302600_NS6detail15normal_iteratorINSA_10device_ptrIS5_EEEEPS6_mNSA_4lessIS5_EEEE10hipError_tT0_T1_T2_jT3_P12ihipStream_tbPNSt15iterator_traitsISK_E10value_typeEPNSQ_ISL_E10value_typeEPSM_NS1_7vsmem_tEENKUlT_SK_SL_SM_E_clIPS5_SF_SG_SG_EESJ_SZ_SK_SL_SM_EUlSZ_E0_NS1_11comp_targetILNS1_3genE2ELNS1_11target_archE906ELNS1_3gpuE6ELNS1_3repE0EEENS1_38merge_mergepath_config_static_selectorELNS0_4arch9wavefront6targetE1EEEvSL_,comdat
.Lfunc_end1428:
	.size	_ZN7rocprim17ROCPRIM_400000_NS6detail17trampoline_kernelINS0_14default_configENS1_38merge_sort_block_merge_config_selectorI14custom_numericNS0_10empty_typeEEEZZNS1_27merge_sort_block_merge_implIS3_N6thrust23THRUST_200600_302600_NS6detail15normal_iteratorINSA_10device_ptrIS5_EEEEPS6_mNSA_4lessIS5_EEEE10hipError_tT0_T1_T2_jT3_P12ihipStream_tbPNSt15iterator_traitsISK_E10value_typeEPNSQ_ISL_E10value_typeEPSM_NS1_7vsmem_tEENKUlT_SK_SL_SM_E_clIPS5_SF_SG_SG_EESJ_SZ_SK_SL_SM_EUlSZ_E0_NS1_11comp_targetILNS1_3genE2ELNS1_11target_archE906ELNS1_3gpuE6ELNS1_3repE0EEENS1_38merge_mergepath_config_static_selectorELNS0_4arch9wavefront6targetE1EEEvSL_, .Lfunc_end1428-_ZN7rocprim17ROCPRIM_400000_NS6detail17trampoline_kernelINS0_14default_configENS1_38merge_sort_block_merge_config_selectorI14custom_numericNS0_10empty_typeEEEZZNS1_27merge_sort_block_merge_implIS3_N6thrust23THRUST_200600_302600_NS6detail15normal_iteratorINSA_10device_ptrIS5_EEEEPS6_mNSA_4lessIS5_EEEE10hipError_tT0_T1_T2_jT3_P12ihipStream_tbPNSt15iterator_traitsISK_E10value_typeEPNSQ_ISL_E10value_typeEPSM_NS1_7vsmem_tEENKUlT_SK_SL_SM_E_clIPS5_SF_SG_SG_EESJ_SZ_SK_SL_SM_EUlSZ_E0_NS1_11comp_targetILNS1_3genE2ELNS1_11target_archE906ELNS1_3gpuE6ELNS1_3repE0EEENS1_38merge_mergepath_config_static_selectorELNS0_4arch9wavefront6targetE1EEEvSL_
                                        ; -- End function
	.section	.AMDGPU.csdata,"",@progbits
; Kernel info:
; codeLenInByte = 0
; NumSgprs: 4
; NumVgprs: 0
; NumAgprs: 0
; TotalNumVgprs: 0
; ScratchSize: 0
; MemoryBound: 0
; FloatMode: 240
; IeeeMode: 1
; LDSByteSize: 0 bytes/workgroup (compile time only)
; SGPRBlocks: 0
; VGPRBlocks: 0
; NumSGPRsForWavesPerEU: 4
; NumVGPRsForWavesPerEU: 1
; AccumOffset: 4
; Occupancy: 8
; WaveLimiterHint : 0
; COMPUTE_PGM_RSRC2:SCRATCH_EN: 0
; COMPUTE_PGM_RSRC2:USER_SGPR: 6
; COMPUTE_PGM_RSRC2:TRAP_HANDLER: 0
; COMPUTE_PGM_RSRC2:TGID_X_EN: 1
; COMPUTE_PGM_RSRC2:TGID_Y_EN: 0
; COMPUTE_PGM_RSRC2:TGID_Z_EN: 0
; COMPUTE_PGM_RSRC2:TIDIG_COMP_CNT: 0
; COMPUTE_PGM_RSRC3_GFX90A:ACCUM_OFFSET: 0
; COMPUTE_PGM_RSRC3_GFX90A:TG_SPLIT: 0
	.section	.text._ZN7rocprim17ROCPRIM_400000_NS6detail17trampoline_kernelINS0_14default_configENS1_38merge_sort_block_merge_config_selectorI14custom_numericNS0_10empty_typeEEEZZNS1_27merge_sort_block_merge_implIS3_N6thrust23THRUST_200600_302600_NS6detail15normal_iteratorINSA_10device_ptrIS5_EEEEPS6_mNSA_4lessIS5_EEEE10hipError_tT0_T1_T2_jT3_P12ihipStream_tbPNSt15iterator_traitsISK_E10value_typeEPNSQ_ISL_E10value_typeEPSM_NS1_7vsmem_tEENKUlT_SK_SL_SM_E_clIPS5_SF_SG_SG_EESJ_SZ_SK_SL_SM_EUlSZ_E0_NS1_11comp_targetILNS1_3genE9ELNS1_11target_archE1100ELNS1_3gpuE3ELNS1_3repE0EEENS1_38merge_mergepath_config_static_selectorELNS0_4arch9wavefront6targetE1EEEvSL_,"axG",@progbits,_ZN7rocprim17ROCPRIM_400000_NS6detail17trampoline_kernelINS0_14default_configENS1_38merge_sort_block_merge_config_selectorI14custom_numericNS0_10empty_typeEEEZZNS1_27merge_sort_block_merge_implIS3_N6thrust23THRUST_200600_302600_NS6detail15normal_iteratorINSA_10device_ptrIS5_EEEEPS6_mNSA_4lessIS5_EEEE10hipError_tT0_T1_T2_jT3_P12ihipStream_tbPNSt15iterator_traitsISK_E10value_typeEPNSQ_ISL_E10value_typeEPSM_NS1_7vsmem_tEENKUlT_SK_SL_SM_E_clIPS5_SF_SG_SG_EESJ_SZ_SK_SL_SM_EUlSZ_E0_NS1_11comp_targetILNS1_3genE9ELNS1_11target_archE1100ELNS1_3gpuE3ELNS1_3repE0EEENS1_38merge_mergepath_config_static_selectorELNS0_4arch9wavefront6targetE1EEEvSL_,comdat
	.protected	_ZN7rocprim17ROCPRIM_400000_NS6detail17trampoline_kernelINS0_14default_configENS1_38merge_sort_block_merge_config_selectorI14custom_numericNS0_10empty_typeEEEZZNS1_27merge_sort_block_merge_implIS3_N6thrust23THRUST_200600_302600_NS6detail15normal_iteratorINSA_10device_ptrIS5_EEEEPS6_mNSA_4lessIS5_EEEE10hipError_tT0_T1_T2_jT3_P12ihipStream_tbPNSt15iterator_traitsISK_E10value_typeEPNSQ_ISL_E10value_typeEPSM_NS1_7vsmem_tEENKUlT_SK_SL_SM_E_clIPS5_SF_SG_SG_EESJ_SZ_SK_SL_SM_EUlSZ_E0_NS1_11comp_targetILNS1_3genE9ELNS1_11target_archE1100ELNS1_3gpuE3ELNS1_3repE0EEENS1_38merge_mergepath_config_static_selectorELNS0_4arch9wavefront6targetE1EEEvSL_ ; -- Begin function _ZN7rocprim17ROCPRIM_400000_NS6detail17trampoline_kernelINS0_14default_configENS1_38merge_sort_block_merge_config_selectorI14custom_numericNS0_10empty_typeEEEZZNS1_27merge_sort_block_merge_implIS3_N6thrust23THRUST_200600_302600_NS6detail15normal_iteratorINSA_10device_ptrIS5_EEEEPS6_mNSA_4lessIS5_EEEE10hipError_tT0_T1_T2_jT3_P12ihipStream_tbPNSt15iterator_traitsISK_E10value_typeEPNSQ_ISL_E10value_typeEPSM_NS1_7vsmem_tEENKUlT_SK_SL_SM_E_clIPS5_SF_SG_SG_EESJ_SZ_SK_SL_SM_EUlSZ_E0_NS1_11comp_targetILNS1_3genE9ELNS1_11target_archE1100ELNS1_3gpuE3ELNS1_3repE0EEENS1_38merge_mergepath_config_static_selectorELNS0_4arch9wavefront6targetE1EEEvSL_
	.globl	_ZN7rocprim17ROCPRIM_400000_NS6detail17trampoline_kernelINS0_14default_configENS1_38merge_sort_block_merge_config_selectorI14custom_numericNS0_10empty_typeEEEZZNS1_27merge_sort_block_merge_implIS3_N6thrust23THRUST_200600_302600_NS6detail15normal_iteratorINSA_10device_ptrIS5_EEEEPS6_mNSA_4lessIS5_EEEE10hipError_tT0_T1_T2_jT3_P12ihipStream_tbPNSt15iterator_traitsISK_E10value_typeEPNSQ_ISL_E10value_typeEPSM_NS1_7vsmem_tEENKUlT_SK_SL_SM_E_clIPS5_SF_SG_SG_EESJ_SZ_SK_SL_SM_EUlSZ_E0_NS1_11comp_targetILNS1_3genE9ELNS1_11target_archE1100ELNS1_3gpuE3ELNS1_3repE0EEENS1_38merge_mergepath_config_static_selectorELNS0_4arch9wavefront6targetE1EEEvSL_
	.p2align	8
	.type	_ZN7rocprim17ROCPRIM_400000_NS6detail17trampoline_kernelINS0_14default_configENS1_38merge_sort_block_merge_config_selectorI14custom_numericNS0_10empty_typeEEEZZNS1_27merge_sort_block_merge_implIS3_N6thrust23THRUST_200600_302600_NS6detail15normal_iteratorINSA_10device_ptrIS5_EEEEPS6_mNSA_4lessIS5_EEEE10hipError_tT0_T1_T2_jT3_P12ihipStream_tbPNSt15iterator_traitsISK_E10value_typeEPNSQ_ISL_E10value_typeEPSM_NS1_7vsmem_tEENKUlT_SK_SL_SM_E_clIPS5_SF_SG_SG_EESJ_SZ_SK_SL_SM_EUlSZ_E0_NS1_11comp_targetILNS1_3genE9ELNS1_11target_archE1100ELNS1_3gpuE3ELNS1_3repE0EEENS1_38merge_mergepath_config_static_selectorELNS0_4arch9wavefront6targetE1EEEvSL_,@function
_ZN7rocprim17ROCPRIM_400000_NS6detail17trampoline_kernelINS0_14default_configENS1_38merge_sort_block_merge_config_selectorI14custom_numericNS0_10empty_typeEEEZZNS1_27merge_sort_block_merge_implIS3_N6thrust23THRUST_200600_302600_NS6detail15normal_iteratorINSA_10device_ptrIS5_EEEEPS6_mNSA_4lessIS5_EEEE10hipError_tT0_T1_T2_jT3_P12ihipStream_tbPNSt15iterator_traitsISK_E10value_typeEPNSQ_ISL_E10value_typeEPSM_NS1_7vsmem_tEENKUlT_SK_SL_SM_E_clIPS5_SF_SG_SG_EESJ_SZ_SK_SL_SM_EUlSZ_E0_NS1_11comp_targetILNS1_3genE9ELNS1_11target_archE1100ELNS1_3gpuE3ELNS1_3repE0EEENS1_38merge_mergepath_config_static_selectorELNS0_4arch9wavefront6targetE1EEEvSL_: ; @_ZN7rocprim17ROCPRIM_400000_NS6detail17trampoline_kernelINS0_14default_configENS1_38merge_sort_block_merge_config_selectorI14custom_numericNS0_10empty_typeEEEZZNS1_27merge_sort_block_merge_implIS3_N6thrust23THRUST_200600_302600_NS6detail15normal_iteratorINSA_10device_ptrIS5_EEEEPS6_mNSA_4lessIS5_EEEE10hipError_tT0_T1_T2_jT3_P12ihipStream_tbPNSt15iterator_traitsISK_E10value_typeEPNSQ_ISL_E10value_typeEPSM_NS1_7vsmem_tEENKUlT_SK_SL_SM_E_clIPS5_SF_SG_SG_EESJ_SZ_SK_SL_SM_EUlSZ_E0_NS1_11comp_targetILNS1_3genE9ELNS1_11target_archE1100ELNS1_3gpuE3ELNS1_3repE0EEENS1_38merge_mergepath_config_static_selectorELNS0_4arch9wavefront6targetE1EEEvSL_
; %bb.0:
	.section	.rodata,"a",@progbits
	.p2align	6, 0x0
	.amdhsa_kernel _ZN7rocprim17ROCPRIM_400000_NS6detail17trampoline_kernelINS0_14default_configENS1_38merge_sort_block_merge_config_selectorI14custom_numericNS0_10empty_typeEEEZZNS1_27merge_sort_block_merge_implIS3_N6thrust23THRUST_200600_302600_NS6detail15normal_iteratorINSA_10device_ptrIS5_EEEEPS6_mNSA_4lessIS5_EEEE10hipError_tT0_T1_T2_jT3_P12ihipStream_tbPNSt15iterator_traitsISK_E10value_typeEPNSQ_ISL_E10value_typeEPSM_NS1_7vsmem_tEENKUlT_SK_SL_SM_E_clIPS5_SF_SG_SG_EESJ_SZ_SK_SL_SM_EUlSZ_E0_NS1_11comp_targetILNS1_3genE9ELNS1_11target_archE1100ELNS1_3gpuE3ELNS1_3repE0EEENS1_38merge_mergepath_config_static_selectorELNS0_4arch9wavefront6targetE1EEEvSL_
		.amdhsa_group_segment_fixed_size 0
		.amdhsa_private_segment_fixed_size 0
		.amdhsa_kernarg_size 72
		.amdhsa_user_sgpr_count 6
		.amdhsa_user_sgpr_private_segment_buffer 1
		.amdhsa_user_sgpr_dispatch_ptr 0
		.amdhsa_user_sgpr_queue_ptr 0
		.amdhsa_user_sgpr_kernarg_segment_ptr 1
		.amdhsa_user_sgpr_dispatch_id 0
		.amdhsa_user_sgpr_flat_scratch_init 0
		.amdhsa_user_sgpr_kernarg_preload_length 0
		.amdhsa_user_sgpr_kernarg_preload_offset 0
		.amdhsa_user_sgpr_private_segment_size 0
		.amdhsa_uses_dynamic_stack 0
		.amdhsa_system_sgpr_private_segment_wavefront_offset 0
		.amdhsa_system_sgpr_workgroup_id_x 1
		.amdhsa_system_sgpr_workgroup_id_y 0
		.amdhsa_system_sgpr_workgroup_id_z 0
		.amdhsa_system_sgpr_workgroup_info 0
		.amdhsa_system_vgpr_workitem_id 0
		.amdhsa_next_free_vgpr 1
		.amdhsa_next_free_sgpr 0
		.amdhsa_accum_offset 4
		.amdhsa_reserve_vcc 0
		.amdhsa_reserve_flat_scratch 0
		.amdhsa_float_round_mode_32 0
		.amdhsa_float_round_mode_16_64 0
		.amdhsa_float_denorm_mode_32 3
		.amdhsa_float_denorm_mode_16_64 3
		.amdhsa_dx10_clamp 1
		.amdhsa_ieee_mode 1
		.amdhsa_fp16_overflow 0
		.amdhsa_tg_split 0
		.amdhsa_exception_fp_ieee_invalid_op 0
		.amdhsa_exception_fp_denorm_src 0
		.amdhsa_exception_fp_ieee_div_zero 0
		.amdhsa_exception_fp_ieee_overflow 0
		.amdhsa_exception_fp_ieee_underflow 0
		.amdhsa_exception_fp_ieee_inexact 0
		.amdhsa_exception_int_div_zero 0
	.end_amdhsa_kernel
	.section	.text._ZN7rocprim17ROCPRIM_400000_NS6detail17trampoline_kernelINS0_14default_configENS1_38merge_sort_block_merge_config_selectorI14custom_numericNS0_10empty_typeEEEZZNS1_27merge_sort_block_merge_implIS3_N6thrust23THRUST_200600_302600_NS6detail15normal_iteratorINSA_10device_ptrIS5_EEEEPS6_mNSA_4lessIS5_EEEE10hipError_tT0_T1_T2_jT3_P12ihipStream_tbPNSt15iterator_traitsISK_E10value_typeEPNSQ_ISL_E10value_typeEPSM_NS1_7vsmem_tEENKUlT_SK_SL_SM_E_clIPS5_SF_SG_SG_EESJ_SZ_SK_SL_SM_EUlSZ_E0_NS1_11comp_targetILNS1_3genE9ELNS1_11target_archE1100ELNS1_3gpuE3ELNS1_3repE0EEENS1_38merge_mergepath_config_static_selectorELNS0_4arch9wavefront6targetE1EEEvSL_,"axG",@progbits,_ZN7rocprim17ROCPRIM_400000_NS6detail17trampoline_kernelINS0_14default_configENS1_38merge_sort_block_merge_config_selectorI14custom_numericNS0_10empty_typeEEEZZNS1_27merge_sort_block_merge_implIS3_N6thrust23THRUST_200600_302600_NS6detail15normal_iteratorINSA_10device_ptrIS5_EEEEPS6_mNSA_4lessIS5_EEEE10hipError_tT0_T1_T2_jT3_P12ihipStream_tbPNSt15iterator_traitsISK_E10value_typeEPNSQ_ISL_E10value_typeEPSM_NS1_7vsmem_tEENKUlT_SK_SL_SM_E_clIPS5_SF_SG_SG_EESJ_SZ_SK_SL_SM_EUlSZ_E0_NS1_11comp_targetILNS1_3genE9ELNS1_11target_archE1100ELNS1_3gpuE3ELNS1_3repE0EEENS1_38merge_mergepath_config_static_selectorELNS0_4arch9wavefront6targetE1EEEvSL_,comdat
.Lfunc_end1429:
	.size	_ZN7rocprim17ROCPRIM_400000_NS6detail17trampoline_kernelINS0_14default_configENS1_38merge_sort_block_merge_config_selectorI14custom_numericNS0_10empty_typeEEEZZNS1_27merge_sort_block_merge_implIS3_N6thrust23THRUST_200600_302600_NS6detail15normal_iteratorINSA_10device_ptrIS5_EEEEPS6_mNSA_4lessIS5_EEEE10hipError_tT0_T1_T2_jT3_P12ihipStream_tbPNSt15iterator_traitsISK_E10value_typeEPNSQ_ISL_E10value_typeEPSM_NS1_7vsmem_tEENKUlT_SK_SL_SM_E_clIPS5_SF_SG_SG_EESJ_SZ_SK_SL_SM_EUlSZ_E0_NS1_11comp_targetILNS1_3genE9ELNS1_11target_archE1100ELNS1_3gpuE3ELNS1_3repE0EEENS1_38merge_mergepath_config_static_selectorELNS0_4arch9wavefront6targetE1EEEvSL_, .Lfunc_end1429-_ZN7rocprim17ROCPRIM_400000_NS6detail17trampoline_kernelINS0_14default_configENS1_38merge_sort_block_merge_config_selectorI14custom_numericNS0_10empty_typeEEEZZNS1_27merge_sort_block_merge_implIS3_N6thrust23THRUST_200600_302600_NS6detail15normal_iteratorINSA_10device_ptrIS5_EEEEPS6_mNSA_4lessIS5_EEEE10hipError_tT0_T1_T2_jT3_P12ihipStream_tbPNSt15iterator_traitsISK_E10value_typeEPNSQ_ISL_E10value_typeEPSM_NS1_7vsmem_tEENKUlT_SK_SL_SM_E_clIPS5_SF_SG_SG_EESJ_SZ_SK_SL_SM_EUlSZ_E0_NS1_11comp_targetILNS1_3genE9ELNS1_11target_archE1100ELNS1_3gpuE3ELNS1_3repE0EEENS1_38merge_mergepath_config_static_selectorELNS0_4arch9wavefront6targetE1EEEvSL_
                                        ; -- End function
	.section	.AMDGPU.csdata,"",@progbits
; Kernel info:
; codeLenInByte = 0
; NumSgprs: 4
; NumVgprs: 0
; NumAgprs: 0
; TotalNumVgprs: 0
; ScratchSize: 0
; MemoryBound: 0
; FloatMode: 240
; IeeeMode: 1
; LDSByteSize: 0 bytes/workgroup (compile time only)
; SGPRBlocks: 0
; VGPRBlocks: 0
; NumSGPRsForWavesPerEU: 4
; NumVGPRsForWavesPerEU: 1
; AccumOffset: 4
; Occupancy: 8
; WaveLimiterHint : 0
; COMPUTE_PGM_RSRC2:SCRATCH_EN: 0
; COMPUTE_PGM_RSRC2:USER_SGPR: 6
; COMPUTE_PGM_RSRC2:TRAP_HANDLER: 0
; COMPUTE_PGM_RSRC2:TGID_X_EN: 1
; COMPUTE_PGM_RSRC2:TGID_Y_EN: 0
; COMPUTE_PGM_RSRC2:TGID_Z_EN: 0
; COMPUTE_PGM_RSRC2:TIDIG_COMP_CNT: 0
; COMPUTE_PGM_RSRC3_GFX90A:ACCUM_OFFSET: 0
; COMPUTE_PGM_RSRC3_GFX90A:TG_SPLIT: 0
	.section	.text._ZN7rocprim17ROCPRIM_400000_NS6detail17trampoline_kernelINS0_14default_configENS1_38merge_sort_block_merge_config_selectorI14custom_numericNS0_10empty_typeEEEZZNS1_27merge_sort_block_merge_implIS3_N6thrust23THRUST_200600_302600_NS6detail15normal_iteratorINSA_10device_ptrIS5_EEEEPS6_mNSA_4lessIS5_EEEE10hipError_tT0_T1_T2_jT3_P12ihipStream_tbPNSt15iterator_traitsISK_E10value_typeEPNSQ_ISL_E10value_typeEPSM_NS1_7vsmem_tEENKUlT_SK_SL_SM_E_clIPS5_SF_SG_SG_EESJ_SZ_SK_SL_SM_EUlSZ_E0_NS1_11comp_targetILNS1_3genE8ELNS1_11target_archE1030ELNS1_3gpuE2ELNS1_3repE0EEENS1_38merge_mergepath_config_static_selectorELNS0_4arch9wavefront6targetE1EEEvSL_,"axG",@progbits,_ZN7rocprim17ROCPRIM_400000_NS6detail17trampoline_kernelINS0_14default_configENS1_38merge_sort_block_merge_config_selectorI14custom_numericNS0_10empty_typeEEEZZNS1_27merge_sort_block_merge_implIS3_N6thrust23THRUST_200600_302600_NS6detail15normal_iteratorINSA_10device_ptrIS5_EEEEPS6_mNSA_4lessIS5_EEEE10hipError_tT0_T1_T2_jT3_P12ihipStream_tbPNSt15iterator_traitsISK_E10value_typeEPNSQ_ISL_E10value_typeEPSM_NS1_7vsmem_tEENKUlT_SK_SL_SM_E_clIPS5_SF_SG_SG_EESJ_SZ_SK_SL_SM_EUlSZ_E0_NS1_11comp_targetILNS1_3genE8ELNS1_11target_archE1030ELNS1_3gpuE2ELNS1_3repE0EEENS1_38merge_mergepath_config_static_selectorELNS0_4arch9wavefront6targetE1EEEvSL_,comdat
	.protected	_ZN7rocprim17ROCPRIM_400000_NS6detail17trampoline_kernelINS0_14default_configENS1_38merge_sort_block_merge_config_selectorI14custom_numericNS0_10empty_typeEEEZZNS1_27merge_sort_block_merge_implIS3_N6thrust23THRUST_200600_302600_NS6detail15normal_iteratorINSA_10device_ptrIS5_EEEEPS6_mNSA_4lessIS5_EEEE10hipError_tT0_T1_T2_jT3_P12ihipStream_tbPNSt15iterator_traitsISK_E10value_typeEPNSQ_ISL_E10value_typeEPSM_NS1_7vsmem_tEENKUlT_SK_SL_SM_E_clIPS5_SF_SG_SG_EESJ_SZ_SK_SL_SM_EUlSZ_E0_NS1_11comp_targetILNS1_3genE8ELNS1_11target_archE1030ELNS1_3gpuE2ELNS1_3repE0EEENS1_38merge_mergepath_config_static_selectorELNS0_4arch9wavefront6targetE1EEEvSL_ ; -- Begin function _ZN7rocprim17ROCPRIM_400000_NS6detail17trampoline_kernelINS0_14default_configENS1_38merge_sort_block_merge_config_selectorI14custom_numericNS0_10empty_typeEEEZZNS1_27merge_sort_block_merge_implIS3_N6thrust23THRUST_200600_302600_NS6detail15normal_iteratorINSA_10device_ptrIS5_EEEEPS6_mNSA_4lessIS5_EEEE10hipError_tT0_T1_T2_jT3_P12ihipStream_tbPNSt15iterator_traitsISK_E10value_typeEPNSQ_ISL_E10value_typeEPSM_NS1_7vsmem_tEENKUlT_SK_SL_SM_E_clIPS5_SF_SG_SG_EESJ_SZ_SK_SL_SM_EUlSZ_E0_NS1_11comp_targetILNS1_3genE8ELNS1_11target_archE1030ELNS1_3gpuE2ELNS1_3repE0EEENS1_38merge_mergepath_config_static_selectorELNS0_4arch9wavefront6targetE1EEEvSL_
	.globl	_ZN7rocprim17ROCPRIM_400000_NS6detail17trampoline_kernelINS0_14default_configENS1_38merge_sort_block_merge_config_selectorI14custom_numericNS0_10empty_typeEEEZZNS1_27merge_sort_block_merge_implIS3_N6thrust23THRUST_200600_302600_NS6detail15normal_iteratorINSA_10device_ptrIS5_EEEEPS6_mNSA_4lessIS5_EEEE10hipError_tT0_T1_T2_jT3_P12ihipStream_tbPNSt15iterator_traitsISK_E10value_typeEPNSQ_ISL_E10value_typeEPSM_NS1_7vsmem_tEENKUlT_SK_SL_SM_E_clIPS5_SF_SG_SG_EESJ_SZ_SK_SL_SM_EUlSZ_E0_NS1_11comp_targetILNS1_3genE8ELNS1_11target_archE1030ELNS1_3gpuE2ELNS1_3repE0EEENS1_38merge_mergepath_config_static_selectorELNS0_4arch9wavefront6targetE1EEEvSL_
	.p2align	8
	.type	_ZN7rocprim17ROCPRIM_400000_NS6detail17trampoline_kernelINS0_14default_configENS1_38merge_sort_block_merge_config_selectorI14custom_numericNS0_10empty_typeEEEZZNS1_27merge_sort_block_merge_implIS3_N6thrust23THRUST_200600_302600_NS6detail15normal_iteratorINSA_10device_ptrIS5_EEEEPS6_mNSA_4lessIS5_EEEE10hipError_tT0_T1_T2_jT3_P12ihipStream_tbPNSt15iterator_traitsISK_E10value_typeEPNSQ_ISL_E10value_typeEPSM_NS1_7vsmem_tEENKUlT_SK_SL_SM_E_clIPS5_SF_SG_SG_EESJ_SZ_SK_SL_SM_EUlSZ_E0_NS1_11comp_targetILNS1_3genE8ELNS1_11target_archE1030ELNS1_3gpuE2ELNS1_3repE0EEENS1_38merge_mergepath_config_static_selectorELNS0_4arch9wavefront6targetE1EEEvSL_,@function
_ZN7rocprim17ROCPRIM_400000_NS6detail17trampoline_kernelINS0_14default_configENS1_38merge_sort_block_merge_config_selectorI14custom_numericNS0_10empty_typeEEEZZNS1_27merge_sort_block_merge_implIS3_N6thrust23THRUST_200600_302600_NS6detail15normal_iteratorINSA_10device_ptrIS5_EEEEPS6_mNSA_4lessIS5_EEEE10hipError_tT0_T1_T2_jT3_P12ihipStream_tbPNSt15iterator_traitsISK_E10value_typeEPNSQ_ISL_E10value_typeEPSM_NS1_7vsmem_tEENKUlT_SK_SL_SM_E_clIPS5_SF_SG_SG_EESJ_SZ_SK_SL_SM_EUlSZ_E0_NS1_11comp_targetILNS1_3genE8ELNS1_11target_archE1030ELNS1_3gpuE2ELNS1_3repE0EEENS1_38merge_mergepath_config_static_selectorELNS0_4arch9wavefront6targetE1EEEvSL_: ; @_ZN7rocprim17ROCPRIM_400000_NS6detail17trampoline_kernelINS0_14default_configENS1_38merge_sort_block_merge_config_selectorI14custom_numericNS0_10empty_typeEEEZZNS1_27merge_sort_block_merge_implIS3_N6thrust23THRUST_200600_302600_NS6detail15normal_iteratorINSA_10device_ptrIS5_EEEEPS6_mNSA_4lessIS5_EEEE10hipError_tT0_T1_T2_jT3_P12ihipStream_tbPNSt15iterator_traitsISK_E10value_typeEPNSQ_ISL_E10value_typeEPSM_NS1_7vsmem_tEENKUlT_SK_SL_SM_E_clIPS5_SF_SG_SG_EESJ_SZ_SK_SL_SM_EUlSZ_E0_NS1_11comp_targetILNS1_3genE8ELNS1_11target_archE1030ELNS1_3gpuE2ELNS1_3repE0EEENS1_38merge_mergepath_config_static_selectorELNS0_4arch9wavefront6targetE1EEEvSL_
; %bb.0:
	.section	.rodata,"a",@progbits
	.p2align	6, 0x0
	.amdhsa_kernel _ZN7rocprim17ROCPRIM_400000_NS6detail17trampoline_kernelINS0_14default_configENS1_38merge_sort_block_merge_config_selectorI14custom_numericNS0_10empty_typeEEEZZNS1_27merge_sort_block_merge_implIS3_N6thrust23THRUST_200600_302600_NS6detail15normal_iteratorINSA_10device_ptrIS5_EEEEPS6_mNSA_4lessIS5_EEEE10hipError_tT0_T1_T2_jT3_P12ihipStream_tbPNSt15iterator_traitsISK_E10value_typeEPNSQ_ISL_E10value_typeEPSM_NS1_7vsmem_tEENKUlT_SK_SL_SM_E_clIPS5_SF_SG_SG_EESJ_SZ_SK_SL_SM_EUlSZ_E0_NS1_11comp_targetILNS1_3genE8ELNS1_11target_archE1030ELNS1_3gpuE2ELNS1_3repE0EEENS1_38merge_mergepath_config_static_selectorELNS0_4arch9wavefront6targetE1EEEvSL_
		.amdhsa_group_segment_fixed_size 0
		.amdhsa_private_segment_fixed_size 0
		.amdhsa_kernarg_size 72
		.amdhsa_user_sgpr_count 6
		.amdhsa_user_sgpr_private_segment_buffer 1
		.amdhsa_user_sgpr_dispatch_ptr 0
		.amdhsa_user_sgpr_queue_ptr 0
		.amdhsa_user_sgpr_kernarg_segment_ptr 1
		.amdhsa_user_sgpr_dispatch_id 0
		.amdhsa_user_sgpr_flat_scratch_init 0
		.amdhsa_user_sgpr_kernarg_preload_length 0
		.amdhsa_user_sgpr_kernarg_preload_offset 0
		.amdhsa_user_sgpr_private_segment_size 0
		.amdhsa_uses_dynamic_stack 0
		.amdhsa_system_sgpr_private_segment_wavefront_offset 0
		.amdhsa_system_sgpr_workgroup_id_x 1
		.amdhsa_system_sgpr_workgroup_id_y 0
		.amdhsa_system_sgpr_workgroup_id_z 0
		.amdhsa_system_sgpr_workgroup_info 0
		.amdhsa_system_vgpr_workitem_id 0
		.amdhsa_next_free_vgpr 1
		.amdhsa_next_free_sgpr 0
		.amdhsa_accum_offset 4
		.amdhsa_reserve_vcc 0
		.amdhsa_reserve_flat_scratch 0
		.amdhsa_float_round_mode_32 0
		.amdhsa_float_round_mode_16_64 0
		.amdhsa_float_denorm_mode_32 3
		.amdhsa_float_denorm_mode_16_64 3
		.amdhsa_dx10_clamp 1
		.amdhsa_ieee_mode 1
		.amdhsa_fp16_overflow 0
		.amdhsa_tg_split 0
		.amdhsa_exception_fp_ieee_invalid_op 0
		.amdhsa_exception_fp_denorm_src 0
		.amdhsa_exception_fp_ieee_div_zero 0
		.amdhsa_exception_fp_ieee_overflow 0
		.amdhsa_exception_fp_ieee_underflow 0
		.amdhsa_exception_fp_ieee_inexact 0
		.amdhsa_exception_int_div_zero 0
	.end_amdhsa_kernel
	.section	.text._ZN7rocprim17ROCPRIM_400000_NS6detail17trampoline_kernelINS0_14default_configENS1_38merge_sort_block_merge_config_selectorI14custom_numericNS0_10empty_typeEEEZZNS1_27merge_sort_block_merge_implIS3_N6thrust23THRUST_200600_302600_NS6detail15normal_iteratorINSA_10device_ptrIS5_EEEEPS6_mNSA_4lessIS5_EEEE10hipError_tT0_T1_T2_jT3_P12ihipStream_tbPNSt15iterator_traitsISK_E10value_typeEPNSQ_ISL_E10value_typeEPSM_NS1_7vsmem_tEENKUlT_SK_SL_SM_E_clIPS5_SF_SG_SG_EESJ_SZ_SK_SL_SM_EUlSZ_E0_NS1_11comp_targetILNS1_3genE8ELNS1_11target_archE1030ELNS1_3gpuE2ELNS1_3repE0EEENS1_38merge_mergepath_config_static_selectorELNS0_4arch9wavefront6targetE1EEEvSL_,"axG",@progbits,_ZN7rocprim17ROCPRIM_400000_NS6detail17trampoline_kernelINS0_14default_configENS1_38merge_sort_block_merge_config_selectorI14custom_numericNS0_10empty_typeEEEZZNS1_27merge_sort_block_merge_implIS3_N6thrust23THRUST_200600_302600_NS6detail15normal_iteratorINSA_10device_ptrIS5_EEEEPS6_mNSA_4lessIS5_EEEE10hipError_tT0_T1_T2_jT3_P12ihipStream_tbPNSt15iterator_traitsISK_E10value_typeEPNSQ_ISL_E10value_typeEPSM_NS1_7vsmem_tEENKUlT_SK_SL_SM_E_clIPS5_SF_SG_SG_EESJ_SZ_SK_SL_SM_EUlSZ_E0_NS1_11comp_targetILNS1_3genE8ELNS1_11target_archE1030ELNS1_3gpuE2ELNS1_3repE0EEENS1_38merge_mergepath_config_static_selectorELNS0_4arch9wavefront6targetE1EEEvSL_,comdat
.Lfunc_end1430:
	.size	_ZN7rocprim17ROCPRIM_400000_NS6detail17trampoline_kernelINS0_14default_configENS1_38merge_sort_block_merge_config_selectorI14custom_numericNS0_10empty_typeEEEZZNS1_27merge_sort_block_merge_implIS3_N6thrust23THRUST_200600_302600_NS6detail15normal_iteratorINSA_10device_ptrIS5_EEEEPS6_mNSA_4lessIS5_EEEE10hipError_tT0_T1_T2_jT3_P12ihipStream_tbPNSt15iterator_traitsISK_E10value_typeEPNSQ_ISL_E10value_typeEPSM_NS1_7vsmem_tEENKUlT_SK_SL_SM_E_clIPS5_SF_SG_SG_EESJ_SZ_SK_SL_SM_EUlSZ_E0_NS1_11comp_targetILNS1_3genE8ELNS1_11target_archE1030ELNS1_3gpuE2ELNS1_3repE0EEENS1_38merge_mergepath_config_static_selectorELNS0_4arch9wavefront6targetE1EEEvSL_, .Lfunc_end1430-_ZN7rocprim17ROCPRIM_400000_NS6detail17trampoline_kernelINS0_14default_configENS1_38merge_sort_block_merge_config_selectorI14custom_numericNS0_10empty_typeEEEZZNS1_27merge_sort_block_merge_implIS3_N6thrust23THRUST_200600_302600_NS6detail15normal_iteratorINSA_10device_ptrIS5_EEEEPS6_mNSA_4lessIS5_EEEE10hipError_tT0_T1_T2_jT3_P12ihipStream_tbPNSt15iterator_traitsISK_E10value_typeEPNSQ_ISL_E10value_typeEPSM_NS1_7vsmem_tEENKUlT_SK_SL_SM_E_clIPS5_SF_SG_SG_EESJ_SZ_SK_SL_SM_EUlSZ_E0_NS1_11comp_targetILNS1_3genE8ELNS1_11target_archE1030ELNS1_3gpuE2ELNS1_3repE0EEENS1_38merge_mergepath_config_static_selectorELNS0_4arch9wavefront6targetE1EEEvSL_
                                        ; -- End function
	.section	.AMDGPU.csdata,"",@progbits
; Kernel info:
; codeLenInByte = 0
; NumSgprs: 4
; NumVgprs: 0
; NumAgprs: 0
; TotalNumVgprs: 0
; ScratchSize: 0
; MemoryBound: 0
; FloatMode: 240
; IeeeMode: 1
; LDSByteSize: 0 bytes/workgroup (compile time only)
; SGPRBlocks: 0
; VGPRBlocks: 0
; NumSGPRsForWavesPerEU: 4
; NumVGPRsForWavesPerEU: 1
; AccumOffset: 4
; Occupancy: 8
; WaveLimiterHint : 0
; COMPUTE_PGM_RSRC2:SCRATCH_EN: 0
; COMPUTE_PGM_RSRC2:USER_SGPR: 6
; COMPUTE_PGM_RSRC2:TRAP_HANDLER: 0
; COMPUTE_PGM_RSRC2:TGID_X_EN: 1
; COMPUTE_PGM_RSRC2:TGID_Y_EN: 0
; COMPUTE_PGM_RSRC2:TGID_Z_EN: 0
; COMPUTE_PGM_RSRC2:TIDIG_COMP_CNT: 0
; COMPUTE_PGM_RSRC3_GFX90A:ACCUM_OFFSET: 0
; COMPUTE_PGM_RSRC3_GFX90A:TG_SPLIT: 0
	.section	.text._ZN7rocprim17ROCPRIM_400000_NS6detail17trampoline_kernelINS0_14default_configENS1_38merge_sort_block_merge_config_selectorI14custom_numericNS0_10empty_typeEEEZZNS1_27merge_sort_block_merge_implIS3_N6thrust23THRUST_200600_302600_NS6detail15normal_iteratorINSA_10device_ptrIS5_EEEEPS6_mNSA_4lessIS5_EEEE10hipError_tT0_T1_T2_jT3_P12ihipStream_tbPNSt15iterator_traitsISK_E10value_typeEPNSQ_ISL_E10value_typeEPSM_NS1_7vsmem_tEENKUlT_SK_SL_SM_E_clIPS5_SF_SG_SG_EESJ_SZ_SK_SL_SM_EUlSZ_E1_NS1_11comp_targetILNS1_3genE0ELNS1_11target_archE4294967295ELNS1_3gpuE0ELNS1_3repE0EEENS1_36merge_oddeven_config_static_selectorELNS0_4arch9wavefront6targetE1EEEvSL_,"axG",@progbits,_ZN7rocprim17ROCPRIM_400000_NS6detail17trampoline_kernelINS0_14default_configENS1_38merge_sort_block_merge_config_selectorI14custom_numericNS0_10empty_typeEEEZZNS1_27merge_sort_block_merge_implIS3_N6thrust23THRUST_200600_302600_NS6detail15normal_iteratorINSA_10device_ptrIS5_EEEEPS6_mNSA_4lessIS5_EEEE10hipError_tT0_T1_T2_jT3_P12ihipStream_tbPNSt15iterator_traitsISK_E10value_typeEPNSQ_ISL_E10value_typeEPSM_NS1_7vsmem_tEENKUlT_SK_SL_SM_E_clIPS5_SF_SG_SG_EESJ_SZ_SK_SL_SM_EUlSZ_E1_NS1_11comp_targetILNS1_3genE0ELNS1_11target_archE4294967295ELNS1_3gpuE0ELNS1_3repE0EEENS1_36merge_oddeven_config_static_selectorELNS0_4arch9wavefront6targetE1EEEvSL_,comdat
	.protected	_ZN7rocprim17ROCPRIM_400000_NS6detail17trampoline_kernelINS0_14default_configENS1_38merge_sort_block_merge_config_selectorI14custom_numericNS0_10empty_typeEEEZZNS1_27merge_sort_block_merge_implIS3_N6thrust23THRUST_200600_302600_NS6detail15normal_iteratorINSA_10device_ptrIS5_EEEEPS6_mNSA_4lessIS5_EEEE10hipError_tT0_T1_T2_jT3_P12ihipStream_tbPNSt15iterator_traitsISK_E10value_typeEPNSQ_ISL_E10value_typeEPSM_NS1_7vsmem_tEENKUlT_SK_SL_SM_E_clIPS5_SF_SG_SG_EESJ_SZ_SK_SL_SM_EUlSZ_E1_NS1_11comp_targetILNS1_3genE0ELNS1_11target_archE4294967295ELNS1_3gpuE0ELNS1_3repE0EEENS1_36merge_oddeven_config_static_selectorELNS0_4arch9wavefront6targetE1EEEvSL_ ; -- Begin function _ZN7rocprim17ROCPRIM_400000_NS6detail17trampoline_kernelINS0_14default_configENS1_38merge_sort_block_merge_config_selectorI14custom_numericNS0_10empty_typeEEEZZNS1_27merge_sort_block_merge_implIS3_N6thrust23THRUST_200600_302600_NS6detail15normal_iteratorINSA_10device_ptrIS5_EEEEPS6_mNSA_4lessIS5_EEEE10hipError_tT0_T1_T2_jT3_P12ihipStream_tbPNSt15iterator_traitsISK_E10value_typeEPNSQ_ISL_E10value_typeEPSM_NS1_7vsmem_tEENKUlT_SK_SL_SM_E_clIPS5_SF_SG_SG_EESJ_SZ_SK_SL_SM_EUlSZ_E1_NS1_11comp_targetILNS1_3genE0ELNS1_11target_archE4294967295ELNS1_3gpuE0ELNS1_3repE0EEENS1_36merge_oddeven_config_static_selectorELNS0_4arch9wavefront6targetE1EEEvSL_
	.globl	_ZN7rocprim17ROCPRIM_400000_NS6detail17trampoline_kernelINS0_14default_configENS1_38merge_sort_block_merge_config_selectorI14custom_numericNS0_10empty_typeEEEZZNS1_27merge_sort_block_merge_implIS3_N6thrust23THRUST_200600_302600_NS6detail15normal_iteratorINSA_10device_ptrIS5_EEEEPS6_mNSA_4lessIS5_EEEE10hipError_tT0_T1_T2_jT3_P12ihipStream_tbPNSt15iterator_traitsISK_E10value_typeEPNSQ_ISL_E10value_typeEPSM_NS1_7vsmem_tEENKUlT_SK_SL_SM_E_clIPS5_SF_SG_SG_EESJ_SZ_SK_SL_SM_EUlSZ_E1_NS1_11comp_targetILNS1_3genE0ELNS1_11target_archE4294967295ELNS1_3gpuE0ELNS1_3repE0EEENS1_36merge_oddeven_config_static_selectorELNS0_4arch9wavefront6targetE1EEEvSL_
	.p2align	8
	.type	_ZN7rocprim17ROCPRIM_400000_NS6detail17trampoline_kernelINS0_14default_configENS1_38merge_sort_block_merge_config_selectorI14custom_numericNS0_10empty_typeEEEZZNS1_27merge_sort_block_merge_implIS3_N6thrust23THRUST_200600_302600_NS6detail15normal_iteratorINSA_10device_ptrIS5_EEEEPS6_mNSA_4lessIS5_EEEE10hipError_tT0_T1_T2_jT3_P12ihipStream_tbPNSt15iterator_traitsISK_E10value_typeEPNSQ_ISL_E10value_typeEPSM_NS1_7vsmem_tEENKUlT_SK_SL_SM_E_clIPS5_SF_SG_SG_EESJ_SZ_SK_SL_SM_EUlSZ_E1_NS1_11comp_targetILNS1_3genE0ELNS1_11target_archE4294967295ELNS1_3gpuE0ELNS1_3repE0EEENS1_36merge_oddeven_config_static_selectorELNS0_4arch9wavefront6targetE1EEEvSL_,@function
_ZN7rocprim17ROCPRIM_400000_NS6detail17trampoline_kernelINS0_14default_configENS1_38merge_sort_block_merge_config_selectorI14custom_numericNS0_10empty_typeEEEZZNS1_27merge_sort_block_merge_implIS3_N6thrust23THRUST_200600_302600_NS6detail15normal_iteratorINSA_10device_ptrIS5_EEEEPS6_mNSA_4lessIS5_EEEE10hipError_tT0_T1_T2_jT3_P12ihipStream_tbPNSt15iterator_traitsISK_E10value_typeEPNSQ_ISL_E10value_typeEPSM_NS1_7vsmem_tEENKUlT_SK_SL_SM_E_clIPS5_SF_SG_SG_EESJ_SZ_SK_SL_SM_EUlSZ_E1_NS1_11comp_targetILNS1_3genE0ELNS1_11target_archE4294967295ELNS1_3gpuE0ELNS1_3repE0EEENS1_36merge_oddeven_config_static_selectorELNS0_4arch9wavefront6targetE1EEEvSL_: ; @_ZN7rocprim17ROCPRIM_400000_NS6detail17trampoline_kernelINS0_14default_configENS1_38merge_sort_block_merge_config_selectorI14custom_numericNS0_10empty_typeEEEZZNS1_27merge_sort_block_merge_implIS3_N6thrust23THRUST_200600_302600_NS6detail15normal_iteratorINSA_10device_ptrIS5_EEEEPS6_mNSA_4lessIS5_EEEE10hipError_tT0_T1_T2_jT3_P12ihipStream_tbPNSt15iterator_traitsISK_E10value_typeEPNSQ_ISL_E10value_typeEPSM_NS1_7vsmem_tEENKUlT_SK_SL_SM_E_clIPS5_SF_SG_SG_EESJ_SZ_SK_SL_SM_EUlSZ_E1_NS1_11comp_targetILNS1_3genE0ELNS1_11target_archE4294967295ELNS1_3gpuE0ELNS1_3repE0EEENS1_36merge_oddeven_config_static_selectorELNS0_4arch9wavefront6targetE1EEEvSL_
; %bb.0:
	.section	.rodata,"a",@progbits
	.p2align	6, 0x0
	.amdhsa_kernel _ZN7rocprim17ROCPRIM_400000_NS6detail17trampoline_kernelINS0_14default_configENS1_38merge_sort_block_merge_config_selectorI14custom_numericNS0_10empty_typeEEEZZNS1_27merge_sort_block_merge_implIS3_N6thrust23THRUST_200600_302600_NS6detail15normal_iteratorINSA_10device_ptrIS5_EEEEPS6_mNSA_4lessIS5_EEEE10hipError_tT0_T1_T2_jT3_P12ihipStream_tbPNSt15iterator_traitsISK_E10value_typeEPNSQ_ISL_E10value_typeEPSM_NS1_7vsmem_tEENKUlT_SK_SL_SM_E_clIPS5_SF_SG_SG_EESJ_SZ_SK_SL_SM_EUlSZ_E1_NS1_11comp_targetILNS1_3genE0ELNS1_11target_archE4294967295ELNS1_3gpuE0ELNS1_3repE0EEENS1_36merge_oddeven_config_static_selectorELNS0_4arch9wavefront6targetE1EEEvSL_
		.amdhsa_group_segment_fixed_size 0
		.amdhsa_private_segment_fixed_size 0
		.amdhsa_kernarg_size 56
		.amdhsa_user_sgpr_count 6
		.amdhsa_user_sgpr_private_segment_buffer 1
		.amdhsa_user_sgpr_dispatch_ptr 0
		.amdhsa_user_sgpr_queue_ptr 0
		.amdhsa_user_sgpr_kernarg_segment_ptr 1
		.amdhsa_user_sgpr_dispatch_id 0
		.amdhsa_user_sgpr_flat_scratch_init 0
		.amdhsa_user_sgpr_kernarg_preload_length 0
		.amdhsa_user_sgpr_kernarg_preload_offset 0
		.amdhsa_user_sgpr_private_segment_size 0
		.amdhsa_uses_dynamic_stack 0
		.amdhsa_system_sgpr_private_segment_wavefront_offset 0
		.amdhsa_system_sgpr_workgroup_id_x 1
		.amdhsa_system_sgpr_workgroup_id_y 0
		.amdhsa_system_sgpr_workgroup_id_z 0
		.amdhsa_system_sgpr_workgroup_info 0
		.amdhsa_system_vgpr_workitem_id 0
		.amdhsa_next_free_vgpr 1
		.amdhsa_next_free_sgpr 0
		.amdhsa_accum_offset 4
		.amdhsa_reserve_vcc 0
		.amdhsa_reserve_flat_scratch 0
		.amdhsa_float_round_mode_32 0
		.amdhsa_float_round_mode_16_64 0
		.amdhsa_float_denorm_mode_32 3
		.amdhsa_float_denorm_mode_16_64 3
		.amdhsa_dx10_clamp 1
		.amdhsa_ieee_mode 1
		.amdhsa_fp16_overflow 0
		.amdhsa_tg_split 0
		.amdhsa_exception_fp_ieee_invalid_op 0
		.amdhsa_exception_fp_denorm_src 0
		.amdhsa_exception_fp_ieee_div_zero 0
		.amdhsa_exception_fp_ieee_overflow 0
		.amdhsa_exception_fp_ieee_underflow 0
		.amdhsa_exception_fp_ieee_inexact 0
		.amdhsa_exception_int_div_zero 0
	.end_amdhsa_kernel
	.section	.text._ZN7rocprim17ROCPRIM_400000_NS6detail17trampoline_kernelINS0_14default_configENS1_38merge_sort_block_merge_config_selectorI14custom_numericNS0_10empty_typeEEEZZNS1_27merge_sort_block_merge_implIS3_N6thrust23THRUST_200600_302600_NS6detail15normal_iteratorINSA_10device_ptrIS5_EEEEPS6_mNSA_4lessIS5_EEEE10hipError_tT0_T1_T2_jT3_P12ihipStream_tbPNSt15iterator_traitsISK_E10value_typeEPNSQ_ISL_E10value_typeEPSM_NS1_7vsmem_tEENKUlT_SK_SL_SM_E_clIPS5_SF_SG_SG_EESJ_SZ_SK_SL_SM_EUlSZ_E1_NS1_11comp_targetILNS1_3genE0ELNS1_11target_archE4294967295ELNS1_3gpuE0ELNS1_3repE0EEENS1_36merge_oddeven_config_static_selectorELNS0_4arch9wavefront6targetE1EEEvSL_,"axG",@progbits,_ZN7rocprim17ROCPRIM_400000_NS6detail17trampoline_kernelINS0_14default_configENS1_38merge_sort_block_merge_config_selectorI14custom_numericNS0_10empty_typeEEEZZNS1_27merge_sort_block_merge_implIS3_N6thrust23THRUST_200600_302600_NS6detail15normal_iteratorINSA_10device_ptrIS5_EEEEPS6_mNSA_4lessIS5_EEEE10hipError_tT0_T1_T2_jT3_P12ihipStream_tbPNSt15iterator_traitsISK_E10value_typeEPNSQ_ISL_E10value_typeEPSM_NS1_7vsmem_tEENKUlT_SK_SL_SM_E_clIPS5_SF_SG_SG_EESJ_SZ_SK_SL_SM_EUlSZ_E1_NS1_11comp_targetILNS1_3genE0ELNS1_11target_archE4294967295ELNS1_3gpuE0ELNS1_3repE0EEENS1_36merge_oddeven_config_static_selectorELNS0_4arch9wavefront6targetE1EEEvSL_,comdat
.Lfunc_end1431:
	.size	_ZN7rocprim17ROCPRIM_400000_NS6detail17trampoline_kernelINS0_14default_configENS1_38merge_sort_block_merge_config_selectorI14custom_numericNS0_10empty_typeEEEZZNS1_27merge_sort_block_merge_implIS3_N6thrust23THRUST_200600_302600_NS6detail15normal_iteratorINSA_10device_ptrIS5_EEEEPS6_mNSA_4lessIS5_EEEE10hipError_tT0_T1_T2_jT3_P12ihipStream_tbPNSt15iterator_traitsISK_E10value_typeEPNSQ_ISL_E10value_typeEPSM_NS1_7vsmem_tEENKUlT_SK_SL_SM_E_clIPS5_SF_SG_SG_EESJ_SZ_SK_SL_SM_EUlSZ_E1_NS1_11comp_targetILNS1_3genE0ELNS1_11target_archE4294967295ELNS1_3gpuE0ELNS1_3repE0EEENS1_36merge_oddeven_config_static_selectorELNS0_4arch9wavefront6targetE1EEEvSL_, .Lfunc_end1431-_ZN7rocprim17ROCPRIM_400000_NS6detail17trampoline_kernelINS0_14default_configENS1_38merge_sort_block_merge_config_selectorI14custom_numericNS0_10empty_typeEEEZZNS1_27merge_sort_block_merge_implIS3_N6thrust23THRUST_200600_302600_NS6detail15normal_iteratorINSA_10device_ptrIS5_EEEEPS6_mNSA_4lessIS5_EEEE10hipError_tT0_T1_T2_jT3_P12ihipStream_tbPNSt15iterator_traitsISK_E10value_typeEPNSQ_ISL_E10value_typeEPSM_NS1_7vsmem_tEENKUlT_SK_SL_SM_E_clIPS5_SF_SG_SG_EESJ_SZ_SK_SL_SM_EUlSZ_E1_NS1_11comp_targetILNS1_3genE0ELNS1_11target_archE4294967295ELNS1_3gpuE0ELNS1_3repE0EEENS1_36merge_oddeven_config_static_selectorELNS0_4arch9wavefront6targetE1EEEvSL_
                                        ; -- End function
	.section	.AMDGPU.csdata,"",@progbits
; Kernel info:
; codeLenInByte = 0
; NumSgprs: 4
; NumVgprs: 0
; NumAgprs: 0
; TotalNumVgprs: 0
; ScratchSize: 0
; MemoryBound: 0
; FloatMode: 240
; IeeeMode: 1
; LDSByteSize: 0 bytes/workgroup (compile time only)
; SGPRBlocks: 0
; VGPRBlocks: 0
; NumSGPRsForWavesPerEU: 4
; NumVGPRsForWavesPerEU: 1
; AccumOffset: 4
; Occupancy: 8
; WaveLimiterHint : 0
; COMPUTE_PGM_RSRC2:SCRATCH_EN: 0
; COMPUTE_PGM_RSRC2:USER_SGPR: 6
; COMPUTE_PGM_RSRC2:TRAP_HANDLER: 0
; COMPUTE_PGM_RSRC2:TGID_X_EN: 1
; COMPUTE_PGM_RSRC2:TGID_Y_EN: 0
; COMPUTE_PGM_RSRC2:TGID_Z_EN: 0
; COMPUTE_PGM_RSRC2:TIDIG_COMP_CNT: 0
; COMPUTE_PGM_RSRC3_GFX90A:ACCUM_OFFSET: 0
; COMPUTE_PGM_RSRC3_GFX90A:TG_SPLIT: 0
	.section	.text._ZN7rocprim17ROCPRIM_400000_NS6detail17trampoline_kernelINS0_14default_configENS1_38merge_sort_block_merge_config_selectorI14custom_numericNS0_10empty_typeEEEZZNS1_27merge_sort_block_merge_implIS3_N6thrust23THRUST_200600_302600_NS6detail15normal_iteratorINSA_10device_ptrIS5_EEEEPS6_mNSA_4lessIS5_EEEE10hipError_tT0_T1_T2_jT3_P12ihipStream_tbPNSt15iterator_traitsISK_E10value_typeEPNSQ_ISL_E10value_typeEPSM_NS1_7vsmem_tEENKUlT_SK_SL_SM_E_clIPS5_SF_SG_SG_EESJ_SZ_SK_SL_SM_EUlSZ_E1_NS1_11comp_targetILNS1_3genE10ELNS1_11target_archE1201ELNS1_3gpuE5ELNS1_3repE0EEENS1_36merge_oddeven_config_static_selectorELNS0_4arch9wavefront6targetE1EEEvSL_,"axG",@progbits,_ZN7rocprim17ROCPRIM_400000_NS6detail17trampoline_kernelINS0_14default_configENS1_38merge_sort_block_merge_config_selectorI14custom_numericNS0_10empty_typeEEEZZNS1_27merge_sort_block_merge_implIS3_N6thrust23THRUST_200600_302600_NS6detail15normal_iteratorINSA_10device_ptrIS5_EEEEPS6_mNSA_4lessIS5_EEEE10hipError_tT0_T1_T2_jT3_P12ihipStream_tbPNSt15iterator_traitsISK_E10value_typeEPNSQ_ISL_E10value_typeEPSM_NS1_7vsmem_tEENKUlT_SK_SL_SM_E_clIPS5_SF_SG_SG_EESJ_SZ_SK_SL_SM_EUlSZ_E1_NS1_11comp_targetILNS1_3genE10ELNS1_11target_archE1201ELNS1_3gpuE5ELNS1_3repE0EEENS1_36merge_oddeven_config_static_selectorELNS0_4arch9wavefront6targetE1EEEvSL_,comdat
	.protected	_ZN7rocprim17ROCPRIM_400000_NS6detail17trampoline_kernelINS0_14default_configENS1_38merge_sort_block_merge_config_selectorI14custom_numericNS0_10empty_typeEEEZZNS1_27merge_sort_block_merge_implIS3_N6thrust23THRUST_200600_302600_NS6detail15normal_iteratorINSA_10device_ptrIS5_EEEEPS6_mNSA_4lessIS5_EEEE10hipError_tT0_T1_T2_jT3_P12ihipStream_tbPNSt15iterator_traitsISK_E10value_typeEPNSQ_ISL_E10value_typeEPSM_NS1_7vsmem_tEENKUlT_SK_SL_SM_E_clIPS5_SF_SG_SG_EESJ_SZ_SK_SL_SM_EUlSZ_E1_NS1_11comp_targetILNS1_3genE10ELNS1_11target_archE1201ELNS1_3gpuE5ELNS1_3repE0EEENS1_36merge_oddeven_config_static_selectorELNS0_4arch9wavefront6targetE1EEEvSL_ ; -- Begin function _ZN7rocprim17ROCPRIM_400000_NS6detail17trampoline_kernelINS0_14default_configENS1_38merge_sort_block_merge_config_selectorI14custom_numericNS0_10empty_typeEEEZZNS1_27merge_sort_block_merge_implIS3_N6thrust23THRUST_200600_302600_NS6detail15normal_iteratorINSA_10device_ptrIS5_EEEEPS6_mNSA_4lessIS5_EEEE10hipError_tT0_T1_T2_jT3_P12ihipStream_tbPNSt15iterator_traitsISK_E10value_typeEPNSQ_ISL_E10value_typeEPSM_NS1_7vsmem_tEENKUlT_SK_SL_SM_E_clIPS5_SF_SG_SG_EESJ_SZ_SK_SL_SM_EUlSZ_E1_NS1_11comp_targetILNS1_3genE10ELNS1_11target_archE1201ELNS1_3gpuE5ELNS1_3repE0EEENS1_36merge_oddeven_config_static_selectorELNS0_4arch9wavefront6targetE1EEEvSL_
	.globl	_ZN7rocprim17ROCPRIM_400000_NS6detail17trampoline_kernelINS0_14default_configENS1_38merge_sort_block_merge_config_selectorI14custom_numericNS0_10empty_typeEEEZZNS1_27merge_sort_block_merge_implIS3_N6thrust23THRUST_200600_302600_NS6detail15normal_iteratorINSA_10device_ptrIS5_EEEEPS6_mNSA_4lessIS5_EEEE10hipError_tT0_T1_T2_jT3_P12ihipStream_tbPNSt15iterator_traitsISK_E10value_typeEPNSQ_ISL_E10value_typeEPSM_NS1_7vsmem_tEENKUlT_SK_SL_SM_E_clIPS5_SF_SG_SG_EESJ_SZ_SK_SL_SM_EUlSZ_E1_NS1_11comp_targetILNS1_3genE10ELNS1_11target_archE1201ELNS1_3gpuE5ELNS1_3repE0EEENS1_36merge_oddeven_config_static_selectorELNS0_4arch9wavefront6targetE1EEEvSL_
	.p2align	8
	.type	_ZN7rocprim17ROCPRIM_400000_NS6detail17trampoline_kernelINS0_14default_configENS1_38merge_sort_block_merge_config_selectorI14custom_numericNS0_10empty_typeEEEZZNS1_27merge_sort_block_merge_implIS3_N6thrust23THRUST_200600_302600_NS6detail15normal_iteratorINSA_10device_ptrIS5_EEEEPS6_mNSA_4lessIS5_EEEE10hipError_tT0_T1_T2_jT3_P12ihipStream_tbPNSt15iterator_traitsISK_E10value_typeEPNSQ_ISL_E10value_typeEPSM_NS1_7vsmem_tEENKUlT_SK_SL_SM_E_clIPS5_SF_SG_SG_EESJ_SZ_SK_SL_SM_EUlSZ_E1_NS1_11comp_targetILNS1_3genE10ELNS1_11target_archE1201ELNS1_3gpuE5ELNS1_3repE0EEENS1_36merge_oddeven_config_static_selectorELNS0_4arch9wavefront6targetE1EEEvSL_,@function
_ZN7rocprim17ROCPRIM_400000_NS6detail17trampoline_kernelINS0_14default_configENS1_38merge_sort_block_merge_config_selectorI14custom_numericNS0_10empty_typeEEEZZNS1_27merge_sort_block_merge_implIS3_N6thrust23THRUST_200600_302600_NS6detail15normal_iteratorINSA_10device_ptrIS5_EEEEPS6_mNSA_4lessIS5_EEEE10hipError_tT0_T1_T2_jT3_P12ihipStream_tbPNSt15iterator_traitsISK_E10value_typeEPNSQ_ISL_E10value_typeEPSM_NS1_7vsmem_tEENKUlT_SK_SL_SM_E_clIPS5_SF_SG_SG_EESJ_SZ_SK_SL_SM_EUlSZ_E1_NS1_11comp_targetILNS1_3genE10ELNS1_11target_archE1201ELNS1_3gpuE5ELNS1_3repE0EEENS1_36merge_oddeven_config_static_selectorELNS0_4arch9wavefront6targetE1EEEvSL_: ; @_ZN7rocprim17ROCPRIM_400000_NS6detail17trampoline_kernelINS0_14default_configENS1_38merge_sort_block_merge_config_selectorI14custom_numericNS0_10empty_typeEEEZZNS1_27merge_sort_block_merge_implIS3_N6thrust23THRUST_200600_302600_NS6detail15normal_iteratorINSA_10device_ptrIS5_EEEEPS6_mNSA_4lessIS5_EEEE10hipError_tT0_T1_T2_jT3_P12ihipStream_tbPNSt15iterator_traitsISK_E10value_typeEPNSQ_ISL_E10value_typeEPSM_NS1_7vsmem_tEENKUlT_SK_SL_SM_E_clIPS5_SF_SG_SG_EESJ_SZ_SK_SL_SM_EUlSZ_E1_NS1_11comp_targetILNS1_3genE10ELNS1_11target_archE1201ELNS1_3gpuE5ELNS1_3repE0EEENS1_36merge_oddeven_config_static_selectorELNS0_4arch9wavefront6targetE1EEEvSL_
; %bb.0:
	.section	.rodata,"a",@progbits
	.p2align	6, 0x0
	.amdhsa_kernel _ZN7rocprim17ROCPRIM_400000_NS6detail17trampoline_kernelINS0_14default_configENS1_38merge_sort_block_merge_config_selectorI14custom_numericNS0_10empty_typeEEEZZNS1_27merge_sort_block_merge_implIS3_N6thrust23THRUST_200600_302600_NS6detail15normal_iteratorINSA_10device_ptrIS5_EEEEPS6_mNSA_4lessIS5_EEEE10hipError_tT0_T1_T2_jT3_P12ihipStream_tbPNSt15iterator_traitsISK_E10value_typeEPNSQ_ISL_E10value_typeEPSM_NS1_7vsmem_tEENKUlT_SK_SL_SM_E_clIPS5_SF_SG_SG_EESJ_SZ_SK_SL_SM_EUlSZ_E1_NS1_11comp_targetILNS1_3genE10ELNS1_11target_archE1201ELNS1_3gpuE5ELNS1_3repE0EEENS1_36merge_oddeven_config_static_selectorELNS0_4arch9wavefront6targetE1EEEvSL_
		.amdhsa_group_segment_fixed_size 0
		.amdhsa_private_segment_fixed_size 0
		.amdhsa_kernarg_size 56
		.amdhsa_user_sgpr_count 6
		.amdhsa_user_sgpr_private_segment_buffer 1
		.amdhsa_user_sgpr_dispatch_ptr 0
		.amdhsa_user_sgpr_queue_ptr 0
		.amdhsa_user_sgpr_kernarg_segment_ptr 1
		.amdhsa_user_sgpr_dispatch_id 0
		.amdhsa_user_sgpr_flat_scratch_init 0
		.amdhsa_user_sgpr_kernarg_preload_length 0
		.amdhsa_user_sgpr_kernarg_preload_offset 0
		.amdhsa_user_sgpr_private_segment_size 0
		.amdhsa_uses_dynamic_stack 0
		.amdhsa_system_sgpr_private_segment_wavefront_offset 0
		.amdhsa_system_sgpr_workgroup_id_x 1
		.amdhsa_system_sgpr_workgroup_id_y 0
		.amdhsa_system_sgpr_workgroup_id_z 0
		.amdhsa_system_sgpr_workgroup_info 0
		.amdhsa_system_vgpr_workitem_id 0
		.amdhsa_next_free_vgpr 1
		.amdhsa_next_free_sgpr 0
		.amdhsa_accum_offset 4
		.amdhsa_reserve_vcc 0
		.amdhsa_reserve_flat_scratch 0
		.amdhsa_float_round_mode_32 0
		.amdhsa_float_round_mode_16_64 0
		.amdhsa_float_denorm_mode_32 3
		.amdhsa_float_denorm_mode_16_64 3
		.amdhsa_dx10_clamp 1
		.amdhsa_ieee_mode 1
		.amdhsa_fp16_overflow 0
		.amdhsa_tg_split 0
		.amdhsa_exception_fp_ieee_invalid_op 0
		.amdhsa_exception_fp_denorm_src 0
		.amdhsa_exception_fp_ieee_div_zero 0
		.amdhsa_exception_fp_ieee_overflow 0
		.amdhsa_exception_fp_ieee_underflow 0
		.amdhsa_exception_fp_ieee_inexact 0
		.amdhsa_exception_int_div_zero 0
	.end_amdhsa_kernel
	.section	.text._ZN7rocprim17ROCPRIM_400000_NS6detail17trampoline_kernelINS0_14default_configENS1_38merge_sort_block_merge_config_selectorI14custom_numericNS0_10empty_typeEEEZZNS1_27merge_sort_block_merge_implIS3_N6thrust23THRUST_200600_302600_NS6detail15normal_iteratorINSA_10device_ptrIS5_EEEEPS6_mNSA_4lessIS5_EEEE10hipError_tT0_T1_T2_jT3_P12ihipStream_tbPNSt15iterator_traitsISK_E10value_typeEPNSQ_ISL_E10value_typeEPSM_NS1_7vsmem_tEENKUlT_SK_SL_SM_E_clIPS5_SF_SG_SG_EESJ_SZ_SK_SL_SM_EUlSZ_E1_NS1_11comp_targetILNS1_3genE10ELNS1_11target_archE1201ELNS1_3gpuE5ELNS1_3repE0EEENS1_36merge_oddeven_config_static_selectorELNS0_4arch9wavefront6targetE1EEEvSL_,"axG",@progbits,_ZN7rocprim17ROCPRIM_400000_NS6detail17trampoline_kernelINS0_14default_configENS1_38merge_sort_block_merge_config_selectorI14custom_numericNS0_10empty_typeEEEZZNS1_27merge_sort_block_merge_implIS3_N6thrust23THRUST_200600_302600_NS6detail15normal_iteratorINSA_10device_ptrIS5_EEEEPS6_mNSA_4lessIS5_EEEE10hipError_tT0_T1_T2_jT3_P12ihipStream_tbPNSt15iterator_traitsISK_E10value_typeEPNSQ_ISL_E10value_typeEPSM_NS1_7vsmem_tEENKUlT_SK_SL_SM_E_clIPS5_SF_SG_SG_EESJ_SZ_SK_SL_SM_EUlSZ_E1_NS1_11comp_targetILNS1_3genE10ELNS1_11target_archE1201ELNS1_3gpuE5ELNS1_3repE0EEENS1_36merge_oddeven_config_static_selectorELNS0_4arch9wavefront6targetE1EEEvSL_,comdat
.Lfunc_end1432:
	.size	_ZN7rocprim17ROCPRIM_400000_NS6detail17trampoline_kernelINS0_14default_configENS1_38merge_sort_block_merge_config_selectorI14custom_numericNS0_10empty_typeEEEZZNS1_27merge_sort_block_merge_implIS3_N6thrust23THRUST_200600_302600_NS6detail15normal_iteratorINSA_10device_ptrIS5_EEEEPS6_mNSA_4lessIS5_EEEE10hipError_tT0_T1_T2_jT3_P12ihipStream_tbPNSt15iterator_traitsISK_E10value_typeEPNSQ_ISL_E10value_typeEPSM_NS1_7vsmem_tEENKUlT_SK_SL_SM_E_clIPS5_SF_SG_SG_EESJ_SZ_SK_SL_SM_EUlSZ_E1_NS1_11comp_targetILNS1_3genE10ELNS1_11target_archE1201ELNS1_3gpuE5ELNS1_3repE0EEENS1_36merge_oddeven_config_static_selectorELNS0_4arch9wavefront6targetE1EEEvSL_, .Lfunc_end1432-_ZN7rocprim17ROCPRIM_400000_NS6detail17trampoline_kernelINS0_14default_configENS1_38merge_sort_block_merge_config_selectorI14custom_numericNS0_10empty_typeEEEZZNS1_27merge_sort_block_merge_implIS3_N6thrust23THRUST_200600_302600_NS6detail15normal_iteratorINSA_10device_ptrIS5_EEEEPS6_mNSA_4lessIS5_EEEE10hipError_tT0_T1_T2_jT3_P12ihipStream_tbPNSt15iterator_traitsISK_E10value_typeEPNSQ_ISL_E10value_typeEPSM_NS1_7vsmem_tEENKUlT_SK_SL_SM_E_clIPS5_SF_SG_SG_EESJ_SZ_SK_SL_SM_EUlSZ_E1_NS1_11comp_targetILNS1_3genE10ELNS1_11target_archE1201ELNS1_3gpuE5ELNS1_3repE0EEENS1_36merge_oddeven_config_static_selectorELNS0_4arch9wavefront6targetE1EEEvSL_
                                        ; -- End function
	.section	.AMDGPU.csdata,"",@progbits
; Kernel info:
; codeLenInByte = 0
; NumSgprs: 4
; NumVgprs: 0
; NumAgprs: 0
; TotalNumVgprs: 0
; ScratchSize: 0
; MemoryBound: 0
; FloatMode: 240
; IeeeMode: 1
; LDSByteSize: 0 bytes/workgroup (compile time only)
; SGPRBlocks: 0
; VGPRBlocks: 0
; NumSGPRsForWavesPerEU: 4
; NumVGPRsForWavesPerEU: 1
; AccumOffset: 4
; Occupancy: 8
; WaveLimiterHint : 0
; COMPUTE_PGM_RSRC2:SCRATCH_EN: 0
; COMPUTE_PGM_RSRC2:USER_SGPR: 6
; COMPUTE_PGM_RSRC2:TRAP_HANDLER: 0
; COMPUTE_PGM_RSRC2:TGID_X_EN: 1
; COMPUTE_PGM_RSRC2:TGID_Y_EN: 0
; COMPUTE_PGM_RSRC2:TGID_Z_EN: 0
; COMPUTE_PGM_RSRC2:TIDIG_COMP_CNT: 0
; COMPUTE_PGM_RSRC3_GFX90A:ACCUM_OFFSET: 0
; COMPUTE_PGM_RSRC3_GFX90A:TG_SPLIT: 0
	.section	.text._ZN7rocprim17ROCPRIM_400000_NS6detail17trampoline_kernelINS0_14default_configENS1_38merge_sort_block_merge_config_selectorI14custom_numericNS0_10empty_typeEEEZZNS1_27merge_sort_block_merge_implIS3_N6thrust23THRUST_200600_302600_NS6detail15normal_iteratorINSA_10device_ptrIS5_EEEEPS6_mNSA_4lessIS5_EEEE10hipError_tT0_T1_T2_jT3_P12ihipStream_tbPNSt15iterator_traitsISK_E10value_typeEPNSQ_ISL_E10value_typeEPSM_NS1_7vsmem_tEENKUlT_SK_SL_SM_E_clIPS5_SF_SG_SG_EESJ_SZ_SK_SL_SM_EUlSZ_E1_NS1_11comp_targetILNS1_3genE5ELNS1_11target_archE942ELNS1_3gpuE9ELNS1_3repE0EEENS1_36merge_oddeven_config_static_selectorELNS0_4arch9wavefront6targetE1EEEvSL_,"axG",@progbits,_ZN7rocprim17ROCPRIM_400000_NS6detail17trampoline_kernelINS0_14default_configENS1_38merge_sort_block_merge_config_selectorI14custom_numericNS0_10empty_typeEEEZZNS1_27merge_sort_block_merge_implIS3_N6thrust23THRUST_200600_302600_NS6detail15normal_iteratorINSA_10device_ptrIS5_EEEEPS6_mNSA_4lessIS5_EEEE10hipError_tT0_T1_T2_jT3_P12ihipStream_tbPNSt15iterator_traitsISK_E10value_typeEPNSQ_ISL_E10value_typeEPSM_NS1_7vsmem_tEENKUlT_SK_SL_SM_E_clIPS5_SF_SG_SG_EESJ_SZ_SK_SL_SM_EUlSZ_E1_NS1_11comp_targetILNS1_3genE5ELNS1_11target_archE942ELNS1_3gpuE9ELNS1_3repE0EEENS1_36merge_oddeven_config_static_selectorELNS0_4arch9wavefront6targetE1EEEvSL_,comdat
	.protected	_ZN7rocprim17ROCPRIM_400000_NS6detail17trampoline_kernelINS0_14default_configENS1_38merge_sort_block_merge_config_selectorI14custom_numericNS0_10empty_typeEEEZZNS1_27merge_sort_block_merge_implIS3_N6thrust23THRUST_200600_302600_NS6detail15normal_iteratorINSA_10device_ptrIS5_EEEEPS6_mNSA_4lessIS5_EEEE10hipError_tT0_T1_T2_jT3_P12ihipStream_tbPNSt15iterator_traitsISK_E10value_typeEPNSQ_ISL_E10value_typeEPSM_NS1_7vsmem_tEENKUlT_SK_SL_SM_E_clIPS5_SF_SG_SG_EESJ_SZ_SK_SL_SM_EUlSZ_E1_NS1_11comp_targetILNS1_3genE5ELNS1_11target_archE942ELNS1_3gpuE9ELNS1_3repE0EEENS1_36merge_oddeven_config_static_selectorELNS0_4arch9wavefront6targetE1EEEvSL_ ; -- Begin function _ZN7rocprim17ROCPRIM_400000_NS6detail17trampoline_kernelINS0_14default_configENS1_38merge_sort_block_merge_config_selectorI14custom_numericNS0_10empty_typeEEEZZNS1_27merge_sort_block_merge_implIS3_N6thrust23THRUST_200600_302600_NS6detail15normal_iteratorINSA_10device_ptrIS5_EEEEPS6_mNSA_4lessIS5_EEEE10hipError_tT0_T1_T2_jT3_P12ihipStream_tbPNSt15iterator_traitsISK_E10value_typeEPNSQ_ISL_E10value_typeEPSM_NS1_7vsmem_tEENKUlT_SK_SL_SM_E_clIPS5_SF_SG_SG_EESJ_SZ_SK_SL_SM_EUlSZ_E1_NS1_11comp_targetILNS1_3genE5ELNS1_11target_archE942ELNS1_3gpuE9ELNS1_3repE0EEENS1_36merge_oddeven_config_static_selectorELNS0_4arch9wavefront6targetE1EEEvSL_
	.globl	_ZN7rocprim17ROCPRIM_400000_NS6detail17trampoline_kernelINS0_14default_configENS1_38merge_sort_block_merge_config_selectorI14custom_numericNS0_10empty_typeEEEZZNS1_27merge_sort_block_merge_implIS3_N6thrust23THRUST_200600_302600_NS6detail15normal_iteratorINSA_10device_ptrIS5_EEEEPS6_mNSA_4lessIS5_EEEE10hipError_tT0_T1_T2_jT3_P12ihipStream_tbPNSt15iterator_traitsISK_E10value_typeEPNSQ_ISL_E10value_typeEPSM_NS1_7vsmem_tEENKUlT_SK_SL_SM_E_clIPS5_SF_SG_SG_EESJ_SZ_SK_SL_SM_EUlSZ_E1_NS1_11comp_targetILNS1_3genE5ELNS1_11target_archE942ELNS1_3gpuE9ELNS1_3repE0EEENS1_36merge_oddeven_config_static_selectorELNS0_4arch9wavefront6targetE1EEEvSL_
	.p2align	8
	.type	_ZN7rocprim17ROCPRIM_400000_NS6detail17trampoline_kernelINS0_14default_configENS1_38merge_sort_block_merge_config_selectorI14custom_numericNS0_10empty_typeEEEZZNS1_27merge_sort_block_merge_implIS3_N6thrust23THRUST_200600_302600_NS6detail15normal_iteratorINSA_10device_ptrIS5_EEEEPS6_mNSA_4lessIS5_EEEE10hipError_tT0_T1_T2_jT3_P12ihipStream_tbPNSt15iterator_traitsISK_E10value_typeEPNSQ_ISL_E10value_typeEPSM_NS1_7vsmem_tEENKUlT_SK_SL_SM_E_clIPS5_SF_SG_SG_EESJ_SZ_SK_SL_SM_EUlSZ_E1_NS1_11comp_targetILNS1_3genE5ELNS1_11target_archE942ELNS1_3gpuE9ELNS1_3repE0EEENS1_36merge_oddeven_config_static_selectorELNS0_4arch9wavefront6targetE1EEEvSL_,@function
_ZN7rocprim17ROCPRIM_400000_NS6detail17trampoline_kernelINS0_14default_configENS1_38merge_sort_block_merge_config_selectorI14custom_numericNS0_10empty_typeEEEZZNS1_27merge_sort_block_merge_implIS3_N6thrust23THRUST_200600_302600_NS6detail15normal_iteratorINSA_10device_ptrIS5_EEEEPS6_mNSA_4lessIS5_EEEE10hipError_tT0_T1_T2_jT3_P12ihipStream_tbPNSt15iterator_traitsISK_E10value_typeEPNSQ_ISL_E10value_typeEPSM_NS1_7vsmem_tEENKUlT_SK_SL_SM_E_clIPS5_SF_SG_SG_EESJ_SZ_SK_SL_SM_EUlSZ_E1_NS1_11comp_targetILNS1_3genE5ELNS1_11target_archE942ELNS1_3gpuE9ELNS1_3repE0EEENS1_36merge_oddeven_config_static_selectorELNS0_4arch9wavefront6targetE1EEEvSL_: ; @_ZN7rocprim17ROCPRIM_400000_NS6detail17trampoline_kernelINS0_14default_configENS1_38merge_sort_block_merge_config_selectorI14custom_numericNS0_10empty_typeEEEZZNS1_27merge_sort_block_merge_implIS3_N6thrust23THRUST_200600_302600_NS6detail15normal_iteratorINSA_10device_ptrIS5_EEEEPS6_mNSA_4lessIS5_EEEE10hipError_tT0_T1_T2_jT3_P12ihipStream_tbPNSt15iterator_traitsISK_E10value_typeEPNSQ_ISL_E10value_typeEPSM_NS1_7vsmem_tEENKUlT_SK_SL_SM_E_clIPS5_SF_SG_SG_EESJ_SZ_SK_SL_SM_EUlSZ_E1_NS1_11comp_targetILNS1_3genE5ELNS1_11target_archE942ELNS1_3gpuE9ELNS1_3repE0EEENS1_36merge_oddeven_config_static_selectorELNS0_4arch9wavefront6targetE1EEEvSL_
; %bb.0:
	.section	.rodata,"a",@progbits
	.p2align	6, 0x0
	.amdhsa_kernel _ZN7rocprim17ROCPRIM_400000_NS6detail17trampoline_kernelINS0_14default_configENS1_38merge_sort_block_merge_config_selectorI14custom_numericNS0_10empty_typeEEEZZNS1_27merge_sort_block_merge_implIS3_N6thrust23THRUST_200600_302600_NS6detail15normal_iteratorINSA_10device_ptrIS5_EEEEPS6_mNSA_4lessIS5_EEEE10hipError_tT0_T1_T2_jT3_P12ihipStream_tbPNSt15iterator_traitsISK_E10value_typeEPNSQ_ISL_E10value_typeEPSM_NS1_7vsmem_tEENKUlT_SK_SL_SM_E_clIPS5_SF_SG_SG_EESJ_SZ_SK_SL_SM_EUlSZ_E1_NS1_11comp_targetILNS1_3genE5ELNS1_11target_archE942ELNS1_3gpuE9ELNS1_3repE0EEENS1_36merge_oddeven_config_static_selectorELNS0_4arch9wavefront6targetE1EEEvSL_
		.amdhsa_group_segment_fixed_size 0
		.amdhsa_private_segment_fixed_size 0
		.amdhsa_kernarg_size 56
		.amdhsa_user_sgpr_count 6
		.amdhsa_user_sgpr_private_segment_buffer 1
		.amdhsa_user_sgpr_dispatch_ptr 0
		.amdhsa_user_sgpr_queue_ptr 0
		.amdhsa_user_sgpr_kernarg_segment_ptr 1
		.amdhsa_user_sgpr_dispatch_id 0
		.amdhsa_user_sgpr_flat_scratch_init 0
		.amdhsa_user_sgpr_kernarg_preload_length 0
		.amdhsa_user_sgpr_kernarg_preload_offset 0
		.amdhsa_user_sgpr_private_segment_size 0
		.amdhsa_uses_dynamic_stack 0
		.amdhsa_system_sgpr_private_segment_wavefront_offset 0
		.amdhsa_system_sgpr_workgroup_id_x 1
		.amdhsa_system_sgpr_workgroup_id_y 0
		.amdhsa_system_sgpr_workgroup_id_z 0
		.amdhsa_system_sgpr_workgroup_info 0
		.amdhsa_system_vgpr_workitem_id 0
		.amdhsa_next_free_vgpr 1
		.amdhsa_next_free_sgpr 0
		.amdhsa_accum_offset 4
		.amdhsa_reserve_vcc 0
		.amdhsa_reserve_flat_scratch 0
		.amdhsa_float_round_mode_32 0
		.amdhsa_float_round_mode_16_64 0
		.amdhsa_float_denorm_mode_32 3
		.amdhsa_float_denorm_mode_16_64 3
		.amdhsa_dx10_clamp 1
		.amdhsa_ieee_mode 1
		.amdhsa_fp16_overflow 0
		.amdhsa_tg_split 0
		.amdhsa_exception_fp_ieee_invalid_op 0
		.amdhsa_exception_fp_denorm_src 0
		.amdhsa_exception_fp_ieee_div_zero 0
		.amdhsa_exception_fp_ieee_overflow 0
		.amdhsa_exception_fp_ieee_underflow 0
		.amdhsa_exception_fp_ieee_inexact 0
		.amdhsa_exception_int_div_zero 0
	.end_amdhsa_kernel
	.section	.text._ZN7rocprim17ROCPRIM_400000_NS6detail17trampoline_kernelINS0_14default_configENS1_38merge_sort_block_merge_config_selectorI14custom_numericNS0_10empty_typeEEEZZNS1_27merge_sort_block_merge_implIS3_N6thrust23THRUST_200600_302600_NS6detail15normal_iteratorINSA_10device_ptrIS5_EEEEPS6_mNSA_4lessIS5_EEEE10hipError_tT0_T1_T2_jT3_P12ihipStream_tbPNSt15iterator_traitsISK_E10value_typeEPNSQ_ISL_E10value_typeEPSM_NS1_7vsmem_tEENKUlT_SK_SL_SM_E_clIPS5_SF_SG_SG_EESJ_SZ_SK_SL_SM_EUlSZ_E1_NS1_11comp_targetILNS1_3genE5ELNS1_11target_archE942ELNS1_3gpuE9ELNS1_3repE0EEENS1_36merge_oddeven_config_static_selectorELNS0_4arch9wavefront6targetE1EEEvSL_,"axG",@progbits,_ZN7rocprim17ROCPRIM_400000_NS6detail17trampoline_kernelINS0_14default_configENS1_38merge_sort_block_merge_config_selectorI14custom_numericNS0_10empty_typeEEEZZNS1_27merge_sort_block_merge_implIS3_N6thrust23THRUST_200600_302600_NS6detail15normal_iteratorINSA_10device_ptrIS5_EEEEPS6_mNSA_4lessIS5_EEEE10hipError_tT0_T1_T2_jT3_P12ihipStream_tbPNSt15iterator_traitsISK_E10value_typeEPNSQ_ISL_E10value_typeEPSM_NS1_7vsmem_tEENKUlT_SK_SL_SM_E_clIPS5_SF_SG_SG_EESJ_SZ_SK_SL_SM_EUlSZ_E1_NS1_11comp_targetILNS1_3genE5ELNS1_11target_archE942ELNS1_3gpuE9ELNS1_3repE0EEENS1_36merge_oddeven_config_static_selectorELNS0_4arch9wavefront6targetE1EEEvSL_,comdat
.Lfunc_end1433:
	.size	_ZN7rocprim17ROCPRIM_400000_NS6detail17trampoline_kernelINS0_14default_configENS1_38merge_sort_block_merge_config_selectorI14custom_numericNS0_10empty_typeEEEZZNS1_27merge_sort_block_merge_implIS3_N6thrust23THRUST_200600_302600_NS6detail15normal_iteratorINSA_10device_ptrIS5_EEEEPS6_mNSA_4lessIS5_EEEE10hipError_tT0_T1_T2_jT3_P12ihipStream_tbPNSt15iterator_traitsISK_E10value_typeEPNSQ_ISL_E10value_typeEPSM_NS1_7vsmem_tEENKUlT_SK_SL_SM_E_clIPS5_SF_SG_SG_EESJ_SZ_SK_SL_SM_EUlSZ_E1_NS1_11comp_targetILNS1_3genE5ELNS1_11target_archE942ELNS1_3gpuE9ELNS1_3repE0EEENS1_36merge_oddeven_config_static_selectorELNS0_4arch9wavefront6targetE1EEEvSL_, .Lfunc_end1433-_ZN7rocprim17ROCPRIM_400000_NS6detail17trampoline_kernelINS0_14default_configENS1_38merge_sort_block_merge_config_selectorI14custom_numericNS0_10empty_typeEEEZZNS1_27merge_sort_block_merge_implIS3_N6thrust23THRUST_200600_302600_NS6detail15normal_iteratorINSA_10device_ptrIS5_EEEEPS6_mNSA_4lessIS5_EEEE10hipError_tT0_T1_T2_jT3_P12ihipStream_tbPNSt15iterator_traitsISK_E10value_typeEPNSQ_ISL_E10value_typeEPSM_NS1_7vsmem_tEENKUlT_SK_SL_SM_E_clIPS5_SF_SG_SG_EESJ_SZ_SK_SL_SM_EUlSZ_E1_NS1_11comp_targetILNS1_3genE5ELNS1_11target_archE942ELNS1_3gpuE9ELNS1_3repE0EEENS1_36merge_oddeven_config_static_selectorELNS0_4arch9wavefront6targetE1EEEvSL_
                                        ; -- End function
	.section	.AMDGPU.csdata,"",@progbits
; Kernel info:
; codeLenInByte = 0
; NumSgprs: 4
; NumVgprs: 0
; NumAgprs: 0
; TotalNumVgprs: 0
; ScratchSize: 0
; MemoryBound: 0
; FloatMode: 240
; IeeeMode: 1
; LDSByteSize: 0 bytes/workgroup (compile time only)
; SGPRBlocks: 0
; VGPRBlocks: 0
; NumSGPRsForWavesPerEU: 4
; NumVGPRsForWavesPerEU: 1
; AccumOffset: 4
; Occupancy: 8
; WaveLimiterHint : 0
; COMPUTE_PGM_RSRC2:SCRATCH_EN: 0
; COMPUTE_PGM_RSRC2:USER_SGPR: 6
; COMPUTE_PGM_RSRC2:TRAP_HANDLER: 0
; COMPUTE_PGM_RSRC2:TGID_X_EN: 1
; COMPUTE_PGM_RSRC2:TGID_Y_EN: 0
; COMPUTE_PGM_RSRC2:TGID_Z_EN: 0
; COMPUTE_PGM_RSRC2:TIDIG_COMP_CNT: 0
; COMPUTE_PGM_RSRC3_GFX90A:ACCUM_OFFSET: 0
; COMPUTE_PGM_RSRC3_GFX90A:TG_SPLIT: 0
	.section	.text._ZN7rocprim17ROCPRIM_400000_NS6detail17trampoline_kernelINS0_14default_configENS1_38merge_sort_block_merge_config_selectorI14custom_numericNS0_10empty_typeEEEZZNS1_27merge_sort_block_merge_implIS3_N6thrust23THRUST_200600_302600_NS6detail15normal_iteratorINSA_10device_ptrIS5_EEEEPS6_mNSA_4lessIS5_EEEE10hipError_tT0_T1_T2_jT3_P12ihipStream_tbPNSt15iterator_traitsISK_E10value_typeEPNSQ_ISL_E10value_typeEPSM_NS1_7vsmem_tEENKUlT_SK_SL_SM_E_clIPS5_SF_SG_SG_EESJ_SZ_SK_SL_SM_EUlSZ_E1_NS1_11comp_targetILNS1_3genE4ELNS1_11target_archE910ELNS1_3gpuE8ELNS1_3repE0EEENS1_36merge_oddeven_config_static_selectorELNS0_4arch9wavefront6targetE1EEEvSL_,"axG",@progbits,_ZN7rocprim17ROCPRIM_400000_NS6detail17trampoline_kernelINS0_14default_configENS1_38merge_sort_block_merge_config_selectorI14custom_numericNS0_10empty_typeEEEZZNS1_27merge_sort_block_merge_implIS3_N6thrust23THRUST_200600_302600_NS6detail15normal_iteratorINSA_10device_ptrIS5_EEEEPS6_mNSA_4lessIS5_EEEE10hipError_tT0_T1_T2_jT3_P12ihipStream_tbPNSt15iterator_traitsISK_E10value_typeEPNSQ_ISL_E10value_typeEPSM_NS1_7vsmem_tEENKUlT_SK_SL_SM_E_clIPS5_SF_SG_SG_EESJ_SZ_SK_SL_SM_EUlSZ_E1_NS1_11comp_targetILNS1_3genE4ELNS1_11target_archE910ELNS1_3gpuE8ELNS1_3repE0EEENS1_36merge_oddeven_config_static_selectorELNS0_4arch9wavefront6targetE1EEEvSL_,comdat
	.protected	_ZN7rocprim17ROCPRIM_400000_NS6detail17trampoline_kernelINS0_14default_configENS1_38merge_sort_block_merge_config_selectorI14custom_numericNS0_10empty_typeEEEZZNS1_27merge_sort_block_merge_implIS3_N6thrust23THRUST_200600_302600_NS6detail15normal_iteratorINSA_10device_ptrIS5_EEEEPS6_mNSA_4lessIS5_EEEE10hipError_tT0_T1_T2_jT3_P12ihipStream_tbPNSt15iterator_traitsISK_E10value_typeEPNSQ_ISL_E10value_typeEPSM_NS1_7vsmem_tEENKUlT_SK_SL_SM_E_clIPS5_SF_SG_SG_EESJ_SZ_SK_SL_SM_EUlSZ_E1_NS1_11comp_targetILNS1_3genE4ELNS1_11target_archE910ELNS1_3gpuE8ELNS1_3repE0EEENS1_36merge_oddeven_config_static_selectorELNS0_4arch9wavefront6targetE1EEEvSL_ ; -- Begin function _ZN7rocprim17ROCPRIM_400000_NS6detail17trampoline_kernelINS0_14default_configENS1_38merge_sort_block_merge_config_selectorI14custom_numericNS0_10empty_typeEEEZZNS1_27merge_sort_block_merge_implIS3_N6thrust23THRUST_200600_302600_NS6detail15normal_iteratorINSA_10device_ptrIS5_EEEEPS6_mNSA_4lessIS5_EEEE10hipError_tT0_T1_T2_jT3_P12ihipStream_tbPNSt15iterator_traitsISK_E10value_typeEPNSQ_ISL_E10value_typeEPSM_NS1_7vsmem_tEENKUlT_SK_SL_SM_E_clIPS5_SF_SG_SG_EESJ_SZ_SK_SL_SM_EUlSZ_E1_NS1_11comp_targetILNS1_3genE4ELNS1_11target_archE910ELNS1_3gpuE8ELNS1_3repE0EEENS1_36merge_oddeven_config_static_selectorELNS0_4arch9wavefront6targetE1EEEvSL_
	.globl	_ZN7rocprim17ROCPRIM_400000_NS6detail17trampoline_kernelINS0_14default_configENS1_38merge_sort_block_merge_config_selectorI14custom_numericNS0_10empty_typeEEEZZNS1_27merge_sort_block_merge_implIS3_N6thrust23THRUST_200600_302600_NS6detail15normal_iteratorINSA_10device_ptrIS5_EEEEPS6_mNSA_4lessIS5_EEEE10hipError_tT0_T1_T2_jT3_P12ihipStream_tbPNSt15iterator_traitsISK_E10value_typeEPNSQ_ISL_E10value_typeEPSM_NS1_7vsmem_tEENKUlT_SK_SL_SM_E_clIPS5_SF_SG_SG_EESJ_SZ_SK_SL_SM_EUlSZ_E1_NS1_11comp_targetILNS1_3genE4ELNS1_11target_archE910ELNS1_3gpuE8ELNS1_3repE0EEENS1_36merge_oddeven_config_static_selectorELNS0_4arch9wavefront6targetE1EEEvSL_
	.p2align	8
	.type	_ZN7rocprim17ROCPRIM_400000_NS6detail17trampoline_kernelINS0_14default_configENS1_38merge_sort_block_merge_config_selectorI14custom_numericNS0_10empty_typeEEEZZNS1_27merge_sort_block_merge_implIS3_N6thrust23THRUST_200600_302600_NS6detail15normal_iteratorINSA_10device_ptrIS5_EEEEPS6_mNSA_4lessIS5_EEEE10hipError_tT0_T1_T2_jT3_P12ihipStream_tbPNSt15iterator_traitsISK_E10value_typeEPNSQ_ISL_E10value_typeEPSM_NS1_7vsmem_tEENKUlT_SK_SL_SM_E_clIPS5_SF_SG_SG_EESJ_SZ_SK_SL_SM_EUlSZ_E1_NS1_11comp_targetILNS1_3genE4ELNS1_11target_archE910ELNS1_3gpuE8ELNS1_3repE0EEENS1_36merge_oddeven_config_static_selectorELNS0_4arch9wavefront6targetE1EEEvSL_,@function
_ZN7rocprim17ROCPRIM_400000_NS6detail17trampoline_kernelINS0_14default_configENS1_38merge_sort_block_merge_config_selectorI14custom_numericNS0_10empty_typeEEEZZNS1_27merge_sort_block_merge_implIS3_N6thrust23THRUST_200600_302600_NS6detail15normal_iteratorINSA_10device_ptrIS5_EEEEPS6_mNSA_4lessIS5_EEEE10hipError_tT0_T1_T2_jT3_P12ihipStream_tbPNSt15iterator_traitsISK_E10value_typeEPNSQ_ISL_E10value_typeEPSM_NS1_7vsmem_tEENKUlT_SK_SL_SM_E_clIPS5_SF_SG_SG_EESJ_SZ_SK_SL_SM_EUlSZ_E1_NS1_11comp_targetILNS1_3genE4ELNS1_11target_archE910ELNS1_3gpuE8ELNS1_3repE0EEENS1_36merge_oddeven_config_static_selectorELNS0_4arch9wavefront6targetE1EEEvSL_: ; @_ZN7rocprim17ROCPRIM_400000_NS6detail17trampoline_kernelINS0_14default_configENS1_38merge_sort_block_merge_config_selectorI14custom_numericNS0_10empty_typeEEEZZNS1_27merge_sort_block_merge_implIS3_N6thrust23THRUST_200600_302600_NS6detail15normal_iteratorINSA_10device_ptrIS5_EEEEPS6_mNSA_4lessIS5_EEEE10hipError_tT0_T1_T2_jT3_P12ihipStream_tbPNSt15iterator_traitsISK_E10value_typeEPNSQ_ISL_E10value_typeEPSM_NS1_7vsmem_tEENKUlT_SK_SL_SM_E_clIPS5_SF_SG_SG_EESJ_SZ_SK_SL_SM_EUlSZ_E1_NS1_11comp_targetILNS1_3genE4ELNS1_11target_archE910ELNS1_3gpuE8ELNS1_3repE0EEENS1_36merge_oddeven_config_static_selectorELNS0_4arch9wavefront6targetE1EEEvSL_
; %bb.0:
	s_load_dword s17, s[4:5], 0x20
	s_lshl_b32 s7, s6, 7
	s_waitcnt lgkmcnt(0)
	s_lshr_b32 s0, s17, 7
	s_cmp_lg_u32 s6, s0
	s_cselect_b64 s[14:15], -1, 0
	s_cmp_eq_u32 s6, s0
	s_cselect_b64 s[12:13], -1, 0
	s_sub_i32 s0, s17, s7
	v_cmp_gt_u32_e64 s[2:3], s0, v0
	s_or_b64 s[0:1], s[14:15], s[2:3]
	s_and_saveexec_b64 s[8:9], s[0:1]
	s_cbranch_execz .LBB1434_20
; %bb.1:
	s_load_dwordx4 s[8:11], s[4:5], 0x0
	s_load_dword s18, s[4:5], 0x28
	s_mul_i32 s0, s7, 20
	s_mul_hi_u32 s1, s7, 20
	v_add_u32_e32 v1, s7, v0
	s_waitcnt lgkmcnt(0)
	s_add_u32 s0, s8, s0
	s_addc_u32 s1, s9, s1
	v_mad_u64_u32 v[2:3], s[0:1], v0, 20, s[0:1]
	global_load_dword v2, v[2:3], off
	s_lshr_b32 s0, s18, 7
	s_sub_i32 s1, 0, s0
	s_and_b32 s1, s6, s1
	s_and_b32 s0, s1, s0
	s_lshl_b32 s19, s1, 7
	s_sub_i32 s6, 0, s18
	s_cmp_eq_u32 s0, 0
	s_cselect_b64 s[0:1], -1, 0
	s_and_b64 s[4:5], s[0:1], exec
	s_cselect_b32 s16, s18, s6
	s_add_i32 s16, s16, s19
	s_cmp_lt_u32 s16, s17
	s_cbranch_scc1 .LBB1434_3
; %bb.2:
	v_cmp_gt_u32_e32 vcc, s17, v1
	s_or_b64 s[4:5], vcc, s[14:15]
	s_and_b64 s[4:5], s[4:5], exec
	s_cbranch_execz .LBB1434_4
	s_branch .LBB1434_18
.LBB1434_3:
	s_mov_b64 s[4:5], 0
.LBB1434_4:
	s_min_u32 s14, s16, s17
	s_add_i32 s6, s14, s18
	s_min_u32 s15, s6, s17
	s_min_u32 s6, s19, s14
	s_add_i32 s19, s19, s14
	v_subrev_u32_e32 v0, s19, v1
	v_add_u32_e32 v0, s6, v0
	s_and_b64 vcc, exec, s[12:13]
	s_cbranch_vccz .LBB1434_12
; %bb.5:
                                        ; implicit-def: $vgpr1
	s_and_saveexec_b64 s[6:7], s[2:3]
	s_cbranch_execz .LBB1434_11
; %bb.6:
	s_cmp_ge_u32 s16, s15
	v_mov_b32_e32 v1, s14
	s_cbranch_scc1 .LBB1434_10
; %bb.7:
	s_mov_b64 s[2:3], 0
	v_mov_b32_e32 v3, s15
	v_mov_b32_e32 v1, s14
.LBB1434_8:                             ; =>This Inner Loop Header: Depth=1
	v_add_u32_e32 v4, v1, v3
	v_lshrrev_b32_e32 v6, 1, v4
	v_mad_u64_u32 v[4:5], s[12:13], v6, 20, s[8:9]
	global_load_dword v4, v[4:5], off
	v_add_u32_e32 v5, 1, v6
	s_waitcnt vmcnt(0)
	v_cmp_lt_i32_e32 vcc, v4, v2
	v_cndmask_b32_e64 v7, 0, 1, vcc
	v_cmp_ge_i32_e32 vcc, v2, v4
	v_cndmask_b32_e64 v4, 0, 1, vcc
	v_cndmask_b32_e64 v4, v4, v7, s[0:1]
	v_and_b32_e32 v4, 1, v4
	v_cmp_eq_u32_e32 vcc, 1, v4
	v_cndmask_b32_e32 v3, v6, v3, vcc
	v_cndmask_b32_e32 v1, v1, v5, vcc
	v_cmp_ge_u32_e32 vcc, v1, v3
	s_or_b64 s[2:3], vcc, s[2:3]
	s_andn2_b64 exec, exec, s[2:3]
	s_cbranch_execnz .LBB1434_8
; %bb.9:
	s_or_b64 exec, exec, s[2:3]
.LBB1434_10:
	v_add_u32_e32 v1, v1, v0
	s_or_b64 s[4:5], s[4:5], exec
.LBB1434_11:
	s_or_b64 exec, exec, s[6:7]
	s_branch .LBB1434_18
.LBB1434_12:
                                        ; implicit-def: $vgpr1
	s_cbranch_execz .LBB1434_18
; %bb.13:
	s_cmp_ge_u32 s16, s15
	v_mov_b32_e32 v1, s14
	s_cbranch_scc1 .LBB1434_17
; %bb.14:
	s_mov_b64 s[2:3], 0
	v_mov_b32_e32 v3, s15
	v_mov_b32_e32 v1, s14
.LBB1434_15:                            ; =>This Inner Loop Header: Depth=1
	v_add_u32_e32 v4, v1, v3
	v_lshrrev_b32_e32 v6, 1, v4
	v_mad_u64_u32 v[4:5], s[4:5], v6, 20, s[8:9]
	global_load_dword v4, v[4:5], off
	v_add_u32_e32 v5, 1, v6
	s_waitcnt vmcnt(0)
	v_cmp_lt_i32_e32 vcc, v4, v2
	v_cndmask_b32_e64 v7, 0, 1, vcc
	v_cmp_ge_i32_e32 vcc, v2, v4
	v_cndmask_b32_e64 v4, 0, 1, vcc
	v_cndmask_b32_e64 v4, v4, v7, s[0:1]
	v_and_b32_e32 v4, 1, v4
	v_cmp_eq_u32_e32 vcc, 1, v4
	v_cndmask_b32_e32 v3, v6, v3, vcc
	v_cndmask_b32_e32 v1, v1, v5, vcc
	v_cmp_ge_u32_e32 vcc, v1, v3
	s_or_b64 s[2:3], vcc, s[2:3]
	s_andn2_b64 exec, exec, s[2:3]
	s_cbranch_execnz .LBB1434_15
; %bb.16:
	s_or_b64 exec, exec, s[2:3]
.LBB1434_17:
	v_add_u32_e32 v1, v1, v0
	s_mov_b64 s[4:5], -1
.LBB1434_18:
	s_and_b64 exec, exec, s[4:5]
	s_cbranch_execz .LBB1434_20
; %bb.19:
	v_mov_b32_e32 v4, s10
	v_mov_b32_e32 v5, s11
	v_mad_u64_u32 v[0:1], s[0:1], v1, 20, v[4:5]
	s_waitcnt vmcnt(0)
	v_mov_b32_e32 v3, v2
	v_mov_b32_e32 v4, v2
	;; [unrolled: 1-line block ×3, first 2 shown]
	global_store_dwordx4 v[0:1], v[2:5], off
	global_store_dword v[0:1], v2, off offset:16
.LBB1434_20:
	s_endpgm
	.section	.rodata,"a",@progbits
	.p2align	6, 0x0
	.amdhsa_kernel _ZN7rocprim17ROCPRIM_400000_NS6detail17trampoline_kernelINS0_14default_configENS1_38merge_sort_block_merge_config_selectorI14custom_numericNS0_10empty_typeEEEZZNS1_27merge_sort_block_merge_implIS3_N6thrust23THRUST_200600_302600_NS6detail15normal_iteratorINSA_10device_ptrIS5_EEEEPS6_mNSA_4lessIS5_EEEE10hipError_tT0_T1_T2_jT3_P12ihipStream_tbPNSt15iterator_traitsISK_E10value_typeEPNSQ_ISL_E10value_typeEPSM_NS1_7vsmem_tEENKUlT_SK_SL_SM_E_clIPS5_SF_SG_SG_EESJ_SZ_SK_SL_SM_EUlSZ_E1_NS1_11comp_targetILNS1_3genE4ELNS1_11target_archE910ELNS1_3gpuE8ELNS1_3repE0EEENS1_36merge_oddeven_config_static_selectorELNS0_4arch9wavefront6targetE1EEEvSL_
		.amdhsa_group_segment_fixed_size 0
		.amdhsa_private_segment_fixed_size 0
		.amdhsa_kernarg_size 56
		.amdhsa_user_sgpr_count 6
		.amdhsa_user_sgpr_private_segment_buffer 1
		.amdhsa_user_sgpr_dispatch_ptr 0
		.amdhsa_user_sgpr_queue_ptr 0
		.amdhsa_user_sgpr_kernarg_segment_ptr 1
		.amdhsa_user_sgpr_dispatch_id 0
		.amdhsa_user_sgpr_flat_scratch_init 0
		.amdhsa_user_sgpr_kernarg_preload_length 0
		.amdhsa_user_sgpr_kernarg_preload_offset 0
		.amdhsa_user_sgpr_private_segment_size 0
		.amdhsa_uses_dynamic_stack 0
		.amdhsa_system_sgpr_private_segment_wavefront_offset 0
		.amdhsa_system_sgpr_workgroup_id_x 1
		.amdhsa_system_sgpr_workgroup_id_y 0
		.amdhsa_system_sgpr_workgroup_id_z 0
		.amdhsa_system_sgpr_workgroup_info 0
		.amdhsa_system_vgpr_workitem_id 0
		.amdhsa_next_free_vgpr 8
		.amdhsa_next_free_sgpr 20
		.amdhsa_accum_offset 8
		.amdhsa_reserve_vcc 1
		.amdhsa_reserve_flat_scratch 0
		.amdhsa_float_round_mode_32 0
		.amdhsa_float_round_mode_16_64 0
		.amdhsa_float_denorm_mode_32 3
		.amdhsa_float_denorm_mode_16_64 3
		.amdhsa_dx10_clamp 1
		.amdhsa_ieee_mode 1
		.amdhsa_fp16_overflow 0
		.amdhsa_tg_split 0
		.amdhsa_exception_fp_ieee_invalid_op 0
		.amdhsa_exception_fp_denorm_src 0
		.amdhsa_exception_fp_ieee_div_zero 0
		.amdhsa_exception_fp_ieee_overflow 0
		.amdhsa_exception_fp_ieee_underflow 0
		.amdhsa_exception_fp_ieee_inexact 0
		.amdhsa_exception_int_div_zero 0
	.end_amdhsa_kernel
	.section	.text._ZN7rocprim17ROCPRIM_400000_NS6detail17trampoline_kernelINS0_14default_configENS1_38merge_sort_block_merge_config_selectorI14custom_numericNS0_10empty_typeEEEZZNS1_27merge_sort_block_merge_implIS3_N6thrust23THRUST_200600_302600_NS6detail15normal_iteratorINSA_10device_ptrIS5_EEEEPS6_mNSA_4lessIS5_EEEE10hipError_tT0_T1_T2_jT3_P12ihipStream_tbPNSt15iterator_traitsISK_E10value_typeEPNSQ_ISL_E10value_typeEPSM_NS1_7vsmem_tEENKUlT_SK_SL_SM_E_clIPS5_SF_SG_SG_EESJ_SZ_SK_SL_SM_EUlSZ_E1_NS1_11comp_targetILNS1_3genE4ELNS1_11target_archE910ELNS1_3gpuE8ELNS1_3repE0EEENS1_36merge_oddeven_config_static_selectorELNS0_4arch9wavefront6targetE1EEEvSL_,"axG",@progbits,_ZN7rocprim17ROCPRIM_400000_NS6detail17trampoline_kernelINS0_14default_configENS1_38merge_sort_block_merge_config_selectorI14custom_numericNS0_10empty_typeEEEZZNS1_27merge_sort_block_merge_implIS3_N6thrust23THRUST_200600_302600_NS6detail15normal_iteratorINSA_10device_ptrIS5_EEEEPS6_mNSA_4lessIS5_EEEE10hipError_tT0_T1_T2_jT3_P12ihipStream_tbPNSt15iterator_traitsISK_E10value_typeEPNSQ_ISL_E10value_typeEPSM_NS1_7vsmem_tEENKUlT_SK_SL_SM_E_clIPS5_SF_SG_SG_EESJ_SZ_SK_SL_SM_EUlSZ_E1_NS1_11comp_targetILNS1_3genE4ELNS1_11target_archE910ELNS1_3gpuE8ELNS1_3repE0EEENS1_36merge_oddeven_config_static_selectorELNS0_4arch9wavefront6targetE1EEEvSL_,comdat
.Lfunc_end1434:
	.size	_ZN7rocprim17ROCPRIM_400000_NS6detail17trampoline_kernelINS0_14default_configENS1_38merge_sort_block_merge_config_selectorI14custom_numericNS0_10empty_typeEEEZZNS1_27merge_sort_block_merge_implIS3_N6thrust23THRUST_200600_302600_NS6detail15normal_iteratorINSA_10device_ptrIS5_EEEEPS6_mNSA_4lessIS5_EEEE10hipError_tT0_T1_T2_jT3_P12ihipStream_tbPNSt15iterator_traitsISK_E10value_typeEPNSQ_ISL_E10value_typeEPSM_NS1_7vsmem_tEENKUlT_SK_SL_SM_E_clIPS5_SF_SG_SG_EESJ_SZ_SK_SL_SM_EUlSZ_E1_NS1_11comp_targetILNS1_3genE4ELNS1_11target_archE910ELNS1_3gpuE8ELNS1_3repE0EEENS1_36merge_oddeven_config_static_selectorELNS0_4arch9wavefront6targetE1EEEvSL_, .Lfunc_end1434-_ZN7rocprim17ROCPRIM_400000_NS6detail17trampoline_kernelINS0_14default_configENS1_38merge_sort_block_merge_config_selectorI14custom_numericNS0_10empty_typeEEEZZNS1_27merge_sort_block_merge_implIS3_N6thrust23THRUST_200600_302600_NS6detail15normal_iteratorINSA_10device_ptrIS5_EEEEPS6_mNSA_4lessIS5_EEEE10hipError_tT0_T1_T2_jT3_P12ihipStream_tbPNSt15iterator_traitsISK_E10value_typeEPNSQ_ISL_E10value_typeEPSM_NS1_7vsmem_tEENKUlT_SK_SL_SM_E_clIPS5_SF_SG_SG_EESJ_SZ_SK_SL_SM_EUlSZ_E1_NS1_11comp_targetILNS1_3genE4ELNS1_11target_archE910ELNS1_3gpuE8ELNS1_3repE0EEENS1_36merge_oddeven_config_static_selectorELNS0_4arch9wavefront6targetE1EEEvSL_
                                        ; -- End function
	.section	.AMDGPU.csdata,"",@progbits
; Kernel info:
; codeLenInByte = 572
; NumSgprs: 24
; NumVgprs: 8
; NumAgprs: 0
; TotalNumVgprs: 8
; ScratchSize: 0
; MemoryBound: 0
; FloatMode: 240
; IeeeMode: 1
; LDSByteSize: 0 bytes/workgroup (compile time only)
; SGPRBlocks: 2
; VGPRBlocks: 0
; NumSGPRsForWavesPerEU: 24
; NumVGPRsForWavesPerEU: 8
; AccumOffset: 8
; Occupancy: 8
; WaveLimiterHint : 0
; COMPUTE_PGM_RSRC2:SCRATCH_EN: 0
; COMPUTE_PGM_RSRC2:USER_SGPR: 6
; COMPUTE_PGM_RSRC2:TRAP_HANDLER: 0
; COMPUTE_PGM_RSRC2:TGID_X_EN: 1
; COMPUTE_PGM_RSRC2:TGID_Y_EN: 0
; COMPUTE_PGM_RSRC2:TGID_Z_EN: 0
; COMPUTE_PGM_RSRC2:TIDIG_COMP_CNT: 0
; COMPUTE_PGM_RSRC3_GFX90A:ACCUM_OFFSET: 1
; COMPUTE_PGM_RSRC3_GFX90A:TG_SPLIT: 0
	.section	.text._ZN7rocprim17ROCPRIM_400000_NS6detail17trampoline_kernelINS0_14default_configENS1_38merge_sort_block_merge_config_selectorI14custom_numericNS0_10empty_typeEEEZZNS1_27merge_sort_block_merge_implIS3_N6thrust23THRUST_200600_302600_NS6detail15normal_iteratorINSA_10device_ptrIS5_EEEEPS6_mNSA_4lessIS5_EEEE10hipError_tT0_T1_T2_jT3_P12ihipStream_tbPNSt15iterator_traitsISK_E10value_typeEPNSQ_ISL_E10value_typeEPSM_NS1_7vsmem_tEENKUlT_SK_SL_SM_E_clIPS5_SF_SG_SG_EESJ_SZ_SK_SL_SM_EUlSZ_E1_NS1_11comp_targetILNS1_3genE3ELNS1_11target_archE908ELNS1_3gpuE7ELNS1_3repE0EEENS1_36merge_oddeven_config_static_selectorELNS0_4arch9wavefront6targetE1EEEvSL_,"axG",@progbits,_ZN7rocprim17ROCPRIM_400000_NS6detail17trampoline_kernelINS0_14default_configENS1_38merge_sort_block_merge_config_selectorI14custom_numericNS0_10empty_typeEEEZZNS1_27merge_sort_block_merge_implIS3_N6thrust23THRUST_200600_302600_NS6detail15normal_iteratorINSA_10device_ptrIS5_EEEEPS6_mNSA_4lessIS5_EEEE10hipError_tT0_T1_T2_jT3_P12ihipStream_tbPNSt15iterator_traitsISK_E10value_typeEPNSQ_ISL_E10value_typeEPSM_NS1_7vsmem_tEENKUlT_SK_SL_SM_E_clIPS5_SF_SG_SG_EESJ_SZ_SK_SL_SM_EUlSZ_E1_NS1_11comp_targetILNS1_3genE3ELNS1_11target_archE908ELNS1_3gpuE7ELNS1_3repE0EEENS1_36merge_oddeven_config_static_selectorELNS0_4arch9wavefront6targetE1EEEvSL_,comdat
	.protected	_ZN7rocprim17ROCPRIM_400000_NS6detail17trampoline_kernelINS0_14default_configENS1_38merge_sort_block_merge_config_selectorI14custom_numericNS0_10empty_typeEEEZZNS1_27merge_sort_block_merge_implIS3_N6thrust23THRUST_200600_302600_NS6detail15normal_iteratorINSA_10device_ptrIS5_EEEEPS6_mNSA_4lessIS5_EEEE10hipError_tT0_T1_T2_jT3_P12ihipStream_tbPNSt15iterator_traitsISK_E10value_typeEPNSQ_ISL_E10value_typeEPSM_NS1_7vsmem_tEENKUlT_SK_SL_SM_E_clIPS5_SF_SG_SG_EESJ_SZ_SK_SL_SM_EUlSZ_E1_NS1_11comp_targetILNS1_3genE3ELNS1_11target_archE908ELNS1_3gpuE7ELNS1_3repE0EEENS1_36merge_oddeven_config_static_selectorELNS0_4arch9wavefront6targetE1EEEvSL_ ; -- Begin function _ZN7rocprim17ROCPRIM_400000_NS6detail17trampoline_kernelINS0_14default_configENS1_38merge_sort_block_merge_config_selectorI14custom_numericNS0_10empty_typeEEEZZNS1_27merge_sort_block_merge_implIS3_N6thrust23THRUST_200600_302600_NS6detail15normal_iteratorINSA_10device_ptrIS5_EEEEPS6_mNSA_4lessIS5_EEEE10hipError_tT0_T1_T2_jT3_P12ihipStream_tbPNSt15iterator_traitsISK_E10value_typeEPNSQ_ISL_E10value_typeEPSM_NS1_7vsmem_tEENKUlT_SK_SL_SM_E_clIPS5_SF_SG_SG_EESJ_SZ_SK_SL_SM_EUlSZ_E1_NS1_11comp_targetILNS1_3genE3ELNS1_11target_archE908ELNS1_3gpuE7ELNS1_3repE0EEENS1_36merge_oddeven_config_static_selectorELNS0_4arch9wavefront6targetE1EEEvSL_
	.globl	_ZN7rocprim17ROCPRIM_400000_NS6detail17trampoline_kernelINS0_14default_configENS1_38merge_sort_block_merge_config_selectorI14custom_numericNS0_10empty_typeEEEZZNS1_27merge_sort_block_merge_implIS3_N6thrust23THRUST_200600_302600_NS6detail15normal_iteratorINSA_10device_ptrIS5_EEEEPS6_mNSA_4lessIS5_EEEE10hipError_tT0_T1_T2_jT3_P12ihipStream_tbPNSt15iterator_traitsISK_E10value_typeEPNSQ_ISL_E10value_typeEPSM_NS1_7vsmem_tEENKUlT_SK_SL_SM_E_clIPS5_SF_SG_SG_EESJ_SZ_SK_SL_SM_EUlSZ_E1_NS1_11comp_targetILNS1_3genE3ELNS1_11target_archE908ELNS1_3gpuE7ELNS1_3repE0EEENS1_36merge_oddeven_config_static_selectorELNS0_4arch9wavefront6targetE1EEEvSL_
	.p2align	8
	.type	_ZN7rocprim17ROCPRIM_400000_NS6detail17trampoline_kernelINS0_14default_configENS1_38merge_sort_block_merge_config_selectorI14custom_numericNS0_10empty_typeEEEZZNS1_27merge_sort_block_merge_implIS3_N6thrust23THRUST_200600_302600_NS6detail15normal_iteratorINSA_10device_ptrIS5_EEEEPS6_mNSA_4lessIS5_EEEE10hipError_tT0_T1_T2_jT3_P12ihipStream_tbPNSt15iterator_traitsISK_E10value_typeEPNSQ_ISL_E10value_typeEPSM_NS1_7vsmem_tEENKUlT_SK_SL_SM_E_clIPS5_SF_SG_SG_EESJ_SZ_SK_SL_SM_EUlSZ_E1_NS1_11comp_targetILNS1_3genE3ELNS1_11target_archE908ELNS1_3gpuE7ELNS1_3repE0EEENS1_36merge_oddeven_config_static_selectorELNS0_4arch9wavefront6targetE1EEEvSL_,@function
_ZN7rocprim17ROCPRIM_400000_NS6detail17trampoline_kernelINS0_14default_configENS1_38merge_sort_block_merge_config_selectorI14custom_numericNS0_10empty_typeEEEZZNS1_27merge_sort_block_merge_implIS3_N6thrust23THRUST_200600_302600_NS6detail15normal_iteratorINSA_10device_ptrIS5_EEEEPS6_mNSA_4lessIS5_EEEE10hipError_tT0_T1_T2_jT3_P12ihipStream_tbPNSt15iterator_traitsISK_E10value_typeEPNSQ_ISL_E10value_typeEPSM_NS1_7vsmem_tEENKUlT_SK_SL_SM_E_clIPS5_SF_SG_SG_EESJ_SZ_SK_SL_SM_EUlSZ_E1_NS1_11comp_targetILNS1_3genE3ELNS1_11target_archE908ELNS1_3gpuE7ELNS1_3repE0EEENS1_36merge_oddeven_config_static_selectorELNS0_4arch9wavefront6targetE1EEEvSL_: ; @_ZN7rocprim17ROCPRIM_400000_NS6detail17trampoline_kernelINS0_14default_configENS1_38merge_sort_block_merge_config_selectorI14custom_numericNS0_10empty_typeEEEZZNS1_27merge_sort_block_merge_implIS3_N6thrust23THRUST_200600_302600_NS6detail15normal_iteratorINSA_10device_ptrIS5_EEEEPS6_mNSA_4lessIS5_EEEE10hipError_tT0_T1_T2_jT3_P12ihipStream_tbPNSt15iterator_traitsISK_E10value_typeEPNSQ_ISL_E10value_typeEPSM_NS1_7vsmem_tEENKUlT_SK_SL_SM_E_clIPS5_SF_SG_SG_EESJ_SZ_SK_SL_SM_EUlSZ_E1_NS1_11comp_targetILNS1_3genE3ELNS1_11target_archE908ELNS1_3gpuE7ELNS1_3repE0EEENS1_36merge_oddeven_config_static_selectorELNS0_4arch9wavefront6targetE1EEEvSL_
; %bb.0:
	.section	.rodata,"a",@progbits
	.p2align	6, 0x0
	.amdhsa_kernel _ZN7rocprim17ROCPRIM_400000_NS6detail17trampoline_kernelINS0_14default_configENS1_38merge_sort_block_merge_config_selectorI14custom_numericNS0_10empty_typeEEEZZNS1_27merge_sort_block_merge_implIS3_N6thrust23THRUST_200600_302600_NS6detail15normal_iteratorINSA_10device_ptrIS5_EEEEPS6_mNSA_4lessIS5_EEEE10hipError_tT0_T1_T2_jT3_P12ihipStream_tbPNSt15iterator_traitsISK_E10value_typeEPNSQ_ISL_E10value_typeEPSM_NS1_7vsmem_tEENKUlT_SK_SL_SM_E_clIPS5_SF_SG_SG_EESJ_SZ_SK_SL_SM_EUlSZ_E1_NS1_11comp_targetILNS1_3genE3ELNS1_11target_archE908ELNS1_3gpuE7ELNS1_3repE0EEENS1_36merge_oddeven_config_static_selectorELNS0_4arch9wavefront6targetE1EEEvSL_
		.amdhsa_group_segment_fixed_size 0
		.amdhsa_private_segment_fixed_size 0
		.amdhsa_kernarg_size 56
		.amdhsa_user_sgpr_count 6
		.amdhsa_user_sgpr_private_segment_buffer 1
		.amdhsa_user_sgpr_dispatch_ptr 0
		.amdhsa_user_sgpr_queue_ptr 0
		.amdhsa_user_sgpr_kernarg_segment_ptr 1
		.amdhsa_user_sgpr_dispatch_id 0
		.amdhsa_user_sgpr_flat_scratch_init 0
		.amdhsa_user_sgpr_kernarg_preload_length 0
		.amdhsa_user_sgpr_kernarg_preload_offset 0
		.amdhsa_user_sgpr_private_segment_size 0
		.amdhsa_uses_dynamic_stack 0
		.amdhsa_system_sgpr_private_segment_wavefront_offset 0
		.amdhsa_system_sgpr_workgroup_id_x 1
		.amdhsa_system_sgpr_workgroup_id_y 0
		.amdhsa_system_sgpr_workgroup_id_z 0
		.amdhsa_system_sgpr_workgroup_info 0
		.amdhsa_system_vgpr_workitem_id 0
		.amdhsa_next_free_vgpr 1
		.amdhsa_next_free_sgpr 0
		.amdhsa_accum_offset 4
		.amdhsa_reserve_vcc 0
		.amdhsa_reserve_flat_scratch 0
		.amdhsa_float_round_mode_32 0
		.amdhsa_float_round_mode_16_64 0
		.amdhsa_float_denorm_mode_32 3
		.amdhsa_float_denorm_mode_16_64 3
		.amdhsa_dx10_clamp 1
		.amdhsa_ieee_mode 1
		.amdhsa_fp16_overflow 0
		.amdhsa_tg_split 0
		.amdhsa_exception_fp_ieee_invalid_op 0
		.amdhsa_exception_fp_denorm_src 0
		.amdhsa_exception_fp_ieee_div_zero 0
		.amdhsa_exception_fp_ieee_overflow 0
		.amdhsa_exception_fp_ieee_underflow 0
		.amdhsa_exception_fp_ieee_inexact 0
		.amdhsa_exception_int_div_zero 0
	.end_amdhsa_kernel
	.section	.text._ZN7rocprim17ROCPRIM_400000_NS6detail17trampoline_kernelINS0_14default_configENS1_38merge_sort_block_merge_config_selectorI14custom_numericNS0_10empty_typeEEEZZNS1_27merge_sort_block_merge_implIS3_N6thrust23THRUST_200600_302600_NS6detail15normal_iteratorINSA_10device_ptrIS5_EEEEPS6_mNSA_4lessIS5_EEEE10hipError_tT0_T1_T2_jT3_P12ihipStream_tbPNSt15iterator_traitsISK_E10value_typeEPNSQ_ISL_E10value_typeEPSM_NS1_7vsmem_tEENKUlT_SK_SL_SM_E_clIPS5_SF_SG_SG_EESJ_SZ_SK_SL_SM_EUlSZ_E1_NS1_11comp_targetILNS1_3genE3ELNS1_11target_archE908ELNS1_3gpuE7ELNS1_3repE0EEENS1_36merge_oddeven_config_static_selectorELNS0_4arch9wavefront6targetE1EEEvSL_,"axG",@progbits,_ZN7rocprim17ROCPRIM_400000_NS6detail17trampoline_kernelINS0_14default_configENS1_38merge_sort_block_merge_config_selectorI14custom_numericNS0_10empty_typeEEEZZNS1_27merge_sort_block_merge_implIS3_N6thrust23THRUST_200600_302600_NS6detail15normal_iteratorINSA_10device_ptrIS5_EEEEPS6_mNSA_4lessIS5_EEEE10hipError_tT0_T1_T2_jT3_P12ihipStream_tbPNSt15iterator_traitsISK_E10value_typeEPNSQ_ISL_E10value_typeEPSM_NS1_7vsmem_tEENKUlT_SK_SL_SM_E_clIPS5_SF_SG_SG_EESJ_SZ_SK_SL_SM_EUlSZ_E1_NS1_11comp_targetILNS1_3genE3ELNS1_11target_archE908ELNS1_3gpuE7ELNS1_3repE0EEENS1_36merge_oddeven_config_static_selectorELNS0_4arch9wavefront6targetE1EEEvSL_,comdat
.Lfunc_end1435:
	.size	_ZN7rocprim17ROCPRIM_400000_NS6detail17trampoline_kernelINS0_14default_configENS1_38merge_sort_block_merge_config_selectorI14custom_numericNS0_10empty_typeEEEZZNS1_27merge_sort_block_merge_implIS3_N6thrust23THRUST_200600_302600_NS6detail15normal_iteratorINSA_10device_ptrIS5_EEEEPS6_mNSA_4lessIS5_EEEE10hipError_tT0_T1_T2_jT3_P12ihipStream_tbPNSt15iterator_traitsISK_E10value_typeEPNSQ_ISL_E10value_typeEPSM_NS1_7vsmem_tEENKUlT_SK_SL_SM_E_clIPS5_SF_SG_SG_EESJ_SZ_SK_SL_SM_EUlSZ_E1_NS1_11comp_targetILNS1_3genE3ELNS1_11target_archE908ELNS1_3gpuE7ELNS1_3repE0EEENS1_36merge_oddeven_config_static_selectorELNS0_4arch9wavefront6targetE1EEEvSL_, .Lfunc_end1435-_ZN7rocprim17ROCPRIM_400000_NS6detail17trampoline_kernelINS0_14default_configENS1_38merge_sort_block_merge_config_selectorI14custom_numericNS0_10empty_typeEEEZZNS1_27merge_sort_block_merge_implIS3_N6thrust23THRUST_200600_302600_NS6detail15normal_iteratorINSA_10device_ptrIS5_EEEEPS6_mNSA_4lessIS5_EEEE10hipError_tT0_T1_T2_jT3_P12ihipStream_tbPNSt15iterator_traitsISK_E10value_typeEPNSQ_ISL_E10value_typeEPSM_NS1_7vsmem_tEENKUlT_SK_SL_SM_E_clIPS5_SF_SG_SG_EESJ_SZ_SK_SL_SM_EUlSZ_E1_NS1_11comp_targetILNS1_3genE3ELNS1_11target_archE908ELNS1_3gpuE7ELNS1_3repE0EEENS1_36merge_oddeven_config_static_selectorELNS0_4arch9wavefront6targetE1EEEvSL_
                                        ; -- End function
	.section	.AMDGPU.csdata,"",@progbits
; Kernel info:
; codeLenInByte = 0
; NumSgprs: 4
; NumVgprs: 0
; NumAgprs: 0
; TotalNumVgprs: 0
; ScratchSize: 0
; MemoryBound: 0
; FloatMode: 240
; IeeeMode: 1
; LDSByteSize: 0 bytes/workgroup (compile time only)
; SGPRBlocks: 0
; VGPRBlocks: 0
; NumSGPRsForWavesPerEU: 4
; NumVGPRsForWavesPerEU: 1
; AccumOffset: 4
; Occupancy: 8
; WaveLimiterHint : 0
; COMPUTE_PGM_RSRC2:SCRATCH_EN: 0
; COMPUTE_PGM_RSRC2:USER_SGPR: 6
; COMPUTE_PGM_RSRC2:TRAP_HANDLER: 0
; COMPUTE_PGM_RSRC2:TGID_X_EN: 1
; COMPUTE_PGM_RSRC2:TGID_Y_EN: 0
; COMPUTE_PGM_RSRC2:TGID_Z_EN: 0
; COMPUTE_PGM_RSRC2:TIDIG_COMP_CNT: 0
; COMPUTE_PGM_RSRC3_GFX90A:ACCUM_OFFSET: 0
; COMPUTE_PGM_RSRC3_GFX90A:TG_SPLIT: 0
	.section	.text._ZN7rocprim17ROCPRIM_400000_NS6detail17trampoline_kernelINS0_14default_configENS1_38merge_sort_block_merge_config_selectorI14custom_numericNS0_10empty_typeEEEZZNS1_27merge_sort_block_merge_implIS3_N6thrust23THRUST_200600_302600_NS6detail15normal_iteratorINSA_10device_ptrIS5_EEEEPS6_mNSA_4lessIS5_EEEE10hipError_tT0_T1_T2_jT3_P12ihipStream_tbPNSt15iterator_traitsISK_E10value_typeEPNSQ_ISL_E10value_typeEPSM_NS1_7vsmem_tEENKUlT_SK_SL_SM_E_clIPS5_SF_SG_SG_EESJ_SZ_SK_SL_SM_EUlSZ_E1_NS1_11comp_targetILNS1_3genE2ELNS1_11target_archE906ELNS1_3gpuE6ELNS1_3repE0EEENS1_36merge_oddeven_config_static_selectorELNS0_4arch9wavefront6targetE1EEEvSL_,"axG",@progbits,_ZN7rocprim17ROCPRIM_400000_NS6detail17trampoline_kernelINS0_14default_configENS1_38merge_sort_block_merge_config_selectorI14custom_numericNS0_10empty_typeEEEZZNS1_27merge_sort_block_merge_implIS3_N6thrust23THRUST_200600_302600_NS6detail15normal_iteratorINSA_10device_ptrIS5_EEEEPS6_mNSA_4lessIS5_EEEE10hipError_tT0_T1_T2_jT3_P12ihipStream_tbPNSt15iterator_traitsISK_E10value_typeEPNSQ_ISL_E10value_typeEPSM_NS1_7vsmem_tEENKUlT_SK_SL_SM_E_clIPS5_SF_SG_SG_EESJ_SZ_SK_SL_SM_EUlSZ_E1_NS1_11comp_targetILNS1_3genE2ELNS1_11target_archE906ELNS1_3gpuE6ELNS1_3repE0EEENS1_36merge_oddeven_config_static_selectorELNS0_4arch9wavefront6targetE1EEEvSL_,comdat
	.protected	_ZN7rocprim17ROCPRIM_400000_NS6detail17trampoline_kernelINS0_14default_configENS1_38merge_sort_block_merge_config_selectorI14custom_numericNS0_10empty_typeEEEZZNS1_27merge_sort_block_merge_implIS3_N6thrust23THRUST_200600_302600_NS6detail15normal_iteratorINSA_10device_ptrIS5_EEEEPS6_mNSA_4lessIS5_EEEE10hipError_tT0_T1_T2_jT3_P12ihipStream_tbPNSt15iterator_traitsISK_E10value_typeEPNSQ_ISL_E10value_typeEPSM_NS1_7vsmem_tEENKUlT_SK_SL_SM_E_clIPS5_SF_SG_SG_EESJ_SZ_SK_SL_SM_EUlSZ_E1_NS1_11comp_targetILNS1_3genE2ELNS1_11target_archE906ELNS1_3gpuE6ELNS1_3repE0EEENS1_36merge_oddeven_config_static_selectorELNS0_4arch9wavefront6targetE1EEEvSL_ ; -- Begin function _ZN7rocprim17ROCPRIM_400000_NS6detail17trampoline_kernelINS0_14default_configENS1_38merge_sort_block_merge_config_selectorI14custom_numericNS0_10empty_typeEEEZZNS1_27merge_sort_block_merge_implIS3_N6thrust23THRUST_200600_302600_NS6detail15normal_iteratorINSA_10device_ptrIS5_EEEEPS6_mNSA_4lessIS5_EEEE10hipError_tT0_T1_T2_jT3_P12ihipStream_tbPNSt15iterator_traitsISK_E10value_typeEPNSQ_ISL_E10value_typeEPSM_NS1_7vsmem_tEENKUlT_SK_SL_SM_E_clIPS5_SF_SG_SG_EESJ_SZ_SK_SL_SM_EUlSZ_E1_NS1_11comp_targetILNS1_3genE2ELNS1_11target_archE906ELNS1_3gpuE6ELNS1_3repE0EEENS1_36merge_oddeven_config_static_selectorELNS0_4arch9wavefront6targetE1EEEvSL_
	.globl	_ZN7rocprim17ROCPRIM_400000_NS6detail17trampoline_kernelINS0_14default_configENS1_38merge_sort_block_merge_config_selectorI14custom_numericNS0_10empty_typeEEEZZNS1_27merge_sort_block_merge_implIS3_N6thrust23THRUST_200600_302600_NS6detail15normal_iteratorINSA_10device_ptrIS5_EEEEPS6_mNSA_4lessIS5_EEEE10hipError_tT0_T1_T2_jT3_P12ihipStream_tbPNSt15iterator_traitsISK_E10value_typeEPNSQ_ISL_E10value_typeEPSM_NS1_7vsmem_tEENKUlT_SK_SL_SM_E_clIPS5_SF_SG_SG_EESJ_SZ_SK_SL_SM_EUlSZ_E1_NS1_11comp_targetILNS1_3genE2ELNS1_11target_archE906ELNS1_3gpuE6ELNS1_3repE0EEENS1_36merge_oddeven_config_static_selectorELNS0_4arch9wavefront6targetE1EEEvSL_
	.p2align	8
	.type	_ZN7rocprim17ROCPRIM_400000_NS6detail17trampoline_kernelINS0_14default_configENS1_38merge_sort_block_merge_config_selectorI14custom_numericNS0_10empty_typeEEEZZNS1_27merge_sort_block_merge_implIS3_N6thrust23THRUST_200600_302600_NS6detail15normal_iteratorINSA_10device_ptrIS5_EEEEPS6_mNSA_4lessIS5_EEEE10hipError_tT0_T1_T2_jT3_P12ihipStream_tbPNSt15iterator_traitsISK_E10value_typeEPNSQ_ISL_E10value_typeEPSM_NS1_7vsmem_tEENKUlT_SK_SL_SM_E_clIPS5_SF_SG_SG_EESJ_SZ_SK_SL_SM_EUlSZ_E1_NS1_11comp_targetILNS1_3genE2ELNS1_11target_archE906ELNS1_3gpuE6ELNS1_3repE0EEENS1_36merge_oddeven_config_static_selectorELNS0_4arch9wavefront6targetE1EEEvSL_,@function
_ZN7rocprim17ROCPRIM_400000_NS6detail17trampoline_kernelINS0_14default_configENS1_38merge_sort_block_merge_config_selectorI14custom_numericNS0_10empty_typeEEEZZNS1_27merge_sort_block_merge_implIS3_N6thrust23THRUST_200600_302600_NS6detail15normal_iteratorINSA_10device_ptrIS5_EEEEPS6_mNSA_4lessIS5_EEEE10hipError_tT0_T1_T2_jT3_P12ihipStream_tbPNSt15iterator_traitsISK_E10value_typeEPNSQ_ISL_E10value_typeEPSM_NS1_7vsmem_tEENKUlT_SK_SL_SM_E_clIPS5_SF_SG_SG_EESJ_SZ_SK_SL_SM_EUlSZ_E1_NS1_11comp_targetILNS1_3genE2ELNS1_11target_archE906ELNS1_3gpuE6ELNS1_3repE0EEENS1_36merge_oddeven_config_static_selectorELNS0_4arch9wavefront6targetE1EEEvSL_: ; @_ZN7rocprim17ROCPRIM_400000_NS6detail17trampoline_kernelINS0_14default_configENS1_38merge_sort_block_merge_config_selectorI14custom_numericNS0_10empty_typeEEEZZNS1_27merge_sort_block_merge_implIS3_N6thrust23THRUST_200600_302600_NS6detail15normal_iteratorINSA_10device_ptrIS5_EEEEPS6_mNSA_4lessIS5_EEEE10hipError_tT0_T1_T2_jT3_P12ihipStream_tbPNSt15iterator_traitsISK_E10value_typeEPNSQ_ISL_E10value_typeEPSM_NS1_7vsmem_tEENKUlT_SK_SL_SM_E_clIPS5_SF_SG_SG_EESJ_SZ_SK_SL_SM_EUlSZ_E1_NS1_11comp_targetILNS1_3genE2ELNS1_11target_archE906ELNS1_3gpuE6ELNS1_3repE0EEENS1_36merge_oddeven_config_static_selectorELNS0_4arch9wavefront6targetE1EEEvSL_
; %bb.0:
	.section	.rodata,"a",@progbits
	.p2align	6, 0x0
	.amdhsa_kernel _ZN7rocprim17ROCPRIM_400000_NS6detail17trampoline_kernelINS0_14default_configENS1_38merge_sort_block_merge_config_selectorI14custom_numericNS0_10empty_typeEEEZZNS1_27merge_sort_block_merge_implIS3_N6thrust23THRUST_200600_302600_NS6detail15normal_iteratorINSA_10device_ptrIS5_EEEEPS6_mNSA_4lessIS5_EEEE10hipError_tT0_T1_T2_jT3_P12ihipStream_tbPNSt15iterator_traitsISK_E10value_typeEPNSQ_ISL_E10value_typeEPSM_NS1_7vsmem_tEENKUlT_SK_SL_SM_E_clIPS5_SF_SG_SG_EESJ_SZ_SK_SL_SM_EUlSZ_E1_NS1_11comp_targetILNS1_3genE2ELNS1_11target_archE906ELNS1_3gpuE6ELNS1_3repE0EEENS1_36merge_oddeven_config_static_selectorELNS0_4arch9wavefront6targetE1EEEvSL_
		.amdhsa_group_segment_fixed_size 0
		.amdhsa_private_segment_fixed_size 0
		.amdhsa_kernarg_size 56
		.amdhsa_user_sgpr_count 6
		.amdhsa_user_sgpr_private_segment_buffer 1
		.amdhsa_user_sgpr_dispatch_ptr 0
		.amdhsa_user_sgpr_queue_ptr 0
		.amdhsa_user_sgpr_kernarg_segment_ptr 1
		.amdhsa_user_sgpr_dispatch_id 0
		.amdhsa_user_sgpr_flat_scratch_init 0
		.amdhsa_user_sgpr_kernarg_preload_length 0
		.amdhsa_user_sgpr_kernarg_preload_offset 0
		.amdhsa_user_sgpr_private_segment_size 0
		.amdhsa_uses_dynamic_stack 0
		.amdhsa_system_sgpr_private_segment_wavefront_offset 0
		.amdhsa_system_sgpr_workgroup_id_x 1
		.amdhsa_system_sgpr_workgroup_id_y 0
		.amdhsa_system_sgpr_workgroup_id_z 0
		.amdhsa_system_sgpr_workgroup_info 0
		.amdhsa_system_vgpr_workitem_id 0
		.amdhsa_next_free_vgpr 1
		.amdhsa_next_free_sgpr 0
		.amdhsa_accum_offset 4
		.amdhsa_reserve_vcc 0
		.amdhsa_reserve_flat_scratch 0
		.amdhsa_float_round_mode_32 0
		.amdhsa_float_round_mode_16_64 0
		.amdhsa_float_denorm_mode_32 3
		.amdhsa_float_denorm_mode_16_64 3
		.amdhsa_dx10_clamp 1
		.amdhsa_ieee_mode 1
		.amdhsa_fp16_overflow 0
		.amdhsa_tg_split 0
		.amdhsa_exception_fp_ieee_invalid_op 0
		.amdhsa_exception_fp_denorm_src 0
		.amdhsa_exception_fp_ieee_div_zero 0
		.amdhsa_exception_fp_ieee_overflow 0
		.amdhsa_exception_fp_ieee_underflow 0
		.amdhsa_exception_fp_ieee_inexact 0
		.amdhsa_exception_int_div_zero 0
	.end_amdhsa_kernel
	.section	.text._ZN7rocprim17ROCPRIM_400000_NS6detail17trampoline_kernelINS0_14default_configENS1_38merge_sort_block_merge_config_selectorI14custom_numericNS0_10empty_typeEEEZZNS1_27merge_sort_block_merge_implIS3_N6thrust23THRUST_200600_302600_NS6detail15normal_iteratorINSA_10device_ptrIS5_EEEEPS6_mNSA_4lessIS5_EEEE10hipError_tT0_T1_T2_jT3_P12ihipStream_tbPNSt15iterator_traitsISK_E10value_typeEPNSQ_ISL_E10value_typeEPSM_NS1_7vsmem_tEENKUlT_SK_SL_SM_E_clIPS5_SF_SG_SG_EESJ_SZ_SK_SL_SM_EUlSZ_E1_NS1_11comp_targetILNS1_3genE2ELNS1_11target_archE906ELNS1_3gpuE6ELNS1_3repE0EEENS1_36merge_oddeven_config_static_selectorELNS0_4arch9wavefront6targetE1EEEvSL_,"axG",@progbits,_ZN7rocprim17ROCPRIM_400000_NS6detail17trampoline_kernelINS0_14default_configENS1_38merge_sort_block_merge_config_selectorI14custom_numericNS0_10empty_typeEEEZZNS1_27merge_sort_block_merge_implIS3_N6thrust23THRUST_200600_302600_NS6detail15normal_iteratorINSA_10device_ptrIS5_EEEEPS6_mNSA_4lessIS5_EEEE10hipError_tT0_T1_T2_jT3_P12ihipStream_tbPNSt15iterator_traitsISK_E10value_typeEPNSQ_ISL_E10value_typeEPSM_NS1_7vsmem_tEENKUlT_SK_SL_SM_E_clIPS5_SF_SG_SG_EESJ_SZ_SK_SL_SM_EUlSZ_E1_NS1_11comp_targetILNS1_3genE2ELNS1_11target_archE906ELNS1_3gpuE6ELNS1_3repE0EEENS1_36merge_oddeven_config_static_selectorELNS0_4arch9wavefront6targetE1EEEvSL_,comdat
.Lfunc_end1436:
	.size	_ZN7rocprim17ROCPRIM_400000_NS6detail17trampoline_kernelINS0_14default_configENS1_38merge_sort_block_merge_config_selectorI14custom_numericNS0_10empty_typeEEEZZNS1_27merge_sort_block_merge_implIS3_N6thrust23THRUST_200600_302600_NS6detail15normal_iteratorINSA_10device_ptrIS5_EEEEPS6_mNSA_4lessIS5_EEEE10hipError_tT0_T1_T2_jT3_P12ihipStream_tbPNSt15iterator_traitsISK_E10value_typeEPNSQ_ISL_E10value_typeEPSM_NS1_7vsmem_tEENKUlT_SK_SL_SM_E_clIPS5_SF_SG_SG_EESJ_SZ_SK_SL_SM_EUlSZ_E1_NS1_11comp_targetILNS1_3genE2ELNS1_11target_archE906ELNS1_3gpuE6ELNS1_3repE0EEENS1_36merge_oddeven_config_static_selectorELNS0_4arch9wavefront6targetE1EEEvSL_, .Lfunc_end1436-_ZN7rocprim17ROCPRIM_400000_NS6detail17trampoline_kernelINS0_14default_configENS1_38merge_sort_block_merge_config_selectorI14custom_numericNS0_10empty_typeEEEZZNS1_27merge_sort_block_merge_implIS3_N6thrust23THRUST_200600_302600_NS6detail15normal_iteratorINSA_10device_ptrIS5_EEEEPS6_mNSA_4lessIS5_EEEE10hipError_tT0_T1_T2_jT3_P12ihipStream_tbPNSt15iterator_traitsISK_E10value_typeEPNSQ_ISL_E10value_typeEPSM_NS1_7vsmem_tEENKUlT_SK_SL_SM_E_clIPS5_SF_SG_SG_EESJ_SZ_SK_SL_SM_EUlSZ_E1_NS1_11comp_targetILNS1_3genE2ELNS1_11target_archE906ELNS1_3gpuE6ELNS1_3repE0EEENS1_36merge_oddeven_config_static_selectorELNS0_4arch9wavefront6targetE1EEEvSL_
                                        ; -- End function
	.section	.AMDGPU.csdata,"",@progbits
; Kernel info:
; codeLenInByte = 0
; NumSgprs: 4
; NumVgprs: 0
; NumAgprs: 0
; TotalNumVgprs: 0
; ScratchSize: 0
; MemoryBound: 0
; FloatMode: 240
; IeeeMode: 1
; LDSByteSize: 0 bytes/workgroup (compile time only)
; SGPRBlocks: 0
; VGPRBlocks: 0
; NumSGPRsForWavesPerEU: 4
; NumVGPRsForWavesPerEU: 1
; AccumOffset: 4
; Occupancy: 8
; WaveLimiterHint : 0
; COMPUTE_PGM_RSRC2:SCRATCH_EN: 0
; COMPUTE_PGM_RSRC2:USER_SGPR: 6
; COMPUTE_PGM_RSRC2:TRAP_HANDLER: 0
; COMPUTE_PGM_RSRC2:TGID_X_EN: 1
; COMPUTE_PGM_RSRC2:TGID_Y_EN: 0
; COMPUTE_PGM_RSRC2:TGID_Z_EN: 0
; COMPUTE_PGM_RSRC2:TIDIG_COMP_CNT: 0
; COMPUTE_PGM_RSRC3_GFX90A:ACCUM_OFFSET: 0
; COMPUTE_PGM_RSRC3_GFX90A:TG_SPLIT: 0
	.section	.text._ZN7rocprim17ROCPRIM_400000_NS6detail17trampoline_kernelINS0_14default_configENS1_38merge_sort_block_merge_config_selectorI14custom_numericNS0_10empty_typeEEEZZNS1_27merge_sort_block_merge_implIS3_N6thrust23THRUST_200600_302600_NS6detail15normal_iteratorINSA_10device_ptrIS5_EEEEPS6_mNSA_4lessIS5_EEEE10hipError_tT0_T1_T2_jT3_P12ihipStream_tbPNSt15iterator_traitsISK_E10value_typeEPNSQ_ISL_E10value_typeEPSM_NS1_7vsmem_tEENKUlT_SK_SL_SM_E_clIPS5_SF_SG_SG_EESJ_SZ_SK_SL_SM_EUlSZ_E1_NS1_11comp_targetILNS1_3genE9ELNS1_11target_archE1100ELNS1_3gpuE3ELNS1_3repE0EEENS1_36merge_oddeven_config_static_selectorELNS0_4arch9wavefront6targetE1EEEvSL_,"axG",@progbits,_ZN7rocprim17ROCPRIM_400000_NS6detail17trampoline_kernelINS0_14default_configENS1_38merge_sort_block_merge_config_selectorI14custom_numericNS0_10empty_typeEEEZZNS1_27merge_sort_block_merge_implIS3_N6thrust23THRUST_200600_302600_NS6detail15normal_iteratorINSA_10device_ptrIS5_EEEEPS6_mNSA_4lessIS5_EEEE10hipError_tT0_T1_T2_jT3_P12ihipStream_tbPNSt15iterator_traitsISK_E10value_typeEPNSQ_ISL_E10value_typeEPSM_NS1_7vsmem_tEENKUlT_SK_SL_SM_E_clIPS5_SF_SG_SG_EESJ_SZ_SK_SL_SM_EUlSZ_E1_NS1_11comp_targetILNS1_3genE9ELNS1_11target_archE1100ELNS1_3gpuE3ELNS1_3repE0EEENS1_36merge_oddeven_config_static_selectorELNS0_4arch9wavefront6targetE1EEEvSL_,comdat
	.protected	_ZN7rocprim17ROCPRIM_400000_NS6detail17trampoline_kernelINS0_14default_configENS1_38merge_sort_block_merge_config_selectorI14custom_numericNS0_10empty_typeEEEZZNS1_27merge_sort_block_merge_implIS3_N6thrust23THRUST_200600_302600_NS6detail15normal_iteratorINSA_10device_ptrIS5_EEEEPS6_mNSA_4lessIS5_EEEE10hipError_tT0_T1_T2_jT3_P12ihipStream_tbPNSt15iterator_traitsISK_E10value_typeEPNSQ_ISL_E10value_typeEPSM_NS1_7vsmem_tEENKUlT_SK_SL_SM_E_clIPS5_SF_SG_SG_EESJ_SZ_SK_SL_SM_EUlSZ_E1_NS1_11comp_targetILNS1_3genE9ELNS1_11target_archE1100ELNS1_3gpuE3ELNS1_3repE0EEENS1_36merge_oddeven_config_static_selectorELNS0_4arch9wavefront6targetE1EEEvSL_ ; -- Begin function _ZN7rocprim17ROCPRIM_400000_NS6detail17trampoline_kernelINS0_14default_configENS1_38merge_sort_block_merge_config_selectorI14custom_numericNS0_10empty_typeEEEZZNS1_27merge_sort_block_merge_implIS3_N6thrust23THRUST_200600_302600_NS6detail15normal_iteratorINSA_10device_ptrIS5_EEEEPS6_mNSA_4lessIS5_EEEE10hipError_tT0_T1_T2_jT3_P12ihipStream_tbPNSt15iterator_traitsISK_E10value_typeEPNSQ_ISL_E10value_typeEPSM_NS1_7vsmem_tEENKUlT_SK_SL_SM_E_clIPS5_SF_SG_SG_EESJ_SZ_SK_SL_SM_EUlSZ_E1_NS1_11comp_targetILNS1_3genE9ELNS1_11target_archE1100ELNS1_3gpuE3ELNS1_3repE0EEENS1_36merge_oddeven_config_static_selectorELNS0_4arch9wavefront6targetE1EEEvSL_
	.globl	_ZN7rocprim17ROCPRIM_400000_NS6detail17trampoline_kernelINS0_14default_configENS1_38merge_sort_block_merge_config_selectorI14custom_numericNS0_10empty_typeEEEZZNS1_27merge_sort_block_merge_implIS3_N6thrust23THRUST_200600_302600_NS6detail15normal_iteratorINSA_10device_ptrIS5_EEEEPS6_mNSA_4lessIS5_EEEE10hipError_tT0_T1_T2_jT3_P12ihipStream_tbPNSt15iterator_traitsISK_E10value_typeEPNSQ_ISL_E10value_typeEPSM_NS1_7vsmem_tEENKUlT_SK_SL_SM_E_clIPS5_SF_SG_SG_EESJ_SZ_SK_SL_SM_EUlSZ_E1_NS1_11comp_targetILNS1_3genE9ELNS1_11target_archE1100ELNS1_3gpuE3ELNS1_3repE0EEENS1_36merge_oddeven_config_static_selectorELNS0_4arch9wavefront6targetE1EEEvSL_
	.p2align	8
	.type	_ZN7rocprim17ROCPRIM_400000_NS6detail17trampoline_kernelINS0_14default_configENS1_38merge_sort_block_merge_config_selectorI14custom_numericNS0_10empty_typeEEEZZNS1_27merge_sort_block_merge_implIS3_N6thrust23THRUST_200600_302600_NS6detail15normal_iteratorINSA_10device_ptrIS5_EEEEPS6_mNSA_4lessIS5_EEEE10hipError_tT0_T1_T2_jT3_P12ihipStream_tbPNSt15iterator_traitsISK_E10value_typeEPNSQ_ISL_E10value_typeEPSM_NS1_7vsmem_tEENKUlT_SK_SL_SM_E_clIPS5_SF_SG_SG_EESJ_SZ_SK_SL_SM_EUlSZ_E1_NS1_11comp_targetILNS1_3genE9ELNS1_11target_archE1100ELNS1_3gpuE3ELNS1_3repE0EEENS1_36merge_oddeven_config_static_selectorELNS0_4arch9wavefront6targetE1EEEvSL_,@function
_ZN7rocprim17ROCPRIM_400000_NS6detail17trampoline_kernelINS0_14default_configENS1_38merge_sort_block_merge_config_selectorI14custom_numericNS0_10empty_typeEEEZZNS1_27merge_sort_block_merge_implIS3_N6thrust23THRUST_200600_302600_NS6detail15normal_iteratorINSA_10device_ptrIS5_EEEEPS6_mNSA_4lessIS5_EEEE10hipError_tT0_T1_T2_jT3_P12ihipStream_tbPNSt15iterator_traitsISK_E10value_typeEPNSQ_ISL_E10value_typeEPSM_NS1_7vsmem_tEENKUlT_SK_SL_SM_E_clIPS5_SF_SG_SG_EESJ_SZ_SK_SL_SM_EUlSZ_E1_NS1_11comp_targetILNS1_3genE9ELNS1_11target_archE1100ELNS1_3gpuE3ELNS1_3repE0EEENS1_36merge_oddeven_config_static_selectorELNS0_4arch9wavefront6targetE1EEEvSL_: ; @_ZN7rocprim17ROCPRIM_400000_NS6detail17trampoline_kernelINS0_14default_configENS1_38merge_sort_block_merge_config_selectorI14custom_numericNS0_10empty_typeEEEZZNS1_27merge_sort_block_merge_implIS3_N6thrust23THRUST_200600_302600_NS6detail15normal_iteratorINSA_10device_ptrIS5_EEEEPS6_mNSA_4lessIS5_EEEE10hipError_tT0_T1_T2_jT3_P12ihipStream_tbPNSt15iterator_traitsISK_E10value_typeEPNSQ_ISL_E10value_typeEPSM_NS1_7vsmem_tEENKUlT_SK_SL_SM_E_clIPS5_SF_SG_SG_EESJ_SZ_SK_SL_SM_EUlSZ_E1_NS1_11comp_targetILNS1_3genE9ELNS1_11target_archE1100ELNS1_3gpuE3ELNS1_3repE0EEENS1_36merge_oddeven_config_static_selectorELNS0_4arch9wavefront6targetE1EEEvSL_
; %bb.0:
	.section	.rodata,"a",@progbits
	.p2align	6, 0x0
	.amdhsa_kernel _ZN7rocprim17ROCPRIM_400000_NS6detail17trampoline_kernelINS0_14default_configENS1_38merge_sort_block_merge_config_selectorI14custom_numericNS0_10empty_typeEEEZZNS1_27merge_sort_block_merge_implIS3_N6thrust23THRUST_200600_302600_NS6detail15normal_iteratorINSA_10device_ptrIS5_EEEEPS6_mNSA_4lessIS5_EEEE10hipError_tT0_T1_T2_jT3_P12ihipStream_tbPNSt15iterator_traitsISK_E10value_typeEPNSQ_ISL_E10value_typeEPSM_NS1_7vsmem_tEENKUlT_SK_SL_SM_E_clIPS5_SF_SG_SG_EESJ_SZ_SK_SL_SM_EUlSZ_E1_NS1_11comp_targetILNS1_3genE9ELNS1_11target_archE1100ELNS1_3gpuE3ELNS1_3repE0EEENS1_36merge_oddeven_config_static_selectorELNS0_4arch9wavefront6targetE1EEEvSL_
		.amdhsa_group_segment_fixed_size 0
		.amdhsa_private_segment_fixed_size 0
		.amdhsa_kernarg_size 56
		.amdhsa_user_sgpr_count 6
		.amdhsa_user_sgpr_private_segment_buffer 1
		.amdhsa_user_sgpr_dispatch_ptr 0
		.amdhsa_user_sgpr_queue_ptr 0
		.amdhsa_user_sgpr_kernarg_segment_ptr 1
		.amdhsa_user_sgpr_dispatch_id 0
		.amdhsa_user_sgpr_flat_scratch_init 0
		.amdhsa_user_sgpr_kernarg_preload_length 0
		.amdhsa_user_sgpr_kernarg_preload_offset 0
		.amdhsa_user_sgpr_private_segment_size 0
		.amdhsa_uses_dynamic_stack 0
		.amdhsa_system_sgpr_private_segment_wavefront_offset 0
		.amdhsa_system_sgpr_workgroup_id_x 1
		.amdhsa_system_sgpr_workgroup_id_y 0
		.amdhsa_system_sgpr_workgroup_id_z 0
		.amdhsa_system_sgpr_workgroup_info 0
		.amdhsa_system_vgpr_workitem_id 0
		.amdhsa_next_free_vgpr 1
		.amdhsa_next_free_sgpr 0
		.amdhsa_accum_offset 4
		.amdhsa_reserve_vcc 0
		.amdhsa_reserve_flat_scratch 0
		.amdhsa_float_round_mode_32 0
		.amdhsa_float_round_mode_16_64 0
		.amdhsa_float_denorm_mode_32 3
		.amdhsa_float_denorm_mode_16_64 3
		.amdhsa_dx10_clamp 1
		.amdhsa_ieee_mode 1
		.amdhsa_fp16_overflow 0
		.amdhsa_tg_split 0
		.amdhsa_exception_fp_ieee_invalid_op 0
		.amdhsa_exception_fp_denorm_src 0
		.amdhsa_exception_fp_ieee_div_zero 0
		.amdhsa_exception_fp_ieee_overflow 0
		.amdhsa_exception_fp_ieee_underflow 0
		.amdhsa_exception_fp_ieee_inexact 0
		.amdhsa_exception_int_div_zero 0
	.end_amdhsa_kernel
	.section	.text._ZN7rocprim17ROCPRIM_400000_NS6detail17trampoline_kernelINS0_14default_configENS1_38merge_sort_block_merge_config_selectorI14custom_numericNS0_10empty_typeEEEZZNS1_27merge_sort_block_merge_implIS3_N6thrust23THRUST_200600_302600_NS6detail15normal_iteratorINSA_10device_ptrIS5_EEEEPS6_mNSA_4lessIS5_EEEE10hipError_tT0_T1_T2_jT3_P12ihipStream_tbPNSt15iterator_traitsISK_E10value_typeEPNSQ_ISL_E10value_typeEPSM_NS1_7vsmem_tEENKUlT_SK_SL_SM_E_clIPS5_SF_SG_SG_EESJ_SZ_SK_SL_SM_EUlSZ_E1_NS1_11comp_targetILNS1_3genE9ELNS1_11target_archE1100ELNS1_3gpuE3ELNS1_3repE0EEENS1_36merge_oddeven_config_static_selectorELNS0_4arch9wavefront6targetE1EEEvSL_,"axG",@progbits,_ZN7rocprim17ROCPRIM_400000_NS6detail17trampoline_kernelINS0_14default_configENS1_38merge_sort_block_merge_config_selectorI14custom_numericNS0_10empty_typeEEEZZNS1_27merge_sort_block_merge_implIS3_N6thrust23THRUST_200600_302600_NS6detail15normal_iteratorINSA_10device_ptrIS5_EEEEPS6_mNSA_4lessIS5_EEEE10hipError_tT0_T1_T2_jT3_P12ihipStream_tbPNSt15iterator_traitsISK_E10value_typeEPNSQ_ISL_E10value_typeEPSM_NS1_7vsmem_tEENKUlT_SK_SL_SM_E_clIPS5_SF_SG_SG_EESJ_SZ_SK_SL_SM_EUlSZ_E1_NS1_11comp_targetILNS1_3genE9ELNS1_11target_archE1100ELNS1_3gpuE3ELNS1_3repE0EEENS1_36merge_oddeven_config_static_selectorELNS0_4arch9wavefront6targetE1EEEvSL_,comdat
.Lfunc_end1437:
	.size	_ZN7rocprim17ROCPRIM_400000_NS6detail17trampoline_kernelINS0_14default_configENS1_38merge_sort_block_merge_config_selectorI14custom_numericNS0_10empty_typeEEEZZNS1_27merge_sort_block_merge_implIS3_N6thrust23THRUST_200600_302600_NS6detail15normal_iteratorINSA_10device_ptrIS5_EEEEPS6_mNSA_4lessIS5_EEEE10hipError_tT0_T1_T2_jT3_P12ihipStream_tbPNSt15iterator_traitsISK_E10value_typeEPNSQ_ISL_E10value_typeEPSM_NS1_7vsmem_tEENKUlT_SK_SL_SM_E_clIPS5_SF_SG_SG_EESJ_SZ_SK_SL_SM_EUlSZ_E1_NS1_11comp_targetILNS1_3genE9ELNS1_11target_archE1100ELNS1_3gpuE3ELNS1_3repE0EEENS1_36merge_oddeven_config_static_selectorELNS0_4arch9wavefront6targetE1EEEvSL_, .Lfunc_end1437-_ZN7rocprim17ROCPRIM_400000_NS6detail17trampoline_kernelINS0_14default_configENS1_38merge_sort_block_merge_config_selectorI14custom_numericNS0_10empty_typeEEEZZNS1_27merge_sort_block_merge_implIS3_N6thrust23THRUST_200600_302600_NS6detail15normal_iteratorINSA_10device_ptrIS5_EEEEPS6_mNSA_4lessIS5_EEEE10hipError_tT0_T1_T2_jT3_P12ihipStream_tbPNSt15iterator_traitsISK_E10value_typeEPNSQ_ISL_E10value_typeEPSM_NS1_7vsmem_tEENKUlT_SK_SL_SM_E_clIPS5_SF_SG_SG_EESJ_SZ_SK_SL_SM_EUlSZ_E1_NS1_11comp_targetILNS1_3genE9ELNS1_11target_archE1100ELNS1_3gpuE3ELNS1_3repE0EEENS1_36merge_oddeven_config_static_selectorELNS0_4arch9wavefront6targetE1EEEvSL_
                                        ; -- End function
	.section	.AMDGPU.csdata,"",@progbits
; Kernel info:
; codeLenInByte = 0
; NumSgprs: 4
; NumVgprs: 0
; NumAgprs: 0
; TotalNumVgprs: 0
; ScratchSize: 0
; MemoryBound: 0
; FloatMode: 240
; IeeeMode: 1
; LDSByteSize: 0 bytes/workgroup (compile time only)
; SGPRBlocks: 0
; VGPRBlocks: 0
; NumSGPRsForWavesPerEU: 4
; NumVGPRsForWavesPerEU: 1
; AccumOffset: 4
; Occupancy: 8
; WaveLimiterHint : 0
; COMPUTE_PGM_RSRC2:SCRATCH_EN: 0
; COMPUTE_PGM_RSRC2:USER_SGPR: 6
; COMPUTE_PGM_RSRC2:TRAP_HANDLER: 0
; COMPUTE_PGM_RSRC2:TGID_X_EN: 1
; COMPUTE_PGM_RSRC2:TGID_Y_EN: 0
; COMPUTE_PGM_RSRC2:TGID_Z_EN: 0
; COMPUTE_PGM_RSRC2:TIDIG_COMP_CNT: 0
; COMPUTE_PGM_RSRC3_GFX90A:ACCUM_OFFSET: 0
; COMPUTE_PGM_RSRC3_GFX90A:TG_SPLIT: 0
	.section	.text._ZN7rocprim17ROCPRIM_400000_NS6detail17trampoline_kernelINS0_14default_configENS1_38merge_sort_block_merge_config_selectorI14custom_numericNS0_10empty_typeEEEZZNS1_27merge_sort_block_merge_implIS3_N6thrust23THRUST_200600_302600_NS6detail15normal_iteratorINSA_10device_ptrIS5_EEEEPS6_mNSA_4lessIS5_EEEE10hipError_tT0_T1_T2_jT3_P12ihipStream_tbPNSt15iterator_traitsISK_E10value_typeEPNSQ_ISL_E10value_typeEPSM_NS1_7vsmem_tEENKUlT_SK_SL_SM_E_clIPS5_SF_SG_SG_EESJ_SZ_SK_SL_SM_EUlSZ_E1_NS1_11comp_targetILNS1_3genE8ELNS1_11target_archE1030ELNS1_3gpuE2ELNS1_3repE0EEENS1_36merge_oddeven_config_static_selectorELNS0_4arch9wavefront6targetE1EEEvSL_,"axG",@progbits,_ZN7rocprim17ROCPRIM_400000_NS6detail17trampoline_kernelINS0_14default_configENS1_38merge_sort_block_merge_config_selectorI14custom_numericNS0_10empty_typeEEEZZNS1_27merge_sort_block_merge_implIS3_N6thrust23THRUST_200600_302600_NS6detail15normal_iteratorINSA_10device_ptrIS5_EEEEPS6_mNSA_4lessIS5_EEEE10hipError_tT0_T1_T2_jT3_P12ihipStream_tbPNSt15iterator_traitsISK_E10value_typeEPNSQ_ISL_E10value_typeEPSM_NS1_7vsmem_tEENKUlT_SK_SL_SM_E_clIPS5_SF_SG_SG_EESJ_SZ_SK_SL_SM_EUlSZ_E1_NS1_11comp_targetILNS1_3genE8ELNS1_11target_archE1030ELNS1_3gpuE2ELNS1_3repE0EEENS1_36merge_oddeven_config_static_selectorELNS0_4arch9wavefront6targetE1EEEvSL_,comdat
	.protected	_ZN7rocprim17ROCPRIM_400000_NS6detail17trampoline_kernelINS0_14default_configENS1_38merge_sort_block_merge_config_selectorI14custom_numericNS0_10empty_typeEEEZZNS1_27merge_sort_block_merge_implIS3_N6thrust23THRUST_200600_302600_NS6detail15normal_iteratorINSA_10device_ptrIS5_EEEEPS6_mNSA_4lessIS5_EEEE10hipError_tT0_T1_T2_jT3_P12ihipStream_tbPNSt15iterator_traitsISK_E10value_typeEPNSQ_ISL_E10value_typeEPSM_NS1_7vsmem_tEENKUlT_SK_SL_SM_E_clIPS5_SF_SG_SG_EESJ_SZ_SK_SL_SM_EUlSZ_E1_NS1_11comp_targetILNS1_3genE8ELNS1_11target_archE1030ELNS1_3gpuE2ELNS1_3repE0EEENS1_36merge_oddeven_config_static_selectorELNS0_4arch9wavefront6targetE1EEEvSL_ ; -- Begin function _ZN7rocprim17ROCPRIM_400000_NS6detail17trampoline_kernelINS0_14default_configENS1_38merge_sort_block_merge_config_selectorI14custom_numericNS0_10empty_typeEEEZZNS1_27merge_sort_block_merge_implIS3_N6thrust23THRUST_200600_302600_NS6detail15normal_iteratorINSA_10device_ptrIS5_EEEEPS6_mNSA_4lessIS5_EEEE10hipError_tT0_T1_T2_jT3_P12ihipStream_tbPNSt15iterator_traitsISK_E10value_typeEPNSQ_ISL_E10value_typeEPSM_NS1_7vsmem_tEENKUlT_SK_SL_SM_E_clIPS5_SF_SG_SG_EESJ_SZ_SK_SL_SM_EUlSZ_E1_NS1_11comp_targetILNS1_3genE8ELNS1_11target_archE1030ELNS1_3gpuE2ELNS1_3repE0EEENS1_36merge_oddeven_config_static_selectorELNS0_4arch9wavefront6targetE1EEEvSL_
	.globl	_ZN7rocprim17ROCPRIM_400000_NS6detail17trampoline_kernelINS0_14default_configENS1_38merge_sort_block_merge_config_selectorI14custom_numericNS0_10empty_typeEEEZZNS1_27merge_sort_block_merge_implIS3_N6thrust23THRUST_200600_302600_NS6detail15normal_iteratorINSA_10device_ptrIS5_EEEEPS6_mNSA_4lessIS5_EEEE10hipError_tT0_T1_T2_jT3_P12ihipStream_tbPNSt15iterator_traitsISK_E10value_typeEPNSQ_ISL_E10value_typeEPSM_NS1_7vsmem_tEENKUlT_SK_SL_SM_E_clIPS5_SF_SG_SG_EESJ_SZ_SK_SL_SM_EUlSZ_E1_NS1_11comp_targetILNS1_3genE8ELNS1_11target_archE1030ELNS1_3gpuE2ELNS1_3repE0EEENS1_36merge_oddeven_config_static_selectorELNS0_4arch9wavefront6targetE1EEEvSL_
	.p2align	8
	.type	_ZN7rocprim17ROCPRIM_400000_NS6detail17trampoline_kernelINS0_14default_configENS1_38merge_sort_block_merge_config_selectorI14custom_numericNS0_10empty_typeEEEZZNS1_27merge_sort_block_merge_implIS3_N6thrust23THRUST_200600_302600_NS6detail15normal_iteratorINSA_10device_ptrIS5_EEEEPS6_mNSA_4lessIS5_EEEE10hipError_tT0_T1_T2_jT3_P12ihipStream_tbPNSt15iterator_traitsISK_E10value_typeEPNSQ_ISL_E10value_typeEPSM_NS1_7vsmem_tEENKUlT_SK_SL_SM_E_clIPS5_SF_SG_SG_EESJ_SZ_SK_SL_SM_EUlSZ_E1_NS1_11comp_targetILNS1_3genE8ELNS1_11target_archE1030ELNS1_3gpuE2ELNS1_3repE0EEENS1_36merge_oddeven_config_static_selectorELNS0_4arch9wavefront6targetE1EEEvSL_,@function
_ZN7rocprim17ROCPRIM_400000_NS6detail17trampoline_kernelINS0_14default_configENS1_38merge_sort_block_merge_config_selectorI14custom_numericNS0_10empty_typeEEEZZNS1_27merge_sort_block_merge_implIS3_N6thrust23THRUST_200600_302600_NS6detail15normal_iteratorINSA_10device_ptrIS5_EEEEPS6_mNSA_4lessIS5_EEEE10hipError_tT0_T1_T2_jT3_P12ihipStream_tbPNSt15iterator_traitsISK_E10value_typeEPNSQ_ISL_E10value_typeEPSM_NS1_7vsmem_tEENKUlT_SK_SL_SM_E_clIPS5_SF_SG_SG_EESJ_SZ_SK_SL_SM_EUlSZ_E1_NS1_11comp_targetILNS1_3genE8ELNS1_11target_archE1030ELNS1_3gpuE2ELNS1_3repE0EEENS1_36merge_oddeven_config_static_selectorELNS0_4arch9wavefront6targetE1EEEvSL_: ; @_ZN7rocprim17ROCPRIM_400000_NS6detail17trampoline_kernelINS0_14default_configENS1_38merge_sort_block_merge_config_selectorI14custom_numericNS0_10empty_typeEEEZZNS1_27merge_sort_block_merge_implIS3_N6thrust23THRUST_200600_302600_NS6detail15normal_iteratorINSA_10device_ptrIS5_EEEEPS6_mNSA_4lessIS5_EEEE10hipError_tT0_T1_T2_jT3_P12ihipStream_tbPNSt15iterator_traitsISK_E10value_typeEPNSQ_ISL_E10value_typeEPSM_NS1_7vsmem_tEENKUlT_SK_SL_SM_E_clIPS5_SF_SG_SG_EESJ_SZ_SK_SL_SM_EUlSZ_E1_NS1_11comp_targetILNS1_3genE8ELNS1_11target_archE1030ELNS1_3gpuE2ELNS1_3repE0EEENS1_36merge_oddeven_config_static_selectorELNS0_4arch9wavefront6targetE1EEEvSL_
; %bb.0:
	.section	.rodata,"a",@progbits
	.p2align	6, 0x0
	.amdhsa_kernel _ZN7rocprim17ROCPRIM_400000_NS6detail17trampoline_kernelINS0_14default_configENS1_38merge_sort_block_merge_config_selectorI14custom_numericNS0_10empty_typeEEEZZNS1_27merge_sort_block_merge_implIS3_N6thrust23THRUST_200600_302600_NS6detail15normal_iteratorINSA_10device_ptrIS5_EEEEPS6_mNSA_4lessIS5_EEEE10hipError_tT0_T1_T2_jT3_P12ihipStream_tbPNSt15iterator_traitsISK_E10value_typeEPNSQ_ISL_E10value_typeEPSM_NS1_7vsmem_tEENKUlT_SK_SL_SM_E_clIPS5_SF_SG_SG_EESJ_SZ_SK_SL_SM_EUlSZ_E1_NS1_11comp_targetILNS1_3genE8ELNS1_11target_archE1030ELNS1_3gpuE2ELNS1_3repE0EEENS1_36merge_oddeven_config_static_selectorELNS0_4arch9wavefront6targetE1EEEvSL_
		.amdhsa_group_segment_fixed_size 0
		.amdhsa_private_segment_fixed_size 0
		.amdhsa_kernarg_size 56
		.amdhsa_user_sgpr_count 6
		.amdhsa_user_sgpr_private_segment_buffer 1
		.amdhsa_user_sgpr_dispatch_ptr 0
		.amdhsa_user_sgpr_queue_ptr 0
		.amdhsa_user_sgpr_kernarg_segment_ptr 1
		.amdhsa_user_sgpr_dispatch_id 0
		.amdhsa_user_sgpr_flat_scratch_init 0
		.amdhsa_user_sgpr_kernarg_preload_length 0
		.amdhsa_user_sgpr_kernarg_preload_offset 0
		.amdhsa_user_sgpr_private_segment_size 0
		.amdhsa_uses_dynamic_stack 0
		.amdhsa_system_sgpr_private_segment_wavefront_offset 0
		.amdhsa_system_sgpr_workgroup_id_x 1
		.amdhsa_system_sgpr_workgroup_id_y 0
		.amdhsa_system_sgpr_workgroup_id_z 0
		.amdhsa_system_sgpr_workgroup_info 0
		.amdhsa_system_vgpr_workitem_id 0
		.amdhsa_next_free_vgpr 1
		.amdhsa_next_free_sgpr 0
		.amdhsa_accum_offset 4
		.amdhsa_reserve_vcc 0
		.amdhsa_reserve_flat_scratch 0
		.amdhsa_float_round_mode_32 0
		.amdhsa_float_round_mode_16_64 0
		.amdhsa_float_denorm_mode_32 3
		.amdhsa_float_denorm_mode_16_64 3
		.amdhsa_dx10_clamp 1
		.amdhsa_ieee_mode 1
		.amdhsa_fp16_overflow 0
		.amdhsa_tg_split 0
		.amdhsa_exception_fp_ieee_invalid_op 0
		.amdhsa_exception_fp_denorm_src 0
		.amdhsa_exception_fp_ieee_div_zero 0
		.amdhsa_exception_fp_ieee_overflow 0
		.amdhsa_exception_fp_ieee_underflow 0
		.amdhsa_exception_fp_ieee_inexact 0
		.amdhsa_exception_int_div_zero 0
	.end_amdhsa_kernel
	.section	.text._ZN7rocprim17ROCPRIM_400000_NS6detail17trampoline_kernelINS0_14default_configENS1_38merge_sort_block_merge_config_selectorI14custom_numericNS0_10empty_typeEEEZZNS1_27merge_sort_block_merge_implIS3_N6thrust23THRUST_200600_302600_NS6detail15normal_iteratorINSA_10device_ptrIS5_EEEEPS6_mNSA_4lessIS5_EEEE10hipError_tT0_T1_T2_jT3_P12ihipStream_tbPNSt15iterator_traitsISK_E10value_typeEPNSQ_ISL_E10value_typeEPSM_NS1_7vsmem_tEENKUlT_SK_SL_SM_E_clIPS5_SF_SG_SG_EESJ_SZ_SK_SL_SM_EUlSZ_E1_NS1_11comp_targetILNS1_3genE8ELNS1_11target_archE1030ELNS1_3gpuE2ELNS1_3repE0EEENS1_36merge_oddeven_config_static_selectorELNS0_4arch9wavefront6targetE1EEEvSL_,"axG",@progbits,_ZN7rocprim17ROCPRIM_400000_NS6detail17trampoline_kernelINS0_14default_configENS1_38merge_sort_block_merge_config_selectorI14custom_numericNS0_10empty_typeEEEZZNS1_27merge_sort_block_merge_implIS3_N6thrust23THRUST_200600_302600_NS6detail15normal_iteratorINSA_10device_ptrIS5_EEEEPS6_mNSA_4lessIS5_EEEE10hipError_tT0_T1_T2_jT3_P12ihipStream_tbPNSt15iterator_traitsISK_E10value_typeEPNSQ_ISL_E10value_typeEPSM_NS1_7vsmem_tEENKUlT_SK_SL_SM_E_clIPS5_SF_SG_SG_EESJ_SZ_SK_SL_SM_EUlSZ_E1_NS1_11comp_targetILNS1_3genE8ELNS1_11target_archE1030ELNS1_3gpuE2ELNS1_3repE0EEENS1_36merge_oddeven_config_static_selectorELNS0_4arch9wavefront6targetE1EEEvSL_,comdat
.Lfunc_end1438:
	.size	_ZN7rocprim17ROCPRIM_400000_NS6detail17trampoline_kernelINS0_14default_configENS1_38merge_sort_block_merge_config_selectorI14custom_numericNS0_10empty_typeEEEZZNS1_27merge_sort_block_merge_implIS3_N6thrust23THRUST_200600_302600_NS6detail15normal_iteratorINSA_10device_ptrIS5_EEEEPS6_mNSA_4lessIS5_EEEE10hipError_tT0_T1_T2_jT3_P12ihipStream_tbPNSt15iterator_traitsISK_E10value_typeEPNSQ_ISL_E10value_typeEPSM_NS1_7vsmem_tEENKUlT_SK_SL_SM_E_clIPS5_SF_SG_SG_EESJ_SZ_SK_SL_SM_EUlSZ_E1_NS1_11comp_targetILNS1_3genE8ELNS1_11target_archE1030ELNS1_3gpuE2ELNS1_3repE0EEENS1_36merge_oddeven_config_static_selectorELNS0_4arch9wavefront6targetE1EEEvSL_, .Lfunc_end1438-_ZN7rocprim17ROCPRIM_400000_NS6detail17trampoline_kernelINS0_14default_configENS1_38merge_sort_block_merge_config_selectorI14custom_numericNS0_10empty_typeEEEZZNS1_27merge_sort_block_merge_implIS3_N6thrust23THRUST_200600_302600_NS6detail15normal_iteratorINSA_10device_ptrIS5_EEEEPS6_mNSA_4lessIS5_EEEE10hipError_tT0_T1_T2_jT3_P12ihipStream_tbPNSt15iterator_traitsISK_E10value_typeEPNSQ_ISL_E10value_typeEPSM_NS1_7vsmem_tEENKUlT_SK_SL_SM_E_clIPS5_SF_SG_SG_EESJ_SZ_SK_SL_SM_EUlSZ_E1_NS1_11comp_targetILNS1_3genE8ELNS1_11target_archE1030ELNS1_3gpuE2ELNS1_3repE0EEENS1_36merge_oddeven_config_static_selectorELNS0_4arch9wavefront6targetE1EEEvSL_
                                        ; -- End function
	.section	.AMDGPU.csdata,"",@progbits
; Kernel info:
; codeLenInByte = 0
; NumSgprs: 4
; NumVgprs: 0
; NumAgprs: 0
; TotalNumVgprs: 0
; ScratchSize: 0
; MemoryBound: 0
; FloatMode: 240
; IeeeMode: 1
; LDSByteSize: 0 bytes/workgroup (compile time only)
; SGPRBlocks: 0
; VGPRBlocks: 0
; NumSGPRsForWavesPerEU: 4
; NumVGPRsForWavesPerEU: 1
; AccumOffset: 4
; Occupancy: 8
; WaveLimiterHint : 0
; COMPUTE_PGM_RSRC2:SCRATCH_EN: 0
; COMPUTE_PGM_RSRC2:USER_SGPR: 6
; COMPUTE_PGM_RSRC2:TRAP_HANDLER: 0
; COMPUTE_PGM_RSRC2:TGID_X_EN: 1
; COMPUTE_PGM_RSRC2:TGID_Y_EN: 0
; COMPUTE_PGM_RSRC2:TGID_Z_EN: 0
; COMPUTE_PGM_RSRC2:TIDIG_COMP_CNT: 0
; COMPUTE_PGM_RSRC3_GFX90A:ACCUM_OFFSET: 0
; COMPUTE_PGM_RSRC3_GFX90A:TG_SPLIT: 0
	.section	.text._ZN7rocprim17ROCPRIM_400000_NS6detail17trampoline_kernelINS0_14default_configENS1_38merge_sort_block_merge_config_selectorI14custom_numericNS0_10empty_typeEEEZZNS1_27merge_sort_block_merge_implIS3_N6thrust23THRUST_200600_302600_NS6detail15normal_iteratorINSA_10device_ptrIS5_EEEEPS6_mNSA_4lessIS5_EEEE10hipError_tT0_T1_T2_jT3_P12ihipStream_tbPNSt15iterator_traitsISK_E10value_typeEPNSQ_ISL_E10value_typeEPSM_NS1_7vsmem_tEENKUlT_SK_SL_SM_E_clISF_PS5_SG_SG_EESJ_SZ_SK_SL_SM_EUlSZ_E_NS1_11comp_targetILNS1_3genE0ELNS1_11target_archE4294967295ELNS1_3gpuE0ELNS1_3repE0EEENS1_48merge_mergepath_partition_config_static_selectorELNS0_4arch9wavefront6targetE1EEEvSL_,"axG",@progbits,_ZN7rocprim17ROCPRIM_400000_NS6detail17trampoline_kernelINS0_14default_configENS1_38merge_sort_block_merge_config_selectorI14custom_numericNS0_10empty_typeEEEZZNS1_27merge_sort_block_merge_implIS3_N6thrust23THRUST_200600_302600_NS6detail15normal_iteratorINSA_10device_ptrIS5_EEEEPS6_mNSA_4lessIS5_EEEE10hipError_tT0_T1_T2_jT3_P12ihipStream_tbPNSt15iterator_traitsISK_E10value_typeEPNSQ_ISL_E10value_typeEPSM_NS1_7vsmem_tEENKUlT_SK_SL_SM_E_clISF_PS5_SG_SG_EESJ_SZ_SK_SL_SM_EUlSZ_E_NS1_11comp_targetILNS1_3genE0ELNS1_11target_archE4294967295ELNS1_3gpuE0ELNS1_3repE0EEENS1_48merge_mergepath_partition_config_static_selectorELNS0_4arch9wavefront6targetE1EEEvSL_,comdat
	.protected	_ZN7rocprim17ROCPRIM_400000_NS6detail17trampoline_kernelINS0_14default_configENS1_38merge_sort_block_merge_config_selectorI14custom_numericNS0_10empty_typeEEEZZNS1_27merge_sort_block_merge_implIS3_N6thrust23THRUST_200600_302600_NS6detail15normal_iteratorINSA_10device_ptrIS5_EEEEPS6_mNSA_4lessIS5_EEEE10hipError_tT0_T1_T2_jT3_P12ihipStream_tbPNSt15iterator_traitsISK_E10value_typeEPNSQ_ISL_E10value_typeEPSM_NS1_7vsmem_tEENKUlT_SK_SL_SM_E_clISF_PS5_SG_SG_EESJ_SZ_SK_SL_SM_EUlSZ_E_NS1_11comp_targetILNS1_3genE0ELNS1_11target_archE4294967295ELNS1_3gpuE0ELNS1_3repE0EEENS1_48merge_mergepath_partition_config_static_selectorELNS0_4arch9wavefront6targetE1EEEvSL_ ; -- Begin function _ZN7rocprim17ROCPRIM_400000_NS6detail17trampoline_kernelINS0_14default_configENS1_38merge_sort_block_merge_config_selectorI14custom_numericNS0_10empty_typeEEEZZNS1_27merge_sort_block_merge_implIS3_N6thrust23THRUST_200600_302600_NS6detail15normal_iteratorINSA_10device_ptrIS5_EEEEPS6_mNSA_4lessIS5_EEEE10hipError_tT0_T1_T2_jT3_P12ihipStream_tbPNSt15iterator_traitsISK_E10value_typeEPNSQ_ISL_E10value_typeEPSM_NS1_7vsmem_tEENKUlT_SK_SL_SM_E_clISF_PS5_SG_SG_EESJ_SZ_SK_SL_SM_EUlSZ_E_NS1_11comp_targetILNS1_3genE0ELNS1_11target_archE4294967295ELNS1_3gpuE0ELNS1_3repE0EEENS1_48merge_mergepath_partition_config_static_selectorELNS0_4arch9wavefront6targetE1EEEvSL_
	.globl	_ZN7rocprim17ROCPRIM_400000_NS6detail17trampoline_kernelINS0_14default_configENS1_38merge_sort_block_merge_config_selectorI14custom_numericNS0_10empty_typeEEEZZNS1_27merge_sort_block_merge_implIS3_N6thrust23THRUST_200600_302600_NS6detail15normal_iteratorINSA_10device_ptrIS5_EEEEPS6_mNSA_4lessIS5_EEEE10hipError_tT0_T1_T2_jT3_P12ihipStream_tbPNSt15iterator_traitsISK_E10value_typeEPNSQ_ISL_E10value_typeEPSM_NS1_7vsmem_tEENKUlT_SK_SL_SM_E_clISF_PS5_SG_SG_EESJ_SZ_SK_SL_SM_EUlSZ_E_NS1_11comp_targetILNS1_3genE0ELNS1_11target_archE4294967295ELNS1_3gpuE0ELNS1_3repE0EEENS1_48merge_mergepath_partition_config_static_selectorELNS0_4arch9wavefront6targetE1EEEvSL_
	.p2align	8
	.type	_ZN7rocprim17ROCPRIM_400000_NS6detail17trampoline_kernelINS0_14default_configENS1_38merge_sort_block_merge_config_selectorI14custom_numericNS0_10empty_typeEEEZZNS1_27merge_sort_block_merge_implIS3_N6thrust23THRUST_200600_302600_NS6detail15normal_iteratorINSA_10device_ptrIS5_EEEEPS6_mNSA_4lessIS5_EEEE10hipError_tT0_T1_T2_jT3_P12ihipStream_tbPNSt15iterator_traitsISK_E10value_typeEPNSQ_ISL_E10value_typeEPSM_NS1_7vsmem_tEENKUlT_SK_SL_SM_E_clISF_PS5_SG_SG_EESJ_SZ_SK_SL_SM_EUlSZ_E_NS1_11comp_targetILNS1_3genE0ELNS1_11target_archE4294967295ELNS1_3gpuE0ELNS1_3repE0EEENS1_48merge_mergepath_partition_config_static_selectorELNS0_4arch9wavefront6targetE1EEEvSL_,@function
_ZN7rocprim17ROCPRIM_400000_NS6detail17trampoline_kernelINS0_14default_configENS1_38merge_sort_block_merge_config_selectorI14custom_numericNS0_10empty_typeEEEZZNS1_27merge_sort_block_merge_implIS3_N6thrust23THRUST_200600_302600_NS6detail15normal_iteratorINSA_10device_ptrIS5_EEEEPS6_mNSA_4lessIS5_EEEE10hipError_tT0_T1_T2_jT3_P12ihipStream_tbPNSt15iterator_traitsISK_E10value_typeEPNSQ_ISL_E10value_typeEPSM_NS1_7vsmem_tEENKUlT_SK_SL_SM_E_clISF_PS5_SG_SG_EESJ_SZ_SK_SL_SM_EUlSZ_E_NS1_11comp_targetILNS1_3genE0ELNS1_11target_archE4294967295ELNS1_3gpuE0ELNS1_3repE0EEENS1_48merge_mergepath_partition_config_static_selectorELNS0_4arch9wavefront6targetE1EEEvSL_: ; @_ZN7rocprim17ROCPRIM_400000_NS6detail17trampoline_kernelINS0_14default_configENS1_38merge_sort_block_merge_config_selectorI14custom_numericNS0_10empty_typeEEEZZNS1_27merge_sort_block_merge_implIS3_N6thrust23THRUST_200600_302600_NS6detail15normal_iteratorINSA_10device_ptrIS5_EEEEPS6_mNSA_4lessIS5_EEEE10hipError_tT0_T1_T2_jT3_P12ihipStream_tbPNSt15iterator_traitsISK_E10value_typeEPNSQ_ISL_E10value_typeEPSM_NS1_7vsmem_tEENKUlT_SK_SL_SM_E_clISF_PS5_SG_SG_EESJ_SZ_SK_SL_SM_EUlSZ_E_NS1_11comp_targetILNS1_3genE0ELNS1_11target_archE4294967295ELNS1_3gpuE0ELNS1_3repE0EEENS1_48merge_mergepath_partition_config_static_selectorELNS0_4arch9wavefront6targetE1EEEvSL_
; %bb.0:
	.section	.rodata,"a",@progbits
	.p2align	6, 0x0
	.amdhsa_kernel _ZN7rocprim17ROCPRIM_400000_NS6detail17trampoline_kernelINS0_14default_configENS1_38merge_sort_block_merge_config_selectorI14custom_numericNS0_10empty_typeEEEZZNS1_27merge_sort_block_merge_implIS3_N6thrust23THRUST_200600_302600_NS6detail15normal_iteratorINSA_10device_ptrIS5_EEEEPS6_mNSA_4lessIS5_EEEE10hipError_tT0_T1_T2_jT3_P12ihipStream_tbPNSt15iterator_traitsISK_E10value_typeEPNSQ_ISL_E10value_typeEPSM_NS1_7vsmem_tEENKUlT_SK_SL_SM_E_clISF_PS5_SG_SG_EESJ_SZ_SK_SL_SM_EUlSZ_E_NS1_11comp_targetILNS1_3genE0ELNS1_11target_archE4294967295ELNS1_3gpuE0ELNS1_3repE0EEENS1_48merge_mergepath_partition_config_static_selectorELNS0_4arch9wavefront6targetE1EEEvSL_
		.amdhsa_group_segment_fixed_size 0
		.amdhsa_private_segment_fixed_size 0
		.amdhsa_kernarg_size 48
		.amdhsa_user_sgpr_count 6
		.amdhsa_user_sgpr_private_segment_buffer 1
		.amdhsa_user_sgpr_dispatch_ptr 0
		.amdhsa_user_sgpr_queue_ptr 0
		.amdhsa_user_sgpr_kernarg_segment_ptr 1
		.amdhsa_user_sgpr_dispatch_id 0
		.amdhsa_user_sgpr_flat_scratch_init 0
		.amdhsa_user_sgpr_kernarg_preload_length 0
		.amdhsa_user_sgpr_kernarg_preload_offset 0
		.amdhsa_user_sgpr_private_segment_size 0
		.amdhsa_uses_dynamic_stack 0
		.amdhsa_system_sgpr_private_segment_wavefront_offset 0
		.amdhsa_system_sgpr_workgroup_id_x 1
		.amdhsa_system_sgpr_workgroup_id_y 0
		.amdhsa_system_sgpr_workgroup_id_z 0
		.amdhsa_system_sgpr_workgroup_info 0
		.amdhsa_system_vgpr_workitem_id 0
		.amdhsa_next_free_vgpr 1
		.amdhsa_next_free_sgpr 0
		.amdhsa_accum_offset 4
		.amdhsa_reserve_vcc 0
		.amdhsa_reserve_flat_scratch 0
		.amdhsa_float_round_mode_32 0
		.amdhsa_float_round_mode_16_64 0
		.amdhsa_float_denorm_mode_32 3
		.amdhsa_float_denorm_mode_16_64 3
		.amdhsa_dx10_clamp 1
		.amdhsa_ieee_mode 1
		.amdhsa_fp16_overflow 0
		.amdhsa_tg_split 0
		.amdhsa_exception_fp_ieee_invalid_op 0
		.amdhsa_exception_fp_denorm_src 0
		.amdhsa_exception_fp_ieee_div_zero 0
		.amdhsa_exception_fp_ieee_overflow 0
		.amdhsa_exception_fp_ieee_underflow 0
		.amdhsa_exception_fp_ieee_inexact 0
		.amdhsa_exception_int_div_zero 0
	.end_amdhsa_kernel
	.section	.text._ZN7rocprim17ROCPRIM_400000_NS6detail17trampoline_kernelINS0_14default_configENS1_38merge_sort_block_merge_config_selectorI14custom_numericNS0_10empty_typeEEEZZNS1_27merge_sort_block_merge_implIS3_N6thrust23THRUST_200600_302600_NS6detail15normal_iteratorINSA_10device_ptrIS5_EEEEPS6_mNSA_4lessIS5_EEEE10hipError_tT0_T1_T2_jT3_P12ihipStream_tbPNSt15iterator_traitsISK_E10value_typeEPNSQ_ISL_E10value_typeEPSM_NS1_7vsmem_tEENKUlT_SK_SL_SM_E_clISF_PS5_SG_SG_EESJ_SZ_SK_SL_SM_EUlSZ_E_NS1_11comp_targetILNS1_3genE0ELNS1_11target_archE4294967295ELNS1_3gpuE0ELNS1_3repE0EEENS1_48merge_mergepath_partition_config_static_selectorELNS0_4arch9wavefront6targetE1EEEvSL_,"axG",@progbits,_ZN7rocprim17ROCPRIM_400000_NS6detail17trampoline_kernelINS0_14default_configENS1_38merge_sort_block_merge_config_selectorI14custom_numericNS0_10empty_typeEEEZZNS1_27merge_sort_block_merge_implIS3_N6thrust23THRUST_200600_302600_NS6detail15normal_iteratorINSA_10device_ptrIS5_EEEEPS6_mNSA_4lessIS5_EEEE10hipError_tT0_T1_T2_jT3_P12ihipStream_tbPNSt15iterator_traitsISK_E10value_typeEPNSQ_ISL_E10value_typeEPSM_NS1_7vsmem_tEENKUlT_SK_SL_SM_E_clISF_PS5_SG_SG_EESJ_SZ_SK_SL_SM_EUlSZ_E_NS1_11comp_targetILNS1_3genE0ELNS1_11target_archE4294967295ELNS1_3gpuE0ELNS1_3repE0EEENS1_48merge_mergepath_partition_config_static_selectorELNS0_4arch9wavefront6targetE1EEEvSL_,comdat
.Lfunc_end1439:
	.size	_ZN7rocprim17ROCPRIM_400000_NS6detail17trampoline_kernelINS0_14default_configENS1_38merge_sort_block_merge_config_selectorI14custom_numericNS0_10empty_typeEEEZZNS1_27merge_sort_block_merge_implIS3_N6thrust23THRUST_200600_302600_NS6detail15normal_iteratorINSA_10device_ptrIS5_EEEEPS6_mNSA_4lessIS5_EEEE10hipError_tT0_T1_T2_jT3_P12ihipStream_tbPNSt15iterator_traitsISK_E10value_typeEPNSQ_ISL_E10value_typeEPSM_NS1_7vsmem_tEENKUlT_SK_SL_SM_E_clISF_PS5_SG_SG_EESJ_SZ_SK_SL_SM_EUlSZ_E_NS1_11comp_targetILNS1_3genE0ELNS1_11target_archE4294967295ELNS1_3gpuE0ELNS1_3repE0EEENS1_48merge_mergepath_partition_config_static_selectorELNS0_4arch9wavefront6targetE1EEEvSL_, .Lfunc_end1439-_ZN7rocprim17ROCPRIM_400000_NS6detail17trampoline_kernelINS0_14default_configENS1_38merge_sort_block_merge_config_selectorI14custom_numericNS0_10empty_typeEEEZZNS1_27merge_sort_block_merge_implIS3_N6thrust23THRUST_200600_302600_NS6detail15normal_iteratorINSA_10device_ptrIS5_EEEEPS6_mNSA_4lessIS5_EEEE10hipError_tT0_T1_T2_jT3_P12ihipStream_tbPNSt15iterator_traitsISK_E10value_typeEPNSQ_ISL_E10value_typeEPSM_NS1_7vsmem_tEENKUlT_SK_SL_SM_E_clISF_PS5_SG_SG_EESJ_SZ_SK_SL_SM_EUlSZ_E_NS1_11comp_targetILNS1_3genE0ELNS1_11target_archE4294967295ELNS1_3gpuE0ELNS1_3repE0EEENS1_48merge_mergepath_partition_config_static_selectorELNS0_4arch9wavefront6targetE1EEEvSL_
                                        ; -- End function
	.section	.AMDGPU.csdata,"",@progbits
; Kernel info:
; codeLenInByte = 0
; NumSgprs: 4
; NumVgprs: 0
; NumAgprs: 0
; TotalNumVgprs: 0
; ScratchSize: 0
; MemoryBound: 0
; FloatMode: 240
; IeeeMode: 1
; LDSByteSize: 0 bytes/workgroup (compile time only)
; SGPRBlocks: 0
; VGPRBlocks: 0
; NumSGPRsForWavesPerEU: 4
; NumVGPRsForWavesPerEU: 1
; AccumOffset: 4
; Occupancy: 8
; WaveLimiterHint : 0
; COMPUTE_PGM_RSRC2:SCRATCH_EN: 0
; COMPUTE_PGM_RSRC2:USER_SGPR: 6
; COMPUTE_PGM_RSRC2:TRAP_HANDLER: 0
; COMPUTE_PGM_RSRC2:TGID_X_EN: 1
; COMPUTE_PGM_RSRC2:TGID_Y_EN: 0
; COMPUTE_PGM_RSRC2:TGID_Z_EN: 0
; COMPUTE_PGM_RSRC2:TIDIG_COMP_CNT: 0
; COMPUTE_PGM_RSRC3_GFX90A:ACCUM_OFFSET: 0
; COMPUTE_PGM_RSRC3_GFX90A:TG_SPLIT: 0
	.section	.text._ZN7rocprim17ROCPRIM_400000_NS6detail17trampoline_kernelINS0_14default_configENS1_38merge_sort_block_merge_config_selectorI14custom_numericNS0_10empty_typeEEEZZNS1_27merge_sort_block_merge_implIS3_N6thrust23THRUST_200600_302600_NS6detail15normal_iteratorINSA_10device_ptrIS5_EEEEPS6_mNSA_4lessIS5_EEEE10hipError_tT0_T1_T2_jT3_P12ihipStream_tbPNSt15iterator_traitsISK_E10value_typeEPNSQ_ISL_E10value_typeEPSM_NS1_7vsmem_tEENKUlT_SK_SL_SM_E_clISF_PS5_SG_SG_EESJ_SZ_SK_SL_SM_EUlSZ_E_NS1_11comp_targetILNS1_3genE10ELNS1_11target_archE1201ELNS1_3gpuE5ELNS1_3repE0EEENS1_48merge_mergepath_partition_config_static_selectorELNS0_4arch9wavefront6targetE1EEEvSL_,"axG",@progbits,_ZN7rocprim17ROCPRIM_400000_NS6detail17trampoline_kernelINS0_14default_configENS1_38merge_sort_block_merge_config_selectorI14custom_numericNS0_10empty_typeEEEZZNS1_27merge_sort_block_merge_implIS3_N6thrust23THRUST_200600_302600_NS6detail15normal_iteratorINSA_10device_ptrIS5_EEEEPS6_mNSA_4lessIS5_EEEE10hipError_tT0_T1_T2_jT3_P12ihipStream_tbPNSt15iterator_traitsISK_E10value_typeEPNSQ_ISL_E10value_typeEPSM_NS1_7vsmem_tEENKUlT_SK_SL_SM_E_clISF_PS5_SG_SG_EESJ_SZ_SK_SL_SM_EUlSZ_E_NS1_11comp_targetILNS1_3genE10ELNS1_11target_archE1201ELNS1_3gpuE5ELNS1_3repE0EEENS1_48merge_mergepath_partition_config_static_selectorELNS0_4arch9wavefront6targetE1EEEvSL_,comdat
	.protected	_ZN7rocprim17ROCPRIM_400000_NS6detail17trampoline_kernelINS0_14default_configENS1_38merge_sort_block_merge_config_selectorI14custom_numericNS0_10empty_typeEEEZZNS1_27merge_sort_block_merge_implIS3_N6thrust23THRUST_200600_302600_NS6detail15normal_iteratorINSA_10device_ptrIS5_EEEEPS6_mNSA_4lessIS5_EEEE10hipError_tT0_T1_T2_jT3_P12ihipStream_tbPNSt15iterator_traitsISK_E10value_typeEPNSQ_ISL_E10value_typeEPSM_NS1_7vsmem_tEENKUlT_SK_SL_SM_E_clISF_PS5_SG_SG_EESJ_SZ_SK_SL_SM_EUlSZ_E_NS1_11comp_targetILNS1_3genE10ELNS1_11target_archE1201ELNS1_3gpuE5ELNS1_3repE0EEENS1_48merge_mergepath_partition_config_static_selectorELNS0_4arch9wavefront6targetE1EEEvSL_ ; -- Begin function _ZN7rocprim17ROCPRIM_400000_NS6detail17trampoline_kernelINS0_14default_configENS1_38merge_sort_block_merge_config_selectorI14custom_numericNS0_10empty_typeEEEZZNS1_27merge_sort_block_merge_implIS3_N6thrust23THRUST_200600_302600_NS6detail15normal_iteratorINSA_10device_ptrIS5_EEEEPS6_mNSA_4lessIS5_EEEE10hipError_tT0_T1_T2_jT3_P12ihipStream_tbPNSt15iterator_traitsISK_E10value_typeEPNSQ_ISL_E10value_typeEPSM_NS1_7vsmem_tEENKUlT_SK_SL_SM_E_clISF_PS5_SG_SG_EESJ_SZ_SK_SL_SM_EUlSZ_E_NS1_11comp_targetILNS1_3genE10ELNS1_11target_archE1201ELNS1_3gpuE5ELNS1_3repE0EEENS1_48merge_mergepath_partition_config_static_selectorELNS0_4arch9wavefront6targetE1EEEvSL_
	.globl	_ZN7rocprim17ROCPRIM_400000_NS6detail17trampoline_kernelINS0_14default_configENS1_38merge_sort_block_merge_config_selectorI14custom_numericNS0_10empty_typeEEEZZNS1_27merge_sort_block_merge_implIS3_N6thrust23THRUST_200600_302600_NS6detail15normal_iteratorINSA_10device_ptrIS5_EEEEPS6_mNSA_4lessIS5_EEEE10hipError_tT0_T1_T2_jT3_P12ihipStream_tbPNSt15iterator_traitsISK_E10value_typeEPNSQ_ISL_E10value_typeEPSM_NS1_7vsmem_tEENKUlT_SK_SL_SM_E_clISF_PS5_SG_SG_EESJ_SZ_SK_SL_SM_EUlSZ_E_NS1_11comp_targetILNS1_3genE10ELNS1_11target_archE1201ELNS1_3gpuE5ELNS1_3repE0EEENS1_48merge_mergepath_partition_config_static_selectorELNS0_4arch9wavefront6targetE1EEEvSL_
	.p2align	8
	.type	_ZN7rocprim17ROCPRIM_400000_NS6detail17trampoline_kernelINS0_14default_configENS1_38merge_sort_block_merge_config_selectorI14custom_numericNS0_10empty_typeEEEZZNS1_27merge_sort_block_merge_implIS3_N6thrust23THRUST_200600_302600_NS6detail15normal_iteratorINSA_10device_ptrIS5_EEEEPS6_mNSA_4lessIS5_EEEE10hipError_tT0_T1_T2_jT3_P12ihipStream_tbPNSt15iterator_traitsISK_E10value_typeEPNSQ_ISL_E10value_typeEPSM_NS1_7vsmem_tEENKUlT_SK_SL_SM_E_clISF_PS5_SG_SG_EESJ_SZ_SK_SL_SM_EUlSZ_E_NS1_11comp_targetILNS1_3genE10ELNS1_11target_archE1201ELNS1_3gpuE5ELNS1_3repE0EEENS1_48merge_mergepath_partition_config_static_selectorELNS0_4arch9wavefront6targetE1EEEvSL_,@function
_ZN7rocprim17ROCPRIM_400000_NS6detail17trampoline_kernelINS0_14default_configENS1_38merge_sort_block_merge_config_selectorI14custom_numericNS0_10empty_typeEEEZZNS1_27merge_sort_block_merge_implIS3_N6thrust23THRUST_200600_302600_NS6detail15normal_iteratorINSA_10device_ptrIS5_EEEEPS6_mNSA_4lessIS5_EEEE10hipError_tT0_T1_T2_jT3_P12ihipStream_tbPNSt15iterator_traitsISK_E10value_typeEPNSQ_ISL_E10value_typeEPSM_NS1_7vsmem_tEENKUlT_SK_SL_SM_E_clISF_PS5_SG_SG_EESJ_SZ_SK_SL_SM_EUlSZ_E_NS1_11comp_targetILNS1_3genE10ELNS1_11target_archE1201ELNS1_3gpuE5ELNS1_3repE0EEENS1_48merge_mergepath_partition_config_static_selectorELNS0_4arch9wavefront6targetE1EEEvSL_: ; @_ZN7rocprim17ROCPRIM_400000_NS6detail17trampoline_kernelINS0_14default_configENS1_38merge_sort_block_merge_config_selectorI14custom_numericNS0_10empty_typeEEEZZNS1_27merge_sort_block_merge_implIS3_N6thrust23THRUST_200600_302600_NS6detail15normal_iteratorINSA_10device_ptrIS5_EEEEPS6_mNSA_4lessIS5_EEEE10hipError_tT0_T1_T2_jT3_P12ihipStream_tbPNSt15iterator_traitsISK_E10value_typeEPNSQ_ISL_E10value_typeEPSM_NS1_7vsmem_tEENKUlT_SK_SL_SM_E_clISF_PS5_SG_SG_EESJ_SZ_SK_SL_SM_EUlSZ_E_NS1_11comp_targetILNS1_3genE10ELNS1_11target_archE1201ELNS1_3gpuE5ELNS1_3repE0EEENS1_48merge_mergepath_partition_config_static_selectorELNS0_4arch9wavefront6targetE1EEEvSL_
; %bb.0:
	.section	.rodata,"a",@progbits
	.p2align	6, 0x0
	.amdhsa_kernel _ZN7rocprim17ROCPRIM_400000_NS6detail17trampoline_kernelINS0_14default_configENS1_38merge_sort_block_merge_config_selectorI14custom_numericNS0_10empty_typeEEEZZNS1_27merge_sort_block_merge_implIS3_N6thrust23THRUST_200600_302600_NS6detail15normal_iteratorINSA_10device_ptrIS5_EEEEPS6_mNSA_4lessIS5_EEEE10hipError_tT0_T1_T2_jT3_P12ihipStream_tbPNSt15iterator_traitsISK_E10value_typeEPNSQ_ISL_E10value_typeEPSM_NS1_7vsmem_tEENKUlT_SK_SL_SM_E_clISF_PS5_SG_SG_EESJ_SZ_SK_SL_SM_EUlSZ_E_NS1_11comp_targetILNS1_3genE10ELNS1_11target_archE1201ELNS1_3gpuE5ELNS1_3repE0EEENS1_48merge_mergepath_partition_config_static_selectorELNS0_4arch9wavefront6targetE1EEEvSL_
		.amdhsa_group_segment_fixed_size 0
		.amdhsa_private_segment_fixed_size 0
		.amdhsa_kernarg_size 48
		.amdhsa_user_sgpr_count 6
		.amdhsa_user_sgpr_private_segment_buffer 1
		.amdhsa_user_sgpr_dispatch_ptr 0
		.amdhsa_user_sgpr_queue_ptr 0
		.amdhsa_user_sgpr_kernarg_segment_ptr 1
		.amdhsa_user_sgpr_dispatch_id 0
		.amdhsa_user_sgpr_flat_scratch_init 0
		.amdhsa_user_sgpr_kernarg_preload_length 0
		.amdhsa_user_sgpr_kernarg_preload_offset 0
		.amdhsa_user_sgpr_private_segment_size 0
		.amdhsa_uses_dynamic_stack 0
		.amdhsa_system_sgpr_private_segment_wavefront_offset 0
		.amdhsa_system_sgpr_workgroup_id_x 1
		.amdhsa_system_sgpr_workgroup_id_y 0
		.amdhsa_system_sgpr_workgroup_id_z 0
		.amdhsa_system_sgpr_workgroup_info 0
		.amdhsa_system_vgpr_workitem_id 0
		.amdhsa_next_free_vgpr 1
		.amdhsa_next_free_sgpr 0
		.amdhsa_accum_offset 4
		.amdhsa_reserve_vcc 0
		.amdhsa_reserve_flat_scratch 0
		.amdhsa_float_round_mode_32 0
		.amdhsa_float_round_mode_16_64 0
		.amdhsa_float_denorm_mode_32 3
		.amdhsa_float_denorm_mode_16_64 3
		.amdhsa_dx10_clamp 1
		.amdhsa_ieee_mode 1
		.amdhsa_fp16_overflow 0
		.amdhsa_tg_split 0
		.amdhsa_exception_fp_ieee_invalid_op 0
		.amdhsa_exception_fp_denorm_src 0
		.amdhsa_exception_fp_ieee_div_zero 0
		.amdhsa_exception_fp_ieee_overflow 0
		.amdhsa_exception_fp_ieee_underflow 0
		.amdhsa_exception_fp_ieee_inexact 0
		.amdhsa_exception_int_div_zero 0
	.end_amdhsa_kernel
	.section	.text._ZN7rocprim17ROCPRIM_400000_NS6detail17trampoline_kernelINS0_14default_configENS1_38merge_sort_block_merge_config_selectorI14custom_numericNS0_10empty_typeEEEZZNS1_27merge_sort_block_merge_implIS3_N6thrust23THRUST_200600_302600_NS6detail15normal_iteratorINSA_10device_ptrIS5_EEEEPS6_mNSA_4lessIS5_EEEE10hipError_tT0_T1_T2_jT3_P12ihipStream_tbPNSt15iterator_traitsISK_E10value_typeEPNSQ_ISL_E10value_typeEPSM_NS1_7vsmem_tEENKUlT_SK_SL_SM_E_clISF_PS5_SG_SG_EESJ_SZ_SK_SL_SM_EUlSZ_E_NS1_11comp_targetILNS1_3genE10ELNS1_11target_archE1201ELNS1_3gpuE5ELNS1_3repE0EEENS1_48merge_mergepath_partition_config_static_selectorELNS0_4arch9wavefront6targetE1EEEvSL_,"axG",@progbits,_ZN7rocprim17ROCPRIM_400000_NS6detail17trampoline_kernelINS0_14default_configENS1_38merge_sort_block_merge_config_selectorI14custom_numericNS0_10empty_typeEEEZZNS1_27merge_sort_block_merge_implIS3_N6thrust23THRUST_200600_302600_NS6detail15normal_iteratorINSA_10device_ptrIS5_EEEEPS6_mNSA_4lessIS5_EEEE10hipError_tT0_T1_T2_jT3_P12ihipStream_tbPNSt15iterator_traitsISK_E10value_typeEPNSQ_ISL_E10value_typeEPSM_NS1_7vsmem_tEENKUlT_SK_SL_SM_E_clISF_PS5_SG_SG_EESJ_SZ_SK_SL_SM_EUlSZ_E_NS1_11comp_targetILNS1_3genE10ELNS1_11target_archE1201ELNS1_3gpuE5ELNS1_3repE0EEENS1_48merge_mergepath_partition_config_static_selectorELNS0_4arch9wavefront6targetE1EEEvSL_,comdat
.Lfunc_end1440:
	.size	_ZN7rocprim17ROCPRIM_400000_NS6detail17trampoline_kernelINS0_14default_configENS1_38merge_sort_block_merge_config_selectorI14custom_numericNS0_10empty_typeEEEZZNS1_27merge_sort_block_merge_implIS3_N6thrust23THRUST_200600_302600_NS6detail15normal_iteratorINSA_10device_ptrIS5_EEEEPS6_mNSA_4lessIS5_EEEE10hipError_tT0_T1_T2_jT3_P12ihipStream_tbPNSt15iterator_traitsISK_E10value_typeEPNSQ_ISL_E10value_typeEPSM_NS1_7vsmem_tEENKUlT_SK_SL_SM_E_clISF_PS5_SG_SG_EESJ_SZ_SK_SL_SM_EUlSZ_E_NS1_11comp_targetILNS1_3genE10ELNS1_11target_archE1201ELNS1_3gpuE5ELNS1_3repE0EEENS1_48merge_mergepath_partition_config_static_selectorELNS0_4arch9wavefront6targetE1EEEvSL_, .Lfunc_end1440-_ZN7rocprim17ROCPRIM_400000_NS6detail17trampoline_kernelINS0_14default_configENS1_38merge_sort_block_merge_config_selectorI14custom_numericNS0_10empty_typeEEEZZNS1_27merge_sort_block_merge_implIS3_N6thrust23THRUST_200600_302600_NS6detail15normal_iteratorINSA_10device_ptrIS5_EEEEPS6_mNSA_4lessIS5_EEEE10hipError_tT0_T1_T2_jT3_P12ihipStream_tbPNSt15iterator_traitsISK_E10value_typeEPNSQ_ISL_E10value_typeEPSM_NS1_7vsmem_tEENKUlT_SK_SL_SM_E_clISF_PS5_SG_SG_EESJ_SZ_SK_SL_SM_EUlSZ_E_NS1_11comp_targetILNS1_3genE10ELNS1_11target_archE1201ELNS1_3gpuE5ELNS1_3repE0EEENS1_48merge_mergepath_partition_config_static_selectorELNS0_4arch9wavefront6targetE1EEEvSL_
                                        ; -- End function
	.section	.AMDGPU.csdata,"",@progbits
; Kernel info:
; codeLenInByte = 0
; NumSgprs: 4
; NumVgprs: 0
; NumAgprs: 0
; TotalNumVgprs: 0
; ScratchSize: 0
; MemoryBound: 0
; FloatMode: 240
; IeeeMode: 1
; LDSByteSize: 0 bytes/workgroup (compile time only)
; SGPRBlocks: 0
; VGPRBlocks: 0
; NumSGPRsForWavesPerEU: 4
; NumVGPRsForWavesPerEU: 1
; AccumOffset: 4
; Occupancy: 8
; WaveLimiterHint : 0
; COMPUTE_PGM_RSRC2:SCRATCH_EN: 0
; COMPUTE_PGM_RSRC2:USER_SGPR: 6
; COMPUTE_PGM_RSRC2:TRAP_HANDLER: 0
; COMPUTE_PGM_RSRC2:TGID_X_EN: 1
; COMPUTE_PGM_RSRC2:TGID_Y_EN: 0
; COMPUTE_PGM_RSRC2:TGID_Z_EN: 0
; COMPUTE_PGM_RSRC2:TIDIG_COMP_CNT: 0
; COMPUTE_PGM_RSRC3_GFX90A:ACCUM_OFFSET: 0
; COMPUTE_PGM_RSRC3_GFX90A:TG_SPLIT: 0
	.section	.text._ZN7rocprim17ROCPRIM_400000_NS6detail17trampoline_kernelINS0_14default_configENS1_38merge_sort_block_merge_config_selectorI14custom_numericNS0_10empty_typeEEEZZNS1_27merge_sort_block_merge_implIS3_N6thrust23THRUST_200600_302600_NS6detail15normal_iteratorINSA_10device_ptrIS5_EEEEPS6_mNSA_4lessIS5_EEEE10hipError_tT0_T1_T2_jT3_P12ihipStream_tbPNSt15iterator_traitsISK_E10value_typeEPNSQ_ISL_E10value_typeEPSM_NS1_7vsmem_tEENKUlT_SK_SL_SM_E_clISF_PS5_SG_SG_EESJ_SZ_SK_SL_SM_EUlSZ_E_NS1_11comp_targetILNS1_3genE5ELNS1_11target_archE942ELNS1_3gpuE9ELNS1_3repE0EEENS1_48merge_mergepath_partition_config_static_selectorELNS0_4arch9wavefront6targetE1EEEvSL_,"axG",@progbits,_ZN7rocprim17ROCPRIM_400000_NS6detail17trampoline_kernelINS0_14default_configENS1_38merge_sort_block_merge_config_selectorI14custom_numericNS0_10empty_typeEEEZZNS1_27merge_sort_block_merge_implIS3_N6thrust23THRUST_200600_302600_NS6detail15normal_iteratorINSA_10device_ptrIS5_EEEEPS6_mNSA_4lessIS5_EEEE10hipError_tT0_T1_T2_jT3_P12ihipStream_tbPNSt15iterator_traitsISK_E10value_typeEPNSQ_ISL_E10value_typeEPSM_NS1_7vsmem_tEENKUlT_SK_SL_SM_E_clISF_PS5_SG_SG_EESJ_SZ_SK_SL_SM_EUlSZ_E_NS1_11comp_targetILNS1_3genE5ELNS1_11target_archE942ELNS1_3gpuE9ELNS1_3repE0EEENS1_48merge_mergepath_partition_config_static_selectorELNS0_4arch9wavefront6targetE1EEEvSL_,comdat
	.protected	_ZN7rocprim17ROCPRIM_400000_NS6detail17trampoline_kernelINS0_14default_configENS1_38merge_sort_block_merge_config_selectorI14custom_numericNS0_10empty_typeEEEZZNS1_27merge_sort_block_merge_implIS3_N6thrust23THRUST_200600_302600_NS6detail15normal_iteratorINSA_10device_ptrIS5_EEEEPS6_mNSA_4lessIS5_EEEE10hipError_tT0_T1_T2_jT3_P12ihipStream_tbPNSt15iterator_traitsISK_E10value_typeEPNSQ_ISL_E10value_typeEPSM_NS1_7vsmem_tEENKUlT_SK_SL_SM_E_clISF_PS5_SG_SG_EESJ_SZ_SK_SL_SM_EUlSZ_E_NS1_11comp_targetILNS1_3genE5ELNS1_11target_archE942ELNS1_3gpuE9ELNS1_3repE0EEENS1_48merge_mergepath_partition_config_static_selectorELNS0_4arch9wavefront6targetE1EEEvSL_ ; -- Begin function _ZN7rocprim17ROCPRIM_400000_NS6detail17trampoline_kernelINS0_14default_configENS1_38merge_sort_block_merge_config_selectorI14custom_numericNS0_10empty_typeEEEZZNS1_27merge_sort_block_merge_implIS3_N6thrust23THRUST_200600_302600_NS6detail15normal_iteratorINSA_10device_ptrIS5_EEEEPS6_mNSA_4lessIS5_EEEE10hipError_tT0_T1_T2_jT3_P12ihipStream_tbPNSt15iterator_traitsISK_E10value_typeEPNSQ_ISL_E10value_typeEPSM_NS1_7vsmem_tEENKUlT_SK_SL_SM_E_clISF_PS5_SG_SG_EESJ_SZ_SK_SL_SM_EUlSZ_E_NS1_11comp_targetILNS1_3genE5ELNS1_11target_archE942ELNS1_3gpuE9ELNS1_3repE0EEENS1_48merge_mergepath_partition_config_static_selectorELNS0_4arch9wavefront6targetE1EEEvSL_
	.globl	_ZN7rocprim17ROCPRIM_400000_NS6detail17trampoline_kernelINS0_14default_configENS1_38merge_sort_block_merge_config_selectorI14custom_numericNS0_10empty_typeEEEZZNS1_27merge_sort_block_merge_implIS3_N6thrust23THRUST_200600_302600_NS6detail15normal_iteratorINSA_10device_ptrIS5_EEEEPS6_mNSA_4lessIS5_EEEE10hipError_tT0_T1_T2_jT3_P12ihipStream_tbPNSt15iterator_traitsISK_E10value_typeEPNSQ_ISL_E10value_typeEPSM_NS1_7vsmem_tEENKUlT_SK_SL_SM_E_clISF_PS5_SG_SG_EESJ_SZ_SK_SL_SM_EUlSZ_E_NS1_11comp_targetILNS1_3genE5ELNS1_11target_archE942ELNS1_3gpuE9ELNS1_3repE0EEENS1_48merge_mergepath_partition_config_static_selectorELNS0_4arch9wavefront6targetE1EEEvSL_
	.p2align	8
	.type	_ZN7rocprim17ROCPRIM_400000_NS6detail17trampoline_kernelINS0_14default_configENS1_38merge_sort_block_merge_config_selectorI14custom_numericNS0_10empty_typeEEEZZNS1_27merge_sort_block_merge_implIS3_N6thrust23THRUST_200600_302600_NS6detail15normal_iteratorINSA_10device_ptrIS5_EEEEPS6_mNSA_4lessIS5_EEEE10hipError_tT0_T1_T2_jT3_P12ihipStream_tbPNSt15iterator_traitsISK_E10value_typeEPNSQ_ISL_E10value_typeEPSM_NS1_7vsmem_tEENKUlT_SK_SL_SM_E_clISF_PS5_SG_SG_EESJ_SZ_SK_SL_SM_EUlSZ_E_NS1_11comp_targetILNS1_3genE5ELNS1_11target_archE942ELNS1_3gpuE9ELNS1_3repE0EEENS1_48merge_mergepath_partition_config_static_selectorELNS0_4arch9wavefront6targetE1EEEvSL_,@function
_ZN7rocprim17ROCPRIM_400000_NS6detail17trampoline_kernelINS0_14default_configENS1_38merge_sort_block_merge_config_selectorI14custom_numericNS0_10empty_typeEEEZZNS1_27merge_sort_block_merge_implIS3_N6thrust23THRUST_200600_302600_NS6detail15normal_iteratorINSA_10device_ptrIS5_EEEEPS6_mNSA_4lessIS5_EEEE10hipError_tT0_T1_T2_jT3_P12ihipStream_tbPNSt15iterator_traitsISK_E10value_typeEPNSQ_ISL_E10value_typeEPSM_NS1_7vsmem_tEENKUlT_SK_SL_SM_E_clISF_PS5_SG_SG_EESJ_SZ_SK_SL_SM_EUlSZ_E_NS1_11comp_targetILNS1_3genE5ELNS1_11target_archE942ELNS1_3gpuE9ELNS1_3repE0EEENS1_48merge_mergepath_partition_config_static_selectorELNS0_4arch9wavefront6targetE1EEEvSL_: ; @_ZN7rocprim17ROCPRIM_400000_NS6detail17trampoline_kernelINS0_14default_configENS1_38merge_sort_block_merge_config_selectorI14custom_numericNS0_10empty_typeEEEZZNS1_27merge_sort_block_merge_implIS3_N6thrust23THRUST_200600_302600_NS6detail15normal_iteratorINSA_10device_ptrIS5_EEEEPS6_mNSA_4lessIS5_EEEE10hipError_tT0_T1_T2_jT3_P12ihipStream_tbPNSt15iterator_traitsISK_E10value_typeEPNSQ_ISL_E10value_typeEPSM_NS1_7vsmem_tEENKUlT_SK_SL_SM_E_clISF_PS5_SG_SG_EESJ_SZ_SK_SL_SM_EUlSZ_E_NS1_11comp_targetILNS1_3genE5ELNS1_11target_archE942ELNS1_3gpuE9ELNS1_3repE0EEENS1_48merge_mergepath_partition_config_static_selectorELNS0_4arch9wavefront6targetE1EEEvSL_
; %bb.0:
	.section	.rodata,"a",@progbits
	.p2align	6, 0x0
	.amdhsa_kernel _ZN7rocprim17ROCPRIM_400000_NS6detail17trampoline_kernelINS0_14default_configENS1_38merge_sort_block_merge_config_selectorI14custom_numericNS0_10empty_typeEEEZZNS1_27merge_sort_block_merge_implIS3_N6thrust23THRUST_200600_302600_NS6detail15normal_iteratorINSA_10device_ptrIS5_EEEEPS6_mNSA_4lessIS5_EEEE10hipError_tT0_T1_T2_jT3_P12ihipStream_tbPNSt15iterator_traitsISK_E10value_typeEPNSQ_ISL_E10value_typeEPSM_NS1_7vsmem_tEENKUlT_SK_SL_SM_E_clISF_PS5_SG_SG_EESJ_SZ_SK_SL_SM_EUlSZ_E_NS1_11comp_targetILNS1_3genE5ELNS1_11target_archE942ELNS1_3gpuE9ELNS1_3repE0EEENS1_48merge_mergepath_partition_config_static_selectorELNS0_4arch9wavefront6targetE1EEEvSL_
		.amdhsa_group_segment_fixed_size 0
		.amdhsa_private_segment_fixed_size 0
		.amdhsa_kernarg_size 48
		.amdhsa_user_sgpr_count 6
		.amdhsa_user_sgpr_private_segment_buffer 1
		.amdhsa_user_sgpr_dispatch_ptr 0
		.amdhsa_user_sgpr_queue_ptr 0
		.amdhsa_user_sgpr_kernarg_segment_ptr 1
		.amdhsa_user_sgpr_dispatch_id 0
		.amdhsa_user_sgpr_flat_scratch_init 0
		.amdhsa_user_sgpr_kernarg_preload_length 0
		.amdhsa_user_sgpr_kernarg_preload_offset 0
		.amdhsa_user_sgpr_private_segment_size 0
		.amdhsa_uses_dynamic_stack 0
		.amdhsa_system_sgpr_private_segment_wavefront_offset 0
		.amdhsa_system_sgpr_workgroup_id_x 1
		.amdhsa_system_sgpr_workgroup_id_y 0
		.amdhsa_system_sgpr_workgroup_id_z 0
		.amdhsa_system_sgpr_workgroup_info 0
		.amdhsa_system_vgpr_workitem_id 0
		.amdhsa_next_free_vgpr 1
		.amdhsa_next_free_sgpr 0
		.amdhsa_accum_offset 4
		.amdhsa_reserve_vcc 0
		.amdhsa_reserve_flat_scratch 0
		.amdhsa_float_round_mode_32 0
		.amdhsa_float_round_mode_16_64 0
		.amdhsa_float_denorm_mode_32 3
		.amdhsa_float_denorm_mode_16_64 3
		.amdhsa_dx10_clamp 1
		.amdhsa_ieee_mode 1
		.amdhsa_fp16_overflow 0
		.amdhsa_tg_split 0
		.amdhsa_exception_fp_ieee_invalid_op 0
		.amdhsa_exception_fp_denorm_src 0
		.amdhsa_exception_fp_ieee_div_zero 0
		.amdhsa_exception_fp_ieee_overflow 0
		.amdhsa_exception_fp_ieee_underflow 0
		.amdhsa_exception_fp_ieee_inexact 0
		.amdhsa_exception_int_div_zero 0
	.end_amdhsa_kernel
	.section	.text._ZN7rocprim17ROCPRIM_400000_NS6detail17trampoline_kernelINS0_14default_configENS1_38merge_sort_block_merge_config_selectorI14custom_numericNS0_10empty_typeEEEZZNS1_27merge_sort_block_merge_implIS3_N6thrust23THRUST_200600_302600_NS6detail15normal_iteratorINSA_10device_ptrIS5_EEEEPS6_mNSA_4lessIS5_EEEE10hipError_tT0_T1_T2_jT3_P12ihipStream_tbPNSt15iterator_traitsISK_E10value_typeEPNSQ_ISL_E10value_typeEPSM_NS1_7vsmem_tEENKUlT_SK_SL_SM_E_clISF_PS5_SG_SG_EESJ_SZ_SK_SL_SM_EUlSZ_E_NS1_11comp_targetILNS1_3genE5ELNS1_11target_archE942ELNS1_3gpuE9ELNS1_3repE0EEENS1_48merge_mergepath_partition_config_static_selectorELNS0_4arch9wavefront6targetE1EEEvSL_,"axG",@progbits,_ZN7rocprim17ROCPRIM_400000_NS6detail17trampoline_kernelINS0_14default_configENS1_38merge_sort_block_merge_config_selectorI14custom_numericNS0_10empty_typeEEEZZNS1_27merge_sort_block_merge_implIS3_N6thrust23THRUST_200600_302600_NS6detail15normal_iteratorINSA_10device_ptrIS5_EEEEPS6_mNSA_4lessIS5_EEEE10hipError_tT0_T1_T2_jT3_P12ihipStream_tbPNSt15iterator_traitsISK_E10value_typeEPNSQ_ISL_E10value_typeEPSM_NS1_7vsmem_tEENKUlT_SK_SL_SM_E_clISF_PS5_SG_SG_EESJ_SZ_SK_SL_SM_EUlSZ_E_NS1_11comp_targetILNS1_3genE5ELNS1_11target_archE942ELNS1_3gpuE9ELNS1_3repE0EEENS1_48merge_mergepath_partition_config_static_selectorELNS0_4arch9wavefront6targetE1EEEvSL_,comdat
.Lfunc_end1441:
	.size	_ZN7rocprim17ROCPRIM_400000_NS6detail17trampoline_kernelINS0_14default_configENS1_38merge_sort_block_merge_config_selectorI14custom_numericNS0_10empty_typeEEEZZNS1_27merge_sort_block_merge_implIS3_N6thrust23THRUST_200600_302600_NS6detail15normal_iteratorINSA_10device_ptrIS5_EEEEPS6_mNSA_4lessIS5_EEEE10hipError_tT0_T1_T2_jT3_P12ihipStream_tbPNSt15iterator_traitsISK_E10value_typeEPNSQ_ISL_E10value_typeEPSM_NS1_7vsmem_tEENKUlT_SK_SL_SM_E_clISF_PS5_SG_SG_EESJ_SZ_SK_SL_SM_EUlSZ_E_NS1_11comp_targetILNS1_3genE5ELNS1_11target_archE942ELNS1_3gpuE9ELNS1_3repE0EEENS1_48merge_mergepath_partition_config_static_selectorELNS0_4arch9wavefront6targetE1EEEvSL_, .Lfunc_end1441-_ZN7rocprim17ROCPRIM_400000_NS6detail17trampoline_kernelINS0_14default_configENS1_38merge_sort_block_merge_config_selectorI14custom_numericNS0_10empty_typeEEEZZNS1_27merge_sort_block_merge_implIS3_N6thrust23THRUST_200600_302600_NS6detail15normal_iteratorINSA_10device_ptrIS5_EEEEPS6_mNSA_4lessIS5_EEEE10hipError_tT0_T1_T2_jT3_P12ihipStream_tbPNSt15iterator_traitsISK_E10value_typeEPNSQ_ISL_E10value_typeEPSM_NS1_7vsmem_tEENKUlT_SK_SL_SM_E_clISF_PS5_SG_SG_EESJ_SZ_SK_SL_SM_EUlSZ_E_NS1_11comp_targetILNS1_3genE5ELNS1_11target_archE942ELNS1_3gpuE9ELNS1_3repE0EEENS1_48merge_mergepath_partition_config_static_selectorELNS0_4arch9wavefront6targetE1EEEvSL_
                                        ; -- End function
	.section	.AMDGPU.csdata,"",@progbits
; Kernel info:
; codeLenInByte = 0
; NumSgprs: 4
; NumVgprs: 0
; NumAgprs: 0
; TotalNumVgprs: 0
; ScratchSize: 0
; MemoryBound: 0
; FloatMode: 240
; IeeeMode: 1
; LDSByteSize: 0 bytes/workgroup (compile time only)
; SGPRBlocks: 0
; VGPRBlocks: 0
; NumSGPRsForWavesPerEU: 4
; NumVGPRsForWavesPerEU: 1
; AccumOffset: 4
; Occupancy: 8
; WaveLimiterHint : 0
; COMPUTE_PGM_RSRC2:SCRATCH_EN: 0
; COMPUTE_PGM_RSRC2:USER_SGPR: 6
; COMPUTE_PGM_RSRC2:TRAP_HANDLER: 0
; COMPUTE_PGM_RSRC2:TGID_X_EN: 1
; COMPUTE_PGM_RSRC2:TGID_Y_EN: 0
; COMPUTE_PGM_RSRC2:TGID_Z_EN: 0
; COMPUTE_PGM_RSRC2:TIDIG_COMP_CNT: 0
; COMPUTE_PGM_RSRC3_GFX90A:ACCUM_OFFSET: 0
; COMPUTE_PGM_RSRC3_GFX90A:TG_SPLIT: 0
	.section	.text._ZN7rocprim17ROCPRIM_400000_NS6detail17trampoline_kernelINS0_14default_configENS1_38merge_sort_block_merge_config_selectorI14custom_numericNS0_10empty_typeEEEZZNS1_27merge_sort_block_merge_implIS3_N6thrust23THRUST_200600_302600_NS6detail15normal_iteratorINSA_10device_ptrIS5_EEEEPS6_mNSA_4lessIS5_EEEE10hipError_tT0_T1_T2_jT3_P12ihipStream_tbPNSt15iterator_traitsISK_E10value_typeEPNSQ_ISL_E10value_typeEPSM_NS1_7vsmem_tEENKUlT_SK_SL_SM_E_clISF_PS5_SG_SG_EESJ_SZ_SK_SL_SM_EUlSZ_E_NS1_11comp_targetILNS1_3genE4ELNS1_11target_archE910ELNS1_3gpuE8ELNS1_3repE0EEENS1_48merge_mergepath_partition_config_static_selectorELNS0_4arch9wavefront6targetE1EEEvSL_,"axG",@progbits,_ZN7rocprim17ROCPRIM_400000_NS6detail17trampoline_kernelINS0_14default_configENS1_38merge_sort_block_merge_config_selectorI14custom_numericNS0_10empty_typeEEEZZNS1_27merge_sort_block_merge_implIS3_N6thrust23THRUST_200600_302600_NS6detail15normal_iteratorINSA_10device_ptrIS5_EEEEPS6_mNSA_4lessIS5_EEEE10hipError_tT0_T1_T2_jT3_P12ihipStream_tbPNSt15iterator_traitsISK_E10value_typeEPNSQ_ISL_E10value_typeEPSM_NS1_7vsmem_tEENKUlT_SK_SL_SM_E_clISF_PS5_SG_SG_EESJ_SZ_SK_SL_SM_EUlSZ_E_NS1_11comp_targetILNS1_3genE4ELNS1_11target_archE910ELNS1_3gpuE8ELNS1_3repE0EEENS1_48merge_mergepath_partition_config_static_selectorELNS0_4arch9wavefront6targetE1EEEvSL_,comdat
	.protected	_ZN7rocprim17ROCPRIM_400000_NS6detail17trampoline_kernelINS0_14default_configENS1_38merge_sort_block_merge_config_selectorI14custom_numericNS0_10empty_typeEEEZZNS1_27merge_sort_block_merge_implIS3_N6thrust23THRUST_200600_302600_NS6detail15normal_iteratorINSA_10device_ptrIS5_EEEEPS6_mNSA_4lessIS5_EEEE10hipError_tT0_T1_T2_jT3_P12ihipStream_tbPNSt15iterator_traitsISK_E10value_typeEPNSQ_ISL_E10value_typeEPSM_NS1_7vsmem_tEENKUlT_SK_SL_SM_E_clISF_PS5_SG_SG_EESJ_SZ_SK_SL_SM_EUlSZ_E_NS1_11comp_targetILNS1_3genE4ELNS1_11target_archE910ELNS1_3gpuE8ELNS1_3repE0EEENS1_48merge_mergepath_partition_config_static_selectorELNS0_4arch9wavefront6targetE1EEEvSL_ ; -- Begin function _ZN7rocprim17ROCPRIM_400000_NS6detail17trampoline_kernelINS0_14default_configENS1_38merge_sort_block_merge_config_selectorI14custom_numericNS0_10empty_typeEEEZZNS1_27merge_sort_block_merge_implIS3_N6thrust23THRUST_200600_302600_NS6detail15normal_iteratorINSA_10device_ptrIS5_EEEEPS6_mNSA_4lessIS5_EEEE10hipError_tT0_T1_T2_jT3_P12ihipStream_tbPNSt15iterator_traitsISK_E10value_typeEPNSQ_ISL_E10value_typeEPSM_NS1_7vsmem_tEENKUlT_SK_SL_SM_E_clISF_PS5_SG_SG_EESJ_SZ_SK_SL_SM_EUlSZ_E_NS1_11comp_targetILNS1_3genE4ELNS1_11target_archE910ELNS1_3gpuE8ELNS1_3repE0EEENS1_48merge_mergepath_partition_config_static_selectorELNS0_4arch9wavefront6targetE1EEEvSL_
	.globl	_ZN7rocprim17ROCPRIM_400000_NS6detail17trampoline_kernelINS0_14default_configENS1_38merge_sort_block_merge_config_selectorI14custom_numericNS0_10empty_typeEEEZZNS1_27merge_sort_block_merge_implIS3_N6thrust23THRUST_200600_302600_NS6detail15normal_iteratorINSA_10device_ptrIS5_EEEEPS6_mNSA_4lessIS5_EEEE10hipError_tT0_T1_T2_jT3_P12ihipStream_tbPNSt15iterator_traitsISK_E10value_typeEPNSQ_ISL_E10value_typeEPSM_NS1_7vsmem_tEENKUlT_SK_SL_SM_E_clISF_PS5_SG_SG_EESJ_SZ_SK_SL_SM_EUlSZ_E_NS1_11comp_targetILNS1_3genE4ELNS1_11target_archE910ELNS1_3gpuE8ELNS1_3repE0EEENS1_48merge_mergepath_partition_config_static_selectorELNS0_4arch9wavefront6targetE1EEEvSL_
	.p2align	8
	.type	_ZN7rocprim17ROCPRIM_400000_NS6detail17trampoline_kernelINS0_14default_configENS1_38merge_sort_block_merge_config_selectorI14custom_numericNS0_10empty_typeEEEZZNS1_27merge_sort_block_merge_implIS3_N6thrust23THRUST_200600_302600_NS6detail15normal_iteratorINSA_10device_ptrIS5_EEEEPS6_mNSA_4lessIS5_EEEE10hipError_tT0_T1_T2_jT3_P12ihipStream_tbPNSt15iterator_traitsISK_E10value_typeEPNSQ_ISL_E10value_typeEPSM_NS1_7vsmem_tEENKUlT_SK_SL_SM_E_clISF_PS5_SG_SG_EESJ_SZ_SK_SL_SM_EUlSZ_E_NS1_11comp_targetILNS1_3genE4ELNS1_11target_archE910ELNS1_3gpuE8ELNS1_3repE0EEENS1_48merge_mergepath_partition_config_static_selectorELNS0_4arch9wavefront6targetE1EEEvSL_,@function
_ZN7rocprim17ROCPRIM_400000_NS6detail17trampoline_kernelINS0_14default_configENS1_38merge_sort_block_merge_config_selectorI14custom_numericNS0_10empty_typeEEEZZNS1_27merge_sort_block_merge_implIS3_N6thrust23THRUST_200600_302600_NS6detail15normal_iteratorINSA_10device_ptrIS5_EEEEPS6_mNSA_4lessIS5_EEEE10hipError_tT0_T1_T2_jT3_P12ihipStream_tbPNSt15iterator_traitsISK_E10value_typeEPNSQ_ISL_E10value_typeEPSM_NS1_7vsmem_tEENKUlT_SK_SL_SM_E_clISF_PS5_SG_SG_EESJ_SZ_SK_SL_SM_EUlSZ_E_NS1_11comp_targetILNS1_3genE4ELNS1_11target_archE910ELNS1_3gpuE8ELNS1_3repE0EEENS1_48merge_mergepath_partition_config_static_selectorELNS0_4arch9wavefront6targetE1EEEvSL_: ; @_ZN7rocprim17ROCPRIM_400000_NS6detail17trampoline_kernelINS0_14default_configENS1_38merge_sort_block_merge_config_selectorI14custom_numericNS0_10empty_typeEEEZZNS1_27merge_sort_block_merge_implIS3_N6thrust23THRUST_200600_302600_NS6detail15normal_iteratorINSA_10device_ptrIS5_EEEEPS6_mNSA_4lessIS5_EEEE10hipError_tT0_T1_T2_jT3_P12ihipStream_tbPNSt15iterator_traitsISK_E10value_typeEPNSQ_ISL_E10value_typeEPSM_NS1_7vsmem_tEENKUlT_SK_SL_SM_E_clISF_PS5_SG_SG_EESJ_SZ_SK_SL_SM_EUlSZ_E_NS1_11comp_targetILNS1_3genE4ELNS1_11target_archE910ELNS1_3gpuE8ELNS1_3repE0EEENS1_48merge_mergepath_partition_config_static_selectorELNS0_4arch9wavefront6targetE1EEEvSL_
; %bb.0:
	s_load_dword s0, s[4:5], 0x0
	v_lshl_or_b32 v0, s6, 7, v0
	s_waitcnt lgkmcnt(0)
	v_cmp_gt_u32_e32 vcc, s0, v0
	s_and_saveexec_b64 s[0:1], vcc
	s_cbranch_execz .LBB1442_6
; %bb.1:
	s_load_dwordx4 s[0:3], s[4:5], 0x8
	s_load_dwordx2 s[6:7], s[4:5], 0x28
	v_mov_b32_e32 v5, 0
	s_waitcnt lgkmcnt(0)
	v_mov_b32_e32 v1, s0
	v_alignbit_b32 v1, s1, v1, 8
	v_and_b32_e32 v1, -2, v1
	v_add_u32_e32 v2, -1, v1
	v_sub_u32_e32 v1, 0, v1
	v_and_b32_e32 v4, v0, v1
	v_lshlrev_b64 v[8:9], 9, v[4:5]
	v_mov_b32_e32 v4, s3
	v_cmp_lt_u64_e32 vcc, s[2:3], v[8:9]
	v_mov_b32_e32 v7, s2
	v_and_b32_e32 v6, v2, v0
	v_cndmask_b32_e32 v1, v9, v4, vcc
	v_cndmask_b32_e32 v2, v8, v7, vcc
	v_mov_b32_e32 v3, s1
	v_add_co_u32_e32 v8, vcc, s0, v8
	v_addc_co_u32_e32 v9, vcc, v9, v3, vcc
	v_cmp_lt_u64_e32 vcc, s[2:3], v[8:9]
	v_cndmask_b32_e32 v10, v8, v7, vcc
	v_cndmask_b32_e32 v3, v9, v4, vcc
	v_mov_b32_e32 v9, s1
	v_add_co_u32_e32 v8, vcc, s0, v10
	v_addc_co_u32_e32 v9, vcc, v3, v9, vcc
	v_cmp_lt_u64_e32 vcc, s[2:3], v[8:9]
	v_cndmask_b32_e32 v14, v8, v7, vcc
	v_cndmask_b32_e32 v11, v9, v4, vcc
	v_sub_co_u32_e32 v8, vcc, v14, v2
	v_mov_b32_e32 v7, v5
	v_subb_co_u32_e32 v9, vcc, v11, v1, vcc
	v_lshlrev_b64 v[4:5], 9, v[6:7]
	v_cmp_lt_u64_e32 vcc, v[8:9], v[4:5]
	v_cndmask_b32_e32 v13, v5, v9, vcc
	v_cndmask_b32_e32 v12, v4, v8, vcc
	v_sub_co_u32_e32 v6, vcc, v10, v2
	v_subb_co_u32_e32 v7, vcc, v3, v1, vcc
	v_sub_co_u32_e32 v4, vcc, v10, v14
	v_subb_co_u32_e32 v5, vcc, v3, v11, vcc
	v_add_co_u32_e32 v4, vcc, v12, v4
	v_addc_co_u32_e32 v5, vcc, v13, v5, vcc
	v_cmp_gt_u64_e32 vcc, v[4:5], v[12:13]
	v_cndmask_b32_e64 v5, v5, 0, vcc
	v_cndmask_b32_e64 v4, v4, 0, vcc
	v_cmp_lt_u64_e32 vcc, v[12:13], v[6:7]
	v_cndmask_b32_e32 v7, v7, v13, vcc
	v_cndmask_b32_e32 v6, v6, v12, vcc
	v_cmp_lt_u64_e32 vcc, v[4:5], v[6:7]
	s_and_saveexec_b64 s[0:1], vcc
	s_cbranch_execz .LBB1442_5
; %bb.2:
	s_load_dwordx2 s[2:3], s[4:5], 0x18
	s_waitcnt lgkmcnt(0)
	v_mad_u64_u32 v[8:9], s[4:5], v2, 20, s[2:3]
	v_mov_b32_e32 v14, v9
	v_mad_u64_u32 v[10:11], s[2:3], v10, 20, s[2:3]
	v_mad_u64_u32 v[14:15], s[2:3], v1, 20, v[14:15]
	v_mov_b32_e32 v9, v14
	v_mov_b32_e32 v14, v11
	v_mad_u64_u32 v[14:15], s[2:3], v3, 20, v[14:15]
	v_mov_b32_e32 v11, v14
	v_mad_u64_u32 v[10:11], s[2:3], v12, 20, v[10:11]
	;; [unrolled: 2-line block ×3, first 2 shown]
	v_mov_b32_e32 v11, v12
	s_mov_b64 s[2:3], 0
.LBB1442_3:                             ; =>This Inner Loop Header: Depth=1
	v_add_co_u32_e32 v12, vcc, v6, v4
	v_addc_co_u32_e32 v13, vcc, v7, v5, vcc
	v_lshrrev_b64 v[14:15], 1, v[12:13]
	v_alignbit_b32 v3, v13, v12, 1
	v_lshrrev_b32_e32 v17, 1, v13
	v_not_b32_e32 v18, v14
	v_mad_u64_u32 v[12:13], s[4:5], v3, 20, v[8:9]
	v_mov_b32_e32 v16, v13
	v_mad_u64_u32 v[18:19], s[4:5], v18, 20, v[10:11]
	v_not_b32_e32 v21, v15
	v_mad_u64_u32 v[16:17], s[4:5], v17, 20, v[16:17]
	v_mov_b32_e32 v20, v19
	v_mov_b32_e32 v13, v16
	v_mad_u64_u32 v[16:17], s[4:5], v21, 20, v[20:21]
	v_mov_b32_e32 v19, v16
	flat_load_dword v3, v[12:13]
	flat_load_dword v16, v[18:19]
	v_add_co_u32_e32 v12, vcc, 1, v14
	v_addc_co_u32_e32 v13, vcc, 0, v15, vcc
	s_waitcnt vmcnt(0) lgkmcnt(0)
	v_cmp_lt_i32_e32 vcc, v16, v3
	v_cndmask_b32_e32 v7, v7, v15, vcc
	v_cndmask_b32_e32 v6, v6, v14, vcc
	;; [unrolled: 1-line block ×4, first 2 shown]
	v_cmp_ge_u64_e32 vcc, v[4:5], v[6:7]
	s_or_b64 s[2:3], vcc, s[2:3]
	s_andn2_b64 exec, exec, s[2:3]
	s_cbranch_execnz .LBB1442_3
; %bb.4:
	s_or_b64 exec, exec, s[2:3]
.LBB1442_5:
	s_or_b64 exec, exec, s[0:1]
	v_add_co_u32_e32 v2, vcc, v4, v2
	v_addc_co_u32_e32 v3, vcc, v5, v1, vcc
	v_mov_b32_e32 v1, 0
	v_lshlrev_b64 v[0:1], 3, v[0:1]
	v_mov_b32_e32 v4, s7
	v_add_co_u32_e32 v0, vcc, s6, v0
	v_addc_co_u32_e32 v1, vcc, v4, v1, vcc
	global_store_dwordx2 v[0:1], v[2:3], off
.LBB1442_6:
	s_endpgm
	.section	.rodata,"a",@progbits
	.p2align	6, 0x0
	.amdhsa_kernel _ZN7rocprim17ROCPRIM_400000_NS6detail17trampoline_kernelINS0_14default_configENS1_38merge_sort_block_merge_config_selectorI14custom_numericNS0_10empty_typeEEEZZNS1_27merge_sort_block_merge_implIS3_N6thrust23THRUST_200600_302600_NS6detail15normal_iteratorINSA_10device_ptrIS5_EEEEPS6_mNSA_4lessIS5_EEEE10hipError_tT0_T1_T2_jT3_P12ihipStream_tbPNSt15iterator_traitsISK_E10value_typeEPNSQ_ISL_E10value_typeEPSM_NS1_7vsmem_tEENKUlT_SK_SL_SM_E_clISF_PS5_SG_SG_EESJ_SZ_SK_SL_SM_EUlSZ_E_NS1_11comp_targetILNS1_3genE4ELNS1_11target_archE910ELNS1_3gpuE8ELNS1_3repE0EEENS1_48merge_mergepath_partition_config_static_selectorELNS0_4arch9wavefront6targetE1EEEvSL_
		.amdhsa_group_segment_fixed_size 0
		.amdhsa_private_segment_fixed_size 0
		.amdhsa_kernarg_size 48
		.amdhsa_user_sgpr_count 6
		.amdhsa_user_sgpr_private_segment_buffer 1
		.amdhsa_user_sgpr_dispatch_ptr 0
		.amdhsa_user_sgpr_queue_ptr 0
		.amdhsa_user_sgpr_kernarg_segment_ptr 1
		.amdhsa_user_sgpr_dispatch_id 0
		.amdhsa_user_sgpr_flat_scratch_init 0
		.amdhsa_user_sgpr_kernarg_preload_length 0
		.amdhsa_user_sgpr_kernarg_preload_offset 0
		.amdhsa_user_sgpr_private_segment_size 0
		.amdhsa_uses_dynamic_stack 0
		.amdhsa_system_sgpr_private_segment_wavefront_offset 0
		.amdhsa_system_sgpr_workgroup_id_x 1
		.amdhsa_system_sgpr_workgroup_id_y 0
		.amdhsa_system_sgpr_workgroup_id_z 0
		.amdhsa_system_sgpr_workgroup_info 0
		.amdhsa_system_vgpr_workitem_id 0
		.amdhsa_next_free_vgpr 22
		.amdhsa_next_free_sgpr 8
		.amdhsa_accum_offset 24
		.amdhsa_reserve_vcc 1
		.amdhsa_reserve_flat_scratch 0
		.amdhsa_float_round_mode_32 0
		.amdhsa_float_round_mode_16_64 0
		.amdhsa_float_denorm_mode_32 3
		.amdhsa_float_denorm_mode_16_64 3
		.amdhsa_dx10_clamp 1
		.amdhsa_ieee_mode 1
		.amdhsa_fp16_overflow 0
		.amdhsa_tg_split 0
		.amdhsa_exception_fp_ieee_invalid_op 0
		.amdhsa_exception_fp_denorm_src 0
		.amdhsa_exception_fp_ieee_div_zero 0
		.amdhsa_exception_fp_ieee_overflow 0
		.amdhsa_exception_fp_ieee_underflow 0
		.amdhsa_exception_fp_ieee_inexact 0
		.amdhsa_exception_int_div_zero 0
	.end_amdhsa_kernel
	.section	.text._ZN7rocprim17ROCPRIM_400000_NS6detail17trampoline_kernelINS0_14default_configENS1_38merge_sort_block_merge_config_selectorI14custom_numericNS0_10empty_typeEEEZZNS1_27merge_sort_block_merge_implIS3_N6thrust23THRUST_200600_302600_NS6detail15normal_iteratorINSA_10device_ptrIS5_EEEEPS6_mNSA_4lessIS5_EEEE10hipError_tT0_T1_T2_jT3_P12ihipStream_tbPNSt15iterator_traitsISK_E10value_typeEPNSQ_ISL_E10value_typeEPSM_NS1_7vsmem_tEENKUlT_SK_SL_SM_E_clISF_PS5_SG_SG_EESJ_SZ_SK_SL_SM_EUlSZ_E_NS1_11comp_targetILNS1_3genE4ELNS1_11target_archE910ELNS1_3gpuE8ELNS1_3repE0EEENS1_48merge_mergepath_partition_config_static_selectorELNS0_4arch9wavefront6targetE1EEEvSL_,"axG",@progbits,_ZN7rocprim17ROCPRIM_400000_NS6detail17trampoline_kernelINS0_14default_configENS1_38merge_sort_block_merge_config_selectorI14custom_numericNS0_10empty_typeEEEZZNS1_27merge_sort_block_merge_implIS3_N6thrust23THRUST_200600_302600_NS6detail15normal_iteratorINSA_10device_ptrIS5_EEEEPS6_mNSA_4lessIS5_EEEE10hipError_tT0_T1_T2_jT3_P12ihipStream_tbPNSt15iterator_traitsISK_E10value_typeEPNSQ_ISL_E10value_typeEPSM_NS1_7vsmem_tEENKUlT_SK_SL_SM_E_clISF_PS5_SG_SG_EESJ_SZ_SK_SL_SM_EUlSZ_E_NS1_11comp_targetILNS1_3genE4ELNS1_11target_archE910ELNS1_3gpuE8ELNS1_3repE0EEENS1_48merge_mergepath_partition_config_static_selectorELNS0_4arch9wavefront6targetE1EEEvSL_,comdat
.Lfunc_end1442:
	.size	_ZN7rocprim17ROCPRIM_400000_NS6detail17trampoline_kernelINS0_14default_configENS1_38merge_sort_block_merge_config_selectorI14custom_numericNS0_10empty_typeEEEZZNS1_27merge_sort_block_merge_implIS3_N6thrust23THRUST_200600_302600_NS6detail15normal_iteratorINSA_10device_ptrIS5_EEEEPS6_mNSA_4lessIS5_EEEE10hipError_tT0_T1_T2_jT3_P12ihipStream_tbPNSt15iterator_traitsISK_E10value_typeEPNSQ_ISL_E10value_typeEPSM_NS1_7vsmem_tEENKUlT_SK_SL_SM_E_clISF_PS5_SG_SG_EESJ_SZ_SK_SL_SM_EUlSZ_E_NS1_11comp_targetILNS1_3genE4ELNS1_11target_archE910ELNS1_3gpuE8ELNS1_3repE0EEENS1_48merge_mergepath_partition_config_static_selectorELNS0_4arch9wavefront6targetE1EEEvSL_, .Lfunc_end1442-_ZN7rocprim17ROCPRIM_400000_NS6detail17trampoline_kernelINS0_14default_configENS1_38merge_sort_block_merge_config_selectorI14custom_numericNS0_10empty_typeEEEZZNS1_27merge_sort_block_merge_implIS3_N6thrust23THRUST_200600_302600_NS6detail15normal_iteratorINSA_10device_ptrIS5_EEEEPS6_mNSA_4lessIS5_EEEE10hipError_tT0_T1_T2_jT3_P12ihipStream_tbPNSt15iterator_traitsISK_E10value_typeEPNSQ_ISL_E10value_typeEPSM_NS1_7vsmem_tEENKUlT_SK_SL_SM_E_clISF_PS5_SG_SG_EESJ_SZ_SK_SL_SM_EUlSZ_E_NS1_11comp_targetILNS1_3genE4ELNS1_11target_archE910ELNS1_3gpuE8ELNS1_3repE0EEENS1_48merge_mergepath_partition_config_static_selectorELNS0_4arch9wavefront6targetE1EEEvSL_
                                        ; -- End function
	.section	.AMDGPU.csdata,"",@progbits
; Kernel info:
; codeLenInByte = 552
; NumSgprs: 12
; NumVgprs: 22
; NumAgprs: 0
; TotalNumVgprs: 22
; ScratchSize: 0
; MemoryBound: 0
; FloatMode: 240
; IeeeMode: 1
; LDSByteSize: 0 bytes/workgroup (compile time only)
; SGPRBlocks: 1
; VGPRBlocks: 2
; NumSGPRsForWavesPerEU: 12
; NumVGPRsForWavesPerEU: 22
; AccumOffset: 24
; Occupancy: 8
; WaveLimiterHint : 0
; COMPUTE_PGM_RSRC2:SCRATCH_EN: 0
; COMPUTE_PGM_RSRC2:USER_SGPR: 6
; COMPUTE_PGM_RSRC2:TRAP_HANDLER: 0
; COMPUTE_PGM_RSRC2:TGID_X_EN: 1
; COMPUTE_PGM_RSRC2:TGID_Y_EN: 0
; COMPUTE_PGM_RSRC2:TGID_Z_EN: 0
; COMPUTE_PGM_RSRC2:TIDIG_COMP_CNT: 0
; COMPUTE_PGM_RSRC3_GFX90A:ACCUM_OFFSET: 5
; COMPUTE_PGM_RSRC3_GFX90A:TG_SPLIT: 0
	.section	.text._ZN7rocprim17ROCPRIM_400000_NS6detail17trampoline_kernelINS0_14default_configENS1_38merge_sort_block_merge_config_selectorI14custom_numericNS0_10empty_typeEEEZZNS1_27merge_sort_block_merge_implIS3_N6thrust23THRUST_200600_302600_NS6detail15normal_iteratorINSA_10device_ptrIS5_EEEEPS6_mNSA_4lessIS5_EEEE10hipError_tT0_T1_T2_jT3_P12ihipStream_tbPNSt15iterator_traitsISK_E10value_typeEPNSQ_ISL_E10value_typeEPSM_NS1_7vsmem_tEENKUlT_SK_SL_SM_E_clISF_PS5_SG_SG_EESJ_SZ_SK_SL_SM_EUlSZ_E_NS1_11comp_targetILNS1_3genE3ELNS1_11target_archE908ELNS1_3gpuE7ELNS1_3repE0EEENS1_48merge_mergepath_partition_config_static_selectorELNS0_4arch9wavefront6targetE1EEEvSL_,"axG",@progbits,_ZN7rocprim17ROCPRIM_400000_NS6detail17trampoline_kernelINS0_14default_configENS1_38merge_sort_block_merge_config_selectorI14custom_numericNS0_10empty_typeEEEZZNS1_27merge_sort_block_merge_implIS3_N6thrust23THRUST_200600_302600_NS6detail15normal_iteratorINSA_10device_ptrIS5_EEEEPS6_mNSA_4lessIS5_EEEE10hipError_tT0_T1_T2_jT3_P12ihipStream_tbPNSt15iterator_traitsISK_E10value_typeEPNSQ_ISL_E10value_typeEPSM_NS1_7vsmem_tEENKUlT_SK_SL_SM_E_clISF_PS5_SG_SG_EESJ_SZ_SK_SL_SM_EUlSZ_E_NS1_11comp_targetILNS1_3genE3ELNS1_11target_archE908ELNS1_3gpuE7ELNS1_3repE0EEENS1_48merge_mergepath_partition_config_static_selectorELNS0_4arch9wavefront6targetE1EEEvSL_,comdat
	.protected	_ZN7rocprim17ROCPRIM_400000_NS6detail17trampoline_kernelINS0_14default_configENS1_38merge_sort_block_merge_config_selectorI14custom_numericNS0_10empty_typeEEEZZNS1_27merge_sort_block_merge_implIS3_N6thrust23THRUST_200600_302600_NS6detail15normal_iteratorINSA_10device_ptrIS5_EEEEPS6_mNSA_4lessIS5_EEEE10hipError_tT0_T1_T2_jT3_P12ihipStream_tbPNSt15iterator_traitsISK_E10value_typeEPNSQ_ISL_E10value_typeEPSM_NS1_7vsmem_tEENKUlT_SK_SL_SM_E_clISF_PS5_SG_SG_EESJ_SZ_SK_SL_SM_EUlSZ_E_NS1_11comp_targetILNS1_3genE3ELNS1_11target_archE908ELNS1_3gpuE7ELNS1_3repE0EEENS1_48merge_mergepath_partition_config_static_selectorELNS0_4arch9wavefront6targetE1EEEvSL_ ; -- Begin function _ZN7rocprim17ROCPRIM_400000_NS6detail17trampoline_kernelINS0_14default_configENS1_38merge_sort_block_merge_config_selectorI14custom_numericNS0_10empty_typeEEEZZNS1_27merge_sort_block_merge_implIS3_N6thrust23THRUST_200600_302600_NS6detail15normal_iteratorINSA_10device_ptrIS5_EEEEPS6_mNSA_4lessIS5_EEEE10hipError_tT0_T1_T2_jT3_P12ihipStream_tbPNSt15iterator_traitsISK_E10value_typeEPNSQ_ISL_E10value_typeEPSM_NS1_7vsmem_tEENKUlT_SK_SL_SM_E_clISF_PS5_SG_SG_EESJ_SZ_SK_SL_SM_EUlSZ_E_NS1_11comp_targetILNS1_3genE3ELNS1_11target_archE908ELNS1_3gpuE7ELNS1_3repE0EEENS1_48merge_mergepath_partition_config_static_selectorELNS0_4arch9wavefront6targetE1EEEvSL_
	.globl	_ZN7rocprim17ROCPRIM_400000_NS6detail17trampoline_kernelINS0_14default_configENS1_38merge_sort_block_merge_config_selectorI14custom_numericNS0_10empty_typeEEEZZNS1_27merge_sort_block_merge_implIS3_N6thrust23THRUST_200600_302600_NS6detail15normal_iteratorINSA_10device_ptrIS5_EEEEPS6_mNSA_4lessIS5_EEEE10hipError_tT0_T1_T2_jT3_P12ihipStream_tbPNSt15iterator_traitsISK_E10value_typeEPNSQ_ISL_E10value_typeEPSM_NS1_7vsmem_tEENKUlT_SK_SL_SM_E_clISF_PS5_SG_SG_EESJ_SZ_SK_SL_SM_EUlSZ_E_NS1_11comp_targetILNS1_3genE3ELNS1_11target_archE908ELNS1_3gpuE7ELNS1_3repE0EEENS1_48merge_mergepath_partition_config_static_selectorELNS0_4arch9wavefront6targetE1EEEvSL_
	.p2align	8
	.type	_ZN7rocprim17ROCPRIM_400000_NS6detail17trampoline_kernelINS0_14default_configENS1_38merge_sort_block_merge_config_selectorI14custom_numericNS0_10empty_typeEEEZZNS1_27merge_sort_block_merge_implIS3_N6thrust23THRUST_200600_302600_NS6detail15normal_iteratorINSA_10device_ptrIS5_EEEEPS6_mNSA_4lessIS5_EEEE10hipError_tT0_T1_T2_jT3_P12ihipStream_tbPNSt15iterator_traitsISK_E10value_typeEPNSQ_ISL_E10value_typeEPSM_NS1_7vsmem_tEENKUlT_SK_SL_SM_E_clISF_PS5_SG_SG_EESJ_SZ_SK_SL_SM_EUlSZ_E_NS1_11comp_targetILNS1_3genE3ELNS1_11target_archE908ELNS1_3gpuE7ELNS1_3repE0EEENS1_48merge_mergepath_partition_config_static_selectorELNS0_4arch9wavefront6targetE1EEEvSL_,@function
_ZN7rocprim17ROCPRIM_400000_NS6detail17trampoline_kernelINS0_14default_configENS1_38merge_sort_block_merge_config_selectorI14custom_numericNS0_10empty_typeEEEZZNS1_27merge_sort_block_merge_implIS3_N6thrust23THRUST_200600_302600_NS6detail15normal_iteratorINSA_10device_ptrIS5_EEEEPS6_mNSA_4lessIS5_EEEE10hipError_tT0_T1_T2_jT3_P12ihipStream_tbPNSt15iterator_traitsISK_E10value_typeEPNSQ_ISL_E10value_typeEPSM_NS1_7vsmem_tEENKUlT_SK_SL_SM_E_clISF_PS5_SG_SG_EESJ_SZ_SK_SL_SM_EUlSZ_E_NS1_11comp_targetILNS1_3genE3ELNS1_11target_archE908ELNS1_3gpuE7ELNS1_3repE0EEENS1_48merge_mergepath_partition_config_static_selectorELNS0_4arch9wavefront6targetE1EEEvSL_: ; @_ZN7rocprim17ROCPRIM_400000_NS6detail17trampoline_kernelINS0_14default_configENS1_38merge_sort_block_merge_config_selectorI14custom_numericNS0_10empty_typeEEEZZNS1_27merge_sort_block_merge_implIS3_N6thrust23THRUST_200600_302600_NS6detail15normal_iteratorINSA_10device_ptrIS5_EEEEPS6_mNSA_4lessIS5_EEEE10hipError_tT0_T1_T2_jT3_P12ihipStream_tbPNSt15iterator_traitsISK_E10value_typeEPNSQ_ISL_E10value_typeEPSM_NS1_7vsmem_tEENKUlT_SK_SL_SM_E_clISF_PS5_SG_SG_EESJ_SZ_SK_SL_SM_EUlSZ_E_NS1_11comp_targetILNS1_3genE3ELNS1_11target_archE908ELNS1_3gpuE7ELNS1_3repE0EEENS1_48merge_mergepath_partition_config_static_selectorELNS0_4arch9wavefront6targetE1EEEvSL_
; %bb.0:
	.section	.rodata,"a",@progbits
	.p2align	6, 0x0
	.amdhsa_kernel _ZN7rocprim17ROCPRIM_400000_NS6detail17trampoline_kernelINS0_14default_configENS1_38merge_sort_block_merge_config_selectorI14custom_numericNS0_10empty_typeEEEZZNS1_27merge_sort_block_merge_implIS3_N6thrust23THRUST_200600_302600_NS6detail15normal_iteratorINSA_10device_ptrIS5_EEEEPS6_mNSA_4lessIS5_EEEE10hipError_tT0_T1_T2_jT3_P12ihipStream_tbPNSt15iterator_traitsISK_E10value_typeEPNSQ_ISL_E10value_typeEPSM_NS1_7vsmem_tEENKUlT_SK_SL_SM_E_clISF_PS5_SG_SG_EESJ_SZ_SK_SL_SM_EUlSZ_E_NS1_11comp_targetILNS1_3genE3ELNS1_11target_archE908ELNS1_3gpuE7ELNS1_3repE0EEENS1_48merge_mergepath_partition_config_static_selectorELNS0_4arch9wavefront6targetE1EEEvSL_
		.amdhsa_group_segment_fixed_size 0
		.amdhsa_private_segment_fixed_size 0
		.amdhsa_kernarg_size 48
		.amdhsa_user_sgpr_count 6
		.amdhsa_user_sgpr_private_segment_buffer 1
		.amdhsa_user_sgpr_dispatch_ptr 0
		.amdhsa_user_sgpr_queue_ptr 0
		.amdhsa_user_sgpr_kernarg_segment_ptr 1
		.amdhsa_user_sgpr_dispatch_id 0
		.amdhsa_user_sgpr_flat_scratch_init 0
		.amdhsa_user_sgpr_kernarg_preload_length 0
		.amdhsa_user_sgpr_kernarg_preload_offset 0
		.amdhsa_user_sgpr_private_segment_size 0
		.amdhsa_uses_dynamic_stack 0
		.amdhsa_system_sgpr_private_segment_wavefront_offset 0
		.amdhsa_system_sgpr_workgroup_id_x 1
		.amdhsa_system_sgpr_workgroup_id_y 0
		.amdhsa_system_sgpr_workgroup_id_z 0
		.amdhsa_system_sgpr_workgroup_info 0
		.amdhsa_system_vgpr_workitem_id 0
		.amdhsa_next_free_vgpr 1
		.amdhsa_next_free_sgpr 0
		.amdhsa_accum_offset 4
		.amdhsa_reserve_vcc 0
		.amdhsa_reserve_flat_scratch 0
		.amdhsa_float_round_mode_32 0
		.amdhsa_float_round_mode_16_64 0
		.amdhsa_float_denorm_mode_32 3
		.amdhsa_float_denorm_mode_16_64 3
		.amdhsa_dx10_clamp 1
		.amdhsa_ieee_mode 1
		.amdhsa_fp16_overflow 0
		.amdhsa_tg_split 0
		.amdhsa_exception_fp_ieee_invalid_op 0
		.amdhsa_exception_fp_denorm_src 0
		.amdhsa_exception_fp_ieee_div_zero 0
		.amdhsa_exception_fp_ieee_overflow 0
		.amdhsa_exception_fp_ieee_underflow 0
		.amdhsa_exception_fp_ieee_inexact 0
		.amdhsa_exception_int_div_zero 0
	.end_amdhsa_kernel
	.section	.text._ZN7rocprim17ROCPRIM_400000_NS6detail17trampoline_kernelINS0_14default_configENS1_38merge_sort_block_merge_config_selectorI14custom_numericNS0_10empty_typeEEEZZNS1_27merge_sort_block_merge_implIS3_N6thrust23THRUST_200600_302600_NS6detail15normal_iteratorINSA_10device_ptrIS5_EEEEPS6_mNSA_4lessIS5_EEEE10hipError_tT0_T1_T2_jT3_P12ihipStream_tbPNSt15iterator_traitsISK_E10value_typeEPNSQ_ISL_E10value_typeEPSM_NS1_7vsmem_tEENKUlT_SK_SL_SM_E_clISF_PS5_SG_SG_EESJ_SZ_SK_SL_SM_EUlSZ_E_NS1_11comp_targetILNS1_3genE3ELNS1_11target_archE908ELNS1_3gpuE7ELNS1_3repE0EEENS1_48merge_mergepath_partition_config_static_selectorELNS0_4arch9wavefront6targetE1EEEvSL_,"axG",@progbits,_ZN7rocprim17ROCPRIM_400000_NS6detail17trampoline_kernelINS0_14default_configENS1_38merge_sort_block_merge_config_selectorI14custom_numericNS0_10empty_typeEEEZZNS1_27merge_sort_block_merge_implIS3_N6thrust23THRUST_200600_302600_NS6detail15normal_iteratorINSA_10device_ptrIS5_EEEEPS6_mNSA_4lessIS5_EEEE10hipError_tT0_T1_T2_jT3_P12ihipStream_tbPNSt15iterator_traitsISK_E10value_typeEPNSQ_ISL_E10value_typeEPSM_NS1_7vsmem_tEENKUlT_SK_SL_SM_E_clISF_PS5_SG_SG_EESJ_SZ_SK_SL_SM_EUlSZ_E_NS1_11comp_targetILNS1_3genE3ELNS1_11target_archE908ELNS1_3gpuE7ELNS1_3repE0EEENS1_48merge_mergepath_partition_config_static_selectorELNS0_4arch9wavefront6targetE1EEEvSL_,comdat
.Lfunc_end1443:
	.size	_ZN7rocprim17ROCPRIM_400000_NS6detail17trampoline_kernelINS0_14default_configENS1_38merge_sort_block_merge_config_selectorI14custom_numericNS0_10empty_typeEEEZZNS1_27merge_sort_block_merge_implIS3_N6thrust23THRUST_200600_302600_NS6detail15normal_iteratorINSA_10device_ptrIS5_EEEEPS6_mNSA_4lessIS5_EEEE10hipError_tT0_T1_T2_jT3_P12ihipStream_tbPNSt15iterator_traitsISK_E10value_typeEPNSQ_ISL_E10value_typeEPSM_NS1_7vsmem_tEENKUlT_SK_SL_SM_E_clISF_PS5_SG_SG_EESJ_SZ_SK_SL_SM_EUlSZ_E_NS1_11comp_targetILNS1_3genE3ELNS1_11target_archE908ELNS1_3gpuE7ELNS1_3repE0EEENS1_48merge_mergepath_partition_config_static_selectorELNS0_4arch9wavefront6targetE1EEEvSL_, .Lfunc_end1443-_ZN7rocprim17ROCPRIM_400000_NS6detail17trampoline_kernelINS0_14default_configENS1_38merge_sort_block_merge_config_selectorI14custom_numericNS0_10empty_typeEEEZZNS1_27merge_sort_block_merge_implIS3_N6thrust23THRUST_200600_302600_NS6detail15normal_iteratorINSA_10device_ptrIS5_EEEEPS6_mNSA_4lessIS5_EEEE10hipError_tT0_T1_T2_jT3_P12ihipStream_tbPNSt15iterator_traitsISK_E10value_typeEPNSQ_ISL_E10value_typeEPSM_NS1_7vsmem_tEENKUlT_SK_SL_SM_E_clISF_PS5_SG_SG_EESJ_SZ_SK_SL_SM_EUlSZ_E_NS1_11comp_targetILNS1_3genE3ELNS1_11target_archE908ELNS1_3gpuE7ELNS1_3repE0EEENS1_48merge_mergepath_partition_config_static_selectorELNS0_4arch9wavefront6targetE1EEEvSL_
                                        ; -- End function
	.section	.AMDGPU.csdata,"",@progbits
; Kernel info:
; codeLenInByte = 0
; NumSgprs: 4
; NumVgprs: 0
; NumAgprs: 0
; TotalNumVgprs: 0
; ScratchSize: 0
; MemoryBound: 0
; FloatMode: 240
; IeeeMode: 1
; LDSByteSize: 0 bytes/workgroup (compile time only)
; SGPRBlocks: 0
; VGPRBlocks: 0
; NumSGPRsForWavesPerEU: 4
; NumVGPRsForWavesPerEU: 1
; AccumOffset: 4
; Occupancy: 8
; WaveLimiterHint : 0
; COMPUTE_PGM_RSRC2:SCRATCH_EN: 0
; COMPUTE_PGM_RSRC2:USER_SGPR: 6
; COMPUTE_PGM_RSRC2:TRAP_HANDLER: 0
; COMPUTE_PGM_RSRC2:TGID_X_EN: 1
; COMPUTE_PGM_RSRC2:TGID_Y_EN: 0
; COMPUTE_PGM_RSRC2:TGID_Z_EN: 0
; COMPUTE_PGM_RSRC2:TIDIG_COMP_CNT: 0
; COMPUTE_PGM_RSRC3_GFX90A:ACCUM_OFFSET: 0
; COMPUTE_PGM_RSRC3_GFX90A:TG_SPLIT: 0
	.section	.text._ZN7rocprim17ROCPRIM_400000_NS6detail17trampoline_kernelINS0_14default_configENS1_38merge_sort_block_merge_config_selectorI14custom_numericNS0_10empty_typeEEEZZNS1_27merge_sort_block_merge_implIS3_N6thrust23THRUST_200600_302600_NS6detail15normal_iteratorINSA_10device_ptrIS5_EEEEPS6_mNSA_4lessIS5_EEEE10hipError_tT0_T1_T2_jT3_P12ihipStream_tbPNSt15iterator_traitsISK_E10value_typeEPNSQ_ISL_E10value_typeEPSM_NS1_7vsmem_tEENKUlT_SK_SL_SM_E_clISF_PS5_SG_SG_EESJ_SZ_SK_SL_SM_EUlSZ_E_NS1_11comp_targetILNS1_3genE2ELNS1_11target_archE906ELNS1_3gpuE6ELNS1_3repE0EEENS1_48merge_mergepath_partition_config_static_selectorELNS0_4arch9wavefront6targetE1EEEvSL_,"axG",@progbits,_ZN7rocprim17ROCPRIM_400000_NS6detail17trampoline_kernelINS0_14default_configENS1_38merge_sort_block_merge_config_selectorI14custom_numericNS0_10empty_typeEEEZZNS1_27merge_sort_block_merge_implIS3_N6thrust23THRUST_200600_302600_NS6detail15normal_iteratorINSA_10device_ptrIS5_EEEEPS6_mNSA_4lessIS5_EEEE10hipError_tT0_T1_T2_jT3_P12ihipStream_tbPNSt15iterator_traitsISK_E10value_typeEPNSQ_ISL_E10value_typeEPSM_NS1_7vsmem_tEENKUlT_SK_SL_SM_E_clISF_PS5_SG_SG_EESJ_SZ_SK_SL_SM_EUlSZ_E_NS1_11comp_targetILNS1_3genE2ELNS1_11target_archE906ELNS1_3gpuE6ELNS1_3repE0EEENS1_48merge_mergepath_partition_config_static_selectorELNS0_4arch9wavefront6targetE1EEEvSL_,comdat
	.protected	_ZN7rocprim17ROCPRIM_400000_NS6detail17trampoline_kernelINS0_14default_configENS1_38merge_sort_block_merge_config_selectorI14custom_numericNS0_10empty_typeEEEZZNS1_27merge_sort_block_merge_implIS3_N6thrust23THRUST_200600_302600_NS6detail15normal_iteratorINSA_10device_ptrIS5_EEEEPS6_mNSA_4lessIS5_EEEE10hipError_tT0_T1_T2_jT3_P12ihipStream_tbPNSt15iterator_traitsISK_E10value_typeEPNSQ_ISL_E10value_typeEPSM_NS1_7vsmem_tEENKUlT_SK_SL_SM_E_clISF_PS5_SG_SG_EESJ_SZ_SK_SL_SM_EUlSZ_E_NS1_11comp_targetILNS1_3genE2ELNS1_11target_archE906ELNS1_3gpuE6ELNS1_3repE0EEENS1_48merge_mergepath_partition_config_static_selectorELNS0_4arch9wavefront6targetE1EEEvSL_ ; -- Begin function _ZN7rocprim17ROCPRIM_400000_NS6detail17trampoline_kernelINS0_14default_configENS1_38merge_sort_block_merge_config_selectorI14custom_numericNS0_10empty_typeEEEZZNS1_27merge_sort_block_merge_implIS3_N6thrust23THRUST_200600_302600_NS6detail15normal_iteratorINSA_10device_ptrIS5_EEEEPS6_mNSA_4lessIS5_EEEE10hipError_tT0_T1_T2_jT3_P12ihipStream_tbPNSt15iterator_traitsISK_E10value_typeEPNSQ_ISL_E10value_typeEPSM_NS1_7vsmem_tEENKUlT_SK_SL_SM_E_clISF_PS5_SG_SG_EESJ_SZ_SK_SL_SM_EUlSZ_E_NS1_11comp_targetILNS1_3genE2ELNS1_11target_archE906ELNS1_3gpuE6ELNS1_3repE0EEENS1_48merge_mergepath_partition_config_static_selectorELNS0_4arch9wavefront6targetE1EEEvSL_
	.globl	_ZN7rocprim17ROCPRIM_400000_NS6detail17trampoline_kernelINS0_14default_configENS1_38merge_sort_block_merge_config_selectorI14custom_numericNS0_10empty_typeEEEZZNS1_27merge_sort_block_merge_implIS3_N6thrust23THRUST_200600_302600_NS6detail15normal_iteratorINSA_10device_ptrIS5_EEEEPS6_mNSA_4lessIS5_EEEE10hipError_tT0_T1_T2_jT3_P12ihipStream_tbPNSt15iterator_traitsISK_E10value_typeEPNSQ_ISL_E10value_typeEPSM_NS1_7vsmem_tEENKUlT_SK_SL_SM_E_clISF_PS5_SG_SG_EESJ_SZ_SK_SL_SM_EUlSZ_E_NS1_11comp_targetILNS1_3genE2ELNS1_11target_archE906ELNS1_3gpuE6ELNS1_3repE0EEENS1_48merge_mergepath_partition_config_static_selectorELNS0_4arch9wavefront6targetE1EEEvSL_
	.p2align	8
	.type	_ZN7rocprim17ROCPRIM_400000_NS6detail17trampoline_kernelINS0_14default_configENS1_38merge_sort_block_merge_config_selectorI14custom_numericNS0_10empty_typeEEEZZNS1_27merge_sort_block_merge_implIS3_N6thrust23THRUST_200600_302600_NS6detail15normal_iteratorINSA_10device_ptrIS5_EEEEPS6_mNSA_4lessIS5_EEEE10hipError_tT0_T1_T2_jT3_P12ihipStream_tbPNSt15iterator_traitsISK_E10value_typeEPNSQ_ISL_E10value_typeEPSM_NS1_7vsmem_tEENKUlT_SK_SL_SM_E_clISF_PS5_SG_SG_EESJ_SZ_SK_SL_SM_EUlSZ_E_NS1_11comp_targetILNS1_3genE2ELNS1_11target_archE906ELNS1_3gpuE6ELNS1_3repE0EEENS1_48merge_mergepath_partition_config_static_selectorELNS0_4arch9wavefront6targetE1EEEvSL_,@function
_ZN7rocprim17ROCPRIM_400000_NS6detail17trampoline_kernelINS0_14default_configENS1_38merge_sort_block_merge_config_selectorI14custom_numericNS0_10empty_typeEEEZZNS1_27merge_sort_block_merge_implIS3_N6thrust23THRUST_200600_302600_NS6detail15normal_iteratorINSA_10device_ptrIS5_EEEEPS6_mNSA_4lessIS5_EEEE10hipError_tT0_T1_T2_jT3_P12ihipStream_tbPNSt15iterator_traitsISK_E10value_typeEPNSQ_ISL_E10value_typeEPSM_NS1_7vsmem_tEENKUlT_SK_SL_SM_E_clISF_PS5_SG_SG_EESJ_SZ_SK_SL_SM_EUlSZ_E_NS1_11comp_targetILNS1_3genE2ELNS1_11target_archE906ELNS1_3gpuE6ELNS1_3repE0EEENS1_48merge_mergepath_partition_config_static_selectorELNS0_4arch9wavefront6targetE1EEEvSL_: ; @_ZN7rocprim17ROCPRIM_400000_NS6detail17trampoline_kernelINS0_14default_configENS1_38merge_sort_block_merge_config_selectorI14custom_numericNS0_10empty_typeEEEZZNS1_27merge_sort_block_merge_implIS3_N6thrust23THRUST_200600_302600_NS6detail15normal_iteratorINSA_10device_ptrIS5_EEEEPS6_mNSA_4lessIS5_EEEE10hipError_tT0_T1_T2_jT3_P12ihipStream_tbPNSt15iterator_traitsISK_E10value_typeEPNSQ_ISL_E10value_typeEPSM_NS1_7vsmem_tEENKUlT_SK_SL_SM_E_clISF_PS5_SG_SG_EESJ_SZ_SK_SL_SM_EUlSZ_E_NS1_11comp_targetILNS1_3genE2ELNS1_11target_archE906ELNS1_3gpuE6ELNS1_3repE0EEENS1_48merge_mergepath_partition_config_static_selectorELNS0_4arch9wavefront6targetE1EEEvSL_
; %bb.0:
	.section	.rodata,"a",@progbits
	.p2align	6, 0x0
	.amdhsa_kernel _ZN7rocprim17ROCPRIM_400000_NS6detail17trampoline_kernelINS0_14default_configENS1_38merge_sort_block_merge_config_selectorI14custom_numericNS0_10empty_typeEEEZZNS1_27merge_sort_block_merge_implIS3_N6thrust23THRUST_200600_302600_NS6detail15normal_iteratorINSA_10device_ptrIS5_EEEEPS6_mNSA_4lessIS5_EEEE10hipError_tT0_T1_T2_jT3_P12ihipStream_tbPNSt15iterator_traitsISK_E10value_typeEPNSQ_ISL_E10value_typeEPSM_NS1_7vsmem_tEENKUlT_SK_SL_SM_E_clISF_PS5_SG_SG_EESJ_SZ_SK_SL_SM_EUlSZ_E_NS1_11comp_targetILNS1_3genE2ELNS1_11target_archE906ELNS1_3gpuE6ELNS1_3repE0EEENS1_48merge_mergepath_partition_config_static_selectorELNS0_4arch9wavefront6targetE1EEEvSL_
		.amdhsa_group_segment_fixed_size 0
		.amdhsa_private_segment_fixed_size 0
		.amdhsa_kernarg_size 48
		.amdhsa_user_sgpr_count 6
		.amdhsa_user_sgpr_private_segment_buffer 1
		.amdhsa_user_sgpr_dispatch_ptr 0
		.amdhsa_user_sgpr_queue_ptr 0
		.amdhsa_user_sgpr_kernarg_segment_ptr 1
		.amdhsa_user_sgpr_dispatch_id 0
		.amdhsa_user_sgpr_flat_scratch_init 0
		.amdhsa_user_sgpr_kernarg_preload_length 0
		.amdhsa_user_sgpr_kernarg_preload_offset 0
		.amdhsa_user_sgpr_private_segment_size 0
		.amdhsa_uses_dynamic_stack 0
		.amdhsa_system_sgpr_private_segment_wavefront_offset 0
		.amdhsa_system_sgpr_workgroup_id_x 1
		.amdhsa_system_sgpr_workgroup_id_y 0
		.amdhsa_system_sgpr_workgroup_id_z 0
		.amdhsa_system_sgpr_workgroup_info 0
		.amdhsa_system_vgpr_workitem_id 0
		.amdhsa_next_free_vgpr 1
		.amdhsa_next_free_sgpr 0
		.amdhsa_accum_offset 4
		.amdhsa_reserve_vcc 0
		.amdhsa_reserve_flat_scratch 0
		.amdhsa_float_round_mode_32 0
		.amdhsa_float_round_mode_16_64 0
		.amdhsa_float_denorm_mode_32 3
		.amdhsa_float_denorm_mode_16_64 3
		.amdhsa_dx10_clamp 1
		.amdhsa_ieee_mode 1
		.amdhsa_fp16_overflow 0
		.amdhsa_tg_split 0
		.amdhsa_exception_fp_ieee_invalid_op 0
		.amdhsa_exception_fp_denorm_src 0
		.amdhsa_exception_fp_ieee_div_zero 0
		.amdhsa_exception_fp_ieee_overflow 0
		.amdhsa_exception_fp_ieee_underflow 0
		.amdhsa_exception_fp_ieee_inexact 0
		.amdhsa_exception_int_div_zero 0
	.end_amdhsa_kernel
	.section	.text._ZN7rocprim17ROCPRIM_400000_NS6detail17trampoline_kernelINS0_14default_configENS1_38merge_sort_block_merge_config_selectorI14custom_numericNS0_10empty_typeEEEZZNS1_27merge_sort_block_merge_implIS3_N6thrust23THRUST_200600_302600_NS6detail15normal_iteratorINSA_10device_ptrIS5_EEEEPS6_mNSA_4lessIS5_EEEE10hipError_tT0_T1_T2_jT3_P12ihipStream_tbPNSt15iterator_traitsISK_E10value_typeEPNSQ_ISL_E10value_typeEPSM_NS1_7vsmem_tEENKUlT_SK_SL_SM_E_clISF_PS5_SG_SG_EESJ_SZ_SK_SL_SM_EUlSZ_E_NS1_11comp_targetILNS1_3genE2ELNS1_11target_archE906ELNS1_3gpuE6ELNS1_3repE0EEENS1_48merge_mergepath_partition_config_static_selectorELNS0_4arch9wavefront6targetE1EEEvSL_,"axG",@progbits,_ZN7rocprim17ROCPRIM_400000_NS6detail17trampoline_kernelINS0_14default_configENS1_38merge_sort_block_merge_config_selectorI14custom_numericNS0_10empty_typeEEEZZNS1_27merge_sort_block_merge_implIS3_N6thrust23THRUST_200600_302600_NS6detail15normal_iteratorINSA_10device_ptrIS5_EEEEPS6_mNSA_4lessIS5_EEEE10hipError_tT0_T1_T2_jT3_P12ihipStream_tbPNSt15iterator_traitsISK_E10value_typeEPNSQ_ISL_E10value_typeEPSM_NS1_7vsmem_tEENKUlT_SK_SL_SM_E_clISF_PS5_SG_SG_EESJ_SZ_SK_SL_SM_EUlSZ_E_NS1_11comp_targetILNS1_3genE2ELNS1_11target_archE906ELNS1_3gpuE6ELNS1_3repE0EEENS1_48merge_mergepath_partition_config_static_selectorELNS0_4arch9wavefront6targetE1EEEvSL_,comdat
.Lfunc_end1444:
	.size	_ZN7rocprim17ROCPRIM_400000_NS6detail17trampoline_kernelINS0_14default_configENS1_38merge_sort_block_merge_config_selectorI14custom_numericNS0_10empty_typeEEEZZNS1_27merge_sort_block_merge_implIS3_N6thrust23THRUST_200600_302600_NS6detail15normal_iteratorINSA_10device_ptrIS5_EEEEPS6_mNSA_4lessIS5_EEEE10hipError_tT0_T1_T2_jT3_P12ihipStream_tbPNSt15iterator_traitsISK_E10value_typeEPNSQ_ISL_E10value_typeEPSM_NS1_7vsmem_tEENKUlT_SK_SL_SM_E_clISF_PS5_SG_SG_EESJ_SZ_SK_SL_SM_EUlSZ_E_NS1_11comp_targetILNS1_3genE2ELNS1_11target_archE906ELNS1_3gpuE6ELNS1_3repE0EEENS1_48merge_mergepath_partition_config_static_selectorELNS0_4arch9wavefront6targetE1EEEvSL_, .Lfunc_end1444-_ZN7rocprim17ROCPRIM_400000_NS6detail17trampoline_kernelINS0_14default_configENS1_38merge_sort_block_merge_config_selectorI14custom_numericNS0_10empty_typeEEEZZNS1_27merge_sort_block_merge_implIS3_N6thrust23THRUST_200600_302600_NS6detail15normal_iteratorINSA_10device_ptrIS5_EEEEPS6_mNSA_4lessIS5_EEEE10hipError_tT0_T1_T2_jT3_P12ihipStream_tbPNSt15iterator_traitsISK_E10value_typeEPNSQ_ISL_E10value_typeEPSM_NS1_7vsmem_tEENKUlT_SK_SL_SM_E_clISF_PS5_SG_SG_EESJ_SZ_SK_SL_SM_EUlSZ_E_NS1_11comp_targetILNS1_3genE2ELNS1_11target_archE906ELNS1_3gpuE6ELNS1_3repE0EEENS1_48merge_mergepath_partition_config_static_selectorELNS0_4arch9wavefront6targetE1EEEvSL_
                                        ; -- End function
	.section	.AMDGPU.csdata,"",@progbits
; Kernel info:
; codeLenInByte = 0
; NumSgprs: 4
; NumVgprs: 0
; NumAgprs: 0
; TotalNumVgprs: 0
; ScratchSize: 0
; MemoryBound: 0
; FloatMode: 240
; IeeeMode: 1
; LDSByteSize: 0 bytes/workgroup (compile time only)
; SGPRBlocks: 0
; VGPRBlocks: 0
; NumSGPRsForWavesPerEU: 4
; NumVGPRsForWavesPerEU: 1
; AccumOffset: 4
; Occupancy: 8
; WaveLimiterHint : 0
; COMPUTE_PGM_RSRC2:SCRATCH_EN: 0
; COMPUTE_PGM_RSRC2:USER_SGPR: 6
; COMPUTE_PGM_RSRC2:TRAP_HANDLER: 0
; COMPUTE_PGM_RSRC2:TGID_X_EN: 1
; COMPUTE_PGM_RSRC2:TGID_Y_EN: 0
; COMPUTE_PGM_RSRC2:TGID_Z_EN: 0
; COMPUTE_PGM_RSRC2:TIDIG_COMP_CNT: 0
; COMPUTE_PGM_RSRC3_GFX90A:ACCUM_OFFSET: 0
; COMPUTE_PGM_RSRC3_GFX90A:TG_SPLIT: 0
	.section	.text._ZN7rocprim17ROCPRIM_400000_NS6detail17trampoline_kernelINS0_14default_configENS1_38merge_sort_block_merge_config_selectorI14custom_numericNS0_10empty_typeEEEZZNS1_27merge_sort_block_merge_implIS3_N6thrust23THRUST_200600_302600_NS6detail15normal_iteratorINSA_10device_ptrIS5_EEEEPS6_mNSA_4lessIS5_EEEE10hipError_tT0_T1_T2_jT3_P12ihipStream_tbPNSt15iterator_traitsISK_E10value_typeEPNSQ_ISL_E10value_typeEPSM_NS1_7vsmem_tEENKUlT_SK_SL_SM_E_clISF_PS5_SG_SG_EESJ_SZ_SK_SL_SM_EUlSZ_E_NS1_11comp_targetILNS1_3genE9ELNS1_11target_archE1100ELNS1_3gpuE3ELNS1_3repE0EEENS1_48merge_mergepath_partition_config_static_selectorELNS0_4arch9wavefront6targetE1EEEvSL_,"axG",@progbits,_ZN7rocprim17ROCPRIM_400000_NS6detail17trampoline_kernelINS0_14default_configENS1_38merge_sort_block_merge_config_selectorI14custom_numericNS0_10empty_typeEEEZZNS1_27merge_sort_block_merge_implIS3_N6thrust23THRUST_200600_302600_NS6detail15normal_iteratorINSA_10device_ptrIS5_EEEEPS6_mNSA_4lessIS5_EEEE10hipError_tT0_T1_T2_jT3_P12ihipStream_tbPNSt15iterator_traitsISK_E10value_typeEPNSQ_ISL_E10value_typeEPSM_NS1_7vsmem_tEENKUlT_SK_SL_SM_E_clISF_PS5_SG_SG_EESJ_SZ_SK_SL_SM_EUlSZ_E_NS1_11comp_targetILNS1_3genE9ELNS1_11target_archE1100ELNS1_3gpuE3ELNS1_3repE0EEENS1_48merge_mergepath_partition_config_static_selectorELNS0_4arch9wavefront6targetE1EEEvSL_,comdat
	.protected	_ZN7rocprim17ROCPRIM_400000_NS6detail17trampoline_kernelINS0_14default_configENS1_38merge_sort_block_merge_config_selectorI14custom_numericNS0_10empty_typeEEEZZNS1_27merge_sort_block_merge_implIS3_N6thrust23THRUST_200600_302600_NS6detail15normal_iteratorINSA_10device_ptrIS5_EEEEPS6_mNSA_4lessIS5_EEEE10hipError_tT0_T1_T2_jT3_P12ihipStream_tbPNSt15iterator_traitsISK_E10value_typeEPNSQ_ISL_E10value_typeEPSM_NS1_7vsmem_tEENKUlT_SK_SL_SM_E_clISF_PS5_SG_SG_EESJ_SZ_SK_SL_SM_EUlSZ_E_NS1_11comp_targetILNS1_3genE9ELNS1_11target_archE1100ELNS1_3gpuE3ELNS1_3repE0EEENS1_48merge_mergepath_partition_config_static_selectorELNS0_4arch9wavefront6targetE1EEEvSL_ ; -- Begin function _ZN7rocprim17ROCPRIM_400000_NS6detail17trampoline_kernelINS0_14default_configENS1_38merge_sort_block_merge_config_selectorI14custom_numericNS0_10empty_typeEEEZZNS1_27merge_sort_block_merge_implIS3_N6thrust23THRUST_200600_302600_NS6detail15normal_iteratorINSA_10device_ptrIS5_EEEEPS6_mNSA_4lessIS5_EEEE10hipError_tT0_T1_T2_jT3_P12ihipStream_tbPNSt15iterator_traitsISK_E10value_typeEPNSQ_ISL_E10value_typeEPSM_NS1_7vsmem_tEENKUlT_SK_SL_SM_E_clISF_PS5_SG_SG_EESJ_SZ_SK_SL_SM_EUlSZ_E_NS1_11comp_targetILNS1_3genE9ELNS1_11target_archE1100ELNS1_3gpuE3ELNS1_3repE0EEENS1_48merge_mergepath_partition_config_static_selectorELNS0_4arch9wavefront6targetE1EEEvSL_
	.globl	_ZN7rocprim17ROCPRIM_400000_NS6detail17trampoline_kernelINS0_14default_configENS1_38merge_sort_block_merge_config_selectorI14custom_numericNS0_10empty_typeEEEZZNS1_27merge_sort_block_merge_implIS3_N6thrust23THRUST_200600_302600_NS6detail15normal_iteratorINSA_10device_ptrIS5_EEEEPS6_mNSA_4lessIS5_EEEE10hipError_tT0_T1_T2_jT3_P12ihipStream_tbPNSt15iterator_traitsISK_E10value_typeEPNSQ_ISL_E10value_typeEPSM_NS1_7vsmem_tEENKUlT_SK_SL_SM_E_clISF_PS5_SG_SG_EESJ_SZ_SK_SL_SM_EUlSZ_E_NS1_11comp_targetILNS1_3genE9ELNS1_11target_archE1100ELNS1_3gpuE3ELNS1_3repE0EEENS1_48merge_mergepath_partition_config_static_selectorELNS0_4arch9wavefront6targetE1EEEvSL_
	.p2align	8
	.type	_ZN7rocprim17ROCPRIM_400000_NS6detail17trampoline_kernelINS0_14default_configENS1_38merge_sort_block_merge_config_selectorI14custom_numericNS0_10empty_typeEEEZZNS1_27merge_sort_block_merge_implIS3_N6thrust23THRUST_200600_302600_NS6detail15normal_iteratorINSA_10device_ptrIS5_EEEEPS6_mNSA_4lessIS5_EEEE10hipError_tT0_T1_T2_jT3_P12ihipStream_tbPNSt15iterator_traitsISK_E10value_typeEPNSQ_ISL_E10value_typeEPSM_NS1_7vsmem_tEENKUlT_SK_SL_SM_E_clISF_PS5_SG_SG_EESJ_SZ_SK_SL_SM_EUlSZ_E_NS1_11comp_targetILNS1_3genE9ELNS1_11target_archE1100ELNS1_3gpuE3ELNS1_3repE0EEENS1_48merge_mergepath_partition_config_static_selectorELNS0_4arch9wavefront6targetE1EEEvSL_,@function
_ZN7rocprim17ROCPRIM_400000_NS6detail17trampoline_kernelINS0_14default_configENS1_38merge_sort_block_merge_config_selectorI14custom_numericNS0_10empty_typeEEEZZNS1_27merge_sort_block_merge_implIS3_N6thrust23THRUST_200600_302600_NS6detail15normal_iteratorINSA_10device_ptrIS5_EEEEPS6_mNSA_4lessIS5_EEEE10hipError_tT0_T1_T2_jT3_P12ihipStream_tbPNSt15iterator_traitsISK_E10value_typeEPNSQ_ISL_E10value_typeEPSM_NS1_7vsmem_tEENKUlT_SK_SL_SM_E_clISF_PS5_SG_SG_EESJ_SZ_SK_SL_SM_EUlSZ_E_NS1_11comp_targetILNS1_3genE9ELNS1_11target_archE1100ELNS1_3gpuE3ELNS1_3repE0EEENS1_48merge_mergepath_partition_config_static_selectorELNS0_4arch9wavefront6targetE1EEEvSL_: ; @_ZN7rocprim17ROCPRIM_400000_NS6detail17trampoline_kernelINS0_14default_configENS1_38merge_sort_block_merge_config_selectorI14custom_numericNS0_10empty_typeEEEZZNS1_27merge_sort_block_merge_implIS3_N6thrust23THRUST_200600_302600_NS6detail15normal_iteratorINSA_10device_ptrIS5_EEEEPS6_mNSA_4lessIS5_EEEE10hipError_tT0_T1_T2_jT3_P12ihipStream_tbPNSt15iterator_traitsISK_E10value_typeEPNSQ_ISL_E10value_typeEPSM_NS1_7vsmem_tEENKUlT_SK_SL_SM_E_clISF_PS5_SG_SG_EESJ_SZ_SK_SL_SM_EUlSZ_E_NS1_11comp_targetILNS1_3genE9ELNS1_11target_archE1100ELNS1_3gpuE3ELNS1_3repE0EEENS1_48merge_mergepath_partition_config_static_selectorELNS0_4arch9wavefront6targetE1EEEvSL_
; %bb.0:
	.section	.rodata,"a",@progbits
	.p2align	6, 0x0
	.amdhsa_kernel _ZN7rocprim17ROCPRIM_400000_NS6detail17trampoline_kernelINS0_14default_configENS1_38merge_sort_block_merge_config_selectorI14custom_numericNS0_10empty_typeEEEZZNS1_27merge_sort_block_merge_implIS3_N6thrust23THRUST_200600_302600_NS6detail15normal_iteratorINSA_10device_ptrIS5_EEEEPS6_mNSA_4lessIS5_EEEE10hipError_tT0_T1_T2_jT3_P12ihipStream_tbPNSt15iterator_traitsISK_E10value_typeEPNSQ_ISL_E10value_typeEPSM_NS1_7vsmem_tEENKUlT_SK_SL_SM_E_clISF_PS5_SG_SG_EESJ_SZ_SK_SL_SM_EUlSZ_E_NS1_11comp_targetILNS1_3genE9ELNS1_11target_archE1100ELNS1_3gpuE3ELNS1_3repE0EEENS1_48merge_mergepath_partition_config_static_selectorELNS0_4arch9wavefront6targetE1EEEvSL_
		.amdhsa_group_segment_fixed_size 0
		.amdhsa_private_segment_fixed_size 0
		.amdhsa_kernarg_size 48
		.amdhsa_user_sgpr_count 6
		.amdhsa_user_sgpr_private_segment_buffer 1
		.amdhsa_user_sgpr_dispatch_ptr 0
		.amdhsa_user_sgpr_queue_ptr 0
		.amdhsa_user_sgpr_kernarg_segment_ptr 1
		.amdhsa_user_sgpr_dispatch_id 0
		.amdhsa_user_sgpr_flat_scratch_init 0
		.amdhsa_user_sgpr_kernarg_preload_length 0
		.amdhsa_user_sgpr_kernarg_preload_offset 0
		.amdhsa_user_sgpr_private_segment_size 0
		.amdhsa_uses_dynamic_stack 0
		.amdhsa_system_sgpr_private_segment_wavefront_offset 0
		.amdhsa_system_sgpr_workgroup_id_x 1
		.amdhsa_system_sgpr_workgroup_id_y 0
		.amdhsa_system_sgpr_workgroup_id_z 0
		.amdhsa_system_sgpr_workgroup_info 0
		.amdhsa_system_vgpr_workitem_id 0
		.amdhsa_next_free_vgpr 1
		.amdhsa_next_free_sgpr 0
		.amdhsa_accum_offset 4
		.amdhsa_reserve_vcc 0
		.amdhsa_reserve_flat_scratch 0
		.amdhsa_float_round_mode_32 0
		.amdhsa_float_round_mode_16_64 0
		.amdhsa_float_denorm_mode_32 3
		.amdhsa_float_denorm_mode_16_64 3
		.amdhsa_dx10_clamp 1
		.amdhsa_ieee_mode 1
		.amdhsa_fp16_overflow 0
		.amdhsa_tg_split 0
		.amdhsa_exception_fp_ieee_invalid_op 0
		.amdhsa_exception_fp_denorm_src 0
		.amdhsa_exception_fp_ieee_div_zero 0
		.amdhsa_exception_fp_ieee_overflow 0
		.amdhsa_exception_fp_ieee_underflow 0
		.amdhsa_exception_fp_ieee_inexact 0
		.amdhsa_exception_int_div_zero 0
	.end_amdhsa_kernel
	.section	.text._ZN7rocprim17ROCPRIM_400000_NS6detail17trampoline_kernelINS0_14default_configENS1_38merge_sort_block_merge_config_selectorI14custom_numericNS0_10empty_typeEEEZZNS1_27merge_sort_block_merge_implIS3_N6thrust23THRUST_200600_302600_NS6detail15normal_iteratorINSA_10device_ptrIS5_EEEEPS6_mNSA_4lessIS5_EEEE10hipError_tT0_T1_T2_jT3_P12ihipStream_tbPNSt15iterator_traitsISK_E10value_typeEPNSQ_ISL_E10value_typeEPSM_NS1_7vsmem_tEENKUlT_SK_SL_SM_E_clISF_PS5_SG_SG_EESJ_SZ_SK_SL_SM_EUlSZ_E_NS1_11comp_targetILNS1_3genE9ELNS1_11target_archE1100ELNS1_3gpuE3ELNS1_3repE0EEENS1_48merge_mergepath_partition_config_static_selectorELNS0_4arch9wavefront6targetE1EEEvSL_,"axG",@progbits,_ZN7rocprim17ROCPRIM_400000_NS6detail17trampoline_kernelINS0_14default_configENS1_38merge_sort_block_merge_config_selectorI14custom_numericNS0_10empty_typeEEEZZNS1_27merge_sort_block_merge_implIS3_N6thrust23THRUST_200600_302600_NS6detail15normal_iteratorINSA_10device_ptrIS5_EEEEPS6_mNSA_4lessIS5_EEEE10hipError_tT0_T1_T2_jT3_P12ihipStream_tbPNSt15iterator_traitsISK_E10value_typeEPNSQ_ISL_E10value_typeEPSM_NS1_7vsmem_tEENKUlT_SK_SL_SM_E_clISF_PS5_SG_SG_EESJ_SZ_SK_SL_SM_EUlSZ_E_NS1_11comp_targetILNS1_3genE9ELNS1_11target_archE1100ELNS1_3gpuE3ELNS1_3repE0EEENS1_48merge_mergepath_partition_config_static_selectorELNS0_4arch9wavefront6targetE1EEEvSL_,comdat
.Lfunc_end1445:
	.size	_ZN7rocprim17ROCPRIM_400000_NS6detail17trampoline_kernelINS0_14default_configENS1_38merge_sort_block_merge_config_selectorI14custom_numericNS0_10empty_typeEEEZZNS1_27merge_sort_block_merge_implIS3_N6thrust23THRUST_200600_302600_NS6detail15normal_iteratorINSA_10device_ptrIS5_EEEEPS6_mNSA_4lessIS5_EEEE10hipError_tT0_T1_T2_jT3_P12ihipStream_tbPNSt15iterator_traitsISK_E10value_typeEPNSQ_ISL_E10value_typeEPSM_NS1_7vsmem_tEENKUlT_SK_SL_SM_E_clISF_PS5_SG_SG_EESJ_SZ_SK_SL_SM_EUlSZ_E_NS1_11comp_targetILNS1_3genE9ELNS1_11target_archE1100ELNS1_3gpuE3ELNS1_3repE0EEENS1_48merge_mergepath_partition_config_static_selectorELNS0_4arch9wavefront6targetE1EEEvSL_, .Lfunc_end1445-_ZN7rocprim17ROCPRIM_400000_NS6detail17trampoline_kernelINS0_14default_configENS1_38merge_sort_block_merge_config_selectorI14custom_numericNS0_10empty_typeEEEZZNS1_27merge_sort_block_merge_implIS3_N6thrust23THRUST_200600_302600_NS6detail15normal_iteratorINSA_10device_ptrIS5_EEEEPS6_mNSA_4lessIS5_EEEE10hipError_tT0_T1_T2_jT3_P12ihipStream_tbPNSt15iterator_traitsISK_E10value_typeEPNSQ_ISL_E10value_typeEPSM_NS1_7vsmem_tEENKUlT_SK_SL_SM_E_clISF_PS5_SG_SG_EESJ_SZ_SK_SL_SM_EUlSZ_E_NS1_11comp_targetILNS1_3genE9ELNS1_11target_archE1100ELNS1_3gpuE3ELNS1_3repE0EEENS1_48merge_mergepath_partition_config_static_selectorELNS0_4arch9wavefront6targetE1EEEvSL_
                                        ; -- End function
	.section	.AMDGPU.csdata,"",@progbits
; Kernel info:
; codeLenInByte = 0
; NumSgprs: 4
; NumVgprs: 0
; NumAgprs: 0
; TotalNumVgprs: 0
; ScratchSize: 0
; MemoryBound: 0
; FloatMode: 240
; IeeeMode: 1
; LDSByteSize: 0 bytes/workgroup (compile time only)
; SGPRBlocks: 0
; VGPRBlocks: 0
; NumSGPRsForWavesPerEU: 4
; NumVGPRsForWavesPerEU: 1
; AccumOffset: 4
; Occupancy: 8
; WaveLimiterHint : 0
; COMPUTE_PGM_RSRC2:SCRATCH_EN: 0
; COMPUTE_PGM_RSRC2:USER_SGPR: 6
; COMPUTE_PGM_RSRC2:TRAP_HANDLER: 0
; COMPUTE_PGM_RSRC2:TGID_X_EN: 1
; COMPUTE_PGM_RSRC2:TGID_Y_EN: 0
; COMPUTE_PGM_RSRC2:TGID_Z_EN: 0
; COMPUTE_PGM_RSRC2:TIDIG_COMP_CNT: 0
; COMPUTE_PGM_RSRC3_GFX90A:ACCUM_OFFSET: 0
; COMPUTE_PGM_RSRC3_GFX90A:TG_SPLIT: 0
	.section	.text._ZN7rocprim17ROCPRIM_400000_NS6detail17trampoline_kernelINS0_14default_configENS1_38merge_sort_block_merge_config_selectorI14custom_numericNS0_10empty_typeEEEZZNS1_27merge_sort_block_merge_implIS3_N6thrust23THRUST_200600_302600_NS6detail15normal_iteratorINSA_10device_ptrIS5_EEEEPS6_mNSA_4lessIS5_EEEE10hipError_tT0_T1_T2_jT3_P12ihipStream_tbPNSt15iterator_traitsISK_E10value_typeEPNSQ_ISL_E10value_typeEPSM_NS1_7vsmem_tEENKUlT_SK_SL_SM_E_clISF_PS5_SG_SG_EESJ_SZ_SK_SL_SM_EUlSZ_E_NS1_11comp_targetILNS1_3genE8ELNS1_11target_archE1030ELNS1_3gpuE2ELNS1_3repE0EEENS1_48merge_mergepath_partition_config_static_selectorELNS0_4arch9wavefront6targetE1EEEvSL_,"axG",@progbits,_ZN7rocprim17ROCPRIM_400000_NS6detail17trampoline_kernelINS0_14default_configENS1_38merge_sort_block_merge_config_selectorI14custom_numericNS0_10empty_typeEEEZZNS1_27merge_sort_block_merge_implIS3_N6thrust23THRUST_200600_302600_NS6detail15normal_iteratorINSA_10device_ptrIS5_EEEEPS6_mNSA_4lessIS5_EEEE10hipError_tT0_T1_T2_jT3_P12ihipStream_tbPNSt15iterator_traitsISK_E10value_typeEPNSQ_ISL_E10value_typeEPSM_NS1_7vsmem_tEENKUlT_SK_SL_SM_E_clISF_PS5_SG_SG_EESJ_SZ_SK_SL_SM_EUlSZ_E_NS1_11comp_targetILNS1_3genE8ELNS1_11target_archE1030ELNS1_3gpuE2ELNS1_3repE0EEENS1_48merge_mergepath_partition_config_static_selectorELNS0_4arch9wavefront6targetE1EEEvSL_,comdat
	.protected	_ZN7rocprim17ROCPRIM_400000_NS6detail17trampoline_kernelINS0_14default_configENS1_38merge_sort_block_merge_config_selectorI14custom_numericNS0_10empty_typeEEEZZNS1_27merge_sort_block_merge_implIS3_N6thrust23THRUST_200600_302600_NS6detail15normal_iteratorINSA_10device_ptrIS5_EEEEPS6_mNSA_4lessIS5_EEEE10hipError_tT0_T1_T2_jT3_P12ihipStream_tbPNSt15iterator_traitsISK_E10value_typeEPNSQ_ISL_E10value_typeEPSM_NS1_7vsmem_tEENKUlT_SK_SL_SM_E_clISF_PS5_SG_SG_EESJ_SZ_SK_SL_SM_EUlSZ_E_NS1_11comp_targetILNS1_3genE8ELNS1_11target_archE1030ELNS1_3gpuE2ELNS1_3repE0EEENS1_48merge_mergepath_partition_config_static_selectorELNS0_4arch9wavefront6targetE1EEEvSL_ ; -- Begin function _ZN7rocprim17ROCPRIM_400000_NS6detail17trampoline_kernelINS0_14default_configENS1_38merge_sort_block_merge_config_selectorI14custom_numericNS0_10empty_typeEEEZZNS1_27merge_sort_block_merge_implIS3_N6thrust23THRUST_200600_302600_NS6detail15normal_iteratorINSA_10device_ptrIS5_EEEEPS6_mNSA_4lessIS5_EEEE10hipError_tT0_T1_T2_jT3_P12ihipStream_tbPNSt15iterator_traitsISK_E10value_typeEPNSQ_ISL_E10value_typeEPSM_NS1_7vsmem_tEENKUlT_SK_SL_SM_E_clISF_PS5_SG_SG_EESJ_SZ_SK_SL_SM_EUlSZ_E_NS1_11comp_targetILNS1_3genE8ELNS1_11target_archE1030ELNS1_3gpuE2ELNS1_3repE0EEENS1_48merge_mergepath_partition_config_static_selectorELNS0_4arch9wavefront6targetE1EEEvSL_
	.globl	_ZN7rocprim17ROCPRIM_400000_NS6detail17trampoline_kernelINS0_14default_configENS1_38merge_sort_block_merge_config_selectorI14custom_numericNS0_10empty_typeEEEZZNS1_27merge_sort_block_merge_implIS3_N6thrust23THRUST_200600_302600_NS6detail15normal_iteratorINSA_10device_ptrIS5_EEEEPS6_mNSA_4lessIS5_EEEE10hipError_tT0_T1_T2_jT3_P12ihipStream_tbPNSt15iterator_traitsISK_E10value_typeEPNSQ_ISL_E10value_typeEPSM_NS1_7vsmem_tEENKUlT_SK_SL_SM_E_clISF_PS5_SG_SG_EESJ_SZ_SK_SL_SM_EUlSZ_E_NS1_11comp_targetILNS1_3genE8ELNS1_11target_archE1030ELNS1_3gpuE2ELNS1_3repE0EEENS1_48merge_mergepath_partition_config_static_selectorELNS0_4arch9wavefront6targetE1EEEvSL_
	.p2align	8
	.type	_ZN7rocprim17ROCPRIM_400000_NS6detail17trampoline_kernelINS0_14default_configENS1_38merge_sort_block_merge_config_selectorI14custom_numericNS0_10empty_typeEEEZZNS1_27merge_sort_block_merge_implIS3_N6thrust23THRUST_200600_302600_NS6detail15normal_iteratorINSA_10device_ptrIS5_EEEEPS6_mNSA_4lessIS5_EEEE10hipError_tT0_T1_T2_jT3_P12ihipStream_tbPNSt15iterator_traitsISK_E10value_typeEPNSQ_ISL_E10value_typeEPSM_NS1_7vsmem_tEENKUlT_SK_SL_SM_E_clISF_PS5_SG_SG_EESJ_SZ_SK_SL_SM_EUlSZ_E_NS1_11comp_targetILNS1_3genE8ELNS1_11target_archE1030ELNS1_3gpuE2ELNS1_3repE0EEENS1_48merge_mergepath_partition_config_static_selectorELNS0_4arch9wavefront6targetE1EEEvSL_,@function
_ZN7rocprim17ROCPRIM_400000_NS6detail17trampoline_kernelINS0_14default_configENS1_38merge_sort_block_merge_config_selectorI14custom_numericNS0_10empty_typeEEEZZNS1_27merge_sort_block_merge_implIS3_N6thrust23THRUST_200600_302600_NS6detail15normal_iteratorINSA_10device_ptrIS5_EEEEPS6_mNSA_4lessIS5_EEEE10hipError_tT0_T1_T2_jT3_P12ihipStream_tbPNSt15iterator_traitsISK_E10value_typeEPNSQ_ISL_E10value_typeEPSM_NS1_7vsmem_tEENKUlT_SK_SL_SM_E_clISF_PS5_SG_SG_EESJ_SZ_SK_SL_SM_EUlSZ_E_NS1_11comp_targetILNS1_3genE8ELNS1_11target_archE1030ELNS1_3gpuE2ELNS1_3repE0EEENS1_48merge_mergepath_partition_config_static_selectorELNS0_4arch9wavefront6targetE1EEEvSL_: ; @_ZN7rocprim17ROCPRIM_400000_NS6detail17trampoline_kernelINS0_14default_configENS1_38merge_sort_block_merge_config_selectorI14custom_numericNS0_10empty_typeEEEZZNS1_27merge_sort_block_merge_implIS3_N6thrust23THRUST_200600_302600_NS6detail15normal_iteratorINSA_10device_ptrIS5_EEEEPS6_mNSA_4lessIS5_EEEE10hipError_tT0_T1_T2_jT3_P12ihipStream_tbPNSt15iterator_traitsISK_E10value_typeEPNSQ_ISL_E10value_typeEPSM_NS1_7vsmem_tEENKUlT_SK_SL_SM_E_clISF_PS5_SG_SG_EESJ_SZ_SK_SL_SM_EUlSZ_E_NS1_11comp_targetILNS1_3genE8ELNS1_11target_archE1030ELNS1_3gpuE2ELNS1_3repE0EEENS1_48merge_mergepath_partition_config_static_selectorELNS0_4arch9wavefront6targetE1EEEvSL_
; %bb.0:
	.section	.rodata,"a",@progbits
	.p2align	6, 0x0
	.amdhsa_kernel _ZN7rocprim17ROCPRIM_400000_NS6detail17trampoline_kernelINS0_14default_configENS1_38merge_sort_block_merge_config_selectorI14custom_numericNS0_10empty_typeEEEZZNS1_27merge_sort_block_merge_implIS3_N6thrust23THRUST_200600_302600_NS6detail15normal_iteratorINSA_10device_ptrIS5_EEEEPS6_mNSA_4lessIS5_EEEE10hipError_tT0_T1_T2_jT3_P12ihipStream_tbPNSt15iterator_traitsISK_E10value_typeEPNSQ_ISL_E10value_typeEPSM_NS1_7vsmem_tEENKUlT_SK_SL_SM_E_clISF_PS5_SG_SG_EESJ_SZ_SK_SL_SM_EUlSZ_E_NS1_11comp_targetILNS1_3genE8ELNS1_11target_archE1030ELNS1_3gpuE2ELNS1_3repE0EEENS1_48merge_mergepath_partition_config_static_selectorELNS0_4arch9wavefront6targetE1EEEvSL_
		.amdhsa_group_segment_fixed_size 0
		.amdhsa_private_segment_fixed_size 0
		.amdhsa_kernarg_size 48
		.amdhsa_user_sgpr_count 6
		.amdhsa_user_sgpr_private_segment_buffer 1
		.amdhsa_user_sgpr_dispatch_ptr 0
		.amdhsa_user_sgpr_queue_ptr 0
		.amdhsa_user_sgpr_kernarg_segment_ptr 1
		.amdhsa_user_sgpr_dispatch_id 0
		.amdhsa_user_sgpr_flat_scratch_init 0
		.amdhsa_user_sgpr_kernarg_preload_length 0
		.amdhsa_user_sgpr_kernarg_preload_offset 0
		.amdhsa_user_sgpr_private_segment_size 0
		.amdhsa_uses_dynamic_stack 0
		.amdhsa_system_sgpr_private_segment_wavefront_offset 0
		.amdhsa_system_sgpr_workgroup_id_x 1
		.amdhsa_system_sgpr_workgroup_id_y 0
		.amdhsa_system_sgpr_workgroup_id_z 0
		.amdhsa_system_sgpr_workgroup_info 0
		.amdhsa_system_vgpr_workitem_id 0
		.amdhsa_next_free_vgpr 1
		.amdhsa_next_free_sgpr 0
		.amdhsa_accum_offset 4
		.amdhsa_reserve_vcc 0
		.amdhsa_reserve_flat_scratch 0
		.amdhsa_float_round_mode_32 0
		.amdhsa_float_round_mode_16_64 0
		.amdhsa_float_denorm_mode_32 3
		.amdhsa_float_denorm_mode_16_64 3
		.amdhsa_dx10_clamp 1
		.amdhsa_ieee_mode 1
		.amdhsa_fp16_overflow 0
		.amdhsa_tg_split 0
		.amdhsa_exception_fp_ieee_invalid_op 0
		.amdhsa_exception_fp_denorm_src 0
		.amdhsa_exception_fp_ieee_div_zero 0
		.amdhsa_exception_fp_ieee_overflow 0
		.amdhsa_exception_fp_ieee_underflow 0
		.amdhsa_exception_fp_ieee_inexact 0
		.amdhsa_exception_int_div_zero 0
	.end_amdhsa_kernel
	.section	.text._ZN7rocprim17ROCPRIM_400000_NS6detail17trampoline_kernelINS0_14default_configENS1_38merge_sort_block_merge_config_selectorI14custom_numericNS0_10empty_typeEEEZZNS1_27merge_sort_block_merge_implIS3_N6thrust23THRUST_200600_302600_NS6detail15normal_iteratorINSA_10device_ptrIS5_EEEEPS6_mNSA_4lessIS5_EEEE10hipError_tT0_T1_T2_jT3_P12ihipStream_tbPNSt15iterator_traitsISK_E10value_typeEPNSQ_ISL_E10value_typeEPSM_NS1_7vsmem_tEENKUlT_SK_SL_SM_E_clISF_PS5_SG_SG_EESJ_SZ_SK_SL_SM_EUlSZ_E_NS1_11comp_targetILNS1_3genE8ELNS1_11target_archE1030ELNS1_3gpuE2ELNS1_3repE0EEENS1_48merge_mergepath_partition_config_static_selectorELNS0_4arch9wavefront6targetE1EEEvSL_,"axG",@progbits,_ZN7rocprim17ROCPRIM_400000_NS6detail17trampoline_kernelINS0_14default_configENS1_38merge_sort_block_merge_config_selectorI14custom_numericNS0_10empty_typeEEEZZNS1_27merge_sort_block_merge_implIS3_N6thrust23THRUST_200600_302600_NS6detail15normal_iteratorINSA_10device_ptrIS5_EEEEPS6_mNSA_4lessIS5_EEEE10hipError_tT0_T1_T2_jT3_P12ihipStream_tbPNSt15iterator_traitsISK_E10value_typeEPNSQ_ISL_E10value_typeEPSM_NS1_7vsmem_tEENKUlT_SK_SL_SM_E_clISF_PS5_SG_SG_EESJ_SZ_SK_SL_SM_EUlSZ_E_NS1_11comp_targetILNS1_3genE8ELNS1_11target_archE1030ELNS1_3gpuE2ELNS1_3repE0EEENS1_48merge_mergepath_partition_config_static_selectorELNS0_4arch9wavefront6targetE1EEEvSL_,comdat
.Lfunc_end1446:
	.size	_ZN7rocprim17ROCPRIM_400000_NS6detail17trampoline_kernelINS0_14default_configENS1_38merge_sort_block_merge_config_selectorI14custom_numericNS0_10empty_typeEEEZZNS1_27merge_sort_block_merge_implIS3_N6thrust23THRUST_200600_302600_NS6detail15normal_iteratorINSA_10device_ptrIS5_EEEEPS6_mNSA_4lessIS5_EEEE10hipError_tT0_T1_T2_jT3_P12ihipStream_tbPNSt15iterator_traitsISK_E10value_typeEPNSQ_ISL_E10value_typeEPSM_NS1_7vsmem_tEENKUlT_SK_SL_SM_E_clISF_PS5_SG_SG_EESJ_SZ_SK_SL_SM_EUlSZ_E_NS1_11comp_targetILNS1_3genE8ELNS1_11target_archE1030ELNS1_3gpuE2ELNS1_3repE0EEENS1_48merge_mergepath_partition_config_static_selectorELNS0_4arch9wavefront6targetE1EEEvSL_, .Lfunc_end1446-_ZN7rocprim17ROCPRIM_400000_NS6detail17trampoline_kernelINS0_14default_configENS1_38merge_sort_block_merge_config_selectorI14custom_numericNS0_10empty_typeEEEZZNS1_27merge_sort_block_merge_implIS3_N6thrust23THRUST_200600_302600_NS6detail15normal_iteratorINSA_10device_ptrIS5_EEEEPS6_mNSA_4lessIS5_EEEE10hipError_tT0_T1_T2_jT3_P12ihipStream_tbPNSt15iterator_traitsISK_E10value_typeEPNSQ_ISL_E10value_typeEPSM_NS1_7vsmem_tEENKUlT_SK_SL_SM_E_clISF_PS5_SG_SG_EESJ_SZ_SK_SL_SM_EUlSZ_E_NS1_11comp_targetILNS1_3genE8ELNS1_11target_archE1030ELNS1_3gpuE2ELNS1_3repE0EEENS1_48merge_mergepath_partition_config_static_selectorELNS0_4arch9wavefront6targetE1EEEvSL_
                                        ; -- End function
	.section	.AMDGPU.csdata,"",@progbits
; Kernel info:
; codeLenInByte = 0
; NumSgprs: 4
; NumVgprs: 0
; NumAgprs: 0
; TotalNumVgprs: 0
; ScratchSize: 0
; MemoryBound: 0
; FloatMode: 240
; IeeeMode: 1
; LDSByteSize: 0 bytes/workgroup (compile time only)
; SGPRBlocks: 0
; VGPRBlocks: 0
; NumSGPRsForWavesPerEU: 4
; NumVGPRsForWavesPerEU: 1
; AccumOffset: 4
; Occupancy: 8
; WaveLimiterHint : 0
; COMPUTE_PGM_RSRC2:SCRATCH_EN: 0
; COMPUTE_PGM_RSRC2:USER_SGPR: 6
; COMPUTE_PGM_RSRC2:TRAP_HANDLER: 0
; COMPUTE_PGM_RSRC2:TGID_X_EN: 1
; COMPUTE_PGM_RSRC2:TGID_Y_EN: 0
; COMPUTE_PGM_RSRC2:TGID_Z_EN: 0
; COMPUTE_PGM_RSRC2:TIDIG_COMP_CNT: 0
; COMPUTE_PGM_RSRC3_GFX90A:ACCUM_OFFSET: 0
; COMPUTE_PGM_RSRC3_GFX90A:TG_SPLIT: 0
	.section	.text._ZN7rocprim17ROCPRIM_400000_NS6detail17trampoline_kernelINS0_14default_configENS1_38merge_sort_block_merge_config_selectorI14custom_numericNS0_10empty_typeEEEZZNS1_27merge_sort_block_merge_implIS3_N6thrust23THRUST_200600_302600_NS6detail15normal_iteratorINSA_10device_ptrIS5_EEEEPS6_mNSA_4lessIS5_EEEE10hipError_tT0_T1_T2_jT3_P12ihipStream_tbPNSt15iterator_traitsISK_E10value_typeEPNSQ_ISL_E10value_typeEPSM_NS1_7vsmem_tEENKUlT_SK_SL_SM_E_clISF_PS5_SG_SG_EESJ_SZ_SK_SL_SM_EUlSZ_E0_NS1_11comp_targetILNS1_3genE0ELNS1_11target_archE4294967295ELNS1_3gpuE0ELNS1_3repE0EEENS1_38merge_mergepath_config_static_selectorELNS0_4arch9wavefront6targetE1EEEvSL_,"axG",@progbits,_ZN7rocprim17ROCPRIM_400000_NS6detail17trampoline_kernelINS0_14default_configENS1_38merge_sort_block_merge_config_selectorI14custom_numericNS0_10empty_typeEEEZZNS1_27merge_sort_block_merge_implIS3_N6thrust23THRUST_200600_302600_NS6detail15normal_iteratorINSA_10device_ptrIS5_EEEEPS6_mNSA_4lessIS5_EEEE10hipError_tT0_T1_T2_jT3_P12ihipStream_tbPNSt15iterator_traitsISK_E10value_typeEPNSQ_ISL_E10value_typeEPSM_NS1_7vsmem_tEENKUlT_SK_SL_SM_E_clISF_PS5_SG_SG_EESJ_SZ_SK_SL_SM_EUlSZ_E0_NS1_11comp_targetILNS1_3genE0ELNS1_11target_archE4294967295ELNS1_3gpuE0ELNS1_3repE0EEENS1_38merge_mergepath_config_static_selectorELNS0_4arch9wavefront6targetE1EEEvSL_,comdat
	.protected	_ZN7rocprim17ROCPRIM_400000_NS6detail17trampoline_kernelINS0_14default_configENS1_38merge_sort_block_merge_config_selectorI14custom_numericNS0_10empty_typeEEEZZNS1_27merge_sort_block_merge_implIS3_N6thrust23THRUST_200600_302600_NS6detail15normal_iteratorINSA_10device_ptrIS5_EEEEPS6_mNSA_4lessIS5_EEEE10hipError_tT0_T1_T2_jT3_P12ihipStream_tbPNSt15iterator_traitsISK_E10value_typeEPNSQ_ISL_E10value_typeEPSM_NS1_7vsmem_tEENKUlT_SK_SL_SM_E_clISF_PS5_SG_SG_EESJ_SZ_SK_SL_SM_EUlSZ_E0_NS1_11comp_targetILNS1_3genE0ELNS1_11target_archE4294967295ELNS1_3gpuE0ELNS1_3repE0EEENS1_38merge_mergepath_config_static_selectorELNS0_4arch9wavefront6targetE1EEEvSL_ ; -- Begin function _ZN7rocprim17ROCPRIM_400000_NS6detail17trampoline_kernelINS0_14default_configENS1_38merge_sort_block_merge_config_selectorI14custom_numericNS0_10empty_typeEEEZZNS1_27merge_sort_block_merge_implIS3_N6thrust23THRUST_200600_302600_NS6detail15normal_iteratorINSA_10device_ptrIS5_EEEEPS6_mNSA_4lessIS5_EEEE10hipError_tT0_T1_T2_jT3_P12ihipStream_tbPNSt15iterator_traitsISK_E10value_typeEPNSQ_ISL_E10value_typeEPSM_NS1_7vsmem_tEENKUlT_SK_SL_SM_E_clISF_PS5_SG_SG_EESJ_SZ_SK_SL_SM_EUlSZ_E0_NS1_11comp_targetILNS1_3genE0ELNS1_11target_archE4294967295ELNS1_3gpuE0ELNS1_3repE0EEENS1_38merge_mergepath_config_static_selectorELNS0_4arch9wavefront6targetE1EEEvSL_
	.globl	_ZN7rocprim17ROCPRIM_400000_NS6detail17trampoline_kernelINS0_14default_configENS1_38merge_sort_block_merge_config_selectorI14custom_numericNS0_10empty_typeEEEZZNS1_27merge_sort_block_merge_implIS3_N6thrust23THRUST_200600_302600_NS6detail15normal_iteratorINSA_10device_ptrIS5_EEEEPS6_mNSA_4lessIS5_EEEE10hipError_tT0_T1_T2_jT3_P12ihipStream_tbPNSt15iterator_traitsISK_E10value_typeEPNSQ_ISL_E10value_typeEPSM_NS1_7vsmem_tEENKUlT_SK_SL_SM_E_clISF_PS5_SG_SG_EESJ_SZ_SK_SL_SM_EUlSZ_E0_NS1_11comp_targetILNS1_3genE0ELNS1_11target_archE4294967295ELNS1_3gpuE0ELNS1_3repE0EEENS1_38merge_mergepath_config_static_selectorELNS0_4arch9wavefront6targetE1EEEvSL_
	.p2align	8
	.type	_ZN7rocprim17ROCPRIM_400000_NS6detail17trampoline_kernelINS0_14default_configENS1_38merge_sort_block_merge_config_selectorI14custom_numericNS0_10empty_typeEEEZZNS1_27merge_sort_block_merge_implIS3_N6thrust23THRUST_200600_302600_NS6detail15normal_iteratorINSA_10device_ptrIS5_EEEEPS6_mNSA_4lessIS5_EEEE10hipError_tT0_T1_T2_jT3_P12ihipStream_tbPNSt15iterator_traitsISK_E10value_typeEPNSQ_ISL_E10value_typeEPSM_NS1_7vsmem_tEENKUlT_SK_SL_SM_E_clISF_PS5_SG_SG_EESJ_SZ_SK_SL_SM_EUlSZ_E0_NS1_11comp_targetILNS1_3genE0ELNS1_11target_archE4294967295ELNS1_3gpuE0ELNS1_3repE0EEENS1_38merge_mergepath_config_static_selectorELNS0_4arch9wavefront6targetE1EEEvSL_,@function
_ZN7rocprim17ROCPRIM_400000_NS6detail17trampoline_kernelINS0_14default_configENS1_38merge_sort_block_merge_config_selectorI14custom_numericNS0_10empty_typeEEEZZNS1_27merge_sort_block_merge_implIS3_N6thrust23THRUST_200600_302600_NS6detail15normal_iteratorINSA_10device_ptrIS5_EEEEPS6_mNSA_4lessIS5_EEEE10hipError_tT0_T1_T2_jT3_P12ihipStream_tbPNSt15iterator_traitsISK_E10value_typeEPNSQ_ISL_E10value_typeEPSM_NS1_7vsmem_tEENKUlT_SK_SL_SM_E_clISF_PS5_SG_SG_EESJ_SZ_SK_SL_SM_EUlSZ_E0_NS1_11comp_targetILNS1_3genE0ELNS1_11target_archE4294967295ELNS1_3gpuE0ELNS1_3repE0EEENS1_38merge_mergepath_config_static_selectorELNS0_4arch9wavefront6targetE1EEEvSL_: ; @_ZN7rocprim17ROCPRIM_400000_NS6detail17trampoline_kernelINS0_14default_configENS1_38merge_sort_block_merge_config_selectorI14custom_numericNS0_10empty_typeEEEZZNS1_27merge_sort_block_merge_implIS3_N6thrust23THRUST_200600_302600_NS6detail15normal_iteratorINSA_10device_ptrIS5_EEEEPS6_mNSA_4lessIS5_EEEE10hipError_tT0_T1_T2_jT3_P12ihipStream_tbPNSt15iterator_traitsISK_E10value_typeEPNSQ_ISL_E10value_typeEPSM_NS1_7vsmem_tEENKUlT_SK_SL_SM_E_clISF_PS5_SG_SG_EESJ_SZ_SK_SL_SM_EUlSZ_E0_NS1_11comp_targetILNS1_3genE0ELNS1_11target_archE4294967295ELNS1_3gpuE0ELNS1_3repE0EEENS1_38merge_mergepath_config_static_selectorELNS0_4arch9wavefront6targetE1EEEvSL_
; %bb.0:
	.section	.rodata,"a",@progbits
	.p2align	6, 0x0
	.amdhsa_kernel _ZN7rocprim17ROCPRIM_400000_NS6detail17trampoline_kernelINS0_14default_configENS1_38merge_sort_block_merge_config_selectorI14custom_numericNS0_10empty_typeEEEZZNS1_27merge_sort_block_merge_implIS3_N6thrust23THRUST_200600_302600_NS6detail15normal_iteratorINSA_10device_ptrIS5_EEEEPS6_mNSA_4lessIS5_EEEE10hipError_tT0_T1_T2_jT3_P12ihipStream_tbPNSt15iterator_traitsISK_E10value_typeEPNSQ_ISL_E10value_typeEPSM_NS1_7vsmem_tEENKUlT_SK_SL_SM_E_clISF_PS5_SG_SG_EESJ_SZ_SK_SL_SM_EUlSZ_E0_NS1_11comp_targetILNS1_3genE0ELNS1_11target_archE4294967295ELNS1_3gpuE0ELNS1_3repE0EEENS1_38merge_mergepath_config_static_selectorELNS0_4arch9wavefront6targetE1EEEvSL_
		.amdhsa_group_segment_fixed_size 0
		.amdhsa_private_segment_fixed_size 0
		.amdhsa_kernarg_size 72
		.amdhsa_user_sgpr_count 6
		.amdhsa_user_sgpr_private_segment_buffer 1
		.amdhsa_user_sgpr_dispatch_ptr 0
		.amdhsa_user_sgpr_queue_ptr 0
		.amdhsa_user_sgpr_kernarg_segment_ptr 1
		.amdhsa_user_sgpr_dispatch_id 0
		.amdhsa_user_sgpr_flat_scratch_init 0
		.amdhsa_user_sgpr_kernarg_preload_length 0
		.amdhsa_user_sgpr_kernarg_preload_offset 0
		.amdhsa_user_sgpr_private_segment_size 0
		.amdhsa_uses_dynamic_stack 0
		.amdhsa_system_sgpr_private_segment_wavefront_offset 0
		.amdhsa_system_sgpr_workgroup_id_x 1
		.amdhsa_system_sgpr_workgroup_id_y 0
		.amdhsa_system_sgpr_workgroup_id_z 0
		.amdhsa_system_sgpr_workgroup_info 0
		.amdhsa_system_vgpr_workitem_id 0
		.amdhsa_next_free_vgpr 1
		.amdhsa_next_free_sgpr 0
		.amdhsa_accum_offset 4
		.amdhsa_reserve_vcc 0
		.amdhsa_reserve_flat_scratch 0
		.amdhsa_float_round_mode_32 0
		.amdhsa_float_round_mode_16_64 0
		.amdhsa_float_denorm_mode_32 3
		.amdhsa_float_denorm_mode_16_64 3
		.amdhsa_dx10_clamp 1
		.amdhsa_ieee_mode 1
		.amdhsa_fp16_overflow 0
		.amdhsa_tg_split 0
		.amdhsa_exception_fp_ieee_invalid_op 0
		.amdhsa_exception_fp_denorm_src 0
		.amdhsa_exception_fp_ieee_div_zero 0
		.amdhsa_exception_fp_ieee_overflow 0
		.amdhsa_exception_fp_ieee_underflow 0
		.amdhsa_exception_fp_ieee_inexact 0
		.amdhsa_exception_int_div_zero 0
	.end_amdhsa_kernel
	.section	.text._ZN7rocprim17ROCPRIM_400000_NS6detail17trampoline_kernelINS0_14default_configENS1_38merge_sort_block_merge_config_selectorI14custom_numericNS0_10empty_typeEEEZZNS1_27merge_sort_block_merge_implIS3_N6thrust23THRUST_200600_302600_NS6detail15normal_iteratorINSA_10device_ptrIS5_EEEEPS6_mNSA_4lessIS5_EEEE10hipError_tT0_T1_T2_jT3_P12ihipStream_tbPNSt15iterator_traitsISK_E10value_typeEPNSQ_ISL_E10value_typeEPSM_NS1_7vsmem_tEENKUlT_SK_SL_SM_E_clISF_PS5_SG_SG_EESJ_SZ_SK_SL_SM_EUlSZ_E0_NS1_11comp_targetILNS1_3genE0ELNS1_11target_archE4294967295ELNS1_3gpuE0ELNS1_3repE0EEENS1_38merge_mergepath_config_static_selectorELNS0_4arch9wavefront6targetE1EEEvSL_,"axG",@progbits,_ZN7rocprim17ROCPRIM_400000_NS6detail17trampoline_kernelINS0_14default_configENS1_38merge_sort_block_merge_config_selectorI14custom_numericNS0_10empty_typeEEEZZNS1_27merge_sort_block_merge_implIS3_N6thrust23THRUST_200600_302600_NS6detail15normal_iteratorINSA_10device_ptrIS5_EEEEPS6_mNSA_4lessIS5_EEEE10hipError_tT0_T1_T2_jT3_P12ihipStream_tbPNSt15iterator_traitsISK_E10value_typeEPNSQ_ISL_E10value_typeEPSM_NS1_7vsmem_tEENKUlT_SK_SL_SM_E_clISF_PS5_SG_SG_EESJ_SZ_SK_SL_SM_EUlSZ_E0_NS1_11comp_targetILNS1_3genE0ELNS1_11target_archE4294967295ELNS1_3gpuE0ELNS1_3repE0EEENS1_38merge_mergepath_config_static_selectorELNS0_4arch9wavefront6targetE1EEEvSL_,comdat
.Lfunc_end1447:
	.size	_ZN7rocprim17ROCPRIM_400000_NS6detail17trampoline_kernelINS0_14default_configENS1_38merge_sort_block_merge_config_selectorI14custom_numericNS0_10empty_typeEEEZZNS1_27merge_sort_block_merge_implIS3_N6thrust23THRUST_200600_302600_NS6detail15normal_iteratorINSA_10device_ptrIS5_EEEEPS6_mNSA_4lessIS5_EEEE10hipError_tT0_T1_T2_jT3_P12ihipStream_tbPNSt15iterator_traitsISK_E10value_typeEPNSQ_ISL_E10value_typeEPSM_NS1_7vsmem_tEENKUlT_SK_SL_SM_E_clISF_PS5_SG_SG_EESJ_SZ_SK_SL_SM_EUlSZ_E0_NS1_11comp_targetILNS1_3genE0ELNS1_11target_archE4294967295ELNS1_3gpuE0ELNS1_3repE0EEENS1_38merge_mergepath_config_static_selectorELNS0_4arch9wavefront6targetE1EEEvSL_, .Lfunc_end1447-_ZN7rocprim17ROCPRIM_400000_NS6detail17trampoline_kernelINS0_14default_configENS1_38merge_sort_block_merge_config_selectorI14custom_numericNS0_10empty_typeEEEZZNS1_27merge_sort_block_merge_implIS3_N6thrust23THRUST_200600_302600_NS6detail15normal_iteratorINSA_10device_ptrIS5_EEEEPS6_mNSA_4lessIS5_EEEE10hipError_tT0_T1_T2_jT3_P12ihipStream_tbPNSt15iterator_traitsISK_E10value_typeEPNSQ_ISL_E10value_typeEPSM_NS1_7vsmem_tEENKUlT_SK_SL_SM_E_clISF_PS5_SG_SG_EESJ_SZ_SK_SL_SM_EUlSZ_E0_NS1_11comp_targetILNS1_3genE0ELNS1_11target_archE4294967295ELNS1_3gpuE0ELNS1_3repE0EEENS1_38merge_mergepath_config_static_selectorELNS0_4arch9wavefront6targetE1EEEvSL_
                                        ; -- End function
	.section	.AMDGPU.csdata,"",@progbits
; Kernel info:
; codeLenInByte = 0
; NumSgprs: 4
; NumVgprs: 0
; NumAgprs: 0
; TotalNumVgprs: 0
; ScratchSize: 0
; MemoryBound: 0
; FloatMode: 240
; IeeeMode: 1
; LDSByteSize: 0 bytes/workgroup (compile time only)
; SGPRBlocks: 0
; VGPRBlocks: 0
; NumSGPRsForWavesPerEU: 4
; NumVGPRsForWavesPerEU: 1
; AccumOffset: 4
; Occupancy: 8
; WaveLimiterHint : 0
; COMPUTE_PGM_RSRC2:SCRATCH_EN: 0
; COMPUTE_PGM_RSRC2:USER_SGPR: 6
; COMPUTE_PGM_RSRC2:TRAP_HANDLER: 0
; COMPUTE_PGM_RSRC2:TGID_X_EN: 1
; COMPUTE_PGM_RSRC2:TGID_Y_EN: 0
; COMPUTE_PGM_RSRC2:TGID_Z_EN: 0
; COMPUTE_PGM_RSRC2:TIDIG_COMP_CNT: 0
; COMPUTE_PGM_RSRC3_GFX90A:ACCUM_OFFSET: 0
; COMPUTE_PGM_RSRC3_GFX90A:TG_SPLIT: 0
	.section	.text._ZN7rocprim17ROCPRIM_400000_NS6detail17trampoline_kernelINS0_14default_configENS1_38merge_sort_block_merge_config_selectorI14custom_numericNS0_10empty_typeEEEZZNS1_27merge_sort_block_merge_implIS3_N6thrust23THRUST_200600_302600_NS6detail15normal_iteratorINSA_10device_ptrIS5_EEEEPS6_mNSA_4lessIS5_EEEE10hipError_tT0_T1_T2_jT3_P12ihipStream_tbPNSt15iterator_traitsISK_E10value_typeEPNSQ_ISL_E10value_typeEPSM_NS1_7vsmem_tEENKUlT_SK_SL_SM_E_clISF_PS5_SG_SG_EESJ_SZ_SK_SL_SM_EUlSZ_E0_NS1_11comp_targetILNS1_3genE10ELNS1_11target_archE1201ELNS1_3gpuE5ELNS1_3repE0EEENS1_38merge_mergepath_config_static_selectorELNS0_4arch9wavefront6targetE1EEEvSL_,"axG",@progbits,_ZN7rocprim17ROCPRIM_400000_NS6detail17trampoline_kernelINS0_14default_configENS1_38merge_sort_block_merge_config_selectorI14custom_numericNS0_10empty_typeEEEZZNS1_27merge_sort_block_merge_implIS3_N6thrust23THRUST_200600_302600_NS6detail15normal_iteratorINSA_10device_ptrIS5_EEEEPS6_mNSA_4lessIS5_EEEE10hipError_tT0_T1_T2_jT3_P12ihipStream_tbPNSt15iterator_traitsISK_E10value_typeEPNSQ_ISL_E10value_typeEPSM_NS1_7vsmem_tEENKUlT_SK_SL_SM_E_clISF_PS5_SG_SG_EESJ_SZ_SK_SL_SM_EUlSZ_E0_NS1_11comp_targetILNS1_3genE10ELNS1_11target_archE1201ELNS1_3gpuE5ELNS1_3repE0EEENS1_38merge_mergepath_config_static_selectorELNS0_4arch9wavefront6targetE1EEEvSL_,comdat
	.protected	_ZN7rocprim17ROCPRIM_400000_NS6detail17trampoline_kernelINS0_14default_configENS1_38merge_sort_block_merge_config_selectorI14custom_numericNS0_10empty_typeEEEZZNS1_27merge_sort_block_merge_implIS3_N6thrust23THRUST_200600_302600_NS6detail15normal_iteratorINSA_10device_ptrIS5_EEEEPS6_mNSA_4lessIS5_EEEE10hipError_tT0_T1_T2_jT3_P12ihipStream_tbPNSt15iterator_traitsISK_E10value_typeEPNSQ_ISL_E10value_typeEPSM_NS1_7vsmem_tEENKUlT_SK_SL_SM_E_clISF_PS5_SG_SG_EESJ_SZ_SK_SL_SM_EUlSZ_E0_NS1_11comp_targetILNS1_3genE10ELNS1_11target_archE1201ELNS1_3gpuE5ELNS1_3repE0EEENS1_38merge_mergepath_config_static_selectorELNS0_4arch9wavefront6targetE1EEEvSL_ ; -- Begin function _ZN7rocprim17ROCPRIM_400000_NS6detail17trampoline_kernelINS0_14default_configENS1_38merge_sort_block_merge_config_selectorI14custom_numericNS0_10empty_typeEEEZZNS1_27merge_sort_block_merge_implIS3_N6thrust23THRUST_200600_302600_NS6detail15normal_iteratorINSA_10device_ptrIS5_EEEEPS6_mNSA_4lessIS5_EEEE10hipError_tT0_T1_T2_jT3_P12ihipStream_tbPNSt15iterator_traitsISK_E10value_typeEPNSQ_ISL_E10value_typeEPSM_NS1_7vsmem_tEENKUlT_SK_SL_SM_E_clISF_PS5_SG_SG_EESJ_SZ_SK_SL_SM_EUlSZ_E0_NS1_11comp_targetILNS1_3genE10ELNS1_11target_archE1201ELNS1_3gpuE5ELNS1_3repE0EEENS1_38merge_mergepath_config_static_selectorELNS0_4arch9wavefront6targetE1EEEvSL_
	.globl	_ZN7rocprim17ROCPRIM_400000_NS6detail17trampoline_kernelINS0_14default_configENS1_38merge_sort_block_merge_config_selectorI14custom_numericNS0_10empty_typeEEEZZNS1_27merge_sort_block_merge_implIS3_N6thrust23THRUST_200600_302600_NS6detail15normal_iteratorINSA_10device_ptrIS5_EEEEPS6_mNSA_4lessIS5_EEEE10hipError_tT0_T1_T2_jT3_P12ihipStream_tbPNSt15iterator_traitsISK_E10value_typeEPNSQ_ISL_E10value_typeEPSM_NS1_7vsmem_tEENKUlT_SK_SL_SM_E_clISF_PS5_SG_SG_EESJ_SZ_SK_SL_SM_EUlSZ_E0_NS1_11comp_targetILNS1_3genE10ELNS1_11target_archE1201ELNS1_3gpuE5ELNS1_3repE0EEENS1_38merge_mergepath_config_static_selectorELNS0_4arch9wavefront6targetE1EEEvSL_
	.p2align	8
	.type	_ZN7rocprim17ROCPRIM_400000_NS6detail17trampoline_kernelINS0_14default_configENS1_38merge_sort_block_merge_config_selectorI14custom_numericNS0_10empty_typeEEEZZNS1_27merge_sort_block_merge_implIS3_N6thrust23THRUST_200600_302600_NS6detail15normal_iteratorINSA_10device_ptrIS5_EEEEPS6_mNSA_4lessIS5_EEEE10hipError_tT0_T1_T2_jT3_P12ihipStream_tbPNSt15iterator_traitsISK_E10value_typeEPNSQ_ISL_E10value_typeEPSM_NS1_7vsmem_tEENKUlT_SK_SL_SM_E_clISF_PS5_SG_SG_EESJ_SZ_SK_SL_SM_EUlSZ_E0_NS1_11comp_targetILNS1_3genE10ELNS1_11target_archE1201ELNS1_3gpuE5ELNS1_3repE0EEENS1_38merge_mergepath_config_static_selectorELNS0_4arch9wavefront6targetE1EEEvSL_,@function
_ZN7rocprim17ROCPRIM_400000_NS6detail17trampoline_kernelINS0_14default_configENS1_38merge_sort_block_merge_config_selectorI14custom_numericNS0_10empty_typeEEEZZNS1_27merge_sort_block_merge_implIS3_N6thrust23THRUST_200600_302600_NS6detail15normal_iteratorINSA_10device_ptrIS5_EEEEPS6_mNSA_4lessIS5_EEEE10hipError_tT0_T1_T2_jT3_P12ihipStream_tbPNSt15iterator_traitsISK_E10value_typeEPNSQ_ISL_E10value_typeEPSM_NS1_7vsmem_tEENKUlT_SK_SL_SM_E_clISF_PS5_SG_SG_EESJ_SZ_SK_SL_SM_EUlSZ_E0_NS1_11comp_targetILNS1_3genE10ELNS1_11target_archE1201ELNS1_3gpuE5ELNS1_3repE0EEENS1_38merge_mergepath_config_static_selectorELNS0_4arch9wavefront6targetE1EEEvSL_: ; @_ZN7rocprim17ROCPRIM_400000_NS6detail17trampoline_kernelINS0_14default_configENS1_38merge_sort_block_merge_config_selectorI14custom_numericNS0_10empty_typeEEEZZNS1_27merge_sort_block_merge_implIS3_N6thrust23THRUST_200600_302600_NS6detail15normal_iteratorINSA_10device_ptrIS5_EEEEPS6_mNSA_4lessIS5_EEEE10hipError_tT0_T1_T2_jT3_P12ihipStream_tbPNSt15iterator_traitsISK_E10value_typeEPNSQ_ISL_E10value_typeEPSM_NS1_7vsmem_tEENKUlT_SK_SL_SM_E_clISF_PS5_SG_SG_EESJ_SZ_SK_SL_SM_EUlSZ_E0_NS1_11comp_targetILNS1_3genE10ELNS1_11target_archE1201ELNS1_3gpuE5ELNS1_3repE0EEENS1_38merge_mergepath_config_static_selectorELNS0_4arch9wavefront6targetE1EEEvSL_
; %bb.0:
	.section	.rodata,"a",@progbits
	.p2align	6, 0x0
	.amdhsa_kernel _ZN7rocprim17ROCPRIM_400000_NS6detail17trampoline_kernelINS0_14default_configENS1_38merge_sort_block_merge_config_selectorI14custom_numericNS0_10empty_typeEEEZZNS1_27merge_sort_block_merge_implIS3_N6thrust23THRUST_200600_302600_NS6detail15normal_iteratorINSA_10device_ptrIS5_EEEEPS6_mNSA_4lessIS5_EEEE10hipError_tT0_T1_T2_jT3_P12ihipStream_tbPNSt15iterator_traitsISK_E10value_typeEPNSQ_ISL_E10value_typeEPSM_NS1_7vsmem_tEENKUlT_SK_SL_SM_E_clISF_PS5_SG_SG_EESJ_SZ_SK_SL_SM_EUlSZ_E0_NS1_11comp_targetILNS1_3genE10ELNS1_11target_archE1201ELNS1_3gpuE5ELNS1_3repE0EEENS1_38merge_mergepath_config_static_selectorELNS0_4arch9wavefront6targetE1EEEvSL_
		.amdhsa_group_segment_fixed_size 0
		.amdhsa_private_segment_fixed_size 0
		.amdhsa_kernarg_size 72
		.amdhsa_user_sgpr_count 6
		.amdhsa_user_sgpr_private_segment_buffer 1
		.amdhsa_user_sgpr_dispatch_ptr 0
		.amdhsa_user_sgpr_queue_ptr 0
		.amdhsa_user_sgpr_kernarg_segment_ptr 1
		.amdhsa_user_sgpr_dispatch_id 0
		.amdhsa_user_sgpr_flat_scratch_init 0
		.amdhsa_user_sgpr_kernarg_preload_length 0
		.amdhsa_user_sgpr_kernarg_preload_offset 0
		.amdhsa_user_sgpr_private_segment_size 0
		.amdhsa_uses_dynamic_stack 0
		.amdhsa_system_sgpr_private_segment_wavefront_offset 0
		.amdhsa_system_sgpr_workgroup_id_x 1
		.amdhsa_system_sgpr_workgroup_id_y 0
		.amdhsa_system_sgpr_workgroup_id_z 0
		.amdhsa_system_sgpr_workgroup_info 0
		.amdhsa_system_vgpr_workitem_id 0
		.amdhsa_next_free_vgpr 1
		.amdhsa_next_free_sgpr 0
		.amdhsa_accum_offset 4
		.amdhsa_reserve_vcc 0
		.amdhsa_reserve_flat_scratch 0
		.amdhsa_float_round_mode_32 0
		.amdhsa_float_round_mode_16_64 0
		.amdhsa_float_denorm_mode_32 3
		.amdhsa_float_denorm_mode_16_64 3
		.amdhsa_dx10_clamp 1
		.amdhsa_ieee_mode 1
		.amdhsa_fp16_overflow 0
		.amdhsa_tg_split 0
		.amdhsa_exception_fp_ieee_invalid_op 0
		.amdhsa_exception_fp_denorm_src 0
		.amdhsa_exception_fp_ieee_div_zero 0
		.amdhsa_exception_fp_ieee_overflow 0
		.amdhsa_exception_fp_ieee_underflow 0
		.amdhsa_exception_fp_ieee_inexact 0
		.amdhsa_exception_int_div_zero 0
	.end_amdhsa_kernel
	.section	.text._ZN7rocprim17ROCPRIM_400000_NS6detail17trampoline_kernelINS0_14default_configENS1_38merge_sort_block_merge_config_selectorI14custom_numericNS0_10empty_typeEEEZZNS1_27merge_sort_block_merge_implIS3_N6thrust23THRUST_200600_302600_NS6detail15normal_iteratorINSA_10device_ptrIS5_EEEEPS6_mNSA_4lessIS5_EEEE10hipError_tT0_T1_T2_jT3_P12ihipStream_tbPNSt15iterator_traitsISK_E10value_typeEPNSQ_ISL_E10value_typeEPSM_NS1_7vsmem_tEENKUlT_SK_SL_SM_E_clISF_PS5_SG_SG_EESJ_SZ_SK_SL_SM_EUlSZ_E0_NS1_11comp_targetILNS1_3genE10ELNS1_11target_archE1201ELNS1_3gpuE5ELNS1_3repE0EEENS1_38merge_mergepath_config_static_selectorELNS0_4arch9wavefront6targetE1EEEvSL_,"axG",@progbits,_ZN7rocprim17ROCPRIM_400000_NS6detail17trampoline_kernelINS0_14default_configENS1_38merge_sort_block_merge_config_selectorI14custom_numericNS0_10empty_typeEEEZZNS1_27merge_sort_block_merge_implIS3_N6thrust23THRUST_200600_302600_NS6detail15normal_iteratorINSA_10device_ptrIS5_EEEEPS6_mNSA_4lessIS5_EEEE10hipError_tT0_T1_T2_jT3_P12ihipStream_tbPNSt15iterator_traitsISK_E10value_typeEPNSQ_ISL_E10value_typeEPSM_NS1_7vsmem_tEENKUlT_SK_SL_SM_E_clISF_PS5_SG_SG_EESJ_SZ_SK_SL_SM_EUlSZ_E0_NS1_11comp_targetILNS1_3genE10ELNS1_11target_archE1201ELNS1_3gpuE5ELNS1_3repE0EEENS1_38merge_mergepath_config_static_selectorELNS0_4arch9wavefront6targetE1EEEvSL_,comdat
.Lfunc_end1448:
	.size	_ZN7rocprim17ROCPRIM_400000_NS6detail17trampoline_kernelINS0_14default_configENS1_38merge_sort_block_merge_config_selectorI14custom_numericNS0_10empty_typeEEEZZNS1_27merge_sort_block_merge_implIS3_N6thrust23THRUST_200600_302600_NS6detail15normal_iteratorINSA_10device_ptrIS5_EEEEPS6_mNSA_4lessIS5_EEEE10hipError_tT0_T1_T2_jT3_P12ihipStream_tbPNSt15iterator_traitsISK_E10value_typeEPNSQ_ISL_E10value_typeEPSM_NS1_7vsmem_tEENKUlT_SK_SL_SM_E_clISF_PS5_SG_SG_EESJ_SZ_SK_SL_SM_EUlSZ_E0_NS1_11comp_targetILNS1_3genE10ELNS1_11target_archE1201ELNS1_3gpuE5ELNS1_3repE0EEENS1_38merge_mergepath_config_static_selectorELNS0_4arch9wavefront6targetE1EEEvSL_, .Lfunc_end1448-_ZN7rocprim17ROCPRIM_400000_NS6detail17trampoline_kernelINS0_14default_configENS1_38merge_sort_block_merge_config_selectorI14custom_numericNS0_10empty_typeEEEZZNS1_27merge_sort_block_merge_implIS3_N6thrust23THRUST_200600_302600_NS6detail15normal_iteratorINSA_10device_ptrIS5_EEEEPS6_mNSA_4lessIS5_EEEE10hipError_tT0_T1_T2_jT3_P12ihipStream_tbPNSt15iterator_traitsISK_E10value_typeEPNSQ_ISL_E10value_typeEPSM_NS1_7vsmem_tEENKUlT_SK_SL_SM_E_clISF_PS5_SG_SG_EESJ_SZ_SK_SL_SM_EUlSZ_E0_NS1_11comp_targetILNS1_3genE10ELNS1_11target_archE1201ELNS1_3gpuE5ELNS1_3repE0EEENS1_38merge_mergepath_config_static_selectorELNS0_4arch9wavefront6targetE1EEEvSL_
                                        ; -- End function
	.section	.AMDGPU.csdata,"",@progbits
; Kernel info:
; codeLenInByte = 0
; NumSgprs: 4
; NumVgprs: 0
; NumAgprs: 0
; TotalNumVgprs: 0
; ScratchSize: 0
; MemoryBound: 0
; FloatMode: 240
; IeeeMode: 1
; LDSByteSize: 0 bytes/workgroup (compile time only)
; SGPRBlocks: 0
; VGPRBlocks: 0
; NumSGPRsForWavesPerEU: 4
; NumVGPRsForWavesPerEU: 1
; AccumOffset: 4
; Occupancy: 8
; WaveLimiterHint : 0
; COMPUTE_PGM_RSRC2:SCRATCH_EN: 0
; COMPUTE_PGM_RSRC2:USER_SGPR: 6
; COMPUTE_PGM_RSRC2:TRAP_HANDLER: 0
; COMPUTE_PGM_RSRC2:TGID_X_EN: 1
; COMPUTE_PGM_RSRC2:TGID_Y_EN: 0
; COMPUTE_PGM_RSRC2:TGID_Z_EN: 0
; COMPUTE_PGM_RSRC2:TIDIG_COMP_CNT: 0
; COMPUTE_PGM_RSRC3_GFX90A:ACCUM_OFFSET: 0
; COMPUTE_PGM_RSRC3_GFX90A:TG_SPLIT: 0
	.section	.text._ZN7rocprim17ROCPRIM_400000_NS6detail17trampoline_kernelINS0_14default_configENS1_38merge_sort_block_merge_config_selectorI14custom_numericNS0_10empty_typeEEEZZNS1_27merge_sort_block_merge_implIS3_N6thrust23THRUST_200600_302600_NS6detail15normal_iteratorINSA_10device_ptrIS5_EEEEPS6_mNSA_4lessIS5_EEEE10hipError_tT0_T1_T2_jT3_P12ihipStream_tbPNSt15iterator_traitsISK_E10value_typeEPNSQ_ISL_E10value_typeEPSM_NS1_7vsmem_tEENKUlT_SK_SL_SM_E_clISF_PS5_SG_SG_EESJ_SZ_SK_SL_SM_EUlSZ_E0_NS1_11comp_targetILNS1_3genE5ELNS1_11target_archE942ELNS1_3gpuE9ELNS1_3repE0EEENS1_38merge_mergepath_config_static_selectorELNS0_4arch9wavefront6targetE1EEEvSL_,"axG",@progbits,_ZN7rocprim17ROCPRIM_400000_NS6detail17trampoline_kernelINS0_14default_configENS1_38merge_sort_block_merge_config_selectorI14custom_numericNS0_10empty_typeEEEZZNS1_27merge_sort_block_merge_implIS3_N6thrust23THRUST_200600_302600_NS6detail15normal_iteratorINSA_10device_ptrIS5_EEEEPS6_mNSA_4lessIS5_EEEE10hipError_tT0_T1_T2_jT3_P12ihipStream_tbPNSt15iterator_traitsISK_E10value_typeEPNSQ_ISL_E10value_typeEPSM_NS1_7vsmem_tEENKUlT_SK_SL_SM_E_clISF_PS5_SG_SG_EESJ_SZ_SK_SL_SM_EUlSZ_E0_NS1_11comp_targetILNS1_3genE5ELNS1_11target_archE942ELNS1_3gpuE9ELNS1_3repE0EEENS1_38merge_mergepath_config_static_selectorELNS0_4arch9wavefront6targetE1EEEvSL_,comdat
	.protected	_ZN7rocprim17ROCPRIM_400000_NS6detail17trampoline_kernelINS0_14default_configENS1_38merge_sort_block_merge_config_selectorI14custom_numericNS0_10empty_typeEEEZZNS1_27merge_sort_block_merge_implIS3_N6thrust23THRUST_200600_302600_NS6detail15normal_iteratorINSA_10device_ptrIS5_EEEEPS6_mNSA_4lessIS5_EEEE10hipError_tT0_T1_T2_jT3_P12ihipStream_tbPNSt15iterator_traitsISK_E10value_typeEPNSQ_ISL_E10value_typeEPSM_NS1_7vsmem_tEENKUlT_SK_SL_SM_E_clISF_PS5_SG_SG_EESJ_SZ_SK_SL_SM_EUlSZ_E0_NS1_11comp_targetILNS1_3genE5ELNS1_11target_archE942ELNS1_3gpuE9ELNS1_3repE0EEENS1_38merge_mergepath_config_static_selectorELNS0_4arch9wavefront6targetE1EEEvSL_ ; -- Begin function _ZN7rocprim17ROCPRIM_400000_NS6detail17trampoline_kernelINS0_14default_configENS1_38merge_sort_block_merge_config_selectorI14custom_numericNS0_10empty_typeEEEZZNS1_27merge_sort_block_merge_implIS3_N6thrust23THRUST_200600_302600_NS6detail15normal_iteratorINSA_10device_ptrIS5_EEEEPS6_mNSA_4lessIS5_EEEE10hipError_tT0_T1_T2_jT3_P12ihipStream_tbPNSt15iterator_traitsISK_E10value_typeEPNSQ_ISL_E10value_typeEPSM_NS1_7vsmem_tEENKUlT_SK_SL_SM_E_clISF_PS5_SG_SG_EESJ_SZ_SK_SL_SM_EUlSZ_E0_NS1_11comp_targetILNS1_3genE5ELNS1_11target_archE942ELNS1_3gpuE9ELNS1_3repE0EEENS1_38merge_mergepath_config_static_selectorELNS0_4arch9wavefront6targetE1EEEvSL_
	.globl	_ZN7rocprim17ROCPRIM_400000_NS6detail17trampoline_kernelINS0_14default_configENS1_38merge_sort_block_merge_config_selectorI14custom_numericNS0_10empty_typeEEEZZNS1_27merge_sort_block_merge_implIS3_N6thrust23THRUST_200600_302600_NS6detail15normal_iteratorINSA_10device_ptrIS5_EEEEPS6_mNSA_4lessIS5_EEEE10hipError_tT0_T1_T2_jT3_P12ihipStream_tbPNSt15iterator_traitsISK_E10value_typeEPNSQ_ISL_E10value_typeEPSM_NS1_7vsmem_tEENKUlT_SK_SL_SM_E_clISF_PS5_SG_SG_EESJ_SZ_SK_SL_SM_EUlSZ_E0_NS1_11comp_targetILNS1_3genE5ELNS1_11target_archE942ELNS1_3gpuE9ELNS1_3repE0EEENS1_38merge_mergepath_config_static_selectorELNS0_4arch9wavefront6targetE1EEEvSL_
	.p2align	8
	.type	_ZN7rocprim17ROCPRIM_400000_NS6detail17trampoline_kernelINS0_14default_configENS1_38merge_sort_block_merge_config_selectorI14custom_numericNS0_10empty_typeEEEZZNS1_27merge_sort_block_merge_implIS3_N6thrust23THRUST_200600_302600_NS6detail15normal_iteratorINSA_10device_ptrIS5_EEEEPS6_mNSA_4lessIS5_EEEE10hipError_tT0_T1_T2_jT3_P12ihipStream_tbPNSt15iterator_traitsISK_E10value_typeEPNSQ_ISL_E10value_typeEPSM_NS1_7vsmem_tEENKUlT_SK_SL_SM_E_clISF_PS5_SG_SG_EESJ_SZ_SK_SL_SM_EUlSZ_E0_NS1_11comp_targetILNS1_3genE5ELNS1_11target_archE942ELNS1_3gpuE9ELNS1_3repE0EEENS1_38merge_mergepath_config_static_selectorELNS0_4arch9wavefront6targetE1EEEvSL_,@function
_ZN7rocprim17ROCPRIM_400000_NS6detail17trampoline_kernelINS0_14default_configENS1_38merge_sort_block_merge_config_selectorI14custom_numericNS0_10empty_typeEEEZZNS1_27merge_sort_block_merge_implIS3_N6thrust23THRUST_200600_302600_NS6detail15normal_iteratorINSA_10device_ptrIS5_EEEEPS6_mNSA_4lessIS5_EEEE10hipError_tT0_T1_T2_jT3_P12ihipStream_tbPNSt15iterator_traitsISK_E10value_typeEPNSQ_ISL_E10value_typeEPSM_NS1_7vsmem_tEENKUlT_SK_SL_SM_E_clISF_PS5_SG_SG_EESJ_SZ_SK_SL_SM_EUlSZ_E0_NS1_11comp_targetILNS1_3genE5ELNS1_11target_archE942ELNS1_3gpuE9ELNS1_3repE0EEENS1_38merge_mergepath_config_static_selectorELNS0_4arch9wavefront6targetE1EEEvSL_: ; @_ZN7rocprim17ROCPRIM_400000_NS6detail17trampoline_kernelINS0_14default_configENS1_38merge_sort_block_merge_config_selectorI14custom_numericNS0_10empty_typeEEEZZNS1_27merge_sort_block_merge_implIS3_N6thrust23THRUST_200600_302600_NS6detail15normal_iteratorINSA_10device_ptrIS5_EEEEPS6_mNSA_4lessIS5_EEEE10hipError_tT0_T1_T2_jT3_P12ihipStream_tbPNSt15iterator_traitsISK_E10value_typeEPNSQ_ISL_E10value_typeEPSM_NS1_7vsmem_tEENKUlT_SK_SL_SM_E_clISF_PS5_SG_SG_EESJ_SZ_SK_SL_SM_EUlSZ_E0_NS1_11comp_targetILNS1_3genE5ELNS1_11target_archE942ELNS1_3gpuE9ELNS1_3repE0EEENS1_38merge_mergepath_config_static_selectorELNS0_4arch9wavefront6targetE1EEEvSL_
; %bb.0:
	.section	.rodata,"a",@progbits
	.p2align	6, 0x0
	.amdhsa_kernel _ZN7rocprim17ROCPRIM_400000_NS6detail17trampoline_kernelINS0_14default_configENS1_38merge_sort_block_merge_config_selectorI14custom_numericNS0_10empty_typeEEEZZNS1_27merge_sort_block_merge_implIS3_N6thrust23THRUST_200600_302600_NS6detail15normal_iteratorINSA_10device_ptrIS5_EEEEPS6_mNSA_4lessIS5_EEEE10hipError_tT0_T1_T2_jT3_P12ihipStream_tbPNSt15iterator_traitsISK_E10value_typeEPNSQ_ISL_E10value_typeEPSM_NS1_7vsmem_tEENKUlT_SK_SL_SM_E_clISF_PS5_SG_SG_EESJ_SZ_SK_SL_SM_EUlSZ_E0_NS1_11comp_targetILNS1_3genE5ELNS1_11target_archE942ELNS1_3gpuE9ELNS1_3repE0EEENS1_38merge_mergepath_config_static_selectorELNS0_4arch9wavefront6targetE1EEEvSL_
		.amdhsa_group_segment_fixed_size 0
		.amdhsa_private_segment_fixed_size 0
		.amdhsa_kernarg_size 72
		.amdhsa_user_sgpr_count 6
		.amdhsa_user_sgpr_private_segment_buffer 1
		.amdhsa_user_sgpr_dispatch_ptr 0
		.amdhsa_user_sgpr_queue_ptr 0
		.amdhsa_user_sgpr_kernarg_segment_ptr 1
		.amdhsa_user_sgpr_dispatch_id 0
		.amdhsa_user_sgpr_flat_scratch_init 0
		.amdhsa_user_sgpr_kernarg_preload_length 0
		.amdhsa_user_sgpr_kernarg_preload_offset 0
		.amdhsa_user_sgpr_private_segment_size 0
		.amdhsa_uses_dynamic_stack 0
		.amdhsa_system_sgpr_private_segment_wavefront_offset 0
		.amdhsa_system_sgpr_workgroup_id_x 1
		.amdhsa_system_sgpr_workgroup_id_y 0
		.amdhsa_system_sgpr_workgroup_id_z 0
		.amdhsa_system_sgpr_workgroup_info 0
		.amdhsa_system_vgpr_workitem_id 0
		.amdhsa_next_free_vgpr 1
		.amdhsa_next_free_sgpr 0
		.amdhsa_accum_offset 4
		.amdhsa_reserve_vcc 0
		.amdhsa_reserve_flat_scratch 0
		.amdhsa_float_round_mode_32 0
		.amdhsa_float_round_mode_16_64 0
		.amdhsa_float_denorm_mode_32 3
		.amdhsa_float_denorm_mode_16_64 3
		.amdhsa_dx10_clamp 1
		.amdhsa_ieee_mode 1
		.amdhsa_fp16_overflow 0
		.amdhsa_tg_split 0
		.amdhsa_exception_fp_ieee_invalid_op 0
		.amdhsa_exception_fp_denorm_src 0
		.amdhsa_exception_fp_ieee_div_zero 0
		.amdhsa_exception_fp_ieee_overflow 0
		.amdhsa_exception_fp_ieee_underflow 0
		.amdhsa_exception_fp_ieee_inexact 0
		.amdhsa_exception_int_div_zero 0
	.end_amdhsa_kernel
	.section	.text._ZN7rocprim17ROCPRIM_400000_NS6detail17trampoline_kernelINS0_14default_configENS1_38merge_sort_block_merge_config_selectorI14custom_numericNS0_10empty_typeEEEZZNS1_27merge_sort_block_merge_implIS3_N6thrust23THRUST_200600_302600_NS6detail15normal_iteratorINSA_10device_ptrIS5_EEEEPS6_mNSA_4lessIS5_EEEE10hipError_tT0_T1_T2_jT3_P12ihipStream_tbPNSt15iterator_traitsISK_E10value_typeEPNSQ_ISL_E10value_typeEPSM_NS1_7vsmem_tEENKUlT_SK_SL_SM_E_clISF_PS5_SG_SG_EESJ_SZ_SK_SL_SM_EUlSZ_E0_NS1_11comp_targetILNS1_3genE5ELNS1_11target_archE942ELNS1_3gpuE9ELNS1_3repE0EEENS1_38merge_mergepath_config_static_selectorELNS0_4arch9wavefront6targetE1EEEvSL_,"axG",@progbits,_ZN7rocprim17ROCPRIM_400000_NS6detail17trampoline_kernelINS0_14default_configENS1_38merge_sort_block_merge_config_selectorI14custom_numericNS0_10empty_typeEEEZZNS1_27merge_sort_block_merge_implIS3_N6thrust23THRUST_200600_302600_NS6detail15normal_iteratorINSA_10device_ptrIS5_EEEEPS6_mNSA_4lessIS5_EEEE10hipError_tT0_T1_T2_jT3_P12ihipStream_tbPNSt15iterator_traitsISK_E10value_typeEPNSQ_ISL_E10value_typeEPSM_NS1_7vsmem_tEENKUlT_SK_SL_SM_E_clISF_PS5_SG_SG_EESJ_SZ_SK_SL_SM_EUlSZ_E0_NS1_11comp_targetILNS1_3genE5ELNS1_11target_archE942ELNS1_3gpuE9ELNS1_3repE0EEENS1_38merge_mergepath_config_static_selectorELNS0_4arch9wavefront6targetE1EEEvSL_,comdat
.Lfunc_end1449:
	.size	_ZN7rocprim17ROCPRIM_400000_NS6detail17trampoline_kernelINS0_14default_configENS1_38merge_sort_block_merge_config_selectorI14custom_numericNS0_10empty_typeEEEZZNS1_27merge_sort_block_merge_implIS3_N6thrust23THRUST_200600_302600_NS6detail15normal_iteratorINSA_10device_ptrIS5_EEEEPS6_mNSA_4lessIS5_EEEE10hipError_tT0_T1_T2_jT3_P12ihipStream_tbPNSt15iterator_traitsISK_E10value_typeEPNSQ_ISL_E10value_typeEPSM_NS1_7vsmem_tEENKUlT_SK_SL_SM_E_clISF_PS5_SG_SG_EESJ_SZ_SK_SL_SM_EUlSZ_E0_NS1_11comp_targetILNS1_3genE5ELNS1_11target_archE942ELNS1_3gpuE9ELNS1_3repE0EEENS1_38merge_mergepath_config_static_selectorELNS0_4arch9wavefront6targetE1EEEvSL_, .Lfunc_end1449-_ZN7rocprim17ROCPRIM_400000_NS6detail17trampoline_kernelINS0_14default_configENS1_38merge_sort_block_merge_config_selectorI14custom_numericNS0_10empty_typeEEEZZNS1_27merge_sort_block_merge_implIS3_N6thrust23THRUST_200600_302600_NS6detail15normal_iteratorINSA_10device_ptrIS5_EEEEPS6_mNSA_4lessIS5_EEEE10hipError_tT0_T1_T2_jT3_P12ihipStream_tbPNSt15iterator_traitsISK_E10value_typeEPNSQ_ISL_E10value_typeEPSM_NS1_7vsmem_tEENKUlT_SK_SL_SM_E_clISF_PS5_SG_SG_EESJ_SZ_SK_SL_SM_EUlSZ_E0_NS1_11comp_targetILNS1_3genE5ELNS1_11target_archE942ELNS1_3gpuE9ELNS1_3repE0EEENS1_38merge_mergepath_config_static_selectorELNS0_4arch9wavefront6targetE1EEEvSL_
                                        ; -- End function
	.section	.AMDGPU.csdata,"",@progbits
; Kernel info:
; codeLenInByte = 0
; NumSgprs: 4
; NumVgprs: 0
; NumAgprs: 0
; TotalNumVgprs: 0
; ScratchSize: 0
; MemoryBound: 0
; FloatMode: 240
; IeeeMode: 1
; LDSByteSize: 0 bytes/workgroup (compile time only)
; SGPRBlocks: 0
; VGPRBlocks: 0
; NumSGPRsForWavesPerEU: 4
; NumVGPRsForWavesPerEU: 1
; AccumOffset: 4
; Occupancy: 8
; WaveLimiterHint : 0
; COMPUTE_PGM_RSRC2:SCRATCH_EN: 0
; COMPUTE_PGM_RSRC2:USER_SGPR: 6
; COMPUTE_PGM_RSRC2:TRAP_HANDLER: 0
; COMPUTE_PGM_RSRC2:TGID_X_EN: 1
; COMPUTE_PGM_RSRC2:TGID_Y_EN: 0
; COMPUTE_PGM_RSRC2:TGID_Z_EN: 0
; COMPUTE_PGM_RSRC2:TIDIG_COMP_CNT: 0
; COMPUTE_PGM_RSRC3_GFX90A:ACCUM_OFFSET: 0
; COMPUTE_PGM_RSRC3_GFX90A:TG_SPLIT: 0
	.section	.text._ZN7rocprim17ROCPRIM_400000_NS6detail17trampoline_kernelINS0_14default_configENS1_38merge_sort_block_merge_config_selectorI14custom_numericNS0_10empty_typeEEEZZNS1_27merge_sort_block_merge_implIS3_N6thrust23THRUST_200600_302600_NS6detail15normal_iteratorINSA_10device_ptrIS5_EEEEPS6_mNSA_4lessIS5_EEEE10hipError_tT0_T1_T2_jT3_P12ihipStream_tbPNSt15iterator_traitsISK_E10value_typeEPNSQ_ISL_E10value_typeEPSM_NS1_7vsmem_tEENKUlT_SK_SL_SM_E_clISF_PS5_SG_SG_EESJ_SZ_SK_SL_SM_EUlSZ_E0_NS1_11comp_targetILNS1_3genE4ELNS1_11target_archE910ELNS1_3gpuE8ELNS1_3repE0EEENS1_38merge_mergepath_config_static_selectorELNS0_4arch9wavefront6targetE1EEEvSL_,"axG",@progbits,_ZN7rocprim17ROCPRIM_400000_NS6detail17trampoline_kernelINS0_14default_configENS1_38merge_sort_block_merge_config_selectorI14custom_numericNS0_10empty_typeEEEZZNS1_27merge_sort_block_merge_implIS3_N6thrust23THRUST_200600_302600_NS6detail15normal_iteratorINSA_10device_ptrIS5_EEEEPS6_mNSA_4lessIS5_EEEE10hipError_tT0_T1_T2_jT3_P12ihipStream_tbPNSt15iterator_traitsISK_E10value_typeEPNSQ_ISL_E10value_typeEPSM_NS1_7vsmem_tEENKUlT_SK_SL_SM_E_clISF_PS5_SG_SG_EESJ_SZ_SK_SL_SM_EUlSZ_E0_NS1_11comp_targetILNS1_3genE4ELNS1_11target_archE910ELNS1_3gpuE8ELNS1_3repE0EEENS1_38merge_mergepath_config_static_selectorELNS0_4arch9wavefront6targetE1EEEvSL_,comdat
	.protected	_ZN7rocprim17ROCPRIM_400000_NS6detail17trampoline_kernelINS0_14default_configENS1_38merge_sort_block_merge_config_selectorI14custom_numericNS0_10empty_typeEEEZZNS1_27merge_sort_block_merge_implIS3_N6thrust23THRUST_200600_302600_NS6detail15normal_iteratorINSA_10device_ptrIS5_EEEEPS6_mNSA_4lessIS5_EEEE10hipError_tT0_T1_T2_jT3_P12ihipStream_tbPNSt15iterator_traitsISK_E10value_typeEPNSQ_ISL_E10value_typeEPSM_NS1_7vsmem_tEENKUlT_SK_SL_SM_E_clISF_PS5_SG_SG_EESJ_SZ_SK_SL_SM_EUlSZ_E0_NS1_11comp_targetILNS1_3genE4ELNS1_11target_archE910ELNS1_3gpuE8ELNS1_3repE0EEENS1_38merge_mergepath_config_static_selectorELNS0_4arch9wavefront6targetE1EEEvSL_ ; -- Begin function _ZN7rocprim17ROCPRIM_400000_NS6detail17trampoline_kernelINS0_14default_configENS1_38merge_sort_block_merge_config_selectorI14custom_numericNS0_10empty_typeEEEZZNS1_27merge_sort_block_merge_implIS3_N6thrust23THRUST_200600_302600_NS6detail15normal_iteratorINSA_10device_ptrIS5_EEEEPS6_mNSA_4lessIS5_EEEE10hipError_tT0_T1_T2_jT3_P12ihipStream_tbPNSt15iterator_traitsISK_E10value_typeEPNSQ_ISL_E10value_typeEPSM_NS1_7vsmem_tEENKUlT_SK_SL_SM_E_clISF_PS5_SG_SG_EESJ_SZ_SK_SL_SM_EUlSZ_E0_NS1_11comp_targetILNS1_3genE4ELNS1_11target_archE910ELNS1_3gpuE8ELNS1_3repE0EEENS1_38merge_mergepath_config_static_selectorELNS0_4arch9wavefront6targetE1EEEvSL_
	.globl	_ZN7rocprim17ROCPRIM_400000_NS6detail17trampoline_kernelINS0_14default_configENS1_38merge_sort_block_merge_config_selectorI14custom_numericNS0_10empty_typeEEEZZNS1_27merge_sort_block_merge_implIS3_N6thrust23THRUST_200600_302600_NS6detail15normal_iteratorINSA_10device_ptrIS5_EEEEPS6_mNSA_4lessIS5_EEEE10hipError_tT0_T1_T2_jT3_P12ihipStream_tbPNSt15iterator_traitsISK_E10value_typeEPNSQ_ISL_E10value_typeEPSM_NS1_7vsmem_tEENKUlT_SK_SL_SM_E_clISF_PS5_SG_SG_EESJ_SZ_SK_SL_SM_EUlSZ_E0_NS1_11comp_targetILNS1_3genE4ELNS1_11target_archE910ELNS1_3gpuE8ELNS1_3repE0EEENS1_38merge_mergepath_config_static_selectorELNS0_4arch9wavefront6targetE1EEEvSL_
	.p2align	8
	.type	_ZN7rocprim17ROCPRIM_400000_NS6detail17trampoline_kernelINS0_14default_configENS1_38merge_sort_block_merge_config_selectorI14custom_numericNS0_10empty_typeEEEZZNS1_27merge_sort_block_merge_implIS3_N6thrust23THRUST_200600_302600_NS6detail15normal_iteratorINSA_10device_ptrIS5_EEEEPS6_mNSA_4lessIS5_EEEE10hipError_tT0_T1_T2_jT3_P12ihipStream_tbPNSt15iterator_traitsISK_E10value_typeEPNSQ_ISL_E10value_typeEPSM_NS1_7vsmem_tEENKUlT_SK_SL_SM_E_clISF_PS5_SG_SG_EESJ_SZ_SK_SL_SM_EUlSZ_E0_NS1_11comp_targetILNS1_3genE4ELNS1_11target_archE910ELNS1_3gpuE8ELNS1_3repE0EEENS1_38merge_mergepath_config_static_selectorELNS0_4arch9wavefront6targetE1EEEvSL_,@function
_ZN7rocprim17ROCPRIM_400000_NS6detail17trampoline_kernelINS0_14default_configENS1_38merge_sort_block_merge_config_selectorI14custom_numericNS0_10empty_typeEEEZZNS1_27merge_sort_block_merge_implIS3_N6thrust23THRUST_200600_302600_NS6detail15normal_iteratorINSA_10device_ptrIS5_EEEEPS6_mNSA_4lessIS5_EEEE10hipError_tT0_T1_T2_jT3_P12ihipStream_tbPNSt15iterator_traitsISK_E10value_typeEPNSQ_ISL_E10value_typeEPSM_NS1_7vsmem_tEENKUlT_SK_SL_SM_E_clISF_PS5_SG_SG_EESJ_SZ_SK_SL_SM_EUlSZ_E0_NS1_11comp_targetILNS1_3genE4ELNS1_11target_archE910ELNS1_3gpuE8ELNS1_3repE0EEENS1_38merge_mergepath_config_static_selectorELNS0_4arch9wavefront6targetE1EEEvSL_: ; @_ZN7rocprim17ROCPRIM_400000_NS6detail17trampoline_kernelINS0_14default_configENS1_38merge_sort_block_merge_config_selectorI14custom_numericNS0_10empty_typeEEEZZNS1_27merge_sort_block_merge_implIS3_N6thrust23THRUST_200600_302600_NS6detail15normal_iteratorINSA_10device_ptrIS5_EEEEPS6_mNSA_4lessIS5_EEEE10hipError_tT0_T1_T2_jT3_P12ihipStream_tbPNSt15iterator_traitsISK_E10value_typeEPNSQ_ISL_E10value_typeEPSM_NS1_7vsmem_tEENKUlT_SK_SL_SM_E_clISF_PS5_SG_SG_EESJ_SZ_SK_SL_SM_EUlSZ_E0_NS1_11comp_targetILNS1_3genE4ELNS1_11target_archE910ELNS1_3gpuE8ELNS1_3repE0EEENS1_38merge_mergepath_config_static_selectorELNS0_4arch9wavefront6targetE1EEEvSL_
; %bb.0:
	s_load_dwordx2 s[22:23], s[4:5], 0x48
	s_load_dword s0, s[4:5], 0x38
	s_add_u32 s20, s4, 0x48
	s_addc_u32 s21, s5, 0
	s_waitcnt lgkmcnt(0)
	s_mul_i32 s1, s23, s8
	s_add_i32 s1, s1, s7
	s_mul_i32 s1, s1, s22
	s_add_i32 s18, s1, s6
	s_cmp_ge_u32 s18, s0
	s_cbranch_scc1 .LBB1450_35
; %bb.1:
	s_load_dwordx2 s[0:1], s[4:5], 0x40
	s_load_dwordx4 s[12:15], s[4:5], 0x8
	s_load_dwordx4 s[8:11], s[4:5], 0x28
	s_mov_b32 s19, 0
	s_lshl_b64 s[2:3], s[18:19], 3
	s_waitcnt lgkmcnt(0)
	s_add_u32 s0, s0, s2
	s_addc_u32 s1, s1, s3
	v_mov_b32_e32 v1, s10
	v_alignbit_b32 v1, s11, v1, 8
	v_readfirstlane_b32 s4, v1
	s_and_b32 s4, s4, -2
	s_sub_i32 s30, 0, s4
	s_and_b32 s24, s18, s30
	s_mov_b32 s25, s19
	s_lshl_b64 s[4:5], s[24:25], 9
	s_lshl_b64 s[16:17], s[18:19], 9
	s_sub_u32 s7, s16, s4
	s_load_dwordx4 s[0:3], s[0:1], 0x0
	s_subb_u32 s23, s17, s5
	s_lshl_b64 s[24:25], s[24:25], 10
	s_add_u32 s24, s24, s10
	s_addc_u32 s25, s25, s11
	s_add_u32 s7, s24, s7
	s_addc_u32 s23, s25, s23
	s_waitcnt lgkmcnt(0)
	s_sub_u32 s26, s7, s2
	s_subb_u32 s3, s23, s3
	s_add_u32 s26, s26, 0x200
	s_addc_u32 s27, s3, 0
	v_pk_mov_b32 v[2:3], s[26:27], s[26:27] op_sel:[0,1]
	v_cmp_lt_u64_e32 vcc, s[8:9], v[2:3]
	s_and_b64 s[28:29], vcc, exec
	s_cselect_b32 s3, s8, s26
	s_or_b32 s26, s18, s30
	s_cmp_lg_u32 s26, -1
	s_cbranch_scc1 .LBB1450_3
; %bb.2:
	s_sub_u32 s4, s24, s4
	s_subb_u32 s5, s25, s5
	v_pk_mov_b32 v[2:3], s[4:5], s[4:5] op_sel:[0,1]
	v_cmp_lt_u64_e32 vcc, s[8:9], v[2:3]
	s_and_b64 s[2:3], vcc, exec
	s_cselect_b32 s2, s8, s4
	s_add_u32 s4, s4, s10
	s_addc_u32 s5, s5, s11
	v_pk_mov_b32 v[2:3], s[4:5], s[4:5] op_sel:[0,1]
	v_cmp_lt_u64_e32 vcc, s[8:9], v[2:3]
	s_and_b64 s[10:11], vcc, exec
	s_cselect_b32 s3, s8, s4
.LBB1450_3:
	s_lshr_b64 s[4:5], s[8:9], 9
	s_cmp_lg_u64 s[4:5], s[18:19]
	s_cselect_b64 s[10:11], -1, 0
	s_sub_u32 s24, s7, s0
	s_subb_u32 s25, s23, s1
	v_pk_mov_b32 v[2:3], s[24:25], s[24:25] op_sel:[0,1]
	v_cmp_lt_u64_e32 vcc, s[8:9], v[2:3]
	s_and_b64 s[26:27], vcc, exec
	s_cselect_b32 s7, s9, s25
	s_cselect_b32 s24, s8, s24
	s_sub_i32 s9, s2, s0
	s_mul_i32 s1, s1, 20
	s_mul_hi_u32 s2, s0, 20
	s_sub_i32 s23, s3, s24
	s_add_i32 s2, s2, s1
	s_mul_i32 s0, s0, 20
	s_add_u32 s0, s12, s0
	s_addc_u32 s1, s13, s2
	s_mul_i32 s7, s7, 20
	s_mul_hi_u32 s2, s24, 20
	s_add_i32 s3, s2, s7
	s_mul_i32 s24, s24, 20
	s_add_u32 s2, s12, s24
	s_addc_u32 s3, s13, s3
	s_cmp_lt_u32 s6, s22
	v_mov_b32_e32 v1, 0
	s_cselect_b32 s6, 12, 18
	global_load_dword v2, v1, s[20:21] offset:14
	s_add_u32 s6, s20, s6
	s_addc_u32 s7, s21, 0
	global_load_ushort v1, v1, s[6:7]
	s_cmp_eq_u64 s[4:5], s[18:19]
	s_waitcnt vmcnt(1)
	v_lshrrev_b32_e32 v3, 16, v2
	v_and_b32_e32 v2, 0xffff, v2
	v_mul_lo_u32 v2, v2, v3
	s_waitcnt vmcnt(0)
	v_mul_lo_u32 v1, v2, v1
	v_add_u32_e32 v5, v1, v0
	v_add_u32_e32 v3, v5, v1
	s_cbranch_scc1 .LBB1450_6
; %bb.4:
	v_subrev_u32_e32 v2, s9, v0
	v_mad_u64_u32 v[6:7], s[4:5], v2, 20, s[2:3]
	v_mad_u64_u32 v[8:9], s[4:5], v0, 20, s[0:1]
	v_cmp_gt_u32_e32 vcc, s9, v0
	v_cndmask_b32_e32 v7, v7, v9, vcc
	v_cndmask_b32_e32 v6, v6, v8, vcc
	v_subrev_u32_e32 v4, s9, v5
	global_load_dword v2, v[6:7], off
	v_mad_u64_u32 v[6:7], s[4:5], v4, 20, s[2:3]
	v_mad_u64_u32 v[8:9], s[4:5], v5, 20, s[0:1]
	v_cmp_gt_u32_e32 vcc, s9, v5
	v_cndmask_b32_e32 v7, v7, v9, vcc
	v_cndmask_b32_e32 v6, v6, v8, vcc
	global_load_dword v4, v[6:7], off
	v_subrev_u32_e32 v6, s9, v3
	v_mad_u64_u32 v[6:7], s[4:5], v6, 20, s[2:3]
	v_mad_u64_u32 v[8:9], s[4:5], v3, 20, s[0:1]
	v_cmp_gt_u32_e32 vcc, s9, v3
	v_cndmask_b32_e32 v7, v7, v9, vcc
	v_cndmask_b32_e32 v6, v6, v8, vcc
	global_load_dword v6, v[6:7], off
	v_add_u32_e32 v7, v3, v1
	s_add_i32 s12, s9, s23
	s_mov_b64 s[4:5], -1
	s_cbranch_execz .LBB1450_7
; %bb.5:
                                        ; implicit-def: $sgpr6
	v_mov_b32_e32 v5, s12
	v_mov_b32_e32 v8, s6
	s_and_saveexec_b64 s[6:7], s[4:5]
	s_cbranch_execnz .LBB1450_14
	s_branch .LBB1450_15
.LBB1450_6:
	s_mov_b64 s[4:5], 0
                                        ; implicit-def: $vgpr7
                                        ; implicit-def: $vgpr2
                                        ; implicit-def: $vgpr4
                                        ; implicit-def: $vgpr6
                                        ; implicit-def: $sgpr12
.LBB1450_7:
	s_add_i32 s12, s9, s23
	v_cmp_gt_u32_e32 vcc, s12, v0
	s_waitcnt vmcnt(1)
	v_mov_b32_e32 v4, 0
	v_mov_b32_e32 v2, 0
	s_and_saveexec_b64 s[4:5], vcc
	s_cbranch_execz .LBB1450_9
; %bb.8:
	v_subrev_u32_e32 v2, s9, v0
	s_waitcnt vmcnt(0)
	v_mad_u64_u32 v[6:7], s[6:7], v0, 20, s[0:1]
	v_mad_u64_u32 v[8:9], s[6:7], v2, 20, s[2:3]
	v_cmp_gt_u32_e32 vcc, s9, v0
	v_cndmask_b32_e32 v7, v9, v7, vcc
	v_cndmask_b32_e32 v6, v8, v6, vcc
	global_load_dword v2, v[6:7], off
.LBB1450_9:
	s_or_b64 exec, exec, s[4:5]
	v_cmp_gt_u32_e32 vcc, s12, v5
	s_and_saveexec_b64 s[4:5], vcc
	s_cbranch_execz .LBB1450_11
; %bb.10:
	v_subrev_u32_e32 v4, s9, v5
	s_waitcnt vmcnt(0)
	v_mad_u64_u32 v[6:7], s[6:7], v5, 20, s[0:1]
	v_mad_u64_u32 v[8:9], s[6:7], v4, 20, s[2:3]
	v_cmp_gt_u32_e32 vcc, s9, v5
	v_cndmask_b32_e32 v5, v9, v7, vcc
	v_cndmask_b32_e32 v4, v8, v6, vcc
	global_load_dword v4, v[4:5], off
.LBB1450_11:
	s_or_b64 exec, exec, s[4:5]
	v_cmp_gt_u32_e32 vcc, s12, v3
	s_waitcnt vmcnt(0)
	v_mov_b32_e32 v6, 0
	s_and_saveexec_b64 s[4:5], vcc
	s_cbranch_execz .LBB1450_13
; %bb.12:
	v_subrev_u32_e32 v5, s9, v3
	v_mad_u64_u32 v[6:7], s[6:7], v3, 20, s[0:1]
	v_mad_u64_u32 v[8:9], s[6:7], v5, 20, s[2:3]
	v_cmp_gt_u32_e32 vcc, s9, v3
	v_cndmask_b32_e32 v7, v9, v7, vcc
	v_cndmask_b32_e32 v6, v8, v6, vcc
	global_load_dword v6, v[6:7], off
.LBB1450_13:
	s_or_b64 exec, exec, s[4:5]
	v_add_u32_e32 v7, v3, v1
	v_cmp_gt_u32_e64 s[4:5], s12, v7
	s_mov_b32 s6, 0
	v_mov_b32_e32 v5, s12
	v_mov_b32_e32 v8, s6
	s_and_saveexec_b64 s[6:7], s[4:5]
	s_cbranch_execz .LBB1450_15
.LBB1450_14:
	v_subrev_u32_e32 v1, s9, v7
	v_mad_u64_u32 v[8:9], s[2:3], v1, 20, s[2:3]
	v_mad_u64_u32 v[10:11], s[0:1], v7, 20, s[0:1]
	v_cmp_gt_u32_e32 vcc, s9, v7
	v_cndmask_b32_e32 v9, v9, v11, vcc
	v_cndmask_b32_e32 v8, v8, v10, vcc
	global_load_dword v8, v[8:9], off
	v_mov_b32_e32 v5, s12
.LBB1450_15:
	s_or_b64 exec, exec, s[6:7]
	v_mov_b32_e32 v7, 0x1400
	v_mul_u32_u24_e32 v1, 20, v0
	v_mad_u32_u24 v7, v0, 20, v7
	s_waitcnt vmcnt(2)
	ds_write2_b32 v1, v2, v2 offset1:1
	ds_write2_b32 v1, v2, v2 offset0:2 offset1:3
	s_waitcnt vmcnt(0)
	ds_write2_b32 v7, v6, v6 offset1:1
	v_mov_b32_e32 v7, 0x1408
	v_mov_b32_e32 v3, 0xa00
	v_mad_u32_u24 v7, v0, 20, v7
	v_mad_u32_u24 v3, v0, 20, v3
	ds_write2_b32 v7, v6, v6 offset1:1
	v_mov_b32_e32 v7, 0x1e00
	ds_write2_b32 v3, v4, v4 offset1:1
	v_mov_b32_e32 v3, 0xa08
	v_mad_u32_u24 v7, v0, 20, v7
	v_mad_u32_u24 v3, v0, 20, v3
	ds_write2_b32 v7, v8, v8 offset1:1
	v_mov_b32_e32 v7, 0x1e08
	ds_write2_b32 v3, v4, v4 offset1:1
	v_add_u32_e32 v3, 16, v1
	v_mad_u32_u24 v7, v0, 20, v7
	ds_write2st64_b32 v3, v2, v4 offset1:10
	ds_write2_b32 v7, v8, v8 offset1:1
	ds_write2st64_b32 v3, v6, v8 offset0:20 offset1:30
	v_lshlrev_b32_e32 v3, 2, v0
	v_min_u32_e32 v9, v5, v3
	v_sub_u32_e64 v7, v9, s23 clamp
	v_min_u32_e32 v11, s9, v9
	v_cmp_lt_u32_e32 vcc, v7, v11
	s_waitcnt lgkmcnt(0)
	s_barrier
	s_and_saveexec_b64 s[0:1], vcc
	s_cbranch_execz .LBB1450_19
; %bb.16:
	s_mul_i32 s2, s9, 20
	v_mad_u32_u24 v10, v9, 20, s2
	s_mov_b64 s[2:3], 0
.LBB1450_17:                            ; =>This Inner Loop Header: Depth=1
	v_add_u32_e32 v12, v11, v7
	v_lshrrev_b32_e32 v14, 1, v12
	v_not_b32_e32 v12, v14
	v_mul_lo_u32 v15, v14, 20
	v_mad_u64_u32 v[12:13], s[4:5], v12, 20, v[10:11]
	ds_read_b32 v13, v15
	ds_read_b32 v12, v12
	v_add_u32_e32 v15, 1, v14
	s_waitcnt lgkmcnt(0)
	v_cmp_lt_i32_e32 vcc, v12, v13
	v_cndmask_b32_e32 v11, v11, v14, vcc
	v_cndmask_b32_e32 v7, v15, v7, vcc
	v_cmp_ge_u32_e32 vcc, v7, v11
	s_or_b64 s[2:3], vcc, s[2:3]
	s_andn2_b64 exec, exec, s[2:3]
	s_cbranch_execnz .LBB1450_17
; %bb.18:
	s_or_b64 exec, exec, s[2:3]
.LBB1450_19:
	s_or_b64 exec, exec, s[0:1]
	v_sub_u32_e32 v9, v9, v7
	v_add_u32_e32 v9, s9, v9
	v_cmp_ge_u32_e32 vcc, s9, v7
	v_cmp_le_u32_e64 s[0:1], v9, v5
	s_or_b64 s[0:1], vcc, s[0:1]
	s_and_saveexec_b64 s[12:13], s[0:1]
	s_cbranch_execz .LBB1450_25
; %bb.20:
	v_cmp_gt_u32_e32 vcc, s9, v7
	v_mov_b32_e32 v2, 0
	v_mov_b32_e32 v4, 0
	s_and_saveexec_b64 s[0:1], vcc
	s_cbranch_execz .LBB1450_22
; %bb.21:
	v_mul_lo_u32 v4, v7, 20
	ds_read_b32 v4, v4
.LBB1450_22:
	s_or_b64 exec, exec, s[0:1]
	v_cmp_ge_u32_e64 s[0:1], v9, v5
	v_cmp_lt_u32_e64 s[2:3], v9, v5
	s_and_saveexec_b64 s[4:5], s[2:3]
	s_cbranch_execz .LBB1450_24
; %bb.23:
	v_mul_lo_u32 v2, v9, 20
	ds_read_b32 v2, v2
.LBB1450_24:
	s_or_b64 exec, exec, s[4:5]
	s_waitcnt lgkmcnt(0)
	v_cmp_ge_i32_e64 s[2:3], v2, v4
	s_and_b64 s[2:3], vcc, s[2:3]
	s_or_b64 vcc, s[0:1], s[2:3]
	v_mov_b32_e32 v8, s9
	v_cndmask_b32_e32 v6, v9, v7, vcc
	v_cndmask_b32_e32 v10, v5, v8, vcc
	v_add_u32_e32 v6, 1, v6
	v_add_u32_e32 v10, -1, v10
	v_min_u32_e32 v10, v6, v10
	v_mul_lo_u32 v10, v10, 20
	ds_read_b32 v10, v10
	v_cndmask_b32_e32 v9, v6, v9, vcc
	v_cndmask_b32_e32 v6, v7, v6, vcc
	v_cmp_gt_u32_e64 s[2:3], s9, v6
	v_cmp_ge_u32_e64 s[0:1], v9, v5
	s_waitcnt lgkmcnt(0)
	v_cndmask_b32_e32 v11, v10, v2, vcc
	v_cndmask_b32_e32 v10, v4, v10, vcc
	v_cmp_ge_i32_e64 s[4:5], v11, v10
	s_and_b64 s[2:3], s[2:3], s[4:5]
	s_or_b64 s[0:1], s[0:1], s[2:3]
	v_cndmask_b32_e64 v7, v9, v6, s[0:1]
	v_cndmask_b32_e64 v12, v5, v8, s[0:1]
	v_add_u32_e32 v7, 1, v7
	v_add_u32_e32 v12, -1, v12
	v_min_u32_e32 v12, v7, v12
	v_mul_lo_u32 v12, v12, 20
	ds_read_b32 v12, v12
	v_cndmask_b32_e64 v9, v7, v9, s[0:1]
	v_cndmask_b32_e64 v7, v6, v7, s[0:1]
	v_cmp_gt_u32_e64 s[4:5], s9, v7
	v_cmp_ge_u32_e64 s[2:3], v9, v5
	s_waitcnt lgkmcnt(0)
	v_cndmask_b32_e64 v13, v12, v11, s[0:1]
	v_cndmask_b32_e64 v12, v10, v12, s[0:1]
	v_cmp_ge_i32_e64 s[6:7], v13, v12
	s_and_b64 s[4:5], s[4:5], s[6:7]
	s_or_b64 s[2:3], s[2:3], s[4:5]
	v_cndmask_b32_e64 v6, v9, v7, s[2:3]
	v_cndmask_b32_e64 v8, v5, v8, s[2:3]
	v_add_u32_e32 v14, 1, v6
	v_add_u32_e32 v6, -1, v8
	v_min_u32_e32 v6, v14, v6
	v_mul_lo_u32 v6, v6, 20
	ds_read_b32 v8, v6
	v_cndmask_b32_e32 v2, v2, v4, vcc
	v_cndmask_b32_e64 v4, v11, v10, s[0:1]
	v_cndmask_b32_e64 v7, v7, v14, s[2:3]
	;; [unrolled: 1-line block ×3, first 2 shown]
	s_waitcnt lgkmcnt(0)
	v_cndmask_b32_e64 v10, v8, v13, s[2:3]
	v_cndmask_b32_e64 v8, v12, v8, s[2:3]
	;; [unrolled: 1-line block ×3, first 2 shown]
	v_cmp_gt_u32_e64 s[0:1], s9, v7
	v_cmp_ge_i32_e64 s[2:3], v10, v8
	v_cmp_ge_u32_e32 vcc, v9, v5
	s_and_b64 s[0:1], s[0:1], s[2:3]
	s_or_b64 vcc, vcc, s[0:1]
	v_cndmask_b32_e32 v8, v10, v8, vcc
.LBB1450_25:
	s_or_b64 exec, exec, s[12:13]
	v_lshrrev_b32_e32 v5, 3, v0
	v_mul_u32_u24_e32 v3, 20, v3
	v_mad_u32_u24 v3, v5, 20, v3
	s_barrier
	s_barrier
	ds_write2_b32 v3, v2, v2 offset1:1
	ds_write2_b32 v3, v2, v2 offset0:2 offset1:3
	ds_write2_b32 v3, v4, v4 offset0:5 offset1:6
	;; [unrolled: 1-line block ×9, first 2 shown]
	v_lshrrev_b32_e32 v2, 5, v0
	v_or_b32_e32 v7, 0x80, v0
	s_mul_i32 s0, s17, 20
	s_mul_hi_u32 s1, s16, 20
	v_mad_u32_u24 v8, v2, 20, v1
	v_lshrrev_b32_e32 v2, 5, v7
	v_or_b32_e32 v5, 0x100, v0
	s_add_i32 s1, s1, s0
	s_mul_i32 s0, s16, 20
	v_mad_u32_u24 v4, v2, 20, v1
	v_lshrrev_b32_e32 v2, 5, v5
	v_or_b32_e32 v3, 0x180, v0
	s_add_u32 s0, s14, s0
	v_mad_u32_u24 v9, v2, 20, v1
	v_lshrrev_b32_e32 v2, 5, v3
	s_addc_u32 s1, s15, s1
	v_mad_u32_u24 v1, v2, 20, v1
	s_and_b64 vcc, exec, s[10:11]
	s_waitcnt lgkmcnt(0)
	s_cbranch_vccz .LBB1450_27
; %bb.26:
	s_barrier
	ds_read_b32 v10, v8
	ds_read_b32 v14, v4 offset:2560
	ds_read_b32 v18, v9 offset:5120
	;; [unrolled: 1-line block ×3, first 2 shown]
	v_mad_u64_u32 v[22:23], s[2:3], v0, 20, s[0:1]
	s_waitcnt lgkmcnt(3)
	v_mov_b32_e32 v11, v10
	v_mov_b32_e32 v12, v10
	;; [unrolled: 1-line block ×3, first 2 shown]
	global_store_dwordx4 v[22:23], v[10:13], off
	global_store_dword v[22:23], v10, off offset:16
	v_add_co_u32_e32 v10, vcc, 0x1000, v22
	s_waitcnt lgkmcnt(2)
	v_mov_b32_e32 v15, v14
	v_mov_b32_e32 v16, v14
	;; [unrolled: 1-line block ×3, first 2 shown]
	s_waitcnt lgkmcnt(1)
	v_mov_b32_e32 v19, v18
	v_mov_b32_e32 v20, v18
	v_mov_b32_e32 v21, v18
	v_addc_co_u32_e32 v11, vcc, 0, v23, vcc
	global_store_dwordx4 v[22:23], v[14:17], off offset:2560
	global_store_dword v[22:23], v14, off offset:2576
	global_store_dwordx4 v[10:11], v[18:21], off offset:1024
	global_store_dword v[10:11], v18, off offset:1040
	s_mov_b64 s[2:3], -1
	s_cbranch_execz .LBB1450_28
	s_branch .LBB1450_33
.LBB1450_27:
	s_mov_b64 s[2:3], 0
                                        ; implicit-def: $vgpr2
.LBB1450_28:
	s_barrier
	s_waitcnt lgkmcnt(0)
	ds_read_b32 v6, v4 offset:2560
	ds_read_b32 v4, v9 offset:5120
	;; [unrolled: 1-line block ×3, first 2 shown]
	s_sub_i32 s4, s8, s16
	v_mad_u64_u32 v[10:11], s[2:3], v0, 20, s[0:1]
	v_cmp_gt_u32_e32 vcc, s4, v0
	s_and_saveexec_b64 s[2:3], vcc
	s_cbranch_execnz .LBB1450_36
; %bb.29:
	s_or_b64 exec, exec, s[2:3]
	v_cmp_gt_u32_e32 vcc, s4, v7
	s_and_saveexec_b64 s[2:3], vcc
	s_cbranch_execnz .LBB1450_37
.LBB1450_30:
	s_or_b64 exec, exec, s[2:3]
	v_cmp_gt_u32_e32 vcc, s4, v5
	s_and_saveexec_b64 s[2:3], vcc
	s_cbranch_execz .LBB1450_32
.LBB1450_31:
	v_add_co_u32_e32 v8, vcc, 0x1000, v10
	s_waitcnt lgkmcnt(1)
	v_mov_b32_e32 v5, v4
	v_mov_b32_e32 v6, v4
	;; [unrolled: 1-line block ×3, first 2 shown]
	v_addc_co_u32_e32 v9, vcc, 0, v11, vcc
	global_store_dwordx4 v[8:9], v[4:7], off offset:1024
	global_store_dword v[8:9], v4, off offset:1040
.LBB1450_32:
	s_or_b64 exec, exec, s[2:3]
	v_cmp_gt_u32_e64 s[2:3], s4, v3
.LBB1450_33:
	s_and_saveexec_b64 s[4:5], s[2:3]
	s_cbranch_execz .LBB1450_35
; %bb.34:
	v_mad_u64_u32 v[0:1], s[0:1], v0, 20, s[0:1]
	v_add_co_u32_e32 v0, vcc, 0x1000, v0
	s_waitcnt lgkmcnt(0)
	v_mov_b32_e32 v3, v2
	v_mov_b32_e32 v4, v2
	;; [unrolled: 1-line block ×3, first 2 shown]
	v_addc_co_u32_e32 v1, vcc, 0, v1, vcc
	global_store_dwordx4 v[0:1], v[2:5], off offset:3584
	global_store_dword v[0:1], v2, off offset:3600
.LBB1450_35:
	s_endpgm
.LBB1450_36:
	ds_read_b32 v12, v8
	s_waitcnt lgkmcnt(0)
	v_mov_b32_e32 v13, v12
	v_mov_b32_e32 v14, v12
	;; [unrolled: 1-line block ×3, first 2 shown]
	global_store_dwordx4 v[10:11], v[12:15], off
	global_store_dword v[10:11], v12, off offset:16
	s_or_b64 exec, exec, s[2:3]
	v_cmp_gt_u32_e32 vcc, s4, v7
	s_and_saveexec_b64 s[2:3], vcc
	s_cbranch_execz .LBB1450_30
.LBB1450_37:
	s_waitcnt lgkmcnt(2)
	v_mov_b32_e32 v7, v6
	v_mov_b32_e32 v8, v6
	v_mov_b32_e32 v9, v6
	global_store_dwordx4 v[10:11], v[6:9], off offset:2560
	global_store_dword v[10:11], v6, off offset:2576
	s_or_b64 exec, exec, s[2:3]
	v_cmp_gt_u32_e32 vcc, s4, v5
	s_and_saveexec_b64 s[2:3], vcc
	s_cbranch_execnz .LBB1450_31
	s_branch .LBB1450_32
	.section	.rodata,"a",@progbits
	.p2align	6, 0x0
	.amdhsa_kernel _ZN7rocprim17ROCPRIM_400000_NS6detail17trampoline_kernelINS0_14default_configENS1_38merge_sort_block_merge_config_selectorI14custom_numericNS0_10empty_typeEEEZZNS1_27merge_sort_block_merge_implIS3_N6thrust23THRUST_200600_302600_NS6detail15normal_iteratorINSA_10device_ptrIS5_EEEEPS6_mNSA_4lessIS5_EEEE10hipError_tT0_T1_T2_jT3_P12ihipStream_tbPNSt15iterator_traitsISK_E10value_typeEPNSQ_ISL_E10value_typeEPSM_NS1_7vsmem_tEENKUlT_SK_SL_SM_E_clISF_PS5_SG_SG_EESJ_SZ_SK_SL_SM_EUlSZ_E0_NS1_11comp_targetILNS1_3genE4ELNS1_11target_archE910ELNS1_3gpuE8ELNS1_3repE0EEENS1_38merge_mergepath_config_static_selectorELNS0_4arch9wavefront6targetE1EEEvSL_
		.amdhsa_group_segment_fixed_size 10560
		.amdhsa_private_segment_fixed_size 0
		.amdhsa_kernarg_size 328
		.amdhsa_user_sgpr_count 6
		.amdhsa_user_sgpr_private_segment_buffer 1
		.amdhsa_user_sgpr_dispatch_ptr 0
		.amdhsa_user_sgpr_queue_ptr 0
		.amdhsa_user_sgpr_kernarg_segment_ptr 1
		.amdhsa_user_sgpr_dispatch_id 0
		.amdhsa_user_sgpr_flat_scratch_init 0
		.amdhsa_user_sgpr_kernarg_preload_length 0
		.amdhsa_user_sgpr_kernarg_preload_offset 0
		.amdhsa_user_sgpr_private_segment_size 0
		.amdhsa_uses_dynamic_stack 0
		.amdhsa_system_sgpr_private_segment_wavefront_offset 0
		.amdhsa_system_sgpr_workgroup_id_x 1
		.amdhsa_system_sgpr_workgroup_id_y 1
		.amdhsa_system_sgpr_workgroup_id_z 1
		.amdhsa_system_sgpr_workgroup_info 0
		.amdhsa_system_vgpr_workitem_id 0
		.amdhsa_next_free_vgpr 24
		.amdhsa_next_free_sgpr 31
		.amdhsa_accum_offset 24
		.amdhsa_reserve_vcc 1
		.amdhsa_reserve_flat_scratch 0
		.amdhsa_float_round_mode_32 0
		.amdhsa_float_round_mode_16_64 0
		.amdhsa_float_denorm_mode_32 3
		.amdhsa_float_denorm_mode_16_64 3
		.amdhsa_dx10_clamp 1
		.amdhsa_ieee_mode 1
		.amdhsa_fp16_overflow 0
		.amdhsa_tg_split 0
		.amdhsa_exception_fp_ieee_invalid_op 0
		.amdhsa_exception_fp_denorm_src 0
		.amdhsa_exception_fp_ieee_div_zero 0
		.amdhsa_exception_fp_ieee_overflow 0
		.amdhsa_exception_fp_ieee_underflow 0
		.amdhsa_exception_fp_ieee_inexact 0
		.amdhsa_exception_int_div_zero 0
	.end_amdhsa_kernel
	.section	.text._ZN7rocprim17ROCPRIM_400000_NS6detail17trampoline_kernelINS0_14default_configENS1_38merge_sort_block_merge_config_selectorI14custom_numericNS0_10empty_typeEEEZZNS1_27merge_sort_block_merge_implIS3_N6thrust23THRUST_200600_302600_NS6detail15normal_iteratorINSA_10device_ptrIS5_EEEEPS6_mNSA_4lessIS5_EEEE10hipError_tT0_T1_T2_jT3_P12ihipStream_tbPNSt15iterator_traitsISK_E10value_typeEPNSQ_ISL_E10value_typeEPSM_NS1_7vsmem_tEENKUlT_SK_SL_SM_E_clISF_PS5_SG_SG_EESJ_SZ_SK_SL_SM_EUlSZ_E0_NS1_11comp_targetILNS1_3genE4ELNS1_11target_archE910ELNS1_3gpuE8ELNS1_3repE0EEENS1_38merge_mergepath_config_static_selectorELNS0_4arch9wavefront6targetE1EEEvSL_,"axG",@progbits,_ZN7rocprim17ROCPRIM_400000_NS6detail17trampoline_kernelINS0_14default_configENS1_38merge_sort_block_merge_config_selectorI14custom_numericNS0_10empty_typeEEEZZNS1_27merge_sort_block_merge_implIS3_N6thrust23THRUST_200600_302600_NS6detail15normal_iteratorINSA_10device_ptrIS5_EEEEPS6_mNSA_4lessIS5_EEEE10hipError_tT0_T1_T2_jT3_P12ihipStream_tbPNSt15iterator_traitsISK_E10value_typeEPNSQ_ISL_E10value_typeEPSM_NS1_7vsmem_tEENKUlT_SK_SL_SM_E_clISF_PS5_SG_SG_EESJ_SZ_SK_SL_SM_EUlSZ_E0_NS1_11comp_targetILNS1_3genE4ELNS1_11target_archE910ELNS1_3gpuE8ELNS1_3repE0EEENS1_38merge_mergepath_config_static_selectorELNS0_4arch9wavefront6targetE1EEEvSL_,comdat
.Lfunc_end1450:
	.size	_ZN7rocprim17ROCPRIM_400000_NS6detail17trampoline_kernelINS0_14default_configENS1_38merge_sort_block_merge_config_selectorI14custom_numericNS0_10empty_typeEEEZZNS1_27merge_sort_block_merge_implIS3_N6thrust23THRUST_200600_302600_NS6detail15normal_iteratorINSA_10device_ptrIS5_EEEEPS6_mNSA_4lessIS5_EEEE10hipError_tT0_T1_T2_jT3_P12ihipStream_tbPNSt15iterator_traitsISK_E10value_typeEPNSQ_ISL_E10value_typeEPSM_NS1_7vsmem_tEENKUlT_SK_SL_SM_E_clISF_PS5_SG_SG_EESJ_SZ_SK_SL_SM_EUlSZ_E0_NS1_11comp_targetILNS1_3genE4ELNS1_11target_archE910ELNS1_3gpuE8ELNS1_3repE0EEENS1_38merge_mergepath_config_static_selectorELNS0_4arch9wavefront6targetE1EEEvSL_, .Lfunc_end1450-_ZN7rocprim17ROCPRIM_400000_NS6detail17trampoline_kernelINS0_14default_configENS1_38merge_sort_block_merge_config_selectorI14custom_numericNS0_10empty_typeEEEZZNS1_27merge_sort_block_merge_implIS3_N6thrust23THRUST_200600_302600_NS6detail15normal_iteratorINSA_10device_ptrIS5_EEEEPS6_mNSA_4lessIS5_EEEE10hipError_tT0_T1_T2_jT3_P12ihipStream_tbPNSt15iterator_traitsISK_E10value_typeEPNSQ_ISL_E10value_typeEPSM_NS1_7vsmem_tEENKUlT_SK_SL_SM_E_clISF_PS5_SG_SG_EESJ_SZ_SK_SL_SM_EUlSZ_E0_NS1_11comp_targetILNS1_3genE4ELNS1_11target_archE910ELNS1_3gpuE8ELNS1_3repE0EEENS1_38merge_mergepath_config_static_selectorELNS0_4arch9wavefront6targetE1EEEvSL_
                                        ; -- End function
	.section	.AMDGPU.csdata,"",@progbits
; Kernel info:
; codeLenInByte = 2424
; NumSgprs: 35
; NumVgprs: 24
; NumAgprs: 0
; TotalNumVgprs: 24
; ScratchSize: 0
; MemoryBound: 0
; FloatMode: 240
; IeeeMode: 1
; LDSByteSize: 10560 bytes/workgroup (compile time only)
; SGPRBlocks: 4
; VGPRBlocks: 2
; NumSGPRsForWavesPerEU: 35
; NumVGPRsForWavesPerEU: 24
; AccumOffset: 24
; Occupancy: 3
; WaveLimiterHint : 1
; COMPUTE_PGM_RSRC2:SCRATCH_EN: 0
; COMPUTE_PGM_RSRC2:USER_SGPR: 6
; COMPUTE_PGM_RSRC2:TRAP_HANDLER: 0
; COMPUTE_PGM_RSRC2:TGID_X_EN: 1
; COMPUTE_PGM_RSRC2:TGID_Y_EN: 1
; COMPUTE_PGM_RSRC2:TGID_Z_EN: 1
; COMPUTE_PGM_RSRC2:TIDIG_COMP_CNT: 0
; COMPUTE_PGM_RSRC3_GFX90A:ACCUM_OFFSET: 5
; COMPUTE_PGM_RSRC3_GFX90A:TG_SPLIT: 0
	.section	.text._ZN7rocprim17ROCPRIM_400000_NS6detail17trampoline_kernelINS0_14default_configENS1_38merge_sort_block_merge_config_selectorI14custom_numericNS0_10empty_typeEEEZZNS1_27merge_sort_block_merge_implIS3_N6thrust23THRUST_200600_302600_NS6detail15normal_iteratorINSA_10device_ptrIS5_EEEEPS6_mNSA_4lessIS5_EEEE10hipError_tT0_T1_T2_jT3_P12ihipStream_tbPNSt15iterator_traitsISK_E10value_typeEPNSQ_ISL_E10value_typeEPSM_NS1_7vsmem_tEENKUlT_SK_SL_SM_E_clISF_PS5_SG_SG_EESJ_SZ_SK_SL_SM_EUlSZ_E0_NS1_11comp_targetILNS1_3genE3ELNS1_11target_archE908ELNS1_3gpuE7ELNS1_3repE0EEENS1_38merge_mergepath_config_static_selectorELNS0_4arch9wavefront6targetE1EEEvSL_,"axG",@progbits,_ZN7rocprim17ROCPRIM_400000_NS6detail17trampoline_kernelINS0_14default_configENS1_38merge_sort_block_merge_config_selectorI14custom_numericNS0_10empty_typeEEEZZNS1_27merge_sort_block_merge_implIS3_N6thrust23THRUST_200600_302600_NS6detail15normal_iteratorINSA_10device_ptrIS5_EEEEPS6_mNSA_4lessIS5_EEEE10hipError_tT0_T1_T2_jT3_P12ihipStream_tbPNSt15iterator_traitsISK_E10value_typeEPNSQ_ISL_E10value_typeEPSM_NS1_7vsmem_tEENKUlT_SK_SL_SM_E_clISF_PS5_SG_SG_EESJ_SZ_SK_SL_SM_EUlSZ_E0_NS1_11comp_targetILNS1_3genE3ELNS1_11target_archE908ELNS1_3gpuE7ELNS1_3repE0EEENS1_38merge_mergepath_config_static_selectorELNS0_4arch9wavefront6targetE1EEEvSL_,comdat
	.protected	_ZN7rocprim17ROCPRIM_400000_NS6detail17trampoline_kernelINS0_14default_configENS1_38merge_sort_block_merge_config_selectorI14custom_numericNS0_10empty_typeEEEZZNS1_27merge_sort_block_merge_implIS3_N6thrust23THRUST_200600_302600_NS6detail15normal_iteratorINSA_10device_ptrIS5_EEEEPS6_mNSA_4lessIS5_EEEE10hipError_tT0_T1_T2_jT3_P12ihipStream_tbPNSt15iterator_traitsISK_E10value_typeEPNSQ_ISL_E10value_typeEPSM_NS1_7vsmem_tEENKUlT_SK_SL_SM_E_clISF_PS5_SG_SG_EESJ_SZ_SK_SL_SM_EUlSZ_E0_NS1_11comp_targetILNS1_3genE3ELNS1_11target_archE908ELNS1_3gpuE7ELNS1_3repE0EEENS1_38merge_mergepath_config_static_selectorELNS0_4arch9wavefront6targetE1EEEvSL_ ; -- Begin function _ZN7rocprim17ROCPRIM_400000_NS6detail17trampoline_kernelINS0_14default_configENS1_38merge_sort_block_merge_config_selectorI14custom_numericNS0_10empty_typeEEEZZNS1_27merge_sort_block_merge_implIS3_N6thrust23THRUST_200600_302600_NS6detail15normal_iteratorINSA_10device_ptrIS5_EEEEPS6_mNSA_4lessIS5_EEEE10hipError_tT0_T1_T2_jT3_P12ihipStream_tbPNSt15iterator_traitsISK_E10value_typeEPNSQ_ISL_E10value_typeEPSM_NS1_7vsmem_tEENKUlT_SK_SL_SM_E_clISF_PS5_SG_SG_EESJ_SZ_SK_SL_SM_EUlSZ_E0_NS1_11comp_targetILNS1_3genE3ELNS1_11target_archE908ELNS1_3gpuE7ELNS1_3repE0EEENS1_38merge_mergepath_config_static_selectorELNS0_4arch9wavefront6targetE1EEEvSL_
	.globl	_ZN7rocprim17ROCPRIM_400000_NS6detail17trampoline_kernelINS0_14default_configENS1_38merge_sort_block_merge_config_selectorI14custom_numericNS0_10empty_typeEEEZZNS1_27merge_sort_block_merge_implIS3_N6thrust23THRUST_200600_302600_NS6detail15normal_iteratorINSA_10device_ptrIS5_EEEEPS6_mNSA_4lessIS5_EEEE10hipError_tT0_T1_T2_jT3_P12ihipStream_tbPNSt15iterator_traitsISK_E10value_typeEPNSQ_ISL_E10value_typeEPSM_NS1_7vsmem_tEENKUlT_SK_SL_SM_E_clISF_PS5_SG_SG_EESJ_SZ_SK_SL_SM_EUlSZ_E0_NS1_11comp_targetILNS1_3genE3ELNS1_11target_archE908ELNS1_3gpuE7ELNS1_3repE0EEENS1_38merge_mergepath_config_static_selectorELNS0_4arch9wavefront6targetE1EEEvSL_
	.p2align	8
	.type	_ZN7rocprim17ROCPRIM_400000_NS6detail17trampoline_kernelINS0_14default_configENS1_38merge_sort_block_merge_config_selectorI14custom_numericNS0_10empty_typeEEEZZNS1_27merge_sort_block_merge_implIS3_N6thrust23THRUST_200600_302600_NS6detail15normal_iteratorINSA_10device_ptrIS5_EEEEPS6_mNSA_4lessIS5_EEEE10hipError_tT0_T1_T2_jT3_P12ihipStream_tbPNSt15iterator_traitsISK_E10value_typeEPNSQ_ISL_E10value_typeEPSM_NS1_7vsmem_tEENKUlT_SK_SL_SM_E_clISF_PS5_SG_SG_EESJ_SZ_SK_SL_SM_EUlSZ_E0_NS1_11comp_targetILNS1_3genE3ELNS1_11target_archE908ELNS1_3gpuE7ELNS1_3repE0EEENS1_38merge_mergepath_config_static_selectorELNS0_4arch9wavefront6targetE1EEEvSL_,@function
_ZN7rocprim17ROCPRIM_400000_NS6detail17trampoline_kernelINS0_14default_configENS1_38merge_sort_block_merge_config_selectorI14custom_numericNS0_10empty_typeEEEZZNS1_27merge_sort_block_merge_implIS3_N6thrust23THRUST_200600_302600_NS6detail15normal_iteratorINSA_10device_ptrIS5_EEEEPS6_mNSA_4lessIS5_EEEE10hipError_tT0_T1_T2_jT3_P12ihipStream_tbPNSt15iterator_traitsISK_E10value_typeEPNSQ_ISL_E10value_typeEPSM_NS1_7vsmem_tEENKUlT_SK_SL_SM_E_clISF_PS5_SG_SG_EESJ_SZ_SK_SL_SM_EUlSZ_E0_NS1_11comp_targetILNS1_3genE3ELNS1_11target_archE908ELNS1_3gpuE7ELNS1_3repE0EEENS1_38merge_mergepath_config_static_selectorELNS0_4arch9wavefront6targetE1EEEvSL_: ; @_ZN7rocprim17ROCPRIM_400000_NS6detail17trampoline_kernelINS0_14default_configENS1_38merge_sort_block_merge_config_selectorI14custom_numericNS0_10empty_typeEEEZZNS1_27merge_sort_block_merge_implIS3_N6thrust23THRUST_200600_302600_NS6detail15normal_iteratorINSA_10device_ptrIS5_EEEEPS6_mNSA_4lessIS5_EEEE10hipError_tT0_T1_T2_jT3_P12ihipStream_tbPNSt15iterator_traitsISK_E10value_typeEPNSQ_ISL_E10value_typeEPSM_NS1_7vsmem_tEENKUlT_SK_SL_SM_E_clISF_PS5_SG_SG_EESJ_SZ_SK_SL_SM_EUlSZ_E0_NS1_11comp_targetILNS1_3genE3ELNS1_11target_archE908ELNS1_3gpuE7ELNS1_3repE0EEENS1_38merge_mergepath_config_static_selectorELNS0_4arch9wavefront6targetE1EEEvSL_
; %bb.0:
	.section	.rodata,"a",@progbits
	.p2align	6, 0x0
	.amdhsa_kernel _ZN7rocprim17ROCPRIM_400000_NS6detail17trampoline_kernelINS0_14default_configENS1_38merge_sort_block_merge_config_selectorI14custom_numericNS0_10empty_typeEEEZZNS1_27merge_sort_block_merge_implIS3_N6thrust23THRUST_200600_302600_NS6detail15normal_iteratorINSA_10device_ptrIS5_EEEEPS6_mNSA_4lessIS5_EEEE10hipError_tT0_T1_T2_jT3_P12ihipStream_tbPNSt15iterator_traitsISK_E10value_typeEPNSQ_ISL_E10value_typeEPSM_NS1_7vsmem_tEENKUlT_SK_SL_SM_E_clISF_PS5_SG_SG_EESJ_SZ_SK_SL_SM_EUlSZ_E0_NS1_11comp_targetILNS1_3genE3ELNS1_11target_archE908ELNS1_3gpuE7ELNS1_3repE0EEENS1_38merge_mergepath_config_static_selectorELNS0_4arch9wavefront6targetE1EEEvSL_
		.amdhsa_group_segment_fixed_size 0
		.amdhsa_private_segment_fixed_size 0
		.amdhsa_kernarg_size 72
		.amdhsa_user_sgpr_count 6
		.amdhsa_user_sgpr_private_segment_buffer 1
		.amdhsa_user_sgpr_dispatch_ptr 0
		.amdhsa_user_sgpr_queue_ptr 0
		.amdhsa_user_sgpr_kernarg_segment_ptr 1
		.amdhsa_user_sgpr_dispatch_id 0
		.amdhsa_user_sgpr_flat_scratch_init 0
		.amdhsa_user_sgpr_kernarg_preload_length 0
		.amdhsa_user_sgpr_kernarg_preload_offset 0
		.amdhsa_user_sgpr_private_segment_size 0
		.amdhsa_uses_dynamic_stack 0
		.amdhsa_system_sgpr_private_segment_wavefront_offset 0
		.amdhsa_system_sgpr_workgroup_id_x 1
		.amdhsa_system_sgpr_workgroup_id_y 0
		.amdhsa_system_sgpr_workgroup_id_z 0
		.amdhsa_system_sgpr_workgroup_info 0
		.amdhsa_system_vgpr_workitem_id 0
		.amdhsa_next_free_vgpr 1
		.amdhsa_next_free_sgpr 0
		.amdhsa_accum_offset 4
		.amdhsa_reserve_vcc 0
		.amdhsa_reserve_flat_scratch 0
		.amdhsa_float_round_mode_32 0
		.amdhsa_float_round_mode_16_64 0
		.amdhsa_float_denorm_mode_32 3
		.amdhsa_float_denorm_mode_16_64 3
		.amdhsa_dx10_clamp 1
		.amdhsa_ieee_mode 1
		.amdhsa_fp16_overflow 0
		.amdhsa_tg_split 0
		.amdhsa_exception_fp_ieee_invalid_op 0
		.amdhsa_exception_fp_denorm_src 0
		.amdhsa_exception_fp_ieee_div_zero 0
		.amdhsa_exception_fp_ieee_overflow 0
		.amdhsa_exception_fp_ieee_underflow 0
		.amdhsa_exception_fp_ieee_inexact 0
		.amdhsa_exception_int_div_zero 0
	.end_amdhsa_kernel
	.section	.text._ZN7rocprim17ROCPRIM_400000_NS6detail17trampoline_kernelINS0_14default_configENS1_38merge_sort_block_merge_config_selectorI14custom_numericNS0_10empty_typeEEEZZNS1_27merge_sort_block_merge_implIS3_N6thrust23THRUST_200600_302600_NS6detail15normal_iteratorINSA_10device_ptrIS5_EEEEPS6_mNSA_4lessIS5_EEEE10hipError_tT0_T1_T2_jT3_P12ihipStream_tbPNSt15iterator_traitsISK_E10value_typeEPNSQ_ISL_E10value_typeEPSM_NS1_7vsmem_tEENKUlT_SK_SL_SM_E_clISF_PS5_SG_SG_EESJ_SZ_SK_SL_SM_EUlSZ_E0_NS1_11comp_targetILNS1_3genE3ELNS1_11target_archE908ELNS1_3gpuE7ELNS1_3repE0EEENS1_38merge_mergepath_config_static_selectorELNS0_4arch9wavefront6targetE1EEEvSL_,"axG",@progbits,_ZN7rocprim17ROCPRIM_400000_NS6detail17trampoline_kernelINS0_14default_configENS1_38merge_sort_block_merge_config_selectorI14custom_numericNS0_10empty_typeEEEZZNS1_27merge_sort_block_merge_implIS3_N6thrust23THRUST_200600_302600_NS6detail15normal_iteratorINSA_10device_ptrIS5_EEEEPS6_mNSA_4lessIS5_EEEE10hipError_tT0_T1_T2_jT3_P12ihipStream_tbPNSt15iterator_traitsISK_E10value_typeEPNSQ_ISL_E10value_typeEPSM_NS1_7vsmem_tEENKUlT_SK_SL_SM_E_clISF_PS5_SG_SG_EESJ_SZ_SK_SL_SM_EUlSZ_E0_NS1_11comp_targetILNS1_3genE3ELNS1_11target_archE908ELNS1_3gpuE7ELNS1_3repE0EEENS1_38merge_mergepath_config_static_selectorELNS0_4arch9wavefront6targetE1EEEvSL_,comdat
.Lfunc_end1451:
	.size	_ZN7rocprim17ROCPRIM_400000_NS6detail17trampoline_kernelINS0_14default_configENS1_38merge_sort_block_merge_config_selectorI14custom_numericNS0_10empty_typeEEEZZNS1_27merge_sort_block_merge_implIS3_N6thrust23THRUST_200600_302600_NS6detail15normal_iteratorINSA_10device_ptrIS5_EEEEPS6_mNSA_4lessIS5_EEEE10hipError_tT0_T1_T2_jT3_P12ihipStream_tbPNSt15iterator_traitsISK_E10value_typeEPNSQ_ISL_E10value_typeEPSM_NS1_7vsmem_tEENKUlT_SK_SL_SM_E_clISF_PS5_SG_SG_EESJ_SZ_SK_SL_SM_EUlSZ_E0_NS1_11comp_targetILNS1_3genE3ELNS1_11target_archE908ELNS1_3gpuE7ELNS1_3repE0EEENS1_38merge_mergepath_config_static_selectorELNS0_4arch9wavefront6targetE1EEEvSL_, .Lfunc_end1451-_ZN7rocprim17ROCPRIM_400000_NS6detail17trampoline_kernelINS0_14default_configENS1_38merge_sort_block_merge_config_selectorI14custom_numericNS0_10empty_typeEEEZZNS1_27merge_sort_block_merge_implIS3_N6thrust23THRUST_200600_302600_NS6detail15normal_iteratorINSA_10device_ptrIS5_EEEEPS6_mNSA_4lessIS5_EEEE10hipError_tT0_T1_T2_jT3_P12ihipStream_tbPNSt15iterator_traitsISK_E10value_typeEPNSQ_ISL_E10value_typeEPSM_NS1_7vsmem_tEENKUlT_SK_SL_SM_E_clISF_PS5_SG_SG_EESJ_SZ_SK_SL_SM_EUlSZ_E0_NS1_11comp_targetILNS1_3genE3ELNS1_11target_archE908ELNS1_3gpuE7ELNS1_3repE0EEENS1_38merge_mergepath_config_static_selectorELNS0_4arch9wavefront6targetE1EEEvSL_
                                        ; -- End function
	.section	.AMDGPU.csdata,"",@progbits
; Kernel info:
; codeLenInByte = 0
; NumSgprs: 4
; NumVgprs: 0
; NumAgprs: 0
; TotalNumVgprs: 0
; ScratchSize: 0
; MemoryBound: 0
; FloatMode: 240
; IeeeMode: 1
; LDSByteSize: 0 bytes/workgroup (compile time only)
; SGPRBlocks: 0
; VGPRBlocks: 0
; NumSGPRsForWavesPerEU: 4
; NumVGPRsForWavesPerEU: 1
; AccumOffset: 4
; Occupancy: 8
; WaveLimiterHint : 0
; COMPUTE_PGM_RSRC2:SCRATCH_EN: 0
; COMPUTE_PGM_RSRC2:USER_SGPR: 6
; COMPUTE_PGM_RSRC2:TRAP_HANDLER: 0
; COMPUTE_PGM_RSRC2:TGID_X_EN: 1
; COMPUTE_PGM_RSRC2:TGID_Y_EN: 0
; COMPUTE_PGM_RSRC2:TGID_Z_EN: 0
; COMPUTE_PGM_RSRC2:TIDIG_COMP_CNT: 0
; COMPUTE_PGM_RSRC3_GFX90A:ACCUM_OFFSET: 0
; COMPUTE_PGM_RSRC3_GFX90A:TG_SPLIT: 0
	.section	.text._ZN7rocprim17ROCPRIM_400000_NS6detail17trampoline_kernelINS0_14default_configENS1_38merge_sort_block_merge_config_selectorI14custom_numericNS0_10empty_typeEEEZZNS1_27merge_sort_block_merge_implIS3_N6thrust23THRUST_200600_302600_NS6detail15normal_iteratorINSA_10device_ptrIS5_EEEEPS6_mNSA_4lessIS5_EEEE10hipError_tT0_T1_T2_jT3_P12ihipStream_tbPNSt15iterator_traitsISK_E10value_typeEPNSQ_ISL_E10value_typeEPSM_NS1_7vsmem_tEENKUlT_SK_SL_SM_E_clISF_PS5_SG_SG_EESJ_SZ_SK_SL_SM_EUlSZ_E0_NS1_11comp_targetILNS1_3genE2ELNS1_11target_archE906ELNS1_3gpuE6ELNS1_3repE0EEENS1_38merge_mergepath_config_static_selectorELNS0_4arch9wavefront6targetE1EEEvSL_,"axG",@progbits,_ZN7rocprim17ROCPRIM_400000_NS6detail17trampoline_kernelINS0_14default_configENS1_38merge_sort_block_merge_config_selectorI14custom_numericNS0_10empty_typeEEEZZNS1_27merge_sort_block_merge_implIS3_N6thrust23THRUST_200600_302600_NS6detail15normal_iteratorINSA_10device_ptrIS5_EEEEPS6_mNSA_4lessIS5_EEEE10hipError_tT0_T1_T2_jT3_P12ihipStream_tbPNSt15iterator_traitsISK_E10value_typeEPNSQ_ISL_E10value_typeEPSM_NS1_7vsmem_tEENKUlT_SK_SL_SM_E_clISF_PS5_SG_SG_EESJ_SZ_SK_SL_SM_EUlSZ_E0_NS1_11comp_targetILNS1_3genE2ELNS1_11target_archE906ELNS1_3gpuE6ELNS1_3repE0EEENS1_38merge_mergepath_config_static_selectorELNS0_4arch9wavefront6targetE1EEEvSL_,comdat
	.protected	_ZN7rocprim17ROCPRIM_400000_NS6detail17trampoline_kernelINS0_14default_configENS1_38merge_sort_block_merge_config_selectorI14custom_numericNS0_10empty_typeEEEZZNS1_27merge_sort_block_merge_implIS3_N6thrust23THRUST_200600_302600_NS6detail15normal_iteratorINSA_10device_ptrIS5_EEEEPS6_mNSA_4lessIS5_EEEE10hipError_tT0_T1_T2_jT3_P12ihipStream_tbPNSt15iterator_traitsISK_E10value_typeEPNSQ_ISL_E10value_typeEPSM_NS1_7vsmem_tEENKUlT_SK_SL_SM_E_clISF_PS5_SG_SG_EESJ_SZ_SK_SL_SM_EUlSZ_E0_NS1_11comp_targetILNS1_3genE2ELNS1_11target_archE906ELNS1_3gpuE6ELNS1_3repE0EEENS1_38merge_mergepath_config_static_selectorELNS0_4arch9wavefront6targetE1EEEvSL_ ; -- Begin function _ZN7rocprim17ROCPRIM_400000_NS6detail17trampoline_kernelINS0_14default_configENS1_38merge_sort_block_merge_config_selectorI14custom_numericNS0_10empty_typeEEEZZNS1_27merge_sort_block_merge_implIS3_N6thrust23THRUST_200600_302600_NS6detail15normal_iteratorINSA_10device_ptrIS5_EEEEPS6_mNSA_4lessIS5_EEEE10hipError_tT0_T1_T2_jT3_P12ihipStream_tbPNSt15iterator_traitsISK_E10value_typeEPNSQ_ISL_E10value_typeEPSM_NS1_7vsmem_tEENKUlT_SK_SL_SM_E_clISF_PS5_SG_SG_EESJ_SZ_SK_SL_SM_EUlSZ_E0_NS1_11comp_targetILNS1_3genE2ELNS1_11target_archE906ELNS1_3gpuE6ELNS1_3repE0EEENS1_38merge_mergepath_config_static_selectorELNS0_4arch9wavefront6targetE1EEEvSL_
	.globl	_ZN7rocprim17ROCPRIM_400000_NS6detail17trampoline_kernelINS0_14default_configENS1_38merge_sort_block_merge_config_selectorI14custom_numericNS0_10empty_typeEEEZZNS1_27merge_sort_block_merge_implIS3_N6thrust23THRUST_200600_302600_NS6detail15normal_iteratorINSA_10device_ptrIS5_EEEEPS6_mNSA_4lessIS5_EEEE10hipError_tT0_T1_T2_jT3_P12ihipStream_tbPNSt15iterator_traitsISK_E10value_typeEPNSQ_ISL_E10value_typeEPSM_NS1_7vsmem_tEENKUlT_SK_SL_SM_E_clISF_PS5_SG_SG_EESJ_SZ_SK_SL_SM_EUlSZ_E0_NS1_11comp_targetILNS1_3genE2ELNS1_11target_archE906ELNS1_3gpuE6ELNS1_3repE0EEENS1_38merge_mergepath_config_static_selectorELNS0_4arch9wavefront6targetE1EEEvSL_
	.p2align	8
	.type	_ZN7rocprim17ROCPRIM_400000_NS6detail17trampoline_kernelINS0_14default_configENS1_38merge_sort_block_merge_config_selectorI14custom_numericNS0_10empty_typeEEEZZNS1_27merge_sort_block_merge_implIS3_N6thrust23THRUST_200600_302600_NS6detail15normal_iteratorINSA_10device_ptrIS5_EEEEPS6_mNSA_4lessIS5_EEEE10hipError_tT0_T1_T2_jT3_P12ihipStream_tbPNSt15iterator_traitsISK_E10value_typeEPNSQ_ISL_E10value_typeEPSM_NS1_7vsmem_tEENKUlT_SK_SL_SM_E_clISF_PS5_SG_SG_EESJ_SZ_SK_SL_SM_EUlSZ_E0_NS1_11comp_targetILNS1_3genE2ELNS1_11target_archE906ELNS1_3gpuE6ELNS1_3repE0EEENS1_38merge_mergepath_config_static_selectorELNS0_4arch9wavefront6targetE1EEEvSL_,@function
_ZN7rocprim17ROCPRIM_400000_NS6detail17trampoline_kernelINS0_14default_configENS1_38merge_sort_block_merge_config_selectorI14custom_numericNS0_10empty_typeEEEZZNS1_27merge_sort_block_merge_implIS3_N6thrust23THRUST_200600_302600_NS6detail15normal_iteratorINSA_10device_ptrIS5_EEEEPS6_mNSA_4lessIS5_EEEE10hipError_tT0_T1_T2_jT3_P12ihipStream_tbPNSt15iterator_traitsISK_E10value_typeEPNSQ_ISL_E10value_typeEPSM_NS1_7vsmem_tEENKUlT_SK_SL_SM_E_clISF_PS5_SG_SG_EESJ_SZ_SK_SL_SM_EUlSZ_E0_NS1_11comp_targetILNS1_3genE2ELNS1_11target_archE906ELNS1_3gpuE6ELNS1_3repE0EEENS1_38merge_mergepath_config_static_selectorELNS0_4arch9wavefront6targetE1EEEvSL_: ; @_ZN7rocprim17ROCPRIM_400000_NS6detail17trampoline_kernelINS0_14default_configENS1_38merge_sort_block_merge_config_selectorI14custom_numericNS0_10empty_typeEEEZZNS1_27merge_sort_block_merge_implIS3_N6thrust23THRUST_200600_302600_NS6detail15normal_iteratorINSA_10device_ptrIS5_EEEEPS6_mNSA_4lessIS5_EEEE10hipError_tT0_T1_T2_jT3_P12ihipStream_tbPNSt15iterator_traitsISK_E10value_typeEPNSQ_ISL_E10value_typeEPSM_NS1_7vsmem_tEENKUlT_SK_SL_SM_E_clISF_PS5_SG_SG_EESJ_SZ_SK_SL_SM_EUlSZ_E0_NS1_11comp_targetILNS1_3genE2ELNS1_11target_archE906ELNS1_3gpuE6ELNS1_3repE0EEENS1_38merge_mergepath_config_static_selectorELNS0_4arch9wavefront6targetE1EEEvSL_
; %bb.0:
	.section	.rodata,"a",@progbits
	.p2align	6, 0x0
	.amdhsa_kernel _ZN7rocprim17ROCPRIM_400000_NS6detail17trampoline_kernelINS0_14default_configENS1_38merge_sort_block_merge_config_selectorI14custom_numericNS0_10empty_typeEEEZZNS1_27merge_sort_block_merge_implIS3_N6thrust23THRUST_200600_302600_NS6detail15normal_iteratorINSA_10device_ptrIS5_EEEEPS6_mNSA_4lessIS5_EEEE10hipError_tT0_T1_T2_jT3_P12ihipStream_tbPNSt15iterator_traitsISK_E10value_typeEPNSQ_ISL_E10value_typeEPSM_NS1_7vsmem_tEENKUlT_SK_SL_SM_E_clISF_PS5_SG_SG_EESJ_SZ_SK_SL_SM_EUlSZ_E0_NS1_11comp_targetILNS1_3genE2ELNS1_11target_archE906ELNS1_3gpuE6ELNS1_3repE0EEENS1_38merge_mergepath_config_static_selectorELNS0_4arch9wavefront6targetE1EEEvSL_
		.amdhsa_group_segment_fixed_size 0
		.amdhsa_private_segment_fixed_size 0
		.amdhsa_kernarg_size 72
		.amdhsa_user_sgpr_count 6
		.amdhsa_user_sgpr_private_segment_buffer 1
		.amdhsa_user_sgpr_dispatch_ptr 0
		.amdhsa_user_sgpr_queue_ptr 0
		.amdhsa_user_sgpr_kernarg_segment_ptr 1
		.amdhsa_user_sgpr_dispatch_id 0
		.amdhsa_user_sgpr_flat_scratch_init 0
		.amdhsa_user_sgpr_kernarg_preload_length 0
		.amdhsa_user_sgpr_kernarg_preload_offset 0
		.amdhsa_user_sgpr_private_segment_size 0
		.amdhsa_uses_dynamic_stack 0
		.amdhsa_system_sgpr_private_segment_wavefront_offset 0
		.amdhsa_system_sgpr_workgroup_id_x 1
		.amdhsa_system_sgpr_workgroup_id_y 0
		.amdhsa_system_sgpr_workgroup_id_z 0
		.amdhsa_system_sgpr_workgroup_info 0
		.amdhsa_system_vgpr_workitem_id 0
		.amdhsa_next_free_vgpr 1
		.amdhsa_next_free_sgpr 0
		.amdhsa_accum_offset 4
		.amdhsa_reserve_vcc 0
		.amdhsa_reserve_flat_scratch 0
		.amdhsa_float_round_mode_32 0
		.amdhsa_float_round_mode_16_64 0
		.amdhsa_float_denorm_mode_32 3
		.amdhsa_float_denorm_mode_16_64 3
		.amdhsa_dx10_clamp 1
		.amdhsa_ieee_mode 1
		.amdhsa_fp16_overflow 0
		.amdhsa_tg_split 0
		.amdhsa_exception_fp_ieee_invalid_op 0
		.amdhsa_exception_fp_denorm_src 0
		.amdhsa_exception_fp_ieee_div_zero 0
		.amdhsa_exception_fp_ieee_overflow 0
		.amdhsa_exception_fp_ieee_underflow 0
		.amdhsa_exception_fp_ieee_inexact 0
		.amdhsa_exception_int_div_zero 0
	.end_amdhsa_kernel
	.section	.text._ZN7rocprim17ROCPRIM_400000_NS6detail17trampoline_kernelINS0_14default_configENS1_38merge_sort_block_merge_config_selectorI14custom_numericNS0_10empty_typeEEEZZNS1_27merge_sort_block_merge_implIS3_N6thrust23THRUST_200600_302600_NS6detail15normal_iteratorINSA_10device_ptrIS5_EEEEPS6_mNSA_4lessIS5_EEEE10hipError_tT0_T1_T2_jT3_P12ihipStream_tbPNSt15iterator_traitsISK_E10value_typeEPNSQ_ISL_E10value_typeEPSM_NS1_7vsmem_tEENKUlT_SK_SL_SM_E_clISF_PS5_SG_SG_EESJ_SZ_SK_SL_SM_EUlSZ_E0_NS1_11comp_targetILNS1_3genE2ELNS1_11target_archE906ELNS1_3gpuE6ELNS1_3repE0EEENS1_38merge_mergepath_config_static_selectorELNS0_4arch9wavefront6targetE1EEEvSL_,"axG",@progbits,_ZN7rocprim17ROCPRIM_400000_NS6detail17trampoline_kernelINS0_14default_configENS1_38merge_sort_block_merge_config_selectorI14custom_numericNS0_10empty_typeEEEZZNS1_27merge_sort_block_merge_implIS3_N6thrust23THRUST_200600_302600_NS6detail15normal_iteratorINSA_10device_ptrIS5_EEEEPS6_mNSA_4lessIS5_EEEE10hipError_tT0_T1_T2_jT3_P12ihipStream_tbPNSt15iterator_traitsISK_E10value_typeEPNSQ_ISL_E10value_typeEPSM_NS1_7vsmem_tEENKUlT_SK_SL_SM_E_clISF_PS5_SG_SG_EESJ_SZ_SK_SL_SM_EUlSZ_E0_NS1_11comp_targetILNS1_3genE2ELNS1_11target_archE906ELNS1_3gpuE6ELNS1_3repE0EEENS1_38merge_mergepath_config_static_selectorELNS0_4arch9wavefront6targetE1EEEvSL_,comdat
.Lfunc_end1452:
	.size	_ZN7rocprim17ROCPRIM_400000_NS6detail17trampoline_kernelINS0_14default_configENS1_38merge_sort_block_merge_config_selectorI14custom_numericNS0_10empty_typeEEEZZNS1_27merge_sort_block_merge_implIS3_N6thrust23THRUST_200600_302600_NS6detail15normal_iteratorINSA_10device_ptrIS5_EEEEPS6_mNSA_4lessIS5_EEEE10hipError_tT0_T1_T2_jT3_P12ihipStream_tbPNSt15iterator_traitsISK_E10value_typeEPNSQ_ISL_E10value_typeEPSM_NS1_7vsmem_tEENKUlT_SK_SL_SM_E_clISF_PS5_SG_SG_EESJ_SZ_SK_SL_SM_EUlSZ_E0_NS1_11comp_targetILNS1_3genE2ELNS1_11target_archE906ELNS1_3gpuE6ELNS1_3repE0EEENS1_38merge_mergepath_config_static_selectorELNS0_4arch9wavefront6targetE1EEEvSL_, .Lfunc_end1452-_ZN7rocprim17ROCPRIM_400000_NS6detail17trampoline_kernelINS0_14default_configENS1_38merge_sort_block_merge_config_selectorI14custom_numericNS0_10empty_typeEEEZZNS1_27merge_sort_block_merge_implIS3_N6thrust23THRUST_200600_302600_NS6detail15normal_iteratorINSA_10device_ptrIS5_EEEEPS6_mNSA_4lessIS5_EEEE10hipError_tT0_T1_T2_jT3_P12ihipStream_tbPNSt15iterator_traitsISK_E10value_typeEPNSQ_ISL_E10value_typeEPSM_NS1_7vsmem_tEENKUlT_SK_SL_SM_E_clISF_PS5_SG_SG_EESJ_SZ_SK_SL_SM_EUlSZ_E0_NS1_11comp_targetILNS1_3genE2ELNS1_11target_archE906ELNS1_3gpuE6ELNS1_3repE0EEENS1_38merge_mergepath_config_static_selectorELNS0_4arch9wavefront6targetE1EEEvSL_
                                        ; -- End function
	.section	.AMDGPU.csdata,"",@progbits
; Kernel info:
; codeLenInByte = 0
; NumSgprs: 4
; NumVgprs: 0
; NumAgprs: 0
; TotalNumVgprs: 0
; ScratchSize: 0
; MemoryBound: 0
; FloatMode: 240
; IeeeMode: 1
; LDSByteSize: 0 bytes/workgroup (compile time only)
; SGPRBlocks: 0
; VGPRBlocks: 0
; NumSGPRsForWavesPerEU: 4
; NumVGPRsForWavesPerEU: 1
; AccumOffset: 4
; Occupancy: 8
; WaveLimiterHint : 0
; COMPUTE_PGM_RSRC2:SCRATCH_EN: 0
; COMPUTE_PGM_RSRC2:USER_SGPR: 6
; COMPUTE_PGM_RSRC2:TRAP_HANDLER: 0
; COMPUTE_PGM_RSRC2:TGID_X_EN: 1
; COMPUTE_PGM_RSRC2:TGID_Y_EN: 0
; COMPUTE_PGM_RSRC2:TGID_Z_EN: 0
; COMPUTE_PGM_RSRC2:TIDIG_COMP_CNT: 0
; COMPUTE_PGM_RSRC3_GFX90A:ACCUM_OFFSET: 0
; COMPUTE_PGM_RSRC3_GFX90A:TG_SPLIT: 0
	.section	.text._ZN7rocprim17ROCPRIM_400000_NS6detail17trampoline_kernelINS0_14default_configENS1_38merge_sort_block_merge_config_selectorI14custom_numericNS0_10empty_typeEEEZZNS1_27merge_sort_block_merge_implIS3_N6thrust23THRUST_200600_302600_NS6detail15normal_iteratorINSA_10device_ptrIS5_EEEEPS6_mNSA_4lessIS5_EEEE10hipError_tT0_T1_T2_jT3_P12ihipStream_tbPNSt15iterator_traitsISK_E10value_typeEPNSQ_ISL_E10value_typeEPSM_NS1_7vsmem_tEENKUlT_SK_SL_SM_E_clISF_PS5_SG_SG_EESJ_SZ_SK_SL_SM_EUlSZ_E0_NS1_11comp_targetILNS1_3genE9ELNS1_11target_archE1100ELNS1_3gpuE3ELNS1_3repE0EEENS1_38merge_mergepath_config_static_selectorELNS0_4arch9wavefront6targetE1EEEvSL_,"axG",@progbits,_ZN7rocprim17ROCPRIM_400000_NS6detail17trampoline_kernelINS0_14default_configENS1_38merge_sort_block_merge_config_selectorI14custom_numericNS0_10empty_typeEEEZZNS1_27merge_sort_block_merge_implIS3_N6thrust23THRUST_200600_302600_NS6detail15normal_iteratorINSA_10device_ptrIS5_EEEEPS6_mNSA_4lessIS5_EEEE10hipError_tT0_T1_T2_jT3_P12ihipStream_tbPNSt15iterator_traitsISK_E10value_typeEPNSQ_ISL_E10value_typeEPSM_NS1_7vsmem_tEENKUlT_SK_SL_SM_E_clISF_PS5_SG_SG_EESJ_SZ_SK_SL_SM_EUlSZ_E0_NS1_11comp_targetILNS1_3genE9ELNS1_11target_archE1100ELNS1_3gpuE3ELNS1_3repE0EEENS1_38merge_mergepath_config_static_selectorELNS0_4arch9wavefront6targetE1EEEvSL_,comdat
	.protected	_ZN7rocprim17ROCPRIM_400000_NS6detail17trampoline_kernelINS0_14default_configENS1_38merge_sort_block_merge_config_selectorI14custom_numericNS0_10empty_typeEEEZZNS1_27merge_sort_block_merge_implIS3_N6thrust23THRUST_200600_302600_NS6detail15normal_iteratorINSA_10device_ptrIS5_EEEEPS6_mNSA_4lessIS5_EEEE10hipError_tT0_T1_T2_jT3_P12ihipStream_tbPNSt15iterator_traitsISK_E10value_typeEPNSQ_ISL_E10value_typeEPSM_NS1_7vsmem_tEENKUlT_SK_SL_SM_E_clISF_PS5_SG_SG_EESJ_SZ_SK_SL_SM_EUlSZ_E0_NS1_11comp_targetILNS1_3genE9ELNS1_11target_archE1100ELNS1_3gpuE3ELNS1_3repE0EEENS1_38merge_mergepath_config_static_selectorELNS0_4arch9wavefront6targetE1EEEvSL_ ; -- Begin function _ZN7rocprim17ROCPRIM_400000_NS6detail17trampoline_kernelINS0_14default_configENS1_38merge_sort_block_merge_config_selectorI14custom_numericNS0_10empty_typeEEEZZNS1_27merge_sort_block_merge_implIS3_N6thrust23THRUST_200600_302600_NS6detail15normal_iteratorINSA_10device_ptrIS5_EEEEPS6_mNSA_4lessIS5_EEEE10hipError_tT0_T1_T2_jT3_P12ihipStream_tbPNSt15iterator_traitsISK_E10value_typeEPNSQ_ISL_E10value_typeEPSM_NS1_7vsmem_tEENKUlT_SK_SL_SM_E_clISF_PS5_SG_SG_EESJ_SZ_SK_SL_SM_EUlSZ_E0_NS1_11comp_targetILNS1_3genE9ELNS1_11target_archE1100ELNS1_3gpuE3ELNS1_3repE0EEENS1_38merge_mergepath_config_static_selectorELNS0_4arch9wavefront6targetE1EEEvSL_
	.globl	_ZN7rocprim17ROCPRIM_400000_NS6detail17trampoline_kernelINS0_14default_configENS1_38merge_sort_block_merge_config_selectorI14custom_numericNS0_10empty_typeEEEZZNS1_27merge_sort_block_merge_implIS3_N6thrust23THRUST_200600_302600_NS6detail15normal_iteratorINSA_10device_ptrIS5_EEEEPS6_mNSA_4lessIS5_EEEE10hipError_tT0_T1_T2_jT3_P12ihipStream_tbPNSt15iterator_traitsISK_E10value_typeEPNSQ_ISL_E10value_typeEPSM_NS1_7vsmem_tEENKUlT_SK_SL_SM_E_clISF_PS5_SG_SG_EESJ_SZ_SK_SL_SM_EUlSZ_E0_NS1_11comp_targetILNS1_3genE9ELNS1_11target_archE1100ELNS1_3gpuE3ELNS1_3repE0EEENS1_38merge_mergepath_config_static_selectorELNS0_4arch9wavefront6targetE1EEEvSL_
	.p2align	8
	.type	_ZN7rocprim17ROCPRIM_400000_NS6detail17trampoline_kernelINS0_14default_configENS1_38merge_sort_block_merge_config_selectorI14custom_numericNS0_10empty_typeEEEZZNS1_27merge_sort_block_merge_implIS3_N6thrust23THRUST_200600_302600_NS6detail15normal_iteratorINSA_10device_ptrIS5_EEEEPS6_mNSA_4lessIS5_EEEE10hipError_tT0_T1_T2_jT3_P12ihipStream_tbPNSt15iterator_traitsISK_E10value_typeEPNSQ_ISL_E10value_typeEPSM_NS1_7vsmem_tEENKUlT_SK_SL_SM_E_clISF_PS5_SG_SG_EESJ_SZ_SK_SL_SM_EUlSZ_E0_NS1_11comp_targetILNS1_3genE9ELNS1_11target_archE1100ELNS1_3gpuE3ELNS1_3repE0EEENS1_38merge_mergepath_config_static_selectorELNS0_4arch9wavefront6targetE1EEEvSL_,@function
_ZN7rocprim17ROCPRIM_400000_NS6detail17trampoline_kernelINS0_14default_configENS1_38merge_sort_block_merge_config_selectorI14custom_numericNS0_10empty_typeEEEZZNS1_27merge_sort_block_merge_implIS3_N6thrust23THRUST_200600_302600_NS6detail15normal_iteratorINSA_10device_ptrIS5_EEEEPS6_mNSA_4lessIS5_EEEE10hipError_tT0_T1_T2_jT3_P12ihipStream_tbPNSt15iterator_traitsISK_E10value_typeEPNSQ_ISL_E10value_typeEPSM_NS1_7vsmem_tEENKUlT_SK_SL_SM_E_clISF_PS5_SG_SG_EESJ_SZ_SK_SL_SM_EUlSZ_E0_NS1_11comp_targetILNS1_3genE9ELNS1_11target_archE1100ELNS1_3gpuE3ELNS1_3repE0EEENS1_38merge_mergepath_config_static_selectorELNS0_4arch9wavefront6targetE1EEEvSL_: ; @_ZN7rocprim17ROCPRIM_400000_NS6detail17trampoline_kernelINS0_14default_configENS1_38merge_sort_block_merge_config_selectorI14custom_numericNS0_10empty_typeEEEZZNS1_27merge_sort_block_merge_implIS3_N6thrust23THRUST_200600_302600_NS6detail15normal_iteratorINSA_10device_ptrIS5_EEEEPS6_mNSA_4lessIS5_EEEE10hipError_tT0_T1_T2_jT3_P12ihipStream_tbPNSt15iterator_traitsISK_E10value_typeEPNSQ_ISL_E10value_typeEPSM_NS1_7vsmem_tEENKUlT_SK_SL_SM_E_clISF_PS5_SG_SG_EESJ_SZ_SK_SL_SM_EUlSZ_E0_NS1_11comp_targetILNS1_3genE9ELNS1_11target_archE1100ELNS1_3gpuE3ELNS1_3repE0EEENS1_38merge_mergepath_config_static_selectorELNS0_4arch9wavefront6targetE1EEEvSL_
; %bb.0:
	.section	.rodata,"a",@progbits
	.p2align	6, 0x0
	.amdhsa_kernel _ZN7rocprim17ROCPRIM_400000_NS6detail17trampoline_kernelINS0_14default_configENS1_38merge_sort_block_merge_config_selectorI14custom_numericNS0_10empty_typeEEEZZNS1_27merge_sort_block_merge_implIS3_N6thrust23THRUST_200600_302600_NS6detail15normal_iteratorINSA_10device_ptrIS5_EEEEPS6_mNSA_4lessIS5_EEEE10hipError_tT0_T1_T2_jT3_P12ihipStream_tbPNSt15iterator_traitsISK_E10value_typeEPNSQ_ISL_E10value_typeEPSM_NS1_7vsmem_tEENKUlT_SK_SL_SM_E_clISF_PS5_SG_SG_EESJ_SZ_SK_SL_SM_EUlSZ_E0_NS1_11comp_targetILNS1_3genE9ELNS1_11target_archE1100ELNS1_3gpuE3ELNS1_3repE0EEENS1_38merge_mergepath_config_static_selectorELNS0_4arch9wavefront6targetE1EEEvSL_
		.amdhsa_group_segment_fixed_size 0
		.amdhsa_private_segment_fixed_size 0
		.amdhsa_kernarg_size 72
		.amdhsa_user_sgpr_count 6
		.amdhsa_user_sgpr_private_segment_buffer 1
		.amdhsa_user_sgpr_dispatch_ptr 0
		.amdhsa_user_sgpr_queue_ptr 0
		.amdhsa_user_sgpr_kernarg_segment_ptr 1
		.amdhsa_user_sgpr_dispatch_id 0
		.amdhsa_user_sgpr_flat_scratch_init 0
		.amdhsa_user_sgpr_kernarg_preload_length 0
		.amdhsa_user_sgpr_kernarg_preload_offset 0
		.amdhsa_user_sgpr_private_segment_size 0
		.amdhsa_uses_dynamic_stack 0
		.amdhsa_system_sgpr_private_segment_wavefront_offset 0
		.amdhsa_system_sgpr_workgroup_id_x 1
		.amdhsa_system_sgpr_workgroup_id_y 0
		.amdhsa_system_sgpr_workgroup_id_z 0
		.amdhsa_system_sgpr_workgroup_info 0
		.amdhsa_system_vgpr_workitem_id 0
		.amdhsa_next_free_vgpr 1
		.amdhsa_next_free_sgpr 0
		.amdhsa_accum_offset 4
		.amdhsa_reserve_vcc 0
		.amdhsa_reserve_flat_scratch 0
		.amdhsa_float_round_mode_32 0
		.amdhsa_float_round_mode_16_64 0
		.amdhsa_float_denorm_mode_32 3
		.amdhsa_float_denorm_mode_16_64 3
		.amdhsa_dx10_clamp 1
		.amdhsa_ieee_mode 1
		.amdhsa_fp16_overflow 0
		.amdhsa_tg_split 0
		.amdhsa_exception_fp_ieee_invalid_op 0
		.amdhsa_exception_fp_denorm_src 0
		.amdhsa_exception_fp_ieee_div_zero 0
		.amdhsa_exception_fp_ieee_overflow 0
		.amdhsa_exception_fp_ieee_underflow 0
		.amdhsa_exception_fp_ieee_inexact 0
		.amdhsa_exception_int_div_zero 0
	.end_amdhsa_kernel
	.section	.text._ZN7rocprim17ROCPRIM_400000_NS6detail17trampoline_kernelINS0_14default_configENS1_38merge_sort_block_merge_config_selectorI14custom_numericNS0_10empty_typeEEEZZNS1_27merge_sort_block_merge_implIS3_N6thrust23THRUST_200600_302600_NS6detail15normal_iteratorINSA_10device_ptrIS5_EEEEPS6_mNSA_4lessIS5_EEEE10hipError_tT0_T1_T2_jT3_P12ihipStream_tbPNSt15iterator_traitsISK_E10value_typeEPNSQ_ISL_E10value_typeEPSM_NS1_7vsmem_tEENKUlT_SK_SL_SM_E_clISF_PS5_SG_SG_EESJ_SZ_SK_SL_SM_EUlSZ_E0_NS1_11comp_targetILNS1_3genE9ELNS1_11target_archE1100ELNS1_3gpuE3ELNS1_3repE0EEENS1_38merge_mergepath_config_static_selectorELNS0_4arch9wavefront6targetE1EEEvSL_,"axG",@progbits,_ZN7rocprim17ROCPRIM_400000_NS6detail17trampoline_kernelINS0_14default_configENS1_38merge_sort_block_merge_config_selectorI14custom_numericNS0_10empty_typeEEEZZNS1_27merge_sort_block_merge_implIS3_N6thrust23THRUST_200600_302600_NS6detail15normal_iteratorINSA_10device_ptrIS5_EEEEPS6_mNSA_4lessIS5_EEEE10hipError_tT0_T1_T2_jT3_P12ihipStream_tbPNSt15iterator_traitsISK_E10value_typeEPNSQ_ISL_E10value_typeEPSM_NS1_7vsmem_tEENKUlT_SK_SL_SM_E_clISF_PS5_SG_SG_EESJ_SZ_SK_SL_SM_EUlSZ_E0_NS1_11comp_targetILNS1_3genE9ELNS1_11target_archE1100ELNS1_3gpuE3ELNS1_3repE0EEENS1_38merge_mergepath_config_static_selectorELNS0_4arch9wavefront6targetE1EEEvSL_,comdat
.Lfunc_end1453:
	.size	_ZN7rocprim17ROCPRIM_400000_NS6detail17trampoline_kernelINS0_14default_configENS1_38merge_sort_block_merge_config_selectorI14custom_numericNS0_10empty_typeEEEZZNS1_27merge_sort_block_merge_implIS3_N6thrust23THRUST_200600_302600_NS6detail15normal_iteratorINSA_10device_ptrIS5_EEEEPS6_mNSA_4lessIS5_EEEE10hipError_tT0_T1_T2_jT3_P12ihipStream_tbPNSt15iterator_traitsISK_E10value_typeEPNSQ_ISL_E10value_typeEPSM_NS1_7vsmem_tEENKUlT_SK_SL_SM_E_clISF_PS5_SG_SG_EESJ_SZ_SK_SL_SM_EUlSZ_E0_NS1_11comp_targetILNS1_3genE9ELNS1_11target_archE1100ELNS1_3gpuE3ELNS1_3repE0EEENS1_38merge_mergepath_config_static_selectorELNS0_4arch9wavefront6targetE1EEEvSL_, .Lfunc_end1453-_ZN7rocprim17ROCPRIM_400000_NS6detail17trampoline_kernelINS0_14default_configENS1_38merge_sort_block_merge_config_selectorI14custom_numericNS0_10empty_typeEEEZZNS1_27merge_sort_block_merge_implIS3_N6thrust23THRUST_200600_302600_NS6detail15normal_iteratorINSA_10device_ptrIS5_EEEEPS6_mNSA_4lessIS5_EEEE10hipError_tT0_T1_T2_jT3_P12ihipStream_tbPNSt15iterator_traitsISK_E10value_typeEPNSQ_ISL_E10value_typeEPSM_NS1_7vsmem_tEENKUlT_SK_SL_SM_E_clISF_PS5_SG_SG_EESJ_SZ_SK_SL_SM_EUlSZ_E0_NS1_11comp_targetILNS1_3genE9ELNS1_11target_archE1100ELNS1_3gpuE3ELNS1_3repE0EEENS1_38merge_mergepath_config_static_selectorELNS0_4arch9wavefront6targetE1EEEvSL_
                                        ; -- End function
	.section	.AMDGPU.csdata,"",@progbits
; Kernel info:
; codeLenInByte = 0
; NumSgprs: 4
; NumVgprs: 0
; NumAgprs: 0
; TotalNumVgprs: 0
; ScratchSize: 0
; MemoryBound: 0
; FloatMode: 240
; IeeeMode: 1
; LDSByteSize: 0 bytes/workgroup (compile time only)
; SGPRBlocks: 0
; VGPRBlocks: 0
; NumSGPRsForWavesPerEU: 4
; NumVGPRsForWavesPerEU: 1
; AccumOffset: 4
; Occupancy: 8
; WaveLimiterHint : 0
; COMPUTE_PGM_RSRC2:SCRATCH_EN: 0
; COMPUTE_PGM_RSRC2:USER_SGPR: 6
; COMPUTE_PGM_RSRC2:TRAP_HANDLER: 0
; COMPUTE_PGM_RSRC2:TGID_X_EN: 1
; COMPUTE_PGM_RSRC2:TGID_Y_EN: 0
; COMPUTE_PGM_RSRC2:TGID_Z_EN: 0
; COMPUTE_PGM_RSRC2:TIDIG_COMP_CNT: 0
; COMPUTE_PGM_RSRC3_GFX90A:ACCUM_OFFSET: 0
; COMPUTE_PGM_RSRC3_GFX90A:TG_SPLIT: 0
	.section	.text._ZN7rocprim17ROCPRIM_400000_NS6detail17trampoline_kernelINS0_14default_configENS1_38merge_sort_block_merge_config_selectorI14custom_numericNS0_10empty_typeEEEZZNS1_27merge_sort_block_merge_implIS3_N6thrust23THRUST_200600_302600_NS6detail15normal_iteratorINSA_10device_ptrIS5_EEEEPS6_mNSA_4lessIS5_EEEE10hipError_tT0_T1_T2_jT3_P12ihipStream_tbPNSt15iterator_traitsISK_E10value_typeEPNSQ_ISL_E10value_typeEPSM_NS1_7vsmem_tEENKUlT_SK_SL_SM_E_clISF_PS5_SG_SG_EESJ_SZ_SK_SL_SM_EUlSZ_E0_NS1_11comp_targetILNS1_3genE8ELNS1_11target_archE1030ELNS1_3gpuE2ELNS1_3repE0EEENS1_38merge_mergepath_config_static_selectorELNS0_4arch9wavefront6targetE1EEEvSL_,"axG",@progbits,_ZN7rocprim17ROCPRIM_400000_NS6detail17trampoline_kernelINS0_14default_configENS1_38merge_sort_block_merge_config_selectorI14custom_numericNS0_10empty_typeEEEZZNS1_27merge_sort_block_merge_implIS3_N6thrust23THRUST_200600_302600_NS6detail15normal_iteratorINSA_10device_ptrIS5_EEEEPS6_mNSA_4lessIS5_EEEE10hipError_tT0_T1_T2_jT3_P12ihipStream_tbPNSt15iterator_traitsISK_E10value_typeEPNSQ_ISL_E10value_typeEPSM_NS1_7vsmem_tEENKUlT_SK_SL_SM_E_clISF_PS5_SG_SG_EESJ_SZ_SK_SL_SM_EUlSZ_E0_NS1_11comp_targetILNS1_3genE8ELNS1_11target_archE1030ELNS1_3gpuE2ELNS1_3repE0EEENS1_38merge_mergepath_config_static_selectorELNS0_4arch9wavefront6targetE1EEEvSL_,comdat
	.protected	_ZN7rocprim17ROCPRIM_400000_NS6detail17trampoline_kernelINS0_14default_configENS1_38merge_sort_block_merge_config_selectorI14custom_numericNS0_10empty_typeEEEZZNS1_27merge_sort_block_merge_implIS3_N6thrust23THRUST_200600_302600_NS6detail15normal_iteratorINSA_10device_ptrIS5_EEEEPS6_mNSA_4lessIS5_EEEE10hipError_tT0_T1_T2_jT3_P12ihipStream_tbPNSt15iterator_traitsISK_E10value_typeEPNSQ_ISL_E10value_typeEPSM_NS1_7vsmem_tEENKUlT_SK_SL_SM_E_clISF_PS5_SG_SG_EESJ_SZ_SK_SL_SM_EUlSZ_E0_NS1_11comp_targetILNS1_3genE8ELNS1_11target_archE1030ELNS1_3gpuE2ELNS1_3repE0EEENS1_38merge_mergepath_config_static_selectorELNS0_4arch9wavefront6targetE1EEEvSL_ ; -- Begin function _ZN7rocprim17ROCPRIM_400000_NS6detail17trampoline_kernelINS0_14default_configENS1_38merge_sort_block_merge_config_selectorI14custom_numericNS0_10empty_typeEEEZZNS1_27merge_sort_block_merge_implIS3_N6thrust23THRUST_200600_302600_NS6detail15normal_iteratorINSA_10device_ptrIS5_EEEEPS6_mNSA_4lessIS5_EEEE10hipError_tT0_T1_T2_jT3_P12ihipStream_tbPNSt15iterator_traitsISK_E10value_typeEPNSQ_ISL_E10value_typeEPSM_NS1_7vsmem_tEENKUlT_SK_SL_SM_E_clISF_PS5_SG_SG_EESJ_SZ_SK_SL_SM_EUlSZ_E0_NS1_11comp_targetILNS1_3genE8ELNS1_11target_archE1030ELNS1_3gpuE2ELNS1_3repE0EEENS1_38merge_mergepath_config_static_selectorELNS0_4arch9wavefront6targetE1EEEvSL_
	.globl	_ZN7rocprim17ROCPRIM_400000_NS6detail17trampoline_kernelINS0_14default_configENS1_38merge_sort_block_merge_config_selectorI14custom_numericNS0_10empty_typeEEEZZNS1_27merge_sort_block_merge_implIS3_N6thrust23THRUST_200600_302600_NS6detail15normal_iteratorINSA_10device_ptrIS5_EEEEPS6_mNSA_4lessIS5_EEEE10hipError_tT0_T1_T2_jT3_P12ihipStream_tbPNSt15iterator_traitsISK_E10value_typeEPNSQ_ISL_E10value_typeEPSM_NS1_7vsmem_tEENKUlT_SK_SL_SM_E_clISF_PS5_SG_SG_EESJ_SZ_SK_SL_SM_EUlSZ_E0_NS1_11comp_targetILNS1_3genE8ELNS1_11target_archE1030ELNS1_3gpuE2ELNS1_3repE0EEENS1_38merge_mergepath_config_static_selectorELNS0_4arch9wavefront6targetE1EEEvSL_
	.p2align	8
	.type	_ZN7rocprim17ROCPRIM_400000_NS6detail17trampoline_kernelINS0_14default_configENS1_38merge_sort_block_merge_config_selectorI14custom_numericNS0_10empty_typeEEEZZNS1_27merge_sort_block_merge_implIS3_N6thrust23THRUST_200600_302600_NS6detail15normal_iteratorINSA_10device_ptrIS5_EEEEPS6_mNSA_4lessIS5_EEEE10hipError_tT0_T1_T2_jT3_P12ihipStream_tbPNSt15iterator_traitsISK_E10value_typeEPNSQ_ISL_E10value_typeEPSM_NS1_7vsmem_tEENKUlT_SK_SL_SM_E_clISF_PS5_SG_SG_EESJ_SZ_SK_SL_SM_EUlSZ_E0_NS1_11comp_targetILNS1_3genE8ELNS1_11target_archE1030ELNS1_3gpuE2ELNS1_3repE0EEENS1_38merge_mergepath_config_static_selectorELNS0_4arch9wavefront6targetE1EEEvSL_,@function
_ZN7rocprim17ROCPRIM_400000_NS6detail17trampoline_kernelINS0_14default_configENS1_38merge_sort_block_merge_config_selectorI14custom_numericNS0_10empty_typeEEEZZNS1_27merge_sort_block_merge_implIS3_N6thrust23THRUST_200600_302600_NS6detail15normal_iteratorINSA_10device_ptrIS5_EEEEPS6_mNSA_4lessIS5_EEEE10hipError_tT0_T1_T2_jT3_P12ihipStream_tbPNSt15iterator_traitsISK_E10value_typeEPNSQ_ISL_E10value_typeEPSM_NS1_7vsmem_tEENKUlT_SK_SL_SM_E_clISF_PS5_SG_SG_EESJ_SZ_SK_SL_SM_EUlSZ_E0_NS1_11comp_targetILNS1_3genE8ELNS1_11target_archE1030ELNS1_3gpuE2ELNS1_3repE0EEENS1_38merge_mergepath_config_static_selectorELNS0_4arch9wavefront6targetE1EEEvSL_: ; @_ZN7rocprim17ROCPRIM_400000_NS6detail17trampoline_kernelINS0_14default_configENS1_38merge_sort_block_merge_config_selectorI14custom_numericNS0_10empty_typeEEEZZNS1_27merge_sort_block_merge_implIS3_N6thrust23THRUST_200600_302600_NS6detail15normal_iteratorINSA_10device_ptrIS5_EEEEPS6_mNSA_4lessIS5_EEEE10hipError_tT0_T1_T2_jT3_P12ihipStream_tbPNSt15iterator_traitsISK_E10value_typeEPNSQ_ISL_E10value_typeEPSM_NS1_7vsmem_tEENKUlT_SK_SL_SM_E_clISF_PS5_SG_SG_EESJ_SZ_SK_SL_SM_EUlSZ_E0_NS1_11comp_targetILNS1_3genE8ELNS1_11target_archE1030ELNS1_3gpuE2ELNS1_3repE0EEENS1_38merge_mergepath_config_static_selectorELNS0_4arch9wavefront6targetE1EEEvSL_
; %bb.0:
	.section	.rodata,"a",@progbits
	.p2align	6, 0x0
	.amdhsa_kernel _ZN7rocprim17ROCPRIM_400000_NS6detail17trampoline_kernelINS0_14default_configENS1_38merge_sort_block_merge_config_selectorI14custom_numericNS0_10empty_typeEEEZZNS1_27merge_sort_block_merge_implIS3_N6thrust23THRUST_200600_302600_NS6detail15normal_iteratorINSA_10device_ptrIS5_EEEEPS6_mNSA_4lessIS5_EEEE10hipError_tT0_T1_T2_jT3_P12ihipStream_tbPNSt15iterator_traitsISK_E10value_typeEPNSQ_ISL_E10value_typeEPSM_NS1_7vsmem_tEENKUlT_SK_SL_SM_E_clISF_PS5_SG_SG_EESJ_SZ_SK_SL_SM_EUlSZ_E0_NS1_11comp_targetILNS1_3genE8ELNS1_11target_archE1030ELNS1_3gpuE2ELNS1_3repE0EEENS1_38merge_mergepath_config_static_selectorELNS0_4arch9wavefront6targetE1EEEvSL_
		.amdhsa_group_segment_fixed_size 0
		.amdhsa_private_segment_fixed_size 0
		.amdhsa_kernarg_size 72
		.amdhsa_user_sgpr_count 6
		.amdhsa_user_sgpr_private_segment_buffer 1
		.amdhsa_user_sgpr_dispatch_ptr 0
		.amdhsa_user_sgpr_queue_ptr 0
		.amdhsa_user_sgpr_kernarg_segment_ptr 1
		.amdhsa_user_sgpr_dispatch_id 0
		.amdhsa_user_sgpr_flat_scratch_init 0
		.amdhsa_user_sgpr_kernarg_preload_length 0
		.amdhsa_user_sgpr_kernarg_preload_offset 0
		.amdhsa_user_sgpr_private_segment_size 0
		.amdhsa_uses_dynamic_stack 0
		.amdhsa_system_sgpr_private_segment_wavefront_offset 0
		.amdhsa_system_sgpr_workgroup_id_x 1
		.amdhsa_system_sgpr_workgroup_id_y 0
		.amdhsa_system_sgpr_workgroup_id_z 0
		.amdhsa_system_sgpr_workgroup_info 0
		.amdhsa_system_vgpr_workitem_id 0
		.amdhsa_next_free_vgpr 1
		.amdhsa_next_free_sgpr 0
		.amdhsa_accum_offset 4
		.amdhsa_reserve_vcc 0
		.amdhsa_reserve_flat_scratch 0
		.amdhsa_float_round_mode_32 0
		.amdhsa_float_round_mode_16_64 0
		.amdhsa_float_denorm_mode_32 3
		.amdhsa_float_denorm_mode_16_64 3
		.amdhsa_dx10_clamp 1
		.amdhsa_ieee_mode 1
		.amdhsa_fp16_overflow 0
		.amdhsa_tg_split 0
		.amdhsa_exception_fp_ieee_invalid_op 0
		.amdhsa_exception_fp_denorm_src 0
		.amdhsa_exception_fp_ieee_div_zero 0
		.amdhsa_exception_fp_ieee_overflow 0
		.amdhsa_exception_fp_ieee_underflow 0
		.amdhsa_exception_fp_ieee_inexact 0
		.amdhsa_exception_int_div_zero 0
	.end_amdhsa_kernel
	.section	.text._ZN7rocprim17ROCPRIM_400000_NS6detail17trampoline_kernelINS0_14default_configENS1_38merge_sort_block_merge_config_selectorI14custom_numericNS0_10empty_typeEEEZZNS1_27merge_sort_block_merge_implIS3_N6thrust23THRUST_200600_302600_NS6detail15normal_iteratorINSA_10device_ptrIS5_EEEEPS6_mNSA_4lessIS5_EEEE10hipError_tT0_T1_T2_jT3_P12ihipStream_tbPNSt15iterator_traitsISK_E10value_typeEPNSQ_ISL_E10value_typeEPSM_NS1_7vsmem_tEENKUlT_SK_SL_SM_E_clISF_PS5_SG_SG_EESJ_SZ_SK_SL_SM_EUlSZ_E0_NS1_11comp_targetILNS1_3genE8ELNS1_11target_archE1030ELNS1_3gpuE2ELNS1_3repE0EEENS1_38merge_mergepath_config_static_selectorELNS0_4arch9wavefront6targetE1EEEvSL_,"axG",@progbits,_ZN7rocprim17ROCPRIM_400000_NS6detail17trampoline_kernelINS0_14default_configENS1_38merge_sort_block_merge_config_selectorI14custom_numericNS0_10empty_typeEEEZZNS1_27merge_sort_block_merge_implIS3_N6thrust23THRUST_200600_302600_NS6detail15normal_iteratorINSA_10device_ptrIS5_EEEEPS6_mNSA_4lessIS5_EEEE10hipError_tT0_T1_T2_jT3_P12ihipStream_tbPNSt15iterator_traitsISK_E10value_typeEPNSQ_ISL_E10value_typeEPSM_NS1_7vsmem_tEENKUlT_SK_SL_SM_E_clISF_PS5_SG_SG_EESJ_SZ_SK_SL_SM_EUlSZ_E0_NS1_11comp_targetILNS1_3genE8ELNS1_11target_archE1030ELNS1_3gpuE2ELNS1_3repE0EEENS1_38merge_mergepath_config_static_selectorELNS0_4arch9wavefront6targetE1EEEvSL_,comdat
.Lfunc_end1454:
	.size	_ZN7rocprim17ROCPRIM_400000_NS6detail17trampoline_kernelINS0_14default_configENS1_38merge_sort_block_merge_config_selectorI14custom_numericNS0_10empty_typeEEEZZNS1_27merge_sort_block_merge_implIS3_N6thrust23THRUST_200600_302600_NS6detail15normal_iteratorINSA_10device_ptrIS5_EEEEPS6_mNSA_4lessIS5_EEEE10hipError_tT0_T1_T2_jT3_P12ihipStream_tbPNSt15iterator_traitsISK_E10value_typeEPNSQ_ISL_E10value_typeEPSM_NS1_7vsmem_tEENKUlT_SK_SL_SM_E_clISF_PS5_SG_SG_EESJ_SZ_SK_SL_SM_EUlSZ_E0_NS1_11comp_targetILNS1_3genE8ELNS1_11target_archE1030ELNS1_3gpuE2ELNS1_3repE0EEENS1_38merge_mergepath_config_static_selectorELNS0_4arch9wavefront6targetE1EEEvSL_, .Lfunc_end1454-_ZN7rocprim17ROCPRIM_400000_NS6detail17trampoline_kernelINS0_14default_configENS1_38merge_sort_block_merge_config_selectorI14custom_numericNS0_10empty_typeEEEZZNS1_27merge_sort_block_merge_implIS3_N6thrust23THRUST_200600_302600_NS6detail15normal_iteratorINSA_10device_ptrIS5_EEEEPS6_mNSA_4lessIS5_EEEE10hipError_tT0_T1_T2_jT3_P12ihipStream_tbPNSt15iterator_traitsISK_E10value_typeEPNSQ_ISL_E10value_typeEPSM_NS1_7vsmem_tEENKUlT_SK_SL_SM_E_clISF_PS5_SG_SG_EESJ_SZ_SK_SL_SM_EUlSZ_E0_NS1_11comp_targetILNS1_3genE8ELNS1_11target_archE1030ELNS1_3gpuE2ELNS1_3repE0EEENS1_38merge_mergepath_config_static_selectorELNS0_4arch9wavefront6targetE1EEEvSL_
                                        ; -- End function
	.section	.AMDGPU.csdata,"",@progbits
; Kernel info:
; codeLenInByte = 0
; NumSgprs: 4
; NumVgprs: 0
; NumAgprs: 0
; TotalNumVgprs: 0
; ScratchSize: 0
; MemoryBound: 0
; FloatMode: 240
; IeeeMode: 1
; LDSByteSize: 0 bytes/workgroup (compile time only)
; SGPRBlocks: 0
; VGPRBlocks: 0
; NumSGPRsForWavesPerEU: 4
; NumVGPRsForWavesPerEU: 1
; AccumOffset: 4
; Occupancy: 8
; WaveLimiterHint : 0
; COMPUTE_PGM_RSRC2:SCRATCH_EN: 0
; COMPUTE_PGM_RSRC2:USER_SGPR: 6
; COMPUTE_PGM_RSRC2:TRAP_HANDLER: 0
; COMPUTE_PGM_RSRC2:TGID_X_EN: 1
; COMPUTE_PGM_RSRC2:TGID_Y_EN: 0
; COMPUTE_PGM_RSRC2:TGID_Z_EN: 0
; COMPUTE_PGM_RSRC2:TIDIG_COMP_CNT: 0
; COMPUTE_PGM_RSRC3_GFX90A:ACCUM_OFFSET: 0
; COMPUTE_PGM_RSRC3_GFX90A:TG_SPLIT: 0
	.section	.text._ZN7rocprim17ROCPRIM_400000_NS6detail17trampoline_kernelINS0_14default_configENS1_38merge_sort_block_merge_config_selectorI14custom_numericNS0_10empty_typeEEEZZNS1_27merge_sort_block_merge_implIS3_N6thrust23THRUST_200600_302600_NS6detail15normal_iteratorINSA_10device_ptrIS5_EEEEPS6_mNSA_4lessIS5_EEEE10hipError_tT0_T1_T2_jT3_P12ihipStream_tbPNSt15iterator_traitsISK_E10value_typeEPNSQ_ISL_E10value_typeEPSM_NS1_7vsmem_tEENKUlT_SK_SL_SM_E_clISF_PS5_SG_SG_EESJ_SZ_SK_SL_SM_EUlSZ_E1_NS1_11comp_targetILNS1_3genE0ELNS1_11target_archE4294967295ELNS1_3gpuE0ELNS1_3repE0EEENS1_36merge_oddeven_config_static_selectorELNS0_4arch9wavefront6targetE1EEEvSL_,"axG",@progbits,_ZN7rocprim17ROCPRIM_400000_NS6detail17trampoline_kernelINS0_14default_configENS1_38merge_sort_block_merge_config_selectorI14custom_numericNS0_10empty_typeEEEZZNS1_27merge_sort_block_merge_implIS3_N6thrust23THRUST_200600_302600_NS6detail15normal_iteratorINSA_10device_ptrIS5_EEEEPS6_mNSA_4lessIS5_EEEE10hipError_tT0_T1_T2_jT3_P12ihipStream_tbPNSt15iterator_traitsISK_E10value_typeEPNSQ_ISL_E10value_typeEPSM_NS1_7vsmem_tEENKUlT_SK_SL_SM_E_clISF_PS5_SG_SG_EESJ_SZ_SK_SL_SM_EUlSZ_E1_NS1_11comp_targetILNS1_3genE0ELNS1_11target_archE4294967295ELNS1_3gpuE0ELNS1_3repE0EEENS1_36merge_oddeven_config_static_selectorELNS0_4arch9wavefront6targetE1EEEvSL_,comdat
	.protected	_ZN7rocprim17ROCPRIM_400000_NS6detail17trampoline_kernelINS0_14default_configENS1_38merge_sort_block_merge_config_selectorI14custom_numericNS0_10empty_typeEEEZZNS1_27merge_sort_block_merge_implIS3_N6thrust23THRUST_200600_302600_NS6detail15normal_iteratorINSA_10device_ptrIS5_EEEEPS6_mNSA_4lessIS5_EEEE10hipError_tT0_T1_T2_jT3_P12ihipStream_tbPNSt15iterator_traitsISK_E10value_typeEPNSQ_ISL_E10value_typeEPSM_NS1_7vsmem_tEENKUlT_SK_SL_SM_E_clISF_PS5_SG_SG_EESJ_SZ_SK_SL_SM_EUlSZ_E1_NS1_11comp_targetILNS1_3genE0ELNS1_11target_archE4294967295ELNS1_3gpuE0ELNS1_3repE0EEENS1_36merge_oddeven_config_static_selectorELNS0_4arch9wavefront6targetE1EEEvSL_ ; -- Begin function _ZN7rocprim17ROCPRIM_400000_NS6detail17trampoline_kernelINS0_14default_configENS1_38merge_sort_block_merge_config_selectorI14custom_numericNS0_10empty_typeEEEZZNS1_27merge_sort_block_merge_implIS3_N6thrust23THRUST_200600_302600_NS6detail15normal_iteratorINSA_10device_ptrIS5_EEEEPS6_mNSA_4lessIS5_EEEE10hipError_tT0_T1_T2_jT3_P12ihipStream_tbPNSt15iterator_traitsISK_E10value_typeEPNSQ_ISL_E10value_typeEPSM_NS1_7vsmem_tEENKUlT_SK_SL_SM_E_clISF_PS5_SG_SG_EESJ_SZ_SK_SL_SM_EUlSZ_E1_NS1_11comp_targetILNS1_3genE0ELNS1_11target_archE4294967295ELNS1_3gpuE0ELNS1_3repE0EEENS1_36merge_oddeven_config_static_selectorELNS0_4arch9wavefront6targetE1EEEvSL_
	.globl	_ZN7rocprim17ROCPRIM_400000_NS6detail17trampoline_kernelINS0_14default_configENS1_38merge_sort_block_merge_config_selectorI14custom_numericNS0_10empty_typeEEEZZNS1_27merge_sort_block_merge_implIS3_N6thrust23THRUST_200600_302600_NS6detail15normal_iteratorINSA_10device_ptrIS5_EEEEPS6_mNSA_4lessIS5_EEEE10hipError_tT0_T1_T2_jT3_P12ihipStream_tbPNSt15iterator_traitsISK_E10value_typeEPNSQ_ISL_E10value_typeEPSM_NS1_7vsmem_tEENKUlT_SK_SL_SM_E_clISF_PS5_SG_SG_EESJ_SZ_SK_SL_SM_EUlSZ_E1_NS1_11comp_targetILNS1_3genE0ELNS1_11target_archE4294967295ELNS1_3gpuE0ELNS1_3repE0EEENS1_36merge_oddeven_config_static_selectorELNS0_4arch9wavefront6targetE1EEEvSL_
	.p2align	8
	.type	_ZN7rocprim17ROCPRIM_400000_NS6detail17trampoline_kernelINS0_14default_configENS1_38merge_sort_block_merge_config_selectorI14custom_numericNS0_10empty_typeEEEZZNS1_27merge_sort_block_merge_implIS3_N6thrust23THRUST_200600_302600_NS6detail15normal_iteratorINSA_10device_ptrIS5_EEEEPS6_mNSA_4lessIS5_EEEE10hipError_tT0_T1_T2_jT3_P12ihipStream_tbPNSt15iterator_traitsISK_E10value_typeEPNSQ_ISL_E10value_typeEPSM_NS1_7vsmem_tEENKUlT_SK_SL_SM_E_clISF_PS5_SG_SG_EESJ_SZ_SK_SL_SM_EUlSZ_E1_NS1_11comp_targetILNS1_3genE0ELNS1_11target_archE4294967295ELNS1_3gpuE0ELNS1_3repE0EEENS1_36merge_oddeven_config_static_selectorELNS0_4arch9wavefront6targetE1EEEvSL_,@function
_ZN7rocprim17ROCPRIM_400000_NS6detail17trampoline_kernelINS0_14default_configENS1_38merge_sort_block_merge_config_selectorI14custom_numericNS0_10empty_typeEEEZZNS1_27merge_sort_block_merge_implIS3_N6thrust23THRUST_200600_302600_NS6detail15normal_iteratorINSA_10device_ptrIS5_EEEEPS6_mNSA_4lessIS5_EEEE10hipError_tT0_T1_T2_jT3_P12ihipStream_tbPNSt15iterator_traitsISK_E10value_typeEPNSQ_ISL_E10value_typeEPSM_NS1_7vsmem_tEENKUlT_SK_SL_SM_E_clISF_PS5_SG_SG_EESJ_SZ_SK_SL_SM_EUlSZ_E1_NS1_11comp_targetILNS1_3genE0ELNS1_11target_archE4294967295ELNS1_3gpuE0ELNS1_3repE0EEENS1_36merge_oddeven_config_static_selectorELNS0_4arch9wavefront6targetE1EEEvSL_: ; @_ZN7rocprim17ROCPRIM_400000_NS6detail17trampoline_kernelINS0_14default_configENS1_38merge_sort_block_merge_config_selectorI14custom_numericNS0_10empty_typeEEEZZNS1_27merge_sort_block_merge_implIS3_N6thrust23THRUST_200600_302600_NS6detail15normal_iteratorINSA_10device_ptrIS5_EEEEPS6_mNSA_4lessIS5_EEEE10hipError_tT0_T1_T2_jT3_P12ihipStream_tbPNSt15iterator_traitsISK_E10value_typeEPNSQ_ISL_E10value_typeEPSM_NS1_7vsmem_tEENKUlT_SK_SL_SM_E_clISF_PS5_SG_SG_EESJ_SZ_SK_SL_SM_EUlSZ_E1_NS1_11comp_targetILNS1_3genE0ELNS1_11target_archE4294967295ELNS1_3gpuE0ELNS1_3repE0EEENS1_36merge_oddeven_config_static_selectorELNS0_4arch9wavefront6targetE1EEEvSL_
; %bb.0:
	.section	.rodata,"a",@progbits
	.p2align	6, 0x0
	.amdhsa_kernel _ZN7rocprim17ROCPRIM_400000_NS6detail17trampoline_kernelINS0_14default_configENS1_38merge_sort_block_merge_config_selectorI14custom_numericNS0_10empty_typeEEEZZNS1_27merge_sort_block_merge_implIS3_N6thrust23THRUST_200600_302600_NS6detail15normal_iteratorINSA_10device_ptrIS5_EEEEPS6_mNSA_4lessIS5_EEEE10hipError_tT0_T1_T2_jT3_P12ihipStream_tbPNSt15iterator_traitsISK_E10value_typeEPNSQ_ISL_E10value_typeEPSM_NS1_7vsmem_tEENKUlT_SK_SL_SM_E_clISF_PS5_SG_SG_EESJ_SZ_SK_SL_SM_EUlSZ_E1_NS1_11comp_targetILNS1_3genE0ELNS1_11target_archE4294967295ELNS1_3gpuE0ELNS1_3repE0EEENS1_36merge_oddeven_config_static_selectorELNS0_4arch9wavefront6targetE1EEEvSL_
		.amdhsa_group_segment_fixed_size 0
		.amdhsa_private_segment_fixed_size 0
		.amdhsa_kernarg_size 56
		.amdhsa_user_sgpr_count 6
		.amdhsa_user_sgpr_private_segment_buffer 1
		.amdhsa_user_sgpr_dispatch_ptr 0
		.amdhsa_user_sgpr_queue_ptr 0
		.amdhsa_user_sgpr_kernarg_segment_ptr 1
		.amdhsa_user_sgpr_dispatch_id 0
		.amdhsa_user_sgpr_flat_scratch_init 0
		.amdhsa_user_sgpr_kernarg_preload_length 0
		.amdhsa_user_sgpr_kernarg_preload_offset 0
		.amdhsa_user_sgpr_private_segment_size 0
		.amdhsa_uses_dynamic_stack 0
		.amdhsa_system_sgpr_private_segment_wavefront_offset 0
		.amdhsa_system_sgpr_workgroup_id_x 1
		.amdhsa_system_sgpr_workgroup_id_y 0
		.amdhsa_system_sgpr_workgroup_id_z 0
		.amdhsa_system_sgpr_workgroup_info 0
		.amdhsa_system_vgpr_workitem_id 0
		.amdhsa_next_free_vgpr 1
		.amdhsa_next_free_sgpr 0
		.amdhsa_accum_offset 4
		.amdhsa_reserve_vcc 0
		.amdhsa_reserve_flat_scratch 0
		.amdhsa_float_round_mode_32 0
		.amdhsa_float_round_mode_16_64 0
		.amdhsa_float_denorm_mode_32 3
		.amdhsa_float_denorm_mode_16_64 3
		.amdhsa_dx10_clamp 1
		.amdhsa_ieee_mode 1
		.amdhsa_fp16_overflow 0
		.amdhsa_tg_split 0
		.amdhsa_exception_fp_ieee_invalid_op 0
		.amdhsa_exception_fp_denorm_src 0
		.amdhsa_exception_fp_ieee_div_zero 0
		.amdhsa_exception_fp_ieee_overflow 0
		.amdhsa_exception_fp_ieee_underflow 0
		.amdhsa_exception_fp_ieee_inexact 0
		.amdhsa_exception_int_div_zero 0
	.end_amdhsa_kernel
	.section	.text._ZN7rocprim17ROCPRIM_400000_NS6detail17trampoline_kernelINS0_14default_configENS1_38merge_sort_block_merge_config_selectorI14custom_numericNS0_10empty_typeEEEZZNS1_27merge_sort_block_merge_implIS3_N6thrust23THRUST_200600_302600_NS6detail15normal_iteratorINSA_10device_ptrIS5_EEEEPS6_mNSA_4lessIS5_EEEE10hipError_tT0_T1_T2_jT3_P12ihipStream_tbPNSt15iterator_traitsISK_E10value_typeEPNSQ_ISL_E10value_typeEPSM_NS1_7vsmem_tEENKUlT_SK_SL_SM_E_clISF_PS5_SG_SG_EESJ_SZ_SK_SL_SM_EUlSZ_E1_NS1_11comp_targetILNS1_3genE0ELNS1_11target_archE4294967295ELNS1_3gpuE0ELNS1_3repE0EEENS1_36merge_oddeven_config_static_selectorELNS0_4arch9wavefront6targetE1EEEvSL_,"axG",@progbits,_ZN7rocprim17ROCPRIM_400000_NS6detail17trampoline_kernelINS0_14default_configENS1_38merge_sort_block_merge_config_selectorI14custom_numericNS0_10empty_typeEEEZZNS1_27merge_sort_block_merge_implIS3_N6thrust23THRUST_200600_302600_NS6detail15normal_iteratorINSA_10device_ptrIS5_EEEEPS6_mNSA_4lessIS5_EEEE10hipError_tT0_T1_T2_jT3_P12ihipStream_tbPNSt15iterator_traitsISK_E10value_typeEPNSQ_ISL_E10value_typeEPSM_NS1_7vsmem_tEENKUlT_SK_SL_SM_E_clISF_PS5_SG_SG_EESJ_SZ_SK_SL_SM_EUlSZ_E1_NS1_11comp_targetILNS1_3genE0ELNS1_11target_archE4294967295ELNS1_3gpuE0ELNS1_3repE0EEENS1_36merge_oddeven_config_static_selectorELNS0_4arch9wavefront6targetE1EEEvSL_,comdat
.Lfunc_end1455:
	.size	_ZN7rocprim17ROCPRIM_400000_NS6detail17trampoline_kernelINS0_14default_configENS1_38merge_sort_block_merge_config_selectorI14custom_numericNS0_10empty_typeEEEZZNS1_27merge_sort_block_merge_implIS3_N6thrust23THRUST_200600_302600_NS6detail15normal_iteratorINSA_10device_ptrIS5_EEEEPS6_mNSA_4lessIS5_EEEE10hipError_tT0_T1_T2_jT3_P12ihipStream_tbPNSt15iterator_traitsISK_E10value_typeEPNSQ_ISL_E10value_typeEPSM_NS1_7vsmem_tEENKUlT_SK_SL_SM_E_clISF_PS5_SG_SG_EESJ_SZ_SK_SL_SM_EUlSZ_E1_NS1_11comp_targetILNS1_3genE0ELNS1_11target_archE4294967295ELNS1_3gpuE0ELNS1_3repE0EEENS1_36merge_oddeven_config_static_selectorELNS0_4arch9wavefront6targetE1EEEvSL_, .Lfunc_end1455-_ZN7rocprim17ROCPRIM_400000_NS6detail17trampoline_kernelINS0_14default_configENS1_38merge_sort_block_merge_config_selectorI14custom_numericNS0_10empty_typeEEEZZNS1_27merge_sort_block_merge_implIS3_N6thrust23THRUST_200600_302600_NS6detail15normal_iteratorINSA_10device_ptrIS5_EEEEPS6_mNSA_4lessIS5_EEEE10hipError_tT0_T1_T2_jT3_P12ihipStream_tbPNSt15iterator_traitsISK_E10value_typeEPNSQ_ISL_E10value_typeEPSM_NS1_7vsmem_tEENKUlT_SK_SL_SM_E_clISF_PS5_SG_SG_EESJ_SZ_SK_SL_SM_EUlSZ_E1_NS1_11comp_targetILNS1_3genE0ELNS1_11target_archE4294967295ELNS1_3gpuE0ELNS1_3repE0EEENS1_36merge_oddeven_config_static_selectorELNS0_4arch9wavefront6targetE1EEEvSL_
                                        ; -- End function
	.section	.AMDGPU.csdata,"",@progbits
; Kernel info:
; codeLenInByte = 0
; NumSgprs: 4
; NumVgprs: 0
; NumAgprs: 0
; TotalNumVgprs: 0
; ScratchSize: 0
; MemoryBound: 0
; FloatMode: 240
; IeeeMode: 1
; LDSByteSize: 0 bytes/workgroup (compile time only)
; SGPRBlocks: 0
; VGPRBlocks: 0
; NumSGPRsForWavesPerEU: 4
; NumVGPRsForWavesPerEU: 1
; AccumOffset: 4
; Occupancy: 8
; WaveLimiterHint : 0
; COMPUTE_PGM_RSRC2:SCRATCH_EN: 0
; COMPUTE_PGM_RSRC2:USER_SGPR: 6
; COMPUTE_PGM_RSRC2:TRAP_HANDLER: 0
; COMPUTE_PGM_RSRC2:TGID_X_EN: 1
; COMPUTE_PGM_RSRC2:TGID_Y_EN: 0
; COMPUTE_PGM_RSRC2:TGID_Z_EN: 0
; COMPUTE_PGM_RSRC2:TIDIG_COMP_CNT: 0
; COMPUTE_PGM_RSRC3_GFX90A:ACCUM_OFFSET: 0
; COMPUTE_PGM_RSRC3_GFX90A:TG_SPLIT: 0
	.section	.text._ZN7rocprim17ROCPRIM_400000_NS6detail17trampoline_kernelINS0_14default_configENS1_38merge_sort_block_merge_config_selectorI14custom_numericNS0_10empty_typeEEEZZNS1_27merge_sort_block_merge_implIS3_N6thrust23THRUST_200600_302600_NS6detail15normal_iteratorINSA_10device_ptrIS5_EEEEPS6_mNSA_4lessIS5_EEEE10hipError_tT0_T1_T2_jT3_P12ihipStream_tbPNSt15iterator_traitsISK_E10value_typeEPNSQ_ISL_E10value_typeEPSM_NS1_7vsmem_tEENKUlT_SK_SL_SM_E_clISF_PS5_SG_SG_EESJ_SZ_SK_SL_SM_EUlSZ_E1_NS1_11comp_targetILNS1_3genE10ELNS1_11target_archE1201ELNS1_3gpuE5ELNS1_3repE0EEENS1_36merge_oddeven_config_static_selectorELNS0_4arch9wavefront6targetE1EEEvSL_,"axG",@progbits,_ZN7rocprim17ROCPRIM_400000_NS6detail17trampoline_kernelINS0_14default_configENS1_38merge_sort_block_merge_config_selectorI14custom_numericNS0_10empty_typeEEEZZNS1_27merge_sort_block_merge_implIS3_N6thrust23THRUST_200600_302600_NS6detail15normal_iteratorINSA_10device_ptrIS5_EEEEPS6_mNSA_4lessIS5_EEEE10hipError_tT0_T1_T2_jT3_P12ihipStream_tbPNSt15iterator_traitsISK_E10value_typeEPNSQ_ISL_E10value_typeEPSM_NS1_7vsmem_tEENKUlT_SK_SL_SM_E_clISF_PS5_SG_SG_EESJ_SZ_SK_SL_SM_EUlSZ_E1_NS1_11comp_targetILNS1_3genE10ELNS1_11target_archE1201ELNS1_3gpuE5ELNS1_3repE0EEENS1_36merge_oddeven_config_static_selectorELNS0_4arch9wavefront6targetE1EEEvSL_,comdat
	.protected	_ZN7rocprim17ROCPRIM_400000_NS6detail17trampoline_kernelINS0_14default_configENS1_38merge_sort_block_merge_config_selectorI14custom_numericNS0_10empty_typeEEEZZNS1_27merge_sort_block_merge_implIS3_N6thrust23THRUST_200600_302600_NS6detail15normal_iteratorINSA_10device_ptrIS5_EEEEPS6_mNSA_4lessIS5_EEEE10hipError_tT0_T1_T2_jT3_P12ihipStream_tbPNSt15iterator_traitsISK_E10value_typeEPNSQ_ISL_E10value_typeEPSM_NS1_7vsmem_tEENKUlT_SK_SL_SM_E_clISF_PS5_SG_SG_EESJ_SZ_SK_SL_SM_EUlSZ_E1_NS1_11comp_targetILNS1_3genE10ELNS1_11target_archE1201ELNS1_3gpuE5ELNS1_3repE0EEENS1_36merge_oddeven_config_static_selectorELNS0_4arch9wavefront6targetE1EEEvSL_ ; -- Begin function _ZN7rocprim17ROCPRIM_400000_NS6detail17trampoline_kernelINS0_14default_configENS1_38merge_sort_block_merge_config_selectorI14custom_numericNS0_10empty_typeEEEZZNS1_27merge_sort_block_merge_implIS3_N6thrust23THRUST_200600_302600_NS6detail15normal_iteratorINSA_10device_ptrIS5_EEEEPS6_mNSA_4lessIS5_EEEE10hipError_tT0_T1_T2_jT3_P12ihipStream_tbPNSt15iterator_traitsISK_E10value_typeEPNSQ_ISL_E10value_typeEPSM_NS1_7vsmem_tEENKUlT_SK_SL_SM_E_clISF_PS5_SG_SG_EESJ_SZ_SK_SL_SM_EUlSZ_E1_NS1_11comp_targetILNS1_3genE10ELNS1_11target_archE1201ELNS1_3gpuE5ELNS1_3repE0EEENS1_36merge_oddeven_config_static_selectorELNS0_4arch9wavefront6targetE1EEEvSL_
	.globl	_ZN7rocprim17ROCPRIM_400000_NS6detail17trampoline_kernelINS0_14default_configENS1_38merge_sort_block_merge_config_selectorI14custom_numericNS0_10empty_typeEEEZZNS1_27merge_sort_block_merge_implIS3_N6thrust23THRUST_200600_302600_NS6detail15normal_iteratorINSA_10device_ptrIS5_EEEEPS6_mNSA_4lessIS5_EEEE10hipError_tT0_T1_T2_jT3_P12ihipStream_tbPNSt15iterator_traitsISK_E10value_typeEPNSQ_ISL_E10value_typeEPSM_NS1_7vsmem_tEENKUlT_SK_SL_SM_E_clISF_PS5_SG_SG_EESJ_SZ_SK_SL_SM_EUlSZ_E1_NS1_11comp_targetILNS1_3genE10ELNS1_11target_archE1201ELNS1_3gpuE5ELNS1_3repE0EEENS1_36merge_oddeven_config_static_selectorELNS0_4arch9wavefront6targetE1EEEvSL_
	.p2align	8
	.type	_ZN7rocprim17ROCPRIM_400000_NS6detail17trampoline_kernelINS0_14default_configENS1_38merge_sort_block_merge_config_selectorI14custom_numericNS0_10empty_typeEEEZZNS1_27merge_sort_block_merge_implIS3_N6thrust23THRUST_200600_302600_NS6detail15normal_iteratorINSA_10device_ptrIS5_EEEEPS6_mNSA_4lessIS5_EEEE10hipError_tT0_T1_T2_jT3_P12ihipStream_tbPNSt15iterator_traitsISK_E10value_typeEPNSQ_ISL_E10value_typeEPSM_NS1_7vsmem_tEENKUlT_SK_SL_SM_E_clISF_PS5_SG_SG_EESJ_SZ_SK_SL_SM_EUlSZ_E1_NS1_11comp_targetILNS1_3genE10ELNS1_11target_archE1201ELNS1_3gpuE5ELNS1_3repE0EEENS1_36merge_oddeven_config_static_selectorELNS0_4arch9wavefront6targetE1EEEvSL_,@function
_ZN7rocprim17ROCPRIM_400000_NS6detail17trampoline_kernelINS0_14default_configENS1_38merge_sort_block_merge_config_selectorI14custom_numericNS0_10empty_typeEEEZZNS1_27merge_sort_block_merge_implIS3_N6thrust23THRUST_200600_302600_NS6detail15normal_iteratorINSA_10device_ptrIS5_EEEEPS6_mNSA_4lessIS5_EEEE10hipError_tT0_T1_T2_jT3_P12ihipStream_tbPNSt15iterator_traitsISK_E10value_typeEPNSQ_ISL_E10value_typeEPSM_NS1_7vsmem_tEENKUlT_SK_SL_SM_E_clISF_PS5_SG_SG_EESJ_SZ_SK_SL_SM_EUlSZ_E1_NS1_11comp_targetILNS1_3genE10ELNS1_11target_archE1201ELNS1_3gpuE5ELNS1_3repE0EEENS1_36merge_oddeven_config_static_selectorELNS0_4arch9wavefront6targetE1EEEvSL_: ; @_ZN7rocprim17ROCPRIM_400000_NS6detail17trampoline_kernelINS0_14default_configENS1_38merge_sort_block_merge_config_selectorI14custom_numericNS0_10empty_typeEEEZZNS1_27merge_sort_block_merge_implIS3_N6thrust23THRUST_200600_302600_NS6detail15normal_iteratorINSA_10device_ptrIS5_EEEEPS6_mNSA_4lessIS5_EEEE10hipError_tT0_T1_T2_jT3_P12ihipStream_tbPNSt15iterator_traitsISK_E10value_typeEPNSQ_ISL_E10value_typeEPSM_NS1_7vsmem_tEENKUlT_SK_SL_SM_E_clISF_PS5_SG_SG_EESJ_SZ_SK_SL_SM_EUlSZ_E1_NS1_11comp_targetILNS1_3genE10ELNS1_11target_archE1201ELNS1_3gpuE5ELNS1_3repE0EEENS1_36merge_oddeven_config_static_selectorELNS0_4arch9wavefront6targetE1EEEvSL_
; %bb.0:
	.section	.rodata,"a",@progbits
	.p2align	6, 0x0
	.amdhsa_kernel _ZN7rocprim17ROCPRIM_400000_NS6detail17trampoline_kernelINS0_14default_configENS1_38merge_sort_block_merge_config_selectorI14custom_numericNS0_10empty_typeEEEZZNS1_27merge_sort_block_merge_implIS3_N6thrust23THRUST_200600_302600_NS6detail15normal_iteratorINSA_10device_ptrIS5_EEEEPS6_mNSA_4lessIS5_EEEE10hipError_tT0_T1_T2_jT3_P12ihipStream_tbPNSt15iterator_traitsISK_E10value_typeEPNSQ_ISL_E10value_typeEPSM_NS1_7vsmem_tEENKUlT_SK_SL_SM_E_clISF_PS5_SG_SG_EESJ_SZ_SK_SL_SM_EUlSZ_E1_NS1_11comp_targetILNS1_3genE10ELNS1_11target_archE1201ELNS1_3gpuE5ELNS1_3repE0EEENS1_36merge_oddeven_config_static_selectorELNS0_4arch9wavefront6targetE1EEEvSL_
		.amdhsa_group_segment_fixed_size 0
		.amdhsa_private_segment_fixed_size 0
		.amdhsa_kernarg_size 56
		.amdhsa_user_sgpr_count 6
		.amdhsa_user_sgpr_private_segment_buffer 1
		.amdhsa_user_sgpr_dispatch_ptr 0
		.amdhsa_user_sgpr_queue_ptr 0
		.amdhsa_user_sgpr_kernarg_segment_ptr 1
		.amdhsa_user_sgpr_dispatch_id 0
		.amdhsa_user_sgpr_flat_scratch_init 0
		.amdhsa_user_sgpr_kernarg_preload_length 0
		.amdhsa_user_sgpr_kernarg_preload_offset 0
		.amdhsa_user_sgpr_private_segment_size 0
		.amdhsa_uses_dynamic_stack 0
		.amdhsa_system_sgpr_private_segment_wavefront_offset 0
		.amdhsa_system_sgpr_workgroup_id_x 1
		.amdhsa_system_sgpr_workgroup_id_y 0
		.amdhsa_system_sgpr_workgroup_id_z 0
		.amdhsa_system_sgpr_workgroup_info 0
		.amdhsa_system_vgpr_workitem_id 0
		.amdhsa_next_free_vgpr 1
		.amdhsa_next_free_sgpr 0
		.amdhsa_accum_offset 4
		.amdhsa_reserve_vcc 0
		.amdhsa_reserve_flat_scratch 0
		.amdhsa_float_round_mode_32 0
		.amdhsa_float_round_mode_16_64 0
		.amdhsa_float_denorm_mode_32 3
		.amdhsa_float_denorm_mode_16_64 3
		.amdhsa_dx10_clamp 1
		.amdhsa_ieee_mode 1
		.amdhsa_fp16_overflow 0
		.amdhsa_tg_split 0
		.amdhsa_exception_fp_ieee_invalid_op 0
		.amdhsa_exception_fp_denorm_src 0
		.amdhsa_exception_fp_ieee_div_zero 0
		.amdhsa_exception_fp_ieee_overflow 0
		.amdhsa_exception_fp_ieee_underflow 0
		.amdhsa_exception_fp_ieee_inexact 0
		.amdhsa_exception_int_div_zero 0
	.end_amdhsa_kernel
	.section	.text._ZN7rocprim17ROCPRIM_400000_NS6detail17trampoline_kernelINS0_14default_configENS1_38merge_sort_block_merge_config_selectorI14custom_numericNS0_10empty_typeEEEZZNS1_27merge_sort_block_merge_implIS3_N6thrust23THRUST_200600_302600_NS6detail15normal_iteratorINSA_10device_ptrIS5_EEEEPS6_mNSA_4lessIS5_EEEE10hipError_tT0_T1_T2_jT3_P12ihipStream_tbPNSt15iterator_traitsISK_E10value_typeEPNSQ_ISL_E10value_typeEPSM_NS1_7vsmem_tEENKUlT_SK_SL_SM_E_clISF_PS5_SG_SG_EESJ_SZ_SK_SL_SM_EUlSZ_E1_NS1_11comp_targetILNS1_3genE10ELNS1_11target_archE1201ELNS1_3gpuE5ELNS1_3repE0EEENS1_36merge_oddeven_config_static_selectorELNS0_4arch9wavefront6targetE1EEEvSL_,"axG",@progbits,_ZN7rocprim17ROCPRIM_400000_NS6detail17trampoline_kernelINS0_14default_configENS1_38merge_sort_block_merge_config_selectorI14custom_numericNS0_10empty_typeEEEZZNS1_27merge_sort_block_merge_implIS3_N6thrust23THRUST_200600_302600_NS6detail15normal_iteratorINSA_10device_ptrIS5_EEEEPS6_mNSA_4lessIS5_EEEE10hipError_tT0_T1_T2_jT3_P12ihipStream_tbPNSt15iterator_traitsISK_E10value_typeEPNSQ_ISL_E10value_typeEPSM_NS1_7vsmem_tEENKUlT_SK_SL_SM_E_clISF_PS5_SG_SG_EESJ_SZ_SK_SL_SM_EUlSZ_E1_NS1_11comp_targetILNS1_3genE10ELNS1_11target_archE1201ELNS1_3gpuE5ELNS1_3repE0EEENS1_36merge_oddeven_config_static_selectorELNS0_4arch9wavefront6targetE1EEEvSL_,comdat
.Lfunc_end1456:
	.size	_ZN7rocprim17ROCPRIM_400000_NS6detail17trampoline_kernelINS0_14default_configENS1_38merge_sort_block_merge_config_selectorI14custom_numericNS0_10empty_typeEEEZZNS1_27merge_sort_block_merge_implIS3_N6thrust23THRUST_200600_302600_NS6detail15normal_iteratorINSA_10device_ptrIS5_EEEEPS6_mNSA_4lessIS5_EEEE10hipError_tT0_T1_T2_jT3_P12ihipStream_tbPNSt15iterator_traitsISK_E10value_typeEPNSQ_ISL_E10value_typeEPSM_NS1_7vsmem_tEENKUlT_SK_SL_SM_E_clISF_PS5_SG_SG_EESJ_SZ_SK_SL_SM_EUlSZ_E1_NS1_11comp_targetILNS1_3genE10ELNS1_11target_archE1201ELNS1_3gpuE5ELNS1_3repE0EEENS1_36merge_oddeven_config_static_selectorELNS0_4arch9wavefront6targetE1EEEvSL_, .Lfunc_end1456-_ZN7rocprim17ROCPRIM_400000_NS6detail17trampoline_kernelINS0_14default_configENS1_38merge_sort_block_merge_config_selectorI14custom_numericNS0_10empty_typeEEEZZNS1_27merge_sort_block_merge_implIS3_N6thrust23THRUST_200600_302600_NS6detail15normal_iteratorINSA_10device_ptrIS5_EEEEPS6_mNSA_4lessIS5_EEEE10hipError_tT0_T1_T2_jT3_P12ihipStream_tbPNSt15iterator_traitsISK_E10value_typeEPNSQ_ISL_E10value_typeEPSM_NS1_7vsmem_tEENKUlT_SK_SL_SM_E_clISF_PS5_SG_SG_EESJ_SZ_SK_SL_SM_EUlSZ_E1_NS1_11comp_targetILNS1_3genE10ELNS1_11target_archE1201ELNS1_3gpuE5ELNS1_3repE0EEENS1_36merge_oddeven_config_static_selectorELNS0_4arch9wavefront6targetE1EEEvSL_
                                        ; -- End function
	.section	.AMDGPU.csdata,"",@progbits
; Kernel info:
; codeLenInByte = 0
; NumSgprs: 4
; NumVgprs: 0
; NumAgprs: 0
; TotalNumVgprs: 0
; ScratchSize: 0
; MemoryBound: 0
; FloatMode: 240
; IeeeMode: 1
; LDSByteSize: 0 bytes/workgroup (compile time only)
; SGPRBlocks: 0
; VGPRBlocks: 0
; NumSGPRsForWavesPerEU: 4
; NumVGPRsForWavesPerEU: 1
; AccumOffset: 4
; Occupancy: 8
; WaveLimiterHint : 0
; COMPUTE_PGM_RSRC2:SCRATCH_EN: 0
; COMPUTE_PGM_RSRC2:USER_SGPR: 6
; COMPUTE_PGM_RSRC2:TRAP_HANDLER: 0
; COMPUTE_PGM_RSRC2:TGID_X_EN: 1
; COMPUTE_PGM_RSRC2:TGID_Y_EN: 0
; COMPUTE_PGM_RSRC2:TGID_Z_EN: 0
; COMPUTE_PGM_RSRC2:TIDIG_COMP_CNT: 0
; COMPUTE_PGM_RSRC3_GFX90A:ACCUM_OFFSET: 0
; COMPUTE_PGM_RSRC3_GFX90A:TG_SPLIT: 0
	.section	.text._ZN7rocprim17ROCPRIM_400000_NS6detail17trampoline_kernelINS0_14default_configENS1_38merge_sort_block_merge_config_selectorI14custom_numericNS0_10empty_typeEEEZZNS1_27merge_sort_block_merge_implIS3_N6thrust23THRUST_200600_302600_NS6detail15normal_iteratorINSA_10device_ptrIS5_EEEEPS6_mNSA_4lessIS5_EEEE10hipError_tT0_T1_T2_jT3_P12ihipStream_tbPNSt15iterator_traitsISK_E10value_typeEPNSQ_ISL_E10value_typeEPSM_NS1_7vsmem_tEENKUlT_SK_SL_SM_E_clISF_PS5_SG_SG_EESJ_SZ_SK_SL_SM_EUlSZ_E1_NS1_11comp_targetILNS1_3genE5ELNS1_11target_archE942ELNS1_3gpuE9ELNS1_3repE0EEENS1_36merge_oddeven_config_static_selectorELNS0_4arch9wavefront6targetE1EEEvSL_,"axG",@progbits,_ZN7rocprim17ROCPRIM_400000_NS6detail17trampoline_kernelINS0_14default_configENS1_38merge_sort_block_merge_config_selectorI14custom_numericNS0_10empty_typeEEEZZNS1_27merge_sort_block_merge_implIS3_N6thrust23THRUST_200600_302600_NS6detail15normal_iteratorINSA_10device_ptrIS5_EEEEPS6_mNSA_4lessIS5_EEEE10hipError_tT0_T1_T2_jT3_P12ihipStream_tbPNSt15iterator_traitsISK_E10value_typeEPNSQ_ISL_E10value_typeEPSM_NS1_7vsmem_tEENKUlT_SK_SL_SM_E_clISF_PS5_SG_SG_EESJ_SZ_SK_SL_SM_EUlSZ_E1_NS1_11comp_targetILNS1_3genE5ELNS1_11target_archE942ELNS1_3gpuE9ELNS1_3repE0EEENS1_36merge_oddeven_config_static_selectorELNS0_4arch9wavefront6targetE1EEEvSL_,comdat
	.protected	_ZN7rocprim17ROCPRIM_400000_NS6detail17trampoline_kernelINS0_14default_configENS1_38merge_sort_block_merge_config_selectorI14custom_numericNS0_10empty_typeEEEZZNS1_27merge_sort_block_merge_implIS3_N6thrust23THRUST_200600_302600_NS6detail15normal_iteratorINSA_10device_ptrIS5_EEEEPS6_mNSA_4lessIS5_EEEE10hipError_tT0_T1_T2_jT3_P12ihipStream_tbPNSt15iterator_traitsISK_E10value_typeEPNSQ_ISL_E10value_typeEPSM_NS1_7vsmem_tEENKUlT_SK_SL_SM_E_clISF_PS5_SG_SG_EESJ_SZ_SK_SL_SM_EUlSZ_E1_NS1_11comp_targetILNS1_3genE5ELNS1_11target_archE942ELNS1_3gpuE9ELNS1_3repE0EEENS1_36merge_oddeven_config_static_selectorELNS0_4arch9wavefront6targetE1EEEvSL_ ; -- Begin function _ZN7rocprim17ROCPRIM_400000_NS6detail17trampoline_kernelINS0_14default_configENS1_38merge_sort_block_merge_config_selectorI14custom_numericNS0_10empty_typeEEEZZNS1_27merge_sort_block_merge_implIS3_N6thrust23THRUST_200600_302600_NS6detail15normal_iteratorINSA_10device_ptrIS5_EEEEPS6_mNSA_4lessIS5_EEEE10hipError_tT0_T1_T2_jT3_P12ihipStream_tbPNSt15iterator_traitsISK_E10value_typeEPNSQ_ISL_E10value_typeEPSM_NS1_7vsmem_tEENKUlT_SK_SL_SM_E_clISF_PS5_SG_SG_EESJ_SZ_SK_SL_SM_EUlSZ_E1_NS1_11comp_targetILNS1_3genE5ELNS1_11target_archE942ELNS1_3gpuE9ELNS1_3repE0EEENS1_36merge_oddeven_config_static_selectorELNS0_4arch9wavefront6targetE1EEEvSL_
	.globl	_ZN7rocprim17ROCPRIM_400000_NS6detail17trampoline_kernelINS0_14default_configENS1_38merge_sort_block_merge_config_selectorI14custom_numericNS0_10empty_typeEEEZZNS1_27merge_sort_block_merge_implIS3_N6thrust23THRUST_200600_302600_NS6detail15normal_iteratorINSA_10device_ptrIS5_EEEEPS6_mNSA_4lessIS5_EEEE10hipError_tT0_T1_T2_jT3_P12ihipStream_tbPNSt15iterator_traitsISK_E10value_typeEPNSQ_ISL_E10value_typeEPSM_NS1_7vsmem_tEENKUlT_SK_SL_SM_E_clISF_PS5_SG_SG_EESJ_SZ_SK_SL_SM_EUlSZ_E1_NS1_11comp_targetILNS1_3genE5ELNS1_11target_archE942ELNS1_3gpuE9ELNS1_3repE0EEENS1_36merge_oddeven_config_static_selectorELNS0_4arch9wavefront6targetE1EEEvSL_
	.p2align	8
	.type	_ZN7rocprim17ROCPRIM_400000_NS6detail17trampoline_kernelINS0_14default_configENS1_38merge_sort_block_merge_config_selectorI14custom_numericNS0_10empty_typeEEEZZNS1_27merge_sort_block_merge_implIS3_N6thrust23THRUST_200600_302600_NS6detail15normal_iteratorINSA_10device_ptrIS5_EEEEPS6_mNSA_4lessIS5_EEEE10hipError_tT0_T1_T2_jT3_P12ihipStream_tbPNSt15iterator_traitsISK_E10value_typeEPNSQ_ISL_E10value_typeEPSM_NS1_7vsmem_tEENKUlT_SK_SL_SM_E_clISF_PS5_SG_SG_EESJ_SZ_SK_SL_SM_EUlSZ_E1_NS1_11comp_targetILNS1_3genE5ELNS1_11target_archE942ELNS1_3gpuE9ELNS1_3repE0EEENS1_36merge_oddeven_config_static_selectorELNS0_4arch9wavefront6targetE1EEEvSL_,@function
_ZN7rocprim17ROCPRIM_400000_NS6detail17trampoline_kernelINS0_14default_configENS1_38merge_sort_block_merge_config_selectorI14custom_numericNS0_10empty_typeEEEZZNS1_27merge_sort_block_merge_implIS3_N6thrust23THRUST_200600_302600_NS6detail15normal_iteratorINSA_10device_ptrIS5_EEEEPS6_mNSA_4lessIS5_EEEE10hipError_tT0_T1_T2_jT3_P12ihipStream_tbPNSt15iterator_traitsISK_E10value_typeEPNSQ_ISL_E10value_typeEPSM_NS1_7vsmem_tEENKUlT_SK_SL_SM_E_clISF_PS5_SG_SG_EESJ_SZ_SK_SL_SM_EUlSZ_E1_NS1_11comp_targetILNS1_3genE5ELNS1_11target_archE942ELNS1_3gpuE9ELNS1_3repE0EEENS1_36merge_oddeven_config_static_selectorELNS0_4arch9wavefront6targetE1EEEvSL_: ; @_ZN7rocprim17ROCPRIM_400000_NS6detail17trampoline_kernelINS0_14default_configENS1_38merge_sort_block_merge_config_selectorI14custom_numericNS0_10empty_typeEEEZZNS1_27merge_sort_block_merge_implIS3_N6thrust23THRUST_200600_302600_NS6detail15normal_iteratorINSA_10device_ptrIS5_EEEEPS6_mNSA_4lessIS5_EEEE10hipError_tT0_T1_T2_jT3_P12ihipStream_tbPNSt15iterator_traitsISK_E10value_typeEPNSQ_ISL_E10value_typeEPSM_NS1_7vsmem_tEENKUlT_SK_SL_SM_E_clISF_PS5_SG_SG_EESJ_SZ_SK_SL_SM_EUlSZ_E1_NS1_11comp_targetILNS1_3genE5ELNS1_11target_archE942ELNS1_3gpuE9ELNS1_3repE0EEENS1_36merge_oddeven_config_static_selectorELNS0_4arch9wavefront6targetE1EEEvSL_
; %bb.0:
	.section	.rodata,"a",@progbits
	.p2align	6, 0x0
	.amdhsa_kernel _ZN7rocprim17ROCPRIM_400000_NS6detail17trampoline_kernelINS0_14default_configENS1_38merge_sort_block_merge_config_selectorI14custom_numericNS0_10empty_typeEEEZZNS1_27merge_sort_block_merge_implIS3_N6thrust23THRUST_200600_302600_NS6detail15normal_iteratorINSA_10device_ptrIS5_EEEEPS6_mNSA_4lessIS5_EEEE10hipError_tT0_T1_T2_jT3_P12ihipStream_tbPNSt15iterator_traitsISK_E10value_typeEPNSQ_ISL_E10value_typeEPSM_NS1_7vsmem_tEENKUlT_SK_SL_SM_E_clISF_PS5_SG_SG_EESJ_SZ_SK_SL_SM_EUlSZ_E1_NS1_11comp_targetILNS1_3genE5ELNS1_11target_archE942ELNS1_3gpuE9ELNS1_3repE0EEENS1_36merge_oddeven_config_static_selectorELNS0_4arch9wavefront6targetE1EEEvSL_
		.amdhsa_group_segment_fixed_size 0
		.amdhsa_private_segment_fixed_size 0
		.amdhsa_kernarg_size 56
		.amdhsa_user_sgpr_count 6
		.amdhsa_user_sgpr_private_segment_buffer 1
		.amdhsa_user_sgpr_dispatch_ptr 0
		.amdhsa_user_sgpr_queue_ptr 0
		.amdhsa_user_sgpr_kernarg_segment_ptr 1
		.amdhsa_user_sgpr_dispatch_id 0
		.amdhsa_user_sgpr_flat_scratch_init 0
		.amdhsa_user_sgpr_kernarg_preload_length 0
		.amdhsa_user_sgpr_kernarg_preload_offset 0
		.amdhsa_user_sgpr_private_segment_size 0
		.amdhsa_uses_dynamic_stack 0
		.amdhsa_system_sgpr_private_segment_wavefront_offset 0
		.amdhsa_system_sgpr_workgroup_id_x 1
		.amdhsa_system_sgpr_workgroup_id_y 0
		.amdhsa_system_sgpr_workgroup_id_z 0
		.amdhsa_system_sgpr_workgroup_info 0
		.amdhsa_system_vgpr_workitem_id 0
		.amdhsa_next_free_vgpr 1
		.amdhsa_next_free_sgpr 0
		.amdhsa_accum_offset 4
		.amdhsa_reserve_vcc 0
		.amdhsa_reserve_flat_scratch 0
		.amdhsa_float_round_mode_32 0
		.amdhsa_float_round_mode_16_64 0
		.amdhsa_float_denorm_mode_32 3
		.amdhsa_float_denorm_mode_16_64 3
		.amdhsa_dx10_clamp 1
		.amdhsa_ieee_mode 1
		.amdhsa_fp16_overflow 0
		.amdhsa_tg_split 0
		.amdhsa_exception_fp_ieee_invalid_op 0
		.amdhsa_exception_fp_denorm_src 0
		.amdhsa_exception_fp_ieee_div_zero 0
		.amdhsa_exception_fp_ieee_overflow 0
		.amdhsa_exception_fp_ieee_underflow 0
		.amdhsa_exception_fp_ieee_inexact 0
		.amdhsa_exception_int_div_zero 0
	.end_amdhsa_kernel
	.section	.text._ZN7rocprim17ROCPRIM_400000_NS6detail17trampoline_kernelINS0_14default_configENS1_38merge_sort_block_merge_config_selectorI14custom_numericNS0_10empty_typeEEEZZNS1_27merge_sort_block_merge_implIS3_N6thrust23THRUST_200600_302600_NS6detail15normal_iteratorINSA_10device_ptrIS5_EEEEPS6_mNSA_4lessIS5_EEEE10hipError_tT0_T1_T2_jT3_P12ihipStream_tbPNSt15iterator_traitsISK_E10value_typeEPNSQ_ISL_E10value_typeEPSM_NS1_7vsmem_tEENKUlT_SK_SL_SM_E_clISF_PS5_SG_SG_EESJ_SZ_SK_SL_SM_EUlSZ_E1_NS1_11comp_targetILNS1_3genE5ELNS1_11target_archE942ELNS1_3gpuE9ELNS1_3repE0EEENS1_36merge_oddeven_config_static_selectorELNS0_4arch9wavefront6targetE1EEEvSL_,"axG",@progbits,_ZN7rocprim17ROCPRIM_400000_NS6detail17trampoline_kernelINS0_14default_configENS1_38merge_sort_block_merge_config_selectorI14custom_numericNS0_10empty_typeEEEZZNS1_27merge_sort_block_merge_implIS3_N6thrust23THRUST_200600_302600_NS6detail15normal_iteratorINSA_10device_ptrIS5_EEEEPS6_mNSA_4lessIS5_EEEE10hipError_tT0_T1_T2_jT3_P12ihipStream_tbPNSt15iterator_traitsISK_E10value_typeEPNSQ_ISL_E10value_typeEPSM_NS1_7vsmem_tEENKUlT_SK_SL_SM_E_clISF_PS5_SG_SG_EESJ_SZ_SK_SL_SM_EUlSZ_E1_NS1_11comp_targetILNS1_3genE5ELNS1_11target_archE942ELNS1_3gpuE9ELNS1_3repE0EEENS1_36merge_oddeven_config_static_selectorELNS0_4arch9wavefront6targetE1EEEvSL_,comdat
.Lfunc_end1457:
	.size	_ZN7rocprim17ROCPRIM_400000_NS6detail17trampoline_kernelINS0_14default_configENS1_38merge_sort_block_merge_config_selectorI14custom_numericNS0_10empty_typeEEEZZNS1_27merge_sort_block_merge_implIS3_N6thrust23THRUST_200600_302600_NS6detail15normal_iteratorINSA_10device_ptrIS5_EEEEPS6_mNSA_4lessIS5_EEEE10hipError_tT0_T1_T2_jT3_P12ihipStream_tbPNSt15iterator_traitsISK_E10value_typeEPNSQ_ISL_E10value_typeEPSM_NS1_7vsmem_tEENKUlT_SK_SL_SM_E_clISF_PS5_SG_SG_EESJ_SZ_SK_SL_SM_EUlSZ_E1_NS1_11comp_targetILNS1_3genE5ELNS1_11target_archE942ELNS1_3gpuE9ELNS1_3repE0EEENS1_36merge_oddeven_config_static_selectorELNS0_4arch9wavefront6targetE1EEEvSL_, .Lfunc_end1457-_ZN7rocprim17ROCPRIM_400000_NS6detail17trampoline_kernelINS0_14default_configENS1_38merge_sort_block_merge_config_selectorI14custom_numericNS0_10empty_typeEEEZZNS1_27merge_sort_block_merge_implIS3_N6thrust23THRUST_200600_302600_NS6detail15normal_iteratorINSA_10device_ptrIS5_EEEEPS6_mNSA_4lessIS5_EEEE10hipError_tT0_T1_T2_jT3_P12ihipStream_tbPNSt15iterator_traitsISK_E10value_typeEPNSQ_ISL_E10value_typeEPSM_NS1_7vsmem_tEENKUlT_SK_SL_SM_E_clISF_PS5_SG_SG_EESJ_SZ_SK_SL_SM_EUlSZ_E1_NS1_11comp_targetILNS1_3genE5ELNS1_11target_archE942ELNS1_3gpuE9ELNS1_3repE0EEENS1_36merge_oddeven_config_static_selectorELNS0_4arch9wavefront6targetE1EEEvSL_
                                        ; -- End function
	.section	.AMDGPU.csdata,"",@progbits
; Kernel info:
; codeLenInByte = 0
; NumSgprs: 4
; NumVgprs: 0
; NumAgprs: 0
; TotalNumVgprs: 0
; ScratchSize: 0
; MemoryBound: 0
; FloatMode: 240
; IeeeMode: 1
; LDSByteSize: 0 bytes/workgroup (compile time only)
; SGPRBlocks: 0
; VGPRBlocks: 0
; NumSGPRsForWavesPerEU: 4
; NumVGPRsForWavesPerEU: 1
; AccumOffset: 4
; Occupancy: 8
; WaveLimiterHint : 0
; COMPUTE_PGM_RSRC2:SCRATCH_EN: 0
; COMPUTE_PGM_RSRC2:USER_SGPR: 6
; COMPUTE_PGM_RSRC2:TRAP_HANDLER: 0
; COMPUTE_PGM_RSRC2:TGID_X_EN: 1
; COMPUTE_PGM_RSRC2:TGID_Y_EN: 0
; COMPUTE_PGM_RSRC2:TGID_Z_EN: 0
; COMPUTE_PGM_RSRC2:TIDIG_COMP_CNT: 0
; COMPUTE_PGM_RSRC3_GFX90A:ACCUM_OFFSET: 0
; COMPUTE_PGM_RSRC3_GFX90A:TG_SPLIT: 0
	.section	.text._ZN7rocprim17ROCPRIM_400000_NS6detail17trampoline_kernelINS0_14default_configENS1_38merge_sort_block_merge_config_selectorI14custom_numericNS0_10empty_typeEEEZZNS1_27merge_sort_block_merge_implIS3_N6thrust23THRUST_200600_302600_NS6detail15normal_iteratorINSA_10device_ptrIS5_EEEEPS6_mNSA_4lessIS5_EEEE10hipError_tT0_T1_T2_jT3_P12ihipStream_tbPNSt15iterator_traitsISK_E10value_typeEPNSQ_ISL_E10value_typeEPSM_NS1_7vsmem_tEENKUlT_SK_SL_SM_E_clISF_PS5_SG_SG_EESJ_SZ_SK_SL_SM_EUlSZ_E1_NS1_11comp_targetILNS1_3genE4ELNS1_11target_archE910ELNS1_3gpuE8ELNS1_3repE0EEENS1_36merge_oddeven_config_static_selectorELNS0_4arch9wavefront6targetE1EEEvSL_,"axG",@progbits,_ZN7rocprim17ROCPRIM_400000_NS6detail17trampoline_kernelINS0_14default_configENS1_38merge_sort_block_merge_config_selectorI14custom_numericNS0_10empty_typeEEEZZNS1_27merge_sort_block_merge_implIS3_N6thrust23THRUST_200600_302600_NS6detail15normal_iteratorINSA_10device_ptrIS5_EEEEPS6_mNSA_4lessIS5_EEEE10hipError_tT0_T1_T2_jT3_P12ihipStream_tbPNSt15iterator_traitsISK_E10value_typeEPNSQ_ISL_E10value_typeEPSM_NS1_7vsmem_tEENKUlT_SK_SL_SM_E_clISF_PS5_SG_SG_EESJ_SZ_SK_SL_SM_EUlSZ_E1_NS1_11comp_targetILNS1_3genE4ELNS1_11target_archE910ELNS1_3gpuE8ELNS1_3repE0EEENS1_36merge_oddeven_config_static_selectorELNS0_4arch9wavefront6targetE1EEEvSL_,comdat
	.protected	_ZN7rocprim17ROCPRIM_400000_NS6detail17trampoline_kernelINS0_14default_configENS1_38merge_sort_block_merge_config_selectorI14custom_numericNS0_10empty_typeEEEZZNS1_27merge_sort_block_merge_implIS3_N6thrust23THRUST_200600_302600_NS6detail15normal_iteratorINSA_10device_ptrIS5_EEEEPS6_mNSA_4lessIS5_EEEE10hipError_tT0_T1_T2_jT3_P12ihipStream_tbPNSt15iterator_traitsISK_E10value_typeEPNSQ_ISL_E10value_typeEPSM_NS1_7vsmem_tEENKUlT_SK_SL_SM_E_clISF_PS5_SG_SG_EESJ_SZ_SK_SL_SM_EUlSZ_E1_NS1_11comp_targetILNS1_3genE4ELNS1_11target_archE910ELNS1_3gpuE8ELNS1_3repE0EEENS1_36merge_oddeven_config_static_selectorELNS0_4arch9wavefront6targetE1EEEvSL_ ; -- Begin function _ZN7rocprim17ROCPRIM_400000_NS6detail17trampoline_kernelINS0_14default_configENS1_38merge_sort_block_merge_config_selectorI14custom_numericNS0_10empty_typeEEEZZNS1_27merge_sort_block_merge_implIS3_N6thrust23THRUST_200600_302600_NS6detail15normal_iteratorINSA_10device_ptrIS5_EEEEPS6_mNSA_4lessIS5_EEEE10hipError_tT0_T1_T2_jT3_P12ihipStream_tbPNSt15iterator_traitsISK_E10value_typeEPNSQ_ISL_E10value_typeEPSM_NS1_7vsmem_tEENKUlT_SK_SL_SM_E_clISF_PS5_SG_SG_EESJ_SZ_SK_SL_SM_EUlSZ_E1_NS1_11comp_targetILNS1_3genE4ELNS1_11target_archE910ELNS1_3gpuE8ELNS1_3repE0EEENS1_36merge_oddeven_config_static_selectorELNS0_4arch9wavefront6targetE1EEEvSL_
	.globl	_ZN7rocprim17ROCPRIM_400000_NS6detail17trampoline_kernelINS0_14default_configENS1_38merge_sort_block_merge_config_selectorI14custom_numericNS0_10empty_typeEEEZZNS1_27merge_sort_block_merge_implIS3_N6thrust23THRUST_200600_302600_NS6detail15normal_iteratorINSA_10device_ptrIS5_EEEEPS6_mNSA_4lessIS5_EEEE10hipError_tT0_T1_T2_jT3_P12ihipStream_tbPNSt15iterator_traitsISK_E10value_typeEPNSQ_ISL_E10value_typeEPSM_NS1_7vsmem_tEENKUlT_SK_SL_SM_E_clISF_PS5_SG_SG_EESJ_SZ_SK_SL_SM_EUlSZ_E1_NS1_11comp_targetILNS1_3genE4ELNS1_11target_archE910ELNS1_3gpuE8ELNS1_3repE0EEENS1_36merge_oddeven_config_static_selectorELNS0_4arch9wavefront6targetE1EEEvSL_
	.p2align	8
	.type	_ZN7rocprim17ROCPRIM_400000_NS6detail17trampoline_kernelINS0_14default_configENS1_38merge_sort_block_merge_config_selectorI14custom_numericNS0_10empty_typeEEEZZNS1_27merge_sort_block_merge_implIS3_N6thrust23THRUST_200600_302600_NS6detail15normal_iteratorINSA_10device_ptrIS5_EEEEPS6_mNSA_4lessIS5_EEEE10hipError_tT0_T1_T2_jT3_P12ihipStream_tbPNSt15iterator_traitsISK_E10value_typeEPNSQ_ISL_E10value_typeEPSM_NS1_7vsmem_tEENKUlT_SK_SL_SM_E_clISF_PS5_SG_SG_EESJ_SZ_SK_SL_SM_EUlSZ_E1_NS1_11comp_targetILNS1_3genE4ELNS1_11target_archE910ELNS1_3gpuE8ELNS1_3repE0EEENS1_36merge_oddeven_config_static_selectorELNS0_4arch9wavefront6targetE1EEEvSL_,@function
_ZN7rocprim17ROCPRIM_400000_NS6detail17trampoline_kernelINS0_14default_configENS1_38merge_sort_block_merge_config_selectorI14custom_numericNS0_10empty_typeEEEZZNS1_27merge_sort_block_merge_implIS3_N6thrust23THRUST_200600_302600_NS6detail15normal_iteratorINSA_10device_ptrIS5_EEEEPS6_mNSA_4lessIS5_EEEE10hipError_tT0_T1_T2_jT3_P12ihipStream_tbPNSt15iterator_traitsISK_E10value_typeEPNSQ_ISL_E10value_typeEPSM_NS1_7vsmem_tEENKUlT_SK_SL_SM_E_clISF_PS5_SG_SG_EESJ_SZ_SK_SL_SM_EUlSZ_E1_NS1_11comp_targetILNS1_3genE4ELNS1_11target_archE910ELNS1_3gpuE8ELNS1_3repE0EEENS1_36merge_oddeven_config_static_selectorELNS0_4arch9wavefront6targetE1EEEvSL_: ; @_ZN7rocprim17ROCPRIM_400000_NS6detail17trampoline_kernelINS0_14default_configENS1_38merge_sort_block_merge_config_selectorI14custom_numericNS0_10empty_typeEEEZZNS1_27merge_sort_block_merge_implIS3_N6thrust23THRUST_200600_302600_NS6detail15normal_iteratorINSA_10device_ptrIS5_EEEEPS6_mNSA_4lessIS5_EEEE10hipError_tT0_T1_T2_jT3_P12ihipStream_tbPNSt15iterator_traitsISK_E10value_typeEPNSQ_ISL_E10value_typeEPSM_NS1_7vsmem_tEENKUlT_SK_SL_SM_E_clISF_PS5_SG_SG_EESJ_SZ_SK_SL_SM_EUlSZ_E1_NS1_11comp_targetILNS1_3genE4ELNS1_11target_archE910ELNS1_3gpuE8ELNS1_3repE0EEENS1_36merge_oddeven_config_static_selectorELNS0_4arch9wavefront6targetE1EEEvSL_
; %bb.0:
	s_load_dword s17, s[4:5], 0x20
	s_lshl_b32 s7, s6, 7
	s_waitcnt lgkmcnt(0)
	s_lshr_b32 s0, s17, 7
	s_cmp_lg_u32 s6, s0
	s_cselect_b64 s[14:15], -1, 0
	s_cmp_eq_u32 s6, s0
	s_cselect_b64 s[12:13], -1, 0
	s_sub_i32 s0, s17, s7
	v_cmp_gt_u32_e64 s[2:3], s0, v0
	s_or_b64 s[0:1], s[14:15], s[2:3]
	s_and_saveexec_b64 s[8:9], s[0:1]
	s_cbranch_execz .LBB1458_20
; %bb.1:
	s_load_dwordx4 s[8:11], s[4:5], 0x0
	s_load_dword s18, s[4:5], 0x28
	s_mul_i32 s0, s7, 20
	s_mul_hi_u32 s1, s7, 20
	v_add_u32_e32 v1, s7, v0
	s_waitcnt lgkmcnt(0)
	s_add_u32 s0, s8, s0
	s_addc_u32 s1, s9, s1
	v_mad_u64_u32 v[2:3], s[0:1], v0, 20, s[0:1]
	global_load_dword v2, v[2:3], off
	s_lshr_b32 s0, s18, 7
	s_sub_i32 s1, 0, s0
	s_and_b32 s1, s6, s1
	s_and_b32 s0, s1, s0
	s_lshl_b32 s19, s1, 7
	s_sub_i32 s6, 0, s18
	s_cmp_eq_u32 s0, 0
	s_cselect_b64 s[0:1], -1, 0
	s_and_b64 s[4:5], s[0:1], exec
	s_cselect_b32 s16, s18, s6
	s_add_i32 s16, s16, s19
	s_cmp_lt_u32 s16, s17
	s_cbranch_scc1 .LBB1458_3
; %bb.2:
	v_cmp_gt_u32_e32 vcc, s17, v1
	s_or_b64 s[4:5], vcc, s[14:15]
	s_and_b64 s[4:5], s[4:5], exec
	s_cbranch_execz .LBB1458_4
	s_branch .LBB1458_18
.LBB1458_3:
	s_mov_b64 s[4:5], 0
.LBB1458_4:
	s_min_u32 s14, s16, s17
	s_add_i32 s6, s14, s18
	s_min_u32 s15, s6, s17
	s_min_u32 s6, s19, s14
	s_add_i32 s19, s19, s14
	v_subrev_u32_e32 v0, s19, v1
	v_add_u32_e32 v0, s6, v0
	s_and_b64 vcc, exec, s[12:13]
	s_cbranch_vccz .LBB1458_12
; %bb.5:
                                        ; implicit-def: $vgpr1
	s_and_saveexec_b64 s[6:7], s[2:3]
	s_cbranch_execz .LBB1458_11
; %bb.6:
	s_cmp_ge_u32 s16, s15
	v_mov_b32_e32 v1, s14
	s_cbranch_scc1 .LBB1458_10
; %bb.7:
	s_mov_b64 s[2:3], 0
	v_mov_b32_e32 v3, s15
	v_mov_b32_e32 v1, s14
.LBB1458_8:                             ; =>This Inner Loop Header: Depth=1
	v_add_u32_e32 v4, v1, v3
	v_lshrrev_b32_e32 v6, 1, v4
	v_mad_u64_u32 v[4:5], s[12:13], v6, 20, s[8:9]
	global_load_dword v4, v[4:5], off
	v_add_u32_e32 v5, 1, v6
	s_waitcnt vmcnt(0)
	v_cmp_lt_i32_e32 vcc, v4, v2
	v_cndmask_b32_e64 v7, 0, 1, vcc
	v_cmp_ge_i32_e32 vcc, v2, v4
	v_cndmask_b32_e64 v4, 0, 1, vcc
	v_cndmask_b32_e64 v4, v4, v7, s[0:1]
	v_and_b32_e32 v4, 1, v4
	v_cmp_eq_u32_e32 vcc, 1, v4
	v_cndmask_b32_e32 v3, v6, v3, vcc
	v_cndmask_b32_e32 v1, v1, v5, vcc
	v_cmp_ge_u32_e32 vcc, v1, v3
	s_or_b64 s[2:3], vcc, s[2:3]
	s_andn2_b64 exec, exec, s[2:3]
	s_cbranch_execnz .LBB1458_8
; %bb.9:
	s_or_b64 exec, exec, s[2:3]
.LBB1458_10:
	v_add_u32_e32 v1, v1, v0
	s_or_b64 s[4:5], s[4:5], exec
.LBB1458_11:
	s_or_b64 exec, exec, s[6:7]
	s_branch .LBB1458_18
.LBB1458_12:
                                        ; implicit-def: $vgpr1
	s_cbranch_execz .LBB1458_18
; %bb.13:
	s_cmp_ge_u32 s16, s15
	v_mov_b32_e32 v1, s14
	s_cbranch_scc1 .LBB1458_17
; %bb.14:
	s_mov_b64 s[2:3], 0
	v_mov_b32_e32 v3, s15
	v_mov_b32_e32 v1, s14
.LBB1458_15:                            ; =>This Inner Loop Header: Depth=1
	v_add_u32_e32 v4, v1, v3
	v_lshrrev_b32_e32 v6, 1, v4
	v_mad_u64_u32 v[4:5], s[4:5], v6, 20, s[8:9]
	global_load_dword v4, v[4:5], off
	v_add_u32_e32 v5, 1, v6
	s_waitcnt vmcnt(0)
	v_cmp_lt_i32_e32 vcc, v4, v2
	v_cndmask_b32_e64 v7, 0, 1, vcc
	v_cmp_ge_i32_e32 vcc, v2, v4
	v_cndmask_b32_e64 v4, 0, 1, vcc
	v_cndmask_b32_e64 v4, v4, v7, s[0:1]
	v_and_b32_e32 v4, 1, v4
	v_cmp_eq_u32_e32 vcc, 1, v4
	v_cndmask_b32_e32 v3, v6, v3, vcc
	v_cndmask_b32_e32 v1, v1, v5, vcc
	v_cmp_ge_u32_e32 vcc, v1, v3
	s_or_b64 s[2:3], vcc, s[2:3]
	s_andn2_b64 exec, exec, s[2:3]
	s_cbranch_execnz .LBB1458_15
; %bb.16:
	s_or_b64 exec, exec, s[2:3]
.LBB1458_17:
	v_add_u32_e32 v1, v1, v0
	s_mov_b64 s[4:5], -1
.LBB1458_18:
	s_and_b64 exec, exec, s[4:5]
	s_cbranch_execz .LBB1458_20
; %bb.19:
	v_mov_b32_e32 v4, s10
	v_mov_b32_e32 v5, s11
	v_mad_u64_u32 v[0:1], s[0:1], v1, 20, v[4:5]
	s_waitcnt vmcnt(0)
	v_mov_b32_e32 v3, v2
	v_mov_b32_e32 v4, v2
	;; [unrolled: 1-line block ×3, first 2 shown]
	global_store_dwordx4 v[0:1], v[2:5], off
	global_store_dword v[0:1], v2, off offset:16
.LBB1458_20:
	s_endpgm
	.section	.rodata,"a",@progbits
	.p2align	6, 0x0
	.amdhsa_kernel _ZN7rocprim17ROCPRIM_400000_NS6detail17trampoline_kernelINS0_14default_configENS1_38merge_sort_block_merge_config_selectorI14custom_numericNS0_10empty_typeEEEZZNS1_27merge_sort_block_merge_implIS3_N6thrust23THRUST_200600_302600_NS6detail15normal_iteratorINSA_10device_ptrIS5_EEEEPS6_mNSA_4lessIS5_EEEE10hipError_tT0_T1_T2_jT3_P12ihipStream_tbPNSt15iterator_traitsISK_E10value_typeEPNSQ_ISL_E10value_typeEPSM_NS1_7vsmem_tEENKUlT_SK_SL_SM_E_clISF_PS5_SG_SG_EESJ_SZ_SK_SL_SM_EUlSZ_E1_NS1_11comp_targetILNS1_3genE4ELNS1_11target_archE910ELNS1_3gpuE8ELNS1_3repE0EEENS1_36merge_oddeven_config_static_selectorELNS0_4arch9wavefront6targetE1EEEvSL_
		.amdhsa_group_segment_fixed_size 0
		.amdhsa_private_segment_fixed_size 0
		.amdhsa_kernarg_size 56
		.amdhsa_user_sgpr_count 6
		.amdhsa_user_sgpr_private_segment_buffer 1
		.amdhsa_user_sgpr_dispatch_ptr 0
		.amdhsa_user_sgpr_queue_ptr 0
		.amdhsa_user_sgpr_kernarg_segment_ptr 1
		.amdhsa_user_sgpr_dispatch_id 0
		.amdhsa_user_sgpr_flat_scratch_init 0
		.amdhsa_user_sgpr_kernarg_preload_length 0
		.amdhsa_user_sgpr_kernarg_preload_offset 0
		.amdhsa_user_sgpr_private_segment_size 0
		.amdhsa_uses_dynamic_stack 0
		.amdhsa_system_sgpr_private_segment_wavefront_offset 0
		.amdhsa_system_sgpr_workgroup_id_x 1
		.amdhsa_system_sgpr_workgroup_id_y 0
		.amdhsa_system_sgpr_workgroup_id_z 0
		.amdhsa_system_sgpr_workgroup_info 0
		.amdhsa_system_vgpr_workitem_id 0
		.amdhsa_next_free_vgpr 8
		.amdhsa_next_free_sgpr 20
		.amdhsa_accum_offset 8
		.amdhsa_reserve_vcc 1
		.amdhsa_reserve_flat_scratch 0
		.amdhsa_float_round_mode_32 0
		.amdhsa_float_round_mode_16_64 0
		.amdhsa_float_denorm_mode_32 3
		.amdhsa_float_denorm_mode_16_64 3
		.amdhsa_dx10_clamp 1
		.amdhsa_ieee_mode 1
		.amdhsa_fp16_overflow 0
		.amdhsa_tg_split 0
		.amdhsa_exception_fp_ieee_invalid_op 0
		.amdhsa_exception_fp_denorm_src 0
		.amdhsa_exception_fp_ieee_div_zero 0
		.amdhsa_exception_fp_ieee_overflow 0
		.amdhsa_exception_fp_ieee_underflow 0
		.amdhsa_exception_fp_ieee_inexact 0
		.amdhsa_exception_int_div_zero 0
	.end_amdhsa_kernel
	.section	.text._ZN7rocprim17ROCPRIM_400000_NS6detail17trampoline_kernelINS0_14default_configENS1_38merge_sort_block_merge_config_selectorI14custom_numericNS0_10empty_typeEEEZZNS1_27merge_sort_block_merge_implIS3_N6thrust23THRUST_200600_302600_NS6detail15normal_iteratorINSA_10device_ptrIS5_EEEEPS6_mNSA_4lessIS5_EEEE10hipError_tT0_T1_T2_jT3_P12ihipStream_tbPNSt15iterator_traitsISK_E10value_typeEPNSQ_ISL_E10value_typeEPSM_NS1_7vsmem_tEENKUlT_SK_SL_SM_E_clISF_PS5_SG_SG_EESJ_SZ_SK_SL_SM_EUlSZ_E1_NS1_11comp_targetILNS1_3genE4ELNS1_11target_archE910ELNS1_3gpuE8ELNS1_3repE0EEENS1_36merge_oddeven_config_static_selectorELNS0_4arch9wavefront6targetE1EEEvSL_,"axG",@progbits,_ZN7rocprim17ROCPRIM_400000_NS6detail17trampoline_kernelINS0_14default_configENS1_38merge_sort_block_merge_config_selectorI14custom_numericNS0_10empty_typeEEEZZNS1_27merge_sort_block_merge_implIS3_N6thrust23THRUST_200600_302600_NS6detail15normal_iteratorINSA_10device_ptrIS5_EEEEPS6_mNSA_4lessIS5_EEEE10hipError_tT0_T1_T2_jT3_P12ihipStream_tbPNSt15iterator_traitsISK_E10value_typeEPNSQ_ISL_E10value_typeEPSM_NS1_7vsmem_tEENKUlT_SK_SL_SM_E_clISF_PS5_SG_SG_EESJ_SZ_SK_SL_SM_EUlSZ_E1_NS1_11comp_targetILNS1_3genE4ELNS1_11target_archE910ELNS1_3gpuE8ELNS1_3repE0EEENS1_36merge_oddeven_config_static_selectorELNS0_4arch9wavefront6targetE1EEEvSL_,comdat
.Lfunc_end1458:
	.size	_ZN7rocprim17ROCPRIM_400000_NS6detail17trampoline_kernelINS0_14default_configENS1_38merge_sort_block_merge_config_selectorI14custom_numericNS0_10empty_typeEEEZZNS1_27merge_sort_block_merge_implIS3_N6thrust23THRUST_200600_302600_NS6detail15normal_iteratorINSA_10device_ptrIS5_EEEEPS6_mNSA_4lessIS5_EEEE10hipError_tT0_T1_T2_jT3_P12ihipStream_tbPNSt15iterator_traitsISK_E10value_typeEPNSQ_ISL_E10value_typeEPSM_NS1_7vsmem_tEENKUlT_SK_SL_SM_E_clISF_PS5_SG_SG_EESJ_SZ_SK_SL_SM_EUlSZ_E1_NS1_11comp_targetILNS1_3genE4ELNS1_11target_archE910ELNS1_3gpuE8ELNS1_3repE0EEENS1_36merge_oddeven_config_static_selectorELNS0_4arch9wavefront6targetE1EEEvSL_, .Lfunc_end1458-_ZN7rocprim17ROCPRIM_400000_NS6detail17trampoline_kernelINS0_14default_configENS1_38merge_sort_block_merge_config_selectorI14custom_numericNS0_10empty_typeEEEZZNS1_27merge_sort_block_merge_implIS3_N6thrust23THRUST_200600_302600_NS6detail15normal_iteratorINSA_10device_ptrIS5_EEEEPS6_mNSA_4lessIS5_EEEE10hipError_tT0_T1_T2_jT3_P12ihipStream_tbPNSt15iterator_traitsISK_E10value_typeEPNSQ_ISL_E10value_typeEPSM_NS1_7vsmem_tEENKUlT_SK_SL_SM_E_clISF_PS5_SG_SG_EESJ_SZ_SK_SL_SM_EUlSZ_E1_NS1_11comp_targetILNS1_3genE4ELNS1_11target_archE910ELNS1_3gpuE8ELNS1_3repE0EEENS1_36merge_oddeven_config_static_selectorELNS0_4arch9wavefront6targetE1EEEvSL_
                                        ; -- End function
	.section	.AMDGPU.csdata,"",@progbits
; Kernel info:
; codeLenInByte = 572
; NumSgprs: 24
; NumVgprs: 8
; NumAgprs: 0
; TotalNumVgprs: 8
; ScratchSize: 0
; MemoryBound: 0
; FloatMode: 240
; IeeeMode: 1
; LDSByteSize: 0 bytes/workgroup (compile time only)
; SGPRBlocks: 2
; VGPRBlocks: 0
; NumSGPRsForWavesPerEU: 24
; NumVGPRsForWavesPerEU: 8
; AccumOffset: 8
; Occupancy: 8
; WaveLimiterHint : 0
; COMPUTE_PGM_RSRC2:SCRATCH_EN: 0
; COMPUTE_PGM_RSRC2:USER_SGPR: 6
; COMPUTE_PGM_RSRC2:TRAP_HANDLER: 0
; COMPUTE_PGM_RSRC2:TGID_X_EN: 1
; COMPUTE_PGM_RSRC2:TGID_Y_EN: 0
; COMPUTE_PGM_RSRC2:TGID_Z_EN: 0
; COMPUTE_PGM_RSRC2:TIDIG_COMP_CNT: 0
; COMPUTE_PGM_RSRC3_GFX90A:ACCUM_OFFSET: 1
; COMPUTE_PGM_RSRC3_GFX90A:TG_SPLIT: 0
	.section	.text._ZN7rocprim17ROCPRIM_400000_NS6detail17trampoline_kernelINS0_14default_configENS1_38merge_sort_block_merge_config_selectorI14custom_numericNS0_10empty_typeEEEZZNS1_27merge_sort_block_merge_implIS3_N6thrust23THRUST_200600_302600_NS6detail15normal_iteratorINSA_10device_ptrIS5_EEEEPS6_mNSA_4lessIS5_EEEE10hipError_tT0_T1_T2_jT3_P12ihipStream_tbPNSt15iterator_traitsISK_E10value_typeEPNSQ_ISL_E10value_typeEPSM_NS1_7vsmem_tEENKUlT_SK_SL_SM_E_clISF_PS5_SG_SG_EESJ_SZ_SK_SL_SM_EUlSZ_E1_NS1_11comp_targetILNS1_3genE3ELNS1_11target_archE908ELNS1_3gpuE7ELNS1_3repE0EEENS1_36merge_oddeven_config_static_selectorELNS0_4arch9wavefront6targetE1EEEvSL_,"axG",@progbits,_ZN7rocprim17ROCPRIM_400000_NS6detail17trampoline_kernelINS0_14default_configENS1_38merge_sort_block_merge_config_selectorI14custom_numericNS0_10empty_typeEEEZZNS1_27merge_sort_block_merge_implIS3_N6thrust23THRUST_200600_302600_NS6detail15normal_iteratorINSA_10device_ptrIS5_EEEEPS6_mNSA_4lessIS5_EEEE10hipError_tT0_T1_T2_jT3_P12ihipStream_tbPNSt15iterator_traitsISK_E10value_typeEPNSQ_ISL_E10value_typeEPSM_NS1_7vsmem_tEENKUlT_SK_SL_SM_E_clISF_PS5_SG_SG_EESJ_SZ_SK_SL_SM_EUlSZ_E1_NS1_11comp_targetILNS1_3genE3ELNS1_11target_archE908ELNS1_3gpuE7ELNS1_3repE0EEENS1_36merge_oddeven_config_static_selectorELNS0_4arch9wavefront6targetE1EEEvSL_,comdat
	.protected	_ZN7rocprim17ROCPRIM_400000_NS6detail17trampoline_kernelINS0_14default_configENS1_38merge_sort_block_merge_config_selectorI14custom_numericNS0_10empty_typeEEEZZNS1_27merge_sort_block_merge_implIS3_N6thrust23THRUST_200600_302600_NS6detail15normal_iteratorINSA_10device_ptrIS5_EEEEPS6_mNSA_4lessIS5_EEEE10hipError_tT0_T1_T2_jT3_P12ihipStream_tbPNSt15iterator_traitsISK_E10value_typeEPNSQ_ISL_E10value_typeEPSM_NS1_7vsmem_tEENKUlT_SK_SL_SM_E_clISF_PS5_SG_SG_EESJ_SZ_SK_SL_SM_EUlSZ_E1_NS1_11comp_targetILNS1_3genE3ELNS1_11target_archE908ELNS1_3gpuE7ELNS1_3repE0EEENS1_36merge_oddeven_config_static_selectorELNS0_4arch9wavefront6targetE1EEEvSL_ ; -- Begin function _ZN7rocprim17ROCPRIM_400000_NS6detail17trampoline_kernelINS0_14default_configENS1_38merge_sort_block_merge_config_selectorI14custom_numericNS0_10empty_typeEEEZZNS1_27merge_sort_block_merge_implIS3_N6thrust23THRUST_200600_302600_NS6detail15normal_iteratorINSA_10device_ptrIS5_EEEEPS6_mNSA_4lessIS5_EEEE10hipError_tT0_T1_T2_jT3_P12ihipStream_tbPNSt15iterator_traitsISK_E10value_typeEPNSQ_ISL_E10value_typeEPSM_NS1_7vsmem_tEENKUlT_SK_SL_SM_E_clISF_PS5_SG_SG_EESJ_SZ_SK_SL_SM_EUlSZ_E1_NS1_11comp_targetILNS1_3genE3ELNS1_11target_archE908ELNS1_3gpuE7ELNS1_3repE0EEENS1_36merge_oddeven_config_static_selectorELNS0_4arch9wavefront6targetE1EEEvSL_
	.globl	_ZN7rocprim17ROCPRIM_400000_NS6detail17trampoline_kernelINS0_14default_configENS1_38merge_sort_block_merge_config_selectorI14custom_numericNS0_10empty_typeEEEZZNS1_27merge_sort_block_merge_implIS3_N6thrust23THRUST_200600_302600_NS6detail15normal_iteratorINSA_10device_ptrIS5_EEEEPS6_mNSA_4lessIS5_EEEE10hipError_tT0_T1_T2_jT3_P12ihipStream_tbPNSt15iterator_traitsISK_E10value_typeEPNSQ_ISL_E10value_typeEPSM_NS1_7vsmem_tEENKUlT_SK_SL_SM_E_clISF_PS5_SG_SG_EESJ_SZ_SK_SL_SM_EUlSZ_E1_NS1_11comp_targetILNS1_3genE3ELNS1_11target_archE908ELNS1_3gpuE7ELNS1_3repE0EEENS1_36merge_oddeven_config_static_selectorELNS0_4arch9wavefront6targetE1EEEvSL_
	.p2align	8
	.type	_ZN7rocprim17ROCPRIM_400000_NS6detail17trampoline_kernelINS0_14default_configENS1_38merge_sort_block_merge_config_selectorI14custom_numericNS0_10empty_typeEEEZZNS1_27merge_sort_block_merge_implIS3_N6thrust23THRUST_200600_302600_NS6detail15normal_iteratorINSA_10device_ptrIS5_EEEEPS6_mNSA_4lessIS5_EEEE10hipError_tT0_T1_T2_jT3_P12ihipStream_tbPNSt15iterator_traitsISK_E10value_typeEPNSQ_ISL_E10value_typeEPSM_NS1_7vsmem_tEENKUlT_SK_SL_SM_E_clISF_PS5_SG_SG_EESJ_SZ_SK_SL_SM_EUlSZ_E1_NS1_11comp_targetILNS1_3genE3ELNS1_11target_archE908ELNS1_3gpuE7ELNS1_3repE0EEENS1_36merge_oddeven_config_static_selectorELNS0_4arch9wavefront6targetE1EEEvSL_,@function
_ZN7rocprim17ROCPRIM_400000_NS6detail17trampoline_kernelINS0_14default_configENS1_38merge_sort_block_merge_config_selectorI14custom_numericNS0_10empty_typeEEEZZNS1_27merge_sort_block_merge_implIS3_N6thrust23THRUST_200600_302600_NS6detail15normal_iteratorINSA_10device_ptrIS5_EEEEPS6_mNSA_4lessIS5_EEEE10hipError_tT0_T1_T2_jT3_P12ihipStream_tbPNSt15iterator_traitsISK_E10value_typeEPNSQ_ISL_E10value_typeEPSM_NS1_7vsmem_tEENKUlT_SK_SL_SM_E_clISF_PS5_SG_SG_EESJ_SZ_SK_SL_SM_EUlSZ_E1_NS1_11comp_targetILNS1_3genE3ELNS1_11target_archE908ELNS1_3gpuE7ELNS1_3repE0EEENS1_36merge_oddeven_config_static_selectorELNS0_4arch9wavefront6targetE1EEEvSL_: ; @_ZN7rocprim17ROCPRIM_400000_NS6detail17trampoline_kernelINS0_14default_configENS1_38merge_sort_block_merge_config_selectorI14custom_numericNS0_10empty_typeEEEZZNS1_27merge_sort_block_merge_implIS3_N6thrust23THRUST_200600_302600_NS6detail15normal_iteratorINSA_10device_ptrIS5_EEEEPS6_mNSA_4lessIS5_EEEE10hipError_tT0_T1_T2_jT3_P12ihipStream_tbPNSt15iterator_traitsISK_E10value_typeEPNSQ_ISL_E10value_typeEPSM_NS1_7vsmem_tEENKUlT_SK_SL_SM_E_clISF_PS5_SG_SG_EESJ_SZ_SK_SL_SM_EUlSZ_E1_NS1_11comp_targetILNS1_3genE3ELNS1_11target_archE908ELNS1_3gpuE7ELNS1_3repE0EEENS1_36merge_oddeven_config_static_selectorELNS0_4arch9wavefront6targetE1EEEvSL_
; %bb.0:
	.section	.rodata,"a",@progbits
	.p2align	6, 0x0
	.amdhsa_kernel _ZN7rocprim17ROCPRIM_400000_NS6detail17trampoline_kernelINS0_14default_configENS1_38merge_sort_block_merge_config_selectorI14custom_numericNS0_10empty_typeEEEZZNS1_27merge_sort_block_merge_implIS3_N6thrust23THRUST_200600_302600_NS6detail15normal_iteratorINSA_10device_ptrIS5_EEEEPS6_mNSA_4lessIS5_EEEE10hipError_tT0_T1_T2_jT3_P12ihipStream_tbPNSt15iterator_traitsISK_E10value_typeEPNSQ_ISL_E10value_typeEPSM_NS1_7vsmem_tEENKUlT_SK_SL_SM_E_clISF_PS5_SG_SG_EESJ_SZ_SK_SL_SM_EUlSZ_E1_NS1_11comp_targetILNS1_3genE3ELNS1_11target_archE908ELNS1_3gpuE7ELNS1_3repE0EEENS1_36merge_oddeven_config_static_selectorELNS0_4arch9wavefront6targetE1EEEvSL_
		.amdhsa_group_segment_fixed_size 0
		.amdhsa_private_segment_fixed_size 0
		.amdhsa_kernarg_size 56
		.amdhsa_user_sgpr_count 6
		.amdhsa_user_sgpr_private_segment_buffer 1
		.amdhsa_user_sgpr_dispatch_ptr 0
		.amdhsa_user_sgpr_queue_ptr 0
		.amdhsa_user_sgpr_kernarg_segment_ptr 1
		.amdhsa_user_sgpr_dispatch_id 0
		.amdhsa_user_sgpr_flat_scratch_init 0
		.amdhsa_user_sgpr_kernarg_preload_length 0
		.amdhsa_user_sgpr_kernarg_preload_offset 0
		.amdhsa_user_sgpr_private_segment_size 0
		.amdhsa_uses_dynamic_stack 0
		.amdhsa_system_sgpr_private_segment_wavefront_offset 0
		.amdhsa_system_sgpr_workgroup_id_x 1
		.amdhsa_system_sgpr_workgroup_id_y 0
		.amdhsa_system_sgpr_workgroup_id_z 0
		.amdhsa_system_sgpr_workgroup_info 0
		.amdhsa_system_vgpr_workitem_id 0
		.amdhsa_next_free_vgpr 1
		.amdhsa_next_free_sgpr 0
		.amdhsa_accum_offset 4
		.amdhsa_reserve_vcc 0
		.amdhsa_reserve_flat_scratch 0
		.amdhsa_float_round_mode_32 0
		.amdhsa_float_round_mode_16_64 0
		.amdhsa_float_denorm_mode_32 3
		.amdhsa_float_denorm_mode_16_64 3
		.amdhsa_dx10_clamp 1
		.amdhsa_ieee_mode 1
		.amdhsa_fp16_overflow 0
		.amdhsa_tg_split 0
		.amdhsa_exception_fp_ieee_invalid_op 0
		.amdhsa_exception_fp_denorm_src 0
		.amdhsa_exception_fp_ieee_div_zero 0
		.amdhsa_exception_fp_ieee_overflow 0
		.amdhsa_exception_fp_ieee_underflow 0
		.amdhsa_exception_fp_ieee_inexact 0
		.amdhsa_exception_int_div_zero 0
	.end_amdhsa_kernel
	.section	.text._ZN7rocprim17ROCPRIM_400000_NS6detail17trampoline_kernelINS0_14default_configENS1_38merge_sort_block_merge_config_selectorI14custom_numericNS0_10empty_typeEEEZZNS1_27merge_sort_block_merge_implIS3_N6thrust23THRUST_200600_302600_NS6detail15normal_iteratorINSA_10device_ptrIS5_EEEEPS6_mNSA_4lessIS5_EEEE10hipError_tT0_T1_T2_jT3_P12ihipStream_tbPNSt15iterator_traitsISK_E10value_typeEPNSQ_ISL_E10value_typeEPSM_NS1_7vsmem_tEENKUlT_SK_SL_SM_E_clISF_PS5_SG_SG_EESJ_SZ_SK_SL_SM_EUlSZ_E1_NS1_11comp_targetILNS1_3genE3ELNS1_11target_archE908ELNS1_3gpuE7ELNS1_3repE0EEENS1_36merge_oddeven_config_static_selectorELNS0_4arch9wavefront6targetE1EEEvSL_,"axG",@progbits,_ZN7rocprim17ROCPRIM_400000_NS6detail17trampoline_kernelINS0_14default_configENS1_38merge_sort_block_merge_config_selectorI14custom_numericNS0_10empty_typeEEEZZNS1_27merge_sort_block_merge_implIS3_N6thrust23THRUST_200600_302600_NS6detail15normal_iteratorINSA_10device_ptrIS5_EEEEPS6_mNSA_4lessIS5_EEEE10hipError_tT0_T1_T2_jT3_P12ihipStream_tbPNSt15iterator_traitsISK_E10value_typeEPNSQ_ISL_E10value_typeEPSM_NS1_7vsmem_tEENKUlT_SK_SL_SM_E_clISF_PS5_SG_SG_EESJ_SZ_SK_SL_SM_EUlSZ_E1_NS1_11comp_targetILNS1_3genE3ELNS1_11target_archE908ELNS1_3gpuE7ELNS1_3repE0EEENS1_36merge_oddeven_config_static_selectorELNS0_4arch9wavefront6targetE1EEEvSL_,comdat
.Lfunc_end1459:
	.size	_ZN7rocprim17ROCPRIM_400000_NS6detail17trampoline_kernelINS0_14default_configENS1_38merge_sort_block_merge_config_selectorI14custom_numericNS0_10empty_typeEEEZZNS1_27merge_sort_block_merge_implIS3_N6thrust23THRUST_200600_302600_NS6detail15normal_iteratorINSA_10device_ptrIS5_EEEEPS6_mNSA_4lessIS5_EEEE10hipError_tT0_T1_T2_jT3_P12ihipStream_tbPNSt15iterator_traitsISK_E10value_typeEPNSQ_ISL_E10value_typeEPSM_NS1_7vsmem_tEENKUlT_SK_SL_SM_E_clISF_PS5_SG_SG_EESJ_SZ_SK_SL_SM_EUlSZ_E1_NS1_11comp_targetILNS1_3genE3ELNS1_11target_archE908ELNS1_3gpuE7ELNS1_3repE0EEENS1_36merge_oddeven_config_static_selectorELNS0_4arch9wavefront6targetE1EEEvSL_, .Lfunc_end1459-_ZN7rocprim17ROCPRIM_400000_NS6detail17trampoline_kernelINS0_14default_configENS1_38merge_sort_block_merge_config_selectorI14custom_numericNS0_10empty_typeEEEZZNS1_27merge_sort_block_merge_implIS3_N6thrust23THRUST_200600_302600_NS6detail15normal_iteratorINSA_10device_ptrIS5_EEEEPS6_mNSA_4lessIS5_EEEE10hipError_tT0_T1_T2_jT3_P12ihipStream_tbPNSt15iterator_traitsISK_E10value_typeEPNSQ_ISL_E10value_typeEPSM_NS1_7vsmem_tEENKUlT_SK_SL_SM_E_clISF_PS5_SG_SG_EESJ_SZ_SK_SL_SM_EUlSZ_E1_NS1_11comp_targetILNS1_3genE3ELNS1_11target_archE908ELNS1_3gpuE7ELNS1_3repE0EEENS1_36merge_oddeven_config_static_selectorELNS0_4arch9wavefront6targetE1EEEvSL_
                                        ; -- End function
	.section	.AMDGPU.csdata,"",@progbits
; Kernel info:
; codeLenInByte = 0
; NumSgprs: 4
; NumVgprs: 0
; NumAgprs: 0
; TotalNumVgprs: 0
; ScratchSize: 0
; MemoryBound: 0
; FloatMode: 240
; IeeeMode: 1
; LDSByteSize: 0 bytes/workgroup (compile time only)
; SGPRBlocks: 0
; VGPRBlocks: 0
; NumSGPRsForWavesPerEU: 4
; NumVGPRsForWavesPerEU: 1
; AccumOffset: 4
; Occupancy: 8
; WaveLimiterHint : 0
; COMPUTE_PGM_RSRC2:SCRATCH_EN: 0
; COMPUTE_PGM_RSRC2:USER_SGPR: 6
; COMPUTE_PGM_RSRC2:TRAP_HANDLER: 0
; COMPUTE_PGM_RSRC2:TGID_X_EN: 1
; COMPUTE_PGM_RSRC2:TGID_Y_EN: 0
; COMPUTE_PGM_RSRC2:TGID_Z_EN: 0
; COMPUTE_PGM_RSRC2:TIDIG_COMP_CNT: 0
; COMPUTE_PGM_RSRC3_GFX90A:ACCUM_OFFSET: 0
; COMPUTE_PGM_RSRC3_GFX90A:TG_SPLIT: 0
	.section	.text._ZN7rocprim17ROCPRIM_400000_NS6detail17trampoline_kernelINS0_14default_configENS1_38merge_sort_block_merge_config_selectorI14custom_numericNS0_10empty_typeEEEZZNS1_27merge_sort_block_merge_implIS3_N6thrust23THRUST_200600_302600_NS6detail15normal_iteratorINSA_10device_ptrIS5_EEEEPS6_mNSA_4lessIS5_EEEE10hipError_tT0_T1_T2_jT3_P12ihipStream_tbPNSt15iterator_traitsISK_E10value_typeEPNSQ_ISL_E10value_typeEPSM_NS1_7vsmem_tEENKUlT_SK_SL_SM_E_clISF_PS5_SG_SG_EESJ_SZ_SK_SL_SM_EUlSZ_E1_NS1_11comp_targetILNS1_3genE2ELNS1_11target_archE906ELNS1_3gpuE6ELNS1_3repE0EEENS1_36merge_oddeven_config_static_selectorELNS0_4arch9wavefront6targetE1EEEvSL_,"axG",@progbits,_ZN7rocprim17ROCPRIM_400000_NS6detail17trampoline_kernelINS0_14default_configENS1_38merge_sort_block_merge_config_selectorI14custom_numericNS0_10empty_typeEEEZZNS1_27merge_sort_block_merge_implIS3_N6thrust23THRUST_200600_302600_NS6detail15normal_iteratorINSA_10device_ptrIS5_EEEEPS6_mNSA_4lessIS5_EEEE10hipError_tT0_T1_T2_jT3_P12ihipStream_tbPNSt15iterator_traitsISK_E10value_typeEPNSQ_ISL_E10value_typeEPSM_NS1_7vsmem_tEENKUlT_SK_SL_SM_E_clISF_PS5_SG_SG_EESJ_SZ_SK_SL_SM_EUlSZ_E1_NS1_11comp_targetILNS1_3genE2ELNS1_11target_archE906ELNS1_3gpuE6ELNS1_3repE0EEENS1_36merge_oddeven_config_static_selectorELNS0_4arch9wavefront6targetE1EEEvSL_,comdat
	.protected	_ZN7rocprim17ROCPRIM_400000_NS6detail17trampoline_kernelINS0_14default_configENS1_38merge_sort_block_merge_config_selectorI14custom_numericNS0_10empty_typeEEEZZNS1_27merge_sort_block_merge_implIS3_N6thrust23THRUST_200600_302600_NS6detail15normal_iteratorINSA_10device_ptrIS5_EEEEPS6_mNSA_4lessIS5_EEEE10hipError_tT0_T1_T2_jT3_P12ihipStream_tbPNSt15iterator_traitsISK_E10value_typeEPNSQ_ISL_E10value_typeEPSM_NS1_7vsmem_tEENKUlT_SK_SL_SM_E_clISF_PS5_SG_SG_EESJ_SZ_SK_SL_SM_EUlSZ_E1_NS1_11comp_targetILNS1_3genE2ELNS1_11target_archE906ELNS1_3gpuE6ELNS1_3repE0EEENS1_36merge_oddeven_config_static_selectorELNS0_4arch9wavefront6targetE1EEEvSL_ ; -- Begin function _ZN7rocprim17ROCPRIM_400000_NS6detail17trampoline_kernelINS0_14default_configENS1_38merge_sort_block_merge_config_selectorI14custom_numericNS0_10empty_typeEEEZZNS1_27merge_sort_block_merge_implIS3_N6thrust23THRUST_200600_302600_NS6detail15normal_iteratorINSA_10device_ptrIS5_EEEEPS6_mNSA_4lessIS5_EEEE10hipError_tT0_T1_T2_jT3_P12ihipStream_tbPNSt15iterator_traitsISK_E10value_typeEPNSQ_ISL_E10value_typeEPSM_NS1_7vsmem_tEENKUlT_SK_SL_SM_E_clISF_PS5_SG_SG_EESJ_SZ_SK_SL_SM_EUlSZ_E1_NS1_11comp_targetILNS1_3genE2ELNS1_11target_archE906ELNS1_3gpuE6ELNS1_3repE0EEENS1_36merge_oddeven_config_static_selectorELNS0_4arch9wavefront6targetE1EEEvSL_
	.globl	_ZN7rocprim17ROCPRIM_400000_NS6detail17trampoline_kernelINS0_14default_configENS1_38merge_sort_block_merge_config_selectorI14custom_numericNS0_10empty_typeEEEZZNS1_27merge_sort_block_merge_implIS3_N6thrust23THRUST_200600_302600_NS6detail15normal_iteratorINSA_10device_ptrIS5_EEEEPS6_mNSA_4lessIS5_EEEE10hipError_tT0_T1_T2_jT3_P12ihipStream_tbPNSt15iterator_traitsISK_E10value_typeEPNSQ_ISL_E10value_typeEPSM_NS1_7vsmem_tEENKUlT_SK_SL_SM_E_clISF_PS5_SG_SG_EESJ_SZ_SK_SL_SM_EUlSZ_E1_NS1_11comp_targetILNS1_3genE2ELNS1_11target_archE906ELNS1_3gpuE6ELNS1_3repE0EEENS1_36merge_oddeven_config_static_selectorELNS0_4arch9wavefront6targetE1EEEvSL_
	.p2align	8
	.type	_ZN7rocprim17ROCPRIM_400000_NS6detail17trampoline_kernelINS0_14default_configENS1_38merge_sort_block_merge_config_selectorI14custom_numericNS0_10empty_typeEEEZZNS1_27merge_sort_block_merge_implIS3_N6thrust23THRUST_200600_302600_NS6detail15normal_iteratorINSA_10device_ptrIS5_EEEEPS6_mNSA_4lessIS5_EEEE10hipError_tT0_T1_T2_jT3_P12ihipStream_tbPNSt15iterator_traitsISK_E10value_typeEPNSQ_ISL_E10value_typeEPSM_NS1_7vsmem_tEENKUlT_SK_SL_SM_E_clISF_PS5_SG_SG_EESJ_SZ_SK_SL_SM_EUlSZ_E1_NS1_11comp_targetILNS1_3genE2ELNS1_11target_archE906ELNS1_3gpuE6ELNS1_3repE0EEENS1_36merge_oddeven_config_static_selectorELNS0_4arch9wavefront6targetE1EEEvSL_,@function
_ZN7rocprim17ROCPRIM_400000_NS6detail17trampoline_kernelINS0_14default_configENS1_38merge_sort_block_merge_config_selectorI14custom_numericNS0_10empty_typeEEEZZNS1_27merge_sort_block_merge_implIS3_N6thrust23THRUST_200600_302600_NS6detail15normal_iteratorINSA_10device_ptrIS5_EEEEPS6_mNSA_4lessIS5_EEEE10hipError_tT0_T1_T2_jT3_P12ihipStream_tbPNSt15iterator_traitsISK_E10value_typeEPNSQ_ISL_E10value_typeEPSM_NS1_7vsmem_tEENKUlT_SK_SL_SM_E_clISF_PS5_SG_SG_EESJ_SZ_SK_SL_SM_EUlSZ_E1_NS1_11comp_targetILNS1_3genE2ELNS1_11target_archE906ELNS1_3gpuE6ELNS1_3repE0EEENS1_36merge_oddeven_config_static_selectorELNS0_4arch9wavefront6targetE1EEEvSL_: ; @_ZN7rocprim17ROCPRIM_400000_NS6detail17trampoline_kernelINS0_14default_configENS1_38merge_sort_block_merge_config_selectorI14custom_numericNS0_10empty_typeEEEZZNS1_27merge_sort_block_merge_implIS3_N6thrust23THRUST_200600_302600_NS6detail15normal_iteratorINSA_10device_ptrIS5_EEEEPS6_mNSA_4lessIS5_EEEE10hipError_tT0_T1_T2_jT3_P12ihipStream_tbPNSt15iterator_traitsISK_E10value_typeEPNSQ_ISL_E10value_typeEPSM_NS1_7vsmem_tEENKUlT_SK_SL_SM_E_clISF_PS5_SG_SG_EESJ_SZ_SK_SL_SM_EUlSZ_E1_NS1_11comp_targetILNS1_3genE2ELNS1_11target_archE906ELNS1_3gpuE6ELNS1_3repE0EEENS1_36merge_oddeven_config_static_selectorELNS0_4arch9wavefront6targetE1EEEvSL_
; %bb.0:
	.section	.rodata,"a",@progbits
	.p2align	6, 0x0
	.amdhsa_kernel _ZN7rocprim17ROCPRIM_400000_NS6detail17trampoline_kernelINS0_14default_configENS1_38merge_sort_block_merge_config_selectorI14custom_numericNS0_10empty_typeEEEZZNS1_27merge_sort_block_merge_implIS3_N6thrust23THRUST_200600_302600_NS6detail15normal_iteratorINSA_10device_ptrIS5_EEEEPS6_mNSA_4lessIS5_EEEE10hipError_tT0_T1_T2_jT3_P12ihipStream_tbPNSt15iterator_traitsISK_E10value_typeEPNSQ_ISL_E10value_typeEPSM_NS1_7vsmem_tEENKUlT_SK_SL_SM_E_clISF_PS5_SG_SG_EESJ_SZ_SK_SL_SM_EUlSZ_E1_NS1_11comp_targetILNS1_3genE2ELNS1_11target_archE906ELNS1_3gpuE6ELNS1_3repE0EEENS1_36merge_oddeven_config_static_selectorELNS0_4arch9wavefront6targetE1EEEvSL_
		.amdhsa_group_segment_fixed_size 0
		.amdhsa_private_segment_fixed_size 0
		.amdhsa_kernarg_size 56
		.amdhsa_user_sgpr_count 6
		.amdhsa_user_sgpr_private_segment_buffer 1
		.amdhsa_user_sgpr_dispatch_ptr 0
		.amdhsa_user_sgpr_queue_ptr 0
		.amdhsa_user_sgpr_kernarg_segment_ptr 1
		.amdhsa_user_sgpr_dispatch_id 0
		.amdhsa_user_sgpr_flat_scratch_init 0
		.amdhsa_user_sgpr_kernarg_preload_length 0
		.amdhsa_user_sgpr_kernarg_preload_offset 0
		.amdhsa_user_sgpr_private_segment_size 0
		.amdhsa_uses_dynamic_stack 0
		.amdhsa_system_sgpr_private_segment_wavefront_offset 0
		.amdhsa_system_sgpr_workgroup_id_x 1
		.amdhsa_system_sgpr_workgroup_id_y 0
		.amdhsa_system_sgpr_workgroup_id_z 0
		.amdhsa_system_sgpr_workgroup_info 0
		.amdhsa_system_vgpr_workitem_id 0
		.amdhsa_next_free_vgpr 1
		.amdhsa_next_free_sgpr 0
		.amdhsa_accum_offset 4
		.amdhsa_reserve_vcc 0
		.amdhsa_reserve_flat_scratch 0
		.amdhsa_float_round_mode_32 0
		.amdhsa_float_round_mode_16_64 0
		.amdhsa_float_denorm_mode_32 3
		.amdhsa_float_denorm_mode_16_64 3
		.amdhsa_dx10_clamp 1
		.amdhsa_ieee_mode 1
		.amdhsa_fp16_overflow 0
		.amdhsa_tg_split 0
		.amdhsa_exception_fp_ieee_invalid_op 0
		.amdhsa_exception_fp_denorm_src 0
		.amdhsa_exception_fp_ieee_div_zero 0
		.amdhsa_exception_fp_ieee_overflow 0
		.amdhsa_exception_fp_ieee_underflow 0
		.amdhsa_exception_fp_ieee_inexact 0
		.amdhsa_exception_int_div_zero 0
	.end_amdhsa_kernel
	.section	.text._ZN7rocprim17ROCPRIM_400000_NS6detail17trampoline_kernelINS0_14default_configENS1_38merge_sort_block_merge_config_selectorI14custom_numericNS0_10empty_typeEEEZZNS1_27merge_sort_block_merge_implIS3_N6thrust23THRUST_200600_302600_NS6detail15normal_iteratorINSA_10device_ptrIS5_EEEEPS6_mNSA_4lessIS5_EEEE10hipError_tT0_T1_T2_jT3_P12ihipStream_tbPNSt15iterator_traitsISK_E10value_typeEPNSQ_ISL_E10value_typeEPSM_NS1_7vsmem_tEENKUlT_SK_SL_SM_E_clISF_PS5_SG_SG_EESJ_SZ_SK_SL_SM_EUlSZ_E1_NS1_11comp_targetILNS1_3genE2ELNS1_11target_archE906ELNS1_3gpuE6ELNS1_3repE0EEENS1_36merge_oddeven_config_static_selectorELNS0_4arch9wavefront6targetE1EEEvSL_,"axG",@progbits,_ZN7rocprim17ROCPRIM_400000_NS6detail17trampoline_kernelINS0_14default_configENS1_38merge_sort_block_merge_config_selectorI14custom_numericNS0_10empty_typeEEEZZNS1_27merge_sort_block_merge_implIS3_N6thrust23THRUST_200600_302600_NS6detail15normal_iteratorINSA_10device_ptrIS5_EEEEPS6_mNSA_4lessIS5_EEEE10hipError_tT0_T1_T2_jT3_P12ihipStream_tbPNSt15iterator_traitsISK_E10value_typeEPNSQ_ISL_E10value_typeEPSM_NS1_7vsmem_tEENKUlT_SK_SL_SM_E_clISF_PS5_SG_SG_EESJ_SZ_SK_SL_SM_EUlSZ_E1_NS1_11comp_targetILNS1_3genE2ELNS1_11target_archE906ELNS1_3gpuE6ELNS1_3repE0EEENS1_36merge_oddeven_config_static_selectorELNS0_4arch9wavefront6targetE1EEEvSL_,comdat
.Lfunc_end1460:
	.size	_ZN7rocprim17ROCPRIM_400000_NS6detail17trampoline_kernelINS0_14default_configENS1_38merge_sort_block_merge_config_selectorI14custom_numericNS0_10empty_typeEEEZZNS1_27merge_sort_block_merge_implIS3_N6thrust23THRUST_200600_302600_NS6detail15normal_iteratorINSA_10device_ptrIS5_EEEEPS6_mNSA_4lessIS5_EEEE10hipError_tT0_T1_T2_jT3_P12ihipStream_tbPNSt15iterator_traitsISK_E10value_typeEPNSQ_ISL_E10value_typeEPSM_NS1_7vsmem_tEENKUlT_SK_SL_SM_E_clISF_PS5_SG_SG_EESJ_SZ_SK_SL_SM_EUlSZ_E1_NS1_11comp_targetILNS1_3genE2ELNS1_11target_archE906ELNS1_3gpuE6ELNS1_3repE0EEENS1_36merge_oddeven_config_static_selectorELNS0_4arch9wavefront6targetE1EEEvSL_, .Lfunc_end1460-_ZN7rocprim17ROCPRIM_400000_NS6detail17trampoline_kernelINS0_14default_configENS1_38merge_sort_block_merge_config_selectorI14custom_numericNS0_10empty_typeEEEZZNS1_27merge_sort_block_merge_implIS3_N6thrust23THRUST_200600_302600_NS6detail15normal_iteratorINSA_10device_ptrIS5_EEEEPS6_mNSA_4lessIS5_EEEE10hipError_tT0_T1_T2_jT3_P12ihipStream_tbPNSt15iterator_traitsISK_E10value_typeEPNSQ_ISL_E10value_typeEPSM_NS1_7vsmem_tEENKUlT_SK_SL_SM_E_clISF_PS5_SG_SG_EESJ_SZ_SK_SL_SM_EUlSZ_E1_NS1_11comp_targetILNS1_3genE2ELNS1_11target_archE906ELNS1_3gpuE6ELNS1_3repE0EEENS1_36merge_oddeven_config_static_selectorELNS0_4arch9wavefront6targetE1EEEvSL_
                                        ; -- End function
	.section	.AMDGPU.csdata,"",@progbits
; Kernel info:
; codeLenInByte = 0
; NumSgprs: 4
; NumVgprs: 0
; NumAgprs: 0
; TotalNumVgprs: 0
; ScratchSize: 0
; MemoryBound: 0
; FloatMode: 240
; IeeeMode: 1
; LDSByteSize: 0 bytes/workgroup (compile time only)
; SGPRBlocks: 0
; VGPRBlocks: 0
; NumSGPRsForWavesPerEU: 4
; NumVGPRsForWavesPerEU: 1
; AccumOffset: 4
; Occupancy: 8
; WaveLimiterHint : 0
; COMPUTE_PGM_RSRC2:SCRATCH_EN: 0
; COMPUTE_PGM_RSRC2:USER_SGPR: 6
; COMPUTE_PGM_RSRC2:TRAP_HANDLER: 0
; COMPUTE_PGM_RSRC2:TGID_X_EN: 1
; COMPUTE_PGM_RSRC2:TGID_Y_EN: 0
; COMPUTE_PGM_RSRC2:TGID_Z_EN: 0
; COMPUTE_PGM_RSRC2:TIDIG_COMP_CNT: 0
; COMPUTE_PGM_RSRC3_GFX90A:ACCUM_OFFSET: 0
; COMPUTE_PGM_RSRC3_GFX90A:TG_SPLIT: 0
	.section	.text._ZN7rocprim17ROCPRIM_400000_NS6detail17trampoline_kernelINS0_14default_configENS1_38merge_sort_block_merge_config_selectorI14custom_numericNS0_10empty_typeEEEZZNS1_27merge_sort_block_merge_implIS3_N6thrust23THRUST_200600_302600_NS6detail15normal_iteratorINSA_10device_ptrIS5_EEEEPS6_mNSA_4lessIS5_EEEE10hipError_tT0_T1_T2_jT3_P12ihipStream_tbPNSt15iterator_traitsISK_E10value_typeEPNSQ_ISL_E10value_typeEPSM_NS1_7vsmem_tEENKUlT_SK_SL_SM_E_clISF_PS5_SG_SG_EESJ_SZ_SK_SL_SM_EUlSZ_E1_NS1_11comp_targetILNS1_3genE9ELNS1_11target_archE1100ELNS1_3gpuE3ELNS1_3repE0EEENS1_36merge_oddeven_config_static_selectorELNS0_4arch9wavefront6targetE1EEEvSL_,"axG",@progbits,_ZN7rocprim17ROCPRIM_400000_NS6detail17trampoline_kernelINS0_14default_configENS1_38merge_sort_block_merge_config_selectorI14custom_numericNS0_10empty_typeEEEZZNS1_27merge_sort_block_merge_implIS3_N6thrust23THRUST_200600_302600_NS6detail15normal_iteratorINSA_10device_ptrIS5_EEEEPS6_mNSA_4lessIS5_EEEE10hipError_tT0_T1_T2_jT3_P12ihipStream_tbPNSt15iterator_traitsISK_E10value_typeEPNSQ_ISL_E10value_typeEPSM_NS1_7vsmem_tEENKUlT_SK_SL_SM_E_clISF_PS5_SG_SG_EESJ_SZ_SK_SL_SM_EUlSZ_E1_NS1_11comp_targetILNS1_3genE9ELNS1_11target_archE1100ELNS1_3gpuE3ELNS1_3repE0EEENS1_36merge_oddeven_config_static_selectorELNS0_4arch9wavefront6targetE1EEEvSL_,comdat
	.protected	_ZN7rocprim17ROCPRIM_400000_NS6detail17trampoline_kernelINS0_14default_configENS1_38merge_sort_block_merge_config_selectorI14custom_numericNS0_10empty_typeEEEZZNS1_27merge_sort_block_merge_implIS3_N6thrust23THRUST_200600_302600_NS6detail15normal_iteratorINSA_10device_ptrIS5_EEEEPS6_mNSA_4lessIS5_EEEE10hipError_tT0_T1_T2_jT3_P12ihipStream_tbPNSt15iterator_traitsISK_E10value_typeEPNSQ_ISL_E10value_typeEPSM_NS1_7vsmem_tEENKUlT_SK_SL_SM_E_clISF_PS5_SG_SG_EESJ_SZ_SK_SL_SM_EUlSZ_E1_NS1_11comp_targetILNS1_3genE9ELNS1_11target_archE1100ELNS1_3gpuE3ELNS1_3repE0EEENS1_36merge_oddeven_config_static_selectorELNS0_4arch9wavefront6targetE1EEEvSL_ ; -- Begin function _ZN7rocprim17ROCPRIM_400000_NS6detail17trampoline_kernelINS0_14default_configENS1_38merge_sort_block_merge_config_selectorI14custom_numericNS0_10empty_typeEEEZZNS1_27merge_sort_block_merge_implIS3_N6thrust23THRUST_200600_302600_NS6detail15normal_iteratorINSA_10device_ptrIS5_EEEEPS6_mNSA_4lessIS5_EEEE10hipError_tT0_T1_T2_jT3_P12ihipStream_tbPNSt15iterator_traitsISK_E10value_typeEPNSQ_ISL_E10value_typeEPSM_NS1_7vsmem_tEENKUlT_SK_SL_SM_E_clISF_PS5_SG_SG_EESJ_SZ_SK_SL_SM_EUlSZ_E1_NS1_11comp_targetILNS1_3genE9ELNS1_11target_archE1100ELNS1_3gpuE3ELNS1_3repE0EEENS1_36merge_oddeven_config_static_selectorELNS0_4arch9wavefront6targetE1EEEvSL_
	.globl	_ZN7rocprim17ROCPRIM_400000_NS6detail17trampoline_kernelINS0_14default_configENS1_38merge_sort_block_merge_config_selectorI14custom_numericNS0_10empty_typeEEEZZNS1_27merge_sort_block_merge_implIS3_N6thrust23THRUST_200600_302600_NS6detail15normal_iteratorINSA_10device_ptrIS5_EEEEPS6_mNSA_4lessIS5_EEEE10hipError_tT0_T1_T2_jT3_P12ihipStream_tbPNSt15iterator_traitsISK_E10value_typeEPNSQ_ISL_E10value_typeEPSM_NS1_7vsmem_tEENKUlT_SK_SL_SM_E_clISF_PS5_SG_SG_EESJ_SZ_SK_SL_SM_EUlSZ_E1_NS1_11comp_targetILNS1_3genE9ELNS1_11target_archE1100ELNS1_3gpuE3ELNS1_3repE0EEENS1_36merge_oddeven_config_static_selectorELNS0_4arch9wavefront6targetE1EEEvSL_
	.p2align	8
	.type	_ZN7rocprim17ROCPRIM_400000_NS6detail17trampoline_kernelINS0_14default_configENS1_38merge_sort_block_merge_config_selectorI14custom_numericNS0_10empty_typeEEEZZNS1_27merge_sort_block_merge_implIS3_N6thrust23THRUST_200600_302600_NS6detail15normal_iteratorINSA_10device_ptrIS5_EEEEPS6_mNSA_4lessIS5_EEEE10hipError_tT0_T1_T2_jT3_P12ihipStream_tbPNSt15iterator_traitsISK_E10value_typeEPNSQ_ISL_E10value_typeEPSM_NS1_7vsmem_tEENKUlT_SK_SL_SM_E_clISF_PS5_SG_SG_EESJ_SZ_SK_SL_SM_EUlSZ_E1_NS1_11comp_targetILNS1_3genE9ELNS1_11target_archE1100ELNS1_3gpuE3ELNS1_3repE0EEENS1_36merge_oddeven_config_static_selectorELNS0_4arch9wavefront6targetE1EEEvSL_,@function
_ZN7rocprim17ROCPRIM_400000_NS6detail17trampoline_kernelINS0_14default_configENS1_38merge_sort_block_merge_config_selectorI14custom_numericNS0_10empty_typeEEEZZNS1_27merge_sort_block_merge_implIS3_N6thrust23THRUST_200600_302600_NS6detail15normal_iteratorINSA_10device_ptrIS5_EEEEPS6_mNSA_4lessIS5_EEEE10hipError_tT0_T1_T2_jT3_P12ihipStream_tbPNSt15iterator_traitsISK_E10value_typeEPNSQ_ISL_E10value_typeEPSM_NS1_7vsmem_tEENKUlT_SK_SL_SM_E_clISF_PS5_SG_SG_EESJ_SZ_SK_SL_SM_EUlSZ_E1_NS1_11comp_targetILNS1_3genE9ELNS1_11target_archE1100ELNS1_3gpuE3ELNS1_3repE0EEENS1_36merge_oddeven_config_static_selectorELNS0_4arch9wavefront6targetE1EEEvSL_: ; @_ZN7rocprim17ROCPRIM_400000_NS6detail17trampoline_kernelINS0_14default_configENS1_38merge_sort_block_merge_config_selectorI14custom_numericNS0_10empty_typeEEEZZNS1_27merge_sort_block_merge_implIS3_N6thrust23THRUST_200600_302600_NS6detail15normal_iteratorINSA_10device_ptrIS5_EEEEPS6_mNSA_4lessIS5_EEEE10hipError_tT0_T1_T2_jT3_P12ihipStream_tbPNSt15iterator_traitsISK_E10value_typeEPNSQ_ISL_E10value_typeEPSM_NS1_7vsmem_tEENKUlT_SK_SL_SM_E_clISF_PS5_SG_SG_EESJ_SZ_SK_SL_SM_EUlSZ_E1_NS1_11comp_targetILNS1_3genE9ELNS1_11target_archE1100ELNS1_3gpuE3ELNS1_3repE0EEENS1_36merge_oddeven_config_static_selectorELNS0_4arch9wavefront6targetE1EEEvSL_
; %bb.0:
	.section	.rodata,"a",@progbits
	.p2align	6, 0x0
	.amdhsa_kernel _ZN7rocprim17ROCPRIM_400000_NS6detail17trampoline_kernelINS0_14default_configENS1_38merge_sort_block_merge_config_selectorI14custom_numericNS0_10empty_typeEEEZZNS1_27merge_sort_block_merge_implIS3_N6thrust23THRUST_200600_302600_NS6detail15normal_iteratorINSA_10device_ptrIS5_EEEEPS6_mNSA_4lessIS5_EEEE10hipError_tT0_T1_T2_jT3_P12ihipStream_tbPNSt15iterator_traitsISK_E10value_typeEPNSQ_ISL_E10value_typeEPSM_NS1_7vsmem_tEENKUlT_SK_SL_SM_E_clISF_PS5_SG_SG_EESJ_SZ_SK_SL_SM_EUlSZ_E1_NS1_11comp_targetILNS1_3genE9ELNS1_11target_archE1100ELNS1_3gpuE3ELNS1_3repE0EEENS1_36merge_oddeven_config_static_selectorELNS0_4arch9wavefront6targetE1EEEvSL_
		.amdhsa_group_segment_fixed_size 0
		.amdhsa_private_segment_fixed_size 0
		.amdhsa_kernarg_size 56
		.amdhsa_user_sgpr_count 6
		.amdhsa_user_sgpr_private_segment_buffer 1
		.amdhsa_user_sgpr_dispatch_ptr 0
		.amdhsa_user_sgpr_queue_ptr 0
		.amdhsa_user_sgpr_kernarg_segment_ptr 1
		.amdhsa_user_sgpr_dispatch_id 0
		.amdhsa_user_sgpr_flat_scratch_init 0
		.amdhsa_user_sgpr_kernarg_preload_length 0
		.amdhsa_user_sgpr_kernarg_preload_offset 0
		.amdhsa_user_sgpr_private_segment_size 0
		.amdhsa_uses_dynamic_stack 0
		.amdhsa_system_sgpr_private_segment_wavefront_offset 0
		.amdhsa_system_sgpr_workgroup_id_x 1
		.amdhsa_system_sgpr_workgroup_id_y 0
		.amdhsa_system_sgpr_workgroup_id_z 0
		.amdhsa_system_sgpr_workgroup_info 0
		.amdhsa_system_vgpr_workitem_id 0
		.amdhsa_next_free_vgpr 1
		.amdhsa_next_free_sgpr 0
		.amdhsa_accum_offset 4
		.amdhsa_reserve_vcc 0
		.amdhsa_reserve_flat_scratch 0
		.amdhsa_float_round_mode_32 0
		.amdhsa_float_round_mode_16_64 0
		.amdhsa_float_denorm_mode_32 3
		.amdhsa_float_denorm_mode_16_64 3
		.amdhsa_dx10_clamp 1
		.amdhsa_ieee_mode 1
		.amdhsa_fp16_overflow 0
		.amdhsa_tg_split 0
		.amdhsa_exception_fp_ieee_invalid_op 0
		.amdhsa_exception_fp_denorm_src 0
		.amdhsa_exception_fp_ieee_div_zero 0
		.amdhsa_exception_fp_ieee_overflow 0
		.amdhsa_exception_fp_ieee_underflow 0
		.amdhsa_exception_fp_ieee_inexact 0
		.amdhsa_exception_int_div_zero 0
	.end_amdhsa_kernel
	.section	.text._ZN7rocprim17ROCPRIM_400000_NS6detail17trampoline_kernelINS0_14default_configENS1_38merge_sort_block_merge_config_selectorI14custom_numericNS0_10empty_typeEEEZZNS1_27merge_sort_block_merge_implIS3_N6thrust23THRUST_200600_302600_NS6detail15normal_iteratorINSA_10device_ptrIS5_EEEEPS6_mNSA_4lessIS5_EEEE10hipError_tT0_T1_T2_jT3_P12ihipStream_tbPNSt15iterator_traitsISK_E10value_typeEPNSQ_ISL_E10value_typeEPSM_NS1_7vsmem_tEENKUlT_SK_SL_SM_E_clISF_PS5_SG_SG_EESJ_SZ_SK_SL_SM_EUlSZ_E1_NS1_11comp_targetILNS1_3genE9ELNS1_11target_archE1100ELNS1_3gpuE3ELNS1_3repE0EEENS1_36merge_oddeven_config_static_selectorELNS0_4arch9wavefront6targetE1EEEvSL_,"axG",@progbits,_ZN7rocprim17ROCPRIM_400000_NS6detail17trampoline_kernelINS0_14default_configENS1_38merge_sort_block_merge_config_selectorI14custom_numericNS0_10empty_typeEEEZZNS1_27merge_sort_block_merge_implIS3_N6thrust23THRUST_200600_302600_NS6detail15normal_iteratorINSA_10device_ptrIS5_EEEEPS6_mNSA_4lessIS5_EEEE10hipError_tT0_T1_T2_jT3_P12ihipStream_tbPNSt15iterator_traitsISK_E10value_typeEPNSQ_ISL_E10value_typeEPSM_NS1_7vsmem_tEENKUlT_SK_SL_SM_E_clISF_PS5_SG_SG_EESJ_SZ_SK_SL_SM_EUlSZ_E1_NS1_11comp_targetILNS1_3genE9ELNS1_11target_archE1100ELNS1_3gpuE3ELNS1_3repE0EEENS1_36merge_oddeven_config_static_selectorELNS0_4arch9wavefront6targetE1EEEvSL_,comdat
.Lfunc_end1461:
	.size	_ZN7rocprim17ROCPRIM_400000_NS6detail17trampoline_kernelINS0_14default_configENS1_38merge_sort_block_merge_config_selectorI14custom_numericNS0_10empty_typeEEEZZNS1_27merge_sort_block_merge_implIS3_N6thrust23THRUST_200600_302600_NS6detail15normal_iteratorINSA_10device_ptrIS5_EEEEPS6_mNSA_4lessIS5_EEEE10hipError_tT0_T1_T2_jT3_P12ihipStream_tbPNSt15iterator_traitsISK_E10value_typeEPNSQ_ISL_E10value_typeEPSM_NS1_7vsmem_tEENKUlT_SK_SL_SM_E_clISF_PS5_SG_SG_EESJ_SZ_SK_SL_SM_EUlSZ_E1_NS1_11comp_targetILNS1_3genE9ELNS1_11target_archE1100ELNS1_3gpuE3ELNS1_3repE0EEENS1_36merge_oddeven_config_static_selectorELNS0_4arch9wavefront6targetE1EEEvSL_, .Lfunc_end1461-_ZN7rocprim17ROCPRIM_400000_NS6detail17trampoline_kernelINS0_14default_configENS1_38merge_sort_block_merge_config_selectorI14custom_numericNS0_10empty_typeEEEZZNS1_27merge_sort_block_merge_implIS3_N6thrust23THRUST_200600_302600_NS6detail15normal_iteratorINSA_10device_ptrIS5_EEEEPS6_mNSA_4lessIS5_EEEE10hipError_tT0_T1_T2_jT3_P12ihipStream_tbPNSt15iterator_traitsISK_E10value_typeEPNSQ_ISL_E10value_typeEPSM_NS1_7vsmem_tEENKUlT_SK_SL_SM_E_clISF_PS5_SG_SG_EESJ_SZ_SK_SL_SM_EUlSZ_E1_NS1_11comp_targetILNS1_3genE9ELNS1_11target_archE1100ELNS1_3gpuE3ELNS1_3repE0EEENS1_36merge_oddeven_config_static_selectorELNS0_4arch9wavefront6targetE1EEEvSL_
                                        ; -- End function
	.section	.AMDGPU.csdata,"",@progbits
; Kernel info:
; codeLenInByte = 0
; NumSgprs: 4
; NumVgprs: 0
; NumAgprs: 0
; TotalNumVgprs: 0
; ScratchSize: 0
; MemoryBound: 0
; FloatMode: 240
; IeeeMode: 1
; LDSByteSize: 0 bytes/workgroup (compile time only)
; SGPRBlocks: 0
; VGPRBlocks: 0
; NumSGPRsForWavesPerEU: 4
; NumVGPRsForWavesPerEU: 1
; AccumOffset: 4
; Occupancy: 8
; WaveLimiterHint : 0
; COMPUTE_PGM_RSRC2:SCRATCH_EN: 0
; COMPUTE_PGM_RSRC2:USER_SGPR: 6
; COMPUTE_PGM_RSRC2:TRAP_HANDLER: 0
; COMPUTE_PGM_RSRC2:TGID_X_EN: 1
; COMPUTE_PGM_RSRC2:TGID_Y_EN: 0
; COMPUTE_PGM_RSRC2:TGID_Z_EN: 0
; COMPUTE_PGM_RSRC2:TIDIG_COMP_CNT: 0
; COMPUTE_PGM_RSRC3_GFX90A:ACCUM_OFFSET: 0
; COMPUTE_PGM_RSRC3_GFX90A:TG_SPLIT: 0
	.section	.text._ZN7rocprim17ROCPRIM_400000_NS6detail17trampoline_kernelINS0_14default_configENS1_38merge_sort_block_merge_config_selectorI14custom_numericNS0_10empty_typeEEEZZNS1_27merge_sort_block_merge_implIS3_N6thrust23THRUST_200600_302600_NS6detail15normal_iteratorINSA_10device_ptrIS5_EEEEPS6_mNSA_4lessIS5_EEEE10hipError_tT0_T1_T2_jT3_P12ihipStream_tbPNSt15iterator_traitsISK_E10value_typeEPNSQ_ISL_E10value_typeEPSM_NS1_7vsmem_tEENKUlT_SK_SL_SM_E_clISF_PS5_SG_SG_EESJ_SZ_SK_SL_SM_EUlSZ_E1_NS1_11comp_targetILNS1_3genE8ELNS1_11target_archE1030ELNS1_3gpuE2ELNS1_3repE0EEENS1_36merge_oddeven_config_static_selectorELNS0_4arch9wavefront6targetE1EEEvSL_,"axG",@progbits,_ZN7rocprim17ROCPRIM_400000_NS6detail17trampoline_kernelINS0_14default_configENS1_38merge_sort_block_merge_config_selectorI14custom_numericNS0_10empty_typeEEEZZNS1_27merge_sort_block_merge_implIS3_N6thrust23THRUST_200600_302600_NS6detail15normal_iteratorINSA_10device_ptrIS5_EEEEPS6_mNSA_4lessIS5_EEEE10hipError_tT0_T1_T2_jT3_P12ihipStream_tbPNSt15iterator_traitsISK_E10value_typeEPNSQ_ISL_E10value_typeEPSM_NS1_7vsmem_tEENKUlT_SK_SL_SM_E_clISF_PS5_SG_SG_EESJ_SZ_SK_SL_SM_EUlSZ_E1_NS1_11comp_targetILNS1_3genE8ELNS1_11target_archE1030ELNS1_3gpuE2ELNS1_3repE0EEENS1_36merge_oddeven_config_static_selectorELNS0_4arch9wavefront6targetE1EEEvSL_,comdat
	.protected	_ZN7rocprim17ROCPRIM_400000_NS6detail17trampoline_kernelINS0_14default_configENS1_38merge_sort_block_merge_config_selectorI14custom_numericNS0_10empty_typeEEEZZNS1_27merge_sort_block_merge_implIS3_N6thrust23THRUST_200600_302600_NS6detail15normal_iteratorINSA_10device_ptrIS5_EEEEPS6_mNSA_4lessIS5_EEEE10hipError_tT0_T1_T2_jT3_P12ihipStream_tbPNSt15iterator_traitsISK_E10value_typeEPNSQ_ISL_E10value_typeEPSM_NS1_7vsmem_tEENKUlT_SK_SL_SM_E_clISF_PS5_SG_SG_EESJ_SZ_SK_SL_SM_EUlSZ_E1_NS1_11comp_targetILNS1_3genE8ELNS1_11target_archE1030ELNS1_3gpuE2ELNS1_3repE0EEENS1_36merge_oddeven_config_static_selectorELNS0_4arch9wavefront6targetE1EEEvSL_ ; -- Begin function _ZN7rocprim17ROCPRIM_400000_NS6detail17trampoline_kernelINS0_14default_configENS1_38merge_sort_block_merge_config_selectorI14custom_numericNS0_10empty_typeEEEZZNS1_27merge_sort_block_merge_implIS3_N6thrust23THRUST_200600_302600_NS6detail15normal_iteratorINSA_10device_ptrIS5_EEEEPS6_mNSA_4lessIS5_EEEE10hipError_tT0_T1_T2_jT3_P12ihipStream_tbPNSt15iterator_traitsISK_E10value_typeEPNSQ_ISL_E10value_typeEPSM_NS1_7vsmem_tEENKUlT_SK_SL_SM_E_clISF_PS5_SG_SG_EESJ_SZ_SK_SL_SM_EUlSZ_E1_NS1_11comp_targetILNS1_3genE8ELNS1_11target_archE1030ELNS1_3gpuE2ELNS1_3repE0EEENS1_36merge_oddeven_config_static_selectorELNS0_4arch9wavefront6targetE1EEEvSL_
	.globl	_ZN7rocprim17ROCPRIM_400000_NS6detail17trampoline_kernelINS0_14default_configENS1_38merge_sort_block_merge_config_selectorI14custom_numericNS0_10empty_typeEEEZZNS1_27merge_sort_block_merge_implIS3_N6thrust23THRUST_200600_302600_NS6detail15normal_iteratorINSA_10device_ptrIS5_EEEEPS6_mNSA_4lessIS5_EEEE10hipError_tT0_T1_T2_jT3_P12ihipStream_tbPNSt15iterator_traitsISK_E10value_typeEPNSQ_ISL_E10value_typeEPSM_NS1_7vsmem_tEENKUlT_SK_SL_SM_E_clISF_PS5_SG_SG_EESJ_SZ_SK_SL_SM_EUlSZ_E1_NS1_11comp_targetILNS1_3genE8ELNS1_11target_archE1030ELNS1_3gpuE2ELNS1_3repE0EEENS1_36merge_oddeven_config_static_selectorELNS0_4arch9wavefront6targetE1EEEvSL_
	.p2align	8
	.type	_ZN7rocprim17ROCPRIM_400000_NS6detail17trampoline_kernelINS0_14default_configENS1_38merge_sort_block_merge_config_selectorI14custom_numericNS0_10empty_typeEEEZZNS1_27merge_sort_block_merge_implIS3_N6thrust23THRUST_200600_302600_NS6detail15normal_iteratorINSA_10device_ptrIS5_EEEEPS6_mNSA_4lessIS5_EEEE10hipError_tT0_T1_T2_jT3_P12ihipStream_tbPNSt15iterator_traitsISK_E10value_typeEPNSQ_ISL_E10value_typeEPSM_NS1_7vsmem_tEENKUlT_SK_SL_SM_E_clISF_PS5_SG_SG_EESJ_SZ_SK_SL_SM_EUlSZ_E1_NS1_11comp_targetILNS1_3genE8ELNS1_11target_archE1030ELNS1_3gpuE2ELNS1_3repE0EEENS1_36merge_oddeven_config_static_selectorELNS0_4arch9wavefront6targetE1EEEvSL_,@function
_ZN7rocprim17ROCPRIM_400000_NS6detail17trampoline_kernelINS0_14default_configENS1_38merge_sort_block_merge_config_selectorI14custom_numericNS0_10empty_typeEEEZZNS1_27merge_sort_block_merge_implIS3_N6thrust23THRUST_200600_302600_NS6detail15normal_iteratorINSA_10device_ptrIS5_EEEEPS6_mNSA_4lessIS5_EEEE10hipError_tT0_T1_T2_jT3_P12ihipStream_tbPNSt15iterator_traitsISK_E10value_typeEPNSQ_ISL_E10value_typeEPSM_NS1_7vsmem_tEENKUlT_SK_SL_SM_E_clISF_PS5_SG_SG_EESJ_SZ_SK_SL_SM_EUlSZ_E1_NS1_11comp_targetILNS1_3genE8ELNS1_11target_archE1030ELNS1_3gpuE2ELNS1_3repE0EEENS1_36merge_oddeven_config_static_selectorELNS0_4arch9wavefront6targetE1EEEvSL_: ; @_ZN7rocprim17ROCPRIM_400000_NS6detail17trampoline_kernelINS0_14default_configENS1_38merge_sort_block_merge_config_selectorI14custom_numericNS0_10empty_typeEEEZZNS1_27merge_sort_block_merge_implIS3_N6thrust23THRUST_200600_302600_NS6detail15normal_iteratorINSA_10device_ptrIS5_EEEEPS6_mNSA_4lessIS5_EEEE10hipError_tT0_T1_T2_jT3_P12ihipStream_tbPNSt15iterator_traitsISK_E10value_typeEPNSQ_ISL_E10value_typeEPSM_NS1_7vsmem_tEENKUlT_SK_SL_SM_E_clISF_PS5_SG_SG_EESJ_SZ_SK_SL_SM_EUlSZ_E1_NS1_11comp_targetILNS1_3genE8ELNS1_11target_archE1030ELNS1_3gpuE2ELNS1_3repE0EEENS1_36merge_oddeven_config_static_selectorELNS0_4arch9wavefront6targetE1EEEvSL_
; %bb.0:
	.section	.rodata,"a",@progbits
	.p2align	6, 0x0
	.amdhsa_kernel _ZN7rocprim17ROCPRIM_400000_NS6detail17trampoline_kernelINS0_14default_configENS1_38merge_sort_block_merge_config_selectorI14custom_numericNS0_10empty_typeEEEZZNS1_27merge_sort_block_merge_implIS3_N6thrust23THRUST_200600_302600_NS6detail15normal_iteratorINSA_10device_ptrIS5_EEEEPS6_mNSA_4lessIS5_EEEE10hipError_tT0_T1_T2_jT3_P12ihipStream_tbPNSt15iterator_traitsISK_E10value_typeEPNSQ_ISL_E10value_typeEPSM_NS1_7vsmem_tEENKUlT_SK_SL_SM_E_clISF_PS5_SG_SG_EESJ_SZ_SK_SL_SM_EUlSZ_E1_NS1_11comp_targetILNS1_3genE8ELNS1_11target_archE1030ELNS1_3gpuE2ELNS1_3repE0EEENS1_36merge_oddeven_config_static_selectorELNS0_4arch9wavefront6targetE1EEEvSL_
		.amdhsa_group_segment_fixed_size 0
		.amdhsa_private_segment_fixed_size 0
		.amdhsa_kernarg_size 56
		.amdhsa_user_sgpr_count 6
		.amdhsa_user_sgpr_private_segment_buffer 1
		.amdhsa_user_sgpr_dispatch_ptr 0
		.amdhsa_user_sgpr_queue_ptr 0
		.amdhsa_user_sgpr_kernarg_segment_ptr 1
		.amdhsa_user_sgpr_dispatch_id 0
		.amdhsa_user_sgpr_flat_scratch_init 0
		.amdhsa_user_sgpr_kernarg_preload_length 0
		.amdhsa_user_sgpr_kernarg_preload_offset 0
		.amdhsa_user_sgpr_private_segment_size 0
		.amdhsa_uses_dynamic_stack 0
		.amdhsa_system_sgpr_private_segment_wavefront_offset 0
		.amdhsa_system_sgpr_workgroup_id_x 1
		.amdhsa_system_sgpr_workgroup_id_y 0
		.amdhsa_system_sgpr_workgroup_id_z 0
		.amdhsa_system_sgpr_workgroup_info 0
		.amdhsa_system_vgpr_workitem_id 0
		.amdhsa_next_free_vgpr 1
		.amdhsa_next_free_sgpr 0
		.amdhsa_accum_offset 4
		.amdhsa_reserve_vcc 0
		.amdhsa_reserve_flat_scratch 0
		.amdhsa_float_round_mode_32 0
		.amdhsa_float_round_mode_16_64 0
		.amdhsa_float_denorm_mode_32 3
		.amdhsa_float_denorm_mode_16_64 3
		.amdhsa_dx10_clamp 1
		.amdhsa_ieee_mode 1
		.amdhsa_fp16_overflow 0
		.amdhsa_tg_split 0
		.amdhsa_exception_fp_ieee_invalid_op 0
		.amdhsa_exception_fp_denorm_src 0
		.amdhsa_exception_fp_ieee_div_zero 0
		.amdhsa_exception_fp_ieee_overflow 0
		.amdhsa_exception_fp_ieee_underflow 0
		.amdhsa_exception_fp_ieee_inexact 0
		.amdhsa_exception_int_div_zero 0
	.end_amdhsa_kernel
	.section	.text._ZN7rocprim17ROCPRIM_400000_NS6detail17trampoline_kernelINS0_14default_configENS1_38merge_sort_block_merge_config_selectorI14custom_numericNS0_10empty_typeEEEZZNS1_27merge_sort_block_merge_implIS3_N6thrust23THRUST_200600_302600_NS6detail15normal_iteratorINSA_10device_ptrIS5_EEEEPS6_mNSA_4lessIS5_EEEE10hipError_tT0_T1_T2_jT3_P12ihipStream_tbPNSt15iterator_traitsISK_E10value_typeEPNSQ_ISL_E10value_typeEPSM_NS1_7vsmem_tEENKUlT_SK_SL_SM_E_clISF_PS5_SG_SG_EESJ_SZ_SK_SL_SM_EUlSZ_E1_NS1_11comp_targetILNS1_3genE8ELNS1_11target_archE1030ELNS1_3gpuE2ELNS1_3repE0EEENS1_36merge_oddeven_config_static_selectorELNS0_4arch9wavefront6targetE1EEEvSL_,"axG",@progbits,_ZN7rocprim17ROCPRIM_400000_NS6detail17trampoline_kernelINS0_14default_configENS1_38merge_sort_block_merge_config_selectorI14custom_numericNS0_10empty_typeEEEZZNS1_27merge_sort_block_merge_implIS3_N6thrust23THRUST_200600_302600_NS6detail15normal_iteratorINSA_10device_ptrIS5_EEEEPS6_mNSA_4lessIS5_EEEE10hipError_tT0_T1_T2_jT3_P12ihipStream_tbPNSt15iterator_traitsISK_E10value_typeEPNSQ_ISL_E10value_typeEPSM_NS1_7vsmem_tEENKUlT_SK_SL_SM_E_clISF_PS5_SG_SG_EESJ_SZ_SK_SL_SM_EUlSZ_E1_NS1_11comp_targetILNS1_3genE8ELNS1_11target_archE1030ELNS1_3gpuE2ELNS1_3repE0EEENS1_36merge_oddeven_config_static_selectorELNS0_4arch9wavefront6targetE1EEEvSL_,comdat
.Lfunc_end1462:
	.size	_ZN7rocprim17ROCPRIM_400000_NS6detail17trampoline_kernelINS0_14default_configENS1_38merge_sort_block_merge_config_selectorI14custom_numericNS0_10empty_typeEEEZZNS1_27merge_sort_block_merge_implIS3_N6thrust23THRUST_200600_302600_NS6detail15normal_iteratorINSA_10device_ptrIS5_EEEEPS6_mNSA_4lessIS5_EEEE10hipError_tT0_T1_T2_jT3_P12ihipStream_tbPNSt15iterator_traitsISK_E10value_typeEPNSQ_ISL_E10value_typeEPSM_NS1_7vsmem_tEENKUlT_SK_SL_SM_E_clISF_PS5_SG_SG_EESJ_SZ_SK_SL_SM_EUlSZ_E1_NS1_11comp_targetILNS1_3genE8ELNS1_11target_archE1030ELNS1_3gpuE2ELNS1_3repE0EEENS1_36merge_oddeven_config_static_selectorELNS0_4arch9wavefront6targetE1EEEvSL_, .Lfunc_end1462-_ZN7rocprim17ROCPRIM_400000_NS6detail17trampoline_kernelINS0_14default_configENS1_38merge_sort_block_merge_config_selectorI14custom_numericNS0_10empty_typeEEEZZNS1_27merge_sort_block_merge_implIS3_N6thrust23THRUST_200600_302600_NS6detail15normal_iteratorINSA_10device_ptrIS5_EEEEPS6_mNSA_4lessIS5_EEEE10hipError_tT0_T1_T2_jT3_P12ihipStream_tbPNSt15iterator_traitsISK_E10value_typeEPNSQ_ISL_E10value_typeEPSM_NS1_7vsmem_tEENKUlT_SK_SL_SM_E_clISF_PS5_SG_SG_EESJ_SZ_SK_SL_SM_EUlSZ_E1_NS1_11comp_targetILNS1_3genE8ELNS1_11target_archE1030ELNS1_3gpuE2ELNS1_3repE0EEENS1_36merge_oddeven_config_static_selectorELNS0_4arch9wavefront6targetE1EEEvSL_
                                        ; -- End function
	.section	.AMDGPU.csdata,"",@progbits
; Kernel info:
; codeLenInByte = 0
; NumSgprs: 4
; NumVgprs: 0
; NumAgprs: 0
; TotalNumVgprs: 0
; ScratchSize: 0
; MemoryBound: 0
; FloatMode: 240
; IeeeMode: 1
; LDSByteSize: 0 bytes/workgroup (compile time only)
; SGPRBlocks: 0
; VGPRBlocks: 0
; NumSGPRsForWavesPerEU: 4
; NumVGPRsForWavesPerEU: 1
; AccumOffset: 4
; Occupancy: 8
; WaveLimiterHint : 0
; COMPUTE_PGM_RSRC2:SCRATCH_EN: 0
; COMPUTE_PGM_RSRC2:USER_SGPR: 6
; COMPUTE_PGM_RSRC2:TRAP_HANDLER: 0
; COMPUTE_PGM_RSRC2:TGID_X_EN: 1
; COMPUTE_PGM_RSRC2:TGID_Y_EN: 0
; COMPUTE_PGM_RSRC2:TGID_Z_EN: 0
; COMPUTE_PGM_RSRC2:TIDIG_COMP_CNT: 0
; COMPUTE_PGM_RSRC3_GFX90A:ACCUM_OFFSET: 0
; COMPUTE_PGM_RSRC3_GFX90A:TG_SPLIT: 0
	.section	.text._ZN7rocprim17ROCPRIM_400000_NS6detail17trampoline_kernelINS0_14default_configENS1_25transform_config_selectorI14custom_numericLb0EEEZNS1_14transform_implILb0ES3_S6_PS5_N6thrust23THRUST_200600_302600_NS6detail15normal_iteratorINSA_10device_ptrIS5_EEEENS0_8identityIS5_EEEE10hipError_tT2_T3_mT4_P12ihipStream_tbEUlT_E_NS1_11comp_targetILNS1_3genE0ELNS1_11target_archE4294967295ELNS1_3gpuE0ELNS1_3repE0EEENS1_30default_config_static_selectorELNS0_4arch9wavefront6targetE1EEEvT1_,"axG",@progbits,_ZN7rocprim17ROCPRIM_400000_NS6detail17trampoline_kernelINS0_14default_configENS1_25transform_config_selectorI14custom_numericLb0EEEZNS1_14transform_implILb0ES3_S6_PS5_N6thrust23THRUST_200600_302600_NS6detail15normal_iteratorINSA_10device_ptrIS5_EEEENS0_8identityIS5_EEEE10hipError_tT2_T3_mT4_P12ihipStream_tbEUlT_E_NS1_11comp_targetILNS1_3genE0ELNS1_11target_archE4294967295ELNS1_3gpuE0ELNS1_3repE0EEENS1_30default_config_static_selectorELNS0_4arch9wavefront6targetE1EEEvT1_,comdat
	.protected	_ZN7rocprim17ROCPRIM_400000_NS6detail17trampoline_kernelINS0_14default_configENS1_25transform_config_selectorI14custom_numericLb0EEEZNS1_14transform_implILb0ES3_S6_PS5_N6thrust23THRUST_200600_302600_NS6detail15normal_iteratorINSA_10device_ptrIS5_EEEENS0_8identityIS5_EEEE10hipError_tT2_T3_mT4_P12ihipStream_tbEUlT_E_NS1_11comp_targetILNS1_3genE0ELNS1_11target_archE4294967295ELNS1_3gpuE0ELNS1_3repE0EEENS1_30default_config_static_selectorELNS0_4arch9wavefront6targetE1EEEvT1_ ; -- Begin function _ZN7rocprim17ROCPRIM_400000_NS6detail17trampoline_kernelINS0_14default_configENS1_25transform_config_selectorI14custom_numericLb0EEEZNS1_14transform_implILb0ES3_S6_PS5_N6thrust23THRUST_200600_302600_NS6detail15normal_iteratorINSA_10device_ptrIS5_EEEENS0_8identityIS5_EEEE10hipError_tT2_T3_mT4_P12ihipStream_tbEUlT_E_NS1_11comp_targetILNS1_3genE0ELNS1_11target_archE4294967295ELNS1_3gpuE0ELNS1_3repE0EEENS1_30default_config_static_selectorELNS0_4arch9wavefront6targetE1EEEvT1_
	.globl	_ZN7rocprim17ROCPRIM_400000_NS6detail17trampoline_kernelINS0_14default_configENS1_25transform_config_selectorI14custom_numericLb0EEEZNS1_14transform_implILb0ES3_S6_PS5_N6thrust23THRUST_200600_302600_NS6detail15normal_iteratorINSA_10device_ptrIS5_EEEENS0_8identityIS5_EEEE10hipError_tT2_T3_mT4_P12ihipStream_tbEUlT_E_NS1_11comp_targetILNS1_3genE0ELNS1_11target_archE4294967295ELNS1_3gpuE0ELNS1_3repE0EEENS1_30default_config_static_selectorELNS0_4arch9wavefront6targetE1EEEvT1_
	.p2align	8
	.type	_ZN7rocprim17ROCPRIM_400000_NS6detail17trampoline_kernelINS0_14default_configENS1_25transform_config_selectorI14custom_numericLb0EEEZNS1_14transform_implILb0ES3_S6_PS5_N6thrust23THRUST_200600_302600_NS6detail15normal_iteratorINSA_10device_ptrIS5_EEEENS0_8identityIS5_EEEE10hipError_tT2_T3_mT4_P12ihipStream_tbEUlT_E_NS1_11comp_targetILNS1_3genE0ELNS1_11target_archE4294967295ELNS1_3gpuE0ELNS1_3repE0EEENS1_30default_config_static_selectorELNS0_4arch9wavefront6targetE1EEEvT1_,@function
_ZN7rocprim17ROCPRIM_400000_NS6detail17trampoline_kernelINS0_14default_configENS1_25transform_config_selectorI14custom_numericLb0EEEZNS1_14transform_implILb0ES3_S6_PS5_N6thrust23THRUST_200600_302600_NS6detail15normal_iteratorINSA_10device_ptrIS5_EEEENS0_8identityIS5_EEEE10hipError_tT2_T3_mT4_P12ihipStream_tbEUlT_E_NS1_11comp_targetILNS1_3genE0ELNS1_11target_archE4294967295ELNS1_3gpuE0ELNS1_3repE0EEENS1_30default_config_static_selectorELNS0_4arch9wavefront6targetE1EEEvT1_: ; @_ZN7rocprim17ROCPRIM_400000_NS6detail17trampoline_kernelINS0_14default_configENS1_25transform_config_selectorI14custom_numericLb0EEEZNS1_14transform_implILb0ES3_S6_PS5_N6thrust23THRUST_200600_302600_NS6detail15normal_iteratorINSA_10device_ptrIS5_EEEENS0_8identityIS5_EEEE10hipError_tT2_T3_mT4_P12ihipStream_tbEUlT_E_NS1_11comp_targetILNS1_3genE0ELNS1_11target_archE4294967295ELNS1_3gpuE0ELNS1_3repE0EEENS1_30default_config_static_selectorELNS0_4arch9wavefront6targetE1EEEvT1_
; %bb.0:
	.section	.rodata,"a",@progbits
	.p2align	6, 0x0
	.amdhsa_kernel _ZN7rocprim17ROCPRIM_400000_NS6detail17trampoline_kernelINS0_14default_configENS1_25transform_config_selectorI14custom_numericLb0EEEZNS1_14transform_implILb0ES3_S6_PS5_N6thrust23THRUST_200600_302600_NS6detail15normal_iteratorINSA_10device_ptrIS5_EEEENS0_8identityIS5_EEEE10hipError_tT2_T3_mT4_P12ihipStream_tbEUlT_E_NS1_11comp_targetILNS1_3genE0ELNS1_11target_archE4294967295ELNS1_3gpuE0ELNS1_3repE0EEENS1_30default_config_static_selectorELNS0_4arch9wavefront6targetE1EEEvT1_
		.amdhsa_group_segment_fixed_size 0
		.amdhsa_private_segment_fixed_size 0
		.amdhsa_kernarg_size 40
		.amdhsa_user_sgpr_count 6
		.amdhsa_user_sgpr_private_segment_buffer 1
		.amdhsa_user_sgpr_dispatch_ptr 0
		.amdhsa_user_sgpr_queue_ptr 0
		.amdhsa_user_sgpr_kernarg_segment_ptr 1
		.amdhsa_user_sgpr_dispatch_id 0
		.amdhsa_user_sgpr_flat_scratch_init 0
		.amdhsa_user_sgpr_kernarg_preload_length 0
		.amdhsa_user_sgpr_kernarg_preload_offset 0
		.amdhsa_user_sgpr_private_segment_size 0
		.amdhsa_uses_dynamic_stack 0
		.amdhsa_system_sgpr_private_segment_wavefront_offset 0
		.amdhsa_system_sgpr_workgroup_id_x 1
		.amdhsa_system_sgpr_workgroup_id_y 0
		.amdhsa_system_sgpr_workgroup_id_z 0
		.amdhsa_system_sgpr_workgroup_info 0
		.amdhsa_system_vgpr_workitem_id 0
		.amdhsa_next_free_vgpr 1
		.amdhsa_next_free_sgpr 0
		.amdhsa_accum_offset 4
		.amdhsa_reserve_vcc 0
		.amdhsa_reserve_flat_scratch 0
		.amdhsa_float_round_mode_32 0
		.amdhsa_float_round_mode_16_64 0
		.amdhsa_float_denorm_mode_32 3
		.amdhsa_float_denorm_mode_16_64 3
		.amdhsa_dx10_clamp 1
		.amdhsa_ieee_mode 1
		.amdhsa_fp16_overflow 0
		.amdhsa_tg_split 0
		.amdhsa_exception_fp_ieee_invalid_op 0
		.amdhsa_exception_fp_denorm_src 0
		.amdhsa_exception_fp_ieee_div_zero 0
		.amdhsa_exception_fp_ieee_overflow 0
		.amdhsa_exception_fp_ieee_underflow 0
		.amdhsa_exception_fp_ieee_inexact 0
		.amdhsa_exception_int_div_zero 0
	.end_amdhsa_kernel
	.section	.text._ZN7rocprim17ROCPRIM_400000_NS6detail17trampoline_kernelINS0_14default_configENS1_25transform_config_selectorI14custom_numericLb0EEEZNS1_14transform_implILb0ES3_S6_PS5_N6thrust23THRUST_200600_302600_NS6detail15normal_iteratorINSA_10device_ptrIS5_EEEENS0_8identityIS5_EEEE10hipError_tT2_T3_mT4_P12ihipStream_tbEUlT_E_NS1_11comp_targetILNS1_3genE0ELNS1_11target_archE4294967295ELNS1_3gpuE0ELNS1_3repE0EEENS1_30default_config_static_selectorELNS0_4arch9wavefront6targetE1EEEvT1_,"axG",@progbits,_ZN7rocprim17ROCPRIM_400000_NS6detail17trampoline_kernelINS0_14default_configENS1_25transform_config_selectorI14custom_numericLb0EEEZNS1_14transform_implILb0ES3_S6_PS5_N6thrust23THRUST_200600_302600_NS6detail15normal_iteratorINSA_10device_ptrIS5_EEEENS0_8identityIS5_EEEE10hipError_tT2_T3_mT4_P12ihipStream_tbEUlT_E_NS1_11comp_targetILNS1_3genE0ELNS1_11target_archE4294967295ELNS1_3gpuE0ELNS1_3repE0EEENS1_30default_config_static_selectorELNS0_4arch9wavefront6targetE1EEEvT1_,comdat
.Lfunc_end1463:
	.size	_ZN7rocprim17ROCPRIM_400000_NS6detail17trampoline_kernelINS0_14default_configENS1_25transform_config_selectorI14custom_numericLb0EEEZNS1_14transform_implILb0ES3_S6_PS5_N6thrust23THRUST_200600_302600_NS6detail15normal_iteratorINSA_10device_ptrIS5_EEEENS0_8identityIS5_EEEE10hipError_tT2_T3_mT4_P12ihipStream_tbEUlT_E_NS1_11comp_targetILNS1_3genE0ELNS1_11target_archE4294967295ELNS1_3gpuE0ELNS1_3repE0EEENS1_30default_config_static_selectorELNS0_4arch9wavefront6targetE1EEEvT1_, .Lfunc_end1463-_ZN7rocprim17ROCPRIM_400000_NS6detail17trampoline_kernelINS0_14default_configENS1_25transform_config_selectorI14custom_numericLb0EEEZNS1_14transform_implILb0ES3_S6_PS5_N6thrust23THRUST_200600_302600_NS6detail15normal_iteratorINSA_10device_ptrIS5_EEEENS0_8identityIS5_EEEE10hipError_tT2_T3_mT4_P12ihipStream_tbEUlT_E_NS1_11comp_targetILNS1_3genE0ELNS1_11target_archE4294967295ELNS1_3gpuE0ELNS1_3repE0EEENS1_30default_config_static_selectorELNS0_4arch9wavefront6targetE1EEEvT1_
                                        ; -- End function
	.section	.AMDGPU.csdata,"",@progbits
; Kernel info:
; codeLenInByte = 0
; NumSgprs: 4
; NumVgprs: 0
; NumAgprs: 0
; TotalNumVgprs: 0
; ScratchSize: 0
; MemoryBound: 0
; FloatMode: 240
; IeeeMode: 1
; LDSByteSize: 0 bytes/workgroup (compile time only)
; SGPRBlocks: 0
; VGPRBlocks: 0
; NumSGPRsForWavesPerEU: 4
; NumVGPRsForWavesPerEU: 1
; AccumOffset: 4
; Occupancy: 8
; WaveLimiterHint : 0
; COMPUTE_PGM_RSRC2:SCRATCH_EN: 0
; COMPUTE_PGM_RSRC2:USER_SGPR: 6
; COMPUTE_PGM_RSRC2:TRAP_HANDLER: 0
; COMPUTE_PGM_RSRC2:TGID_X_EN: 1
; COMPUTE_PGM_RSRC2:TGID_Y_EN: 0
; COMPUTE_PGM_RSRC2:TGID_Z_EN: 0
; COMPUTE_PGM_RSRC2:TIDIG_COMP_CNT: 0
; COMPUTE_PGM_RSRC3_GFX90A:ACCUM_OFFSET: 0
; COMPUTE_PGM_RSRC3_GFX90A:TG_SPLIT: 0
	.section	.text._ZN7rocprim17ROCPRIM_400000_NS6detail17trampoline_kernelINS0_14default_configENS1_25transform_config_selectorI14custom_numericLb0EEEZNS1_14transform_implILb0ES3_S6_PS5_N6thrust23THRUST_200600_302600_NS6detail15normal_iteratorINSA_10device_ptrIS5_EEEENS0_8identityIS5_EEEE10hipError_tT2_T3_mT4_P12ihipStream_tbEUlT_E_NS1_11comp_targetILNS1_3genE5ELNS1_11target_archE942ELNS1_3gpuE9ELNS1_3repE0EEENS1_30default_config_static_selectorELNS0_4arch9wavefront6targetE1EEEvT1_,"axG",@progbits,_ZN7rocprim17ROCPRIM_400000_NS6detail17trampoline_kernelINS0_14default_configENS1_25transform_config_selectorI14custom_numericLb0EEEZNS1_14transform_implILb0ES3_S6_PS5_N6thrust23THRUST_200600_302600_NS6detail15normal_iteratorINSA_10device_ptrIS5_EEEENS0_8identityIS5_EEEE10hipError_tT2_T3_mT4_P12ihipStream_tbEUlT_E_NS1_11comp_targetILNS1_3genE5ELNS1_11target_archE942ELNS1_3gpuE9ELNS1_3repE0EEENS1_30default_config_static_selectorELNS0_4arch9wavefront6targetE1EEEvT1_,comdat
	.protected	_ZN7rocprim17ROCPRIM_400000_NS6detail17trampoline_kernelINS0_14default_configENS1_25transform_config_selectorI14custom_numericLb0EEEZNS1_14transform_implILb0ES3_S6_PS5_N6thrust23THRUST_200600_302600_NS6detail15normal_iteratorINSA_10device_ptrIS5_EEEENS0_8identityIS5_EEEE10hipError_tT2_T3_mT4_P12ihipStream_tbEUlT_E_NS1_11comp_targetILNS1_3genE5ELNS1_11target_archE942ELNS1_3gpuE9ELNS1_3repE0EEENS1_30default_config_static_selectorELNS0_4arch9wavefront6targetE1EEEvT1_ ; -- Begin function _ZN7rocprim17ROCPRIM_400000_NS6detail17trampoline_kernelINS0_14default_configENS1_25transform_config_selectorI14custom_numericLb0EEEZNS1_14transform_implILb0ES3_S6_PS5_N6thrust23THRUST_200600_302600_NS6detail15normal_iteratorINSA_10device_ptrIS5_EEEENS0_8identityIS5_EEEE10hipError_tT2_T3_mT4_P12ihipStream_tbEUlT_E_NS1_11comp_targetILNS1_3genE5ELNS1_11target_archE942ELNS1_3gpuE9ELNS1_3repE0EEENS1_30default_config_static_selectorELNS0_4arch9wavefront6targetE1EEEvT1_
	.globl	_ZN7rocprim17ROCPRIM_400000_NS6detail17trampoline_kernelINS0_14default_configENS1_25transform_config_selectorI14custom_numericLb0EEEZNS1_14transform_implILb0ES3_S6_PS5_N6thrust23THRUST_200600_302600_NS6detail15normal_iteratorINSA_10device_ptrIS5_EEEENS0_8identityIS5_EEEE10hipError_tT2_T3_mT4_P12ihipStream_tbEUlT_E_NS1_11comp_targetILNS1_3genE5ELNS1_11target_archE942ELNS1_3gpuE9ELNS1_3repE0EEENS1_30default_config_static_selectorELNS0_4arch9wavefront6targetE1EEEvT1_
	.p2align	8
	.type	_ZN7rocprim17ROCPRIM_400000_NS6detail17trampoline_kernelINS0_14default_configENS1_25transform_config_selectorI14custom_numericLb0EEEZNS1_14transform_implILb0ES3_S6_PS5_N6thrust23THRUST_200600_302600_NS6detail15normal_iteratorINSA_10device_ptrIS5_EEEENS0_8identityIS5_EEEE10hipError_tT2_T3_mT4_P12ihipStream_tbEUlT_E_NS1_11comp_targetILNS1_3genE5ELNS1_11target_archE942ELNS1_3gpuE9ELNS1_3repE0EEENS1_30default_config_static_selectorELNS0_4arch9wavefront6targetE1EEEvT1_,@function
_ZN7rocprim17ROCPRIM_400000_NS6detail17trampoline_kernelINS0_14default_configENS1_25transform_config_selectorI14custom_numericLb0EEEZNS1_14transform_implILb0ES3_S6_PS5_N6thrust23THRUST_200600_302600_NS6detail15normal_iteratorINSA_10device_ptrIS5_EEEENS0_8identityIS5_EEEE10hipError_tT2_T3_mT4_P12ihipStream_tbEUlT_E_NS1_11comp_targetILNS1_3genE5ELNS1_11target_archE942ELNS1_3gpuE9ELNS1_3repE0EEENS1_30default_config_static_selectorELNS0_4arch9wavefront6targetE1EEEvT1_: ; @_ZN7rocprim17ROCPRIM_400000_NS6detail17trampoline_kernelINS0_14default_configENS1_25transform_config_selectorI14custom_numericLb0EEEZNS1_14transform_implILb0ES3_S6_PS5_N6thrust23THRUST_200600_302600_NS6detail15normal_iteratorINSA_10device_ptrIS5_EEEENS0_8identityIS5_EEEE10hipError_tT2_T3_mT4_P12ihipStream_tbEUlT_E_NS1_11comp_targetILNS1_3genE5ELNS1_11target_archE942ELNS1_3gpuE9ELNS1_3repE0EEENS1_30default_config_static_selectorELNS0_4arch9wavefront6targetE1EEEvT1_
; %bb.0:
	.section	.rodata,"a",@progbits
	.p2align	6, 0x0
	.amdhsa_kernel _ZN7rocprim17ROCPRIM_400000_NS6detail17trampoline_kernelINS0_14default_configENS1_25transform_config_selectorI14custom_numericLb0EEEZNS1_14transform_implILb0ES3_S6_PS5_N6thrust23THRUST_200600_302600_NS6detail15normal_iteratorINSA_10device_ptrIS5_EEEENS0_8identityIS5_EEEE10hipError_tT2_T3_mT4_P12ihipStream_tbEUlT_E_NS1_11comp_targetILNS1_3genE5ELNS1_11target_archE942ELNS1_3gpuE9ELNS1_3repE0EEENS1_30default_config_static_selectorELNS0_4arch9wavefront6targetE1EEEvT1_
		.amdhsa_group_segment_fixed_size 0
		.amdhsa_private_segment_fixed_size 0
		.amdhsa_kernarg_size 40
		.amdhsa_user_sgpr_count 6
		.amdhsa_user_sgpr_private_segment_buffer 1
		.amdhsa_user_sgpr_dispatch_ptr 0
		.amdhsa_user_sgpr_queue_ptr 0
		.amdhsa_user_sgpr_kernarg_segment_ptr 1
		.amdhsa_user_sgpr_dispatch_id 0
		.amdhsa_user_sgpr_flat_scratch_init 0
		.amdhsa_user_sgpr_kernarg_preload_length 0
		.amdhsa_user_sgpr_kernarg_preload_offset 0
		.amdhsa_user_sgpr_private_segment_size 0
		.amdhsa_uses_dynamic_stack 0
		.amdhsa_system_sgpr_private_segment_wavefront_offset 0
		.amdhsa_system_sgpr_workgroup_id_x 1
		.amdhsa_system_sgpr_workgroup_id_y 0
		.amdhsa_system_sgpr_workgroup_id_z 0
		.amdhsa_system_sgpr_workgroup_info 0
		.amdhsa_system_vgpr_workitem_id 0
		.amdhsa_next_free_vgpr 1
		.amdhsa_next_free_sgpr 0
		.amdhsa_accum_offset 4
		.amdhsa_reserve_vcc 0
		.amdhsa_reserve_flat_scratch 0
		.amdhsa_float_round_mode_32 0
		.amdhsa_float_round_mode_16_64 0
		.amdhsa_float_denorm_mode_32 3
		.amdhsa_float_denorm_mode_16_64 3
		.amdhsa_dx10_clamp 1
		.amdhsa_ieee_mode 1
		.amdhsa_fp16_overflow 0
		.amdhsa_tg_split 0
		.amdhsa_exception_fp_ieee_invalid_op 0
		.amdhsa_exception_fp_denorm_src 0
		.amdhsa_exception_fp_ieee_div_zero 0
		.amdhsa_exception_fp_ieee_overflow 0
		.amdhsa_exception_fp_ieee_underflow 0
		.amdhsa_exception_fp_ieee_inexact 0
		.amdhsa_exception_int_div_zero 0
	.end_amdhsa_kernel
	.section	.text._ZN7rocprim17ROCPRIM_400000_NS6detail17trampoline_kernelINS0_14default_configENS1_25transform_config_selectorI14custom_numericLb0EEEZNS1_14transform_implILb0ES3_S6_PS5_N6thrust23THRUST_200600_302600_NS6detail15normal_iteratorINSA_10device_ptrIS5_EEEENS0_8identityIS5_EEEE10hipError_tT2_T3_mT4_P12ihipStream_tbEUlT_E_NS1_11comp_targetILNS1_3genE5ELNS1_11target_archE942ELNS1_3gpuE9ELNS1_3repE0EEENS1_30default_config_static_selectorELNS0_4arch9wavefront6targetE1EEEvT1_,"axG",@progbits,_ZN7rocprim17ROCPRIM_400000_NS6detail17trampoline_kernelINS0_14default_configENS1_25transform_config_selectorI14custom_numericLb0EEEZNS1_14transform_implILb0ES3_S6_PS5_N6thrust23THRUST_200600_302600_NS6detail15normal_iteratorINSA_10device_ptrIS5_EEEENS0_8identityIS5_EEEE10hipError_tT2_T3_mT4_P12ihipStream_tbEUlT_E_NS1_11comp_targetILNS1_3genE5ELNS1_11target_archE942ELNS1_3gpuE9ELNS1_3repE0EEENS1_30default_config_static_selectorELNS0_4arch9wavefront6targetE1EEEvT1_,comdat
.Lfunc_end1464:
	.size	_ZN7rocprim17ROCPRIM_400000_NS6detail17trampoline_kernelINS0_14default_configENS1_25transform_config_selectorI14custom_numericLb0EEEZNS1_14transform_implILb0ES3_S6_PS5_N6thrust23THRUST_200600_302600_NS6detail15normal_iteratorINSA_10device_ptrIS5_EEEENS0_8identityIS5_EEEE10hipError_tT2_T3_mT4_P12ihipStream_tbEUlT_E_NS1_11comp_targetILNS1_3genE5ELNS1_11target_archE942ELNS1_3gpuE9ELNS1_3repE0EEENS1_30default_config_static_selectorELNS0_4arch9wavefront6targetE1EEEvT1_, .Lfunc_end1464-_ZN7rocprim17ROCPRIM_400000_NS6detail17trampoline_kernelINS0_14default_configENS1_25transform_config_selectorI14custom_numericLb0EEEZNS1_14transform_implILb0ES3_S6_PS5_N6thrust23THRUST_200600_302600_NS6detail15normal_iteratorINSA_10device_ptrIS5_EEEENS0_8identityIS5_EEEE10hipError_tT2_T3_mT4_P12ihipStream_tbEUlT_E_NS1_11comp_targetILNS1_3genE5ELNS1_11target_archE942ELNS1_3gpuE9ELNS1_3repE0EEENS1_30default_config_static_selectorELNS0_4arch9wavefront6targetE1EEEvT1_
                                        ; -- End function
	.section	.AMDGPU.csdata,"",@progbits
; Kernel info:
; codeLenInByte = 0
; NumSgprs: 4
; NumVgprs: 0
; NumAgprs: 0
; TotalNumVgprs: 0
; ScratchSize: 0
; MemoryBound: 0
; FloatMode: 240
; IeeeMode: 1
; LDSByteSize: 0 bytes/workgroup (compile time only)
; SGPRBlocks: 0
; VGPRBlocks: 0
; NumSGPRsForWavesPerEU: 4
; NumVGPRsForWavesPerEU: 1
; AccumOffset: 4
; Occupancy: 8
; WaveLimiterHint : 0
; COMPUTE_PGM_RSRC2:SCRATCH_EN: 0
; COMPUTE_PGM_RSRC2:USER_SGPR: 6
; COMPUTE_PGM_RSRC2:TRAP_HANDLER: 0
; COMPUTE_PGM_RSRC2:TGID_X_EN: 1
; COMPUTE_PGM_RSRC2:TGID_Y_EN: 0
; COMPUTE_PGM_RSRC2:TGID_Z_EN: 0
; COMPUTE_PGM_RSRC2:TIDIG_COMP_CNT: 0
; COMPUTE_PGM_RSRC3_GFX90A:ACCUM_OFFSET: 0
; COMPUTE_PGM_RSRC3_GFX90A:TG_SPLIT: 0
	.section	.text._ZN7rocprim17ROCPRIM_400000_NS6detail17trampoline_kernelINS0_14default_configENS1_25transform_config_selectorI14custom_numericLb0EEEZNS1_14transform_implILb0ES3_S6_PS5_N6thrust23THRUST_200600_302600_NS6detail15normal_iteratorINSA_10device_ptrIS5_EEEENS0_8identityIS5_EEEE10hipError_tT2_T3_mT4_P12ihipStream_tbEUlT_E_NS1_11comp_targetILNS1_3genE4ELNS1_11target_archE910ELNS1_3gpuE8ELNS1_3repE0EEENS1_30default_config_static_selectorELNS0_4arch9wavefront6targetE1EEEvT1_,"axG",@progbits,_ZN7rocprim17ROCPRIM_400000_NS6detail17trampoline_kernelINS0_14default_configENS1_25transform_config_selectorI14custom_numericLb0EEEZNS1_14transform_implILb0ES3_S6_PS5_N6thrust23THRUST_200600_302600_NS6detail15normal_iteratorINSA_10device_ptrIS5_EEEENS0_8identityIS5_EEEE10hipError_tT2_T3_mT4_P12ihipStream_tbEUlT_E_NS1_11comp_targetILNS1_3genE4ELNS1_11target_archE910ELNS1_3gpuE8ELNS1_3repE0EEENS1_30default_config_static_selectorELNS0_4arch9wavefront6targetE1EEEvT1_,comdat
	.protected	_ZN7rocprim17ROCPRIM_400000_NS6detail17trampoline_kernelINS0_14default_configENS1_25transform_config_selectorI14custom_numericLb0EEEZNS1_14transform_implILb0ES3_S6_PS5_N6thrust23THRUST_200600_302600_NS6detail15normal_iteratorINSA_10device_ptrIS5_EEEENS0_8identityIS5_EEEE10hipError_tT2_T3_mT4_P12ihipStream_tbEUlT_E_NS1_11comp_targetILNS1_3genE4ELNS1_11target_archE910ELNS1_3gpuE8ELNS1_3repE0EEENS1_30default_config_static_selectorELNS0_4arch9wavefront6targetE1EEEvT1_ ; -- Begin function _ZN7rocprim17ROCPRIM_400000_NS6detail17trampoline_kernelINS0_14default_configENS1_25transform_config_selectorI14custom_numericLb0EEEZNS1_14transform_implILb0ES3_S6_PS5_N6thrust23THRUST_200600_302600_NS6detail15normal_iteratorINSA_10device_ptrIS5_EEEENS0_8identityIS5_EEEE10hipError_tT2_T3_mT4_P12ihipStream_tbEUlT_E_NS1_11comp_targetILNS1_3genE4ELNS1_11target_archE910ELNS1_3gpuE8ELNS1_3repE0EEENS1_30default_config_static_selectorELNS0_4arch9wavefront6targetE1EEEvT1_
	.globl	_ZN7rocprim17ROCPRIM_400000_NS6detail17trampoline_kernelINS0_14default_configENS1_25transform_config_selectorI14custom_numericLb0EEEZNS1_14transform_implILb0ES3_S6_PS5_N6thrust23THRUST_200600_302600_NS6detail15normal_iteratorINSA_10device_ptrIS5_EEEENS0_8identityIS5_EEEE10hipError_tT2_T3_mT4_P12ihipStream_tbEUlT_E_NS1_11comp_targetILNS1_3genE4ELNS1_11target_archE910ELNS1_3gpuE8ELNS1_3repE0EEENS1_30default_config_static_selectorELNS0_4arch9wavefront6targetE1EEEvT1_
	.p2align	8
	.type	_ZN7rocprim17ROCPRIM_400000_NS6detail17trampoline_kernelINS0_14default_configENS1_25transform_config_selectorI14custom_numericLb0EEEZNS1_14transform_implILb0ES3_S6_PS5_N6thrust23THRUST_200600_302600_NS6detail15normal_iteratorINSA_10device_ptrIS5_EEEENS0_8identityIS5_EEEE10hipError_tT2_T3_mT4_P12ihipStream_tbEUlT_E_NS1_11comp_targetILNS1_3genE4ELNS1_11target_archE910ELNS1_3gpuE8ELNS1_3repE0EEENS1_30default_config_static_selectorELNS0_4arch9wavefront6targetE1EEEvT1_,@function
_ZN7rocprim17ROCPRIM_400000_NS6detail17trampoline_kernelINS0_14default_configENS1_25transform_config_selectorI14custom_numericLb0EEEZNS1_14transform_implILb0ES3_S6_PS5_N6thrust23THRUST_200600_302600_NS6detail15normal_iteratorINSA_10device_ptrIS5_EEEENS0_8identityIS5_EEEE10hipError_tT2_T3_mT4_P12ihipStream_tbEUlT_E_NS1_11comp_targetILNS1_3genE4ELNS1_11target_archE910ELNS1_3gpuE8ELNS1_3repE0EEENS1_30default_config_static_selectorELNS0_4arch9wavefront6targetE1EEEvT1_: ; @_ZN7rocprim17ROCPRIM_400000_NS6detail17trampoline_kernelINS0_14default_configENS1_25transform_config_selectorI14custom_numericLb0EEEZNS1_14transform_implILb0ES3_S6_PS5_N6thrust23THRUST_200600_302600_NS6detail15normal_iteratorINSA_10device_ptrIS5_EEEENS0_8identityIS5_EEEE10hipError_tT2_T3_mT4_P12ihipStream_tbEUlT_E_NS1_11comp_targetILNS1_3genE4ELNS1_11target_archE910ELNS1_3gpuE8ELNS1_3repE0EEENS1_30default_config_static_selectorELNS0_4arch9wavefront6targetE1EEEvT1_
; %bb.0:
	s_load_dwordx8 s[8:15], s[4:5], 0x0
	s_load_dword s0, s[4:5], 0x28
	s_mul_i32 s7, s6, 0x300
	s_waitcnt lgkmcnt(0)
	s_mul_i32 s1, s11, 20
	s_mul_hi_u32 s2, s10, 20
	s_add_i32 s2, s2, s1
	s_mul_i32 s1, s10, 20
	s_add_u32 s3, s8, s1
	s_addc_u32 s4, s9, s2
	s_add_u32 s8, s14, s1
	s_addc_u32 s9, s15, s2
	s_add_i32 s0, s0, -1
	s_mul_i32 s1, s6, 0x3c00
	s_mul_hi_u32 s10, s7, 20
	s_add_u32 s2, s3, s1
	s_addc_u32 s3, s4, s10
	s_cmp_lg_u32 s6, s0
	s_mul_i32 s11, s7, 20
	s_cbranch_scc0 .LBB1465_2
; %bb.1:
	v_mad_u64_u32 v[2:3], s[0:1], v0, 20, s[2:3]
	v_add_co_u32_e32 v6, vcc, 0x1000, v2
	v_addc_co_u32_e32 v7, vcc, 0, v3, vcc
	global_load_dword v4, v[2:3], off
	global_load_dword v12, v[6:7], off offset:1024
	v_add_co_u32_e32 v2, vcc, 0x2000, v2
	v_addc_co_u32_e32 v3, vcc, 0, v3, vcc
	global_load_dword v2, v[2:3], off offset:2048
	s_add_u32 s4, s8, s11
	s_addc_u32 s5, s9, s10
	v_mad_u64_u32 v[10:11], s[4:5], v0, 20, s[4:5]
	v_add_co_u32_e32 v8, vcc, 0x1000, v10
	v_addc_co_u32_e32 v9, vcc, 0, v11, vcc
	s_mov_b64 s[4:5], -1
	s_waitcnt vmcnt(2)
	v_mov_b32_e32 v5, v4
	v_mov_b32_e32 v6, v4
	;; [unrolled: 1-line block ×3, first 2 shown]
	s_waitcnt vmcnt(1)
	v_mov_b32_e32 v13, v12
	v_mov_b32_e32 v14, v12
	;; [unrolled: 1-line block ×3, first 2 shown]
	flat_store_dword v[10:11], v4 offset:16
	flat_store_dwordx4 v[10:11], v[4:7]
	flat_store_dword v[8:9], v12 offset:1040
	flat_store_dwordx4 v[8:9], v[12:15] offset:1024
	s_cbranch_execz .LBB1465_3
	s_branch .LBB1465_14
.LBB1465_2:
	s_mov_b64 s[4:5], 0
                                        ; implicit-def: $vgpr2
                                        ; implicit-def: $vgpr10_vgpr11
.LBB1465_3:
	s_sub_i32 s6, s12, s7
	v_cmp_gt_u32_e32 vcc, s6, v0
	v_mov_b32_e32 v4, 0
	v_mov_b32_e32 v6, 0
	s_and_saveexec_b64 s[0:1], vcc
	s_cbranch_execz .LBB1465_5
; %bb.4:
	s_waitcnt vmcnt(0)
	v_mad_u64_u32 v[2:3], s[4:5], v0, 20, s[2:3]
	global_load_dword v6, v[2:3], off
.LBB1465_5:
	s_or_b64 exec, exec, s[0:1]
	v_or_b32_e32 v1, 0x100, v0
	v_cmp_gt_u32_e64 s[0:1], s6, v1
	s_and_saveexec_b64 s[4:5], s[0:1]
	s_cbranch_execz .LBB1465_7
; %bb.6:
	s_waitcnt vmcnt(0)
	v_mad_u64_u32 v[2:3], s[12:13], v1, 20, s[2:3]
	global_load_dword v4, v[2:3], off
.LBB1465_7:
	s_or_b64 exec, exec, s[4:5]
	v_or_b32_e32 v1, 0x200, v0
	v_cmp_gt_u32_e64 s[4:5], s6, v1
	s_waitcnt vmcnt(0)
	v_mov_b32_e32 v2, 0
	s_and_saveexec_b64 s[6:7], s[4:5]
	s_cbranch_execz .LBB1465_9
; %bb.8:
	v_mad_u64_u32 v[2:3], s[2:3], v1, 20, s[2:3]
	global_load_dword v2, v[2:3], off
.LBB1465_9:
	s_or_b64 exec, exec, s[6:7]
	s_add_u32 s2, s8, s11
	s_addc_u32 s3, s9, s10
	v_mad_u64_u32 v[10:11], s[2:3], v0, 20, s[2:3]
	s_and_saveexec_b64 s[2:3], vcc
	s_cbranch_execz .LBB1465_11
; %bb.10:
	v_mov_b32_e32 v7, v6
	v_mov_b32_e32 v8, v6
	;; [unrolled: 1-line block ×3, first 2 shown]
	flat_store_dwordx4 v[10:11], v[6:9]
	flat_store_dword v[10:11], v6 offset:16
.LBB1465_11:
	s_or_b64 exec, exec, s[2:3]
	s_and_saveexec_b64 s[2:3], s[0:1]
	s_cbranch_execz .LBB1465_13
; %bb.12:
	v_add_co_u32_e32 v0, vcc, 0x1000, v10
	v_mov_b32_e32 v5, v4
	v_mov_b32_e32 v6, v4
	;; [unrolled: 1-line block ×3, first 2 shown]
	v_addc_co_u32_e32 v1, vcc, 0, v11, vcc
	flat_store_dwordx4 v[0:1], v[4:7] offset:1024
	flat_store_dword v[0:1], v4 offset:1040
.LBB1465_13:
	s_or_b64 exec, exec, s[2:3]
.LBB1465_14:
	s_and_saveexec_b64 s[0:1], s[4:5]
	s_cbranch_execnz .LBB1465_16
; %bb.15:
	s_endpgm
.LBB1465_16:
	v_add_co_u32_e32 v0, vcc, 0x2000, v10
	s_waitcnt vmcnt(0)
	v_mov_b32_e32 v3, v2
	v_mov_b32_e32 v4, v2
	;; [unrolled: 1-line block ×3, first 2 shown]
	v_addc_co_u32_e32 v1, vcc, 0, v11, vcc
	flat_store_dwordx4 v[0:1], v[2:5] offset:2048
	flat_store_dword v[0:1], v2 offset:2064
	s_endpgm
	.section	.rodata,"a",@progbits
	.p2align	6, 0x0
	.amdhsa_kernel _ZN7rocprim17ROCPRIM_400000_NS6detail17trampoline_kernelINS0_14default_configENS1_25transform_config_selectorI14custom_numericLb0EEEZNS1_14transform_implILb0ES3_S6_PS5_N6thrust23THRUST_200600_302600_NS6detail15normal_iteratorINSA_10device_ptrIS5_EEEENS0_8identityIS5_EEEE10hipError_tT2_T3_mT4_P12ihipStream_tbEUlT_E_NS1_11comp_targetILNS1_3genE4ELNS1_11target_archE910ELNS1_3gpuE8ELNS1_3repE0EEENS1_30default_config_static_selectorELNS0_4arch9wavefront6targetE1EEEvT1_
		.amdhsa_group_segment_fixed_size 0
		.amdhsa_private_segment_fixed_size 0
		.amdhsa_kernarg_size 296
		.amdhsa_user_sgpr_count 6
		.amdhsa_user_sgpr_private_segment_buffer 1
		.amdhsa_user_sgpr_dispatch_ptr 0
		.amdhsa_user_sgpr_queue_ptr 0
		.amdhsa_user_sgpr_kernarg_segment_ptr 1
		.amdhsa_user_sgpr_dispatch_id 0
		.amdhsa_user_sgpr_flat_scratch_init 0
		.amdhsa_user_sgpr_kernarg_preload_length 0
		.amdhsa_user_sgpr_kernarg_preload_offset 0
		.amdhsa_user_sgpr_private_segment_size 0
		.amdhsa_uses_dynamic_stack 0
		.amdhsa_system_sgpr_private_segment_wavefront_offset 0
		.amdhsa_system_sgpr_workgroup_id_x 1
		.amdhsa_system_sgpr_workgroup_id_y 0
		.amdhsa_system_sgpr_workgroup_id_z 0
		.amdhsa_system_sgpr_workgroup_info 0
		.amdhsa_system_vgpr_workitem_id 0
		.amdhsa_next_free_vgpr 16
		.amdhsa_next_free_sgpr 16
		.amdhsa_accum_offset 16
		.amdhsa_reserve_vcc 1
		.amdhsa_reserve_flat_scratch 0
		.amdhsa_float_round_mode_32 0
		.amdhsa_float_round_mode_16_64 0
		.amdhsa_float_denorm_mode_32 3
		.amdhsa_float_denorm_mode_16_64 3
		.amdhsa_dx10_clamp 1
		.amdhsa_ieee_mode 1
		.amdhsa_fp16_overflow 0
		.amdhsa_tg_split 0
		.amdhsa_exception_fp_ieee_invalid_op 0
		.amdhsa_exception_fp_denorm_src 0
		.amdhsa_exception_fp_ieee_div_zero 0
		.amdhsa_exception_fp_ieee_overflow 0
		.amdhsa_exception_fp_ieee_underflow 0
		.amdhsa_exception_fp_ieee_inexact 0
		.amdhsa_exception_int_div_zero 0
	.end_amdhsa_kernel
	.section	.text._ZN7rocprim17ROCPRIM_400000_NS6detail17trampoline_kernelINS0_14default_configENS1_25transform_config_selectorI14custom_numericLb0EEEZNS1_14transform_implILb0ES3_S6_PS5_N6thrust23THRUST_200600_302600_NS6detail15normal_iteratorINSA_10device_ptrIS5_EEEENS0_8identityIS5_EEEE10hipError_tT2_T3_mT4_P12ihipStream_tbEUlT_E_NS1_11comp_targetILNS1_3genE4ELNS1_11target_archE910ELNS1_3gpuE8ELNS1_3repE0EEENS1_30default_config_static_selectorELNS0_4arch9wavefront6targetE1EEEvT1_,"axG",@progbits,_ZN7rocprim17ROCPRIM_400000_NS6detail17trampoline_kernelINS0_14default_configENS1_25transform_config_selectorI14custom_numericLb0EEEZNS1_14transform_implILb0ES3_S6_PS5_N6thrust23THRUST_200600_302600_NS6detail15normal_iteratorINSA_10device_ptrIS5_EEEENS0_8identityIS5_EEEE10hipError_tT2_T3_mT4_P12ihipStream_tbEUlT_E_NS1_11comp_targetILNS1_3genE4ELNS1_11target_archE910ELNS1_3gpuE8ELNS1_3repE0EEENS1_30default_config_static_selectorELNS0_4arch9wavefront6targetE1EEEvT1_,comdat
.Lfunc_end1465:
	.size	_ZN7rocprim17ROCPRIM_400000_NS6detail17trampoline_kernelINS0_14default_configENS1_25transform_config_selectorI14custom_numericLb0EEEZNS1_14transform_implILb0ES3_S6_PS5_N6thrust23THRUST_200600_302600_NS6detail15normal_iteratorINSA_10device_ptrIS5_EEEENS0_8identityIS5_EEEE10hipError_tT2_T3_mT4_P12ihipStream_tbEUlT_E_NS1_11comp_targetILNS1_3genE4ELNS1_11target_archE910ELNS1_3gpuE8ELNS1_3repE0EEENS1_30default_config_static_selectorELNS0_4arch9wavefront6targetE1EEEvT1_, .Lfunc_end1465-_ZN7rocprim17ROCPRIM_400000_NS6detail17trampoline_kernelINS0_14default_configENS1_25transform_config_selectorI14custom_numericLb0EEEZNS1_14transform_implILb0ES3_S6_PS5_N6thrust23THRUST_200600_302600_NS6detail15normal_iteratorINSA_10device_ptrIS5_EEEENS0_8identityIS5_EEEE10hipError_tT2_T3_mT4_P12ihipStream_tbEUlT_E_NS1_11comp_targetILNS1_3genE4ELNS1_11target_archE910ELNS1_3gpuE8ELNS1_3repE0EEENS1_30default_config_static_selectorELNS0_4arch9wavefront6targetE1EEEvT1_
                                        ; -- End function
	.section	.AMDGPU.csdata,"",@progbits
; Kernel info:
; codeLenInByte = 576
; NumSgprs: 20
; NumVgprs: 16
; NumAgprs: 0
; TotalNumVgprs: 16
; ScratchSize: 0
; MemoryBound: 0
; FloatMode: 240
; IeeeMode: 1
; LDSByteSize: 0 bytes/workgroup (compile time only)
; SGPRBlocks: 2
; VGPRBlocks: 1
; NumSGPRsForWavesPerEU: 20
; NumVGPRsForWavesPerEU: 16
; AccumOffset: 16
; Occupancy: 8
; WaveLimiterHint : 1
; COMPUTE_PGM_RSRC2:SCRATCH_EN: 0
; COMPUTE_PGM_RSRC2:USER_SGPR: 6
; COMPUTE_PGM_RSRC2:TRAP_HANDLER: 0
; COMPUTE_PGM_RSRC2:TGID_X_EN: 1
; COMPUTE_PGM_RSRC2:TGID_Y_EN: 0
; COMPUTE_PGM_RSRC2:TGID_Z_EN: 0
; COMPUTE_PGM_RSRC2:TIDIG_COMP_CNT: 0
; COMPUTE_PGM_RSRC3_GFX90A:ACCUM_OFFSET: 3
; COMPUTE_PGM_RSRC3_GFX90A:TG_SPLIT: 0
	.section	.text._ZN7rocprim17ROCPRIM_400000_NS6detail17trampoline_kernelINS0_14default_configENS1_25transform_config_selectorI14custom_numericLb0EEEZNS1_14transform_implILb0ES3_S6_PS5_N6thrust23THRUST_200600_302600_NS6detail15normal_iteratorINSA_10device_ptrIS5_EEEENS0_8identityIS5_EEEE10hipError_tT2_T3_mT4_P12ihipStream_tbEUlT_E_NS1_11comp_targetILNS1_3genE3ELNS1_11target_archE908ELNS1_3gpuE7ELNS1_3repE0EEENS1_30default_config_static_selectorELNS0_4arch9wavefront6targetE1EEEvT1_,"axG",@progbits,_ZN7rocprim17ROCPRIM_400000_NS6detail17trampoline_kernelINS0_14default_configENS1_25transform_config_selectorI14custom_numericLb0EEEZNS1_14transform_implILb0ES3_S6_PS5_N6thrust23THRUST_200600_302600_NS6detail15normal_iteratorINSA_10device_ptrIS5_EEEENS0_8identityIS5_EEEE10hipError_tT2_T3_mT4_P12ihipStream_tbEUlT_E_NS1_11comp_targetILNS1_3genE3ELNS1_11target_archE908ELNS1_3gpuE7ELNS1_3repE0EEENS1_30default_config_static_selectorELNS0_4arch9wavefront6targetE1EEEvT1_,comdat
	.protected	_ZN7rocprim17ROCPRIM_400000_NS6detail17trampoline_kernelINS0_14default_configENS1_25transform_config_selectorI14custom_numericLb0EEEZNS1_14transform_implILb0ES3_S6_PS5_N6thrust23THRUST_200600_302600_NS6detail15normal_iteratorINSA_10device_ptrIS5_EEEENS0_8identityIS5_EEEE10hipError_tT2_T3_mT4_P12ihipStream_tbEUlT_E_NS1_11comp_targetILNS1_3genE3ELNS1_11target_archE908ELNS1_3gpuE7ELNS1_3repE0EEENS1_30default_config_static_selectorELNS0_4arch9wavefront6targetE1EEEvT1_ ; -- Begin function _ZN7rocprim17ROCPRIM_400000_NS6detail17trampoline_kernelINS0_14default_configENS1_25transform_config_selectorI14custom_numericLb0EEEZNS1_14transform_implILb0ES3_S6_PS5_N6thrust23THRUST_200600_302600_NS6detail15normal_iteratorINSA_10device_ptrIS5_EEEENS0_8identityIS5_EEEE10hipError_tT2_T3_mT4_P12ihipStream_tbEUlT_E_NS1_11comp_targetILNS1_3genE3ELNS1_11target_archE908ELNS1_3gpuE7ELNS1_3repE0EEENS1_30default_config_static_selectorELNS0_4arch9wavefront6targetE1EEEvT1_
	.globl	_ZN7rocprim17ROCPRIM_400000_NS6detail17trampoline_kernelINS0_14default_configENS1_25transform_config_selectorI14custom_numericLb0EEEZNS1_14transform_implILb0ES3_S6_PS5_N6thrust23THRUST_200600_302600_NS6detail15normal_iteratorINSA_10device_ptrIS5_EEEENS0_8identityIS5_EEEE10hipError_tT2_T3_mT4_P12ihipStream_tbEUlT_E_NS1_11comp_targetILNS1_3genE3ELNS1_11target_archE908ELNS1_3gpuE7ELNS1_3repE0EEENS1_30default_config_static_selectorELNS0_4arch9wavefront6targetE1EEEvT1_
	.p2align	8
	.type	_ZN7rocprim17ROCPRIM_400000_NS6detail17trampoline_kernelINS0_14default_configENS1_25transform_config_selectorI14custom_numericLb0EEEZNS1_14transform_implILb0ES3_S6_PS5_N6thrust23THRUST_200600_302600_NS6detail15normal_iteratorINSA_10device_ptrIS5_EEEENS0_8identityIS5_EEEE10hipError_tT2_T3_mT4_P12ihipStream_tbEUlT_E_NS1_11comp_targetILNS1_3genE3ELNS1_11target_archE908ELNS1_3gpuE7ELNS1_3repE0EEENS1_30default_config_static_selectorELNS0_4arch9wavefront6targetE1EEEvT1_,@function
_ZN7rocprim17ROCPRIM_400000_NS6detail17trampoline_kernelINS0_14default_configENS1_25transform_config_selectorI14custom_numericLb0EEEZNS1_14transform_implILb0ES3_S6_PS5_N6thrust23THRUST_200600_302600_NS6detail15normal_iteratorINSA_10device_ptrIS5_EEEENS0_8identityIS5_EEEE10hipError_tT2_T3_mT4_P12ihipStream_tbEUlT_E_NS1_11comp_targetILNS1_3genE3ELNS1_11target_archE908ELNS1_3gpuE7ELNS1_3repE0EEENS1_30default_config_static_selectorELNS0_4arch9wavefront6targetE1EEEvT1_: ; @_ZN7rocprim17ROCPRIM_400000_NS6detail17trampoline_kernelINS0_14default_configENS1_25transform_config_selectorI14custom_numericLb0EEEZNS1_14transform_implILb0ES3_S6_PS5_N6thrust23THRUST_200600_302600_NS6detail15normal_iteratorINSA_10device_ptrIS5_EEEENS0_8identityIS5_EEEE10hipError_tT2_T3_mT4_P12ihipStream_tbEUlT_E_NS1_11comp_targetILNS1_3genE3ELNS1_11target_archE908ELNS1_3gpuE7ELNS1_3repE0EEENS1_30default_config_static_selectorELNS0_4arch9wavefront6targetE1EEEvT1_
; %bb.0:
	.section	.rodata,"a",@progbits
	.p2align	6, 0x0
	.amdhsa_kernel _ZN7rocprim17ROCPRIM_400000_NS6detail17trampoline_kernelINS0_14default_configENS1_25transform_config_selectorI14custom_numericLb0EEEZNS1_14transform_implILb0ES3_S6_PS5_N6thrust23THRUST_200600_302600_NS6detail15normal_iteratorINSA_10device_ptrIS5_EEEENS0_8identityIS5_EEEE10hipError_tT2_T3_mT4_P12ihipStream_tbEUlT_E_NS1_11comp_targetILNS1_3genE3ELNS1_11target_archE908ELNS1_3gpuE7ELNS1_3repE0EEENS1_30default_config_static_selectorELNS0_4arch9wavefront6targetE1EEEvT1_
		.amdhsa_group_segment_fixed_size 0
		.amdhsa_private_segment_fixed_size 0
		.amdhsa_kernarg_size 40
		.amdhsa_user_sgpr_count 6
		.amdhsa_user_sgpr_private_segment_buffer 1
		.amdhsa_user_sgpr_dispatch_ptr 0
		.amdhsa_user_sgpr_queue_ptr 0
		.amdhsa_user_sgpr_kernarg_segment_ptr 1
		.amdhsa_user_sgpr_dispatch_id 0
		.amdhsa_user_sgpr_flat_scratch_init 0
		.amdhsa_user_sgpr_kernarg_preload_length 0
		.amdhsa_user_sgpr_kernarg_preload_offset 0
		.amdhsa_user_sgpr_private_segment_size 0
		.amdhsa_uses_dynamic_stack 0
		.amdhsa_system_sgpr_private_segment_wavefront_offset 0
		.amdhsa_system_sgpr_workgroup_id_x 1
		.amdhsa_system_sgpr_workgroup_id_y 0
		.amdhsa_system_sgpr_workgroup_id_z 0
		.amdhsa_system_sgpr_workgroup_info 0
		.amdhsa_system_vgpr_workitem_id 0
		.amdhsa_next_free_vgpr 1
		.amdhsa_next_free_sgpr 0
		.amdhsa_accum_offset 4
		.amdhsa_reserve_vcc 0
		.amdhsa_reserve_flat_scratch 0
		.amdhsa_float_round_mode_32 0
		.amdhsa_float_round_mode_16_64 0
		.amdhsa_float_denorm_mode_32 3
		.amdhsa_float_denorm_mode_16_64 3
		.amdhsa_dx10_clamp 1
		.amdhsa_ieee_mode 1
		.amdhsa_fp16_overflow 0
		.amdhsa_tg_split 0
		.amdhsa_exception_fp_ieee_invalid_op 0
		.amdhsa_exception_fp_denorm_src 0
		.amdhsa_exception_fp_ieee_div_zero 0
		.amdhsa_exception_fp_ieee_overflow 0
		.amdhsa_exception_fp_ieee_underflow 0
		.amdhsa_exception_fp_ieee_inexact 0
		.amdhsa_exception_int_div_zero 0
	.end_amdhsa_kernel
	.section	.text._ZN7rocprim17ROCPRIM_400000_NS6detail17trampoline_kernelINS0_14default_configENS1_25transform_config_selectorI14custom_numericLb0EEEZNS1_14transform_implILb0ES3_S6_PS5_N6thrust23THRUST_200600_302600_NS6detail15normal_iteratorINSA_10device_ptrIS5_EEEENS0_8identityIS5_EEEE10hipError_tT2_T3_mT4_P12ihipStream_tbEUlT_E_NS1_11comp_targetILNS1_3genE3ELNS1_11target_archE908ELNS1_3gpuE7ELNS1_3repE0EEENS1_30default_config_static_selectorELNS0_4arch9wavefront6targetE1EEEvT1_,"axG",@progbits,_ZN7rocprim17ROCPRIM_400000_NS6detail17trampoline_kernelINS0_14default_configENS1_25transform_config_selectorI14custom_numericLb0EEEZNS1_14transform_implILb0ES3_S6_PS5_N6thrust23THRUST_200600_302600_NS6detail15normal_iteratorINSA_10device_ptrIS5_EEEENS0_8identityIS5_EEEE10hipError_tT2_T3_mT4_P12ihipStream_tbEUlT_E_NS1_11comp_targetILNS1_3genE3ELNS1_11target_archE908ELNS1_3gpuE7ELNS1_3repE0EEENS1_30default_config_static_selectorELNS0_4arch9wavefront6targetE1EEEvT1_,comdat
.Lfunc_end1466:
	.size	_ZN7rocprim17ROCPRIM_400000_NS6detail17trampoline_kernelINS0_14default_configENS1_25transform_config_selectorI14custom_numericLb0EEEZNS1_14transform_implILb0ES3_S6_PS5_N6thrust23THRUST_200600_302600_NS6detail15normal_iteratorINSA_10device_ptrIS5_EEEENS0_8identityIS5_EEEE10hipError_tT2_T3_mT4_P12ihipStream_tbEUlT_E_NS1_11comp_targetILNS1_3genE3ELNS1_11target_archE908ELNS1_3gpuE7ELNS1_3repE0EEENS1_30default_config_static_selectorELNS0_4arch9wavefront6targetE1EEEvT1_, .Lfunc_end1466-_ZN7rocprim17ROCPRIM_400000_NS6detail17trampoline_kernelINS0_14default_configENS1_25transform_config_selectorI14custom_numericLb0EEEZNS1_14transform_implILb0ES3_S6_PS5_N6thrust23THRUST_200600_302600_NS6detail15normal_iteratorINSA_10device_ptrIS5_EEEENS0_8identityIS5_EEEE10hipError_tT2_T3_mT4_P12ihipStream_tbEUlT_E_NS1_11comp_targetILNS1_3genE3ELNS1_11target_archE908ELNS1_3gpuE7ELNS1_3repE0EEENS1_30default_config_static_selectorELNS0_4arch9wavefront6targetE1EEEvT1_
                                        ; -- End function
	.section	.AMDGPU.csdata,"",@progbits
; Kernel info:
; codeLenInByte = 0
; NumSgprs: 4
; NumVgprs: 0
; NumAgprs: 0
; TotalNumVgprs: 0
; ScratchSize: 0
; MemoryBound: 0
; FloatMode: 240
; IeeeMode: 1
; LDSByteSize: 0 bytes/workgroup (compile time only)
; SGPRBlocks: 0
; VGPRBlocks: 0
; NumSGPRsForWavesPerEU: 4
; NumVGPRsForWavesPerEU: 1
; AccumOffset: 4
; Occupancy: 8
; WaveLimiterHint : 0
; COMPUTE_PGM_RSRC2:SCRATCH_EN: 0
; COMPUTE_PGM_RSRC2:USER_SGPR: 6
; COMPUTE_PGM_RSRC2:TRAP_HANDLER: 0
; COMPUTE_PGM_RSRC2:TGID_X_EN: 1
; COMPUTE_PGM_RSRC2:TGID_Y_EN: 0
; COMPUTE_PGM_RSRC2:TGID_Z_EN: 0
; COMPUTE_PGM_RSRC2:TIDIG_COMP_CNT: 0
; COMPUTE_PGM_RSRC3_GFX90A:ACCUM_OFFSET: 0
; COMPUTE_PGM_RSRC3_GFX90A:TG_SPLIT: 0
	.section	.text._ZN7rocprim17ROCPRIM_400000_NS6detail17trampoline_kernelINS0_14default_configENS1_25transform_config_selectorI14custom_numericLb0EEEZNS1_14transform_implILb0ES3_S6_PS5_N6thrust23THRUST_200600_302600_NS6detail15normal_iteratorINSA_10device_ptrIS5_EEEENS0_8identityIS5_EEEE10hipError_tT2_T3_mT4_P12ihipStream_tbEUlT_E_NS1_11comp_targetILNS1_3genE2ELNS1_11target_archE906ELNS1_3gpuE6ELNS1_3repE0EEENS1_30default_config_static_selectorELNS0_4arch9wavefront6targetE1EEEvT1_,"axG",@progbits,_ZN7rocprim17ROCPRIM_400000_NS6detail17trampoline_kernelINS0_14default_configENS1_25transform_config_selectorI14custom_numericLb0EEEZNS1_14transform_implILb0ES3_S6_PS5_N6thrust23THRUST_200600_302600_NS6detail15normal_iteratorINSA_10device_ptrIS5_EEEENS0_8identityIS5_EEEE10hipError_tT2_T3_mT4_P12ihipStream_tbEUlT_E_NS1_11comp_targetILNS1_3genE2ELNS1_11target_archE906ELNS1_3gpuE6ELNS1_3repE0EEENS1_30default_config_static_selectorELNS0_4arch9wavefront6targetE1EEEvT1_,comdat
	.protected	_ZN7rocprim17ROCPRIM_400000_NS6detail17trampoline_kernelINS0_14default_configENS1_25transform_config_selectorI14custom_numericLb0EEEZNS1_14transform_implILb0ES3_S6_PS5_N6thrust23THRUST_200600_302600_NS6detail15normal_iteratorINSA_10device_ptrIS5_EEEENS0_8identityIS5_EEEE10hipError_tT2_T3_mT4_P12ihipStream_tbEUlT_E_NS1_11comp_targetILNS1_3genE2ELNS1_11target_archE906ELNS1_3gpuE6ELNS1_3repE0EEENS1_30default_config_static_selectorELNS0_4arch9wavefront6targetE1EEEvT1_ ; -- Begin function _ZN7rocprim17ROCPRIM_400000_NS6detail17trampoline_kernelINS0_14default_configENS1_25transform_config_selectorI14custom_numericLb0EEEZNS1_14transform_implILb0ES3_S6_PS5_N6thrust23THRUST_200600_302600_NS6detail15normal_iteratorINSA_10device_ptrIS5_EEEENS0_8identityIS5_EEEE10hipError_tT2_T3_mT4_P12ihipStream_tbEUlT_E_NS1_11comp_targetILNS1_3genE2ELNS1_11target_archE906ELNS1_3gpuE6ELNS1_3repE0EEENS1_30default_config_static_selectorELNS0_4arch9wavefront6targetE1EEEvT1_
	.globl	_ZN7rocprim17ROCPRIM_400000_NS6detail17trampoline_kernelINS0_14default_configENS1_25transform_config_selectorI14custom_numericLb0EEEZNS1_14transform_implILb0ES3_S6_PS5_N6thrust23THRUST_200600_302600_NS6detail15normal_iteratorINSA_10device_ptrIS5_EEEENS0_8identityIS5_EEEE10hipError_tT2_T3_mT4_P12ihipStream_tbEUlT_E_NS1_11comp_targetILNS1_3genE2ELNS1_11target_archE906ELNS1_3gpuE6ELNS1_3repE0EEENS1_30default_config_static_selectorELNS0_4arch9wavefront6targetE1EEEvT1_
	.p2align	8
	.type	_ZN7rocprim17ROCPRIM_400000_NS6detail17trampoline_kernelINS0_14default_configENS1_25transform_config_selectorI14custom_numericLb0EEEZNS1_14transform_implILb0ES3_S6_PS5_N6thrust23THRUST_200600_302600_NS6detail15normal_iteratorINSA_10device_ptrIS5_EEEENS0_8identityIS5_EEEE10hipError_tT2_T3_mT4_P12ihipStream_tbEUlT_E_NS1_11comp_targetILNS1_3genE2ELNS1_11target_archE906ELNS1_3gpuE6ELNS1_3repE0EEENS1_30default_config_static_selectorELNS0_4arch9wavefront6targetE1EEEvT1_,@function
_ZN7rocprim17ROCPRIM_400000_NS6detail17trampoline_kernelINS0_14default_configENS1_25transform_config_selectorI14custom_numericLb0EEEZNS1_14transform_implILb0ES3_S6_PS5_N6thrust23THRUST_200600_302600_NS6detail15normal_iteratorINSA_10device_ptrIS5_EEEENS0_8identityIS5_EEEE10hipError_tT2_T3_mT4_P12ihipStream_tbEUlT_E_NS1_11comp_targetILNS1_3genE2ELNS1_11target_archE906ELNS1_3gpuE6ELNS1_3repE0EEENS1_30default_config_static_selectorELNS0_4arch9wavefront6targetE1EEEvT1_: ; @_ZN7rocprim17ROCPRIM_400000_NS6detail17trampoline_kernelINS0_14default_configENS1_25transform_config_selectorI14custom_numericLb0EEEZNS1_14transform_implILb0ES3_S6_PS5_N6thrust23THRUST_200600_302600_NS6detail15normal_iteratorINSA_10device_ptrIS5_EEEENS0_8identityIS5_EEEE10hipError_tT2_T3_mT4_P12ihipStream_tbEUlT_E_NS1_11comp_targetILNS1_3genE2ELNS1_11target_archE906ELNS1_3gpuE6ELNS1_3repE0EEENS1_30default_config_static_selectorELNS0_4arch9wavefront6targetE1EEEvT1_
; %bb.0:
	.section	.rodata,"a",@progbits
	.p2align	6, 0x0
	.amdhsa_kernel _ZN7rocprim17ROCPRIM_400000_NS6detail17trampoline_kernelINS0_14default_configENS1_25transform_config_selectorI14custom_numericLb0EEEZNS1_14transform_implILb0ES3_S6_PS5_N6thrust23THRUST_200600_302600_NS6detail15normal_iteratorINSA_10device_ptrIS5_EEEENS0_8identityIS5_EEEE10hipError_tT2_T3_mT4_P12ihipStream_tbEUlT_E_NS1_11comp_targetILNS1_3genE2ELNS1_11target_archE906ELNS1_3gpuE6ELNS1_3repE0EEENS1_30default_config_static_selectorELNS0_4arch9wavefront6targetE1EEEvT1_
		.amdhsa_group_segment_fixed_size 0
		.amdhsa_private_segment_fixed_size 0
		.amdhsa_kernarg_size 40
		.amdhsa_user_sgpr_count 6
		.amdhsa_user_sgpr_private_segment_buffer 1
		.amdhsa_user_sgpr_dispatch_ptr 0
		.amdhsa_user_sgpr_queue_ptr 0
		.amdhsa_user_sgpr_kernarg_segment_ptr 1
		.amdhsa_user_sgpr_dispatch_id 0
		.amdhsa_user_sgpr_flat_scratch_init 0
		.amdhsa_user_sgpr_kernarg_preload_length 0
		.amdhsa_user_sgpr_kernarg_preload_offset 0
		.amdhsa_user_sgpr_private_segment_size 0
		.amdhsa_uses_dynamic_stack 0
		.amdhsa_system_sgpr_private_segment_wavefront_offset 0
		.amdhsa_system_sgpr_workgroup_id_x 1
		.amdhsa_system_sgpr_workgroup_id_y 0
		.amdhsa_system_sgpr_workgroup_id_z 0
		.amdhsa_system_sgpr_workgroup_info 0
		.amdhsa_system_vgpr_workitem_id 0
		.amdhsa_next_free_vgpr 1
		.amdhsa_next_free_sgpr 0
		.amdhsa_accum_offset 4
		.amdhsa_reserve_vcc 0
		.amdhsa_reserve_flat_scratch 0
		.amdhsa_float_round_mode_32 0
		.amdhsa_float_round_mode_16_64 0
		.amdhsa_float_denorm_mode_32 3
		.amdhsa_float_denorm_mode_16_64 3
		.amdhsa_dx10_clamp 1
		.amdhsa_ieee_mode 1
		.amdhsa_fp16_overflow 0
		.amdhsa_tg_split 0
		.amdhsa_exception_fp_ieee_invalid_op 0
		.amdhsa_exception_fp_denorm_src 0
		.amdhsa_exception_fp_ieee_div_zero 0
		.amdhsa_exception_fp_ieee_overflow 0
		.amdhsa_exception_fp_ieee_underflow 0
		.amdhsa_exception_fp_ieee_inexact 0
		.amdhsa_exception_int_div_zero 0
	.end_amdhsa_kernel
	.section	.text._ZN7rocprim17ROCPRIM_400000_NS6detail17trampoline_kernelINS0_14default_configENS1_25transform_config_selectorI14custom_numericLb0EEEZNS1_14transform_implILb0ES3_S6_PS5_N6thrust23THRUST_200600_302600_NS6detail15normal_iteratorINSA_10device_ptrIS5_EEEENS0_8identityIS5_EEEE10hipError_tT2_T3_mT4_P12ihipStream_tbEUlT_E_NS1_11comp_targetILNS1_3genE2ELNS1_11target_archE906ELNS1_3gpuE6ELNS1_3repE0EEENS1_30default_config_static_selectorELNS0_4arch9wavefront6targetE1EEEvT1_,"axG",@progbits,_ZN7rocprim17ROCPRIM_400000_NS6detail17trampoline_kernelINS0_14default_configENS1_25transform_config_selectorI14custom_numericLb0EEEZNS1_14transform_implILb0ES3_S6_PS5_N6thrust23THRUST_200600_302600_NS6detail15normal_iteratorINSA_10device_ptrIS5_EEEENS0_8identityIS5_EEEE10hipError_tT2_T3_mT4_P12ihipStream_tbEUlT_E_NS1_11comp_targetILNS1_3genE2ELNS1_11target_archE906ELNS1_3gpuE6ELNS1_3repE0EEENS1_30default_config_static_selectorELNS0_4arch9wavefront6targetE1EEEvT1_,comdat
.Lfunc_end1467:
	.size	_ZN7rocprim17ROCPRIM_400000_NS6detail17trampoline_kernelINS0_14default_configENS1_25transform_config_selectorI14custom_numericLb0EEEZNS1_14transform_implILb0ES3_S6_PS5_N6thrust23THRUST_200600_302600_NS6detail15normal_iteratorINSA_10device_ptrIS5_EEEENS0_8identityIS5_EEEE10hipError_tT2_T3_mT4_P12ihipStream_tbEUlT_E_NS1_11comp_targetILNS1_3genE2ELNS1_11target_archE906ELNS1_3gpuE6ELNS1_3repE0EEENS1_30default_config_static_selectorELNS0_4arch9wavefront6targetE1EEEvT1_, .Lfunc_end1467-_ZN7rocprim17ROCPRIM_400000_NS6detail17trampoline_kernelINS0_14default_configENS1_25transform_config_selectorI14custom_numericLb0EEEZNS1_14transform_implILb0ES3_S6_PS5_N6thrust23THRUST_200600_302600_NS6detail15normal_iteratorINSA_10device_ptrIS5_EEEENS0_8identityIS5_EEEE10hipError_tT2_T3_mT4_P12ihipStream_tbEUlT_E_NS1_11comp_targetILNS1_3genE2ELNS1_11target_archE906ELNS1_3gpuE6ELNS1_3repE0EEENS1_30default_config_static_selectorELNS0_4arch9wavefront6targetE1EEEvT1_
                                        ; -- End function
	.section	.AMDGPU.csdata,"",@progbits
; Kernel info:
; codeLenInByte = 0
; NumSgprs: 4
; NumVgprs: 0
; NumAgprs: 0
; TotalNumVgprs: 0
; ScratchSize: 0
; MemoryBound: 0
; FloatMode: 240
; IeeeMode: 1
; LDSByteSize: 0 bytes/workgroup (compile time only)
; SGPRBlocks: 0
; VGPRBlocks: 0
; NumSGPRsForWavesPerEU: 4
; NumVGPRsForWavesPerEU: 1
; AccumOffset: 4
; Occupancy: 8
; WaveLimiterHint : 0
; COMPUTE_PGM_RSRC2:SCRATCH_EN: 0
; COMPUTE_PGM_RSRC2:USER_SGPR: 6
; COMPUTE_PGM_RSRC2:TRAP_HANDLER: 0
; COMPUTE_PGM_RSRC2:TGID_X_EN: 1
; COMPUTE_PGM_RSRC2:TGID_Y_EN: 0
; COMPUTE_PGM_RSRC2:TGID_Z_EN: 0
; COMPUTE_PGM_RSRC2:TIDIG_COMP_CNT: 0
; COMPUTE_PGM_RSRC3_GFX90A:ACCUM_OFFSET: 0
; COMPUTE_PGM_RSRC3_GFX90A:TG_SPLIT: 0
	.section	.text._ZN7rocprim17ROCPRIM_400000_NS6detail17trampoline_kernelINS0_14default_configENS1_25transform_config_selectorI14custom_numericLb0EEEZNS1_14transform_implILb0ES3_S6_PS5_N6thrust23THRUST_200600_302600_NS6detail15normal_iteratorINSA_10device_ptrIS5_EEEENS0_8identityIS5_EEEE10hipError_tT2_T3_mT4_P12ihipStream_tbEUlT_E_NS1_11comp_targetILNS1_3genE10ELNS1_11target_archE1201ELNS1_3gpuE5ELNS1_3repE0EEENS1_30default_config_static_selectorELNS0_4arch9wavefront6targetE1EEEvT1_,"axG",@progbits,_ZN7rocprim17ROCPRIM_400000_NS6detail17trampoline_kernelINS0_14default_configENS1_25transform_config_selectorI14custom_numericLb0EEEZNS1_14transform_implILb0ES3_S6_PS5_N6thrust23THRUST_200600_302600_NS6detail15normal_iteratorINSA_10device_ptrIS5_EEEENS0_8identityIS5_EEEE10hipError_tT2_T3_mT4_P12ihipStream_tbEUlT_E_NS1_11comp_targetILNS1_3genE10ELNS1_11target_archE1201ELNS1_3gpuE5ELNS1_3repE0EEENS1_30default_config_static_selectorELNS0_4arch9wavefront6targetE1EEEvT1_,comdat
	.protected	_ZN7rocprim17ROCPRIM_400000_NS6detail17trampoline_kernelINS0_14default_configENS1_25transform_config_selectorI14custom_numericLb0EEEZNS1_14transform_implILb0ES3_S6_PS5_N6thrust23THRUST_200600_302600_NS6detail15normal_iteratorINSA_10device_ptrIS5_EEEENS0_8identityIS5_EEEE10hipError_tT2_T3_mT4_P12ihipStream_tbEUlT_E_NS1_11comp_targetILNS1_3genE10ELNS1_11target_archE1201ELNS1_3gpuE5ELNS1_3repE0EEENS1_30default_config_static_selectorELNS0_4arch9wavefront6targetE1EEEvT1_ ; -- Begin function _ZN7rocprim17ROCPRIM_400000_NS6detail17trampoline_kernelINS0_14default_configENS1_25transform_config_selectorI14custom_numericLb0EEEZNS1_14transform_implILb0ES3_S6_PS5_N6thrust23THRUST_200600_302600_NS6detail15normal_iteratorINSA_10device_ptrIS5_EEEENS0_8identityIS5_EEEE10hipError_tT2_T3_mT4_P12ihipStream_tbEUlT_E_NS1_11comp_targetILNS1_3genE10ELNS1_11target_archE1201ELNS1_3gpuE5ELNS1_3repE0EEENS1_30default_config_static_selectorELNS0_4arch9wavefront6targetE1EEEvT1_
	.globl	_ZN7rocprim17ROCPRIM_400000_NS6detail17trampoline_kernelINS0_14default_configENS1_25transform_config_selectorI14custom_numericLb0EEEZNS1_14transform_implILb0ES3_S6_PS5_N6thrust23THRUST_200600_302600_NS6detail15normal_iteratorINSA_10device_ptrIS5_EEEENS0_8identityIS5_EEEE10hipError_tT2_T3_mT4_P12ihipStream_tbEUlT_E_NS1_11comp_targetILNS1_3genE10ELNS1_11target_archE1201ELNS1_3gpuE5ELNS1_3repE0EEENS1_30default_config_static_selectorELNS0_4arch9wavefront6targetE1EEEvT1_
	.p2align	8
	.type	_ZN7rocprim17ROCPRIM_400000_NS6detail17trampoline_kernelINS0_14default_configENS1_25transform_config_selectorI14custom_numericLb0EEEZNS1_14transform_implILb0ES3_S6_PS5_N6thrust23THRUST_200600_302600_NS6detail15normal_iteratorINSA_10device_ptrIS5_EEEENS0_8identityIS5_EEEE10hipError_tT2_T3_mT4_P12ihipStream_tbEUlT_E_NS1_11comp_targetILNS1_3genE10ELNS1_11target_archE1201ELNS1_3gpuE5ELNS1_3repE0EEENS1_30default_config_static_selectorELNS0_4arch9wavefront6targetE1EEEvT1_,@function
_ZN7rocprim17ROCPRIM_400000_NS6detail17trampoline_kernelINS0_14default_configENS1_25transform_config_selectorI14custom_numericLb0EEEZNS1_14transform_implILb0ES3_S6_PS5_N6thrust23THRUST_200600_302600_NS6detail15normal_iteratorINSA_10device_ptrIS5_EEEENS0_8identityIS5_EEEE10hipError_tT2_T3_mT4_P12ihipStream_tbEUlT_E_NS1_11comp_targetILNS1_3genE10ELNS1_11target_archE1201ELNS1_3gpuE5ELNS1_3repE0EEENS1_30default_config_static_selectorELNS0_4arch9wavefront6targetE1EEEvT1_: ; @_ZN7rocprim17ROCPRIM_400000_NS6detail17trampoline_kernelINS0_14default_configENS1_25transform_config_selectorI14custom_numericLb0EEEZNS1_14transform_implILb0ES3_S6_PS5_N6thrust23THRUST_200600_302600_NS6detail15normal_iteratorINSA_10device_ptrIS5_EEEENS0_8identityIS5_EEEE10hipError_tT2_T3_mT4_P12ihipStream_tbEUlT_E_NS1_11comp_targetILNS1_3genE10ELNS1_11target_archE1201ELNS1_3gpuE5ELNS1_3repE0EEENS1_30default_config_static_selectorELNS0_4arch9wavefront6targetE1EEEvT1_
; %bb.0:
	.section	.rodata,"a",@progbits
	.p2align	6, 0x0
	.amdhsa_kernel _ZN7rocprim17ROCPRIM_400000_NS6detail17trampoline_kernelINS0_14default_configENS1_25transform_config_selectorI14custom_numericLb0EEEZNS1_14transform_implILb0ES3_S6_PS5_N6thrust23THRUST_200600_302600_NS6detail15normal_iteratorINSA_10device_ptrIS5_EEEENS0_8identityIS5_EEEE10hipError_tT2_T3_mT4_P12ihipStream_tbEUlT_E_NS1_11comp_targetILNS1_3genE10ELNS1_11target_archE1201ELNS1_3gpuE5ELNS1_3repE0EEENS1_30default_config_static_selectorELNS0_4arch9wavefront6targetE1EEEvT1_
		.amdhsa_group_segment_fixed_size 0
		.amdhsa_private_segment_fixed_size 0
		.amdhsa_kernarg_size 40
		.amdhsa_user_sgpr_count 6
		.amdhsa_user_sgpr_private_segment_buffer 1
		.amdhsa_user_sgpr_dispatch_ptr 0
		.amdhsa_user_sgpr_queue_ptr 0
		.amdhsa_user_sgpr_kernarg_segment_ptr 1
		.amdhsa_user_sgpr_dispatch_id 0
		.amdhsa_user_sgpr_flat_scratch_init 0
		.amdhsa_user_sgpr_kernarg_preload_length 0
		.amdhsa_user_sgpr_kernarg_preload_offset 0
		.amdhsa_user_sgpr_private_segment_size 0
		.amdhsa_uses_dynamic_stack 0
		.amdhsa_system_sgpr_private_segment_wavefront_offset 0
		.amdhsa_system_sgpr_workgroup_id_x 1
		.amdhsa_system_sgpr_workgroup_id_y 0
		.amdhsa_system_sgpr_workgroup_id_z 0
		.amdhsa_system_sgpr_workgroup_info 0
		.amdhsa_system_vgpr_workitem_id 0
		.amdhsa_next_free_vgpr 1
		.amdhsa_next_free_sgpr 0
		.amdhsa_accum_offset 4
		.amdhsa_reserve_vcc 0
		.amdhsa_reserve_flat_scratch 0
		.amdhsa_float_round_mode_32 0
		.amdhsa_float_round_mode_16_64 0
		.amdhsa_float_denorm_mode_32 3
		.amdhsa_float_denorm_mode_16_64 3
		.amdhsa_dx10_clamp 1
		.amdhsa_ieee_mode 1
		.amdhsa_fp16_overflow 0
		.amdhsa_tg_split 0
		.amdhsa_exception_fp_ieee_invalid_op 0
		.amdhsa_exception_fp_denorm_src 0
		.amdhsa_exception_fp_ieee_div_zero 0
		.amdhsa_exception_fp_ieee_overflow 0
		.amdhsa_exception_fp_ieee_underflow 0
		.amdhsa_exception_fp_ieee_inexact 0
		.amdhsa_exception_int_div_zero 0
	.end_amdhsa_kernel
	.section	.text._ZN7rocprim17ROCPRIM_400000_NS6detail17trampoline_kernelINS0_14default_configENS1_25transform_config_selectorI14custom_numericLb0EEEZNS1_14transform_implILb0ES3_S6_PS5_N6thrust23THRUST_200600_302600_NS6detail15normal_iteratorINSA_10device_ptrIS5_EEEENS0_8identityIS5_EEEE10hipError_tT2_T3_mT4_P12ihipStream_tbEUlT_E_NS1_11comp_targetILNS1_3genE10ELNS1_11target_archE1201ELNS1_3gpuE5ELNS1_3repE0EEENS1_30default_config_static_selectorELNS0_4arch9wavefront6targetE1EEEvT1_,"axG",@progbits,_ZN7rocprim17ROCPRIM_400000_NS6detail17trampoline_kernelINS0_14default_configENS1_25transform_config_selectorI14custom_numericLb0EEEZNS1_14transform_implILb0ES3_S6_PS5_N6thrust23THRUST_200600_302600_NS6detail15normal_iteratorINSA_10device_ptrIS5_EEEENS0_8identityIS5_EEEE10hipError_tT2_T3_mT4_P12ihipStream_tbEUlT_E_NS1_11comp_targetILNS1_3genE10ELNS1_11target_archE1201ELNS1_3gpuE5ELNS1_3repE0EEENS1_30default_config_static_selectorELNS0_4arch9wavefront6targetE1EEEvT1_,comdat
.Lfunc_end1468:
	.size	_ZN7rocprim17ROCPRIM_400000_NS6detail17trampoline_kernelINS0_14default_configENS1_25transform_config_selectorI14custom_numericLb0EEEZNS1_14transform_implILb0ES3_S6_PS5_N6thrust23THRUST_200600_302600_NS6detail15normal_iteratorINSA_10device_ptrIS5_EEEENS0_8identityIS5_EEEE10hipError_tT2_T3_mT4_P12ihipStream_tbEUlT_E_NS1_11comp_targetILNS1_3genE10ELNS1_11target_archE1201ELNS1_3gpuE5ELNS1_3repE0EEENS1_30default_config_static_selectorELNS0_4arch9wavefront6targetE1EEEvT1_, .Lfunc_end1468-_ZN7rocprim17ROCPRIM_400000_NS6detail17trampoline_kernelINS0_14default_configENS1_25transform_config_selectorI14custom_numericLb0EEEZNS1_14transform_implILb0ES3_S6_PS5_N6thrust23THRUST_200600_302600_NS6detail15normal_iteratorINSA_10device_ptrIS5_EEEENS0_8identityIS5_EEEE10hipError_tT2_T3_mT4_P12ihipStream_tbEUlT_E_NS1_11comp_targetILNS1_3genE10ELNS1_11target_archE1201ELNS1_3gpuE5ELNS1_3repE0EEENS1_30default_config_static_selectorELNS0_4arch9wavefront6targetE1EEEvT1_
                                        ; -- End function
	.section	.AMDGPU.csdata,"",@progbits
; Kernel info:
; codeLenInByte = 0
; NumSgprs: 4
; NumVgprs: 0
; NumAgprs: 0
; TotalNumVgprs: 0
; ScratchSize: 0
; MemoryBound: 0
; FloatMode: 240
; IeeeMode: 1
; LDSByteSize: 0 bytes/workgroup (compile time only)
; SGPRBlocks: 0
; VGPRBlocks: 0
; NumSGPRsForWavesPerEU: 4
; NumVGPRsForWavesPerEU: 1
; AccumOffset: 4
; Occupancy: 8
; WaveLimiterHint : 0
; COMPUTE_PGM_RSRC2:SCRATCH_EN: 0
; COMPUTE_PGM_RSRC2:USER_SGPR: 6
; COMPUTE_PGM_RSRC2:TRAP_HANDLER: 0
; COMPUTE_PGM_RSRC2:TGID_X_EN: 1
; COMPUTE_PGM_RSRC2:TGID_Y_EN: 0
; COMPUTE_PGM_RSRC2:TGID_Z_EN: 0
; COMPUTE_PGM_RSRC2:TIDIG_COMP_CNT: 0
; COMPUTE_PGM_RSRC3_GFX90A:ACCUM_OFFSET: 0
; COMPUTE_PGM_RSRC3_GFX90A:TG_SPLIT: 0
	.section	.text._ZN7rocprim17ROCPRIM_400000_NS6detail17trampoline_kernelINS0_14default_configENS1_25transform_config_selectorI14custom_numericLb0EEEZNS1_14transform_implILb0ES3_S6_PS5_N6thrust23THRUST_200600_302600_NS6detail15normal_iteratorINSA_10device_ptrIS5_EEEENS0_8identityIS5_EEEE10hipError_tT2_T3_mT4_P12ihipStream_tbEUlT_E_NS1_11comp_targetILNS1_3genE10ELNS1_11target_archE1200ELNS1_3gpuE4ELNS1_3repE0EEENS1_30default_config_static_selectorELNS0_4arch9wavefront6targetE1EEEvT1_,"axG",@progbits,_ZN7rocprim17ROCPRIM_400000_NS6detail17trampoline_kernelINS0_14default_configENS1_25transform_config_selectorI14custom_numericLb0EEEZNS1_14transform_implILb0ES3_S6_PS5_N6thrust23THRUST_200600_302600_NS6detail15normal_iteratorINSA_10device_ptrIS5_EEEENS0_8identityIS5_EEEE10hipError_tT2_T3_mT4_P12ihipStream_tbEUlT_E_NS1_11comp_targetILNS1_3genE10ELNS1_11target_archE1200ELNS1_3gpuE4ELNS1_3repE0EEENS1_30default_config_static_selectorELNS0_4arch9wavefront6targetE1EEEvT1_,comdat
	.protected	_ZN7rocprim17ROCPRIM_400000_NS6detail17trampoline_kernelINS0_14default_configENS1_25transform_config_selectorI14custom_numericLb0EEEZNS1_14transform_implILb0ES3_S6_PS5_N6thrust23THRUST_200600_302600_NS6detail15normal_iteratorINSA_10device_ptrIS5_EEEENS0_8identityIS5_EEEE10hipError_tT2_T3_mT4_P12ihipStream_tbEUlT_E_NS1_11comp_targetILNS1_3genE10ELNS1_11target_archE1200ELNS1_3gpuE4ELNS1_3repE0EEENS1_30default_config_static_selectorELNS0_4arch9wavefront6targetE1EEEvT1_ ; -- Begin function _ZN7rocprim17ROCPRIM_400000_NS6detail17trampoline_kernelINS0_14default_configENS1_25transform_config_selectorI14custom_numericLb0EEEZNS1_14transform_implILb0ES3_S6_PS5_N6thrust23THRUST_200600_302600_NS6detail15normal_iteratorINSA_10device_ptrIS5_EEEENS0_8identityIS5_EEEE10hipError_tT2_T3_mT4_P12ihipStream_tbEUlT_E_NS1_11comp_targetILNS1_3genE10ELNS1_11target_archE1200ELNS1_3gpuE4ELNS1_3repE0EEENS1_30default_config_static_selectorELNS0_4arch9wavefront6targetE1EEEvT1_
	.globl	_ZN7rocprim17ROCPRIM_400000_NS6detail17trampoline_kernelINS0_14default_configENS1_25transform_config_selectorI14custom_numericLb0EEEZNS1_14transform_implILb0ES3_S6_PS5_N6thrust23THRUST_200600_302600_NS6detail15normal_iteratorINSA_10device_ptrIS5_EEEENS0_8identityIS5_EEEE10hipError_tT2_T3_mT4_P12ihipStream_tbEUlT_E_NS1_11comp_targetILNS1_3genE10ELNS1_11target_archE1200ELNS1_3gpuE4ELNS1_3repE0EEENS1_30default_config_static_selectorELNS0_4arch9wavefront6targetE1EEEvT1_
	.p2align	8
	.type	_ZN7rocprim17ROCPRIM_400000_NS6detail17trampoline_kernelINS0_14default_configENS1_25transform_config_selectorI14custom_numericLb0EEEZNS1_14transform_implILb0ES3_S6_PS5_N6thrust23THRUST_200600_302600_NS6detail15normal_iteratorINSA_10device_ptrIS5_EEEENS0_8identityIS5_EEEE10hipError_tT2_T3_mT4_P12ihipStream_tbEUlT_E_NS1_11comp_targetILNS1_3genE10ELNS1_11target_archE1200ELNS1_3gpuE4ELNS1_3repE0EEENS1_30default_config_static_selectorELNS0_4arch9wavefront6targetE1EEEvT1_,@function
_ZN7rocprim17ROCPRIM_400000_NS6detail17trampoline_kernelINS0_14default_configENS1_25transform_config_selectorI14custom_numericLb0EEEZNS1_14transform_implILb0ES3_S6_PS5_N6thrust23THRUST_200600_302600_NS6detail15normal_iteratorINSA_10device_ptrIS5_EEEENS0_8identityIS5_EEEE10hipError_tT2_T3_mT4_P12ihipStream_tbEUlT_E_NS1_11comp_targetILNS1_3genE10ELNS1_11target_archE1200ELNS1_3gpuE4ELNS1_3repE0EEENS1_30default_config_static_selectorELNS0_4arch9wavefront6targetE1EEEvT1_: ; @_ZN7rocprim17ROCPRIM_400000_NS6detail17trampoline_kernelINS0_14default_configENS1_25transform_config_selectorI14custom_numericLb0EEEZNS1_14transform_implILb0ES3_S6_PS5_N6thrust23THRUST_200600_302600_NS6detail15normal_iteratorINSA_10device_ptrIS5_EEEENS0_8identityIS5_EEEE10hipError_tT2_T3_mT4_P12ihipStream_tbEUlT_E_NS1_11comp_targetILNS1_3genE10ELNS1_11target_archE1200ELNS1_3gpuE4ELNS1_3repE0EEENS1_30default_config_static_selectorELNS0_4arch9wavefront6targetE1EEEvT1_
; %bb.0:
	.section	.rodata,"a",@progbits
	.p2align	6, 0x0
	.amdhsa_kernel _ZN7rocprim17ROCPRIM_400000_NS6detail17trampoline_kernelINS0_14default_configENS1_25transform_config_selectorI14custom_numericLb0EEEZNS1_14transform_implILb0ES3_S6_PS5_N6thrust23THRUST_200600_302600_NS6detail15normal_iteratorINSA_10device_ptrIS5_EEEENS0_8identityIS5_EEEE10hipError_tT2_T3_mT4_P12ihipStream_tbEUlT_E_NS1_11comp_targetILNS1_3genE10ELNS1_11target_archE1200ELNS1_3gpuE4ELNS1_3repE0EEENS1_30default_config_static_selectorELNS0_4arch9wavefront6targetE1EEEvT1_
		.amdhsa_group_segment_fixed_size 0
		.amdhsa_private_segment_fixed_size 0
		.amdhsa_kernarg_size 40
		.amdhsa_user_sgpr_count 6
		.amdhsa_user_sgpr_private_segment_buffer 1
		.amdhsa_user_sgpr_dispatch_ptr 0
		.amdhsa_user_sgpr_queue_ptr 0
		.amdhsa_user_sgpr_kernarg_segment_ptr 1
		.amdhsa_user_sgpr_dispatch_id 0
		.amdhsa_user_sgpr_flat_scratch_init 0
		.amdhsa_user_sgpr_kernarg_preload_length 0
		.amdhsa_user_sgpr_kernarg_preload_offset 0
		.amdhsa_user_sgpr_private_segment_size 0
		.amdhsa_uses_dynamic_stack 0
		.amdhsa_system_sgpr_private_segment_wavefront_offset 0
		.amdhsa_system_sgpr_workgroup_id_x 1
		.amdhsa_system_sgpr_workgroup_id_y 0
		.amdhsa_system_sgpr_workgroup_id_z 0
		.amdhsa_system_sgpr_workgroup_info 0
		.amdhsa_system_vgpr_workitem_id 0
		.amdhsa_next_free_vgpr 1
		.amdhsa_next_free_sgpr 0
		.amdhsa_accum_offset 4
		.amdhsa_reserve_vcc 0
		.amdhsa_reserve_flat_scratch 0
		.amdhsa_float_round_mode_32 0
		.amdhsa_float_round_mode_16_64 0
		.amdhsa_float_denorm_mode_32 3
		.amdhsa_float_denorm_mode_16_64 3
		.amdhsa_dx10_clamp 1
		.amdhsa_ieee_mode 1
		.amdhsa_fp16_overflow 0
		.amdhsa_tg_split 0
		.amdhsa_exception_fp_ieee_invalid_op 0
		.amdhsa_exception_fp_denorm_src 0
		.amdhsa_exception_fp_ieee_div_zero 0
		.amdhsa_exception_fp_ieee_overflow 0
		.amdhsa_exception_fp_ieee_underflow 0
		.amdhsa_exception_fp_ieee_inexact 0
		.amdhsa_exception_int_div_zero 0
	.end_amdhsa_kernel
	.section	.text._ZN7rocprim17ROCPRIM_400000_NS6detail17trampoline_kernelINS0_14default_configENS1_25transform_config_selectorI14custom_numericLb0EEEZNS1_14transform_implILb0ES3_S6_PS5_N6thrust23THRUST_200600_302600_NS6detail15normal_iteratorINSA_10device_ptrIS5_EEEENS0_8identityIS5_EEEE10hipError_tT2_T3_mT4_P12ihipStream_tbEUlT_E_NS1_11comp_targetILNS1_3genE10ELNS1_11target_archE1200ELNS1_3gpuE4ELNS1_3repE0EEENS1_30default_config_static_selectorELNS0_4arch9wavefront6targetE1EEEvT1_,"axG",@progbits,_ZN7rocprim17ROCPRIM_400000_NS6detail17trampoline_kernelINS0_14default_configENS1_25transform_config_selectorI14custom_numericLb0EEEZNS1_14transform_implILb0ES3_S6_PS5_N6thrust23THRUST_200600_302600_NS6detail15normal_iteratorINSA_10device_ptrIS5_EEEENS0_8identityIS5_EEEE10hipError_tT2_T3_mT4_P12ihipStream_tbEUlT_E_NS1_11comp_targetILNS1_3genE10ELNS1_11target_archE1200ELNS1_3gpuE4ELNS1_3repE0EEENS1_30default_config_static_selectorELNS0_4arch9wavefront6targetE1EEEvT1_,comdat
.Lfunc_end1469:
	.size	_ZN7rocprim17ROCPRIM_400000_NS6detail17trampoline_kernelINS0_14default_configENS1_25transform_config_selectorI14custom_numericLb0EEEZNS1_14transform_implILb0ES3_S6_PS5_N6thrust23THRUST_200600_302600_NS6detail15normal_iteratorINSA_10device_ptrIS5_EEEENS0_8identityIS5_EEEE10hipError_tT2_T3_mT4_P12ihipStream_tbEUlT_E_NS1_11comp_targetILNS1_3genE10ELNS1_11target_archE1200ELNS1_3gpuE4ELNS1_3repE0EEENS1_30default_config_static_selectorELNS0_4arch9wavefront6targetE1EEEvT1_, .Lfunc_end1469-_ZN7rocprim17ROCPRIM_400000_NS6detail17trampoline_kernelINS0_14default_configENS1_25transform_config_selectorI14custom_numericLb0EEEZNS1_14transform_implILb0ES3_S6_PS5_N6thrust23THRUST_200600_302600_NS6detail15normal_iteratorINSA_10device_ptrIS5_EEEENS0_8identityIS5_EEEE10hipError_tT2_T3_mT4_P12ihipStream_tbEUlT_E_NS1_11comp_targetILNS1_3genE10ELNS1_11target_archE1200ELNS1_3gpuE4ELNS1_3repE0EEENS1_30default_config_static_selectorELNS0_4arch9wavefront6targetE1EEEvT1_
                                        ; -- End function
	.section	.AMDGPU.csdata,"",@progbits
; Kernel info:
; codeLenInByte = 0
; NumSgprs: 4
; NumVgprs: 0
; NumAgprs: 0
; TotalNumVgprs: 0
; ScratchSize: 0
; MemoryBound: 0
; FloatMode: 240
; IeeeMode: 1
; LDSByteSize: 0 bytes/workgroup (compile time only)
; SGPRBlocks: 0
; VGPRBlocks: 0
; NumSGPRsForWavesPerEU: 4
; NumVGPRsForWavesPerEU: 1
; AccumOffset: 4
; Occupancy: 8
; WaveLimiterHint : 0
; COMPUTE_PGM_RSRC2:SCRATCH_EN: 0
; COMPUTE_PGM_RSRC2:USER_SGPR: 6
; COMPUTE_PGM_RSRC2:TRAP_HANDLER: 0
; COMPUTE_PGM_RSRC2:TGID_X_EN: 1
; COMPUTE_PGM_RSRC2:TGID_Y_EN: 0
; COMPUTE_PGM_RSRC2:TGID_Z_EN: 0
; COMPUTE_PGM_RSRC2:TIDIG_COMP_CNT: 0
; COMPUTE_PGM_RSRC3_GFX90A:ACCUM_OFFSET: 0
; COMPUTE_PGM_RSRC3_GFX90A:TG_SPLIT: 0
	.section	.text._ZN7rocprim17ROCPRIM_400000_NS6detail17trampoline_kernelINS0_14default_configENS1_25transform_config_selectorI14custom_numericLb0EEEZNS1_14transform_implILb0ES3_S6_PS5_N6thrust23THRUST_200600_302600_NS6detail15normal_iteratorINSA_10device_ptrIS5_EEEENS0_8identityIS5_EEEE10hipError_tT2_T3_mT4_P12ihipStream_tbEUlT_E_NS1_11comp_targetILNS1_3genE9ELNS1_11target_archE1100ELNS1_3gpuE3ELNS1_3repE0EEENS1_30default_config_static_selectorELNS0_4arch9wavefront6targetE1EEEvT1_,"axG",@progbits,_ZN7rocprim17ROCPRIM_400000_NS6detail17trampoline_kernelINS0_14default_configENS1_25transform_config_selectorI14custom_numericLb0EEEZNS1_14transform_implILb0ES3_S6_PS5_N6thrust23THRUST_200600_302600_NS6detail15normal_iteratorINSA_10device_ptrIS5_EEEENS0_8identityIS5_EEEE10hipError_tT2_T3_mT4_P12ihipStream_tbEUlT_E_NS1_11comp_targetILNS1_3genE9ELNS1_11target_archE1100ELNS1_3gpuE3ELNS1_3repE0EEENS1_30default_config_static_selectorELNS0_4arch9wavefront6targetE1EEEvT1_,comdat
	.protected	_ZN7rocprim17ROCPRIM_400000_NS6detail17trampoline_kernelINS0_14default_configENS1_25transform_config_selectorI14custom_numericLb0EEEZNS1_14transform_implILb0ES3_S6_PS5_N6thrust23THRUST_200600_302600_NS6detail15normal_iteratorINSA_10device_ptrIS5_EEEENS0_8identityIS5_EEEE10hipError_tT2_T3_mT4_P12ihipStream_tbEUlT_E_NS1_11comp_targetILNS1_3genE9ELNS1_11target_archE1100ELNS1_3gpuE3ELNS1_3repE0EEENS1_30default_config_static_selectorELNS0_4arch9wavefront6targetE1EEEvT1_ ; -- Begin function _ZN7rocprim17ROCPRIM_400000_NS6detail17trampoline_kernelINS0_14default_configENS1_25transform_config_selectorI14custom_numericLb0EEEZNS1_14transform_implILb0ES3_S6_PS5_N6thrust23THRUST_200600_302600_NS6detail15normal_iteratorINSA_10device_ptrIS5_EEEENS0_8identityIS5_EEEE10hipError_tT2_T3_mT4_P12ihipStream_tbEUlT_E_NS1_11comp_targetILNS1_3genE9ELNS1_11target_archE1100ELNS1_3gpuE3ELNS1_3repE0EEENS1_30default_config_static_selectorELNS0_4arch9wavefront6targetE1EEEvT1_
	.globl	_ZN7rocprim17ROCPRIM_400000_NS6detail17trampoline_kernelINS0_14default_configENS1_25transform_config_selectorI14custom_numericLb0EEEZNS1_14transform_implILb0ES3_S6_PS5_N6thrust23THRUST_200600_302600_NS6detail15normal_iteratorINSA_10device_ptrIS5_EEEENS0_8identityIS5_EEEE10hipError_tT2_T3_mT4_P12ihipStream_tbEUlT_E_NS1_11comp_targetILNS1_3genE9ELNS1_11target_archE1100ELNS1_3gpuE3ELNS1_3repE0EEENS1_30default_config_static_selectorELNS0_4arch9wavefront6targetE1EEEvT1_
	.p2align	8
	.type	_ZN7rocprim17ROCPRIM_400000_NS6detail17trampoline_kernelINS0_14default_configENS1_25transform_config_selectorI14custom_numericLb0EEEZNS1_14transform_implILb0ES3_S6_PS5_N6thrust23THRUST_200600_302600_NS6detail15normal_iteratorINSA_10device_ptrIS5_EEEENS0_8identityIS5_EEEE10hipError_tT2_T3_mT4_P12ihipStream_tbEUlT_E_NS1_11comp_targetILNS1_3genE9ELNS1_11target_archE1100ELNS1_3gpuE3ELNS1_3repE0EEENS1_30default_config_static_selectorELNS0_4arch9wavefront6targetE1EEEvT1_,@function
_ZN7rocprim17ROCPRIM_400000_NS6detail17trampoline_kernelINS0_14default_configENS1_25transform_config_selectorI14custom_numericLb0EEEZNS1_14transform_implILb0ES3_S6_PS5_N6thrust23THRUST_200600_302600_NS6detail15normal_iteratorINSA_10device_ptrIS5_EEEENS0_8identityIS5_EEEE10hipError_tT2_T3_mT4_P12ihipStream_tbEUlT_E_NS1_11comp_targetILNS1_3genE9ELNS1_11target_archE1100ELNS1_3gpuE3ELNS1_3repE0EEENS1_30default_config_static_selectorELNS0_4arch9wavefront6targetE1EEEvT1_: ; @_ZN7rocprim17ROCPRIM_400000_NS6detail17trampoline_kernelINS0_14default_configENS1_25transform_config_selectorI14custom_numericLb0EEEZNS1_14transform_implILb0ES3_S6_PS5_N6thrust23THRUST_200600_302600_NS6detail15normal_iteratorINSA_10device_ptrIS5_EEEENS0_8identityIS5_EEEE10hipError_tT2_T3_mT4_P12ihipStream_tbEUlT_E_NS1_11comp_targetILNS1_3genE9ELNS1_11target_archE1100ELNS1_3gpuE3ELNS1_3repE0EEENS1_30default_config_static_selectorELNS0_4arch9wavefront6targetE1EEEvT1_
; %bb.0:
	.section	.rodata,"a",@progbits
	.p2align	6, 0x0
	.amdhsa_kernel _ZN7rocprim17ROCPRIM_400000_NS6detail17trampoline_kernelINS0_14default_configENS1_25transform_config_selectorI14custom_numericLb0EEEZNS1_14transform_implILb0ES3_S6_PS5_N6thrust23THRUST_200600_302600_NS6detail15normal_iteratorINSA_10device_ptrIS5_EEEENS0_8identityIS5_EEEE10hipError_tT2_T3_mT4_P12ihipStream_tbEUlT_E_NS1_11comp_targetILNS1_3genE9ELNS1_11target_archE1100ELNS1_3gpuE3ELNS1_3repE0EEENS1_30default_config_static_selectorELNS0_4arch9wavefront6targetE1EEEvT1_
		.amdhsa_group_segment_fixed_size 0
		.amdhsa_private_segment_fixed_size 0
		.amdhsa_kernarg_size 40
		.amdhsa_user_sgpr_count 6
		.amdhsa_user_sgpr_private_segment_buffer 1
		.amdhsa_user_sgpr_dispatch_ptr 0
		.amdhsa_user_sgpr_queue_ptr 0
		.amdhsa_user_sgpr_kernarg_segment_ptr 1
		.amdhsa_user_sgpr_dispatch_id 0
		.amdhsa_user_sgpr_flat_scratch_init 0
		.amdhsa_user_sgpr_kernarg_preload_length 0
		.amdhsa_user_sgpr_kernarg_preload_offset 0
		.amdhsa_user_sgpr_private_segment_size 0
		.amdhsa_uses_dynamic_stack 0
		.amdhsa_system_sgpr_private_segment_wavefront_offset 0
		.amdhsa_system_sgpr_workgroup_id_x 1
		.amdhsa_system_sgpr_workgroup_id_y 0
		.amdhsa_system_sgpr_workgroup_id_z 0
		.amdhsa_system_sgpr_workgroup_info 0
		.amdhsa_system_vgpr_workitem_id 0
		.amdhsa_next_free_vgpr 1
		.amdhsa_next_free_sgpr 0
		.amdhsa_accum_offset 4
		.amdhsa_reserve_vcc 0
		.amdhsa_reserve_flat_scratch 0
		.amdhsa_float_round_mode_32 0
		.amdhsa_float_round_mode_16_64 0
		.amdhsa_float_denorm_mode_32 3
		.amdhsa_float_denorm_mode_16_64 3
		.amdhsa_dx10_clamp 1
		.amdhsa_ieee_mode 1
		.amdhsa_fp16_overflow 0
		.amdhsa_tg_split 0
		.amdhsa_exception_fp_ieee_invalid_op 0
		.amdhsa_exception_fp_denorm_src 0
		.amdhsa_exception_fp_ieee_div_zero 0
		.amdhsa_exception_fp_ieee_overflow 0
		.amdhsa_exception_fp_ieee_underflow 0
		.amdhsa_exception_fp_ieee_inexact 0
		.amdhsa_exception_int_div_zero 0
	.end_amdhsa_kernel
	.section	.text._ZN7rocprim17ROCPRIM_400000_NS6detail17trampoline_kernelINS0_14default_configENS1_25transform_config_selectorI14custom_numericLb0EEEZNS1_14transform_implILb0ES3_S6_PS5_N6thrust23THRUST_200600_302600_NS6detail15normal_iteratorINSA_10device_ptrIS5_EEEENS0_8identityIS5_EEEE10hipError_tT2_T3_mT4_P12ihipStream_tbEUlT_E_NS1_11comp_targetILNS1_3genE9ELNS1_11target_archE1100ELNS1_3gpuE3ELNS1_3repE0EEENS1_30default_config_static_selectorELNS0_4arch9wavefront6targetE1EEEvT1_,"axG",@progbits,_ZN7rocprim17ROCPRIM_400000_NS6detail17trampoline_kernelINS0_14default_configENS1_25transform_config_selectorI14custom_numericLb0EEEZNS1_14transform_implILb0ES3_S6_PS5_N6thrust23THRUST_200600_302600_NS6detail15normal_iteratorINSA_10device_ptrIS5_EEEENS0_8identityIS5_EEEE10hipError_tT2_T3_mT4_P12ihipStream_tbEUlT_E_NS1_11comp_targetILNS1_3genE9ELNS1_11target_archE1100ELNS1_3gpuE3ELNS1_3repE0EEENS1_30default_config_static_selectorELNS0_4arch9wavefront6targetE1EEEvT1_,comdat
.Lfunc_end1470:
	.size	_ZN7rocprim17ROCPRIM_400000_NS6detail17trampoline_kernelINS0_14default_configENS1_25transform_config_selectorI14custom_numericLb0EEEZNS1_14transform_implILb0ES3_S6_PS5_N6thrust23THRUST_200600_302600_NS6detail15normal_iteratorINSA_10device_ptrIS5_EEEENS0_8identityIS5_EEEE10hipError_tT2_T3_mT4_P12ihipStream_tbEUlT_E_NS1_11comp_targetILNS1_3genE9ELNS1_11target_archE1100ELNS1_3gpuE3ELNS1_3repE0EEENS1_30default_config_static_selectorELNS0_4arch9wavefront6targetE1EEEvT1_, .Lfunc_end1470-_ZN7rocprim17ROCPRIM_400000_NS6detail17trampoline_kernelINS0_14default_configENS1_25transform_config_selectorI14custom_numericLb0EEEZNS1_14transform_implILb0ES3_S6_PS5_N6thrust23THRUST_200600_302600_NS6detail15normal_iteratorINSA_10device_ptrIS5_EEEENS0_8identityIS5_EEEE10hipError_tT2_T3_mT4_P12ihipStream_tbEUlT_E_NS1_11comp_targetILNS1_3genE9ELNS1_11target_archE1100ELNS1_3gpuE3ELNS1_3repE0EEENS1_30default_config_static_selectorELNS0_4arch9wavefront6targetE1EEEvT1_
                                        ; -- End function
	.section	.AMDGPU.csdata,"",@progbits
; Kernel info:
; codeLenInByte = 0
; NumSgprs: 4
; NumVgprs: 0
; NumAgprs: 0
; TotalNumVgprs: 0
; ScratchSize: 0
; MemoryBound: 0
; FloatMode: 240
; IeeeMode: 1
; LDSByteSize: 0 bytes/workgroup (compile time only)
; SGPRBlocks: 0
; VGPRBlocks: 0
; NumSGPRsForWavesPerEU: 4
; NumVGPRsForWavesPerEU: 1
; AccumOffset: 4
; Occupancy: 8
; WaveLimiterHint : 0
; COMPUTE_PGM_RSRC2:SCRATCH_EN: 0
; COMPUTE_PGM_RSRC2:USER_SGPR: 6
; COMPUTE_PGM_RSRC2:TRAP_HANDLER: 0
; COMPUTE_PGM_RSRC2:TGID_X_EN: 1
; COMPUTE_PGM_RSRC2:TGID_Y_EN: 0
; COMPUTE_PGM_RSRC2:TGID_Z_EN: 0
; COMPUTE_PGM_RSRC2:TIDIG_COMP_CNT: 0
; COMPUTE_PGM_RSRC3_GFX90A:ACCUM_OFFSET: 0
; COMPUTE_PGM_RSRC3_GFX90A:TG_SPLIT: 0
	.section	.text._ZN7rocprim17ROCPRIM_400000_NS6detail17trampoline_kernelINS0_14default_configENS1_25transform_config_selectorI14custom_numericLb0EEEZNS1_14transform_implILb0ES3_S6_PS5_N6thrust23THRUST_200600_302600_NS6detail15normal_iteratorINSA_10device_ptrIS5_EEEENS0_8identityIS5_EEEE10hipError_tT2_T3_mT4_P12ihipStream_tbEUlT_E_NS1_11comp_targetILNS1_3genE8ELNS1_11target_archE1030ELNS1_3gpuE2ELNS1_3repE0EEENS1_30default_config_static_selectorELNS0_4arch9wavefront6targetE1EEEvT1_,"axG",@progbits,_ZN7rocprim17ROCPRIM_400000_NS6detail17trampoline_kernelINS0_14default_configENS1_25transform_config_selectorI14custom_numericLb0EEEZNS1_14transform_implILb0ES3_S6_PS5_N6thrust23THRUST_200600_302600_NS6detail15normal_iteratorINSA_10device_ptrIS5_EEEENS0_8identityIS5_EEEE10hipError_tT2_T3_mT4_P12ihipStream_tbEUlT_E_NS1_11comp_targetILNS1_3genE8ELNS1_11target_archE1030ELNS1_3gpuE2ELNS1_3repE0EEENS1_30default_config_static_selectorELNS0_4arch9wavefront6targetE1EEEvT1_,comdat
	.protected	_ZN7rocprim17ROCPRIM_400000_NS6detail17trampoline_kernelINS0_14default_configENS1_25transform_config_selectorI14custom_numericLb0EEEZNS1_14transform_implILb0ES3_S6_PS5_N6thrust23THRUST_200600_302600_NS6detail15normal_iteratorINSA_10device_ptrIS5_EEEENS0_8identityIS5_EEEE10hipError_tT2_T3_mT4_P12ihipStream_tbEUlT_E_NS1_11comp_targetILNS1_3genE8ELNS1_11target_archE1030ELNS1_3gpuE2ELNS1_3repE0EEENS1_30default_config_static_selectorELNS0_4arch9wavefront6targetE1EEEvT1_ ; -- Begin function _ZN7rocprim17ROCPRIM_400000_NS6detail17trampoline_kernelINS0_14default_configENS1_25transform_config_selectorI14custom_numericLb0EEEZNS1_14transform_implILb0ES3_S6_PS5_N6thrust23THRUST_200600_302600_NS6detail15normal_iteratorINSA_10device_ptrIS5_EEEENS0_8identityIS5_EEEE10hipError_tT2_T3_mT4_P12ihipStream_tbEUlT_E_NS1_11comp_targetILNS1_3genE8ELNS1_11target_archE1030ELNS1_3gpuE2ELNS1_3repE0EEENS1_30default_config_static_selectorELNS0_4arch9wavefront6targetE1EEEvT1_
	.globl	_ZN7rocprim17ROCPRIM_400000_NS6detail17trampoline_kernelINS0_14default_configENS1_25transform_config_selectorI14custom_numericLb0EEEZNS1_14transform_implILb0ES3_S6_PS5_N6thrust23THRUST_200600_302600_NS6detail15normal_iteratorINSA_10device_ptrIS5_EEEENS0_8identityIS5_EEEE10hipError_tT2_T3_mT4_P12ihipStream_tbEUlT_E_NS1_11comp_targetILNS1_3genE8ELNS1_11target_archE1030ELNS1_3gpuE2ELNS1_3repE0EEENS1_30default_config_static_selectorELNS0_4arch9wavefront6targetE1EEEvT1_
	.p2align	8
	.type	_ZN7rocprim17ROCPRIM_400000_NS6detail17trampoline_kernelINS0_14default_configENS1_25transform_config_selectorI14custom_numericLb0EEEZNS1_14transform_implILb0ES3_S6_PS5_N6thrust23THRUST_200600_302600_NS6detail15normal_iteratorINSA_10device_ptrIS5_EEEENS0_8identityIS5_EEEE10hipError_tT2_T3_mT4_P12ihipStream_tbEUlT_E_NS1_11comp_targetILNS1_3genE8ELNS1_11target_archE1030ELNS1_3gpuE2ELNS1_3repE0EEENS1_30default_config_static_selectorELNS0_4arch9wavefront6targetE1EEEvT1_,@function
_ZN7rocprim17ROCPRIM_400000_NS6detail17trampoline_kernelINS0_14default_configENS1_25transform_config_selectorI14custom_numericLb0EEEZNS1_14transform_implILb0ES3_S6_PS5_N6thrust23THRUST_200600_302600_NS6detail15normal_iteratorINSA_10device_ptrIS5_EEEENS0_8identityIS5_EEEE10hipError_tT2_T3_mT4_P12ihipStream_tbEUlT_E_NS1_11comp_targetILNS1_3genE8ELNS1_11target_archE1030ELNS1_3gpuE2ELNS1_3repE0EEENS1_30default_config_static_selectorELNS0_4arch9wavefront6targetE1EEEvT1_: ; @_ZN7rocprim17ROCPRIM_400000_NS6detail17trampoline_kernelINS0_14default_configENS1_25transform_config_selectorI14custom_numericLb0EEEZNS1_14transform_implILb0ES3_S6_PS5_N6thrust23THRUST_200600_302600_NS6detail15normal_iteratorINSA_10device_ptrIS5_EEEENS0_8identityIS5_EEEE10hipError_tT2_T3_mT4_P12ihipStream_tbEUlT_E_NS1_11comp_targetILNS1_3genE8ELNS1_11target_archE1030ELNS1_3gpuE2ELNS1_3repE0EEENS1_30default_config_static_selectorELNS0_4arch9wavefront6targetE1EEEvT1_
; %bb.0:
	.section	.rodata,"a",@progbits
	.p2align	6, 0x0
	.amdhsa_kernel _ZN7rocprim17ROCPRIM_400000_NS6detail17trampoline_kernelINS0_14default_configENS1_25transform_config_selectorI14custom_numericLb0EEEZNS1_14transform_implILb0ES3_S6_PS5_N6thrust23THRUST_200600_302600_NS6detail15normal_iteratorINSA_10device_ptrIS5_EEEENS0_8identityIS5_EEEE10hipError_tT2_T3_mT4_P12ihipStream_tbEUlT_E_NS1_11comp_targetILNS1_3genE8ELNS1_11target_archE1030ELNS1_3gpuE2ELNS1_3repE0EEENS1_30default_config_static_selectorELNS0_4arch9wavefront6targetE1EEEvT1_
		.amdhsa_group_segment_fixed_size 0
		.amdhsa_private_segment_fixed_size 0
		.amdhsa_kernarg_size 40
		.amdhsa_user_sgpr_count 6
		.amdhsa_user_sgpr_private_segment_buffer 1
		.amdhsa_user_sgpr_dispatch_ptr 0
		.amdhsa_user_sgpr_queue_ptr 0
		.amdhsa_user_sgpr_kernarg_segment_ptr 1
		.amdhsa_user_sgpr_dispatch_id 0
		.amdhsa_user_sgpr_flat_scratch_init 0
		.amdhsa_user_sgpr_kernarg_preload_length 0
		.amdhsa_user_sgpr_kernarg_preload_offset 0
		.amdhsa_user_sgpr_private_segment_size 0
		.amdhsa_uses_dynamic_stack 0
		.amdhsa_system_sgpr_private_segment_wavefront_offset 0
		.amdhsa_system_sgpr_workgroup_id_x 1
		.amdhsa_system_sgpr_workgroup_id_y 0
		.amdhsa_system_sgpr_workgroup_id_z 0
		.amdhsa_system_sgpr_workgroup_info 0
		.amdhsa_system_vgpr_workitem_id 0
		.amdhsa_next_free_vgpr 1
		.amdhsa_next_free_sgpr 0
		.amdhsa_accum_offset 4
		.amdhsa_reserve_vcc 0
		.amdhsa_reserve_flat_scratch 0
		.amdhsa_float_round_mode_32 0
		.amdhsa_float_round_mode_16_64 0
		.amdhsa_float_denorm_mode_32 3
		.amdhsa_float_denorm_mode_16_64 3
		.amdhsa_dx10_clamp 1
		.amdhsa_ieee_mode 1
		.amdhsa_fp16_overflow 0
		.amdhsa_tg_split 0
		.amdhsa_exception_fp_ieee_invalid_op 0
		.amdhsa_exception_fp_denorm_src 0
		.amdhsa_exception_fp_ieee_div_zero 0
		.amdhsa_exception_fp_ieee_overflow 0
		.amdhsa_exception_fp_ieee_underflow 0
		.amdhsa_exception_fp_ieee_inexact 0
		.amdhsa_exception_int_div_zero 0
	.end_amdhsa_kernel
	.section	.text._ZN7rocprim17ROCPRIM_400000_NS6detail17trampoline_kernelINS0_14default_configENS1_25transform_config_selectorI14custom_numericLb0EEEZNS1_14transform_implILb0ES3_S6_PS5_N6thrust23THRUST_200600_302600_NS6detail15normal_iteratorINSA_10device_ptrIS5_EEEENS0_8identityIS5_EEEE10hipError_tT2_T3_mT4_P12ihipStream_tbEUlT_E_NS1_11comp_targetILNS1_3genE8ELNS1_11target_archE1030ELNS1_3gpuE2ELNS1_3repE0EEENS1_30default_config_static_selectorELNS0_4arch9wavefront6targetE1EEEvT1_,"axG",@progbits,_ZN7rocprim17ROCPRIM_400000_NS6detail17trampoline_kernelINS0_14default_configENS1_25transform_config_selectorI14custom_numericLb0EEEZNS1_14transform_implILb0ES3_S6_PS5_N6thrust23THRUST_200600_302600_NS6detail15normal_iteratorINSA_10device_ptrIS5_EEEENS0_8identityIS5_EEEE10hipError_tT2_T3_mT4_P12ihipStream_tbEUlT_E_NS1_11comp_targetILNS1_3genE8ELNS1_11target_archE1030ELNS1_3gpuE2ELNS1_3repE0EEENS1_30default_config_static_selectorELNS0_4arch9wavefront6targetE1EEEvT1_,comdat
.Lfunc_end1471:
	.size	_ZN7rocprim17ROCPRIM_400000_NS6detail17trampoline_kernelINS0_14default_configENS1_25transform_config_selectorI14custom_numericLb0EEEZNS1_14transform_implILb0ES3_S6_PS5_N6thrust23THRUST_200600_302600_NS6detail15normal_iteratorINSA_10device_ptrIS5_EEEENS0_8identityIS5_EEEE10hipError_tT2_T3_mT4_P12ihipStream_tbEUlT_E_NS1_11comp_targetILNS1_3genE8ELNS1_11target_archE1030ELNS1_3gpuE2ELNS1_3repE0EEENS1_30default_config_static_selectorELNS0_4arch9wavefront6targetE1EEEvT1_, .Lfunc_end1471-_ZN7rocprim17ROCPRIM_400000_NS6detail17trampoline_kernelINS0_14default_configENS1_25transform_config_selectorI14custom_numericLb0EEEZNS1_14transform_implILb0ES3_S6_PS5_N6thrust23THRUST_200600_302600_NS6detail15normal_iteratorINSA_10device_ptrIS5_EEEENS0_8identityIS5_EEEE10hipError_tT2_T3_mT4_P12ihipStream_tbEUlT_E_NS1_11comp_targetILNS1_3genE8ELNS1_11target_archE1030ELNS1_3gpuE2ELNS1_3repE0EEENS1_30default_config_static_selectorELNS0_4arch9wavefront6targetE1EEEvT1_
                                        ; -- End function
	.section	.AMDGPU.csdata,"",@progbits
; Kernel info:
; codeLenInByte = 0
; NumSgprs: 4
; NumVgprs: 0
; NumAgprs: 0
; TotalNumVgprs: 0
; ScratchSize: 0
; MemoryBound: 0
; FloatMode: 240
; IeeeMode: 1
; LDSByteSize: 0 bytes/workgroup (compile time only)
; SGPRBlocks: 0
; VGPRBlocks: 0
; NumSGPRsForWavesPerEU: 4
; NumVGPRsForWavesPerEU: 1
; AccumOffset: 4
; Occupancy: 8
; WaveLimiterHint : 0
; COMPUTE_PGM_RSRC2:SCRATCH_EN: 0
; COMPUTE_PGM_RSRC2:USER_SGPR: 6
; COMPUTE_PGM_RSRC2:TRAP_HANDLER: 0
; COMPUTE_PGM_RSRC2:TGID_X_EN: 1
; COMPUTE_PGM_RSRC2:TGID_Y_EN: 0
; COMPUTE_PGM_RSRC2:TGID_Z_EN: 0
; COMPUTE_PGM_RSRC2:TIDIG_COMP_CNT: 0
; COMPUTE_PGM_RSRC3_GFX90A:ACCUM_OFFSET: 0
; COMPUTE_PGM_RSRC3_GFX90A:TG_SPLIT: 0
	.section	.text._ZN7rocprim17ROCPRIM_400000_NS6detail17trampoline_kernelINS0_13kernel_configILj256ELj4ELj4294967295EEENS1_37radix_sort_block_sort_config_selectorIcNS0_10empty_typeEEEZNS1_21radix_sort_block_sortIS4_Lb1EPcS9_PS6_SA_NS0_19identity_decomposerEEE10hipError_tT1_T2_T3_T4_jRjT5_jjP12ihipStream_tbEUlT_E_NS1_11comp_targetILNS1_3genE0ELNS1_11target_archE4294967295ELNS1_3gpuE0ELNS1_3repE0EEENS1_44radix_sort_block_sort_config_static_selectorELNS0_4arch9wavefront6targetE1EEEvSD_,"axG",@progbits,_ZN7rocprim17ROCPRIM_400000_NS6detail17trampoline_kernelINS0_13kernel_configILj256ELj4ELj4294967295EEENS1_37radix_sort_block_sort_config_selectorIcNS0_10empty_typeEEEZNS1_21radix_sort_block_sortIS4_Lb1EPcS9_PS6_SA_NS0_19identity_decomposerEEE10hipError_tT1_T2_T3_T4_jRjT5_jjP12ihipStream_tbEUlT_E_NS1_11comp_targetILNS1_3genE0ELNS1_11target_archE4294967295ELNS1_3gpuE0ELNS1_3repE0EEENS1_44radix_sort_block_sort_config_static_selectorELNS0_4arch9wavefront6targetE1EEEvSD_,comdat
	.protected	_ZN7rocprim17ROCPRIM_400000_NS6detail17trampoline_kernelINS0_13kernel_configILj256ELj4ELj4294967295EEENS1_37radix_sort_block_sort_config_selectorIcNS0_10empty_typeEEEZNS1_21radix_sort_block_sortIS4_Lb1EPcS9_PS6_SA_NS0_19identity_decomposerEEE10hipError_tT1_T2_T3_T4_jRjT5_jjP12ihipStream_tbEUlT_E_NS1_11comp_targetILNS1_3genE0ELNS1_11target_archE4294967295ELNS1_3gpuE0ELNS1_3repE0EEENS1_44radix_sort_block_sort_config_static_selectorELNS0_4arch9wavefront6targetE1EEEvSD_ ; -- Begin function _ZN7rocprim17ROCPRIM_400000_NS6detail17trampoline_kernelINS0_13kernel_configILj256ELj4ELj4294967295EEENS1_37radix_sort_block_sort_config_selectorIcNS0_10empty_typeEEEZNS1_21radix_sort_block_sortIS4_Lb1EPcS9_PS6_SA_NS0_19identity_decomposerEEE10hipError_tT1_T2_T3_T4_jRjT5_jjP12ihipStream_tbEUlT_E_NS1_11comp_targetILNS1_3genE0ELNS1_11target_archE4294967295ELNS1_3gpuE0ELNS1_3repE0EEENS1_44radix_sort_block_sort_config_static_selectorELNS0_4arch9wavefront6targetE1EEEvSD_
	.globl	_ZN7rocprim17ROCPRIM_400000_NS6detail17trampoline_kernelINS0_13kernel_configILj256ELj4ELj4294967295EEENS1_37radix_sort_block_sort_config_selectorIcNS0_10empty_typeEEEZNS1_21radix_sort_block_sortIS4_Lb1EPcS9_PS6_SA_NS0_19identity_decomposerEEE10hipError_tT1_T2_T3_T4_jRjT5_jjP12ihipStream_tbEUlT_E_NS1_11comp_targetILNS1_3genE0ELNS1_11target_archE4294967295ELNS1_3gpuE0ELNS1_3repE0EEENS1_44radix_sort_block_sort_config_static_selectorELNS0_4arch9wavefront6targetE1EEEvSD_
	.p2align	8
	.type	_ZN7rocprim17ROCPRIM_400000_NS6detail17trampoline_kernelINS0_13kernel_configILj256ELj4ELj4294967295EEENS1_37radix_sort_block_sort_config_selectorIcNS0_10empty_typeEEEZNS1_21radix_sort_block_sortIS4_Lb1EPcS9_PS6_SA_NS0_19identity_decomposerEEE10hipError_tT1_T2_T3_T4_jRjT5_jjP12ihipStream_tbEUlT_E_NS1_11comp_targetILNS1_3genE0ELNS1_11target_archE4294967295ELNS1_3gpuE0ELNS1_3repE0EEENS1_44radix_sort_block_sort_config_static_selectorELNS0_4arch9wavefront6targetE1EEEvSD_,@function
_ZN7rocprim17ROCPRIM_400000_NS6detail17trampoline_kernelINS0_13kernel_configILj256ELj4ELj4294967295EEENS1_37radix_sort_block_sort_config_selectorIcNS0_10empty_typeEEEZNS1_21radix_sort_block_sortIS4_Lb1EPcS9_PS6_SA_NS0_19identity_decomposerEEE10hipError_tT1_T2_T3_T4_jRjT5_jjP12ihipStream_tbEUlT_E_NS1_11comp_targetILNS1_3genE0ELNS1_11target_archE4294967295ELNS1_3gpuE0ELNS1_3repE0EEENS1_44radix_sort_block_sort_config_static_selectorELNS0_4arch9wavefront6targetE1EEEvSD_: ; @_ZN7rocprim17ROCPRIM_400000_NS6detail17trampoline_kernelINS0_13kernel_configILj256ELj4ELj4294967295EEENS1_37radix_sort_block_sort_config_selectorIcNS0_10empty_typeEEEZNS1_21radix_sort_block_sortIS4_Lb1EPcS9_PS6_SA_NS0_19identity_decomposerEEE10hipError_tT1_T2_T3_T4_jRjT5_jjP12ihipStream_tbEUlT_E_NS1_11comp_targetILNS1_3genE0ELNS1_11target_archE4294967295ELNS1_3gpuE0ELNS1_3repE0EEENS1_44radix_sort_block_sort_config_static_selectorELNS0_4arch9wavefront6targetE1EEEvSD_
; %bb.0:
	.section	.rodata,"a",@progbits
	.p2align	6, 0x0
	.amdhsa_kernel _ZN7rocprim17ROCPRIM_400000_NS6detail17trampoline_kernelINS0_13kernel_configILj256ELj4ELj4294967295EEENS1_37radix_sort_block_sort_config_selectorIcNS0_10empty_typeEEEZNS1_21radix_sort_block_sortIS4_Lb1EPcS9_PS6_SA_NS0_19identity_decomposerEEE10hipError_tT1_T2_T3_T4_jRjT5_jjP12ihipStream_tbEUlT_E_NS1_11comp_targetILNS1_3genE0ELNS1_11target_archE4294967295ELNS1_3gpuE0ELNS1_3repE0EEENS1_44radix_sort_block_sort_config_static_selectorELNS0_4arch9wavefront6targetE1EEEvSD_
		.amdhsa_group_segment_fixed_size 0
		.amdhsa_private_segment_fixed_size 0
		.amdhsa_kernarg_size 48
		.amdhsa_user_sgpr_count 6
		.amdhsa_user_sgpr_private_segment_buffer 1
		.amdhsa_user_sgpr_dispatch_ptr 0
		.amdhsa_user_sgpr_queue_ptr 0
		.amdhsa_user_sgpr_kernarg_segment_ptr 1
		.amdhsa_user_sgpr_dispatch_id 0
		.amdhsa_user_sgpr_flat_scratch_init 0
		.amdhsa_user_sgpr_kernarg_preload_length 0
		.amdhsa_user_sgpr_kernarg_preload_offset 0
		.amdhsa_user_sgpr_private_segment_size 0
		.amdhsa_uses_dynamic_stack 0
		.amdhsa_system_sgpr_private_segment_wavefront_offset 0
		.amdhsa_system_sgpr_workgroup_id_x 1
		.amdhsa_system_sgpr_workgroup_id_y 0
		.amdhsa_system_sgpr_workgroup_id_z 0
		.amdhsa_system_sgpr_workgroup_info 0
		.amdhsa_system_vgpr_workitem_id 0
		.amdhsa_next_free_vgpr 1
		.amdhsa_next_free_sgpr 0
		.amdhsa_accum_offset 4
		.amdhsa_reserve_vcc 0
		.amdhsa_reserve_flat_scratch 0
		.amdhsa_float_round_mode_32 0
		.amdhsa_float_round_mode_16_64 0
		.amdhsa_float_denorm_mode_32 3
		.amdhsa_float_denorm_mode_16_64 3
		.amdhsa_dx10_clamp 1
		.amdhsa_ieee_mode 1
		.amdhsa_fp16_overflow 0
		.amdhsa_tg_split 0
		.amdhsa_exception_fp_ieee_invalid_op 0
		.amdhsa_exception_fp_denorm_src 0
		.amdhsa_exception_fp_ieee_div_zero 0
		.amdhsa_exception_fp_ieee_overflow 0
		.amdhsa_exception_fp_ieee_underflow 0
		.amdhsa_exception_fp_ieee_inexact 0
		.amdhsa_exception_int_div_zero 0
	.end_amdhsa_kernel
	.section	.text._ZN7rocprim17ROCPRIM_400000_NS6detail17trampoline_kernelINS0_13kernel_configILj256ELj4ELj4294967295EEENS1_37radix_sort_block_sort_config_selectorIcNS0_10empty_typeEEEZNS1_21radix_sort_block_sortIS4_Lb1EPcS9_PS6_SA_NS0_19identity_decomposerEEE10hipError_tT1_T2_T3_T4_jRjT5_jjP12ihipStream_tbEUlT_E_NS1_11comp_targetILNS1_3genE0ELNS1_11target_archE4294967295ELNS1_3gpuE0ELNS1_3repE0EEENS1_44radix_sort_block_sort_config_static_selectorELNS0_4arch9wavefront6targetE1EEEvSD_,"axG",@progbits,_ZN7rocprim17ROCPRIM_400000_NS6detail17trampoline_kernelINS0_13kernel_configILj256ELj4ELj4294967295EEENS1_37radix_sort_block_sort_config_selectorIcNS0_10empty_typeEEEZNS1_21radix_sort_block_sortIS4_Lb1EPcS9_PS6_SA_NS0_19identity_decomposerEEE10hipError_tT1_T2_T3_T4_jRjT5_jjP12ihipStream_tbEUlT_E_NS1_11comp_targetILNS1_3genE0ELNS1_11target_archE4294967295ELNS1_3gpuE0ELNS1_3repE0EEENS1_44radix_sort_block_sort_config_static_selectorELNS0_4arch9wavefront6targetE1EEEvSD_,comdat
.Lfunc_end1472:
	.size	_ZN7rocprim17ROCPRIM_400000_NS6detail17trampoline_kernelINS0_13kernel_configILj256ELj4ELj4294967295EEENS1_37radix_sort_block_sort_config_selectorIcNS0_10empty_typeEEEZNS1_21radix_sort_block_sortIS4_Lb1EPcS9_PS6_SA_NS0_19identity_decomposerEEE10hipError_tT1_T2_T3_T4_jRjT5_jjP12ihipStream_tbEUlT_E_NS1_11comp_targetILNS1_3genE0ELNS1_11target_archE4294967295ELNS1_3gpuE0ELNS1_3repE0EEENS1_44radix_sort_block_sort_config_static_selectorELNS0_4arch9wavefront6targetE1EEEvSD_, .Lfunc_end1472-_ZN7rocprim17ROCPRIM_400000_NS6detail17trampoline_kernelINS0_13kernel_configILj256ELj4ELj4294967295EEENS1_37radix_sort_block_sort_config_selectorIcNS0_10empty_typeEEEZNS1_21radix_sort_block_sortIS4_Lb1EPcS9_PS6_SA_NS0_19identity_decomposerEEE10hipError_tT1_T2_T3_T4_jRjT5_jjP12ihipStream_tbEUlT_E_NS1_11comp_targetILNS1_3genE0ELNS1_11target_archE4294967295ELNS1_3gpuE0ELNS1_3repE0EEENS1_44radix_sort_block_sort_config_static_selectorELNS0_4arch9wavefront6targetE1EEEvSD_
                                        ; -- End function
	.section	.AMDGPU.csdata,"",@progbits
; Kernel info:
; codeLenInByte = 0
; NumSgprs: 4
; NumVgprs: 0
; NumAgprs: 0
; TotalNumVgprs: 0
; ScratchSize: 0
; MemoryBound: 0
; FloatMode: 240
; IeeeMode: 1
; LDSByteSize: 0 bytes/workgroup (compile time only)
; SGPRBlocks: 0
; VGPRBlocks: 0
; NumSGPRsForWavesPerEU: 4
; NumVGPRsForWavesPerEU: 1
; AccumOffset: 4
; Occupancy: 8
; WaveLimiterHint : 0
; COMPUTE_PGM_RSRC2:SCRATCH_EN: 0
; COMPUTE_PGM_RSRC2:USER_SGPR: 6
; COMPUTE_PGM_RSRC2:TRAP_HANDLER: 0
; COMPUTE_PGM_RSRC2:TGID_X_EN: 1
; COMPUTE_PGM_RSRC2:TGID_Y_EN: 0
; COMPUTE_PGM_RSRC2:TGID_Z_EN: 0
; COMPUTE_PGM_RSRC2:TIDIG_COMP_CNT: 0
; COMPUTE_PGM_RSRC3_GFX90A:ACCUM_OFFSET: 0
; COMPUTE_PGM_RSRC3_GFX90A:TG_SPLIT: 0
	.section	.text._ZN7rocprim17ROCPRIM_400000_NS6detail17trampoline_kernelINS0_13kernel_configILj256ELj4ELj4294967295EEENS1_37radix_sort_block_sort_config_selectorIcNS0_10empty_typeEEEZNS1_21radix_sort_block_sortIS4_Lb1EPcS9_PS6_SA_NS0_19identity_decomposerEEE10hipError_tT1_T2_T3_T4_jRjT5_jjP12ihipStream_tbEUlT_E_NS1_11comp_targetILNS1_3genE5ELNS1_11target_archE942ELNS1_3gpuE9ELNS1_3repE0EEENS1_44radix_sort_block_sort_config_static_selectorELNS0_4arch9wavefront6targetE1EEEvSD_,"axG",@progbits,_ZN7rocprim17ROCPRIM_400000_NS6detail17trampoline_kernelINS0_13kernel_configILj256ELj4ELj4294967295EEENS1_37radix_sort_block_sort_config_selectorIcNS0_10empty_typeEEEZNS1_21radix_sort_block_sortIS4_Lb1EPcS9_PS6_SA_NS0_19identity_decomposerEEE10hipError_tT1_T2_T3_T4_jRjT5_jjP12ihipStream_tbEUlT_E_NS1_11comp_targetILNS1_3genE5ELNS1_11target_archE942ELNS1_3gpuE9ELNS1_3repE0EEENS1_44radix_sort_block_sort_config_static_selectorELNS0_4arch9wavefront6targetE1EEEvSD_,comdat
	.protected	_ZN7rocprim17ROCPRIM_400000_NS6detail17trampoline_kernelINS0_13kernel_configILj256ELj4ELj4294967295EEENS1_37radix_sort_block_sort_config_selectorIcNS0_10empty_typeEEEZNS1_21radix_sort_block_sortIS4_Lb1EPcS9_PS6_SA_NS0_19identity_decomposerEEE10hipError_tT1_T2_T3_T4_jRjT5_jjP12ihipStream_tbEUlT_E_NS1_11comp_targetILNS1_3genE5ELNS1_11target_archE942ELNS1_3gpuE9ELNS1_3repE0EEENS1_44radix_sort_block_sort_config_static_selectorELNS0_4arch9wavefront6targetE1EEEvSD_ ; -- Begin function _ZN7rocprim17ROCPRIM_400000_NS6detail17trampoline_kernelINS0_13kernel_configILj256ELj4ELj4294967295EEENS1_37radix_sort_block_sort_config_selectorIcNS0_10empty_typeEEEZNS1_21radix_sort_block_sortIS4_Lb1EPcS9_PS6_SA_NS0_19identity_decomposerEEE10hipError_tT1_T2_T3_T4_jRjT5_jjP12ihipStream_tbEUlT_E_NS1_11comp_targetILNS1_3genE5ELNS1_11target_archE942ELNS1_3gpuE9ELNS1_3repE0EEENS1_44radix_sort_block_sort_config_static_selectorELNS0_4arch9wavefront6targetE1EEEvSD_
	.globl	_ZN7rocprim17ROCPRIM_400000_NS6detail17trampoline_kernelINS0_13kernel_configILj256ELj4ELj4294967295EEENS1_37radix_sort_block_sort_config_selectorIcNS0_10empty_typeEEEZNS1_21radix_sort_block_sortIS4_Lb1EPcS9_PS6_SA_NS0_19identity_decomposerEEE10hipError_tT1_T2_T3_T4_jRjT5_jjP12ihipStream_tbEUlT_E_NS1_11comp_targetILNS1_3genE5ELNS1_11target_archE942ELNS1_3gpuE9ELNS1_3repE0EEENS1_44radix_sort_block_sort_config_static_selectorELNS0_4arch9wavefront6targetE1EEEvSD_
	.p2align	8
	.type	_ZN7rocprim17ROCPRIM_400000_NS6detail17trampoline_kernelINS0_13kernel_configILj256ELj4ELj4294967295EEENS1_37radix_sort_block_sort_config_selectorIcNS0_10empty_typeEEEZNS1_21radix_sort_block_sortIS4_Lb1EPcS9_PS6_SA_NS0_19identity_decomposerEEE10hipError_tT1_T2_T3_T4_jRjT5_jjP12ihipStream_tbEUlT_E_NS1_11comp_targetILNS1_3genE5ELNS1_11target_archE942ELNS1_3gpuE9ELNS1_3repE0EEENS1_44radix_sort_block_sort_config_static_selectorELNS0_4arch9wavefront6targetE1EEEvSD_,@function
_ZN7rocprim17ROCPRIM_400000_NS6detail17trampoline_kernelINS0_13kernel_configILj256ELj4ELj4294967295EEENS1_37radix_sort_block_sort_config_selectorIcNS0_10empty_typeEEEZNS1_21radix_sort_block_sortIS4_Lb1EPcS9_PS6_SA_NS0_19identity_decomposerEEE10hipError_tT1_T2_T3_T4_jRjT5_jjP12ihipStream_tbEUlT_E_NS1_11comp_targetILNS1_3genE5ELNS1_11target_archE942ELNS1_3gpuE9ELNS1_3repE0EEENS1_44radix_sort_block_sort_config_static_selectorELNS0_4arch9wavefront6targetE1EEEvSD_: ; @_ZN7rocprim17ROCPRIM_400000_NS6detail17trampoline_kernelINS0_13kernel_configILj256ELj4ELj4294967295EEENS1_37radix_sort_block_sort_config_selectorIcNS0_10empty_typeEEEZNS1_21radix_sort_block_sortIS4_Lb1EPcS9_PS6_SA_NS0_19identity_decomposerEEE10hipError_tT1_T2_T3_T4_jRjT5_jjP12ihipStream_tbEUlT_E_NS1_11comp_targetILNS1_3genE5ELNS1_11target_archE942ELNS1_3gpuE9ELNS1_3repE0EEENS1_44radix_sort_block_sort_config_static_selectorELNS0_4arch9wavefront6targetE1EEEvSD_
; %bb.0:
	.section	.rodata,"a",@progbits
	.p2align	6, 0x0
	.amdhsa_kernel _ZN7rocprim17ROCPRIM_400000_NS6detail17trampoline_kernelINS0_13kernel_configILj256ELj4ELj4294967295EEENS1_37radix_sort_block_sort_config_selectorIcNS0_10empty_typeEEEZNS1_21radix_sort_block_sortIS4_Lb1EPcS9_PS6_SA_NS0_19identity_decomposerEEE10hipError_tT1_T2_T3_T4_jRjT5_jjP12ihipStream_tbEUlT_E_NS1_11comp_targetILNS1_3genE5ELNS1_11target_archE942ELNS1_3gpuE9ELNS1_3repE0EEENS1_44radix_sort_block_sort_config_static_selectorELNS0_4arch9wavefront6targetE1EEEvSD_
		.amdhsa_group_segment_fixed_size 0
		.amdhsa_private_segment_fixed_size 0
		.amdhsa_kernarg_size 48
		.amdhsa_user_sgpr_count 6
		.amdhsa_user_sgpr_private_segment_buffer 1
		.amdhsa_user_sgpr_dispatch_ptr 0
		.amdhsa_user_sgpr_queue_ptr 0
		.amdhsa_user_sgpr_kernarg_segment_ptr 1
		.amdhsa_user_sgpr_dispatch_id 0
		.amdhsa_user_sgpr_flat_scratch_init 0
		.amdhsa_user_sgpr_kernarg_preload_length 0
		.amdhsa_user_sgpr_kernarg_preload_offset 0
		.amdhsa_user_sgpr_private_segment_size 0
		.amdhsa_uses_dynamic_stack 0
		.amdhsa_system_sgpr_private_segment_wavefront_offset 0
		.amdhsa_system_sgpr_workgroup_id_x 1
		.amdhsa_system_sgpr_workgroup_id_y 0
		.amdhsa_system_sgpr_workgroup_id_z 0
		.amdhsa_system_sgpr_workgroup_info 0
		.amdhsa_system_vgpr_workitem_id 0
		.amdhsa_next_free_vgpr 1
		.amdhsa_next_free_sgpr 0
		.amdhsa_accum_offset 4
		.amdhsa_reserve_vcc 0
		.amdhsa_reserve_flat_scratch 0
		.amdhsa_float_round_mode_32 0
		.amdhsa_float_round_mode_16_64 0
		.amdhsa_float_denorm_mode_32 3
		.amdhsa_float_denorm_mode_16_64 3
		.amdhsa_dx10_clamp 1
		.amdhsa_ieee_mode 1
		.amdhsa_fp16_overflow 0
		.amdhsa_tg_split 0
		.amdhsa_exception_fp_ieee_invalid_op 0
		.amdhsa_exception_fp_denorm_src 0
		.amdhsa_exception_fp_ieee_div_zero 0
		.amdhsa_exception_fp_ieee_overflow 0
		.amdhsa_exception_fp_ieee_underflow 0
		.amdhsa_exception_fp_ieee_inexact 0
		.amdhsa_exception_int_div_zero 0
	.end_amdhsa_kernel
	.section	.text._ZN7rocprim17ROCPRIM_400000_NS6detail17trampoline_kernelINS0_13kernel_configILj256ELj4ELj4294967295EEENS1_37radix_sort_block_sort_config_selectorIcNS0_10empty_typeEEEZNS1_21radix_sort_block_sortIS4_Lb1EPcS9_PS6_SA_NS0_19identity_decomposerEEE10hipError_tT1_T2_T3_T4_jRjT5_jjP12ihipStream_tbEUlT_E_NS1_11comp_targetILNS1_3genE5ELNS1_11target_archE942ELNS1_3gpuE9ELNS1_3repE0EEENS1_44radix_sort_block_sort_config_static_selectorELNS0_4arch9wavefront6targetE1EEEvSD_,"axG",@progbits,_ZN7rocprim17ROCPRIM_400000_NS6detail17trampoline_kernelINS0_13kernel_configILj256ELj4ELj4294967295EEENS1_37radix_sort_block_sort_config_selectorIcNS0_10empty_typeEEEZNS1_21radix_sort_block_sortIS4_Lb1EPcS9_PS6_SA_NS0_19identity_decomposerEEE10hipError_tT1_T2_T3_T4_jRjT5_jjP12ihipStream_tbEUlT_E_NS1_11comp_targetILNS1_3genE5ELNS1_11target_archE942ELNS1_3gpuE9ELNS1_3repE0EEENS1_44radix_sort_block_sort_config_static_selectorELNS0_4arch9wavefront6targetE1EEEvSD_,comdat
.Lfunc_end1473:
	.size	_ZN7rocprim17ROCPRIM_400000_NS6detail17trampoline_kernelINS0_13kernel_configILj256ELj4ELj4294967295EEENS1_37radix_sort_block_sort_config_selectorIcNS0_10empty_typeEEEZNS1_21radix_sort_block_sortIS4_Lb1EPcS9_PS6_SA_NS0_19identity_decomposerEEE10hipError_tT1_T2_T3_T4_jRjT5_jjP12ihipStream_tbEUlT_E_NS1_11comp_targetILNS1_3genE5ELNS1_11target_archE942ELNS1_3gpuE9ELNS1_3repE0EEENS1_44radix_sort_block_sort_config_static_selectorELNS0_4arch9wavefront6targetE1EEEvSD_, .Lfunc_end1473-_ZN7rocprim17ROCPRIM_400000_NS6detail17trampoline_kernelINS0_13kernel_configILj256ELj4ELj4294967295EEENS1_37radix_sort_block_sort_config_selectorIcNS0_10empty_typeEEEZNS1_21radix_sort_block_sortIS4_Lb1EPcS9_PS6_SA_NS0_19identity_decomposerEEE10hipError_tT1_T2_T3_T4_jRjT5_jjP12ihipStream_tbEUlT_E_NS1_11comp_targetILNS1_3genE5ELNS1_11target_archE942ELNS1_3gpuE9ELNS1_3repE0EEENS1_44radix_sort_block_sort_config_static_selectorELNS0_4arch9wavefront6targetE1EEEvSD_
                                        ; -- End function
	.section	.AMDGPU.csdata,"",@progbits
; Kernel info:
; codeLenInByte = 0
; NumSgprs: 4
; NumVgprs: 0
; NumAgprs: 0
; TotalNumVgprs: 0
; ScratchSize: 0
; MemoryBound: 0
; FloatMode: 240
; IeeeMode: 1
; LDSByteSize: 0 bytes/workgroup (compile time only)
; SGPRBlocks: 0
; VGPRBlocks: 0
; NumSGPRsForWavesPerEU: 4
; NumVGPRsForWavesPerEU: 1
; AccumOffset: 4
; Occupancy: 8
; WaveLimiterHint : 0
; COMPUTE_PGM_RSRC2:SCRATCH_EN: 0
; COMPUTE_PGM_RSRC2:USER_SGPR: 6
; COMPUTE_PGM_RSRC2:TRAP_HANDLER: 0
; COMPUTE_PGM_RSRC2:TGID_X_EN: 1
; COMPUTE_PGM_RSRC2:TGID_Y_EN: 0
; COMPUTE_PGM_RSRC2:TGID_Z_EN: 0
; COMPUTE_PGM_RSRC2:TIDIG_COMP_CNT: 0
; COMPUTE_PGM_RSRC3_GFX90A:ACCUM_OFFSET: 0
; COMPUTE_PGM_RSRC3_GFX90A:TG_SPLIT: 0
	.section	.text._ZN7rocprim17ROCPRIM_400000_NS6detail17trampoline_kernelINS0_13kernel_configILj256ELj4ELj4294967295EEENS1_37radix_sort_block_sort_config_selectorIcNS0_10empty_typeEEEZNS1_21radix_sort_block_sortIS4_Lb1EPcS9_PS6_SA_NS0_19identity_decomposerEEE10hipError_tT1_T2_T3_T4_jRjT5_jjP12ihipStream_tbEUlT_E_NS1_11comp_targetILNS1_3genE4ELNS1_11target_archE910ELNS1_3gpuE8ELNS1_3repE0EEENS1_44radix_sort_block_sort_config_static_selectorELNS0_4arch9wavefront6targetE1EEEvSD_,"axG",@progbits,_ZN7rocprim17ROCPRIM_400000_NS6detail17trampoline_kernelINS0_13kernel_configILj256ELj4ELj4294967295EEENS1_37radix_sort_block_sort_config_selectorIcNS0_10empty_typeEEEZNS1_21radix_sort_block_sortIS4_Lb1EPcS9_PS6_SA_NS0_19identity_decomposerEEE10hipError_tT1_T2_T3_T4_jRjT5_jjP12ihipStream_tbEUlT_E_NS1_11comp_targetILNS1_3genE4ELNS1_11target_archE910ELNS1_3gpuE8ELNS1_3repE0EEENS1_44radix_sort_block_sort_config_static_selectorELNS0_4arch9wavefront6targetE1EEEvSD_,comdat
	.protected	_ZN7rocprim17ROCPRIM_400000_NS6detail17trampoline_kernelINS0_13kernel_configILj256ELj4ELj4294967295EEENS1_37radix_sort_block_sort_config_selectorIcNS0_10empty_typeEEEZNS1_21radix_sort_block_sortIS4_Lb1EPcS9_PS6_SA_NS0_19identity_decomposerEEE10hipError_tT1_T2_T3_T4_jRjT5_jjP12ihipStream_tbEUlT_E_NS1_11comp_targetILNS1_3genE4ELNS1_11target_archE910ELNS1_3gpuE8ELNS1_3repE0EEENS1_44radix_sort_block_sort_config_static_selectorELNS0_4arch9wavefront6targetE1EEEvSD_ ; -- Begin function _ZN7rocprim17ROCPRIM_400000_NS6detail17trampoline_kernelINS0_13kernel_configILj256ELj4ELj4294967295EEENS1_37radix_sort_block_sort_config_selectorIcNS0_10empty_typeEEEZNS1_21radix_sort_block_sortIS4_Lb1EPcS9_PS6_SA_NS0_19identity_decomposerEEE10hipError_tT1_T2_T3_T4_jRjT5_jjP12ihipStream_tbEUlT_E_NS1_11comp_targetILNS1_3genE4ELNS1_11target_archE910ELNS1_3gpuE8ELNS1_3repE0EEENS1_44radix_sort_block_sort_config_static_selectorELNS0_4arch9wavefront6targetE1EEEvSD_
	.globl	_ZN7rocprim17ROCPRIM_400000_NS6detail17trampoline_kernelINS0_13kernel_configILj256ELj4ELj4294967295EEENS1_37radix_sort_block_sort_config_selectorIcNS0_10empty_typeEEEZNS1_21radix_sort_block_sortIS4_Lb1EPcS9_PS6_SA_NS0_19identity_decomposerEEE10hipError_tT1_T2_T3_T4_jRjT5_jjP12ihipStream_tbEUlT_E_NS1_11comp_targetILNS1_3genE4ELNS1_11target_archE910ELNS1_3gpuE8ELNS1_3repE0EEENS1_44radix_sort_block_sort_config_static_selectorELNS0_4arch9wavefront6targetE1EEEvSD_
	.p2align	8
	.type	_ZN7rocprim17ROCPRIM_400000_NS6detail17trampoline_kernelINS0_13kernel_configILj256ELj4ELj4294967295EEENS1_37radix_sort_block_sort_config_selectorIcNS0_10empty_typeEEEZNS1_21radix_sort_block_sortIS4_Lb1EPcS9_PS6_SA_NS0_19identity_decomposerEEE10hipError_tT1_T2_T3_T4_jRjT5_jjP12ihipStream_tbEUlT_E_NS1_11comp_targetILNS1_3genE4ELNS1_11target_archE910ELNS1_3gpuE8ELNS1_3repE0EEENS1_44radix_sort_block_sort_config_static_selectorELNS0_4arch9wavefront6targetE1EEEvSD_,@function
_ZN7rocprim17ROCPRIM_400000_NS6detail17trampoline_kernelINS0_13kernel_configILj256ELj4ELj4294967295EEENS1_37radix_sort_block_sort_config_selectorIcNS0_10empty_typeEEEZNS1_21radix_sort_block_sortIS4_Lb1EPcS9_PS6_SA_NS0_19identity_decomposerEEE10hipError_tT1_T2_T3_T4_jRjT5_jjP12ihipStream_tbEUlT_E_NS1_11comp_targetILNS1_3genE4ELNS1_11target_archE910ELNS1_3gpuE8ELNS1_3repE0EEENS1_44radix_sort_block_sort_config_static_selectorELNS0_4arch9wavefront6targetE1EEEvSD_: ; @_ZN7rocprim17ROCPRIM_400000_NS6detail17trampoline_kernelINS0_13kernel_configILj256ELj4ELj4294967295EEENS1_37radix_sort_block_sort_config_selectorIcNS0_10empty_typeEEEZNS1_21radix_sort_block_sortIS4_Lb1EPcS9_PS6_SA_NS0_19identity_decomposerEEE10hipError_tT1_T2_T3_T4_jRjT5_jjP12ihipStream_tbEUlT_E_NS1_11comp_targetILNS1_3genE4ELNS1_11target_archE910ELNS1_3gpuE8ELNS1_3repE0EEENS1_44radix_sort_block_sort_config_static_selectorELNS0_4arch9wavefront6targetE1EEEvSD_
; %bb.0:
	s_load_dword s2, s[4:5], 0x20
	s_load_dwordx4 s[28:31], s[4:5], 0x0
	s_lshl_b32 s36, s6, 10
	v_mbcnt_lo_u32_b32 v1, -1, 0
	v_mbcnt_hi_u32_b32 v1, -1, v1
	s_waitcnt lgkmcnt(0)
	s_lshr_b32 s0, s2, 10
	s_cmp_lg_u32 s6, s0
	s_cselect_b64 s[34:35], -1, 0
	s_add_u32 s1, s28, s36
	v_and_b32_e32 v4, 0x3ff, v0
	s_addc_u32 s3, s29, 0
	v_and_b32_e32 v5, 63, v1
	v_lshlrev_b32_e32 v6, 2, v4
	v_mov_b32_e32 v2, s3
	v_add_co_u32_e32 v3, vcc, s1, v5
	v_and_b32_e32 v12, 0x300, v6
	v_addc_co_u32_e32 v7, vcc, 0, v2, vcc
	v_add_co_u32_e32 v2, vcc, v3, v12
	s_cmp_eq_u32 s6, s0
	v_addc_co_u32_e32 v3, vcc, 0, v7, vcc
	v_or_b32_e32 v11, v5, v12
	s_cbranch_scc1 .LBB1474_2
; %bb.1:
	global_load_ubyte v8, v[2:3], off offset:192
	global_load_ubyte v10, v[2:3], off offset:128
	;; [unrolled: 1-line block ×3, first 2 shown]
	global_load_ubyte v7, v[2:3], off
	v_or_b32_e32 v14, v5, v12
	v_or_b32_e32 v5, 64, v14
	;; [unrolled: 1-line block ×4, first 2 shown]
	s_load_dwordx2 s[28:29], s[4:5], 0x28
	s_sub_i32 s33, s2, s36
	s_cbranch_execz .LBB1474_3
	s_branch .LBB1474_12
.LBB1474_2:
                                        ; implicit-def: $vgpr7
                                        ; implicit-def: $vgpr9
                                        ; implicit-def: $vgpr10
                                        ; implicit-def: $vgpr8
                                        ; implicit-def: $vgpr14
                                        ; implicit-def: $vgpr5
                                        ; implicit-def: $vgpr12
                                        ; implicit-def: $vgpr13
	s_load_dwordx2 s[28:29], s[4:5], 0x28
	s_sub_i32 s33, s2, s36
.LBB1474_3:
	v_cmp_gt_u32_e32 vcc, s33, v11
	s_waitcnt vmcnt(0)
	v_mov_b32_e32 v7, 0x80
	v_mov_b32_e32 v8, 0x80
	v_mov_b32_e32 v9, 0x80
	v_mov_b32_e32 v10, 0x80
	s_and_saveexec_b64 s[0:1], vcc
	s_cbranch_execz .LBB1474_5
; %bb.4:
	global_load_ubyte v7, v[2:3], off
	v_mov_b32_e32 v9, 0x80
	v_mov_b32_e32 v10, 0x80
	;; [unrolled: 1-line block ×3, first 2 shown]
.LBB1474_5:
	s_or_b64 exec, exec, s[0:1]
	v_or_b32_e32 v5, 64, v11
	v_cmp_gt_u32_e32 vcc, s33, v5
	s_and_saveexec_b64 s[0:1], vcc
	s_cbranch_execz .LBB1474_7
; %bb.6:
	global_load_ubyte v9, v[2:3], off offset:64
.LBB1474_7:
	s_or_b64 exec, exec, s[0:1]
	v_or_b32_e32 v12, 0x80, v11
	v_cmp_gt_u32_e32 vcc, s33, v12
	s_and_saveexec_b64 s[0:1], vcc
	s_cbranch_execz .LBB1474_9
; %bb.8:
	global_load_ubyte v10, v[2:3], off offset:128
.LBB1474_9:
	s_or_b64 exec, exec, s[0:1]
	v_or_b32_e32 v13, 0xc0, v11
	v_cmp_gt_u32_e32 vcc, s33, v13
	s_and_saveexec_b64 s[0:1], vcc
	s_cbranch_execz .LBB1474_11
; %bb.10:
	global_load_ubyte v8, v[2:3], off offset:192
.LBB1474_11:
	s_or_b64 exec, exec, s[0:1]
	v_mov_b32_e32 v14, v11
.LBB1474_12:
	s_load_dword s2, s[4:5], 0x3c
	s_movk_i32 s0, 0x7f
	s_waitcnt lgkmcnt(0)
	s_add_i32 s37, s29, s28
	s_waitcnt vmcnt(0)
	v_xor_b32_e32 v2, 0x7f, v7
	v_xor_b32_sdwa v3, v9, s0 dst_sel:BYTE_1 dst_unused:UNUSED_PAD src0_sel:DWORD src1_sel:DWORD
	v_xor_b32_e32 v7, 0x7f, v10
	v_xor_b32_sdwa v8, v8, s0 dst_sel:BYTE_1 dst_unused:UNUSED_PAD src0_sel:DWORD src1_sel:DWORD
	v_or_b32_sdwa v2, v2, v3 dst_sel:DWORD dst_unused:UNUSED_PAD src0_sel:BYTE_0 src1_sel:DWORD
	v_or_b32_sdwa v3, v7, v8 dst_sel:WORD_1 dst_unused:UNUSED_PAD src0_sel:BYTE_0 src1_sel:DWORD
	s_getpc_b64 s[0:1]
	s_add_u32 s0, s0, _ZN7rocprim17ROCPRIM_400000_NS16block_radix_sortIcLj256ELj4ENS0_10empty_typeELj1ELj1ELj0ELNS0_26block_radix_rank_algorithmE1ELNS0_18block_padding_hintE2ELNS0_4arch9wavefront6targetE1EE19radix_bits_per_passE@rel32@lo+4
	s_addc_u32 s1, s1, _ZN7rocprim17ROCPRIM_400000_NS16block_radix_sortIcLj256ELj4ENS0_10empty_typeELj1ELj1ELj0ELNS0_26block_radix_rank_algorithmE1ELNS0_18block_padding_hintE2ELNS0_4arch9wavefront6targetE1EE19radix_bits_per_passE@rel32@hi+12
	v_or_b32_sdwa v17, v2, v3 dst_sel:DWORD dst_unused:UNUSED_PAD src0_sel:WORD_0 src1_sel:DWORD
	s_load_dword s38, s[0:1], 0x0
	s_lshr_b32 s0, s2, 16
	v_bfe_u32 v2, v0, 10, 10
	v_bfe_u32 v0, v0, 20, 10
	s_and_b32 s1, s2, 0xffff
	v_mad_u32_u24 v0, v0, s0, v2
	v_mad_u64_u32 v[2:3], s[0:1], v0, s1, v[4:5]
	v_and_b32_e32 v0, 15, v1
	v_cmp_eq_u32_e64 s[0:1], 0, v0
	v_cmp_lt_u32_e64 s[2:3], 1, v0
	v_cmp_lt_u32_e64 s[4:5], 3, v0
	;; [unrolled: 1-line block ×3, first 2 shown]
	v_and_b32_e32 v0, 16, v1
	v_cmp_eq_u32_e64 s[8:9], 0, v0
	v_and_b32_e32 v0, 0x3c0, v4
	v_min_u32_e32 v0, 0xc0, v0
	v_or_b32_e32 v0, 63, v0
	v_lshrrev_b32_e32 v16, 6, v2
	v_cmp_eq_u32_e64 s[12:13], v0, v4
	v_add_u32_e32 v0, -1, v1
	v_and_b32_e32 v2, 64, v1
	v_cmp_lt_i32_e32 vcc, v0, v2
	v_cndmask_b32_e32 v0, v0, v1, vcc
	s_mov_b32 s26, 0
	v_lshlrev_b32_e32 v18, 2, v0
	v_lshrrev_b32_e32 v0, 4, v4
	v_lshlrev_b32_e32 v15, 2, v6
	v_cmp_lt_u32_e64 s[10:11], 31, v1
	v_cmp_eq_u32_e64 s[18:19], 0, v1
	v_and_b32_e32 v19, 60, v0
	v_mul_i32_i24_e32 v0, -12, v4
	v_and_b32_e32 v1, 3, v1
	s_mov_b32 s27, s26
	s_mov_b32 s40, s26
	;; [unrolled: 1-line block ×3, first 2 shown]
	v_cmp_gt_u32_e64 s[14:15], 4, v4
	v_cmp_lt_u32_e64 s[16:17], 63, v4
	v_cmp_eq_u32_e64 s[20:21], 0, v4
	v_cmp_eq_u32_e64 s[22:23], 0, v1
	v_cmp_lt_u32_e64 s[24:25], 1, v1
	v_add_u32_e32 v20, -4, v19
	v_pk_mov_b32 v[6:7], s[26:27], s[26:27] op_sel:[0,1]
	v_pk_mov_b32 v[8:9], s[40:41], s[40:41] op_sel:[0,1]
	v_add_u32_e32 v21, v15, v0
	v_mov_b32_e32 v10, 0
	s_branch .LBB1474_14
.LBB1474_13:                            ;   in Loop: Header=BB1474_14 Depth=1
	v_add_u32_e32 v26, v22, v23
	s_barrier
	ds_write_b8 v26, v17
	v_add_u32_e32 v17, v25, v2
	ds_write_b8 v17, v33
	v_add_u32_e32 v17, v24, v1
	;; [unrolled: 2-line block ×3, first 2 shown]
	ds_write_b8 v17, v29
	s_waitcnt lgkmcnt(0)
	s_barrier
	ds_read_u8 v17, v5
	ds_read_u8 v26, v14
	;; [unrolled: 1-line block ×4, first 2 shown]
	s_add_i32 s29, s29, -8
	s_waitcnt lgkmcnt(3)
	v_lshlrev_b16_e32 v17, 8, v17
	s_waitcnt lgkmcnt(2)
	v_or_b32_e32 v17, v26, v17
	s_waitcnt lgkmcnt(1)
	v_lshlrev_b16_e32 v26, 8, v27
	s_waitcnt lgkmcnt(0)
	v_or_b32_sdwa v26, v28, v26 dst_sel:WORD_1 dst_unused:UNUSED_PAD src0_sel:DWORD src1_sel:DWORD
	v_or_b32_sdwa v17, v17, v26 dst_sel:DWORD dst_unused:UNUSED_PAD src0_sel:WORD_0 src1_sel:DWORD
	s_barrier
	s_cbranch_execz .LBB1474_30
.LBB1474_14:                            ; =>This Inner Loop Header: Depth=1
	s_waitcnt lgkmcnt(0)
	s_min_u32 s26, s38, s29
	s_lshl_b32 s26, -1, s26
	s_not_b32 s39, s26
	v_lshrrev_b32_sdwa v0, s28, v17 dst_sel:DWORD dst_unused:UNUSED_PAD src0_sel:DWORD src1_sel:BYTE_0
	v_and_b32_e32 v0, s39, v0
	v_lshl_add_u32 v1, v0, 2, v16
	v_lshl_add_u32 v22, v1, 2, 16
	v_and_b32_e32 v1, 1, v0
	v_add_co_u32_e32 v2, vcc, -1, v1
	v_addc_co_u32_e64 v3, s[26:27], 0, -1, vcc
	v_cmp_ne_u32_e32 vcc, 0, v1
	v_lshlrev_b32_e32 v11, 30, v0
	v_xor_b32_e32 v1, vcc_hi, v3
	v_not_b32_e32 v3, v11
	v_xor_b32_e32 v2, vcc_lo, v2
	v_cmp_gt_i64_e32 vcc, 0, v[10:11]
	v_ashrrev_i32_e32 v3, 31, v3
	v_and_b32_e32 v1, exec_hi, v1
	v_xor_b32_e32 v11, vcc_hi, v3
	v_and_b32_e32 v2, exec_lo, v2
	v_xor_b32_e32 v3, vcc_lo, v3
	v_and_b32_e32 v1, v1, v11
	v_lshlrev_b32_e32 v11, 29, v0
	v_and_b32_e32 v2, v2, v3
	v_not_b32_e32 v3, v11
	v_cmp_gt_i64_e32 vcc, 0, v[10:11]
	v_ashrrev_i32_e32 v3, 31, v3
	v_xor_b32_e32 v11, vcc_hi, v3
	v_xor_b32_e32 v3, vcc_lo, v3
	v_and_b32_e32 v1, v1, v11
	v_lshlrev_b32_e32 v11, 28, v0
	v_and_b32_e32 v2, v2, v3
	v_not_b32_e32 v3, v11
	v_cmp_gt_i64_e32 vcc, 0, v[10:11]
	v_ashrrev_i32_e32 v3, 31, v3
	v_xor_b32_e32 v11, vcc_hi, v3
	;; [unrolled: 8-line block ×5, first 2 shown]
	v_and_b32_e32 v1, v1, v11
	v_lshlrev_b32_e32 v11, 24, v0
	v_not_b32_e32 v0, v11
	v_xor_b32_e32 v3, vcc_lo, v3
	v_cmp_gt_i64_e32 vcc, 0, v[10:11]
	v_ashrrev_i32_e32 v0, 31, v0
	v_and_b32_e32 v2, v2, v3
	v_xor_b32_e32 v3, vcc_hi, v0
	v_xor_b32_e32 v0, vcc_lo, v0
	v_and_b32_e32 v0, v2, v0
	v_and_b32_e32 v1, v1, v3
	v_mbcnt_lo_u32_b32 v2, v0, 0
	v_mbcnt_hi_u32_b32 v23, v1, v2
	v_cmp_eq_u32_e32 vcc, 0, v23
	v_cmp_ne_u64_e64 s[26:27], 0, v[0:1]
	s_and_b64 s[40:41], s[26:27], vcc
	ds_write2_b64 v15, v[6:7], v[8:9] offset0:2 offset1:3
	s_waitcnt lgkmcnt(0)
	s_barrier
	s_waitcnt lgkmcnt(0)
	; wave barrier
	s_and_saveexec_b64 s[26:27], s[40:41]
	s_cbranch_execz .LBB1474_16
; %bb.15:                               ;   in Loop: Header=BB1474_14 Depth=1
	v_bcnt_u32_b32 v0, v0, 0
	v_bcnt_u32_b32 v0, v1, v0
	ds_write_b32 v22, v0
.LBB1474_16:                            ;   in Loop: Header=BB1474_14 Depth=1
	s_or_b64 exec, exec, s[26:27]
	v_lshrrev_b32_sdwa v0, s28, v17 dst_sel:DWORD dst_unused:UNUSED_PAD src0_sel:DWORD src1_sel:BYTE_1
	v_and_b32_e32 v0, s39, v0
	v_lshlrev_b32_e32 v1, 2, v0
	v_add_lshl_u32 v1, v1, v16, 2
	; wave barrier
	v_add_u32_e32 v25, 16, v1
	ds_read_b32 v24, v1 offset:16
	v_and_b32_e32 v1, 1, v0
	v_add_co_u32_e32 v2, vcc, -1, v1
	v_addc_co_u32_e64 v3, s[26:27], 0, -1, vcc
	v_cmp_ne_u32_e32 vcc, 0, v1
	v_lshlrev_b32_e32 v11, 30, v0
	v_xor_b32_e32 v1, vcc_hi, v3
	v_not_b32_e32 v3, v11
	v_xor_b32_e32 v2, vcc_lo, v2
	v_cmp_gt_i64_e32 vcc, 0, v[10:11]
	v_ashrrev_i32_e32 v3, 31, v3
	v_and_b32_e32 v1, exec_hi, v1
	v_xor_b32_e32 v11, vcc_hi, v3
	v_and_b32_e32 v2, exec_lo, v2
	v_xor_b32_e32 v3, vcc_lo, v3
	v_and_b32_e32 v1, v1, v11
	v_lshlrev_b32_e32 v11, 29, v0
	v_and_b32_e32 v2, v2, v3
	v_not_b32_e32 v3, v11
	v_cmp_gt_i64_e32 vcc, 0, v[10:11]
	v_ashrrev_i32_e32 v3, 31, v3
	v_xor_b32_e32 v11, vcc_hi, v3
	v_xor_b32_e32 v3, vcc_lo, v3
	v_and_b32_e32 v1, v1, v11
	v_lshlrev_b32_e32 v11, 28, v0
	v_and_b32_e32 v2, v2, v3
	v_not_b32_e32 v3, v11
	v_cmp_gt_i64_e32 vcc, 0, v[10:11]
	v_ashrrev_i32_e32 v3, 31, v3
	v_xor_b32_e32 v11, vcc_hi, v3
	;; [unrolled: 8-line block ×5, first 2 shown]
	v_and_b32_e32 v1, v1, v11
	v_lshlrev_b32_e32 v11, 24, v0
	v_not_b32_e32 v0, v11
	v_xor_b32_e32 v3, vcc_lo, v3
	v_cmp_gt_i64_e32 vcc, 0, v[10:11]
	v_ashrrev_i32_e32 v0, 31, v0
	v_and_b32_e32 v2, v2, v3
	v_xor_b32_e32 v3, vcc_hi, v0
	v_xor_b32_e32 v0, vcc_lo, v0
	v_and_b32_e32 v0, v2, v0
	v_and_b32_e32 v1, v1, v3
	v_mbcnt_lo_u32_b32 v2, v0, 0
	v_mbcnt_hi_u32_b32 v26, v1, v2
	v_cmp_eq_u32_e32 vcc, 0, v26
	v_cmp_ne_u64_e64 s[26:27], 0, v[0:1]
	s_and_b64 s[40:41], s[26:27], vcc
	; wave barrier
	s_and_saveexec_b64 s[26:27], s[40:41]
	s_cbranch_execz .LBB1474_18
; %bb.17:                               ;   in Loop: Header=BB1474_14 Depth=1
	v_bcnt_u32_b32 v0, v0, 0
	v_bcnt_u32_b32 v0, v1, v0
	s_waitcnt lgkmcnt(0)
	v_add_u32_e32 v0, v24, v0
	ds_write_b32 v25, v0
.LBB1474_18:                            ;   in Loop: Header=BB1474_14 Depth=1
	s_or_b64 exec, exec, s[26:27]
	v_lshrrev_b32_sdwa v0, s28, v17 dst_sel:DWORD dst_unused:UNUSED_PAD src0_sel:DWORD src1_sel:BYTE_2
	v_and_b32_e32 v0, s39, v0
	v_lshlrev_b32_e32 v1, 2, v0
	v_add_lshl_u32 v1, v1, v16, 2
	; wave barrier
	v_add_u32_e32 v28, 16, v1
	ds_read_b32 v27, v1 offset:16
	v_and_b32_e32 v1, 1, v0
	v_add_co_u32_e32 v2, vcc, -1, v1
	v_addc_co_u32_e64 v3, s[26:27], 0, -1, vcc
	v_cmp_ne_u32_e32 vcc, 0, v1
	v_lshlrev_b32_e32 v11, 30, v0
	v_xor_b32_e32 v1, vcc_hi, v3
	v_not_b32_e32 v3, v11
	v_xor_b32_e32 v2, vcc_lo, v2
	v_cmp_gt_i64_e32 vcc, 0, v[10:11]
	v_ashrrev_i32_e32 v3, 31, v3
	v_and_b32_e32 v1, exec_hi, v1
	v_xor_b32_e32 v11, vcc_hi, v3
	v_and_b32_e32 v2, exec_lo, v2
	v_xor_b32_e32 v3, vcc_lo, v3
	v_and_b32_e32 v1, v1, v11
	v_lshlrev_b32_e32 v11, 29, v0
	v_and_b32_e32 v2, v2, v3
	v_not_b32_e32 v3, v11
	v_cmp_gt_i64_e32 vcc, 0, v[10:11]
	v_ashrrev_i32_e32 v3, 31, v3
	v_xor_b32_e32 v11, vcc_hi, v3
	v_xor_b32_e32 v3, vcc_lo, v3
	v_and_b32_e32 v1, v1, v11
	v_lshlrev_b32_e32 v11, 28, v0
	v_and_b32_e32 v2, v2, v3
	v_not_b32_e32 v3, v11
	v_cmp_gt_i64_e32 vcc, 0, v[10:11]
	v_ashrrev_i32_e32 v3, 31, v3
	v_xor_b32_e32 v11, vcc_hi, v3
	;; [unrolled: 8-line block ×5, first 2 shown]
	v_and_b32_e32 v1, v1, v11
	v_lshlrev_b32_e32 v11, 24, v0
	v_not_b32_e32 v0, v11
	v_xor_b32_e32 v3, vcc_lo, v3
	v_cmp_gt_i64_e32 vcc, 0, v[10:11]
	v_ashrrev_i32_e32 v0, 31, v0
	v_and_b32_e32 v2, v2, v3
	v_xor_b32_e32 v3, vcc_hi, v0
	v_xor_b32_e32 v0, vcc_lo, v0
	v_and_b32_e32 v0, v2, v0
	v_and_b32_e32 v1, v1, v3
	v_mbcnt_lo_u32_b32 v2, v0, 0
	v_mbcnt_hi_u32_b32 v30, v1, v2
	v_cmp_eq_u32_e32 vcc, 0, v30
	v_cmp_ne_u64_e64 s[26:27], 0, v[0:1]
	s_and_b64 s[40:41], s[26:27], vcc
	; wave barrier
	s_and_saveexec_b64 s[26:27], s[40:41]
	s_cbranch_execz .LBB1474_20
; %bb.19:                               ;   in Loop: Header=BB1474_14 Depth=1
	v_bcnt_u32_b32 v0, v0, 0
	v_bcnt_u32_b32 v0, v1, v0
	s_waitcnt lgkmcnt(0)
	v_add_u32_e32 v0, v27, v0
	ds_write_b32 v28, v0
.LBB1474_20:                            ;   in Loop: Header=BB1474_14 Depth=1
	s_or_b64 exec, exec, s[26:27]
	v_lshrrev_b32_e32 v29, 24, v17
	v_lshrrev_b32_e32 v0, s28, v29
	v_and_b32_e32 v0, s39, v0
	v_lshlrev_b32_e32 v1, 2, v0
	v_add_lshl_u32 v1, v1, v16, 2
	; wave barrier
	v_add_u32_e32 v32, 16, v1
	ds_read_b32 v31, v1 offset:16
	v_and_b32_e32 v1, 1, v0
	v_add_co_u32_e32 v2, vcc, -1, v1
	v_addc_co_u32_e64 v3, s[26:27], 0, -1, vcc
	v_cmp_ne_u32_e32 vcc, 0, v1
	v_lshlrev_b32_e32 v11, 30, v0
	v_xor_b32_e32 v1, vcc_hi, v3
	v_not_b32_e32 v3, v11
	v_xor_b32_e32 v2, vcc_lo, v2
	v_cmp_gt_i64_e32 vcc, 0, v[10:11]
	v_ashrrev_i32_e32 v3, 31, v3
	v_and_b32_e32 v1, exec_hi, v1
	v_xor_b32_e32 v11, vcc_hi, v3
	v_and_b32_e32 v2, exec_lo, v2
	v_xor_b32_e32 v3, vcc_lo, v3
	v_and_b32_e32 v1, v1, v11
	v_lshlrev_b32_e32 v11, 29, v0
	v_and_b32_e32 v2, v2, v3
	v_not_b32_e32 v3, v11
	v_cmp_gt_i64_e32 vcc, 0, v[10:11]
	v_ashrrev_i32_e32 v3, 31, v3
	v_xor_b32_e32 v11, vcc_hi, v3
	v_xor_b32_e32 v3, vcc_lo, v3
	v_and_b32_e32 v1, v1, v11
	v_lshlrev_b32_e32 v11, 28, v0
	v_and_b32_e32 v2, v2, v3
	v_not_b32_e32 v3, v11
	v_cmp_gt_i64_e32 vcc, 0, v[10:11]
	v_ashrrev_i32_e32 v3, 31, v3
	v_xor_b32_e32 v11, vcc_hi, v3
	;; [unrolled: 8-line block ×5, first 2 shown]
	v_and_b32_e32 v1, v1, v11
	v_lshlrev_b32_e32 v11, 24, v0
	v_not_b32_e32 v0, v11
	v_xor_b32_e32 v3, vcc_lo, v3
	v_cmp_gt_i64_e32 vcc, 0, v[10:11]
	v_ashrrev_i32_e32 v0, 31, v0
	v_and_b32_e32 v2, v2, v3
	v_xor_b32_e32 v3, vcc_hi, v0
	v_xor_b32_e32 v0, vcc_lo, v0
	v_and_b32_e32 v0, v2, v0
	v_and_b32_e32 v1, v1, v3
	v_mbcnt_lo_u32_b32 v2, v0, 0
	v_mbcnt_hi_u32_b32 v11, v1, v2
	v_cmp_eq_u32_e32 vcc, 0, v11
	v_cmp_ne_u64_e64 s[26:27], 0, v[0:1]
	s_and_b64 s[40:41], s[26:27], vcc
	; wave barrier
	s_and_saveexec_b64 s[26:27], s[40:41]
	s_cbranch_execz .LBB1474_22
; %bb.21:                               ;   in Loop: Header=BB1474_14 Depth=1
	v_bcnt_u32_b32 v0, v0, 0
	v_bcnt_u32_b32 v0, v1, v0
	s_waitcnt lgkmcnt(0)
	v_add_u32_e32 v0, v31, v0
	ds_write_b32 v32, v0
.LBB1474_22:                            ;   in Loop: Header=BB1474_14 Depth=1
	s_or_b64 exec, exec, s[26:27]
	; wave barrier
	s_waitcnt lgkmcnt(0)
	s_barrier
	ds_read2_b64 v[0:3], v15 offset0:2 offset1:3
	s_waitcnt lgkmcnt(0)
	v_add_u32_e32 v33, v1, v0
	v_add3_u32 v3, v33, v2, v3
	s_nop 1
	v_mov_b32_dpp v33, v3 row_shr:1 row_mask:0xf bank_mask:0xf
	v_cndmask_b32_e64 v33, v33, 0, s[0:1]
	v_add_u32_e32 v3, v33, v3
	s_nop 1
	v_mov_b32_dpp v33, v3 row_shr:2 row_mask:0xf bank_mask:0xf
	v_cndmask_b32_e64 v33, 0, v33, s[2:3]
	v_add_u32_e32 v3, v3, v33
	;; [unrolled: 4-line block ×4, first 2 shown]
	s_nop 1
	v_mov_b32_dpp v33, v3 row_bcast:15 row_mask:0xf bank_mask:0xf
	v_cndmask_b32_e64 v33, v33, 0, s[8:9]
	v_add_u32_e32 v3, v3, v33
	s_nop 1
	v_mov_b32_dpp v33, v3 row_bcast:31 row_mask:0xf bank_mask:0xf
	v_cndmask_b32_e64 v33, 0, v33, s[10:11]
	v_add_u32_e32 v3, v3, v33
	s_and_saveexec_b64 s[26:27], s[12:13]
	s_cbranch_execz .LBB1474_24
; %bb.23:                               ;   in Loop: Header=BB1474_14 Depth=1
	ds_write_b32 v19, v3
.LBB1474_24:                            ;   in Loop: Header=BB1474_14 Depth=1
	s_or_b64 exec, exec, s[26:27]
	s_waitcnt lgkmcnt(0)
	s_barrier
	s_and_saveexec_b64 s[26:27], s[14:15]
	s_cbranch_execz .LBB1474_26
; %bb.25:                               ;   in Loop: Header=BB1474_14 Depth=1
	ds_read_b32 v33, v21
	s_waitcnt lgkmcnt(0)
	s_nop 0
	v_mov_b32_dpp v34, v33 row_shr:1 row_mask:0xf bank_mask:0xf
	v_cndmask_b32_e64 v34, v34, 0, s[22:23]
	v_add_u32_e32 v33, v34, v33
	s_nop 1
	v_mov_b32_dpp v34, v33 row_shr:2 row_mask:0xf bank_mask:0xf
	v_cndmask_b32_e64 v34, 0, v34, s[24:25]
	v_add_u32_e32 v33, v33, v34
	ds_write_b32 v21, v33
.LBB1474_26:                            ;   in Loop: Header=BB1474_14 Depth=1
	s_or_b64 exec, exec, s[26:27]
	v_mov_b32_e32 v35, 0
	s_waitcnt lgkmcnt(0)
	s_barrier
	s_and_saveexec_b64 s[26:27], s[16:17]
	s_cbranch_execz .LBB1474_28
; %bb.27:                               ;   in Loop: Header=BB1474_14 Depth=1
	ds_read_b32 v35, v20
.LBB1474_28:                            ;   in Loop: Header=BB1474_14 Depth=1
	s_or_b64 exec, exec, s[26:27]
	s_waitcnt lgkmcnt(0)
	v_add_u32_e32 v3, v35, v3
	ds_bpermute_b32 v36, v18, v3
	s_add_i32 s28, s28, 8
	v_mov_b32_e32 v34, v17
	v_lshrrev_b32_e32 v33, 8, v17
	v_lshrrev_b32_e32 v3, 16, v17
	s_waitcnt lgkmcnt(0)
	v_cndmask_b32_e64 v35, v36, v35, s[18:19]
	v_cndmask_b32_e64 v36, v35, 0, s[20:21]
	v_add_u32_e32 v37, v36, v0
	v_add_u32_e32 v0, v37, v1
	;; [unrolled: 1-line block ×3, first 2 shown]
	ds_write2_b64 v15, v[36:37], v[0:1] offset0:2 offset1:3
	s_waitcnt lgkmcnt(0)
	s_barrier
	ds_read_b32 v22, v22
	ds_read_b32 v2, v25
	;; [unrolled: 1-line block ×4, first 2 shown]
	s_cmp_ge_u32 s28, s37
	v_add_u32_e32 v25, v26, v24
	v_add_u32_e32 v24, v30, v27
	;; [unrolled: 1-line block ×3, first 2 shown]
	s_waitcnt lgkmcnt(0)
	s_cbranch_scc0 .LBB1474_13
; %bb.29:
                                        ; implicit-def: $sgpr28
                                        ; implicit-def: $vgpr17
.LBB1474_30:
	v_add_u32_e32 v5, v22, v23
	v_add_u32_e32 v2, v25, v2
	;; [unrolled: 1-line block ×4, first 2 shown]
	s_barrier
	ds_write_b8 v5, v34
	ds_write_b8 v2, v33
	;; [unrolled: 1-line block ×4, first 2 shown]
	s_waitcnt lgkmcnt(0)
	s_barrier
	ds_read_u8 v0, v4
	ds_read_u8 v1, v4 offset:256
	ds_read_u8 v3, v4 offset:512
	;; [unrolled: 1-line block ×3, first 2 shown]
	s_add_u32 s0, s30, s36
	s_addc_u32 s1, s31, 0
	s_waitcnt lgkmcnt(3)
	v_xor_b32_e32 v6, 0x7f, v0
	s_waitcnt lgkmcnt(2)
	v_xor_b32_e32 v5, 0x7f, v1
	v_mov_b32_e32 v1, s1
	v_add_co_u32_e64 v0, s[0:1], s0, v4
	s_waitcnt lgkmcnt(1)
	v_xor_b32_e32 v3, 0x7f, v3
	s_andn2_b64 vcc, exec, s[34:35]
	v_addc_co_u32_e64 v1, s[0:1], 0, v1, s[0:1]
	s_cbranch_vccnz .LBB1474_32
; %bb.31:
	s_mov_b64 s[0:1], -1
	global_store_byte v[0:1], v6, off
	global_store_byte v[0:1], v5, off offset:256
	global_store_byte v[0:1], v3, off offset:512
	s_cbranch_execz .LBB1474_33
	s_branch .LBB1474_40
.LBB1474_32:
	s_mov_b64 s[0:1], 0
.LBB1474_33:
	v_cmp_gt_u32_e32 vcc, s33, v4
	s_and_saveexec_b64 s[0:1], vcc
	s_cbranch_execz .LBB1474_35
; %bb.34:
	global_store_byte v[0:1], v6, off
.LBB1474_35:
	s_or_b64 exec, exec, s[0:1]
	v_add_u32_e32 v6, 0x100, v4
	v_cmp_gt_u32_e32 vcc, s33, v6
	s_and_saveexec_b64 s[0:1], vcc
	s_cbranch_execz .LBB1474_37
; %bb.36:
	global_store_byte v[0:1], v5, off offset:256
.LBB1474_37:
	s_or_b64 exec, exec, s[0:1]
	v_add_u32_e32 v5, 0x200, v4
	v_cmp_gt_u32_e32 vcc, s33, v5
	s_and_saveexec_b64 s[0:1], vcc
	s_cbranch_execz .LBB1474_39
; %bb.38:
	global_store_byte v[0:1], v3, off offset:512
.LBB1474_39:
	s_or_b64 exec, exec, s[0:1]
	v_add_u32_e32 v3, 0x300, v4
	v_cmp_gt_u32_e64 s[0:1], s33, v3
.LBB1474_40:
	s_and_saveexec_b64 s[2:3], s[0:1]
	s_cbranch_execnz .LBB1474_42
; %bb.41:
	s_endpgm
.LBB1474_42:
	s_waitcnt lgkmcnt(0)
	v_xor_b32_e32 v2, 0x7f, v2
	global_store_byte v[0:1], v2, off offset:768
	s_endpgm
	.section	.rodata,"a",@progbits
	.p2align	6, 0x0
	.amdhsa_kernel _ZN7rocprim17ROCPRIM_400000_NS6detail17trampoline_kernelINS0_13kernel_configILj256ELj4ELj4294967295EEENS1_37radix_sort_block_sort_config_selectorIcNS0_10empty_typeEEEZNS1_21radix_sort_block_sortIS4_Lb1EPcS9_PS6_SA_NS0_19identity_decomposerEEE10hipError_tT1_T2_T3_T4_jRjT5_jjP12ihipStream_tbEUlT_E_NS1_11comp_targetILNS1_3genE4ELNS1_11target_archE910ELNS1_3gpuE8ELNS1_3repE0EEENS1_44radix_sort_block_sort_config_static_selectorELNS0_4arch9wavefront6targetE1EEEvSD_
		.amdhsa_group_segment_fixed_size 4112
		.amdhsa_private_segment_fixed_size 0
		.amdhsa_kernarg_size 304
		.amdhsa_user_sgpr_count 6
		.amdhsa_user_sgpr_private_segment_buffer 1
		.amdhsa_user_sgpr_dispatch_ptr 0
		.amdhsa_user_sgpr_queue_ptr 0
		.amdhsa_user_sgpr_kernarg_segment_ptr 1
		.amdhsa_user_sgpr_dispatch_id 0
		.amdhsa_user_sgpr_flat_scratch_init 0
		.amdhsa_user_sgpr_kernarg_preload_length 0
		.amdhsa_user_sgpr_kernarg_preload_offset 0
		.amdhsa_user_sgpr_private_segment_size 0
		.amdhsa_uses_dynamic_stack 0
		.amdhsa_system_sgpr_private_segment_wavefront_offset 0
		.amdhsa_system_sgpr_workgroup_id_x 1
		.amdhsa_system_sgpr_workgroup_id_y 0
		.amdhsa_system_sgpr_workgroup_id_z 0
		.amdhsa_system_sgpr_workgroup_info 0
		.amdhsa_system_vgpr_workitem_id 2
		.amdhsa_next_free_vgpr 38
		.amdhsa_next_free_sgpr 42
		.amdhsa_accum_offset 40
		.amdhsa_reserve_vcc 1
		.amdhsa_reserve_flat_scratch 0
		.amdhsa_float_round_mode_32 0
		.amdhsa_float_round_mode_16_64 0
		.amdhsa_float_denorm_mode_32 3
		.amdhsa_float_denorm_mode_16_64 3
		.amdhsa_dx10_clamp 1
		.amdhsa_ieee_mode 1
		.amdhsa_fp16_overflow 0
		.amdhsa_tg_split 0
		.amdhsa_exception_fp_ieee_invalid_op 0
		.amdhsa_exception_fp_denorm_src 0
		.amdhsa_exception_fp_ieee_div_zero 0
		.amdhsa_exception_fp_ieee_overflow 0
		.amdhsa_exception_fp_ieee_underflow 0
		.amdhsa_exception_fp_ieee_inexact 0
		.amdhsa_exception_int_div_zero 0
	.end_amdhsa_kernel
	.section	.text._ZN7rocprim17ROCPRIM_400000_NS6detail17trampoline_kernelINS0_13kernel_configILj256ELj4ELj4294967295EEENS1_37radix_sort_block_sort_config_selectorIcNS0_10empty_typeEEEZNS1_21radix_sort_block_sortIS4_Lb1EPcS9_PS6_SA_NS0_19identity_decomposerEEE10hipError_tT1_T2_T3_T4_jRjT5_jjP12ihipStream_tbEUlT_E_NS1_11comp_targetILNS1_3genE4ELNS1_11target_archE910ELNS1_3gpuE8ELNS1_3repE0EEENS1_44radix_sort_block_sort_config_static_selectorELNS0_4arch9wavefront6targetE1EEEvSD_,"axG",@progbits,_ZN7rocprim17ROCPRIM_400000_NS6detail17trampoline_kernelINS0_13kernel_configILj256ELj4ELj4294967295EEENS1_37radix_sort_block_sort_config_selectorIcNS0_10empty_typeEEEZNS1_21radix_sort_block_sortIS4_Lb1EPcS9_PS6_SA_NS0_19identity_decomposerEEE10hipError_tT1_T2_T3_T4_jRjT5_jjP12ihipStream_tbEUlT_E_NS1_11comp_targetILNS1_3genE4ELNS1_11target_archE910ELNS1_3gpuE8ELNS1_3repE0EEENS1_44radix_sort_block_sort_config_static_selectorELNS0_4arch9wavefront6targetE1EEEvSD_,comdat
.Lfunc_end1474:
	.size	_ZN7rocprim17ROCPRIM_400000_NS6detail17trampoline_kernelINS0_13kernel_configILj256ELj4ELj4294967295EEENS1_37radix_sort_block_sort_config_selectorIcNS0_10empty_typeEEEZNS1_21radix_sort_block_sortIS4_Lb1EPcS9_PS6_SA_NS0_19identity_decomposerEEE10hipError_tT1_T2_T3_T4_jRjT5_jjP12ihipStream_tbEUlT_E_NS1_11comp_targetILNS1_3genE4ELNS1_11target_archE910ELNS1_3gpuE8ELNS1_3repE0EEENS1_44radix_sort_block_sort_config_static_selectorELNS0_4arch9wavefront6targetE1EEEvSD_, .Lfunc_end1474-_ZN7rocprim17ROCPRIM_400000_NS6detail17trampoline_kernelINS0_13kernel_configILj256ELj4ELj4294967295EEENS1_37radix_sort_block_sort_config_selectorIcNS0_10empty_typeEEEZNS1_21radix_sort_block_sortIS4_Lb1EPcS9_PS6_SA_NS0_19identity_decomposerEEE10hipError_tT1_T2_T3_T4_jRjT5_jjP12ihipStream_tbEUlT_E_NS1_11comp_targetILNS1_3genE4ELNS1_11target_archE910ELNS1_3gpuE8ELNS1_3repE0EEENS1_44radix_sort_block_sort_config_static_selectorELNS0_4arch9wavefront6targetE1EEEvSD_
                                        ; -- End function
	.section	.AMDGPU.csdata,"",@progbits
; Kernel info:
; codeLenInByte = 3212
; NumSgprs: 46
; NumVgprs: 38
; NumAgprs: 0
; TotalNumVgprs: 38
; ScratchSize: 0
; MemoryBound: 0
; FloatMode: 240
; IeeeMode: 1
; LDSByteSize: 4112 bytes/workgroup (compile time only)
; SGPRBlocks: 5
; VGPRBlocks: 4
; NumSGPRsForWavesPerEU: 46
; NumVGPRsForWavesPerEU: 38
; AccumOffset: 40
; Occupancy: 8
; WaveLimiterHint : 1
; COMPUTE_PGM_RSRC2:SCRATCH_EN: 0
; COMPUTE_PGM_RSRC2:USER_SGPR: 6
; COMPUTE_PGM_RSRC2:TRAP_HANDLER: 0
; COMPUTE_PGM_RSRC2:TGID_X_EN: 1
; COMPUTE_PGM_RSRC2:TGID_Y_EN: 0
; COMPUTE_PGM_RSRC2:TGID_Z_EN: 0
; COMPUTE_PGM_RSRC2:TIDIG_COMP_CNT: 2
; COMPUTE_PGM_RSRC3_GFX90A:ACCUM_OFFSET: 9
; COMPUTE_PGM_RSRC3_GFX90A:TG_SPLIT: 0
	.section	.text._ZN7rocprim17ROCPRIM_400000_NS6detail17trampoline_kernelINS0_13kernel_configILj256ELj4ELj4294967295EEENS1_37radix_sort_block_sort_config_selectorIcNS0_10empty_typeEEEZNS1_21radix_sort_block_sortIS4_Lb1EPcS9_PS6_SA_NS0_19identity_decomposerEEE10hipError_tT1_T2_T3_T4_jRjT5_jjP12ihipStream_tbEUlT_E_NS1_11comp_targetILNS1_3genE3ELNS1_11target_archE908ELNS1_3gpuE7ELNS1_3repE0EEENS1_44radix_sort_block_sort_config_static_selectorELNS0_4arch9wavefront6targetE1EEEvSD_,"axG",@progbits,_ZN7rocprim17ROCPRIM_400000_NS6detail17trampoline_kernelINS0_13kernel_configILj256ELj4ELj4294967295EEENS1_37radix_sort_block_sort_config_selectorIcNS0_10empty_typeEEEZNS1_21radix_sort_block_sortIS4_Lb1EPcS9_PS6_SA_NS0_19identity_decomposerEEE10hipError_tT1_T2_T3_T4_jRjT5_jjP12ihipStream_tbEUlT_E_NS1_11comp_targetILNS1_3genE3ELNS1_11target_archE908ELNS1_3gpuE7ELNS1_3repE0EEENS1_44radix_sort_block_sort_config_static_selectorELNS0_4arch9wavefront6targetE1EEEvSD_,comdat
	.protected	_ZN7rocprim17ROCPRIM_400000_NS6detail17trampoline_kernelINS0_13kernel_configILj256ELj4ELj4294967295EEENS1_37radix_sort_block_sort_config_selectorIcNS0_10empty_typeEEEZNS1_21radix_sort_block_sortIS4_Lb1EPcS9_PS6_SA_NS0_19identity_decomposerEEE10hipError_tT1_T2_T3_T4_jRjT5_jjP12ihipStream_tbEUlT_E_NS1_11comp_targetILNS1_3genE3ELNS1_11target_archE908ELNS1_3gpuE7ELNS1_3repE0EEENS1_44radix_sort_block_sort_config_static_selectorELNS0_4arch9wavefront6targetE1EEEvSD_ ; -- Begin function _ZN7rocprim17ROCPRIM_400000_NS6detail17trampoline_kernelINS0_13kernel_configILj256ELj4ELj4294967295EEENS1_37radix_sort_block_sort_config_selectorIcNS0_10empty_typeEEEZNS1_21radix_sort_block_sortIS4_Lb1EPcS9_PS6_SA_NS0_19identity_decomposerEEE10hipError_tT1_T2_T3_T4_jRjT5_jjP12ihipStream_tbEUlT_E_NS1_11comp_targetILNS1_3genE3ELNS1_11target_archE908ELNS1_3gpuE7ELNS1_3repE0EEENS1_44radix_sort_block_sort_config_static_selectorELNS0_4arch9wavefront6targetE1EEEvSD_
	.globl	_ZN7rocprim17ROCPRIM_400000_NS6detail17trampoline_kernelINS0_13kernel_configILj256ELj4ELj4294967295EEENS1_37radix_sort_block_sort_config_selectorIcNS0_10empty_typeEEEZNS1_21radix_sort_block_sortIS4_Lb1EPcS9_PS6_SA_NS0_19identity_decomposerEEE10hipError_tT1_T2_T3_T4_jRjT5_jjP12ihipStream_tbEUlT_E_NS1_11comp_targetILNS1_3genE3ELNS1_11target_archE908ELNS1_3gpuE7ELNS1_3repE0EEENS1_44radix_sort_block_sort_config_static_selectorELNS0_4arch9wavefront6targetE1EEEvSD_
	.p2align	8
	.type	_ZN7rocprim17ROCPRIM_400000_NS6detail17trampoline_kernelINS0_13kernel_configILj256ELj4ELj4294967295EEENS1_37radix_sort_block_sort_config_selectorIcNS0_10empty_typeEEEZNS1_21radix_sort_block_sortIS4_Lb1EPcS9_PS6_SA_NS0_19identity_decomposerEEE10hipError_tT1_T2_T3_T4_jRjT5_jjP12ihipStream_tbEUlT_E_NS1_11comp_targetILNS1_3genE3ELNS1_11target_archE908ELNS1_3gpuE7ELNS1_3repE0EEENS1_44radix_sort_block_sort_config_static_selectorELNS0_4arch9wavefront6targetE1EEEvSD_,@function
_ZN7rocprim17ROCPRIM_400000_NS6detail17trampoline_kernelINS0_13kernel_configILj256ELj4ELj4294967295EEENS1_37radix_sort_block_sort_config_selectorIcNS0_10empty_typeEEEZNS1_21radix_sort_block_sortIS4_Lb1EPcS9_PS6_SA_NS0_19identity_decomposerEEE10hipError_tT1_T2_T3_T4_jRjT5_jjP12ihipStream_tbEUlT_E_NS1_11comp_targetILNS1_3genE3ELNS1_11target_archE908ELNS1_3gpuE7ELNS1_3repE0EEENS1_44radix_sort_block_sort_config_static_selectorELNS0_4arch9wavefront6targetE1EEEvSD_: ; @_ZN7rocprim17ROCPRIM_400000_NS6detail17trampoline_kernelINS0_13kernel_configILj256ELj4ELj4294967295EEENS1_37radix_sort_block_sort_config_selectorIcNS0_10empty_typeEEEZNS1_21radix_sort_block_sortIS4_Lb1EPcS9_PS6_SA_NS0_19identity_decomposerEEE10hipError_tT1_T2_T3_T4_jRjT5_jjP12ihipStream_tbEUlT_E_NS1_11comp_targetILNS1_3genE3ELNS1_11target_archE908ELNS1_3gpuE7ELNS1_3repE0EEENS1_44radix_sort_block_sort_config_static_selectorELNS0_4arch9wavefront6targetE1EEEvSD_
; %bb.0:
	.section	.rodata,"a",@progbits
	.p2align	6, 0x0
	.amdhsa_kernel _ZN7rocprim17ROCPRIM_400000_NS6detail17trampoline_kernelINS0_13kernel_configILj256ELj4ELj4294967295EEENS1_37radix_sort_block_sort_config_selectorIcNS0_10empty_typeEEEZNS1_21radix_sort_block_sortIS4_Lb1EPcS9_PS6_SA_NS0_19identity_decomposerEEE10hipError_tT1_T2_T3_T4_jRjT5_jjP12ihipStream_tbEUlT_E_NS1_11comp_targetILNS1_3genE3ELNS1_11target_archE908ELNS1_3gpuE7ELNS1_3repE0EEENS1_44radix_sort_block_sort_config_static_selectorELNS0_4arch9wavefront6targetE1EEEvSD_
		.amdhsa_group_segment_fixed_size 0
		.amdhsa_private_segment_fixed_size 0
		.amdhsa_kernarg_size 48
		.amdhsa_user_sgpr_count 6
		.amdhsa_user_sgpr_private_segment_buffer 1
		.amdhsa_user_sgpr_dispatch_ptr 0
		.amdhsa_user_sgpr_queue_ptr 0
		.amdhsa_user_sgpr_kernarg_segment_ptr 1
		.amdhsa_user_sgpr_dispatch_id 0
		.amdhsa_user_sgpr_flat_scratch_init 0
		.amdhsa_user_sgpr_kernarg_preload_length 0
		.amdhsa_user_sgpr_kernarg_preload_offset 0
		.amdhsa_user_sgpr_private_segment_size 0
		.amdhsa_uses_dynamic_stack 0
		.amdhsa_system_sgpr_private_segment_wavefront_offset 0
		.amdhsa_system_sgpr_workgroup_id_x 1
		.amdhsa_system_sgpr_workgroup_id_y 0
		.amdhsa_system_sgpr_workgroup_id_z 0
		.amdhsa_system_sgpr_workgroup_info 0
		.amdhsa_system_vgpr_workitem_id 0
		.amdhsa_next_free_vgpr 1
		.amdhsa_next_free_sgpr 0
		.amdhsa_accum_offset 4
		.amdhsa_reserve_vcc 0
		.amdhsa_reserve_flat_scratch 0
		.amdhsa_float_round_mode_32 0
		.amdhsa_float_round_mode_16_64 0
		.amdhsa_float_denorm_mode_32 3
		.amdhsa_float_denorm_mode_16_64 3
		.amdhsa_dx10_clamp 1
		.amdhsa_ieee_mode 1
		.amdhsa_fp16_overflow 0
		.amdhsa_tg_split 0
		.amdhsa_exception_fp_ieee_invalid_op 0
		.amdhsa_exception_fp_denorm_src 0
		.amdhsa_exception_fp_ieee_div_zero 0
		.amdhsa_exception_fp_ieee_overflow 0
		.amdhsa_exception_fp_ieee_underflow 0
		.amdhsa_exception_fp_ieee_inexact 0
		.amdhsa_exception_int_div_zero 0
	.end_amdhsa_kernel
	.section	.text._ZN7rocprim17ROCPRIM_400000_NS6detail17trampoline_kernelINS0_13kernel_configILj256ELj4ELj4294967295EEENS1_37radix_sort_block_sort_config_selectorIcNS0_10empty_typeEEEZNS1_21radix_sort_block_sortIS4_Lb1EPcS9_PS6_SA_NS0_19identity_decomposerEEE10hipError_tT1_T2_T3_T4_jRjT5_jjP12ihipStream_tbEUlT_E_NS1_11comp_targetILNS1_3genE3ELNS1_11target_archE908ELNS1_3gpuE7ELNS1_3repE0EEENS1_44radix_sort_block_sort_config_static_selectorELNS0_4arch9wavefront6targetE1EEEvSD_,"axG",@progbits,_ZN7rocprim17ROCPRIM_400000_NS6detail17trampoline_kernelINS0_13kernel_configILj256ELj4ELj4294967295EEENS1_37radix_sort_block_sort_config_selectorIcNS0_10empty_typeEEEZNS1_21radix_sort_block_sortIS4_Lb1EPcS9_PS6_SA_NS0_19identity_decomposerEEE10hipError_tT1_T2_T3_T4_jRjT5_jjP12ihipStream_tbEUlT_E_NS1_11comp_targetILNS1_3genE3ELNS1_11target_archE908ELNS1_3gpuE7ELNS1_3repE0EEENS1_44radix_sort_block_sort_config_static_selectorELNS0_4arch9wavefront6targetE1EEEvSD_,comdat
.Lfunc_end1475:
	.size	_ZN7rocprim17ROCPRIM_400000_NS6detail17trampoline_kernelINS0_13kernel_configILj256ELj4ELj4294967295EEENS1_37radix_sort_block_sort_config_selectorIcNS0_10empty_typeEEEZNS1_21radix_sort_block_sortIS4_Lb1EPcS9_PS6_SA_NS0_19identity_decomposerEEE10hipError_tT1_T2_T3_T4_jRjT5_jjP12ihipStream_tbEUlT_E_NS1_11comp_targetILNS1_3genE3ELNS1_11target_archE908ELNS1_3gpuE7ELNS1_3repE0EEENS1_44radix_sort_block_sort_config_static_selectorELNS0_4arch9wavefront6targetE1EEEvSD_, .Lfunc_end1475-_ZN7rocprim17ROCPRIM_400000_NS6detail17trampoline_kernelINS0_13kernel_configILj256ELj4ELj4294967295EEENS1_37radix_sort_block_sort_config_selectorIcNS0_10empty_typeEEEZNS1_21radix_sort_block_sortIS4_Lb1EPcS9_PS6_SA_NS0_19identity_decomposerEEE10hipError_tT1_T2_T3_T4_jRjT5_jjP12ihipStream_tbEUlT_E_NS1_11comp_targetILNS1_3genE3ELNS1_11target_archE908ELNS1_3gpuE7ELNS1_3repE0EEENS1_44radix_sort_block_sort_config_static_selectorELNS0_4arch9wavefront6targetE1EEEvSD_
                                        ; -- End function
	.section	.AMDGPU.csdata,"",@progbits
; Kernel info:
; codeLenInByte = 0
; NumSgprs: 4
; NumVgprs: 0
; NumAgprs: 0
; TotalNumVgprs: 0
; ScratchSize: 0
; MemoryBound: 0
; FloatMode: 240
; IeeeMode: 1
; LDSByteSize: 0 bytes/workgroup (compile time only)
; SGPRBlocks: 0
; VGPRBlocks: 0
; NumSGPRsForWavesPerEU: 4
; NumVGPRsForWavesPerEU: 1
; AccumOffset: 4
; Occupancy: 8
; WaveLimiterHint : 0
; COMPUTE_PGM_RSRC2:SCRATCH_EN: 0
; COMPUTE_PGM_RSRC2:USER_SGPR: 6
; COMPUTE_PGM_RSRC2:TRAP_HANDLER: 0
; COMPUTE_PGM_RSRC2:TGID_X_EN: 1
; COMPUTE_PGM_RSRC2:TGID_Y_EN: 0
; COMPUTE_PGM_RSRC2:TGID_Z_EN: 0
; COMPUTE_PGM_RSRC2:TIDIG_COMP_CNT: 0
; COMPUTE_PGM_RSRC3_GFX90A:ACCUM_OFFSET: 0
; COMPUTE_PGM_RSRC3_GFX90A:TG_SPLIT: 0
	.section	.text._ZN7rocprim17ROCPRIM_400000_NS6detail17trampoline_kernelINS0_13kernel_configILj256ELj4ELj4294967295EEENS1_37radix_sort_block_sort_config_selectorIcNS0_10empty_typeEEEZNS1_21radix_sort_block_sortIS4_Lb1EPcS9_PS6_SA_NS0_19identity_decomposerEEE10hipError_tT1_T2_T3_T4_jRjT5_jjP12ihipStream_tbEUlT_E_NS1_11comp_targetILNS1_3genE2ELNS1_11target_archE906ELNS1_3gpuE6ELNS1_3repE0EEENS1_44radix_sort_block_sort_config_static_selectorELNS0_4arch9wavefront6targetE1EEEvSD_,"axG",@progbits,_ZN7rocprim17ROCPRIM_400000_NS6detail17trampoline_kernelINS0_13kernel_configILj256ELj4ELj4294967295EEENS1_37radix_sort_block_sort_config_selectorIcNS0_10empty_typeEEEZNS1_21radix_sort_block_sortIS4_Lb1EPcS9_PS6_SA_NS0_19identity_decomposerEEE10hipError_tT1_T2_T3_T4_jRjT5_jjP12ihipStream_tbEUlT_E_NS1_11comp_targetILNS1_3genE2ELNS1_11target_archE906ELNS1_3gpuE6ELNS1_3repE0EEENS1_44radix_sort_block_sort_config_static_selectorELNS0_4arch9wavefront6targetE1EEEvSD_,comdat
	.protected	_ZN7rocprim17ROCPRIM_400000_NS6detail17trampoline_kernelINS0_13kernel_configILj256ELj4ELj4294967295EEENS1_37radix_sort_block_sort_config_selectorIcNS0_10empty_typeEEEZNS1_21radix_sort_block_sortIS4_Lb1EPcS9_PS6_SA_NS0_19identity_decomposerEEE10hipError_tT1_T2_T3_T4_jRjT5_jjP12ihipStream_tbEUlT_E_NS1_11comp_targetILNS1_3genE2ELNS1_11target_archE906ELNS1_3gpuE6ELNS1_3repE0EEENS1_44radix_sort_block_sort_config_static_selectorELNS0_4arch9wavefront6targetE1EEEvSD_ ; -- Begin function _ZN7rocprim17ROCPRIM_400000_NS6detail17trampoline_kernelINS0_13kernel_configILj256ELj4ELj4294967295EEENS1_37radix_sort_block_sort_config_selectorIcNS0_10empty_typeEEEZNS1_21radix_sort_block_sortIS4_Lb1EPcS9_PS6_SA_NS0_19identity_decomposerEEE10hipError_tT1_T2_T3_T4_jRjT5_jjP12ihipStream_tbEUlT_E_NS1_11comp_targetILNS1_3genE2ELNS1_11target_archE906ELNS1_3gpuE6ELNS1_3repE0EEENS1_44radix_sort_block_sort_config_static_selectorELNS0_4arch9wavefront6targetE1EEEvSD_
	.globl	_ZN7rocprim17ROCPRIM_400000_NS6detail17trampoline_kernelINS0_13kernel_configILj256ELj4ELj4294967295EEENS1_37radix_sort_block_sort_config_selectorIcNS0_10empty_typeEEEZNS1_21radix_sort_block_sortIS4_Lb1EPcS9_PS6_SA_NS0_19identity_decomposerEEE10hipError_tT1_T2_T3_T4_jRjT5_jjP12ihipStream_tbEUlT_E_NS1_11comp_targetILNS1_3genE2ELNS1_11target_archE906ELNS1_3gpuE6ELNS1_3repE0EEENS1_44radix_sort_block_sort_config_static_selectorELNS0_4arch9wavefront6targetE1EEEvSD_
	.p2align	8
	.type	_ZN7rocprim17ROCPRIM_400000_NS6detail17trampoline_kernelINS0_13kernel_configILj256ELj4ELj4294967295EEENS1_37radix_sort_block_sort_config_selectorIcNS0_10empty_typeEEEZNS1_21radix_sort_block_sortIS4_Lb1EPcS9_PS6_SA_NS0_19identity_decomposerEEE10hipError_tT1_T2_T3_T4_jRjT5_jjP12ihipStream_tbEUlT_E_NS1_11comp_targetILNS1_3genE2ELNS1_11target_archE906ELNS1_3gpuE6ELNS1_3repE0EEENS1_44radix_sort_block_sort_config_static_selectorELNS0_4arch9wavefront6targetE1EEEvSD_,@function
_ZN7rocprim17ROCPRIM_400000_NS6detail17trampoline_kernelINS0_13kernel_configILj256ELj4ELj4294967295EEENS1_37radix_sort_block_sort_config_selectorIcNS0_10empty_typeEEEZNS1_21radix_sort_block_sortIS4_Lb1EPcS9_PS6_SA_NS0_19identity_decomposerEEE10hipError_tT1_T2_T3_T4_jRjT5_jjP12ihipStream_tbEUlT_E_NS1_11comp_targetILNS1_3genE2ELNS1_11target_archE906ELNS1_3gpuE6ELNS1_3repE0EEENS1_44radix_sort_block_sort_config_static_selectorELNS0_4arch9wavefront6targetE1EEEvSD_: ; @_ZN7rocprim17ROCPRIM_400000_NS6detail17trampoline_kernelINS0_13kernel_configILj256ELj4ELj4294967295EEENS1_37radix_sort_block_sort_config_selectorIcNS0_10empty_typeEEEZNS1_21radix_sort_block_sortIS4_Lb1EPcS9_PS6_SA_NS0_19identity_decomposerEEE10hipError_tT1_T2_T3_T4_jRjT5_jjP12ihipStream_tbEUlT_E_NS1_11comp_targetILNS1_3genE2ELNS1_11target_archE906ELNS1_3gpuE6ELNS1_3repE0EEENS1_44radix_sort_block_sort_config_static_selectorELNS0_4arch9wavefront6targetE1EEEvSD_
; %bb.0:
	.section	.rodata,"a",@progbits
	.p2align	6, 0x0
	.amdhsa_kernel _ZN7rocprim17ROCPRIM_400000_NS6detail17trampoline_kernelINS0_13kernel_configILj256ELj4ELj4294967295EEENS1_37radix_sort_block_sort_config_selectorIcNS0_10empty_typeEEEZNS1_21radix_sort_block_sortIS4_Lb1EPcS9_PS6_SA_NS0_19identity_decomposerEEE10hipError_tT1_T2_T3_T4_jRjT5_jjP12ihipStream_tbEUlT_E_NS1_11comp_targetILNS1_3genE2ELNS1_11target_archE906ELNS1_3gpuE6ELNS1_3repE0EEENS1_44radix_sort_block_sort_config_static_selectorELNS0_4arch9wavefront6targetE1EEEvSD_
		.amdhsa_group_segment_fixed_size 0
		.amdhsa_private_segment_fixed_size 0
		.amdhsa_kernarg_size 48
		.amdhsa_user_sgpr_count 6
		.amdhsa_user_sgpr_private_segment_buffer 1
		.amdhsa_user_sgpr_dispatch_ptr 0
		.amdhsa_user_sgpr_queue_ptr 0
		.amdhsa_user_sgpr_kernarg_segment_ptr 1
		.amdhsa_user_sgpr_dispatch_id 0
		.amdhsa_user_sgpr_flat_scratch_init 0
		.amdhsa_user_sgpr_kernarg_preload_length 0
		.amdhsa_user_sgpr_kernarg_preload_offset 0
		.amdhsa_user_sgpr_private_segment_size 0
		.amdhsa_uses_dynamic_stack 0
		.amdhsa_system_sgpr_private_segment_wavefront_offset 0
		.amdhsa_system_sgpr_workgroup_id_x 1
		.amdhsa_system_sgpr_workgroup_id_y 0
		.amdhsa_system_sgpr_workgroup_id_z 0
		.amdhsa_system_sgpr_workgroup_info 0
		.amdhsa_system_vgpr_workitem_id 0
		.amdhsa_next_free_vgpr 1
		.amdhsa_next_free_sgpr 0
		.amdhsa_accum_offset 4
		.amdhsa_reserve_vcc 0
		.amdhsa_reserve_flat_scratch 0
		.amdhsa_float_round_mode_32 0
		.amdhsa_float_round_mode_16_64 0
		.amdhsa_float_denorm_mode_32 3
		.amdhsa_float_denorm_mode_16_64 3
		.amdhsa_dx10_clamp 1
		.amdhsa_ieee_mode 1
		.amdhsa_fp16_overflow 0
		.amdhsa_tg_split 0
		.amdhsa_exception_fp_ieee_invalid_op 0
		.amdhsa_exception_fp_denorm_src 0
		.amdhsa_exception_fp_ieee_div_zero 0
		.amdhsa_exception_fp_ieee_overflow 0
		.amdhsa_exception_fp_ieee_underflow 0
		.amdhsa_exception_fp_ieee_inexact 0
		.amdhsa_exception_int_div_zero 0
	.end_amdhsa_kernel
	.section	.text._ZN7rocprim17ROCPRIM_400000_NS6detail17trampoline_kernelINS0_13kernel_configILj256ELj4ELj4294967295EEENS1_37radix_sort_block_sort_config_selectorIcNS0_10empty_typeEEEZNS1_21radix_sort_block_sortIS4_Lb1EPcS9_PS6_SA_NS0_19identity_decomposerEEE10hipError_tT1_T2_T3_T4_jRjT5_jjP12ihipStream_tbEUlT_E_NS1_11comp_targetILNS1_3genE2ELNS1_11target_archE906ELNS1_3gpuE6ELNS1_3repE0EEENS1_44radix_sort_block_sort_config_static_selectorELNS0_4arch9wavefront6targetE1EEEvSD_,"axG",@progbits,_ZN7rocprim17ROCPRIM_400000_NS6detail17trampoline_kernelINS0_13kernel_configILj256ELj4ELj4294967295EEENS1_37radix_sort_block_sort_config_selectorIcNS0_10empty_typeEEEZNS1_21radix_sort_block_sortIS4_Lb1EPcS9_PS6_SA_NS0_19identity_decomposerEEE10hipError_tT1_T2_T3_T4_jRjT5_jjP12ihipStream_tbEUlT_E_NS1_11comp_targetILNS1_3genE2ELNS1_11target_archE906ELNS1_3gpuE6ELNS1_3repE0EEENS1_44radix_sort_block_sort_config_static_selectorELNS0_4arch9wavefront6targetE1EEEvSD_,comdat
.Lfunc_end1476:
	.size	_ZN7rocprim17ROCPRIM_400000_NS6detail17trampoline_kernelINS0_13kernel_configILj256ELj4ELj4294967295EEENS1_37radix_sort_block_sort_config_selectorIcNS0_10empty_typeEEEZNS1_21radix_sort_block_sortIS4_Lb1EPcS9_PS6_SA_NS0_19identity_decomposerEEE10hipError_tT1_T2_T3_T4_jRjT5_jjP12ihipStream_tbEUlT_E_NS1_11comp_targetILNS1_3genE2ELNS1_11target_archE906ELNS1_3gpuE6ELNS1_3repE0EEENS1_44radix_sort_block_sort_config_static_selectorELNS0_4arch9wavefront6targetE1EEEvSD_, .Lfunc_end1476-_ZN7rocprim17ROCPRIM_400000_NS6detail17trampoline_kernelINS0_13kernel_configILj256ELj4ELj4294967295EEENS1_37radix_sort_block_sort_config_selectorIcNS0_10empty_typeEEEZNS1_21radix_sort_block_sortIS4_Lb1EPcS9_PS6_SA_NS0_19identity_decomposerEEE10hipError_tT1_T2_T3_T4_jRjT5_jjP12ihipStream_tbEUlT_E_NS1_11comp_targetILNS1_3genE2ELNS1_11target_archE906ELNS1_3gpuE6ELNS1_3repE0EEENS1_44radix_sort_block_sort_config_static_selectorELNS0_4arch9wavefront6targetE1EEEvSD_
                                        ; -- End function
	.section	.AMDGPU.csdata,"",@progbits
; Kernel info:
; codeLenInByte = 0
; NumSgprs: 4
; NumVgprs: 0
; NumAgprs: 0
; TotalNumVgprs: 0
; ScratchSize: 0
; MemoryBound: 0
; FloatMode: 240
; IeeeMode: 1
; LDSByteSize: 0 bytes/workgroup (compile time only)
; SGPRBlocks: 0
; VGPRBlocks: 0
; NumSGPRsForWavesPerEU: 4
; NumVGPRsForWavesPerEU: 1
; AccumOffset: 4
; Occupancy: 8
; WaveLimiterHint : 0
; COMPUTE_PGM_RSRC2:SCRATCH_EN: 0
; COMPUTE_PGM_RSRC2:USER_SGPR: 6
; COMPUTE_PGM_RSRC2:TRAP_HANDLER: 0
; COMPUTE_PGM_RSRC2:TGID_X_EN: 1
; COMPUTE_PGM_RSRC2:TGID_Y_EN: 0
; COMPUTE_PGM_RSRC2:TGID_Z_EN: 0
; COMPUTE_PGM_RSRC2:TIDIG_COMP_CNT: 0
; COMPUTE_PGM_RSRC3_GFX90A:ACCUM_OFFSET: 0
; COMPUTE_PGM_RSRC3_GFX90A:TG_SPLIT: 0
	.section	.text._ZN7rocprim17ROCPRIM_400000_NS6detail17trampoline_kernelINS0_13kernel_configILj256ELj4ELj4294967295EEENS1_37radix_sort_block_sort_config_selectorIcNS0_10empty_typeEEEZNS1_21radix_sort_block_sortIS4_Lb1EPcS9_PS6_SA_NS0_19identity_decomposerEEE10hipError_tT1_T2_T3_T4_jRjT5_jjP12ihipStream_tbEUlT_E_NS1_11comp_targetILNS1_3genE10ELNS1_11target_archE1201ELNS1_3gpuE5ELNS1_3repE0EEENS1_44radix_sort_block_sort_config_static_selectorELNS0_4arch9wavefront6targetE1EEEvSD_,"axG",@progbits,_ZN7rocprim17ROCPRIM_400000_NS6detail17trampoline_kernelINS0_13kernel_configILj256ELj4ELj4294967295EEENS1_37radix_sort_block_sort_config_selectorIcNS0_10empty_typeEEEZNS1_21radix_sort_block_sortIS4_Lb1EPcS9_PS6_SA_NS0_19identity_decomposerEEE10hipError_tT1_T2_T3_T4_jRjT5_jjP12ihipStream_tbEUlT_E_NS1_11comp_targetILNS1_3genE10ELNS1_11target_archE1201ELNS1_3gpuE5ELNS1_3repE0EEENS1_44radix_sort_block_sort_config_static_selectorELNS0_4arch9wavefront6targetE1EEEvSD_,comdat
	.protected	_ZN7rocprim17ROCPRIM_400000_NS6detail17trampoline_kernelINS0_13kernel_configILj256ELj4ELj4294967295EEENS1_37radix_sort_block_sort_config_selectorIcNS0_10empty_typeEEEZNS1_21radix_sort_block_sortIS4_Lb1EPcS9_PS6_SA_NS0_19identity_decomposerEEE10hipError_tT1_T2_T3_T4_jRjT5_jjP12ihipStream_tbEUlT_E_NS1_11comp_targetILNS1_3genE10ELNS1_11target_archE1201ELNS1_3gpuE5ELNS1_3repE0EEENS1_44radix_sort_block_sort_config_static_selectorELNS0_4arch9wavefront6targetE1EEEvSD_ ; -- Begin function _ZN7rocprim17ROCPRIM_400000_NS6detail17trampoline_kernelINS0_13kernel_configILj256ELj4ELj4294967295EEENS1_37radix_sort_block_sort_config_selectorIcNS0_10empty_typeEEEZNS1_21radix_sort_block_sortIS4_Lb1EPcS9_PS6_SA_NS0_19identity_decomposerEEE10hipError_tT1_T2_T3_T4_jRjT5_jjP12ihipStream_tbEUlT_E_NS1_11comp_targetILNS1_3genE10ELNS1_11target_archE1201ELNS1_3gpuE5ELNS1_3repE0EEENS1_44radix_sort_block_sort_config_static_selectorELNS0_4arch9wavefront6targetE1EEEvSD_
	.globl	_ZN7rocprim17ROCPRIM_400000_NS6detail17trampoline_kernelINS0_13kernel_configILj256ELj4ELj4294967295EEENS1_37radix_sort_block_sort_config_selectorIcNS0_10empty_typeEEEZNS1_21radix_sort_block_sortIS4_Lb1EPcS9_PS6_SA_NS0_19identity_decomposerEEE10hipError_tT1_T2_T3_T4_jRjT5_jjP12ihipStream_tbEUlT_E_NS1_11comp_targetILNS1_3genE10ELNS1_11target_archE1201ELNS1_3gpuE5ELNS1_3repE0EEENS1_44radix_sort_block_sort_config_static_selectorELNS0_4arch9wavefront6targetE1EEEvSD_
	.p2align	8
	.type	_ZN7rocprim17ROCPRIM_400000_NS6detail17trampoline_kernelINS0_13kernel_configILj256ELj4ELj4294967295EEENS1_37radix_sort_block_sort_config_selectorIcNS0_10empty_typeEEEZNS1_21radix_sort_block_sortIS4_Lb1EPcS9_PS6_SA_NS0_19identity_decomposerEEE10hipError_tT1_T2_T3_T4_jRjT5_jjP12ihipStream_tbEUlT_E_NS1_11comp_targetILNS1_3genE10ELNS1_11target_archE1201ELNS1_3gpuE5ELNS1_3repE0EEENS1_44radix_sort_block_sort_config_static_selectorELNS0_4arch9wavefront6targetE1EEEvSD_,@function
_ZN7rocprim17ROCPRIM_400000_NS6detail17trampoline_kernelINS0_13kernel_configILj256ELj4ELj4294967295EEENS1_37radix_sort_block_sort_config_selectorIcNS0_10empty_typeEEEZNS1_21radix_sort_block_sortIS4_Lb1EPcS9_PS6_SA_NS0_19identity_decomposerEEE10hipError_tT1_T2_T3_T4_jRjT5_jjP12ihipStream_tbEUlT_E_NS1_11comp_targetILNS1_3genE10ELNS1_11target_archE1201ELNS1_3gpuE5ELNS1_3repE0EEENS1_44radix_sort_block_sort_config_static_selectorELNS0_4arch9wavefront6targetE1EEEvSD_: ; @_ZN7rocprim17ROCPRIM_400000_NS6detail17trampoline_kernelINS0_13kernel_configILj256ELj4ELj4294967295EEENS1_37radix_sort_block_sort_config_selectorIcNS0_10empty_typeEEEZNS1_21radix_sort_block_sortIS4_Lb1EPcS9_PS6_SA_NS0_19identity_decomposerEEE10hipError_tT1_T2_T3_T4_jRjT5_jjP12ihipStream_tbEUlT_E_NS1_11comp_targetILNS1_3genE10ELNS1_11target_archE1201ELNS1_3gpuE5ELNS1_3repE0EEENS1_44radix_sort_block_sort_config_static_selectorELNS0_4arch9wavefront6targetE1EEEvSD_
; %bb.0:
	.section	.rodata,"a",@progbits
	.p2align	6, 0x0
	.amdhsa_kernel _ZN7rocprim17ROCPRIM_400000_NS6detail17trampoline_kernelINS0_13kernel_configILj256ELj4ELj4294967295EEENS1_37radix_sort_block_sort_config_selectorIcNS0_10empty_typeEEEZNS1_21radix_sort_block_sortIS4_Lb1EPcS9_PS6_SA_NS0_19identity_decomposerEEE10hipError_tT1_T2_T3_T4_jRjT5_jjP12ihipStream_tbEUlT_E_NS1_11comp_targetILNS1_3genE10ELNS1_11target_archE1201ELNS1_3gpuE5ELNS1_3repE0EEENS1_44radix_sort_block_sort_config_static_selectorELNS0_4arch9wavefront6targetE1EEEvSD_
		.amdhsa_group_segment_fixed_size 0
		.amdhsa_private_segment_fixed_size 0
		.amdhsa_kernarg_size 48
		.amdhsa_user_sgpr_count 6
		.amdhsa_user_sgpr_private_segment_buffer 1
		.amdhsa_user_sgpr_dispatch_ptr 0
		.amdhsa_user_sgpr_queue_ptr 0
		.amdhsa_user_sgpr_kernarg_segment_ptr 1
		.amdhsa_user_sgpr_dispatch_id 0
		.amdhsa_user_sgpr_flat_scratch_init 0
		.amdhsa_user_sgpr_kernarg_preload_length 0
		.amdhsa_user_sgpr_kernarg_preload_offset 0
		.amdhsa_user_sgpr_private_segment_size 0
		.amdhsa_uses_dynamic_stack 0
		.amdhsa_system_sgpr_private_segment_wavefront_offset 0
		.amdhsa_system_sgpr_workgroup_id_x 1
		.amdhsa_system_sgpr_workgroup_id_y 0
		.amdhsa_system_sgpr_workgroup_id_z 0
		.amdhsa_system_sgpr_workgroup_info 0
		.amdhsa_system_vgpr_workitem_id 0
		.amdhsa_next_free_vgpr 1
		.amdhsa_next_free_sgpr 0
		.amdhsa_accum_offset 4
		.amdhsa_reserve_vcc 0
		.amdhsa_reserve_flat_scratch 0
		.amdhsa_float_round_mode_32 0
		.amdhsa_float_round_mode_16_64 0
		.amdhsa_float_denorm_mode_32 3
		.amdhsa_float_denorm_mode_16_64 3
		.amdhsa_dx10_clamp 1
		.amdhsa_ieee_mode 1
		.amdhsa_fp16_overflow 0
		.amdhsa_tg_split 0
		.amdhsa_exception_fp_ieee_invalid_op 0
		.amdhsa_exception_fp_denorm_src 0
		.amdhsa_exception_fp_ieee_div_zero 0
		.amdhsa_exception_fp_ieee_overflow 0
		.amdhsa_exception_fp_ieee_underflow 0
		.amdhsa_exception_fp_ieee_inexact 0
		.amdhsa_exception_int_div_zero 0
	.end_amdhsa_kernel
	.section	.text._ZN7rocprim17ROCPRIM_400000_NS6detail17trampoline_kernelINS0_13kernel_configILj256ELj4ELj4294967295EEENS1_37radix_sort_block_sort_config_selectorIcNS0_10empty_typeEEEZNS1_21radix_sort_block_sortIS4_Lb1EPcS9_PS6_SA_NS0_19identity_decomposerEEE10hipError_tT1_T2_T3_T4_jRjT5_jjP12ihipStream_tbEUlT_E_NS1_11comp_targetILNS1_3genE10ELNS1_11target_archE1201ELNS1_3gpuE5ELNS1_3repE0EEENS1_44radix_sort_block_sort_config_static_selectorELNS0_4arch9wavefront6targetE1EEEvSD_,"axG",@progbits,_ZN7rocprim17ROCPRIM_400000_NS6detail17trampoline_kernelINS0_13kernel_configILj256ELj4ELj4294967295EEENS1_37radix_sort_block_sort_config_selectorIcNS0_10empty_typeEEEZNS1_21radix_sort_block_sortIS4_Lb1EPcS9_PS6_SA_NS0_19identity_decomposerEEE10hipError_tT1_T2_T3_T4_jRjT5_jjP12ihipStream_tbEUlT_E_NS1_11comp_targetILNS1_3genE10ELNS1_11target_archE1201ELNS1_3gpuE5ELNS1_3repE0EEENS1_44radix_sort_block_sort_config_static_selectorELNS0_4arch9wavefront6targetE1EEEvSD_,comdat
.Lfunc_end1477:
	.size	_ZN7rocprim17ROCPRIM_400000_NS6detail17trampoline_kernelINS0_13kernel_configILj256ELj4ELj4294967295EEENS1_37radix_sort_block_sort_config_selectorIcNS0_10empty_typeEEEZNS1_21radix_sort_block_sortIS4_Lb1EPcS9_PS6_SA_NS0_19identity_decomposerEEE10hipError_tT1_T2_T3_T4_jRjT5_jjP12ihipStream_tbEUlT_E_NS1_11comp_targetILNS1_3genE10ELNS1_11target_archE1201ELNS1_3gpuE5ELNS1_3repE0EEENS1_44radix_sort_block_sort_config_static_selectorELNS0_4arch9wavefront6targetE1EEEvSD_, .Lfunc_end1477-_ZN7rocprim17ROCPRIM_400000_NS6detail17trampoline_kernelINS0_13kernel_configILj256ELj4ELj4294967295EEENS1_37radix_sort_block_sort_config_selectorIcNS0_10empty_typeEEEZNS1_21radix_sort_block_sortIS4_Lb1EPcS9_PS6_SA_NS0_19identity_decomposerEEE10hipError_tT1_T2_T3_T4_jRjT5_jjP12ihipStream_tbEUlT_E_NS1_11comp_targetILNS1_3genE10ELNS1_11target_archE1201ELNS1_3gpuE5ELNS1_3repE0EEENS1_44radix_sort_block_sort_config_static_selectorELNS0_4arch9wavefront6targetE1EEEvSD_
                                        ; -- End function
	.section	.AMDGPU.csdata,"",@progbits
; Kernel info:
; codeLenInByte = 0
; NumSgprs: 4
; NumVgprs: 0
; NumAgprs: 0
; TotalNumVgprs: 0
; ScratchSize: 0
; MemoryBound: 0
; FloatMode: 240
; IeeeMode: 1
; LDSByteSize: 0 bytes/workgroup (compile time only)
; SGPRBlocks: 0
; VGPRBlocks: 0
; NumSGPRsForWavesPerEU: 4
; NumVGPRsForWavesPerEU: 1
; AccumOffset: 4
; Occupancy: 8
; WaveLimiterHint : 0
; COMPUTE_PGM_RSRC2:SCRATCH_EN: 0
; COMPUTE_PGM_RSRC2:USER_SGPR: 6
; COMPUTE_PGM_RSRC2:TRAP_HANDLER: 0
; COMPUTE_PGM_RSRC2:TGID_X_EN: 1
; COMPUTE_PGM_RSRC2:TGID_Y_EN: 0
; COMPUTE_PGM_RSRC2:TGID_Z_EN: 0
; COMPUTE_PGM_RSRC2:TIDIG_COMP_CNT: 0
; COMPUTE_PGM_RSRC3_GFX90A:ACCUM_OFFSET: 0
; COMPUTE_PGM_RSRC3_GFX90A:TG_SPLIT: 0
	.section	.text._ZN7rocprim17ROCPRIM_400000_NS6detail17trampoline_kernelINS0_13kernel_configILj256ELj4ELj4294967295EEENS1_37radix_sort_block_sort_config_selectorIcNS0_10empty_typeEEEZNS1_21radix_sort_block_sortIS4_Lb1EPcS9_PS6_SA_NS0_19identity_decomposerEEE10hipError_tT1_T2_T3_T4_jRjT5_jjP12ihipStream_tbEUlT_E_NS1_11comp_targetILNS1_3genE10ELNS1_11target_archE1200ELNS1_3gpuE4ELNS1_3repE0EEENS1_44radix_sort_block_sort_config_static_selectorELNS0_4arch9wavefront6targetE1EEEvSD_,"axG",@progbits,_ZN7rocprim17ROCPRIM_400000_NS6detail17trampoline_kernelINS0_13kernel_configILj256ELj4ELj4294967295EEENS1_37radix_sort_block_sort_config_selectorIcNS0_10empty_typeEEEZNS1_21radix_sort_block_sortIS4_Lb1EPcS9_PS6_SA_NS0_19identity_decomposerEEE10hipError_tT1_T2_T3_T4_jRjT5_jjP12ihipStream_tbEUlT_E_NS1_11comp_targetILNS1_3genE10ELNS1_11target_archE1200ELNS1_3gpuE4ELNS1_3repE0EEENS1_44radix_sort_block_sort_config_static_selectorELNS0_4arch9wavefront6targetE1EEEvSD_,comdat
	.protected	_ZN7rocprim17ROCPRIM_400000_NS6detail17trampoline_kernelINS0_13kernel_configILj256ELj4ELj4294967295EEENS1_37radix_sort_block_sort_config_selectorIcNS0_10empty_typeEEEZNS1_21radix_sort_block_sortIS4_Lb1EPcS9_PS6_SA_NS0_19identity_decomposerEEE10hipError_tT1_T2_T3_T4_jRjT5_jjP12ihipStream_tbEUlT_E_NS1_11comp_targetILNS1_3genE10ELNS1_11target_archE1200ELNS1_3gpuE4ELNS1_3repE0EEENS1_44radix_sort_block_sort_config_static_selectorELNS0_4arch9wavefront6targetE1EEEvSD_ ; -- Begin function _ZN7rocprim17ROCPRIM_400000_NS6detail17trampoline_kernelINS0_13kernel_configILj256ELj4ELj4294967295EEENS1_37radix_sort_block_sort_config_selectorIcNS0_10empty_typeEEEZNS1_21radix_sort_block_sortIS4_Lb1EPcS9_PS6_SA_NS0_19identity_decomposerEEE10hipError_tT1_T2_T3_T4_jRjT5_jjP12ihipStream_tbEUlT_E_NS1_11comp_targetILNS1_3genE10ELNS1_11target_archE1200ELNS1_3gpuE4ELNS1_3repE0EEENS1_44radix_sort_block_sort_config_static_selectorELNS0_4arch9wavefront6targetE1EEEvSD_
	.globl	_ZN7rocprim17ROCPRIM_400000_NS6detail17trampoline_kernelINS0_13kernel_configILj256ELj4ELj4294967295EEENS1_37radix_sort_block_sort_config_selectorIcNS0_10empty_typeEEEZNS1_21radix_sort_block_sortIS4_Lb1EPcS9_PS6_SA_NS0_19identity_decomposerEEE10hipError_tT1_T2_T3_T4_jRjT5_jjP12ihipStream_tbEUlT_E_NS1_11comp_targetILNS1_3genE10ELNS1_11target_archE1200ELNS1_3gpuE4ELNS1_3repE0EEENS1_44radix_sort_block_sort_config_static_selectorELNS0_4arch9wavefront6targetE1EEEvSD_
	.p2align	8
	.type	_ZN7rocprim17ROCPRIM_400000_NS6detail17trampoline_kernelINS0_13kernel_configILj256ELj4ELj4294967295EEENS1_37radix_sort_block_sort_config_selectorIcNS0_10empty_typeEEEZNS1_21radix_sort_block_sortIS4_Lb1EPcS9_PS6_SA_NS0_19identity_decomposerEEE10hipError_tT1_T2_T3_T4_jRjT5_jjP12ihipStream_tbEUlT_E_NS1_11comp_targetILNS1_3genE10ELNS1_11target_archE1200ELNS1_3gpuE4ELNS1_3repE0EEENS1_44radix_sort_block_sort_config_static_selectorELNS0_4arch9wavefront6targetE1EEEvSD_,@function
_ZN7rocprim17ROCPRIM_400000_NS6detail17trampoline_kernelINS0_13kernel_configILj256ELj4ELj4294967295EEENS1_37radix_sort_block_sort_config_selectorIcNS0_10empty_typeEEEZNS1_21radix_sort_block_sortIS4_Lb1EPcS9_PS6_SA_NS0_19identity_decomposerEEE10hipError_tT1_T2_T3_T4_jRjT5_jjP12ihipStream_tbEUlT_E_NS1_11comp_targetILNS1_3genE10ELNS1_11target_archE1200ELNS1_3gpuE4ELNS1_3repE0EEENS1_44radix_sort_block_sort_config_static_selectorELNS0_4arch9wavefront6targetE1EEEvSD_: ; @_ZN7rocprim17ROCPRIM_400000_NS6detail17trampoline_kernelINS0_13kernel_configILj256ELj4ELj4294967295EEENS1_37radix_sort_block_sort_config_selectorIcNS0_10empty_typeEEEZNS1_21radix_sort_block_sortIS4_Lb1EPcS9_PS6_SA_NS0_19identity_decomposerEEE10hipError_tT1_T2_T3_T4_jRjT5_jjP12ihipStream_tbEUlT_E_NS1_11comp_targetILNS1_3genE10ELNS1_11target_archE1200ELNS1_3gpuE4ELNS1_3repE0EEENS1_44radix_sort_block_sort_config_static_selectorELNS0_4arch9wavefront6targetE1EEEvSD_
; %bb.0:
	.section	.rodata,"a",@progbits
	.p2align	6, 0x0
	.amdhsa_kernel _ZN7rocprim17ROCPRIM_400000_NS6detail17trampoline_kernelINS0_13kernel_configILj256ELj4ELj4294967295EEENS1_37radix_sort_block_sort_config_selectorIcNS0_10empty_typeEEEZNS1_21radix_sort_block_sortIS4_Lb1EPcS9_PS6_SA_NS0_19identity_decomposerEEE10hipError_tT1_T2_T3_T4_jRjT5_jjP12ihipStream_tbEUlT_E_NS1_11comp_targetILNS1_3genE10ELNS1_11target_archE1200ELNS1_3gpuE4ELNS1_3repE0EEENS1_44radix_sort_block_sort_config_static_selectorELNS0_4arch9wavefront6targetE1EEEvSD_
		.amdhsa_group_segment_fixed_size 0
		.amdhsa_private_segment_fixed_size 0
		.amdhsa_kernarg_size 48
		.amdhsa_user_sgpr_count 6
		.amdhsa_user_sgpr_private_segment_buffer 1
		.amdhsa_user_sgpr_dispatch_ptr 0
		.amdhsa_user_sgpr_queue_ptr 0
		.amdhsa_user_sgpr_kernarg_segment_ptr 1
		.amdhsa_user_sgpr_dispatch_id 0
		.amdhsa_user_sgpr_flat_scratch_init 0
		.amdhsa_user_sgpr_kernarg_preload_length 0
		.amdhsa_user_sgpr_kernarg_preload_offset 0
		.amdhsa_user_sgpr_private_segment_size 0
		.amdhsa_uses_dynamic_stack 0
		.amdhsa_system_sgpr_private_segment_wavefront_offset 0
		.amdhsa_system_sgpr_workgroup_id_x 1
		.amdhsa_system_sgpr_workgroup_id_y 0
		.amdhsa_system_sgpr_workgroup_id_z 0
		.amdhsa_system_sgpr_workgroup_info 0
		.amdhsa_system_vgpr_workitem_id 0
		.amdhsa_next_free_vgpr 1
		.amdhsa_next_free_sgpr 0
		.amdhsa_accum_offset 4
		.amdhsa_reserve_vcc 0
		.amdhsa_reserve_flat_scratch 0
		.amdhsa_float_round_mode_32 0
		.amdhsa_float_round_mode_16_64 0
		.amdhsa_float_denorm_mode_32 3
		.amdhsa_float_denorm_mode_16_64 3
		.amdhsa_dx10_clamp 1
		.amdhsa_ieee_mode 1
		.amdhsa_fp16_overflow 0
		.amdhsa_tg_split 0
		.amdhsa_exception_fp_ieee_invalid_op 0
		.amdhsa_exception_fp_denorm_src 0
		.amdhsa_exception_fp_ieee_div_zero 0
		.amdhsa_exception_fp_ieee_overflow 0
		.amdhsa_exception_fp_ieee_underflow 0
		.amdhsa_exception_fp_ieee_inexact 0
		.amdhsa_exception_int_div_zero 0
	.end_amdhsa_kernel
	.section	.text._ZN7rocprim17ROCPRIM_400000_NS6detail17trampoline_kernelINS0_13kernel_configILj256ELj4ELj4294967295EEENS1_37radix_sort_block_sort_config_selectorIcNS0_10empty_typeEEEZNS1_21radix_sort_block_sortIS4_Lb1EPcS9_PS6_SA_NS0_19identity_decomposerEEE10hipError_tT1_T2_T3_T4_jRjT5_jjP12ihipStream_tbEUlT_E_NS1_11comp_targetILNS1_3genE10ELNS1_11target_archE1200ELNS1_3gpuE4ELNS1_3repE0EEENS1_44radix_sort_block_sort_config_static_selectorELNS0_4arch9wavefront6targetE1EEEvSD_,"axG",@progbits,_ZN7rocprim17ROCPRIM_400000_NS6detail17trampoline_kernelINS0_13kernel_configILj256ELj4ELj4294967295EEENS1_37radix_sort_block_sort_config_selectorIcNS0_10empty_typeEEEZNS1_21radix_sort_block_sortIS4_Lb1EPcS9_PS6_SA_NS0_19identity_decomposerEEE10hipError_tT1_T2_T3_T4_jRjT5_jjP12ihipStream_tbEUlT_E_NS1_11comp_targetILNS1_3genE10ELNS1_11target_archE1200ELNS1_3gpuE4ELNS1_3repE0EEENS1_44radix_sort_block_sort_config_static_selectorELNS0_4arch9wavefront6targetE1EEEvSD_,comdat
.Lfunc_end1478:
	.size	_ZN7rocprim17ROCPRIM_400000_NS6detail17trampoline_kernelINS0_13kernel_configILj256ELj4ELj4294967295EEENS1_37radix_sort_block_sort_config_selectorIcNS0_10empty_typeEEEZNS1_21radix_sort_block_sortIS4_Lb1EPcS9_PS6_SA_NS0_19identity_decomposerEEE10hipError_tT1_T2_T3_T4_jRjT5_jjP12ihipStream_tbEUlT_E_NS1_11comp_targetILNS1_3genE10ELNS1_11target_archE1200ELNS1_3gpuE4ELNS1_3repE0EEENS1_44radix_sort_block_sort_config_static_selectorELNS0_4arch9wavefront6targetE1EEEvSD_, .Lfunc_end1478-_ZN7rocprim17ROCPRIM_400000_NS6detail17trampoline_kernelINS0_13kernel_configILj256ELj4ELj4294967295EEENS1_37radix_sort_block_sort_config_selectorIcNS0_10empty_typeEEEZNS1_21radix_sort_block_sortIS4_Lb1EPcS9_PS6_SA_NS0_19identity_decomposerEEE10hipError_tT1_T2_T3_T4_jRjT5_jjP12ihipStream_tbEUlT_E_NS1_11comp_targetILNS1_3genE10ELNS1_11target_archE1200ELNS1_3gpuE4ELNS1_3repE0EEENS1_44radix_sort_block_sort_config_static_selectorELNS0_4arch9wavefront6targetE1EEEvSD_
                                        ; -- End function
	.section	.AMDGPU.csdata,"",@progbits
; Kernel info:
; codeLenInByte = 0
; NumSgprs: 4
; NumVgprs: 0
; NumAgprs: 0
; TotalNumVgprs: 0
; ScratchSize: 0
; MemoryBound: 0
; FloatMode: 240
; IeeeMode: 1
; LDSByteSize: 0 bytes/workgroup (compile time only)
; SGPRBlocks: 0
; VGPRBlocks: 0
; NumSGPRsForWavesPerEU: 4
; NumVGPRsForWavesPerEU: 1
; AccumOffset: 4
; Occupancy: 8
; WaveLimiterHint : 0
; COMPUTE_PGM_RSRC2:SCRATCH_EN: 0
; COMPUTE_PGM_RSRC2:USER_SGPR: 6
; COMPUTE_PGM_RSRC2:TRAP_HANDLER: 0
; COMPUTE_PGM_RSRC2:TGID_X_EN: 1
; COMPUTE_PGM_RSRC2:TGID_Y_EN: 0
; COMPUTE_PGM_RSRC2:TGID_Z_EN: 0
; COMPUTE_PGM_RSRC2:TIDIG_COMP_CNT: 0
; COMPUTE_PGM_RSRC3_GFX90A:ACCUM_OFFSET: 0
; COMPUTE_PGM_RSRC3_GFX90A:TG_SPLIT: 0
	.section	.text._ZN7rocprim17ROCPRIM_400000_NS6detail17trampoline_kernelINS0_13kernel_configILj256ELj4ELj4294967295EEENS1_37radix_sort_block_sort_config_selectorIcNS0_10empty_typeEEEZNS1_21radix_sort_block_sortIS4_Lb1EPcS9_PS6_SA_NS0_19identity_decomposerEEE10hipError_tT1_T2_T3_T4_jRjT5_jjP12ihipStream_tbEUlT_E_NS1_11comp_targetILNS1_3genE9ELNS1_11target_archE1100ELNS1_3gpuE3ELNS1_3repE0EEENS1_44radix_sort_block_sort_config_static_selectorELNS0_4arch9wavefront6targetE1EEEvSD_,"axG",@progbits,_ZN7rocprim17ROCPRIM_400000_NS6detail17trampoline_kernelINS0_13kernel_configILj256ELj4ELj4294967295EEENS1_37radix_sort_block_sort_config_selectorIcNS0_10empty_typeEEEZNS1_21radix_sort_block_sortIS4_Lb1EPcS9_PS6_SA_NS0_19identity_decomposerEEE10hipError_tT1_T2_T3_T4_jRjT5_jjP12ihipStream_tbEUlT_E_NS1_11comp_targetILNS1_3genE9ELNS1_11target_archE1100ELNS1_3gpuE3ELNS1_3repE0EEENS1_44radix_sort_block_sort_config_static_selectorELNS0_4arch9wavefront6targetE1EEEvSD_,comdat
	.protected	_ZN7rocprim17ROCPRIM_400000_NS6detail17trampoline_kernelINS0_13kernel_configILj256ELj4ELj4294967295EEENS1_37radix_sort_block_sort_config_selectorIcNS0_10empty_typeEEEZNS1_21radix_sort_block_sortIS4_Lb1EPcS9_PS6_SA_NS0_19identity_decomposerEEE10hipError_tT1_T2_T3_T4_jRjT5_jjP12ihipStream_tbEUlT_E_NS1_11comp_targetILNS1_3genE9ELNS1_11target_archE1100ELNS1_3gpuE3ELNS1_3repE0EEENS1_44radix_sort_block_sort_config_static_selectorELNS0_4arch9wavefront6targetE1EEEvSD_ ; -- Begin function _ZN7rocprim17ROCPRIM_400000_NS6detail17trampoline_kernelINS0_13kernel_configILj256ELj4ELj4294967295EEENS1_37radix_sort_block_sort_config_selectorIcNS0_10empty_typeEEEZNS1_21radix_sort_block_sortIS4_Lb1EPcS9_PS6_SA_NS0_19identity_decomposerEEE10hipError_tT1_T2_T3_T4_jRjT5_jjP12ihipStream_tbEUlT_E_NS1_11comp_targetILNS1_3genE9ELNS1_11target_archE1100ELNS1_3gpuE3ELNS1_3repE0EEENS1_44radix_sort_block_sort_config_static_selectorELNS0_4arch9wavefront6targetE1EEEvSD_
	.globl	_ZN7rocprim17ROCPRIM_400000_NS6detail17trampoline_kernelINS0_13kernel_configILj256ELj4ELj4294967295EEENS1_37radix_sort_block_sort_config_selectorIcNS0_10empty_typeEEEZNS1_21radix_sort_block_sortIS4_Lb1EPcS9_PS6_SA_NS0_19identity_decomposerEEE10hipError_tT1_T2_T3_T4_jRjT5_jjP12ihipStream_tbEUlT_E_NS1_11comp_targetILNS1_3genE9ELNS1_11target_archE1100ELNS1_3gpuE3ELNS1_3repE0EEENS1_44radix_sort_block_sort_config_static_selectorELNS0_4arch9wavefront6targetE1EEEvSD_
	.p2align	8
	.type	_ZN7rocprim17ROCPRIM_400000_NS6detail17trampoline_kernelINS0_13kernel_configILj256ELj4ELj4294967295EEENS1_37radix_sort_block_sort_config_selectorIcNS0_10empty_typeEEEZNS1_21radix_sort_block_sortIS4_Lb1EPcS9_PS6_SA_NS0_19identity_decomposerEEE10hipError_tT1_T2_T3_T4_jRjT5_jjP12ihipStream_tbEUlT_E_NS1_11comp_targetILNS1_3genE9ELNS1_11target_archE1100ELNS1_3gpuE3ELNS1_3repE0EEENS1_44radix_sort_block_sort_config_static_selectorELNS0_4arch9wavefront6targetE1EEEvSD_,@function
_ZN7rocprim17ROCPRIM_400000_NS6detail17trampoline_kernelINS0_13kernel_configILj256ELj4ELj4294967295EEENS1_37radix_sort_block_sort_config_selectorIcNS0_10empty_typeEEEZNS1_21radix_sort_block_sortIS4_Lb1EPcS9_PS6_SA_NS0_19identity_decomposerEEE10hipError_tT1_T2_T3_T4_jRjT5_jjP12ihipStream_tbEUlT_E_NS1_11comp_targetILNS1_3genE9ELNS1_11target_archE1100ELNS1_3gpuE3ELNS1_3repE0EEENS1_44radix_sort_block_sort_config_static_selectorELNS0_4arch9wavefront6targetE1EEEvSD_: ; @_ZN7rocprim17ROCPRIM_400000_NS6detail17trampoline_kernelINS0_13kernel_configILj256ELj4ELj4294967295EEENS1_37radix_sort_block_sort_config_selectorIcNS0_10empty_typeEEEZNS1_21radix_sort_block_sortIS4_Lb1EPcS9_PS6_SA_NS0_19identity_decomposerEEE10hipError_tT1_T2_T3_T4_jRjT5_jjP12ihipStream_tbEUlT_E_NS1_11comp_targetILNS1_3genE9ELNS1_11target_archE1100ELNS1_3gpuE3ELNS1_3repE0EEENS1_44radix_sort_block_sort_config_static_selectorELNS0_4arch9wavefront6targetE1EEEvSD_
; %bb.0:
	.section	.rodata,"a",@progbits
	.p2align	6, 0x0
	.amdhsa_kernel _ZN7rocprim17ROCPRIM_400000_NS6detail17trampoline_kernelINS0_13kernel_configILj256ELj4ELj4294967295EEENS1_37radix_sort_block_sort_config_selectorIcNS0_10empty_typeEEEZNS1_21radix_sort_block_sortIS4_Lb1EPcS9_PS6_SA_NS0_19identity_decomposerEEE10hipError_tT1_T2_T3_T4_jRjT5_jjP12ihipStream_tbEUlT_E_NS1_11comp_targetILNS1_3genE9ELNS1_11target_archE1100ELNS1_3gpuE3ELNS1_3repE0EEENS1_44radix_sort_block_sort_config_static_selectorELNS0_4arch9wavefront6targetE1EEEvSD_
		.amdhsa_group_segment_fixed_size 0
		.amdhsa_private_segment_fixed_size 0
		.amdhsa_kernarg_size 48
		.amdhsa_user_sgpr_count 6
		.amdhsa_user_sgpr_private_segment_buffer 1
		.amdhsa_user_sgpr_dispatch_ptr 0
		.amdhsa_user_sgpr_queue_ptr 0
		.amdhsa_user_sgpr_kernarg_segment_ptr 1
		.amdhsa_user_sgpr_dispatch_id 0
		.amdhsa_user_sgpr_flat_scratch_init 0
		.amdhsa_user_sgpr_kernarg_preload_length 0
		.amdhsa_user_sgpr_kernarg_preload_offset 0
		.amdhsa_user_sgpr_private_segment_size 0
		.amdhsa_uses_dynamic_stack 0
		.amdhsa_system_sgpr_private_segment_wavefront_offset 0
		.amdhsa_system_sgpr_workgroup_id_x 1
		.amdhsa_system_sgpr_workgroup_id_y 0
		.amdhsa_system_sgpr_workgroup_id_z 0
		.amdhsa_system_sgpr_workgroup_info 0
		.amdhsa_system_vgpr_workitem_id 0
		.amdhsa_next_free_vgpr 1
		.amdhsa_next_free_sgpr 0
		.amdhsa_accum_offset 4
		.amdhsa_reserve_vcc 0
		.amdhsa_reserve_flat_scratch 0
		.amdhsa_float_round_mode_32 0
		.amdhsa_float_round_mode_16_64 0
		.amdhsa_float_denorm_mode_32 3
		.amdhsa_float_denorm_mode_16_64 3
		.amdhsa_dx10_clamp 1
		.amdhsa_ieee_mode 1
		.amdhsa_fp16_overflow 0
		.amdhsa_tg_split 0
		.amdhsa_exception_fp_ieee_invalid_op 0
		.amdhsa_exception_fp_denorm_src 0
		.amdhsa_exception_fp_ieee_div_zero 0
		.amdhsa_exception_fp_ieee_overflow 0
		.amdhsa_exception_fp_ieee_underflow 0
		.amdhsa_exception_fp_ieee_inexact 0
		.amdhsa_exception_int_div_zero 0
	.end_amdhsa_kernel
	.section	.text._ZN7rocprim17ROCPRIM_400000_NS6detail17trampoline_kernelINS0_13kernel_configILj256ELj4ELj4294967295EEENS1_37radix_sort_block_sort_config_selectorIcNS0_10empty_typeEEEZNS1_21radix_sort_block_sortIS4_Lb1EPcS9_PS6_SA_NS0_19identity_decomposerEEE10hipError_tT1_T2_T3_T4_jRjT5_jjP12ihipStream_tbEUlT_E_NS1_11comp_targetILNS1_3genE9ELNS1_11target_archE1100ELNS1_3gpuE3ELNS1_3repE0EEENS1_44radix_sort_block_sort_config_static_selectorELNS0_4arch9wavefront6targetE1EEEvSD_,"axG",@progbits,_ZN7rocprim17ROCPRIM_400000_NS6detail17trampoline_kernelINS0_13kernel_configILj256ELj4ELj4294967295EEENS1_37radix_sort_block_sort_config_selectorIcNS0_10empty_typeEEEZNS1_21radix_sort_block_sortIS4_Lb1EPcS9_PS6_SA_NS0_19identity_decomposerEEE10hipError_tT1_T2_T3_T4_jRjT5_jjP12ihipStream_tbEUlT_E_NS1_11comp_targetILNS1_3genE9ELNS1_11target_archE1100ELNS1_3gpuE3ELNS1_3repE0EEENS1_44radix_sort_block_sort_config_static_selectorELNS0_4arch9wavefront6targetE1EEEvSD_,comdat
.Lfunc_end1479:
	.size	_ZN7rocprim17ROCPRIM_400000_NS6detail17trampoline_kernelINS0_13kernel_configILj256ELj4ELj4294967295EEENS1_37radix_sort_block_sort_config_selectorIcNS0_10empty_typeEEEZNS1_21radix_sort_block_sortIS4_Lb1EPcS9_PS6_SA_NS0_19identity_decomposerEEE10hipError_tT1_T2_T3_T4_jRjT5_jjP12ihipStream_tbEUlT_E_NS1_11comp_targetILNS1_3genE9ELNS1_11target_archE1100ELNS1_3gpuE3ELNS1_3repE0EEENS1_44radix_sort_block_sort_config_static_selectorELNS0_4arch9wavefront6targetE1EEEvSD_, .Lfunc_end1479-_ZN7rocprim17ROCPRIM_400000_NS6detail17trampoline_kernelINS0_13kernel_configILj256ELj4ELj4294967295EEENS1_37radix_sort_block_sort_config_selectorIcNS0_10empty_typeEEEZNS1_21radix_sort_block_sortIS4_Lb1EPcS9_PS6_SA_NS0_19identity_decomposerEEE10hipError_tT1_T2_T3_T4_jRjT5_jjP12ihipStream_tbEUlT_E_NS1_11comp_targetILNS1_3genE9ELNS1_11target_archE1100ELNS1_3gpuE3ELNS1_3repE0EEENS1_44radix_sort_block_sort_config_static_selectorELNS0_4arch9wavefront6targetE1EEEvSD_
                                        ; -- End function
	.section	.AMDGPU.csdata,"",@progbits
; Kernel info:
; codeLenInByte = 0
; NumSgprs: 4
; NumVgprs: 0
; NumAgprs: 0
; TotalNumVgprs: 0
; ScratchSize: 0
; MemoryBound: 0
; FloatMode: 240
; IeeeMode: 1
; LDSByteSize: 0 bytes/workgroup (compile time only)
; SGPRBlocks: 0
; VGPRBlocks: 0
; NumSGPRsForWavesPerEU: 4
; NumVGPRsForWavesPerEU: 1
; AccumOffset: 4
; Occupancy: 8
; WaveLimiterHint : 0
; COMPUTE_PGM_RSRC2:SCRATCH_EN: 0
; COMPUTE_PGM_RSRC2:USER_SGPR: 6
; COMPUTE_PGM_RSRC2:TRAP_HANDLER: 0
; COMPUTE_PGM_RSRC2:TGID_X_EN: 1
; COMPUTE_PGM_RSRC2:TGID_Y_EN: 0
; COMPUTE_PGM_RSRC2:TGID_Z_EN: 0
; COMPUTE_PGM_RSRC2:TIDIG_COMP_CNT: 0
; COMPUTE_PGM_RSRC3_GFX90A:ACCUM_OFFSET: 0
; COMPUTE_PGM_RSRC3_GFX90A:TG_SPLIT: 0
	.section	.text._ZN7rocprim17ROCPRIM_400000_NS6detail17trampoline_kernelINS0_13kernel_configILj256ELj4ELj4294967295EEENS1_37radix_sort_block_sort_config_selectorIcNS0_10empty_typeEEEZNS1_21radix_sort_block_sortIS4_Lb1EPcS9_PS6_SA_NS0_19identity_decomposerEEE10hipError_tT1_T2_T3_T4_jRjT5_jjP12ihipStream_tbEUlT_E_NS1_11comp_targetILNS1_3genE8ELNS1_11target_archE1030ELNS1_3gpuE2ELNS1_3repE0EEENS1_44radix_sort_block_sort_config_static_selectorELNS0_4arch9wavefront6targetE1EEEvSD_,"axG",@progbits,_ZN7rocprim17ROCPRIM_400000_NS6detail17trampoline_kernelINS0_13kernel_configILj256ELj4ELj4294967295EEENS1_37radix_sort_block_sort_config_selectorIcNS0_10empty_typeEEEZNS1_21radix_sort_block_sortIS4_Lb1EPcS9_PS6_SA_NS0_19identity_decomposerEEE10hipError_tT1_T2_T3_T4_jRjT5_jjP12ihipStream_tbEUlT_E_NS1_11comp_targetILNS1_3genE8ELNS1_11target_archE1030ELNS1_3gpuE2ELNS1_3repE0EEENS1_44radix_sort_block_sort_config_static_selectorELNS0_4arch9wavefront6targetE1EEEvSD_,comdat
	.protected	_ZN7rocprim17ROCPRIM_400000_NS6detail17trampoline_kernelINS0_13kernel_configILj256ELj4ELj4294967295EEENS1_37radix_sort_block_sort_config_selectorIcNS0_10empty_typeEEEZNS1_21radix_sort_block_sortIS4_Lb1EPcS9_PS6_SA_NS0_19identity_decomposerEEE10hipError_tT1_T2_T3_T4_jRjT5_jjP12ihipStream_tbEUlT_E_NS1_11comp_targetILNS1_3genE8ELNS1_11target_archE1030ELNS1_3gpuE2ELNS1_3repE0EEENS1_44radix_sort_block_sort_config_static_selectorELNS0_4arch9wavefront6targetE1EEEvSD_ ; -- Begin function _ZN7rocprim17ROCPRIM_400000_NS6detail17trampoline_kernelINS0_13kernel_configILj256ELj4ELj4294967295EEENS1_37radix_sort_block_sort_config_selectorIcNS0_10empty_typeEEEZNS1_21radix_sort_block_sortIS4_Lb1EPcS9_PS6_SA_NS0_19identity_decomposerEEE10hipError_tT1_T2_T3_T4_jRjT5_jjP12ihipStream_tbEUlT_E_NS1_11comp_targetILNS1_3genE8ELNS1_11target_archE1030ELNS1_3gpuE2ELNS1_3repE0EEENS1_44radix_sort_block_sort_config_static_selectorELNS0_4arch9wavefront6targetE1EEEvSD_
	.globl	_ZN7rocprim17ROCPRIM_400000_NS6detail17trampoline_kernelINS0_13kernel_configILj256ELj4ELj4294967295EEENS1_37radix_sort_block_sort_config_selectorIcNS0_10empty_typeEEEZNS1_21radix_sort_block_sortIS4_Lb1EPcS9_PS6_SA_NS0_19identity_decomposerEEE10hipError_tT1_T2_T3_T4_jRjT5_jjP12ihipStream_tbEUlT_E_NS1_11comp_targetILNS1_3genE8ELNS1_11target_archE1030ELNS1_3gpuE2ELNS1_3repE0EEENS1_44radix_sort_block_sort_config_static_selectorELNS0_4arch9wavefront6targetE1EEEvSD_
	.p2align	8
	.type	_ZN7rocprim17ROCPRIM_400000_NS6detail17trampoline_kernelINS0_13kernel_configILj256ELj4ELj4294967295EEENS1_37radix_sort_block_sort_config_selectorIcNS0_10empty_typeEEEZNS1_21radix_sort_block_sortIS4_Lb1EPcS9_PS6_SA_NS0_19identity_decomposerEEE10hipError_tT1_T2_T3_T4_jRjT5_jjP12ihipStream_tbEUlT_E_NS1_11comp_targetILNS1_3genE8ELNS1_11target_archE1030ELNS1_3gpuE2ELNS1_3repE0EEENS1_44radix_sort_block_sort_config_static_selectorELNS0_4arch9wavefront6targetE1EEEvSD_,@function
_ZN7rocprim17ROCPRIM_400000_NS6detail17trampoline_kernelINS0_13kernel_configILj256ELj4ELj4294967295EEENS1_37radix_sort_block_sort_config_selectorIcNS0_10empty_typeEEEZNS1_21radix_sort_block_sortIS4_Lb1EPcS9_PS6_SA_NS0_19identity_decomposerEEE10hipError_tT1_T2_T3_T4_jRjT5_jjP12ihipStream_tbEUlT_E_NS1_11comp_targetILNS1_3genE8ELNS1_11target_archE1030ELNS1_3gpuE2ELNS1_3repE0EEENS1_44radix_sort_block_sort_config_static_selectorELNS0_4arch9wavefront6targetE1EEEvSD_: ; @_ZN7rocprim17ROCPRIM_400000_NS6detail17trampoline_kernelINS0_13kernel_configILj256ELj4ELj4294967295EEENS1_37radix_sort_block_sort_config_selectorIcNS0_10empty_typeEEEZNS1_21radix_sort_block_sortIS4_Lb1EPcS9_PS6_SA_NS0_19identity_decomposerEEE10hipError_tT1_T2_T3_T4_jRjT5_jjP12ihipStream_tbEUlT_E_NS1_11comp_targetILNS1_3genE8ELNS1_11target_archE1030ELNS1_3gpuE2ELNS1_3repE0EEENS1_44radix_sort_block_sort_config_static_selectorELNS0_4arch9wavefront6targetE1EEEvSD_
; %bb.0:
	.section	.rodata,"a",@progbits
	.p2align	6, 0x0
	.amdhsa_kernel _ZN7rocprim17ROCPRIM_400000_NS6detail17trampoline_kernelINS0_13kernel_configILj256ELj4ELj4294967295EEENS1_37radix_sort_block_sort_config_selectorIcNS0_10empty_typeEEEZNS1_21radix_sort_block_sortIS4_Lb1EPcS9_PS6_SA_NS0_19identity_decomposerEEE10hipError_tT1_T2_T3_T4_jRjT5_jjP12ihipStream_tbEUlT_E_NS1_11comp_targetILNS1_3genE8ELNS1_11target_archE1030ELNS1_3gpuE2ELNS1_3repE0EEENS1_44radix_sort_block_sort_config_static_selectorELNS0_4arch9wavefront6targetE1EEEvSD_
		.amdhsa_group_segment_fixed_size 0
		.amdhsa_private_segment_fixed_size 0
		.amdhsa_kernarg_size 48
		.amdhsa_user_sgpr_count 6
		.amdhsa_user_sgpr_private_segment_buffer 1
		.amdhsa_user_sgpr_dispatch_ptr 0
		.amdhsa_user_sgpr_queue_ptr 0
		.amdhsa_user_sgpr_kernarg_segment_ptr 1
		.amdhsa_user_sgpr_dispatch_id 0
		.amdhsa_user_sgpr_flat_scratch_init 0
		.amdhsa_user_sgpr_kernarg_preload_length 0
		.amdhsa_user_sgpr_kernarg_preload_offset 0
		.amdhsa_user_sgpr_private_segment_size 0
		.amdhsa_uses_dynamic_stack 0
		.amdhsa_system_sgpr_private_segment_wavefront_offset 0
		.amdhsa_system_sgpr_workgroup_id_x 1
		.amdhsa_system_sgpr_workgroup_id_y 0
		.amdhsa_system_sgpr_workgroup_id_z 0
		.amdhsa_system_sgpr_workgroup_info 0
		.amdhsa_system_vgpr_workitem_id 0
		.amdhsa_next_free_vgpr 1
		.amdhsa_next_free_sgpr 0
		.amdhsa_accum_offset 4
		.amdhsa_reserve_vcc 0
		.amdhsa_reserve_flat_scratch 0
		.amdhsa_float_round_mode_32 0
		.amdhsa_float_round_mode_16_64 0
		.amdhsa_float_denorm_mode_32 3
		.amdhsa_float_denorm_mode_16_64 3
		.amdhsa_dx10_clamp 1
		.amdhsa_ieee_mode 1
		.amdhsa_fp16_overflow 0
		.amdhsa_tg_split 0
		.amdhsa_exception_fp_ieee_invalid_op 0
		.amdhsa_exception_fp_denorm_src 0
		.amdhsa_exception_fp_ieee_div_zero 0
		.amdhsa_exception_fp_ieee_overflow 0
		.amdhsa_exception_fp_ieee_underflow 0
		.amdhsa_exception_fp_ieee_inexact 0
		.amdhsa_exception_int_div_zero 0
	.end_amdhsa_kernel
	.section	.text._ZN7rocprim17ROCPRIM_400000_NS6detail17trampoline_kernelINS0_13kernel_configILj256ELj4ELj4294967295EEENS1_37radix_sort_block_sort_config_selectorIcNS0_10empty_typeEEEZNS1_21radix_sort_block_sortIS4_Lb1EPcS9_PS6_SA_NS0_19identity_decomposerEEE10hipError_tT1_T2_T3_T4_jRjT5_jjP12ihipStream_tbEUlT_E_NS1_11comp_targetILNS1_3genE8ELNS1_11target_archE1030ELNS1_3gpuE2ELNS1_3repE0EEENS1_44radix_sort_block_sort_config_static_selectorELNS0_4arch9wavefront6targetE1EEEvSD_,"axG",@progbits,_ZN7rocprim17ROCPRIM_400000_NS6detail17trampoline_kernelINS0_13kernel_configILj256ELj4ELj4294967295EEENS1_37radix_sort_block_sort_config_selectorIcNS0_10empty_typeEEEZNS1_21radix_sort_block_sortIS4_Lb1EPcS9_PS6_SA_NS0_19identity_decomposerEEE10hipError_tT1_T2_T3_T4_jRjT5_jjP12ihipStream_tbEUlT_E_NS1_11comp_targetILNS1_3genE8ELNS1_11target_archE1030ELNS1_3gpuE2ELNS1_3repE0EEENS1_44radix_sort_block_sort_config_static_selectorELNS0_4arch9wavefront6targetE1EEEvSD_,comdat
.Lfunc_end1480:
	.size	_ZN7rocprim17ROCPRIM_400000_NS6detail17trampoline_kernelINS0_13kernel_configILj256ELj4ELj4294967295EEENS1_37radix_sort_block_sort_config_selectorIcNS0_10empty_typeEEEZNS1_21radix_sort_block_sortIS4_Lb1EPcS9_PS6_SA_NS0_19identity_decomposerEEE10hipError_tT1_T2_T3_T4_jRjT5_jjP12ihipStream_tbEUlT_E_NS1_11comp_targetILNS1_3genE8ELNS1_11target_archE1030ELNS1_3gpuE2ELNS1_3repE0EEENS1_44radix_sort_block_sort_config_static_selectorELNS0_4arch9wavefront6targetE1EEEvSD_, .Lfunc_end1480-_ZN7rocprim17ROCPRIM_400000_NS6detail17trampoline_kernelINS0_13kernel_configILj256ELj4ELj4294967295EEENS1_37radix_sort_block_sort_config_selectorIcNS0_10empty_typeEEEZNS1_21radix_sort_block_sortIS4_Lb1EPcS9_PS6_SA_NS0_19identity_decomposerEEE10hipError_tT1_T2_T3_T4_jRjT5_jjP12ihipStream_tbEUlT_E_NS1_11comp_targetILNS1_3genE8ELNS1_11target_archE1030ELNS1_3gpuE2ELNS1_3repE0EEENS1_44radix_sort_block_sort_config_static_selectorELNS0_4arch9wavefront6targetE1EEEvSD_
                                        ; -- End function
	.section	.AMDGPU.csdata,"",@progbits
; Kernel info:
; codeLenInByte = 0
; NumSgprs: 4
; NumVgprs: 0
; NumAgprs: 0
; TotalNumVgprs: 0
; ScratchSize: 0
; MemoryBound: 0
; FloatMode: 240
; IeeeMode: 1
; LDSByteSize: 0 bytes/workgroup (compile time only)
; SGPRBlocks: 0
; VGPRBlocks: 0
; NumSGPRsForWavesPerEU: 4
; NumVGPRsForWavesPerEU: 1
; AccumOffset: 4
; Occupancy: 8
; WaveLimiterHint : 0
; COMPUTE_PGM_RSRC2:SCRATCH_EN: 0
; COMPUTE_PGM_RSRC2:USER_SGPR: 6
; COMPUTE_PGM_RSRC2:TRAP_HANDLER: 0
; COMPUTE_PGM_RSRC2:TGID_X_EN: 1
; COMPUTE_PGM_RSRC2:TGID_Y_EN: 0
; COMPUTE_PGM_RSRC2:TGID_Z_EN: 0
; COMPUTE_PGM_RSRC2:TIDIG_COMP_CNT: 0
; COMPUTE_PGM_RSRC3_GFX90A:ACCUM_OFFSET: 0
; COMPUTE_PGM_RSRC3_GFX90A:TG_SPLIT: 0
	.section	.text._ZN7rocprim17ROCPRIM_400000_NS6detail17trampoline_kernelINS0_14default_configENS1_38merge_sort_block_merge_config_selectorIcNS0_10empty_typeEEEZZNS1_27merge_sort_block_merge_implIS3_PcPS5_jNS1_19radix_merge_compareILb1ELb0EcNS0_19identity_decomposerEEEEE10hipError_tT0_T1_T2_jT3_P12ihipStream_tbPNSt15iterator_traitsISE_E10value_typeEPNSK_ISF_E10value_typeEPSG_NS1_7vsmem_tEENKUlT_SE_SF_SG_E_clIS8_S8_S9_S9_EESD_ST_SE_SF_SG_EUlST_E_NS1_11comp_targetILNS1_3genE0ELNS1_11target_archE4294967295ELNS1_3gpuE0ELNS1_3repE0EEENS1_48merge_mergepath_partition_config_static_selectorELNS0_4arch9wavefront6targetE1EEEvSF_,"axG",@progbits,_ZN7rocprim17ROCPRIM_400000_NS6detail17trampoline_kernelINS0_14default_configENS1_38merge_sort_block_merge_config_selectorIcNS0_10empty_typeEEEZZNS1_27merge_sort_block_merge_implIS3_PcPS5_jNS1_19radix_merge_compareILb1ELb0EcNS0_19identity_decomposerEEEEE10hipError_tT0_T1_T2_jT3_P12ihipStream_tbPNSt15iterator_traitsISE_E10value_typeEPNSK_ISF_E10value_typeEPSG_NS1_7vsmem_tEENKUlT_SE_SF_SG_E_clIS8_S8_S9_S9_EESD_ST_SE_SF_SG_EUlST_E_NS1_11comp_targetILNS1_3genE0ELNS1_11target_archE4294967295ELNS1_3gpuE0ELNS1_3repE0EEENS1_48merge_mergepath_partition_config_static_selectorELNS0_4arch9wavefront6targetE1EEEvSF_,comdat
	.protected	_ZN7rocprim17ROCPRIM_400000_NS6detail17trampoline_kernelINS0_14default_configENS1_38merge_sort_block_merge_config_selectorIcNS0_10empty_typeEEEZZNS1_27merge_sort_block_merge_implIS3_PcPS5_jNS1_19radix_merge_compareILb1ELb0EcNS0_19identity_decomposerEEEEE10hipError_tT0_T1_T2_jT3_P12ihipStream_tbPNSt15iterator_traitsISE_E10value_typeEPNSK_ISF_E10value_typeEPSG_NS1_7vsmem_tEENKUlT_SE_SF_SG_E_clIS8_S8_S9_S9_EESD_ST_SE_SF_SG_EUlST_E_NS1_11comp_targetILNS1_3genE0ELNS1_11target_archE4294967295ELNS1_3gpuE0ELNS1_3repE0EEENS1_48merge_mergepath_partition_config_static_selectorELNS0_4arch9wavefront6targetE1EEEvSF_ ; -- Begin function _ZN7rocprim17ROCPRIM_400000_NS6detail17trampoline_kernelINS0_14default_configENS1_38merge_sort_block_merge_config_selectorIcNS0_10empty_typeEEEZZNS1_27merge_sort_block_merge_implIS3_PcPS5_jNS1_19radix_merge_compareILb1ELb0EcNS0_19identity_decomposerEEEEE10hipError_tT0_T1_T2_jT3_P12ihipStream_tbPNSt15iterator_traitsISE_E10value_typeEPNSK_ISF_E10value_typeEPSG_NS1_7vsmem_tEENKUlT_SE_SF_SG_E_clIS8_S8_S9_S9_EESD_ST_SE_SF_SG_EUlST_E_NS1_11comp_targetILNS1_3genE0ELNS1_11target_archE4294967295ELNS1_3gpuE0ELNS1_3repE0EEENS1_48merge_mergepath_partition_config_static_selectorELNS0_4arch9wavefront6targetE1EEEvSF_
	.globl	_ZN7rocprim17ROCPRIM_400000_NS6detail17trampoline_kernelINS0_14default_configENS1_38merge_sort_block_merge_config_selectorIcNS0_10empty_typeEEEZZNS1_27merge_sort_block_merge_implIS3_PcPS5_jNS1_19radix_merge_compareILb1ELb0EcNS0_19identity_decomposerEEEEE10hipError_tT0_T1_T2_jT3_P12ihipStream_tbPNSt15iterator_traitsISE_E10value_typeEPNSK_ISF_E10value_typeEPSG_NS1_7vsmem_tEENKUlT_SE_SF_SG_E_clIS8_S8_S9_S9_EESD_ST_SE_SF_SG_EUlST_E_NS1_11comp_targetILNS1_3genE0ELNS1_11target_archE4294967295ELNS1_3gpuE0ELNS1_3repE0EEENS1_48merge_mergepath_partition_config_static_selectorELNS0_4arch9wavefront6targetE1EEEvSF_
	.p2align	8
	.type	_ZN7rocprim17ROCPRIM_400000_NS6detail17trampoline_kernelINS0_14default_configENS1_38merge_sort_block_merge_config_selectorIcNS0_10empty_typeEEEZZNS1_27merge_sort_block_merge_implIS3_PcPS5_jNS1_19radix_merge_compareILb1ELb0EcNS0_19identity_decomposerEEEEE10hipError_tT0_T1_T2_jT3_P12ihipStream_tbPNSt15iterator_traitsISE_E10value_typeEPNSK_ISF_E10value_typeEPSG_NS1_7vsmem_tEENKUlT_SE_SF_SG_E_clIS8_S8_S9_S9_EESD_ST_SE_SF_SG_EUlST_E_NS1_11comp_targetILNS1_3genE0ELNS1_11target_archE4294967295ELNS1_3gpuE0ELNS1_3repE0EEENS1_48merge_mergepath_partition_config_static_selectorELNS0_4arch9wavefront6targetE1EEEvSF_,@function
_ZN7rocprim17ROCPRIM_400000_NS6detail17trampoline_kernelINS0_14default_configENS1_38merge_sort_block_merge_config_selectorIcNS0_10empty_typeEEEZZNS1_27merge_sort_block_merge_implIS3_PcPS5_jNS1_19radix_merge_compareILb1ELb0EcNS0_19identity_decomposerEEEEE10hipError_tT0_T1_T2_jT3_P12ihipStream_tbPNSt15iterator_traitsISE_E10value_typeEPNSK_ISF_E10value_typeEPSG_NS1_7vsmem_tEENKUlT_SE_SF_SG_E_clIS8_S8_S9_S9_EESD_ST_SE_SF_SG_EUlST_E_NS1_11comp_targetILNS1_3genE0ELNS1_11target_archE4294967295ELNS1_3gpuE0ELNS1_3repE0EEENS1_48merge_mergepath_partition_config_static_selectorELNS0_4arch9wavefront6targetE1EEEvSF_: ; @_ZN7rocprim17ROCPRIM_400000_NS6detail17trampoline_kernelINS0_14default_configENS1_38merge_sort_block_merge_config_selectorIcNS0_10empty_typeEEEZZNS1_27merge_sort_block_merge_implIS3_PcPS5_jNS1_19radix_merge_compareILb1ELb0EcNS0_19identity_decomposerEEEEE10hipError_tT0_T1_T2_jT3_P12ihipStream_tbPNSt15iterator_traitsISE_E10value_typeEPNSK_ISF_E10value_typeEPSG_NS1_7vsmem_tEENKUlT_SE_SF_SG_E_clIS8_S8_S9_S9_EESD_ST_SE_SF_SG_EUlST_E_NS1_11comp_targetILNS1_3genE0ELNS1_11target_archE4294967295ELNS1_3gpuE0ELNS1_3repE0EEENS1_48merge_mergepath_partition_config_static_selectorELNS0_4arch9wavefront6targetE1EEEvSF_
; %bb.0:
	.section	.rodata,"a",@progbits
	.p2align	6, 0x0
	.amdhsa_kernel _ZN7rocprim17ROCPRIM_400000_NS6detail17trampoline_kernelINS0_14default_configENS1_38merge_sort_block_merge_config_selectorIcNS0_10empty_typeEEEZZNS1_27merge_sort_block_merge_implIS3_PcPS5_jNS1_19radix_merge_compareILb1ELb0EcNS0_19identity_decomposerEEEEE10hipError_tT0_T1_T2_jT3_P12ihipStream_tbPNSt15iterator_traitsISE_E10value_typeEPNSK_ISF_E10value_typeEPSG_NS1_7vsmem_tEENKUlT_SE_SF_SG_E_clIS8_S8_S9_S9_EESD_ST_SE_SF_SG_EUlST_E_NS1_11comp_targetILNS1_3genE0ELNS1_11target_archE4294967295ELNS1_3gpuE0ELNS1_3repE0EEENS1_48merge_mergepath_partition_config_static_selectorELNS0_4arch9wavefront6targetE1EEEvSF_
		.amdhsa_group_segment_fixed_size 0
		.amdhsa_private_segment_fixed_size 0
		.amdhsa_kernarg_size 40
		.amdhsa_user_sgpr_count 6
		.amdhsa_user_sgpr_private_segment_buffer 1
		.amdhsa_user_sgpr_dispatch_ptr 0
		.amdhsa_user_sgpr_queue_ptr 0
		.amdhsa_user_sgpr_kernarg_segment_ptr 1
		.amdhsa_user_sgpr_dispatch_id 0
		.amdhsa_user_sgpr_flat_scratch_init 0
		.amdhsa_user_sgpr_kernarg_preload_length 0
		.amdhsa_user_sgpr_kernarg_preload_offset 0
		.amdhsa_user_sgpr_private_segment_size 0
		.amdhsa_uses_dynamic_stack 0
		.amdhsa_system_sgpr_private_segment_wavefront_offset 0
		.amdhsa_system_sgpr_workgroup_id_x 1
		.amdhsa_system_sgpr_workgroup_id_y 0
		.amdhsa_system_sgpr_workgroup_id_z 0
		.amdhsa_system_sgpr_workgroup_info 0
		.amdhsa_system_vgpr_workitem_id 0
		.amdhsa_next_free_vgpr 1
		.amdhsa_next_free_sgpr 0
		.amdhsa_accum_offset 4
		.amdhsa_reserve_vcc 0
		.amdhsa_reserve_flat_scratch 0
		.amdhsa_float_round_mode_32 0
		.amdhsa_float_round_mode_16_64 0
		.amdhsa_float_denorm_mode_32 3
		.amdhsa_float_denorm_mode_16_64 3
		.amdhsa_dx10_clamp 1
		.amdhsa_ieee_mode 1
		.amdhsa_fp16_overflow 0
		.amdhsa_tg_split 0
		.amdhsa_exception_fp_ieee_invalid_op 0
		.amdhsa_exception_fp_denorm_src 0
		.amdhsa_exception_fp_ieee_div_zero 0
		.amdhsa_exception_fp_ieee_overflow 0
		.amdhsa_exception_fp_ieee_underflow 0
		.amdhsa_exception_fp_ieee_inexact 0
		.amdhsa_exception_int_div_zero 0
	.end_amdhsa_kernel
	.section	.text._ZN7rocprim17ROCPRIM_400000_NS6detail17trampoline_kernelINS0_14default_configENS1_38merge_sort_block_merge_config_selectorIcNS0_10empty_typeEEEZZNS1_27merge_sort_block_merge_implIS3_PcPS5_jNS1_19radix_merge_compareILb1ELb0EcNS0_19identity_decomposerEEEEE10hipError_tT0_T1_T2_jT3_P12ihipStream_tbPNSt15iterator_traitsISE_E10value_typeEPNSK_ISF_E10value_typeEPSG_NS1_7vsmem_tEENKUlT_SE_SF_SG_E_clIS8_S8_S9_S9_EESD_ST_SE_SF_SG_EUlST_E_NS1_11comp_targetILNS1_3genE0ELNS1_11target_archE4294967295ELNS1_3gpuE0ELNS1_3repE0EEENS1_48merge_mergepath_partition_config_static_selectorELNS0_4arch9wavefront6targetE1EEEvSF_,"axG",@progbits,_ZN7rocprim17ROCPRIM_400000_NS6detail17trampoline_kernelINS0_14default_configENS1_38merge_sort_block_merge_config_selectorIcNS0_10empty_typeEEEZZNS1_27merge_sort_block_merge_implIS3_PcPS5_jNS1_19radix_merge_compareILb1ELb0EcNS0_19identity_decomposerEEEEE10hipError_tT0_T1_T2_jT3_P12ihipStream_tbPNSt15iterator_traitsISE_E10value_typeEPNSK_ISF_E10value_typeEPSG_NS1_7vsmem_tEENKUlT_SE_SF_SG_E_clIS8_S8_S9_S9_EESD_ST_SE_SF_SG_EUlST_E_NS1_11comp_targetILNS1_3genE0ELNS1_11target_archE4294967295ELNS1_3gpuE0ELNS1_3repE0EEENS1_48merge_mergepath_partition_config_static_selectorELNS0_4arch9wavefront6targetE1EEEvSF_,comdat
.Lfunc_end1481:
	.size	_ZN7rocprim17ROCPRIM_400000_NS6detail17trampoline_kernelINS0_14default_configENS1_38merge_sort_block_merge_config_selectorIcNS0_10empty_typeEEEZZNS1_27merge_sort_block_merge_implIS3_PcPS5_jNS1_19radix_merge_compareILb1ELb0EcNS0_19identity_decomposerEEEEE10hipError_tT0_T1_T2_jT3_P12ihipStream_tbPNSt15iterator_traitsISE_E10value_typeEPNSK_ISF_E10value_typeEPSG_NS1_7vsmem_tEENKUlT_SE_SF_SG_E_clIS8_S8_S9_S9_EESD_ST_SE_SF_SG_EUlST_E_NS1_11comp_targetILNS1_3genE0ELNS1_11target_archE4294967295ELNS1_3gpuE0ELNS1_3repE0EEENS1_48merge_mergepath_partition_config_static_selectorELNS0_4arch9wavefront6targetE1EEEvSF_, .Lfunc_end1481-_ZN7rocprim17ROCPRIM_400000_NS6detail17trampoline_kernelINS0_14default_configENS1_38merge_sort_block_merge_config_selectorIcNS0_10empty_typeEEEZZNS1_27merge_sort_block_merge_implIS3_PcPS5_jNS1_19radix_merge_compareILb1ELb0EcNS0_19identity_decomposerEEEEE10hipError_tT0_T1_T2_jT3_P12ihipStream_tbPNSt15iterator_traitsISE_E10value_typeEPNSK_ISF_E10value_typeEPSG_NS1_7vsmem_tEENKUlT_SE_SF_SG_E_clIS8_S8_S9_S9_EESD_ST_SE_SF_SG_EUlST_E_NS1_11comp_targetILNS1_3genE0ELNS1_11target_archE4294967295ELNS1_3gpuE0ELNS1_3repE0EEENS1_48merge_mergepath_partition_config_static_selectorELNS0_4arch9wavefront6targetE1EEEvSF_
                                        ; -- End function
	.section	.AMDGPU.csdata,"",@progbits
; Kernel info:
; codeLenInByte = 0
; NumSgprs: 4
; NumVgprs: 0
; NumAgprs: 0
; TotalNumVgprs: 0
; ScratchSize: 0
; MemoryBound: 0
; FloatMode: 240
; IeeeMode: 1
; LDSByteSize: 0 bytes/workgroup (compile time only)
; SGPRBlocks: 0
; VGPRBlocks: 0
; NumSGPRsForWavesPerEU: 4
; NumVGPRsForWavesPerEU: 1
; AccumOffset: 4
; Occupancy: 8
; WaveLimiterHint : 0
; COMPUTE_PGM_RSRC2:SCRATCH_EN: 0
; COMPUTE_PGM_RSRC2:USER_SGPR: 6
; COMPUTE_PGM_RSRC2:TRAP_HANDLER: 0
; COMPUTE_PGM_RSRC2:TGID_X_EN: 1
; COMPUTE_PGM_RSRC2:TGID_Y_EN: 0
; COMPUTE_PGM_RSRC2:TGID_Z_EN: 0
; COMPUTE_PGM_RSRC2:TIDIG_COMP_CNT: 0
; COMPUTE_PGM_RSRC3_GFX90A:ACCUM_OFFSET: 0
; COMPUTE_PGM_RSRC3_GFX90A:TG_SPLIT: 0
	.section	.text._ZN7rocprim17ROCPRIM_400000_NS6detail17trampoline_kernelINS0_14default_configENS1_38merge_sort_block_merge_config_selectorIcNS0_10empty_typeEEEZZNS1_27merge_sort_block_merge_implIS3_PcPS5_jNS1_19radix_merge_compareILb1ELb0EcNS0_19identity_decomposerEEEEE10hipError_tT0_T1_T2_jT3_P12ihipStream_tbPNSt15iterator_traitsISE_E10value_typeEPNSK_ISF_E10value_typeEPSG_NS1_7vsmem_tEENKUlT_SE_SF_SG_E_clIS8_S8_S9_S9_EESD_ST_SE_SF_SG_EUlST_E_NS1_11comp_targetILNS1_3genE10ELNS1_11target_archE1201ELNS1_3gpuE5ELNS1_3repE0EEENS1_48merge_mergepath_partition_config_static_selectorELNS0_4arch9wavefront6targetE1EEEvSF_,"axG",@progbits,_ZN7rocprim17ROCPRIM_400000_NS6detail17trampoline_kernelINS0_14default_configENS1_38merge_sort_block_merge_config_selectorIcNS0_10empty_typeEEEZZNS1_27merge_sort_block_merge_implIS3_PcPS5_jNS1_19radix_merge_compareILb1ELb0EcNS0_19identity_decomposerEEEEE10hipError_tT0_T1_T2_jT3_P12ihipStream_tbPNSt15iterator_traitsISE_E10value_typeEPNSK_ISF_E10value_typeEPSG_NS1_7vsmem_tEENKUlT_SE_SF_SG_E_clIS8_S8_S9_S9_EESD_ST_SE_SF_SG_EUlST_E_NS1_11comp_targetILNS1_3genE10ELNS1_11target_archE1201ELNS1_3gpuE5ELNS1_3repE0EEENS1_48merge_mergepath_partition_config_static_selectorELNS0_4arch9wavefront6targetE1EEEvSF_,comdat
	.protected	_ZN7rocprim17ROCPRIM_400000_NS6detail17trampoline_kernelINS0_14default_configENS1_38merge_sort_block_merge_config_selectorIcNS0_10empty_typeEEEZZNS1_27merge_sort_block_merge_implIS3_PcPS5_jNS1_19radix_merge_compareILb1ELb0EcNS0_19identity_decomposerEEEEE10hipError_tT0_T1_T2_jT3_P12ihipStream_tbPNSt15iterator_traitsISE_E10value_typeEPNSK_ISF_E10value_typeEPSG_NS1_7vsmem_tEENKUlT_SE_SF_SG_E_clIS8_S8_S9_S9_EESD_ST_SE_SF_SG_EUlST_E_NS1_11comp_targetILNS1_3genE10ELNS1_11target_archE1201ELNS1_3gpuE5ELNS1_3repE0EEENS1_48merge_mergepath_partition_config_static_selectorELNS0_4arch9wavefront6targetE1EEEvSF_ ; -- Begin function _ZN7rocprim17ROCPRIM_400000_NS6detail17trampoline_kernelINS0_14default_configENS1_38merge_sort_block_merge_config_selectorIcNS0_10empty_typeEEEZZNS1_27merge_sort_block_merge_implIS3_PcPS5_jNS1_19radix_merge_compareILb1ELb0EcNS0_19identity_decomposerEEEEE10hipError_tT0_T1_T2_jT3_P12ihipStream_tbPNSt15iterator_traitsISE_E10value_typeEPNSK_ISF_E10value_typeEPSG_NS1_7vsmem_tEENKUlT_SE_SF_SG_E_clIS8_S8_S9_S9_EESD_ST_SE_SF_SG_EUlST_E_NS1_11comp_targetILNS1_3genE10ELNS1_11target_archE1201ELNS1_3gpuE5ELNS1_3repE0EEENS1_48merge_mergepath_partition_config_static_selectorELNS0_4arch9wavefront6targetE1EEEvSF_
	.globl	_ZN7rocprim17ROCPRIM_400000_NS6detail17trampoline_kernelINS0_14default_configENS1_38merge_sort_block_merge_config_selectorIcNS0_10empty_typeEEEZZNS1_27merge_sort_block_merge_implIS3_PcPS5_jNS1_19radix_merge_compareILb1ELb0EcNS0_19identity_decomposerEEEEE10hipError_tT0_T1_T2_jT3_P12ihipStream_tbPNSt15iterator_traitsISE_E10value_typeEPNSK_ISF_E10value_typeEPSG_NS1_7vsmem_tEENKUlT_SE_SF_SG_E_clIS8_S8_S9_S9_EESD_ST_SE_SF_SG_EUlST_E_NS1_11comp_targetILNS1_3genE10ELNS1_11target_archE1201ELNS1_3gpuE5ELNS1_3repE0EEENS1_48merge_mergepath_partition_config_static_selectorELNS0_4arch9wavefront6targetE1EEEvSF_
	.p2align	8
	.type	_ZN7rocprim17ROCPRIM_400000_NS6detail17trampoline_kernelINS0_14default_configENS1_38merge_sort_block_merge_config_selectorIcNS0_10empty_typeEEEZZNS1_27merge_sort_block_merge_implIS3_PcPS5_jNS1_19radix_merge_compareILb1ELb0EcNS0_19identity_decomposerEEEEE10hipError_tT0_T1_T2_jT3_P12ihipStream_tbPNSt15iterator_traitsISE_E10value_typeEPNSK_ISF_E10value_typeEPSG_NS1_7vsmem_tEENKUlT_SE_SF_SG_E_clIS8_S8_S9_S9_EESD_ST_SE_SF_SG_EUlST_E_NS1_11comp_targetILNS1_3genE10ELNS1_11target_archE1201ELNS1_3gpuE5ELNS1_3repE0EEENS1_48merge_mergepath_partition_config_static_selectorELNS0_4arch9wavefront6targetE1EEEvSF_,@function
_ZN7rocprim17ROCPRIM_400000_NS6detail17trampoline_kernelINS0_14default_configENS1_38merge_sort_block_merge_config_selectorIcNS0_10empty_typeEEEZZNS1_27merge_sort_block_merge_implIS3_PcPS5_jNS1_19radix_merge_compareILb1ELb0EcNS0_19identity_decomposerEEEEE10hipError_tT0_T1_T2_jT3_P12ihipStream_tbPNSt15iterator_traitsISE_E10value_typeEPNSK_ISF_E10value_typeEPSG_NS1_7vsmem_tEENKUlT_SE_SF_SG_E_clIS8_S8_S9_S9_EESD_ST_SE_SF_SG_EUlST_E_NS1_11comp_targetILNS1_3genE10ELNS1_11target_archE1201ELNS1_3gpuE5ELNS1_3repE0EEENS1_48merge_mergepath_partition_config_static_selectorELNS0_4arch9wavefront6targetE1EEEvSF_: ; @_ZN7rocprim17ROCPRIM_400000_NS6detail17trampoline_kernelINS0_14default_configENS1_38merge_sort_block_merge_config_selectorIcNS0_10empty_typeEEEZZNS1_27merge_sort_block_merge_implIS3_PcPS5_jNS1_19radix_merge_compareILb1ELb0EcNS0_19identity_decomposerEEEEE10hipError_tT0_T1_T2_jT3_P12ihipStream_tbPNSt15iterator_traitsISE_E10value_typeEPNSK_ISF_E10value_typeEPSG_NS1_7vsmem_tEENKUlT_SE_SF_SG_E_clIS8_S8_S9_S9_EESD_ST_SE_SF_SG_EUlST_E_NS1_11comp_targetILNS1_3genE10ELNS1_11target_archE1201ELNS1_3gpuE5ELNS1_3repE0EEENS1_48merge_mergepath_partition_config_static_selectorELNS0_4arch9wavefront6targetE1EEEvSF_
; %bb.0:
	.section	.rodata,"a",@progbits
	.p2align	6, 0x0
	.amdhsa_kernel _ZN7rocprim17ROCPRIM_400000_NS6detail17trampoline_kernelINS0_14default_configENS1_38merge_sort_block_merge_config_selectorIcNS0_10empty_typeEEEZZNS1_27merge_sort_block_merge_implIS3_PcPS5_jNS1_19radix_merge_compareILb1ELb0EcNS0_19identity_decomposerEEEEE10hipError_tT0_T1_T2_jT3_P12ihipStream_tbPNSt15iterator_traitsISE_E10value_typeEPNSK_ISF_E10value_typeEPSG_NS1_7vsmem_tEENKUlT_SE_SF_SG_E_clIS8_S8_S9_S9_EESD_ST_SE_SF_SG_EUlST_E_NS1_11comp_targetILNS1_3genE10ELNS1_11target_archE1201ELNS1_3gpuE5ELNS1_3repE0EEENS1_48merge_mergepath_partition_config_static_selectorELNS0_4arch9wavefront6targetE1EEEvSF_
		.amdhsa_group_segment_fixed_size 0
		.amdhsa_private_segment_fixed_size 0
		.amdhsa_kernarg_size 40
		.amdhsa_user_sgpr_count 6
		.amdhsa_user_sgpr_private_segment_buffer 1
		.amdhsa_user_sgpr_dispatch_ptr 0
		.amdhsa_user_sgpr_queue_ptr 0
		.amdhsa_user_sgpr_kernarg_segment_ptr 1
		.amdhsa_user_sgpr_dispatch_id 0
		.amdhsa_user_sgpr_flat_scratch_init 0
		.amdhsa_user_sgpr_kernarg_preload_length 0
		.amdhsa_user_sgpr_kernarg_preload_offset 0
		.amdhsa_user_sgpr_private_segment_size 0
		.amdhsa_uses_dynamic_stack 0
		.amdhsa_system_sgpr_private_segment_wavefront_offset 0
		.amdhsa_system_sgpr_workgroup_id_x 1
		.amdhsa_system_sgpr_workgroup_id_y 0
		.amdhsa_system_sgpr_workgroup_id_z 0
		.amdhsa_system_sgpr_workgroup_info 0
		.amdhsa_system_vgpr_workitem_id 0
		.amdhsa_next_free_vgpr 1
		.amdhsa_next_free_sgpr 0
		.amdhsa_accum_offset 4
		.amdhsa_reserve_vcc 0
		.amdhsa_reserve_flat_scratch 0
		.amdhsa_float_round_mode_32 0
		.amdhsa_float_round_mode_16_64 0
		.amdhsa_float_denorm_mode_32 3
		.amdhsa_float_denorm_mode_16_64 3
		.amdhsa_dx10_clamp 1
		.amdhsa_ieee_mode 1
		.amdhsa_fp16_overflow 0
		.amdhsa_tg_split 0
		.amdhsa_exception_fp_ieee_invalid_op 0
		.amdhsa_exception_fp_denorm_src 0
		.amdhsa_exception_fp_ieee_div_zero 0
		.amdhsa_exception_fp_ieee_overflow 0
		.amdhsa_exception_fp_ieee_underflow 0
		.amdhsa_exception_fp_ieee_inexact 0
		.amdhsa_exception_int_div_zero 0
	.end_amdhsa_kernel
	.section	.text._ZN7rocprim17ROCPRIM_400000_NS6detail17trampoline_kernelINS0_14default_configENS1_38merge_sort_block_merge_config_selectorIcNS0_10empty_typeEEEZZNS1_27merge_sort_block_merge_implIS3_PcPS5_jNS1_19radix_merge_compareILb1ELb0EcNS0_19identity_decomposerEEEEE10hipError_tT0_T1_T2_jT3_P12ihipStream_tbPNSt15iterator_traitsISE_E10value_typeEPNSK_ISF_E10value_typeEPSG_NS1_7vsmem_tEENKUlT_SE_SF_SG_E_clIS8_S8_S9_S9_EESD_ST_SE_SF_SG_EUlST_E_NS1_11comp_targetILNS1_3genE10ELNS1_11target_archE1201ELNS1_3gpuE5ELNS1_3repE0EEENS1_48merge_mergepath_partition_config_static_selectorELNS0_4arch9wavefront6targetE1EEEvSF_,"axG",@progbits,_ZN7rocprim17ROCPRIM_400000_NS6detail17trampoline_kernelINS0_14default_configENS1_38merge_sort_block_merge_config_selectorIcNS0_10empty_typeEEEZZNS1_27merge_sort_block_merge_implIS3_PcPS5_jNS1_19radix_merge_compareILb1ELb0EcNS0_19identity_decomposerEEEEE10hipError_tT0_T1_T2_jT3_P12ihipStream_tbPNSt15iterator_traitsISE_E10value_typeEPNSK_ISF_E10value_typeEPSG_NS1_7vsmem_tEENKUlT_SE_SF_SG_E_clIS8_S8_S9_S9_EESD_ST_SE_SF_SG_EUlST_E_NS1_11comp_targetILNS1_3genE10ELNS1_11target_archE1201ELNS1_3gpuE5ELNS1_3repE0EEENS1_48merge_mergepath_partition_config_static_selectorELNS0_4arch9wavefront6targetE1EEEvSF_,comdat
.Lfunc_end1482:
	.size	_ZN7rocprim17ROCPRIM_400000_NS6detail17trampoline_kernelINS0_14default_configENS1_38merge_sort_block_merge_config_selectorIcNS0_10empty_typeEEEZZNS1_27merge_sort_block_merge_implIS3_PcPS5_jNS1_19radix_merge_compareILb1ELb0EcNS0_19identity_decomposerEEEEE10hipError_tT0_T1_T2_jT3_P12ihipStream_tbPNSt15iterator_traitsISE_E10value_typeEPNSK_ISF_E10value_typeEPSG_NS1_7vsmem_tEENKUlT_SE_SF_SG_E_clIS8_S8_S9_S9_EESD_ST_SE_SF_SG_EUlST_E_NS1_11comp_targetILNS1_3genE10ELNS1_11target_archE1201ELNS1_3gpuE5ELNS1_3repE0EEENS1_48merge_mergepath_partition_config_static_selectorELNS0_4arch9wavefront6targetE1EEEvSF_, .Lfunc_end1482-_ZN7rocprim17ROCPRIM_400000_NS6detail17trampoline_kernelINS0_14default_configENS1_38merge_sort_block_merge_config_selectorIcNS0_10empty_typeEEEZZNS1_27merge_sort_block_merge_implIS3_PcPS5_jNS1_19radix_merge_compareILb1ELb0EcNS0_19identity_decomposerEEEEE10hipError_tT0_T1_T2_jT3_P12ihipStream_tbPNSt15iterator_traitsISE_E10value_typeEPNSK_ISF_E10value_typeEPSG_NS1_7vsmem_tEENKUlT_SE_SF_SG_E_clIS8_S8_S9_S9_EESD_ST_SE_SF_SG_EUlST_E_NS1_11comp_targetILNS1_3genE10ELNS1_11target_archE1201ELNS1_3gpuE5ELNS1_3repE0EEENS1_48merge_mergepath_partition_config_static_selectorELNS0_4arch9wavefront6targetE1EEEvSF_
                                        ; -- End function
	.section	.AMDGPU.csdata,"",@progbits
; Kernel info:
; codeLenInByte = 0
; NumSgprs: 4
; NumVgprs: 0
; NumAgprs: 0
; TotalNumVgprs: 0
; ScratchSize: 0
; MemoryBound: 0
; FloatMode: 240
; IeeeMode: 1
; LDSByteSize: 0 bytes/workgroup (compile time only)
; SGPRBlocks: 0
; VGPRBlocks: 0
; NumSGPRsForWavesPerEU: 4
; NumVGPRsForWavesPerEU: 1
; AccumOffset: 4
; Occupancy: 8
; WaveLimiterHint : 0
; COMPUTE_PGM_RSRC2:SCRATCH_EN: 0
; COMPUTE_PGM_RSRC2:USER_SGPR: 6
; COMPUTE_PGM_RSRC2:TRAP_HANDLER: 0
; COMPUTE_PGM_RSRC2:TGID_X_EN: 1
; COMPUTE_PGM_RSRC2:TGID_Y_EN: 0
; COMPUTE_PGM_RSRC2:TGID_Z_EN: 0
; COMPUTE_PGM_RSRC2:TIDIG_COMP_CNT: 0
; COMPUTE_PGM_RSRC3_GFX90A:ACCUM_OFFSET: 0
; COMPUTE_PGM_RSRC3_GFX90A:TG_SPLIT: 0
	.section	.text._ZN7rocprim17ROCPRIM_400000_NS6detail17trampoline_kernelINS0_14default_configENS1_38merge_sort_block_merge_config_selectorIcNS0_10empty_typeEEEZZNS1_27merge_sort_block_merge_implIS3_PcPS5_jNS1_19radix_merge_compareILb1ELb0EcNS0_19identity_decomposerEEEEE10hipError_tT0_T1_T2_jT3_P12ihipStream_tbPNSt15iterator_traitsISE_E10value_typeEPNSK_ISF_E10value_typeEPSG_NS1_7vsmem_tEENKUlT_SE_SF_SG_E_clIS8_S8_S9_S9_EESD_ST_SE_SF_SG_EUlST_E_NS1_11comp_targetILNS1_3genE5ELNS1_11target_archE942ELNS1_3gpuE9ELNS1_3repE0EEENS1_48merge_mergepath_partition_config_static_selectorELNS0_4arch9wavefront6targetE1EEEvSF_,"axG",@progbits,_ZN7rocprim17ROCPRIM_400000_NS6detail17trampoline_kernelINS0_14default_configENS1_38merge_sort_block_merge_config_selectorIcNS0_10empty_typeEEEZZNS1_27merge_sort_block_merge_implIS3_PcPS5_jNS1_19radix_merge_compareILb1ELb0EcNS0_19identity_decomposerEEEEE10hipError_tT0_T1_T2_jT3_P12ihipStream_tbPNSt15iterator_traitsISE_E10value_typeEPNSK_ISF_E10value_typeEPSG_NS1_7vsmem_tEENKUlT_SE_SF_SG_E_clIS8_S8_S9_S9_EESD_ST_SE_SF_SG_EUlST_E_NS1_11comp_targetILNS1_3genE5ELNS1_11target_archE942ELNS1_3gpuE9ELNS1_3repE0EEENS1_48merge_mergepath_partition_config_static_selectorELNS0_4arch9wavefront6targetE1EEEvSF_,comdat
	.protected	_ZN7rocprim17ROCPRIM_400000_NS6detail17trampoline_kernelINS0_14default_configENS1_38merge_sort_block_merge_config_selectorIcNS0_10empty_typeEEEZZNS1_27merge_sort_block_merge_implIS3_PcPS5_jNS1_19radix_merge_compareILb1ELb0EcNS0_19identity_decomposerEEEEE10hipError_tT0_T1_T2_jT3_P12ihipStream_tbPNSt15iterator_traitsISE_E10value_typeEPNSK_ISF_E10value_typeEPSG_NS1_7vsmem_tEENKUlT_SE_SF_SG_E_clIS8_S8_S9_S9_EESD_ST_SE_SF_SG_EUlST_E_NS1_11comp_targetILNS1_3genE5ELNS1_11target_archE942ELNS1_3gpuE9ELNS1_3repE0EEENS1_48merge_mergepath_partition_config_static_selectorELNS0_4arch9wavefront6targetE1EEEvSF_ ; -- Begin function _ZN7rocprim17ROCPRIM_400000_NS6detail17trampoline_kernelINS0_14default_configENS1_38merge_sort_block_merge_config_selectorIcNS0_10empty_typeEEEZZNS1_27merge_sort_block_merge_implIS3_PcPS5_jNS1_19radix_merge_compareILb1ELb0EcNS0_19identity_decomposerEEEEE10hipError_tT0_T1_T2_jT3_P12ihipStream_tbPNSt15iterator_traitsISE_E10value_typeEPNSK_ISF_E10value_typeEPSG_NS1_7vsmem_tEENKUlT_SE_SF_SG_E_clIS8_S8_S9_S9_EESD_ST_SE_SF_SG_EUlST_E_NS1_11comp_targetILNS1_3genE5ELNS1_11target_archE942ELNS1_3gpuE9ELNS1_3repE0EEENS1_48merge_mergepath_partition_config_static_selectorELNS0_4arch9wavefront6targetE1EEEvSF_
	.globl	_ZN7rocprim17ROCPRIM_400000_NS6detail17trampoline_kernelINS0_14default_configENS1_38merge_sort_block_merge_config_selectorIcNS0_10empty_typeEEEZZNS1_27merge_sort_block_merge_implIS3_PcPS5_jNS1_19radix_merge_compareILb1ELb0EcNS0_19identity_decomposerEEEEE10hipError_tT0_T1_T2_jT3_P12ihipStream_tbPNSt15iterator_traitsISE_E10value_typeEPNSK_ISF_E10value_typeEPSG_NS1_7vsmem_tEENKUlT_SE_SF_SG_E_clIS8_S8_S9_S9_EESD_ST_SE_SF_SG_EUlST_E_NS1_11comp_targetILNS1_3genE5ELNS1_11target_archE942ELNS1_3gpuE9ELNS1_3repE0EEENS1_48merge_mergepath_partition_config_static_selectorELNS0_4arch9wavefront6targetE1EEEvSF_
	.p2align	8
	.type	_ZN7rocprim17ROCPRIM_400000_NS6detail17trampoline_kernelINS0_14default_configENS1_38merge_sort_block_merge_config_selectorIcNS0_10empty_typeEEEZZNS1_27merge_sort_block_merge_implIS3_PcPS5_jNS1_19radix_merge_compareILb1ELb0EcNS0_19identity_decomposerEEEEE10hipError_tT0_T1_T2_jT3_P12ihipStream_tbPNSt15iterator_traitsISE_E10value_typeEPNSK_ISF_E10value_typeEPSG_NS1_7vsmem_tEENKUlT_SE_SF_SG_E_clIS8_S8_S9_S9_EESD_ST_SE_SF_SG_EUlST_E_NS1_11comp_targetILNS1_3genE5ELNS1_11target_archE942ELNS1_3gpuE9ELNS1_3repE0EEENS1_48merge_mergepath_partition_config_static_selectorELNS0_4arch9wavefront6targetE1EEEvSF_,@function
_ZN7rocprim17ROCPRIM_400000_NS6detail17trampoline_kernelINS0_14default_configENS1_38merge_sort_block_merge_config_selectorIcNS0_10empty_typeEEEZZNS1_27merge_sort_block_merge_implIS3_PcPS5_jNS1_19radix_merge_compareILb1ELb0EcNS0_19identity_decomposerEEEEE10hipError_tT0_T1_T2_jT3_P12ihipStream_tbPNSt15iterator_traitsISE_E10value_typeEPNSK_ISF_E10value_typeEPSG_NS1_7vsmem_tEENKUlT_SE_SF_SG_E_clIS8_S8_S9_S9_EESD_ST_SE_SF_SG_EUlST_E_NS1_11comp_targetILNS1_3genE5ELNS1_11target_archE942ELNS1_3gpuE9ELNS1_3repE0EEENS1_48merge_mergepath_partition_config_static_selectorELNS0_4arch9wavefront6targetE1EEEvSF_: ; @_ZN7rocprim17ROCPRIM_400000_NS6detail17trampoline_kernelINS0_14default_configENS1_38merge_sort_block_merge_config_selectorIcNS0_10empty_typeEEEZZNS1_27merge_sort_block_merge_implIS3_PcPS5_jNS1_19radix_merge_compareILb1ELb0EcNS0_19identity_decomposerEEEEE10hipError_tT0_T1_T2_jT3_P12ihipStream_tbPNSt15iterator_traitsISE_E10value_typeEPNSK_ISF_E10value_typeEPSG_NS1_7vsmem_tEENKUlT_SE_SF_SG_E_clIS8_S8_S9_S9_EESD_ST_SE_SF_SG_EUlST_E_NS1_11comp_targetILNS1_3genE5ELNS1_11target_archE942ELNS1_3gpuE9ELNS1_3repE0EEENS1_48merge_mergepath_partition_config_static_selectorELNS0_4arch9wavefront6targetE1EEEvSF_
; %bb.0:
	.section	.rodata,"a",@progbits
	.p2align	6, 0x0
	.amdhsa_kernel _ZN7rocprim17ROCPRIM_400000_NS6detail17trampoline_kernelINS0_14default_configENS1_38merge_sort_block_merge_config_selectorIcNS0_10empty_typeEEEZZNS1_27merge_sort_block_merge_implIS3_PcPS5_jNS1_19radix_merge_compareILb1ELb0EcNS0_19identity_decomposerEEEEE10hipError_tT0_T1_T2_jT3_P12ihipStream_tbPNSt15iterator_traitsISE_E10value_typeEPNSK_ISF_E10value_typeEPSG_NS1_7vsmem_tEENKUlT_SE_SF_SG_E_clIS8_S8_S9_S9_EESD_ST_SE_SF_SG_EUlST_E_NS1_11comp_targetILNS1_3genE5ELNS1_11target_archE942ELNS1_3gpuE9ELNS1_3repE0EEENS1_48merge_mergepath_partition_config_static_selectorELNS0_4arch9wavefront6targetE1EEEvSF_
		.amdhsa_group_segment_fixed_size 0
		.amdhsa_private_segment_fixed_size 0
		.amdhsa_kernarg_size 40
		.amdhsa_user_sgpr_count 6
		.amdhsa_user_sgpr_private_segment_buffer 1
		.amdhsa_user_sgpr_dispatch_ptr 0
		.amdhsa_user_sgpr_queue_ptr 0
		.amdhsa_user_sgpr_kernarg_segment_ptr 1
		.amdhsa_user_sgpr_dispatch_id 0
		.amdhsa_user_sgpr_flat_scratch_init 0
		.amdhsa_user_sgpr_kernarg_preload_length 0
		.amdhsa_user_sgpr_kernarg_preload_offset 0
		.amdhsa_user_sgpr_private_segment_size 0
		.amdhsa_uses_dynamic_stack 0
		.amdhsa_system_sgpr_private_segment_wavefront_offset 0
		.amdhsa_system_sgpr_workgroup_id_x 1
		.amdhsa_system_sgpr_workgroup_id_y 0
		.amdhsa_system_sgpr_workgroup_id_z 0
		.amdhsa_system_sgpr_workgroup_info 0
		.amdhsa_system_vgpr_workitem_id 0
		.amdhsa_next_free_vgpr 1
		.amdhsa_next_free_sgpr 0
		.amdhsa_accum_offset 4
		.amdhsa_reserve_vcc 0
		.amdhsa_reserve_flat_scratch 0
		.amdhsa_float_round_mode_32 0
		.amdhsa_float_round_mode_16_64 0
		.amdhsa_float_denorm_mode_32 3
		.amdhsa_float_denorm_mode_16_64 3
		.amdhsa_dx10_clamp 1
		.amdhsa_ieee_mode 1
		.amdhsa_fp16_overflow 0
		.amdhsa_tg_split 0
		.amdhsa_exception_fp_ieee_invalid_op 0
		.amdhsa_exception_fp_denorm_src 0
		.amdhsa_exception_fp_ieee_div_zero 0
		.amdhsa_exception_fp_ieee_overflow 0
		.amdhsa_exception_fp_ieee_underflow 0
		.amdhsa_exception_fp_ieee_inexact 0
		.amdhsa_exception_int_div_zero 0
	.end_amdhsa_kernel
	.section	.text._ZN7rocprim17ROCPRIM_400000_NS6detail17trampoline_kernelINS0_14default_configENS1_38merge_sort_block_merge_config_selectorIcNS0_10empty_typeEEEZZNS1_27merge_sort_block_merge_implIS3_PcPS5_jNS1_19radix_merge_compareILb1ELb0EcNS0_19identity_decomposerEEEEE10hipError_tT0_T1_T2_jT3_P12ihipStream_tbPNSt15iterator_traitsISE_E10value_typeEPNSK_ISF_E10value_typeEPSG_NS1_7vsmem_tEENKUlT_SE_SF_SG_E_clIS8_S8_S9_S9_EESD_ST_SE_SF_SG_EUlST_E_NS1_11comp_targetILNS1_3genE5ELNS1_11target_archE942ELNS1_3gpuE9ELNS1_3repE0EEENS1_48merge_mergepath_partition_config_static_selectorELNS0_4arch9wavefront6targetE1EEEvSF_,"axG",@progbits,_ZN7rocprim17ROCPRIM_400000_NS6detail17trampoline_kernelINS0_14default_configENS1_38merge_sort_block_merge_config_selectorIcNS0_10empty_typeEEEZZNS1_27merge_sort_block_merge_implIS3_PcPS5_jNS1_19radix_merge_compareILb1ELb0EcNS0_19identity_decomposerEEEEE10hipError_tT0_T1_T2_jT3_P12ihipStream_tbPNSt15iterator_traitsISE_E10value_typeEPNSK_ISF_E10value_typeEPSG_NS1_7vsmem_tEENKUlT_SE_SF_SG_E_clIS8_S8_S9_S9_EESD_ST_SE_SF_SG_EUlST_E_NS1_11comp_targetILNS1_3genE5ELNS1_11target_archE942ELNS1_3gpuE9ELNS1_3repE0EEENS1_48merge_mergepath_partition_config_static_selectorELNS0_4arch9wavefront6targetE1EEEvSF_,comdat
.Lfunc_end1483:
	.size	_ZN7rocprim17ROCPRIM_400000_NS6detail17trampoline_kernelINS0_14default_configENS1_38merge_sort_block_merge_config_selectorIcNS0_10empty_typeEEEZZNS1_27merge_sort_block_merge_implIS3_PcPS5_jNS1_19radix_merge_compareILb1ELb0EcNS0_19identity_decomposerEEEEE10hipError_tT0_T1_T2_jT3_P12ihipStream_tbPNSt15iterator_traitsISE_E10value_typeEPNSK_ISF_E10value_typeEPSG_NS1_7vsmem_tEENKUlT_SE_SF_SG_E_clIS8_S8_S9_S9_EESD_ST_SE_SF_SG_EUlST_E_NS1_11comp_targetILNS1_3genE5ELNS1_11target_archE942ELNS1_3gpuE9ELNS1_3repE0EEENS1_48merge_mergepath_partition_config_static_selectorELNS0_4arch9wavefront6targetE1EEEvSF_, .Lfunc_end1483-_ZN7rocprim17ROCPRIM_400000_NS6detail17trampoline_kernelINS0_14default_configENS1_38merge_sort_block_merge_config_selectorIcNS0_10empty_typeEEEZZNS1_27merge_sort_block_merge_implIS3_PcPS5_jNS1_19radix_merge_compareILb1ELb0EcNS0_19identity_decomposerEEEEE10hipError_tT0_T1_T2_jT3_P12ihipStream_tbPNSt15iterator_traitsISE_E10value_typeEPNSK_ISF_E10value_typeEPSG_NS1_7vsmem_tEENKUlT_SE_SF_SG_E_clIS8_S8_S9_S9_EESD_ST_SE_SF_SG_EUlST_E_NS1_11comp_targetILNS1_3genE5ELNS1_11target_archE942ELNS1_3gpuE9ELNS1_3repE0EEENS1_48merge_mergepath_partition_config_static_selectorELNS0_4arch9wavefront6targetE1EEEvSF_
                                        ; -- End function
	.section	.AMDGPU.csdata,"",@progbits
; Kernel info:
; codeLenInByte = 0
; NumSgprs: 4
; NumVgprs: 0
; NumAgprs: 0
; TotalNumVgprs: 0
; ScratchSize: 0
; MemoryBound: 0
; FloatMode: 240
; IeeeMode: 1
; LDSByteSize: 0 bytes/workgroup (compile time only)
; SGPRBlocks: 0
; VGPRBlocks: 0
; NumSGPRsForWavesPerEU: 4
; NumVGPRsForWavesPerEU: 1
; AccumOffset: 4
; Occupancy: 8
; WaveLimiterHint : 0
; COMPUTE_PGM_RSRC2:SCRATCH_EN: 0
; COMPUTE_PGM_RSRC2:USER_SGPR: 6
; COMPUTE_PGM_RSRC2:TRAP_HANDLER: 0
; COMPUTE_PGM_RSRC2:TGID_X_EN: 1
; COMPUTE_PGM_RSRC2:TGID_Y_EN: 0
; COMPUTE_PGM_RSRC2:TGID_Z_EN: 0
; COMPUTE_PGM_RSRC2:TIDIG_COMP_CNT: 0
; COMPUTE_PGM_RSRC3_GFX90A:ACCUM_OFFSET: 0
; COMPUTE_PGM_RSRC3_GFX90A:TG_SPLIT: 0
	.section	.text._ZN7rocprim17ROCPRIM_400000_NS6detail17trampoline_kernelINS0_14default_configENS1_38merge_sort_block_merge_config_selectorIcNS0_10empty_typeEEEZZNS1_27merge_sort_block_merge_implIS3_PcPS5_jNS1_19radix_merge_compareILb1ELb0EcNS0_19identity_decomposerEEEEE10hipError_tT0_T1_T2_jT3_P12ihipStream_tbPNSt15iterator_traitsISE_E10value_typeEPNSK_ISF_E10value_typeEPSG_NS1_7vsmem_tEENKUlT_SE_SF_SG_E_clIS8_S8_S9_S9_EESD_ST_SE_SF_SG_EUlST_E_NS1_11comp_targetILNS1_3genE4ELNS1_11target_archE910ELNS1_3gpuE8ELNS1_3repE0EEENS1_48merge_mergepath_partition_config_static_selectorELNS0_4arch9wavefront6targetE1EEEvSF_,"axG",@progbits,_ZN7rocprim17ROCPRIM_400000_NS6detail17trampoline_kernelINS0_14default_configENS1_38merge_sort_block_merge_config_selectorIcNS0_10empty_typeEEEZZNS1_27merge_sort_block_merge_implIS3_PcPS5_jNS1_19radix_merge_compareILb1ELb0EcNS0_19identity_decomposerEEEEE10hipError_tT0_T1_T2_jT3_P12ihipStream_tbPNSt15iterator_traitsISE_E10value_typeEPNSK_ISF_E10value_typeEPSG_NS1_7vsmem_tEENKUlT_SE_SF_SG_E_clIS8_S8_S9_S9_EESD_ST_SE_SF_SG_EUlST_E_NS1_11comp_targetILNS1_3genE4ELNS1_11target_archE910ELNS1_3gpuE8ELNS1_3repE0EEENS1_48merge_mergepath_partition_config_static_selectorELNS0_4arch9wavefront6targetE1EEEvSF_,comdat
	.protected	_ZN7rocprim17ROCPRIM_400000_NS6detail17trampoline_kernelINS0_14default_configENS1_38merge_sort_block_merge_config_selectorIcNS0_10empty_typeEEEZZNS1_27merge_sort_block_merge_implIS3_PcPS5_jNS1_19radix_merge_compareILb1ELb0EcNS0_19identity_decomposerEEEEE10hipError_tT0_T1_T2_jT3_P12ihipStream_tbPNSt15iterator_traitsISE_E10value_typeEPNSK_ISF_E10value_typeEPSG_NS1_7vsmem_tEENKUlT_SE_SF_SG_E_clIS8_S8_S9_S9_EESD_ST_SE_SF_SG_EUlST_E_NS1_11comp_targetILNS1_3genE4ELNS1_11target_archE910ELNS1_3gpuE8ELNS1_3repE0EEENS1_48merge_mergepath_partition_config_static_selectorELNS0_4arch9wavefront6targetE1EEEvSF_ ; -- Begin function _ZN7rocprim17ROCPRIM_400000_NS6detail17trampoline_kernelINS0_14default_configENS1_38merge_sort_block_merge_config_selectorIcNS0_10empty_typeEEEZZNS1_27merge_sort_block_merge_implIS3_PcPS5_jNS1_19radix_merge_compareILb1ELb0EcNS0_19identity_decomposerEEEEE10hipError_tT0_T1_T2_jT3_P12ihipStream_tbPNSt15iterator_traitsISE_E10value_typeEPNSK_ISF_E10value_typeEPSG_NS1_7vsmem_tEENKUlT_SE_SF_SG_E_clIS8_S8_S9_S9_EESD_ST_SE_SF_SG_EUlST_E_NS1_11comp_targetILNS1_3genE4ELNS1_11target_archE910ELNS1_3gpuE8ELNS1_3repE0EEENS1_48merge_mergepath_partition_config_static_selectorELNS0_4arch9wavefront6targetE1EEEvSF_
	.globl	_ZN7rocprim17ROCPRIM_400000_NS6detail17trampoline_kernelINS0_14default_configENS1_38merge_sort_block_merge_config_selectorIcNS0_10empty_typeEEEZZNS1_27merge_sort_block_merge_implIS3_PcPS5_jNS1_19radix_merge_compareILb1ELb0EcNS0_19identity_decomposerEEEEE10hipError_tT0_T1_T2_jT3_P12ihipStream_tbPNSt15iterator_traitsISE_E10value_typeEPNSK_ISF_E10value_typeEPSG_NS1_7vsmem_tEENKUlT_SE_SF_SG_E_clIS8_S8_S9_S9_EESD_ST_SE_SF_SG_EUlST_E_NS1_11comp_targetILNS1_3genE4ELNS1_11target_archE910ELNS1_3gpuE8ELNS1_3repE0EEENS1_48merge_mergepath_partition_config_static_selectorELNS0_4arch9wavefront6targetE1EEEvSF_
	.p2align	8
	.type	_ZN7rocprim17ROCPRIM_400000_NS6detail17trampoline_kernelINS0_14default_configENS1_38merge_sort_block_merge_config_selectorIcNS0_10empty_typeEEEZZNS1_27merge_sort_block_merge_implIS3_PcPS5_jNS1_19radix_merge_compareILb1ELb0EcNS0_19identity_decomposerEEEEE10hipError_tT0_T1_T2_jT3_P12ihipStream_tbPNSt15iterator_traitsISE_E10value_typeEPNSK_ISF_E10value_typeEPSG_NS1_7vsmem_tEENKUlT_SE_SF_SG_E_clIS8_S8_S9_S9_EESD_ST_SE_SF_SG_EUlST_E_NS1_11comp_targetILNS1_3genE4ELNS1_11target_archE910ELNS1_3gpuE8ELNS1_3repE0EEENS1_48merge_mergepath_partition_config_static_selectorELNS0_4arch9wavefront6targetE1EEEvSF_,@function
_ZN7rocprim17ROCPRIM_400000_NS6detail17trampoline_kernelINS0_14default_configENS1_38merge_sort_block_merge_config_selectorIcNS0_10empty_typeEEEZZNS1_27merge_sort_block_merge_implIS3_PcPS5_jNS1_19radix_merge_compareILb1ELb0EcNS0_19identity_decomposerEEEEE10hipError_tT0_T1_T2_jT3_P12ihipStream_tbPNSt15iterator_traitsISE_E10value_typeEPNSK_ISF_E10value_typeEPSG_NS1_7vsmem_tEENKUlT_SE_SF_SG_E_clIS8_S8_S9_S9_EESD_ST_SE_SF_SG_EUlST_E_NS1_11comp_targetILNS1_3genE4ELNS1_11target_archE910ELNS1_3gpuE8ELNS1_3repE0EEENS1_48merge_mergepath_partition_config_static_selectorELNS0_4arch9wavefront6targetE1EEEvSF_: ; @_ZN7rocprim17ROCPRIM_400000_NS6detail17trampoline_kernelINS0_14default_configENS1_38merge_sort_block_merge_config_selectorIcNS0_10empty_typeEEEZZNS1_27merge_sort_block_merge_implIS3_PcPS5_jNS1_19radix_merge_compareILb1ELb0EcNS0_19identity_decomposerEEEEE10hipError_tT0_T1_T2_jT3_P12ihipStream_tbPNSt15iterator_traitsISE_E10value_typeEPNSK_ISF_E10value_typeEPSG_NS1_7vsmem_tEENKUlT_SE_SF_SG_E_clIS8_S8_S9_S9_EESD_ST_SE_SF_SG_EUlST_E_NS1_11comp_targetILNS1_3genE4ELNS1_11target_archE910ELNS1_3gpuE8ELNS1_3repE0EEENS1_48merge_mergepath_partition_config_static_selectorELNS0_4arch9wavefront6targetE1EEEvSF_
; %bb.0:
	s_load_dword s0, s[4:5], 0x0
	v_lshl_or_b32 v0, s6, 7, v0
	s_waitcnt lgkmcnt(0)
	v_cmp_gt_u32_e32 vcc, s0, v0
	s_and_saveexec_b64 s[0:1], vcc
	s_cbranch_execz .LBB1484_6
; %bb.1:
	s_load_dwordx2 s[2:3], s[4:5], 0x4
	s_load_dwordx2 s[0:1], s[4:5], 0x20
	s_waitcnt lgkmcnt(0)
	s_lshr_b32 s6, s2, 9
	s_and_b32 s6, s6, 0x7ffffe
	s_add_i32 s7, s6, -1
	s_sub_i32 s6, 0, s6
	v_and_b32_e32 v1, s6, v0
	v_lshlrev_b32_e32 v3, 10, v1
	v_min_u32_e32 v1, s3, v3
	v_add_u32_e32 v3, s2, v3
	v_min_u32_e32 v7, s3, v3
	v_add_u32_e32 v3, s2, v7
	v_and_b32_e32 v2, s7, v0
	v_min_u32_e32 v4, s3, v3
	v_sub_u32_e32 v3, v4, v1
	v_lshlrev_b32_e32 v2, 10, v2
	v_min_u32_e32 v3, v3, v2
	v_sub_u32_e32 v5, v7, v1
	v_sub_u32_e32 v2, v4, v7
	v_sub_u32_e64 v2, v3, v2 clamp
	v_min_u32_e32 v4, v3, v5
	v_cmp_lt_u32_e32 vcc, v2, v4
	s_and_saveexec_b64 s[2:3], vcc
	s_cbranch_execz .LBB1484_5
; %bb.2:
	s_load_dwordx2 s[4:5], s[4:5], 0x10
	s_waitcnt lgkmcnt(0)
	v_mov_b32_e32 v8, s5
	v_add_co_u32_e32 v5, vcc, s4, v1
	v_addc_co_u32_e32 v6, vcc, 0, v8, vcc
	v_add_co_u32_e32 v7, vcc, s4, v7
	v_addc_co_u32_e32 v8, vcc, 0, v8, vcc
	s_mov_b64 s[4:5], 0
.LBB1484_3:                             ; =>This Inner Loop Header: Depth=1
	v_add_u32_e32 v9, v4, v2
	v_lshrrev_b32_e32 v9, 1, v9
	v_add_co_u32_e32 v10, vcc, v5, v9
	v_xad_u32 v12, v9, -1, v3
	v_addc_co_u32_e32 v11, vcc, 0, v6, vcc
	v_add_co_u32_e32 v12, vcc, v7, v12
	v_addc_co_u32_e32 v13, vcc, 0, v8, vcc
	global_load_sbyte v14, v[10:11], off
	global_load_sbyte v15, v[12:13], off
	v_add_u32_e32 v10, 1, v9
	s_waitcnt vmcnt(0)
	v_cmp_gt_i16_e32 vcc, v15, v14
	v_cndmask_b32_e32 v4, v4, v9, vcc
	v_cndmask_b32_e32 v2, v10, v2, vcc
	v_cmp_ge_u32_e32 vcc, v2, v4
	s_or_b64 s[4:5], vcc, s[4:5]
	s_andn2_b64 exec, exec, s[4:5]
	s_cbranch_execnz .LBB1484_3
; %bb.4:
	s_or_b64 exec, exec, s[4:5]
.LBB1484_5:
	s_or_b64 exec, exec, s[2:3]
	v_add_u32_e32 v2, v2, v1
	v_mov_b32_e32 v1, 0
	v_lshlrev_b64 v[0:1], 2, v[0:1]
	v_mov_b32_e32 v3, s1
	v_add_co_u32_e32 v0, vcc, s0, v0
	v_addc_co_u32_e32 v1, vcc, v3, v1, vcc
	global_store_dword v[0:1], v2, off
.LBB1484_6:
	s_endpgm
	.section	.rodata,"a",@progbits
	.p2align	6, 0x0
	.amdhsa_kernel _ZN7rocprim17ROCPRIM_400000_NS6detail17trampoline_kernelINS0_14default_configENS1_38merge_sort_block_merge_config_selectorIcNS0_10empty_typeEEEZZNS1_27merge_sort_block_merge_implIS3_PcPS5_jNS1_19radix_merge_compareILb1ELb0EcNS0_19identity_decomposerEEEEE10hipError_tT0_T1_T2_jT3_P12ihipStream_tbPNSt15iterator_traitsISE_E10value_typeEPNSK_ISF_E10value_typeEPSG_NS1_7vsmem_tEENKUlT_SE_SF_SG_E_clIS8_S8_S9_S9_EESD_ST_SE_SF_SG_EUlST_E_NS1_11comp_targetILNS1_3genE4ELNS1_11target_archE910ELNS1_3gpuE8ELNS1_3repE0EEENS1_48merge_mergepath_partition_config_static_selectorELNS0_4arch9wavefront6targetE1EEEvSF_
		.amdhsa_group_segment_fixed_size 0
		.amdhsa_private_segment_fixed_size 0
		.amdhsa_kernarg_size 40
		.amdhsa_user_sgpr_count 6
		.amdhsa_user_sgpr_private_segment_buffer 1
		.amdhsa_user_sgpr_dispatch_ptr 0
		.amdhsa_user_sgpr_queue_ptr 0
		.amdhsa_user_sgpr_kernarg_segment_ptr 1
		.amdhsa_user_sgpr_dispatch_id 0
		.amdhsa_user_sgpr_flat_scratch_init 0
		.amdhsa_user_sgpr_kernarg_preload_length 0
		.amdhsa_user_sgpr_kernarg_preload_offset 0
		.amdhsa_user_sgpr_private_segment_size 0
		.amdhsa_uses_dynamic_stack 0
		.amdhsa_system_sgpr_private_segment_wavefront_offset 0
		.amdhsa_system_sgpr_workgroup_id_x 1
		.amdhsa_system_sgpr_workgroup_id_y 0
		.amdhsa_system_sgpr_workgroup_id_z 0
		.amdhsa_system_sgpr_workgroup_info 0
		.amdhsa_system_vgpr_workitem_id 0
		.amdhsa_next_free_vgpr 16
		.amdhsa_next_free_sgpr 8
		.amdhsa_accum_offset 16
		.amdhsa_reserve_vcc 1
		.amdhsa_reserve_flat_scratch 0
		.amdhsa_float_round_mode_32 0
		.amdhsa_float_round_mode_16_64 0
		.amdhsa_float_denorm_mode_32 3
		.amdhsa_float_denorm_mode_16_64 3
		.amdhsa_dx10_clamp 1
		.amdhsa_ieee_mode 1
		.amdhsa_fp16_overflow 0
		.amdhsa_tg_split 0
		.amdhsa_exception_fp_ieee_invalid_op 0
		.amdhsa_exception_fp_denorm_src 0
		.amdhsa_exception_fp_ieee_div_zero 0
		.amdhsa_exception_fp_ieee_overflow 0
		.amdhsa_exception_fp_ieee_underflow 0
		.amdhsa_exception_fp_ieee_inexact 0
		.amdhsa_exception_int_div_zero 0
	.end_amdhsa_kernel
	.section	.text._ZN7rocprim17ROCPRIM_400000_NS6detail17trampoline_kernelINS0_14default_configENS1_38merge_sort_block_merge_config_selectorIcNS0_10empty_typeEEEZZNS1_27merge_sort_block_merge_implIS3_PcPS5_jNS1_19radix_merge_compareILb1ELb0EcNS0_19identity_decomposerEEEEE10hipError_tT0_T1_T2_jT3_P12ihipStream_tbPNSt15iterator_traitsISE_E10value_typeEPNSK_ISF_E10value_typeEPSG_NS1_7vsmem_tEENKUlT_SE_SF_SG_E_clIS8_S8_S9_S9_EESD_ST_SE_SF_SG_EUlST_E_NS1_11comp_targetILNS1_3genE4ELNS1_11target_archE910ELNS1_3gpuE8ELNS1_3repE0EEENS1_48merge_mergepath_partition_config_static_selectorELNS0_4arch9wavefront6targetE1EEEvSF_,"axG",@progbits,_ZN7rocprim17ROCPRIM_400000_NS6detail17trampoline_kernelINS0_14default_configENS1_38merge_sort_block_merge_config_selectorIcNS0_10empty_typeEEEZZNS1_27merge_sort_block_merge_implIS3_PcPS5_jNS1_19radix_merge_compareILb1ELb0EcNS0_19identity_decomposerEEEEE10hipError_tT0_T1_T2_jT3_P12ihipStream_tbPNSt15iterator_traitsISE_E10value_typeEPNSK_ISF_E10value_typeEPSG_NS1_7vsmem_tEENKUlT_SE_SF_SG_E_clIS8_S8_S9_S9_EESD_ST_SE_SF_SG_EUlST_E_NS1_11comp_targetILNS1_3genE4ELNS1_11target_archE910ELNS1_3gpuE8ELNS1_3repE0EEENS1_48merge_mergepath_partition_config_static_selectorELNS0_4arch9wavefront6targetE1EEEvSF_,comdat
.Lfunc_end1484:
	.size	_ZN7rocprim17ROCPRIM_400000_NS6detail17trampoline_kernelINS0_14default_configENS1_38merge_sort_block_merge_config_selectorIcNS0_10empty_typeEEEZZNS1_27merge_sort_block_merge_implIS3_PcPS5_jNS1_19radix_merge_compareILb1ELb0EcNS0_19identity_decomposerEEEEE10hipError_tT0_T1_T2_jT3_P12ihipStream_tbPNSt15iterator_traitsISE_E10value_typeEPNSK_ISF_E10value_typeEPSG_NS1_7vsmem_tEENKUlT_SE_SF_SG_E_clIS8_S8_S9_S9_EESD_ST_SE_SF_SG_EUlST_E_NS1_11comp_targetILNS1_3genE4ELNS1_11target_archE910ELNS1_3gpuE8ELNS1_3repE0EEENS1_48merge_mergepath_partition_config_static_selectorELNS0_4arch9wavefront6targetE1EEEvSF_, .Lfunc_end1484-_ZN7rocprim17ROCPRIM_400000_NS6detail17trampoline_kernelINS0_14default_configENS1_38merge_sort_block_merge_config_selectorIcNS0_10empty_typeEEEZZNS1_27merge_sort_block_merge_implIS3_PcPS5_jNS1_19radix_merge_compareILb1ELb0EcNS0_19identity_decomposerEEEEE10hipError_tT0_T1_T2_jT3_P12ihipStream_tbPNSt15iterator_traitsISE_E10value_typeEPNSK_ISF_E10value_typeEPSG_NS1_7vsmem_tEENKUlT_SE_SF_SG_E_clIS8_S8_S9_S9_EESD_ST_SE_SF_SG_EUlST_E_NS1_11comp_targetILNS1_3genE4ELNS1_11target_archE910ELNS1_3gpuE8ELNS1_3repE0EEENS1_48merge_mergepath_partition_config_static_selectorELNS0_4arch9wavefront6targetE1EEEvSF_
                                        ; -- End function
	.section	.AMDGPU.csdata,"",@progbits
; Kernel info:
; codeLenInByte = 316
; NumSgprs: 12
; NumVgprs: 16
; NumAgprs: 0
; TotalNumVgprs: 16
; ScratchSize: 0
; MemoryBound: 0
; FloatMode: 240
; IeeeMode: 1
; LDSByteSize: 0 bytes/workgroup (compile time only)
; SGPRBlocks: 1
; VGPRBlocks: 1
; NumSGPRsForWavesPerEU: 12
; NumVGPRsForWavesPerEU: 16
; AccumOffset: 16
; Occupancy: 8
; WaveLimiterHint : 0
; COMPUTE_PGM_RSRC2:SCRATCH_EN: 0
; COMPUTE_PGM_RSRC2:USER_SGPR: 6
; COMPUTE_PGM_RSRC2:TRAP_HANDLER: 0
; COMPUTE_PGM_RSRC2:TGID_X_EN: 1
; COMPUTE_PGM_RSRC2:TGID_Y_EN: 0
; COMPUTE_PGM_RSRC2:TGID_Z_EN: 0
; COMPUTE_PGM_RSRC2:TIDIG_COMP_CNT: 0
; COMPUTE_PGM_RSRC3_GFX90A:ACCUM_OFFSET: 3
; COMPUTE_PGM_RSRC3_GFX90A:TG_SPLIT: 0
	.section	.text._ZN7rocprim17ROCPRIM_400000_NS6detail17trampoline_kernelINS0_14default_configENS1_38merge_sort_block_merge_config_selectorIcNS0_10empty_typeEEEZZNS1_27merge_sort_block_merge_implIS3_PcPS5_jNS1_19radix_merge_compareILb1ELb0EcNS0_19identity_decomposerEEEEE10hipError_tT0_T1_T2_jT3_P12ihipStream_tbPNSt15iterator_traitsISE_E10value_typeEPNSK_ISF_E10value_typeEPSG_NS1_7vsmem_tEENKUlT_SE_SF_SG_E_clIS8_S8_S9_S9_EESD_ST_SE_SF_SG_EUlST_E_NS1_11comp_targetILNS1_3genE3ELNS1_11target_archE908ELNS1_3gpuE7ELNS1_3repE0EEENS1_48merge_mergepath_partition_config_static_selectorELNS0_4arch9wavefront6targetE1EEEvSF_,"axG",@progbits,_ZN7rocprim17ROCPRIM_400000_NS6detail17trampoline_kernelINS0_14default_configENS1_38merge_sort_block_merge_config_selectorIcNS0_10empty_typeEEEZZNS1_27merge_sort_block_merge_implIS3_PcPS5_jNS1_19radix_merge_compareILb1ELb0EcNS0_19identity_decomposerEEEEE10hipError_tT0_T1_T2_jT3_P12ihipStream_tbPNSt15iterator_traitsISE_E10value_typeEPNSK_ISF_E10value_typeEPSG_NS1_7vsmem_tEENKUlT_SE_SF_SG_E_clIS8_S8_S9_S9_EESD_ST_SE_SF_SG_EUlST_E_NS1_11comp_targetILNS1_3genE3ELNS1_11target_archE908ELNS1_3gpuE7ELNS1_3repE0EEENS1_48merge_mergepath_partition_config_static_selectorELNS0_4arch9wavefront6targetE1EEEvSF_,comdat
	.protected	_ZN7rocprim17ROCPRIM_400000_NS6detail17trampoline_kernelINS0_14default_configENS1_38merge_sort_block_merge_config_selectorIcNS0_10empty_typeEEEZZNS1_27merge_sort_block_merge_implIS3_PcPS5_jNS1_19radix_merge_compareILb1ELb0EcNS0_19identity_decomposerEEEEE10hipError_tT0_T1_T2_jT3_P12ihipStream_tbPNSt15iterator_traitsISE_E10value_typeEPNSK_ISF_E10value_typeEPSG_NS1_7vsmem_tEENKUlT_SE_SF_SG_E_clIS8_S8_S9_S9_EESD_ST_SE_SF_SG_EUlST_E_NS1_11comp_targetILNS1_3genE3ELNS1_11target_archE908ELNS1_3gpuE7ELNS1_3repE0EEENS1_48merge_mergepath_partition_config_static_selectorELNS0_4arch9wavefront6targetE1EEEvSF_ ; -- Begin function _ZN7rocprim17ROCPRIM_400000_NS6detail17trampoline_kernelINS0_14default_configENS1_38merge_sort_block_merge_config_selectorIcNS0_10empty_typeEEEZZNS1_27merge_sort_block_merge_implIS3_PcPS5_jNS1_19radix_merge_compareILb1ELb0EcNS0_19identity_decomposerEEEEE10hipError_tT0_T1_T2_jT3_P12ihipStream_tbPNSt15iterator_traitsISE_E10value_typeEPNSK_ISF_E10value_typeEPSG_NS1_7vsmem_tEENKUlT_SE_SF_SG_E_clIS8_S8_S9_S9_EESD_ST_SE_SF_SG_EUlST_E_NS1_11comp_targetILNS1_3genE3ELNS1_11target_archE908ELNS1_3gpuE7ELNS1_3repE0EEENS1_48merge_mergepath_partition_config_static_selectorELNS0_4arch9wavefront6targetE1EEEvSF_
	.globl	_ZN7rocprim17ROCPRIM_400000_NS6detail17trampoline_kernelINS0_14default_configENS1_38merge_sort_block_merge_config_selectorIcNS0_10empty_typeEEEZZNS1_27merge_sort_block_merge_implIS3_PcPS5_jNS1_19radix_merge_compareILb1ELb0EcNS0_19identity_decomposerEEEEE10hipError_tT0_T1_T2_jT3_P12ihipStream_tbPNSt15iterator_traitsISE_E10value_typeEPNSK_ISF_E10value_typeEPSG_NS1_7vsmem_tEENKUlT_SE_SF_SG_E_clIS8_S8_S9_S9_EESD_ST_SE_SF_SG_EUlST_E_NS1_11comp_targetILNS1_3genE3ELNS1_11target_archE908ELNS1_3gpuE7ELNS1_3repE0EEENS1_48merge_mergepath_partition_config_static_selectorELNS0_4arch9wavefront6targetE1EEEvSF_
	.p2align	8
	.type	_ZN7rocprim17ROCPRIM_400000_NS6detail17trampoline_kernelINS0_14default_configENS1_38merge_sort_block_merge_config_selectorIcNS0_10empty_typeEEEZZNS1_27merge_sort_block_merge_implIS3_PcPS5_jNS1_19radix_merge_compareILb1ELb0EcNS0_19identity_decomposerEEEEE10hipError_tT0_T1_T2_jT3_P12ihipStream_tbPNSt15iterator_traitsISE_E10value_typeEPNSK_ISF_E10value_typeEPSG_NS1_7vsmem_tEENKUlT_SE_SF_SG_E_clIS8_S8_S9_S9_EESD_ST_SE_SF_SG_EUlST_E_NS1_11comp_targetILNS1_3genE3ELNS1_11target_archE908ELNS1_3gpuE7ELNS1_3repE0EEENS1_48merge_mergepath_partition_config_static_selectorELNS0_4arch9wavefront6targetE1EEEvSF_,@function
_ZN7rocprim17ROCPRIM_400000_NS6detail17trampoline_kernelINS0_14default_configENS1_38merge_sort_block_merge_config_selectorIcNS0_10empty_typeEEEZZNS1_27merge_sort_block_merge_implIS3_PcPS5_jNS1_19radix_merge_compareILb1ELb0EcNS0_19identity_decomposerEEEEE10hipError_tT0_T1_T2_jT3_P12ihipStream_tbPNSt15iterator_traitsISE_E10value_typeEPNSK_ISF_E10value_typeEPSG_NS1_7vsmem_tEENKUlT_SE_SF_SG_E_clIS8_S8_S9_S9_EESD_ST_SE_SF_SG_EUlST_E_NS1_11comp_targetILNS1_3genE3ELNS1_11target_archE908ELNS1_3gpuE7ELNS1_3repE0EEENS1_48merge_mergepath_partition_config_static_selectorELNS0_4arch9wavefront6targetE1EEEvSF_: ; @_ZN7rocprim17ROCPRIM_400000_NS6detail17trampoline_kernelINS0_14default_configENS1_38merge_sort_block_merge_config_selectorIcNS0_10empty_typeEEEZZNS1_27merge_sort_block_merge_implIS3_PcPS5_jNS1_19radix_merge_compareILb1ELb0EcNS0_19identity_decomposerEEEEE10hipError_tT0_T1_T2_jT3_P12ihipStream_tbPNSt15iterator_traitsISE_E10value_typeEPNSK_ISF_E10value_typeEPSG_NS1_7vsmem_tEENKUlT_SE_SF_SG_E_clIS8_S8_S9_S9_EESD_ST_SE_SF_SG_EUlST_E_NS1_11comp_targetILNS1_3genE3ELNS1_11target_archE908ELNS1_3gpuE7ELNS1_3repE0EEENS1_48merge_mergepath_partition_config_static_selectorELNS0_4arch9wavefront6targetE1EEEvSF_
; %bb.0:
	.section	.rodata,"a",@progbits
	.p2align	6, 0x0
	.amdhsa_kernel _ZN7rocprim17ROCPRIM_400000_NS6detail17trampoline_kernelINS0_14default_configENS1_38merge_sort_block_merge_config_selectorIcNS0_10empty_typeEEEZZNS1_27merge_sort_block_merge_implIS3_PcPS5_jNS1_19radix_merge_compareILb1ELb0EcNS0_19identity_decomposerEEEEE10hipError_tT0_T1_T2_jT3_P12ihipStream_tbPNSt15iterator_traitsISE_E10value_typeEPNSK_ISF_E10value_typeEPSG_NS1_7vsmem_tEENKUlT_SE_SF_SG_E_clIS8_S8_S9_S9_EESD_ST_SE_SF_SG_EUlST_E_NS1_11comp_targetILNS1_3genE3ELNS1_11target_archE908ELNS1_3gpuE7ELNS1_3repE0EEENS1_48merge_mergepath_partition_config_static_selectorELNS0_4arch9wavefront6targetE1EEEvSF_
		.amdhsa_group_segment_fixed_size 0
		.amdhsa_private_segment_fixed_size 0
		.amdhsa_kernarg_size 40
		.amdhsa_user_sgpr_count 6
		.amdhsa_user_sgpr_private_segment_buffer 1
		.amdhsa_user_sgpr_dispatch_ptr 0
		.amdhsa_user_sgpr_queue_ptr 0
		.amdhsa_user_sgpr_kernarg_segment_ptr 1
		.amdhsa_user_sgpr_dispatch_id 0
		.amdhsa_user_sgpr_flat_scratch_init 0
		.amdhsa_user_sgpr_kernarg_preload_length 0
		.amdhsa_user_sgpr_kernarg_preload_offset 0
		.amdhsa_user_sgpr_private_segment_size 0
		.amdhsa_uses_dynamic_stack 0
		.amdhsa_system_sgpr_private_segment_wavefront_offset 0
		.amdhsa_system_sgpr_workgroup_id_x 1
		.amdhsa_system_sgpr_workgroup_id_y 0
		.amdhsa_system_sgpr_workgroup_id_z 0
		.amdhsa_system_sgpr_workgroup_info 0
		.amdhsa_system_vgpr_workitem_id 0
		.amdhsa_next_free_vgpr 1
		.amdhsa_next_free_sgpr 0
		.amdhsa_accum_offset 4
		.amdhsa_reserve_vcc 0
		.amdhsa_reserve_flat_scratch 0
		.amdhsa_float_round_mode_32 0
		.amdhsa_float_round_mode_16_64 0
		.amdhsa_float_denorm_mode_32 3
		.amdhsa_float_denorm_mode_16_64 3
		.amdhsa_dx10_clamp 1
		.amdhsa_ieee_mode 1
		.amdhsa_fp16_overflow 0
		.amdhsa_tg_split 0
		.amdhsa_exception_fp_ieee_invalid_op 0
		.amdhsa_exception_fp_denorm_src 0
		.amdhsa_exception_fp_ieee_div_zero 0
		.amdhsa_exception_fp_ieee_overflow 0
		.amdhsa_exception_fp_ieee_underflow 0
		.amdhsa_exception_fp_ieee_inexact 0
		.amdhsa_exception_int_div_zero 0
	.end_amdhsa_kernel
	.section	.text._ZN7rocprim17ROCPRIM_400000_NS6detail17trampoline_kernelINS0_14default_configENS1_38merge_sort_block_merge_config_selectorIcNS0_10empty_typeEEEZZNS1_27merge_sort_block_merge_implIS3_PcPS5_jNS1_19radix_merge_compareILb1ELb0EcNS0_19identity_decomposerEEEEE10hipError_tT0_T1_T2_jT3_P12ihipStream_tbPNSt15iterator_traitsISE_E10value_typeEPNSK_ISF_E10value_typeEPSG_NS1_7vsmem_tEENKUlT_SE_SF_SG_E_clIS8_S8_S9_S9_EESD_ST_SE_SF_SG_EUlST_E_NS1_11comp_targetILNS1_3genE3ELNS1_11target_archE908ELNS1_3gpuE7ELNS1_3repE0EEENS1_48merge_mergepath_partition_config_static_selectorELNS0_4arch9wavefront6targetE1EEEvSF_,"axG",@progbits,_ZN7rocprim17ROCPRIM_400000_NS6detail17trampoline_kernelINS0_14default_configENS1_38merge_sort_block_merge_config_selectorIcNS0_10empty_typeEEEZZNS1_27merge_sort_block_merge_implIS3_PcPS5_jNS1_19radix_merge_compareILb1ELb0EcNS0_19identity_decomposerEEEEE10hipError_tT0_T1_T2_jT3_P12ihipStream_tbPNSt15iterator_traitsISE_E10value_typeEPNSK_ISF_E10value_typeEPSG_NS1_7vsmem_tEENKUlT_SE_SF_SG_E_clIS8_S8_S9_S9_EESD_ST_SE_SF_SG_EUlST_E_NS1_11comp_targetILNS1_3genE3ELNS1_11target_archE908ELNS1_3gpuE7ELNS1_3repE0EEENS1_48merge_mergepath_partition_config_static_selectorELNS0_4arch9wavefront6targetE1EEEvSF_,comdat
.Lfunc_end1485:
	.size	_ZN7rocprim17ROCPRIM_400000_NS6detail17trampoline_kernelINS0_14default_configENS1_38merge_sort_block_merge_config_selectorIcNS0_10empty_typeEEEZZNS1_27merge_sort_block_merge_implIS3_PcPS5_jNS1_19radix_merge_compareILb1ELb0EcNS0_19identity_decomposerEEEEE10hipError_tT0_T1_T2_jT3_P12ihipStream_tbPNSt15iterator_traitsISE_E10value_typeEPNSK_ISF_E10value_typeEPSG_NS1_7vsmem_tEENKUlT_SE_SF_SG_E_clIS8_S8_S9_S9_EESD_ST_SE_SF_SG_EUlST_E_NS1_11comp_targetILNS1_3genE3ELNS1_11target_archE908ELNS1_3gpuE7ELNS1_3repE0EEENS1_48merge_mergepath_partition_config_static_selectorELNS0_4arch9wavefront6targetE1EEEvSF_, .Lfunc_end1485-_ZN7rocprim17ROCPRIM_400000_NS6detail17trampoline_kernelINS0_14default_configENS1_38merge_sort_block_merge_config_selectorIcNS0_10empty_typeEEEZZNS1_27merge_sort_block_merge_implIS3_PcPS5_jNS1_19radix_merge_compareILb1ELb0EcNS0_19identity_decomposerEEEEE10hipError_tT0_T1_T2_jT3_P12ihipStream_tbPNSt15iterator_traitsISE_E10value_typeEPNSK_ISF_E10value_typeEPSG_NS1_7vsmem_tEENKUlT_SE_SF_SG_E_clIS8_S8_S9_S9_EESD_ST_SE_SF_SG_EUlST_E_NS1_11comp_targetILNS1_3genE3ELNS1_11target_archE908ELNS1_3gpuE7ELNS1_3repE0EEENS1_48merge_mergepath_partition_config_static_selectorELNS0_4arch9wavefront6targetE1EEEvSF_
                                        ; -- End function
	.section	.AMDGPU.csdata,"",@progbits
; Kernel info:
; codeLenInByte = 0
; NumSgprs: 4
; NumVgprs: 0
; NumAgprs: 0
; TotalNumVgprs: 0
; ScratchSize: 0
; MemoryBound: 0
; FloatMode: 240
; IeeeMode: 1
; LDSByteSize: 0 bytes/workgroup (compile time only)
; SGPRBlocks: 0
; VGPRBlocks: 0
; NumSGPRsForWavesPerEU: 4
; NumVGPRsForWavesPerEU: 1
; AccumOffset: 4
; Occupancy: 8
; WaveLimiterHint : 0
; COMPUTE_PGM_RSRC2:SCRATCH_EN: 0
; COMPUTE_PGM_RSRC2:USER_SGPR: 6
; COMPUTE_PGM_RSRC2:TRAP_HANDLER: 0
; COMPUTE_PGM_RSRC2:TGID_X_EN: 1
; COMPUTE_PGM_RSRC2:TGID_Y_EN: 0
; COMPUTE_PGM_RSRC2:TGID_Z_EN: 0
; COMPUTE_PGM_RSRC2:TIDIG_COMP_CNT: 0
; COMPUTE_PGM_RSRC3_GFX90A:ACCUM_OFFSET: 0
; COMPUTE_PGM_RSRC3_GFX90A:TG_SPLIT: 0
	.section	.text._ZN7rocprim17ROCPRIM_400000_NS6detail17trampoline_kernelINS0_14default_configENS1_38merge_sort_block_merge_config_selectorIcNS0_10empty_typeEEEZZNS1_27merge_sort_block_merge_implIS3_PcPS5_jNS1_19radix_merge_compareILb1ELb0EcNS0_19identity_decomposerEEEEE10hipError_tT0_T1_T2_jT3_P12ihipStream_tbPNSt15iterator_traitsISE_E10value_typeEPNSK_ISF_E10value_typeEPSG_NS1_7vsmem_tEENKUlT_SE_SF_SG_E_clIS8_S8_S9_S9_EESD_ST_SE_SF_SG_EUlST_E_NS1_11comp_targetILNS1_3genE2ELNS1_11target_archE906ELNS1_3gpuE6ELNS1_3repE0EEENS1_48merge_mergepath_partition_config_static_selectorELNS0_4arch9wavefront6targetE1EEEvSF_,"axG",@progbits,_ZN7rocprim17ROCPRIM_400000_NS6detail17trampoline_kernelINS0_14default_configENS1_38merge_sort_block_merge_config_selectorIcNS0_10empty_typeEEEZZNS1_27merge_sort_block_merge_implIS3_PcPS5_jNS1_19radix_merge_compareILb1ELb0EcNS0_19identity_decomposerEEEEE10hipError_tT0_T1_T2_jT3_P12ihipStream_tbPNSt15iterator_traitsISE_E10value_typeEPNSK_ISF_E10value_typeEPSG_NS1_7vsmem_tEENKUlT_SE_SF_SG_E_clIS8_S8_S9_S9_EESD_ST_SE_SF_SG_EUlST_E_NS1_11comp_targetILNS1_3genE2ELNS1_11target_archE906ELNS1_3gpuE6ELNS1_3repE0EEENS1_48merge_mergepath_partition_config_static_selectorELNS0_4arch9wavefront6targetE1EEEvSF_,comdat
	.protected	_ZN7rocprim17ROCPRIM_400000_NS6detail17trampoline_kernelINS0_14default_configENS1_38merge_sort_block_merge_config_selectorIcNS0_10empty_typeEEEZZNS1_27merge_sort_block_merge_implIS3_PcPS5_jNS1_19radix_merge_compareILb1ELb0EcNS0_19identity_decomposerEEEEE10hipError_tT0_T1_T2_jT3_P12ihipStream_tbPNSt15iterator_traitsISE_E10value_typeEPNSK_ISF_E10value_typeEPSG_NS1_7vsmem_tEENKUlT_SE_SF_SG_E_clIS8_S8_S9_S9_EESD_ST_SE_SF_SG_EUlST_E_NS1_11comp_targetILNS1_3genE2ELNS1_11target_archE906ELNS1_3gpuE6ELNS1_3repE0EEENS1_48merge_mergepath_partition_config_static_selectorELNS0_4arch9wavefront6targetE1EEEvSF_ ; -- Begin function _ZN7rocprim17ROCPRIM_400000_NS6detail17trampoline_kernelINS0_14default_configENS1_38merge_sort_block_merge_config_selectorIcNS0_10empty_typeEEEZZNS1_27merge_sort_block_merge_implIS3_PcPS5_jNS1_19radix_merge_compareILb1ELb0EcNS0_19identity_decomposerEEEEE10hipError_tT0_T1_T2_jT3_P12ihipStream_tbPNSt15iterator_traitsISE_E10value_typeEPNSK_ISF_E10value_typeEPSG_NS1_7vsmem_tEENKUlT_SE_SF_SG_E_clIS8_S8_S9_S9_EESD_ST_SE_SF_SG_EUlST_E_NS1_11comp_targetILNS1_3genE2ELNS1_11target_archE906ELNS1_3gpuE6ELNS1_3repE0EEENS1_48merge_mergepath_partition_config_static_selectorELNS0_4arch9wavefront6targetE1EEEvSF_
	.globl	_ZN7rocprim17ROCPRIM_400000_NS6detail17trampoline_kernelINS0_14default_configENS1_38merge_sort_block_merge_config_selectorIcNS0_10empty_typeEEEZZNS1_27merge_sort_block_merge_implIS3_PcPS5_jNS1_19radix_merge_compareILb1ELb0EcNS0_19identity_decomposerEEEEE10hipError_tT0_T1_T2_jT3_P12ihipStream_tbPNSt15iterator_traitsISE_E10value_typeEPNSK_ISF_E10value_typeEPSG_NS1_7vsmem_tEENKUlT_SE_SF_SG_E_clIS8_S8_S9_S9_EESD_ST_SE_SF_SG_EUlST_E_NS1_11comp_targetILNS1_3genE2ELNS1_11target_archE906ELNS1_3gpuE6ELNS1_3repE0EEENS1_48merge_mergepath_partition_config_static_selectorELNS0_4arch9wavefront6targetE1EEEvSF_
	.p2align	8
	.type	_ZN7rocprim17ROCPRIM_400000_NS6detail17trampoline_kernelINS0_14default_configENS1_38merge_sort_block_merge_config_selectorIcNS0_10empty_typeEEEZZNS1_27merge_sort_block_merge_implIS3_PcPS5_jNS1_19radix_merge_compareILb1ELb0EcNS0_19identity_decomposerEEEEE10hipError_tT0_T1_T2_jT3_P12ihipStream_tbPNSt15iterator_traitsISE_E10value_typeEPNSK_ISF_E10value_typeEPSG_NS1_7vsmem_tEENKUlT_SE_SF_SG_E_clIS8_S8_S9_S9_EESD_ST_SE_SF_SG_EUlST_E_NS1_11comp_targetILNS1_3genE2ELNS1_11target_archE906ELNS1_3gpuE6ELNS1_3repE0EEENS1_48merge_mergepath_partition_config_static_selectorELNS0_4arch9wavefront6targetE1EEEvSF_,@function
_ZN7rocprim17ROCPRIM_400000_NS6detail17trampoline_kernelINS0_14default_configENS1_38merge_sort_block_merge_config_selectorIcNS0_10empty_typeEEEZZNS1_27merge_sort_block_merge_implIS3_PcPS5_jNS1_19radix_merge_compareILb1ELb0EcNS0_19identity_decomposerEEEEE10hipError_tT0_T1_T2_jT3_P12ihipStream_tbPNSt15iterator_traitsISE_E10value_typeEPNSK_ISF_E10value_typeEPSG_NS1_7vsmem_tEENKUlT_SE_SF_SG_E_clIS8_S8_S9_S9_EESD_ST_SE_SF_SG_EUlST_E_NS1_11comp_targetILNS1_3genE2ELNS1_11target_archE906ELNS1_3gpuE6ELNS1_3repE0EEENS1_48merge_mergepath_partition_config_static_selectorELNS0_4arch9wavefront6targetE1EEEvSF_: ; @_ZN7rocprim17ROCPRIM_400000_NS6detail17trampoline_kernelINS0_14default_configENS1_38merge_sort_block_merge_config_selectorIcNS0_10empty_typeEEEZZNS1_27merge_sort_block_merge_implIS3_PcPS5_jNS1_19radix_merge_compareILb1ELb0EcNS0_19identity_decomposerEEEEE10hipError_tT0_T1_T2_jT3_P12ihipStream_tbPNSt15iterator_traitsISE_E10value_typeEPNSK_ISF_E10value_typeEPSG_NS1_7vsmem_tEENKUlT_SE_SF_SG_E_clIS8_S8_S9_S9_EESD_ST_SE_SF_SG_EUlST_E_NS1_11comp_targetILNS1_3genE2ELNS1_11target_archE906ELNS1_3gpuE6ELNS1_3repE0EEENS1_48merge_mergepath_partition_config_static_selectorELNS0_4arch9wavefront6targetE1EEEvSF_
; %bb.0:
	.section	.rodata,"a",@progbits
	.p2align	6, 0x0
	.amdhsa_kernel _ZN7rocprim17ROCPRIM_400000_NS6detail17trampoline_kernelINS0_14default_configENS1_38merge_sort_block_merge_config_selectorIcNS0_10empty_typeEEEZZNS1_27merge_sort_block_merge_implIS3_PcPS5_jNS1_19radix_merge_compareILb1ELb0EcNS0_19identity_decomposerEEEEE10hipError_tT0_T1_T2_jT3_P12ihipStream_tbPNSt15iterator_traitsISE_E10value_typeEPNSK_ISF_E10value_typeEPSG_NS1_7vsmem_tEENKUlT_SE_SF_SG_E_clIS8_S8_S9_S9_EESD_ST_SE_SF_SG_EUlST_E_NS1_11comp_targetILNS1_3genE2ELNS1_11target_archE906ELNS1_3gpuE6ELNS1_3repE0EEENS1_48merge_mergepath_partition_config_static_selectorELNS0_4arch9wavefront6targetE1EEEvSF_
		.amdhsa_group_segment_fixed_size 0
		.amdhsa_private_segment_fixed_size 0
		.amdhsa_kernarg_size 40
		.amdhsa_user_sgpr_count 6
		.amdhsa_user_sgpr_private_segment_buffer 1
		.amdhsa_user_sgpr_dispatch_ptr 0
		.amdhsa_user_sgpr_queue_ptr 0
		.amdhsa_user_sgpr_kernarg_segment_ptr 1
		.amdhsa_user_sgpr_dispatch_id 0
		.amdhsa_user_sgpr_flat_scratch_init 0
		.amdhsa_user_sgpr_kernarg_preload_length 0
		.amdhsa_user_sgpr_kernarg_preload_offset 0
		.amdhsa_user_sgpr_private_segment_size 0
		.amdhsa_uses_dynamic_stack 0
		.amdhsa_system_sgpr_private_segment_wavefront_offset 0
		.amdhsa_system_sgpr_workgroup_id_x 1
		.amdhsa_system_sgpr_workgroup_id_y 0
		.amdhsa_system_sgpr_workgroup_id_z 0
		.amdhsa_system_sgpr_workgroup_info 0
		.amdhsa_system_vgpr_workitem_id 0
		.amdhsa_next_free_vgpr 1
		.amdhsa_next_free_sgpr 0
		.amdhsa_accum_offset 4
		.amdhsa_reserve_vcc 0
		.amdhsa_reserve_flat_scratch 0
		.amdhsa_float_round_mode_32 0
		.amdhsa_float_round_mode_16_64 0
		.amdhsa_float_denorm_mode_32 3
		.amdhsa_float_denorm_mode_16_64 3
		.amdhsa_dx10_clamp 1
		.amdhsa_ieee_mode 1
		.amdhsa_fp16_overflow 0
		.amdhsa_tg_split 0
		.amdhsa_exception_fp_ieee_invalid_op 0
		.amdhsa_exception_fp_denorm_src 0
		.amdhsa_exception_fp_ieee_div_zero 0
		.amdhsa_exception_fp_ieee_overflow 0
		.amdhsa_exception_fp_ieee_underflow 0
		.amdhsa_exception_fp_ieee_inexact 0
		.amdhsa_exception_int_div_zero 0
	.end_amdhsa_kernel
	.section	.text._ZN7rocprim17ROCPRIM_400000_NS6detail17trampoline_kernelINS0_14default_configENS1_38merge_sort_block_merge_config_selectorIcNS0_10empty_typeEEEZZNS1_27merge_sort_block_merge_implIS3_PcPS5_jNS1_19radix_merge_compareILb1ELb0EcNS0_19identity_decomposerEEEEE10hipError_tT0_T1_T2_jT3_P12ihipStream_tbPNSt15iterator_traitsISE_E10value_typeEPNSK_ISF_E10value_typeEPSG_NS1_7vsmem_tEENKUlT_SE_SF_SG_E_clIS8_S8_S9_S9_EESD_ST_SE_SF_SG_EUlST_E_NS1_11comp_targetILNS1_3genE2ELNS1_11target_archE906ELNS1_3gpuE6ELNS1_3repE0EEENS1_48merge_mergepath_partition_config_static_selectorELNS0_4arch9wavefront6targetE1EEEvSF_,"axG",@progbits,_ZN7rocprim17ROCPRIM_400000_NS6detail17trampoline_kernelINS0_14default_configENS1_38merge_sort_block_merge_config_selectorIcNS0_10empty_typeEEEZZNS1_27merge_sort_block_merge_implIS3_PcPS5_jNS1_19radix_merge_compareILb1ELb0EcNS0_19identity_decomposerEEEEE10hipError_tT0_T1_T2_jT3_P12ihipStream_tbPNSt15iterator_traitsISE_E10value_typeEPNSK_ISF_E10value_typeEPSG_NS1_7vsmem_tEENKUlT_SE_SF_SG_E_clIS8_S8_S9_S9_EESD_ST_SE_SF_SG_EUlST_E_NS1_11comp_targetILNS1_3genE2ELNS1_11target_archE906ELNS1_3gpuE6ELNS1_3repE0EEENS1_48merge_mergepath_partition_config_static_selectorELNS0_4arch9wavefront6targetE1EEEvSF_,comdat
.Lfunc_end1486:
	.size	_ZN7rocprim17ROCPRIM_400000_NS6detail17trampoline_kernelINS0_14default_configENS1_38merge_sort_block_merge_config_selectorIcNS0_10empty_typeEEEZZNS1_27merge_sort_block_merge_implIS3_PcPS5_jNS1_19radix_merge_compareILb1ELb0EcNS0_19identity_decomposerEEEEE10hipError_tT0_T1_T2_jT3_P12ihipStream_tbPNSt15iterator_traitsISE_E10value_typeEPNSK_ISF_E10value_typeEPSG_NS1_7vsmem_tEENKUlT_SE_SF_SG_E_clIS8_S8_S9_S9_EESD_ST_SE_SF_SG_EUlST_E_NS1_11comp_targetILNS1_3genE2ELNS1_11target_archE906ELNS1_3gpuE6ELNS1_3repE0EEENS1_48merge_mergepath_partition_config_static_selectorELNS0_4arch9wavefront6targetE1EEEvSF_, .Lfunc_end1486-_ZN7rocprim17ROCPRIM_400000_NS6detail17trampoline_kernelINS0_14default_configENS1_38merge_sort_block_merge_config_selectorIcNS0_10empty_typeEEEZZNS1_27merge_sort_block_merge_implIS3_PcPS5_jNS1_19radix_merge_compareILb1ELb0EcNS0_19identity_decomposerEEEEE10hipError_tT0_T1_T2_jT3_P12ihipStream_tbPNSt15iterator_traitsISE_E10value_typeEPNSK_ISF_E10value_typeEPSG_NS1_7vsmem_tEENKUlT_SE_SF_SG_E_clIS8_S8_S9_S9_EESD_ST_SE_SF_SG_EUlST_E_NS1_11comp_targetILNS1_3genE2ELNS1_11target_archE906ELNS1_3gpuE6ELNS1_3repE0EEENS1_48merge_mergepath_partition_config_static_selectorELNS0_4arch9wavefront6targetE1EEEvSF_
                                        ; -- End function
	.section	.AMDGPU.csdata,"",@progbits
; Kernel info:
; codeLenInByte = 0
; NumSgprs: 4
; NumVgprs: 0
; NumAgprs: 0
; TotalNumVgprs: 0
; ScratchSize: 0
; MemoryBound: 0
; FloatMode: 240
; IeeeMode: 1
; LDSByteSize: 0 bytes/workgroup (compile time only)
; SGPRBlocks: 0
; VGPRBlocks: 0
; NumSGPRsForWavesPerEU: 4
; NumVGPRsForWavesPerEU: 1
; AccumOffset: 4
; Occupancy: 8
; WaveLimiterHint : 0
; COMPUTE_PGM_RSRC2:SCRATCH_EN: 0
; COMPUTE_PGM_RSRC2:USER_SGPR: 6
; COMPUTE_PGM_RSRC2:TRAP_HANDLER: 0
; COMPUTE_PGM_RSRC2:TGID_X_EN: 1
; COMPUTE_PGM_RSRC2:TGID_Y_EN: 0
; COMPUTE_PGM_RSRC2:TGID_Z_EN: 0
; COMPUTE_PGM_RSRC2:TIDIG_COMP_CNT: 0
; COMPUTE_PGM_RSRC3_GFX90A:ACCUM_OFFSET: 0
; COMPUTE_PGM_RSRC3_GFX90A:TG_SPLIT: 0
	.section	.text._ZN7rocprim17ROCPRIM_400000_NS6detail17trampoline_kernelINS0_14default_configENS1_38merge_sort_block_merge_config_selectorIcNS0_10empty_typeEEEZZNS1_27merge_sort_block_merge_implIS3_PcPS5_jNS1_19radix_merge_compareILb1ELb0EcNS0_19identity_decomposerEEEEE10hipError_tT0_T1_T2_jT3_P12ihipStream_tbPNSt15iterator_traitsISE_E10value_typeEPNSK_ISF_E10value_typeEPSG_NS1_7vsmem_tEENKUlT_SE_SF_SG_E_clIS8_S8_S9_S9_EESD_ST_SE_SF_SG_EUlST_E_NS1_11comp_targetILNS1_3genE9ELNS1_11target_archE1100ELNS1_3gpuE3ELNS1_3repE0EEENS1_48merge_mergepath_partition_config_static_selectorELNS0_4arch9wavefront6targetE1EEEvSF_,"axG",@progbits,_ZN7rocprim17ROCPRIM_400000_NS6detail17trampoline_kernelINS0_14default_configENS1_38merge_sort_block_merge_config_selectorIcNS0_10empty_typeEEEZZNS1_27merge_sort_block_merge_implIS3_PcPS5_jNS1_19radix_merge_compareILb1ELb0EcNS0_19identity_decomposerEEEEE10hipError_tT0_T1_T2_jT3_P12ihipStream_tbPNSt15iterator_traitsISE_E10value_typeEPNSK_ISF_E10value_typeEPSG_NS1_7vsmem_tEENKUlT_SE_SF_SG_E_clIS8_S8_S9_S9_EESD_ST_SE_SF_SG_EUlST_E_NS1_11comp_targetILNS1_3genE9ELNS1_11target_archE1100ELNS1_3gpuE3ELNS1_3repE0EEENS1_48merge_mergepath_partition_config_static_selectorELNS0_4arch9wavefront6targetE1EEEvSF_,comdat
	.protected	_ZN7rocprim17ROCPRIM_400000_NS6detail17trampoline_kernelINS0_14default_configENS1_38merge_sort_block_merge_config_selectorIcNS0_10empty_typeEEEZZNS1_27merge_sort_block_merge_implIS3_PcPS5_jNS1_19radix_merge_compareILb1ELb0EcNS0_19identity_decomposerEEEEE10hipError_tT0_T1_T2_jT3_P12ihipStream_tbPNSt15iterator_traitsISE_E10value_typeEPNSK_ISF_E10value_typeEPSG_NS1_7vsmem_tEENKUlT_SE_SF_SG_E_clIS8_S8_S9_S9_EESD_ST_SE_SF_SG_EUlST_E_NS1_11comp_targetILNS1_3genE9ELNS1_11target_archE1100ELNS1_3gpuE3ELNS1_3repE0EEENS1_48merge_mergepath_partition_config_static_selectorELNS0_4arch9wavefront6targetE1EEEvSF_ ; -- Begin function _ZN7rocprim17ROCPRIM_400000_NS6detail17trampoline_kernelINS0_14default_configENS1_38merge_sort_block_merge_config_selectorIcNS0_10empty_typeEEEZZNS1_27merge_sort_block_merge_implIS3_PcPS5_jNS1_19radix_merge_compareILb1ELb0EcNS0_19identity_decomposerEEEEE10hipError_tT0_T1_T2_jT3_P12ihipStream_tbPNSt15iterator_traitsISE_E10value_typeEPNSK_ISF_E10value_typeEPSG_NS1_7vsmem_tEENKUlT_SE_SF_SG_E_clIS8_S8_S9_S9_EESD_ST_SE_SF_SG_EUlST_E_NS1_11comp_targetILNS1_3genE9ELNS1_11target_archE1100ELNS1_3gpuE3ELNS1_3repE0EEENS1_48merge_mergepath_partition_config_static_selectorELNS0_4arch9wavefront6targetE1EEEvSF_
	.globl	_ZN7rocprim17ROCPRIM_400000_NS6detail17trampoline_kernelINS0_14default_configENS1_38merge_sort_block_merge_config_selectorIcNS0_10empty_typeEEEZZNS1_27merge_sort_block_merge_implIS3_PcPS5_jNS1_19radix_merge_compareILb1ELb0EcNS0_19identity_decomposerEEEEE10hipError_tT0_T1_T2_jT3_P12ihipStream_tbPNSt15iterator_traitsISE_E10value_typeEPNSK_ISF_E10value_typeEPSG_NS1_7vsmem_tEENKUlT_SE_SF_SG_E_clIS8_S8_S9_S9_EESD_ST_SE_SF_SG_EUlST_E_NS1_11comp_targetILNS1_3genE9ELNS1_11target_archE1100ELNS1_3gpuE3ELNS1_3repE0EEENS1_48merge_mergepath_partition_config_static_selectorELNS0_4arch9wavefront6targetE1EEEvSF_
	.p2align	8
	.type	_ZN7rocprim17ROCPRIM_400000_NS6detail17trampoline_kernelINS0_14default_configENS1_38merge_sort_block_merge_config_selectorIcNS0_10empty_typeEEEZZNS1_27merge_sort_block_merge_implIS3_PcPS5_jNS1_19radix_merge_compareILb1ELb0EcNS0_19identity_decomposerEEEEE10hipError_tT0_T1_T2_jT3_P12ihipStream_tbPNSt15iterator_traitsISE_E10value_typeEPNSK_ISF_E10value_typeEPSG_NS1_7vsmem_tEENKUlT_SE_SF_SG_E_clIS8_S8_S9_S9_EESD_ST_SE_SF_SG_EUlST_E_NS1_11comp_targetILNS1_3genE9ELNS1_11target_archE1100ELNS1_3gpuE3ELNS1_3repE0EEENS1_48merge_mergepath_partition_config_static_selectorELNS0_4arch9wavefront6targetE1EEEvSF_,@function
_ZN7rocprim17ROCPRIM_400000_NS6detail17trampoline_kernelINS0_14default_configENS1_38merge_sort_block_merge_config_selectorIcNS0_10empty_typeEEEZZNS1_27merge_sort_block_merge_implIS3_PcPS5_jNS1_19radix_merge_compareILb1ELb0EcNS0_19identity_decomposerEEEEE10hipError_tT0_T1_T2_jT3_P12ihipStream_tbPNSt15iterator_traitsISE_E10value_typeEPNSK_ISF_E10value_typeEPSG_NS1_7vsmem_tEENKUlT_SE_SF_SG_E_clIS8_S8_S9_S9_EESD_ST_SE_SF_SG_EUlST_E_NS1_11comp_targetILNS1_3genE9ELNS1_11target_archE1100ELNS1_3gpuE3ELNS1_3repE0EEENS1_48merge_mergepath_partition_config_static_selectorELNS0_4arch9wavefront6targetE1EEEvSF_: ; @_ZN7rocprim17ROCPRIM_400000_NS6detail17trampoline_kernelINS0_14default_configENS1_38merge_sort_block_merge_config_selectorIcNS0_10empty_typeEEEZZNS1_27merge_sort_block_merge_implIS3_PcPS5_jNS1_19radix_merge_compareILb1ELb0EcNS0_19identity_decomposerEEEEE10hipError_tT0_T1_T2_jT3_P12ihipStream_tbPNSt15iterator_traitsISE_E10value_typeEPNSK_ISF_E10value_typeEPSG_NS1_7vsmem_tEENKUlT_SE_SF_SG_E_clIS8_S8_S9_S9_EESD_ST_SE_SF_SG_EUlST_E_NS1_11comp_targetILNS1_3genE9ELNS1_11target_archE1100ELNS1_3gpuE3ELNS1_3repE0EEENS1_48merge_mergepath_partition_config_static_selectorELNS0_4arch9wavefront6targetE1EEEvSF_
; %bb.0:
	.section	.rodata,"a",@progbits
	.p2align	6, 0x0
	.amdhsa_kernel _ZN7rocprim17ROCPRIM_400000_NS6detail17trampoline_kernelINS0_14default_configENS1_38merge_sort_block_merge_config_selectorIcNS0_10empty_typeEEEZZNS1_27merge_sort_block_merge_implIS3_PcPS5_jNS1_19radix_merge_compareILb1ELb0EcNS0_19identity_decomposerEEEEE10hipError_tT0_T1_T2_jT3_P12ihipStream_tbPNSt15iterator_traitsISE_E10value_typeEPNSK_ISF_E10value_typeEPSG_NS1_7vsmem_tEENKUlT_SE_SF_SG_E_clIS8_S8_S9_S9_EESD_ST_SE_SF_SG_EUlST_E_NS1_11comp_targetILNS1_3genE9ELNS1_11target_archE1100ELNS1_3gpuE3ELNS1_3repE0EEENS1_48merge_mergepath_partition_config_static_selectorELNS0_4arch9wavefront6targetE1EEEvSF_
		.amdhsa_group_segment_fixed_size 0
		.amdhsa_private_segment_fixed_size 0
		.amdhsa_kernarg_size 40
		.amdhsa_user_sgpr_count 6
		.amdhsa_user_sgpr_private_segment_buffer 1
		.amdhsa_user_sgpr_dispatch_ptr 0
		.amdhsa_user_sgpr_queue_ptr 0
		.amdhsa_user_sgpr_kernarg_segment_ptr 1
		.amdhsa_user_sgpr_dispatch_id 0
		.amdhsa_user_sgpr_flat_scratch_init 0
		.amdhsa_user_sgpr_kernarg_preload_length 0
		.amdhsa_user_sgpr_kernarg_preload_offset 0
		.amdhsa_user_sgpr_private_segment_size 0
		.amdhsa_uses_dynamic_stack 0
		.amdhsa_system_sgpr_private_segment_wavefront_offset 0
		.amdhsa_system_sgpr_workgroup_id_x 1
		.amdhsa_system_sgpr_workgroup_id_y 0
		.amdhsa_system_sgpr_workgroup_id_z 0
		.amdhsa_system_sgpr_workgroup_info 0
		.amdhsa_system_vgpr_workitem_id 0
		.amdhsa_next_free_vgpr 1
		.amdhsa_next_free_sgpr 0
		.amdhsa_accum_offset 4
		.amdhsa_reserve_vcc 0
		.amdhsa_reserve_flat_scratch 0
		.amdhsa_float_round_mode_32 0
		.amdhsa_float_round_mode_16_64 0
		.amdhsa_float_denorm_mode_32 3
		.amdhsa_float_denorm_mode_16_64 3
		.amdhsa_dx10_clamp 1
		.amdhsa_ieee_mode 1
		.amdhsa_fp16_overflow 0
		.amdhsa_tg_split 0
		.amdhsa_exception_fp_ieee_invalid_op 0
		.amdhsa_exception_fp_denorm_src 0
		.amdhsa_exception_fp_ieee_div_zero 0
		.amdhsa_exception_fp_ieee_overflow 0
		.amdhsa_exception_fp_ieee_underflow 0
		.amdhsa_exception_fp_ieee_inexact 0
		.amdhsa_exception_int_div_zero 0
	.end_amdhsa_kernel
	.section	.text._ZN7rocprim17ROCPRIM_400000_NS6detail17trampoline_kernelINS0_14default_configENS1_38merge_sort_block_merge_config_selectorIcNS0_10empty_typeEEEZZNS1_27merge_sort_block_merge_implIS3_PcPS5_jNS1_19radix_merge_compareILb1ELb0EcNS0_19identity_decomposerEEEEE10hipError_tT0_T1_T2_jT3_P12ihipStream_tbPNSt15iterator_traitsISE_E10value_typeEPNSK_ISF_E10value_typeEPSG_NS1_7vsmem_tEENKUlT_SE_SF_SG_E_clIS8_S8_S9_S9_EESD_ST_SE_SF_SG_EUlST_E_NS1_11comp_targetILNS1_3genE9ELNS1_11target_archE1100ELNS1_3gpuE3ELNS1_3repE0EEENS1_48merge_mergepath_partition_config_static_selectorELNS0_4arch9wavefront6targetE1EEEvSF_,"axG",@progbits,_ZN7rocprim17ROCPRIM_400000_NS6detail17trampoline_kernelINS0_14default_configENS1_38merge_sort_block_merge_config_selectorIcNS0_10empty_typeEEEZZNS1_27merge_sort_block_merge_implIS3_PcPS5_jNS1_19radix_merge_compareILb1ELb0EcNS0_19identity_decomposerEEEEE10hipError_tT0_T1_T2_jT3_P12ihipStream_tbPNSt15iterator_traitsISE_E10value_typeEPNSK_ISF_E10value_typeEPSG_NS1_7vsmem_tEENKUlT_SE_SF_SG_E_clIS8_S8_S9_S9_EESD_ST_SE_SF_SG_EUlST_E_NS1_11comp_targetILNS1_3genE9ELNS1_11target_archE1100ELNS1_3gpuE3ELNS1_3repE0EEENS1_48merge_mergepath_partition_config_static_selectorELNS0_4arch9wavefront6targetE1EEEvSF_,comdat
.Lfunc_end1487:
	.size	_ZN7rocprim17ROCPRIM_400000_NS6detail17trampoline_kernelINS0_14default_configENS1_38merge_sort_block_merge_config_selectorIcNS0_10empty_typeEEEZZNS1_27merge_sort_block_merge_implIS3_PcPS5_jNS1_19radix_merge_compareILb1ELb0EcNS0_19identity_decomposerEEEEE10hipError_tT0_T1_T2_jT3_P12ihipStream_tbPNSt15iterator_traitsISE_E10value_typeEPNSK_ISF_E10value_typeEPSG_NS1_7vsmem_tEENKUlT_SE_SF_SG_E_clIS8_S8_S9_S9_EESD_ST_SE_SF_SG_EUlST_E_NS1_11comp_targetILNS1_3genE9ELNS1_11target_archE1100ELNS1_3gpuE3ELNS1_3repE0EEENS1_48merge_mergepath_partition_config_static_selectorELNS0_4arch9wavefront6targetE1EEEvSF_, .Lfunc_end1487-_ZN7rocprim17ROCPRIM_400000_NS6detail17trampoline_kernelINS0_14default_configENS1_38merge_sort_block_merge_config_selectorIcNS0_10empty_typeEEEZZNS1_27merge_sort_block_merge_implIS3_PcPS5_jNS1_19radix_merge_compareILb1ELb0EcNS0_19identity_decomposerEEEEE10hipError_tT0_T1_T2_jT3_P12ihipStream_tbPNSt15iterator_traitsISE_E10value_typeEPNSK_ISF_E10value_typeEPSG_NS1_7vsmem_tEENKUlT_SE_SF_SG_E_clIS8_S8_S9_S9_EESD_ST_SE_SF_SG_EUlST_E_NS1_11comp_targetILNS1_3genE9ELNS1_11target_archE1100ELNS1_3gpuE3ELNS1_3repE0EEENS1_48merge_mergepath_partition_config_static_selectorELNS0_4arch9wavefront6targetE1EEEvSF_
                                        ; -- End function
	.section	.AMDGPU.csdata,"",@progbits
; Kernel info:
; codeLenInByte = 0
; NumSgprs: 4
; NumVgprs: 0
; NumAgprs: 0
; TotalNumVgprs: 0
; ScratchSize: 0
; MemoryBound: 0
; FloatMode: 240
; IeeeMode: 1
; LDSByteSize: 0 bytes/workgroup (compile time only)
; SGPRBlocks: 0
; VGPRBlocks: 0
; NumSGPRsForWavesPerEU: 4
; NumVGPRsForWavesPerEU: 1
; AccumOffset: 4
; Occupancy: 8
; WaveLimiterHint : 0
; COMPUTE_PGM_RSRC2:SCRATCH_EN: 0
; COMPUTE_PGM_RSRC2:USER_SGPR: 6
; COMPUTE_PGM_RSRC2:TRAP_HANDLER: 0
; COMPUTE_PGM_RSRC2:TGID_X_EN: 1
; COMPUTE_PGM_RSRC2:TGID_Y_EN: 0
; COMPUTE_PGM_RSRC2:TGID_Z_EN: 0
; COMPUTE_PGM_RSRC2:TIDIG_COMP_CNT: 0
; COMPUTE_PGM_RSRC3_GFX90A:ACCUM_OFFSET: 0
; COMPUTE_PGM_RSRC3_GFX90A:TG_SPLIT: 0
	.section	.text._ZN7rocprim17ROCPRIM_400000_NS6detail17trampoline_kernelINS0_14default_configENS1_38merge_sort_block_merge_config_selectorIcNS0_10empty_typeEEEZZNS1_27merge_sort_block_merge_implIS3_PcPS5_jNS1_19radix_merge_compareILb1ELb0EcNS0_19identity_decomposerEEEEE10hipError_tT0_T1_T2_jT3_P12ihipStream_tbPNSt15iterator_traitsISE_E10value_typeEPNSK_ISF_E10value_typeEPSG_NS1_7vsmem_tEENKUlT_SE_SF_SG_E_clIS8_S8_S9_S9_EESD_ST_SE_SF_SG_EUlST_E_NS1_11comp_targetILNS1_3genE8ELNS1_11target_archE1030ELNS1_3gpuE2ELNS1_3repE0EEENS1_48merge_mergepath_partition_config_static_selectorELNS0_4arch9wavefront6targetE1EEEvSF_,"axG",@progbits,_ZN7rocprim17ROCPRIM_400000_NS6detail17trampoline_kernelINS0_14default_configENS1_38merge_sort_block_merge_config_selectorIcNS0_10empty_typeEEEZZNS1_27merge_sort_block_merge_implIS3_PcPS5_jNS1_19radix_merge_compareILb1ELb0EcNS0_19identity_decomposerEEEEE10hipError_tT0_T1_T2_jT3_P12ihipStream_tbPNSt15iterator_traitsISE_E10value_typeEPNSK_ISF_E10value_typeEPSG_NS1_7vsmem_tEENKUlT_SE_SF_SG_E_clIS8_S8_S9_S9_EESD_ST_SE_SF_SG_EUlST_E_NS1_11comp_targetILNS1_3genE8ELNS1_11target_archE1030ELNS1_3gpuE2ELNS1_3repE0EEENS1_48merge_mergepath_partition_config_static_selectorELNS0_4arch9wavefront6targetE1EEEvSF_,comdat
	.protected	_ZN7rocprim17ROCPRIM_400000_NS6detail17trampoline_kernelINS0_14default_configENS1_38merge_sort_block_merge_config_selectorIcNS0_10empty_typeEEEZZNS1_27merge_sort_block_merge_implIS3_PcPS5_jNS1_19radix_merge_compareILb1ELb0EcNS0_19identity_decomposerEEEEE10hipError_tT0_T1_T2_jT3_P12ihipStream_tbPNSt15iterator_traitsISE_E10value_typeEPNSK_ISF_E10value_typeEPSG_NS1_7vsmem_tEENKUlT_SE_SF_SG_E_clIS8_S8_S9_S9_EESD_ST_SE_SF_SG_EUlST_E_NS1_11comp_targetILNS1_3genE8ELNS1_11target_archE1030ELNS1_3gpuE2ELNS1_3repE0EEENS1_48merge_mergepath_partition_config_static_selectorELNS0_4arch9wavefront6targetE1EEEvSF_ ; -- Begin function _ZN7rocprim17ROCPRIM_400000_NS6detail17trampoline_kernelINS0_14default_configENS1_38merge_sort_block_merge_config_selectorIcNS0_10empty_typeEEEZZNS1_27merge_sort_block_merge_implIS3_PcPS5_jNS1_19radix_merge_compareILb1ELb0EcNS0_19identity_decomposerEEEEE10hipError_tT0_T1_T2_jT3_P12ihipStream_tbPNSt15iterator_traitsISE_E10value_typeEPNSK_ISF_E10value_typeEPSG_NS1_7vsmem_tEENKUlT_SE_SF_SG_E_clIS8_S8_S9_S9_EESD_ST_SE_SF_SG_EUlST_E_NS1_11comp_targetILNS1_3genE8ELNS1_11target_archE1030ELNS1_3gpuE2ELNS1_3repE0EEENS1_48merge_mergepath_partition_config_static_selectorELNS0_4arch9wavefront6targetE1EEEvSF_
	.globl	_ZN7rocprim17ROCPRIM_400000_NS6detail17trampoline_kernelINS0_14default_configENS1_38merge_sort_block_merge_config_selectorIcNS0_10empty_typeEEEZZNS1_27merge_sort_block_merge_implIS3_PcPS5_jNS1_19radix_merge_compareILb1ELb0EcNS0_19identity_decomposerEEEEE10hipError_tT0_T1_T2_jT3_P12ihipStream_tbPNSt15iterator_traitsISE_E10value_typeEPNSK_ISF_E10value_typeEPSG_NS1_7vsmem_tEENKUlT_SE_SF_SG_E_clIS8_S8_S9_S9_EESD_ST_SE_SF_SG_EUlST_E_NS1_11comp_targetILNS1_3genE8ELNS1_11target_archE1030ELNS1_3gpuE2ELNS1_3repE0EEENS1_48merge_mergepath_partition_config_static_selectorELNS0_4arch9wavefront6targetE1EEEvSF_
	.p2align	8
	.type	_ZN7rocprim17ROCPRIM_400000_NS6detail17trampoline_kernelINS0_14default_configENS1_38merge_sort_block_merge_config_selectorIcNS0_10empty_typeEEEZZNS1_27merge_sort_block_merge_implIS3_PcPS5_jNS1_19radix_merge_compareILb1ELb0EcNS0_19identity_decomposerEEEEE10hipError_tT0_T1_T2_jT3_P12ihipStream_tbPNSt15iterator_traitsISE_E10value_typeEPNSK_ISF_E10value_typeEPSG_NS1_7vsmem_tEENKUlT_SE_SF_SG_E_clIS8_S8_S9_S9_EESD_ST_SE_SF_SG_EUlST_E_NS1_11comp_targetILNS1_3genE8ELNS1_11target_archE1030ELNS1_3gpuE2ELNS1_3repE0EEENS1_48merge_mergepath_partition_config_static_selectorELNS0_4arch9wavefront6targetE1EEEvSF_,@function
_ZN7rocprim17ROCPRIM_400000_NS6detail17trampoline_kernelINS0_14default_configENS1_38merge_sort_block_merge_config_selectorIcNS0_10empty_typeEEEZZNS1_27merge_sort_block_merge_implIS3_PcPS5_jNS1_19radix_merge_compareILb1ELb0EcNS0_19identity_decomposerEEEEE10hipError_tT0_T1_T2_jT3_P12ihipStream_tbPNSt15iterator_traitsISE_E10value_typeEPNSK_ISF_E10value_typeEPSG_NS1_7vsmem_tEENKUlT_SE_SF_SG_E_clIS8_S8_S9_S9_EESD_ST_SE_SF_SG_EUlST_E_NS1_11comp_targetILNS1_3genE8ELNS1_11target_archE1030ELNS1_3gpuE2ELNS1_3repE0EEENS1_48merge_mergepath_partition_config_static_selectorELNS0_4arch9wavefront6targetE1EEEvSF_: ; @_ZN7rocprim17ROCPRIM_400000_NS6detail17trampoline_kernelINS0_14default_configENS1_38merge_sort_block_merge_config_selectorIcNS0_10empty_typeEEEZZNS1_27merge_sort_block_merge_implIS3_PcPS5_jNS1_19radix_merge_compareILb1ELb0EcNS0_19identity_decomposerEEEEE10hipError_tT0_T1_T2_jT3_P12ihipStream_tbPNSt15iterator_traitsISE_E10value_typeEPNSK_ISF_E10value_typeEPSG_NS1_7vsmem_tEENKUlT_SE_SF_SG_E_clIS8_S8_S9_S9_EESD_ST_SE_SF_SG_EUlST_E_NS1_11comp_targetILNS1_3genE8ELNS1_11target_archE1030ELNS1_3gpuE2ELNS1_3repE0EEENS1_48merge_mergepath_partition_config_static_selectorELNS0_4arch9wavefront6targetE1EEEvSF_
; %bb.0:
	.section	.rodata,"a",@progbits
	.p2align	6, 0x0
	.amdhsa_kernel _ZN7rocprim17ROCPRIM_400000_NS6detail17trampoline_kernelINS0_14default_configENS1_38merge_sort_block_merge_config_selectorIcNS0_10empty_typeEEEZZNS1_27merge_sort_block_merge_implIS3_PcPS5_jNS1_19radix_merge_compareILb1ELb0EcNS0_19identity_decomposerEEEEE10hipError_tT0_T1_T2_jT3_P12ihipStream_tbPNSt15iterator_traitsISE_E10value_typeEPNSK_ISF_E10value_typeEPSG_NS1_7vsmem_tEENKUlT_SE_SF_SG_E_clIS8_S8_S9_S9_EESD_ST_SE_SF_SG_EUlST_E_NS1_11comp_targetILNS1_3genE8ELNS1_11target_archE1030ELNS1_3gpuE2ELNS1_3repE0EEENS1_48merge_mergepath_partition_config_static_selectorELNS0_4arch9wavefront6targetE1EEEvSF_
		.amdhsa_group_segment_fixed_size 0
		.amdhsa_private_segment_fixed_size 0
		.amdhsa_kernarg_size 40
		.amdhsa_user_sgpr_count 6
		.amdhsa_user_sgpr_private_segment_buffer 1
		.amdhsa_user_sgpr_dispatch_ptr 0
		.amdhsa_user_sgpr_queue_ptr 0
		.amdhsa_user_sgpr_kernarg_segment_ptr 1
		.amdhsa_user_sgpr_dispatch_id 0
		.amdhsa_user_sgpr_flat_scratch_init 0
		.amdhsa_user_sgpr_kernarg_preload_length 0
		.amdhsa_user_sgpr_kernarg_preload_offset 0
		.amdhsa_user_sgpr_private_segment_size 0
		.amdhsa_uses_dynamic_stack 0
		.amdhsa_system_sgpr_private_segment_wavefront_offset 0
		.amdhsa_system_sgpr_workgroup_id_x 1
		.amdhsa_system_sgpr_workgroup_id_y 0
		.amdhsa_system_sgpr_workgroup_id_z 0
		.amdhsa_system_sgpr_workgroup_info 0
		.amdhsa_system_vgpr_workitem_id 0
		.amdhsa_next_free_vgpr 1
		.amdhsa_next_free_sgpr 0
		.amdhsa_accum_offset 4
		.amdhsa_reserve_vcc 0
		.amdhsa_reserve_flat_scratch 0
		.amdhsa_float_round_mode_32 0
		.amdhsa_float_round_mode_16_64 0
		.amdhsa_float_denorm_mode_32 3
		.amdhsa_float_denorm_mode_16_64 3
		.amdhsa_dx10_clamp 1
		.amdhsa_ieee_mode 1
		.amdhsa_fp16_overflow 0
		.amdhsa_tg_split 0
		.amdhsa_exception_fp_ieee_invalid_op 0
		.amdhsa_exception_fp_denorm_src 0
		.amdhsa_exception_fp_ieee_div_zero 0
		.amdhsa_exception_fp_ieee_overflow 0
		.amdhsa_exception_fp_ieee_underflow 0
		.amdhsa_exception_fp_ieee_inexact 0
		.amdhsa_exception_int_div_zero 0
	.end_amdhsa_kernel
	.section	.text._ZN7rocprim17ROCPRIM_400000_NS6detail17trampoline_kernelINS0_14default_configENS1_38merge_sort_block_merge_config_selectorIcNS0_10empty_typeEEEZZNS1_27merge_sort_block_merge_implIS3_PcPS5_jNS1_19radix_merge_compareILb1ELb0EcNS0_19identity_decomposerEEEEE10hipError_tT0_T1_T2_jT3_P12ihipStream_tbPNSt15iterator_traitsISE_E10value_typeEPNSK_ISF_E10value_typeEPSG_NS1_7vsmem_tEENKUlT_SE_SF_SG_E_clIS8_S8_S9_S9_EESD_ST_SE_SF_SG_EUlST_E_NS1_11comp_targetILNS1_3genE8ELNS1_11target_archE1030ELNS1_3gpuE2ELNS1_3repE0EEENS1_48merge_mergepath_partition_config_static_selectorELNS0_4arch9wavefront6targetE1EEEvSF_,"axG",@progbits,_ZN7rocprim17ROCPRIM_400000_NS6detail17trampoline_kernelINS0_14default_configENS1_38merge_sort_block_merge_config_selectorIcNS0_10empty_typeEEEZZNS1_27merge_sort_block_merge_implIS3_PcPS5_jNS1_19radix_merge_compareILb1ELb0EcNS0_19identity_decomposerEEEEE10hipError_tT0_T1_T2_jT3_P12ihipStream_tbPNSt15iterator_traitsISE_E10value_typeEPNSK_ISF_E10value_typeEPSG_NS1_7vsmem_tEENKUlT_SE_SF_SG_E_clIS8_S8_S9_S9_EESD_ST_SE_SF_SG_EUlST_E_NS1_11comp_targetILNS1_3genE8ELNS1_11target_archE1030ELNS1_3gpuE2ELNS1_3repE0EEENS1_48merge_mergepath_partition_config_static_selectorELNS0_4arch9wavefront6targetE1EEEvSF_,comdat
.Lfunc_end1488:
	.size	_ZN7rocprim17ROCPRIM_400000_NS6detail17trampoline_kernelINS0_14default_configENS1_38merge_sort_block_merge_config_selectorIcNS0_10empty_typeEEEZZNS1_27merge_sort_block_merge_implIS3_PcPS5_jNS1_19radix_merge_compareILb1ELb0EcNS0_19identity_decomposerEEEEE10hipError_tT0_T1_T2_jT3_P12ihipStream_tbPNSt15iterator_traitsISE_E10value_typeEPNSK_ISF_E10value_typeEPSG_NS1_7vsmem_tEENKUlT_SE_SF_SG_E_clIS8_S8_S9_S9_EESD_ST_SE_SF_SG_EUlST_E_NS1_11comp_targetILNS1_3genE8ELNS1_11target_archE1030ELNS1_3gpuE2ELNS1_3repE0EEENS1_48merge_mergepath_partition_config_static_selectorELNS0_4arch9wavefront6targetE1EEEvSF_, .Lfunc_end1488-_ZN7rocprim17ROCPRIM_400000_NS6detail17trampoline_kernelINS0_14default_configENS1_38merge_sort_block_merge_config_selectorIcNS0_10empty_typeEEEZZNS1_27merge_sort_block_merge_implIS3_PcPS5_jNS1_19radix_merge_compareILb1ELb0EcNS0_19identity_decomposerEEEEE10hipError_tT0_T1_T2_jT3_P12ihipStream_tbPNSt15iterator_traitsISE_E10value_typeEPNSK_ISF_E10value_typeEPSG_NS1_7vsmem_tEENKUlT_SE_SF_SG_E_clIS8_S8_S9_S9_EESD_ST_SE_SF_SG_EUlST_E_NS1_11comp_targetILNS1_3genE8ELNS1_11target_archE1030ELNS1_3gpuE2ELNS1_3repE0EEENS1_48merge_mergepath_partition_config_static_selectorELNS0_4arch9wavefront6targetE1EEEvSF_
                                        ; -- End function
	.section	.AMDGPU.csdata,"",@progbits
; Kernel info:
; codeLenInByte = 0
; NumSgprs: 4
; NumVgprs: 0
; NumAgprs: 0
; TotalNumVgprs: 0
; ScratchSize: 0
; MemoryBound: 0
; FloatMode: 240
; IeeeMode: 1
; LDSByteSize: 0 bytes/workgroup (compile time only)
; SGPRBlocks: 0
; VGPRBlocks: 0
; NumSGPRsForWavesPerEU: 4
; NumVGPRsForWavesPerEU: 1
; AccumOffset: 4
; Occupancy: 8
; WaveLimiterHint : 0
; COMPUTE_PGM_RSRC2:SCRATCH_EN: 0
; COMPUTE_PGM_RSRC2:USER_SGPR: 6
; COMPUTE_PGM_RSRC2:TRAP_HANDLER: 0
; COMPUTE_PGM_RSRC2:TGID_X_EN: 1
; COMPUTE_PGM_RSRC2:TGID_Y_EN: 0
; COMPUTE_PGM_RSRC2:TGID_Z_EN: 0
; COMPUTE_PGM_RSRC2:TIDIG_COMP_CNT: 0
; COMPUTE_PGM_RSRC3_GFX90A:ACCUM_OFFSET: 0
; COMPUTE_PGM_RSRC3_GFX90A:TG_SPLIT: 0
	.section	.text._ZN7rocprim17ROCPRIM_400000_NS6detail17trampoline_kernelINS0_14default_configENS1_38merge_sort_block_merge_config_selectorIcNS0_10empty_typeEEEZZNS1_27merge_sort_block_merge_implIS3_PcPS5_jNS1_19radix_merge_compareILb1ELb0EcNS0_19identity_decomposerEEEEE10hipError_tT0_T1_T2_jT3_P12ihipStream_tbPNSt15iterator_traitsISE_E10value_typeEPNSK_ISF_E10value_typeEPSG_NS1_7vsmem_tEENKUlT_SE_SF_SG_E_clIS8_S8_S9_S9_EESD_ST_SE_SF_SG_EUlST_E0_NS1_11comp_targetILNS1_3genE0ELNS1_11target_archE4294967295ELNS1_3gpuE0ELNS1_3repE0EEENS1_38merge_mergepath_config_static_selectorELNS0_4arch9wavefront6targetE1EEEvSF_,"axG",@progbits,_ZN7rocprim17ROCPRIM_400000_NS6detail17trampoline_kernelINS0_14default_configENS1_38merge_sort_block_merge_config_selectorIcNS0_10empty_typeEEEZZNS1_27merge_sort_block_merge_implIS3_PcPS5_jNS1_19radix_merge_compareILb1ELb0EcNS0_19identity_decomposerEEEEE10hipError_tT0_T1_T2_jT3_P12ihipStream_tbPNSt15iterator_traitsISE_E10value_typeEPNSK_ISF_E10value_typeEPSG_NS1_7vsmem_tEENKUlT_SE_SF_SG_E_clIS8_S8_S9_S9_EESD_ST_SE_SF_SG_EUlST_E0_NS1_11comp_targetILNS1_3genE0ELNS1_11target_archE4294967295ELNS1_3gpuE0ELNS1_3repE0EEENS1_38merge_mergepath_config_static_selectorELNS0_4arch9wavefront6targetE1EEEvSF_,comdat
	.protected	_ZN7rocprim17ROCPRIM_400000_NS6detail17trampoline_kernelINS0_14default_configENS1_38merge_sort_block_merge_config_selectorIcNS0_10empty_typeEEEZZNS1_27merge_sort_block_merge_implIS3_PcPS5_jNS1_19radix_merge_compareILb1ELb0EcNS0_19identity_decomposerEEEEE10hipError_tT0_T1_T2_jT3_P12ihipStream_tbPNSt15iterator_traitsISE_E10value_typeEPNSK_ISF_E10value_typeEPSG_NS1_7vsmem_tEENKUlT_SE_SF_SG_E_clIS8_S8_S9_S9_EESD_ST_SE_SF_SG_EUlST_E0_NS1_11comp_targetILNS1_3genE0ELNS1_11target_archE4294967295ELNS1_3gpuE0ELNS1_3repE0EEENS1_38merge_mergepath_config_static_selectorELNS0_4arch9wavefront6targetE1EEEvSF_ ; -- Begin function _ZN7rocprim17ROCPRIM_400000_NS6detail17trampoline_kernelINS0_14default_configENS1_38merge_sort_block_merge_config_selectorIcNS0_10empty_typeEEEZZNS1_27merge_sort_block_merge_implIS3_PcPS5_jNS1_19radix_merge_compareILb1ELb0EcNS0_19identity_decomposerEEEEE10hipError_tT0_T1_T2_jT3_P12ihipStream_tbPNSt15iterator_traitsISE_E10value_typeEPNSK_ISF_E10value_typeEPSG_NS1_7vsmem_tEENKUlT_SE_SF_SG_E_clIS8_S8_S9_S9_EESD_ST_SE_SF_SG_EUlST_E0_NS1_11comp_targetILNS1_3genE0ELNS1_11target_archE4294967295ELNS1_3gpuE0ELNS1_3repE0EEENS1_38merge_mergepath_config_static_selectorELNS0_4arch9wavefront6targetE1EEEvSF_
	.globl	_ZN7rocprim17ROCPRIM_400000_NS6detail17trampoline_kernelINS0_14default_configENS1_38merge_sort_block_merge_config_selectorIcNS0_10empty_typeEEEZZNS1_27merge_sort_block_merge_implIS3_PcPS5_jNS1_19radix_merge_compareILb1ELb0EcNS0_19identity_decomposerEEEEE10hipError_tT0_T1_T2_jT3_P12ihipStream_tbPNSt15iterator_traitsISE_E10value_typeEPNSK_ISF_E10value_typeEPSG_NS1_7vsmem_tEENKUlT_SE_SF_SG_E_clIS8_S8_S9_S9_EESD_ST_SE_SF_SG_EUlST_E0_NS1_11comp_targetILNS1_3genE0ELNS1_11target_archE4294967295ELNS1_3gpuE0ELNS1_3repE0EEENS1_38merge_mergepath_config_static_selectorELNS0_4arch9wavefront6targetE1EEEvSF_
	.p2align	8
	.type	_ZN7rocprim17ROCPRIM_400000_NS6detail17trampoline_kernelINS0_14default_configENS1_38merge_sort_block_merge_config_selectorIcNS0_10empty_typeEEEZZNS1_27merge_sort_block_merge_implIS3_PcPS5_jNS1_19radix_merge_compareILb1ELb0EcNS0_19identity_decomposerEEEEE10hipError_tT0_T1_T2_jT3_P12ihipStream_tbPNSt15iterator_traitsISE_E10value_typeEPNSK_ISF_E10value_typeEPSG_NS1_7vsmem_tEENKUlT_SE_SF_SG_E_clIS8_S8_S9_S9_EESD_ST_SE_SF_SG_EUlST_E0_NS1_11comp_targetILNS1_3genE0ELNS1_11target_archE4294967295ELNS1_3gpuE0ELNS1_3repE0EEENS1_38merge_mergepath_config_static_selectorELNS0_4arch9wavefront6targetE1EEEvSF_,@function
_ZN7rocprim17ROCPRIM_400000_NS6detail17trampoline_kernelINS0_14default_configENS1_38merge_sort_block_merge_config_selectorIcNS0_10empty_typeEEEZZNS1_27merge_sort_block_merge_implIS3_PcPS5_jNS1_19radix_merge_compareILb1ELb0EcNS0_19identity_decomposerEEEEE10hipError_tT0_T1_T2_jT3_P12ihipStream_tbPNSt15iterator_traitsISE_E10value_typeEPNSK_ISF_E10value_typeEPSG_NS1_7vsmem_tEENKUlT_SE_SF_SG_E_clIS8_S8_S9_S9_EESD_ST_SE_SF_SG_EUlST_E0_NS1_11comp_targetILNS1_3genE0ELNS1_11target_archE4294967295ELNS1_3gpuE0ELNS1_3repE0EEENS1_38merge_mergepath_config_static_selectorELNS0_4arch9wavefront6targetE1EEEvSF_: ; @_ZN7rocprim17ROCPRIM_400000_NS6detail17trampoline_kernelINS0_14default_configENS1_38merge_sort_block_merge_config_selectorIcNS0_10empty_typeEEEZZNS1_27merge_sort_block_merge_implIS3_PcPS5_jNS1_19radix_merge_compareILb1ELb0EcNS0_19identity_decomposerEEEEE10hipError_tT0_T1_T2_jT3_P12ihipStream_tbPNSt15iterator_traitsISE_E10value_typeEPNSK_ISF_E10value_typeEPSG_NS1_7vsmem_tEENKUlT_SE_SF_SG_E_clIS8_S8_S9_S9_EESD_ST_SE_SF_SG_EUlST_E0_NS1_11comp_targetILNS1_3genE0ELNS1_11target_archE4294967295ELNS1_3gpuE0ELNS1_3repE0EEENS1_38merge_mergepath_config_static_selectorELNS0_4arch9wavefront6targetE1EEEvSF_
; %bb.0:
	.section	.rodata,"a",@progbits
	.p2align	6, 0x0
	.amdhsa_kernel _ZN7rocprim17ROCPRIM_400000_NS6detail17trampoline_kernelINS0_14default_configENS1_38merge_sort_block_merge_config_selectorIcNS0_10empty_typeEEEZZNS1_27merge_sort_block_merge_implIS3_PcPS5_jNS1_19radix_merge_compareILb1ELb0EcNS0_19identity_decomposerEEEEE10hipError_tT0_T1_T2_jT3_P12ihipStream_tbPNSt15iterator_traitsISE_E10value_typeEPNSK_ISF_E10value_typeEPSG_NS1_7vsmem_tEENKUlT_SE_SF_SG_E_clIS8_S8_S9_S9_EESD_ST_SE_SF_SG_EUlST_E0_NS1_11comp_targetILNS1_3genE0ELNS1_11target_archE4294967295ELNS1_3gpuE0ELNS1_3repE0EEENS1_38merge_mergepath_config_static_selectorELNS0_4arch9wavefront6targetE1EEEvSF_
		.amdhsa_group_segment_fixed_size 0
		.amdhsa_private_segment_fixed_size 0
		.amdhsa_kernarg_size 64
		.amdhsa_user_sgpr_count 6
		.amdhsa_user_sgpr_private_segment_buffer 1
		.amdhsa_user_sgpr_dispatch_ptr 0
		.amdhsa_user_sgpr_queue_ptr 0
		.amdhsa_user_sgpr_kernarg_segment_ptr 1
		.amdhsa_user_sgpr_dispatch_id 0
		.amdhsa_user_sgpr_flat_scratch_init 0
		.amdhsa_user_sgpr_kernarg_preload_length 0
		.amdhsa_user_sgpr_kernarg_preload_offset 0
		.amdhsa_user_sgpr_private_segment_size 0
		.amdhsa_uses_dynamic_stack 0
		.amdhsa_system_sgpr_private_segment_wavefront_offset 0
		.amdhsa_system_sgpr_workgroup_id_x 1
		.amdhsa_system_sgpr_workgroup_id_y 0
		.amdhsa_system_sgpr_workgroup_id_z 0
		.amdhsa_system_sgpr_workgroup_info 0
		.amdhsa_system_vgpr_workitem_id 0
		.amdhsa_next_free_vgpr 1
		.amdhsa_next_free_sgpr 0
		.amdhsa_accum_offset 4
		.amdhsa_reserve_vcc 0
		.amdhsa_reserve_flat_scratch 0
		.amdhsa_float_round_mode_32 0
		.amdhsa_float_round_mode_16_64 0
		.amdhsa_float_denorm_mode_32 3
		.amdhsa_float_denorm_mode_16_64 3
		.amdhsa_dx10_clamp 1
		.amdhsa_ieee_mode 1
		.amdhsa_fp16_overflow 0
		.amdhsa_tg_split 0
		.amdhsa_exception_fp_ieee_invalid_op 0
		.amdhsa_exception_fp_denorm_src 0
		.amdhsa_exception_fp_ieee_div_zero 0
		.amdhsa_exception_fp_ieee_overflow 0
		.amdhsa_exception_fp_ieee_underflow 0
		.amdhsa_exception_fp_ieee_inexact 0
		.amdhsa_exception_int_div_zero 0
	.end_amdhsa_kernel
	.section	.text._ZN7rocprim17ROCPRIM_400000_NS6detail17trampoline_kernelINS0_14default_configENS1_38merge_sort_block_merge_config_selectorIcNS0_10empty_typeEEEZZNS1_27merge_sort_block_merge_implIS3_PcPS5_jNS1_19radix_merge_compareILb1ELb0EcNS0_19identity_decomposerEEEEE10hipError_tT0_T1_T2_jT3_P12ihipStream_tbPNSt15iterator_traitsISE_E10value_typeEPNSK_ISF_E10value_typeEPSG_NS1_7vsmem_tEENKUlT_SE_SF_SG_E_clIS8_S8_S9_S9_EESD_ST_SE_SF_SG_EUlST_E0_NS1_11comp_targetILNS1_3genE0ELNS1_11target_archE4294967295ELNS1_3gpuE0ELNS1_3repE0EEENS1_38merge_mergepath_config_static_selectorELNS0_4arch9wavefront6targetE1EEEvSF_,"axG",@progbits,_ZN7rocprim17ROCPRIM_400000_NS6detail17trampoline_kernelINS0_14default_configENS1_38merge_sort_block_merge_config_selectorIcNS0_10empty_typeEEEZZNS1_27merge_sort_block_merge_implIS3_PcPS5_jNS1_19radix_merge_compareILb1ELb0EcNS0_19identity_decomposerEEEEE10hipError_tT0_T1_T2_jT3_P12ihipStream_tbPNSt15iterator_traitsISE_E10value_typeEPNSK_ISF_E10value_typeEPSG_NS1_7vsmem_tEENKUlT_SE_SF_SG_E_clIS8_S8_S9_S9_EESD_ST_SE_SF_SG_EUlST_E0_NS1_11comp_targetILNS1_3genE0ELNS1_11target_archE4294967295ELNS1_3gpuE0ELNS1_3repE0EEENS1_38merge_mergepath_config_static_selectorELNS0_4arch9wavefront6targetE1EEEvSF_,comdat
.Lfunc_end1489:
	.size	_ZN7rocprim17ROCPRIM_400000_NS6detail17trampoline_kernelINS0_14default_configENS1_38merge_sort_block_merge_config_selectorIcNS0_10empty_typeEEEZZNS1_27merge_sort_block_merge_implIS3_PcPS5_jNS1_19radix_merge_compareILb1ELb0EcNS0_19identity_decomposerEEEEE10hipError_tT0_T1_T2_jT3_P12ihipStream_tbPNSt15iterator_traitsISE_E10value_typeEPNSK_ISF_E10value_typeEPSG_NS1_7vsmem_tEENKUlT_SE_SF_SG_E_clIS8_S8_S9_S9_EESD_ST_SE_SF_SG_EUlST_E0_NS1_11comp_targetILNS1_3genE0ELNS1_11target_archE4294967295ELNS1_3gpuE0ELNS1_3repE0EEENS1_38merge_mergepath_config_static_selectorELNS0_4arch9wavefront6targetE1EEEvSF_, .Lfunc_end1489-_ZN7rocprim17ROCPRIM_400000_NS6detail17trampoline_kernelINS0_14default_configENS1_38merge_sort_block_merge_config_selectorIcNS0_10empty_typeEEEZZNS1_27merge_sort_block_merge_implIS3_PcPS5_jNS1_19radix_merge_compareILb1ELb0EcNS0_19identity_decomposerEEEEE10hipError_tT0_T1_T2_jT3_P12ihipStream_tbPNSt15iterator_traitsISE_E10value_typeEPNSK_ISF_E10value_typeEPSG_NS1_7vsmem_tEENKUlT_SE_SF_SG_E_clIS8_S8_S9_S9_EESD_ST_SE_SF_SG_EUlST_E0_NS1_11comp_targetILNS1_3genE0ELNS1_11target_archE4294967295ELNS1_3gpuE0ELNS1_3repE0EEENS1_38merge_mergepath_config_static_selectorELNS0_4arch9wavefront6targetE1EEEvSF_
                                        ; -- End function
	.section	.AMDGPU.csdata,"",@progbits
; Kernel info:
; codeLenInByte = 0
; NumSgprs: 4
; NumVgprs: 0
; NumAgprs: 0
; TotalNumVgprs: 0
; ScratchSize: 0
; MemoryBound: 0
; FloatMode: 240
; IeeeMode: 1
; LDSByteSize: 0 bytes/workgroup (compile time only)
; SGPRBlocks: 0
; VGPRBlocks: 0
; NumSGPRsForWavesPerEU: 4
; NumVGPRsForWavesPerEU: 1
; AccumOffset: 4
; Occupancy: 8
; WaveLimiterHint : 0
; COMPUTE_PGM_RSRC2:SCRATCH_EN: 0
; COMPUTE_PGM_RSRC2:USER_SGPR: 6
; COMPUTE_PGM_RSRC2:TRAP_HANDLER: 0
; COMPUTE_PGM_RSRC2:TGID_X_EN: 1
; COMPUTE_PGM_RSRC2:TGID_Y_EN: 0
; COMPUTE_PGM_RSRC2:TGID_Z_EN: 0
; COMPUTE_PGM_RSRC2:TIDIG_COMP_CNT: 0
; COMPUTE_PGM_RSRC3_GFX90A:ACCUM_OFFSET: 0
; COMPUTE_PGM_RSRC3_GFX90A:TG_SPLIT: 0
	.section	.text._ZN7rocprim17ROCPRIM_400000_NS6detail17trampoline_kernelINS0_14default_configENS1_38merge_sort_block_merge_config_selectorIcNS0_10empty_typeEEEZZNS1_27merge_sort_block_merge_implIS3_PcPS5_jNS1_19radix_merge_compareILb1ELb0EcNS0_19identity_decomposerEEEEE10hipError_tT0_T1_T2_jT3_P12ihipStream_tbPNSt15iterator_traitsISE_E10value_typeEPNSK_ISF_E10value_typeEPSG_NS1_7vsmem_tEENKUlT_SE_SF_SG_E_clIS8_S8_S9_S9_EESD_ST_SE_SF_SG_EUlST_E0_NS1_11comp_targetILNS1_3genE10ELNS1_11target_archE1201ELNS1_3gpuE5ELNS1_3repE0EEENS1_38merge_mergepath_config_static_selectorELNS0_4arch9wavefront6targetE1EEEvSF_,"axG",@progbits,_ZN7rocprim17ROCPRIM_400000_NS6detail17trampoline_kernelINS0_14default_configENS1_38merge_sort_block_merge_config_selectorIcNS0_10empty_typeEEEZZNS1_27merge_sort_block_merge_implIS3_PcPS5_jNS1_19radix_merge_compareILb1ELb0EcNS0_19identity_decomposerEEEEE10hipError_tT0_T1_T2_jT3_P12ihipStream_tbPNSt15iterator_traitsISE_E10value_typeEPNSK_ISF_E10value_typeEPSG_NS1_7vsmem_tEENKUlT_SE_SF_SG_E_clIS8_S8_S9_S9_EESD_ST_SE_SF_SG_EUlST_E0_NS1_11comp_targetILNS1_3genE10ELNS1_11target_archE1201ELNS1_3gpuE5ELNS1_3repE0EEENS1_38merge_mergepath_config_static_selectorELNS0_4arch9wavefront6targetE1EEEvSF_,comdat
	.protected	_ZN7rocprim17ROCPRIM_400000_NS6detail17trampoline_kernelINS0_14default_configENS1_38merge_sort_block_merge_config_selectorIcNS0_10empty_typeEEEZZNS1_27merge_sort_block_merge_implIS3_PcPS5_jNS1_19radix_merge_compareILb1ELb0EcNS0_19identity_decomposerEEEEE10hipError_tT0_T1_T2_jT3_P12ihipStream_tbPNSt15iterator_traitsISE_E10value_typeEPNSK_ISF_E10value_typeEPSG_NS1_7vsmem_tEENKUlT_SE_SF_SG_E_clIS8_S8_S9_S9_EESD_ST_SE_SF_SG_EUlST_E0_NS1_11comp_targetILNS1_3genE10ELNS1_11target_archE1201ELNS1_3gpuE5ELNS1_3repE0EEENS1_38merge_mergepath_config_static_selectorELNS0_4arch9wavefront6targetE1EEEvSF_ ; -- Begin function _ZN7rocprim17ROCPRIM_400000_NS6detail17trampoline_kernelINS0_14default_configENS1_38merge_sort_block_merge_config_selectorIcNS0_10empty_typeEEEZZNS1_27merge_sort_block_merge_implIS3_PcPS5_jNS1_19radix_merge_compareILb1ELb0EcNS0_19identity_decomposerEEEEE10hipError_tT0_T1_T2_jT3_P12ihipStream_tbPNSt15iterator_traitsISE_E10value_typeEPNSK_ISF_E10value_typeEPSG_NS1_7vsmem_tEENKUlT_SE_SF_SG_E_clIS8_S8_S9_S9_EESD_ST_SE_SF_SG_EUlST_E0_NS1_11comp_targetILNS1_3genE10ELNS1_11target_archE1201ELNS1_3gpuE5ELNS1_3repE0EEENS1_38merge_mergepath_config_static_selectorELNS0_4arch9wavefront6targetE1EEEvSF_
	.globl	_ZN7rocprim17ROCPRIM_400000_NS6detail17trampoline_kernelINS0_14default_configENS1_38merge_sort_block_merge_config_selectorIcNS0_10empty_typeEEEZZNS1_27merge_sort_block_merge_implIS3_PcPS5_jNS1_19radix_merge_compareILb1ELb0EcNS0_19identity_decomposerEEEEE10hipError_tT0_T1_T2_jT3_P12ihipStream_tbPNSt15iterator_traitsISE_E10value_typeEPNSK_ISF_E10value_typeEPSG_NS1_7vsmem_tEENKUlT_SE_SF_SG_E_clIS8_S8_S9_S9_EESD_ST_SE_SF_SG_EUlST_E0_NS1_11comp_targetILNS1_3genE10ELNS1_11target_archE1201ELNS1_3gpuE5ELNS1_3repE0EEENS1_38merge_mergepath_config_static_selectorELNS0_4arch9wavefront6targetE1EEEvSF_
	.p2align	8
	.type	_ZN7rocprim17ROCPRIM_400000_NS6detail17trampoline_kernelINS0_14default_configENS1_38merge_sort_block_merge_config_selectorIcNS0_10empty_typeEEEZZNS1_27merge_sort_block_merge_implIS3_PcPS5_jNS1_19radix_merge_compareILb1ELb0EcNS0_19identity_decomposerEEEEE10hipError_tT0_T1_T2_jT3_P12ihipStream_tbPNSt15iterator_traitsISE_E10value_typeEPNSK_ISF_E10value_typeEPSG_NS1_7vsmem_tEENKUlT_SE_SF_SG_E_clIS8_S8_S9_S9_EESD_ST_SE_SF_SG_EUlST_E0_NS1_11comp_targetILNS1_3genE10ELNS1_11target_archE1201ELNS1_3gpuE5ELNS1_3repE0EEENS1_38merge_mergepath_config_static_selectorELNS0_4arch9wavefront6targetE1EEEvSF_,@function
_ZN7rocprim17ROCPRIM_400000_NS6detail17trampoline_kernelINS0_14default_configENS1_38merge_sort_block_merge_config_selectorIcNS0_10empty_typeEEEZZNS1_27merge_sort_block_merge_implIS3_PcPS5_jNS1_19radix_merge_compareILb1ELb0EcNS0_19identity_decomposerEEEEE10hipError_tT0_T1_T2_jT3_P12ihipStream_tbPNSt15iterator_traitsISE_E10value_typeEPNSK_ISF_E10value_typeEPSG_NS1_7vsmem_tEENKUlT_SE_SF_SG_E_clIS8_S8_S9_S9_EESD_ST_SE_SF_SG_EUlST_E0_NS1_11comp_targetILNS1_3genE10ELNS1_11target_archE1201ELNS1_3gpuE5ELNS1_3repE0EEENS1_38merge_mergepath_config_static_selectorELNS0_4arch9wavefront6targetE1EEEvSF_: ; @_ZN7rocprim17ROCPRIM_400000_NS6detail17trampoline_kernelINS0_14default_configENS1_38merge_sort_block_merge_config_selectorIcNS0_10empty_typeEEEZZNS1_27merge_sort_block_merge_implIS3_PcPS5_jNS1_19radix_merge_compareILb1ELb0EcNS0_19identity_decomposerEEEEE10hipError_tT0_T1_T2_jT3_P12ihipStream_tbPNSt15iterator_traitsISE_E10value_typeEPNSK_ISF_E10value_typeEPSG_NS1_7vsmem_tEENKUlT_SE_SF_SG_E_clIS8_S8_S9_S9_EESD_ST_SE_SF_SG_EUlST_E0_NS1_11comp_targetILNS1_3genE10ELNS1_11target_archE1201ELNS1_3gpuE5ELNS1_3repE0EEENS1_38merge_mergepath_config_static_selectorELNS0_4arch9wavefront6targetE1EEEvSF_
; %bb.0:
	.section	.rodata,"a",@progbits
	.p2align	6, 0x0
	.amdhsa_kernel _ZN7rocprim17ROCPRIM_400000_NS6detail17trampoline_kernelINS0_14default_configENS1_38merge_sort_block_merge_config_selectorIcNS0_10empty_typeEEEZZNS1_27merge_sort_block_merge_implIS3_PcPS5_jNS1_19radix_merge_compareILb1ELb0EcNS0_19identity_decomposerEEEEE10hipError_tT0_T1_T2_jT3_P12ihipStream_tbPNSt15iterator_traitsISE_E10value_typeEPNSK_ISF_E10value_typeEPSG_NS1_7vsmem_tEENKUlT_SE_SF_SG_E_clIS8_S8_S9_S9_EESD_ST_SE_SF_SG_EUlST_E0_NS1_11comp_targetILNS1_3genE10ELNS1_11target_archE1201ELNS1_3gpuE5ELNS1_3repE0EEENS1_38merge_mergepath_config_static_selectorELNS0_4arch9wavefront6targetE1EEEvSF_
		.amdhsa_group_segment_fixed_size 0
		.amdhsa_private_segment_fixed_size 0
		.amdhsa_kernarg_size 64
		.amdhsa_user_sgpr_count 6
		.amdhsa_user_sgpr_private_segment_buffer 1
		.amdhsa_user_sgpr_dispatch_ptr 0
		.amdhsa_user_sgpr_queue_ptr 0
		.amdhsa_user_sgpr_kernarg_segment_ptr 1
		.amdhsa_user_sgpr_dispatch_id 0
		.amdhsa_user_sgpr_flat_scratch_init 0
		.amdhsa_user_sgpr_kernarg_preload_length 0
		.amdhsa_user_sgpr_kernarg_preload_offset 0
		.amdhsa_user_sgpr_private_segment_size 0
		.amdhsa_uses_dynamic_stack 0
		.amdhsa_system_sgpr_private_segment_wavefront_offset 0
		.amdhsa_system_sgpr_workgroup_id_x 1
		.amdhsa_system_sgpr_workgroup_id_y 0
		.amdhsa_system_sgpr_workgroup_id_z 0
		.amdhsa_system_sgpr_workgroup_info 0
		.amdhsa_system_vgpr_workitem_id 0
		.amdhsa_next_free_vgpr 1
		.amdhsa_next_free_sgpr 0
		.amdhsa_accum_offset 4
		.amdhsa_reserve_vcc 0
		.amdhsa_reserve_flat_scratch 0
		.amdhsa_float_round_mode_32 0
		.amdhsa_float_round_mode_16_64 0
		.amdhsa_float_denorm_mode_32 3
		.amdhsa_float_denorm_mode_16_64 3
		.amdhsa_dx10_clamp 1
		.amdhsa_ieee_mode 1
		.amdhsa_fp16_overflow 0
		.amdhsa_tg_split 0
		.amdhsa_exception_fp_ieee_invalid_op 0
		.amdhsa_exception_fp_denorm_src 0
		.amdhsa_exception_fp_ieee_div_zero 0
		.amdhsa_exception_fp_ieee_overflow 0
		.amdhsa_exception_fp_ieee_underflow 0
		.amdhsa_exception_fp_ieee_inexact 0
		.amdhsa_exception_int_div_zero 0
	.end_amdhsa_kernel
	.section	.text._ZN7rocprim17ROCPRIM_400000_NS6detail17trampoline_kernelINS0_14default_configENS1_38merge_sort_block_merge_config_selectorIcNS0_10empty_typeEEEZZNS1_27merge_sort_block_merge_implIS3_PcPS5_jNS1_19radix_merge_compareILb1ELb0EcNS0_19identity_decomposerEEEEE10hipError_tT0_T1_T2_jT3_P12ihipStream_tbPNSt15iterator_traitsISE_E10value_typeEPNSK_ISF_E10value_typeEPSG_NS1_7vsmem_tEENKUlT_SE_SF_SG_E_clIS8_S8_S9_S9_EESD_ST_SE_SF_SG_EUlST_E0_NS1_11comp_targetILNS1_3genE10ELNS1_11target_archE1201ELNS1_3gpuE5ELNS1_3repE0EEENS1_38merge_mergepath_config_static_selectorELNS0_4arch9wavefront6targetE1EEEvSF_,"axG",@progbits,_ZN7rocprim17ROCPRIM_400000_NS6detail17trampoline_kernelINS0_14default_configENS1_38merge_sort_block_merge_config_selectorIcNS0_10empty_typeEEEZZNS1_27merge_sort_block_merge_implIS3_PcPS5_jNS1_19radix_merge_compareILb1ELb0EcNS0_19identity_decomposerEEEEE10hipError_tT0_T1_T2_jT3_P12ihipStream_tbPNSt15iterator_traitsISE_E10value_typeEPNSK_ISF_E10value_typeEPSG_NS1_7vsmem_tEENKUlT_SE_SF_SG_E_clIS8_S8_S9_S9_EESD_ST_SE_SF_SG_EUlST_E0_NS1_11comp_targetILNS1_3genE10ELNS1_11target_archE1201ELNS1_3gpuE5ELNS1_3repE0EEENS1_38merge_mergepath_config_static_selectorELNS0_4arch9wavefront6targetE1EEEvSF_,comdat
.Lfunc_end1490:
	.size	_ZN7rocprim17ROCPRIM_400000_NS6detail17trampoline_kernelINS0_14default_configENS1_38merge_sort_block_merge_config_selectorIcNS0_10empty_typeEEEZZNS1_27merge_sort_block_merge_implIS3_PcPS5_jNS1_19radix_merge_compareILb1ELb0EcNS0_19identity_decomposerEEEEE10hipError_tT0_T1_T2_jT3_P12ihipStream_tbPNSt15iterator_traitsISE_E10value_typeEPNSK_ISF_E10value_typeEPSG_NS1_7vsmem_tEENKUlT_SE_SF_SG_E_clIS8_S8_S9_S9_EESD_ST_SE_SF_SG_EUlST_E0_NS1_11comp_targetILNS1_3genE10ELNS1_11target_archE1201ELNS1_3gpuE5ELNS1_3repE0EEENS1_38merge_mergepath_config_static_selectorELNS0_4arch9wavefront6targetE1EEEvSF_, .Lfunc_end1490-_ZN7rocprim17ROCPRIM_400000_NS6detail17trampoline_kernelINS0_14default_configENS1_38merge_sort_block_merge_config_selectorIcNS0_10empty_typeEEEZZNS1_27merge_sort_block_merge_implIS3_PcPS5_jNS1_19radix_merge_compareILb1ELb0EcNS0_19identity_decomposerEEEEE10hipError_tT0_T1_T2_jT3_P12ihipStream_tbPNSt15iterator_traitsISE_E10value_typeEPNSK_ISF_E10value_typeEPSG_NS1_7vsmem_tEENKUlT_SE_SF_SG_E_clIS8_S8_S9_S9_EESD_ST_SE_SF_SG_EUlST_E0_NS1_11comp_targetILNS1_3genE10ELNS1_11target_archE1201ELNS1_3gpuE5ELNS1_3repE0EEENS1_38merge_mergepath_config_static_selectorELNS0_4arch9wavefront6targetE1EEEvSF_
                                        ; -- End function
	.section	.AMDGPU.csdata,"",@progbits
; Kernel info:
; codeLenInByte = 0
; NumSgprs: 4
; NumVgprs: 0
; NumAgprs: 0
; TotalNumVgprs: 0
; ScratchSize: 0
; MemoryBound: 0
; FloatMode: 240
; IeeeMode: 1
; LDSByteSize: 0 bytes/workgroup (compile time only)
; SGPRBlocks: 0
; VGPRBlocks: 0
; NumSGPRsForWavesPerEU: 4
; NumVGPRsForWavesPerEU: 1
; AccumOffset: 4
; Occupancy: 8
; WaveLimiterHint : 0
; COMPUTE_PGM_RSRC2:SCRATCH_EN: 0
; COMPUTE_PGM_RSRC2:USER_SGPR: 6
; COMPUTE_PGM_RSRC2:TRAP_HANDLER: 0
; COMPUTE_PGM_RSRC2:TGID_X_EN: 1
; COMPUTE_PGM_RSRC2:TGID_Y_EN: 0
; COMPUTE_PGM_RSRC2:TGID_Z_EN: 0
; COMPUTE_PGM_RSRC2:TIDIG_COMP_CNT: 0
; COMPUTE_PGM_RSRC3_GFX90A:ACCUM_OFFSET: 0
; COMPUTE_PGM_RSRC3_GFX90A:TG_SPLIT: 0
	.section	.text._ZN7rocprim17ROCPRIM_400000_NS6detail17trampoline_kernelINS0_14default_configENS1_38merge_sort_block_merge_config_selectorIcNS0_10empty_typeEEEZZNS1_27merge_sort_block_merge_implIS3_PcPS5_jNS1_19radix_merge_compareILb1ELb0EcNS0_19identity_decomposerEEEEE10hipError_tT0_T1_T2_jT3_P12ihipStream_tbPNSt15iterator_traitsISE_E10value_typeEPNSK_ISF_E10value_typeEPSG_NS1_7vsmem_tEENKUlT_SE_SF_SG_E_clIS8_S8_S9_S9_EESD_ST_SE_SF_SG_EUlST_E0_NS1_11comp_targetILNS1_3genE5ELNS1_11target_archE942ELNS1_3gpuE9ELNS1_3repE0EEENS1_38merge_mergepath_config_static_selectorELNS0_4arch9wavefront6targetE1EEEvSF_,"axG",@progbits,_ZN7rocprim17ROCPRIM_400000_NS6detail17trampoline_kernelINS0_14default_configENS1_38merge_sort_block_merge_config_selectorIcNS0_10empty_typeEEEZZNS1_27merge_sort_block_merge_implIS3_PcPS5_jNS1_19radix_merge_compareILb1ELb0EcNS0_19identity_decomposerEEEEE10hipError_tT0_T1_T2_jT3_P12ihipStream_tbPNSt15iterator_traitsISE_E10value_typeEPNSK_ISF_E10value_typeEPSG_NS1_7vsmem_tEENKUlT_SE_SF_SG_E_clIS8_S8_S9_S9_EESD_ST_SE_SF_SG_EUlST_E0_NS1_11comp_targetILNS1_3genE5ELNS1_11target_archE942ELNS1_3gpuE9ELNS1_3repE0EEENS1_38merge_mergepath_config_static_selectorELNS0_4arch9wavefront6targetE1EEEvSF_,comdat
	.protected	_ZN7rocprim17ROCPRIM_400000_NS6detail17trampoline_kernelINS0_14default_configENS1_38merge_sort_block_merge_config_selectorIcNS0_10empty_typeEEEZZNS1_27merge_sort_block_merge_implIS3_PcPS5_jNS1_19radix_merge_compareILb1ELb0EcNS0_19identity_decomposerEEEEE10hipError_tT0_T1_T2_jT3_P12ihipStream_tbPNSt15iterator_traitsISE_E10value_typeEPNSK_ISF_E10value_typeEPSG_NS1_7vsmem_tEENKUlT_SE_SF_SG_E_clIS8_S8_S9_S9_EESD_ST_SE_SF_SG_EUlST_E0_NS1_11comp_targetILNS1_3genE5ELNS1_11target_archE942ELNS1_3gpuE9ELNS1_3repE0EEENS1_38merge_mergepath_config_static_selectorELNS0_4arch9wavefront6targetE1EEEvSF_ ; -- Begin function _ZN7rocprim17ROCPRIM_400000_NS6detail17trampoline_kernelINS0_14default_configENS1_38merge_sort_block_merge_config_selectorIcNS0_10empty_typeEEEZZNS1_27merge_sort_block_merge_implIS3_PcPS5_jNS1_19radix_merge_compareILb1ELb0EcNS0_19identity_decomposerEEEEE10hipError_tT0_T1_T2_jT3_P12ihipStream_tbPNSt15iterator_traitsISE_E10value_typeEPNSK_ISF_E10value_typeEPSG_NS1_7vsmem_tEENKUlT_SE_SF_SG_E_clIS8_S8_S9_S9_EESD_ST_SE_SF_SG_EUlST_E0_NS1_11comp_targetILNS1_3genE5ELNS1_11target_archE942ELNS1_3gpuE9ELNS1_3repE0EEENS1_38merge_mergepath_config_static_selectorELNS0_4arch9wavefront6targetE1EEEvSF_
	.globl	_ZN7rocprim17ROCPRIM_400000_NS6detail17trampoline_kernelINS0_14default_configENS1_38merge_sort_block_merge_config_selectorIcNS0_10empty_typeEEEZZNS1_27merge_sort_block_merge_implIS3_PcPS5_jNS1_19radix_merge_compareILb1ELb0EcNS0_19identity_decomposerEEEEE10hipError_tT0_T1_T2_jT3_P12ihipStream_tbPNSt15iterator_traitsISE_E10value_typeEPNSK_ISF_E10value_typeEPSG_NS1_7vsmem_tEENKUlT_SE_SF_SG_E_clIS8_S8_S9_S9_EESD_ST_SE_SF_SG_EUlST_E0_NS1_11comp_targetILNS1_3genE5ELNS1_11target_archE942ELNS1_3gpuE9ELNS1_3repE0EEENS1_38merge_mergepath_config_static_selectorELNS0_4arch9wavefront6targetE1EEEvSF_
	.p2align	8
	.type	_ZN7rocprim17ROCPRIM_400000_NS6detail17trampoline_kernelINS0_14default_configENS1_38merge_sort_block_merge_config_selectorIcNS0_10empty_typeEEEZZNS1_27merge_sort_block_merge_implIS3_PcPS5_jNS1_19radix_merge_compareILb1ELb0EcNS0_19identity_decomposerEEEEE10hipError_tT0_T1_T2_jT3_P12ihipStream_tbPNSt15iterator_traitsISE_E10value_typeEPNSK_ISF_E10value_typeEPSG_NS1_7vsmem_tEENKUlT_SE_SF_SG_E_clIS8_S8_S9_S9_EESD_ST_SE_SF_SG_EUlST_E0_NS1_11comp_targetILNS1_3genE5ELNS1_11target_archE942ELNS1_3gpuE9ELNS1_3repE0EEENS1_38merge_mergepath_config_static_selectorELNS0_4arch9wavefront6targetE1EEEvSF_,@function
_ZN7rocprim17ROCPRIM_400000_NS6detail17trampoline_kernelINS0_14default_configENS1_38merge_sort_block_merge_config_selectorIcNS0_10empty_typeEEEZZNS1_27merge_sort_block_merge_implIS3_PcPS5_jNS1_19radix_merge_compareILb1ELb0EcNS0_19identity_decomposerEEEEE10hipError_tT0_T1_T2_jT3_P12ihipStream_tbPNSt15iterator_traitsISE_E10value_typeEPNSK_ISF_E10value_typeEPSG_NS1_7vsmem_tEENKUlT_SE_SF_SG_E_clIS8_S8_S9_S9_EESD_ST_SE_SF_SG_EUlST_E0_NS1_11comp_targetILNS1_3genE5ELNS1_11target_archE942ELNS1_3gpuE9ELNS1_3repE0EEENS1_38merge_mergepath_config_static_selectorELNS0_4arch9wavefront6targetE1EEEvSF_: ; @_ZN7rocprim17ROCPRIM_400000_NS6detail17trampoline_kernelINS0_14default_configENS1_38merge_sort_block_merge_config_selectorIcNS0_10empty_typeEEEZZNS1_27merge_sort_block_merge_implIS3_PcPS5_jNS1_19radix_merge_compareILb1ELb0EcNS0_19identity_decomposerEEEEE10hipError_tT0_T1_T2_jT3_P12ihipStream_tbPNSt15iterator_traitsISE_E10value_typeEPNSK_ISF_E10value_typeEPSG_NS1_7vsmem_tEENKUlT_SE_SF_SG_E_clIS8_S8_S9_S9_EESD_ST_SE_SF_SG_EUlST_E0_NS1_11comp_targetILNS1_3genE5ELNS1_11target_archE942ELNS1_3gpuE9ELNS1_3repE0EEENS1_38merge_mergepath_config_static_selectorELNS0_4arch9wavefront6targetE1EEEvSF_
; %bb.0:
	.section	.rodata,"a",@progbits
	.p2align	6, 0x0
	.amdhsa_kernel _ZN7rocprim17ROCPRIM_400000_NS6detail17trampoline_kernelINS0_14default_configENS1_38merge_sort_block_merge_config_selectorIcNS0_10empty_typeEEEZZNS1_27merge_sort_block_merge_implIS3_PcPS5_jNS1_19radix_merge_compareILb1ELb0EcNS0_19identity_decomposerEEEEE10hipError_tT0_T1_T2_jT3_P12ihipStream_tbPNSt15iterator_traitsISE_E10value_typeEPNSK_ISF_E10value_typeEPSG_NS1_7vsmem_tEENKUlT_SE_SF_SG_E_clIS8_S8_S9_S9_EESD_ST_SE_SF_SG_EUlST_E0_NS1_11comp_targetILNS1_3genE5ELNS1_11target_archE942ELNS1_3gpuE9ELNS1_3repE0EEENS1_38merge_mergepath_config_static_selectorELNS0_4arch9wavefront6targetE1EEEvSF_
		.amdhsa_group_segment_fixed_size 0
		.amdhsa_private_segment_fixed_size 0
		.amdhsa_kernarg_size 64
		.amdhsa_user_sgpr_count 6
		.amdhsa_user_sgpr_private_segment_buffer 1
		.amdhsa_user_sgpr_dispatch_ptr 0
		.amdhsa_user_sgpr_queue_ptr 0
		.amdhsa_user_sgpr_kernarg_segment_ptr 1
		.amdhsa_user_sgpr_dispatch_id 0
		.amdhsa_user_sgpr_flat_scratch_init 0
		.amdhsa_user_sgpr_kernarg_preload_length 0
		.amdhsa_user_sgpr_kernarg_preload_offset 0
		.amdhsa_user_sgpr_private_segment_size 0
		.amdhsa_uses_dynamic_stack 0
		.amdhsa_system_sgpr_private_segment_wavefront_offset 0
		.amdhsa_system_sgpr_workgroup_id_x 1
		.amdhsa_system_sgpr_workgroup_id_y 0
		.amdhsa_system_sgpr_workgroup_id_z 0
		.amdhsa_system_sgpr_workgroup_info 0
		.amdhsa_system_vgpr_workitem_id 0
		.amdhsa_next_free_vgpr 1
		.amdhsa_next_free_sgpr 0
		.amdhsa_accum_offset 4
		.amdhsa_reserve_vcc 0
		.amdhsa_reserve_flat_scratch 0
		.amdhsa_float_round_mode_32 0
		.amdhsa_float_round_mode_16_64 0
		.amdhsa_float_denorm_mode_32 3
		.amdhsa_float_denorm_mode_16_64 3
		.amdhsa_dx10_clamp 1
		.amdhsa_ieee_mode 1
		.amdhsa_fp16_overflow 0
		.amdhsa_tg_split 0
		.amdhsa_exception_fp_ieee_invalid_op 0
		.amdhsa_exception_fp_denorm_src 0
		.amdhsa_exception_fp_ieee_div_zero 0
		.amdhsa_exception_fp_ieee_overflow 0
		.amdhsa_exception_fp_ieee_underflow 0
		.amdhsa_exception_fp_ieee_inexact 0
		.amdhsa_exception_int_div_zero 0
	.end_amdhsa_kernel
	.section	.text._ZN7rocprim17ROCPRIM_400000_NS6detail17trampoline_kernelINS0_14default_configENS1_38merge_sort_block_merge_config_selectorIcNS0_10empty_typeEEEZZNS1_27merge_sort_block_merge_implIS3_PcPS5_jNS1_19radix_merge_compareILb1ELb0EcNS0_19identity_decomposerEEEEE10hipError_tT0_T1_T2_jT3_P12ihipStream_tbPNSt15iterator_traitsISE_E10value_typeEPNSK_ISF_E10value_typeEPSG_NS1_7vsmem_tEENKUlT_SE_SF_SG_E_clIS8_S8_S9_S9_EESD_ST_SE_SF_SG_EUlST_E0_NS1_11comp_targetILNS1_3genE5ELNS1_11target_archE942ELNS1_3gpuE9ELNS1_3repE0EEENS1_38merge_mergepath_config_static_selectorELNS0_4arch9wavefront6targetE1EEEvSF_,"axG",@progbits,_ZN7rocprim17ROCPRIM_400000_NS6detail17trampoline_kernelINS0_14default_configENS1_38merge_sort_block_merge_config_selectorIcNS0_10empty_typeEEEZZNS1_27merge_sort_block_merge_implIS3_PcPS5_jNS1_19radix_merge_compareILb1ELb0EcNS0_19identity_decomposerEEEEE10hipError_tT0_T1_T2_jT3_P12ihipStream_tbPNSt15iterator_traitsISE_E10value_typeEPNSK_ISF_E10value_typeEPSG_NS1_7vsmem_tEENKUlT_SE_SF_SG_E_clIS8_S8_S9_S9_EESD_ST_SE_SF_SG_EUlST_E0_NS1_11comp_targetILNS1_3genE5ELNS1_11target_archE942ELNS1_3gpuE9ELNS1_3repE0EEENS1_38merge_mergepath_config_static_selectorELNS0_4arch9wavefront6targetE1EEEvSF_,comdat
.Lfunc_end1491:
	.size	_ZN7rocprim17ROCPRIM_400000_NS6detail17trampoline_kernelINS0_14default_configENS1_38merge_sort_block_merge_config_selectorIcNS0_10empty_typeEEEZZNS1_27merge_sort_block_merge_implIS3_PcPS5_jNS1_19radix_merge_compareILb1ELb0EcNS0_19identity_decomposerEEEEE10hipError_tT0_T1_T2_jT3_P12ihipStream_tbPNSt15iterator_traitsISE_E10value_typeEPNSK_ISF_E10value_typeEPSG_NS1_7vsmem_tEENKUlT_SE_SF_SG_E_clIS8_S8_S9_S9_EESD_ST_SE_SF_SG_EUlST_E0_NS1_11comp_targetILNS1_3genE5ELNS1_11target_archE942ELNS1_3gpuE9ELNS1_3repE0EEENS1_38merge_mergepath_config_static_selectorELNS0_4arch9wavefront6targetE1EEEvSF_, .Lfunc_end1491-_ZN7rocprim17ROCPRIM_400000_NS6detail17trampoline_kernelINS0_14default_configENS1_38merge_sort_block_merge_config_selectorIcNS0_10empty_typeEEEZZNS1_27merge_sort_block_merge_implIS3_PcPS5_jNS1_19radix_merge_compareILb1ELb0EcNS0_19identity_decomposerEEEEE10hipError_tT0_T1_T2_jT3_P12ihipStream_tbPNSt15iterator_traitsISE_E10value_typeEPNSK_ISF_E10value_typeEPSG_NS1_7vsmem_tEENKUlT_SE_SF_SG_E_clIS8_S8_S9_S9_EESD_ST_SE_SF_SG_EUlST_E0_NS1_11comp_targetILNS1_3genE5ELNS1_11target_archE942ELNS1_3gpuE9ELNS1_3repE0EEENS1_38merge_mergepath_config_static_selectorELNS0_4arch9wavefront6targetE1EEEvSF_
                                        ; -- End function
	.section	.AMDGPU.csdata,"",@progbits
; Kernel info:
; codeLenInByte = 0
; NumSgprs: 4
; NumVgprs: 0
; NumAgprs: 0
; TotalNumVgprs: 0
; ScratchSize: 0
; MemoryBound: 0
; FloatMode: 240
; IeeeMode: 1
; LDSByteSize: 0 bytes/workgroup (compile time only)
; SGPRBlocks: 0
; VGPRBlocks: 0
; NumSGPRsForWavesPerEU: 4
; NumVGPRsForWavesPerEU: 1
; AccumOffset: 4
; Occupancy: 8
; WaveLimiterHint : 0
; COMPUTE_PGM_RSRC2:SCRATCH_EN: 0
; COMPUTE_PGM_RSRC2:USER_SGPR: 6
; COMPUTE_PGM_RSRC2:TRAP_HANDLER: 0
; COMPUTE_PGM_RSRC2:TGID_X_EN: 1
; COMPUTE_PGM_RSRC2:TGID_Y_EN: 0
; COMPUTE_PGM_RSRC2:TGID_Z_EN: 0
; COMPUTE_PGM_RSRC2:TIDIG_COMP_CNT: 0
; COMPUTE_PGM_RSRC3_GFX90A:ACCUM_OFFSET: 0
; COMPUTE_PGM_RSRC3_GFX90A:TG_SPLIT: 0
	.section	.text._ZN7rocprim17ROCPRIM_400000_NS6detail17trampoline_kernelINS0_14default_configENS1_38merge_sort_block_merge_config_selectorIcNS0_10empty_typeEEEZZNS1_27merge_sort_block_merge_implIS3_PcPS5_jNS1_19radix_merge_compareILb1ELb0EcNS0_19identity_decomposerEEEEE10hipError_tT0_T1_T2_jT3_P12ihipStream_tbPNSt15iterator_traitsISE_E10value_typeEPNSK_ISF_E10value_typeEPSG_NS1_7vsmem_tEENKUlT_SE_SF_SG_E_clIS8_S8_S9_S9_EESD_ST_SE_SF_SG_EUlST_E0_NS1_11comp_targetILNS1_3genE4ELNS1_11target_archE910ELNS1_3gpuE8ELNS1_3repE0EEENS1_38merge_mergepath_config_static_selectorELNS0_4arch9wavefront6targetE1EEEvSF_,"axG",@progbits,_ZN7rocprim17ROCPRIM_400000_NS6detail17trampoline_kernelINS0_14default_configENS1_38merge_sort_block_merge_config_selectorIcNS0_10empty_typeEEEZZNS1_27merge_sort_block_merge_implIS3_PcPS5_jNS1_19radix_merge_compareILb1ELb0EcNS0_19identity_decomposerEEEEE10hipError_tT0_T1_T2_jT3_P12ihipStream_tbPNSt15iterator_traitsISE_E10value_typeEPNSK_ISF_E10value_typeEPSG_NS1_7vsmem_tEENKUlT_SE_SF_SG_E_clIS8_S8_S9_S9_EESD_ST_SE_SF_SG_EUlST_E0_NS1_11comp_targetILNS1_3genE4ELNS1_11target_archE910ELNS1_3gpuE8ELNS1_3repE0EEENS1_38merge_mergepath_config_static_selectorELNS0_4arch9wavefront6targetE1EEEvSF_,comdat
	.protected	_ZN7rocprim17ROCPRIM_400000_NS6detail17trampoline_kernelINS0_14default_configENS1_38merge_sort_block_merge_config_selectorIcNS0_10empty_typeEEEZZNS1_27merge_sort_block_merge_implIS3_PcPS5_jNS1_19radix_merge_compareILb1ELb0EcNS0_19identity_decomposerEEEEE10hipError_tT0_T1_T2_jT3_P12ihipStream_tbPNSt15iterator_traitsISE_E10value_typeEPNSK_ISF_E10value_typeEPSG_NS1_7vsmem_tEENKUlT_SE_SF_SG_E_clIS8_S8_S9_S9_EESD_ST_SE_SF_SG_EUlST_E0_NS1_11comp_targetILNS1_3genE4ELNS1_11target_archE910ELNS1_3gpuE8ELNS1_3repE0EEENS1_38merge_mergepath_config_static_selectorELNS0_4arch9wavefront6targetE1EEEvSF_ ; -- Begin function _ZN7rocprim17ROCPRIM_400000_NS6detail17trampoline_kernelINS0_14default_configENS1_38merge_sort_block_merge_config_selectorIcNS0_10empty_typeEEEZZNS1_27merge_sort_block_merge_implIS3_PcPS5_jNS1_19radix_merge_compareILb1ELb0EcNS0_19identity_decomposerEEEEE10hipError_tT0_T1_T2_jT3_P12ihipStream_tbPNSt15iterator_traitsISE_E10value_typeEPNSK_ISF_E10value_typeEPSG_NS1_7vsmem_tEENKUlT_SE_SF_SG_E_clIS8_S8_S9_S9_EESD_ST_SE_SF_SG_EUlST_E0_NS1_11comp_targetILNS1_3genE4ELNS1_11target_archE910ELNS1_3gpuE8ELNS1_3repE0EEENS1_38merge_mergepath_config_static_selectorELNS0_4arch9wavefront6targetE1EEEvSF_
	.globl	_ZN7rocprim17ROCPRIM_400000_NS6detail17trampoline_kernelINS0_14default_configENS1_38merge_sort_block_merge_config_selectorIcNS0_10empty_typeEEEZZNS1_27merge_sort_block_merge_implIS3_PcPS5_jNS1_19radix_merge_compareILb1ELb0EcNS0_19identity_decomposerEEEEE10hipError_tT0_T1_T2_jT3_P12ihipStream_tbPNSt15iterator_traitsISE_E10value_typeEPNSK_ISF_E10value_typeEPSG_NS1_7vsmem_tEENKUlT_SE_SF_SG_E_clIS8_S8_S9_S9_EESD_ST_SE_SF_SG_EUlST_E0_NS1_11comp_targetILNS1_3genE4ELNS1_11target_archE910ELNS1_3gpuE8ELNS1_3repE0EEENS1_38merge_mergepath_config_static_selectorELNS0_4arch9wavefront6targetE1EEEvSF_
	.p2align	8
	.type	_ZN7rocprim17ROCPRIM_400000_NS6detail17trampoline_kernelINS0_14default_configENS1_38merge_sort_block_merge_config_selectorIcNS0_10empty_typeEEEZZNS1_27merge_sort_block_merge_implIS3_PcPS5_jNS1_19radix_merge_compareILb1ELb0EcNS0_19identity_decomposerEEEEE10hipError_tT0_T1_T2_jT3_P12ihipStream_tbPNSt15iterator_traitsISE_E10value_typeEPNSK_ISF_E10value_typeEPSG_NS1_7vsmem_tEENKUlT_SE_SF_SG_E_clIS8_S8_S9_S9_EESD_ST_SE_SF_SG_EUlST_E0_NS1_11comp_targetILNS1_3genE4ELNS1_11target_archE910ELNS1_3gpuE8ELNS1_3repE0EEENS1_38merge_mergepath_config_static_selectorELNS0_4arch9wavefront6targetE1EEEvSF_,@function
_ZN7rocprim17ROCPRIM_400000_NS6detail17trampoline_kernelINS0_14default_configENS1_38merge_sort_block_merge_config_selectorIcNS0_10empty_typeEEEZZNS1_27merge_sort_block_merge_implIS3_PcPS5_jNS1_19radix_merge_compareILb1ELb0EcNS0_19identity_decomposerEEEEE10hipError_tT0_T1_T2_jT3_P12ihipStream_tbPNSt15iterator_traitsISE_E10value_typeEPNSK_ISF_E10value_typeEPSG_NS1_7vsmem_tEENKUlT_SE_SF_SG_E_clIS8_S8_S9_S9_EESD_ST_SE_SF_SG_EUlST_E0_NS1_11comp_targetILNS1_3genE4ELNS1_11target_archE910ELNS1_3gpuE8ELNS1_3repE0EEENS1_38merge_mergepath_config_static_selectorELNS0_4arch9wavefront6targetE1EEEvSF_: ; @_ZN7rocprim17ROCPRIM_400000_NS6detail17trampoline_kernelINS0_14default_configENS1_38merge_sort_block_merge_config_selectorIcNS0_10empty_typeEEEZZNS1_27merge_sort_block_merge_implIS3_PcPS5_jNS1_19radix_merge_compareILb1ELb0EcNS0_19identity_decomposerEEEEE10hipError_tT0_T1_T2_jT3_P12ihipStream_tbPNSt15iterator_traitsISE_E10value_typeEPNSK_ISF_E10value_typeEPSG_NS1_7vsmem_tEENKUlT_SE_SF_SG_E_clIS8_S8_S9_S9_EESD_ST_SE_SF_SG_EUlST_E0_NS1_11comp_targetILNS1_3genE4ELNS1_11target_archE910ELNS1_3gpuE8ELNS1_3repE0EEENS1_38merge_mergepath_config_static_selectorELNS0_4arch9wavefront6targetE1EEEvSF_
; %bb.0:
	s_load_dwordx2 s[10:11], s[4:5], 0x40
	s_load_dword s1, s[4:5], 0x30
	s_add_u32 s2, s4, 64
	s_addc_u32 s3, s5, 0
	s_waitcnt lgkmcnt(0)
	s_mul_i32 s0, s11, s8
	s_add_i32 s0, s0, s7
	s_mul_i32 s0, s0, s10
	s_add_i32 s0, s0, s6
	s_cmp_ge_u32 s0, s1
	s_cbranch_scc1 .LBB1492_51
; %bb.1:
	s_load_dwordx2 s[12:13], s[4:5], 0x28
	s_load_dwordx2 s[8:9], s[4:5], 0x38
	;; [unrolled: 1-line block ×3, first 2 shown]
	s_mov_b32 s1, 0
	v_mov_b32_e32 v1, 0
	s_waitcnt lgkmcnt(0)
	s_lshr_b32 s21, s12, 10
	s_cmp_lg_u32 s0, s21
	s_cselect_b64 s[14:15], -1, 0
	s_lshl_b64 s[18:19], s[0:1], 2
	s_add_u32 s8, s8, s18
	s_addc_u32 s9, s9, s19
	s_lshr_b32 s1, s13, 9
	s_and_b32 s1, s1, 0x7ffffe
	s_load_dwordx2 s[8:9], s[8:9], 0x0
	s_sub_i32 s1, 0, s1
	s_and_b32 s7, s0, s1
	s_lshl_b32 s11, s7, 10
	s_lshl_b32 s20, s0, 10
	s_lshl_b32 s7, s7, 11
	s_sub_i32 s18, s20, s11
	s_add_i32 s7, s7, s13
	s_add_i32 s18, s7, s18
	s_waitcnt lgkmcnt(0)
	s_sub_i32 s19, s18, s8
	s_sub_i32 s18, s18, s9
	;; [unrolled: 1-line block ×3, first 2 shown]
	s_min_u32 s19, s12, s19
	s_addk_i32 s18, 0x400
	s_or_b32 s1, s0, s1
	s_min_u32 s11, s12, s7
	s_add_i32 s7, s7, s13
	s_cmp_eq_u32 s1, -1
	s_cselect_b32 s1, s7, s18
	s_cselect_b32 s7, s11, s9
	s_min_u32 s1, s1, s12
	s_sub_i32 s13, s7, s8
	s_sub_i32 s7, s1, s19
	s_add_u32 s11, s16, s8
	s_addc_u32 s18, s17, 0
	s_add_u32 s8, s16, s19
	s_addc_u32 s9, s17, 0
	s_cmp_lt_u32 s6, s10
	s_cselect_b32 s1, 12, 18
	global_load_dword v2, v1, s[2:3] offset:14
	s_add_u32 s2, s2, s1
	s_addc_u32 s3, s3, 0
	global_load_ushort v1, v1, s[2:3]
	s_cmp_eq_u32 s0, s21
	s_waitcnt vmcnt(1)
	v_lshrrev_b32_e32 v3, 16, v2
	v_and_b32_e32 v2, 0xffff, v2
	v_mul_lo_u32 v2, v2, v3
	s_waitcnt vmcnt(0)
	v_mul_lo_u32 v4, v2, v1
	v_add_u32_e32 v10, v4, v0
	v_add_u32_e32 v8, v10, v4
	s_cbranch_scc1 .LBB1492_3
; %bb.2:
	v_mov_b32_e32 v1, s18
	v_add_co_u32_e32 v2, vcc, s11, v0
	v_addc_co_u32_e32 v1, vcc, 0, v1, vcc
	v_subrev_u32_e32 v3, s13, v0
	v_mov_b32_e32 v5, s9
	v_add_co_u32_e32 v3, vcc, s8, v3
	v_addc_co_u32_e32 v5, vcc, 0, v5, vcc
	v_cmp_gt_u32_e32 vcc, s13, v0
	v_cndmask_b32_e32 v13, v5, v1, vcc
	v_cndmask_b32_e32 v12, v3, v2, vcc
	v_mov_b32_e32 v1, s18
	v_add_co_u32_e32 v2, vcc, s11, v10
	v_addc_co_u32_e32 v1, vcc, 0, v1, vcc
	v_subrev_u32_e32 v3, s13, v10
	v_mov_b32_e32 v5, s9
	v_add_co_u32_e32 v3, vcc, s8, v3
	v_addc_co_u32_e32 v5, vcc, 0, v5, vcc
	v_cmp_gt_u32_e32 vcc, s13, v10
	v_cndmask_b32_e32 v15, v5, v1, vcc
	v_cndmask_b32_e32 v14, v3, v2, vcc
	v_mov_b32_e32 v1, s18
	v_add_co_u32_e32 v2, vcc, s11, v8
	v_addc_co_u32_e32 v1, vcc, 0, v1, vcc
	v_subrev_u32_e32 v3, s13, v8
	v_mov_b32_e32 v5, s9
	v_add_co_u32_e32 v3, vcc, s8, v3
	v_addc_co_u32_e32 v5, vcc, 0, v5, vcc
	v_cmp_gt_u32_e32 vcc, s13, v8
	v_cndmask_b32_e32 v17, v5, v1, vcc
	v_add_u32_e32 v1, v8, v4
	v_cndmask_b32_e32 v16, v3, v2, vcc
	v_mov_b32_e32 v2, s18
	v_add_co_u32_e32 v3, vcc, s11, v1
	v_addc_co_u32_e32 v2, vcc, 0, v2, vcc
	v_subrev_u32_e32 v5, s13, v1
	v_mov_b32_e32 v6, s9
	v_add_co_u32_e32 v5, vcc, s8, v5
	v_addc_co_u32_e32 v6, vcc, 0, v6, vcc
	v_cmp_gt_u32_e32 vcc, s13, v1
	v_add_u32_e32 v1, v1, v4
	v_cndmask_b32_e32 v19, v6, v2, vcc
	v_cndmask_b32_e32 v18, v5, v3, vcc
	v_mov_b32_e32 v2, s18
	v_add_co_u32_e32 v3, vcc, s11, v1
	v_addc_co_u32_e32 v2, vcc, 0, v2, vcc
	v_subrev_u32_e32 v5, s13, v1
	v_mov_b32_e32 v6, s9
	v_add_co_u32_e32 v5, vcc, s8, v5
	v_addc_co_u32_e32 v6, vcc, 0, v6, vcc
	v_cmp_gt_u32_e32 vcc, s13, v1
	v_add_u32_e32 v1, v1, v4
	v_cndmask_b32_e32 v21, v6, v2, vcc
	;; [unrolled: 11-line block ×4, first 2 shown]
	v_cndmask_b32_e32 v24, v5, v3, vcc
	v_mov_b32_e32 v2, s18
	v_add_co_u32_e32 v3, vcc, s11, v1
	v_addc_co_u32_e32 v2, vcc, 0, v2, vcc
	v_subrev_u32_e32 v5, s13, v1
	v_mov_b32_e32 v6, s9
	v_add_co_u32_e32 v5, vcc, s8, v5
	v_addc_co_u32_e32 v6, vcc, 0, v6, vcc
	v_cmp_gt_u32_e32 vcc, s13, v1
	v_cndmask_b32_e32 v27, v6, v2, vcc
	v_cndmask_b32_e32 v26, v5, v3, vcc
	global_load_ubyte v1, v[12:13], off
	global_load_ubyte v2, v[14:15], off
	;; [unrolled: 1-line block ×8, first 2 shown]
	s_add_i32 s21, s7, s13
	s_load_dwordx2 s[16:17], s[4:5], 0x10
	s_cbranch_execz .LBB1492_4
	s_branch .LBB1492_21
.LBB1492_3:
                                        ; implicit-def: $vgpr1
                                        ; implicit-def: $vgpr2
                                        ; implicit-def: $vgpr3
                                        ; implicit-def: $vgpr5
                                        ; implicit-def: $vgpr6
                                        ; implicit-def: $vgpr7
                                        ; implicit-def: $vgpr9
                                        ; implicit-def: $vgpr11
                                        ; implicit-def: $sgpr21
	s_load_dwordx2 s[16:17], s[4:5], 0x10
.LBB1492_4:
	s_add_i32 s21, s7, s13
	v_cmp_gt_u32_e32 vcc, s21, v0
                                        ; implicit-def: $vgpr1
	s_and_saveexec_b64 s[0:1], vcc
	s_cbranch_execz .LBB1492_6
; %bb.5:
	s_waitcnt vmcnt(7)
	v_mov_b32_e32 v1, s18
	s_waitcnt vmcnt(6)
	v_add_co_u32_e32 v2, vcc, s11, v0
	v_addc_co_u32_e32 v1, vcc, 0, v1, vcc
	s_waitcnt vmcnt(5)
	v_subrev_u32_e32 v3, s13, v0
	s_waitcnt vmcnt(4)
	v_mov_b32_e32 v5, s9
	s_waitcnt vmcnt(3)
	v_add_co_u32_e32 v6, vcc, s8, v3
	v_addc_co_u32_e32 v3, vcc, 0, v5, vcc
	v_cmp_gt_u32_e32 vcc, s13, v0
	v_cndmask_b32_e32 v3, v3, v1, vcc
	v_cndmask_b32_e32 v2, v6, v2, vcc
	global_load_ubyte v1, v[2:3], off
.LBB1492_6:
	s_or_b64 exec, exec, s[0:1]
	v_cmp_gt_u32_e32 vcc, s21, v10
                                        ; implicit-def: $vgpr2
	s_and_saveexec_b64 s[0:1], vcc
	s_cbranch_execz .LBB1492_8
; %bb.7:
	s_waitcnt vmcnt(6)
	v_mov_b32_e32 v2, s18
	s_waitcnt vmcnt(4)
	v_add_co_u32_e32 v5, vcc, s11, v10
	v_addc_co_u32_e32 v2, vcc, 0, v2, vcc
	v_subrev_u32_e32 v3, s13, v10
	s_waitcnt vmcnt(3)
	v_mov_b32_e32 v6, s9
	s_waitcnt vmcnt(2)
	v_add_co_u32_e32 v7, vcc, s8, v3
	v_addc_co_u32_e32 v3, vcc, 0, v6, vcc
	v_cmp_gt_u32_e32 vcc, s13, v10
	v_cndmask_b32_e32 v3, v3, v2, vcc
	v_cndmask_b32_e32 v2, v7, v5, vcc
	global_load_ubyte v2, v[2:3], off
.LBB1492_8:
	s_or_b64 exec, exec, s[0:1]
	v_cmp_gt_u32_e32 vcc, s21, v8
                                        ; implicit-def: $vgpr3
	s_and_saveexec_b64 s[0:1], vcc
	s_cbranch_execz .LBB1492_10
; %bb.9:
	s_waitcnt vmcnt(5)
	v_mov_b32_e32 v3, s18
	s_waitcnt vmcnt(4)
	v_add_co_u32_e32 v5, vcc, s11, v8
	v_addc_co_u32_e32 v3, vcc, 0, v3, vcc
	s_waitcnt vmcnt(3)
	v_subrev_u32_e32 v6, s13, v8
	s_waitcnt vmcnt(2)
	v_mov_b32_e32 v7, s9
	v_add_co_u32_e32 v6, vcc, s8, v6
	v_addc_co_u32_e32 v7, vcc, 0, v7, vcc
	v_cmp_gt_u32_e32 vcc, s13, v8
	v_cndmask_b32_e32 v7, v7, v3, vcc
	v_cndmask_b32_e32 v6, v6, v5, vcc
	global_load_ubyte v3, v[6:7], off
.LBB1492_10:
	s_or_b64 exec, exec, s[0:1]
	s_waitcnt vmcnt(3)
	v_add_u32_e32 v6, v8, v4
	v_cmp_gt_u32_e32 vcc, s21, v6
                                        ; implicit-def: $vgpr5
	s_and_saveexec_b64 s[0:1], vcc
	s_cbranch_execz .LBB1492_12
; %bb.11:
	v_mov_b32_e32 v5, s18
	s_waitcnt vmcnt(2)
	v_add_co_u32_e32 v7, vcc, s11, v6
	v_addc_co_u32_e32 v5, vcc, 0, v5, vcc
	v_subrev_u32_e32 v8, s13, v6
	s_waitcnt vmcnt(1)
	v_mov_b32_e32 v9, s9
	v_add_co_u32_e32 v8, vcc, s8, v8
	v_addc_co_u32_e32 v9, vcc, 0, v9, vcc
	v_cmp_gt_u32_e32 vcc, s13, v6
	v_cndmask_b32_e32 v9, v9, v5, vcc
	v_cndmask_b32_e32 v8, v8, v7, vcc
	global_load_ubyte v5, v[8:9], off
.LBB1492_12:
	s_or_b64 exec, exec, s[0:1]
	s_waitcnt vmcnt(2)
	v_add_u32_e32 v7, v6, v4
	v_cmp_gt_u32_e32 vcc, s21, v7
                                        ; implicit-def: $vgpr6
	s_and_saveexec_b64 s[0:1], vcc
	s_cbranch_execz .LBB1492_14
; %bb.13:
	v_mov_b32_e32 v6, s18
	v_add_co_u32_e32 v8, vcc, s11, v7
	v_addc_co_u32_e32 v6, vcc, 0, v6, vcc
	s_waitcnt vmcnt(1)
	v_subrev_u32_e32 v9, s13, v7
	v_mov_b32_e32 v10, s9
	s_waitcnt vmcnt(0)
	v_add_co_u32_e32 v11, vcc, s8, v9
	v_addc_co_u32_e32 v9, vcc, 0, v10, vcc
	v_cmp_gt_u32_e32 vcc, s13, v7
	v_cndmask_b32_e32 v9, v9, v6, vcc
	v_cndmask_b32_e32 v8, v11, v8, vcc
	global_load_ubyte v6, v[8:9], off
.LBB1492_14:
	s_or_b64 exec, exec, s[0:1]
	v_add_u32_e32 v8, v7, v4
	v_cmp_gt_u32_e32 vcc, s21, v8
                                        ; implicit-def: $vgpr7
	s_and_saveexec_b64 s[0:1], vcc
	s_cbranch_execz .LBB1492_16
; %bb.15:
	v_mov_b32_e32 v7, s18
	s_waitcnt vmcnt(1)
	v_add_co_u32_e32 v9, vcc, s11, v8
	v_addc_co_u32_e32 v7, vcc, 0, v7, vcc
	v_subrev_u32_e32 v10, s13, v8
	s_waitcnt vmcnt(0)
	v_mov_b32_e32 v11, s9
	v_add_co_u32_e32 v10, vcc, s8, v10
	v_addc_co_u32_e32 v11, vcc, 0, v11, vcc
	v_cmp_gt_u32_e32 vcc, s13, v8
	v_cndmask_b32_e32 v11, v11, v7, vcc
	v_cndmask_b32_e32 v10, v10, v9, vcc
	global_load_ubyte v7, v[10:11], off
.LBB1492_16:
	s_or_b64 exec, exec, s[0:1]
	v_add_u32_e32 v8, v8, v4
	v_cmp_gt_u32_e32 vcc, s21, v8
                                        ; implicit-def: $vgpr9
	s_and_saveexec_b64 s[0:1], vcc
	s_cbranch_execz .LBB1492_18
; %bb.17:
	s_waitcnt vmcnt(1)
	v_mov_b32_e32 v9, s18
	v_add_co_u32_e32 v10, vcc, s11, v8
	v_addc_co_u32_e32 v9, vcc, 0, v9, vcc
	s_waitcnt vmcnt(0)
	v_subrev_u32_e32 v11, s13, v8
	v_mov_b32_e32 v12, s9
	v_add_co_u32_e32 v13, vcc, s8, v11
	v_addc_co_u32_e32 v11, vcc, 0, v12, vcc
	v_cmp_gt_u32_e32 vcc, s13, v8
	v_cndmask_b32_e32 v11, v11, v9, vcc
	v_cndmask_b32_e32 v10, v13, v10, vcc
	global_load_ubyte v9, v[10:11], off
.LBB1492_18:
	s_or_b64 exec, exec, s[0:1]
	v_add_u32_e32 v4, v8, v4
	v_cmp_gt_u32_e32 vcc, s21, v4
                                        ; implicit-def: $vgpr11
	s_and_saveexec_b64 s[0:1], vcc
	s_cbranch_execz .LBB1492_20
; %bb.19:
	v_mov_b32_e32 v8, s18
	v_add_co_u32_e32 v10, vcc, s11, v4
	v_addc_co_u32_e32 v8, vcc, 0, v8, vcc
	s_waitcnt vmcnt(0)
	v_subrev_u32_e32 v11, s13, v4
	v_mov_b32_e32 v12, s9
	v_add_co_u32_e32 v13, vcc, s8, v11
	v_addc_co_u32_e32 v11, vcc, 0, v12, vcc
	v_cmp_gt_u32_e32 vcc, s13, v4
	v_cndmask_b32_e32 v11, v11, v8, vcc
	v_cndmask_b32_e32 v10, v13, v10, vcc
	global_load_ubyte v11, v[10:11], off
.LBB1492_20:
	s_or_b64 exec, exec, s[0:1]
.LBB1492_21:
	v_lshlrev_b32_e32 v4, 3, v0
	v_min_u32_e32 v10, s21, v4
	v_sub_u32_e64 v8, v10, s7 clamp
	v_min_u32_e32 v12, s13, v10
	v_cmp_lt_u32_e32 vcc, v8, v12
	s_waitcnt vmcnt(0)
	ds_write_b8 v0, v1
	ds_write_b8 v0, v2 offset:128
	ds_write_b8 v0, v3 offset:256
	;; [unrolled: 1-line block ×7, first 2 shown]
	s_waitcnt lgkmcnt(0)
	s_barrier
	s_and_saveexec_b64 s[0:1], vcc
	s_cbranch_execz .LBB1492_25
; %bb.22:
	v_add_u32_e32 v13, s13, v10
	s_mov_b64 s[2:3], 0
.LBB1492_23:                            ; =>This Inner Loop Header: Depth=1
	v_add_u32_e32 v14, v12, v8
	v_lshrrev_b32_e32 v14, 1, v14
	v_xad_u32 v15, v14, -1, v13
	ds_read_i8 v16, v14
	ds_read_i8 v15, v15
	v_add_u32_e32 v17, 1, v14
	s_waitcnt lgkmcnt(0)
	v_cmp_gt_i16_e32 vcc, v15, v16
	v_cndmask_b32_e32 v12, v12, v14, vcc
	v_cndmask_b32_e32 v8, v17, v8, vcc
	v_cmp_ge_u32_e32 vcc, v8, v12
	s_or_b64 s[2:3], vcc, s[2:3]
	s_andn2_b64 exec, exec, s[2:3]
	s_cbranch_execnz .LBB1492_23
; %bb.24:
	s_or_b64 exec, exec, s[2:3]
.LBB1492_25:
	s_or_b64 exec, exec, s[0:1]
	v_sub_u32_e32 v10, v10, v8
	v_add_u32_e32 v10, s13, v10
	v_cmp_ge_u32_e32 vcc, s13, v8
	v_cmp_ge_u32_e64 s[0:1], s21, v10
	s_or_b64 s[0:1], vcc, s[0:1]
	s_and_saveexec_b64 s[18:19], s[0:1]
	s_cbranch_execz .LBB1492_31
; %bb.26:
	v_cmp_gt_u32_e32 vcc, s13, v8
                                        ; implicit-def: $vgpr1
	s_and_saveexec_b64 s[0:1], vcc
	s_cbranch_execz .LBB1492_28
; %bb.27:
	ds_read_u8 v1, v8
.LBB1492_28:
	s_or_b64 exec, exec, s[0:1]
	v_cmp_le_u32_e64 s[0:1], s21, v10
	v_cmp_gt_u32_e64 s[2:3], s21, v10
                                        ; implicit-def: $vgpr2
	s_and_saveexec_b64 s[4:5], s[2:3]
	s_cbranch_execz .LBB1492_30
; %bb.29:
	ds_read_u8 v2, v10
.LBB1492_30:
	s_or_b64 exec, exec, s[4:5]
	s_waitcnt lgkmcnt(0)
	v_cmp_le_i16_sdwa s[2:3], sext(v2), sext(v1) src0_sel:BYTE_0 src1_sel:BYTE_0
	s_and_b64 s[2:3], vcc, s[2:3]
	s_or_b64 vcc, s[0:1], s[2:3]
	v_mov_b32_e32 v5, s21
	v_mov_b32_e32 v6, s13
	v_cndmask_b32_e32 v3, v10, v8, vcc
	v_cndmask_b32_e32 v7, v5, v6, vcc
	v_add_u32_e32 v3, 1, v3
	v_add_u32_e32 v7, -1, v7
	v_min_u32_e32 v7, v3, v7
	ds_read_u8 v7, v7
	v_cndmask_b32_e32 v10, v3, v10, vcc
	v_cndmask_b32_e32 v3, v8, v3, vcc
	v_cmp_gt_u32_e64 s[2:3], s13, v3
	v_cmp_le_u32_e64 s[0:1], s21, v10
	s_waitcnt lgkmcnt(0)
	v_cndmask_b32_e32 v9, v7, v2, vcc
	v_cndmask_b32_e32 v7, v1, v7, vcc
	v_cmp_le_i16_sdwa s[4:5], sext(v9), sext(v7) src0_sel:BYTE_0 src1_sel:BYTE_0
	s_and_b64 s[2:3], s[2:3], s[4:5]
	s_or_b64 s[0:1], s[0:1], s[2:3]
	v_cndmask_b32_e64 v8, v10, v3, s[0:1]
	v_cndmask_b32_e64 v11, v5, v6, s[0:1]
	v_add_u32_e32 v8, 1, v8
	v_add_u32_e32 v11, -1, v11
	v_min_u32_e32 v11, v8, v11
	ds_read_u8 v11, v11
	v_cndmask_b32_e64 v3, v3, v8, s[0:1]
	v_cndmask_b32_e64 v10, v8, v10, s[0:1]
	v_cmp_gt_u32_e64 s[4:5], s13, v3
	v_cmp_le_u32_e64 s[2:3], s21, v10
	s_waitcnt lgkmcnt(0)
	v_cndmask_b32_e64 v12, v11, v9, s[0:1]
	v_cndmask_b32_e64 v11, v7, v11, s[0:1]
	v_cmp_le_i16_sdwa s[6:7], sext(v12), sext(v11) src0_sel:BYTE_0 src1_sel:BYTE_0
	s_and_b64 s[4:5], s[4:5], s[6:7]
	s_or_b64 s[2:3], s[2:3], s[4:5]
	v_cndmask_b32_e64 v8, v10, v3, s[2:3]
	v_cndmask_b32_e64 v13, v5, v6, s[2:3]
	v_add_u32_e32 v8, 1, v8
	v_add_u32_e32 v13, -1, v13
	v_min_u32_e32 v13, v8, v13
	ds_read_u8 v13, v13
	v_cndmask_b32_e64 v3, v3, v8, s[2:3]
	v_cndmask_b32_e64 v10, v8, v10, s[2:3]
	v_cmp_gt_u32_e64 s[6:7], s13, v3
	v_cmp_le_u32_e64 s[4:5], s21, v10
	s_waitcnt lgkmcnt(0)
	v_cndmask_b32_e64 v14, v13, v12, s[2:3]
	v_cndmask_b32_e64 v13, v11, v13, s[2:3]
	v_cmp_le_i16_sdwa s[8:9], sext(v14), sext(v13) src0_sel:BYTE_0 src1_sel:BYTE_0
	s_and_b64 s[6:7], s[6:7], s[8:9]
	s_or_b64 s[4:5], s[4:5], s[6:7]
	v_cndmask_b32_e64 v8, v10, v3, s[4:5]
	v_cndmask_b32_e64 v15, v5, v6, s[4:5]
	v_add_u32_e32 v8, 1, v8
	v_add_u32_e32 v15, -1, v15
	v_min_u32_e32 v15, v8, v15
	ds_read_u8 v15, v15
	v_cndmask_b32_e64 v3, v3, v8, s[4:5]
	v_cndmask_b32_e64 v10, v8, v10, s[4:5]
	v_cmp_gt_u32_e64 s[8:9], s13, v3
	v_cmp_le_u32_e64 s[6:7], s21, v10
	s_waitcnt lgkmcnt(0)
	v_cndmask_b32_e64 v16, v15, v14, s[4:5]
	v_cndmask_b32_e64 v15, v13, v15, s[4:5]
	v_cmp_le_i16_sdwa s[10:11], sext(v16), sext(v15) src0_sel:BYTE_0 src1_sel:BYTE_0
	s_and_b64 s[8:9], s[8:9], s[10:11]
	s_or_b64 s[6:7], s[6:7], s[8:9]
	v_cndmask_b32_e64 v8, v10, v3, s[6:7]
	v_cndmask_b32_e64 v17, v5, v6, s[6:7]
	v_add_u32_e32 v8, 1, v8
	v_add_u32_e32 v17, -1, v17
	v_min_u32_e32 v17, v8, v17
	ds_read_u8 v17, v17
	v_cndmask_b32_e64 v10, v8, v10, s[6:7]
	v_cndmask_b32_e64 v8, v3, v8, s[6:7]
	v_cmp_gt_u32_e64 s[10:11], s13, v8
	v_cmp_le_u32_e64 s[8:9], s21, v10
	s_waitcnt lgkmcnt(0)
	v_cndmask_b32_e64 v18, v17, v16, s[6:7]
	v_cndmask_b32_e64 v17, v15, v17, s[6:7]
	v_cmp_le_i16_sdwa s[22:23], sext(v18), sext(v17) src0_sel:BYTE_0 src1_sel:BYTE_0
	s_and_b64 s[10:11], s[10:11], s[22:23]
	s_or_b64 s[8:9], s[8:9], s[10:11]
	v_cndmask_b32_e64 v3, v10, v8, s[8:9]
	v_cndmask_b32_e64 v19, v5, v6, s[8:9]
	v_add_u32_e32 v20, 1, v3
	v_add_u32_e32 v3, -1, v19
	v_min_u32_e32 v3, v20, v3
	ds_read_u8 v19, v3
	v_cndmask_b32_e64 v3, v12, v11, s[2:3]
	v_cndmask_b32_e64 v8, v8, v20, s[8:9]
	v_cndmask_b32_e32 v1, v2, v1, vcc
	v_cndmask_b32_e64 v2, v9, v7, s[0:1]
	s_waitcnt lgkmcnt(0)
	v_cndmask_b32_e64 v11, v19, v18, s[8:9]
	v_cndmask_b32_e64 v12, v17, v19, s[8:9]
	;; [unrolled: 1-line block ×3, first 2 shown]
	v_cmp_gt_u32_e64 s[0:1], s13, v8
	v_cmp_le_i16_sdwa s[2:3], sext(v11), sext(v12) src0_sel:BYTE_0 src1_sel:BYTE_0
	v_cmp_le_u32_e32 vcc, s21, v10
	s_and_b64 s[0:1], s[0:1], s[2:3]
	s_or_b64 vcc, vcc, s[0:1]
	v_cndmask_b32_e32 v7, v10, v8, vcc
	v_cndmask_b32_e32 v5, v5, v6, vcc
	v_add_u32_e32 v19, 1, v7
	v_add_u32_e32 v5, -1, v5
	v_min_u32_e32 v5, v19, v5
	ds_read_u8 v20, v5
	v_cndmask_b32_e32 v9, v11, v12, vcc
	v_cndmask_b32_e32 v8, v8, v19, vcc
	;; [unrolled: 1-line block ×3, first 2 shown]
	v_cmp_gt_u32_e64 s[0:1], s13, v8
	s_waitcnt lgkmcnt(0)
	v_cndmask_b32_e32 v11, v20, v11, vcc
	v_cndmask_b32_e32 v12, v12, v20, vcc
	v_cmp_le_i16_sdwa s[2:3], sext(v11), sext(v12) src0_sel:BYTE_0 src1_sel:BYTE_0
	v_cmp_le_u32_e32 vcc, s21, v10
	s_and_b64 s[0:1], s[0:1], s[2:3]
	s_or_b64 vcc, vcc, s[0:1]
	v_cndmask_b32_e64 v5, v14, v13, s[4:5]
	v_cndmask_b32_e64 v6, v16, v15, s[6:7]
	;; [unrolled: 1-line block ×3, first 2 shown]
	v_cndmask_b32_e32 v11, v11, v12, vcc
.LBB1492_31:
	s_or_b64 exec, exec, s[18:19]
	v_lshlrev_b16_e32 v7, 8, v7
	v_lshlrev_b16_e32 v2, 8, v2
	v_lshrrev_b32_e32 v8, 2, v0
	v_or_b32_sdwa v6, v6, v7 dst_sel:DWORD dst_unused:UNUSED_PAD src0_sel:BYTE_0 src1_sel:DWORD
	v_lshlrev_b16_e32 v7, 8, v11
	v_or_b32_sdwa v1, v1, v2 dst_sel:DWORD dst_unused:UNUSED_PAD src0_sel:BYTE_0 src1_sel:DWORD
	v_lshlrev_b16_e32 v2, 8, v5
	s_add_u32 s0, s16, s20
	v_and_b32_e32 v8, 28, v8
	v_or_b32_sdwa v7, v9, v7 dst_sel:WORD_1 dst_unused:UNUSED_PAD src0_sel:BYTE_0 src1_sel:DWORD
	v_or_b32_sdwa v2, v3, v2 dst_sel:WORD_1 dst_unused:UNUSED_PAD src0_sel:BYTE_0 src1_sel:DWORD
	s_addc_u32 s1, s17, 0
	v_add_u32_e32 v4, v8, v4
	v_or_b32_sdwa v6, v6, v7 dst_sel:DWORD dst_unused:UNUSED_PAD src0_sel:WORD_0 src1_sel:DWORD
	v_or_b32_sdwa v1, v1, v2 dst_sel:DWORD dst_unused:UNUSED_PAD src0_sel:WORD_0 src1_sel:DWORD
	s_barrier
	s_barrier
	ds_write2_b32 v4, v1, v6 offset1:1
	v_mov_b32_e32 v1, s1
	v_add_co_u32_e32 v2, vcc, s0, v0
	v_addc_co_u32_e32 v3, vcc, 0, v1, vcc
	s_and_b64 vcc, exec, s[14:15]
	v_add_u32_e32 v4, 4, v0
	v_add_u32_e32 v5, 8, v0
	;; [unrolled: 1-line block ×7, first 2 shown]
	s_waitcnt lgkmcnt(0)
	s_cbranch_vccz .LBB1492_33
; %bb.32:
	s_barrier
	ds_read_u8 v11, v0
	ds_read_u8 v12, v4 offset:128
	ds_read_u8 v13, v5 offset:256
	;; [unrolled: 1-line block ×7, first 2 shown]
	s_waitcnt lgkmcnt(7)
	global_store_byte v[2:3], v11, off
	s_waitcnt lgkmcnt(6)
	global_store_byte v[2:3], v12, off offset:128
	s_waitcnt lgkmcnt(5)
	global_store_byte v[2:3], v13, off offset:256
	;; [unrolled: 2-line block ×6, first 2 shown]
	s_mov_b64 s[0:1], -1
	s_cbranch_execz .LBB1492_34
	s_branch .LBB1492_49
.LBB1492_33:
	s_mov_b64 s[0:1], 0
                                        ; implicit-def: $vgpr1
.LBB1492_34:
	s_barrier
	s_waitcnt lgkmcnt(0)
	ds_read_u8 v13, v4 offset:128
	ds_read_u8 v12, v5 offset:256
	;; [unrolled: 1-line block ×7, first 2 shown]
	s_sub_i32 s2, s12, s20
	v_or_b32_e32 v7, 0x80, v0
	v_cmp_gt_u32_e32 vcc, s2, v0
	s_and_saveexec_b64 s[0:1], vcc
	s_cbranch_execz .LBB1492_36
; %bb.35:
	ds_read_u8 v8, v0
	s_waitcnt lgkmcnt(0)
	global_store_byte v[2:3], v8, off
.LBB1492_36:
	s_or_b64 exec, exec, s[0:1]
	v_or_b32_e32 v8, 0x100, v0
	v_cmp_gt_u32_e32 vcc, s2, v7
	s_and_saveexec_b64 s[0:1], vcc
	s_cbranch_execz .LBB1492_38
; %bb.37:
	s_waitcnt lgkmcnt(6)
	global_store_byte v[2:3], v13, off offset:128
.LBB1492_38:
	s_or_b64 exec, exec, s[0:1]
	v_or_b32_e32 v7, 0x180, v0
	v_cmp_gt_u32_e32 vcc, s2, v8
	s_and_saveexec_b64 s[0:1], vcc
	s_cbranch_execz .LBB1492_40
; %bb.39:
	s_waitcnt lgkmcnt(5)
	global_store_byte v[2:3], v12, off offset:256
.LBB1492_40:
	;; [unrolled: 9-line block ×4, first 2 shown]
	s_or_b64 exec, exec, s[0:1]
	s_waitcnt lgkmcnt(3)
	v_or_b32_e32 v6, 0x300, v0
	v_cmp_gt_u32_e32 vcc, s2, v7
	s_and_saveexec_b64 s[0:1], vcc
	s_cbranch_execz .LBB1492_46
; %bb.45:
	s_waitcnt lgkmcnt(2)
	global_store_byte v[2:3], v5, off offset:640
.LBB1492_46:
	s_or_b64 exec, exec, s[0:1]
	v_or_b32_e32 v0, 0x380, v0
	v_cmp_gt_u32_e32 vcc, s2, v6
	s_and_saveexec_b64 s[0:1], vcc
	s_cbranch_execz .LBB1492_48
; %bb.47:
	s_waitcnt lgkmcnt(1)
	global_store_byte v[2:3], v4, off offset:768
.LBB1492_48:
	s_or_b64 exec, exec, s[0:1]
	v_cmp_gt_u32_e64 s[0:1], s2, v0
.LBB1492_49:
	s_and_saveexec_b64 s[2:3], s[0:1]
	s_cbranch_execz .LBB1492_51
; %bb.50:
	s_waitcnt lgkmcnt(0)
	global_store_byte v[2:3], v1, off offset:896
.LBB1492_51:
	s_endpgm
	.section	.rodata,"a",@progbits
	.p2align	6, 0x0
	.amdhsa_kernel _ZN7rocprim17ROCPRIM_400000_NS6detail17trampoline_kernelINS0_14default_configENS1_38merge_sort_block_merge_config_selectorIcNS0_10empty_typeEEEZZNS1_27merge_sort_block_merge_implIS3_PcPS5_jNS1_19radix_merge_compareILb1ELb0EcNS0_19identity_decomposerEEEEE10hipError_tT0_T1_T2_jT3_P12ihipStream_tbPNSt15iterator_traitsISE_E10value_typeEPNSK_ISF_E10value_typeEPSG_NS1_7vsmem_tEENKUlT_SE_SF_SG_E_clIS8_S8_S9_S9_EESD_ST_SE_SF_SG_EUlST_E0_NS1_11comp_targetILNS1_3genE4ELNS1_11target_archE910ELNS1_3gpuE8ELNS1_3repE0EEENS1_38merge_mergepath_config_static_selectorELNS0_4arch9wavefront6targetE1EEEvSF_
		.amdhsa_group_segment_fixed_size 1056
		.amdhsa_private_segment_fixed_size 0
		.amdhsa_kernarg_size 320
		.amdhsa_user_sgpr_count 6
		.amdhsa_user_sgpr_private_segment_buffer 1
		.amdhsa_user_sgpr_dispatch_ptr 0
		.amdhsa_user_sgpr_queue_ptr 0
		.amdhsa_user_sgpr_kernarg_segment_ptr 1
		.amdhsa_user_sgpr_dispatch_id 0
		.amdhsa_user_sgpr_flat_scratch_init 0
		.amdhsa_user_sgpr_kernarg_preload_length 0
		.amdhsa_user_sgpr_kernarg_preload_offset 0
		.amdhsa_user_sgpr_private_segment_size 0
		.amdhsa_uses_dynamic_stack 0
		.amdhsa_system_sgpr_private_segment_wavefront_offset 0
		.amdhsa_system_sgpr_workgroup_id_x 1
		.amdhsa_system_sgpr_workgroup_id_y 1
		.amdhsa_system_sgpr_workgroup_id_z 1
		.amdhsa_system_sgpr_workgroup_info 0
		.amdhsa_system_vgpr_workitem_id 0
		.amdhsa_next_free_vgpr 28
		.amdhsa_next_free_sgpr 24
		.amdhsa_accum_offset 28
		.amdhsa_reserve_vcc 1
		.amdhsa_reserve_flat_scratch 0
		.amdhsa_float_round_mode_32 0
		.amdhsa_float_round_mode_16_64 0
		.amdhsa_float_denorm_mode_32 3
		.amdhsa_float_denorm_mode_16_64 3
		.amdhsa_dx10_clamp 1
		.amdhsa_ieee_mode 1
		.amdhsa_fp16_overflow 0
		.amdhsa_tg_split 0
		.amdhsa_exception_fp_ieee_invalid_op 0
		.amdhsa_exception_fp_denorm_src 0
		.amdhsa_exception_fp_ieee_div_zero 0
		.amdhsa_exception_fp_ieee_overflow 0
		.amdhsa_exception_fp_ieee_underflow 0
		.amdhsa_exception_fp_ieee_inexact 0
		.amdhsa_exception_int_div_zero 0
	.end_amdhsa_kernel
	.section	.text._ZN7rocprim17ROCPRIM_400000_NS6detail17trampoline_kernelINS0_14default_configENS1_38merge_sort_block_merge_config_selectorIcNS0_10empty_typeEEEZZNS1_27merge_sort_block_merge_implIS3_PcPS5_jNS1_19radix_merge_compareILb1ELb0EcNS0_19identity_decomposerEEEEE10hipError_tT0_T1_T2_jT3_P12ihipStream_tbPNSt15iterator_traitsISE_E10value_typeEPNSK_ISF_E10value_typeEPSG_NS1_7vsmem_tEENKUlT_SE_SF_SG_E_clIS8_S8_S9_S9_EESD_ST_SE_SF_SG_EUlST_E0_NS1_11comp_targetILNS1_3genE4ELNS1_11target_archE910ELNS1_3gpuE8ELNS1_3repE0EEENS1_38merge_mergepath_config_static_selectorELNS0_4arch9wavefront6targetE1EEEvSF_,"axG",@progbits,_ZN7rocprim17ROCPRIM_400000_NS6detail17trampoline_kernelINS0_14default_configENS1_38merge_sort_block_merge_config_selectorIcNS0_10empty_typeEEEZZNS1_27merge_sort_block_merge_implIS3_PcPS5_jNS1_19radix_merge_compareILb1ELb0EcNS0_19identity_decomposerEEEEE10hipError_tT0_T1_T2_jT3_P12ihipStream_tbPNSt15iterator_traitsISE_E10value_typeEPNSK_ISF_E10value_typeEPSG_NS1_7vsmem_tEENKUlT_SE_SF_SG_E_clIS8_S8_S9_S9_EESD_ST_SE_SF_SG_EUlST_E0_NS1_11comp_targetILNS1_3genE4ELNS1_11target_archE910ELNS1_3gpuE8ELNS1_3repE0EEENS1_38merge_mergepath_config_static_selectorELNS0_4arch9wavefront6targetE1EEEvSF_,comdat
.Lfunc_end1492:
	.size	_ZN7rocprim17ROCPRIM_400000_NS6detail17trampoline_kernelINS0_14default_configENS1_38merge_sort_block_merge_config_selectorIcNS0_10empty_typeEEEZZNS1_27merge_sort_block_merge_implIS3_PcPS5_jNS1_19radix_merge_compareILb1ELb0EcNS0_19identity_decomposerEEEEE10hipError_tT0_T1_T2_jT3_P12ihipStream_tbPNSt15iterator_traitsISE_E10value_typeEPNSK_ISF_E10value_typeEPSG_NS1_7vsmem_tEENKUlT_SE_SF_SG_E_clIS8_S8_S9_S9_EESD_ST_SE_SF_SG_EUlST_E0_NS1_11comp_targetILNS1_3genE4ELNS1_11target_archE910ELNS1_3gpuE8ELNS1_3repE0EEENS1_38merge_mergepath_config_static_selectorELNS0_4arch9wavefront6targetE1EEEvSF_, .Lfunc_end1492-_ZN7rocprim17ROCPRIM_400000_NS6detail17trampoline_kernelINS0_14default_configENS1_38merge_sort_block_merge_config_selectorIcNS0_10empty_typeEEEZZNS1_27merge_sort_block_merge_implIS3_PcPS5_jNS1_19radix_merge_compareILb1ELb0EcNS0_19identity_decomposerEEEEE10hipError_tT0_T1_T2_jT3_P12ihipStream_tbPNSt15iterator_traitsISE_E10value_typeEPNSK_ISF_E10value_typeEPSG_NS1_7vsmem_tEENKUlT_SE_SF_SG_E_clIS8_S8_S9_S9_EESD_ST_SE_SF_SG_EUlST_E0_NS1_11comp_targetILNS1_3genE4ELNS1_11target_archE910ELNS1_3gpuE8ELNS1_3repE0EEENS1_38merge_mergepath_config_static_selectorELNS0_4arch9wavefront6targetE1EEEvSF_
                                        ; -- End function
	.section	.AMDGPU.csdata,"",@progbits
; Kernel info:
; codeLenInByte = 3112
; NumSgprs: 28
; NumVgprs: 28
; NumAgprs: 0
; TotalNumVgprs: 28
; ScratchSize: 0
; MemoryBound: 0
; FloatMode: 240
; IeeeMode: 1
; LDSByteSize: 1056 bytes/workgroup (compile time only)
; SGPRBlocks: 3
; VGPRBlocks: 3
; NumSGPRsForWavesPerEU: 28
; NumVGPRsForWavesPerEU: 28
; AccumOffset: 28
; Occupancy: 8
; WaveLimiterHint : 1
; COMPUTE_PGM_RSRC2:SCRATCH_EN: 0
; COMPUTE_PGM_RSRC2:USER_SGPR: 6
; COMPUTE_PGM_RSRC2:TRAP_HANDLER: 0
; COMPUTE_PGM_RSRC2:TGID_X_EN: 1
; COMPUTE_PGM_RSRC2:TGID_Y_EN: 1
; COMPUTE_PGM_RSRC2:TGID_Z_EN: 1
; COMPUTE_PGM_RSRC2:TIDIG_COMP_CNT: 0
; COMPUTE_PGM_RSRC3_GFX90A:ACCUM_OFFSET: 6
; COMPUTE_PGM_RSRC3_GFX90A:TG_SPLIT: 0
	.section	.text._ZN7rocprim17ROCPRIM_400000_NS6detail17trampoline_kernelINS0_14default_configENS1_38merge_sort_block_merge_config_selectorIcNS0_10empty_typeEEEZZNS1_27merge_sort_block_merge_implIS3_PcPS5_jNS1_19radix_merge_compareILb1ELb0EcNS0_19identity_decomposerEEEEE10hipError_tT0_T1_T2_jT3_P12ihipStream_tbPNSt15iterator_traitsISE_E10value_typeEPNSK_ISF_E10value_typeEPSG_NS1_7vsmem_tEENKUlT_SE_SF_SG_E_clIS8_S8_S9_S9_EESD_ST_SE_SF_SG_EUlST_E0_NS1_11comp_targetILNS1_3genE3ELNS1_11target_archE908ELNS1_3gpuE7ELNS1_3repE0EEENS1_38merge_mergepath_config_static_selectorELNS0_4arch9wavefront6targetE1EEEvSF_,"axG",@progbits,_ZN7rocprim17ROCPRIM_400000_NS6detail17trampoline_kernelINS0_14default_configENS1_38merge_sort_block_merge_config_selectorIcNS0_10empty_typeEEEZZNS1_27merge_sort_block_merge_implIS3_PcPS5_jNS1_19radix_merge_compareILb1ELb0EcNS0_19identity_decomposerEEEEE10hipError_tT0_T1_T2_jT3_P12ihipStream_tbPNSt15iterator_traitsISE_E10value_typeEPNSK_ISF_E10value_typeEPSG_NS1_7vsmem_tEENKUlT_SE_SF_SG_E_clIS8_S8_S9_S9_EESD_ST_SE_SF_SG_EUlST_E0_NS1_11comp_targetILNS1_3genE3ELNS1_11target_archE908ELNS1_3gpuE7ELNS1_3repE0EEENS1_38merge_mergepath_config_static_selectorELNS0_4arch9wavefront6targetE1EEEvSF_,comdat
	.protected	_ZN7rocprim17ROCPRIM_400000_NS6detail17trampoline_kernelINS0_14default_configENS1_38merge_sort_block_merge_config_selectorIcNS0_10empty_typeEEEZZNS1_27merge_sort_block_merge_implIS3_PcPS5_jNS1_19radix_merge_compareILb1ELb0EcNS0_19identity_decomposerEEEEE10hipError_tT0_T1_T2_jT3_P12ihipStream_tbPNSt15iterator_traitsISE_E10value_typeEPNSK_ISF_E10value_typeEPSG_NS1_7vsmem_tEENKUlT_SE_SF_SG_E_clIS8_S8_S9_S9_EESD_ST_SE_SF_SG_EUlST_E0_NS1_11comp_targetILNS1_3genE3ELNS1_11target_archE908ELNS1_3gpuE7ELNS1_3repE0EEENS1_38merge_mergepath_config_static_selectorELNS0_4arch9wavefront6targetE1EEEvSF_ ; -- Begin function _ZN7rocprim17ROCPRIM_400000_NS6detail17trampoline_kernelINS0_14default_configENS1_38merge_sort_block_merge_config_selectorIcNS0_10empty_typeEEEZZNS1_27merge_sort_block_merge_implIS3_PcPS5_jNS1_19radix_merge_compareILb1ELb0EcNS0_19identity_decomposerEEEEE10hipError_tT0_T1_T2_jT3_P12ihipStream_tbPNSt15iterator_traitsISE_E10value_typeEPNSK_ISF_E10value_typeEPSG_NS1_7vsmem_tEENKUlT_SE_SF_SG_E_clIS8_S8_S9_S9_EESD_ST_SE_SF_SG_EUlST_E0_NS1_11comp_targetILNS1_3genE3ELNS1_11target_archE908ELNS1_3gpuE7ELNS1_3repE0EEENS1_38merge_mergepath_config_static_selectorELNS0_4arch9wavefront6targetE1EEEvSF_
	.globl	_ZN7rocprim17ROCPRIM_400000_NS6detail17trampoline_kernelINS0_14default_configENS1_38merge_sort_block_merge_config_selectorIcNS0_10empty_typeEEEZZNS1_27merge_sort_block_merge_implIS3_PcPS5_jNS1_19radix_merge_compareILb1ELb0EcNS0_19identity_decomposerEEEEE10hipError_tT0_T1_T2_jT3_P12ihipStream_tbPNSt15iterator_traitsISE_E10value_typeEPNSK_ISF_E10value_typeEPSG_NS1_7vsmem_tEENKUlT_SE_SF_SG_E_clIS8_S8_S9_S9_EESD_ST_SE_SF_SG_EUlST_E0_NS1_11comp_targetILNS1_3genE3ELNS1_11target_archE908ELNS1_3gpuE7ELNS1_3repE0EEENS1_38merge_mergepath_config_static_selectorELNS0_4arch9wavefront6targetE1EEEvSF_
	.p2align	8
	.type	_ZN7rocprim17ROCPRIM_400000_NS6detail17trampoline_kernelINS0_14default_configENS1_38merge_sort_block_merge_config_selectorIcNS0_10empty_typeEEEZZNS1_27merge_sort_block_merge_implIS3_PcPS5_jNS1_19radix_merge_compareILb1ELb0EcNS0_19identity_decomposerEEEEE10hipError_tT0_T1_T2_jT3_P12ihipStream_tbPNSt15iterator_traitsISE_E10value_typeEPNSK_ISF_E10value_typeEPSG_NS1_7vsmem_tEENKUlT_SE_SF_SG_E_clIS8_S8_S9_S9_EESD_ST_SE_SF_SG_EUlST_E0_NS1_11comp_targetILNS1_3genE3ELNS1_11target_archE908ELNS1_3gpuE7ELNS1_3repE0EEENS1_38merge_mergepath_config_static_selectorELNS0_4arch9wavefront6targetE1EEEvSF_,@function
_ZN7rocprim17ROCPRIM_400000_NS6detail17trampoline_kernelINS0_14default_configENS1_38merge_sort_block_merge_config_selectorIcNS0_10empty_typeEEEZZNS1_27merge_sort_block_merge_implIS3_PcPS5_jNS1_19radix_merge_compareILb1ELb0EcNS0_19identity_decomposerEEEEE10hipError_tT0_T1_T2_jT3_P12ihipStream_tbPNSt15iterator_traitsISE_E10value_typeEPNSK_ISF_E10value_typeEPSG_NS1_7vsmem_tEENKUlT_SE_SF_SG_E_clIS8_S8_S9_S9_EESD_ST_SE_SF_SG_EUlST_E0_NS1_11comp_targetILNS1_3genE3ELNS1_11target_archE908ELNS1_3gpuE7ELNS1_3repE0EEENS1_38merge_mergepath_config_static_selectorELNS0_4arch9wavefront6targetE1EEEvSF_: ; @_ZN7rocprim17ROCPRIM_400000_NS6detail17trampoline_kernelINS0_14default_configENS1_38merge_sort_block_merge_config_selectorIcNS0_10empty_typeEEEZZNS1_27merge_sort_block_merge_implIS3_PcPS5_jNS1_19radix_merge_compareILb1ELb0EcNS0_19identity_decomposerEEEEE10hipError_tT0_T1_T2_jT3_P12ihipStream_tbPNSt15iterator_traitsISE_E10value_typeEPNSK_ISF_E10value_typeEPSG_NS1_7vsmem_tEENKUlT_SE_SF_SG_E_clIS8_S8_S9_S9_EESD_ST_SE_SF_SG_EUlST_E0_NS1_11comp_targetILNS1_3genE3ELNS1_11target_archE908ELNS1_3gpuE7ELNS1_3repE0EEENS1_38merge_mergepath_config_static_selectorELNS0_4arch9wavefront6targetE1EEEvSF_
; %bb.0:
	.section	.rodata,"a",@progbits
	.p2align	6, 0x0
	.amdhsa_kernel _ZN7rocprim17ROCPRIM_400000_NS6detail17trampoline_kernelINS0_14default_configENS1_38merge_sort_block_merge_config_selectorIcNS0_10empty_typeEEEZZNS1_27merge_sort_block_merge_implIS3_PcPS5_jNS1_19radix_merge_compareILb1ELb0EcNS0_19identity_decomposerEEEEE10hipError_tT0_T1_T2_jT3_P12ihipStream_tbPNSt15iterator_traitsISE_E10value_typeEPNSK_ISF_E10value_typeEPSG_NS1_7vsmem_tEENKUlT_SE_SF_SG_E_clIS8_S8_S9_S9_EESD_ST_SE_SF_SG_EUlST_E0_NS1_11comp_targetILNS1_3genE3ELNS1_11target_archE908ELNS1_3gpuE7ELNS1_3repE0EEENS1_38merge_mergepath_config_static_selectorELNS0_4arch9wavefront6targetE1EEEvSF_
		.amdhsa_group_segment_fixed_size 0
		.amdhsa_private_segment_fixed_size 0
		.amdhsa_kernarg_size 64
		.amdhsa_user_sgpr_count 6
		.amdhsa_user_sgpr_private_segment_buffer 1
		.amdhsa_user_sgpr_dispatch_ptr 0
		.amdhsa_user_sgpr_queue_ptr 0
		.amdhsa_user_sgpr_kernarg_segment_ptr 1
		.amdhsa_user_sgpr_dispatch_id 0
		.amdhsa_user_sgpr_flat_scratch_init 0
		.amdhsa_user_sgpr_kernarg_preload_length 0
		.amdhsa_user_sgpr_kernarg_preload_offset 0
		.amdhsa_user_sgpr_private_segment_size 0
		.amdhsa_uses_dynamic_stack 0
		.amdhsa_system_sgpr_private_segment_wavefront_offset 0
		.amdhsa_system_sgpr_workgroup_id_x 1
		.amdhsa_system_sgpr_workgroup_id_y 0
		.amdhsa_system_sgpr_workgroup_id_z 0
		.amdhsa_system_sgpr_workgroup_info 0
		.amdhsa_system_vgpr_workitem_id 0
		.amdhsa_next_free_vgpr 1
		.amdhsa_next_free_sgpr 0
		.amdhsa_accum_offset 4
		.amdhsa_reserve_vcc 0
		.amdhsa_reserve_flat_scratch 0
		.amdhsa_float_round_mode_32 0
		.amdhsa_float_round_mode_16_64 0
		.amdhsa_float_denorm_mode_32 3
		.amdhsa_float_denorm_mode_16_64 3
		.amdhsa_dx10_clamp 1
		.amdhsa_ieee_mode 1
		.amdhsa_fp16_overflow 0
		.amdhsa_tg_split 0
		.amdhsa_exception_fp_ieee_invalid_op 0
		.amdhsa_exception_fp_denorm_src 0
		.amdhsa_exception_fp_ieee_div_zero 0
		.amdhsa_exception_fp_ieee_overflow 0
		.amdhsa_exception_fp_ieee_underflow 0
		.amdhsa_exception_fp_ieee_inexact 0
		.amdhsa_exception_int_div_zero 0
	.end_amdhsa_kernel
	.section	.text._ZN7rocprim17ROCPRIM_400000_NS6detail17trampoline_kernelINS0_14default_configENS1_38merge_sort_block_merge_config_selectorIcNS0_10empty_typeEEEZZNS1_27merge_sort_block_merge_implIS3_PcPS5_jNS1_19radix_merge_compareILb1ELb0EcNS0_19identity_decomposerEEEEE10hipError_tT0_T1_T2_jT3_P12ihipStream_tbPNSt15iterator_traitsISE_E10value_typeEPNSK_ISF_E10value_typeEPSG_NS1_7vsmem_tEENKUlT_SE_SF_SG_E_clIS8_S8_S9_S9_EESD_ST_SE_SF_SG_EUlST_E0_NS1_11comp_targetILNS1_3genE3ELNS1_11target_archE908ELNS1_3gpuE7ELNS1_3repE0EEENS1_38merge_mergepath_config_static_selectorELNS0_4arch9wavefront6targetE1EEEvSF_,"axG",@progbits,_ZN7rocprim17ROCPRIM_400000_NS6detail17trampoline_kernelINS0_14default_configENS1_38merge_sort_block_merge_config_selectorIcNS0_10empty_typeEEEZZNS1_27merge_sort_block_merge_implIS3_PcPS5_jNS1_19radix_merge_compareILb1ELb0EcNS0_19identity_decomposerEEEEE10hipError_tT0_T1_T2_jT3_P12ihipStream_tbPNSt15iterator_traitsISE_E10value_typeEPNSK_ISF_E10value_typeEPSG_NS1_7vsmem_tEENKUlT_SE_SF_SG_E_clIS8_S8_S9_S9_EESD_ST_SE_SF_SG_EUlST_E0_NS1_11comp_targetILNS1_3genE3ELNS1_11target_archE908ELNS1_3gpuE7ELNS1_3repE0EEENS1_38merge_mergepath_config_static_selectorELNS0_4arch9wavefront6targetE1EEEvSF_,comdat
.Lfunc_end1493:
	.size	_ZN7rocprim17ROCPRIM_400000_NS6detail17trampoline_kernelINS0_14default_configENS1_38merge_sort_block_merge_config_selectorIcNS0_10empty_typeEEEZZNS1_27merge_sort_block_merge_implIS3_PcPS5_jNS1_19radix_merge_compareILb1ELb0EcNS0_19identity_decomposerEEEEE10hipError_tT0_T1_T2_jT3_P12ihipStream_tbPNSt15iterator_traitsISE_E10value_typeEPNSK_ISF_E10value_typeEPSG_NS1_7vsmem_tEENKUlT_SE_SF_SG_E_clIS8_S8_S9_S9_EESD_ST_SE_SF_SG_EUlST_E0_NS1_11comp_targetILNS1_3genE3ELNS1_11target_archE908ELNS1_3gpuE7ELNS1_3repE0EEENS1_38merge_mergepath_config_static_selectorELNS0_4arch9wavefront6targetE1EEEvSF_, .Lfunc_end1493-_ZN7rocprim17ROCPRIM_400000_NS6detail17trampoline_kernelINS0_14default_configENS1_38merge_sort_block_merge_config_selectorIcNS0_10empty_typeEEEZZNS1_27merge_sort_block_merge_implIS3_PcPS5_jNS1_19radix_merge_compareILb1ELb0EcNS0_19identity_decomposerEEEEE10hipError_tT0_T1_T2_jT3_P12ihipStream_tbPNSt15iterator_traitsISE_E10value_typeEPNSK_ISF_E10value_typeEPSG_NS1_7vsmem_tEENKUlT_SE_SF_SG_E_clIS8_S8_S9_S9_EESD_ST_SE_SF_SG_EUlST_E0_NS1_11comp_targetILNS1_3genE3ELNS1_11target_archE908ELNS1_3gpuE7ELNS1_3repE0EEENS1_38merge_mergepath_config_static_selectorELNS0_4arch9wavefront6targetE1EEEvSF_
                                        ; -- End function
	.section	.AMDGPU.csdata,"",@progbits
; Kernel info:
; codeLenInByte = 0
; NumSgprs: 4
; NumVgprs: 0
; NumAgprs: 0
; TotalNumVgprs: 0
; ScratchSize: 0
; MemoryBound: 0
; FloatMode: 240
; IeeeMode: 1
; LDSByteSize: 0 bytes/workgroup (compile time only)
; SGPRBlocks: 0
; VGPRBlocks: 0
; NumSGPRsForWavesPerEU: 4
; NumVGPRsForWavesPerEU: 1
; AccumOffset: 4
; Occupancy: 8
; WaveLimiterHint : 0
; COMPUTE_PGM_RSRC2:SCRATCH_EN: 0
; COMPUTE_PGM_RSRC2:USER_SGPR: 6
; COMPUTE_PGM_RSRC2:TRAP_HANDLER: 0
; COMPUTE_PGM_RSRC2:TGID_X_EN: 1
; COMPUTE_PGM_RSRC2:TGID_Y_EN: 0
; COMPUTE_PGM_RSRC2:TGID_Z_EN: 0
; COMPUTE_PGM_RSRC2:TIDIG_COMP_CNT: 0
; COMPUTE_PGM_RSRC3_GFX90A:ACCUM_OFFSET: 0
; COMPUTE_PGM_RSRC3_GFX90A:TG_SPLIT: 0
	.section	.text._ZN7rocprim17ROCPRIM_400000_NS6detail17trampoline_kernelINS0_14default_configENS1_38merge_sort_block_merge_config_selectorIcNS0_10empty_typeEEEZZNS1_27merge_sort_block_merge_implIS3_PcPS5_jNS1_19radix_merge_compareILb1ELb0EcNS0_19identity_decomposerEEEEE10hipError_tT0_T1_T2_jT3_P12ihipStream_tbPNSt15iterator_traitsISE_E10value_typeEPNSK_ISF_E10value_typeEPSG_NS1_7vsmem_tEENKUlT_SE_SF_SG_E_clIS8_S8_S9_S9_EESD_ST_SE_SF_SG_EUlST_E0_NS1_11comp_targetILNS1_3genE2ELNS1_11target_archE906ELNS1_3gpuE6ELNS1_3repE0EEENS1_38merge_mergepath_config_static_selectorELNS0_4arch9wavefront6targetE1EEEvSF_,"axG",@progbits,_ZN7rocprim17ROCPRIM_400000_NS6detail17trampoline_kernelINS0_14default_configENS1_38merge_sort_block_merge_config_selectorIcNS0_10empty_typeEEEZZNS1_27merge_sort_block_merge_implIS3_PcPS5_jNS1_19radix_merge_compareILb1ELb0EcNS0_19identity_decomposerEEEEE10hipError_tT0_T1_T2_jT3_P12ihipStream_tbPNSt15iterator_traitsISE_E10value_typeEPNSK_ISF_E10value_typeEPSG_NS1_7vsmem_tEENKUlT_SE_SF_SG_E_clIS8_S8_S9_S9_EESD_ST_SE_SF_SG_EUlST_E0_NS1_11comp_targetILNS1_3genE2ELNS1_11target_archE906ELNS1_3gpuE6ELNS1_3repE0EEENS1_38merge_mergepath_config_static_selectorELNS0_4arch9wavefront6targetE1EEEvSF_,comdat
	.protected	_ZN7rocprim17ROCPRIM_400000_NS6detail17trampoline_kernelINS0_14default_configENS1_38merge_sort_block_merge_config_selectorIcNS0_10empty_typeEEEZZNS1_27merge_sort_block_merge_implIS3_PcPS5_jNS1_19radix_merge_compareILb1ELb0EcNS0_19identity_decomposerEEEEE10hipError_tT0_T1_T2_jT3_P12ihipStream_tbPNSt15iterator_traitsISE_E10value_typeEPNSK_ISF_E10value_typeEPSG_NS1_7vsmem_tEENKUlT_SE_SF_SG_E_clIS8_S8_S9_S9_EESD_ST_SE_SF_SG_EUlST_E0_NS1_11comp_targetILNS1_3genE2ELNS1_11target_archE906ELNS1_3gpuE6ELNS1_3repE0EEENS1_38merge_mergepath_config_static_selectorELNS0_4arch9wavefront6targetE1EEEvSF_ ; -- Begin function _ZN7rocprim17ROCPRIM_400000_NS6detail17trampoline_kernelINS0_14default_configENS1_38merge_sort_block_merge_config_selectorIcNS0_10empty_typeEEEZZNS1_27merge_sort_block_merge_implIS3_PcPS5_jNS1_19radix_merge_compareILb1ELb0EcNS0_19identity_decomposerEEEEE10hipError_tT0_T1_T2_jT3_P12ihipStream_tbPNSt15iterator_traitsISE_E10value_typeEPNSK_ISF_E10value_typeEPSG_NS1_7vsmem_tEENKUlT_SE_SF_SG_E_clIS8_S8_S9_S9_EESD_ST_SE_SF_SG_EUlST_E0_NS1_11comp_targetILNS1_3genE2ELNS1_11target_archE906ELNS1_3gpuE6ELNS1_3repE0EEENS1_38merge_mergepath_config_static_selectorELNS0_4arch9wavefront6targetE1EEEvSF_
	.globl	_ZN7rocprim17ROCPRIM_400000_NS6detail17trampoline_kernelINS0_14default_configENS1_38merge_sort_block_merge_config_selectorIcNS0_10empty_typeEEEZZNS1_27merge_sort_block_merge_implIS3_PcPS5_jNS1_19radix_merge_compareILb1ELb0EcNS0_19identity_decomposerEEEEE10hipError_tT0_T1_T2_jT3_P12ihipStream_tbPNSt15iterator_traitsISE_E10value_typeEPNSK_ISF_E10value_typeEPSG_NS1_7vsmem_tEENKUlT_SE_SF_SG_E_clIS8_S8_S9_S9_EESD_ST_SE_SF_SG_EUlST_E0_NS1_11comp_targetILNS1_3genE2ELNS1_11target_archE906ELNS1_3gpuE6ELNS1_3repE0EEENS1_38merge_mergepath_config_static_selectorELNS0_4arch9wavefront6targetE1EEEvSF_
	.p2align	8
	.type	_ZN7rocprim17ROCPRIM_400000_NS6detail17trampoline_kernelINS0_14default_configENS1_38merge_sort_block_merge_config_selectorIcNS0_10empty_typeEEEZZNS1_27merge_sort_block_merge_implIS3_PcPS5_jNS1_19radix_merge_compareILb1ELb0EcNS0_19identity_decomposerEEEEE10hipError_tT0_T1_T2_jT3_P12ihipStream_tbPNSt15iterator_traitsISE_E10value_typeEPNSK_ISF_E10value_typeEPSG_NS1_7vsmem_tEENKUlT_SE_SF_SG_E_clIS8_S8_S9_S9_EESD_ST_SE_SF_SG_EUlST_E0_NS1_11comp_targetILNS1_3genE2ELNS1_11target_archE906ELNS1_3gpuE6ELNS1_3repE0EEENS1_38merge_mergepath_config_static_selectorELNS0_4arch9wavefront6targetE1EEEvSF_,@function
_ZN7rocprim17ROCPRIM_400000_NS6detail17trampoline_kernelINS0_14default_configENS1_38merge_sort_block_merge_config_selectorIcNS0_10empty_typeEEEZZNS1_27merge_sort_block_merge_implIS3_PcPS5_jNS1_19radix_merge_compareILb1ELb0EcNS0_19identity_decomposerEEEEE10hipError_tT0_T1_T2_jT3_P12ihipStream_tbPNSt15iterator_traitsISE_E10value_typeEPNSK_ISF_E10value_typeEPSG_NS1_7vsmem_tEENKUlT_SE_SF_SG_E_clIS8_S8_S9_S9_EESD_ST_SE_SF_SG_EUlST_E0_NS1_11comp_targetILNS1_3genE2ELNS1_11target_archE906ELNS1_3gpuE6ELNS1_3repE0EEENS1_38merge_mergepath_config_static_selectorELNS0_4arch9wavefront6targetE1EEEvSF_: ; @_ZN7rocprim17ROCPRIM_400000_NS6detail17trampoline_kernelINS0_14default_configENS1_38merge_sort_block_merge_config_selectorIcNS0_10empty_typeEEEZZNS1_27merge_sort_block_merge_implIS3_PcPS5_jNS1_19radix_merge_compareILb1ELb0EcNS0_19identity_decomposerEEEEE10hipError_tT0_T1_T2_jT3_P12ihipStream_tbPNSt15iterator_traitsISE_E10value_typeEPNSK_ISF_E10value_typeEPSG_NS1_7vsmem_tEENKUlT_SE_SF_SG_E_clIS8_S8_S9_S9_EESD_ST_SE_SF_SG_EUlST_E0_NS1_11comp_targetILNS1_3genE2ELNS1_11target_archE906ELNS1_3gpuE6ELNS1_3repE0EEENS1_38merge_mergepath_config_static_selectorELNS0_4arch9wavefront6targetE1EEEvSF_
; %bb.0:
	.section	.rodata,"a",@progbits
	.p2align	6, 0x0
	.amdhsa_kernel _ZN7rocprim17ROCPRIM_400000_NS6detail17trampoline_kernelINS0_14default_configENS1_38merge_sort_block_merge_config_selectorIcNS0_10empty_typeEEEZZNS1_27merge_sort_block_merge_implIS3_PcPS5_jNS1_19radix_merge_compareILb1ELb0EcNS0_19identity_decomposerEEEEE10hipError_tT0_T1_T2_jT3_P12ihipStream_tbPNSt15iterator_traitsISE_E10value_typeEPNSK_ISF_E10value_typeEPSG_NS1_7vsmem_tEENKUlT_SE_SF_SG_E_clIS8_S8_S9_S9_EESD_ST_SE_SF_SG_EUlST_E0_NS1_11comp_targetILNS1_3genE2ELNS1_11target_archE906ELNS1_3gpuE6ELNS1_3repE0EEENS1_38merge_mergepath_config_static_selectorELNS0_4arch9wavefront6targetE1EEEvSF_
		.amdhsa_group_segment_fixed_size 0
		.amdhsa_private_segment_fixed_size 0
		.amdhsa_kernarg_size 64
		.amdhsa_user_sgpr_count 6
		.amdhsa_user_sgpr_private_segment_buffer 1
		.amdhsa_user_sgpr_dispatch_ptr 0
		.amdhsa_user_sgpr_queue_ptr 0
		.amdhsa_user_sgpr_kernarg_segment_ptr 1
		.amdhsa_user_sgpr_dispatch_id 0
		.amdhsa_user_sgpr_flat_scratch_init 0
		.amdhsa_user_sgpr_kernarg_preload_length 0
		.amdhsa_user_sgpr_kernarg_preload_offset 0
		.amdhsa_user_sgpr_private_segment_size 0
		.amdhsa_uses_dynamic_stack 0
		.amdhsa_system_sgpr_private_segment_wavefront_offset 0
		.amdhsa_system_sgpr_workgroup_id_x 1
		.amdhsa_system_sgpr_workgroup_id_y 0
		.amdhsa_system_sgpr_workgroup_id_z 0
		.amdhsa_system_sgpr_workgroup_info 0
		.amdhsa_system_vgpr_workitem_id 0
		.amdhsa_next_free_vgpr 1
		.amdhsa_next_free_sgpr 0
		.amdhsa_accum_offset 4
		.amdhsa_reserve_vcc 0
		.amdhsa_reserve_flat_scratch 0
		.amdhsa_float_round_mode_32 0
		.amdhsa_float_round_mode_16_64 0
		.amdhsa_float_denorm_mode_32 3
		.amdhsa_float_denorm_mode_16_64 3
		.amdhsa_dx10_clamp 1
		.amdhsa_ieee_mode 1
		.amdhsa_fp16_overflow 0
		.amdhsa_tg_split 0
		.amdhsa_exception_fp_ieee_invalid_op 0
		.amdhsa_exception_fp_denorm_src 0
		.amdhsa_exception_fp_ieee_div_zero 0
		.amdhsa_exception_fp_ieee_overflow 0
		.amdhsa_exception_fp_ieee_underflow 0
		.amdhsa_exception_fp_ieee_inexact 0
		.amdhsa_exception_int_div_zero 0
	.end_amdhsa_kernel
	.section	.text._ZN7rocprim17ROCPRIM_400000_NS6detail17trampoline_kernelINS0_14default_configENS1_38merge_sort_block_merge_config_selectorIcNS0_10empty_typeEEEZZNS1_27merge_sort_block_merge_implIS3_PcPS5_jNS1_19radix_merge_compareILb1ELb0EcNS0_19identity_decomposerEEEEE10hipError_tT0_T1_T2_jT3_P12ihipStream_tbPNSt15iterator_traitsISE_E10value_typeEPNSK_ISF_E10value_typeEPSG_NS1_7vsmem_tEENKUlT_SE_SF_SG_E_clIS8_S8_S9_S9_EESD_ST_SE_SF_SG_EUlST_E0_NS1_11comp_targetILNS1_3genE2ELNS1_11target_archE906ELNS1_3gpuE6ELNS1_3repE0EEENS1_38merge_mergepath_config_static_selectorELNS0_4arch9wavefront6targetE1EEEvSF_,"axG",@progbits,_ZN7rocprim17ROCPRIM_400000_NS6detail17trampoline_kernelINS0_14default_configENS1_38merge_sort_block_merge_config_selectorIcNS0_10empty_typeEEEZZNS1_27merge_sort_block_merge_implIS3_PcPS5_jNS1_19radix_merge_compareILb1ELb0EcNS0_19identity_decomposerEEEEE10hipError_tT0_T1_T2_jT3_P12ihipStream_tbPNSt15iterator_traitsISE_E10value_typeEPNSK_ISF_E10value_typeEPSG_NS1_7vsmem_tEENKUlT_SE_SF_SG_E_clIS8_S8_S9_S9_EESD_ST_SE_SF_SG_EUlST_E0_NS1_11comp_targetILNS1_3genE2ELNS1_11target_archE906ELNS1_3gpuE6ELNS1_3repE0EEENS1_38merge_mergepath_config_static_selectorELNS0_4arch9wavefront6targetE1EEEvSF_,comdat
.Lfunc_end1494:
	.size	_ZN7rocprim17ROCPRIM_400000_NS6detail17trampoline_kernelINS0_14default_configENS1_38merge_sort_block_merge_config_selectorIcNS0_10empty_typeEEEZZNS1_27merge_sort_block_merge_implIS3_PcPS5_jNS1_19radix_merge_compareILb1ELb0EcNS0_19identity_decomposerEEEEE10hipError_tT0_T1_T2_jT3_P12ihipStream_tbPNSt15iterator_traitsISE_E10value_typeEPNSK_ISF_E10value_typeEPSG_NS1_7vsmem_tEENKUlT_SE_SF_SG_E_clIS8_S8_S9_S9_EESD_ST_SE_SF_SG_EUlST_E0_NS1_11comp_targetILNS1_3genE2ELNS1_11target_archE906ELNS1_3gpuE6ELNS1_3repE0EEENS1_38merge_mergepath_config_static_selectorELNS0_4arch9wavefront6targetE1EEEvSF_, .Lfunc_end1494-_ZN7rocprim17ROCPRIM_400000_NS6detail17trampoline_kernelINS0_14default_configENS1_38merge_sort_block_merge_config_selectorIcNS0_10empty_typeEEEZZNS1_27merge_sort_block_merge_implIS3_PcPS5_jNS1_19radix_merge_compareILb1ELb0EcNS0_19identity_decomposerEEEEE10hipError_tT0_T1_T2_jT3_P12ihipStream_tbPNSt15iterator_traitsISE_E10value_typeEPNSK_ISF_E10value_typeEPSG_NS1_7vsmem_tEENKUlT_SE_SF_SG_E_clIS8_S8_S9_S9_EESD_ST_SE_SF_SG_EUlST_E0_NS1_11comp_targetILNS1_3genE2ELNS1_11target_archE906ELNS1_3gpuE6ELNS1_3repE0EEENS1_38merge_mergepath_config_static_selectorELNS0_4arch9wavefront6targetE1EEEvSF_
                                        ; -- End function
	.section	.AMDGPU.csdata,"",@progbits
; Kernel info:
; codeLenInByte = 0
; NumSgprs: 4
; NumVgprs: 0
; NumAgprs: 0
; TotalNumVgprs: 0
; ScratchSize: 0
; MemoryBound: 0
; FloatMode: 240
; IeeeMode: 1
; LDSByteSize: 0 bytes/workgroup (compile time only)
; SGPRBlocks: 0
; VGPRBlocks: 0
; NumSGPRsForWavesPerEU: 4
; NumVGPRsForWavesPerEU: 1
; AccumOffset: 4
; Occupancy: 8
; WaveLimiterHint : 0
; COMPUTE_PGM_RSRC2:SCRATCH_EN: 0
; COMPUTE_PGM_RSRC2:USER_SGPR: 6
; COMPUTE_PGM_RSRC2:TRAP_HANDLER: 0
; COMPUTE_PGM_RSRC2:TGID_X_EN: 1
; COMPUTE_PGM_RSRC2:TGID_Y_EN: 0
; COMPUTE_PGM_RSRC2:TGID_Z_EN: 0
; COMPUTE_PGM_RSRC2:TIDIG_COMP_CNT: 0
; COMPUTE_PGM_RSRC3_GFX90A:ACCUM_OFFSET: 0
; COMPUTE_PGM_RSRC3_GFX90A:TG_SPLIT: 0
	.section	.text._ZN7rocprim17ROCPRIM_400000_NS6detail17trampoline_kernelINS0_14default_configENS1_38merge_sort_block_merge_config_selectorIcNS0_10empty_typeEEEZZNS1_27merge_sort_block_merge_implIS3_PcPS5_jNS1_19radix_merge_compareILb1ELb0EcNS0_19identity_decomposerEEEEE10hipError_tT0_T1_T2_jT3_P12ihipStream_tbPNSt15iterator_traitsISE_E10value_typeEPNSK_ISF_E10value_typeEPSG_NS1_7vsmem_tEENKUlT_SE_SF_SG_E_clIS8_S8_S9_S9_EESD_ST_SE_SF_SG_EUlST_E0_NS1_11comp_targetILNS1_3genE9ELNS1_11target_archE1100ELNS1_3gpuE3ELNS1_3repE0EEENS1_38merge_mergepath_config_static_selectorELNS0_4arch9wavefront6targetE1EEEvSF_,"axG",@progbits,_ZN7rocprim17ROCPRIM_400000_NS6detail17trampoline_kernelINS0_14default_configENS1_38merge_sort_block_merge_config_selectorIcNS0_10empty_typeEEEZZNS1_27merge_sort_block_merge_implIS3_PcPS5_jNS1_19radix_merge_compareILb1ELb0EcNS0_19identity_decomposerEEEEE10hipError_tT0_T1_T2_jT3_P12ihipStream_tbPNSt15iterator_traitsISE_E10value_typeEPNSK_ISF_E10value_typeEPSG_NS1_7vsmem_tEENKUlT_SE_SF_SG_E_clIS8_S8_S9_S9_EESD_ST_SE_SF_SG_EUlST_E0_NS1_11comp_targetILNS1_3genE9ELNS1_11target_archE1100ELNS1_3gpuE3ELNS1_3repE0EEENS1_38merge_mergepath_config_static_selectorELNS0_4arch9wavefront6targetE1EEEvSF_,comdat
	.protected	_ZN7rocprim17ROCPRIM_400000_NS6detail17trampoline_kernelINS0_14default_configENS1_38merge_sort_block_merge_config_selectorIcNS0_10empty_typeEEEZZNS1_27merge_sort_block_merge_implIS3_PcPS5_jNS1_19radix_merge_compareILb1ELb0EcNS0_19identity_decomposerEEEEE10hipError_tT0_T1_T2_jT3_P12ihipStream_tbPNSt15iterator_traitsISE_E10value_typeEPNSK_ISF_E10value_typeEPSG_NS1_7vsmem_tEENKUlT_SE_SF_SG_E_clIS8_S8_S9_S9_EESD_ST_SE_SF_SG_EUlST_E0_NS1_11comp_targetILNS1_3genE9ELNS1_11target_archE1100ELNS1_3gpuE3ELNS1_3repE0EEENS1_38merge_mergepath_config_static_selectorELNS0_4arch9wavefront6targetE1EEEvSF_ ; -- Begin function _ZN7rocprim17ROCPRIM_400000_NS6detail17trampoline_kernelINS0_14default_configENS1_38merge_sort_block_merge_config_selectorIcNS0_10empty_typeEEEZZNS1_27merge_sort_block_merge_implIS3_PcPS5_jNS1_19radix_merge_compareILb1ELb0EcNS0_19identity_decomposerEEEEE10hipError_tT0_T1_T2_jT3_P12ihipStream_tbPNSt15iterator_traitsISE_E10value_typeEPNSK_ISF_E10value_typeEPSG_NS1_7vsmem_tEENKUlT_SE_SF_SG_E_clIS8_S8_S9_S9_EESD_ST_SE_SF_SG_EUlST_E0_NS1_11comp_targetILNS1_3genE9ELNS1_11target_archE1100ELNS1_3gpuE3ELNS1_3repE0EEENS1_38merge_mergepath_config_static_selectorELNS0_4arch9wavefront6targetE1EEEvSF_
	.globl	_ZN7rocprim17ROCPRIM_400000_NS6detail17trampoline_kernelINS0_14default_configENS1_38merge_sort_block_merge_config_selectorIcNS0_10empty_typeEEEZZNS1_27merge_sort_block_merge_implIS3_PcPS5_jNS1_19radix_merge_compareILb1ELb0EcNS0_19identity_decomposerEEEEE10hipError_tT0_T1_T2_jT3_P12ihipStream_tbPNSt15iterator_traitsISE_E10value_typeEPNSK_ISF_E10value_typeEPSG_NS1_7vsmem_tEENKUlT_SE_SF_SG_E_clIS8_S8_S9_S9_EESD_ST_SE_SF_SG_EUlST_E0_NS1_11comp_targetILNS1_3genE9ELNS1_11target_archE1100ELNS1_3gpuE3ELNS1_3repE0EEENS1_38merge_mergepath_config_static_selectorELNS0_4arch9wavefront6targetE1EEEvSF_
	.p2align	8
	.type	_ZN7rocprim17ROCPRIM_400000_NS6detail17trampoline_kernelINS0_14default_configENS1_38merge_sort_block_merge_config_selectorIcNS0_10empty_typeEEEZZNS1_27merge_sort_block_merge_implIS3_PcPS5_jNS1_19radix_merge_compareILb1ELb0EcNS0_19identity_decomposerEEEEE10hipError_tT0_T1_T2_jT3_P12ihipStream_tbPNSt15iterator_traitsISE_E10value_typeEPNSK_ISF_E10value_typeEPSG_NS1_7vsmem_tEENKUlT_SE_SF_SG_E_clIS8_S8_S9_S9_EESD_ST_SE_SF_SG_EUlST_E0_NS1_11comp_targetILNS1_3genE9ELNS1_11target_archE1100ELNS1_3gpuE3ELNS1_3repE0EEENS1_38merge_mergepath_config_static_selectorELNS0_4arch9wavefront6targetE1EEEvSF_,@function
_ZN7rocprim17ROCPRIM_400000_NS6detail17trampoline_kernelINS0_14default_configENS1_38merge_sort_block_merge_config_selectorIcNS0_10empty_typeEEEZZNS1_27merge_sort_block_merge_implIS3_PcPS5_jNS1_19radix_merge_compareILb1ELb0EcNS0_19identity_decomposerEEEEE10hipError_tT0_T1_T2_jT3_P12ihipStream_tbPNSt15iterator_traitsISE_E10value_typeEPNSK_ISF_E10value_typeEPSG_NS1_7vsmem_tEENKUlT_SE_SF_SG_E_clIS8_S8_S9_S9_EESD_ST_SE_SF_SG_EUlST_E0_NS1_11comp_targetILNS1_3genE9ELNS1_11target_archE1100ELNS1_3gpuE3ELNS1_3repE0EEENS1_38merge_mergepath_config_static_selectorELNS0_4arch9wavefront6targetE1EEEvSF_: ; @_ZN7rocprim17ROCPRIM_400000_NS6detail17trampoline_kernelINS0_14default_configENS1_38merge_sort_block_merge_config_selectorIcNS0_10empty_typeEEEZZNS1_27merge_sort_block_merge_implIS3_PcPS5_jNS1_19radix_merge_compareILb1ELb0EcNS0_19identity_decomposerEEEEE10hipError_tT0_T1_T2_jT3_P12ihipStream_tbPNSt15iterator_traitsISE_E10value_typeEPNSK_ISF_E10value_typeEPSG_NS1_7vsmem_tEENKUlT_SE_SF_SG_E_clIS8_S8_S9_S9_EESD_ST_SE_SF_SG_EUlST_E0_NS1_11comp_targetILNS1_3genE9ELNS1_11target_archE1100ELNS1_3gpuE3ELNS1_3repE0EEENS1_38merge_mergepath_config_static_selectorELNS0_4arch9wavefront6targetE1EEEvSF_
; %bb.0:
	.section	.rodata,"a",@progbits
	.p2align	6, 0x0
	.amdhsa_kernel _ZN7rocprim17ROCPRIM_400000_NS6detail17trampoline_kernelINS0_14default_configENS1_38merge_sort_block_merge_config_selectorIcNS0_10empty_typeEEEZZNS1_27merge_sort_block_merge_implIS3_PcPS5_jNS1_19radix_merge_compareILb1ELb0EcNS0_19identity_decomposerEEEEE10hipError_tT0_T1_T2_jT3_P12ihipStream_tbPNSt15iterator_traitsISE_E10value_typeEPNSK_ISF_E10value_typeEPSG_NS1_7vsmem_tEENKUlT_SE_SF_SG_E_clIS8_S8_S9_S9_EESD_ST_SE_SF_SG_EUlST_E0_NS1_11comp_targetILNS1_3genE9ELNS1_11target_archE1100ELNS1_3gpuE3ELNS1_3repE0EEENS1_38merge_mergepath_config_static_selectorELNS0_4arch9wavefront6targetE1EEEvSF_
		.amdhsa_group_segment_fixed_size 0
		.amdhsa_private_segment_fixed_size 0
		.amdhsa_kernarg_size 64
		.amdhsa_user_sgpr_count 6
		.amdhsa_user_sgpr_private_segment_buffer 1
		.amdhsa_user_sgpr_dispatch_ptr 0
		.amdhsa_user_sgpr_queue_ptr 0
		.amdhsa_user_sgpr_kernarg_segment_ptr 1
		.amdhsa_user_sgpr_dispatch_id 0
		.amdhsa_user_sgpr_flat_scratch_init 0
		.amdhsa_user_sgpr_kernarg_preload_length 0
		.amdhsa_user_sgpr_kernarg_preload_offset 0
		.amdhsa_user_sgpr_private_segment_size 0
		.amdhsa_uses_dynamic_stack 0
		.amdhsa_system_sgpr_private_segment_wavefront_offset 0
		.amdhsa_system_sgpr_workgroup_id_x 1
		.amdhsa_system_sgpr_workgroup_id_y 0
		.amdhsa_system_sgpr_workgroup_id_z 0
		.amdhsa_system_sgpr_workgroup_info 0
		.amdhsa_system_vgpr_workitem_id 0
		.amdhsa_next_free_vgpr 1
		.amdhsa_next_free_sgpr 0
		.amdhsa_accum_offset 4
		.amdhsa_reserve_vcc 0
		.amdhsa_reserve_flat_scratch 0
		.amdhsa_float_round_mode_32 0
		.amdhsa_float_round_mode_16_64 0
		.amdhsa_float_denorm_mode_32 3
		.amdhsa_float_denorm_mode_16_64 3
		.amdhsa_dx10_clamp 1
		.amdhsa_ieee_mode 1
		.amdhsa_fp16_overflow 0
		.amdhsa_tg_split 0
		.amdhsa_exception_fp_ieee_invalid_op 0
		.amdhsa_exception_fp_denorm_src 0
		.amdhsa_exception_fp_ieee_div_zero 0
		.amdhsa_exception_fp_ieee_overflow 0
		.amdhsa_exception_fp_ieee_underflow 0
		.amdhsa_exception_fp_ieee_inexact 0
		.amdhsa_exception_int_div_zero 0
	.end_amdhsa_kernel
	.section	.text._ZN7rocprim17ROCPRIM_400000_NS6detail17trampoline_kernelINS0_14default_configENS1_38merge_sort_block_merge_config_selectorIcNS0_10empty_typeEEEZZNS1_27merge_sort_block_merge_implIS3_PcPS5_jNS1_19radix_merge_compareILb1ELb0EcNS0_19identity_decomposerEEEEE10hipError_tT0_T1_T2_jT3_P12ihipStream_tbPNSt15iterator_traitsISE_E10value_typeEPNSK_ISF_E10value_typeEPSG_NS1_7vsmem_tEENKUlT_SE_SF_SG_E_clIS8_S8_S9_S9_EESD_ST_SE_SF_SG_EUlST_E0_NS1_11comp_targetILNS1_3genE9ELNS1_11target_archE1100ELNS1_3gpuE3ELNS1_3repE0EEENS1_38merge_mergepath_config_static_selectorELNS0_4arch9wavefront6targetE1EEEvSF_,"axG",@progbits,_ZN7rocprim17ROCPRIM_400000_NS6detail17trampoline_kernelINS0_14default_configENS1_38merge_sort_block_merge_config_selectorIcNS0_10empty_typeEEEZZNS1_27merge_sort_block_merge_implIS3_PcPS5_jNS1_19radix_merge_compareILb1ELb0EcNS0_19identity_decomposerEEEEE10hipError_tT0_T1_T2_jT3_P12ihipStream_tbPNSt15iterator_traitsISE_E10value_typeEPNSK_ISF_E10value_typeEPSG_NS1_7vsmem_tEENKUlT_SE_SF_SG_E_clIS8_S8_S9_S9_EESD_ST_SE_SF_SG_EUlST_E0_NS1_11comp_targetILNS1_3genE9ELNS1_11target_archE1100ELNS1_3gpuE3ELNS1_3repE0EEENS1_38merge_mergepath_config_static_selectorELNS0_4arch9wavefront6targetE1EEEvSF_,comdat
.Lfunc_end1495:
	.size	_ZN7rocprim17ROCPRIM_400000_NS6detail17trampoline_kernelINS0_14default_configENS1_38merge_sort_block_merge_config_selectorIcNS0_10empty_typeEEEZZNS1_27merge_sort_block_merge_implIS3_PcPS5_jNS1_19radix_merge_compareILb1ELb0EcNS0_19identity_decomposerEEEEE10hipError_tT0_T1_T2_jT3_P12ihipStream_tbPNSt15iterator_traitsISE_E10value_typeEPNSK_ISF_E10value_typeEPSG_NS1_7vsmem_tEENKUlT_SE_SF_SG_E_clIS8_S8_S9_S9_EESD_ST_SE_SF_SG_EUlST_E0_NS1_11comp_targetILNS1_3genE9ELNS1_11target_archE1100ELNS1_3gpuE3ELNS1_3repE0EEENS1_38merge_mergepath_config_static_selectorELNS0_4arch9wavefront6targetE1EEEvSF_, .Lfunc_end1495-_ZN7rocprim17ROCPRIM_400000_NS6detail17trampoline_kernelINS0_14default_configENS1_38merge_sort_block_merge_config_selectorIcNS0_10empty_typeEEEZZNS1_27merge_sort_block_merge_implIS3_PcPS5_jNS1_19radix_merge_compareILb1ELb0EcNS0_19identity_decomposerEEEEE10hipError_tT0_T1_T2_jT3_P12ihipStream_tbPNSt15iterator_traitsISE_E10value_typeEPNSK_ISF_E10value_typeEPSG_NS1_7vsmem_tEENKUlT_SE_SF_SG_E_clIS8_S8_S9_S9_EESD_ST_SE_SF_SG_EUlST_E0_NS1_11comp_targetILNS1_3genE9ELNS1_11target_archE1100ELNS1_3gpuE3ELNS1_3repE0EEENS1_38merge_mergepath_config_static_selectorELNS0_4arch9wavefront6targetE1EEEvSF_
                                        ; -- End function
	.section	.AMDGPU.csdata,"",@progbits
; Kernel info:
; codeLenInByte = 0
; NumSgprs: 4
; NumVgprs: 0
; NumAgprs: 0
; TotalNumVgprs: 0
; ScratchSize: 0
; MemoryBound: 0
; FloatMode: 240
; IeeeMode: 1
; LDSByteSize: 0 bytes/workgroup (compile time only)
; SGPRBlocks: 0
; VGPRBlocks: 0
; NumSGPRsForWavesPerEU: 4
; NumVGPRsForWavesPerEU: 1
; AccumOffset: 4
; Occupancy: 8
; WaveLimiterHint : 0
; COMPUTE_PGM_RSRC2:SCRATCH_EN: 0
; COMPUTE_PGM_RSRC2:USER_SGPR: 6
; COMPUTE_PGM_RSRC2:TRAP_HANDLER: 0
; COMPUTE_PGM_RSRC2:TGID_X_EN: 1
; COMPUTE_PGM_RSRC2:TGID_Y_EN: 0
; COMPUTE_PGM_RSRC2:TGID_Z_EN: 0
; COMPUTE_PGM_RSRC2:TIDIG_COMP_CNT: 0
; COMPUTE_PGM_RSRC3_GFX90A:ACCUM_OFFSET: 0
; COMPUTE_PGM_RSRC3_GFX90A:TG_SPLIT: 0
	.section	.text._ZN7rocprim17ROCPRIM_400000_NS6detail17trampoline_kernelINS0_14default_configENS1_38merge_sort_block_merge_config_selectorIcNS0_10empty_typeEEEZZNS1_27merge_sort_block_merge_implIS3_PcPS5_jNS1_19radix_merge_compareILb1ELb0EcNS0_19identity_decomposerEEEEE10hipError_tT0_T1_T2_jT3_P12ihipStream_tbPNSt15iterator_traitsISE_E10value_typeEPNSK_ISF_E10value_typeEPSG_NS1_7vsmem_tEENKUlT_SE_SF_SG_E_clIS8_S8_S9_S9_EESD_ST_SE_SF_SG_EUlST_E0_NS1_11comp_targetILNS1_3genE8ELNS1_11target_archE1030ELNS1_3gpuE2ELNS1_3repE0EEENS1_38merge_mergepath_config_static_selectorELNS0_4arch9wavefront6targetE1EEEvSF_,"axG",@progbits,_ZN7rocprim17ROCPRIM_400000_NS6detail17trampoline_kernelINS0_14default_configENS1_38merge_sort_block_merge_config_selectorIcNS0_10empty_typeEEEZZNS1_27merge_sort_block_merge_implIS3_PcPS5_jNS1_19radix_merge_compareILb1ELb0EcNS0_19identity_decomposerEEEEE10hipError_tT0_T1_T2_jT3_P12ihipStream_tbPNSt15iterator_traitsISE_E10value_typeEPNSK_ISF_E10value_typeEPSG_NS1_7vsmem_tEENKUlT_SE_SF_SG_E_clIS8_S8_S9_S9_EESD_ST_SE_SF_SG_EUlST_E0_NS1_11comp_targetILNS1_3genE8ELNS1_11target_archE1030ELNS1_3gpuE2ELNS1_3repE0EEENS1_38merge_mergepath_config_static_selectorELNS0_4arch9wavefront6targetE1EEEvSF_,comdat
	.protected	_ZN7rocprim17ROCPRIM_400000_NS6detail17trampoline_kernelINS0_14default_configENS1_38merge_sort_block_merge_config_selectorIcNS0_10empty_typeEEEZZNS1_27merge_sort_block_merge_implIS3_PcPS5_jNS1_19radix_merge_compareILb1ELb0EcNS0_19identity_decomposerEEEEE10hipError_tT0_T1_T2_jT3_P12ihipStream_tbPNSt15iterator_traitsISE_E10value_typeEPNSK_ISF_E10value_typeEPSG_NS1_7vsmem_tEENKUlT_SE_SF_SG_E_clIS8_S8_S9_S9_EESD_ST_SE_SF_SG_EUlST_E0_NS1_11comp_targetILNS1_3genE8ELNS1_11target_archE1030ELNS1_3gpuE2ELNS1_3repE0EEENS1_38merge_mergepath_config_static_selectorELNS0_4arch9wavefront6targetE1EEEvSF_ ; -- Begin function _ZN7rocprim17ROCPRIM_400000_NS6detail17trampoline_kernelINS0_14default_configENS1_38merge_sort_block_merge_config_selectorIcNS0_10empty_typeEEEZZNS1_27merge_sort_block_merge_implIS3_PcPS5_jNS1_19radix_merge_compareILb1ELb0EcNS0_19identity_decomposerEEEEE10hipError_tT0_T1_T2_jT3_P12ihipStream_tbPNSt15iterator_traitsISE_E10value_typeEPNSK_ISF_E10value_typeEPSG_NS1_7vsmem_tEENKUlT_SE_SF_SG_E_clIS8_S8_S9_S9_EESD_ST_SE_SF_SG_EUlST_E0_NS1_11comp_targetILNS1_3genE8ELNS1_11target_archE1030ELNS1_3gpuE2ELNS1_3repE0EEENS1_38merge_mergepath_config_static_selectorELNS0_4arch9wavefront6targetE1EEEvSF_
	.globl	_ZN7rocprim17ROCPRIM_400000_NS6detail17trampoline_kernelINS0_14default_configENS1_38merge_sort_block_merge_config_selectorIcNS0_10empty_typeEEEZZNS1_27merge_sort_block_merge_implIS3_PcPS5_jNS1_19radix_merge_compareILb1ELb0EcNS0_19identity_decomposerEEEEE10hipError_tT0_T1_T2_jT3_P12ihipStream_tbPNSt15iterator_traitsISE_E10value_typeEPNSK_ISF_E10value_typeEPSG_NS1_7vsmem_tEENKUlT_SE_SF_SG_E_clIS8_S8_S9_S9_EESD_ST_SE_SF_SG_EUlST_E0_NS1_11comp_targetILNS1_3genE8ELNS1_11target_archE1030ELNS1_3gpuE2ELNS1_3repE0EEENS1_38merge_mergepath_config_static_selectorELNS0_4arch9wavefront6targetE1EEEvSF_
	.p2align	8
	.type	_ZN7rocprim17ROCPRIM_400000_NS6detail17trampoline_kernelINS0_14default_configENS1_38merge_sort_block_merge_config_selectorIcNS0_10empty_typeEEEZZNS1_27merge_sort_block_merge_implIS3_PcPS5_jNS1_19radix_merge_compareILb1ELb0EcNS0_19identity_decomposerEEEEE10hipError_tT0_T1_T2_jT3_P12ihipStream_tbPNSt15iterator_traitsISE_E10value_typeEPNSK_ISF_E10value_typeEPSG_NS1_7vsmem_tEENKUlT_SE_SF_SG_E_clIS8_S8_S9_S9_EESD_ST_SE_SF_SG_EUlST_E0_NS1_11comp_targetILNS1_3genE8ELNS1_11target_archE1030ELNS1_3gpuE2ELNS1_3repE0EEENS1_38merge_mergepath_config_static_selectorELNS0_4arch9wavefront6targetE1EEEvSF_,@function
_ZN7rocprim17ROCPRIM_400000_NS6detail17trampoline_kernelINS0_14default_configENS1_38merge_sort_block_merge_config_selectorIcNS0_10empty_typeEEEZZNS1_27merge_sort_block_merge_implIS3_PcPS5_jNS1_19radix_merge_compareILb1ELb0EcNS0_19identity_decomposerEEEEE10hipError_tT0_T1_T2_jT3_P12ihipStream_tbPNSt15iterator_traitsISE_E10value_typeEPNSK_ISF_E10value_typeEPSG_NS1_7vsmem_tEENKUlT_SE_SF_SG_E_clIS8_S8_S9_S9_EESD_ST_SE_SF_SG_EUlST_E0_NS1_11comp_targetILNS1_3genE8ELNS1_11target_archE1030ELNS1_3gpuE2ELNS1_3repE0EEENS1_38merge_mergepath_config_static_selectorELNS0_4arch9wavefront6targetE1EEEvSF_: ; @_ZN7rocprim17ROCPRIM_400000_NS6detail17trampoline_kernelINS0_14default_configENS1_38merge_sort_block_merge_config_selectorIcNS0_10empty_typeEEEZZNS1_27merge_sort_block_merge_implIS3_PcPS5_jNS1_19radix_merge_compareILb1ELb0EcNS0_19identity_decomposerEEEEE10hipError_tT0_T1_T2_jT3_P12ihipStream_tbPNSt15iterator_traitsISE_E10value_typeEPNSK_ISF_E10value_typeEPSG_NS1_7vsmem_tEENKUlT_SE_SF_SG_E_clIS8_S8_S9_S9_EESD_ST_SE_SF_SG_EUlST_E0_NS1_11comp_targetILNS1_3genE8ELNS1_11target_archE1030ELNS1_3gpuE2ELNS1_3repE0EEENS1_38merge_mergepath_config_static_selectorELNS0_4arch9wavefront6targetE1EEEvSF_
; %bb.0:
	.section	.rodata,"a",@progbits
	.p2align	6, 0x0
	.amdhsa_kernel _ZN7rocprim17ROCPRIM_400000_NS6detail17trampoline_kernelINS0_14default_configENS1_38merge_sort_block_merge_config_selectorIcNS0_10empty_typeEEEZZNS1_27merge_sort_block_merge_implIS3_PcPS5_jNS1_19radix_merge_compareILb1ELb0EcNS0_19identity_decomposerEEEEE10hipError_tT0_T1_T2_jT3_P12ihipStream_tbPNSt15iterator_traitsISE_E10value_typeEPNSK_ISF_E10value_typeEPSG_NS1_7vsmem_tEENKUlT_SE_SF_SG_E_clIS8_S8_S9_S9_EESD_ST_SE_SF_SG_EUlST_E0_NS1_11comp_targetILNS1_3genE8ELNS1_11target_archE1030ELNS1_3gpuE2ELNS1_3repE0EEENS1_38merge_mergepath_config_static_selectorELNS0_4arch9wavefront6targetE1EEEvSF_
		.amdhsa_group_segment_fixed_size 0
		.amdhsa_private_segment_fixed_size 0
		.amdhsa_kernarg_size 64
		.amdhsa_user_sgpr_count 6
		.amdhsa_user_sgpr_private_segment_buffer 1
		.amdhsa_user_sgpr_dispatch_ptr 0
		.amdhsa_user_sgpr_queue_ptr 0
		.amdhsa_user_sgpr_kernarg_segment_ptr 1
		.amdhsa_user_sgpr_dispatch_id 0
		.amdhsa_user_sgpr_flat_scratch_init 0
		.amdhsa_user_sgpr_kernarg_preload_length 0
		.amdhsa_user_sgpr_kernarg_preload_offset 0
		.amdhsa_user_sgpr_private_segment_size 0
		.amdhsa_uses_dynamic_stack 0
		.amdhsa_system_sgpr_private_segment_wavefront_offset 0
		.amdhsa_system_sgpr_workgroup_id_x 1
		.amdhsa_system_sgpr_workgroup_id_y 0
		.amdhsa_system_sgpr_workgroup_id_z 0
		.amdhsa_system_sgpr_workgroup_info 0
		.amdhsa_system_vgpr_workitem_id 0
		.amdhsa_next_free_vgpr 1
		.amdhsa_next_free_sgpr 0
		.amdhsa_accum_offset 4
		.amdhsa_reserve_vcc 0
		.amdhsa_reserve_flat_scratch 0
		.amdhsa_float_round_mode_32 0
		.amdhsa_float_round_mode_16_64 0
		.amdhsa_float_denorm_mode_32 3
		.amdhsa_float_denorm_mode_16_64 3
		.amdhsa_dx10_clamp 1
		.amdhsa_ieee_mode 1
		.amdhsa_fp16_overflow 0
		.amdhsa_tg_split 0
		.amdhsa_exception_fp_ieee_invalid_op 0
		.amdhsa_exception_fp_denorm_src 0
		.amdhsa_exception_fp_ieee_div_zero 0
		.amdhsa_exception_fp_ieee_overflow 0
		.amdhsa_exception_fp_ieee_underflow 0
		.amdhsa_exception_fp_ieee_inexact 0
		.amdhsa_exception_int_div_zero 0
	.end_amdhsa_kernel
	.section	.text._ZN7rocprim17ROCPRIM_400000_NS6detail17trampoline_kernelINS0_14default_configENS1_38merge_sort_block_merge_config_selectorIcNS0_10empty_typeEEEZZNS1_27merge_sort_block_merge_implIS3_PcPS5_jNS1_19radix_merge_compareILb1ELb0EcNS0_19identity_decomposerEEEEE10hipError_tT0_T1_T2_jT3_P12ihipStream_tbPNSt15iterator_traitsISE_E10value_typeEPNSK_ISF_E10value_typeEPSG_NS1_7vsmem_tEENKUlT_SE_SF_SG_E_clIS8_S8_S9_S9_EESD_ST_SE_SF_SG_EUlST_E0_NS1_11comp_targetILNS1_3genE8ELNS1_11target_archE1030ELNS1_3gpuE2ELNS1_3repE0EEENS1_38merge_mergepath_config_static_selectorELNS0_4arch9wavefront6targetE1EEEvSF_,"axG",@progbits,_ZN7rocprim17ROCPRIM_400000_NS6detail17trampoline_kernelINS0_14default_configENS1_38merge_sort_block_merge_config_selectorIcNS0_10empty_typeEEEZZNS1_27merge_sort_block_merge_implIS3_PcPS5_jNS1_19radix_merge_compareILb1ELb0EcNS0_19identity_decomposerEEEEE10hipError_tT0_T1_T2_jT3_P12ihipStream_tbPNSt15iterator_traitsISE_E10value_typeEPNSK_ISF_E10value_typeEPSG_NS1_7vsmem_tEENKUlT_SE_SF_SG_E_clIS8_S8_S9_S9_EESD_ST_SE_SF_SG_EUlST_E0_NS1_11comp_targetILNS1_3genE8ELNS1_11target_archE1030ELNS1_3gpuE2ELNS1_3repE0EEENS1_38merge_mergepath_config_static_selectorELNS0_4arch9wavefront6targetE1EEEvSF_,comdat
.Lfunc_end1496:
	.size	_ZN7rocprim17ROCPRIM_400000_NS6detail17trampoline_kernelINS0_14default_configENS1_38merge_sort_block_merge_config_selectorIcNS0_10empty_typeEEEZZNS1_27merge_sort_block_merge_implIS3_PcPS5_jNS1_19radix_merge_compareILb1ELb0EcNS0_19identity_decomposerEEEEE10hipError_tT0_T1_T2_jT3_P12ihipStream_tbPNSt15iterator_traitsISE_E10value_typeEPNSK_ISF_E10value_typeEPSG_NS1_7vsmem_tEENKUlT_SE_SF_SG_E_clIS8_S8_S9_S9_EESD_ST_SE_SF_SG_EUlST_E0_NS1_11comp_targetILNS1_3genE8ELNS1_11target_archE1030ELNS1_3gpuE2ELNS1_3repE0EEENS1_38merge_mergepath_config_static_selectorELNS0_4arch9wavefront6targetE1EEEvSF_, .Lfunc_end1496-_ZN7rocprim17ROCPRIM_400000_NS6detail17trampoline_kernelINS0_14default_configENS1_38merge_sort_block_merge_config_selectorIcNS0_10empty_typeEEEZZNS1_27merge_sort_block_merge_implIS3_PcPS5_jNS1_19radix_merge_compareILb1ELb0EcNS0_19identity_decomposerEEEEE10hipError_tT0_T1_T2_jT3_P12ihipStream_tbPNSt15iterator_traitsISE_E10value_typeEPNSK_ISF_E10value_typeEPSG_NS1_7vsmem_tEENKUlT_SE_SF_SG_E_clIS8_S8_S9_S9_EESD_ST_SE_SF_SG_EUlST_E0_NS1_11comp_targetILNS1_3genE8ELNS1_11target_archE1030ELNS1_3gpuE2ELNS1_3repE0EEENS1_38merge_mergepath_config_static_selectorELNS0_4arch9wavefront6targetE1EEEvSF_
                                        ; -- End function
	.section	.AMDGPU.csdata,"",@progbits
; Kernel info:
; codeLenInByte = 0
; NumSgprs: 4
; NumVgprs: 0
; NumAgprs: 0
; TotalNumVgprs: 0
; ScratchSize: 0
; MemoryBound: 0
; FloatMode: 240
; IeeeMode: 1
; LDSByteSize: 0 bytes/workgroup (compile time only)
; SGPRBlocks: 0
; VGPRBlocks: 0
; NumSGPRsForWavesPerEU: 4
; NumVGPRsForWavesPerEU: 1
; AccumOffset: 4
; Occupancy: 8
; WaveLimiterHint : 0
; COMPUTE_PGM_RSRC2:SCRATCH_EN: 0
; COMPUTE_PGM_RSRC2:USER_SGPR: 6
; COMPUTE_PGM_RSRC2:TRAP_HANDLER: 0
; COMPUTE_PGM_RSRC2:TGID_X_EN: 1
; COMPUTE_PGM_RSRC2:TGID_Y_EN: 0
; COMPUTE_PGM_RSRC2:TGID_Z_EN: 0
; COMPUTE_PGM_RSRC2:TIDIG_COMP_CNT: 0
; COMPUTE_PGM_RSRC3_GFX90A:ACCUM_OFFSET: 0
; COMPUTE_PGM_RSRC3_GFX90A:TG_SPLIT: 0
	.section	.text._ZN7rocprim17ROCPRIM_400000_NS6detail17trampoline_kernelINS0_14default_configENS1_38merge_sort_block_merge_config_selectorIcNS0_10empty_typeEEEZZNS1_27merge_sort_block_merge_implIS3_PcPS5_jNS1_19radix_merge_compareILb1ELb0EcNS0_19identity_decomposerEEEEE10hipError_tT0_T1_T2_jT3_P12ihipStream_tbPNSt15iterator_traitsISE_E10value_typeEPNSK_ISF_E10value_typeEPSG_NS1_7vsmem_tEENKUlT_SE_SF_SG_E_clIS8_S8_S9_S9_EESD_ST_SE_SF_SG_EUlST_E1_NS1_11comp_targetILNS1_3genE0ELNS1_11target_archE4294967295ELNS1_3gpuE0ELNS1_3repE0EEENS1_36merge_oddeven_config_static_selectorELNS0_4arch9wavefront6targetE1EEEvSF_,"axG",@progbits,_ZN7rocprim17ROCPRIM_400000_NS6detail17trampoline_kernelINS0_14default_configENS1_38merge_sort_block_merge_config_selectorIcNS0_10empty_typeEEEZZNS1_27merge_sort_block_merge_implIS3_PcPS5_jNS1_19radix_merge_compareILb1ELb0EcNS0_19identity_decomposerEEEEE10hipError_tT0_T1_T2_jT3_P12ihipStream_tbPNSt15iterator_traitsISE_E10value_typeEPNSK_ISF_E10value_typeEPSG_NS1_7vsmem_tEENKUlT_SE_SF_SG_E_clIS8_S8_S9_S9_EESD_ST_SE_SF_SG_EUlST_E1_NS1_11comp_targetILNS1_3genE0ELNS1_11target_archE4294967295ELNS1_3gpuE0ELNS1_3repE0EEENS1_36merge_oddeven_config_static_selectorELNS0_4arch9wavefront6targetE1EEEvSF_,comdat
	.protected	_ZN7rocprim17ROCPRIM_400000_NS6detail17trampoline_kernelINS0_14default_configENS1_38merge_sort_block_merge_config_selectorIcNS0_10empty_typeEEEZZNS1_27merge_sort_block_merge_implIS3_PcPS5_jNS1_19radix_merge_compareILb1ELb0EcNS0_19identity_decomposerEEEEE10hipError_tT0_T1_T2_jT3_P12ihipStream_tbPNSt15iterator_traitsISE_E10value_typeEPNSK_ISF_E10value_typeEPSG_NS1_7vsmem_tEENKUlT_SE_SF_SG_E_clIS8_S8_S9_S9_EESD_ST_SE_SF_SG_EUlST_E1_NS1_11comp_targetILNS1_3genE0ELNS1_11target_archE4294967295ELNS1_3gpuE0ELNS1_3repE0EEENS1_36merge_oddeven_config_static_selectorELNS0_4arch9wavefront6targetE1EEEvSF_ ; -- Begin function _ZN7rocprim17ROCPRIM_400000_NS6detail17trampoline_kernelINS0_14default_configENS1_38merge_sort_block_merge_config_selectorIcNS0_10empty_typeEEEZZNS1_27merge_sort_block_merge_implIS3_PcPS5_jNS1_19radix_merge_compareILb1ELb0EcNS0_19identity_decomposerEEEEE10hipError_tT0_T1_T2_jT3_P12ihipStream_tbPNSt15iterator_traitsISE_E10value_typeEPNSK_ISF_E10value_typeEPSG_NS1_7vsmem_tEENKUlT_SE_SF_SG_E_clIS8_S8_S9_S9_EESD_ST_SE_SF_SG_EUlST_E1_NS1_11comp_targetILNS1_3genE0ELNS1_11target_archE4294967295ELNS1_3gpuE0ELNS1_3repE0EEENS1_36merge_oddeven_config_static_selectorELNS0_4arch9wavefront6targetE1EEEvSF_
	.globl	_ZN7rocprim17ROCPRIM_400000_NS6detail17trampoline_kernelINS0_14default_configENS1_38merge_sort_block_merge_config_selectorIcNS0_10empty_typeEEEZZNS1_27merge_sort_block_merge_implIS3_PcPS5_jNS1_19radix_merge_compareILb1ELb0EcNS0_19identity_decomposerEEEEE10hipError_tT0_T1_T2_jT3_P12ihipStream_tbPNSt15iterator_traitsISE_E10value_typeEPNSK_ISF_E10value_typeEPSG_NS1_7vsmem_tEENKUlT_SE_SF_SG_E_clIS8_S8_S9_S9_EESD_ST_SE_SF_SG_EUlST_E1_NS1_11comp_targetILNS1_3genE0ELNS1_11target_archE4294967295ELNS1_3gpuE0ELNS1_3repE0EEENS1_36merge_oddeven_config_static_selectorELNS0_4arch9wavefront6targetE1EEEvSF_
	.p2align	8
	.type	_ZN7rocprim17ROCPRIM_400000_NS6detail17trampoline_kernelINS0_14default_configENS1_38merge_sort_block_merge_config_selectorIcNS0_10empty_typeEEEZZNS1_27merge_sort_block_merge_implIS3_PcPS5_jNS1_19radix_merge_compareILb1ELb0EcNS0_19identity_decomposerEEEEE10hipError_tT0_T1_T2_jT3_P12ihipStream_tbPNSt15iterator_traitsISE_E10value_typeEPNSK_ISF_E10value_typeEPSG_NS1_7vsmem_tEENKUlT_SE_SF_SG_E_clIS8_S8_S9_S9_EESD_ST_SE_SF_SG_EUlST_E1_NS1_11comp_targetILNS1_3genE0ELNS1_11target_archE4294967295ELNS1_3gpuE0ELNS1_3repE0EEENS1_36merge_oddeven_config_static_selectorELNS0_4arch9wavefront6targetE1EEEvSF_,@function
_ZN7rocprim17ROCPRIM_400000_NS6detail17trampoline_kernelINS0_14default_configENS1_38merge_sort_block_merge_config_selectorIcNS0_10empty_typeEEEZZNS1_27merge_sort_block_merge_implIS3_PcPS5_jNS1_19radix_merge_compareILb1ELb0EcNS0_19identity_decomposerEEEEE10hipError_tT0_T1_T2_jT3_P12ihipStream_tbPNSt15iterator_traitsISE_E10value_typeEPNSK_ISF_E10value_typeEPSG_NS1_7vsmem_tEENKUlT_SE_SF_SG_E_clIS8_S8_S9_S9_EESD_ST_SE_SF_SG_EUlST_E1_NS1_11comp_targetILNS1_3genE0ELNS1_11target_archE4294967295ELNS1_3gpuE0ELNS1_3repE0EEENS1_36merge_oddeven_config_static_selectorELNS0_4arch9wavefront6targetE1EEEvSF_: ; @_ZN7rocprim17ROCPRIM_400000_NS6detail17trampoline_kernelINS0_14default_configENS1_38merge_sort_block_merge_config_selectorIcNS0_10empty_typeEEEZZNS1_27merge_sort_block_merge_implIS3_PcPS5_jNS1_19radix_merge_compareILb1ELb0EcNS0_19identity_decomposerEEEEE10hipError_tT0_T1_T2_jT3_P12ihipStream_tbPNSt15iterator_traitsISE_E10value_typeEPNSK_ISF_E10value_typeEPSG_NS1_7vsmem_tEENKUlT_SE_SF_SG_E_clIS8_S8_S9_S9_EESD_ST_SE_SF_SG_EUlST_E1_NS1_11comp_targetILNS1_3genE0ELNS1_11target_archE4294967295ELNS1_3gpuE0ELNS1_3repE0EEENS1_36merge_oddeven_config_static_selectorELNS0_4arch9wavefront6targetE1EEEvSF_
; %bb.0:
	.section	.rodata,"a",@progbits
	.p2align	6, 0x0
	.amdhsa_kernel _ZN7rocprim17ROCPRIM_400000_NS6detail17trampoline_kernelINS0_14default_configENS1_38merge_sort_block_merge_config_selectorIcNS0_10empty_typeEEEZZNS1_27merge_sort_block_merge_implIS3_PcPS5_jNS1_19radix_merge_compareILb1ELb0EcNS0_19identity_decomposerEEEEE10hipError_tT0_T1_T2_jT3_P12ihipStream_tbPNSt15iterator_traitsISE_E10value_typeEPNSK_ISF_E10value_typeEPSG_NS1_7vsmem_tEENKUlT_SE_SF_SG_E_clIS8_S8_S9_S9_EESD_ST_SE_SF_SG_EUlST_E1_NS1_11comp_targetILNS1_3genE0ELNS1_11target_archE4294967295ELNS1_3gpuE0ELNS1_3repE0EEENS1_36merge_oddeven_config_static_selectorELNS0_4arch9wavefront6targetE1EEEvSF_
		.amdhsa_group_segment_fixed_size 0
		.amdhsa_private_segment_fixed_size 0
		.amdhsa_kernarg_size 48
		.amdhsa_user_sgpr_count 6
		.amdhsa_user_sgpr_private_segment_buffer 1
		.amdhsa_user_sgpr_dispatch_ptr 0
		.amdhsa_user_sgpr_queue_ptr 0
		.amdhsa_user_sgpr_kernarg_segment_ptr 1
		.amdhsa_user_sgpr_dispatch_id 0
		.amdhsa_user_sgpr_flat_scratch_init 0
		.amdhsa_user_sgpr_kernarg_preload_length 0
		.amdhsa_user_sgpr_kernarg_preload_offset 0
		.amdhsa_user_sgpr_private_segment_size 0
		.amdhsa_uses_dynamic_stack 0
		.amdhsa_system_sgpr_private_segment_wavefront_offset 0
		.amdhsa_system_sgpr_workgroup_id_x 1
		.amdhsa_system_sgpr_workgroup_id_y 0
		.amdhsa_system_sgpr_workgroup_id_z 0
		.amdhsa_system_sgpr_workgroup_info 0
		.amdhsa_system_vgpr_workitem_id 0
		.amdhsa_next_free_vgpr 1
		.amdhsa_next_free_sgpr 0
		.amdhsa_accum_offset 4
		.amdhsa_reserve_vcc 0
		.amdhsa_reserve_flat_scratch 0
		.amdhsa_float_round_mode_32 0
		.amdhsa_float_round_mode_16_64 0
		.amdhsa_float_denorm_mode_32 3
		.amdhsa_float_denorm_mode_16_64 3
		.amdhsa_dx10_clamp 1
		.amdhsa_ieee_mode 1
		.amdhsa_fp16_overflow 0
		.amdhsa_tg_split 0
		.amdhsa_exception_fp_ieee_invalid_op 0
		.amdhsa_exception_fp_denorm_src 0
		.amdhsa_exception_fp_ieee_div_zero 0
		.amdhsa_exception_fp_ieee_overflow 0
		.amdhsa_exception_fp_ieee_underflow 0
		.amdhsa_exception_fp_ieee_inexact 0
		.amdhsa_exception_int_div_zero 0
	.end_amdhsa_kernel
	.section	.text._ZN7rocprim17ROCPRIM_400000_NS6detail17trampoline_kernelINS0_14default_configENS1_38merge_sort_block_merge_config_selectorIcNS0_10empty_typeEEEZZNS1_27merge_sort_block_merge_implIS3_PcPS5_jNS1_19radix_merge_compareILb1ELb0EcNS0_19identity_decomposerEEEEE10hipError_tT0_T1_T2_jT3_P12ihipStream_tbPNSt15iterator_traitsISE_E10value_typeEPNSK_ISF_E10value_typeEPSG_NS1_7vsmem_tEENKUlT_SE_SF_SG_E_clIS8_S8_S9_S9_EESD_ST_SE_SF_SG_EUlST_E1_NS1_11comp_targetILNS1_3genE0ELNS1_11target_archE4294967295ELNS1_3gpuE0ELNS1_3repE0EEENS1_36merge_oddeven_config_static_selectorELNS0_4arch9wavefront6targetE1EEEvSF_,"axG",@progbits,_ZN7rocprim17ROCPRIM_400000_NS6detail17trampoline_kernelINS0_14default_configENS1_38merge_sort_block_merge_config_selectorIcNS0_10empty_typeEEEZZNS1_27merge_sort_block_merge_implIS3_PcPS5_jNS1_19radix_merge_compareILb1ELb0EcNS0_19identity_decomposerEEEEE10hipError_tT0_T1_T2_jT3_P12ihipStream_tbPNSt15iterator_traitsISE_E10value_typeEPNSK_ISF_E10value_typeEPSG_NS1_7vsmem_tEENKUlT_SE_SF_SG_E_clIS8_S8_S9_S9_EESD_ST_SE_SF_SG_EUlST_E1_NS1_11comp_targetILNS1_3genE0ELNS1_11target_archE4294967295ELNS1_3gpuE0ELNS1_3repE0EEENS1_36merge_oddeven_config_static_selectorELNS0_4arch9wavefront6targetE1EEEvSF_,comdat
.Lfunc_end1497:
	.size	_ZN7rocprim17ROCPRIM_400000_NS6detail17trampoline_kernelINS0_14default_configENS1_38merge_sort_block_merge_config_selectorIcNS0_10empty_typeEEEZZNS1_27merge_sort_block_merge_implIS3_PcPS5_jNS1_19radix_merge_compareILb1ELb0EcNS0_19identity_decomposerEEEEE10hipError_tT0_T1_T2_jT3_P12ihipStream_tbPNSt15iterator_traitsISE_E10value_typeEPNSK_ISF_E10value_typeEPSG_NS1_7vsmem_tEENKUlT_SE_SF_SG_E_clIS8_S8_S9_S9_EESD_ST_SE_SF_SG_EUlST_E1_NS1_11comp_targetILNS1_3genE0ELNS1_11target_archE4294967295ELNS1_3gpuE0ELNS1_3repE0EEENS1_36merge_oddeven_config_static_selectorELNS0_4arch9wavefront6targetE1EEEvSF_, .Lfunc_end1497-_ZN7rocprim17ROCPRIM_400000_NS6detail17trampoline_kernelINS0_14default_configENS1_38merge_sort_block_merge_config_selectorIcNS0_10empty_typeEEEZZNS1_27merge_sort_block_merge_implIS3_PcPS5_jNS1_19radix_merge_compareILb1ELb0EcNS0_19identity_decomposerEEEEE10hipError_tT0_T1_T2_jT3_P12ihipStream_tbPNSt15iterator_traitsISE_E10value_typeEPNSK_ISF_E10value_typeEPSG_NS1_7vsmem_tEENKUlT_SE_SF_SG_E_clIS8_S8_S9_S9_EESD_ST_SE_SF_SG_EUlST_E1_NS1_11comp_targetILNS1_3genE0ELNS1_11target_archE4294967295ELNS1_3gpuE0ELNS1_3repE0EEENS1_36merge_oddeven_config_static_selectorELNS0_4arch9wavefront6targetE1EEEvSF_
                                        ; -- End function
	.section	.AMDGPU.csdata,"",@progbits
; Kernel info:
; codeLenInByte = 0
; NumSgprs: 4
; NumVgprs: 0
; NumAgprs: 0
; TotalNumVgprs: 0
; ScratchSize: 0
; MemoryBound: 0
; FloatMode: 240
; IeeeMode: 1
; LDSByteSize: 0 bytes/workgroup (compile time only)
; SGPRBlocks: 0
; VGPRBlocks: 0
; NumSGPRsForWavesPerEU: 4
; NumVGPRsForWavesPerEU: 1
; AccumOffset: 4
; Occupancy: 8
; WaveLimiterHint : 0
; COMPUTE_PGM_RSRC2:SCRATCH_EN: 0
; COMPUTE_PGM_RSRC2:USER_SGPR: 6
; COMPUTE_PGM_RSRC2:TRAP_HANDLER: 0
; COMPUTE_PGM_RSRC2:TGID_X_EN: 1
; COMPUTE_PGM_RSRC2:TGID_Y_EN: 0
; COMPUTE_PGM_RSRC2:TGID_Z_EN: 0
; COMPUTE_PGM_RSRC2:TIDIG_COMP_CNT: 0
; COMPUTE_PGM_RSRC3_GFX90A:ACCUM_OFFSET: 0
; COMPUTE_PGM_RSRC3_GFX90A:TG_SPLIT: 0
	.section	.text._ZN7rocprim17ROCPRIM_400000_NS6detail17trampoline_kernelINS0_14default_configENS1_38merge_sort_block_merge_config_selectorIcNS0_10empty_typeEEEZZNS1_27merge_sort_block_merge_implIS3_PcPS5_jNS1_19radix_merge_compareILb1ELb0EcNS0_19identity_decomposerEEEEE10hipError_tT0_T1_T2_jT3_P12ihipStream_tbPNSt15iterator_traitsISE_E10value_typeEPNSK_ISF_E10value_typeEPSG_NS1_7vsmem_tEENKUlT_SE_SF_SG_E_clIS8_S8_S9_S9_EESD_ST_SE_SF_SG_EUlST_E1_NS1_11comp_targetILNS1_3genE10ELNS1_11target_archE1201ELNS1_3gpuE5ELNS1_3repE0EEENS1_36merge_oddeven_config_static_selectorELNS0_4arch9wavefront6targetE1EEEvSF_,"axG",@progbits,_ZN7rocprim17ROCPRIM_400000_NS6detail17trampoline_kernelINS0_14default_configENS1_38merge_sort_block_merge_config_selectorIcNS0_10empty_typeEEEZZNS1_27merge_sort_block_merge_implIS3_PcPS5_jNS1_19radix_merge_compareILb1ELb0EcNS0_19identity_decomposerEEEEE10hipError_tT0_T1_T2_jT3_P12ihipStream_tbPNSt15iterator_traitsISE_E10value_typeEPNSK_ISF_E10value_typeEPSG_NS1_7vsmem_tEENKUlT_SE_SF_SG_E_clIS8_S8_S9_S9_EESD_ST_SE_SF_SG_EUlST_E1_NS1_11comp_targetILNS1_3genE10ELNS1_11target_archE1201ELNS1_3gpuE5ELNS1_3repE0EEENS1_36merge_oddeven_config_static_selectorELNS0_4arch9wavefront6targetE1EEEvSF_,comdat
	.protected	_ZN7rocprim17ROCPRIM_400000_NS6detail17trampoline_kernelINS0_14default_configENS1_38merge_sort_block_merge_config_selectorIcNS0_10empty_typeEEEZZNS1_27merge_sort_block_merge_implIS3_PcPS5_jNS1_19radix_merge_compareILb1ELb0EcNS0_19identity_decomposerEEEEE10hipError_tT0_T1_T2_jT3_P12ihipStream_tbPNSt15iterator_traitsISE_E10value_typeEPNSK_ISF_E10value_typeEPSG_NS1_7vsmem_tEENKUlT_SE_SF_SG_E_clIS8_S8_S9_S9_EESD_ST_SE_SF_SG_EUlST_E1_NS1_11comp_targetILNS1_3genE10ELNS1_11target_archE1201ELNS1_3gpuE5ELNS1_3repE0EEENS1_36merge_oddeven_config_static_selectorELNS0_4arch9wavefront6targetE1EEEvSF_ ; -- Begin function _ZN7rocprim17ROCPRIM_400000_NS6detail17trampoline_kernelINS0_14default_configENS1_38merge_sort_block_merge_config_selectorIcNS0_10empty_typeEEEZZNS1_27merge_sort_block_merge_implIS3_PcPS5_jNS1_19radix_merge_compareILb1ELb0EcNS0_19identity_decomposerEEEEE10hipError_tT0_T1_T2_jT3_P12ihipStream_tbPNSt15iterator_traitsISE_E10value_typeEPNSK_ISF_E10value_typeEPSG_NS1_7vsmem_tEENKUlT_SE_SF_SG_E_clIS8_S8_S9_S9_EESD_ST_SE_SF_SG_EUlST_E1_NS1_11comp_targetILNS1_3genE10ELNS1_11target_archE1201ELNS1_3gpuE5ELNS1_3repE0EEENS1_36merge_oddeven_config_static_selectorELNS0_4arch9wavefront6targetE1EEEvSF_
	.globl	_ZN7rocprim17ROCPRIM_400000_NS6detail17trampoline_kernelINS0_14default_configENS1_38merge_sort_block_merge_config_selectorIcNS0_10empty_typeEEEZZNS1_27merge_sort_block_merge_implIS3_PcPS5_jNS1_19radix_merge_compareILb1ELb0EcNS0_19identity_decomposerEEEEE10hipError_tT0_T1_T2_jT3_P12ihipStream_tbPNSt15iterator_traitsISE_E10value_typeEPNSK_ISF_E10value_typeEPSG_NS1_7vsmem_tEENKUlT_SE_SF_SG_E_clIS8_S8_S9_S9_EESD_ST_SE_SF_SG_EUlST_E1_NS1_11comp_targetILNS1_3genE10ELNS1_11target_archE1201ELNS1_3gpuE5ELNS1_3repE0EEENS1_36merge_oddeven_config_static_selectorELNS0_4arch9wavefront6targetE1EEEvSF_
	.p2align	8
	.type	_ZN7rocprim17ROCPRIM_400000_NS6detail17trampoline_kernelINS0_14default_configENS1_38merge_sort_block_merge_config_selectorIcNS0_10empty_typeEEEZZNS1_27merge_sort_block_merge_implIS3_PcPS5_jNS1_19radix_merge_compareILb1ELb0EcNS0_19identity_decomposerEEEEE10hipError_tT0_T1_T2_jT3_P12ihipStream_tbPNSt15iterator_traitsISE_E10value_typeEPNSK_ISF_E10value_typeEPSG_NS1_7vsmem_tEENKUlT_SE_SF_SG_E_clIS8_S8_S9_S9_EESD_ST_SE_SF_SG_EUlST_E1_NS1_11comp_targetILNS1_3genE10ELNS1_11target_archE1201ELNS1_3gpuE5ELNS1_3repE0EEENS1_36merge_oddeven_config_static_selectorELNS0_4arch9wavefront6targetE1EEEvSF_,@function
_ZN7rocprim17ROCPRIM_400000_NS6detail17trampoline_kernelINS0_14default_configENS1_38merge_sort_block_merge_config_selectorIcNS0_10empty_typeEEEZZNS1_27merge_sort_block_merge_implIS3_PcPS5_jNS1_19radix_merge_compareILb1ELb0EcNS0_19identity_decomposerEEEEE10hipError_tT0_T1_T2_jT3_P12ihipStream_tbPNSt15iterator_traitsISE_E10value_typeEPNSK_ISF_E10value_typeEPSG_NS1_7vsmem_tEENKUlT_SE_SF_SG_E_clIS8_S8_S9_S9_EESD_ST_SE_SF_SG_EUlST_E1_NS1_11comp_targetILNS1_3genE10ELNS1_11target_archE1201ELNS1_3gpuE5ELNS1_3repE0EEENS1_36merge_oddeven_config_static_selectorELNS0_4arch9wavefront6targetE1EEEvSF_: ; @_ZN7rocprim17ROCPRIM_400000_NS6detail17trampoline_kernelINS0_14default_configENS1_38merge_sort_block_merge_config_selectorIcNS0_10empty_typeEEEZZNS1_27merge_sort_block_merge_implIS3_PcPS5_jNS1_19radix_merge_compareILb1ELb0EcNS0_19identity_decomposerEEEEE10hipError_tT0_T1_T2_jT3_P12ihipStream_tbPNSt15iterator_traitsISE_E10value_typeEPNSK_ISF_E10value_typeEPSG_NS1_7vsmem_tEENKUlT_SE_SF_SG_E_clIS8_S8_S9_S9_EESD_ST_SE_SF_SG_EUlST_E1_NS1_11comp_targetILNS1_3genE10ELNS1_11target_archE1201ELNS1_3gpuE5ELNS1_3repE0EEENS1_36merge_oddeven_config_static_selectorELNS0_4arch9wavefront6targetE1EEEvSF_
; %bb.0:
	.section	.rodata,"a",@progbits
	.p2align	6, 0x0
	.amdhsa_kernel _ZN7rocprim17ROCPRIM_400000_NS6detail17trampoline_kernelINS0_14default_configENS1_38merge_sort_block_merge_config_selectorIcNS0_10empty_typeEEEZZNS1_27merge_sort_block_merge_implIS3_PcPS5_jNS1_19radix_merge_compareILb1ELb0EcNS0_19identity_decomposerEEEEE10hipError_tT0_T1_T2_jT3_P12ihipStream_tbPNSt15iterator_traitsISE_E10value_typeEPNSK_ISF_E10value_typeEPSG_NS1_7vsmem_tEENKUlT_SE_SF_SG_E_clIS8_S8_S9_S9_EESD_ST_SE_SF_SG_EUlST_E1_NS1_11comp_targetILNS1_3genE10ELNS1_11target_archE1201ELNS1_3gpuE5ELNS1_3repE0EEENS1_36merge_oddeven_config_static_selectorELNS0_4arch9wavefront6targetE1EEEvSF_
		.amdhsa_group_segment_fixed_size 0
		.amdhsa_private_segment_fixed_size 0
		.amdhsa_kernarg_size 48
		.amdhsa_user_sgpr_count 6
		.amdhsa_user_sgpr_private_segment_buffer 1
		.amdhsa_user_sgpr_dispatch_ptr 0
		.amdhsa_user_sgpr_queue_ptr 0
		.amdhsa_user_sgpr_kernarg_segment_ptr 1
		.amdhsa_user_sgpr_dispatch_id 0
		.amdhsa_user_sgpr_flat_scratch_init 0
		.amdhsa_user_sgpr_kernarg_preload_length 0
		.amdhsa_user_sgpr_kernarg_preload_offset 0
		.amdhsa_user_sgpr_private_segment_size 0
		.amdhsa_uses_dynamic_stack 0
		.amdhsa_system_sgpr_private_segment_wavefront_offset 0
		.amdhsa_system_sgpr_workgroup_id_x 1
		.amdhsa_system_sgpr_workgroup_id_y 0
		.amdhsa_system_sgpr_workgroup_id_z 0
		.amdhsa_system_sgpr_workgroup_info 0
		.amdhsa_system_vgpr_workitem_id 0
		.amdhsa_next_free_vgpr 1
		.amdhsa_next_free_sgpr 0
		.amdhsa_accum_offset 4
		.amdhsa_reserve_vcc 0
		.amdhsa_reserve_flat_scratch 0
		.amdhsa_float_round_mode_32 0
		.amdhsa_float_round_mode_16_64 0
		.amdhsa_float_denorm_mode_32 3
		.amdhsa_float_denorm_mode_16_64 3
		.amdhsa_dx10_clamp 1
		.amdhsa_ieee_mode 1
		.amdhsa_fp16_overflow 0
		.amdhsa_tg_split 0
		.amdhsa_exception_fp_ieee_invalid_op 0
		.amdhsa_exception_fp_denorm_src 0
		.amdhsa_exception_fp_ieee_div_zero 0
		.amdhsa_exception_fp_ieee_overflow 0
		.amdhsa_exception_fp_ieee_underflow 0
		.amdhsa_exception_fp_ieee_inexact 0
		.amdhsa_exception_int_div_zero 0
	.end_amdhsa_kernel
	.section	.text._ZN7rocprim17ROCPRIM_400000_NS6detail17trampoline_kernelINS0_14default_configENS1_38merge_sort_block_merge_config_selectorIcNS0_10empty_typeEEEZZNS1_27merge_sort_block_merge_implIS3_PcPS5_jNS1_19radix_merge_compareILb1ELb0EcNS0_19identity_decomposerEEEEE10hipError_tT0_T1_T2_jT3_P12ihipStream_tbPNSt15iterator_traitsISE_E10value_typeEPNSK_ISF_E10value_typeEPSG_NS1_7vsmem_tEENKUlT_SE_SF_SG_E_clIS8_S8_S9_S9_EESD_ST_SE_SF_SG_EUlST_E1_NS1_11comp_targetILNS1_3genE10ELNS1_11target_archE1201ELNS1_3gpuE5ELNS1_3repE0EEENS1_36merge_oddeven_config_static_selectorELNS0_4arch9wavefront6targetE1EEEvSF_,"axG",@progbits,_ZN7rocprim17ROCPRIM_400000_NS6detail17trampoline_kernelINS0_14default_configENS1_38merge_sort_block_merge_config_selectorIcNS0_10empty_typeEEEZZNS1_27merge_sort_block_merge_implIS3_PcPS5_jNS1_19radix_merge_compareILb1ELb0EcNS0_19identity_decomposerEEEEE10hipError_tT0_T1_T2_jT3_P12ihipStream_tbPNSt15iterator_traitsISE_E10value_typeEPNSK_ISF_E10value_typeEPSG_NS1_7vsmem_tEENKUlT_SE_SF_SG_E_clIS8_S8_S9_S9_EESD_ST_SE_SF_SG_EUlST_E1_NS1_11comp_targetILNS1_3genE10ELNS1_11target_archE1201ELNS1_3gpuE5ELNS1_3repE0EEENS1_36merge_oddeven_config_static_selectorELNS0_4arch9wavefront6targetE1EEEvSF_,comdat
.Lfunc_end1498:
	.size	_ZN7rocprim17ROCPRIM_400000_NS6detail17trampoline_kernelINS0_14default_configENS1_38merge_sort_block_merge_config_selectorIcNS0_10empty_typeEEEZZNS1_27merge_sort_block_merge_implIS3_PcPS5_jNS1_19radix_merge_compareILb1ELb0EcNS0_19identity_decomposerEEEEE10hipError_tT0_T1_T2_jT3_P12ihipStream_tbPNSt15iterator_traitsISE_E10value_typeEPNSK_ISF_E10value_typeEPSG_NS1_7vsmem_tEENKUlT_SE_SF_SG_E_clIS8_S8_S9_S9_EESD_ST_SE_SF_SG_EUlST_E1_NS1_11comp_targetILNS1_3genE10ELNS1_11target_archE1201ELNS1_3gpuE5ELNS1_3repE0EEENS1_36merge_oddeven_config_static_selectorELNS0_4arch9wavefront6targetE1EEEvSF_, .Lfunc_end1498-_ZN7rocprim17ROCPRIM_400000_NS6detail17trampoline_kernelINS0_14default_configENS1_38merge_sort_block_merge_config_selectorIcNS0_10empty_typeEEEZZNS1_27merge_sort_block_merge_implIS3_PcPS5_jNS1_19radix_merge_compareILb1ELb0EcNS0_19identity_decomposerEEEEE10hipError_tT0_T1_T2_jT3_P12ihipStream_tbPNSt15iterator_traitsISE_E10value_typeEPNSK_ISF_E10value_typeEPSG_NS1_7vsmem_tEENKUlT_SE_SF_SG_E_clIS8_S8_S9_S9_EESD_ST_SE_SF_SG_EUlST_E1_NS1_11comp_targetILNS1_3genE10ELNS1_11target_archE1201ELNS1_3gpuE5ELNS1_3repE0EEENS1_36merge_oddeven_config_static_selectorELNS0_4arch9wavefront6targetE1EEEvSF_
                                        ; -- End function
	.section	.AMDGPU.csdata,"",@progbits
; Kernel info:
; codeLenInByte = 0
; NumSgprs: 4
; NumVgprs: 0
; NumAgprs: 0
; TotalNumVgprs: 0
; ScratchSize: 0
; MemoryBound: 0
; FloatMode: 240
; IeeeMode: 1
; LDSByteSize: 0 bytes/workgroup (compile time only)
; SGPRBlocks: 0
; VGPRBlocks: 0
; NumSGPRsForWavesPerEU: 4
; NumVGPRsForWavesPerEU: 1
; AccumOffset: 4
; Occupancy: 8
; WaveLimiterHint : 0
; COMPUTE_PGM_RSRC2:SCRATCH_EN: 0
; COMPUTE_PGM_RSRC2:USER_SGPR: 6
; COMPUTE_PGM_RSRC2:TRAP_HANDLER: 0
; COMPUTE_PGM_RSRC2:TGID_X_EN: 1
; COMPUTE_PGM_RSRC2:TGID_Y_EN: 0
; COMPUTE_PGM_RSRC2:TGID_Z_EN: 0
; COMPUTE_PGM_RSRC2:TIDIG_COMP_CNT: 0
; COMPUTE_PGM_RSRC3_GFX90A:ACCUM_OFFSET: 0
; COMPUTE_PGM_RSRC3_GFX90A:TG_SPLIT: 0
	.section	.text._ZN7rocprim17ROCPRIM_400000_NS6detail17trampoline_kernelINS0_14default_configENS1_38merge_sort_block_merge_config_selectorIcNS0_10empty_typeEEEZZNS1_27merge_sort_block_merge_implIS3_PcPS5_jNS1_19radix_merge_compareILb1ELb0EcNS0_19identity_decomposerEEEEE10hipError_tT0_T1_T2_jT3_P12ihipStream_tbPNSt15iterator_traitsISE_E10value_typeEPNSK_ISF_E10value_typeEPSG_NS1_7vsmem_tEENKUlT_SE_SF_SG_E_clIS8_S8_S9_S9_EESD_ST_SE_SF_SG_EUlST_E1_NS1_11comp_targetILNS1_3genE5ELNS1_11target_archE942ELNS1_3gpuE9ELNS1_3repE0EEENS1_36merge_oddeven_config_static_selectorELNS0_4arch9wavefront6targetE1EEEvSF_,"axG",@progbits,_ZN7rocprim17ROCPRIM_400000_NS6detail17trampoline_kernelINS0_14default_configENS1_38merge_sort_block_merge_config_selectorIcNS0_10empty_typeEEEZZNS1_27merge_sort_block_merge_implIS3_PcPS5_jNS1_19radix_merge_compareILb1ELb0EcNS0_19identity_decomposerEEEEE10hipError_tT0_T1_T2_jT3_P12ihipStream_tbPNSt15iterator_traitsISE_E10value_typeEPNSK_ISF_E10value_typeEPSG_NS1_7vsmem_tEENKUlT_SE_SF_SG_E_clIS8_S8_S9_S9_EESD_ST_SE_SF_SG_EUlST_E1_NS1_11comp_targetILNS1_3genE5ELNS1_11target_archE942ELNS1_3gpuE9ELNS1_3repE0EEENS1_36merge_oddeven_config_static_selectorELNS0_4arch9wavefront6targetE1EEEvSF_,comdat
	.protected	_ZN7rocprim17ROCPRIM_400000_NS6detail17trampoline_kernelINS0_14default_configENS1_38merge_sort_block_merge_config_selectorIcNS0_10empty_typeEEEZZNS1_27merge_sort_block_merge_implIS3_PcPS5_jNS1_19radix_merge_compareILb1ELb0EcNS0_19identity_decomposerEEEEE10hipError_tT0_T1_T2_jT3_P12ihipStream_tbPNSt15iterator_traitsISE_E10value_typeEPNSK_ISF_E10value_typeEPSG_NS1_7vsmem_tEENKUlT_SE_SF_SG_E_clIS8_S8_S9_S9_EESD_ST_SE_SF_SG_EUlST_E1_NS1_11comp_targetILNS1_3genE5ELNS1_11target_archE942ELNS1_3gpuE9ELNS1_3repE0EEENS1_36merge_oddeven_config_static_selectorELNS0_4arch9wavefront6targetE1EEEvSF_ ; -- Begin function _ZN7rocprim17ROCPRIM_400000_NS6detail17trampoline_kernelINS0_14default_configENS1_38merge_sort_block_merge_config_selectorIcNS0_10empty_typeEEEZZNS1_27merge_sort_block_merge_implIS3_PcPS5_jNS1_19radix_merge_compareILb1ELb0EcNS0_19identity_decomposerEEEEE10hipError_tT0_T1_T2_jT3_P12ihipStream_tbPNSt15iterator_traitsISE_E10value_typeEPNSK_ISF_E10value_typeEPSG_NS1_7vsmem_tEENKUlT_SE_SF_SG_E_clIS8_S8_S9_S9_EESD_ST_SE_SF_SG_EUlST_E1_NS1_11comp_targetILNS1_3genE5ELNS1_11target_archE942ELNS1_3gpuE9ELNS1_3repE0EEENS1_36merge_oddeven_config_static_selectorELNS0_4arch9wavefront6targetE1EEEvSF_
	.globl	_ZN7rocprim17ROCPRIM_400000_NS6detail17trampoline_kernelINS0_14default_configENS1_38merge_sort_block_merge_config_selectorIcNS0_10empty_typeEEEZZNS1_27merge_sort_block_merge_implIS3_PcPS5_jNS1_19radix_merge_compareILb1ELb0EcNS0_19identity_decomposerEEEEE10hipError_tT0_T1_T2_jT3_P12ihipStream_tbPNSt15iterator_traitsISE_E10value_typeEPNSK_ISF_E10value_typeEPSG_NS1_7vsmem_tEENKUlT_SE_SF_SG_E_clIS8_S8_S9_S9_EESD_ST_SE_SF_SG_EUlST_E1_NS1_11comp_targetILNS1_3genE5ELNS1_11target_archE942ELNS1_3gpuE9ELNS1_3repE0EEENS1_36merge_oddeven_config_static_selectorELNS0_4arch9wavefront6targetE1EEEvSF_
	.p2align	8
	.type	_ZN7rocprim17ROCPRIM_400000_NS6detail17trampoline_kernelINS0_14default_configENS1_38merge_sort_block_merge_config_selectorIcNS0_10empty_typeEEEZZNS1_27merge_sort_block_merge_implIS3_PcPS5_jNS1_19radix_merge_compareILb1ELb0EcNS0_19identity_decomposerEEEEE10hipError_tT0_T1_T2_jT3_P12ihipStream_tbPNSt15iterator_traitsISE_E10value_typeEPNSK_ISF_E10value_typeEPSG_NS1_7vsmem_tEENKUlT_SE_SF_SG_E_clIS8_S8_S9_S9_EESD_ST_SE_SF_SG_EUlST_E1_NS1_11comp_targetILNS1_3genE5ELNS1_11target_archE942ELNS1_3gpuE9ELNS1_3repE0EEENS1_36merge_oddeven_config_static_selectorELNS0_4arch9wavefront6targetE1EEEvSF_,@function
_ZN7rocprim17ROCPRIM_400000_NS6detail17trampoline_kernelINS0_14default_configENS1_38merge_sort_block_merge_config_selectorIcNS0_10empty_typeEEEZZNS1_27merge_sort_block_merge_implIS3_PcPS5_jNS1_19radix_merge_compareILb1ELb0EcNS0_19identity_decomposerEEEEE10hipError_tT0_T1_T2_jT3_P12ihipStream_tbPNSt15iterator_traitsISE_E10value_typeEPNSK_ISF_E10value_typeEPSG_NS1_7vsmem_tEENKUlT_SE_SF_SG_E_clIS8_S8_S9_S9_EESD_ST_SE_SF_SG_EUlST_E1_NS1_11comp_targetILNS1_3genE5ELNS1_11target_archE942ELNS1_3gpuE9ELNS1_3repE0EEENS1_36merge_oddeven_config_static_selectorELNS0_4arch9wavefront6targetE1EEEvSF_: ; @_ZN7rocprim17ROCPRIM_400000_NS6detail17trampoline_kernelINS0_14default_configENS1_38merge_sort_block_merge_config_selectorIcNS0_10empty_typeEEEZZNS1_27merge_sort_block_merge_implIS3_PcPS5_jNS1_19radix_merge_compareILb1ELb0EcNS0_19identity_decomposerEEEEE10hipError_tT0_T1_T2_jT3_P12ihipStream_tbPNSt15iterator_traitsISE_E10value_typeEPNSK_ISF_E10value_typeEPSG_NS1_7vsmem_tEENKUlT_SE_SF_SG_E_clIS8_S8_S9_S9_EESD_ST_SE_SF_SG_EUlST_E1_NS1_11comp_targetILNS1_3genE5ELNS1_11target_archE942ELNS1_3gpuE9ELNS1_3repE0EEENS1_36merge_oddeven_config_static_selectorELNS0_4arch9wavefront6targetE1EEEvSF_
; %bb.0:
	.section	.rodata,"a",@progbits
	.p2align	6, 0x0
	.amdhsa_kernel _ZN7rocprim17ROCPRIM_400000_NS6detail17trampoline_kernelINS0_14default_configENS1_38merge_sort_block_merge_config_selectorIcNS0_10empty_typeEEEZZNS1_27merge_sort_block_merge_implIS3_PcPS5_jNS1_19radix_merge_compareILb1ELb0EcNS0_19identity_decomposerEEEEE10hipError_tT0_T1_T2_jT3_P12ihipStream_tbPNSt15iterator_traitsISE_E10value_typeEPNSK_ISF_E10value_typeEPSG_NS1_7vsmem_tEENKUlT_SE_SF_SG_E_clIS8_S8_S9_S9_EESD_ST_SE_SF_SG_EUlST_E1_NS1_11comp_targetILNS1_3genE5ELNS1_11target_archE942ELNS1_3gpuE9ELNS1_3repE0EEENS1_36merge_oddeven_config_static_selectorELNS0_4arch9wavefront6targetE1EEEvSF_
		.amdhsa_group_segment_fixed_size 0
		.amdhsa_private_segment_fixed_size 0
		.amdhsa_kernarg_size 48
		.amdhsa_user_sgpr_count 6
		.amdhsa_user_sgpr_private_segment_buffer 1
		.amdhsa_user_sgpr_dispatch_ptr 0
		.amdhsa_user_sgpr_queue_ptr 0
		.amdhsa_user_sgpr_kernarg_segment_ptr 1
		.amdhsa_user_sgpr_dispatch_id 0
		.amdhsa_user_sgpr_flat_scratch_init 0
		.amdhsa_user_sgpr_kernarg_preload_length 0
		.amdhsa_user_sgpr_kernarg_preload_offset 0
		.amdhsa_user_sgpr_private_segment_size 0
		.amdhsa_uses_dynamic_stack 0
		.amdhsa_system_sgpr_private_segment_wavefront_offset 0
		.amdhsa_system_sgpr_workgroup_id_x 1
		.amdhsa_system_sgpr_workgroup_id_y 0
		.amdhsa_system_sgpr_workgroup_id_z 0
		.amdhsa_system_sgpr_workgroup_info 0
		.amdhsa_system_vgpr_workitem_id 0
		.amdhsa_next_free_vgpr 1
		.amdhsa_next_free_sgpr 0
		.amdhsa_accum_offset 4
		.amdhsa_reserve_vcc 0
		.amdhsa_reserve_flat_scratch 0
		.amdhsa_float_round_mode_32 0
		.amdhsa_float_round_mode_16_64 0
		.amdhsa_float_denorm_mode_32 3
		.amdhsa_float_denorm_mode_16_64 3
		.amdhsa_dx10_clamp 1
		.amdhsa_ieee_mode 1
		.amdhsa_fp16_overflow 0
		.amdhsa_tg_split 0
		.amdhsa_exception_fp_ieee_invalid_op 0
		.amdhsa_exception_fp_denorm_src 0
		.amdhsa_exception_fp_ieee_div_zero 0
		.amdhsa_exception_fp_ieee_overflow 0
		.amdhsa_exception_fp_ieee_underflow 0
		.amdhsa_exception_fp_ieee_inexact 0
		.amdhsa_exception_int_div_zero 0
	.end_amdhsa_kernel
	.section	.text._ZN7rocprim17ROCPRIM_400000_NS6detail17trampoline_kernelINS0_14default_configENS1_38merge_sort_block_merge_config_selectorIcNS0_10empty_typeEEEZZNS1_27merge_sort_block_merge_implIS3_PcPS5_jNS1_19radix_merge_compareILb1ELb0EcNS0_19identity_decomposerEEEEE10hipError_tT0_T1_T2_jT3_P12ihipStream_tbPNSt15iterator_traitsISE_E10value_typeEPNSK_ISF_E10value_typeEPSG_NS1_7vsmem_tEENKUlT_SE_SF_SG_E_clIS8_S8_S9_S9_EESD_ST_SE_SF_SG_EUlST_E1_NS1_11comp_targetILNS1_3genE5ELNS1_11target_archE942ELNS1_3gpuE9ELNS1_3repE0EEENS1_36merge_oddeven_config_static_selectorELNS0_4arch9wavefront6targetE1EEEvSF_,"axG",@progbits,_ZN7rocprim17ROCPRIM_400000_NS6detail17trampoline_kernelINS0_14default_configENS1_38merge_sort_block_merge_config_selectorIcNS0_10empty_typeEEEZZNS1_27merge_sort_block_merge_implIS3_PcPS5_jNS1_19radix_merge_compareILb1ELb0EcNS0_19identity_decomposerEEEEE10hipError_tT0_T1_T2_jT3_P12ihipStream_tbPNSt15iterator_traitsISE_E10value_typeEPNSK_ISF_E10value_typeEPSG_NS1_7vsmem_tEENKUlT_SE_SF_SG_E_clIS8_S8_S9_S9_EESD_ST_SE_SF_SG_EUlST_E1_NS1_11comp_targetILNS1_3genE5ELNS1_11target_archE942ELNS1_3gpuE9ELNS1_3repE0EEENS1_36merge_oddeven_config_static_selectorELNS0_4arch9wavefront6targetE1EEEvSF_,comdat
.Lfunc_end1499:
	.size	_ZN7rocprim17ROCPRIM_400000_NS6detail17trampoline_kernelINS0_14default_configENS1_38merge_sort_block_merge_config_selectorIcNS0_10empty_typeEEEZZNS1_27merge_sort_block_merge_implIS3_PcPS5_jNS1_19radix_merge_compareILb1ELb0EcNS0_19identity_decomposerEEEEE10hipError_tT0_T1_T2_jT3_P12ihipStream_tbPNSt15iterator_traitsISE_E10value_typeEPNSK_ISF_E10value_typeEPSG_NS1_7vsmem_tEENKUlT_SE_SF_SG_E_clIS8_S8_S9_S9_EESD_ST_SE_SF_SG_EUlST_E1_NS1_11comp_targetILNS1_3genE5ELNS1_11target_archE942ELNS1_3gpuE9ELNS1_3repE0EEENS1_36merge_oddeven_config_static_selectorELNS0_4arch9wavefront6targetE1EEEvSF_, .Lfunc_end1499-_ZN7rocprim17ROCPRIM_400000_NS6detail17trampoline_kernelINS0_14default_configENS1_38merge_sort_block_merge_config_selectorIcNS0_10empty_typeEEEZZNS1_27merge_sort_block_merge_implIS3_PcPS5_jNS1_19radix_merge_compareILb1ELb0EcNS0_19identity_decomposerEEEEE10hipError_tT0_T1_T2_jT3_P12ihipStream_tbPNSt15iterator_traitsISE_E10value_typeEPNSK_ISF_E10value_typeEPSG_NS1_7vsmem_tEENKUlT_SE_SF_SG_E_clIS8_S8_S9_S9_EESD_ST_SE_SF_SG_EUlST_E1_NS1_11comp_targetILNS1_3genE5ELNS1_11target_archE942ELNS1_3gpuE9ELNS1_3repE0EEENS1_36merge_oddeven_config_static_selectorELNS0_4arch9wavefront6targetE1EEEvSF_
                                        ; -- End function
	.section	.AMDGPU.csdata,"",@progbits
; Kernel info:
; codeLenInByte = 0
; NumSgprs: 4
; NumVgprs: 0
; NumAgprs: 0
; TotalNumVgprs: 0
; ScratchSize: 0
; MemoryBound: 0
; FloatMode: 240
; IeeeMode: 1
; LDSByteSize: 0 bytes/workgroup (compile time only)
; SGPRBlocks: 0
; VGPRBlocks: 0
; NumSGPRsForWavesPerEU: 4
; NumVGPRsForWavesPerEU: 1
; AccumOffset: 4
; Occupancy: 8
; WaveLimiterHint : 0
; COMPUTE_PGM_RSRC2:SCRATCH_EN: 0
; COMPUTE_PGM_RSRC2:USER_SGPR: 6
; COMPUTE_PGM_RSRC2:TRAP_HANDLER: 0
; COMPUTE_PGM_RSRC2:TGID_X_EN: 1
; COMPUTE_PGM_RSRC2:TGID_Y_EN: 0
; COMPUTE_PGM_RSRC2:TGID_Z_EN: 0
; COMPUTE_PGM_RSRC2:TIDIG_COMP_CNT: 0
; COMPUTE_PGM_RSRC3_GFX90A:ACCUM_OFFSET: 0
; COMPUTE_PGM_RSRC3_GFX90A:TG_SPLIT: 0
	.section	.text._ZN7rocprim17ROCPRIM_400000_NS6detail17trampoline_kernelINS0_14default_configENS1_38merge_sort_block_merge_config_selectorIcNS0_10empty_typeEEEZZNS1_27merge_sort_block_merge_implIS3_PcPS5_jNS1_19radix_merge_compareILb1ELb0EcNS0_19identity_decomposerEEEEE10hipError_tT0_T1_T2_jT3_P12ihipStream_tbPNSt15iterator_traitsISE_E10value_typeEPNSK_ISF_E10value_typeEPSG_NS1_7vsmem_tEENKUlT_SE_SF_SG_E_clIS8_S8_S9_S9_EESD_ST_SE_SF_SG_EUlST_E1_NS1_11comp_targetILNS1_3genE4ELNS1_11target_archE910ELNS1_3gpuE8ELNS1_3repE0EEENS1_36merge_oddeven_config_static_selectorELNS0_4arch9wavefront6targetE1EEEvSF_,"axG",@progbits,_ZN7rocprim17ROCPRIM_400000_NS6detail17trampoline_kernelINS0_14default_configENS1_38merge_sort_block_merge_config_selectorIcNS0_10empty_typeEEEZZNS1_27merge_sort_block_merge_implIS3_PcPS5_jNS1_19radix_merge_compareILb1ELb0EcNS0_19identity_decomposerEEEEE10hipError_tT0_T1_T2_jT3_P12ihipStream_tbPNSt15iterator_traitsISE_E10value_typeEPNSK_ISF_E10value_typeEPSG_NS1_7vsmem_tEENKUlT_SE_SF_SG_E_clIS8_S8_S9_S9_EESD_ST_SE_SF_SG_EUlST_E1_NS1_11comp_targetILNS1_3genE4ELNS1_11target_archE910ELNS1_3gpuE8ELNS1_3repE0EEENS1_36merge_oddeven_config_static_selectorELNS0_4arch9wavefront6targetE1EEEvSF_,comdat
	.protected	_ZN7rocprim17ROCPRIM_400000_NS6detail17trampoline_kernelINS0_14default_configENS1_38merge_sort_block_merge_config_selectorIcNS0_10empty_typeEEEZZNS1_27merge_sort_block_merge_implIS3_PcPS5_jNS1_19radix_merge_compareILb1ELb0EcNS0_19identity_decomposerEEEEE10hipError_tT0_T1_T2_jT3_P12ihipStream_tbPNSt15iterator_traitsISE_E10value_typeEPNSK_ISF_E10value_typeEPSG_NS1_7vsmem_tEENKUlT_SE_SF_SG_E_clIS8_S8_S9_S9_EESD_ST_SE_SF_SG_EUlST_E1_NS1_11comp_targetILNS1_3genE4ELNS1_11target_archE910ELNS1_3gpuE8ELNS1_3repE0EEENS1_36merge_oddeven_config_static_selectorELNS0_4arch9wavefront6targetE1EEEvSF_ ; -- Begin function _ZN7rocprim17ROCPRIM_400000_NS6detail17trampoline_kernelINS0_14default_configENS1_38merge_sort_block_merge_config_selectorIcNS0_10empty_typeEEEZZNS1_27merge_sort_block_merge_implIS3_PcPS5_jNS1_19radix_merge_compareILb1ELb0EcNS0_19identity_decomposerEEEEE10hipError_tT0_T1_T2_jT3_P12ihipStream_tbPNSt15iterator_traitsISE_E10value_typeEPNSK_ISF_E10value_typeEPSG_NS1_7vsmem_tEENKUlT_SE_SF_SG_E_clIS8_S8_S9_S9_EESD_ST_SE_SF_SG_EUlST_E1_NS1_11comp_targetILNS1_3genE4ELNS1_11target_archE910ELNS1_3gpuE8ELNS1_3repE0EEENS1_36merge_oddeven_config_static_selectorELNS0_4arch9wavefront6targetE1EEEvSF_
	.globl	_ZN7rocprim17ROCPRIM_400000_NS6detail17trampoline_kernelINS0_14default_configENS1_38merge_sort_block_merge_config_selectorIcNS0_10empty_typeEEEZZNS1_27merge_sort_block_merge_implIS3_PcPS5_jNS1_19radix_merge_compareILb1ELb0EcNS0_19identity_decomposerEEEEE10hipError_tT0_T1_T2_jT3_P12ihipStream_tbPNSt15iterator_traitsISE_E10value_typeEPNSK_ISF_E10value_typeEPSG_NS1_7vsmem_tEENKUlT_SE_SF_SG_E_clIS8_S8_S9_S9_EESD_ST_SE_SF_SG_EUlST_E1_NS1_11comp_targetILNS1_3genE4ELNS1_11target_archE910ELNS1_3gpuE8ELNS1_3repE0EEENS1_36merge_oddeven_config_static_selectorELNS0_4arch9wavefront6targetE1EEEvSF_
	.p2align	8
	.type	_ZN7rocprim17ROCPRIM_400000_NS6detail17trampoline_kernelINS0_14default_configENS1_38merge_sort_block_merge_config_selectorIcNS0_10empty_typeEEEZZNS1_27merge_sort_block_merge_implIS3_PcPS5_jNS1_19radix_merge_compareILb1ELb0EcNS0_19identity_decomposerEEEEE10hipError_tT0_T1_T2_jT3_P12ihipStream_tbPNSt15iterator_traitsISE_E10value_typeEPNSK_ISF_E10value_typeEPSG_NS1_7vsmem_tEENKUlT_SE_SF_SG_E_clIS8_S8_S9_S9_EESD_ST_SE_SF_SG_EUlST_E1_NS1_11comp_targetILNS1_3genE4ELNS1_11target_archE910ELNS1_3gpuE8ELNS1_3repE0EEENS1_36merge_oddeven_config_static_selectorELNS0_4arch9wavefront6targetE1EEEvSF_,@function
_ZN7rocprim17ROCPRIM_400000_NS6detail17trampoline_kernelINS0_14default_configENS1_38merge_sort_block_merge_config_selectorIcNS0_10empty_typeEEEZZNS1_27merge_sort_block_merge_implIS3_PcPS5_jNS1_19radix_merge_compareILb1ELb0EcNS0_19identity_decomposerEEEEE10hipError_tT0_T1_T2_jT3_P12ihipStream_tbPNSt15iterator_traitsISE_E10value_typeEPNSK_ISF_E10value_typeEPSG_NS1_7vsmem_tEENKUlT_SE_SF_SG_E_clIS8_S8_S9_S9_EESD_ST_SE_SF_SG_EUlST_E1_NS1_11comp_targetILNS1_3genE4ELNS1_11target_archE910ELNS1_3gpuE8ELNS1_3repE0EEENS1_36merge_oddeven_config_static_selectorELNS0_4arch9wavefront6targetE1EEEvSF_: ; @_ZN7rocprim17ROCPRIM_400000_NS6detail17trampoline_kernelINS0_14default_configENS1_38merge_sort_block_merge_config_selectorIcNS0_10empty_typeEEEZZNS1_27merge_sort_block_merge_implIS3_PcPS5_jNS1_19radix_merge_compareILb1ELb0EcNS0_19identity_decomposerEEEEE10hipError_tT0_T1_T2_jT3_P12ihipStream_tbPNSt15iterator_traitsISE_E10value_typeEPNSK_ISF_E10value_typeEPSG_NS1_7vsmem_tEENKUlT_SE_SF_SG_E_clIS8_S8_S9_S9_EESD_ST_SE_SF_SG_EUlST_E1_NS1_11comp_targetILNS1_3genE4ELNS1_11target_archE910ELNS1_3gpuE8ELNS1_3repE0EEENS1_36merge_oddeven_config_static_selectorELNS0_4arch9wavefront6targetE1EEEvSF_
; %bb.0:
	s_load_dword s17, s[4:5], 0x20
	s_waitcnt lgkmcnt(0)
	s_lshr_b32 s0, s17, 8
	s_cmp_lg_u32 s6, s0
	s_cselect_b64 s[14:15], -1, 0
	s_cmp_eq_u32 s6, s0
	s_cselect_b64 s[12:13], -1, 0
	s_lshl_b32 s7, s6, 8
	s_sub_i32 s0, s17, s7
	v_cmp_gt_u32_e64 s[2:3], s0, v0
	s_or_b64 s[0:1], s[14:15], s[2:3]
	s_and_saveexec_b64 s[8:9], s[0:1]
	s_cbranch_execz .LBB1500_20
; %bb.1:
	s_load_dwordx4 s[8:11], s[4:5], 0x0
	s_load_dword s18, s[4:5], 0x24
	v_add_u32_e32 v2, s7, v0
	s_waitcnt lgkmcnt(0)
	s_add_u32 s0, s8, s7
	s_addc_u32 s1, s9, 0
	global_load_sbyte v1, v0, s[0:1]
	s_lshr_b32 s0, s18, 8
	s_sub_i32 s1, 0, s0
	s_and_b32 s1, s6, s1
	s_and_b32 s0, s1, s0
	s_lshl_b32 s19, s1, 8
	s_sub_i32 s6, 0, s18
	s_cmp_eq_u32 s0, 0
	s_cselect_b64 s[0:1], -1, 0
	s_and_b64 s[4:5], s[0:1], exec
	s_cselect_b32 s16, s18, s6
	s_add_i32 s16, s16, s19
	s_cmp_lt_u32 s16, s17
	s_cbranch_scc1 .LBB1500_3
; %bb.2:
	v_cmp_gt_u32_e32 vcc, s17, v2
	s_or_b64 s[4:5], vcc, s[14:15]
	s_and_b64 s[4:5], s[4:5], exec
	s_cbranch_execz .LBB1500_4
	s_branch .LBB1500_18
.LBB1500_3:
	s_mov_b64 s[4:5], 0
.LBB1500_4:
	s_min_u32 s14, s16, s17
	s_add_i32 s6, s14, s18
	s_min_u32 s15, s6, s17
	s_min_u32 s6, s19, s14
	s_add_i32 s19, s19, s14
	v_subrev_u32_e32 v0, s19, v2
	v_add_u32_e32 v0, s6, v0
	s_and_b64 vcc, exec, s[12:13]
	s_cbranch_vccz .LBB1500_12
; %bb.5:
                                        ; implicit-def: $vgpr2
	s_and_saveexec_b64 s[6:7], s[2:3]
	s_cbranch_execz .LBB1500_11
; %bb.6:
	s_cmp_ge_u32 s16, s15
	v_mov_b32_e32 v2, s14
	s_cbranch_scc1 .LBB1500_10
; %bb.7:
	s_mov_b64 s[2:3], 0
	v_mov_b32_e32 v3, s15
	v_mov_b32_e32 v2, s14
.LBB1500_8:                             ; =>This Inner Loop Header: Depth=1
	v_add_u32_e32 v4, v2, v3
	v_lshrrev_b32_e32 v4, 1, v4
	global_load_sbyte v5, v4, s[8:9]
	v_add_u32_e32 v6, 1, v4
	s_waitcnt vmcnt(0)
	v_cmp_gt_i16_e32 vcc, v5, v1
	v_cndmask_b32_e64 v7, 0, 1, vcc
	v_cmp_le_i16_e32 vcc, v1, v5
	v_cndmask_b32_e64 v5, 0, 1, vcc
	v_cndmask_b32_e64 v5, v5, v7, s[0:1]
	v_and_b32_e32 v5, 1, v5
	v_cmp_eq_u32_e32 vcc, 1, v5
	v_cndmask_b32_e32 v3, v4, v3, vcc
	v_cndmask_b32_e32 v2, v2, v6, vcc
	v_cmp_ge_u32_e32 vcc, v2, v3
	s_or_b64 s[2:3], vcc, s[2:3]
	s_andn2_b64 exec, exec, s[2:3]
	s_cbranch_execnz .LBB1500_8
; %bb.9:
	s_or_b64 exec, exec, s[2:3]
.LBB1500_10:
	v_add_u32_e32 v2, v2, v0
	s_or_b64 s[4:5], s[4:5], exec
.LBB1500_11:
	s_or_b64 exec, exec, s[6:7]
	s_branch .LBB1500_18
.LBB1500_12:
                                        ; implicit-def: $vgpr2
	s_cbranch_execz .LBB1500_18
; %bb.13:
	s_cmp_ge_u32 s16, s15
	v_mov_b32_e32 v2, s14
	s_cbranch_scc1 .LBB1500_17
; %bb.14:
	s_mov_b64 s[2:3], 0
	v_mov_b32_e32 v3, s15
	v_mov_b32_e32 v2, s14
.LBB1500_15:                            ; =>This Inner Loop Header: Depth=1
	v_add_u32_e32 v4, v2, v3
	v_lshrrev_b32_e32 v4, 1, v4
	global_load_sbyte v5, v4, s[8:9]
	v_add_u32_e32 v6, 1, v4
	s_waitcnt vmcnt(0)
	v_cmp_gt_i16_e32 vcc, v5, v1
	v_cndmask_b32_e64 v7, 0, 1, vcc
	v_cmp_le_i16_e32 vcc, v1, v5
	v_cndmask_b32_e64 v5, 0, 1, vcc
	v_cndmask_b32_e64 v5, v5, v7, s[0:1]
	v_and_b32_e32 v5, 1, v5
	v_cmp_eq_u32_e32 vcc, 1, v5
	v_cndmask_b32_e32 v3, v4, v3, vcc
	v_cndmask_b32_e32 v2, v2, v6, vcc
	v_cmp_ge_u32_e32 vcc, v2, v3
	s_or_b64 s[2:3], vcc, s[2:3]
	s_andn2_b64 exec, exec, s[2:3]
	s_cbranch_execnz .LBB1500_15
; %bb.16:
	s_or_b64 exec, exec, s[2:3]
.LBB1500_17:
	v_add_u32_e32 v2, v2, v0
	s_mov_b64 s[4:5], -1
.LBB1500_18:
	s_and_b64 exec, exec, s[4:5]
	s_cbranch_execz .LBB1500_20
; %bb.19:
	s_waitcnt vmcnt(0)
	global_store_byte v2, v1, s[10:11]
.LBB1500_20:
	s_endpgm
	.section	.rodata,"a",@progbits
	.p2align	6, 0x0
	.amdhsa_kernel _ZN7rocprim17ROCPRIM_400000_NS6detail17trampoline_kernelINS0_14default_configENS1_38merge_sort_block_merge_config_selectorIcNS0_10empty_typeEEEZZNS1_27merge_sort_block_merge_implIS3_PcPS5_jNS1_19radix_merge_compareILb1ELb0EcNS0_19identity_decomposerEEEEE10hipError_tT0_T1_T2_jT3_P12ihipStream_tbPNSt15iterator_traitsISE_E10value_typeEPNSK_ISF_E10value_typeEPSG_NS1_7vsmem_tEENKUlT_SE_SF_SG_E_clIS8_S8_S9_S9_EESD_ST_SE_SF_SG_EUlST_E1_NS1_11comp_targetILNS1_3genE4ELNS1_11target_archE910ELNS1_3gpuE8ELNS1_3repE0EEENS1_36merge_oddeven_config_static_selectorELNS0_4arch9wavefront6targetE1EEEvSF_
		.amdhsa_group_segment_fixed_size 0
		.amdhsa_private_segment_fixed_size 0
		.amdhsa_kernarg_size 48
		.amdhsa_user_sgpr_count 6
		.amdhsa_user_sgpr_private_segment_buffer 1
		.amdhsa_user_sgpr_dispatch_ptr 0
		.amdhsa_user_sgpr_queue_ptr 0
		.amdhsa_user_sgpr_kernarg_segment_ptr 1
		.amdhsa_user_sgpr_dispatch_id 0
		.amdhsa_user_sgpr_flat_scratch_init 0
		.amdhsa_user_sgpr_kernarg_preload_length 0
		.amdhsa_user_sgpr_kernarg_preload_offset 0
		.amdhsa_user_sgpr_private_segment_size 0
		.amdhsa_uses_dynamic_stack 0
		.amdhsa_system_sgpr_private_segment_wavefront_offset 0
		.amdhsa_system_sgpr_workgroup_id_x 1
		.amdhsa_system_sgpr_workgroup_id_y 0
		.amdhsa_system_sgpr_workgroup_id_z 0
		.amdhsa_system_sgpr_workgroup_info 0
		.amdhsa_system_vgpr_workitem_id 0
		.amdhsa_next_free_vgpr 8
		.amdhsa_next_free_sgpr 20
		.amdhsa_accum_offset 8
		.amdhsa_reserve_vcc 1
		.amdhsa_reserve_flat_scratch 0
		.amdhsa_float_round_mode_32 0
		.amdhsa_float_round_mode_16_64 0
		.amdhsa_float_denorm_mode_32 3
		.amdhsa_float_denorm_mode_16_64 3
		.amdhsa_dx10_clamp 1
		.amdhsa_ieee_mode 1
		.amdhsa_fp16_overflow 0
		.amdhsa_tg_split 0
		.amdhsa_exception_fp_ieee_invalid_op 0
		.amdhsa_exception_fp_denorm_src 0
		.amdhsa_exception_fp_ieee_div_zero 0
		.amdhsa_exception_fp_ieee_overflow 0
		.amdhsa_exception_fp_ieee_underflow 0
		.amdhsa_exception_fp_ieee_inexact 0
		.amdhsa_exception_int_div_zero 0
	.end_amdhsa_kernel
	.section	.text._ZN7rocprim17ROCPRIM_400000_NS6detail17trampoline_kernelINS0_14default_configENS1_38merge_sort_block_merge_config_selectorIcNS0_10empty_typeEEEZZNS1_27merge_sort_block_merge_implIS3_PcPS5_jNS1_19radix_merge_compareILb1ELb0EcNS0_19identity_decomposerEEEEE10hipError_tT0_T1_T2_jT3_P12ihipStream_tbPNSt15iterator_traitsISE_E10value_typeEPNSK_ISF_E10value_typeEPSG_NS1_7vsmem_tEENKUlT_SE_SF_SG_E_clIS8_S8_S9_S9_EESD_ST_SE_SF_SG_EUlST_E1_NS1_11comp_targetILNS1_3genE4ELNS1_11target_archE910ELNS1_3gpuE8ELNS1_3repE0EEENS1_36merge_oddeven_config_static_selectorELNS0_4arch9wavefront6targetE1EEEvSF_,"axG",@progbits,_ZN7rocprim17ROCPRIM_400000_NS6detail17trampoline_kernelINS0_14default_configENS1_38merge_sort_block_merge_config_selectorIcNS0_10empty_typeEEEZZNS1_27merge_sort_block_merge_implIS3_PcPS5_jNS1_19radix_merge_compareILb1ELb0EcNS0_19identity_decomposerEEEEE10hipError_tT0_T1_T2_jT3_P12ihipStream_tbPNSt15iterator_traitsISE_E10value_typeEPNSK_ISF_E10value_typeEPSG_NS1_7vsmem_tEENKUlT_SE_SF_SG_E_clIS8_S8_S9_S9_EESD_ST_SE_SF_SG_EUlST_E1_NS1_11comp_targetILNS1_3genE4ELNS1_11target_archE910ELNS1_3gpuE8ELNS1_3repE0EEENS1_36merge_oddeven_config_static_selectorELNS0_4arch9wavefront6targetE1EEEvSF_,comdat
.Lfunc_end1500:
	.size	_ZN7rocprim17ROCPRIM_400000_NS6detail17trampoline_kernelINS0_14default_configENS1_38merge_sort_block_merge_config_selectorIcNS0_10empty_typeEEEZZNS1_27merge_sort_block_merge_implIS3_PcPS5_jNS1_19radix_merge_compareILb1ELb0EcNS0_19identity_decomposerEEEEE10hipError_tT0_T1_T2_jT3_P12ihipStream_tbPNSt15iterator_traitsISE_E10value_typeEPNSK_ISF_E10value_typeEPSG_NS1_7vsmem_tEENKUlT_SE_SF_SG_E_clIS8_S8_S9_S9_EESD_ST_SE_SF_SG_EUlST_E1_NS1_11comp_targetILNS1_3genE4ELNS1_11target_archE910ELNS1_3gpuE8ELNS1_3repE0EEENS1_36merge_oddeven_config_static_selectorELNS0_4arch9wavefront6targetE1EEEvSF_, .Lfunc_end1500-_ZN7rocprim17ROCPRIM_400000_NS6detail17trampoline_kernelINS0_14default_configENS1_38merge_sort_block_merge_config_selectorIcNS0_10empty_typeEEEZZNS1_27merge_sort_block_merge_implIS3_PcPS5_jNS1_19radix_merge_compareILb1ELb0EcNS0_19identity_decomposerEEEEE10hipError_tT0_T1_T2_jT3_P12ihipStream_tbPNSt15iterator_traitsISE_E10value_typeEPNSK_ISF_E10value_typeEPSG_NS1_7vsmem_tEENKUlT_SE_SF_SG_E_clIS8_S8_S9_S9_EESD_ST_SE_SF_SG_EUlST_E1_NS1_11comp_targetILNS1_3genE4ELNS1_11target_archE910ELNS1_3gpuE8ELNS1_3repE0EEENS1_36merge_oddeven_config_static_selectorELNS0_4arch9wavefront6targetE1EEEvSF_
                                        ; -- End function
	.section	.AMDGPU.csdata,"",@progbits
; Kernel info:
; codeLenInByte = 504
; NumSgprs: 24
; NumVgprs: 8
; NumAgprs: 0
; TotalNumVgprs: 8
; ScratchSize: 0
; MemoryBound: 0
; FloatMode: 240
; IeeeMode: 1
; LDSByteSize: 0 bytes/workgroup (compile time only)
; SGPRBlocks: 2
; VGPRBlocks: 0
; NumSGPRsForWavesPerEU: 24
; NumVGPRsForWavesPerEU: 8
; AccumOffset: 8
; Occupancy: 8
; WaveLimiterHint : 0
; COMPUTE_PGM_RSRC2:SCRATCH_EN: 0
; COMPUTE_PGM_RSRC2:USER_SGPR: 6
; COMPUTE_PGM_RSRC2:TRAP_HANDLER: 0
; COMPUTE_PGM_RSRC2:TGID_X_EN: 1
; COMPUTE_PGM_RSRC2:TGID_Y_EN: 0
; COMPUTE_PGM_RSRC2:TGID_Z_EN: 0
; COMPUTE_PGM_RSRC2:TIDIG_COMP_CNT: 0
; COMPUTE_PGM_RSRC3_GFX90A:ACCUM_OFFSET: 1
; COMPUTE_PGM_RSRC3_GFX90A:TG_SPLIT: 0
	.section	.text._ZN7rocprim17ROCPRIM_400000_NS6detail17trampoline_kernelINS0_14default_configENS1_38merge_sort_block_merge_config_selectorIcNS0_10empty_typeEEEZZNS1_27merge_sort_block_merge_implIS3_PcPS5_jNS1_19radix_merge_compareILb1ELb0EcNS0_19identity_decomposerEEEEE10hipError_tT0_T1_T2_jT3_P12ihipStream_tbPNSt15iterator_traitsISE_E10value_typeEPNSK_ISF_E10value_typeEPSG_NS1_7vsmem_tEENKUlT_SE_SF_SG_E_clIS8_S8_S9_S9_EESD_ST_SE_SF_SG_EUlST_E1_NS1_11comp_targetILNS1_3genE3ELNS1_11target_archE908ELNS1_3gpuE7ELNS1_3repE0EEENS1_36merge_oddeven_config_static_selectorELNS0_4arch9wavefront6targetE1EEEvSF_,"axG",@progbits,_ZN7rocprim17ROCPRIM_400000_NS6detail17trampoline_kernelINS0_14default_configENS1_38merge_sort_block_merge_config_selectorIcNS0_10empty_typeEEEZZNS1_27merge_sort_block_merge_implIS3_PcPS5_jNS1_19radix_merge_compareILb1ELb0EcNS0_19identity_decomposerEEEEE10hipError_tT0_T1_T2_jT3_P12ihipStream_tbPNSt15iterator_traitsISE_E10value_typeEPNSK_ISF_E10value_typeEPSG_NS1_7vsmem_tEENKUlT_SE_SF_SG_E_clIS8_S8_S9_S9_EESD_ST_SE_SF_SG_EUlST_E1_NS1_11comp_targetILNS1_3genE3ELNS1_11target_archE908ELNS1_3gpuE7ELNS1_3repE0EEENS1_36merge_oddeven_config_static_selectorELNS0_4arch9wavefront6targetE1EEEvSF_,comdat
	.protected	_ZN7rocprim17ROCPRIM_400000_NS6detail17trampoline_kernelINS0_14default_configENS1_38merge_sort_block_merge_config_selectorIcNS0_10empty_typeEEEZZNS1_27merge_sort_block_merge_implIS3_PcPS5_jNS1_19radix_merge_compareILb1ELb0EcNS0_19identity_decomposerEEEEE10hipError_tT0_T1_T2_jT3_P12ihipStream_tbPNSt15iterator_traitsISE_E10value_typeEPNSK_ISF_E10value_typeEPSG_NS1_7vsmem_tEENKUlT_SE_SF_SG_E_clIS8_S8_S9_S9_EESD_ST_SE_SF_SG_EUlST_E1_NS1_11comp_targetILNS1_3genE3ELNS1_11target_archE908ELNS1_3gpuE7ELNS1_3repE0EEENS1_36merge_oddeven_config_static_selectorELNS0_4arch9wavefront6targetE1EEEvSF_ ; -- Begin function _ZN7rocprim17ROCPRIM_400000_NS6detail17trampoline_kernelINS0_14default_configENS1_38merge_sort_block_merge_config_selectorIcNS0_10empty_typeEEEZZNS1_27merge_sort_block_merge_implIS3_PcPS5_jNS1_19radix_merge_compareILb1ELb0EcNS0_19identity_decomposerEEEEE10hipError_tT0_T1_T2_jT3_P12ihipStream_tbPNSt15iterator_traitsISE_E10value_typeEPNSK_ISF_E10value_typeEPSG_NS1_7vsmem_tEENKUlT_SE_SF_SG_E_clIS8_S8_S9_S9_EESD_ST_SE_SF_SG_EUlST_E1_NS1_11comp_targetILNS1_3genE3ELNS1_11target_archE908ELNS1_3gpuE7ELNS1_3repE0EEENS1_36merge_oddeven_config_static_selectorELNS0_4arch9wavefront6targetE1EEEvSF_
	.globl	_ZN7rocprim17ROCPRIM_400000_NS6detail17trampoline_kernelINS0_14default_configENS1_38merge_sort_block_merge_config_selectorIcNS0_10empty_typeEEEZZNS1_27merge_sort_block_merge_implIS3_PcPS5_jNS1_19radix_merge_compareILb1ELb0EcNS0_19identity_decomposerEEEEE10hipError_tT0_T1_T2_jT3_P12ihipStream_tbPNSt15iterator_traitsISE_E10value_typeEPNSK_ISF_E10value_typeEPSG_NS1_7vsmem_tEENKUlT_SE_SF_SG_E_clIS8_S8_S9_S9_EESD_ST_SE_SF_SG_EUlST_E1_NS1_11comp_targetILNS1_3genE3ELNS1_11target_archE908ELNS1_3gpuE7ELNS1_3repE0EEENS1_36merge_oddeven_config_static_selectorELNS0_4arch9wavefront6targetE1EEEvSF_
	.p2align	8
	.type	_ZN7rocprim17ROCPRIM_400000_NS6detail17trampoline_kernelINS0_14default_configENS1_38merge_sort_block_merge_config_selectorIcNS0_10empty_typeEEEZZNS1_27merge_sort_block_merge_implIS3_PcPS5_jNS1_19radix_merge_compareILb1ELb0EcNS0_19identity_decomposerEEEEE10hipError_tT0_T1_T2_jT3_P12ihipStream_tbPNSt15iterator_traitsISE_E10value_typeEPNSK_ISF_E10value_typeEPSG_NS1_7vsmem_tEENKUlT_SE_SF_SG_E_clIS8_S8_S9_S9_EESD_ST_SE_SF_SG_EUlST_E1_NS1_11comp_targetILNS1_3genE3ELNS1_11target_archE908ELNS1_3gpuE7ELNS1_3repE0EEENS1_36merge_oddeven_config_static_selectorELNS0_4arch9wavefront6targetE1EEEvSF_,@function
_ZN7rocprim17ROCPRIM_400000_NS6detail17trampoline_kernelINS0_14default_configENS1_38merge_sort_block_merge_config_selectorIcNS0_10empty_typeEEEZZNS1_27merge_sort_block_merge_implIS3_PcPS5_jNS1_19radix_merge_compareILb1ELb0EcNS0_19identity_decomposerEEEEE10hipError_tT0_T1_T2_jT3_P12ihipStream_tbPNSt15iterator_traitsISE_E10value_typeEPNSK_ISF_E10value_typeEPSG_NS1_7vsmem_tEENKUlT_SE_SF_SG_E_clIS8_S8_S9_S9_EESD_ST_SE_SF_SG_EUlST_E1_NS1_11comp_targetILNS1_3genE3ELNS1_11target_archE908ELNS1_3gpuE7ELNS1_3repE0EEENS1_36merge_oddeven_config_static_selectorELNS0_4arch9wavefront6targetE1EEEvSF_: ; @_ZN7rocprim17ROCPRIM_400000_NS6detail17trampoline_kernelINS0_14default_configENS1_38merge_sort_block_merge_config_selectorIcNS0_10empty_typeEEEZZNS1_27merge_sort_block_merge_implIS3_PcPS5_jNS1_19radix_merge_compareILb1ELb0EcNS0_19identity_decomposerEEEEE10hipError_tT0_T1_T2_jT3_P12ihipStream_tbPNSt15iterator_traitsISE_E10value_typeEPNSK_ISF_E10value_typeEPSG_NS1_7vsmem_tEENKUlT_SE_SF_SG_E_clIS8_S8_S9_S9_EESD_ST_SE_SF_SG_EUlST_E1_NS1_11comp_targetILNS1_3genE3ELNS1_11target_archE908ELNS1_3gpuE7ELNS1_3repE0EEENS1_36merge_oddeven_config_static_selectorELNS0_4arch9wavefront6targetE1EEEvSF_
; %bb.0:
	.section	.rodata,"a",@progbits
	.p2align	6, 0x0
	.amdhsa_kernel _ZN7rocprim17ROCPRIM_400000_NS6detail17trampoline_kernelINS0_14default_configENS1_38merge_sort_block_merge_config_selectorIcNS0_10empty_typeEEEZZNS1_27merge_sort_block_merge_implIS3_PcPS5_jNS1_19radix_merge_compareILb1ELb0EcNS0_19identity_decomposerEEEEE10hipError_tT0_T1_T2_jT3_P12ihipStream_tbPNSt15iterator_traitsISE_E10value_typeEPNSK_ISF_E10value_typeEPSG_NS1_7vsmem_tEENKUlT_SE_SF_SG_E_clIS8_S8_S9_S9_EESD_ST_SE_SF_SG_EUlST_E1_NS1_11comp_targetILNS1_3genE3ELNS1_11target_archE908ELNS1_3gpuE7ELNS1_3repE0EEENS1_36merge_oddeven_config_static_selectorELNS0_4arch9wavefront6targetE1EEEvSF_
		.amdhsa_group_segment_fixed_size 0
		.amdhsa_private_segment_fixed_size 0
		.amdhsa_kernarg_size 48
		.amdhsa_user_sgpr_count 6
		.amdhsa_user_sgpr_private_segment_buffer 1
		.amdhsa_user_sgpr_dispatch_ptr 0
		.amdhsa_user_sgpr_queue_ptr 0
		.amdhsa_user_sgpr_kernarg_segment_ptr 1
		.amdhsa_user_sgpr_dispatch_id 0
		.amdhsa_user_sgpr_flat_scratch_init 0
		.amdhsa_user_sgpr_kernarg_preload_length 0
		.amdhsa_user_sgpr_kernarg_preload_offset 0
		.amdhsa_user_sgpr_private_segment_size 0
		.amdhsa_uses_dynamic_stack 0
		.amdhsa_system_sgpr_private_segment_wavefront_offset 0
		.amdhsa_system_sgpr_workgroup_id_x 1
		.amdhsa_system_sgpr_workgroup_id_y 0
		.amdhsa_system_sgpr_workgroup_id_z 0
		.amdhsa_system_sgpr_workgroup_info 0
		.amdhsa_system_vgpr_workitem_id 0
		.amdhsa_next_free_vgpr 1
		.amdhsa_next_free_sgpr 0
		.amdhsa_accum_offset 4
		.amdhsa_reserve_vcc 0
		.amdhsa_reserve_flat_scratch 0
		.amdhsa_float_round_mode_32 0
		.amdhsa_float_round_mode_16_64 0
		.amdhsa_float_denorm_mode_32 3
		.amdhsa_float_denorm_mode_16_64 3
		.amdhsa_dx10_clamp 1
		.amdhsa_ieee_mode 1
		.amdhsa_fp16_overflow 0
		.amdhsa_tg_split 0
		.amdhsa_exception_fp_ieee_invalid_op 0
		.amdhsa_exception_fp_denorm_src 0
		.amdhsa_exception_fp_ieee_div_zero 0
		.amdhsa_exception_fp_ieee_overflow 0
		.amdhsa_exception_fp_ieee_underflow 0
		.amdhsa_exception_fp_ieee_inexact 0
		.amdhsa_exception_int_div_zero 0
	.end_amdhsa_kernel
	.section	.text._ZN7rocprim17ROCPRIM_400000_NS6detail17trampoline_kernelINS0_14default_configENS1_38merge_sort_block_merge_config_selectorIcNS0_10empty_typeEEEZZNS1_27merge_sort_block_merge_implIS3_PcPS5_jNS1_19radix_merge_compareILb1ELb0EcNS0_19identity_decomposerEEEEE10hipError_tT0_T1_T2_jT3_P12ihipStream_tbPNSt15iterator_traitsISE_E10value_typeEPNSK_ISF_E10value_typeEPSG_NS1_7vsmem_tEENKUlT_SE_SF_SG_E_clIS8_S8_S9_S9_EESD_ST_SE_SF_SG_EUlST_E1_NS1_11comp_targetILNS1_3genE3ELNS1_11target_archE908ELNS1_3gpuE7ELNS1_3repE0EEENS1_36merge_oddeven_config_static_selectorELNS0_4arch9wavefront6targetE1EEEvSF_,"axG",@progbits,_ZN7rocprim17ROCPRIM_400000_NS6detail17trampoline_kernelINS0_14default_configENS1_38merge_sort_block_merge_config_selectorIcNS0_10empty_typeEEEZZNS1_27merge_sort_block_merge_implIS3_PcPS5_jNS1_19radix_merge_compareILb1ELb0EcNS0_19identity_decomposerEEEEE10hipError_tT0_T1_T2_jT3_P12ihipStream_tbPNSt15iterator_traitsISE_E10value_typeEPNSK_ISF_E10value_typeEPSG_NS1_7vsmem_tEENKUlT_SE_SF_SG_E_clIS8_S8_S9_S9_EESD_ST_SE_SF_SG_EUlST_E1_NS1_11comp_targetILNS1_3genE3ELNS1_11target_archE908ELNS1_3gpuE7ELNS1_3repE0EEENS1_36merge_oddeven_config_static_selectorELNS0_4arch9wavefront6targetE1EEEvSF_,comdat
.Lfunc_end1501:
	.size	_ZN7rocprim17ROCPRIM_400000_NS6detail17trampoline_kernelINS0_14default_configENS1_38merge_sort_block_merge_config_selectorIcNS0_10empty_typeEEEZZNS1_27merge_sort_block_merge_implIS3_PcPS5_jNS1_19radix_merge_compareILb1ELb0EcNS0_19identity_decomposerEEEEE10hipError_tT0_T1_T2_jT3_P12ihipStream_tbPNSt15iterator_traitsISE_E10value_typeEPNSK_ISF_E10value_typeEPSG_NS1_7vsmem_tEENKUlT_SE_SF_SG_E_clIS8_S8_S9_S9_EESD_ST_SE_SF_SG_EUlST_E1_NS1_11comp_targetILNS1_3genE3ELNS1_11target_archE908ELNS1_3gpuE7ELNS1_3repE0EEENS1_36merge_oddeven_config_static_selectorELNS0_4arch9wavefront6targetE1EEEvSF_, .Lfunc_end1501-_ZN7rocprim17ROCPRIM_400000_NS6detail17trampoline_kernelINS0_14default_configENS1_38merge_sort_block_merge_config_selectorIcNS0_10empty_typeEEEZZNS1_27merge_sort_block_merge_implIS3_PcPS5_jNS1_19radix_merge_compareILb1ELb0EcNS0_19identity_decomposerEEEEE10hipError_tT0_T1_T2_jT3_P12ihipStream_tbPNSt15iterator_traitsISE_E10value_typeEPNSK_ISF_E10value_typeEPSG_NS1_7vsmem_tEENKUlT_SE_SF_SG_E_clIS8_S8_S9_S9_EESD_ST_SE_SF_SG_EUlST_E1_NS1_11comp_targetILNS1_3genE3ELNS1_11target_archE908ELNS1_3gpuE7ELNS1_3repE0EEENS1_36merge_oddeven_config_static_selectorELNS0_4arch9wavefront6targetE1EEEvSF_
                                        ; -- End function
	.section	.AMDGPU.csdata,"",@progbits
; Kernel info:
; codeLenInByte = 0
; NumSgprs: 4
; NumVgprs: 0
; NumAgprs: 0
; TotalNumVgprs: 0
; ScratchSize: 0
; MemoryBound: 0
; FloatMode: 240
; IeeeMode: 1
; LDSByteSize: 0 bytes/workgroup (compile time only)
; SGPRBlocks: 0
; VGPRBlocks: 0
; NumSGPRsForWavesPerEU: 4
; NumVGPRsForWavesPerEU: 1
; AccumOffset: 4
; Occupancy: 8
; WaveLimiterHint : 0
; COMPUTE_PGM_RSRC2:SCRATCH_EN: 0
; COMPUTE_PGM_RSRC2:USER_SGPR: 6
; COMPUTE_PGM_RSRC2:TRAP_HANDLER: 0
; COMPUTE_PGM_RSRC2:TGID_X_EN: 1
; COMPUTE_PGM_RSRC2:TGID_Y_EN: 0
; COMPUTE_PGM_RSRC2:TGID_Z_EN: 0
; COMPUTE_PGM_RSRC2:TIDIG_COMP_CNT: 0
; COMPUTE_PGM_RSRC3_GFX90A:ACCUM_OFFSET: 0
; COMPUTE_PGM_RSRC3_GFX90A:TG_SPLIT: 0
	.section	.text._ZN7rocprim17ROCPRIM_400000_NS6detail17trampoline_kernelINS0_14default_configENS1_38merge_sort_block_merge_config_selectorIcNS0_10empty_typeEEEZZNS1_27merge_sort_block_merge_implIS3_PcPS5_jNS1_19radix_merge_compareILb1ELb0EcNS0_19identity_decomposerEEEEE10hipError_tT0_T1_T2_jT3_P12ihipStream_tbPNSt15iterator_traitsISE_E10value_typeEPNSK_ISF_E10value_typeEPSG_NS1_7vsmem_tEENKUlT_SE_SF_SG_E_clIS8_S8_S9_S9_EESD_ST_SE_SF_SG_EUlST_E1_NS1_11comp_targetILNS1_3genE2ELNS1_11target_archE906ELNS1_3gpuE6ELNS1_3repE0EEENS1_36merge_oddeven_config_static_selectorELNS0_4arch9wavefront6targetE1EEEvSF_,"axG",@progbits,_ZN7rocprim17ROCPRIM_400000_NS6detail17trampoline_kernelINS0_14default_configENS1_38merge_sort_block_merge_config_selectorIcNS0_10empty_typeEEEZZNS1_27merge_sort_block_merge_implIS3_PcPS5_jNS1_19radix_merge_compareILb1ELb0EcNS0_19identity_decomposerEEEEE10hipError_tT0_T1_T2_jT3_P12ihipStream_tbPNSt15iterator_traitsISE_E10value_typeEPNSK_ISF_E10value_typeEPSG_NS1_7vsmem_tEENKUlT_SE_SF_SG_E_clIS8_S8_S9_S9_EESD_ST_SE_SF_SG_EUlST_E1_NS1_11comp_targetILNS1_3genE2ELNS1_11target_archE906ELNS1_3gpuE6ELNS1_3repE0EEENS1_36merge_oddeven_config_static_selectorELNS0_4arch9wavefront6targetE1EEEvSF_,comdat
	.protected	_ZN7rocprim17ROCPRIM_400000_NS6detail17trampoline_kernelINS0_14default_configENS1_38merge_sort_block_merge_config_selectorIcNS0_10empty_typeEEEZZNS1_27merge_sort_block_merge_implIS3_PcPS5_jNS1_19radix_merge_compareILb1ELb0EcNS0_19identity_decomposerEEEEE10hipError_tT0_T1_T2_jT3_P12ihipStream_tbPNSt15iterator_traitsISE_E10value_typeEPNSK_ISF_E10value_typeEPSG_NS1_7vsmem_tEENKUlT_SE_SF_SG_E_clIS8_S8_S9_S9_EESD_ST_SE_SF_SG_EUlST_E1_NS1_11comp_targetILNS1_3genE2ELNS1_11target_archE906ELNS1_3gpuE6ELNS1_3repE0EEENS1_36merge_oddeven_config_static_selectorELNS0_4arch9wavefront6targetE1EEEvSF_ ; -- Begin function _ZN7rocprim17ROCPRIM_400000_NS6detail17trampoline_kernelINS0_14default_configENS1_38merge_sort_block_merge_config_selectorIcNS0_10empty_typeEEEZZNS1_27merge_sort_block_merge_implIS3_PcPS5_jNS1_19radix_merge_compareILb1ELb0EcNS0_19identity_decomposerEEEEE10hipError_tT0_T1_T2_jT3_P12ihipStream_tbPNSt15iterator_traitsISE_E10value_typeEPNSK_ISF_E10value_typeEPSG_NS1_7vsmem_tEENKUlT_SE_SF_SG_E_clIS8_S8_S9_S9_EESD_ST_SE_SF_SG_EUlST_E1_NS1_11comp_targetILNS1_3genE2ELNS1_11target_archE906ELNS1_3gpuE6ELNS1_3repE0EEENS1_36merge_oddeven_config_static_selectorELNS0_4arch9wavefront6targetE1EEEvSF_
	.globl	_ZN7rocprim17ROCPRIM_400000_NS6detail17trampoline_kernelINS0_14default_configENS1_38merge_sort_block_merge_config_selectorIcNS0_10empty_typeEEEZZNS1_27merge_sort_block_merge_implIS3_PcPS5_jNS1_19radix_merge_compareILb1ELb0EcNS0_19identity_decomposerEEEEE10hipError_tT0_T1_T2_jT3_P12ihipStream_tbPNSt15iterator_traitsISE_E10value_typeEPNSK_ISF_E10value_typeEPSG_NS1_7vsmem_tEENKUlT_SE_SF_SG_E_clIS8_S8_S9_S9_EESD_ST_SE_SF_SG_EUlST_E1_NS1_11comp_targetILNS1_3genE2ELNS1_11target_archE906ELNS1_3gpuE6ELNS1_3repE0EEENS1_36merge_oddeven_config_static_selectorELNS0_4arch9wavefront6targetE1EEEvSF_
	.p2align	8
	.type	_ZN7rocprim17ROCPRIM_400000_NS6detail17trampoline_kernelINS0_14default_configENS1_38merge_sort_block_merge_config_selectorIcNS0_10empty_typeEEEZZNS1_27merge_sort_block_merge_implIS3_PcPS5_jNS1_19radix_merge_compareILb1ELb0EcNS0_19identity_decomposerEEEEE10hipError_tT0_T1_T2_jT3_P12ihipStream_tbPNSt15iterator_traitsISE_E10value_typeEPNSK_ISF_E10value_typeEPSG_NS1_7vsmem_tEENKUlT_SE_SF_SG_E_clIS8_S8_S9_S9_EESD_ST_SE_SF_SG_EUlST_E1_NS1_11comp_targetILNS1_3genE2ELNS1_11target_archE906ELNS1_3gpuE6ELNS1_3repE0EEENS1_36merge_oddeven_config_static_selectorELNS0_4arch9wavefront6targetE1EEEvSF_,@function
_ZN7rocprim17ROCPRIM_400000_NS6detail17trampoline_kernelINS0_14default_configENS1_38merge_sort_block_merge_config_selectorIcNS0_10empty_typeEEEZZNS1_27merge_sort_block_merge_implIS3_PcPS5_jNS1_19radix_merge_compareILb1ELb0EcNS0_19identity_decomposerEEEEE10hipError_tT0_T1_T2_jT3_P12ihipStream_tbPNSt15iterator_traitsISE_E10value_typeEPNSK_ISF_E10value_typeEPSG_NS1_7vsmem_tEENKUlT_SE_SF_SG_E_clIS8_S8_S9_S9_EESD_ST_SE_SF_SG_EUlST_E1_NS1_11comp_targetILNS1_3genE2ELNS1_11target_archE906ELNS1_3gpuE6ELNS1_3repE0EEENS1_36merge_oddeven_config_static_selectorELNS0_4arch9wavefront6targetE1EEEvSF_: ; @_ZN7rocprim17ROCPRIM_400000_NS6detail17trampoline_kernelINS0_14default_configENS1_38merge_sort_block_merge_config_selectorIcNS0_10empty_typeEEEZZNS1_27merge_sort_block_merge_implIS3_PcPS5_jNS1_19radix_merge_compareILb1ELb0EcNS0_19identity_decomposerEEEEE10hipError_tT0_T1_T2_jT3_P12ihipStream_tbPNSt15iterator_traitsISE_E10value_typeEPNSK_ISF_E10value_typeEPSG_NS1_7vsmem_tEENKUlT_SE_SF_SG_E_clIS8_S8_S9_S9_EESD_ST_SE_SF_SG_EUlST_E1_NS1_11comp_targetILNS1_3genE2ELNS1_11target_archE906ELNS1_3gpuE6ELNS1_3repE0EEENS1_36merge_oddeven_config_static_selectorELNS0_4arch9wavefront6targetE1EEEvSF_
; %bb.0:
	.section	.rodata,"a",@progbits
	.p2align	6, 0x0
	.amdhsa_kernel _ZN7rocprim17ROCPRIM_400000_NS6detail17trampoline_kernelINS0_14default_configENS1_38merge_sort_block_merge_config_selectorIcNS0_10empty_typeEEEZZNS1_27merge_sort_block_merge_implIS3_PcPS5_jNS1_19radix_merge_compareILb1ELb0EcNS0_19identity_decomposerEEEEE10hipError_tT0_T1_T2_jT3_P12ihipStream_tbPNSt15iterator_traitsISE_E10value_typeEPNSK_ISF_E10value_typeEPSG_NS1_7vsmem_tEENKUlT_SE_SF_SG_E_clIS8_S8_S9_S9_EESD_ST_SE_SF_SG_EUlST_E1_NS1_11comp_targetILNS1_3genE2ELNS1_11target_archE906ELNS1_3gpuE6ELNS1_3repE0EEENS1_36merge_oddeven_config_static_selectorELNS0_4arch9wavefront6targetE1EEEvSF_
		.amdhsa_group_segment_fixed_size 0
		.amdhsa_private_segment_fixed_size 0
		.amdhsa_kernarg_size 48
		.amdhsa_user_sgpr_count 6
		.amdhsa_user_sgpr_private_segment_buffer 1
		.amdhsa_user_sgpr_dispatch_ptr 0
		.amdhsa_user_sgpr_queue_ptr 0
		.amdhsa_user_sgpr_kernarg_segment_ptr 1
		.amdhsa_user_sgpr_dispatch_id 0
		.amdhsa_user_sgpr_flat_scratch_init 0
		.amdhsa_user_sgpr_kernarg_preload_length 0
		.amdhsa_user_sgpr_kernarg_preload_offset 0
		.amdhsa_user_sgpr_private_segment_size 0
		.amdhsa_uses_dynamic_stack 0
		.amdhsa_system_sgpr_private_segment_wavefront_offset 0
		.amdhsa_system_sgpr_workgroup_id_x 1
		.amdhsa_system_sgpr_workgroup_id_y 0
		.amdhsa_system_sgpr_workgroup_id_z 0
		.amdhsa_system_sgpr_workgroup_info 0
		.amdhsa_system_vgpr_workitem_id 0
		.amdhsa_next_free_vgpr 1
		.amdhsa_next_free_sgpr 0
		.amdhsa_accum_offset 4
		.amdhsa_reserve_vcc 0
		.amdhsa_reserve_flat_scratch 0
		.amdhsa_float_round_mode_32 0
		.amdhsa_float_round_mode_16_64 0
		.amdhsa_float_denorm_mode_32 3
		.amdhsa_float_denorm_mode_16_64 3
		.amdhsa_dx10_clamp 1
		.amdhsa_ieee_mode 1
		.amdhsa_fp16_overflow 0
		.amdhsa_tg_split 0
		.amdhsa_exception_fp_ieee_invalid_op 0
		.amdhsa_exception_fp_denorm_src 0
		.amdhsa_exception_fp_ieee_div_zero 0
		.amdhsa_exception_fp_ieee_overflow 0
		.amdhsa_exception_fp_ieee_underflow 0
		.amdhsa_exception_fp_ieee_inexact 0
		.amdhsa_exception_int_div_zero 0
	.end_amdhsa_kernel
	.section	.text._ZN7rocprim17ROCPRIM_400000_NS6detail17trampoline_kernelINS0_14default_configENS1_38merge_sort_block_merge_config_selectorIcNS0_10empty_typeEEEZZNS1_27merge_sort_block_merge_implIS3_PcPS5_jNS1_19radix_merge_compareILb1ELb0EcNS0_19identity_decomposerEEEEE10hipError_tT0_T1_T2_jT3_P12ihipStream_tbPNSt15iterator_traitsISE_E10value_typeEPNSK_ISF_E10value_typeEPSG_NS1_7vsmem_tEENKUlT_SE_SF_SG_E_clIS8_S8_S9_S9_EESD_ST_SE_SF_SG_EUlST_E1_NS1_11comp_targetILNS1_3genE2ELNS1_11target_archE906ELNS1_3gpuE6ELNS1_3repE0EEENS1_36merge_oddeven_config_static_selectorELNS0_4arch9wavefront6targetE1EEEvSF_,"axG",@progbits,_ZN7rocprim17ROCPRIM_400000_NS6detail17trampoline_kernelINS0_14default_configENS1_38merge_sort_block_merge_config_selectorIcNS0_10empty_typeEEEZZNS1_27merge_sort_block_merge_implIS3_PcPS5_jNS1_19radix_merge_compareILb1ELb0EcNS0_19identity_decomposerEEEEE10hipError_tT0_T1_T2_jT3_P12ihipStream_tbPNSt15iterator_traitsISE_E10value_typeEPNSK_ISF_E10value_typeEPSG_NS1_7vsmem_tEENKUlT_SE_SF_SG_E_clIS8_S8_S9_S9_EESD_ST_SE_SF_SG_EUlST_E1_NS1_11comp_targetILNS1_3genE2ELNS1_11target_archE906ELNS1_3gpuE6ELNS1_3repE0EEENS1_36merge_oddeven_config_static_selectorELNS0_4arch9wavefront6targetE1EEEvSF_,comdat
.Lfunc_end1502:
	.size	_ZN7rocprim17ROCPRIM_400000_NS6detail17trampoline_kernelINS0_14default_configENS1_38merge_sort_block_merge_config_selectorIcNS0_10empty_typeEEEZZNS1_27merge_sort_block_merge_implIS3_PcPS5_jNS1_19radix_merge_compareILb1ELb0EcNS0_19identity_decomposerEEEEE10hipError_tT0_T1_T2_jT3_P12ihipStream_tbPNSt15iterator_traitsISE_E10value_typeEPNSK_ISF_E10value_typeEPSG_NS1_7vsmem_tEENKUlT_SE_SF_SG_E_clIS8_S8_S9_S9_EESD_ST_SE_SF_SG_EUlST_E1_NS1_11comp_targetILNS1_3genE2ELNS1_11target_archE906ELNS1_3gpuE6ELNS1_3repE0EEENS1_36merge_oddeven_config_static_selectorELNS0_4arch9wavefront6targetE1EEEvSF_, .Lfunc_end1502-_ZN7rocprim17ROCPRIM_400000_NS6detail17trampoline_kernelINS0_14default_configENS1_38merge_sort_block_merge_config_selectorIcNS0_10empty_typeEEEZZNS1_27merge_sort_block_merge_implIS3_PcPS5_jNS1_19radix_merge_compareILb1ELb0EcNS0_19identity_decomposerEEEEE10hipError_tT0_T1_T2_jT3_P12ihipStream_tbPNSt15iterator_traitsISE_E10value_typeEPNSK_ISF_E10value_typeEPSG_NS1_7vsmem_tEENKUlT_SE_SF_SG_E_clIS8_S8_S9_S9_EESD_ST_SE_SF_SG_EUlST_E1_NS1_11comp_targetILNS1_3genE2ELNS1_11target_archE906ELNS1_3gpuE6ELNS1_3repE0EEENS1_36merge_oddeven_config_static_selectorELNS0_4arch9wavefront6targetE1EEEvSF_
                                        ; -- End function
	.section	.AMDGPU.csdata,"",@progbits
; Kernel info:
; codeLenInByte = 0
; NumSgprs: 4
; NumVgprs: 0
; NumAgprs: 0
; TotalNumVgprs: 0
; ScratchSize: 0
; MemoryBound: 0
; FloatMode: 240
; IeeeMode: 1
; LDSByteSize: 0 bytes/workgroup (compile time only)
; SGPRBlocks: 0
; VGPRBlocks: 0
; NumSGPRsForWavesPerEU: 4
; NumVGPRsForWavesPerEU: 1
; AccumOffset: 4
; Occupancy: 8
; WaveLimiterHint : 0
; COMPUTE_PGM_RSRC2:SCRATCH_EN: 0
; COMPUTE_PGM_RSRC2:USER_SGPR: 6
; COMPUTE_PGM_RSRC2:TRAP_HANDLER: 0
; COMPUTE_PGM_RSRC2:TGID_X_EN: 1
; COMPUTE_PGM_RSRC2:TGID_Y_EN: 0
; COMPUTE_PGM_RSRC2:TGID_Z_EN: 0
; COMPUTE_PGM_RSRC2:TIDIG_COMP_CNT: 0
; COMPUTE_PGM_RSRC3_GFX90A:ACCUM_OFFSET: 0
; COMPUTE_PGM_RSRC3_GFX90A:TG_SPLIT: 0
	.section	.text._ZN7rocprim17ROCPRIM_400000_NS6detail17trampoline_kernelINS0_14default_configENS1_38merge_sort_block_merge_config_selectorIcNS0_10empty_typeEEEZZNS1_27merge_sort_block_merge_implIS3_PcPS5_jNS1_19radix_merge_compareILb1ELb0EcNS0_19identity_decomposerEEEEE10hipError_tT0_T1_T2_jT3_P12ihipStream_tbPNSt15iterator_traitsISE_E10value_typeEPNSK_ISF_E10value_typeEPSG_NS1_7vsmem_tEENKUlT_SE_SF_SG_E_clIS8_S8_S9_S9_EESD_ST_SE_SF_SG_EUlST_E1_NS1_11comp_targetILNS1_3genE9ELNS1_11target_archE1100ELNS1_3gpuE3ELNS1_3repE0EEENS1_36merge_oddeven_config_static_selectorELNS0_4arch9wavefront6targetE1EEEvSF_,"axG",@progbits,_ZN7rocprim17ROCPRIM_400000_NS6detail17trampoline_kernelINS0_14default_configENS1_38merge_sort_block_merge_config_selectorIcNS0_10empty_typeEEEZZNS1_27merge_sort_block_merge_implIS3_PcPS5_jNS1_19radix_merge_compareILb1ELb0EcNS0_19identity_decomposerEEEEE10hipError_tT0_T1_T2_jT3_P12ihipStream_tbPNSt15iterator_traitsISE_E10value_typeEPNSK_ISF_E10value_typeEPSG_NS1_7vsmem_tEENKUlT_SE_SF_SG_E_clIS8_S8_S9_S9_EESD_ST_SE_SF_SG_EUlST_E1_NS1_11comp_targetILNS1_3genE9ELNS1_11target_archE1100ELNS1_3gpuE3ELNS1_3repE0EEENS1_36merge_oddeven_config_static_selectorELNS0_4arch9wavefront6targetE1EEEvSF_,comdat
	.protected	_ZN7rocprim17ROCPRIM_400000_NS6detail17trampoline_kernelINS0_14default_configENS1_38merge_sort_block_merge_config_selectorIcNS0_10empty_typeEEEZZNS1_27merge_sort_block_merge_implIS3_PcPS5_jNS1_19radix_merge_compareILb1ELb0EcNS0_19identity_decomposerEEEEE10hipError_tT0_T1_T2_jT3_P12ihipStream_tbPNSt15iterator_traitsISE_E10value_typeEPNSK_ISF_E10value_typeEPSG_NS1_7vsmem_tEENKUlT_SE_SF_SG_E_clIS8_S8_S9_S9_EESD_ST_SE_SF_SG_EUlST_E1_NS1_11comp_targetILNS1_3genE9ELNS1_11target_archE1100ELNS1_3gpuE3ELNS1_3repE0EEENS1_36merge_oddeven_config_static_selectorELNS0_4arch9wavefront6targetE1EEEvSF_ ; -- Begin function _ZN7rocprim17ROCPRIM_400000_NS6detail17trampoline_kernelINS0_14default_configENS1_38merge_sort_block_merge_config_selectorIcNS0_10empty_typeEEEZZNS1_27merge_sort_block_merge_implIS3_PcPS5_jNS1_19radix_merge_compareILb1ELb0EcNS0_19identity_decomposerEEEEE10hipError_tT0_T1_T2_jT3_P12ihipStream_tbPNSt15iterator_traitsISE_E10value_typeEPNSK_ISF_E10value_typeEPSG_NS1_7vsmem_tEENKUlT_SE_SF_SG_E_clIS8_S8_S9_S9_EESD_ST_SE_SF_SG_EUlST_E1_NS1_11comp_targetILNS1_3genE9ELNS1_11target_archE1100ELNS1_3gpuE3ELNS1_3repE0EEENS1_36merge_oddeven_config_static_selectorELNS0_4arch9wavefront6targetE1EEEvSF_
	.globl	_ZN7rocprim17ROCPRIM_400000_NS6detail17trampoline_kernelINS0_14default_configENS1_38merge_sort_block_merge_config_selectorIcNS0_10empty_typeEEEZZNS1_27merge_sort_block_merge_implIS3_PcPS5_jNS1_19radix_merge_compareILb1ELb0EcNS0_19identity_decomposerEEEEE10hipError_tT0_T1_T2_jT3_P12ihipStream_tbPNSt15iterator_traitsISE_E10value_typeEPNSK_ISF_E10value_typeEPSG_NS1_7vsmem_tEENKUlT_SE_SF_SG_E_clIS8_S8_S9_S9_EESD_ST_SE_SF_SG_EUlST_E1_NS1_11comp_targetILNS1_3genE9ELNS1_11target_archE1100ELNS1_3gpuE3ELNS1_3repE0EEENS1_36merge_oddeven_config_static_selectorELNS0_4arch9wavefront6targetE1EEEvSF_
	.p2align	8
	.type	_ZN7rocprim17ROCPRIM_400000_NS6detail17trampoline_kernelINS0_14default_configENS1_38merge_sort_block_merge_config_selectorIcNS0_10empty_typeEEEZZNS1_27merge_sort_block_merge_implIS3_PcPS5_jNS1_19radix_merge_compareILb1ELb0EcNS0_19identity_decomposerEEEEE10hipError_tT0_T1_T2_jT3_P12ihipStream_tbPNSt15iterator_traitsISE_E10value_typeEPNSK_ISF_E10value_typeEPSG_NS1_7vsmem_tEENKUlT_SE_SF_SG_E_clIS8_S8_S9_S9_EESD_ST_SE_SF_SG_EUlST_E1_NS1_11comp_targetILNS1_3genE9ELNS1_11target_archE1100ELNS1_3gpuE3ELNS1_3repE0EEENS1_36merge_oddeven_config_static_selectorELNS0_4arch9wavefront6targetE1EEEvSF_,@function
_ZN7rocprim17ROCPRIM_400000_NS6detail17trampoline_kernelINS0_14default_configENS1_38merge_sort_block_merge_config_selectorIcNS0_10empty_typeEEEZZNS1_27merge_sort_block_merge_implIS3_PcPS5_jNS1_19radix_merge_compareILb1ELb0EcNS0_19identity_decomposerEEEEE10hipError_tT0_T1_T2_jT3_P12ihipStream_tbPNSt15iterator_traitsISE_E10value_typeEPNSK_ISF_E10value_typeEPSG_NS1_7vsmem_tEENKUlT_SE_SF_SG_E_clIS8_S8_S9_S9_EESD_ST_SE_SF_SG_EUlST_E1_NS1_11comp_targetILNS1_3genE9ELNS1_11target_archE1100ELNS1_3gpuE3ELNS1_3repE0EEENS1_36merge_oddeven_config_static_selectorELNS0_4arch9wavefront6targetE1EEEvSF_: ; @_ZN7rocprim17ROCPRIM_400000_NS6detail17trampoline_kernelINS0_14default_configENS1_38merge_sort_block_merge_config_selectorIcNS0_10empty_typeEEEZZNS1_27merge_sort_block_merge_implIS3_PcPS5_jNS1_19radix_merge_compareILb1ELb0EcNS0_19identity_decomposerEEEEE10hipError_tT0_T1_T2_jT3_P12ihipStream_tbPNSt15iterator_traitsISE_E10value_typeEPNSK_ISF_E10value_typeEPSG_NS1_7vsmem_tEENKUlT_SE_SF_SG_E_clIS8_S8_S9_S9_EESD_ST_SE_SF_SG_EUlST_E1_NS1_11comp_targetILNS1_3genE9ELNS1_11target_archE1100ELNS1_3gpuE3ELNS1_3repE0EEENS1_36merge_oddeven_config_static_selectorELNS0_4arch9wavefront6targetE1EEEvSF_
; %bb.0:
	.section	.rodata,"a",@progbits
	.p2align	6, 0x0
	.amdhsa_kernel _ZN7rocprim17ROCPRIM_400000_NS6detail17trampoline_kernelINS0_14default_configENS1_38merge_sort_block_merge_config_selectorIcNS0_10empty_typeEEEZZNS1_27merge_sort_block_merge_implIS3_PcPS5_jNS1_19radix_merge_compareILb1ELb0EcNS0_19identity_decomposerEEEEE10hipError_tT0_T1_T2_jT3_P12ihipStream_tbPNSt15iterator_traitsISE_E10value_typeEPNSK_ISF_E10value_typeEPSG_NS1_7vsmem_tEENKUlT_SE_SF_SG_E_clIS8_S8_S9_S9_EESD_ST_SE_SF_SG_EUlST_E1_NS1_11comp_targetILNS1_3genE9ELNS1_11target_archE1100ELNS1_3gpuE3ELNS1_3repE0EEENS1_36merge_oddeven_config_static_selectorELNS0_4arch9wavefront6targetE1EEEvSF_
		.amdhsa_group_segment_fixed_size 0
		.amdhsa_private_segment_fixed_size 0
		.amdhsa_kernarg_size 48
		.amdhsa_user_sgpr_count 6
		.amdhsa_user_sgpr_private_segment_buffer 1
		.amdhsa_user_sgpr_dispatch_ptr 0
		.amdhsa_user_sgpr_queue_ptr 0
		.amdhsa_user_sgpr_kernarg_segment_ptr 1
		.amdhsa_user_sgpr_dispatch_id 0
		.amdhsa_user_sgpr_flat_scratch_init 0
		.amdhsa_user_sgpr_kernarg_preload_length 0
		.amdhsa_user_sgpr_kernarg_preload_offset 0
		.amdhsa_user_sgpr_private_segment_size 0
		.amdhsa_uses_dynamic_stack 0
		.amdhsa_system_sgpr_private_segment_wavefront_offset 0
		.amdhsa_system_sgpr_workgroup_id_x 1
		.amdhsa_system_sgpr_workgroup_id_y 0
		.amdhsa_system_sgpr_workgroup_id_z 0
		.amdhsa_system_sgpr_workgroup_info 0
		.amdhsa_system_vgpr_workitem_id 0
		.amdhsa_next_free_vgpr 1
		.amdhsa_next_free_sgpr 0
		.amdhsa_accum_offset 4
		.amdhsa_reserve_vcc 0
		.amdhsa_reserve_flat_scratch 0
		.amdhsa_float_round_mode_32 0
		.amdhsa_float_round_mode_16_64 0
		.amdhsa_float_denorm_mode_32 3
		.amdhsa_float_denorm_mode_16_64 3
		.amdhsa_dx10_clamp 1
		.amdhsa_ieee_mode 1
		.amdhsa_fp16_overflow 0
		.amdhsa_tg_split 0
		.amdhsa_exception_fp_ieee_invalid_op 0
		.amdhsa_exception_fp_denorm_src 0
		.amdhsa_exception_fp_ieee_div_zero 0
		.amdhsa_exception_fp_ieee_overflow 0
		.amdhsa_exception_fp_ieee_underflow 0
		.amdhsa_exception_fp_ieee_inexact 0
		.amdhsa_exception_int_div_zero 0
	.end_amdhsa_kernel
	.section	.text._ZN7rocprim17ROCPRIM_400000_NS6detail17trampoline_kernelINS0_14default_configENS1_38merge_sort_block_merge_config_selectorIcNS0_10empty_typeEEEZZNS1_27merge_sort_block_merge_implIS3_PcPS5_jNS1_19radix_merge_compareILb1ELb0EcNS0_19identity_decomposerEEEEE10hipError_tT0_T1_T2_jT3_P12ihipStream_tbPNSt15iterator_traitsISE_E10value_typeEPNSK_ISF_E10value_typeEPSG_NS1_7vsmem_tEENKUlT_SE_SF_SG_E_clIS8_S8_S9_S9_EESD_ST_SE_SF_SG_EUlST_E1_NS1_11comp_targetILNS1_3genE9ELNS1_11target_archE1100ELNS1_3gpuE3ELNS1_3repE0EEENS1_36merge_oddeven_config_static_selectorELNS0_4arch9wavefront6targetE1EEEvSF_,"axG",@progbits,_ZN7rocprim17ROCPRIM_400000_NS6detail17trampoline_kernelINS0_14default_configENS1_38merge_sort_block_merge_config_selectorIcNS0_10empty_typeEEEZZNS1_27merge_sort_block_merge_implIS3_PcPS5_jNS1_19radix_merge_compareILb1ELb0EcNS0_19identity_decomposerEEEEE10hipError_tT0_T1_T2_jT3_P12ihipStream_tbPNSt15iterator_traitsISE_E10value_typeEPNSK_ISF_E10value_typeEPSG_NS1_7vsmem_tEENKUlT_SE_SF_SG_E_clIS8_S8_S9_S9_EESD_ST_SE_SF_SG_EUlST_E1_NS1_11comp_targetILNS1_3genE9ELNS1_11target_archE1100ELNS1_3gpuE3ELNS1_3repE0EEENS1_36merge_oddeven_config_static_selectorELNS0_4arch9wavefront6targetE1EEEvSF_,comdat
.Lfunc_end1503:
	.size	_ZN7rocprim17ROCPRIM_400000_NS6detail17trampoline_kernelINS0_14default_configENS1_38merge_sort_block_merge_config_selectorIcNS0_10empty_typeEEEZZNS1_27merge_sort_block_merge_implIS3_PcPS5_jNS1_19radix_merge_compareILb1ELb0EcNS0_19identity_decomposerEEEEE10hipError_tT0_T1_T2_jT3_P12ihipStream_tbPNSt15iterator_traitsISE_E10value_typeEPNSK_ISF_E10value_typeEPSG_NS1_7vsmem_tEENKUlT_SE_SF_SG_E_clIS8_S8_S9_S9_EESD_ST_SE_SF_SG_EUlST_E1_NS1_11comp_targetILNS1_3genE9ELNS1_11target_archE1100ELNS1_3gpuE3ELNS1_3repE0EEENS1_36merge_oddeven_config_static_selectorELNS0_4arch9wavefront6targetE1EEEvSF_, .Lfunc_end1503-_ZN7rocprim17ROCPRIM_400000_NS6detail17trampoline_kernelINS0_14default_configENS1_38merge_sort_block_merge_config_selectorIcNS0_10empty_typeEEEZZNS1_27merge_sort_block_merge_implIS3_PcPS5_jNS1_19radix_merge_compareILb1ELb0EcNS0_19identity_decomposerEEEEE10hipError_tT0_T1_T2_jT3_P12ihipStream_tbPNSt15iterator_traitsISE_E10value_typeEPNSK_ISF_E10value_typeEPSG_NS1_7vsmem_tEENKUlT_SE_SF_SG_E_clIS8_S8_S9_S9_EESD_ST_SE_SF_SG_EUlST_E1_NS1_11comp_targetILNS1_3genE9ELNS1_11target_archE1100ELNS1_3gpuE3ELNS1_3repE0EEENS1_36merge_oddeven_config_static_selectorELNS0_4arch9wavefront6targetE1EEEvSF_
                                        ; -- End function
	.section	.AMDGPU.csdata,"",@progbits
; Kernel info:
; codeLenInByte = 0
; NumSgprs: 4
; NumVgprs: 0
; NumAgprs: 0
; TotalNumVgprs: 0
; ScratchSize: 0
; MemoryBound: 0
; FloatMode: 240
; IeeeMode: 1
; LDSByteSize: 0 bytes/workgroup (compile time only)
; SGPRBlocks: 0
; VGPRBlocks: 0
; NumSGPRsForWavesPerEU: 4
; NumVGPRsForWavesPerEU: 1
; AccumOffset: 4
; Occupancy: 8
; WaveLimiterHint : 0
; COMPUTE_PGM_RSRC2:SCRATCH_EN: 0
; COMPUTE_PGM_RSRC2:USER_SGPR: 6
; COMPUTE_PGM_RSRC2:TRAP_HANDLER: 0
; COMPUTE_PGM_RSRC2:TGID_X_EN: 1
; COMPUTE_PGM_RSRC2:TGID_Y_EN: 0
; COMPUTE_PGM_RSRC2:TGID_Z_EN: 0
; COMPUTE_PGM_RSRC2:TIDIG_COMP_CNT: 0
; COMPUTE_PGM_RSRC3_GFX90A:ACCUM_OFFSET: 0
; COMPUTE_PGM_RSRC3_GFX90A:TG_SPLIT: 0
	.section	.text._ZN7rocprim17ROCPRIM_400000_NS6detail17trampoline_kernelINS0_14default_configENS1_38merge_sort_block_merge_config_selectorIcNS0_10empty_typeEEEZZNS1_27merge_sort_block_merge_implIS3_PcPS5_jNS1_19radix_merge_compareILb1ELb0EcNS0_19identity_decomposerEEEEE10hipError_tT0_T1_T2_jT3_P12ihipStream_tbPNSt15iterator_traitsISE_E10value_typeEPNSK_ISF_E10value_typeEPSG_NS1_7vsmem_tEENKUlT_SE_SF_SG_E_clIS8_S8_S9_S9_EESD_ST_SE_SF_SG_EUlST_E1_NS1_11comp_targetILNS1_3genE8ELNS1_11target_archE1030ELNS1_3gpuE2ELNS1_3repE0EEENS1_36merge_oddeven_config_static_selectorELNS0_4arch9wavefront6targetE1EEEvSF_,"axG",@progbits,_ZN7rocprim17ROCPRIM_400000_NS6detail17trampoline_kernelINS0_14default_configENS1_38merge_sort_block_merge_config_selectorIcNS0_10empty_typeEEEZZNS1_27merge_sort_block_merge_implIS3_PcPS5_jNS1_19radix_merge_compareILb1ELb0EcNS0_19identity_decomposerEEEEE10hipError_tT0_T1_T2_jT3_P12ihipStream_tbPNSt15iterator_traitsISE_E10value_typeEPNSK_ISF_E10value_typeEPSG_NS1_7vsmem_tEENKUlT_SE_SF_SG_E_clIS8_S8_S9_S9_EESD_ST_SE_SF_SG_EUlST_E1_NS1_11comp_targetILNS1_3genE8ELNS1_11target_archE1030ELNS1_3gpuE2ELNS1_3repE0EEENS1_36merge_oddeven_config_static_selectorELNS0_4arch9wavefront6targetE1EEEvSF_,comdat
	.protected	_ZN7rocprim17ROCPRIM_400000_NS6detail17trampoline_kernelINS0_14default_configENS1_38merge_sort_block_merge_config_selectorIcNS0_10empty_typeEEEZZNS1_27merge_sort_block_merge_implIS3_PcPS5_jNS1_19radix_merge_compareILb1ELb0EcNS0_19identity_decomposerEEEEE10hipError_tT0_T1_T2_jT3_P12ihipStream_tbPNSt15iterator_traitsISE_E10value_typeEPNSK_ISF_E10value_typeEPSG_NS1_7vsmem_tEENKUlT_SE_SF_SG_E_clIS8_S8_S9_S9_EESD_ST_SE_SF_SG_EUlST_E1_NS1_11comp_targetILNS1_3genE8ELNS1_11target_archE1030ELNS1_3gpuE2ELNS1_3repE0EEENS1_36merge_oddeven_config_static_selectorELNS0_4arch9wavefront6targetE1EEEvSF_ ; -- Begin function _ZN7rocprim17ROCPRIM_400000_NS6detail17trampoline_kernelINS0_14default_configENS1_38merge_sort_block_merge_config_selectorIcNS0_10empty_typeEEEZZNS1_27merge_sort_block_merge_implIS3_PcPS5_jNS1_19radix_merge_compareILb1ELb0EcNS0_19identity_decomposerEEEEE10hipError_tT0_T1_T2_jT3_P12ihipStream_tbPNSt15iterator_traitsISE_E10value_typeEPNSK_ISF_E10value_typeEPSG_NS1_7vsmem_tEENKUlT_SE_SF_SG_E_clIS8_S8_S9_S9_EESD_ST_SE_SF_SG_EUlST_E1_NS1_11comp_targetILNS1_3genE8ELNS1_11target_archE1030ELNS1_3gpuE2ELNS1_3repE0EEENS1_36merge_oddeven_config_static_selectorELNS0_4arch9wavefront6targetE1EEEvSF_
	.globl	_ZN7rocprim17ROCPRIM_400000_NS6detail17trampoline_kernelINS0_14default_configENS1_38merge_sort_block_merge_config_selectorIcNS0_10empty_typeEEEZZNS1_27merge_sort_block_merge_implIS3_PcPS5_jNS1_19radix_merge_compareILb1ELb0EcNS0_19identity_decomposerEEEEE10hipError_tT0_T1_T2_jT3_P12ihipStream_tbPNSt15iterator_traitsISE_E10value_typeEPNSK_ISF_E10value_typeEPSG_NS1_7vsmem_tEENKUlT_SE_SF_SG_E_clIS8_S8_S9_S9_EESD_ST_SE_SF_SG_EUlST_E1_NS1_11comp_targetILNS1_3genE8ELNS1_11target_archE1030ELNS1_3gpuE2ELNS1_3repE0EEENS1_36merge_oddeven_config_static_selectorELNS0_4arch9wavefront6targetE1EEEvSF_
	.p2align	8
	.type	_ZN7rocprim17ROCPRIM_400000_NS6detail17trampoline_kernelINS0_14default_configENS1_38merge_sort_block_merge_config_selectorIcNS0_10empty_typeEEEZZNS1_27merge_sort_block_merge_implIS3_PcPS5_jNS1_19radix_merge_compareILb1ELb0EcNS0_19identity_decomposerEEEEE10hipError_tT0_T1_T2_jT3_P12ihipStream_tbPNSt15iterator_traitsISE_E10value_typeEPNSK_ISF_E10value_typeEPSG_NS1_7vsmem_tEENKUlT_SE_SF_SG_E_clIS8_S8_S9_S9_EESD_ST_SE_SF_SG_EUlST_E1_NS1_11comp_targetILNS1_3genE8ELNS1_11target_archE1030ELNS1_3gpuE2ELNS1_3repE0EEENS1_36merge_oddeven_config_static_selectorELNS0_4arch9wavefront6targetE1EEEvSF_,@function
_ZN7rocprim17ROCPRIM_400000_NS6detail17trampoline_kernelINS0_14default_configENS1_38merge_sort_block_merge_config_selectorIcNS0_10empty_typeEEEZZNS1_27merge_sort_block_merge_implIS3_PcPS5_jNS1_19radix_merge_compareILb1ELb0EcNS0_19identity_decomposerEEEEE10hipError_tT0_T1_T2_jT3_P12ihipStream_tbPNSt15iterator_traitsISE_E10value_typeEPNSK_ISF_E10value_typeEPSG_NS1_7vsmem_tEENKUlT_SE_SF_SG_E_clIS8_S8_S9_S9_EESD_ST_SE_SF_SG_EUlST_E1_NS1_11comp_targetILNS1_3genE8ELNS1_11target_archE1030ELNS1_3gpuE2ELNS1_3repE0EEENS1_36merge_oddeven_config_static_selectorELNS0_4arch9wavefront6targetE1EEEvSF_: ; @_ZN7rocprim17ROCPRIM_400000_NS6detail17trampoline_kernelINS0_14default_configENS1_38merge_sort_block_merge_config_selectorIcNS0_10empty_typeEEEZZNS1_27merge_sort_block_merge_implIS3_PcPS5_jNS1_19radix_merge_compareILb1ELb0EcNS0_19identity_decomposerEEEEE10hipError_tT0_T1_T2_jT3_P12ihipStream_tbPNSt15iterator_traitsISE_E10value_typeEPNSK_ISF_E10value_typeEPSG_NS1_7vsmem_tEENKUlT_SE_SF_SG_E_clIS8_S8_S9_S9_EESD_ST_SE_SF_SG_EUlST_E1_NS1_11comp_targetILNS1_3genE8ELNS1_11target_archE1030ELNS1_3gpuE2ELNS1_3repE0EEENS1_36merge_oddeven_config_static_selectorELNS0_4arch9wavefront6targetE1EEEvSF_
; %bb.0:
	.section	.rodata,"a",@progbits
	.p2align	6, 0x0
	.amdhsa_kernel _ZN7rocprim17ROCPRIM_400000_NS6detail17trampoline_kernelINS0_14default_configENS1_38merge_sort_block_merge_config_selectorIcNS0_10empty_typeEEEZZNS1_27merge_sort_block_merge_implIS3_PcPS5_jNS1_19radix_merge_compareILb1ELb0EcNS0_19identity_decomposerEEEEE10hipError_tT0_T1_T2_jT3_P12ihipStream_tbPNSt15iterator_traitsISE_E10value_typeEPNSK_ISF_E10value_typeEPSG_NS1_7vsmem_tEENKUlT_SE_SF_SG_E_clIS8_S8_S9_S9_EESD_ST_SE_SF_SG_EUlST_E1_NS1_11comp_targetILNS1_3genE8ELNS1_11target_archE1030ELNS1_3gpuE2ELNS1_3repE0EEENS1_36merge_oddeven_config_static_selectorELNS0_4arch9wavefront6targetE1EEEvSF_
		.amdhsa_group_segment_fixed_size 0
		.amdhsa_private_segment_fixed_size 0
		.amdhsa_kernarg_size 48
		.amdhsa_user_sgpr_count 6
		.amdhsa_user_sgpr_private_segment_buffer 1
		.amdhsa_user_sgpr_dispatch_ptr 0
		.amdhsa_user_sgpr_queue_ptr 0
		.amdhsa_user_sgpr_kernarg_segment_ptr 1
		.amdhsa_user_sgpr_dispatch_id 0
		.amdhsa_user_sgpr_flat_scratch_init 0
		.amdhsa_user_sgpr_kernarg_preload_length 0
		.amdhsa_user_sgpr_kernarg_preload_offset 0
		.amdhsa_user_sgpr_private_segment_size 0
		.amdhsa_uses_dynamic_stack 0
		.amdhsa_system_sgpr_private_segment_wavefront_offset 0
		.amdhsa_system_sgpr_workgroup_id_x 1
		.amdhsa_system_sgpr_workgroup_id_y 0
		.amdhsa_system_sgpr_workgroup_id_z 0
		.amdhsa_system_sgpr_workgroup_info 0
		.amdhsa_system_vgpr_workitem_id 0
		.amdhsa_next_free_vgpr 1
		.amdhsa_next_free_sgpr 0
		.amdhsa_accum_offset 4
		.amdhsa_reserve_vcc 0
		.amdhsa_reserve_flat_scratch 0
		.amdhsa_float_round_mode_32 0
		.amdhsa_float_round_mode_16_64 0
		.amdhsa_float_denorm_mode_32 3
		.amdhsa_float_denorm_mode_16_64 3
		.amdhsa_dx10_clamp 1
		.amdhsa_ieee_mode 1
		.amdhsa_fp16_overflow 0
		.amdhsa_tg_split 0
		.amdhsa_exception_fp_ieee_invalid_op 0
		.amdhsa_exception_fp_denorm_src 0
		.amdhsa_exception_fp_ieee_div_zero 0
		.amdhsa_exception_fp_ieee_overflow 0
		.amdhsa_exception_fp_ieee_underflow 0
		.amdhsa_exception_fp_ieee_inexact 0
		.amdhsa_exception_int_div_zero 0
	.end_amdhsa_kernel
	.section	.text._ZN7rocprim17ROCPRIM_400000_NS6detail17trampoline_kernelINS0_14default_configENS1_38merge_sort_block_merge_config_selectorIcNS0_10empty_typeEEEZZNS1_27merge_sort_block_merge_implIS3_PcPS5_jNS1_19radix_merge_compareILb1ELb0EcNS0_19identity_decomposerEEEEE10hipError_tT0_T1_T2_jT3_P12ihipStream_tbPNSt15iterator_traitsISE_E10value_typeEPNSK_ISF_E10value_typeEPSG_NS1_7vsmem_tEENKUlT_SE_SF_SG_E_clIS8_S8_S9_S9_EESD_ST_SE_SF_SG_EUlST_E1_NS1_11comp_targetILNS1_3genE8ELNS1_11target_archE1030ELNS1_3gpuE2ELNS1_3repE0EEENS1_36merge_oddeven_config_static_selectorELNS0_4arch9wavefront6targetE1EEEvSF_,"axG",@progbits,_ZN7rocprim17ROCPRIM_400000_NS6detail17trampoline_kernelINS0_14default_configENS1_38merge_sort_block_merge_config_selectorIcNS0_10empty_typeEEEZZNS1_27merge_sort_block_merge_implIS3_PcPS5_jNS1_19radix_merge_compareILb1ELb0EcNS0_19identity_decomposerEEEEE10hipError_tT0_T1_T2_jT3_P12ihipStream_tbPNSt15iterator_traitsISE_E10value_typeEPNSK_ISF_E10value_typeEPSG_NS1_7vsmem_tEENKUlT_SE_SF_SG_E_clIS8_S8_S9_S9_EESD_ST_SE_SF_SG_EUlST_E1_NS1_11comp_targetILNS1_3genE8ELNS1_11target_archE1030ELNS1_3gpuE2ELNS1_3repE0EEENS1_36merge_oddeven_config_static_selectorELNS0_4arch9wavefront6targetE1EEEvSF_,comdat
.Lfunc_end1504:
	.size	_ZN7rocprim17ROCPRIM_400000_NS6detail17trampoline_kernelINS0_14default_configENS1_38merge_sort_block_merge_config_selectorIcNS0_10empty_typeEEEZZNS1_27merge_sort_block_merge_implIS3_PcPS5_jNS1_19radix_merge_compareILb1ELb0EcNS0_19identity_decomposerEEEEE10hipError_tT0_T1_T2_jT3_P12ihipStream_tbPNSt15iterator_traitsISE_E10value_typeEPNSK_ISF_E10value_typeEPSG_NS1_7vsmem_tEENKUlT_SE_SF_SG_E_clIS8_S8_S9_S9_EESD_ST_SE_SF_SG_EUlST_E1_NS1_11comp_targetILNS1_3genE8ELNS1_11target_archE1030ELNS1_3gpuE2ELNS1_3repE0EEENS1_36merge_oddeven_config_static_selectorELNS0_4arch9wavefront6targetE1EEEvSF_, .Lfunc_end1504-_ZN7rocprim17ROCPRIM_400000_NS6detail17trampoline_kernelINS0_14default_configENS1_38merge_sort_block_merge_config_selectorIcNS0_10empty_typeEEEZZNS1_27merge_sort_block_merge_implIS3_PcPS5_jNS1_19radix_merge_compareILb1ELb0EcNS0_19identity_decomposerEEEEE10hipError_tT0_T1_T2_jT3_P12ihipStream_tbPNSt15iterator_traitsISE_E10value_typeEPNSK_ISF_E10value_typeEPSG_NS1_7vsmem_tEENKUlT_SE_SF_SG_E_clIS8_S8_S9_S9_EESD_ST_SE_SF_SG_EUlST_E1_NS1_11comp_targetILNS1_3genE8ELNS1_11target_archE1030ELNS1_3gpuE2ELNS1_3repE0EEENS1_36merge_oddeven_config_static_selectorELNS0_4arch9wavefront6targetE1EEEvSF_
                                        ; -- End function
	.section	.AMDGPU.csdata,"",@progbits
; Kernel info:
; codeLenInByte = 0
; NumSgprs: 4
; NumVgprs: 0
; NumAgprs: 0
; TotalNumVgprs: 0
; ScratchSize: 0
; MemoryBound: 0
; FloatMode: 240
; IeeeMode: 1
; LDSByteSize: 0 bytes/workgroup (compile time only)
; SGPRBlocks: 0
; VGPRBlocks: 0
; NumSGPRsForWavesPerEU: 4
; NumVGPRsForWavesPerEU: 1
; AccumOffset: 4
; Occupancy: 8
; WaveLimiterHint : 0
; COMPUTE_PGM_RSRC2:SCRATCH_EN: 0
; COMPUTE_PGM_RSRC2:USER_SGPR: 6
; COMPUTE_PGM_RSRC2:TRAP_HANDLER: 0
; COMPUTE_PGM_RSRC2:TGID_X_EN: 1
; COMPUTE_PGM_RSRC2:TGID_Y_EN: 0
; COMPUTE_PGM_RSRC2:TGID_Z_EN: 0
; COMPUTE_PGM_RSRC2:TIDIG_COMP_CNT: 0
; COMPUTE_PGM_RSRC3_GFX90A:ACCUM_OFFSET: 0
; COMPUTE_PGM_RSRC3_GFX90A:TG_SPLIT: 0
	.section	.text._ZN7rocprim17ROCPRIM_400000_NS6detail17trampoline_kernelINS0_14default_configENS1_38merge_sort_block_merge_config_selectorIcNS0_10empty_typeEEEZZNS1_27merge_sort_block_merge_implIS3_PcPS5_jNS1_19radix_merge_compareILb1ELb1EcNS0_19identity_decomposerEEEEE10hipError_tT0_T1_T2_jT3_P12ihipStream_tbPNSt15iterator_traitsISE_E10value_typeEPNSK_ISF_E10value_typeEPSG_NS1_7vsmem_tEENKUlT_SE_SF_SG_E_clIS8_S8_S9_S9_EESD_ST_SE_SF_SG_EUlST_E_NS1_11comp_targetILNS1_3genE0ELNS1_11target_archE4294967295ELNS1_3gpuE0ELNS1_3repE0EEENS1_48merge_mergepath_partition_config_static_selectorELNS0_4arch9wavefront6targetE1EEEvSF_,"axG",@progbits,_ZN7rocprim17ROCPRIM_400000_NS6detail17trampoline_kernelINS0_14default_configENS1_38merge_sort_block_merge_config_selectorIcNS0_10empty_typeEEEZZNS1_27merge_sort_block_merge_implIS3_PcPS5_jNS1_19radix_merge_compareILb1ELb1EcNS0_19identity_decomposerEEEEE10hipError_tT0_T1_T2_jT3_P12ihipStream_tbPNSt15iterator_traitsISE_E10value_typeEPNSK_ISF_E10value_typeEPSG_NS1_7vsmem_tEENKUlT_SE_SF_SG_E_clIS8_S8_S9_S9_EESD_ST_SE_SF_SG_EUlST_E_NS1_11comp_targetILNS1_3genE0ELNS1_11target_archE4294967295ELNS1_3gpuE0ELNS1_3repE0EEENS1_48merge_mergepath_partition_config_static_selectorELNS0_4arch9wavefront6targetE1EEEvSF_,comdat
	.protected	_ZN7rocprim17ROCPRIM_400000_NS6detail17trampoline_kernelINS0_14default_configENS1_38merge_sort_block_merge_config_selectorIcNS0_10empty_typeEEEZZNS1_27merge_sort_block_merge_implIS3_PcPS5_jNS1_19radix_merge_compareILb1ELb1EcNS0_19identity_decomposerEEEEE10hipError_tT0_T1_T2_jT3_P12ihipStream_tbPNSt15iterator_traitsISE_E10value_typeEPNSK_ISF_E10value_typeEPSG_NS1_7vsmem_tEENKUlT_SE_SF_SG_E_clIS8_S8_S9_S9_EESD_ST_SE_SF_SG_EUlST_E_NS1_11comp_targetILNS1_3genE0ELNS1_11target_archE4294967295ELNS1_3gpuE0ELNS1_3repE0EEENS1_48merge_mergepath_partition_config_static_selectorELNS0_4arch9wavefront6targetE1EEEvSF_ ; -- Begin function _ZN7rocprim17ROCPRIM_400000_NS6detail17trampoline_kernelINS0_14default_configENS1_38merge_sort_block_merge_config_selectorIcNS0_10empty_typeEEEZZNS1_27merge_sort_block_merge_implIS3_PcPS5_jNS1_19radix_merge_compareILb1ELb1EcNS0_19identity_decomposerEEEEE10hipError_tT0_T1_T2_jT3_P12ihipStream_tbPNSt15iterator_traitsISE_E10value_typeEPNSK_ISF_E10value_typeEPSG_NS1_7vsmem_tEENKUlT_SE_SF_SG_E_clIS8_S8_S9_S9_EESD_ST_SE_SF_SG_EUlST_E_NS1_11comp_targetILNS1_3genE0ELNS1_11target_archE4294967295ELNS1_3gpuE0ELNS1_3repE0EEENS1_48merge_mergepath_partition_config_static_selectorELNS0_4arch9wavefront6targetE1EEEvSF_
	.globl	_ZN7rocprim17ROCPRIM_400000_NS6detail17trampoline_kernelINS0_14default_configENS1_38merge_sort_block_merge_config_selectorIcNS0_10empty_typeEEEZZNS1_27merge_sort_block_merge_implIS3_PcPS5_jNS1_19radix_merge_compareILb1ELb1EcNS0_19identity_decomposerEEEEE10hipError_tT0_T1_T2_jT3_P12ihipStream_tbPNSt15iterator_traitsISE_E10value_typeEPNSK_ISF_E10value_typeEPSG_NS1_7vsmem_tEENKUlT_SE_SF_SG_E_clIS8_S8_S9_S9_EESD_ST_SE_SF_SG_EUlST_E_NS1_11comp_targetILNS1_3genE0ELNS1_11target_archE4294967295ELNS1_3gpuE0ELNS1_3repE0EEENS1_48merge_mergepath_partition_config_static_selectorELNS0_4arch9wavefront6targetE1EEEvSF_
	.p2align	8
	.type	_ZN7rocprim17ROCPRIM_400000_NS6detail17trampoline_kernelINS0_14default_configENS1_38merge_sort_block_merge_config_selectorIcNS0_10empty_typeEEEZZNS1_27merge_sort_block_merge_implIS3_PcPS5_jNS1_19radix_merge_compareILb1ELb1EcNS0_19identity_decomposerEEEEE10hipError_tT0_T1_T2_jT3_P12ihipStream_tbPNSt15iterator_traitsISE_E10value_typeEPNSK_ISF_E10value_typeEPSG_NS1_7vsmem_tEENKUlT_SE_SF_SG_E_clIS8_S8_S9_S9_EESD_ST_SE_SF_SG_EUlST_E_NS1_11comp_targetILNS1_3genE0ELNS1_11target_archE4294967295ELNS1_3gpuE0ELNS1_3repE0EEENS1_48merge_mergepath_partition_config_static_selectorELNS0_4arch9wavefront6targetE1EEEvSF_,@function
_ZN7rocprim17ROCPRIM_400000_NS6detail17trampoline_kernelINS0_14default_configENS1_38merge_sort_block_merge_config_selectorIcNS0_10empty_typeEEEZZNS1_27merge_sort_block_merge_implIS3_PcPS5_jNS1_19radix_merge_compareILb1ELb1EcNS0_19identity_decomposerEEEEE10hipError_tT0_T1_T2_jT3_P12ihipStream_tbPNSt15iterator_traitsISE_E10value_typeEPNSK_ISF_E10value_typeEPSG_NS1_7vsmem_tEENKUlT_SE_SF_SG_E_clIS8_S8_S9_S9_EESD_ST_SE_SF_SG_EUlST_E_NS1_11comp_targetILNS1_3genE0ELNS1_11target_archE4294967295ELNS1_3gpuE0ELNS1_3repE0EEENS1_48merge_mergepath_partition_config_static_selectorELNS0_4arch9wavefront6targetE1EEEvSF_: ; @_ZN7rocprim17ROCPRIM_400000_NS6detail17trampoline_kernelINS0_14default_configENS1_38merge_sort_block_merge_config_selectorIcNS0_10empty_typeEEEZZNS1_27merge_sort_block_merge_implIS3_PcPS5_jNS1_19radix_merge_compareILb1ELb1EcNS0_19identity_decomposerEEEEE10hipError_tT0_T1_T2_jT3_P12ihipStream_tbPNSt15iterator_traitsISE_E10value_typeEPNSK_ISF_E10value_typeEPSG_NS1_7vsmem_tEENKUlT_SE_SF_SG_E_clIS8_S8_S9_S9_EESD_ST_SE_SF_SG_EUlST_E_NS1_11comp_targetILNS1_3genE0ELNS1_11target_archE4294967295ELNS1_3gpuE0ELNS1_3repE0EEENS1_48merge_mergepath_partition_config_static_selectorELNS0_4arch9wavefront6targetE1EEEvSF_
; %bb.0:
	.section	.rodata,"a",@progbits
	.p2align	6, 0x0
	.amdhsa_kernel _ZN7rocprim17ROCPRIM_400000_NS6detail17trampoline_kernelINS0_14default_configENS1_38merge_sort_block_merge_config_selectorIcNS0_10empty_typeEEEZZNS1_27merge_sort_block_merge_implIS3_PcPS5_jNS1_19radix_merge_compareILb1ELb1EcNS0_19identity_decomposerEEEEE10hipError_tT0_T1_T2_jT3_P12ihipStream_tbPNSt15iterator_traitsISE_E10value_typeEPNSK_ISF_E10value_typeEPSG_NS1_7vsmem_tEENKUlT_SE_SF_SG_E_clIS8_S8_S9_S9_EESD_ST_SE_SF_SG_EUlST_E_NS1_11comp_targetILNS1_3genE0ELNS1_11target_archE4294967295ELNS1_3gpuE0ELNS1_3repE0EEENS1_48merge_mergepath_partition_config_static_selectorELNS0_4arch9wavefront6targetE1EEEvSF_
		.amdhsa_group_segment_fixed_size 0
		.amdhsa_private_segment_fixed_size 0
		.amdhsa_kernarg_size 40
		.amdhsa_user_sgpr_count 6
		.amdhsa_user_sgpr_private_segment_buffer 1
		.amdhsa_user_sgpr_dispatch_ptr 0
		.amdhsa_user_sgpr_queue_ptr 0
		.amdhsa_user_sgpr_kernarg_segment_ptr 1
		.amdhsa_user_sgpr_dispatch_id 0
		.amdhsa_user_sgpr_flat_scratch_init 0
		.amdhsa_user_sgpr_kernarg_preload_length 0
		.amdhsa_user_sgpr_kernarg_preload_offset 0
		.amdhsa_user_sgpr_private_segment_size 0
		.amdhsa_uses_dynamic_stack 0
		.amdhsa_system_sgpr_private_segment_wavefront_offset 0
		.amdhsa_system_sgpr_workgroup_id_x 1
		.amdhsa_system_sgpr_workgroup_id_y 0
		.amdhsa_system_sgpr_workgroup_id_z 0
		.amdhsa_system_sgpr_workgroup_info 0
		.amdhsa_system_vgpr_workitem_id 0
		.amdhsa_next_free_vgpr 1
		.amdhsa_next_free_sgpr 0
		.amdhsa_accum_offset 4
		.amdhsa_reserve_vcc 0
		.amdhsa_reserve_flat_scratch 0
		.amdhsa_float_round_mode_32 0
		.amdhsa_float_round_mode_16_64 0
		.amdhsa_float_denorm_mode_32 3
		.amdhsa_float_denorm_mode_16_64 3
		.amdhsa_dx10_clamp 1
		.amdhsa_ieee_mode 1
		.amdhsa_fp16_overflow 0
		.amdhsa_tg_split 0
		.amdhsa_exception_fp_ieee_invalid_op 0
		.amdhsa_exception_fp_denorm_src 0
		.amdhsa_exception_fp_ieee_div_zero 0
		.amdhsa_exception_fp_ieee_overflow 0
		.amdhsa_exception_fp_ieee_underflow 0
		.amdhsa_exception_fp_ieee_inexact 0
		.amdhsa_exception_int_div_zero 0
	.end_amdhsa_kernel
	.section	.text._ZN7rocprim17ROCPRIM_400000_NS6detail17trampoline_kernelINS0_14default_configENS1_38merge_sort_block_merge_config_selectorIcNS0_10empty_typeEEEZZNS1_27merge_sort_block_merge_implIS3_PcPS5_jNS1_19radix_merge_compareILb1ELb1EcNS0_19identity_decomposerEEEEE10hipError_tT0_T1_T2_jT3_P12ihipStream_tbPNSt15iterator_traitsISE_E10value_typeEPNSK_ISF_E10value_typeEPSG_NS1_7vsmem_tEENKUlT_SE_SF_SG_E_clIS8_S8_S9_S9_EESD_ST_SE_SF_SG_EUlST_E_NS1_11comp_targetILNS1_3genE0ELNS1_11target_archE4294967295ELNS1_3gpuE0ELNS1_3repE0EEENS1_48merge_mergepath_partition_config_static_selectorELNS0_4arch9wavefront6targetE1EEEvSF_,"axG",@progbits,_ZN7rocprim17ROCPRIM_400000_NS6detail17trampoline_kernelINS0_14default_configENS1_38merge_sort_block_merge_config_selectorIcNS0_10empty_typeEEEZZNS1_27merge_sort_block_merge_implIS3_PcPS5_jNS1_19radix_merge_compareILb1ELb1EcNS0_19identity_decomposerEEEEE10hipError_tT0_T1_T2_jT3_P12ihipStream_tbPNSt15iterator_traitsISE_E10value_typeEPNSK_ISF_E10value_typeEPSG_NS1_7vsmem_tEENKUlT_SE_SF_SG_E_clIS8_S8_S9_S9_EESD_ST_SE_SF_SG_EUlST_E_NS1_11comp_targetILNS1_3genE0ELNS1_11target_archE4294967295ELNS1_3gpuE0ELNS1_3repE0EEENS1_48merge_mergepath_partition_config_static_selectorELNS0_4arch9wavefront6targetE1EEEvSF_,comdat
.Lfunc_end1505:
	.size	_ZN7rocprim17ROCPRIM_400000_NS6detail17trampoline_kernelINS0_14default_configENS1_38merge_sort_block_merge_config_selectorIcNS0_10empty_typeEEEZZNS1_27merge_sort_block_merge_implIS3_PcPS5_jNS1_19radix_merge_compareILb1ELb1EcNS0_19identity_decomposerEEEEE10hipError_tT0_T1_T2_jT3_P12ihipStream_tbPNSt15iterator_traitsISE_E10value_typeEPNSK_ISF_E10value_typeEPSG_NS1_7vsmem_tEENKUlT_SE_SF_SG_E_clIS8_S8_S9_S9_EESD_ST_SE_SF_SG_EUlST_E_NS1_11comp_targetILNS1_3genE0ELNS1_11target_archE4294967295ELNS1_3gpuE0ELNS1_3repE0EEENS1_48merge_mergepath_partition_config_static_selectorELNS0_4arch9wavefront6targetE1EEEvSF_, .Lfunc_end1505-_ZN7rocprim17ROCPRIM_400000_NS6detail17trampoline_kernelINS0_14default_configENS1_38merge_sort_block_merge_config_selectorIcNS0_10empty_typeEEEZZNS1_27merge_sort_block_merge_implIS3_PcPS5_jNS1_19radix_merge_compareILb1ELb1EcNS0_19identity_decomposerEEEEE10hipError_tT0_T1_T2_jT3_P12ihipStream_tbPNSt15iterator_traitsISE_E10value_typeEPNSK_ISF_E10value_typeEPSG_NS1_7vsmem_tEENKUlT_SE_SF_SG_E_clIS8_S8_S9_S9_EESD_ST_SE_SF_SG_EUlST_E_NS1_11comp_targetILNS1_3genE0ELNS1_11target_archE4294967295ELNS1_3gpuE0ELNS1_3repE0EEENS1_48merge_mergepath_partition_config_static_selectorELNS0_4arch9wavefront6targetE1EEEvSF_
                                        ; -- End function
	.section	.AMDGPU.csdata,"",@progbits
; Kernel info:
; codeLenInByte = 0
; NumSgprs: 4
; NumVgprs: 0
; NumAgprs: 0
; TotalNumVgprs: 0
; ScratchSize: 0
; MemoryBound: 0
; FloatMode: 240
; IeeeMode: 1
; LDSByteSize: 0 bytes/workgroup (compile time only)
; SGPRBlocks: 0
; VGPRBlocks: 0
; NumSGPRsForWavesPerEU: 4
; NumVGPRsForWavesPerEU: 1
; AccumOffset: 4
; Occupancy: 8
; WaveLimiterHint : 0
; COMPUTE_PGM_RSRC2:SCRATCH_EN: 0
; COMPUTE_PGM_RSRC2:USER_SGPR: 6
; COMPUTE_PGM_RSRC2:TRAP_HANDLER: 0
; COMPUTE_PGM_RSRC2:TGID_X_EN: 1
; COMPUTE_PGM_RSRC2:TGID_Y_EN: 0
; COMPUTE_PGM_RSRC2:TGID_Z_EN: 0
; COMPUTE_PGM_RSRC2:TIDIG_COMP_CNT: 0
; COMPUTE_PGM_RSRC3_GFX90A:ACCUM_OFFSET: 0
; COMPUTE_PGM_RSRC3_GFX90A:TG_SPLIT: 0
	.section	.text._ZN7rocprim17ROCPRIM_400000_NS6detail17trampoline_kernelINS0_14default_configENS1_38merge_sort_block_merge_config_selectorIcNS0_10empty_typeEEEZZNS1_27merge_sort_block_merge_implIS3_PcPS5_jNS1_19radix_merge_compareILb1ELb1EcNS0_19identity_decomposerEEEEE10hipError_tT0_T1_T2_jT3_P12ihipStream_tbPNSt15iterator_traitsISE_E10value_typeEPNSK_ISF_E10value_typeEPSG_NS1_7vsmem_tEENKUlT_SE_SF_SG_E_clIS8_S8_S9_S9_EESD_ST_SE_SF_SG_EUlST_E_NS1_11comp_targetILNS1_3genE10ELNS1_11target_archE1201ELNS1_3gpuE5ELNS1_3repE0EEENS1_48merge_mergepath_partition_config_static_selectorELNS0_4arch9wavefront6targetE1EEEvSF_,"axG",@progbits,_ZN7rocprim17ROCPRIM_400000_NS6detail17trampoline_kernelINS0_14default_configENS1_38merge_sort_block_merge_config_selectorIcNS0_10empty_typeEEEZZNS1_27merge_sort_block_merge_implIS3_PcPS5_jNS1_19radix_merge_compareILb1ELb1EcNS0_19identity_decomposerEEEEE10hipError_tT0_T1_T2_jT3_P12ihipStream_tbPNSt15iterator_traitsISE_E10value_typeEPNSK_ISF_E10value_typeEPSG_NS1_7vsmem_tEENKUlT_SE_SF_SG_E_clIS8_S8_S9_S9_EESD_ST_SE_SF_SG_EUlST_E_NS1_11comp_targetILNS1_3genE10ELNS1_11target_archE1201ELNS1_3gpuE5ELNS1_3repE0EEENS1_48merge_mergepath_partition_config_static_selectorELNS0_4arch9wavefront6targetE1EEEvSF_,comdat
	.protected	_ZN7rocprim17ROCPRIM_400000_NS6detail17trampoline_kernelINS0_14default_configENS1_38merge_sort_block_merge_config_selectorIcNS0_10empty_typeEEEZZNS1_27merge_sort_block_merge_implIS3_PcPS5_jNS1_19radix_merge_compareILb1ELb1EcNS0_19identity_decomposerEEEEE10hipError_tT0_T1_T2_jT3_P12ihipStream_tbPNSt15iterator_traitsISE_E10value_typeEPNSK_ISF_E10value_typeEPSG_NS1_7vsmem_tEENKUlT_SE_SF_SG_E_clIS8_S8_S9_S9_EESD_ST_SE_SF_SG_EUlST_E_NS1_11comp_targetILNS1_3genE10ELNS1_11target_archE1201ELNS1_3gpuE5ELNS1_3repE0EEENS1_48merge_mergepath_partition_config_static_selectorELNS0_4arch9wavefront6targetE1EEEvSF_ ; -- Begin function _ZN7rocprim17ROCPRIM_400000_NS6detail17trampoline_kernelINS0_14default_configENS1_38merge_sort_block_merge_config_selectorIcNS0_10empty_typeEEEZZNS1_27merge_sort_block_merge_implIS3_PcPS5_jNS1_19radix_merge_compareILb1ELb1EcNS0_19identity_decomposerEEEEE10hipError_tT0_T1_T2_jT3_P12ihipStream_tbPNSt15iterator_traitsISE_E10value_typeEPNSK_ISF_E10value_typeEPSG_NS1_7vsmem_tEENKUlT_SE_SF_SG_E_clIS8_S8_S9_S9_EESD_ST_SE_SF_SG_EUlST_E_NS1_11comp_targetILNS1_3genE10ELNS1_11target_archE1201ELNS1_3gpuE5ELNS1_3repE0EEENS1_48merge_mergepath_partition_config_static_selectorELNS0_4arch9wavefront6targetE1EEEvSF_
	.globl	_ZN7rocprim17ROCPRIM_400000_NS6detail17trampoline_kernelINS0_14default_configENS1_38merge_sort_block_merge_config_selectorIcNS0_10empty_typeEEEZZNS1_27merge_sort_block_merge_implIS3_PcPS5_jNS1_19radix_merge_compareILb1ELb1EcNS0_19identity_decomposerEEEEE10hipError_tT0_T1_T2_jT3_P12ihipStream_tbPNSt15iterator_traitsISE_E10value_typeEPNSK_ISF_E10value_typeEPSG_NS1_7vsmem_tEENKUlT_SE_SF_SG_E_clIS8_S8_S9_S9_EESD_ST_SE_SF_SG_EUlST_E_NS1_11comp_targetILNS1_3genE10ELNS1_11target_archE1201ELNS1_3gpuE5ELNS1_3repE0EEENS1_48merge_mergepath_partition_config_static_selectorELNS0_4arch9wavefront6targetE1EEEvSF_
	.p2align	8
	.type	_ZN7rocprim17ROCPRIM_400000_NS6detail17trampoline_kernelINS0_14default_configENS1_38merge_sort_block_merge_config_selectorIcNS0_10empty_typeEEEZZNS1_27merge_sort_block_merge_implIS3_PcPS5_jNS1_19radix_merge_compareILb1ELb1EcNS0_19identity_decomposerEEEEE10hipError_tT0_T1_T2_jT3_P12ihipStream_tbPNSt15iterator_traitsISE_E10value_typeEPNSK_ISF_E10value_typeEPSG_NS1_7vsmem_tEENKUlT_SE_SF_SG_E_clIS8_S8_S9_S9_EESD_ST_SE_SF_SG_EUlST_E_NS1_11comp_targetILNS1_3genE10ELNS1_11target_archE1201ELNS1_3gpuE5ELNS1_3repE0EEENS1_48merge_mergepath_partition_config_static_selectorELNS0_4arch9wavefront6targetE1EEEvSF_,@function
_ZN7rocprim17ROCPRIM_400000_NS6detail17trampoline_kernelINS0_14default_configENS1_38merge_sort_block_merge_config_selectorIcNS0_10empty_typeEEEZZNS1_27merge_sort_block_merge_implIS3_PcPS5_jNS1_19radix_merge_compareILb1ELb1EcNS0_19identity_decomposerEEEEE10hipError_tT0_T1_T2_jT3_P12ihipStream_tbPNSt15iterator_traitsISE_E10value_typeEPNSK_ISF_E10value_typeEPSG_NS1_7vsmem_tEENKUlT_SE_SF_SG_E_clIS8_S8_S9_S9_EESD_ST_SE_SF_SG_EUlST_E_NS1_11comp_targetILNS1_3genE10ELNS1_11target_archE1201ELNS1_3gpuE5ELNS1_3repE0EEENS1_48merge_mergepath_partition_config_static_selectorELNS0_4arch9wavefront6targetE1EEEvSF_: ; @_ZN7rocprim17ROCPRIM_400000_NS6detail17trampoline_kernelINS0_14default_configENS1_38merge_sort_block_merge_config_selectorIcNS0_10empty_typeEEEZZNS1_27merge_sort_block_merge_implIS3_PcPS5_jNS1_19radix_merge_compareILb1ELb1EcNS0_19identity_decomposerEEEEE10hipError_tT0_T1_T2_jT3_P12ihipStream_tbPNSt15iterator_traitsISE_E10value_typeEPNSK_ISF_E10value_typeEPSG_NS1_7vsmem_tEENKUlT_SE_SF_SG_E_clIS8_S8_S9_S9_EESD_ST_SE_SF_SG_EUlST_E_NS1_11comp_targetILNS1_3genE10ELNS1_11target_archE1201ELNS1_3gpuE5ELNS1_3repE0EEENS1_48merge_mergepath_partition_config_static_selectorELNS0_4arch9wavefront6targetE1EEEvSF_
; %bb.0:
	.section	.rodata,"a",@progbits
	.p2align	6, 0x0
	.amdhsa_kernel _ZN7rocprim17ROCPRIM_400000_NS6detail17trampoline_kernelINS0_14default_configENS1_38merge_sort_block_merge_config_selectorIcNS0_10empty_typeEEEZZNS1_27merge_sort_block_merge_implIS3_PcPS5_jNS1_19radix_merge_compareILb1ELb1EcNS0_19identity_decomposerEEEEE10hipError_tT0_T1_T2_jT3_P12ihipStream_tbPNSt15iterator_traitsISE_E10value_typeEPNSK_ISF_E10value_typeEPSG_NS1_7vsmem_tEENKUlT_SE_SF_SG_E_clIS8_S8_S9_S9_EESD_ST_SE_SF_SG_EUlST_E_NS1_11comp_targetILNS1_3genE10ELNS1_11target_archE1201ELNS1_3gpuE5ELNS1_3repE0EEENS1_48merge_mergepath_partition_config_static_selectorELNS0_4arch9wavefront6targetE1EEEvSF_
		.amdhsa_group_segment_fixed_size 0
		.amdhsa_private_segment_fixed_size 0
		.amdhsa_kernarg_size 40
		.amdhsa_user_sgpr_count 6
		.amdhsa_user_sgpr_private_segment_buffer 1
		.amdhsa_user_sgpr_dispatch_ptr 0
		.amdhsa_user_sgpr_queue_ptr 0
		.amdhsa_user_sgpr_kernarg_segment_ptr 1
		.amdhsa_user_sgpr_dispatch_id 0
		.amdhsa_user_sgpr_flat_scratch_init 0
		.amdhsa_user_sgpr_kernarg_preload_length 0
		.amdhsa_user_sgpr_kernarg_preload_offset 0
		.amdhsa_user_sgpr_private_segment_size 0
		.amdhsa_uses_dynamic_stack 0
		.amdhsa_system_sgpr_private_segment_wavefront_offset 0
		.amdhsa_system_sgpr_workgroup_id_x 1
		.amdhsa_system_sgpr_workgroup_id_y 0
		.amdhsa_system_sgpr_workgroup_id_z 0
		.amdhsa_system_sgpr_workgroup_info 0
		.amdhsa_system_vgpr_workitem_id 0
		.amdhsa_next_free_vgpr 1
		.amdhsa_next_free_sgpr 0
		.amdhsa_accum_offset 4
		.amdhsa_reserve_vcc 0
		.amdhsa_reserve_flat_scratch 0
		.amdhsa_float_round_mode_32 0
		.amdhsa_float_round_mode_16_64 0
		.amdhsa_float_denorm_mode_32 3
		.amdhsa_float_denorm_mode_16_64 3
		.amdhsa_dx10_clamp 1
		.amdhsa_ieee_mode 1
		.amdhsa_fp16_overflow 0
		.amdhsa_tg_split 0
		.amdhsa_exception_fp_ieee_invalid_op 0
		.amdhsa_exception_fp_denorm_src 0
		.amdhsa_exception_fp_ieee_div_zero 0
		.amdhsa_exception_fp_ieee_overflow 0
		.amdhsa_exception_fp_ieee_underflow 0
		.amdhsa_exception_fp_ieee_inexact 0
		.amdhsa_exception_int_div_zero 0
	.end_amdhsa_kernel
	.section	.text._ZN7rocprim17ROCPRIM_400000_NS6detail17trampoline_kernelINS0_14default_configENS1_38merge_sort_block_merge_config_selectorIcNS0_10empty_typeEEEZZNS1_27merge_sort_block_merge_implIS3_PcPS5_jNS1_19radix_merge_compareILb1ELb1EcNS0_19identity_decomposerEEEEE10hipError_tT0_T1_T2_jT3_P12ihipStream_tbPNSt15iterator_traitsISE_E10value_typeEPNSK_ISF_E10value_typeEPSG_NS1_7vsmem_tEENKUlT_SE_SF_SG_E_clIS8_S8_S9_S9_EESD_ST_SE_SF_SG_EUlST_E_NS1_11comp_targetILNS1_3genE10ELNS1_11target_archE1201ELNS1_3gpuE5ELNS1_3repE0EEENS1_48merge_mergepath_partition_config_static_selectorELNS0_4arch9wavefront6targetE1EEEvSF_,"axG",@progbits,_ZN7rocprim17ROCPRIM_400000_NS6detail17trampoline_kernelINS0_14default_configENS1_38merge_sort_block_merge_config_selectorIcNS0_10empty_typeEEEZZNS1_27merge_sort_block_merge_implIS3_PcPS5_jNS1_19radix_merge_compareILb1ELb1EcNS0_19identity_decomposerEEEEE10hipError_tT0_T1_T2_jT3_P12ihipStream_tbPNSt15iterator_traitsISE_E10value_typeEPNSK_ISF_E10value_typeEPSG_NS1_7vsmem_tEENKUlT_SE_SF_SG_E_clIS8_S8_S9_S9_EESD_ST_SE_SF_SG_EUlST_E_NS1_11comp_targetILNS1_3genE10ELNS1_11target_archE1201ELNS1_3gpuE5ELNS1_3repE0EEENS1_48merge_mergepath_partition_config_static_selectorELNS0_4arch9wavefront6targetE1EEEvSF_,comdat
.Lfunc_end1506:
	.size	_ZN7rocprim17ROCPRIM_400000_NS6detail17trampoline_kernelINS0_14default_configENS1_38merge_sort_block_merge_config_selectorIcNS0_10empty_typeEEEZZNS1_27merge_sort_block_merge_implIS3_PcPS5_jNS1_19radix_merge_compareILb1ELb1EcNS0_19identity_decomposerEEEEE10hipError_tT0_T1_T2_jT3_P12ihipStream_tbPNSt15iterator_traitsISE_E10value_typeEPNSK_ISF_E10value_typeEPSG_NS1_7vsmem_tEENKUlT_SE_SF_SG_E_clIS8_S8_S9_S9_EESD_ST_SE_SF_SG_EUlST_E_NS1_11comp_targetILNS1_3genE10ELNS1_11target_archE1201ELNS1_3gpuE5ELNS1_3repE0EEENS1_48merge_mergepath_partition_config_static_selectorELNS0_4arch9wavefront6targetE1EEEvSF_, .Lfunc_end1506-_ZN7rocprim17ROCPRIM_400000_NS6detail17trampoline_kernelINS0_14default_configENS1_38merge_sort_block_merge_config_selectorIcNS0_10empty_typeEEEZZNS1_27merge_sort_block_merge_implIS3_PcPS5_jNS1_19radix_merge_compareILb1ELb1EcNS0_19identity_decomposerEEEEE10hipError_tT0_T1_T2_jT3_P12ihipStream_tbPNSt15iterator_traitsISE_E10value_typeEPNSK_ISF_E10value_typeEPSG_NS1_7vsmem_tEENKUlT_SE_SF_SG_E_clIS8_S8_S9_S9_EESD_ST_SE_SF_SG_EUlST_E_NS1_11comp_targetILNS1_3genE10ELNS1_11target_archE1201ELNS1_3gpuE5ELNS1_3repE0EEENS1_48merge_mergepath_partition_config_static_selectorELNS0_4arch9wavefront6targetE1EEEvSF_
                                        ; -- End function
	.section	.AMDGPU.csdata,"",@progbits
; Kernel info:
; codeLenInByte = 0
; NumSgprs: 4
; NumVgprs: 0
; NumAgprs: 0
; TotalNumVgprs: 0
; ScratchSize: 0
; MemoryBound: 0
; FloatMode: 240
; IeeeMode: 1
; LDSByteSize: 0 bytes/workgroup (compile time only)
; SGPRBlocks: 0
; VGPRBlocks: 0
; NumSGPRsForWavesPerEU: 4
; NumVGPRsForWavesPerEU: 1
; AccumOffset: 4
; Occupancy: 8
; WaveLimiterHint : 0
; COMPUTE_PGM_RSRC2:SCRATCH_EN: 0
; COMPUTE_PGM_RSRC2:USER_SGPR: 6
; COMPUTE_PGM_RSRC2:TRAP_HANDLER: 0
; COMPUTE_PGM_RSRC2:TGID_X_EN: 1
; COMPUTE_PGM_RSRC2:TGID_Y_EN: 0
; COMPUTE_PGM_RSRC2:TGID_Z_EN: 0
; COMPUTE_PGM_RSRC2:TIDIG_COMP_CNT: 0
; COMPUTE_PGM_RSRC3_GFX90A:ACCUM_OFFSET: 0
; COMPUTE_PGM_RSRC3_GFX90A:TG_SPLIT: 0
	.section	.text._ZN7rocprim17ROCPRIM_400000_NS6detail17trampoline_kernelINS0_14default_configENS1_38merge_sort_block_merge_config_selectorIcNS0_10empty_typeEEEZZNS1_27merge_sort_block_merge_implIS3_PcPS5_jNS1_19radix_merge_compareILb1ELb1EcNS0_19identity_decomposerEEEEE10hipError_tT0_T1_T2_jT3_P12ihipStream_tbPNSt15iterator_traitsISE_E10value_typeEPNSK_ISF_E10value_typeEPSG_NS1_7vsmem_tEENKUlT_SE_SF_SG_E_clIS8_S8_S9_S9_EESD_ST_SE_SF_SG_EUlST_E_NS1_11comp_targetILNS1_3genE5ELNS1_11target_archE942ELNS1_3gpuE9ELNS1_3repE0EEENS1_48merge_mergepath_partition_config_static_selectorELNS0_4arch9wavefront6targetE1EEEvSF_,"axG",@progbits,_ZN7rocprim17ROCPRIM_400000_NS6detail17trampoline_kernelINS0_14default_configENS1_38merge_sort_block_merge_config_selectorIcNS0_10empty_typeEEEZZNS1_27merge_sort_block_merge_implIS3_PcPS5_jNS1_19radix_merge_compareILb1ELb1EcNS0_19identity_decomposerEEEEE10hipError_tT0_T1_T2_jT3_P12ihipStream_tbPNSt15iterator_traitsISE_E10value_typeEPNSK_ISF_E10value_typeEPSG_NS1_7vsmem_tEENKUlT_SE_SF_SG_E_clIS8_S8_S9_S9_EESD_ST_SE_SF_SG_EUlST_E_NS1_11comp_targetILNS1_3genE5ELNS1_11target_archE942ELNS1_3gpuE9ELNS1_3repE0EEENS1_48merge_mergepath_partition_config_static_selectorELNS0_4arch9wavefront6targetE1EEEvSF_,comdat
	.protected	_ZN7rocprim17ROCPRIM_400000_NS6detail17trampoline_kernelINS0_14default_configENS1_38merge_sort_block_merge_config_selectorIcNS0_10empty_typeEEEZZNS1_27merge_sort_block_merge_implIS3_PcPS5_jNS1_19radix_merge_compareILb1ELb1EcNS0_19identity_decomposerEEEEE10hipError_tT0_T1_T2_jT3_P12ihipStream_tbPNSt15iterator_traitsISE_E10value_typeEPNSK_ISF_E10value_typeEPSG_NS1_7vsmem_tEENKUlT_SE_SF_SG_E_clIS8_S8_S9_S9_EESD_ST_SE_SF_SG_EUlST_E_NS1_11comp_targetILNS1_3genE5ELNS1_11target_archE942ELNS1_3gpuE9ELNS1_3repE0EEENS1_48merge_mergepath_partition_config_static_selectorELNS0_4arch9wavefront6targetE1EEEvSF_ ; -- Begin function _ZN7rocprim17ROCPRIM_400000_NS6detail17trampoline_kernelINS0_14default_configENS1_38merge_sort_block_merge_config_selectorIcNS0_10empty_typeEEEZZNS1_27merge_sort_block_merge_implIS3_PcPS5_jNS1_19radix_merge_compareILb1ELb1EcNS0_19identity_decomposerEEEEE10hipError_tT0_T1_T2_jT3_P12ihipStream_tbPNSt15iterator_traitsISE_E10value_typeEPNSK_ISF_E10value_typeEPSG_NS1_7vsmem_tEENKUlT_SE_SF_SG_E_clIS8_S8_S9_S9_EESD_ST_SE_SF_SG_EUlST_E_NS1_11comp_targetILNS1_3genE5ELNS1_11target_archE942ELNS1_3gpuE9ELNS1_3repE0EEENS1_48merge_mergepath_partition_config_static_selectorELNS0_4arch9wavefront6targetE1EEEvSF_
	.globl	_ZN7rocprim17ROCPRIM_400000_NS6detail17trampoline_kernelINS0_14default_configENS1_38merge_sort_block_merge_config_selectorIcNS0_10empty_typeEEEZZNS1_27merge_sort_block_merge_implIS3_PcPS5_jNS1_19radix_merge_compareILb1ELb1EcNS0_19identity_decomposerEEEEE10hipError_tT0_T1_T2_jT3_P12ihipStream_tbPNSt15iterator_traitsISE_E10value_typeEPNSK_ISF_E10value_typeEPSG_NS1_7vsmem_tEENKUlT_SE_SF_SG_E_clIS8_S8_S9_S9_EESD_ST_SE_SF_SG_EUlST_E_NS1_11comp_targetILNS1_3genE5ELNS1_11target_archE942ELNS1_3gpuE9ELNS1_3repE0EEENS1_48merge_mergepath_partition_config_static_selectorELNS0_4arch9wavefront6targetE1EEEvSF_
	.p2align	8
	.type	_ZN7rocprim17ROCPRIM_400000_NS6detail17trampoline_kernelINS0_14default_configENS1_38merge_sort_block_merge_config_selectorIcNS0_10empty_typeEEEZZNS1_27merge_sort_block_merge_implIS3_PcPS5_jNS1_19radix_merge_compareILb1ELb1EcNS0_19identity_decomposerEEEEE10hipError_tT0_T1_T2_jT3_P12ihipStream_tbPNSt15iterator_traitsISE_E10value_typeEPNSK_ISF_E10value_typeEPSG_NS1_7vsmem_tEENKUlT_SE_SF_SG_E_clIS8_S8_S9_S9_EESD_ST_SE_SF_SG_EUlST_E_NS1_11comp_targetILNS1_3genE5ELNS1_11target_archE942ELNS1_3gpuE9ELNS1_3repE0EEENS1_48merge_mergepath_partition_config_static_selectorELNS0_4arch9wavefront6targetE1EEEvSF_,@function
_ZN7rocprim17ROCPRIM_400000_NS6detail17trampoline_kernelINS0_14default_configENS1_38merge_sort_block_merge_config_selectorIcNS0_10empty_typeEEEZZNS1_27merge_sort_block_merge_implIS3_PcPS5_jNS1_19radix_merge_compareILb1ELb1EcNS0_19identity_decomposerEEEEE10hipError_tT0_T1_T2_jT3_P12ihipStream_tbPNSt15iterator_traitsISE_E10value_typeEPNSK_ISF_E10value_typeEPSG_NS1_7vsmem_tEENKUlT_SE_SF_SG_E_clIS8_S8_S9_S9_EESD_ST_SE_SF_SG_EUlST_E_NS1_11comp_targetILNS1_3genE5ELNS1_11target_archE942ELNS1_3gpuE9ELNS1_3repE0EEENS1_48merge_mergepath_partition_config_static_selectorELNS0_4arch9wavefront6targetE1EEEvSF_: ; @_ZN7rocprim17ROCPRIM_400000_NS6detail17trampoline_kernelINS0_14default_configENS1_38merge_sort_block_merge_config_selectorIcNS0_10empty_typeEEEZZNS1_27merge_sort_block_merge_implIS3_PcPS5_jNS1_19radix_merge_compareILb1ELb1EcNS0_19identity_decomposerEEEEE10hipError_tT0_T1_T2_jT3_P12ihipStream_tbPNSt15iterator_traitsISE_E10value_typeEPNSK_ISF_E10value_typeEPSG_NS1_7vsmem_tEENKUlT_SE_SF_SG_E_clIS8_S8_S9_S9_EESD_ST_SE_SF_SG_EUlST_E_NS1_11comp_targetILNS1_3genE5ELNS1_11target_archE942ELNS1_3gpuE9ELNS1_3repE0EEENS1_48merge_mergepath_partition_config_static_selectorELNS0_4arch9wavefront6targetE1EEEvSF_
; %bb.0:
	.section	.rodata,"a",@progbits
	.p2align	6, 0x0
	.amdhsa_kernel _ZN7rocprim17ROCPRIM_400000_NS6detail17trampoline_kernelINS0_14default_configENS1_38merge_sort_block_merge_config_selectorIcNS0_10empty_typeEEEZZNS1_27merge_sort_block_merge_implIS3_PcPS5_jNS1_19radix_merge_compareILb1ELb1EcNS0_19identity_decomposerEEEEE10hipError_tT0_T1_T2_jT3_P12ihipStream_tbPNSt15iterator_traitsISE_E10value_typeEPNSK_ISF_E10value_typeEPSG_NS1_7vsmem_tEENKUlT_SE_SF_SG_E_clIS8_S8_S9_S9_EESD_ST_SE_SF_SG_EUlST_E_NS1_11comp_targetILNS1_3genE5ELNS1_11target_archE942ELNS1_3gpuE9ELNS1_3repE0EEENS1_48merge_mergepath_partition_config_static_selectorELNS0_4arch9wavefront6targetE1EEEvSF_
		.amdhsa_group_segment_fixed_size 0
		.amdhsa_private_segment_fixed_size 0
		.amdhsa_kernarg_size 40
		.amdhsa_user_sgpr_count 6
		.amdhsa_user_sgpr_private_segment_buffer 1
		.amdhsa_user_sgpr_dispatch_ptr 0
		.amdhsa_user_sgpr_queue_ptr 0
		.amdhsa_user_sgpr_kernarg_segment_ptr 1
		.amdhsa_user_sgpr_dispatch_id 0
		.amdhsa_user_sgpr_flat_scratch_init 0
		.amdhsa_user_sgpr_kernarg_preload_length 0
		.amdhsa_user_sgpr_kernarg_preload_offset 0
		.amdhsa_user_sgpr_private_segment_size 0
		.amdhsa_uses_dynamic_stack 0
		.amdhsa_system_sgpr_private_segment_wavefront_offset 0
		.amdhsa_system_sgpr_workgroup_id_x 1
		.amdhsa_system_sgpr_workgroup_id_y 0
		.amdhsa_system_sgpr_workgroup_id_z 0
		.amdhsa_system_sgpr_workgroup_info 0
		.amdhsa_system_vgpr_workitem_id 0
		.amdhsa_next_free_vgpr 1
		.amdhsa_next_free_sgpr 0
		.amdhsa_accum_offset 4
		.amdhsa_reserve_vcc 0
		.amdhsa_reserve_flat_scratch 0
		.amdhsa_float_round_mode_32 0
		.amdhsa_float_round_mode_16_64 0
		.amdhsa_float_denorm_mode_32 3
		.amdhsa_float_denorm_mode_16_64 3
		.amdhsa_dx10_clamp 1
		.amdhsa_ieee_mode 1
		.amdhsa_fp16_overflow 0
		.amdhsa_tg_split 0
		.amdhsa_exception_fp_ieee_invalid_op 0
		.amdhsa_exception_fp_denorm_src 0
		.amdhsa_exception_fp_ieee_div_zero 0
		.amdhsa_exception_fp_ieee_overflow 0
		.amdhsa_exception_fp_ieee_underflow 0
		.amdhsa_exception_fp_ieee_inexact 0
		.amdhsa_exception_int_div_zero 0
	.end_amdhsa_kernel
	.section	.text._ZN7rocprim17ROCPRIM_400000_NS6detail17trampoline_kernelINS0_14default_configENS1_38merge_sort_block_merge_config_selectorIcNS0_10empty_typeEEEZZNS1_27merge_sort_block_merge_implIS3_PcPS5_jNS1_19radix_merge_compareILb1ELb1EcNS0_19identity_decomposerEEEEE10hipError_tT0_T1_T2_jT3_P12ihipStream_tbPNSt15iterator_traitsISE_E10value_typeEPNSK_ISF_E10value_typeEPSG_NS1_7vsmem_tEENKUlT_SE_SF_SG_E_clIS8_S8_S9_S9_EESD_ST_SE_SF_SG_EUlST_E_NS1_11comp_targetILNS1_3genE5ELNS1_11target_archE942ELNS1_3gpuE9ELNS1_3repE0EEENS1_48merge_mergepath_partition_config_static_selectorELNS0_4arch9wavefront6targetE1EEEvSF_,"axG",@progbits,_ZN7rocprim17ROCPRIM_400000_NS6detail17trampoline_kernelINS0_14default_configENS1_38merge_sort_block_merge_config_selectorIcNS0_10empty_typeEEEZZNS1_27merge_sort_block_merge_implIS3_PcPS5_jNS1_19radix_merge_compareILb1ELb1EcNS0_19identity_decomposerEEEEE10hipError_tT0_T1_T2_jT3_P12ihipStream_tbPNSt15iterator_traitsISE_E10value_typeEPNSK_ISF_E10value_typeEPSG_NS1_7vsmem_tEENKUlT_SE_SF_SG_E_clIS8_S8_S9_S9_EESD_ST_SE_SF_SG_EUlST_E_NS1_11comp_targetILNS1_3genE5ELNS1_11target_archE942ELNS1_3gpuE9ELNS1_3repE0EEENS1_48merge_mergepath_partition_config_static_selectorELNS0_4arch9wavefront6targetE1EEEvSF_,comdat
.Lfunc_end1507:
	.size	_ZN7rocprim17ROCPRIM_400000_NS6detail17trampoline_kernelINS0_14default_configENS1_38merge_sort_block_merge_config_selectorIcNS0_10empty_typeEEEZZNS1_27merge_sort_block_merge_implIS3_PcPS5_jNS1_19radix_merge_compareILb1ELb1EcNS0_19identity_decomposerEEEEE10hipError_tT0_T1_T2_jT3_P12ihipStream_tbPNSt15iterator_traitsISE_E10value_typeEPNSK_ISF_E10value_typeEPSG_NS1_7vsmem_tEENKUlT_SE_SF_SG_E_clIS8_S8_S9_S9_EESD_ST_SE_SF_SG_EUlST_E_NS1_11comp_targetILNS1_3genE5ELNS1_11target_archE942ELNS1_3gpuE9ELNS1_3repE0EEENS1_48merge_mergepath_partition_config_static_selectorELNS0_4arch9wavefront6targetE1EEEvSF_, .Lfunc_end1507-_ZN7rocprim17ROCPRIM_400000_NS6detail17trampoline_kernelINS0_14default_configENS1_38merge_sort_block_merge_config_selectorIcNS0_10empty_typeEEEZZNS1_27merge_sort_block_merge_implIS3_PcPS5_jNS1_19radix_merge_compareILb1ELb1EcNS0_19identity_decomposerEEEEE10hipError_tT0_T1_T2_jT3_P12ihipStream_tbPNSt15iterator_traitsISE_E10value_typeEPNSK_ISF_E10value_typeEPSG_NS1_7vsmem_tEENKUlT_SE_SF_SG_E_clIS8_S8_S9_S9_EESD_ST_SE_SF_SG_EUlST_E_NS1_11comp_targetILNS1_3genE5ELNS1_11target_archE942ELNS1_3gpuE9ELNS1_3repE0EEENS1_48merge_mergepath_partition_config_static_selectorELNS0_4arch9wavefront6targetE1EEEvSF_
                                        ; -- End function
	.section	.AMDGPU.csdata,"",@progbits
; Kernel info:
; codeLenInByte = 0
; NumSgprs: 4
; NumVgprs: 0
; NumAgprs: 0
; TotalNumVgprs: 0
; ScratchSize: 0
; MemoryBound: 0
; FloatMode: 240
; IeeeMode: 1
; LDSByteSize: 0 bytes/workgroup (compile time only)
; SGPRBlocks: 0
; VGPRBlocks: 0
; NumSGPRsForWavesPerEU: 4
; NumVGPRsForWavesPerEU: 1
; AccumOffset: 4
; Occupancy: 8
; WaveLimiterHint : 0
; COMPUTE_PGM_RSRC2:SCRATCH_EN: 0
; COMPUTE_PGM_RSRC2:USER_SGPR: 6
; COMPUTE_PGM_RSRC2:TRAP_HANDLER: 0
; COMPUTE_PGM_RSRC2:TGID_X_EN: 1
; COMPUTE_PGM_RSRC2:TGID_Y_EN: 0
; COMPUTE_PGM_RSRC2:TGID_Z_EN: 0
; COMPUTE_PGM_RSRC2:TIDIG_COMP_CNT: 0
; COMPUTE_PGM_RSRC3_GFX90A:ACCUM_OFFSET: 0
; COMPUTE_PGM_RSRC3_GFX90A:TG_SPLIT: 0
	.section	.text._ZN7rocprim17ROCPRIM_400000_NS6detail17trampoline_kernelINS0_14default_configENS1_38merge_sort_block_merge_config_selectorIcNS0_10empty_typeEEEZZNS1_27merge_sort_block_merge_implIS3_PcPS5_jNS1_19radix_merge_compareILb1ELb1EcNS0_19identity_decomposerEEEEE10hipError_tT0_T1_T2_jT3_P12ihipStream_tbPNSt15iterator_traitsISE_E10value_typeEPNSK_ISF_E10value_typeEPSG_NS1_7vsmem_tEENKUlT_SE_SF_SG_E_clIS8_S8_S9_S9_EESD_ST_SE_SF_SG_EUlST_E_NS1_11comp_targetILNS1_3genE4ELNS1_11target_archE910ELNS1_3gpuE8ELNS1_3repE0EEENS1_48merge_mergepath_partition_config_static_selectorELNS0_4arch9wavefront6targetE1EEEvSF_,"axG",@progbits,_ZN7rocprim17ROCPRIM_400000_NS6detail17trampoline_kernelINS0_14default_configENS1_38merge_sort_block_merge_config_selectorIcNS0_10empty_typeEEEZZNS1_27merge_sort_block_merge_implIS3_PcPS5_jNS1_19radix_merge_compareILb1ELb1EcNS0_19identity_decomposerEEEEE10hipError_tT0_T1_T2_jT3_P12ihipStream_tbPNSt15iterator_traitsISE_E10value_typeEPNSK_ISF_E10value_typeEPSG_NS1_7vsmem_tEENKUlT_SE_SF_SG_E_clIS8_S8_S9_S9_EESD_ST_SE_SF_SG_EUlST_E_NS1_11comp_targetILNS1_3genE4ELNS1_11target_archE910ELNS1_3gpuE8ELNS1_3repE0EEENS1_48merge_mergepath_partition_config_static_selectorELNS0_4arch9wavefront6targetE1EEEvSF_,comdat
	.protected	_ZN7rocprim17ROCPRIM_400000_NS6detail17trampoline_kernelINS0_14default_configENS1_38merge_sort_block_merge_config_selectorIcNS0_10empty_typeEEEZZNS1_27merge_sort_block_merge_implIS3_PcPS5_jNS1_19radix_merge_compareILb1ELb1EcNS0_19identity_decomposerEEEEE10hipError_tT0_T1_T2_jT3_P12ihipStream_tbPNSt15iterator_traitsISE_E10value_typeEPNSK_ISF_E10value_typeEPSG_NS1_7vsmem_tEENKUlT_SE_SF_SG_E_clIS8_S8_S9_S9_EESD_ST_SE_SF_SG_EUlST_E_NS1_11comp_targetILNS1_3genE4ELNS1_11target_archE910ELNS1_3gpuE8ELNS1_3repE0EEENS1_48merge_mergepath_partition_config_static_selectorELNS0_4arch9wavefront6targetE1EEEvSF_ ; -- Begin function _ZN7rocprim17ROCPRIM_400000_NS6detail17trampoline_kernelINS0_14default_configENS1_38merge_sort_block_merge_config_selectorIcNS0_10empty_typeEEEZZNS1_27merge_sort_block_merge_implIS3_PcPS5_jNS1_19radix_merge_compareILb1ELb1EcNS0_19identity_decomposerEEEEE10hipError_tT0_T1_T2_jT3_P12ihipStream_tbPNSt15iterator_traitsISE_E10value_typeEPNSK_ISF_E10value_typeEPSG_NS1_7vsmem_tEENKUlT_SE_SF_SG_E_clIS8_S8_S9_S9_EESD_ST_SE_SF_SG_EUlST_E_NS1_11comp_targetILNS1_3genE4ELNS1_11target_archE910ELNS1_3gpuE8ELNS1_3repE0EEENS1_48merge_mergepath_partition_config_static_selectorELNS0_4arch9wavefront6targetE1EEEvSF_
	.globl	_ZN7rocprim17ROCPRIM_400000_NS6detail17trampoline_kernelINS0_14default_configENS1_38merge_sort_block_merge_config_selectorIcNS0_10empty_typeEEEZZNS1_27merge_sort_block_merge_implIS3_PcPS5_jNS1_19radix_merge_compareILb1ELb1EcNS0_19identity_decomposerEEEEE10hipError_tT0_T1_T2_jT3_P12ihipStream_tbPNSt15iterator_traitsISE_E10value_typeEPNSK_ISF_E10value_typeEPSG_NS1_7vsmem_tEENKUlT_SE_SF_SG_E_clIS8_S8_S9_S9_EESD_ST_SE_SF_SG_EUlST_E_NS1_11comp_targetILNS1_3genE4ELNS1_11target_archE910ELNS1_3gpuE8ELNS1_3repE0EEENS1_48merge_mergepath_partition_config_static_selectorELNS0_4arch9wavefront6targetE1EEEvSF_
	.p2align	8
	.type	_ZN7rocprim17ROCPRIM_400000_NS6detail17trampoline_kernelINS0_14default_configENS1_38merge_sort_block_merge_config_selectorIcNS0_10empty_typeEEEZZNS1_27merge_sort_block_merge_implIS3_PcPS5_jNS1_19radix_merge_compareILb1ELb1EcNS0_19identity_decomposerEEEEE10hipError_tT0_T1_T2_jT3_P12ihipStream_tbPNSt15iterator_traitsISE_E10value_typeEPNSK_ISF_E10value_typeEPSG_NS1_7vsmem_tEENKUlT_SE_SF_SG_E_clIS8_S8_S9_S9_EESD_ST_SE_SF_SG_EUlST_E_NS1_11comp_targetILNS1_3genE4ELNS1_11target_archE910ELNS1_3gpuE8ELNS1_3repE0EEENS1_48merge_mergepath_partition_config_static_selectorELNS0_4arch9wavefront6targetE1EEEvSF_,@function
_ZN7rocprim17ROCPRIM_400000_NS6detail17trampoline_kernelINS0_14default_configENS1_38merge_sort_block_merge_config_selectorIcNS0_10empty_typeEEEZZNS1_27merge_sort_block_merge_implIS3_PcPS5_jNS1_19radix_merge_compareILb1ELb1EcNS0_19identity_decomposerEEEEE10hipError_tT0_T1_T2_jT3_P12ihipStream_tbPNSt15iterator_traitsISE_E10value_typeEPNSK_ISF_E10value_typeEPSG_NS1_7vsmem_tEENKUlT_SE_SF_SG_E_clIS8_S8_S9_S9_EESD_ST_SE_SF_SG_EUlST_E_NS1_11comp_targetILNS1_3genE4ELNS1_11target_archE910ELNS1_3gpuE8ELNS1_3repE0EEENS1_48merge_mergepath_partition_config_static_selectorELNS0_4arch9wavefront6targetE1EEEvSF_: ; @_ZN7rocprim17ROCPRIM_400000_NS6detail17trampoline_kernelINS0_14default_configENS1_38merge_sort_block_merge_config_selectorIcNS0_10empty_typeEEEZZNS1_27merge_sort_block_merge_implIS3_PcPS5_jNS1_19radix_merge_compareILb1ELb1EcNS0_19identity_decomposerEEEEE10hipError_tT0_T1_T2_jT3_P12ihipStream_tbPNSt15iterator_traitsISE_E10value_typeEPNSK_ISF_E10value_typeEPSG_NS1_7vsmem_tEENKUlT_SE_SF_SG_E_clIS8_S8_S9_S9_EESD_ST_SE_SF_SG_EUlST_E_NS1_11comp_targetILNS1_3genE4ELNS1_11target_archE910ELNS1_3gpuE8ELNS1_3repE0EEENS1_48merge_mergepath_partition_config_static_selectorELNS0_4arch9wavefront6targetE1EEEvSF_
; %bb.0:
	s_load_dword s0, s[4:5], 0x0
	v_lshl_or_b32 v0, s6, 7, v0
	s_waitcnt lgkmcnt(0)
	v_cmp_gt_u32_e32 vcc, s0, v0
	s_and_saveexec_b64 s[0:1], vcc
	s_cbranch_execz .LBB1508_6
; %bb.1:
	s_load_dwordx2 s[2:3], s[4:5], 0x4
	s_load_dwordx2 s[0:1], s[4:5], 0x20
	s_waitcnt lgkmcnt(0)
	s_lshr_b32 s6, s2, 9
	s_and_b32 s6, s6, 0x7ffffe
	s_add_i32 s7, s6, -1
	s_sub_i32 s6, 0, s6
	v_and_b32_e32 v1, s6, v0
	v_lshlrev_b32_e32 v3, 10, v1
	v_min_u32_e32 v1, s3, v3
	v_add_u32_e32 v3, s2, v3
	v_min_u32_e32 v7, s3, v3
	v_add_u32_e32 v3, s2, v7
	v_and_b32_e32 v2, s7, v0
	v_min_u32_e32 v4, s3, v3
	v_sub_u32_e32 v3, v4, v1
	v_lshlrev_b32_e32 v2, 10, v2
	v_min_u32_e32 v3, v3, v2
	v_sub_u32_e32 v5, v7, v1
	v_sub_u32_e32 v2, v4, v7
	v_sub_u32_e64 v2, v3, v2 clamp
	v_min_u32_e32 v4, v3, v5
	v_cmp_lt_u32_e32 vcc, v2, v4
	s_and_saveexec_b64 s[2:3], vcc
	s_cbranch_execz .LBB1508_5
; %bb.2:
	s_load_dwordx2 s[8:9], s[4:5], 0x10
	s_load_dword s6, s[4:5], 0x18
	s_mov_b64 s[4:5], 0
	s_waitcnt lgkmcnt(0)
	v_mov_b32_e32 v8, s9
	v_add_co_u32_e32 v5, vcc, s8, v1
	v_addc_co_u32_e32 v6, vcc, 0, v8, vcc
	v_add_co_u32_e32 v7, vcc, s8, v7
	v_addc_co_u32_e32 v8, vcc, 0, v8, vcc
.LBB1508_3:                             ; =>This Inner Loop Header: Depth=1
	v_add_u32_e32 v9, v4, v2
	v_lshrrev_b32_e32 v9, 1, v9
	v_add_co_u32_e32 v10, vcc, v5, v9
	v_xad_u32 v12, v9, -1, v3
	v_addc_co_u32_e32 v11, vcc, 0, v6, vcc
	v_add_co_u32_e32 v12, vcc, v7, v12
	v_addc_co_u32_e32 v13, vcc, 0, v8, vcc
	global_load_ubyte v14, v[10:11], off
	global_load_ubyte v15, v[12:13], off
	v_add_u32_e32 v10, 1, v9
	s_waitcnt vmcnt(1)
	v_and_b32_e32 v11, s6, v14
	s_waitcnt vmcnt(0)
	v_and_b32_e32 v12, s6, v15
	v_cmp_gt_i16_sdwa vcc, sext(v12), sext(v11) src0_sel:BYTE_0 src1_sel:BYTE_0
	v_cndmask_b32_e32 v4, v4, v9, vcc
	v_cndmask_b32_e32 v2, v10, v2, vcc
	v_cmp_ge_u32_e32 vcc, v2, v4
	s_or_b64 s[4:5], vcc, s[4:5]
	s_andn2_b64 exec, exec, s[4:5]
	s_cbranch_execnz .LBB1508_3
; %bb.4:
	s_or_b64 exec, exec, s[4:5]
.LBB1508_5:
	s_or_b64 exec, exec, s[2:3]
	v_add_u32_e32 v2, v2, v1
	v_mov_b32_e32 v1, 0
	v_lshlrev_b64 v[0:1], 2, v[0:1]
	v_mov_b32_e32 v3, s1
	v_add_co_u32_e32 v0, vcc, s0, v0
	v_addc_co_u32_e32 v1, vcc, v3, v1, vcc
	global_store_dword v[0:1], v2, off
.LBB1508_6:
	s_endpgm
	.section	.rodata,"a",@progbits
	.p2align	6, 0x0
	.amdhsa_kernel _ZN7rocprim17ROCPRIM_400000_NS6detail17trampoline_kernelINS0_14default_configENS1_38merge_sort_block_merge_config_selectorIcNS0_10empty_typeEEEZZNS1_27merge_sort_block_merge_implIS3_PcPS5_jNS1_19radix_merge_compareILb1ELb1EcNS0_19identity_decomposerEEEEE10hipError_tT0_T1_T2_jT3_P12ihipStream_tbPNSt15iterator_traitsISE_E10value_typeEPNSK_ISF_E10value_typeEPSG_NS1_7vsmem_tEENKUlT_SE_SF_SG_E_clIS8_S8_S9_S9_EESD_ST_SE_SF_SG_EUlST_E_NS1_11comp_targetILNS1_3genE4ELNS1_11target_archE910ELNS1_3gpuE8ELNS1_3repE0EEENS1_48merge_mergepath_partition_config_static_selectorELNS0_4arch9wavefront6targetE1EEEvSF_
		.amdhsa_group_segment_fixed_size 0
		.amdhsa_private_segment_fixed_size 0
		.amdhsa_kernarg_size 40
		.amdhsa_user_sgpr_count 6
		.amdhsa_user_sgpr_private_segment_buffer 1
		.amdhsa_user_sgpr_dispatch_ptr 0
		.amdhsa_user_sgpr_queue_ptr 0
		.amdhsa_user_sgpr_kernarg_segment_ptr 1
		.amdhsa_user_sgpr_dispatch_id 0
		.amdhsa_user_sgpr_flat_scratch_init 0
		.amdhsa_user_sgpr_kernarg_preload_length 0
		.amdhsa_user_sgpr_kernarg_preload_offset 0
		.amdhsa_user_sgpr_private_segment_size 0
		.amdhsa_uses_dynamic_stack 0
		.amdhsa_system_sgpr_private_segment_wavefront_offset 0
		.amdhsa_system_sgpr_workgroup_id_x 1
		.amdhsa_system_sgpr_workgroup_id_y 0
		.amdhsa_system_sgpr_workgroup_id_z 0
		.amdhsa_system_sgpr_workgroup_info 0
		.amdhsa_system_vgpr_workitem_id 0
		.amdhsa_next_free_vgpr 16
		.amdhsa_next_free_sgpr 10
		.amdhsa_accum_offset 16
		.amdhsa_reserve_vcc 1
		.amdhsa_reserve_flat_scratch 0
		.amdhsa_float_round_mode_32 0
		.amdhsa_float_round_mode_16_64 0
		.amdhsa_float_denorm_mode_32 3
		.amdhsa_float_denorm_mode_16_64 3
		.amdhsa_dx10_clamp 1
		.amdhsa_ieee_mode 1
		.amdhsa_fp16_overflow 0
		.amdhsa_tg_split 0
		.amdhsa_exception_fp_ieee_invalid_op 0
		.amdhsa_exception_fp_denorm_src 0
		.amdhsa_exception_fp_ieee_div_zero 0
		.amdhsa_exception_fp_ieee_overflow 0
		.amdhsa_exception_fp_ieee_underflow 0
		.amdhsa_exception_fp_ieee_inexact 0
		.amdhsa_exception_int_div_zero 0
	.end_amdhsa_kernel
	.section	.text._ZN7rocprim17ROCPRIM_400000_NS6detail17trampoline_kernelINS0_14default_configENS1_38merge_sort_block_merge_config_selectorIcNS0_10empty_typeEEEZZNS1_27merge_sort_block_merge_implIS3_PcPS5_jNS1_19radix_merge_compareILb1ELb1EcNS0_19identity_decomposerEEEEE10hipError_tT0_T1_T2_jT3_P12ihipStream_tbPNSt15iterator_traitsISE_E10value_typeEPNSK_ISF_E10value_typeEPSG_NS1_7vsmem_tEENKUlT_SE_SF_SG_E_clIS8_S8_S9_S9_EESD_ST_SE_SF_SG_EUlST_E_NS1_11comp_targetILNS1_3genE4ELNS1_11target_archE910ELNS1_3gpuE8ELNS1_3repE0EEENS1_48merge_mergepath_partition_config_static_selectorELNS0_4arch9wavefront6targetE1EEEvSF_,"axG",@progbits,_ZN7rocprim17ROCPRIM_400000_NS6detail17trampoline_kernelINS0_14default_configENS1_38merge_sort_block_merge_config_selectorIcNS0_10empty_typeEEEZZNS1_27merge_sort_block_merge_implIS3_PcPS5_jNS1_19radix_merge_compareILb1ELb1EcNS0_19identity_decomposerEEEEE10hipError_tT0_T1_T2_jT3_P12ihipStream_tbPNSt15iterator_traitsISE_E10value_typeEPNSK_ISF_E10value_typeEPSG_NS1_7vsmem_tEENKUlT_SE_SF_SG_E_clIS8_S8_S9_S9_EESD_ST_SE_SF_SG_EUlST_E_NS1_11comp_targetILNS1_3genE4ELNS1_11target_archE910ELNS1_3gpuE8ELNS1_3repE0EEENS1_48merge_mergepath_partition_config_static_selectorELNS0_4arch9wavefront6targetE1EEEvSF_,comdat
.Lfunc_end1508:
	.size	_ZN7rocprim17ROCPRIM_400000_NS6detail17trampoline_kernelINS0_14default_configENS1_38merge_sort_block_merge_config_selectorIcNS0_10empty_typeEEEZZNS1_27merge_sort_block_merge_implIS3_PcPS5_jNS1_19radix_merge_compareILb1ELb1EcNS0_19identity_decomposerEEEEE10hipError_tT0_T1_T2_jT3_P12ihipStream_tbPNSt15iterator_traitsISE_E10value_typeEPNSK_ISF_E10value_typeEPSG_NS1_7vsmem_tEENKUlT_SE_SF_SG_E_clIS8_S8_S9_S9_EESD_ST_SE_SF_SG_EUlST_E_NS1_11comp_targetILNS1_3genE4ELNS1_11target_archE910ELNS1_3gpuE8ELNS1_3repE0EEENS1_48merge_mergepath_partition_config_static_selectorELNS0_4arch9wavefront6targetE1EEEvSF_, .Lfunc_end1508-_ZN7rocprim17ROCPRIM_400000_NS6detail17trampoline_kernelINS0_14default_configENS1_38merge_sort_block_merge_config_selectorIcNS0_10empty_typeEEEZZNS1_27merge_sort_block_merge_implIS3_PcPS5_jNS1_19radix_merge_compareILb1ELb1EcNS0_19identity_decomposerEEEEE10hipError_tT0_T1_T2_jT3_P12ihipStream_tbPNSt15iterator_traitsISE_E10value_typeEPNSK_ISF_E10value_typeEPSG_NS1_7vsmem_tEENKUlT_SE_SF_SG_E_clIS8_S8_S9_S9_EESD_ST_SE_SF_SG_EUlST_E_NS1_11comp_targetILNS1_3genE4ELNS1_11target_archE910ELNS1_3gpuE8ELNS1_3repE0EEENS1_48merge_mergepath_partition_config_static_selectorELNS0_4arch9wavefront6targetE1EEEvSF_
                                        ; -- End function
	.section	.AMDGPU.csdata,"",@progbits
; Kernel info:
; codeLenInByte = 340
; NumSgprs: 14
; NumVgprs: 16
; NumAgprs: 0
; TotalNumVgprs: 16
; ScratchSize: 0
; MemoryBound: 0
; FloatMode: 240
; IeeeMode: 1
; LDSByteSize: 0 bytes/workgroup (compile time only)
; SGPRBlocks: 1
; VGPRBlocks: 1
; NumSGPRsForWavesPerEU: 14
; NumVGPRsForWavesPerEU: 16
; AccumOffset: 16
; Occupancy: 8
; WaveLimiterHint : 0
; COMPUTE_PGM_RSRC2:SCRATCH_EN: 0
; COMPUTE_PGM_RSRC2:USER_SGPR: 6
; COMPUTE_PGM_RSRC2:TRAP_HANDLER: 0
; COMPUTE_PGM_RSRC2:TGID_X_EN: 1
; COMPUTE_PGM_RSRC2:TGID_Y_EN: 0
; COMPUTE_PGM_RSRC2:TGID_Z_EN: 0
; COMPUTE_PGM_RSRC2:TIDIG_COMP_CNT: 0
; COMPUTE_PGM_RSRC3_GFX90A:ACCUM_OFFSET: 3
; COMPUTE_PGM_RSRC3_GFX90A:TG_SPLIT: 0
	.section	.text._ZN7rocprim17ROCPRIM_400000_NS6detail17trampoline_kernelINS0_14default_configENS1_38merge_sort_block_merge_config_selectorIcNS0_10empty_typeEEEZZNS1_27merge_sort_block_merge_implIS3_PcPS5_jNS1_19radix_merge_compareILb1ELb1EcNS0_19identity_decomposerEEEEE10hipError_tT0_T1_T2_jT3_P12ihipStream_tbPNSt15iterator_traitsISE_E10value_typeEPNSK_ISF_E10value_typeEPSG_NS1_7vsmem_tEENKUlT_SE_SF_SG_E_clIS8_S8_S9_S9_EESD_ST_SE_SF_SG_EUlST_E_NS1_11comp_targetILNS1_3genE3ELNS1_11target_archE908ELNS1_3gpuE7ELNS1_3repE0EEENS1_48merge_mergepath_partition_config_static_selectorELNS0_4arch9wavefront6targetE1EEEvSF_,"axG",@progbits,_ZN7rocprim17ROCPRIM_400000_NS6detail17trampoline_kernelINS0_14default_configENS1_38merge_sort_block_merge_config_selectorIcNS0_10empty_typeEEEZZNS1_27merge_sort_block_merge_implIS3_PcPS5_jNS1_19radix_merge_compareILb1ELb1EcNS0_19identity_decomposerEEEEE10hipError_tT0_T1_T2_jT3_P12ihipStream_tbPNSt15iterator_traitsISE_E10value_typeEPNSK_ISF_E10value_typeEPSG_NS1_7vsmem_tEENKUlT_SE_SF_SG_E_clIS8_S8_S9_S9_EESD_ST_SE_SF_SG_EUlST_E_NS1_11comp_targetILNS1_3genE3ELNS1_11target_archE908ELNS1_3gpuE7ELNS1_3repE0EEENS1_48merge_mergepath_partition_config_static_selectorELNS0_4arch9wavefront6targetE1EEEvSF_,comdat
	.protected	_ZN7rocprim17ROCPRIM_400000_NS6detail17trampoline_kernelINS0_14default_configENS1_38merge_sort_block_merge_config_selectorIcNS0_10empty_typeEEEZZNS1_27merge_sort_block_merge_implIS3_PcPS5_jNS1_19radix_merge_compareILb1ELb1EcNS0_19identity_decomposerEEEEE10hipError_tT0_T1_T2_jT3_P12ihipStream_tbPNSt15iterator_traitsISE_E10value_typeEPNSK_ISF_E10value_typeEPSG_NS1_7vsmem_tEENKUlT_SE_SF_SG_E_clIS8_S8_S9_S9_EESD_ST_SE_SF_SG_EUlST_E_NS1_11comp_targetILNS1_3genE3ELNS1_11target_archE908ELNS1_3gpuE7ELNS1_3repE0EEENS1_48merge_mergepath_partition_config_static_selectorELNS0_4arch9wavefront6targetE1EEEvSF_ ; -- Begin function _ZN7rocprim17ROCPRIM_400000_NS6detail17trampoline_kernelINS0_14default_configENS1_38merge_sort_block_merge_config_selectorIcNS0_10empty_typeEEEZZNS1_27merge_sort_block_merge_implIS3_PcPS5_jNS1_19radix_merge_compareILb1ELb1EcNS0_19identity_decomposerEEEEE10hipError_tT0_T1_T2_jT3_P12ihipStream_tbPNSt15iterator_traitsISE_E10value_typeEPNSK_ISF_E10value_typeEPSG_NS1_7vsmem_tEENKUlT_SE_SF_SG_E_clIS8_S8_S9_S9_EESD_ST_SE_SF_SG_EUlST_E_NS1_11comp_targetILNS1_3genE3ELNS1_11target_archE908ELNS1_3gpuE7ELNS1_3repE0EEENS1_48merge_mergepath_partition_config_static_selectorELNS0_4arch9wavefront6targetE1EEEvSF_
	.globl	_ZN7rocprim17ROCPRIM_400000_NS6detail17trampoline_kernelINS0_14default_configENS1_38merge_sort_block_merge_config_selectorIcNS0_10empty_typeEEEZZNS1_27merge_sort_block_merge_implIS3_PcPS5_jNS1_19radix_merge_compareILb1ELb1EcNS0_19identity_decomposerEEEEE10hipError_tT0_T1_T2_jT3_P12ihipStream_tbPNSt15iterator_traitsISE_E10value_typeEPNSK_ISF_E10value_typeEPSG_NS1_7vsmem_tEENKUlT_SE_SF_SG_E_clIS8_S8_S9_S9_EESD_ST_SE_SF_SG_EUlST_E_NS1_11comp_targetILNS1_3genE3ELNS1_11target_archE908ELNS1_3gpuE7ELNS1_3repE0EEENS1_48merge_mergepath_partition_config_static_selectorELNS0_4arch9wavefront6targetE1EEEvSF_
	.p2align	8
	.type	_ZN7rocprim17ROCPRIM_400000_NS6detail17trampoline_kernelINS0_14default_configENS1_38merge_sort_block_merge_config_selectorIcNS0_10empty_typeEEEZZNS1_27merge_sort_block_merge_implIS3_PcPS5_jNS1_19radix_merge_compareILb1ELb1EcNS0_19identity_decomposerEEEEE10hipError_tT0_T1_T2_jT3_P12ihipStream_tbPNSt15iterator_traitsISE_E10value_typeEPNSK_ISF_E10value_typeEPSG_NS1_7vsmem_tEENKUlT_SE_SF_SG_E_clIS8_S8_S9_S9_EESD_ST_SE_SF_SG_EUlST_E_NS1_11comp_targetILNS1_3genE3ELNS1_11target_archE908ELNS1_3gpuE7ELNS1_3repE0EEENS1_48merge_mergepath_partition_config_static_selectorELNS0_4arch9wavefront6targetE1EEEvSF_,@function
_ZN7rocprim17ROCPRIM_400000_NS6detail17trampoline_kernelINS0_14default_configENS1_38merge_sort_block_merge_config_selectorIcNS0_10empty_typeEEEZZNS1_27merge_sort_block_merge_implIS3_PcPS5_jNS1_19radix_merge_compareILb1ELb1EcNS0_19identity_decomposerEEEEE10hipError_tT0_T1_T2_jT3_P12ihipStream_tbPNSt15iterator_traitsISE_E10value_typeEPNSK_ISF_E10value_typeEPSG_NS1_7vsmem_tEENKUlT_SE_SF_SG_E_clIS8_S8_S9_S9_EESD_ST_SE_SF_SG_EUlST_E_NS1_11comp_targetILNS1_3genE3ELNS1_11target_archE908ELNS1_3gpuE7ELNS1_3repE0EEENS1_48merge_mergepath_partition_config_static_selectorELNS0_4arch9wavefront6targetE1EEEvSF_: ; @_ZN7rocprim17ROCPRIM_400000_NS6detail17trampoline_kernelINS0_14default_configENS1_38merge_sort_block_merge_config_selectorIcNS0_10empty_typeEEEZZNS1_27merge_sort_block_merge_implIS3_PcPS5_jNS1_19radix_merge_compareILb1ELb1EcNS0_19identity_decomposerEEEEE10hipError_tT0_T1_T2_jT3_P12ihipStream_tbPNSt15iterator_traitsISE_E10value_typeEPNSK_ISF_E10value_typeEPSG_NS1_7vsmem_tEENKUlT_SE_SF_SG_E_clIS8_S8_S9_S9_EESD_ST_SE_SF_SG_EUlST_E_NS1_11comp_targetILNS1_3genE3ELNS1_11target_archE908ELNS1_3gpuE7ELNS1_3repE0EEENS1_48merge_mergepath_partition_config_static_selectorELNS0_4arch9wavefront6targetE1EEEvSF_
; %bb.0:
	.section	.rodata,"a",@progbits
	.p2align	6, 0x0
	.amdhsa_kernel _ZN7rocprim17ROCPRIM_400000_NS6detail17trampoline_kernelINS0_14default_configENS1_38merge_sort_block_merge_config_selectorIcNS0_10empty_typeEEEZZNS1_27merge_sort_block_merge_implIS3_PcPS5_jNS1_19radix_merge_compareILb1ELb1EcNS0_19identity_decomposerEEEEE10hipError_tT0_T1_T2_jT3_P12ihipStream_tbPNSt15iterator_traitsISE_E10value_typeEPNSK_ISF_E10value_typeEPSG_NS1_7vsmem_tEENKUlT_SE_SF_SG_E_clIS8_S8_S9_S9_EESD_ST_SE_SF_SG_EUlST_E_NS1_11comp_targetILNS1_3genE3ELNS1_11target_archE908ELNS1_3gpuE7ELNS1_3repE0EEENS1_48merge_mergepath_partition_config_static_selectorELNS0_4arch9wavefront6targetE1EEEvSF_
		.amdhsa_group_segment_fixed_size 0
		.amdhsa_private_segment_fixed_size 0
		.amdhsa_kernarg_size 40
		.amdhsa_user_sgpr_count 6
		.amdhsa_user_sgpr_private_segment_buffer 1
		.amdhsa_user_sgpr_dispatch_ptr 0
		.amdhsa_user_sgpr_queue_ptr 0
		.amdhsa_user_sgpr_kernarg_segment_ptr 1
		.amdhsa_user_sgpr_dispatch_id 0
		.amdhsa_user_sgpr_flat_scratch_init 0
		.amdhsa_user_sgpr_kernarg_preload_length 0
		.amdhsa_user_sgpr_kernarg_preload_offset 0
		.amdhsa_user_sgpr_private_segment_size 0
		.amdhsa_uses_dynamic_stack 0
		.amdhsa_system_sgpr_private_segment_wavefront_offset 0
		.amdhsa_system_sgpr_workgroup_id_x 1
		.amdhsa_system_sgpr_workgroup_id_y 0
		.amdhsa_system_sgpr_workgroup_id_z 0
		.amdhsa_system_sgpr_workgroup_info 0
		.amdhsa_system_vgpr_workitem_id 0
		.amdhsa_next_free_vgpr 1
		.amdhsa_next_free_sgpr 0
		.amdhsa_accum_offset 4
		.amdhsa_reserve_vcc 0
		.amdhsa_reserve_flat_scratch 0
		.amdhsa_float_round_mode_32 0
		.amdhsa_float_round_mode_16_64 0
		.amdhsa_float_denorm_mode_32 3
		.amdhsa_float_denorm_mode_16_64 3
		.amdhsa_dx10_clamp 1
		.amdhsa_ieee_mode 1
		.amdhsa_fp16_overflow 0
		.amdhsa_tg_split 0
		.amdhsa_exception_fp_ieee_invalid_op 0
		.amdhsa_exception_fp_denorm_src 0
		.amdhsa_exception_fp_ieee_div_zero 0
		.amdhsa_exception_fp_ieee_overflow 0
		.amdhsa_exception_fp_ieee_underflow 0
		.amdhsa_exception_fp_ieee_inexact 0
		.amdhsa_exception_int_div_zero 0
	.end_amdhsa_kernel
	.section	.text._ZN7rocprim17ROCPRIM_400000_NS6detail17trampoline_kernelINS0_14default_configENS1_38merge_sort_block_merge_config_selectorIcNS0_10empty_typeEEEZZNS1_27merge_sort_block_merge_implIS3_PcPS5_jNS1_19radix_merge_compareILb1ELb1EcNS0_19identity_decomposerEEEEE10hipError_tT0_T1_T2_jT3_P12ihipStream_tbPNSt15iterator_traitsISE_E10value_typeEPNSK_ISF_E10value_typeEPSG_NS1_7vsmem_tEENKUlT_SE_SF_SG_E_clIS8_S8_S9_S9_EESD_ST_SE_SF_SG_EUlST_E_NS1_11comp_targetILNS1_3genE3ELNS1_11target_archE908ELNS1_3gpuE7ELNS1_3repE0EEENS1_48merge_mergepath_partition_config_static_selectorELNS0_4arch9wavefront6targetE1EEEvSF_,"axG",@progbits,_ZN7rocprim17ROCPRIM_400000_NS6detail17trampoline_kernelINS0_14default_configENS1_38merge_sort_block_merge_config_selectorIcNS0_10empty_typeEEEZZNS1_27merge_sort_block_merge_implIS3_PcPS5_jNS1_19radix_merge_compareILb1ELb1EcNS0_19identity_decomposerEEEEE10hipError_tT0_T1_T2_jT3_P12ihipStream_tbPNSt15iterator_traitsISE_E10value_typeEPNSK_ISF_E10value_typeEPSG_NS1_7vsmem_tEENKUlT_SE_SF_SG_E_clIS8_S8_S9_S9_EESD_ST_SE_SF_SG_EUlST_E_NS1_11comp_targetILNS1_3genE3ELNS1_11target_archE908ELNS1_3gpuE7ELNS1_3repE0EEENS1_48merge_mergepath_partition_config_static_selectorELNS0_4arch9wavefront6targetE1EEEvSF_,comdat
.Lfunc_end1509:
	.size	_ZN7rocprim17ROCPRIM_400000_NS6detail17trampoline_kernelINS0_14default_configENS1_38merge_sort_block_merge_config_selectorIcNS0_10empty_typeEEEZZNS1_27merge_sort_block_merge_implIS3_PcPS5_jNS1_19radix_merge_compareILb1ELb1EcNS0_19identity_decomposerEEEEE10hipError_tT0_T1_T2_jT3_P12ihipStream_tbPNSt15iterator_traitsISE_E10value_typeEPNSK_ISF_E10value_typeEPSG_NS1_7vsmem_tEENKUlT_SE_SF_SG_E_clIS8_S8_S9_S9_EESD_ST_SE_SF_SG_EUlST_E_NS1_11comp_targetILNS1_3genE3ELNS1_11target_archE908ELNS1_3gpuE7ELNS1_3repE0EEENS1_48merge_mergepath_partition_config_static_selectorELNS0_4arch9wavefront6targetE1EEEvSF_, .Lfunc_end1509-_ZN7rocprim17ROCPRIM_400000_NS6detail17trampoline_kernelINS0_14default_configENS1_38merge_sort_block_merge_config_selectorIcNS0_10empty_typeEEEZZNS1_27merge_sort_block_merge_implIS3_PcPS5_jNS1_19radix_merge_compareILb1ELb1EcNS0_19identity_decomposerEEEEE10hipError_tT0_T1_T2_jT3_P12ihipStream_tbPNSt15iterator_traitsISE_E10value_typeEPNSK_ISF_E10value_typeEPSG_NS1_7vsmem_tEENKUlT_SE_SF_SG_E_clIS8_S8_S9_S9_EESD_ST_SE_SF_SG_EUlST_E_NS1_11comp_targetILNS1_3genE3ELNS1_11target_archE908ELNS1_3gpuE7ELNS1_3repE0EEENS1_48merge_mergepath_partition_config_static_selectorELNS0_4arch9wavefront6targetE1EEEvSF_
                                        ; -- End function
	.section	.AMDGPU.csdata,"",@progbits
; Kernel info:
; codeLenInByte = 0
; NumSgprs: 4
; NumVgprs: 0
; NumAgprs: 0
; TotalNumVgprs: 0
; ScratchSize: 0
; MemoryBound: 0
; FloatMode: 240
; IeeeMode: 1
; LDSByteSize: 0 bytes/workgroup (compile time only)
; SGPRBlocks: 0
; VGPRBlocks: 0
; NumSGPRsForWavesPerEU: 4
; NumVGPRsForWavesPerEU: 1
; AccumOffset: 4
; Occupancy: 8
; WaveLimiterHint : 0
; COMPUTE_PGM_RSRC2:SCRATCH_EN: 0
; COMPUTE_PGM_RSRC2:USER_SGPR: 6
; COMPUTE_PGM_RSRC2:TRAP_HANDLER: 0
; COMPUTE_PGM_RSRC2:TGID_X_EN: 1
; COMPUTE_PGM_RSRC2:TGID_Y_EN: 0
; COMPUTE_PGM_RSRC2:TGID_Z_EN: 0
; COMPUTE_PGM_RSRC2:TIDIG_COMP_CNT: 0
; COMPUTE_PGM_RSRC3_GFX90A:ACCUM_OFFSET: 0
; COMPUTE_PGM_RSRC3_GFX90A:TG_SPLIT: 0
	.section	.text._ZN7rocprim17ROCPRIM_400000_NS6detail17trampoline_kernelINS0_14default_configENS1_38merge_sort_block_merge_config_selectorIcNS0_10empty_typeEEEZZNS1_27merge_sort_block_merge_implIS3_PcPS5_jNS1_19radix_merge_compareILb1ELb1EcNS0_19identity_decomposerEEEEE10hipError_tT0_T1_T2_jT3_P12ihipStream_tbPNSt15iterator_traitsISE_E10value_typeEPNSK_ISF_E10value_typeEPSG_NS1_7vsmem_tEENKUlT_SE_SF_SG_E_clIS8_S8_S9_S9_EESD_ST_SE_SF_SG_EUlST_E_NS1_11comp_targetILNS1_3genE2ELNS1_11target_archE906ELNS1_3gpuE6ELNS1_3repE0EEENS1_48merge_mergepath_partition_config_static_selectorELNS0_4arch9wavefront6targetE1EEEvSF_,"axG",@progbits,_ZN7rocprim17ROCPRIM_400000_NS6detail17trampoline_kernelINS0_14default_configENS1_38merge_sort_block_merge_config_selectorIcNS0_10empty_typeEEEZZNS1_27merge_sort_block_merge_implIS3_PcPS5_jNS1_19radix_merge_compareILb1ELb1EcNS0_19identity_decomposerEEEEE10hipError_tT0_T1_T2_jT3_P12ihipStream_tbPNSt15iterator_traitsISE_E10value_typeEPNSK_ISF_E10value_typeEPSG_NS1_7vsmem_tEENKUlT_SE_SF_SG_E_clIS8_S8_S9_S9_EESD_ST_SE_SF_SG_EUlST_E_NS1_11comp_targetILNS1_3genE2ELNS1_11target_archE906ELNS1_3gpuE6ELNS1_3repE0EEENS1_48merge_mergepath_partition_config_static_selectorELNS0_4arch9wavefront6targetE1EEEvSF_,comdat
	.protected	_ZN7rocprim17ROCPRIM_400000_NS6detail17trampoline_kernelINS0_14default_configENS1_38merge_sort_block_merge_config_selectorIcNS0_10empty_typeEEEZZNS1_27merge_sort_block_merge_implIS3_PcPS5_jNS1_19radix_merge_compareILb1ELb1EcNS0_19identity_decomposerEEEEE10hipError_tT0_T1_T2_jT3_P12ihipStream_tbPNSt15iterator_traitsISE_E10value_typeEPNSK_ISF_E10value_typeEPSG_NS1_7vsmem_tEENKUlT_SE_SF_SG_E_clIS8_S8_S9_S9_EESD_ST_SE_SF_SG_EUlST_E_NS1_11comp_targetILNS1_3genE2ELNS1_11target_archE906ELNS1_3gpuE6ELNS1_3repE0EEENS1_48merge_mergepath_partition_config_static_selectorELNS0_4arch9wavefront6targetE1EEEvSF_ ; -- Begin function _ZN7rocprim17ROCPRIM_400000_NS6detail17trampoline_kernelINS0_14default_configENS1_38merge_sort_block_merge_config_selectorIcNS0_10empty_typeEEEZZNS1_27merge_sort_block_merge_implIS3_PcPS5_jNS1_19radix_merge_compareILb1ELb1EcNS0_19identity_decomposerEEEEE10hipError_tT0_T1_T2_jT3_P12ihipStream_tbPNSt15iterator_traitsISE_E10value_typeEPNSK_ISF_E10value_typeEPSG_NS1_7vsmem_tEENKUlT_SE_SF_SG_E_clIS8_S8_S9_S9_EESD_ST_SE_SF_SG_EUlST_E_NS1_11comp_targetILNS1_3genE2ELNS1_11target_archE906ELNS1_3gpuE6ELNS1_3repE0EEENS1_48merge_mergepath_partition_config_static_selectorELNS0_4arch9wavefront6targetE1EEEvSF_
	.globl	_ZN7rocprim17ROCPRIM_400000_NS6detail17trampoline_kernelINS0_14default_configENS1_38merge_sort_block_merge_config_selectorIcNS0_10empty_typeEEEZZNS1_27merge_sort_block_merge_implIS3_PcPS5_jNS1_19radix_merge_compareILb1ELb1EcNS0_19identity_decomposerEEEEE10hipError_tT0_T1_T2_jT3_P12ihipStream_tbPNSt15iterator_traitsISE_E10value_typeEPNSK_ISF_E10value_typeEPSG_NS1_7vsmem_tEENKUlT_SE_SF_SG_E_clIS8_S8_S9_S9_EESD_ST_SE_SF_SG_EUlST_E_NS1_11comp_targetILNS1_3genE2ELNS1_11target_archE906ELNS1_3gpuE6ELNS1_3repE0EEENS1_48merge_mergepath_partition_config_static_selectorELNS0_4arch9wavefront6targetE1EEEvSF_
	.p2align	8
	.type	_ZN7rocprim17ROCPRIM_400000_NS6detail17trampoline_kernelINS0_14default_configENS1_38merge_sort_block_merge_config_selectorIcNS0_10empty_typeEEEZZNS1_27merge_sort_block_merge_implIS3_PcPS5_jNS1_19radix_merge_compareILb1ELb1EcNS0_19identity_decomposerEEEEE10hipError_tT0_T1_T2_jT3_P12ihipStream_tbPNSt15iterator_traitsISE_E10value_typeEPNSK_ISF_E10value_typeEPSG_NS1_7vsmem_tEENKUlT_SE_SF_SG_E_clIS8_S8_S9_S9_EESD_ST_SE_SF_SG_EUlST_E_NS1_11comp_targetILNS1_3genE2ELNS1_11target_archE906ELNS1_3gpuE6ELNS1_3repE0EEENS1_48merge_mergepath_partition_config_static_selectorELNS0_4arch9wavefront6targetE1EEEvSF_,@function
_ZN7rocprim17ROCPRIM_400000_NS6detail17trampoline_kernelINS0_14default_configENS1_38merge_sort_block_merge_config_selectorIcNS0_10empty_typeEEEZZNS1_27merge_sort_block_merge_implIS3_PcPS5_jNS1_19radix_merge_compareILb1ELb1EcNS0_19identity_decomposerEEEEE10hipError_tT0_T1_T2_jT3_P12ihipStream_tbPNSt15iterator_traitsISE_E10value_typeEPNSK_ISF_E10value_typeEPSG_NS1_7vsmem_tEENKUlT_SE_SF_SG_E_clIS8_S8_S9_S9_EESD_ST_SE_SF_SG_EUlST_E_NS1_11comp_targetILNS1_3genE2ELNS1_11target_archE906ELNS1_3gpuE6ELNS1_3repE0EEENS1_48merge_mergepath_partition_config_static_selectorELNS0_4arch9wavefront6targetE1EEEvSF_: ; @_ZN7rocprim17ROCPRIM_400000_NS6detail17trampoline_kernelINS0_14default_configENS1_38merge_sort_block_merge_config_selectorIcNS0_10empty_typeEEEZZNS1_27merge_sort_block_merge_implIS3_PcPS5_jNS1_19radix_merge_compareILb1ELb1EcNS0_19identity_decomposerEEEEE10hipError_tT0_T1_T2_jT3_P12ihipStream_tbPNSt15iterator_traitsISE_E10value_typeEPNSK_ISF_E10value_typeEPSG_NS1_7vsmem_tEENKUlT_SE_SF_SG_E_clIS8_S8_S9_S9_EESD_ST_SE_SF_SG_EUlST_E_NS1_11comp_targetILNS1_3genE2ELNS1_11target_archE906ELNS1_3gpuE6ELNS1_3repE0EEENS1_48merge_mergepath_partition_config_static_selectorELNS0_4arch9wavefront6targetE1EEEvSF_
; %bb.0:
	.section	.rodata,"a",@progbits
	.p2align	6, 0x0
	.amdhsa_kernel _ZN7rocprim17ROCPRIM_400000_NS6detail17trampoline_kernelINS0_14default_configENS1_38merge_sort_block_merge_config_selectorIcNS0_10empty_typeEEEZZNS1_27merge_sort_block_merge_implIS3_PcPS5_jNS1_19radix_merge_compareILb1ELb1EcNS0_19identity_decomposerEEEEE10hipError_tT0_T1_T2_jT3_P12ihipStream_tbPNSt15iterator_traitsISE_E10value_typeEPNSK_ISF_E10value_typeEPSG_NS1_7vsmem_tEENKUlT_SE_SF_SG_E_clIS8_S8_S9_S9_EESD_ST_SE_SF_SG_EUlST_E_NS1_11comp_targetILNS1_3genE2ELNS1_11target_archE906ELNS1_3gpuE6ELNS1_3repE0EEENS1_48merge_mergepath_partition_config_static_selectorELNS0_4arch9wavefront6targetE1EEEvSF_
		.amdhsa_group_segment_fixed_size 0
		.amdhsa_private_segment_fixed_size 0
		.amdhsa_kernarg_size 40
		.amdhsa_user_sgpr_count 6
		.amdhsa_user_sgpr_private_segment_buffer 1
		.amdhsa_user_sgpr_dispatch_ptr 0
		.amdhsa_user_sgpr_queue_ptr 0
		.amdhsa_user_sgpr_kernarg_segment_ptr 1
		.amdhsa_user_sgpr_dispatch_id 0
		.amdhsa_user_sgpr_flat_scratch_init 0
		.amdhsa_user_sgpr_kernarg_preload_length 0
		.amdhsa_user_sgpr_kernarg_preload_offset 0
		.amdhsa_user_sgpr_private_segment_size 0
		.amdhsa_uses_dynamic_stack 0
		.amdhsa_system_sgpr_private_segment_wavefront_offset 0
		.amdhsa_system_sgpr_workgroup_id_x 1
		.amdhsa_system_sgpr_workgroup_id_y 0
		.amdhsa_system_sgpr_workgroup_id_z 0
		.amdhsa_system_sgpr_workgroup_info 0
		.amdhsa_system_vgpr_workitem_id 0
		.amdhsa_next_free_vgpr 1
		.amdhsa_next_free_sgpr 0
		.amdhsa_accum_offset 4
		.amdhsa_reserve_vcc 0
		.amdhsa_reserve_flat_scratch 0
		.amdhsa_float_round_mode_32 0
		.amdhsa_float_round_mode_16_64 0
		.amdhsa_float_denorm_mode_32 3
		.amdhsa_float_denorm_mode_16_64 3
		.amdhsa_dx10_clamp 1
		.amdhsa_ieee_mode 1
		.amdhsa_fp16_overflow 0
		.amdhsa_tg_split 0
		.amdhsa_exception_fp_ieee_invalid_op 0
		.amdhsa_exception_fp_denorm_src 0
		.amdhsa_exception_fp_ieee_div_zero 0
		.amdhsa_exception_fp_ieee_overflow 0
		.amdhsa_exception_fp_ieee_underflow 0
		.amdhsa_exception_fp_ieee_inexact 0
		.amdhsa_exception_int_div_zero 0
	.end_amdhsa_kernel
	.section	.text._ZN7rocprim17ROCPRIM_400000_NS6detail17trampoline_kernelINS0_14default_configENS1_38merge_sort_block_merge_config_selectorIcNS0_10empty_typeEEEZZNS1_27merge_sort_block_merge_implIS3_PcPS5_jNS1_19radix_merge_compareILb1ELb1EcNS0_19identity_decomposerEEEEE10hipError_tT0_T1_T2_jT3_P12ihipStream_tbPNSt15iterator_traitsISE_E10value_typeEPNSK_ISF_E10value_typeEPSG_NS1_7vsmem_tEENKUlT_SE_SF_SG_E_clIS8_S8_S9_S9_EESD_ST_SE_SF_SG_EUlST_E_NS1_11comp_targetILNS1_3genE2ELNS1_11target_archE906ELNS1_3gpuE6ELNS1_3repE0EEENS1_48merge_mergepath_partition_config_static_selectorELNS0_4arch9wavefront6targetE1EEEvSF_,"axG",@progbits,_ZN7rocprim17ROCPRIM_400000_NS6detail17trampoline_kernelINS0_14default_configENS1_38merge_sort_block_merge_config_selectorIcNS0_10empty_typeEEEZZNS1_27merge_sort_block_merge_implIS3_PcPS5_jNS1_19radix_merge_compareILb1ELb1EcNS0_19identity_decomposerEEEEE10hipError_tT0_T1_T2_jT3_P12ihipStream_tbPNSt15iterator_traitsISE_E10value_typeEPNSK_ISF_E10value_typeEPSG_NS1_7vsmem_tEENKUlT_SE_SF_SG_E_clIS8_S8_S9_S9_EESD_ST_SE_SF_SG_EUlST_E_NS1_11comp_targetILNS1_3genE2ELNS1_11target_archE906ELNS1_3gpuE6ELNS1_3repE0EEENS1_48merge_mergepath_partition_config_static_selectorELNS0_4arch9wavefront6targetE1EEEvSF_,comdat
.Lfunc_end1510:
	.size	_ZN7rocprim17ROCPRIM_400000_NS6detail17trampoline_kernelINS0_14default_configENS1_38merge_sort_block_merge_config_selectorIcNS0_10empty_typeEEEZZNS1_27merge_sort_block_merge_implIS3_PcPS5_jNS1_19radix_merge_compareILb1ELb1EcNS0_19identity_decomposerEEEEE10hipError_tT0_T1_T2_jT3_P12ihipStream_tbPNSt15iterator_traitsISE_E10value_typeEPNSK_ISF_E10value_typeEPSG_NS1_7vsmem_tEENKUlT_SE_SF_SG_E_clIS8_S8_S9_S9_EESD_ST_SE_SF_SG_EUlST_E_NS1_11comp_targetILNS1_3genE2ELNS1_11target_archE906ELNS1_3gpuE6ELNS1_3repE0EEENS1_48merge_mergepath_partition_config_static_selectorELNS0_4arch9wavefront6targetE1EEEvSF_, .Lfunc_end1510-_ZN7rocprim17ROCPRIM_400000_NS6detail17trampoline_kernelINS0_14default_configENS1_38merge_sort_block_merge_config_selectorIcNS0_10empty_typeEEEZZNS1_27merge_sort_block_merge_implIS3_PcPS5_jNS1_19radix_merge_compareILb1ELb1EcNS0_19identity_decomposerEEEEE10hipError_tT0_T1_T2_jT3_P12ihipStream_tbPNSt15iterator_traitsISE_E10value_typeEPNSK_ISF_E10value_typeEPSG_NS1_7vsmem_tEENKUlT_SE_SF_SG_E_clIS8_S8_S9_S9_EESD_ST_SE_SF_SG_EUlST_E_NS1_11comp_targetILNS1_3genE2ELNS1_11target_archE906ELNS1_3gpuE6ELNS1_3repE0EEENS1_48merge_mergepath_partition_config_static_selectorELNS0_4arch9wavefront6targetE1EEEvSF_
                                        ; -- End function
	.section	.AMDGPU.csdata,"",@progbits
; Kernel info:
; codeLenInByte = 0
; NumSgprs: 4
; NumVgprs: 0
; NumAgprs: 0
; TotalNumVgprs: 0
; ScratchSize: 0
; MemoryBound: 0
; FloatMode: 240
; IeeeMode: 1
; LDSByteSize: 0 bytes/workgroup (compile time only)
; SGPRBlocks: 0
; VGPRBlocks: 0
; NumSGPRsForWavesPerEU: 4
; NumVGPRsForWavesPerEU: 1
; AccumOffset: 4
; Occupancy: 8
; WaveLimiterHint : 0
; COMPUTE_PGM_RSRC2:SCRATCH_EN: 0
; COMPUTE_PGM_RSRC2:USER_SGPR: 6
; COMPUTE_PGM_RSRC2:TRAP_HANDLER: 0
; COMPUTE_PGM_RSRC2:TGID_X_EN: 1
; COMPUTE_PGM_RSRC2:TGID_Y_EN: 0
; COMPUTE_PGM_RSRC2:TGID_Z_EN: 0
; COMPUTE_PGM_RSRC2:TIDIG_COMP_CNT: 0
; COMPUTE_PGM_RSRC3_GFX90A:ACCUM_OFFSET: 0
; COMPUTE_PGM_RSRC3_GFX90A:TG_SPLIT: 0
	.section	.text._ZN7rocprim17ROCPRIM_400000_NS6detail17trampoline_kernelINS0_14default_configENS1_38merge_sort_block_merge_config_selectorIcNS0_10empty_typeEEEZZNS1_27merge_sort_block_merge_implIS3_PcPS5_jNS1_19radix_merge_compareILb1ELb1EcNS0_19identity_decomposerEEEEE10hipError_tT0_T1_T2_jT3_P12ihipStream_tbPNSt15iterator_traitsISE_E10value_typeEPNSK_ISF_E10value_typeEPSG_NS1_7vsmem_tEENKUlT_SE_SF_SG_E_clIS8_S8_S9_S9_EESD_ST_SE_SF_SG_EUlST_E_NS1_11comp_targetILNS1_3genE9ELNS1_11target_archE1100ELNS1_3gpuE3ELNS1_3repE0EEENS1_48merge_mergepath_partition_config_static_selectorELNS0_4arch9wavefront6targetE1EEEvSF_,"axG",@progbits,_ZN7rocprim17ROCPRIM_400000_NS6detail17trampoline_kernelINS0_14default_configENS1_38merge_sort_block_merge_config_selectorIcNS0_10empty_typeEEEZZNS1_27merge_sort_block_merge_implIS3_PcPS5_jNS1_19radix_merge_compareILb1ELb1EcNS0_19identity_decomposerEEEEE10hipError_tT0_T1_T2_jT3_P12ihipStream_tbPNSt15iterator_traitsISE_E10value_typeEPNSK_ISF_E10value_typeEPSG_NS1_7vsmem_tEENKUlT_SE_SF_SG_E_clIS8_S8_S9_S9_EESD_ST_SE_SF_SG_EUlST_E_NS1_11comp_targetILNS1_3genE9ELNS1_11target_archE1100ELNS1_3gpuE3ELNS1_3repE0EEENS1_48merge_mergepath_partition_config_static_selectorELNS0_4arch9wavefront6targetE1EEEvSF_,comdat
	.protected	_ZN7rocprim17ROCPRIM_400000_NS6detail17trampoline_kernelINS0_14default_configENS1_38merge_sort_block_merge_config_selectorIcNS0_10empty_typeEEEZZNS1_27merge_sort_block_merge_implIS3_PcPS5_jNS1_19radix_merge_compareILb1ELb1EcNS0_19identity_decomposerEEEEE10hipError_tT0_T1_T2_jT3_P12ihipStream_tbPNSt15iterator_traitsISE_E10value_typeEPNSK_ISF_E10value_typeEPSG_NS1_7vsmem_tEENKUlT_SE_SF_SG_E_clIS8_S8_S9_S9_EESD_ST_SE_SF_SG_EUlST_E_NS1_11comp_targetILNS1_3genE9ELNS1_11target_archE1100ELNS1_3gpuE3ELNS1_3repE0EEENS1_48merge_mergepath_partition_config_static_selectorELNS0_4arch9wavefront6targetE1EEEvSF_ ; -- Begin function _ZN7rocprim17ROCPRIM_400000_NS6detail17trampoline_kernelINS0_14default_configENS1_38merge_sort_block_merge_config_selectorIcNS0_10empty_typeEEEZZNS1_27merge_sort_block_merge_implIS3_PcPS5_jNS1_19radix_merge_compareILb1ELb1EcNS0_19identity_decomposerEEEEE10hipError_tT0_T1_T2_jT3_P12ihipStream_tbPNSt15iterator_traitsISE_E10value_typeEPNSK_ISF_E10value_typeEPSG_NS1_7vsmem_tEENKUlT_SE_SF_SG_E_clIS8_S8_S9_S9_EESD_ST_SE_SF_SG_EUlST_E_NS1_11comp_targetILNS1_3genE9ELNS1_11target_archE1100ELNS1_3gpuE3ELNS1_3repE0EEENS1_48merge_mergepath_partition_config_static_selectorELNS0_4arch9wavefront6targetE1EEEvSF_
	.globl	_ZN7rocprim17ROCPRIM_400000_NS6detail17trampoline_kernelINS0_14default_configENS1_38merge_sort_block_merge_config_selectorIcNS0_10empty_typeEEEZZNS1_27merge_sort_block_merge_implIS3_PcPS5_jNS1_19radix_merge_compareILb1ELb1EcNS0_19identity_decomposerEEEEE10hipError_tT0_T1_T2_jT3_P12ihipStream_tbPNSt15iterator_traitsISE_E10value_typeEPNSK_ISF_E10value_typeEPSG_NS1_7vsmem_tEENKUlT_SE_SF_SG_E_clIS8_S8_S9_S9_EESD_ST_SE_SF_SG_EUlST_E_NS1_11comp_targetILNS1_3genE9ELNS1_11target_archE1100ELNS1_3gpuE3ELNS1_3repE0EEENS1_48merge_mergepath_partition_config_static_selectorELNS0_4arch9wavefront6targetE1EEEvSF_
	.p2align	8
	.type	_ZN7rocprim17ROCPRIM_400000_NS6detail17trampoline_kernelINS0_14default_configENS1_38merge_sort_block_merge_config_selectorIcNS0_10empty_typeEEEZZNS1_27merge_sort_block_merge_implIS3_PcPS5_jNS1_19radix_merge_compareILb1ELb1EcNS0_19identity_decomposerEEEEE10hipError_tT0_T1_T2_jT3_P12ihipStream_tbPNSt15iterator_traitsISE_E10value_typeEPNSK_ISF_E10value_typeEPSG_NS1_7vsmem_tEENKUlT_SE_SF_SG_E_clIS8_S8_S9_S9_EESD_ST_SE_SF_SG_EUlST_E_NS1_11comp_targetILNS1_3genE9ELNS1_11target_archE1100ELNS1_3gpuE3ELNS1_3repE0EEENS1_48merge_mergepath_partition_config_static_selectorELNS0_4arch9wavefront6targetE1EEEvSF_,@function
_ZN7rocprim17ROCPRIM_400000_NS6detail17trampoline_kernelINS0_14default_configENS1_38merge_sort_block_merge_config_selectorIcNS0_10empty_typeEEEZZNS1_27merge_sort_block_merge_implIS3_PcPS5_jNS1_19radix_merge_compareILb1ELb1EcNS0_19identity_decomposerEEEEE10hipError_tT0_T1_T2_jT3_P12ihipStream_tbPNSt15iterator_traitsISE_E10value_typeEPNSK_ISF_E10value_typeEPSG_NS1_7vsmem_tEENKUlT_SE_SF_SG_E_clIS8_S8_S9_S9_EESD_ST_SE_SF_SG_EUlST_E_NS1_11comp_targetILNS1_3genE9ELNS1_11target_archE1100ELNS1_3gpuE3ELNS1_3repE0EEENS1_48merge_mergepath_partition_config_static_selectorELNS0_4arch9wavefront6targetE1EEEvSF_: ; @_ZN7rocprim17ROCPRIM_400000_NS6detail17trampoline_kernelINS0_14default_configENS1_38merge_sort_block_merge_config_selectorIcNS0_10empty_typeEEEZZNS1_27merge_sort_block_merge_implIS3_PcPS5_jNS1_19radix_merge_compareILb1ELb1EcNS0_19identity_decomposerEEEEE10hipError_tT0_T1_T2_jT3_P12ihipStream_tbPNSt15iterator_traitsISE_E10value_typeEPNSK_ISF_E10value_typeEPSG_NS1_7vsmem_tEENKUlT_SE_SF_SG_E_clIS8_S8_S9_S9_EESD_ST_SE_SF_SG_EUlST_E_NS1_11comp_targetILNS1_3genE9ELNS1_11target_archE1100ELNS1_3gpuE3ELNS1_3repE0EEENS1_48merge_mergepath_partition_config_static_selectorELNS0_4arch9wavefront6targetE1EEEvSF_
; %bb.0:
	.section	.rodata,"a",@progbits
	.p2align	6, 0x0
	.amdhsa_kernel _ZN7rocprim17ROCPRIM_400000_NS6detail17trampoline_kernelINS0_14default_configENS1_38merge_sort_block_merge_config_selectorIcNS0_10empty_typeEEEZZNS1_27merge_sort_block_merge_implIS3_PcPS5_jNS1_19radix_merge_compareILb1ELb1EcNS0_19identity_decomposerEEEEE10hipError_tT0_T1_T2_jT3_P12ihipStream_tbPNSt15iterator_traitsISE_E10value_typeEPNSK_ISF_E10value_typeEPSG_NS1_7vsmem_tEENKUlT_SE_SF_SG_E_clIS8_S8_S9_S9_EESD_ST_SE_SF_SG_EUlST_E_NS1_11comp_targetILNS1_3genE9ELNS1_11target_archE1100ELNS1_3gpuE3ELNS1_3repE0EEENS1_48merge_mergepath_partition_config_static_selectorELNS0_4arch9wavefront6targetE1EEEvSF_
		.amdhsa_group_segment_fixed_size 0
		.amdhsa_private_segment_fixed_size 0
		.amdhsa_kernarg_size 40
		.amdhsa_user_sgpr_count 6
		.amdhsa_user_sgpr_private_segment_buffer 1
		.amdhsa_user_sgpr_dispatch_ptr 0
		.amdhsa_user_sgpr_queue_ptr 0
		.amdhsa_user_sgpr_kernarg_segment_ptr 1
		.amdhsa_user_sgpr_dispatch_id 0
		.amdhsa_user_sgpr_flat_scratch_init 0
		.amdhsa_user_sgpr_kernarg_preload_length 0
		.amdhsa_user_sgpr_kernarg_preload_offset 0
		.amdhsa_user_sgpr_private_segment_size 0
		.amdhsa_uses_dynamic_stack 0
		.amdhsa_system_sgpr_private_segment_wavefront_offset 0
		.amdhsa_system_sgpr_workgroup_id_x 1
		.amdhsa_system_sgpr_workgroup_id_y 0
		.amdhsa_system_sgpr_workgroup_id_z 0
		.amdhsa_system_sgpr_workgroup_info 0
		.amdhsa_system_vgpr_workitem_id 0
		.amdhsa_next_free_vgpr 1
		.amdhsa_next_free_sgpr 0
		.amdhsa_accum_offset 4
		.amdhsa_reserve_vcc 0
		.amdhsa_reserve_flat_scratch 0
		.amdhsa_float_round_mode_32 0
		.amdhsa_float_round_mode_16_64 0
		.amdhsa_float_denorm_mode_32 3
		.amdhsa_float_denorm_mode_16_64 3
		.amdhsa_dx10_clamp 1
		.amdhsa_ieee_mode 1
		.amdhsa_fp16_overflow 0
		.amdhsa_tg_split 0
		.amdhsa_exception_fp_ieee_invalid_op 0
		.amdhsa_exception_fp_denorm_src 0
		.amdhsa_exception_fp_ieee_div_zero 0
		.amdhsa_exception_fp_ieee_overflow 0
		.amdhsa_exception_fp_ieee_underflow 0
		.amdhsa_exception_fp_ieee_inexact 0
		.amdhsa_exception_int_div_zero 0
	.end_amdhsa_kernel
	.section	.text._ZN7rocprim17ROCPRIM_400000_NS6detail17trampoline_kernelINS0_14default_configENS1_38merge_sort_block_merge_config_selectorIcNS0_10empty_typeEEEZZNS1_27merge_sort_block_merge_implIS3_PcPS5_jNS1_19radix_merge_compareILb1ELb1EcNS0_19identity_decomposerEEEEE10hipError_tT0_T1_T2_jT3_P12ihipStream_tbPNSt15iterator_traitsISE_E10value_typeEPNSK_ISF_E10value_typeEPSG_NS1_7vsmem_tEENKUlT_SE_SF_SG_E_clIS8_S8_S9_S9_EESD_ST_SE_SF_SG_EUlST_E_NS1_11comp_targetILNS1_3genE9ELNS1_11target_archE1100ELNS1_3gpuE3ELNS1_3repE0EEENS1_48merge_mergepath_partition_config_static_selectorELNS0_4arch9wavefront6targetE1EEEvSF_,"axG",@progbits,_ZN7rocprim17ROCPRIM_400000_NS6detail17trampoline_kernelINS0_14default_configENS1_38merge_sort_block_merge_config_selectorIcNS0_10empty_typeEEEZZNS1_27merge_sort_block_merge_implIS3_PcPS5_jNS1_19radix_merge_compareILb1ELb1EcNS0_19identity_decomposerEEEEE10hipError_tT0_T1_T2_jT3_P12ihipStream_tbPNSt15iterator_traitsISE_E10value_typeEPNSK_ISF_E10value_typeEPSG_NS1_7vsmem_tEENKUlT_SE_SF_SG_E_clIS8_S8_S9_S9_EESD_ST_SE_SF_SG_EUlST_E_NS1_11comp_targetILNS1_3genE9ELNS1_11target_archE1100ELNS1_3gpuE3ELNS1_3repE0EEENS1_48merge_mergepath_partition_config_static_selectorELNS0_4arch9wavefront6targetE1EEEvSF_,comdat
.Lfunc_end1511:
	.size	_ZN7rocprim17ROCPRIM_400000_NS6detail17trampoline_kernelINS0_14default_configENS1_38merge_sort_block_merge_config_selectorIcNS0_10empty_typeEEEZZNS1_27merge_sort_block_merge_implIS3_PcPS5_jNS1_19radix_merge_compareILb1ELb1EcNS0_19identity_decomposerEEEEE10hipError_tT0_T1_T2_jT3_P12ihipStream_tbPNSt15iterator_traitsISE_E10value_typeEPNSK_ISF_E10value_typeEPSG_NS1_7vsmem_tEENKUlT_SE_SF_SG_E_clIS8_S8_S9_S9_EESD_ST_SE_SF_SG_EUlST_E_NS1_11comp_targetILNS1_3genE9ELNS1_11target_archE1100ELNS1_3gpuE3ELNS1_3repE0EEENS1_48merge_mergepath_partition_config_static_selectorELNS0_4arch9wavefront6targetE1EEEvSF_, .Lfunc_end1511-_ZN7rocprim17ROCPRIM_400000_NS6detail17trampoline_kernelINS0_14default_configENS1_38merge_sort_block_merge_config_selectorIcNS0_10empty_typeEEEZZNS1_27merge_sort_block_merge_implIS3_PcPS5_jNS1_19radix_merge_compareILb1ELb1EcNS0_19identity_decomposerEEEEE10hipError_tT0_T1_T2_jT3_P12ihipStream_tbPNSt15iterator_traitsISE_E10value_typeEPNSK_ISF_E10value_typeEPSG_NS1_7vsmem_tEENKUlT_SE_SF_SG_E_clIS8_S8_S9_S9_EESD_ST_SE_SF_SG_EUlST_E_NS1_11comp_targetILNS1_3genE9ELNS1_11target_archE1100ELNS1_3gpuE3ELNS1_3repE0EEENS1_48merge_mergepath_partition_config_static_selectorELNS0_4arch9wavefront6targetE1EEEvSF_
                                        ; -- End function
	.section	.AMDGPU.csdata,"",@progbits
; Kernel info:
; codeLenInByte = 0
; NumSgprs: 4
; NumVgprs: 0
; NumAgprs: 0
; TotalNumVgprs: 0
; ScratchSize: 0
; MemoryBound: 0
; FloatMode: 240
; IeeeMode: 1
; LDSByteSize: 0 bytes/workgroup (compile time only)
; SGPRBlocks: 0
; VGPRBlocks: 0
; NumSGPRsForWavesPerEU: 4
; NumVGPRsForWavesPerEU: 1
; AccumOffset: 4
; Occupancy: 8
; WaveLimiterHint : 0
; COMPUTE_PGM_RSRC2:SCRATCH_EN: 0
; COMPUTE_PGM_RSRC2:USER_SGPR: 6
; COMPUTE_PGM_RSRC2:TRAP_HANDLER: 0
; COMPUTE_PGM_RSRC2:TGID_X_EN: 1
; COMPUTE_PGM_RSRC2:TGID_Y_EN: 0
; COMPUTE_PGM_RSRC2:TGID_Z_EN: 0
; COMPUTE_PGM_RSRC2:TIDIG_COMP_CNT: 0
; COMPUTE_PGM_RSRC3_GFX90A:ACCUM_OFFSET: 0
; COMPUTE_PGM_RSRC3_GFX90A:TG_SPLIT: 0
	.section	.text._ZN7rocprim17ROCPRIM_400000_NS6detail17trampoline_kernelINS0_14default_configENS1_38merge_sort_block_merge_config_selectorIcNS0_10empty_typeEEEZZNS1_27merge_sort_block_merge_implIS3_PcPS5_jNS1_19radix_merge_compareILb1ELb1EcNS0_19identity_decomposerEEEEE10hipError_tT0_T1_T2_jT3_P12ihipStream_tbPNSt15iterator_traitsISE_E10value_typeEPNSK_ISF_E10value_typeEPSG_NS1_7vsmem_tEENKUlT_SE_SF_SG_E_clIS8_S8_S9_S9_EESD_ST_SE_SF_SG_EUlST_E_NS1_11comp_targetILNS1_3genE8ELNS1_11target_archE1030ELNS1_3gpuE2ELNS1_3repE0EEENS1_48merge_mergepath_partition_config_static_selectorELNS0_4arch9wavefront6targetE1EEEvSF_,"axG",@progbits,_ZN7rocprim17ROCPRIM_400000_NS6detail17trampoline_kernelINS0_14default_configENS1_38merge_sort_block_merge_config_selectorIcNS0_10empty_typeEEEZZNS1_27merge_sort_block_merge_implIS3_PcPS5_jNS1_19radix_merge_compareILb1ELb1EcNS0_19identity_decomposerEEEEE10hipError_tT0_T1_T2_jT3_P12ihipStream_tbPNSt15iterator_traitsISE_E10value_typeEPNSK_ISF_E10value_typeEPSG_NS1_7vsmem_tEENKUlT_SE_SF_SG_E_clIS8_S8_S9_S9_EESD_ST_SE_SF_SG_EUlST_E_NS1_11comp_targetILNS1_3genE8ELNS1_11target_archE1030ELNS1_3gpuE2ELNS1_3repE0EEENS1_48merge_mergepath_partition_config_static_selectorELNS0_4arch9wavefront6targetE1EEEvSF_,comdat
	.protected	_ZN7rocprim17ROCPRIM_400000_NS6detail17trampoline_kernelINS0_14default_configENS1_38merge_sort_block_merge_config_selectorIcNS0_10empty_typeEEEZZNS1_27merge_sort_block_merge_implIS3_PcPS5_jNS1_19radix_merge_compareILb1ELb1EcNS0_19identity_decomposerEEEEE10hipError_tT0_T1_T2_jT3_P12ihipStream_tbPNSt15iterator_traitsISE_E10value_typeEPNSK_ISF_E10value_typeEPSG_NS1_7vsmem_tEENKUlT_SE_SF_SG_E_clIS8_S8_S9_S9_EESD_ST_SE_SF_SG_EUlST_E_NS1_11comp_targetILNS1_3genE8ELNS1_11target_archE1030ELNS1_3gpuE2ELNS1_3repE0EEENS1_48merge_mergepath_partition_config_static_selectorELNS0_4arch9wavefront6targetE1EEEvSF_ ; -- Begin function _ZN7rocprim17ROCPRIM_400000_NS6detail17trampoline_kernelINS0_14default_configENS1_38merge_sort_block_merge_config_selectorIcNS0_10empty_typeEEEZZNS1_27merge_sort_block_merge_implIS3_PcPS5_jNS1_19radix_merge_compareILb1ELb1EcNS0_19identity_decomposerEEEEE10hipError_tT0_T1_T2_jT3_P12ihipStream_tbPNSt15iterator_traitsISE_E10value_typeEPNSK_ISF_E10value_typeEPSG_NS1_7vsmem_tEENKUlT_SE_SF_SG_E_clIS8_S8_S9_S9_EESD_ST_SE_SF_SG_EUlST_E_NS1_11comp_targetILNS1_3genE8ELNS1_11target_archE1030ELNS1_3gpuE2ELNS1_3repE0EEENS1_48merge_mergepath_partition_config_static_selectorELNS0_4arch9wavefront6targetE1EEEvSF_
	.globl	_ZN7rocprim17ROCPRIM_400000_NS6detail17trampoline_kernelINS0_14default_configENS1_38merge_sort_block_merge_config_selectorIcNS0_10empty_typeEEEZZNS1_27merge_sort_block_merge_implIS3_PcPS5_jNS1_19radix_merge_compareILb1ELb1EcNS0_19identity_decomposerEEEEE10hipError_tT0_T1_T2_jT3_P12ihipStream_tbPNSt15iterator_traitsISE_E10value_typeEPNSK_ISF_E10value_typeEPSG_NS1_7vsmem_tEENKUlT_SE_SF_SG_E_clIS8_S8_S9_S9_EESD_ST_SE_SF_SG_EUlST_E_NS1_11comp_targetILNS1_3genE8ELNS1_11target_archE1030ELNS1_3gpuE2ELNS1_3repE0EEENS1_48merge_mergepath_partition_config_static_selectorELNS0_4arch9wavefront6targetE1EEEvSF_
	.p2align	8
	.type	_ZN7rocprim17ROCPRIM_400000_NS6detail17trampoline_kernelINS0_14default_configENS1_38merge_sort_block_merge_config_selectorIcNS0_10empty_typeEEEZZNS1_27merge_sort_block_merge_implIS3_PcPS5_jNS1_19radix_merge_compareILb1ELb1EcNS0_19identity_decomposerEEEEE10hipError_tT0_T1_T2_jT3_P12ihipStream_tbPNSt15iterator_traitsISE_E10value_typeEPNSK_ISF_E10value_typeEPSG_NS1_7vsmem_tEENKUlT_SE_SF_SG_E_clIS8_S8_S9_S9_EESD_ST_SE_SF_SG_EUlST_E_NS1_11comp_targetILNS1_3genE8ELNS1_11target_archE1030ELNS1_3gpuE2ELNS1_3repE0EEENS1_48merge_mergepath_partition_config_static_selectorELNS0_4arch9wavefront6targetE1EEEvSF_,@function
_ZN7rocprim17ROCPRIM_400000_NS6detail17trampoline_kernelINS0_14default_configENS1_38merge_sort_block_merge_config_selectorIcNS0_10empty_typeEEEZZNS1_27merge_sort_block_merge_implIS3_PcPS5_jNS1_19radix_merge_compareILb1ELb1EcNS0_19identity_decomposerEEEEE10hipError_tT0_T1_T2_jT3_P12ihipStream_tbPNSt15iterator_traitsISE_E10value_typeEPNSK_ISF_E10value_typeEPSG_NS1_7vsmem_tEENKUlT_SE_SF_SG_E_clIS8_S8_S9_S9_EESD_ST_SE_SF_SG_EUlST_E_NS1_11comp_targetILNS1_3genE8ELNS1_11target_archE1030ELNS1_3gpuE2ELNS1_3repE0EEENS1_48merge_mergepath_partition_config_static_selectorELNS0_4arch9wavefront6targetE1EEEvSF_: ; @_ZN7rocprim17ROCPRIM_400000_NS6detail17trampoline_kernelINS0_14default_configENS1_38merge_sort_block_merge_config_selectorIcNS0_10empty_typeEEEZZNS1_27merge_sort_block_merge_implIS3_PcPS5_jNS1_19radix_merge_compareILb1ELb1EcNS0_19identity_decomposerEEEEE10hipError_tT0_T1_T2_jT3_P12ihipStream_tbPNSt15iterator_traitsISE_E10value_typeEPNSK_ISF_E10value_typeEPSG_NS1_7vsmem_tEENKUlT_SE_SF_SG_E_clIS8_S8_S9_S9_EESD_ST_SE_SF_SG_EUlST_E_NS1_11comp_targetILNS1_3genE8ELNS1_11target_archE1030ELNS1_3gpuE2ELNS1_3repE0EEENS1_48merge_mergepath_partition_config_static_selectorELNS0_4arch9wavefront6targetE1EEEvSF_
; %bb.0:
	.section	.rodata,"a",@progbits
	.p2align	6, 0x0
	.amdhsa_kernel _ZN7rocprim17ROCPRIM_400000_NS6detail17trampoline_kernelINS0_14default_configENS1_38merge_sort_block_merge_config_selectorIcNS0_10empty_typeEEEZZNS1_27merge_sort_block_merge_implIS3_PcPS5_jNS1_19radix_merge_compareILb1ELb1EcNS0_19identity_decomposerEEEEE10hipError_tT0_T1_T2_jT3_P12ihipStream_tbPNSt15iterator_traitsISE_E10value_typeEPNSK_ISF_E10value_typeEPSG_NS1_7vsmem_tEENKUlT_SE_SF_SG_E_clIS8_S8_S9_S9_EESD_ST_SE_SF_SG_EUlST_E_NS1_11comp_targetILNS1_3genE8ELNS1_11target_archE1030ELNS1_3gpuE2ELNS1_3repE0EEENS1_48merge_mergepath_partition_config_static_selectorELNS0_4arch9wavefront6targetE1EEEvSF_
		.amdhsa_group_segment_fixed_size 0
		.amdhsa_private_segment_fixed_size 0
		.amdhsa_kernarg_size 40
		.amdhsa_user_sgpr_count 6
		.amdhsa_user_sgpr_private_segment_buffer 1
		.amdhsa_user_sgpr_dispatch_ptr 0
		.amdhsa_user_sgpr_queue_ptr 0
		.amdhsa_user_sgpr_kernarg_segment_ptr 1
		.amdhsa_user_sgpr_dispatch_id 0
		.amdhsa_user_sgpr_flat_scratch_init 0
		.amdhsa_user_sgpr_kernarg_preload_length 0
		.amdhsa_user_sgpr_kernarg_preload_offset 0
		.amdhsa_user_sgpr_private_segment_size 0
		.amdhsa_uses_dynamic_stack 0
		.amdhsa_system_sgpr_private_segment_wavefront_offset 0
		.amdhsa_system_sgpr_workgroup_id_x 1
		.amdhsa_system_sgpr_workgroup_id_y 0
		.amdhsa_system_sgpr_workgroup_id_z 0
		.amdhsa_system_sgpr_workgroup_info 0
		.amdhsa_system_vgpr_workitem_id 0
		.amdhsa_next_free_vgpr 1
		.amdhsa_next_free_sgpr 0
		.amdhsa_accum_offset 4
		.amdhsa_reserve_vcc 0
		.amdhsa_reserve_flat_scratch 0
		.amdhsa_float_round_mode_32 0
		.amdhsa_float_round_mode_16_64 0
		.amdhsa_float_denorm_mode_32 3
		.amdhsa_float_denorm_mode_16_64 3
		.amdhsa_dx10_clamp 1
		.amdhsa_ieee_mode 1
		.amdhsa_fp16_overflow 0
		.amdhsa_tg_split 0
		.amdhsa_exception_fp_ieee_invalid_op 0
		.amdhsa_exception_fp_denorm_src 0
		.amdhsa_exception_fp_ieee_div_zero 0
		.amdhsa_exception_fp_ieee_overflow 0
		.amdhsa_exception_fp_ieee_underflow 0
		.amdhsa_exception_fp_ieee_inexact 0
		.amdhsa_exception_int_div_zero 0
	.end_amdhsa_kernel
	.section	.text._ZN7rocprim17ROCPRIM_400000_NS6detail17trampoline_kernelINS0_14default_configENS1_38merge_sort_block_merge_config_selectorIcNS0_10empty_typeEEEZZNS1_27merge_sort_block_merge_implIS3_PcPS5_jNS1_19radix_merge_compareILb1ELb1EcNS0_19identity_decomposerEEEEE10hipError_tT0_T1_T2_jT3_P12ihipStream_tbPNSt15iterator_traitsISE_E10value_typeEPNSK_ISF_E10value_typeEPSG_NS1_7vsmem_tEENKUlT_SE_SF_SG_E_clIS8_S8_S9_S9_EESD_ST_SE_SF_SG_EUlST_E_NS1_11comp_targetILNS1_3genE8ELNS1_11target_archE1030ELNS1_3gpuE2ELNS1_3repE0EEENS1_48merge_mergepath_partition_config_static_selectorELNS0_4arch9wavefront6targetE1EEEvSF_,"axG",@progbits,_ZN7rocprim17ROCPRIM_400000_NS6detail17trampoline_kernelINS0_14default_configENS1_38merge_sort_block_merge_config_selectorIcNS0_10empty_typeEEEZZNS1_27merge_sort_block_merge_implIS3_PcPS5_jNS1_19radix_merge_compareILb1ELb1EcNS0_19identity_decomposerEEEEE10hipError_tT0_T1_T2_jT3_P12ihipStream_tbPNSt15iterator_traitsISE_E10value_typeEPNSK_ISF_E10value_typeEPSG_NS1_7vsmem_tEENKUlT_SE_SF_SG_E_clIS8_S8_S9_S9_EESD_ST_SE_SF_SG_EUlST_E_NS1_11comp_targetILNS1_3genE8ELNS1_11target_archE1030ELNS1_3gpuE2ELNS1_3repE0EEENS1_48merge_mergepath_partition_config_static_selectorELNS0_4arch9wavefront6targetE1EEEvSF_,comdat
.Lfunc_end1512:
	.size	_ZN7rocprim17ROCPRIM_400000_NS6detail17trampoline_kernelINS0_14default_configENS1_38merge_sort_block_merge_config_selectorIcNS0_10empty_typeEEEZZNS1_27merge_sort_block_merge_implIS3_PcPS5_jNS1_19radix_merge_compareILb1ELb1EcNS0_19identity_decomposerEEEEE10hipError_tT0_T1_T2_jT3_P12ihipStream_tbPNSt15iterator_traitsISE_E10value_typeEPNSK_ISF_E10value_typeEPSG_NS1_7vsmem_tEENKUlT_SE_SF_SG_E_clIS8_S8_S9_S9_EESD_ST_SE_SF_SG_EUlST_E_NS1_11comp_targetILNS1_3genE8ELNS1_11target_archE1030ELNS1_3gpuE2ELNS1_3repE0EEENS1_48merge_mergepath_partition_config_static_selectorELNS0_4arch9wavefront6targetE1EEEvSF_, .Lfunc_end1512-_ZN7rocprim17ROCPRIM_400000_NS6detail17trampoline_kernelINS0_14default_configENS1_38merge_sort_block_merge_config_selectorIcNS0_10empty_typeEEEZZNS1_27merge_sort_block_merge_implIS3_PcPS5_jNS1_19radix_merge_compareILb1ELb1EcNS0_19identity_decomposerEEEEE10hipError_tT0_T1_T2_jT3_P12ihipStream_tbPNSt15iterator_traitsISE_E10value_typeEPNSK_ISF_E10value_typeEPSG_NS1_7vsmem_tEENKUlT_SE_SF_SG_E_clIS8_S8_S9_S9_EESD_ST_SE_SF_SG_EUlST_E_NS1_11comp_targetILNS1_3genE8ELNS1_11target_archE1030ELNS1_3gpuE2ELNS1_3repE0EEENS1_48merge_mergepath_partition_config_static_selectorELNS0_4arch9wavefront6targetE1EEEvSF_
                                        ; -- End function
	.section	.AMDGPU.csdata,"",@progbits
; Kernel info:
; codeLenInByte = 0
; NumSgprs: 4
; NumVgprs: 0
; NumAgprs: 0
; TotalNumVgprs: 0
; ScratchSize: 0
; MemoryBound: 0
; FloatMode: 240
; IeeeMode: 1
; LDSByteSize: 0 bytes/workgroup (compile time only)
; SGPRBlocks: 0
; VGPRBlocks: 0
; NumSGPRsForWavesPerEU: 4
; NumVGPRsForWavesPerEU: 1
; AccumOffset: 4
; Occupancy: 8
; WaveLimiterHint : 0
; COMPUTE_PGM_RSRC2:SCRATCH_EN: 0
; COMPUTE_PGM_RSRC2:USER_SGPR: 6
; COMPUTE_PGM_RSRC2:TRAP_HANDLER: 0
; COMPUTE_PGM_RSRC2:TGID_X_EN: 1
; COMPUTE_PGM_RSRC2:TGID_Y_EN: 0
; COMPUTE_PGM_RSRC2:TGID_Z_EN: 0
; COMPUTE_PGM_RSRC2:TIDIG_COMP_CNT: 0
; COMPUTE_PGM_RSRC3_GFX90A:ACCUM_OFFSET: 0
; COMPUTE_PGM_RSRC3_GFX90A:TG_SPLIT: 0
	.section	.text._ZN7rocprim17ROCPRIM_400000_NS6detail17trampoline_kernelINS0_14default_configENS1_38merge_sort_block_merge_config_selectorIcNS0_10empty_typeEEEZZNS1_27merge_sort_block_merge_implIS3_PcPS5_jNS1_19radix_merge_compareILb1ELb1EcNS0_19identity_decomposerEEEEE10hipError_tT0_T1_T2_jT3_P12ihipStream_tbPNSt15iterator_traitsISE_E10value_typeEPNSK_ISF_E10value_typeEPSG_NS1_7vsmem_tEENKUlT_SE_SF_SG_E_clIS8_S8_S9_S9_EESD_ST_SE_SF_SG_EUlST_E0_NS1_11comp_targetILNS1_3genE0ELNS1_11target_archE4294967295ELNS1_3gpuE0ELNS1_3repE0EEENS1_38merge_mergepath_config_static_selectorELNS0_4arch9wavefront6targetE1EEEvSF_,"axG",@progbits,_ZN7rocprim17ROCPRIM_400000_NS6detail17trampoline_kernelINS0_14default_configENS1_38merge_sort_block_merge_config_selectorIcNS0_10empty_typeEEEZZNS1_27merge_sort_block_merge_implIS3_PcPS5_jNS1_19radix_merge_compareILb1ELb1EcNS0_19identity_decomposerEEEEE10hipError_tT0_T1_T2_jT3_P12ihipStream_tbPNSt15iterator_traitsISE_E10value_typeEPNSK_ISF_E10value_typeEPSG_NS1_7vsmem_tEENKUlT_SE_SF_SG_E_clIS8_S8_S9_S9_EESD_ST_SE_SF_SG_EUlST_E0_NS1_11comp_targetILNS1_3genE0ELNS1_11target_archE4294967295ELNS1_3gpuE0ELNS1_3repE0EEENS1_38merge_mergepath_config_static_selectorELNS0_4arch9wavefront6targetE1EEEvSF_,comdat
	.protected	_ZN7rocprim17ROCPRIM_400000_NS6detail17trampoline_kernelINS0_14default_configENS1_38merge_sort_block_merge_config_selectorIcNS0_10empty_typeEEEZZNS1_27merge_sort_block_merge_implIS3_PcPS5_jNS1_19radix_merge_compareILb1ELb1EcNS0_19identity_decomposerEEEEE10hipError_tT0_T1_T2_jT3_P12ihipStream_tbPNSt15iterator_traitsISE_E10value_typeEPNSK_ISF_E10value_typeEPSG_NS1_7vsmem_tEENKUlT_SE_SF_SG_E_clIS8_S8_S9_S9_EESD_ST_SE_SF_SG_EUlST_E0_NS1_11comp_targetILNS1_3genE0ELNS1_11target_archE4294967295ELNS1_3gpuE0ELNS1_3repE0EEENS1_38merge_mergepath_config_static_selectorELNS0_4arch9wavefront6targetE1EEEvSF_ ; -- Begin function _ZN7rocprim17ROCPRIM_400000_NS6detail17trampoline_kernelINS0_14default_configENS1_38merge_sort_block_merge_config_selectorIcNS0_10empty_typeEEEZZNS1_27merge_sort_block_merge_implIS3_PcPS5_jNS1_19radix_merge_compareILb1ELb1EcNS0_19identity_decomposerEEEEE10hipError_tT0_T1_T2_jT3_P12ihipStream_tbPNSt15iterator_traitsISE_E10value_typeEPNSK_ISF_E10value_typeEPSG_NS1_7vsmem_tEENKUlT_SE_SF_SG_E_clIS8_S8_S9_S9_EESD_ST_SE_SF_SG_EUlST_E0_NS1_11comp_targetILNS1_3genE0ELNS1_11target_archE4294967295ELNS1_3gpuE0ELNS1_3repE0EEENS1_38merge_mergepath_config_static_selectorELNS0_4arch9wavefront6targetE1EEEvSF_
	.globl	_ZN7rocprim17ROCPRIM_400000_NS6detail17trampoline_kernelINS0_14default_configENS1_38merge_sort_block_merge_config_selectorIcNS0_10empty_typeEEEZZNS1_27merge_sort_block_merge_implIS3_PcPS5_jNS1_19radix_merge_compareILb1ELb1EcNS0_19identity_decomposerEEEEE10hipError_tT0_T1_T2_jT3_P12ihipStream_tbPNSt15iterator_traitsISE_E10value_typeEPNSK_ISF_E10value_typeEPSG_NS1_7vsmem_tEENKUlT_SE_SF_SG_E_clIS8_S8_S9_S9_EESD_ST_SE_SF_SG_EUlST_E0_NS1_11comp_targetILNS1_3genE0ELNS1_11target_archE4294967295ELNS1_3gpuE0ELNS1_3repE0EEENS1_38merge_mergepath_config_static_selectorELNS0_4arch9wavefront6targetE1EEEvSF_
	.p2align	8
	.type	_ZN7rocprim17ROCPRIM_400000_NS6detail17trampoline_kernelINS0_14default_configENS1_38merge_sort_block_merge_config_selectorIcNS0_10empty_typeEEEZZNS1_27merge_sort_block_merge_implIS3_PcPS5_jNS1_19radix_merge_compareILb1ELb1EcNS0_19identity_decomposerEEEEE10hipError_tT0_T1_T2_jT3_P12ihipStream_tbPNSt15iterator_traitsISE_E10value_typeEPNSK_ISF_E10value_typeEPSG_NS1_7vsmem_tEENKUlT_SE_SF_SG_E_clIS8_S8_S9_S9_EESD_ST_SE_SF_SG_EUlST_E0_NS1_11comp_targetILNS1_3genE0ELNS1_11target_archE4294967295ELNS1_3gpuE0ELNS1_3repE0EEENS1_38merge_mergepath_config_static_selectorELNS0_4arch9wavefront6targetE1EEEvSF_,@function
_ZN7rocprim17ROCPRIM_400000_NS6detail17trampoline_kernelINS0_14default_configENS1_38merge_sort_block_merge_config_selectorIcNS0_10empty_typeEEEZZNS1_27merge_sort_block_merge_implIS3_PcPS5_jNS1_19radix_merge_compareILb1ELb1EcNS0_19identity_decomposerEEEEE10hipError_tT0_T1_T2_jT3_P12ihipStream_tbPNSt15iterator_traitsISE_E10value_typeEPNSK_ISF_E10value_typeEPSG_NS1_7vsmem_tEENKUlT_SE_SF_SG_E_clIS8_S8_S9_S9_EESD_ST_SE_SF_SG_EUlST_E0_NS1_11comp_targetILNS1_3genE0ELNS1_11target_archE4294967295ELNS1_3gpuE0ELNS1_3repE0EEENS1_38merge_mergepath_config_static_selectorELNS0_4arch9wavefront6targetE1EEEvSF_: ; @_ZN7rocprim17ROCPRIM_400000_NS6detail17trampoline_kernelINS0_14default_configENS1_38merge_sort_block_merge_config_selectorIcNS0_10empty_typeEEEZZNS1_27merge_sort_block_merge_implIS3_PcPS5_jNS1_19radix_merge_compareILb1ELb1EcNS0_19identity_decomposerEEEEE10hipError_tT0_T1_T2_jT3_P12ihipStream_tbPNSt15iterator_traitsISE_E10value_typeEPNSK_ISF_E10value_typeEPSG_NS1_7vsmem_tEENKUlT_SE_SF_SG_E_clIS8_S8_S9_S9_EESD_ST_SE_SF_SG_EUlST_E0_NS1_11comp_targetILNS1_3genE0ELNS1_11target_archE4294967295ELNS1_3gpuE0ELNS1_3repE0EEENS1_38merge_mergepath_config_static_selectorELNS0_4arch9wavefront6targetE1EEEvSF_
; %bb.0:
	.section	.rodata,"a",@progbits
	.p2align	6, 0x0
	.amdhsa_kernel _ZN7rocprim17ROCPRIM_400000_NS6detail17trampoline_kernelINS0_14default_configENS1_38merge_sort_block_merge_config_selectorIcNS0_10empty_typeEEEZZNS1_27merge_sort_block_merge_implIS3_PcPS5_jNS1_19radix_merge_compareILb1ELb1EcNS0_19identity_decomposerEEEEE10hipError_tT0_T1_T2_jT3_P12ihipStream_tbPNSt15iterator_traitsISE_E10value_typeEPNSK_ISF_E10value_typeEPSG_NS1_7vsmem_tEENKUlT_SE_SF_SG_E_clIS8_S8_S9_S9_EESD_ST_SE_SF_SG_EUlST_E0_NS1_11comp_targetILNS1_3genE0ELNS1_11target_archE4294967295ELNS1_3gpuE0ELNS1_3repE0EEENS1_38merge_mergepath_config_static_selectorELNS0_4arch9wavefront6targetE1EEEvSF_
		.amdhsa_group_segment_fixed_size 0
		.amdhsa_private_segment_fixed_size 0
		.amdhsa_kernarg_size 64
		.amdhsa_user_sgpr_count 6
		.amdhsa_user_sgpr_private_segment_buffer 1
		.amdhsa_user_sgpr_dispatch_ptr 0
		.amdhsa_user_sgpr_queue_ptr 0
		.amdhsa_user_sgpr_kernarg_segment_ptr 1
		.amdhsa_user_sgpr_dispatch_id 0
		.amdhsa_user_sgpr_flat_scratch_init 0
		.amdhsa_user_sgpr_kernarg_preload_length 0
		.amdhsa_user_sgpr_kernarg_preload_offset 0
		.amdhsa_user_sgpr_private_segment_size 0
		.amdhsa_uses_dynamic_stack 0
		.amdhsa_system_sgpr_private_segment_wavefront_offset 0
		.amdhsa_system_sgpr_workgroup_id_x 1
		.amdhsa_system_sgpr_workgroup_id_y 0
		.amdhsa_system_sgpr_workgroup_id_z 0
		.amdhsa_system_sgpr_workgroup_info 0
		.amdhsa_system_vgpr_workitem_id 0
		.amdhsa_next_free_vgpr 1
		.amdhsa_next_free_sgpr 0
		.amdhsa_accum_offset 4
		.amdhsa_reserve_vcc 0
		.amdhsa_reserve_flat_scratch 0
		.amdhsa_float_round_mode_32 0
		.amdhsa_float_round_mode_16_64 0
		.amdhsa_float_denorm_mode_32 3
		.amdhsa_float_denorm_mode_16_64 3
		.amdhsa_dx10_clamp 1
		.amdhsa_ieee_mode 1
		.amdhsa_fp16_overflow 0
		.amdhsa_tg_split 0
		.amdhsa_exception_fp_ieee_invalid_op 0
		.amdhsa_exception_fp_denorm_src 0
		.amdhsa_exception_fp_ieee_div_zero 0
		.amdhsa_exception_fp_ieee_overflow 0
		.amdhsa_exception_fp_ieee_underflow 0
		.amdhsa_exception_fp_ieee_inexact 0
		.amdhsa_exception_int_div_zero 0
	.end_amdhsa_kernel
	.section	.text._ZN7rocprim17ROCPRIM_400000_NS6detail17trampoline_kernelINS0_14default_configENS1_38merge_sort_block_merge_config_selectorIcNS0_10empty_typeEEEZZNS1_27merge_sort_block_merge_implIS3_PcPS5_jNS1_19radix_merge_compareILb1ELb1EcNS0_19identity_decomposerEEEEE10hipError_tT0_T1_T2_jT3_P12ihipStream_tbPNSt15iterator_traitsISE_E10value_typeEPNSK_ISF_E10value_typeEPSG_NS1_7vsmem_tEENKUlT_SE_SF_SG_E_clIS8_S8_S9_S9_EESD_ST_SE_SF_SG_EUlST_E0_NS1_11comp_targetILNS1_3genE0ELNS1_11target_archE4294967295ELNS1_3gpuE0ELNS1_3repE0EEENS1_38merge_mergepath_config_static_selectorELNS0_4arch9wavefront6targetE1EEEvSF_,"axG",@progbits,_ZN7rocprim17ROCPRIM_400000_NS6detail17trampoline_kernelINS0_14default_configENS1_38merge_sort_block_merge_config_selectorIcNS0_10empty_typeEEEZZNS1_27merge_sort_block_merge_implIS3_PcPS5_jNS1_19radix_merge_compareILb1ELb1EcNS0_19identity_decomposerEEEEE10hipError_tT0_T1_T2_jT3_P12ihipStream_tbPNSt15iterator_traitsISE_E10value_typeEPNSK_ISF_E10value_typeEPSG_NS1_7vsmem_tEENKUlT_SE_SF_SG_E_clIS8_S8_S9_S9_EESD_ST_SE_SF_SG_EUlST_E0_NS1_11comp_targetILNS1_3genE0ELNS1_11target_archE4294967295ELNS1_3gpuE0ELNS1_3repE0EEENS1_38merge_mergepath_config_static_selectorELNS0_4arch9wavefront6targetE1EEEvSF_,comdat
.Lfunc_end1513:
	.size	_ZN7rocprim17ROCPRIM_400000_NS6detail17trampoline_kernelINS0_14default_configENS1_38merge_sort_block_merge_config_selectorIcNS0_10empty_typeEEEZZNS1_27merge_sort_block_merge_implIS3_PcPS5_jNS1_19radix_merge_compareILb1ELb1EcNS0_19identity_decomposerEEEEE10hipError_tT0_T1_T2_jT3_P12ihipStream_tbPNSt15iterator_traitsISE_E10value_typeEPNSK_ISF_E10value_typeEPSG_NS1_7vsmem_tEENKUlT_SE_SF_SG_E_clIS8_S8_S9_S9_EESD_ST_SE_SF_SG_EUlST_E0_NS1_11comp_targetILNS1_3genE0ELNS1_11target_archE4294967295ELNS1_3gpuE0ELNS1_3repE0EEENS1_38merge_mergepath_config_static_selectorELNS0_4arch9wavefront6targetE1EEEvSF_, .Lfunc_end1513-_ZN7rocprim17ROCPRIM_400000_NS6detail17trampoline_kernelINS0_14default_configENS1_38merge_sort_block_merge_config_selectorIcNS0_10empty_typeEEEZZNS1_27merge_sort_block_merge_implIS3_PcPS5_jNS1_19radix_merge_compareILb1ELb1EcNS0_19identity_decomposerEEEEE10hipError_tT0_T1_T2_jT3_P12ihipStream_tbPNSt15iterator_traitsISE_E10value_typeEPNSK_ISF_E10value_typeEPSG_NS1_7vsmem_tEENKUlT_SE_SF_SG_E_clIS8_S8_S9_S9_EESD_ST_SE_SF_SG_EUlST_E0_NS1_11comp_targetILNS1_3genE0ELNS1_11target_archE4294967295ELNS1_3gpuE0ELNS1_3repE0EEENS1_38merge_mergepath_config_static_selectorELNS0_4arch9wavefront6targetE1EEEvSF_
                                        ; -- End function
	.section	.AMDGPU.csdata,"",@progbits
; Kernel info:
; codeLenInByte = 0
; NumSgprs: 4
; NumVgprs: 0
; NumAgprs: 0
; TotalNumVgprs: 0
; ScratchSize: 0
; MemoryBound: 0
; FloatMode: 240
; IeeeMode: 1
; LDSByteSize: 0 bytes/workgroup (compile time only)
; SGPRBlocks: 0
; VGPRBlocks: 0
; NumSGPRsForWavesPerEU: 4
; NumVGPRsForWavesPerEU: 1
; AccumOffset: 4
; Occupancy: 8
; WaveLimiterHint : 0
; COMPUTE_PGM_RSRC2:SCRATCH_EN: 0
; COMPUTE_PGM_RSRC2:USER_SGPR: 6
; COMPUTE_PGM_RSRC2:TRAP_HANDLER: 0
; COMPUTE_PGM_RSRC2:TGID_X_EN: 1
; COMPUTE_PGM_RSRC2:TGID_Y_EN: 0
; COMPUTE_PGM_RSRC2:TGID_Z_EN: 0
; COMPUTE_PGM_RSRC2:TIDIG_COMP_CNT: 0
; COMPUTE_PGM_RSRC3_GFX90A:ACCUM_OFFSET: 0
; COMPUTE_PGM_RSRC3_GFX90A:TG_SPLIT: 0
	.section	.text._ZN7rocprim17ROCPRIM_400000_NS6detail17trampoline_kernelINS0_14default_configENS1_38merge_sort_block_merge_config_selectorIcNS0_10empty_typeEEEZZNS1_27merge_sort_block_merge_implIS3_PcPS5_jNS1_19radix_merge_compareILb1ELb1EcNS0_19identity_decomposerEEEEE10hipError_tT0_T1_T2_jT3_P12ihipStream_tbPNSt15iterator_traitsISE_E10value_typeEPNSK_ISF_E10value_typeEPSG_NS1_7vsmem_tEENKUlT_SE_SF_SG_E_clIS8_S8_S9_S9_EESD_ST_SE_SF_SG_EUlST_E0_NS1_11comp_targetILNS1_3genE10ELNS1_11target_archE1201ELNS1_3gpuE5ELNS1_3repE0EEENS1_38merge_mergepath_config_static_selectorELNS0_4arch9wavefront6targetE1EEEvSF_,"axG",@progbits,_ZN7rocprim17ROCPRIM_400000_NS6detail17trampoline_kernelINS0_14default_configENS1_38merge_sort_block_merge_config_selectorIcNS0_10empty_typeEEEZZNS1_27merge_sort_block_merge_implIS3_PcPS5_jNS1_19radix_merge_compareILb1ELb1EcNS0_19identity_decomposerEEEEE10hipError_tT0_T1_T2_jT3_P12ihipStream_tbPNSt15iterator_traitsISE_E10value_typeEPNSK_ISF_E10value_typeEPSG_NS1_7vsmem_tEENKUlT_SE_SF_SG_E_clIS8_S8_S9_S9_EESD_ST_SE_SF_SG_EUlST_E0_NS1_11comp_targetILNS1_3genE10ELNS1_11target_archE1201ELNS1_3gpuE5ELNS1_3repE0EEENS1_38merge_mergepath_config_static_selectorELNS0_4arch9wavefront6targetE1EEEvSF_,comdat
	.protected	_ZN7rocprim17ROCPRIM_400000_NS6detail17trampoline_kernelINS0_14default_configENS1_38merge_sort_block_merge_config_selectorIcNS0_10empty_typeEEEZZNS1_27merge_sort_block_merge_implIS3_PcPS5_jNS1_19radix_merge_compareILb1ELb1EcNS0_19identity_decomposerEEEEE10hipError_tT0_T1_T2_jT3_P12ihipStream_tbPNSt15iterator_traitsISE_E10value_typeEPNSK_ISF_E10value_typeEPSG_NS1_7vsmem_tEENKUlT_SE_SF_SG_E_clIS8_S8_S9_S9_EESD_ST_SE_SF_SG_EUlST_E0_NS1_11comp_targetILNS1_3genE10ELNS1_11target_archE1201ELNS1_3gpuE5ELNS1_3repE0EEENS1_38merge_mergepath_config_static_selectorELNS0_4arch9wavefront6targetE1EEEvSF_ ; -- Begin function _ZN7rocprim17ROCPRIM_400000_NS6detail17trampoline_kernelINS0_14default_configENS1_38merge_sort_block_merge_config_selectorIcNS0_10empty_typeEEEZZNS1_27merge_sort_block_merge_implIS3_PcPS5_jNS1_19radix_merge_compareILb1ELb1EcNS0_19identity_decomposerEEEEE10hipError_tT0_T1_T2_jT3_P12ihipStream_tbPNSt15iterator_traitsISE_E10value_typeEPNSK_ISF_E10value_typeEPSG_NS1_7vsmem_tEENKUlT_SE_SF_SG_E_clIS8_S8_S9_S9_EESD_ST_SE_SF_SG_EUlST_E0_NS1_11comp_targetILNS1_3genE10ELNS1_11target_archE1201ELNS1_3gpuE5ELNS1_3repE0EEENS1_38merge_mergepath_config_static_selectorELNS0_4arch9wavefront6targetE1EEEvSF_
	.globl	_ZN7rocprim17ROCPRIM_400000_NS6detail17trampoline_kernelINS0_14default_configENS1_38merge_sort_block_merge_config_selectorIcNS0_10empty_typeEEEZZNS1_27merge_sort_block_merge_implIS3_PcPS5_jNS1_19radix_merge_compareILb1ELb1EcNS0_19identity_decomposerEEEEE10hipError_tT0_T1_T2_jT3_P12ihipStream_tbPNSt15iterator_traitsISE_E10value_typeEPNSK_ISF_E10value_typeEPSG_NS1_7vsmem_tEENKUlT_SE_SF_SG_E_clIS8_S8_S9_S9_EESD_ST_SE_SF_SG_EUlST_E0_NS1_11comp_targetILNS1_3genE10ELNS1_11target_archE1201ELNS1_3gpuE5ELNS1_3repE0EEENS1_38merge_mergepath_config_static_selectorELNS0_4arch9wavefront6targetE1EEEvSF_
	.p2align	8
	.type	_ZN7rocprim17ROCPRIM_400000_NS6detail17trampoline_kernelINS0_14default_configENS1_38merge_sort_block_merge_config_selectorIcNS0_10empty_typeEEEZZNS1_27merge_sort_block_merge_implIS3_PcPS5_jNS1_19radix_merge_compareILb1ELb1EcNS0_19identity_decomposerEEEEE10hipError_tT0_T1_T2_jT3_P12ihipStream_tbPNSt15iterator_traitsISE_E10value_typeEPNSK_ISF_E10value_typeEPSG_NS1_7vsmem_tEENKUlT_SE_SF_SG_E_clIS8_S8_S9_S9_EESD_ST_SE_SF_SG_EUlST_E0_NS1_11comp_targetILNS1_3genE10ELNS1_11target_archE1201ELNS1_3gpuE5ELNS1_3repE0EEENS1_38merge_mergepath_config_static_selectorELNS0_4arch9wavefront6targetE1EEEvSF_,@function
_ZN7rocprim17ROCPRIM_400000_NS6detail17trampoline_kernelINS0_14default_configENS1_38merge_sort_block_merge_config_selectorIcNS0_10empty_typeEEEZZNS1_27merge_sort_block_merge_implIS3_PcPS5_jNS1_19radix_merge_compareILb1ELb1EcNS0_19identity_decomposerEEEEE10hipError_tT0_T1_T2_jT3_P12ihipStream_tbPNSt15iterator_traitsISE_E10value_typeEPNSK_ISF_E10value_typeEPSG_NS1_7vsmem_tEENKUlT_SE_SF_SG_E_clIS8_S8_S9_S9_EESD_ST_SE_SF_SG_EUlST_E0_NS1_11comp_targetILNS1_3genE10ELNS1_11target_archE1201ELNS1_3gpuE5ELNS1_3repE0EEENS1_38merge_mergepath_config_static_selectorELNS0_4arch9wavefront6targetE1EEEvSF_: ; @_ZN7rocprim17ROCPRIM_400000_NS6detail17trampoline_kernelINS0_14default_configENS1_38merge_sort_block_merge_config_selectorIcNS0_10empty_typeEEEZZNS1_27merge_sort_block_merge_implIS3_PcPS5_jNS1_19radix_merge_compareILb1ELb1EcNS0_19identity_decomposerEEEEE10hipError_tT0_T1_T2_jT3_P12ihipStream_tbPNSt15iterator_traitsISE_E10value_typeEPNSK_ISF_E10value_typeEPSG_NS1_7vsmem_tEENKUlT_SE_SF_SG_E_clIS8_S8_S9_S9_EESD_ST_SE_SF_SG_EUlST_E0_NS1_11comp_targetILNS1_3genE10ELNS1_11target_archE1201ELNS1_3gpuE5ELNS1_3repE0EEENS1_38merge_mergepath_config_static_selectorELNS0_4arch9wavefront6targetE1EEEvSF_
; %bb.0:
	.section	.rodata,"a",@progbits
	.p2align	6, 0x0
	.amdhsa_kernel _ZN7rocprim17ROCPRIM_400000_NS6detail17trampoline_kernelINS0_14default_configENS1_38merge_sort_block_merge_config_selectorIcNS0_10empty_typeEEEZZNS1_27merge_sort_block_merge_implIS3_PcPS5_jNS1_19radix_merge_compareILb1ELb1EcNS0_19identity_decomposerEEEEE10hipError_tT0_T1_T2_jT3_P12ihipStream_tbPNSt15iterator_traitsISE_E10value_typeEPNSK_ISF_E10value_typeEPSG_NS1_7vsmem_tEENKUlT_SE_SF_SG_E_clIS8_S8_S9_S9_EESD_ST_SE_SF_SG_EUlST_E0_NS1_11comp_targetILNS1_3genE10ELNS1_11target_archE1201ELNS1_3gpuE5ELNS1_3repE0EEENS1_38merge_mergepath_config_static_selectorELNS0_4arch9wavefront6targetE1EEEvSF_
		.amdhsa_group_segment_fixed_size 0
		.amdhsa_private_segment_fixed_size 0
		.amdhsa_kernarg_size 64
		.amdhsa_user_sgpr_count 6
		.amdhsa_user_sgpr_private_segment_buffer 1
		.amdhsa_user_sgpr_dispatch_ptr 0
		.amdhsa_user_sgpr_queue_ptr 0
		.amdhsa_user_sgpr_kernarg_segment_ptr 1
		.amdhsa_user_sgpr_dispatch_id 0
		.amdhsa_user_sgpr_flat_scratch_init 0
		.amdhsa_user_sgpr_kernarg_preload_length 0
		.amdhsa_user_sgpr_kernarg_preload_offset 0
		.amdhsa_user_sgpr_private_segment_size 0
		.amdhsa_uses_dynamic_stack 0
		.amdhsa_system_sgpr_private_segment_wavefront_offset 0
		.amdhsa_system_sgpr_workgroup_id_x 1
		.amdhsa_system_sgpr_workgroup_id_y 0
		.amdhsa_system_sgpr_workgroup_id_z 0
		.amdhsa_system_sgpr_workgroup_info 0
		.amdhsa_system_vgpr_workitem_id 0
		.amdhsa_next_free_vgpr 1
		.amdhsa_next_free_sgpr 0
		.amdhsa_accum_offset 4
		.amdhsa_reserve_vcc 0
		.amdhsa_reserve_flat_scratch 0
		.amdhsa_float_round_mode_32 0
		.amdhsa_float_round_mode_16_64 0
		.amdhsa_float_denorm_mode_32 3
		.amdhsa_float_denorm_mode_16_64 3
		.amdhsa_dx10_clamp 1
		.amdhsa_ieee_mode 1
		.amdhsa_fp16_overflow 0
		.amdhsa_tg_split 0
		.amdhsa_exception_fp_ieee_invalid_op 0
		.amdhsa_exception_fp_denorm_src 0
		.amdhsa_exception_fp_ieee_div_zero 0
		.amdhsa_exception_fp_ieee_overflow 0
		.amdhsa_exception_fp_ieee_underflow 0
		.amdhsa_exception_fp_ieee_inexact 0
		.amdhsa_exception_int_div_zero 0
	.end_amdhsa_kernel
	.section	.text._ZN7rocprim17ROCPRIM_400000_NS6detail17trampoline_kernelINS0_14default_configENS1_38merge_sort_block_merge_config_selectorIcNS0_10empty_typeEEEZZNS1_27merge_sort_block_merge_implIS3_PcPS5_jNS1_19radix_merge_compareILb1ELb1EcNS0_19identity_decomposerEEEEE10hipError_tT0_T1_T2_jT3_P12ihipStream_tbPNSt15iterator_traitsISE_E10value_typeEPNSK_ISF_E10value_typeEPSG_NS1_7vsmem_tEENKUlT_SE_SF_SG_E_clIS8_S8_S9_S9_EESD_ST_SE_SF_SG_EUlST_E0_NS1_11comp_targetILNS1_3genE10ELNS1_11target_archE1201ELNS1_3gpuE5ELNS1_3repE0EEENS1_38merge_mergepath_config_static_selectorELNS0_4arch9wavefront6targetE1EEEvSF_,"axG",@progbits,_ZN7rocprim17ROCPRIM_400000_NS6detail17trampoline_kernelINS0_14default_configENS1_38merge_sort_block_merge_config_selectorIcNS0_10empty_typeEEEZZNS1_27merge_sort_block_merge_implIS3_PcPS5_jNS1_19radix_merge_compareILb1ELb1EcNS0_19identity_decomposerEEEEE10hipError_tT0_T1_T2_jT3_P12ihipStream_tbPNSt15iterator_traitsISE_E10value_typeEPNSK_ISF_E10value_typeEPSG_NS1_7vsmem_tEENKUlT_SE_SF_SG_E_clIS8_S8_S9_S9_EESD_ST_SE_SF_SG_EUlST_E0_NS1_11comp_targetILNS1_3genE10ELNS1_11target_archE1201ELNS1_3gpuE5ELNS1_3repE0EEENS1_38merge_mergepath_config_static_selectorELNS0_4arch9wavefront6targetE1EEEvSF_,comdat
.Lfunc_end1514:
	.size	_ZN7rocprim17ROCPRIM_400000_NS6detail17trampoline_kernelINS0_14default_configENS1_38merge_sort_block_merge_config_selectorIcNS0_10empty_typeEEEZZNS1_27merge_sort_block_merge_implIS3_PcPS5_jNS1_19radix_merge_compareILb1ELb1EcNS0_19identity_decomposerEEEEE10hipError_tT0_T1_T2_jT3_P12ihipStream_tbPNSt15iterator_traitsISE_E10value_typeEPNSK_ISF_E10value_typeEPSG_NS1_7vsmem_tEENKUlT_SE_SF_SG_E_clIS8_S8_S9_S9_EESD_ST_SE_SF_SG_EUlST_E0_NS1_11comp_targetILNS1_3genE10ELNS1_11target_archE1201ELNS1_3gpuE5ELNS1_3repE0EEENS1_38merge_mergepath_config_static_selectorELNS0_4arch9wavefront6targetE1EEEvSF_, .Lfunc_end1514-_ZN7rocprim17ROCPRIM_400000_NS6detail17trampoline_kernelINS0_14default_configENS1_38merge_sort_block_merge_config_selectorIcNS0_10empty_typeEEEZZNS1_27merge_sort_block_merge_implIS3_PcPS5_jNS1_19radix_merge_compareILb1ELb1EcNS0_19identity_decomposerEEEEE10hipError_tT0_T1_T2_jT3_P12ihipStream_tbPNSt15iterator_traitsISE_E10value_typeEPNSK_ISF_E10value_typeEPSG_NS1_7vsmem_tEENKUlT_SE_SF_SG_E_clIS8_S8_S9_S9_EESD_ST_SE_SF_SG_EUlST_E0_NS1_11comp_targetILNS1_3genE10ELNS1_11target_archE1201ELNS1_3gpuE5ELNS1_3repE0EEENS1_38merge_mergepath_config_static_selectorELNS0_4arch9wavefront6targetE1EEEvSF_
                                        ; -- End function
	.section	.AMDGPU.csdata,"",@progbits
; Kernel info:
; codeLenInByte = 0
; NumSgprs: 4
; NumVgprs: 0
; NumAgprs: 0
; TotalNumVgprs: 0
; ScratchSize: 0
; MemoryBound: 0
; FloatMode: 240
; IeeeMode: 1
; LDSByteSize: 0 bytes/workgroup (compile time only)
; SGPRBlocks: 0
; VGPRBlocks: 0
; NumSGPRsForWavesPerEU: 4
; NumVGPRsForWavesPerEU: 1
; AccumOffset: 4
; Occupancy: 8
; WaveLimiterHint : 0
; COMPUTE_PGM_RSRC2:SCRATCH_EN: 0
; COMPUTE_PGM_RSRC2:USER_SGPR: 6
; COMPUTE_PGM_RSRC2:TRAP_HANDLER: 0
; COMPUTE_PGM_RSRC2:TGID_X_EN: 1
; COMPUTE_PGM_RSRC2:TGID_Y_EN: 0
; COMPUTE_PGM_RSRC2:TGID_Z_EN: 0
; COMPUTE_PGM_RSRC2:TIDIG_COMP_CNT: 0
; COMPUTE_PGM_RSRC3_GFX90A:ACCUM_OFFSET: 0
; COMPUTE_PGM_RSRC3_GFX90A:TG_SPLIT: 0
	.section	.text._ZN7rocprim17ROCPRIM_400000_NS6detail17trampoline_kernelINS0_14default_configENS1_38merge_sort_block_merge_config_selectorIcNS0_10empty_typeEEEZZNS1_27merge_sort_block_merge_implIS3_PcPS5_jNS1_19radix_merge_compareILb1ELb1EcNS0_19identity_decomposerEEEEE10hipError_tT0_T1_T2_jT3_P12ihipStream_tbPNSt15iterator_traitsISE_E10value_typeEPNSK_ISF_E10value_typeEPSG_NS1_7vsmem_tEENKUlT_SE_SF_SG_E_clIS8_S8_S9_S9_EESD_ST_SE_SF_SG_EUlST_E0_NS1_11comp_targetILNS1_3genE5ELNS1_11target_archE942ELNS1_3gpuE9ELNS1_3repE0EEENS1_38merge_mergepath_config_static_selectorELNS0_4arch9wavefront6targetE1EEEvSF_,"axG",@progbits,_ZN7rocprim17ROCPRIM_400000_NS6detail17trampoline_kernelINS0_14default_configENS1_38merge_sort_block_merge_config_selectorIcNS0_10empty_typeEEEZZNS1_27merge_sort_block_merge_implIS3_PcPS5_jNS1_19radix_merge_compareILb1ELb1EcNS0_19identity_decomposerEEEEE10hipError_tT0_T1_T2_jT3_P12ihipStream_tbPNSt15iterator_traitsISE_E10value_typeEPNSK_ISF_E10value_typeEPSG_NS1_7vsmem_tEENKUlT_SE_SF_SG_E_clIS8_S8_S9_S9_EESD_ST_SE_SF_SG_EUlST_E0_NS1_11comp_targetILNS1_3genE5ELNS1_11target_archE942ELNS1_3gpuE9ELNS1_3repE0EEENS1_38merge_mergepath_config_static_selectorELNS0_4arch9wavefront6targetE1EEEvSF_,comdat
	.protected	_ZN7rocprim17ROCPRIM_400000_NS6detail17trampoline_kernelINS0_14default_configENS1_38merge_sort_block_merge_config_selectorIcNS0_10empty_typeEEEZZNS1_27merge_sort_block_merge_implIS3_PcPS5_jNS1_19radix_merge_compareILb1ELb1EcNS0_19identity_decomposerEEEEE10hipError_tT0_T1_T2_jT3_P12ihipStream_tbPNSt15iterator_traitsISE_E10value_typeEPNSK_ISF_E10value_typeEPSG_NS1_7vsmem_tEENKUlT_SE_SF_SG_E_clIS8_S8_S9_S9_EESD_ST_SE_SF_SG_EUlST_E0_NS1_11comp_targetILNS1_3genE5ELNS1_11target_archE942ELNS1_3gpuE9ELNS1_3repE0EEENS1_38merge_mergepath_config_static_selectorELNS0_4arch9wavefront6targetE1EEEvSF_ ; -- Begin function _ZN7rocprim17ROCPRIM_400000_NS6detail17trampoline_kernelINS0_14default_configENS1_38merge_sort_block_merge_config_selectorIcNS0_10empty_typeEEEZZNS1_27merge_sort_block_merge_implIS3_PcPS5_jNS1_19radix_merge_compareILb1ELb1EcNS0_19identity_decomposerEEEEE10hipError_tT0_T1_T2_jT3_P12ihipStream_tbPNSt15iterator_traitsISE_E10value_typeEPNSK_ISF_E10value_typeEPSG_NS1_7vsmem_tEENKUlT_SE_SF_SG_E_clIS8_S8_S9_S9_EESD_ST_SE_SF_SG_EUlST_E0_NS1_11comp_targetILNS1_3genE5ELNS1_11target_archE942ELNS1_3gpuE9ELNS1_3repE0EEENS1_38merge_mergepath_config_static_selectorELNS0_4arch9wavefront6targetE1EEEvSF_
	.globl	_ZN7rocprim17ROCPRIM_400000_NS6detail17trampoline_kernelINS0_14default_configENS1_38merge_sort_block_merge_config_selectorIcNS0_10empty_typeEEEZZNS1_27merge_sort_block_merge_implIS3_PcPS5_jNS1_19radix_merge_compareILb1ELb1EcNS0_19identity_decomposerEEEEE10hipError_tT0_T1_T2_jT3_P12ihipStream_tbPNSt15iterator_traitsISE_E10value_typeEPNSK_ISF_E10value_typeEPSG_NS1_7vsmem_tEENKUlT_SE_SF_SG_E_clIS8_S8_S9_S9_EESD_ST_SE_SF_SG_EUlST_E0_NS1_11comp_targetILNS1_3genE5ELNS1_11target_archE942ELNS1_3gpuE9ELNS1_3repE0EEENS1_38merge_mergepath_config_static_selectorELNS0_4arch9wavefront6targetE1EEEvSF_
	.p2align	8
	.type	_ZN7rocprim17ROCPRIM_400000_NS6detail17trampoline_kernelINS0_14default_configENS1_38merge_sort_block_merge_config_selectorIcNS0_10empty_typeEEEZZNS1_27merge_sort_block_merge_implIS3_PcPS5_jNS1_19radix_merge_compareILb1ELb1EcNS0_19identity_decomposerEEEEE10hipError_tT0_T1_T2_jT3_P12ihipStream_tbPNSt15iterator_traitsISE_E10value_typeEPNSK_ISF_E10value_typeEPSG_NS1_7vsmem_tEENKUlT_SE_SF_SG_E_clIS8_S8_S9_S9_EESD_ST_SE_SF_SG_EUlST_E0_NS1_11comp_targetILNS1_3genE5ELNS1_11target_archE942ELNS1_3gpuE9ELNS1_3repE0EEENS1_38merge_mergepath_config_static_selectorELNS0_4arch9wavefront6targetE1EEEvSF_,@function
_ZN7rocprim17ROCPRIM_400000_NS6detail17trampoline_kernelINS0_14default_configENS1_38merge_sort_block_merge_config_selectorIcNS0_10empty_typeEEEZZNS1_27merge_sort_block_merge_implIS3_PcPS5_jNS1_19radix_merge_compareILb1ELb1EcNS0_19identity_decomposerEEEEE10hipError_tT0_T1_T2_jT3_P12ihipStream_tbPNSt15iterator_traitsISE_E10value_typeEPNSK_ISF_E10value_typeEPSG_NS1_7vsmem_tEENKUlT_SE_SF_SG_E_clIS8_S8_S9_S9_EESD_ST_SE_SF_SG_EUlST_E0_NS1_11comp_targetILNS1_3genE5ELNS1_11target_archE942ELNS1_3gpuE9ELNS1_3repE0EEENS1_38merge_mergepath_config_static_selectorELNS0_4arch9wavefront6targetE1EEEvSF_: ; @_ZN7rocprim17ROCPRIM_400000_NS6detail17trampoline_kernelINS0_14default_configENS1_38merge_sort_block_merge_config_selectorIcNS0_10empty_typeEEEZZNS1_27merge_sort_block_merge_implIS3_PcPS5_jNS1_19radix_merge_compareILb1ELb1EcNS0_19identity_decomposerEEEEE10hipError_tT0_T1_T2_jT3_P12ihipStream_tbPNSt15iterator_traitsISE_E10value_typeEPNSK_ISF_E10value_typeEPSG_NS1_7vsmem_tEENKUlT_SE_SF_SG_E_clIS8_S8_S9_S9_EESD_ST_SE_SF_SG_EUlST_E0_NS1_11comp_targetILNS1_3genE5ELNS1_11target_archE942ELNS1_3gpuE9ELNS1_3repE0EEENS1_38merge_mergepath_config_static_selectorELNS0_4arch9wavefront6targetE1EEEvSF_
; %bb.0:
	.section	.rodata,"a",@progbits
	.p2align	6, 0x0
	.amdhsa_kernel _ZN7rocprim17ROCPRIM_400000_NS6detail17trampoline_kernelINS0_14default_configENS1_38merge_sort_block_merge_config_selectorIcNS0_10empty_typeEEEZZNS1_27merge_sort_block_merge_implIS3_PcPS5_jNS1_19radix_merge_compareILb1ELb1EcNS0_19identity_decomposerEEEEE10hipError_tT0_T1_T2_jT3_P12ihipStream_tbPNSt15iterator_traitsISE_E10value_typeEPNSK_ISF_E10value_typeEPSG_NS1_7vsmem_tEENKUlT_SE_SF_SG_E_clIS8_S8_S9_S9_EESD_ST_SE_SF_SG_EUlST_E0_NS1_11comp_targetILNS1_3genE5ELNS1_11target_archE942ELNS1_3gpuE9ELNS1_3repE0EEENS1_38merge_mergepath_config_static_selectorELNS0_4arch9wavefront6targetE1EEEvSF_
		.amdhsa_group_segment_fixed_size 0
		.amdhsa_private_segment_fixed_size 0
		.amdhsa_kernarg_size 64
		.amdhsa_user_sgpr_count 6
		.amdhsa_user_sgpr_private_segment_buffer 1
		.amdhsa_user_sgpr_dispatch_ptr 0
		.amdhsa_user_sgpr_queue_ptr 0
		.amdhsa_user_sgpr_kernarg_segment_ptr 1
		.amdhsa_user_sgpr_dispatch_id 0
		.amdhsa_user_sgpr_flat_scratch_init 0
		.amdhsa_user_sgpr_kernarg_preload_length 0
		.amdhsa_user_sgpr_kernarg_preload_offset 0
		.amdhsa_user_sgpr_private_segment_size 0
		.amdhsa_uses_dynamic_stack 0
		.amdhsa_system_sgpr_private_segment_wavefront_offset 0
		.amdhsa_system_sgpr_workgroup_id_x 1
		.amdhsa_system_sgpr_workgroup_id_y 0
		.amdhsa_system_sgpr_workgroup_id_z 0
		.amdhsa_system_sgpr_workgroup_info 0
		.amdhsa_system_vgpr_workitem_id 0
		.amdhsa_next_free_vgpr 1
		.amdhsa_next_free_sgpr 0
		.amdhsa_accum_offset 4
		.amdhsa_reserve_vcc 0
		.amdhsa_reserve_flat_scratch 0
		.amdhsa_float_round_mode_32 0
		.amdhsa_float_round_mode_16_64 0
		.amdhsa_float_denorm_mode_32 3
		.amdhsa_float_denorm_mode_16_64 3
		.amdhsa_dx10_clamp 1
		.amdhsa_ieee_mode 1
		.amdhsa_fp16_overflow 0
		.amdhsa_tg_split 0
		.amdhsa_exception_fp_ieee_invalid_op 0
		.amdhsa_exception_fp_denorm_src 0
		.amdhsa_exception_fp_ieee_div_zero 0
		.amdhsa_exception_fp_ieee_overflow 0
		.amdhsa_exception_fp_ieee_underflow 0
		.amdhsa_exception_fp_ieee_inexact 0
		.amdhsa_exception_int_div_zero 0
	.end_amdhsa_kernel
	.section	.text._ZN7rocprim17ROCPRIM_400000_NS6detail17trampoline_kernelINS0_14default_configENS1_38merge_sort_block_merge_config_selectorIcNS0_10empty_typeEEEZZNS1_27merge_sort_block_merge_implIS3_PcPS5_jNS1_19radix_merge_compareILb1ELb1EcNS0_19identity_decomposerEEEEE10hipError_tT0_T1_T2_jT3_P12ihipStream_tbPNSt15iterator_traitsISE_E10value_typeEPNSK_ISF_E10value_typeEPSG_NS1_7vsmem_tEENKUlT_SE_SF_SG_E_clIS8_S8_S9_S9_EESD_ST_SE_SF_SG_EUlST_E0_NS1_11comp_targetILNS1_3genE5ELNS1_11target_archE942ELNS1_3gpuE9ELNS1_3repE0EEENS1_38merge_mergepath_config_static_selectorELNS0_4arch9wavefront6targetE1EEEvSF_,"axG",@progbits,_ZN7rocprim17ROCPRIM_400000_NS6detail17trampoline_kernelINS0_14default_configENS1_38merge_sort_block_merge_config_selectorIcNS0_10empty_typeEEEZZNS1_27merge_sort_block_merge_implIS3_PcPS5_jNS1_19radix_merge_compareILb1ELb1EcNS0_19identity_decomposerEEEEE10hipError_tT0_T1_T2_jT3_P12ihipStream_tbPNSt15iterator_traitsISE_E10value_typeEPNSK_ISF_E10value_typeEPSG_NS1_7vsmem_tEENKUlT_SE_SF_SG_E_clIS8_S8_S9_S9_EESD_ST_SE_SF_SG_EUlST_E0_NS1_11comp_targetILNS1_3genE5ELNS1_11target_archE942ELNS1_3gpuE9ELNS1_3repE0EEENS1_38merge_mergepath_config_static_selectorELNS0_4arch9wavefront6targetE1EEEvSF_,comdat
.Lfunc_end1515:
	.size	_ZN7rocprim17ROCPRIM_400000_NS6detail17trampoline_kernelINS0_14default_configENS1_38merge_sort_block_merge_config_selectorIcNS0_10empty_typeEEEZZNS1_27merge_sort_block_merge_implIS3_PcPS5_jNS1_19radix_merge_compareILb1ELb1EcNS0_19identity_decomposerEEEEE10hipError_tT0_T1_T2_jT3_P12ihipStream_tbPNSt15iterator_traitsISE_E10value_typeEPNSK_ISF_E10value_typeEPSG_NS1_7vsmem_tEENKUlT_SE_SF_SG_E_clIS8_S8_S9_S9_EESD_ST_SE_SF_SG_EUlST_E0_NS1_11comp_targetILNS1_3genE5ELNS1_11target_archE942ELNS1_3gpuE9ELNS1_3repE0EEENS1_38merge_mergepath_config_static_selectorELNS0_4arch9wavefront6targetE1EEEvSF_, .Lfunc_end1515-_ZN7rocprim17ROCPRIM_400000_NS6detail17trampoline_kernelINS0_14default_configENS1_38merge_sort_block_merge_config_selectorIcNS0_10empty_typeEEEZZNS1_27merge_sort_block_merge_implIS3_PcPS5_jNS1_19radix_merge_compareILb1ELb1EcNS0_19identity_decomposerEEEEE10hipError_tT0_T1_T2_jT3_P12ihipStream_tbPNSt15iterator_traitsISE_E10value_typeEPNSK_ISF_E10value_typeEPSG_NS1_7vsmem_tEENKUlT_SE_SF_SG_E_clIS8_S8_S9_S9_EESD_ST_SE_SF_SG_EUlST_E0_NS1_11comp_targetILNS1_3genE5ELNS1_11target_archE942ELNS1_3gpuE9ELNS1_3repE0EEENS1_38merge_mergepath_config_static_selectorELNS0_4arch9wavefront6targetE1EEEvSF_
                                        ; -- End function
	.section	.AMDGPU.csdata,"",@progbits
; Kernel info:
; codeLenInByte = 0
; NumSgprs: 4
; NumVgprs: 0
; NumAgprs: 0
; TotalNumVgprs: 0
; ScratchSize: 0
; MemoryBound: 0
; FloatMode: 240
; IeeeMode: 1
; LDSByteSize: 0 bytes/workgroup (compile time only)
; SGPRBlocks: 0
; VGPRBlocks: 0
; NumSGPRsForWavesPerEU: 4
; NumVGPRsForWavesPerEU: 1
; AccumOffset: 4
; Occupancy: 8
; WaveLimiterHint : 0
; COMPUTE_PGM_RSRC2:SCRATCH_EN: 0
; COMPUTE_PGM_RSRC2:USER_SGPR: 6
; COMPUTE_PGM_RSRC2:TRAP_HANDLER: 0
; COMPUTE_PGM_RSRC2:TGID_X_EN: 1
; COMPUTE_PGM_RSRC2:TGID_Y_EN: 0
; COMPUTE_PGM_RSRC2:TGID_Z_EN: 0
; COMPUTE_PGM_RSRC2:TIDIG_COMP_CNT: 0
; COMPUTE_PGM_RSRC3_GFX90A:ACCUM_OFFSET: 0
; COMPUTE_PGM_RSRC3_GFX90A:TG_SPLIT: 0
	.section	.text._ZN7rocprim17ROCPRIM_400000_NS6detail17trampoline_kernelINS0_14default_configENS1_38merge_sort_block_merge_config_selectorIcNS0_10empty_typeEEEZZNS1_27merge_sort_block_merge_implIS3_PcPS5_jNS1_19radix_merge_compareILb1ELb1EcNS0_19identity_decomposerEEEEE10hipError_tT0_T1_T2_jT3_P12ihipStream_tbPNSt15iterator_traitsISE_E10value_typeEPNSK_ISF_E10value_typeEPSG_NS1_7vsmem_tEENKUlT_SE_SF_SG_E_clIS8_S8_S9_S9_EESD_ST_SE_SF_SG_EUlST_E0_NS1_11comp_targetILNS1_3genE4ELNS1_11target_archE910ELNS1_3gpuE8ELNS1_3repE0EEENS1_38merge_mergepath_config_static_selectorELNS0_4arch9wavefront6targetE1EEEvSF_,"axG",@progbits,_ZN7rocprim17ROCPRIM_400000_NS6detail17trampoline_kernelINS0_14default_configENS1_38merge_sort_block_merge_config_selectorIcNS0_10empty_typeEEEZZNS1_27merge_sort_block_merge_implIS3_PcPS5_jNS1_19radix_merge_compareILb1ELb1EcNS0_19identity_decomposerEEEEE10hipError_tT0_T1_T2_jT3_P12ihipStream_tbPNSt15iterator_traitsISE_E10value_typeEPNSK_ISF_E10value_typeEPSG_NS1_7vsmem_tEENKUlT_SE_SF_SG_E_clIS8_S8_S9_S9_EESD_ST_SE_SF_SG_EUlST_E0_NS1_11comp_targetILNS1_3genE4ELNS1_11target_archE910ELNS1_3gpuE8ELNS1_3repE0EEENS1_38merge_mergepath_config_static_selectorELNS0_4arch9wavefront6targetE1EEEvSF_,comdat
	.protected	_ZN7rocprim17ROCPRIM_400000_NS6detail17trampoline_kernelINS0_14default_configENS1_38merge_sort_block_merge_config_selectorIcNS0_10empty_typeEEEZZNS1_27merge_sort_block_merge_implIS3_PcPS5_jNS1_19radix_merge_compareILb1ELb1EcNS0_19identity_decomposerEEEEE10hipError_tT0_T1_T2_jT3_P12ihipStream_tbPNSt15iterator_traitsISE_E10value_typeEPNSK_ISF_E10value_typeEPSG_NS1_7vsmem_tEENKUlT_SE_SF_SG_E_clIS8_S8_S9_S9_EESD_ST_SE_SF_SG_EUlST_E0_NS1_11comp_targetILNS1_3genE4ELNS1_11target_archE910ELNS1_3gpuE8ELNS1_3repE0EEENS1_38merge_mergepath_config_static_selectorELNS0_4arch9wavefront6targetE1EEEvSF_ ; -- Begin function _ZN7rocprim17ROCPRIM_400000_NS6detail17trampoline_kernelINS0_14default_configENS1_38merge_sort_block_merge_config_selectorIcNS0_10empty_typeEEEZZNS1_27merge_sort_block_merge_implIS3_PcPS5_jNS1_19radix_merge_compareILb1ELb1EcNS0_19identity_decomposerEEEEE10hipError_tT0_T1_T2_jT3_P12ihipStream_tbPNSt15iterator_traitsISE_E10value_typeEPNSK_ISF_E10value_typeEPSG_NS1_7vsmem_tEENKUlT_SE_SF_SG_E_clIS8_S8_S9_S9_EESD_ST_SE_SF_SG_EUlST_E0_NS1_11comp_targetILNS1_3genE4ELNS1_11target_archE910ELNS1_3gpuE8ELNS1_3repE0EEENS1_38merge_mergepath_config_static_selectorELNS0_4arch9wavefront6targetE1EEEvSF_
	.globl	_ZN7rocprim17ROCPRIM_400000_NS6detail17trampoline_kernelINS0_14default_configENS1_38merge_sort_block_merge_config_selectorIcNS0_10empty_typeEEEZZNS1_27merge_sort_block_merge_implIS3_PcPS5_jNS1_19radix_merge_compareILb1ELb1EcNS0_19identity_decomposerEEEEE10hipError_tT0_T1_T2_jT3_P12ihipStream_tbPNSt15iterator_traitsISE_E10value_typeEPNSK_ISF_E10value_typeEPSG_NS1_7vsmem_tEENKUlT_SE_SF_SG_E_clIS8_S8_S9_S9_EESD_ST_SE_SF_SG_EUlST_E0_NS1_11comp_targetILNS1_3genE4ELNS1_11target_archE910ELNS1_3gpuE8ELNS1_3repE0EEENS1_38merge_mergepath_config_static_selectorELNS0_4arch9wavefront6targetE1EEEvSF_
	.p2align	8
	.type	_ZN7rocprim17ROCPRIM_400000_NS6detail17trampoline_kernelINS0_14default_configENS1_38merge_sort_block_merge_config_selectorIcNS0_10empty_typeEEEZZNS1_27merge_sort_block_merge_implIS3_PcPS5_jNS1_19radix_merge_compareILb1ELb1EcNS0_19identity_decomposerEEEEE10hipError_tT0_T1_T2_jT3_P12ihipStream_tbPNSt15iterator_traitsISE_E10value_typeEPNSK_ISF_E10value_typeEPSG_NS1_7vsmem_tEENKUlT_SE_SF_SG_E_clIS8_S8_S9_S9_EESD_ST_SE_SF_SG_EUlST_E0_NS1_11comp_targetILNS1_3genE4ELNS1_11target_archE910ELNS1_3gpuE8ELNS1_3repE0EEENS1_38merge_mergepath_config_static_selectorELNS0_4arch9wavefront6targetE1EEEvSF_,@function
_ZN7rocprim17ROCPRIM_400000_NS6detail17trampoline_kernelINS0_14default_configENS1_38merge_sort_block_merge_config_selectorIcNS0_10empty_typeEEEZZNS1_27merge_sort_block_merge_implIS3_PcPS5_jNS1_19radix_merge_compareILb1ELb1EcNS0_19identity_decomposerEEEEE10hipError_tT0_T1_T2_jT3_P12ihipStream_tbPNSt15iterator_traitsISE_E10value_typeEPNSK_ISF_E10value_typeEPSG_NS1_7vsmem_tEENKUlT_SE_SF_SG_E_clIS8_S8_S9_S9_EESD_ST_SE_SF_SG_EUlST_E0_NS1_11comp_targetILNS1_3genE4ELNS1_11target_archE910ELNS1_3gpuE8ELNS1_3repE0EEENS1_38merge_mergepath_config_static_selectorELNS0_4arch9wavefront6targetE1EEEvSF_: ; @_ZN7rocprim17ROCPRIM_400000_NS6detail17trampoline_kernelINS0_14default_configENS1_38merge_sort_block_merge_config_selectorIcNS0_10empty_typeEEEZZNS1_27merge_sort_block_merge_implIS3_PcPS5_jNS1_19radix_merge_compareILb1ELb1EcNS0_19identity_decomposerEEEEE10hipError_tT0_T1_T2_jT3_P12ihipStream_tbPNSt15iterator_traitsISE_E10value_typeEPNSK_ISF_E10value_typeEPSG_NS1_7vsmem_tEENKUlT_SE_SF_SG_E_clIS8_S8_S9_S9_EESD_ST_SE_SF_SG_EUlST_E0_NS1_11comp_targetILNS1_3genE4ELNS1_11target_archE910ELNS1_3gpuE8ELNS1_3repE0EEENS1_38merge_mergepath_config_static_selectorELNS0_4arch9wavefront6targetE1EEEvSF_
; %bb.0:
	s_load_dwordx2 s[10:11], s[4:5], 0x40
	s_load_dword s1, s[4:5], 0x30
	s_add_u32 s2, s4, 64
	s_addc_u32 s3, s5, 0
	s_waitcnt lgkmcnt(0)
	s_mul_i32 s0, s11, s8
	s_add_i32 s0, s0, s7
	s_mul_i32 s0, s0, s10
	s_add_i32 s0, s0, s6
	s_cmp_ge_u32 s0, s1
	s_cbranch_scc1 .LBB1516_51
; %bb.1:
	s_load_dwordx2 s[12:13], s[4:5], 0x28
	s_load_dwordx2 s[8:9], s[4:5], 0x38
	;; [unrolled: 1-line block ×3, first 2 shown]
	s_mov_b32 s1, 0
	v_mov_b32_e32 v1, 0
	s_waitcnt lgkmcnt(0)
	s_lshr_b32 s21, s12, 10
	s_cmp_lg_u32 s0, s21
	s_cselect_b64 s[14:15], -1, 0
	s_lshl_b64 s[18:19], s[0:1], 2
	s_add_u32 s8, s8, s18
	s_addc_u32 s9, s9, s19
	s_lshr_b32 s1, s13, 9
	s_and_b32 s1, s1, 0x7ffffe
	s_load_dwordx2 s[8:9], s[8:9], 0x0
	s_sub_i32 s1, 0, s1
	s_and_b32 s7, s0, s1
	s_lshl_b32 s11, s7, 10
	s_lshl_b32 s20, s0, 10
	;; [unrolled: 1-line block ×3, first 2 shown]
	s_sub_i32 s18, s20, s11
	s_add_i32 s7, s7, s13
	s_add_i32 s18, s7, s18
	s_waitcnt lgkmcnt(0)
	s_sub_i32 s19, s18, s8
	s_sub_i32 s18, s18, s9
	;; [unrolled: 1-line block ×3, first 2 shown]
	s_min_u32 s19, s12, s19
	s_addk_i32 s18, 0x400
	s_or_b32 s1, s0, s1
	s_min_u32 s11, s12, s7
	s_add_i32 s7, s7, s13
	s_cmp_eq_u32 s1, -1
	s_cselect_b32 s1, s7, s18
	s_cselect_b32 s7, s11, s9
	s_min_u32 s1, s1, s12
	s_sub_i32 s13, s7, s8
	s_sub_i32 s7, s1, s19
	s_add_u32 s11, s16, s8
	s_addc_u32 s18, s17, 0
	s_add_u32 s8, s16, s19
	s_addc_u32 s9, s17, 0
	s_cmp_lt_u32 s6, s10
	s_cselect_b32 s1, 12, 18
	global_load_dword v2, v1, s[2:3] offset:14
	s_add_u32 s2, s2, s1
	s_addc_u32 s3, s3, 0
	global_load_ushort v1, v1, s[2:3]
	s_cmp_eq_u32 s0, s21
	s_waitcnt vmcnt(1)
	v_lshrrev_b32_e32 v3, 16, v2
	v_and_b32_e32 v2, 0xffff, v2
	v_mul_lo_u32 v2, v2, v3
	s_waitcnt vmcnt(0)
	v_mul_lo_u32 v4, v2, v1
	v_add_u32_e32 v10, v4, v0
	v_add_u32_e32 v9, v10, v4
	s_cbranch_scc1 .LBB1516_3
; %bb.2:
	v_mov_b32_e32 v1, s18
	v_add_co_u32_e32 v2, vcc, s11, v0
	v_addc_co_u32_e32 v1, vcc, 0, v1, vcc
	v_subrev_u32_e32 v3, s13, v0
	v_mov_b32_e32 v5, s9
	v_add_co_u32_e32 v3, vcc, s8, v3
	v_addc_co_u32_e32 v5, vcc, 0, v5, vcc
	v_cmp_gt_u32_e32 vcc, s13, v0
	v_cndmask_b32_e32 v13, v5, v1, vcc
	v_cndmask_b32_e32 v12, v3, v2, vcc
	v_mov_b32_e32 v1, s18
	v_add_co_u32_e32 v2, vcc, s11, v10
	v_addc_co_u32_e32 v1, vcc, 0, v1, vcc
	v_subrev_u32_e32 v3, s13, v10
	v_mov_b32_e32 v5, s9
	v_add_co_u32_e32 v3, vcc, s8, v3
	v_addc_co_u32_e32 v5, vcc, 0, v5, vcc
	v_cmp_gt_u32_e32 vcc, s13, v10
	v_cndmask_b32_e32 v15, v5, v1, vcc
	v_cndmask_b32_e32 v14, v3, v2, vcc
	v_mov_b32_e32 v1, s18
	v_add_co_u32_e32 v2, vcc, s11, v9
	v_addc_co_u32_e32 v1, vcc, 0, v1, vcc
	v_subrev_u32_e32 v3, s13, v9
	v_mov_b32_e32 v5, s9
	v_add_co_u32_e32 v3, vcc, s8, v3
	v_addc_co_u32_e32 v5, vcc, 0, v5, vcc
	v_cmp_gt_u32_e32 vcc, s13, v9
	v_cndmask_b32_e32 v17, v5, v1, vcc
	v_add_u32_e32 v1, v9, v4
	v_cndmask_b32_e32 v16, v3, v2, vcc
	v_mov_b32_e32 v2, s18
	v_add_co_u32_e32 v3, vcc, s11, v1
	v_addc_co_u32_e32 v2, vcc, 0, v2, vcc
	v_subrev_u32_e32 v5, s13, v1
	v_mov_b32_e32 v6, s9
	v_add_co_u32_e32 v5, vcc, s8, v5
	v_addc_co_u32_e32 v6, vcc, 0, v6, vcc
	v_cmp_gt_u32_e32 vcc, s13, v1
	v_add_u32_e32 v1, v1, v4
	v_cndmask_b32_e32 v19, v6, v2, vcc
	v_cndmask_b32_e32 v18, v5, v3, vcc
	v_mov_b32_e32 v2, s18
	v_add_co_u32_e32 v3, vcc, s11, v1
	v_addc_co_u32_e32 v2, vcc, 0, v2, vcc
	v_subrev_u32_e32 v5, s13, v1
	v_mov_b32_e32 v6, s9
	v_add_co_u32_e32 v5, vcc, s8, v5
	v_addc_co_u32_e32 v6, vcc, 0, v6, vcc
	v_cmp_gt_u32_e32 vcc, s13, v1
	v_add_u32_e32 v1, v1, v4
	v_cndmask_b32_e32 v21, v6, v2, vcc
	;; [unrolled: 11-line block ×4, first 2 shown]
	v_cndmask_b32_e32 v24, v5, v3, vcc
	v_mov_b32_e32 v2, s18
	v_add_co_u32_e32 v3, vcc, s11, v1
	v_addc_co_u32_e32 v2, vcc, 0, v2, vcc
	v_subrev_u32_e32 v5, s13, v1
	v_mov_b32_e32 v6, s9
	v_add_co_u32_e32 v5, vcc, s8, v5
	v_addc_co_u32_e32 v6, vcc, 0, v6, vcc
	v_cmp_gt_u32_e32 vcc, s13, v1
	v_cndmask_b32_e32 v27, v6, v2, vcc
	v_cndmask_b32_e32 v26, v5, v3, vcc
	global_load_ubyte v1, v[12:13], off
	global_load_ubyte v2, v[14:15], off
	;; [unrolled: 1-line block ×8, first 2 shown]
	s_add_i32 s21, s7, s13
	s_load_dwordx2 s[16:17], s[4:5], 0x10
	s_cbranch_execz .LBB1516_4
	s_branch .LBB1516_21
.LBB1516_3:
                                        ; implicit-def: $vgpr1
                                        ; implicit-def: $vgpr2
                                        ; implicit-def: $vgpr3
                                        ; implicit-def: $vgpr5
                                        ; implicit-def: $vgpr6
                                        ; implicit-def: $vgpr7
                                        ; implicit-def: $vgpr8
                                        ; implicit-def: $vgpr11
                                        ; implicit-def: $sgpr21
	s_load_dwordx2 s[16:17], s[4:5], 0x10
.LBB1516_4:
	s_add_i32 s21, s7, s13
	v_cmp_gt_u32_e32 vcc, s21, v0
                                        ; implicit-def: $vgpr1
	s_and_saveexec_b64 s[0:1], vcc
	s_cbranch_execz .LBB1516_6
; %bb.5:
	s_waitcnt vmcnt(7)
	v_mov_b32_e32 v1, s18
	s_waitcnt vmcnt(6)
	v_add_co_u32_e32 v2, vcc, s11, v0
	v_addc_co_u32_e32 v1, vcc, 0, v1, vcc
	s_waitcnt vmcnt(5)
	v_subrev_u32_e32 v3, s13, v0
	s_waitcnt vmcnt(4)
	v_mov_b32_e32 v5, s9
	s_waitcnt vmcnt(3)
	v_add_co_u32_e32 v6, vcc, s8, v3
	v_addc_co_u32_e32 v3, vcc, 0, v5, vcc
	v_cmp_gt_u32_e32 vcc, s13, v0
	v_cndmask_b32_e32 v3, v3, v1, vcc
	v_cndmask_b32_e32 v2, v6, v2, vcc
	global_load_ubyte v1, v[2:3], off
.LBB1516_6:
	s_or_b64 exec, exec, s[0:1]
	v_cmp_gt_u32_e32 vcc, s21, v10
                                        ; implicit-def: $vgpr2
	s_and_saveexec_b64 s[0:1], vcc
	s_cbranch_execz .LBB1516_8
; %bb.7:
	s_waitcnt vmcnt(6)
	v_mov_b32_e32 v2, s18
	s_waitcnt vmcnt(4)
	v_add_co_u32_e32 v5, vcc, s11, v10
	v_addc_co_u32_e32 v2, vcc, 0, v2, vcc
	v_subrev_u32_e32 v3, s13, v10
	s_waitcnt vmcnt(3)
	v_mov_b32_e32 v6, s9
	s_waitcnt vmcnt(2)
	v_add_co_u32_e32 v7, vcc, s8, v3
	v_addc_co_u32_e32 v3, vcc, 0, v6, vcc
	v_cmp_gt_u32_e32 vcc, s13, v10
	v_cndmask_b32_e32 v3, v3, v2, vcc
	v_cndmask_b32_e32 v2, v7, v5, vcc
	global_load_ubyte v2, v[2:3], off
.LBB1516_8:
	s_or_b64 exec, exec, s[0:1]
	v_cmp_gt_u32_e32 vcc, s21, v9
                                        ; implicit-def: $vgpr3
	s_and_saveexec_b64 s[0:1], vcc
	s_cbranch_execz .LBB1516_10
; %bb.9:
	s_waitcnt vmcnt(5)
	v_mov_b32_e32 v3, s18
	s_waitcnt vmcnt(4)
	v_add_co_u32_e32 v5, vcc, s11, v9
	v_addc_co_u32_e32 v3, vcc, 0, v3, vcc
	s_waitcnt vmcnt(3)
	v_subrev_u32_e32 v6, s13, v9
	s_waitcnt vmcnt(2)
	v_mov_b32_e32 v7, s9
	v_add_co_u32_e32 v6, vcc, s8, v6
	v_addc_co_u32_e32 v7, vcc, 0, v7, vcc
	v_cmp_gt_u32_e32 vcc, s13, v9
	v_cndmask_b32_e32 v7, v7, v3, vcc
	v_cndmask_b32_e32 v6, v6, v5, vcc
	global_load_ubyte v3, v[6:7], off
.LBB1516_10:
	s_or_b64 exec, exec, s[0:1]
	s_waitcnt vmcnt(3)
	v_add_u32_e32 v6, v9, v4
	v_cmp_gt_u32_e32 vcc, s21, v6
                                        ; implicit-def: $vgpr5
	s_and_saveexec_b64 s[0:1], vcc
	s_cbranch_execz .LBB1516_12
; %bb.11:
	v_mov_b32_e32 v5, s18
	s_waitcnt vmcnt(2)
	v_add_co_u32_e32 v7, vcc, s11, v6
	v_addc_co_u32_e32 v5, vcc, 0, v5, vcc
	s_waitcnt vmcnt(1)
	v_subrev_u32_e32 v8, s13, v6
	v_mov_b32_e32 v9, s9
	v_add_co_u32_e32 v8, vcc, s8, v8
	v_addc_co_u32_e32 v9, vcc, 0, v9, vcc
	v_cmp_gt_u32_e32 vcc, s13, v6
	v_cndmask_b32_e32 v9, v9, v5, vcc
	v_cndmask_b32_e32 v8, v8, v7, vcc
	global_load_ubyte v5, v[8:9], off
.LBB1516_12:
	s_or_b64 exec, exec, s[0:1]
	s_waitcnt vmcnt(2)
	v_add_u32_e32 v7, v6, v4
	v_cmp_gt_u32_e32 vcc, s21, v7
                                        ; implicit-def: $vgpr6
	s_and_saveexec_b64 s[0:1], vcc
	s_cbranch_execz .LBB1516_14
; %bb.13:
	v_mov_b32_e32 v6, s18
	s_waitcnt vmcnt(1)
	v_add_co_u32_e32 v8, vcc, s11, v7
	v_addc_co_u32_e32 v6, vcc, 0, v6, vcc
	v_subrev_u32_e32 v9, s13, v7
	v_mov_b32_e32 v10, s9
	s_waitcnt vmcnt(0)
	v_add_co_u32_e32 v11, vcc, s8, v9
	v_addc_co_u32_e32 v9, vcc, 0, v10, vcc
	v_cmp_gt_u32_e32 vcc, s13, v7
	v_cndmask_b32_e32 v9, v9, v6, vcc
	v_cndmask_b32_e32 v8, v11, v8, vcc
	global_load_ubyte v6, v[8:9], off
.LBB1516_14:
	s_or_b64 exec, exec, s[0:1]
	s_waitcnt vmcnt(1)
	v_add_u32_e32 v8, v7, v4
	v_cmp_gt_u32_e32 vcc, s21, v8
                                        ; implicit-def: $vgpr7
	s_and_saveexec_b64 s[0:1], vcc
	s_cbranch_execz .LBB1516_16
; %bb.15:
	v_mov_b32_e32 v7, s18
	v_add_co_u32_e32 v9, vcc, s11, v8
	v_addc_co_u32_e32 v7, vcc, 0, v7, vcc
	v_subrev_u32_e32 v10, s13, v8
	s_waitcnt vmcnt(0)
	v_mov_b32_e32 v11, s9
	v_add_co_u32_e32 v10, vcc, s8, v10
	v_addc_co_u32_e32 v11, vcc, 0, v11, vcc
	v_cmp_gt_u32_e32 vcc, s13, v8
	v_cndmask_b32_e32 v11, v11, v7, vcc
	v_cndmask_b32_e32 v10, v10, v9, vcc
	global_load_ubyte v7, v[10:11], off
.LBB1516_16:
	s_or_b64 exec, exec, s[0:1]
	v_add_u32_e32 v9, v8, v4
	v_cmp_gt_u32_e32 vcc, s21, v9
                                        ; implicit-def: $vgpr8
	s_and_saveexec_b64 s[0:1], vcc
	s_cbranch_execz .LBB1516_18
; %bb.17:
	v_mov_b32_e32 v8, s18
	v_add_co_u32_e32 v10, vcc, s11, v9
	v_addc_co_u32_e32 v8, vcc, 0, v8, vcc
	s_waitcnt vmcnt(0)
	v_subrev_u32_e32 v11, s13, v9
	v_mov_b32_e32 v12, s9
	v_add_co_u32_e32 v13, vcc, s8, v11
	v_addc_co_u32_e32 v11, vcc, 0, v12, vcc
	v_cmp_gt_u32_e32 vcc, s13, v9
	v_cndmask_b32_e32 v11, v11, v8, vcc
	v_cndmask_b32_e32 v10, v13, v10, vcc
	global_load_ubyte v8, v[10:11], off
.LBB1516_18:
	s_or_b64 exec, exec, s[0:1]
	v_add_u32_e32 v4, v9, v4
	v_cmp_gt_u32_e32 vcc, s21, v4
                                        ; implicit-def: $vgpr11
	s_and_saveexec_b64 s[0:1], vcc
	s_cbranch_execz .LBB1516_20
; %bb.19:
	v_mov_b32_e32 v9, s18
	v_add_co_u32_e32 v10, vcc, s11, v4
	v_addc_co_u32_e32 v9, vcc, 0, v9, vcc
	s_waitcnt vmcnt(0)
	v_subrev_u32_e32 v11, s13, v4
	v_mov_b32_e32 v12, s9
	v_add_co_u32_e32 v13, vcc, s8, v11
	v_addc_co_u32_e32 v11, vcc, 0, v12, vcc
	v_cmp_gt_u32_e32 vcc, s13, v4
	v_cndmask_b32_e32 v11, v11, v9, vcc
	v_cndmask_b32_e32 v10, v13, v10, vcc
	global_load_ubyte v11, v[10:11], off
.LBB1516_20:
	s_or_b64 exec, exec, s[0:1]
.LBB1516_21:
	s_load_dword s22, s[4:5], 0x34
	v_lshlrev_b32_e32 v4, 3, v0
	v_min_u32_e32 v10, s21, v4
	v_sub_u32_e64 v9, v10, s7 clamp
	v_min_u32_e32 v12, s13, v10
	v_cmp_lt_u32_e32 vcc, v9, v12
	s_waitcnt vmcnt(0)
	ds_write_b8 v0, v1
	ds_write_b8 v0, v2 offset:128
	ds_write_b8 v0, v3 offset:256
	;; [unrolled: 1-line block ×7, first 2 shown]
	s_waitcnt lgkmcnt(0)
	s_barrier
	s_and_saveexec_b64 s[0:1], vcc
	s_cbranch_execz .LBB1516_25
; %bb.22:
	v_add_u32_e32 v13, s13, v10
	s_mov_b64 s[2:3], 0
.LBB1516_23:                            ; =>This Inner Loop Header: Depth=1
	v_add_u32_e32 v14, v12, v9
	v_lshrrev_b32_e32 v14, 1, v14
	v_xad_u32 v15, v14, -1, v13
	ds_read_u8 v16, v14
	ds_read_u8 v15, v15
	v_add_u32_e32 v17, 1, v14
	s_waitcnt lgkmcnt(1)
	v_and_b32_e32 v16, s22, v16
	s_waitcnt lgkmcnt(0)
	v_and_b32_e32 v15, s22, v15
	v_cmp_gt_i16_sdwa vcc, sext(v15), sext(v16) src0_sel:BYTE_0 src1_sel:BYTE_0
	v_cndmask_b32_e32 v12, v12, v14, vcc
	v_cndmask_b32_e32 v9, v17, v9, vcc
	v_cmp_ge_u32_e32 vcc, v9, v12
	s_or_b64 s[2:3], vcc, s[2:3]
	s_andn2_b64 exec, exec, s[2:3]
	s_cbranch_execnz .LBB1516_23
; %bb.24:
	s_or_b64 exec, exec, s[2:3]
.LBB1516_25:
	s_or_b64 exec, exec, s[0:1]
	v_sub_u32_e32 v10, v10, v9
	v_add_u32_e32 v10, s13, v10
	v_cmp_ge_u32_e32 vcc, s13, v9
	v_cmp_ge_u32_e64 s[0:1], s21, v10
	s_or_b64 s[0:1], vcc, s[0:1]
	s_and_saveexec_b64 s[18:19], s[0:1]
	s_cbranch_execz .LBB1516_31
; %bb.26:
	v_cmp_gt_u32_e32 vcc, s13, v9
                                        ; implicit-def: $vgpr1
	s_and_saveexec_b64 s[0:1], vcc
	s_cbranch_execz .LBB1516_28
; %bb.27:
	ds_read_u8 v1, v9
.LBB1516_28:
	s_or_b64 exec, exec, s[0:1]
	v_cmp_le_u32_e64 s[0:1], s21, v10
	v_cmp_gt_u32_e64 s[2:3], s21, v10
                                        ; implicit-def: $vgpr2
	s_and_saveexec_b64 s[4:5], s[2:3]
	s_cbranch_execz .LBB1516_30
; %bb.29:
	ds_read_u8 v2, v10
.LBB1516_30:
	s_or_b64 exec, exec, s[4:5]
	s_waitcnt lgkmcnt(0)
	v_and_b32_e32 v3, s22, v2
	v_and_b32_e32 v5, s22, v1
	v_cmp_le_i16_sdwa s[2:3], sext(v3), sext(v5) src0_sel:BYTE_0 src1_sel:BYTE_0
	s_and_b64 s[2:3], vcc, s[2:3]
	s_or_b64 vcc, s[0:1], s[2:3]
	v_mov_b32_e32 v5, s21
	v_mov_b32_e32 v6, s13
	v_cndmask_b32_e32 v3, v10, v9, vcc
	v_cndmask_b32_e32 v7, v5, v6, vcc
	v_add_u32_e32 v3, 1, v3
	v_add_u32_e32 v7, -1, v7
	v_min_u32_e32 v7, v3, v7
	ds_read_u8 v7, v7
	v_cndmask_b32_e32 v10, v3, v10, vcc
	v_cndmask_b32_e32 v3, v9, v3, vcc
	v_cmp_gt_u32_e64 s[2:3], s13, v3
	v_cmp_le_u32_e64 s[0:1], s21, v10
	s_waitcnt lgkmcnt(0)
	v_cndmask_b32_e32 v8, v7, v2, vcc
	v_cndmask_b32_e32 v7, v1, v7, vcc
	v_and_b32_e32 v9, s22, v8
	v_and_b32_e32 v11, s22, v7
	v_cmp_le_i16_sdwa s[4:5], sext(v9), sext(v11) src0_sel:BYTE_0 src1_sel:BYTE_0
	s_and_b64 s[2:3], s[2:3], s[4:5]
	s_or_b64 s[0:1], s[0:1], s[2:3]
	v_cndmask_b32_e64 v9, v10, v3, s[0:1]
	v_cndmask_b32_e64 v11, v5, v6, s[0:1]
	v_add_u32_e32 v9, 1, v9
	v_add_u32_e32 v11, -1, v11
	v_min_u32_e32 v11, v9, v11
	ds_read_u8 v11, v11
	v_cndmask_b32_e64 v10, v9, v10, s[0:1]
	v_cndmask_b32_e64 v3, v3, v9, s[0:1]
	v_cmp_gt_u32_e64 s[4:5], s13, v3
	v_cmp_le_u32_e64 s[2:3], s21, v10
	s_waitcnt lgkmcnt(0)
	v_cndmask_b32_e64 v12, v11, v8, s[0:1]
	v_cndmask_b32_e64 v11, v7, v11, s[0:1]
	v_and_b32_e32 v9, s22, v12
	v_and_b32_e32 v13, s22, v11
	v_cmp_le_i16_sdwa s[6:7], sext(v9), sext(v13) src0_sel:BYTE_0 src1_sel:BYTE_0
	s_and_b64 s[4:5], s[4:5], s[6:7]
	s_or_b64 s[2:3], s[2:3], s[4:5]
	v_cndmask_b32_e64 v9, v10, v3, s[2:3]
	v_cndmask_b32_e64 v13, v5, v6, s[2:3]
	v_add_u32_e32 v9, 1, v9
	v_add_u32_e32 v13, -1, v13
	v_min_u32_e32 v13, v9, v13
	ds_read_u8 v13, v13
	v_cndmask_b32_e64 v10, v9, v10, s[2:3]
	v_cndmask_b32_e64 v3, v3, v9, s[2:3]
	v_cmp_gt_u32_e64 s[6:7], s13, v3
	v_cmp_le_u32_e64 s[4:5], s21, v10
	s_waitcnt lgkmcnt(0)
	v_cndmask_b32_e64 v14, v13, v12, s[2:3]
	v_cndmask_b32_e64 v13, v11, v13, s[2:3]
	;; [unrolled: 18-line block ×4, first 2 shown]
	v_and_b32_e32 v3, s22, v18
	v_and_b32_e32 v19, s22, v17
	v_cmp_le_i16_sdwa s[24:25], sext(v3), sext(v19) src0_sel:BYTE_0 src1_sel:BYTE_0
	s_and_b64 s[10:11], s[10:11], s[24:25]
	s_or_b64 s[8:9], s[8:9], s[10:11]
	v_cndmask_b32_e64 v3, v10, v9, s[8:9]
	v_cndmask_b32_e64 v19, v5, v6, s[8:9]
	v_add_u32_e32 v20, 1, v3
	v_add_u32_e32 v3, -1, v19
	v_min_u32_e32 v3, v20, v3
	ds_read_u8 v19, v3
	v_cndmask_b32_e64 v3, v12, v11, s[2:3]
	v_cndmask_b32_e32 v1, v2, v1, vcc
	v_cndmask_b32_e64 v2, v8, v7, s[0:1]
	v_cndmask_b32_e64 v9, v9, v20, s[8:9]
	s_waitcnt lgkmcnt(0)
	v_cndmask_b32_e64 v11, v19, v18, s[8:9]
	v_cndmask_b32_e64 v12, v17, v19, s[8:9]
	v_and_b32_e32 v7, s22, v11
	v_and_b32_e32 v8, s22, v12
	v_cndmask_b32_e64 v10, v20, v10, s[8:9]
	v_cmp_gt_u32_e64 s[0:1], s13, v9
	v_cmp_le_i16_sdwa s[2:3], sext(v7), sext(v8) src0_sel:BYTE_0 src1_sel:BYTE_0
	v_cmp_le_u32_e32 vcc, s21, v10
	s_and_b64 s[0:1], s[0:1], s[2:3]
	s_or_b64 vcc, vcc, s[0:1]
	v_cndmask_b32_e32 v7, v10, v9, vcc
	v_cndmask_b32_e32 v5, v5, v6, vcc
	v_add_u32_e32 v19, 1, v7
	v_add_u32_e32 v5, -1, v5
	v_min_u32_e32 v5, v19, v5
	ds_read_u8 v20, v5
	v_cndmask_b32_e32 v8, v11, v12, vcc
	v_cndmask_b32_e32 v10, v19, v10, vcc
	;; [unrolled: 1-line block ×3, first 2 shown]
	v_cmp_gt_u32_e64 s[0:1], s13, v9
	s_waitcnt lgkmcnt(0)
	v_cndmask_b32_e32 v11, v20, v11, vcc
	v_cndmask_b32_e32 v12, v12, v20, vcc
	v_cmp_le_u32_e32 vcc, s21, v10
	v_and_b32_e32 v9, s22, v11
	v_and_b32_e32 v10, s22, v12
	v_cmp_le_i16_sdwa s[2:3], sext(v9), sext(v10) src0_sel:BYTE_0 src1_sel:BYTE_0
	s_and_b64 s[0:1], s[0:1], s[2:3]
	s_or_b64 vcc, vcc, s[0:1]
	v_cndmask_b32_e64 v5, v14, v13, s[4:5]
	v_cndmask_b32_e64 v6, v16, v15, s[6:7]
	v_cndmask_b32_e64 v7, v18, v17, s[8:9]
	v_cndmask_b32_e32 v11, v11, v12, vcc
.LBB1516_31:
	s_or_b64 exec, exec, s[18:19]
	v_lshlrev_b16_e32 v7, 8, v7
	v_lshlrev_b16_e32 v2, 8, v2
	v_lshrrev_b32_e32 v9, 2, v0
	v_or_b32_sdwa v6, v6, v7 dst_sel:DWORD dst_unused:UNUSED_PAD src0_sel:BYTE_0 src1_sel:DWORD
	v_lshlrev_b16_e32 v7, 8, v11
	v_or_b32_sdwa v1, v1, v2 dst_sel:DWORD dst_unused:UNUSED_PAD src0_sel:BYTE_0 src1_sel:DWORD
	v_lshlrev_b16_e32 v2, 8, v5
	s_add_u32 s0, s16, s20
	v_and_b32_e32 v9, 28, v9
	v_or_b32_sdwa v7, v8, v7 dst_sel:WORD_1 dst_unused:UNUSED_PAD src0_sel:BYTE_0 src1_sel:DWORD
	v_or_b32_sdwa v2, v3, v2 dst_sel:WORD_1 dst_unused:UNUSED_PAD src0_sel:BYTE_0 src1_sel:DWORD
	s_addc_u32 s1, s17, 0
	v_add_u32_e32 v4, v9, v4
	v_or_b32_sdwa v6, v6, v7 dst_sel:DWORD dst_unused:UNUSED_PAD src0_sel:WORD_0 src1_sel:DWORD
	v_or_b32_sdwa v1, v1, v2 dst_sel:DWORD dst_unused:UNUSED_PAD src0_sel:WORD_0 src1_sel:DWORD
	s_barrier
	s_barrier
	ds_write2_b32 v4, v1, v6 offset1:1
	v_mov_b32_e32 v1, s1
	v_add_co_u32_e32 v2, vcc, s0, v0
	v_addc_co_u32_e32 v3, vcc, 0, v1, vcc
	s_and_b64 vcc, exec, s[14:15]
	v_add_u32_e32 v4, 4, v0
	v_add_u32_e32 v5, 8, v0
	;; [unrolled: 1-line block ×7, first 2 shown]
	s_waitcnt lgkmcnt(0)
	s_cbranch_vccz .LBB1516_33
; %bb.32:
	s_barrier
	ds_read_u8 v11, v0
	ds_read_u8 v12, v4 offset:128
	ds_read_u8 v13, v5 offset:256
	;; [unrolled: 1-line block ×7, first 2 shown]
	s_waitcnt lgkmcnt(7)
	global_store_byte v[2:3], v11, off
	s_waitcnt lgkmcnt(6)
	global_store_byte v[2:3], v12, off offset:128
	s_waitcnt lgkmcnt(5)
	global_store_byte v[2:3], v13, off offset:256
	;; [unrolled: 2-line block ×6, first 2 shown]
	s_mov_b64 s[0:1], -1
	s_cbranch_execz .LBB1516_34
	s_branch .LBB1516_49
.LBB1516_33:
	s_mov_b64 s[0:1], 0
                                        ; implicit-def: $vgpr1
.LBB1516_34:
	s_barrier
	s_waitcnt lgkmcnt(0)
	ds_read_u8 v13, v4 offset:128
	ds_read_u8 v12, v5 offset:256
	;; [unrolled: 1-line block ×7, first 2 shown]
	s_sub_i32 s2, s12, s20
	v_or_b32_e32 v7, 0x80, v0
	v_cmp_gt_u32_e32 vcc, s2, v0
	s_and_saveexec_b64 s[0:1], vcc
	s_cbranch_execz .LBB1516_36
; %bb.35:
	ds_read_u8 v8, v0
	s_waitcnt lgkmcnt(0)
	global_store_byte v[2:3], v8, off
.LBB1516_36:
	s_or_b64 exec, exec, s[0:1]
	v_or_b32_e32 v8, 0x100, v0
	v_cmp_gt_u32_e32 vcc, s2, v7
	s_and_saveexec_b64 s[0:1], vcc
	s_cbranch_execz .LBB1516_38
; %bb.37:
	s_waitcnt lgkmcnt(6)
	global_store_byte v[2:3], v13, off offset:128
.LBB1516_38:
	s_or_b64 exec, exec, s[0:1]
	v_or_b32_e32 v7, 0x180, v0
	v_cmp_gt_u32_e32 vcc, s2, v8
	s_and_saveexec_b64 s[0:1], vcc
	s_cbranch_execz .LBB1516_40
; %bb.39:
	s_waitcnt lgkmcnt(5)
	global_store_byte v[2:3], v12, off offset:256
.LBB1516_40:
	;; [unrolled: 9-line block ×4, first 2 shown]
	s_or_b64 exec, exec, s[0:1]
	s_waitcnt lgkmcnt(3)
	v_or_b32_e32 v6, 0x300, v0
	v_cmp_gt_u32_e32 vcc, s2, v7
	s_and_saveexec_b64 s[0:1], vcc
	s_cbranch_execz .LBB1516_46
; %bb.45:
	s_waitcnt lgkmcnt(2)
	global_store_byte v[2:3], v5, off offset:640
.LBB1516_46:
	s_or_b64 exec, exec, s[0:1]
	v_or_b32_e32 v0, 0x380, v0
	v_cmp_gt_u32_e32 vcc, s2, v6
	s_and_saveexec_b64 s[0:1], vcc
	s_cbranch_execz .LBB1516_48
; %bb.47:
	s_waitcnt lgkmcnt(1)
	global_store_byte v[2:3], v4, off offset:768
.LBB1516_48:
	s_or_b64 exec, exec, s[0:1]
	v_cmp_gt_u32_e64 s[0:1], s2, v0
.LBB1516_49:
	s_and_saveexec_b64 s[2:3], s[0:1]
	s_cbranch_execz .LBB1516_51
; %bb.50:
	s_waitcnt lgkmcnt(0)
	global_store_byte v[2:3], v1, off offset:896
.LBB1516_51:
	s_endpgm
	.section	.rodata,"a",@progbits
	.p2align	6, 0x0
	.amdhsa_kernel _ZN7rocprim17ROCPRIM_400000_NS6detail17trampoline_kernelINS0_14default_configENS1_38merge_sort_block_merge_config_selectorIcNS0_10empty_typeEEEZZNS1_27merge_sort_block_merge_implIS3_PcPS5_jNS1_19radix_merge_compareILb1ELb1EcNS0_19identity_decomposerEEEEE10hipError_tT0_T1_T2_jT3_P12ihipStream_tbPNSt15iterator_traitsISE_E10value_typeEPNSK_ISF_E10value_typeEPSG_NS1_7vsmem_tEENKUlT_SE_SF_SG_E_clIS8_S8_S9_S9_EESD_ST_SE_SF_SG_EUlST_E0_NS1_11comp_targetILNS1_3genE4ELNS1_11target_archE910ELNS1_3gpuE8ELNS1_3repE0EEENS1_38merge_mergepath_config_static_selectorELNS0_4arch9wavefront6targetE1EEEvSF_
		.amdhsa_group_segment_fixed_size 1056
		.amdhsa_private_segment_fixed_size 0
		.amdhsa_kernarg_size 320
		.amdhsa_user_sgpr_count 6
		.amdhsa_user_sgpr_private_segment_buffer 1
		.amdhsa_user_sgpr_dispatch_ptr 0
		.amdhsa_user_sgpr_queue_ptr 0
		.amdhsa_user_sgpr_kernarg_segment_ptr 1
		.amdhsa_user_sgpr_dispatch_id 0
		.amdhsa_user_sgpr_flat_scratch_init 0
		.amdhsa_user_sgpr_kernarg_preload_length 0
		.amdhsa_user_sgpr_kernarg_preload_offset 0
		.amdhsa_user_sgpr_private_segment_size 0
		.amdhsa_uses_dynamic_stack 0
		.amdhsa_system_sgpr_private_segment_wavefront_offset 0
		.amdhsa_system_sgpr_workgroup_id_x 1
		.amdhsa_system_sgpr_workgroup_id_y 1
		.amdhsa_system_sgpr_workgroup_id_z 1
		.amdhsa_system_sgpr_workgroup_info 0
		.amdhsa_system_vgpr_workitem_id 0
		.amdhsa_next_free_vgpr 28
		.amdhsa_next_free_sgpr 26
		.amdhsa_accum_offset 28
		.amdhsa_reserve_vcc 1
		.amdhsa_reserve_flat_scratch 0
		.amdhsa_float_round_mode_32 0
		.amdhsa_float_round_mode_16_64 0
		.amdhsa_float_denorm_mode_32 3
		.amdhsa_float_denorm_mode_16_64 3
		.amdhsa_dx10_clamp 1
		.amdhsa_ieee_mode 1
		.amdhsa_fp16_overflow 0
		.amdhsa_tg_split 0
		.amdhsa_exception_fp_ieee_invalid_op 0
		.amdhsa_exception_fp_denorm_src 0
		.amdhsa_exception_fp_ieee_div_zero 0
		.amdhsa_exception_fp_ieee_overflow 0
		.amdhsa_exception_fp_ieee_underflow 0
		.amdhsa_exception_fp_ieee_inexact 0
		.amdhsa_exception_int_div_zero 0
	.end_amdhsa_kernel
	.section	.text._ZN7rocprim17ROCPRIM_400000_NS6detail17trampoline_kernelINS0_14default_configENS1_38merge_sort_block_merge_config_selectorIcNS0_10empty_typeEEEZZNS1_27merge_sort_block_merge_implIS3_PcPS5_jNS1_19radix_merge_compareILb1ELb1EcNS0_19identity_decomposerEEEEE10hipError_tT0_T1_T2_jT3_P12ihipStream_tbPNSt15iterator_traitsISE_E10value_typeEPNSK_ISF_E10value_typeEPSG_NS1_7vsmem_tEENKUlT_SE_SF_SG_E_clIS8_S8_S9_S9_EESD_ST_SE_SF_SG_EUlST_E0_NS1_11comp_targetILNS1_3genE4ELNS1_11target_archE910ELNS1_3gpuE8ELNS1_3repE0EEENS1_38merge_mergepath_config_static_selectorELNS0_4arch9wavefront6targetE1EEEvSF_,"axG",@progbits,_ZN7rocprim17ROCPRIM_400000_NS6detail17trampoline_kernelINS0_14default_configENS1_38merge_sort_block_merge_config_selectorIcNS0_10empty_typeEEEZZNS1_27merge_sort_block_merge_implIS3_PcPS5_jNS1_19radix_merge_compareILb1ELb1EcNS0_19identity_decomposerEEEEE10hipError_tT0_T1_T2_jT3_P12ihipStream_tbPNSt15iterator_traitsISE_E10value_typeEPNSK_ISF_E10value_typeEPSG_NS1_7vsmem_tEENKUlT_SE_SF_SG_E_clIS8_S8_S9_S9_EESD_ST_SE_SF_SG_EUlST_E0_NS1_11comp_targetILNS1_3genE4ELNS1_11target_archE910ELNS1_3gpuE8ELNS1_3repE0EEENS1_38merge_mergepath_config_static_selectorELNS0_4arch9wavefront6targetE1EEEvSF_,comdat
.Lfunc_end1516:
	.size	_ZN7rocprim17ROCPRIM_400000_NS6detail17trampoline_kernelINS0_14default_configENS1_38merge_sort_block_merge_config_selectorIcNS0_10empty_typeEEEZZNS1_27merge_sort_block_merge_implIS3_PcPS5_jNS1_19radix_merge_compareILb1ELb1EcNS0_19identity_decomposerEEEEE10hipError_tT0_T1_T2_jT3_P12ihipStream_tbPNSt15iterator_traitsISE_E10value_typeEPNSK_ISF_E10value_typeEPSG_NS1_7vsmem_tEENKUlT_SE_SF_SG_E_clIS8_S8_S9_S9_EESD_ST_SE_SF_SG_EUlST_E0_NS1_11comp_targetILNS1_3genE4ELNS1_11target_archE910ELNS1_3gpuE8ELNS1_3repE0EEENS1_38merge_mergepath_config_static_selectorELNS0_4arch9wavefront6targetE1EEEvSF_, .Lfunc_end1516-_ZN7rocprim17ROCPRIM_400000_NS6detail17trampoline_kernelINS0_14default_configENS1_38merge_sort_block_merge_config_selectorIcNS0_10empty_typeEEEZZNS1_27merge_sort_block_merge_implIS3_PcPS5_jNS1_19radix_merge_compareILb1ELb1EcNS0_19identity_decomposerEEEEE10hipError_tT0_T1_T2_jT3_P12ihipStream_tbPNSt15iterator_traitsISE_E10value_typeEPNSK_ISF_E10value_typeEPSG_NS1_7vsmem_tEENKUlT_SE_SF_SG_E_clIS8_S8_S9_S9_EESD_ST_SE_SF_SG_EUlST_E0_NS1_11comp_targetILNS1_3genE4ELNS1_11target_archE910ELNS1_3gpuE8ELNS1_3repE0EEENS1_38merge_mergepath_config_static_selectorELNS0_4arch9wavefront6targetE1EEEvSF_
                                        ; -- End function
	.section	.AMDGPU.csdata,"",@progbits
; Kernel info:
; codeLenInByte = 3196
; NumSgprs: 30
; NumVgprs: 28
; NumAgprs: 0
; TotalNumVgprs: 28
; ScratchSize: 0
; MemoryBound: 0
; FloatMode: 240
; IeeeMode: 1
; LDSByteSize: 1056 bytes/workgroup (compile time only)
; SGPRBlocks: 3
; VGPRBlocks: 3
; NumSGPRsForWavesPerEU: 30
; NumVGPRsForWavesPerEU: 28
; AccumOffset: 28
; Occupancy: 8
; WaveLimiterHint : 1
; COMPUTE_PGM_RSRC2:SCRATCH_EN: 0
; COMPUTE_PGM_RSRC2:USER_SGPR: 6
; COMPUTE_PGM_RSRC2:TRAP_HANDLER: 0
; COMPUTE_PGM_RSRC2:TGID_X_EN: 1
; COMPUTE_PGM_RSRC2:TGID_Y_EN: 1
; COMPUTE_PGM_RSRC2:TGID_Z_EN: 1
; COMPUTE_PGM_RSRC2:TIDIG_COMP_CNT: 0
; COMPUTE_PGM_RSRC3_GFX90A:ACCUM_OFFSET: 6
; COMPUTE_PGM_RSRC3_GFX90A:TG_SPLIT: 0
	.section	.text._ZN7rocprim17ROCPRIM_400000_NS6detail17trampoline_kernelINS0_14default_configENS1_38merge_sort_block_merge_config_selectorIcNS0_10empty_typeEEEZZNS1_27merge_sort_block_merge_implIS3_PcPS5_jNS1_19radix_merge_compareILb1ELb1EcNS0_19identity_decomposerEEEEE10hipError_tT0_T1_T2_jT3_P12ihipStream_tbPNSt15iterator_traitsISE_E10value_typeEPNSK_ISF_E10value_typeEPSG_NS1_7vsmem_tEENKUlT_SE_SF_SG_E_clIS8_S8_S9_S9_EESD_ST_SE_SF_SG_EUlST_E0_NS1_11comp_targetILNS1_3genE3ELNS1_11target_archE908ELNS1_3gpuE7ELNS1_3repE0EEENS1_38merge_mergepath_config_static_selectorELNS0_4arch9wavefront6targetE1EEEvSF_,"axG",@progbits,_ZN7rocprim17ROCPRIM_400000_NS6detail17trampoline_kernelINS0_14default_configENS1_38merge_sort_block_merge_config_selectorIcNS0_10empty_typeEEEZZNS1_27merge_sort_block_merge_implIS3_PcPS5_jNS1_19radix_merge_compareILb1ELb1EcNS0_19identity_decomposerEEEEE10hipError_tT0_T1_T2_jT3_P12ihipStream_tbPNSt15iterator_traitsISE_E10value_typeEPNSK_ISF_E10value_typeEPSG_NS1_7vsmem_tEENKUlT_SE_SF_SG_E_clIS8_S8_S9_S9_EESD_ST_SE_SF_SG_EUlST_E0_NS1_11comp_targetILNS1_3genE3ELNS1_11target_archE908ELNS1_3gpuE7ELNS1_3repE0EEENS1_38merge_mergepath_config_static_selectorELNS0_4arch9wavefront6targetE1EEEvSF_,comdat
	.protected	_ZN7rocprim17ROCPRIM_400000_NS6detail17trampoline_kernelINS0_14default_configENS1_38merge_sort_block_merge_config_selectorIcNS0_10empty_typeEEEZZNS1_27merge_sort_block_merge_implIS3_PcPS5_jNS1_19radix_merge_compareILb1ELb1EcNS0_19identity_decomposerEEEEE10hipError_tT0_T1_T2_jT3_P12ihipStream_tbPNSt15iterator_traitsISE_E10value_typeEPNSK_ISF_E10value_typeEPSG_NS1_7vsmem_tEENKUlT_SE_SF_SG_E_clIS8_S8_S9_S9_EESD_ST_SE_SF_SG_EUlST_E0_NS1_11comp_targetILNS1_3genE3ELNS1_11target_archE908ELNS1_3gpuE7ELNS1_3repE0EEENS1_38merge_mergepath_config_static_selectorELNS0_4arch9wavefront6targetE1EEEvSF_ ; -- Begin function _ZN7rocprim17ROCPRIM_400000_NS6detail17trampoline_kernelINS0_14default_configENS1_38merge_sort_block_merge_config_selectorIcNS0_10empty_typeEEEZZNS1_27merge_sort_block_merge_implIS3_PcPS5_jNS1_19radix_merge_compareILb1ELb1EcNS0_19identity_decomposerEEEEE10hipError_tT0_T1_T2_jT3_P12ihipStream_tbPNSt15iterator_traitsISE_E10value_typeEPNSK_ISF_E10value_typeEPSG_NS1_7vsmem_tEENKUlT_SE_SF_SG_E_clIS8_S8_S9_S9_EESD_ST_SE_SF_SG_EUlST_E0_NS1_11comp_targetILNS1_3genE3ELNS1_11target_archE908ELNS1_3gpuE7ELNS1_3repE0EEENS1_38merge_mergepath_config_static_selectorELNS0_4arch9wavefront6targetE1EEEvSF_
	.globl	_ZN7rocprim17ROCPRIM_400000_NS6detail17trampoline_kernelINS0_14default_configENS1_38merge_sort_block_merge_config_selectorIcNS0_10empty_typeEEEZZNS1_27merge_sort_block_merge_implIS3_PcPS5_jNS1_19radix_merge_compareILb1ELb1EcNS0_19identity_decomposerEEEEE10hipError_tT0_T1_T2_jT3_P12ihipStream_tbPNSt15iterator_traitsISE_E10value_typeEPNSK_ISF_E10value_typeEPSG_NS1_7vsmem_tEENKUlT_SE_SF_SG_E_clIS8_S8_S9_S9_EESD_ST_SE_SF_SG_EUlST_E0_NS1_11comp_targetILNS1_3genE3ELNS1_11target_archE908ELNS1_3gpuE7ELNS1_3repE0EEENS1_38merge_mergepath_config_static_selectorELNS0_4arch9wavefront6targetE1EEEvSF_
	.p2align	8
	.type	_ZN7rocprim17ROCPRIM_400000_NS6detail17trampoline_kernelINS0_14default_configENS1_38merge_sort_block_merge_config_selectorIcNS0_10empty_typeEEEZZNS1_27merge_sort_block_merge_implIS3_PcPS5_jNS1_19radix_merge_compareILb1ELb1EcNS0_19identity_decomposerEEEEE10hipError_tT0_T1_T2_jT3_P12ihipStream_tbPNSt15iterator_traitsISE_E10value_typeEPNSK_ISF_E10value_typeEPSG_NS1_7vsmem_tEENKUlT_SE_SF_SG_E_clIS8_S8_S9_S9_EESD_ST_SE_SF_SG_EUlST_E0_NS1_11comp_targetILNS1_3genE3ELNS1_11target_archE908ELNS1_3gpuE7ELNS1_3repE0EEENS1_38merge_mergepath_config_static_selectorELNS0_4arch9wavefront6targetE1EEEvSF_,@function
_ZN7rocprim17ROCPRIM_400000_NS6detail17trampoline_kernelINS0_14default_configENS1_38merge_sort_block_merge_config_selectorIcNS0_10empty_typeEEEZZNS1_27merge_sort_block_merge_implIS3_PcPS5_jNS1_19radix_merge_compareILb1ELb1EcNS0_19identity_decomposerEEEEE10hipError_tT0_T1_T2_jT3_P12ihipStream_tbPNSt15iterator_traitsISE_E10value_typeEPNSK_ISF_E10value_typeEPSG_NS1_7vsmem_tEENKUlT_SE_SF_SG_E_clIS8_S8_S9_S9_EESD_ST_SE_SF_SG_EUlST_E0_NS1_11comp_targetILNS1_3genE3ELNS1_11target_archE908ELNS1_3gpuE7ELNS1_3repE0EEENS1_38merge_mergepath_config_static_selectorELNS0_4arch9wavefront6targetE1EEEvSF_: ; @_ZN7rocprim17ROCPRIM_400000_NS6detail17trampoline_kernelINS0_14default_configENS1_38merge_sort_block_merge_config_selectorIcNS0_10empty_typeEEEZZNS1_27merge_sort_block_merge_implIS3_PcPS5_jNS1_19radix_merge_compareILb1ELb1EcNS0_19identity_decomposerEEEEE10hipError_tT0_T1_T2_jT3_P12ihipStream_tbPNSt15iterator_traitsISE_E10value_typeEPNSK_ISF_E10value_typeEPSG_NS1_7vsmem_tEENKUlT_SE_SF_SG_E_clIS8_S8_S9_S9_EESD_ST_SE_SF_SG_EUlST_E0_NS1_11comp_targetILNS1_3genE3ELNS1_11target_archE908ELNS1_3gpuE7ELNS1_3repE0EEENS1_38merge_mergepath_config_static_selectorELNS0_4arch9wavefront6targetE1EEEvSF_
; %bb.0:
	.section	.rodata,"a",@progbits
	.p2align	6, 0x0
	.amdhsa_kernel _ZN7rocprim17ROCPRIM_400000_NS6detail17trampoline_kernelINS0_14default_configENS1_38merge_sort_block_merge_config_selectorIcNS0_10empty_typeEEEZZNS1_27merge_sort_block_merge_implIS3_PcPS5_jNS1_19radix_merge_compareILb1ELb1EcNS0_19identity_decomposerEEEEE10hipError_tT0_T1_T2_jT3_P12ihipStream_tbPNSt15iterator_traitsISE_E10value_typeEPNSK_ISF_E10value_typeEPSG_NS1_7vsmem_tEENKUlT_SE_SF_SG_E_clIS8_S8_S9_S9_EESD_ST_SE_SF_SG_EUlST_E0_NS1_11comp_targetILNS1_3genE3ELNS1_11target_archE908ELNS1_3gpuE7ELNS1_3repE0EEENS1_38merge_mergepath_config_static_selectorELNS0_4arch9wavefront6targetE1EEEvSF_
		.amdhsa_group_segment_fixed_size 0
		.amdhsa_private_segment_fixed_size 0
		.amdhsa_kernarg_size 64
		.amdhsa_user_sgpr_count 6
		.amdhsa_user_sgpr_private_segment_buffer 1
		.amdhsa_user_sgpr_dispatch_ptr 0
		.amdhsa_user_sgpr_queue_ptr 0
		.amdhsa_user_sgpr_kernarg_segment_ptr 1
		.amdhsa_user_sgpr_dispatch_id 0
		.amdhsa_user_sgpr_flat_scratch_init 0
		.amdhsa_user_sgpr_kernarg_preload_length 0
		.amdhsa_user_sgpr_kernarg_preload_offset 0
		.amdhsa_user_sgpr_private_segment_size 0
		.amdhsa_uses_dynamic_stack 0
		.amdhsa_system_sgpr_private_segment_wavefront_offset 0
		.amdhsa_system_sgpr_workgroup_id_x 1
		.amdhsa_system_sgpr_workgroup_id_y 0
		.amdhsa_system_sgpr_workgroup_id_z 0
		.amdhsa_system_sgpr_workgroup_info 0
		.amdhsa_system_vgpr_workitem_id 0
		.amdhsa_next_free_vgpr 1
		.amdhsa_next_free_sgpr 0
		.amdhsa_accum_offset 4
		.amdhsa_reserve_vcc 0
		.amdhsa_reserve_flat_scratch 0
		.amdhsa_float_round_mode_32 0
		.amdhsa_float_round_mode_16_64 0
		.amdhsa_float_denorm_mode_32 3
		.amdhsa_float_denorm_mode_16_64 3
		.amdhsa_dx10_clamp 1
		.amdhsa_ieee_mode 1
		.amdhsa_fp16_overflow 0
		.amdhsa_tg_split 0
		.amdhsa_exception_fp_ieee_invalid_op 0
		.amdhsa_exception_fp_denorm_src 0
		.amdhsa_exception_fp_ieee_div_zero 0
		.amdhsa_exception_fp_ieee_overflow 0
		.amdhsa_exception_fp_ieee_underflow 0
		.amdhsa_exception_fp_ieee_inexact 0
		.amdhsa_exception_int_div_zero 0
	.end_amdhsa_kernel
	.section	.text._ZN7rocprim17ROCPRIM_400000_NS6detail17trampoline_kernelINS0_14default_configENS1_38merge_sort_block_merge_config_selectorIcNS0_10empty_typeEEEZZNS1_27merge_sort_block_merge_implIS3_PcPS5_jNS1_19radix_merge_compareILb1ELb1EcNS0_19identity_decomposerEEEEE10hipError_tT0_T1_T2_jT3_P12ihipStream_tbPNSt15iterator_traitsISE_E10value_typeEPNSK_ISF_E10value_typeEPSG_NS1_7vsmem_tEENKUlT_SE_SF_SG_E_clIS8_S8_S9_S9_EESD_ST_SE_SF_SG_EUlST_E0_NS1_11comp_targetILNS1_3genE3ELNS1_11target_archE908ELNS1_3gpuE7ELNS1_3repE0EEENS1_38merge_mergepath_config_static_selectorELNS0_4arch9wavefront6targetE1EEEvSF_,"axG",@progbits,_ZN7rocprim17ROCPRIM_400000_NS6detail17trampoline_kernelINS0_14default_configENS1_38merge_sort_block_merge_config_selectorIcNS0_10empty_typeEEEZZNS1_27merge_sort_block_merge_implIS3_PcPS5_jNS1_19radix_merge_compareILb1ELb1EcNS0_19identity_decomposerEEEEE10hipError_tT0_T1_T2_jT3_P12ihipStream_tbPNSt15iterator_traitsISE_E10value_typeEPNSK_ISF_E10value_typeEPSG_NS1_7vsmem_tEENKUlT_SE_SF_SG_E_clIS8_S8_S9_S9_EESD_ST_SE_SF_SG_EUlST_E0_NS1_11comp_targetILNS1_3genE3ELNS1_11target_archE908ELNS1_3gpuE7ELNS1_3repE0EEENS1_38merge_mergepath_config_static_selectorELNS0_4arch9wavefront6targetE1EEEvSF_,comdat
.Lfunc_end1517:
	.size	_ZN7rocprim17ROCPRIM_400000_NS6detail17trampoline_kernelINS0_14default_configENS1_38merge_sort_block_merge_config_selectorIcNS0_10empty_typeEEEZZNS1_27merge_sort_block_merge_implIS3_PcPS5_jNS1_19radix_merge_compareILb1ELb1EcNS0_19identity_decomposerEEEEE10hipError_tT0_T1_T2_jT3_P12ihipStream_tbPNSt15iterator_traitsISE_E10value_typeEPNSK_ISF_E10value_typeEPSG_NS1_7vsmem_tEENKUlT_SE_SF_SG_E_clIS8_S8_S9_S9_EESD_ST_SE_SF_SG_EUlST_E0_NS1_11comp_targetILNS1_3genE3ELNS1_11target_archE908ELNS1_3gpuE7ELNS1_3repE0EEENS1_38merge_mergepath_config_static_selectorELNS0_4arch9wavefront6targetE1EEEvSF_, .Lfunc_end1517-_ZN7rocprim17ROCPRIM_400000_NS6detail17trampoline_kernelINS0_14default_configENS1_38merge_sort_block_merge_config_selectorIcNS0_10empty_typeEEEZZNS1_27merge_sort_block_merge_implIS3_PcPS5_jNS1_19radix_merge_compareILb1ELb1EcNS0_19identity_decomposerEEEEE10hipError_tT0_T1_T2_jT3_P12ihipStream_tbPNSt15iterator_traitsISE_E10value_typeEPNSK_ISF_E10value_typeEPSG_NS1_7vsmem_tEENKUlT_SE_SF_SG_E_clIS8_S8_S9_S9_EESD_ST_SE_SF_SG_EUlST_E0_NS1_11comp_targetILNS1_3genE3ELNS1_11target_archE908ELNS1_3gpuE7ELNS1_3repE0EEENS1_38merge_mergepath_config_static_selectorELNS0_4arch9wavefront6targetE1EEEvSF_
                                        ; -- End function
	.section	.AMDGPU.csdata,"",@progbits
; Kernel info:
; codeLenInByte = 0
; NumSgprs: 4
; NumVgprs: 0
; NumAgprs: 0
; TotalNumVgprs: 0
; ScratchSize: 0
; MemoryBound: 0
; FloatMode: 240
; IeeeMode: 1
; LDSByteSize: 0 bytes/workgroup (compile time only)
; SGPRBlocks: 0
; VGPRBlocks: 0
; NumSGPRsForWavesPerEU: 4
; NumVGPRsForWavesPerEU: 1
; AccumOffset: 4
; Occupancy: 8
; WaveLimiterHint : 0
; COMPUTE_PGM_RSRC2:SCRATCH_EN: 0
; COMPUTE_PGM_RSRC2:USER_SGPR: 6
; COMPUTE_PGM_RSRC2:TRAP_HANDLER: 0
; COMPUTE_PGM_RSRC2:TGID_X_EN: 1
; COMPUTE_PGM_RSRC2:TGID_Y_EN: 0
; COMPUTE_PGM_RSRC2:TGID_Z_EN: 0
; COMPUTE_PGM_RSRC2:TIDIG_COMP_CNT: 0
; COMPUTE_PGM_RSRC3_GFX90A:ACCUM_OFFSET: 0
; COMPUTE_PGM_RSRC3_GFX90A:TG_SPLIT: 0
	.section	.text._ZN7rocprim17ROCPRIM_400000_NS6detail17trampoline_kernelINS0_14default_configENS1_38merge_sort_block_merge_config_selectorIcNS0_10empty_typeEEEZZNS1_27merge_sort_block_merge_implIS3_PcPS5_jNS1_19radix_merge_compareILb1ELb1EcNS0_19identity_decomposerEEEEE10hipError_tT0_T1_T2_jT3_P12ihipStream_tbPNSt15iterator_traitsISE_E10value_typeEPNSK_ISF_E10value_typeEPSG_NS1_7vsmem_tEENKUlT_SE_SF_SG_E_clIS8_S8_S9_S9_EESD_ST_SE_SF_SG_EUlST_E0_NS1_11comp_targetILNS1_3genE2ELNS1_11target_archE906ELNS1_3gpuE6ELNS1_3repE0EEENS1_38merge_mergepath_config_static_selectorELNS0_4arch9wavefront6targetE1EEEvSF_,"axG",@progbits,_ZN7rocprim17ROCPRIM_400000_NS6detail17trampoline_kernelINS0_14default_configENS1_38merge_sort_block_merge_config_selectorIcNS0_10empty_typeEEEZZNS1_27merge_sort_block_merge_implIS3_PcPS5_jNS1_19radix_merge_compareILb1ELb1EcNS0_19identity_decomposerEEEEE10hipError_tT0_T1_T2_jT3_P12ihipStream_tbPNSt15iterator_traitsISE_E10value_typeEPNSK_ISF_E10value_typeEPSG_NS1_7vsmem_tEENKUlT_SE_SF_SG_E_clIS8_S8_S9_S9_EESD_ST_SE_SF_SG_EUlST_E0_NS1_11comp_targetILNS1_3genE2ELNS1_11target_archE906ELNS1_3gpuE6ELNS1_3repE0EEENS1_38merge_mergepath_config_static_selectorELNS0_4arch9wavefront6targetE1EEEvSF_,comdat
	.protected	_ZN7rocprim17ROCPRIM_400000_NS6detail17trampoline_kernelINS0_14default_configENS1_38merge_sort_block_merge_config_selectorIcNS0_10empty_typeEEEZZNS1_27merge_sort_block_merge_implIS3_PcPS5_jNS1_19radix_merge_compareILb1ELb1EcNS0_19identity_decomposerEEEEE10hipError_tT0_T1_T2_jT3_P12ihipStream_tbPNSt15iterator_traitsISE_E10value_typeEPNSK_ISF_E10value_typeEPSG_NS1_7vsmem_tEENKUlT_SE_SF_SG_E_clIS8_S8_S9_S9_EESD_ST_SE_SF_SG_EUlST_E0_NS1_11comp_targetILNS1_3genE2ELNS1_11target_archE906ELNS1_3gpuE6ELNS1_3repE0EEENS1_38merge_mergepath_config_static_selectorELNS0_4arch9wavefront6targetE1EEEvSF_ ; -- Begin function _ZN7rocprim17ROCPRIM_400000_NS6detail17trampoline_kernelINS0_14default_configENS1_38merge_sort_block_merge_config_selectorIcNS0_10empty_typeEEEZZNS1_27merge_sort_block_merge_implIS3_PcPS5_jNS1_19radix_merge_compareILb1ELb1EcNS0_19identity_decomposerEEEEE10hipError_tT0_T1_T2_jT3_P12ihipStream_tbPNSt15iterator_traitsISE_E10value_typeEPNSK_ISF_E10value_typeEPSG_NS1_7vsmem_tEENKUlT_SE_SF_SG_E_clIS8_S8_S9_S9_EESD_ST_SE_SF_SG_EUlST_E0_NS1_11comp_targetILNS1_3genE2ELNS1_11target_archE906ELNS1_3gpuE6ELNS1_3repE0EEENS1_38merge_mergepath_config_static_selectorELNS0_4arch9wavefront6targetE1EEEvSF_
	.globl	_ZN7rocprim17ROCPRIM_400000_NS6detail17trampoline_kernelINS0_14default_configENS1_38merge_sort_block_merge_config_selectorIcNS0_10empty_typeEEEZZNS1_27merge_sort_block_merge_implIS3_PcPS5_jNS1_19radix_merge_compareILb1ELb1EcNS0_19identity_decomposerEEEEE10hipError_tT0_T1_T2_jT3_P12ihipStream_tbPNSt15iterator_traitsISE_E10value_typeEPNSK_ISF_E10value_typeEPSG_NS1_7vsmem_tEENKUlT_SE_SF_SG_E_clIS8_S8_S9_S9_EESD_ST_SE_SF_SG_EUlST_E0_NS1_11comp_targetILNS1_3genE2ELNS1_11target_archE906ELNS1_3gpuE6ELNS1_3repE0EEENS1_38merge_mergepath_config_static_selectorELNS0_4arch9wavefront6targetE1EEEvSF_
	.p2align	8
	.type	_ZN7rocprim17ROCPRIM_400000_NS6detail17trampoline_kernelINS0_14default_configENS1_38merge_sort_block_merge_config_selectorIcNS0_10empty_typeEEEZZNS1_27merge_sort_block_merge_implIS3_PcPS5_jNS1_19radix_merge_compareILb1ELb1EcNS0_19identity_decomposerEEEEE10hipError_tT0_T1_T2_jT3_P12ihipStream_tbPNSt15iterator_traitsISE_E10value_typeEPNSK_ISF_E10value_typeEPSG_NS1_7vsmem_tEENKUlT_SE_SF_SG_E_clIS8_S8_S9_S9_EESD_ST_SE_SF_SG_EUlST_E0_NS1_11comp_targetILNS1_3genE2ELNS1_11target_archE906ELNS1_3gpuE6ELNS1_3repE0EEENS1_38merge_mergepath_config_static_selectorELNS0_4arch9wavefront6targetE1EEEvSF_,@function
_ZN7rocprim17ROCPRIM_400000_NS6detail17trampoline_kernelINS0_14default_configENS1_38merge_sort_block_merge_config_selectorIcNS0_10empty_typeEEEZZNS1_27merge_sort_block_merge_implIS3_PcPS5_jNS1_19radix_merge_compareILb1ELb1EcNS0_19identity_decomposerEEEEE10hipError_tT0_T1_T2_jT3_P12ihipStream_tbPNSt15iterator_traitsISE_E10value_typeEPNSK_ISF_E10value_typeEPSG_NS1_7vsmem_tEENKUlT_SE_SF_SG_E_clIS8_S8_S9_S9_EESD_ST_SE_SF_SG_EUlST_E0_NS1_11comp_targetILNS1_3genE2ELNS1_11target_archE906ELNS1_3gpuE6ELNS1_3repE0EEENS1_38merge_mergepath_config_static_selectorELNS0_4arch9wavefront6targetE1EEEvSF_: ; @_ZN7rocprim17ROCPRIM_400000_NS6detail17trampoline_kernelINS0_14default_configENS1_38merge_sort_block_merge_config_selectorIcNS0_10empty_typeEEEZZNS1_27merge_sort_block_merge_implIS3_PcPS5_jNS1_19radix_merge_compareILb1ELb1EcNS0_19identity_decomposerEEEEE10hipError_tT0_T1_T2_jT3_P12ihipStream_tbPNSt15iterator_traitsISE_E10value_typeEPNSK_ISF_E10value_typeEPSG_NS1_7vsmem_tEENKUlT_SE_SF_SG_E_clIS8_S8_S9_S9_EESD_ST_SE_SF_SG_EUlST_E0_NS1_11comp_targetILNS1_3genE2ELNS1_11target_archE906ELNS1_3gpuE6ELNS1_3repE0EEENS1_38merge_mergepath_config_static_selectorELNS0_4arch9wavefront6targetE1EEEvSF_
; %bb.0:
	.section	.rodata,"a",@progbits
	.p2align	6, 0x0
	.amdhsa_kernel _ZN7rocprim17ROCPRIM_400000_NS6detail17trampoline_kernelINS0_14default_configENS1_38merge_sort_block_merge_config_selectorIcNS0_10empty_typeEEEZZNS1_27merge_sort_block_merge_implIS3_PcPS5_jNS1_19radix_merge_compareILb1ELb1EcNS0_19identity_decomposerEEEEE10hipError_tT0_T1_T2_jT3_P12ihipStream_tbPNSt15iterator_traitsISE_E10value_typeEPNSK_ISF_E10value_typeEPSG_NS1_7vsmem_tEENKUlT_SE_SF_SG_E_clIS8_S8_S9_S9_EESD_ST_SE_SF_SG_EUlST_E0_NS1_11comp_targetILNS1_3genE2ELNS1_11target_archE906ELNS1_3gpuE6ELNS1_3repE0EEENS1_38merge_mergepath_config_static_selectorELNS0_4arch9wavefront6targetE1EEEvSF_
		.amdhsa_group_segment_fixed_size 0
		.amdhsa_private_segment_fixed_size 0
		.amdhsa_kernarg_size 64
		.amdhsa_user_sgpr_count 6
		.amdhsa_user_sgpr_private_segment_buffer 1
		.amdhsa_user_sgpr_dispatch_ptr 0
		.amdhsa_user_sgpr_queue_ptr 0
		.amdhsa_user_sgpr_kernarg_segment_ptr 1
		.amdhsa_user_sgpr_dispatch_id 0
		.amdhsa_user_sgpr_flat_scratch_init 0
		.amdhsa_user_sgpr_kernarg_preload_length 0
		.amdhsa_user_sgpr_kernarg_preload_offset 0
		.amdhsa_user_sgpr_private_segment_size 0
		.amdhsa_uses_dynamic_stack 0
		.amdhsa_system_sgpr_private_segment_wavefront_offset 0
		.amdhsa_system_sgpr_workgroup_id_x 1
		.amdhsa_system_sgpr_workgroup_id_y 0
		.amdhsa_system_sgpr_workgroup_id_z 0
		.amdhsa_system_sgpr_workgroup_info 0
		.amdhsa_system_vgpr_workitem_id 0
		.amdhsa_next_free_vgpr 1
		.amdhsa_next_free_sgpr 0
		.amdhsa_accum_offset 4
		.amdhsa_reserve_vcc 0
		.amdhsa_reserve_flat_scratch 0
		.amdhsa_float_round_mode_32 0
		.amdhsa_float_round_mode_16_64 0
		.amdhsa_float_denorm_mode_32 3
		.amdhsa_float_denorm_mode_16_64 3
		.amdhsa_dx10_clamp 1
		.amdhsa_ieee_mode 1
		.amdhsa_fp16_overflow 0
		.amdhsa_tg_split 0
		.amdhsa_exception_fp_ieee_invalid_op 0
		.amdhsa_exception_fp_denorm_src 0
		.amdhsa_exception_fp_ieee_div_zero 0
		.amdhsa_exception_fp_ieee_overflow 0
		.amdhsa_exception_fp_ieee_underflow 0
		.amdhsa_exception_fp_ieee_inexact 0
		.amdhsa_exception_int_div_zero 0
	.end_amdhsa_kernel
	.section	.text._ZN7rocprim17ROCPRIM_400000_NS6detail17trampoline_kernelINS0_14default_configENS1_38merge_sort_block_merge_config_selectorIcNS0_10empty_typeEEEZZNS1_27merge_sort_block_merge_implIS3_PcPS5_jNS1_19radix_merge_compareILb1ELb1EcNS0_19identity_decomposerEEEEE10hipError_tT0_T1_T2_jT3_P12ihipStream_tbPNSt15iterator_traitsISE_E10value_typeEPNSK_ISF_E10value_typeEPSG_NS1_7vsmem_tEENKUlT_SE_SF_SG_E_clIS8_S8_S9_S9_EESD_ST_SE_SF_SG_EUlST_E0_NS1_11comp_targetILNS1_3genE2ELNS1_11target_archE906ELNS1_3gpuE6ELNS1_3repE0EEENS1_38merge_mergepath_config_static_selectorELNS0_4arch9wavefront6targetE1EEEvSF_,"axG",@progbits,_ZN7rocprim17ROCPRIM_400000_NS6detail17trampoline_kernelINS0_14default_configENS1_38merge_sort_block_merge_config_selectorIcNS0_10empty_typeEEEZZNS1_27merge_sort_block_merge_implIS3_PcPS5_jNS1_19radix_merge_compareILb1ELb1EcNS0_19identity_decomposerEEEEE10hipError_tT0_T1_T2_jT3_P12ihipStream_tbPNSt15iterator_traitsISE_E10value_typeEPNSK_ISF_E10value_typeEPSG_NS1_7vsmem_tEENKUlT_SE_SF_SG_E_clIS8_S8_S9_S9_EESD_ST_SE_SF_SG_EUlST_E0_NS1_11comp_targetILNS1_3genE2ELNS1_11target_archE906ELNS1_3gpuE6ELNS1_3repE0EEENS1_38merge_mergepath_config_static_selectorELNS0_4arch9wavefront6targetE1EEEvSF_,comdat
.Lfunc_end1518:
	.size	_ZN7rocprim17ROCPRIM_400000_NS6detail17trampoline_kernelINS0_14default_configENS1_38merge_sort_block_merge_config_selectorIcNS0_10empty_typeEEEZZNS1_27merge_sort_block_merge_implIS3_PcPS5_jNS1_19radix_merge_compareILb1ELb1EcNS0_19identity_decomposerEEEEE10hipError_tT0_T1_T2_jT3_P12ihipStream_tbPNSt15iterator_traitsISE_E10value_typeEPNSK_ISF_E10value_typeEPSG_NS1_7vsmem_tEENKUlT_SE_SF_SG_E_clIS8_S8_S9_S9_EESD_ST_SE_SF_SG_EUlST_E0_NS1_11comp_targetILNS1_3genE2ELNS1_11target_archE906ELNS1_3gpuE6ELNS1_3repE0EEENS1_38merge_mergepath_config_static_selectorELNS0_4arch9wavefront6targetE1EEEvSF_, .Lfunc_end1518-_ZN7rocprim17ROCPRIM_400000_NS6detail17trampoline_kernelINS0_14default_configENS1_38merge_sort_block_merge_config_selectorIcNS0_10empty_typeEEEZZNS1_27merge_sort_block_merge_implIS3_PcPS5_jNS1_19radix_merge_compareILb1ELb1EcNS0_19identity_decomposerEEEEE10hipError_tT0_T1_T2_jT3_P12ihipStream_tbPNSt15iterator_traitsISE_E10value_typeEPNSK_ISF_E10value_typeEPSG_NS1_7vsmem_tEENKUlT_SE_SF_SG_E_clIS8_S8_S9_S9_EESD_ST_SE_SF_SG_EUlST_E0_NS1_11comp_targetILNS1_3genE2ELNS1_11target_archE906ELNS1_3gpuE6ELNS1_3repE0EEENS1_38merge_mergepath_config_static_selectorELNS0_4arch9wavefront6targetE1EEEvSF_
                                        ; -- End function
	.section	.AMDGPU.csdata,"",@progbits
; Kernel info:
; codeLenInByte = 0
; NumSgprs: 4
; NumVgprs: 0
; NumAgprs: 0
; TotalNumVgprs: 0
; ScratchSize: 0
; MemoryBound: 0
; FloatMode: 240
; IeeeMode: 1
; LDSByteSize: 0 bytes/workgroup (compile time only)
; SGPRBlocks: 0
; VGPRBlocks: 0
; NumSGPRsForWavesPerEU: 4
; NumVGPRsForWavesPerEU: 1
; AccumOffset: 4
; Occupancy: 8
; WaveLimiterHint : 0
; COMPUTE_PGM_RSRC2:SCRATCH_EN: 0
; COMPUTE_PGM_RSRC2:USER_SGPR: 6
; COMPUTE_PGM_RSRC2:TRAP_HANDLER: 0
; COMPUTE_PGM_RSRC2:TGID_X_EN: 1
; COMPUTE_PGM_RSRC2:TGID_Y_EN: 0
; COMPUTE_PGM_RSRC2:TGID_Z_EN: 0
; COMPUTE_PGM_RSRC2:TIDIG_COMP_CNT: 0
; COMPUTE_PGM_RSRC3_GFX90A:ACCUM_OFFSET: 0
; COMPUTE_PGM_RSRC3_GFX90A:TG_SPLIT: 0
	.section	.text._ZN7rocprim17ROCPRIM_400000_NS6detail17trampoline_kernelINS0_14default_configENS1_38merge_sort_block_merge_config_selectorIcNS0_10empty_typeEEEZZNS1_27merge_sort_block_merge_implIS3_PcPS5_jNS1_19radix_merge_compareILb1ELb1EcNS0_19identity_decomposerEEEEE10hipError_tT0_T1_T2_jT3_P12ihipStream_tbPNSt15iterator_traitsISE_E10value_typeEPNSK_ISF_E10value_typeEPSG_NS1_7vsmem_tEENKUlT_SE_SF_SG_E_clIS8_S8_S9_S9_EESD_ST_SE_SF_SG_EUlST_E0_NS1_11comp_targetILNS1_3genE9ELNS1_11target_archE1100ELNS1_3gpuE3ELNS1_3repE0EEENS1_38merge_mergepath_config_static_selectorELNS0_4arch9wavefront6targetE1EEEvSF_,"axG",@progbits,_ZN7rocprim17ROCPRIM_400000_NS6detail17trampoline_kernelINS0_14default_configENS1_38merge_sort_block_merge_config_selectorIcNS0_10empty_typeEEEZZNS1_27merge_sort_block_merge_implIS3_PcPS5_jNS1_19radix_merge_compareILb1ELb1EcNS0_19identity_decomposerEEEEE10hipError_tT0_T1_T2_jT3_P12ihipStream_tbPNSt15iterator_traitsISE_E10value_typeEPNSK_ISF_E10value_typeEPSG_NS1_7vsmem_tEENKUlT_SE_SF_SG_E_clIS8_S8_S9_S9_EESD_ST_SE_SF_SG_EUlST_E0_NS1_11comp_targetILNS1_3genE9ELNS1_11target_archE1100ELNS1_3gpuE3ELNS1_3repE0EEENS1_38merge_mergepath_config_static_selectorELNS0_4arch9wavefront6targetE1EEEvSF_,comdat
	.protected	_ZN7rocprim17ROCPRIM_400000_NS6detail17trampoline_kernelINS0_14default_configENS1_38merge_sort_block_merge_config_selectorIcNS0_10empty_typeEEEZZNS1_27merge_sort_block_merge_implIS3_PcPS5_jNS1_19radix_merge_compareILb1ELb1EcNS0_19identity_decomposerEEEEE10hipError_tT0_T1_T2_jT3_P12ihipStream_tbPNSt15iterator_traitsISE_E10value_typeEPNSK_ISF_E10value_typeEPSG_NS1_7vsmem_tEENKUlT_SE_SF_SG_E_clIS8_S8_S9_S9_EESD_ST_SE_SF_SG_EUlST_E0_NS1_11comp_targetILNS1_3genE9ELNS1_11target_archE1100ELNS1_3gpuE3ELNS1_3repE0EEENS1_38merge_mergepath_config_static_selectorELNS0_4arch9wavefront6targetE1EEEvSF_ ; -- Begin function _ZN7rocprim17ROCPRIM_400000_NS6detail17trampoline_kernelINS0_14default_configENS1_38merge_sort_block_merge_config_selectorIcNS0_10empty_typeEEEZZNS1_27merge_sort_block_merge_implIS3_PcPS5_jNS1_19radix_merge_compareILb1ELb1EcNS0_19identity_decomposerEEEEE10hipError_tT0_T1_T2_jT3_P12ihipStream_tbPNSt15iterator_traitsISE_E10value_typeEPNSK_ISF_E10value_typeEPSG_NS1_7vsmem_tEENKUlT_SE_SF_SG_E_clIS8_S8_S9_S9_EESD_ST_SE_SF_SG_EUlST_E0_NS1_11comp_targetILNS1_3genE9ELNS1_11target_archE1100ELNS1_3gpuE3ELNS1_3repE0EEENS1_38merge_mergepath_config_static_selectorELNS0_4arch9wavefront6targetE1EEEvSF_
	.globl	_ZN7rocprim17ROCPRIM_400000_NS6detail17trampoline_kernelINS0_14default_configENS1_38merge_sort_block_merge_config_selectorIcNS0_10empty_typeEEEZZNS1_27merge_sort_block_merge_implIS3_PcPS5_jNS1_19radix_merge_compareILb1ELb1EcNS0_19identity_decomposerEEEEE10hipError_tT0_T1_T2_jT3_P12ihipStream_tbPNSt15iterator_traitsISE_E10value_typeEPNSK_ISF_E10value_typeEPSG_NS1_7vsmem_tEENKUlT_SE_SF_SG_E_clIS8_S8_S9_S9_EESD_ST_SE_SF_SG_EUlST_E0_NS1_11comp_targetILNS1_3genE9ELNS1_11target_archE1100ELNS1_3gpuE3ELNS1_3repE0EEENS1_38merge_mergepath_config_static_selectorELNS0_4arch9wavefront6targetE1EEEvSF_
	.p2align	8
	.type	_ZN7rocprim17ROCPRIM_400000_NS6detail17trampoline_kernelINS0_14default_configENS1_38merge_sort_block_merge_config_selectorIcNS0_10empty_typeEEEZZNS1_27merge_sort_block_merge_implIS3_PcPS5_jNS1_19radix_merge_compareILb1ELb1EcNS0_19identity_decomposerEEEEE10hipError_tT0_T1_T2_jT3_P12ihipStream_tbPNSt15iterator_traitsISE_E10value_typeEPNSK_ISF_E10value_typeEPSG_NS1_7vsmem_tEENKUlT_SE_SF_SG_E_clIS8_S8_S9_S9_EESD_ST_SE_SF_SG_EUlST_E0_NS1_11comp_targetILNS1_3genE9ELNS1_11target_archE1100ELNS1_3gpuE3ELNS1_3repE0EEENS1_38merge_mergepath_config_static_selectorELNS0_4arch9wavefront6targetE1EEEvSF_,@function
_ZN7rocprim17ROCPRIM_400000_NS6detail17trampoline_kernelINS0_14default_configENS1_38merge_sort_block_merge_config_selectorIcNS0_10empty_typeEEEZZNS1_27merge_sort_block_merge_implIS3_PcPS5_jNS1_19radix_merge_compareILb1ELb1EcNS0_19identity_decomposerEEEEE10hipError_tT0_T1_T2_jT3_P12ihipStream_tbPNSt15iterator_traitsISE_E10value_typeEPNSK_ISF_E10value_typeEPSG_NS1_7vsmem_tEENKUlT_SE_SF_SG_E_clIS8_S8_S9_S9_EESD_ST_SE_SF_SG_EUlST_E0_NS1_11comp_targetILNS1_3genE9ELNS1_11target_archE1100ELNS1_3gpuE3ELNS1_3repE0EEENS1_38merge_mergepath_config_static_selectorELNS0_4arch9wavefront6targetE1EEEvSF_: ; @_ZN7rocprim17ROCPRIM_400000_NS6detail17trampoline_kernelINS0_14default_configENS1_38merge_sort_block_merge_config_selectorIcNS0_10empty_typeEEEZZNS1_27merge_sort_block_merge_implIS3_PcPS5_jNS1_19radix_merge_compareILb1ELb1EcNS0_19identity_decomposerEEEEE10hipError_tT0_T1_T2_jT3_P12ihipStream_tbPNSt15iterator_traitsISE_E10value_typeEPNSK_ISF_E10value_typeEPSG_NS1_7vsmem_tEENKUlT_SE_SF_SG_E_clIS8_S8_S9_S9_EESD_ST_SE_SF_SG_EUlST_E0_NS1_11comp_targetILNS1_3genE9ELNS1_11target_archE1100ELNS1_3gpuE3ELNS1_3repE0EEENS1_38merge_mergepath_config_static_selectorELNS0_4arch9wavefront6targetE1EEEvSF_
; %bb.0:
	.section	.rodata,"a",@progbits
	.p2align	6, 0x0
	.amdhsa_kernel _ZN7rocprim17ROCPRIM_400000_NS6detail17trampoline_kernelINS0_14default_configENS1_38merge_sort_block_merge_config_selectorIcNS0_10empty_typeEEEZZNS1_27merge_sort_block_merge_implIS3_PcPS5_jNS1_19radix_merge_compareILb1ELb1EcNS0_19identity_decomposerEEEEE10hipError_tT0_T1_T2_jT3_P12ihipStream_tbPNSt15iterator_traitsISE_E10value_typeEPNSK_ISF_E10value_typeEPSG_NS1_7vsmem_tEENKUlT_SE_SF_SG_E_clIS8_S8_S9_S9_EESD_ST_SE_SF_SG_EUlST_E0_NS1_11comp_targetILNS1_3genE9ELNS1_11target_archE1100ELNS1_3gpuE3ELNS1_3repE0EEENS1_38merge_mergepath_config_static_selectorELNS0_4arch9wavefront6targetE1EEEvSF_
		.amdhsa_group_segment_fixed_size 0
		.amdhsa_private_segment_fixed_size 0
		.amdhsa_kernarg_size 64
		.amdhsa_user_sgpr_count 6
		.amdhsa_user_sgpr_private_segment_buffer 1
		.amdhsa_user_sgpr_dispatch_ptr 0
		.amdhsa_user_sgpr_queue_ptr 0
		.amdhsa_user_sgpr_kernarg_segment_ptr 1
		.amdhsa_user_sgpr_dispatch_id 0
		.amdhsa_user_sgpr_flat_scratch_init 0
		.amdhsa_user_sgpr_kernarg_preload_length 0
		.amdhsa_user_sgpr_kernarg_preload_offset 0
		.amdhsa_user_sgpr_private_segment_size 0
		.amdhsa_uses_dynamic_stack 0
		.amdhsa_system_sgpr_private_segment_wavefront_offset 0
		.amdhsa_system_sgpr_workgroup_id_x 1
		.amdhsa_system_sgpr_workgroup_id_y 0
		.amdhsa_system_sgpr_workgroup_id_z 0
		.amdhsa_system_sgpr_workgroup_info 0
		.amdhsa_system_vgpr_workitem_id 0
		.amdhsa_next_free_vgpr 1
		.amdhsa_next_free_sgpr 0
		.amdhsa_accum_offset 4
		.amdhsa_reserve_vcc 0
		.amdhsa_reserve_flat_scratch 0
		.amdhsa_float_round_mode_32 0
		.amdhsa_float_round_mode_16_64 0
		.amdhsa_float_denorm_mode_32 3
		.amdhsa_float_denorm_mode_16_64 3
		.amdhsa_dx10_clamp 1
		.amdhsa_ieee_mode 1
		.amdhsa_fp16_overflow 0
		.amdhsa_tg_split 0
		.amdhsa_exception_fp_ieee_invalid_op 0
		.amdhsa_exception_fp_denorm_src 0
		.amdhsa_exception_fp_ieee_div_zero 0
		.amdhsa_exception_fp_ieee_overflow 0
		.amdhsa_exception_fp_ieee_underflow 0
		.amdhsa_exception_fp_ieee_inexact 0
		.amdhsa_exception_int_div_zero 0
	.end_amdhsa_kernel
	.section	.text._ZN7rocprim17ROCPRIM_400000_NS6detail17trampoline_kernelINS0_14default_configENS1_38merge_sort_block_merge_config_selectorIcNS0_10empty_typeEEEZZNS1_27merge_sort_block_merge_implIS3_PcPS5_jNS1_19radix_merge_compareILb1ELb1EcNS0_19identity_decomposerEEEEE10hipError_tT0_T1_T2_jT3_P12ihipStream_tbPNSt15iterator_traitsISE_E10value_typeEPNSK_ISF_E10value_typeEPSG_NS1_7vsmem_tEENKUlT_SE_SF_SG_E_clIS8_S8_S9_S9_EESD_ST_SE_SF_SG_EUlST_E0_NS1_11comp_targetILNS1_3genE9ELNS1_11target_archE1100ELNS1_3gpuE3ELNS1_3repE0EEENS1_38merge_mergepath_config_static_selectorELNS0_4arch9wavefront6targetE1EEEvSF_,"axG",@progbits,_ZN7rocprim17ROCPRIM_400000_NS6detail17trampoline_kernelINS0_14default_configENS1_38merge_sort_block_merge_config_selectorIcNS0_10empty_typeEEEZZNS1_27merge_sort_block_merge_implIS3_PcPS5_jNS1_19radix_merge_compareILb1ELb1EcNS0_19identity_decomposerEEEEE10hipError_tT0_T1_T2_jT3_P12ihipStream_tbPNSt15iterator_traitsISE_E10value_typeEPNSK_ISF_E10value_typeEPSG_NS1_7vsmem_tEENKUlT_SE_SF_SG_E_clIS8_S8_S9_S9_EESD_ST_SE_SF_SG_EUlST_E0_NS1_11comp_targetILNS1_3genE9ELNS1_11target_archE1100ELNS1_3gpuE3ELNS1_3repE0EEENS1_38merge_mergepath_config_static_selectorELNS0_4arch9wavefront6targetE1EEEvSF_,comdat
.Lfunc_end1519:
	.size	_ZN7rocprim17ROCPRIM_400000_NS6detail17trampoline_kernelINS0_14default_configENS1_38merge_sort_block_merge_config_selectorIcNS0_10empty_typeEEEZZNS1_27merge_sort_block_merge_implIS3_PcPS5_jNS1_19radix_merge_compareILb1ELb1EcNS0_19identity_decomposerEEEEE10hipError_tT0_T1_T2_jT3_P12ihipStream_tbPNSt15iterator_traitsISE_E10value_typeEPNSK_ISF_E10value_typeEPSG_NS1_7vsmem_tEENKUlT_SE_SF_SG_E_clIS8_S8_S9_S9_EESD_ST_SE_SF_SG_EUlST_E0_NS1_11comp_targetILNS1_3genE9ELNS1_11target_archE1100ELNS1_3gpuE3ELNS1_3repE0EEENS1_38merge_mergepath_config_static_selectorELNS0_4arch9wavefront6targetE1EEEvSF_, .Lfunc_end1519-_ZN7rocprim17ROCPRIM_400000_NS6detail17trampoline_kernelINS0_14default_configENS1_38merge_sort_block_merge_config_selectorIcNS0_10empty_typeEEEZZNS1_27merge_sort_block_merge_implIS3_PcPS5_jNS1_19radix_merge_compareILb1ELb1EcNS0_19identity_decomposerEEEEE10hipError_tT0_T1_T2_jT3_P12ihipStream_tbPNSt15iterator_traitsISE_E10value_typeEPNSK_ISF_E10value_typeEPSG_NS1_7vsmem_tEENKUlT_SE_SF_SG_E_clIS8_S8_S9_S9_EESD_ST_SE_SF_SG_EUlST_E0_NS1_11comp_targetILNS1_3genE9ELNS1_11target_archE1100ELNS1_3gpuE3ELNS1_3repE0EEENS1_38merge_mergepath_config_static_selectorELNS0_4arch9wavefront6targetE1EEEvSF_
                                        ; -- End function
	.section	.AMDGPU.csdata,"",@progbits
; Kernel info:
; codeLenInByte = 0
; NumSgprs: 4
; NumVgprs: 0
; NumAgprs: 0
; TotalNumVgprs: 0
; ScratchSize: 0
; MemoryBound: 0
; FloatMode: 240
; IeeeMode: 1
; LDSByteSize: 0 bytes/workgroup (compile time only)
; SGPRBlocks: 0
; VGPRBlocks: 0
; NumSGPRsForWavesPerEU: 4
; NumVGPRsForWavesPerEU: 1
; AccumOffset: 4
; Occupancy: 8
; WaveLimiterHint : 0
; COMPUTE_PGM_RSRC2:SCRATCH_EN: 0
; COMPUTE_PGM_RSRC2:USER_SGPR: 6
; COMPUTE_PGM_RSRC2:TRAP_HANDLER: 0
; COMPUTE_PGM_RSRC2:TGID_X_EN: 1
; COMPUTE_PGM_RSRC2:TGID_Y_EN: 0
; COMPUTE_PGM_RSRC2:TGID_Z_EN: 0
; COMPUTE_PGM_RSRC2:TIDIG_COMP_CNT: 0
; COMPUTE_PGM_RSRC3_GFX90A:ACCUM_OFFSET: 0
; COMPUTE_PGM_RSRC3_GFX90A:TG_SPLIT: 0
	.section	.text._ZN7rocprim17ROCPRIM_400000_NS6detail17trampoline_kernelINS0_14default_configENS1_38merge_sort_block_merge_config_selectorIcNS0_10empty_typeEEEZZNS1_27merge_sort_block_merge_implIS3_PcPS5_jNS1_19radix_merge_compareILb1ELb1EcNS0_19identity_decomposerEEEEE10hipError_tT0_T1_T2_jT3_P12ihipStream_tbPNSt15iterator_traitsISE_E10value_typeEPNSK_ISF_E10value_typeEPSG_NS1_7vsmem_tEENKUlT_SE_SF_SG_E_clIS8_S8_S9_S9_EESD_ST_SE_SF_SG_EUlST_E0_NS1_11comp_targetILNS1_3genE8ELNS1_11target_archE1030ELNS1_3gpuE2ELNS1_3repE0EEENS1_38merge_mergepath_config_static_selectorELNS0_4arch9wavefront6targetE1EEEvSF_,"axG",@progbits,_ZN7rocprim17ROCPRIM_400000_NS6detail17trampoline_kernelINS0_14default_configENS1_38merge_sort_block_merge_config_selectorIcNS0_10empty_typeEEEZZNS1_27merge_sort_block_merge_implIS3_PcPS5_jNS1_19radix_merge_compareILb1ELb1EcNS0_19identity_decomposerEEEEE10hipError_tT0_T1_T2_jT3_P12ihipStream_tbPNSt15iterator_traitsISE_E10value_typeEPNSK_ISF_E10value_typeEPSG_NS1_7vsmem_tEENKUlT_SE_SF_SG_E_clIS8_S8_S9_S9_EESD_ST_SE_SF_SG_EUlST_E0_NS1_11comp_targetILNS1_3genE8ELNS1_11target_archE1030ELNS1_3gpuE2ELNS1_3repE0EEENS1_38merge_mergepath_config_static_selectorELNS0_4arch9wavefront6targetE1EEEvSF_,comdat
	.protected	_ZN7rocprim17ROCPRIM_400000_NS6detail17trampoline_kernelINS0_14default_configENS1_38merge_sort_block_merge_config_selectorIcNS0_10empty_typeEEEZZNS1_27merge_sort_block_merge_implIS3_PcPS5_jNS1_19radix_merge_compareILb1ELb1EcNS0_19identity_decomposerEEEEE10hipError_tT0_T1_T2_jT3_P12ihipStream_tbPNSt15iterator_traitsISE_E10value_typeEPNSK_ISF_E10value_typeEPSG_NS1_7vsmem_tEENKUlT_SE_SF_SG_E_clIS8_S8_S9_S9_EESD_ST_SE_SF_SG_EUlST_E0_NS1_11comp_targetILNS1_3genE8ELNS1_11target_archE1030ELNS1_3gpuE2ELNS1_3repE0EEENS1_38merge_mergepath_config_static_selectorELNS0_4arch9wavefront6targetE1EEEvSF_ ; -- Begin function _ZN7rocprim17ROCPRIM_400000_NS6detail17trampoline_kernelINS0_14default_configENS1_38merge_sort_block_merge_config_selectorIcNS0_10empty_typeEEEZZNS1_27merge_sort_block_merge_implIS3_PcPS5_jNS1_19radix_merge_compareILb1ELb1EcNS0_19identity_decomposerEEEEE10hipError_tT0_T1_T2_jT3_P12ihipStream_tbPNSt15iterator_traitsISE_E10value_typeEPNSK_ISF_E10value_typeEPSG_NS1_7vsmem_tEENKUlT_SE_SF_SG_E_clIS8_S8_S9_S9_EESD_ST_SE_SF_SG_EUlST_E0_NS1_11comp_targetILNS1_3genE8ELNS1_11target_archE1030ELNS1_3gpuE2ELNS1_3repE0EEENS1_38merge_mergepath_config_static_selectorELNS0_4arch9wavefront6targetE1EEEvSF_
	.globl	_ZN7rocprim17ROCPRIM_400000_NS6detail17trampoline_kernelINS0_14default_configENS1_38merge_sort_block_merge_config_selectorIcNS0_10empty_typeEEEZZNS1_27merge_sort_block_merge_implIS3_PcPS5_jNS1_19radix_merge_compareILb1ELb1EcNS0_19identity_decomposerEEEEE10hipError_tT0_T1_T2_jT3_P12ihipStream_tbPNSt15iterator_traitsISE_E10value_typeEPNSK_ISF_E10value_typeEPSG_NS1_7vsmem_tEENKUlT_SE_SF_SG_E_clIS8_S8_S9_S9_EESD_ST_SE_SF_SG_EUlST_E0_NS1_11comp_targetILNS1_3genE8ELNS1_11target_archE1030ELNS1_3gpuE2ELNS1_3repE0EEENS1_38merge_mergepath_config_static_selectorELNS0_4arch9wavefront6targetE1EEEvSF_
	.p2align	8
	.type	_ZN7rocprim17ROCPRIM_400000_NS6detail17trampoline_kernelINS0_14default_configENS1_38merge_sort_block_merge_config_selectorIcNS0_10empty_typeEEEZZNS1_27merge_sort_block_merge_implIS3_PcPS5_jNS1_19radix_merge_compareILb1ELb1EcNS0_19identity_decomposerEEEEE10hipError_tT0_T1_T2_jT3_P12ihipStream_tbPNSt15iterator_traitsISE_E10value_typeEPNSK_ISF_E10value_typeEPSG_NS1_7vsmem_tEENKUlT_SE_SF_SG_E_clIS8_S8_S9_S9_EESD_ST_SE_SF_SG_EUlST_E0_NS1_11comp_targetILNS1_3genE8ELNS1_11target_archE1030ELNS1_3gpuE2ELNS1_3repE0EEENS1_38merge_mergepath_config_static_selectorELNS0_4arch9wavefront6targetE1EEEvSF_,@function
_ZN7rocprim17ROCPRIM_400000_NS6detail17trampoline_kernelINS0_14default_configENS1_38merge_sort_block_merge_config_selectorIcNS0_10empty_typeEEEZZNS1_27merge_sort_block_merge_implIS3_PcPS5_jNS1_19radix_merge_compareILb1ELb1EcNS0_19identity_decomposerEEEEE10hipError_tT0_T1_T2_jT3_P12ihipStream_tbPNSt15iterator_traitsISE_E10value_typeEPNSK_ISF_E10value_typeEPSG_NS1_7vsmem_tEENKUlT_SE_SF_SG_E_clIS8_S8_S9_S9_EESD_ST_SE_SF_SG_EUlST_E0_NS1_11comp_targetILNS1_3genE8ELNS1_11target_archE1030ELNS1_3gpuE2ELNS1_3repE0EEENS1_38merge_mergepath_config_static_selectorELNS0_4arch9wavefront6targetE1EEEvSF_: ; @_ZN7rocprim17ROCPRIM_400000_NS6detail17trampoline_kernelINS0_14default_configENS1_38merge_sort_block_merge_config_selectorIcNS0_10empty_typeEEEZZNS1_27merge_sort_block_merge_implIS3_PcPS5_jNS1_19radix_merge_compareILb1ELb1EcNS0_19identity_decomposerEEEEE10hipError_tT0_T1_T2_jT3_P12ihipStream_tbPNSt15iterator_traitsISE_E10value_typeEPNSK_ISF_E10value_typeEPSG_NS1_7vsmem_tEENKUlT_SE_SF_SG_E_clIS8_S8_S9_S9_EESD_ST_SE_SF_SG_EUlST_E0_NS1_11comp_targetILNS1_3genE8ELNS1_11target_archE1030ELNS1_3gpuE2ELNS1_3repE0EEENS1_38merge_mergepath_config_static_selectorELNS0_4arch9wavefront6targetE1EEEvSF_
; %bb.0:
	.section	.rodata,"a",@progbits
	.p2align	6, 0x0
	.amdhsa_kernel _ZN7rocprim17ROCPRIM_400000_NS6detail17trampoline_kernelINS0_14default_configENS1_38merge_sort_block_merge_config_selectorIcNS0_10empty_typeEEEZZNS1_27merge_sort_block_merge_implIS3_PcPS5_jNS1_19radix_merge_compareILb1ELb1EcNS0_19identity_decomposerEEEEE10hipError_tT0_T1_T2_jT3_P12ihipStream_tbPNSt15iterator_traitsISE_E10value_typeEPNSK_ISF_E10value_typeEPSG_NS1_7vsmem_tEENKUlT_SE_SF_SG_E_clIS8_S8_S9_S9_EESD_ST_SE_SF_SG_EUlST_E0_NS1_11comp_targetILNS1_3genE8ELNS1_11target_archE1030ELNS1_3gpuE2ELNS1_3repE0EEENS1_38merge_mergepath_config_static_selectorELNS0_4arch9wavefront6targetE1EEEvSF_
		.amdhsa_group_segment_fixed_size 0
		.amdhsa_private_segment_fixed_size 0
		.amdhsa_kernarg_size 64
		.amdhsa_user_sgpr_count 6
		.amdhsa_user_sgpr_private_segment_buffer 1
		.amdhsa_user_sgpr_dispatch_ptr 0
		.amdhsa_user_sgpr_queue_ptr 0
		.amdhsa_user_sgpr_kernarg_segment_ptr 1
		.amdhsa_user_sgpr_dispatch_id 0
		.amdhsa_user_sgpr_flat_scratch_init 0
		.amdhsa_user_sgpr_kernarg_preload_length 0
		.amdhsa_user_sgpr_kernarg_preload_offset 0
		.amdhsa_user_sgpr_private_segment_size 0
		.amdhsa_uses_dynamic_stack 0
		.amdhsa_system_sgpr_private_segment_wavefront_offset 0
		.amdhsa_system_sgpr_workgroup_id_x 1
		.amdhsa_system_sgpr_workgroup_id_y 0
		.amdhsa_system_sgpr_workgroup_id_z 0
		.amdhsa_system_sgpr_workgroup_info 0
		.amdhsa_system_vgpr_workitem_id 0
		.amdhsa_next_free_vgpr 1
		.amdhsa_next_free_sgpr 0
		.amdhsa_accum_offset 4
		.amdhsa_reserve_vcc 0
		.amdhsa_reserve_flat_scratch 0
		.amdhsa_float_round_mode_32 0
		.amdhsa_float_round_mode_16_64 0
		.amdhsa_float_denorm_mode_32 3
		.amdhsa_float_denorm_mode_16_64 3
		.amdhsa_dx10_clamp 1
		.amdhsa_ieee_mode 1
		.amdhsa_fp16_overflow 0
		.amdhsa_tg_split 0
		.amdhsa_exception_fp_ieee_invalid_op 0
		.amdhsa_exception_fp_denorm_src 0
		.amdhsa_exception_fp_ieee_div_zero 0
		.amdhsa_exception_fp_ieee_overflow 0
		.amdhsa_exception_fp_ieee_underflow 0
		.amdhsa_exception_fp_ieee_inexact 0
		.amdhsa_exception_int_div_zero 0
	.end_amdhsa_kernel
	.section	.text._ZN7rocprim17ROCPRIM_400000_NS6detail17trampoline_kernelINS0_14default_configENS1_38merge_sort_block_merge_config_selectorIcNS0_10empty_typeEEEZZNS1_27merge_sort_block_merge_implIS3_PcPS5_jNS1_19radix_merge_compareILb1ELb1EcNS0_19identity_decomposerEEEEE10hipError_tT0_T1_T2_jT3_P12ihipStream_tbPNSt15iterator_traitsISE_E10value_typeEPNSK_ISF_E10value_typeEPSG_NS1_7vsmem_tEENKUlT_SE_SF_SG_E_clIS8_S8_S9_S9_EESD_ST_SE_SF_SG_EUlST_E0_NS1_11comp_targetILNS1_3genE8ELNS1_11target_archE1030ELNS1_3gpuE2ELNS1_3repE0EEENS1_38merge_mergepath_config_static_selectorELNS0_4arch9wavefront6targetE1EEEvSF_,"axG",@progbits,_ZN7rocprim17ROCPRIM_400000_NS6detail17trampoline_kernelINS0_14default_configENS1_38merge_sort_block_merge_config_selectorIcNS0_10empty_typeEEEZZNS1_27merge_sort_block_merge_implIS3_PcPS5_jNS1_19radix_merge_compareILb1ELb1EcNS0_19identity_decomposerEEEEE10hipError_tT0_T1_T2_jT3_P12ihipStream_tbPNSt15iterator_traitsISE_E10value_typeEPNSK_ISF_E10value_typeEPSG_NS1_7vsmem_tEENKUlT_SE_SF_SG_E_clIS8_S8_S9_S9_EESD_ST_SE_SF_SG_EUlST_E0_NS1_11comp_targetILNS1_3genE8ELNS1_11target_archE1030ELNS1_3gpuE2ELNS1_3repE0EEENS1_38merge_mergepath_config_static_selectorELNS0_4arch9wavefront6targetE1EEEvSF_,comdat
.Lfunc_end1520:
	.size	_ZN7rocprim17ROCPRIM_400000_NS6detail17trampoline_kernelINS0_14default_configENS1_38merge_sort_block_merge_config_selectorIcNS0_10empty_typeEEEZZNS1_27merge_sort_block_merge_implIS3_PcPS5_jNS1_19radix_merge_compareILb1ELb1EcNS0_19identity_decomposerEEEEE10hipError_tT0_T1_T2_jT3_P12ihipStream_tbPNSt15iterator_traitsISE_E10value_typeEPNSK_ISF_E10value_typeEPSG_NS1_7vsmem_tEENKUlT_SE_SF_SG_E_clIS8_S8_S9_S9_EESD_ST_SE_SF_SG_EUlST_E0_NS1_11comp_targetILNS1_3genE8ELNS1_11target_archE1030ELNS1_3gpuE2ELNS1_3repE0EEENS1_38merge_mergepath_config_static_selectorELNS0_4arch9wavefront6targetE1EEEvSF_, .Lfunc_end1520-_ZN7rocprim17ROCPRIM_400000_NS6detail17trampoline_kernelINS0_14default_configENS1_38merge_sort_block_merge_config_selectorIcNS0_10empty_typeEEEZZNS1_27merge_sort_block_merge_implIS3_PcPS5_jNS1_19radix_merge_compareILb1ELb1EcNS0_19identity_decomposerEEEEE10hipError_tT0_T1_T2_jT3_P12ihipStream_tbPNSt15iterator_traitsISE_E10value_typeEPNSK_ISF_E10value_typeEPSG_NS1_7vsmem_tEENKUlT_SE_SF_SG_E_clIS8_S8_S9_S9_EESD_ST_SE_SF_SG_EUlST_E0_NS1_11comp_targetILNS1_3genE8ELNS1_11target_archE1030ELNS1_3gpuE2ELNS1_3repE0EEENS1_38merge_mergepath_config_static_selectorELNS0_4arch9wavefront6targetE1EEEvSF_
                                        ; -- End function
	.section	.AMDGPU.csdata,"",@progbits
; Kernel info:
; codeLenInByte = 0
; NumSgprs: 4
; NumVgprs: 0
; NumAgprs: 0
; TotalNumVgprs: 0
; ScratchSize: 0
; MemoryBound: 0
; FloatMode: 240
; IeeeMode: 1
; LDSByteSize: 0 bytes/workgroup (compile time only)
; SGPRBlocks: 0
; VGPRBlocks: 0
; NumSGPRsForWavesPerEU: 4
; NumVGPRsForWavesPerEU: 1
; AccumOffset: 4
; Occupancy: 8
; WaveLimiterHint : 0
; COMPUTE_PGM_RSRC2:SCRATCH_EN: 0
; COMPUTE_PGM_RSRC2:USER_SGPR: 6
; COMPUTE_PGM_RSRC2:TRAP_HANDLER: 0
; COMPUTE_PGM_RSRC2:TGID_X_EN: 1
; COMPUTE_PGM_RSRC2:TGID_Y_EN: 0
; COMPUTE_PGM_RSRC2:TGID_Z_EN: 0
; COMPUTE_PGM_RSRC2:TIDIG_COMP_CNT: 0
; COMPUTE_PGM_RSRC3_GFX90A:ACCUM_OFFSET: 0
; COMPUTE_PGM_RSRC3_GFX90A:TG_SPLIT: 0
	.section	.text._ZN7rocprim17ROCPRIM_400000_NS6detail17trampoline_kernelINS0_14default_configENS1_38merge_sort_block_merge_config_selectorIcNS0_10empty_typeEEEZZNS1_27merge_sort_block_merge_implIS3_PcPS5_jNS1_19radix_merge_compareILb1ELb1EcNS0_19identity_decomposerEEEEE10hipError_tT0_T1_T2_jT3_P12ihipStream_tbPNSt15iterator_traitsISE_E10value_typeEPNSK_ISF_E10value_typeEPSG_NS1_7vsmem_tEENKUlT_SE_SF_SG_E_clIS8_S8_S9_S9_EESD_ST_SE_SF_SG_EUlST_E1_NS1_11comp_targetILNS1_3genE0ELNS1_11target_archE4294967295ELNS1_3gpuE0ELNS1_3repE0EEENS1_36merge_oddeven_config_static_selectorELNS0_4arch9wavefront6targetE1EEEvSF_,"axG",@progbits,_ZN7rocprim17ROCPRIM_400000_NS6detail17trampoline_kernelINS0_14default_configENS1_38merge_sort_block_merge_config_selectorIcNS0_10empty_typeEEEZZNS1_27merge_sort_block_merge_implIS3_PcPS5_jNS1_19radix_merge_compareILb1ELb1EcNS0_19identity_decomposerEEEEE10hipError_tT0_T1_T2_jT3_P12ihipStream_tbPNSt15iterator_traitsISE_E10value_typeEPNSK_ISF_E10value_typeEPSG_NS1_7vsmem_tEENKUlT_SE_SF_SG_E_clIS8_S8_S9_S9_EESD_ST_SE_SF_SG_EUlST_E1_NS1_11comp_targetILNS1_3genE0ELNS1_11target_archE4294967295ELNS1_3gpuE0ELNS1_3repE0EEENS1_36merge_oddeven_config_static_selectorELNS0_4arch9wavefront6targetE1EEEvSF_,comdat
	.protected	_ZN7rocprim17ROCPRIM_400000_NS6detail17trampoline_kernelINS0_14default_configENS1_38merge_sort_block_merge_config_selectorIcNS0_10empty_typeEEEZZNS1_27merge_sort_block_merge_implIS3_PcPS5_jNS1_19radix_merge_compareILb1ELb1EcNS0_19identity_decomposerEEEEE10hipError_tT0_T1_T2_jT3_P12ihipStream_tbPNSt15iterator_traitsISE_E10value_typeEPNSK_ISF_E10value_typeEPSG_NS1_7vsmem_tEENKUlT_SE_SF_SG_E_clIS8_S8_S9_S9_EESD_ST_SE_SF_SG_EUlST_E1_NS1_11comp_targetILNS1_3genE0ELNS1_11target_archE4294967295ELNS1_3gpuE0ELNS1_3repE0EEENS1_36merge_oddeven_config_static_selectorELNS0_4arch9wavefront6targetE1EEEvSF_ ; -- Begin function _ZN7rocprim17ROCPRIM_400000_NS6detail17trampoline_kernelINS0_14default_configENS1_38merge_sort_block_merge_config_selectorIcNS0_10empty_typeEEEZZNS1_27merge_sort_block_merge_implIS3_PcPS5_jNS1_19radix_merge_compareILb1ELb1EcNS0_19identity_decomposerEEEEE10hipError_tT0_T1_T2_jT3_P12ihipStream_tbPNSt15iterator_traitsISE_E10value_typeEPNSK_ISF_E10value_typeEPSG_NS1_7vsmem_tEENKUlT_SE_SF_SG_E_clIS8_S8_S9_S9_EESD_ST_SE_SF_SG_EUlST_E1_NS1_11comp_targetILNS1_3genE0ELNS1_11target_archE4294967295ELNS1_3gpuE0ELNS1_3repE0EEENS1_36merge_oddeven_config_static_selectorELNS0_4arch9wavefront6targetE1EEEvSF_
	.globl	_ZN7rocprim17ROCPRIM_400000_NS6detail17trampoline_kernelINS0_14default_configENS1_38merge_sort_block_merge_config_selectorIcNS0_10empty_typeEEEZZNS1_27merge_sort_block_merge_implIS3_PcPS5_jNS1_19radix_merge_compareILb1ELb1EcNS0_19identity_decomposerEEEEE10hipError_tT0_T1_T2_jT3_P12ihipStream_tbPNSt15iterator_traitsISE_E10value_typeEPNSK_ISF_E10value_typeEPSG_NS1_7vsmem_tEENKUlT_SE_SF_SG_E_clIS8_S8_S9_S9_EESD_ST_SE_SF_SG_EUlST_E1_NS1_11comp_targetILNS1_3genE0ELNS1_11target_archE4294967295ELNS1_3gpuE0ELNS1_3repE0EEENS1_36merge_oddeven_config_static_selectorELNS0_4arch9wavefront6targetE1EEEvSF_
	.p2align	8
	.type	_ZN7rocprim17ROCPRIM_400000_NS6detail17trampoline_kernelINS0_14default_configENS1_38merge_sort_block_merge_config_selectorIcNS0_10empty_typeEEEZZNS1_27merge_sort_block_merge_implIS3_PcPS5_jNS1_19radix_merge_compareILb1ELb1EcNS0_19identity_decomposerEEEEE10hipError_tT0_T1_T2_jT3_P12ihipStream_tbPNSt15iterator_traitsISE_E10value_typeEPNSK_ISF_E10value_typeEPSG_NS1_7vsmem_tEENKUlT_SE_SF_SG_E_clIS8_S8_S9_S9_EESD_ST_SE_SF_SG_EUlST_E1_NS1_11comp_targetILNS1_3genE0ELNS1_11target_archE4294967295ELNS1_3gpuE0ELNS1_3repE0EEENS1_36merge_oddeven_config_static_selectorELNS0_4arch9wavefront6targetE1EEEvSF_,@function
_ZN7rocprim17ROCPRIM_400000_NS6detail17trampoline_kernelINS0_14default_configENS1_38merge_sort_block_merge_config_selectorIcNS0_10empty_typeEEEZZNS1_27merge_sort_block_merge_implIS3_PcPS5_jNS1_19radix_merge_compareILb1ELb1EcNS0_19identity_decomposerEEEEE10hipError_tT0_T1_T2_jT3_P12ihipStream_tbPNSt15iterator_traitsISE_E10value_typeEPNSK_ISF_E10value_typeEPSG_NS1_7vsmem_tEENKUlT_SE_SF_SG_E_clIS8_S8_S9_S9_EESD_ST_SE_SF_SG_EUlST_E1_NS1_11comp_targetILNS1_3genE0ELNS1_11target_archE4294967295ELNS1_3gpuE0ELNS1_3repE0EEENS1_36merge_oddeven_config_static_selectorELNS0_4arch9wavefront6targetE1EEEvSF_: ; @_ZN7rocprim17ROCPRIM_400000_NS6detail17trampoline_kernelINS0_14default_configENS1_38merge_sort_block_merge_config_selectorIcNS0_10empty_typeEEEZZNS1_27merge_sort_block_merge_implIS3_PcPS5_jNS1_19radix_merge_compareILb1ELb1EcNS0_19identity_decomposerEEEEE10hipError_tT0_T1_T2_jT3_P12ihipStream_tbPNSt15iterator_traitsISE_E10value_typeEPNSK_ISF_E10value_typeEPSG_NS1_7vsmem_tEENKUlT_SE_SF_SG_E_clIS8_S8_S9_S9_EESD_ST_SE_SF_SG_EUlST_E1_NS1_11comp_targetILNS1_3genE0ELNS1_11target_archE4294967295ELNS1_3gpuE0ELNS1_3repE0EEENS1_36merge_oddeven_config_static_selectorELNS0_4arch9wavefront6targetE1EEEvSF_
; %bb.0:
	.section	.rodata,"a",@progbits
	.p2align	6, 0x0
	.amdhsa_kernel _ZN7rocprim17ROCPRIM_400000_NS6detail17trampoline_kernelINS0_14default_configENS1_38merge_sort_block_merge_config_selectorIcNS0_10empty_typeEEEZZNS1_27merge_sort_block_merge_implIS3_PcPS5_jNS1_19radix_merge_compareILb1ELb1EcNS0_19identity_decomposerEEEEE10hipError_tT0_T1_T2_jT3_P12ihipStream_tbPNSt15iterator_traitsISE_E10value_typeEPNSK_ISF_E10value_typeEPSG_NS1_7vsmem_tEENKUlT_SE_SF_SG_E_clIS8_S8_S9_S9_EESD_ST_SE_SF_SG_EUlST_E1_NS1_11comp_targetILNS1_3genE0ELNS1_11target_archE4294967295ELNS1_3gpuE0ELNS1_3repE0EEENS1_36merge_oddeven_config_static_selectorELNS0_4arch9wavefront6targetE1EEEvSF_
		.amdhsa_group_segment_fixed_size 0
		.amdhsa_private_segment_fixed_size 0
		.amdhsa_kernarg_size 48
		.amdhsa_user_sgpr_count 6
		.amdhsa_user_sgpr_private_segment_buffer 1
		.amdhsa_user_sgpr_dispatch_ptr 0
		.amdhsa_user_sgpr_queue_ptr 0
		.amdhsa_user_sgpr_kernarg_segment_ptr 1
		.amdhsa_user_sgpr_dispatch_id 0
		.amdhsa_user_sgpr_flat_scratch_init 0
		.amdhsa_user_sgpr_kernarg_preload_length 0
		.amdhsa_user_sgpr_kernarg_preload_offset 0
		.amdhsa_user_sgpr_private_segment_size 0
		.amdhsa_uses_dynamic_stack 0
		.amdhsa_system_sgpr_private_segment_wavefront_offset 0
		.amdhsa_system_sgpr_workgroup_id_x 1
		.amdhsa_system_sgpr_workgroup_id_y 0
		.amdhsa_system_sgpr_workgroup_id_z 0
		.amdhsa_system_sgpr_workgroup_info 0
		.amdhsa_system_vgpr_workitem_id 0
		.amdhsa_next_free_vgpr 1
		.amdhsa_next_free_sgpr 0
		.amdhsa_accum_offset 4
		.amdhsa_reserve_vcc 0
		.amdhsa_reserve_flat_scratch 0
		.amdhsa_float_round_mode_32 0
		.amdhsa_float_round_mode_16_64 0
		.amdhsa_float_denorm_mode_32 3
		.amdhsa_float_denorm_mode_16_64 3
		.amdhsa_dx10_clamp 1
		.amdhsa_ieee_mode 1
		.amdhsa_fp16_overflow 0
		.amdhsa_tg_split 0
		.amdhsa_exception_fp_ieee_invalid_op 0
		.amdhsa_exception_fp_denorm_src 0
		.amdhsa_exception_fp_ieee_div_zero 0
		.amdhsa_exception_fp_ieee_overflow 0
		.amdhsa_exception_fp_ieee_underflow 0
		.amdhsa_exception_fp_ieee_inexact 0
		.amdhsa_exception_int_div_zero 0
	.end_amdhsa_kernel
	.section	.text._ZN7rocprim17ROCPRIM_400000_NS6detail17trampoline_kernelINS0_14default_configENS1_38merge_sort_block_merge_config_selectorIcNS0_10empty_typeEEEZZNS1_27merge_sort_block_merge_implIS3_PcPS5_jNS1_19radix_merge_compareILb1ELb1EcNS0_19identity_decomposerEEEEE10hipError_tT0_T1_T2_jT3_P12ihipStream_tbPNSt15iterator_traitsISE_E10value_typeEPNSK_ISF_E10value_typeEPSG_NS1_7vsmem_tEENKUlT_SE_SF_SG_E_clIS8_S8_S9_S9_EESD_ST_SE_SF_SG_EUlST_E1_NS1_11comp_targetILNS1_3genE0ELNS1_11target_archE4294967295ELNS1_3gpuE0ELNS1_3repE0EEENS1_36merge_oddeven_config_static_selectorELNS0_4arch9wavefront6targetE1EEEvSF_,"axG",@progbits,_ZN7rocprim17ROCPRIM_400000_NS6detail17trampoline_kernelINS0_14default_configENS1_38merge_sort_block_merge_config_selectorIcNS0_10empty_typeEEEZZNS1_27merge_sort_block_merge_implIS3_PcPS5_jNS1_19radix_merge_compareILb1ELb1EcNS0_19identity_decomposerEEEEE10hipError_tT0_T1_T2_jT3_P12ihipStream_tbPNSt15iterator_traitsISE_E10value_typeEPNSK_ISF_E10value_typeEPSG_NS1_7vsmem_tEENKUlT_SE_SF_SG_E_clIS8_S8_S9_S9_EESD_ST_SE_SF_SG_EUlST_E1_NS1_11comp_targetILNS1_3genE0ELNS1_11target_archE4294967295ELNS1_3gpuE0ELNS1_3repE0EEENS1_36merge_oddeven_config_static_selectorELNS0_4arch9wavefront6targetE1EEEvSF_,comdat
.Lfunc_end1521:
	.size	_ZN7rocprim17ROCPRIM_400000_NS6detail17trampoline_kernelINS0_14default_configENS1_38merge_sort_block_merge_config_selectorIcNS0_10empty_typeEEEZZNS1_27merge_sort_block_merge_implIS3_PcPS5_jNS1_19radix_merge_compareILb1ELb1EcNS0_19identity_decomposerEEEEE10hipError_tT0_T1_T2_jT3_P12ihipStream_tbPNSt15iterator_traitsISE_E10value_typeEPNSK_ISF_E10value_typeEPSG_NS1_7vsmem_tEENKUlT_SE_SF_SG_E_clIS8_S8_S9_S9_EESD_ST_SE_SF_SG_EUlST_E1_NS1_11comp_targetILNS1_3genE0ELNS1_11target_archE4294967295ELNS1_3gpuE0ELNS1_3repE0EEENS1_36merge_oddeven_config_static_selectorELNS0_4arch9wavefront6targetE1EEEvSF_, .Lfunc_end1521-_ZN7rocprim17ROCPRIM_400000_NS6detail17trampoline_kernelINS0_14default_configENS1_38merge_sort_block_merge_config_selectorIcNS0_10empty_typeEEEZZNS1_27merge_sort_block_merge_implIS3_PcPS5_jNS1_19radix_merge_compareILb1ELb1EcNS0_19identity_decomposerEEEEE10hipError_tT0_T1_T2_jT3_P12ihipStream_tbPNSt15iterator_traitsISE_E10value_typeEPNSK_ISF_E10value_typeEPSG_NS1_7vsmem_tEENKUlT_SE_SF_SG_E_clIS8_S8_S9_S9_EESD_ST_SE_SF_SG_EUlST_E1_NS1_11comp_targetILNS1_3genE0ELNS1_11target_archE4294967295ELNS1_3gpuE0ELNS1_3repE0EEENS1_36merge_oddeven_config_static_selectorELNS0_4arch9wavefront6targetE1EEEvSF_
                                        ; -- End function
	.section	.AMDGPU.csdata,"",@progbits
; Kernel info:
; codeLenInByte = 0
; NumSgprs: 4
; NumVgprs: 0
; NumAgprs: 0
; TotalNumVgprs: 0
; ScratchSize: 0
; MemoryBound: 0
; FloatMode: 240
; IeeeMode: 1
; LDSByteSize: 0 bytes/workgroup (compile time only)
; SGPRBlocks: 0
; VGPRBlocks: 0
; NumSGPRsForWavesPerEU: 4
; NumVGPRsForWavesPerEU: 1
; AccumOffset: 4
; Occupancy: 8
; WaveLimiterHint : 0
; COMPUTE_PGM_RSRC2:SCRATCH_EN: 0
; COMPUTE_PGM_RSRC2:USER_SGPR: 6
; COMPUTE_PGM_RSRC2:TRAP_HANDLER: 0
; COMPUTE_PGM_RSRC2:TGID_X_EN: 1
; COMPUTE_PGM_RSRC2:TGID_Y_EN: 0
; COMPUTE_PGM_RSRC2:TGID_Z_EN: 0
; COMPUTE_PGM_RSRC2:TIDIG_COMP_CNT: 0
; COMPUTE_PGM_RSRC3_GFX90A:ACCUM_OFFSET: 0
; COMPUTE_PGM_RSRC3_GFX90A:TG_SPLIT: 0
	.section	.text._ZN7rocprim17ROCPRIM_400000_NS6detail17trampoline_kernelINS0_14default_configENS1_38merge_sort_block_merge_config_selectorIcNS0_10empty_typeEEEZZNS1_27merge_sort_block_merge_implIS3_PcPS5_jNS1_19radix_merge_compareILb1ELb1EcNS0_19identity_decomposerEEEEE10hipError_tT0_T1_T2_jT3_P12ihipStream_tbPNSt15iterator_traitsISE_E10value_typeEPNSK_ISF_E10value_typeEPSG_NS1_7vsmem_tEENKUlT_SE_SF_SG_E_clIS8_S8_S9_S9_EESD_ST_SE_SF_SG_EUlST_E1_NS1_11comp_targetILNS1_3genE10ELNS1_11target_archE1201ELNS1_3gpuE5ELNS1_3repE0EEENS1_36merge_oddeven_config_static_selectorELNS0_4arch9wavefront6targetE1EEEvSF_,"axG",@progbits,_ZN7rocprim17ROCPRIM_400000_NS6detail17trampoline_kernelINS0_14default_configENS1_38merge_sort_block_merge_config_selectorIcNS0_10empty_typeEEEZZNS1_27merge_sort_block_merge_implIS3_PcPS5_jNS1_19radix_merge_compareILb1ELb1EcNS0_19identity_decomposerEEEEE10hipError_tT0_T1_T2_jT3_P12ihipStream_tbPNSt15iterator_traitsISE_E10value_typeEPNSK_ISF_E10value_typeEPSG_NS1_7vsmem_tEENKUlT_SE_SF_SG_E_clIS8_S8_S9_S9_EESD_ST_SE_SF_SG_EUlST_E1_NS1_11comp_targetILNS1_3genE10ELNS1_11target_archE1201ELNS1_3gpuE5ELNS1_3repE0EEENS1_36merge_oddeven_config_static_selectorELNS0_4arch9wavefront6targetE1EEEvSF_,comdat
	.protected	_ZN7rocprim17ROCPRIM_400000_NS6detail17trampoline_kernelINS0_14default_configENS1_38merge_sort_block_merge_config_selectorIcNS0_10empty_typeEEEZZNS1_27merge_sort_block_merge_implIS3_PcPS5_jNS1_19radix_merge_compareILb1ELb1EcNS0_19identity_decomposerEEEEE10hipError_tT0_T1_T2_jT3_P12ihipStream_tbPNSt15iterator_traitsISE_E10value_typeEPNSK_ISF_E10value_typeEPSG_NS1_7vsmem_tEENKUlT_SE_SF_SG_E_clIS8_S8_S9_S9_EESD_ST_SE_SF_SG_EUlST_E1_NS1_11comp_targetILNS1_3genE10ELNS1_11target_archE1201ELNS1_3gpuE5ELNS1_3repE0EEENS1_36merge_oddeven_config_static_selectorELNS0_4arch9wavefront6targetE1EEEvSF_ ; -- Begin function _ZN7rocprim17ROCPRIM_400000_NS6detail17trampoline_kernelINS0_14default_configENS1_38merge_sort_block_merge_config_selectorIcNS0_10empty_typeEEEZZNS1_27merge_sort_block_merge_implIS3_PcPS5_jNS1_19radix_merge_compareILb1ELb1EcNS0_19identity_decomposerEEEEE10hipError_tT0_T1_T2_jT3_P12ihipStream_tbPNSt15iterator_traitsISE_E10value_typeEPNSK_ISF_E10value_typeEPSG_NS1_7vsmem_tEENKUlT_SE_SF_SG_E_clIS8_S8_S9_S9_EESD_ST_SE_SF_SG_EUlST_E1_NS1_11comp_targetILNS1_3genE10ELNS1_11target_archE1201ELNS1_3gpuE5ELNS1_3repE0EEENS1_36merge_oddeven_config_static_selectorELNS0_4arch9wavefront6targetE1EEEvSF_
	.globl	_ZN7rocprim17ROCPRIM_400000_NS6detail17trampoline_kernelINS0_14default_configENS1_38merge_sort_block_merge_config_selectorIcNS0_10empty_typeEEEZZNS1_27merge_sort_block_merge_implIS3_PcPS5_jNS1_19radix_merge_compareILb1ELb1EcNS0_19identity_decomposerEEEEE10hipError_tT0_T1_T2_jT3_P12ihipStream_tbPNSt15iterator_traitsISE_E10value_typeEPNSK_ISF_E10value_typeEPSG_NS1_7vsmem_tEENKUlT_SE_SF_SG_E_clIS8_S8_S9_S9_EESD_ST_SE_SF_SG_EUlST_E1_NS1_11comp_targetILNS1_3genE10ELNS1_11target_archE1201ELNS1_3gpuE5ELNS1_3repE0EEENS1_36merge_oddeven_config_static_selectorELNS0_4arch9wavefront6targetE1EEEvSF_
	.p2align	8
	.type	_ZN7rocprim17ROCPRIM_400000_NS6detail17trampoline_kernelINS0_14default_configENS1_38merge_sort_block_merge_config_selectorIcNS0_10empty_typeEEEZZNS1_27merge_sort_block_merge_implIS3_PcPS5_jNS1_19radix_merge_compareILb1ELb1EcNS0_19identity_decomposerEEEEE10hipError_tT0_T1_T2_jT3_P12ihipStream_tbPNSt15iterator_traitsISE_E10value_typeEPNSK_ISF_E10value_typeEPSG_NS1_7vsmem_tEENKUlT_SE_SF_SG_E_clIS8_S8_S9_S9_EESD_ST_SE_SF_SG_EUlST_E1_NS1_11comp_targetILNS1_3genE10ELNS1_11target_archE1201ELNS1_3gpuE5ELNS1_3repE0EEENS1_36merge_oddeven_config_static_selectorELNS0_4arch9wavefront6targetE1EEEvSF_,@function
_ZN7rocprim17ROCPRIM_400000_NS6detail17trampoline_kernelINS0_14default_configENS1_38merge_sort_block_merge_config_selectorIcNS0_10empty_typeEEEZZNS1_27merge_sort_block_merge_implIS3_PcPS5_jNS1_19radix_merge_compareILb1ELb1EcNS0_19identity_decomposerEEEEE10hipError_tT0_T1_T2_jT3_P12ihipStream_tbPNSt15iterator_traitsISE_E10value_typeEPNSK_ISF_E10value_typeEPSG_NS1_7vsmem_tEENKUlT_SE_SF_SG_E_clIS8_S8_S9_S9_EESD_ST_SE_SF_SG_EUlST_E1_NS1_11comp_targetILNS1_3genE10ELNS1_11target_archE1201ELNS1_3gpuE5ELNS1_3repE0EEENS1_36merge_oddeven_config_static_selectorELNS0_4arch9wavefront6targetE1EEEvSF_: ; @_ZN7rocprim17ROCPRIM_400000_NS6detail17trampoline_kernelINS0_14default_configENS1_38merge_sort_block_merge_config_selectorIcNS0_10empty_typeEEEZZNS1_27merge_sort_block_merge_implIS3_PcPS5_jNS1_19radix_merge_compareILb1ELb1EcNS0_19identity_decomposerEEEEE10hipError_tT0_T1_T2_jT3_P12ihipStream_tbPNSt15iterator_traitsISE_E10value_typeEPNSK_ISF_E10value_typeEPSG_NS1_7vsmem_tEENKUlT_SE_SF_SG_E_clIS8_S8_S9_S9_EESD_ST_SE_SF_SG_EUlST_E1_NS1_11comp_targetILNS1_3genE10ELNS1_11target_archE1201ELNS1_3gpuE5ELNS1_3repE0EEENS1_36merge_oddeven_config_static_selectorELNS0_4arch9wavefront6targetE1EEEvSF_
; %bb.0:
	.section	.rodata,"a",@progbits
	.p2align	6, 0x0
	.amdhsa_kernel _ZN7rocprim17ROCPRIM_400000_NS6detail17trampoline_kernelINS0_14default_configENS1_38merge_sort_block_merge_config_selectorIcNS0_10empty_typeEEEZZNS1_27merge_sort_block_merge_implIS3_PcPS5_jNS1_19radix_merge_compareILb1ELb1EcNS0_19identity_decomposerEEEEE10hipError_tT0_T1_T2_jT3_P12ihipStream_tbPNSt15iterator_traitsISE_E10value_typeEPNSK_ISF_E10value_typeEPSG_NS1_7vsmem_tEENKUlT_SE_SF_SG_E_clIS8_S8_S9_S9_EESD_ST_SE_SF_SG_EUlST_E1_NS1_11comp_targetILNS1_3genE10ELNS1_11target_archE1201ELNS1_3gpuE5ELNS1_3repE0EEENS1_36merge_oddeven_config_static_selectorELNS0_4arch9wavefront6targetE1EEEvSF_
		.amdhsa_group_segment_fixed_size 0
		.amdhsa_private_segment_fixed_size 0
		.amdhsa_kernarg_size 48
		.amdhsa_user_sgpr_count 6
		.amdhsa_user_sgpr_private_segment_buffer 1
		.amdhsa_user_sgpr_dispatch_ptr 0
		.amdhsa_user_sgpr_queue_ptr 0
		.amdhsa_user_sgpr_kernarg_segment_ptr 1
		.amdhsa_user_sgpr_dispatch_id 0
		.amdhsa_user_sgpr_flat_scratch_init 0
		.amdhsa_user_sgpr_kernarg_preload_length 0
		.amdhsa_user_sgpr_kernarg_preload_offset 0
		.amdhsa_user_sgpr_private_segment_size 0
		.amdhsa_uses_dynamic_stack 0
		.amdhsa_system_sgpr_private_segment_wavefront_offset 0
		.amdhsa_system_sgpr_workgroup_id_x 1
		.amdhsa_system_sgpr_workgroup_id_y 0
		.amdhsa_system_sgpr_workgroup_id_z 0
		.amdhsa_system_sgpr_workgroup_info 0
		.amdhsa_system_vgpr_workitem_id 0
		.amdhsa_next_free_vgpr 1
		.amdhsa_next_free_sgpr 0
		.amdhsa_accum_offset 4
		.amdhsa_reserve_vcc 0
		.amdhsa_reserve_flat_scratch 0
		.amdhsa_float_round_mode_32 0
		.amdhsa_float_round_mode_16_64 0
		.amdhsa_float_denorm_mode_32 3
		.amdhsa_float_denorm_mode_16_64 3
		.amdhsa_dx10_clamp 1
		.amdhsa_ieee_mode 1
		.amdhsa_fp16_overflow 0
		.amdhsa_tg_split 0
		.amdhsa_exception_fp_ieee_invalid_op 0
		.amdhsa_exception_fp_denorm_src 0
		.amdhsa_exception_fp_ieee_div_zero 0
		.amdhsa_exception_fp_ieee_overflow 0
		.amdhsa_exception_fp_ieee_underflow 0
		.amdhsa_exception_fp_ieee_inexact 0
		.amdhsa_exception_int_div_zero 0
	.end_amdhsa_kernel
	.section	.text._ZN7rocprim17ROCPRIM_400000_NS6detail17trampoline_kernelINS0_14default_configENS1_38merge_sort_block_merge_config_selectorIcNS0_10empty_typeEEEZZNS1_27merge_sort_block_merge_implIS3_PcPS5_jNS1_19radix_merge_compareILb1ELb1EcNS0_19identity_decomposerEEEEE10hipError_tT0_T1_T2_jT3_P12ihipStream_tbPNSt15iterator_traitsISE_E10value_typeEPNSK_ISF_E10value_typeEPSG_NS1_7vsmem_tEENKUlT_SE_SF_SG_E_clIS8_S8_S9_S9_EESD_ST_SE_SF_SG_EUlST_E1_NS1_11comp_targetILNS1_3genE10ELNS1_11target_archE1201ELNS1_3gpuE5ELNS1_3repE0EEENS1_36merge_oddeven_config_static_selectorELNS0_4arch9wavefront6targetE1EEEvSF_,"axG",@progbits,_ZN7rocprim17ROCPRIM_400000_NS6detail17trampoline_kernelINS0_14default_configENS1_38merge_sort_block_merge_config_selectorIcNS0_10empty_typeEEEZZNS1_27merge_sort_block_merge_implIS3_PcPS5_jNS1_19radix_merge_compareILb1ELb1EcNS0_19identity_decomposerEEEEE10hipError_tT0_T1_T2_jT3_P12ihipStream_tbPNSt15iterator_traitsISE_E10value_typeEPNSK_ISF_E10value_typeEPSG_NS1_7vsmem_tEENKUlT_SE_SF_SG_E_clIS8_S8_S9_S9_EESD_ST_SE_SF_SG_EUlST_E1_NS1_11comp_targetILNS1_3genE10ELNS1_11target_archE1201ELNS1_3gpuE5ELNS1_3repE0EEENS1_36merge_oddeven_config_static_selectorELNS0_4arch9wavefront6targetE1EEEvSF_,comdat
.Lfunc_end1522:
	.size	_ZN7rocprim17ROCPRIM_400000_NS6detail17trampoline_kernelINS0_14default_configENS1_38merge_sort_block_merge_config_selectorIcNS0_10empty_typeEEEZZNS1_27merge_sort_block_merge_implIS3_PcPS5_jNS1_19radix_merge_compareILb1ELb1EcNS0_19identity_decomposerEEEEE10hipError_tT0_T1_T2_jT3_P12ihipStream_tbPNSt15iterator_traitsISE_E10value_typeEPNSK_ISF_E10value_typeEPSG_NS1_7vsmem_tEENKUlT_SE_SF_SG_E_clIS8_S8_S9_S9_EESD_ST_SE_SF_SG_EUlST_E1_NS1_11comp_targetILNS1_3genE10ELNS1_11target_archE1201ELNS1_3gpuE5ELNS1_3repE0EEENS1_36merge_oddeven_config_static_selectorELNS0_4arch9wavefront6targetE1EEEvSF_, .Lfunc_end1522-_ZN7rocprim17ROCPRIM_400000_NS6detail17trampoline_kernelINS0_14default_configENS1_38merge_sort_block_merge_config_selectorIcNS0_10empty_typeEEEZZNS1_27merge_sort_block_merge_implIS3_PcPS5_jNS1_19radix_merge_compareILb1ELb1EcNS0_19identity_decomposerEEEEE10hipError_tT0_T1_T2_jT3_P12ihipStream_tbPNSt15iterator_traitsISE_E10value_typeEPNSK_ISF_E10value_typeEPSG_NS1_7vsmem_tEENKUlT_SE_SF_SG_E_clIS8_S8_S9_S9_EESD_ST_SE_SF_SG_EUlST_E1_NS1_11comp_targetILNS1_3genE10ELNS1_11target_archE1201ELNS1_3gpuE5ELNS1_3repE0EEENS1_36merge_oddeven_config_static_selectorELNS0_4arch9wavefront6targetE1EEEvSF_
                                        ; -- End function
	.section	.AMDGPU.csdata,"",@progbits
; Kernel info:
; codeLenInByte = 0
; NumSgprs: 4
; NumVgprs: 0
; NumAgprs: 0
; TotalNumVgprs: 0
; ScratchSize: 0
; MemoryBound: 0
; FloatMode: 240
; IeeeMode: 1
; LDSByteSize: 0 bytes/workgroup (compile time only)
; SGPRBlocks: 0
; VGPRBlocks: 0
; NumSGPRsForWavesPerEU: 4
; NumVGPRsForWavesPerEU: 1
; AccumOffset: 4
; Occupancy: 8
; WaveLimiterHint : 0
; COMPUTE_PGM_RSRC2:SCRATCH_EN: 0
; COMPUTE_PGM_RSRC2:USER_SGPR: 6
; COMPUTE_PGM_RSRC2:TRAP_HANDLER: 0
; COMPUTE_PGM_RSRC2:TGID_X_EN: 1
; COMPUTE_PGM_RSRC2:TGID_Y_EN: 0
; COMPUTE_PGM_RSRC2:TGID_Z_EN: 0
; COMPUTE_PGM_RSRC2:TIDIG_COMP_CNT: 0
; COMPUTE_PGM_RSRC3_GFX90A:ACCUM_OFFSET: 0
; COMPUTE_PGM_RSRC3_GFX90A:TG_SPLIT: 0
	.section	.text._ZN7rocprim17ROCPRIM_400000_NS6detail17trampoline_kernelINS0_14default_configENS1_38merge_sort_block_merge_config_selectorIcNS0_10empty_typeEEEZZNS1_27merge_sort_block_merge_implIS3_PcPS5_jNS1_19radix_merge_compareILb1ELb1EcNS0_19identity_decomposerEEEEE10hipError_tT0_T1_T2_jT3_P12ihipStream_tbPNSt15iterator_traitsISE_E10value_typeEPNSK_ISF_E10value_typeEPSG_NS1_7vsmem_tEENKUlT_SE_SF_SG_E_clIS8_S8_S9_S9_EESD_ST_SE_SF_SG_EUlST_E1_NS1_11comp_targetILNS1_3genE5ELNS1_11target_archE942ELNS1_3gpuE9ELNS1_3repE0EEENS1_36merge_oddeven_config_static_selectorELNS0_4arch9wavefront6targetE1EEEvSF_,"axG",@progbits,_ZN7rocprim17ROCPRIM_400000_NS6detail17trampoline_kernelINS0_14default_configENS1_38merge_sort_block_merge_config_selectorIcNS0_10empty_typeEEEZZNS1_27merge_sort_block_merge_implIS3_PcPS5_jNS1_19radix_merge_compareILb1ELb1EcNS0_19identity_decomposerEEEEE10hipError_tT0_T1_T2_jT3_P12ihipStream_tbPNSt15iterator_traitsISE_E10value_typeEPNSK_ISF_E10value_typeEPSG_NS1_7vsmem_tEENKUlT_SE_SF_SG_E_clIS8_S8_S9_S9_EESD_ST_SE_SF_SG_EUlST_E1_NS1_11comp_targetILNS1_3genE5ELNS1_11target_archE942ELNS1_3gpuE9ELNS1_3repE0EEENS1_36merge_oddeven_config_static_selectorELNS0_4arch9wavefront6targetE1EEEvSF_,comdat
	.protected	_ZN7rocprim17ROCPRIM_400000_NS6detail17trampoline_kernelINS0_14default_configENS1_38merge_sort_block_merge_config_selectorIcNS0_10empty_typeEEEZZNS1_27merge_sort_block_merge_implIS3_PcPS5_jNS1_19radix_merge_compareILb1ELb1EcNS0_19identity_decomposerEEEEE10hipError_tT0_T1_T2_jT3_P12ihipStream_tbPNSt15iterator_traitsISE_E10value_typeEPNSK_ISF_E10value_typeEPSG_NS1_7vsmem_tEENKUlT_SE_SF_SG_E_clIS8_S8_S9_S9_EESD_ST_SE_SF_SG_EUlST_E1_NS1_11comp_targetILNS1_3genE5ELNS1_11target_archE942ELNS1_3gpuE9ELNS1_3repE0EEENS1_36merge_oddeven_config_static_selectorELNS0_4arch9wavefront6targetE1EEEvSF_ ; -- Begin function _ZN7rocprim17ROCPRIM_400000_NS6detail17trampoline_kernelINS0_14default_configENS1_38merge_sort_block_merge_config_selectorIcNS0_10empty_typeEEEZZNS1_27merge_sort_block_merge_implIS3_PcPS5_jNS1_19radix_merge_compareILb1ELb1EcNS0_19identity_decomposerEEEEE10hipError_tT0_T1_T2_jT3_P12ihipStream_tbPNSt15iterator_traitsISE_E10value_typeEPNSK_ISF_E10value_typeEPSG_NS1_7vsmem_tEENKUlT_SE_SF_SG_E_clIS8_S8_S9_S9_EESD_ST_SE_SF_SG_EUlST_E1_NS1_11comp_targetILNS1_3genE5ELNS1_11target_archE942ELNS1_3gpuE9ELNS1_3repE0EEENS1_36merge_oddeven_config_static_selectorELNS0_4arch9wavefront6targetE1EEEvSF_
	.globl	_ZN7rocprim17ROCPRIM_400000_NS6detail17trampoline_kernelINS0_14default_configENS1_38merge_sort_block_merge_config_selectorIcNS0_10empty_typeEEEZZNS1_27merge_sort_block_merge_implIS3_PcPS5_jNS1_19radix_merge_compareILb1ELb1EcNS0_19identity_decomposerEEEEE10hipError_tT0_T1_T2_jT3_P12ihipStream_tbPNSt15iterator_traitsISE_E10value_typeEPNSK_ISF_E10value_typeEPSG_NS1_7vsmem_tEENKUlT_SE_SF_SG_E_clIS8_S8_S9_S9_EESD_ST_SE_SF_SG_EUlST_E1_NS1_11comp_targetILNS1_3genE5ELNS1_11target_archE942ELNS1_3gpuE9ELNS1_3repE0EEENS1_36merge_oddeven_config_static_selectorELNS0_4arch9wavefront6targetE1EEEvSF_
	.p2align	8
	.type	_ZN7rocprim17ROCPRIM_400000_NS6detail17trampoline_kernelINS0_14default_configENS1_38merge_sort_block_merge_config_selectorIcNS0_10empty_typeEEEZZNS1_27merge_sort_block_merge_implIS3_PcPS5_jNS1_19radix_merge_compareILb1ELb1EcNS0_19identity_decomposerEEEEE10hipError_tT0_T1_T2_jT3_P12ihipStream_tbPNSt15iterator_traitsISE_E10value_typeEPNSK_ISF_E10value_typeEPSG_NS1_7vsmem_tEENKUlT_SE_SF_SG_E_clIS8_S8_S9_S9_EESD_ST_SE_SF_SG_EUlST_E1_NS1_11comp_targetILNS1_3genE5ELNS1_11target_archE942ELNS1_3gpuE9ELNS1_3repE0EEENS1_36merge_oddeven_config_static_selectorELNS0_4arch9wavefront6targetE1EEEvSF_,@function
_ZN7rocprim17ROCPRIM_400000_NS6detail17trampoline_kernelINS0_14default_configENS1_38merge_sort_block_merge_config_selectorIcNS0_10empty_typeEEEZZNS1_27merge_sort_block_merge_implIS3_PcPS5_jNS1_19radix_merge_compareILb1ELb1EcNS0_19identity_decomposerEEEEE10hipError_tT0_T1_T2_jT3_P12ihipStream_tbPNSt15iterator_traitsISE_E10value_typeEPNSK_ISF_E10value_typeEPSG_NS1_7vsmem_tEENKUlT_SE_SF_SG_E_clIS8_S8_S9_S9_EESD_ST_SE_SF_SG_EUlST_E1_NS1_11comp_targetILNS1_3genE5ELNS1_11target_archE942ELNS1_3gpuE9ELNS1_3repE0EEENS1_36merge_oddeven_config_static_selectorELNS0_4arch9wavefront6targetE1EEEvSF_: ; @_ZN7rocprim17ROCPRIM_400000_NS6detail17trampoline_kernelINS0_14default_configENS1_38merge_sort_block_merge_config_selectorIcNS0_10empty_typeEEEZZNS1_27merge_sort_block_merge_implIS3_PcPS5_jNS1_19radix_merge_compareILb1ELb1EcNS0_19identity_decomposerEEEEE10hipError_tT0_T1_T2_jT3_P12ihipStream_tbPNSt15iterator_traitsISE_E10value_typeEPNSK_ISF_E10value_typeEPSG_NS1_7vsmem_tEENKUlT_SE_SF_SG_E_clIS8_S8_S9_S9_EESD_ST_SE_SF_SG_EUlST_E1_NS1_11comp_targetILNS1_3genE5ELNS1_11target_archE942ELNS1_3gpuE9ELNS1_3repE0EEENS1_36merge_oddeven_config_static_selectorELNS0_4arch9wavefront6targetE1EEEvSF_
; %bb.0:
	.section	.rodata,"a",@progbits
	.p2align	6, 0x0
	.amdhsa_kernel _ZN7rocprim17ROCPRIM_400000_NS6detail17trampoline_kernelINS0_14default_configENS1_38merge_sort_block_merge_config_selectorIcNS0_10empty_typeEEEZZNS1_27merge_sort_block_merge_implIS3_PcPS5_jNS1_19radix_merge_compareILb1ELb1EcNS0_19identity_decomposerEEEEE10hipError_tT0_T1_T2_jT3_P12ihipStream_tbPNSt15iterator_traitsISE_E10value_typeEPNSK_ISF_E10value_typeEPSG_NS1_7vsmem_tEENKUlT_SE_SF_SG_E_clIS8_S8_S9_S9_EESD_ST_SE_SF_SG_EUlST_E1_NS1_11comp_targetILNS1_3genE5ELNS1_11target_archE942ELNS1_3gpuE9ELNS1_3repE0EEENS1_36merge_oddeven_config_static_selectorELNS0_4arch9wavefront6targetE1EEEvSF_
		.amdhsa_group_segment_fixed_size 0
		.amdhsa_private_segment_fixed_size 0
		.amdhsa_kernarg_size 48
		.amdhsa_user_sgpr_count 6
		.amdhsa_user_sgpr_private_segment_buffer 1
		.amdhsa_user_sgpr_dispatch_ptr 0
		.amdhsa_user_sgpr_queue_ptr 0
		.amdhsa_user_sgpr_kernarg_segment_ptr 1
		.amdhsa_user_sgpr_dispatch_id 0
		.amdhsa_user_sgpr_flat_scratch_init 0
		.amdhsa_user_sgpr_kernarg_preload_length 0
		.amdhsa_user_sgpr_kernarg_preload_offset 0
		.amdhsa_user_sgpr_private_segment_size 0
		.amdhsa_uses_dynamic_stack 0
		.amdhsa_system_sgpr_private_segment_wavefront_offset 0
		.amdhsa_system_sgpr_workgroup_id_x 1
		.amdhsa_system_sgpr_workgroup_id_y 0
		.amdhsa_system_sgpr_workgroup_id_z 0
		.amdhsa_system_sgpr_workgroup_info 0
		.amdhsa_system_vgpr_workitem_id 0
		.amdhsa_next_free_vgpr 1
		.amdhsa_next_free_sgpr 0
		.amdhsa_accum_offset 4
		.amdhsa_reserve_vcc 0
		.amdhsa_reserve_flat_scratch 0
		.amdhsa_float_round_mode_32 0
		.amdhsa_float_round_mode_16_64 0
		.amdhsa_float_denorm_mode_32 3
		.amdhsa_float_denorm_mode_16_64 3
		.amdhsa_dx10_clamp 1
		.amdhsa_ieee_mode 1
		.amdhsa_fp16_overflow 0
		.amdhsa_tg_split 0
		.amdhsa_exception_fp_ieee_invalid_op 0
		.amdhsa_exception_fp_denorm_src 0
		.amdhsa_exception_fp_ieee_div_zero 0
		.amdhsa_exception_fp_ieee_overflow 0
		.amdhsa_exception_fp_ieee_underflow 0
		.amdhsa_exception_fp_ieee_inexact 0
		.amdhsa_exception_int_div_zero 0
	.end_amdhsa_kernel
	.section	.text._ZN7rocprim17ROCPRIM_400000_NS6detail17trampoline_kernelINS0_14default_configENS1_38merge_sort_block_merge_config_selectorIcNS0_10empty_typeEEEZZNS1_27merge_sort_block_merge_implIS3_PcPS5_jNS1_19radix_merge_compareILb1ELb1EcNS0_19identity_decomposerEEEEE10hipError_tT0_T1_T2_jT3_P12ihipStream_tbPNSt15iterator_traitsISE_E10value_typeEPNSK_ISF_E10value_typeEPSG_NS1_7vsmem_tEENKUlT_SE_SF_SG_E_clIS8_S8_S9_S9_EESD_ST_SE_SF_SG_EUlST_E1_NS1_11comp_targetILNS1_3genE5ELNS1_11target_archE942ELNS1_3gpuE9ELNS1_3repE0EEENS1_36merge_oddeven_config_static_selectorELNS0_4arch9wavefront6targetE1EEEvSF_,"axG",@progbits,_ZN7rocprim17ROCPRIM_400000_NS6detail17trampoline_kernelINS0_14default_configENS1_38merge_sort_block_merge_config_selectorIcNS0_10empty_typeEEEZZNS1_27merge_sort_block_merge_implIS3_PcPS5_jNS1_19radix_merge_compareILb1ELb1EcNS0_19identity_decomposerEEEEE10hipError_tT0_T1_T2_jT3_P12ihipStream_tbPNSt15iterator_traitsISE_E10value_typeEPNSK_ISF_E10value_typeEPSG_NS1_7vsmem_tEENKUlT_SE_SF_SG_E_clIS8_S8_S9_S9_EESD_ST_SE_SF_SG_EUlST_E1_NS1_11comp_targetILNS1_3genE5ELNS1_11target_archE942ELNS1_3gpuE9ELNS1_3repE0EEENS1_36merge_oddeven_config_static_selectorELNS0_4arch9wavefront6targetE1EEEvSF_,comdat
.Lfunc_end1523:
	.size	_ZN7rocprim17ROCPRIM_400000_NS6detail17trampoline_kernelINS0_14default_configENS1_38merge_sort_block_merge_config_selectorIcNS0_10empty_typeEEEZZNS1_27merge_sort_block_merge_implIS3_PcPS5_jNS1_19radix_merge_compareILb1ELb1EcNS0_19identity_decomposerEEEEE10hipError_tT0_T1_T2_jT3_P12ihipStream_tbPNSt15iterator_traitsISE_E10value_typeEPNSK_ISF_E10value_typeEPSG_NS1_7vsmem_tEENKUlT_SE_SF_SG_E_clIS8_S8_S9_S9_EESD_ST_SE_SF_SG_EUlST_E1_NS1_11comp_targetILNS1_3genE5ELNS1_11target_archE942ELNS1_3gpuE9ELNS1_3repE0EEENS1_36merge_oddeven_config_static_selectorELNS0_4arch9wavefront6targetE1EEEvSF_, .Lfunc_end1523-_ZN7rocprim17ROCPRIM_400000_NS6detail17trampoline_kernelINS0_14default_configENS1_38merge_sort_block_merge_config_selectorIcNS0_10empty_typeEEEZZNS1_27merge_sort_block_merge_implIS3_PcPS5_jNS1_19radix_merge_compareILb1ELb1EcNS0_19identity_decomposerEEEEE10hipError_tT0_T1_T2_jT3_P12ihipStream_tbPNSt15iterator_traitsISE_E10value_typeEPNSK_ISF_E10value_typeEPSG_NS1_7vsmem_tEENKUlT_SE_SF_SG_E_clIS8_S8_S9_S9_EESD_ST_SE_SF_SG_EUlST_E1_NS1_11comp_targetILNS1_3genE5ELNS1_11target_archE942ELNS1_3gpuE9ELNS1_3repE0EEENS1_36merge_oddeven_config_static_selectorELNS0_4arch9wavefront6targetE1EEEvSF_
                                        ; -- End function
	.section	.AMDGPU.csdata,"",@progbits
; Kernel info:
; codeLenInByte = 0
; NumSgprs: 4
; NumVgprs: 0
; NumAgprs: 0
; TotalNumVgprs: 0
; ScratchSize: 0
; MemoryBound: 0
; FloatMode: 240
; IeeeMode: 1
; LDSByteSize: 0 bytes/workgroup (compile time only)
; SGPRBlocks: 0
; VGPRBlocks: 0
; NumSGPRsForWavesPerEU: 4
; NumVGPRsForWavesPerEU: 1
; AccumOffset: 4
; Occupancy: 8
; WaveLimiterHint : 0
; COMPUTE_PGM_RSRC2:SCRATCH_EN: 0
; COMPUTE_PGM_RSRC2:USER_SGPR: 6
; COMPUTE_PGM_RSRC2:TRAP_HANDLER: 0
; COMPUTE_PGM_RSRC2:TGID_X_EN: 1
; COMPUTE_PGM_RSRC2:TGID_Y_EN: 0
; COMPUTE_PGM_RSRC2:TGID_Z_EN: 0
; COMPUTE_PGM_RSRC2:TIDIG_COMP_CNT: 0
; COMPUTE_PGM_RSRC3_GFX90A:ACCUM_OFFSET: 0
; COMPUTE_PGM_RSRC3_GFX90A:TG_SPLIT: 0
	.section	.text._ZN7rocprim17ROCPRIM_400000_NS6detail17trampoline_kernelINS0_14default_configENS1_38merge_sort_block_merge_config_selectorIcNS0_10empty_typeEEEZZNS1_27merge_sort_block_merge_implIS3_PcPS5_jNS1_19radix_merge_compareILb1ELb1EcNS0_19identity_decomposerEEEEE10hipError_tT0_T1_T2_jT3_P12ihipStream_tbPNSt15iterator_traitsISE_E10value_typeEPNSK_ISF_E10value_typeEPSG_NS1_7vsmem_tEENKUlT_SE_SF_SG_E_clIS8_S8_S9_S9_EESD_ST_SE_SF_SG_EUlST_E1_NS1_11comp_targetILNS1_3genE4ELNS1_11target_archE910ELNS1_3gpuE8ELNS1_3repE0EEENS1_36merge_oddeven_config_static_selectorELNS0_4arch9wavefront6targetE1EEEvSF_,"axG",@progbits,_ZN7rocprim17ROCPRIM_400000_NS6detail17trampoline_kernelINS0_14default_configENS1_38merge_sort_block_merge_config_selectorIcNS0_10empty_typeEEEZZNS1_27merge_sort_block_merge_implIS3_PcPS5_jNS1_19radix_merge_compareILb1ELb1EcNS0_19identity_decomposerEEEEE10hipError_tT0_T1_T2_jT3_P12ihipStream_tbPNSt15iterator_traitsISE_E10value_typeEPNSK_ISF_E10value_typeEPSG_NS1_7vsmem_tEENKUlT_SE_SF_SG_E_clIS8_S8_S9_S9_EESD_ST_SE_SF_SG_EUlST_E1_NS1_11comp_targetILNS1_3genE4ELNS1_11target_archE910ELNS1_3gpuE8ELNS1_3repE0EEENS1_36merge_oddeven_config_static_selectorELNS0_4arch9wavefront6targetE1EEEvSF_,comdat
	.protected	_ZN7rocprim17ROCPRIM_400000_NS6detail17trampoline_kernelINS0_14default_configENS1_38merge_sort_block_merge_config_selectorIcNS0_10empty_typeEEEZZNS1_27merge_sort_block_merge_implIS3_PcPS5_jNS1_19radix_merge_compareILb1ELb1EcNS0_19identity_decomposerEEEEE10hipError_tT0_T1_T2_jT3_P12ihipStream_tbPNSt15iterator_traitsISE_E10value_typeEPNSK_ISF_E10value_typeEPSG_NS1_7vsmem_tEENKUlT_SE_SF_SG_E_clIS8_S8_S9_S9_EESD_ST_SE_SF_SG_EUlST_E1_NS1_11comp_targetILNS1_3genE4ELNS1_11target_archE910ELNS1_3gpuE8ELNS1_3repE0EEENS1_36merge_oddeven_config_static_selectorELNS0_4arch9wavefront6targetE1EEEvSF_ ; -- Begin function _ZN7rocprim17ROCPRIM_400000_NS6detail17trampoline_kernelINS0_14default_configENS1_38merge_sort_block_merge_config_selectorIcNS0_10empty_typeEEEZZNS1_27merge_sort_block_merge_implIS3_PcPS5_jNS1_19radix_merge_compareILb1ELb1EcNS0_19identity_decomposerEEEEE10hipError_tT0_T1_T2_jT3_P12ihipStream_tbPNSt15iterator_traitsISE_E10value_typeEPNSK_ISF_E10value_typeEPSG_NS1_7vsmem_tEENKUlT_SE_SF_SG_E_clIS8_S8_S9_S9_EESD_ST_SE_SF_SG_EUlST_E1_NS1_11comp_targetILNS1_3genE4ELNS1_11target_archE910ELNS1_3gpuE8ELNS1_3repE0EEENS1_36merge_oddeven_config_static_selectorELNS0_4arch9wavefront6targetE1EEEvSF_
	.globl	_ZN7rocprim17ROCPRIM_400000_NS6detail17trampoline_kernelINS0_14default_configENS1_38merge_sort_block_merge_config_selectorIcNS0_10empty_typeEEEZZNS1_27merge_sort_block_merge_implIS3_PcPS5_jNS1_19radix_merge_compareILb1ELb1EcNS0_19identity_decomposerEEEEE10hipError_tT0_T1_T2_jT3_P12ihipStream_tbPNSt15iterator_traitsISE_E10value_typeEPNSK_ISF_E10value_typeEPSG_NS1_7vsmem_tEENKUlT_SE_SF_SG_E_clIS8_S8_S9_S9_EESD_ST_SE_SF_SG_EUlST_E1_NS1_11comp_targetILNS1_3genE4ELNS1_11target_archE910ELNS1_3gpuE8ELNS1_3repE0EEENS1_36merge_oddeven_config_static_selectorELNS0_4arch9wavefront6targetE1EEEvSF_
	.p2align	8
	.type	_ZN7rocprim17ROCPRIM_400000_NS6detail17trampoline_kernelINS0_14default_configENS1_38merge_sort_block_merge_config_selectorIcNS0_10empty_typeEEEZZNS1_27merge_sort_block_merge_implIS3_PcPS5_jNS1_19radix_merge_compareILb1ELb1EcNS0_19identity_decomposerEEEEE10hipError_tT0_T1_T2_jT3_P12ihipStream_tbPNSt15iterator_traitsISE_E10value_typeEPNSK_ISF_E10value_typeEPSG_NS1_7vsmem_tEENKUlT_SE_SF_SG_E_clIS8_S8_S9_S9_EESD_ST_SE_SF_SG_EUlST_E1_NS1_11comp_targetILNS1_3genE4ELNS1_11target_archE910ELNS1_3gpuE8ELNS1_3repE0EEENS1_36merge_oddeven_config_static_selectorELNS0_4arch9wavefront6targetE1EEEvSF_,@function
_ZN7rocprim17ROCPRIM_400000_NS6detail17trampoline_kernelINS0_14default_configENS1_38merge_sort_block_merge_config_selectorIcNS0_10empty_typeEEEZZNS1_27merge_sort_block_merge_implIS3_PcPS5_jNS1_19radix_merge_compareILb1ELb1EcNS0_19identity_decomposerEEEEE10hipError_tT0_T1_T2_jT3_P12ihipStream_tbPNSt15iterator_traitsISE_E10value_typeEPNSK_ISF_E10value_typeEPSG_NS1_7vsmem_tEENKUlT_SE_SF_SG_E_clIS8_S8_S9_S9_EESD_ST_SE_SF_SG_EUlST_E1_NS1_11comp_targetILNS1_3genE4ELNS1_11target_archE910ELNS1_3gpuE8ELNS1_3repE0EEENS1_36merge_oddeven_config_static_selectorELNS0_4arch9wavefront6targetE1EEEvSF_: ; @_ZN7rocprim17ROCPRIM_400000_NS6detail17trampoline_kernelINS0_14default_configENS1_38merge_sort_block_merge_config_selectorIcNS0_10empty_typeEEEZZNS1_27merge_sort_block_merge_implIS3_PcPS5_jNS1_19radix_merge_compareILb1ELb1EcNS0_19identity_decomposerEEEEE10hipError_tT0_T1_T2_jT3_P12ihipStream_tbPNSt15iterator_traitsISE_E10value_typeEPNSK_ISF_E10value_typeEPSG_NS1_7vsmem_tEENKUlT_SE_SF_SG_E_clIS8_S8_S9_S9_EESD_ST_SE_SF_SG_EUlST_E1_NS1_11comp_targetILNS1_3genE4ELNS1_11target_archE910ELNS1_3gpuE8ELNS1_3repE0EEENS1_36merge_oddeven_config_static_selectorELNS0_4arch9wavefront6targetE1EEEvSF_
; %bb.0:
	s_load_dword s17, s[4:5], 0x20
	s_waitcnt lgkmcnt(0)
	s_lshr_b32 s0, s17, 8
	s_cmp_lg_u32 s6, s0
	s_cselect_b64 s[14:15], -1, 0
	s_cmp_eq_u32 s6, s0
	s_cselect_b64 s[12:13], -1, 0
	s_lshl_b32 s7, s6, 8
	s_sub_i32 s0, s17, s7
	v_cmp_gt_u32_e64 s[2:3], s0, v0
	s_or_b64 s[0:1], s[14:15], s[2:3]
	s_and_saveexec_b64 s[8:9], s[0:1]
	s_cbranch_execz .LBB1524_20
; %bb.1:
	s_load_dwordx4 s[8:11], s[4:5], 0x0
	s_load_dword s18, s[4:5], 0x24
	v_add_u32_e32 v2, s7, v0
	s_waitcnt lgkmcnt(0)
	s_add_u32 s0, s8, s7
	s_addc_u32 s1, s9, 0
	global_load_ubyte v1, v0, s[0:1]
	s_lshr_b32 s0, s18, 8
	s_sub_i32 s1, 0, s0
	s_and_b32 s1, s6, s1
	s_and_b32 s0, s1, s0
	s_lshl_b32 s19, s1, 8
	s_sub_i32 s6, 0, s18
	s_cmp_eq_u32 s0, 0
	s_cselect_b64 s[0:1], -1, 0
	s_and_b64 s[20:21], s[0:1], exec
	s_cselect_b32 s16, s18, s6
	s_add_i32 s16, s16, s19
	s_cmp_lt_u32 s16, s17
	s_cbranch_scc1 .LBB1524_3
; %bb.2:
	v_cmp_gt_u32_e32 vcc, s17, v2
	s_or_b64 s[6:7], vcc, s[14:15]
	s_and_b64 s[6:7], s[6:7], exec
	s_cbranch_execz .LBB1524_4
	s_branch .LBB1524_18
.LBB1524_3:
	s_mov_b64 s[6:7], 0
.LBB1524_4:
	s_load_dword s14, s[4:5], 0x28
	s_min_u32 s15, s16, s17
	s_add_i32 s4, s15, s18
	s_min_u32 s17, s4, s17
	s_min_u32 s4, s19, s15
	s_add_i32 s19, s19, s15
	v_subrev_u32_e32 v0, s19, v2
	v_add_u32_e32 v0, s4, v0
	s_and_b64 vcc, exec, s[12:13]
	s_cbranch_vccz .LBB1524_12
; %bb.5:
                                        ; implicit-def: $vgpr2
	s_and_saveexec_b64 s[4:5], s[2:3]
	s_cbranch_execz .LBB1524_11
; %bb.6:
	s_cmp_ge_u32 s16, s17
	v_mov_b32_e32 v2, s15
	s_cbranch_scc1 .LBB1524_10
; %bb.7:
	s_waitcnt vmcnt(0) lgkmcnt(0)
	v_and_b32_e32 v3, s14, v1
	s_mov_b64 s[2:3], 0
	v_mov_b32_e32 v4, s17
	v_mov_b32_e32 v2, s15
.LBB1524_8:                             ; =>This Inner Loop Header: Depth=1
	v_add_u32_e32 v5, v2, v4
	v_lshrrev_b32_e32 v5, 1, v5
	global_load_ubyte v6, v5, s[8:9]
	v_add_u32_e32 v7, 1, v5
	s_waitcnt vmcnt(0)
	v_and_b32_e32 v6, s14, v6
	v_bfe_i32 v6, v6, 0, 8
	v_cmp_gt_i16_sdwa s[12:13], v6, sext(v3) src0_sel:DWORD src1_sel:BYTE_0
	v_cndmask_b32_e64 v8, 0, 1, s[12:13]
	v_cmp_le_i16_sdwa s[12:13], sext(v3), v6 src0_sel:BYTE_0 src1_sel:DWORD
	v_cndmask_b32_e64 v6, 0, 1, s[12:13]
	v_cndmask_b32_e64 v6, v6, v8, s[0:1]
	v_and_b32_e32 v6, 1, v6
	v_cmp_eq_u32_e32 vcc, 1, v6
	v_cndmask_b32_e32 v4, v5, v4, vcc
	v_cndmask_b32_e32 v2, v2, v7, vcc
	v_cmp_ge_u32_e32 vcc, v2, v4
	s_or_b64 s[2:3], vcc, s[2:3]
	s_andn2_b64 exec, exec, s[2:3]
	s_cbranch_execnz .LBB1524_8
; %bb.9:
	s_or_b64 exec, exec, s[2:3]
.LBB1524_10:
	v_add_u32_e32 v2, v2, v0
	s_or_b64 s[6:7], s[6:7], exec
.LBB1524_11:
	s_or_b64 exec, exec, s[4:5]
	s_branch .LBB1524_18
.LBB1524_12:
                                        ; implicit-def: $vgpr2
	s_cbranch_execz .LBB1524_18
; %bb.13:
	s_cmp_ge_u32 s16, s17
	v_mov_b32_e32 v2, s15
	s_cbranch_scc1 .LBB1524_17
; %bb.14:
	s_waitcnt vmcnt(0) lgkmcnt(0)
	v_and_b32_e32 v3, s14, v1
	s_mov_b64 s[2:3], 0
	v_mov_b32_e32 v4, s17
	v_mov_b32_e32 v2, s15
.LBB1524_15:                            ; =>This Inner Loop Header: Depth=1
	v_add_u32_e32 v5, v2, v4
	v_lshrrev_b32_e32 v5, 1, v5
	global_load_ubyte v6, v5, s[8:9]
	v_add_u32_e32 v7, 1, v5
	s_waitcnt vmcnt(0)
	v_and_b32_e32 v6, s14, v6
	v_bfe_i32 v6, v6, 0, 8
	v_cmp_gt_i16_sdwa s[4:5], v6, sext(v3) src0_sel:DWORD src1_sel:BYTE_0
	v_cndmask_b32_e64 v8, 0, 1, s[4:5]
	v_cmp_le_i16_sdwa s[4:5], sext(v3), v6 src0_sel:BYTE_0 src1_sel:DWORD
	v_cndmask_b32_e64 v6, 0, 1, s[4:5]
	v_cndmask_b32_e64 v6, v6, v8, s[0:1]
	v_and_b32_e32 v6, 1, v6
	v_cmp_eq_u32_e32 vcc, 1, v6
	v_cndmask_b32_e32 v4, v5, v4, vcc
	v_cndmask_b32_e32 v2, v2, v7, vcc
	v_cmp_ge_u32_e32 vcc, v2, v4
	s_or_b64 s[2:3], vcc, s[2:3]
	s_andn2_b64 exec, exec, s[2:3]
	s_cbranch_execnz .LBB1524_15
; %bb.16:
	s_or_b64 exec, exec, s[2:3]
.LBB1524_17:
	v_add_u32_e32 v2, v2, v0
	s_mov_b64 s[6:7], -1
.LBB1524_18:
	s_and_b64 exec, exec, s[6:7]
	s_cbranch_execz .LBB1524_20
; %bb.19:
	s_waitcnt vmcnt(0)
	global_store_byte v2, v1, s[10:11]
.LBB1524_20:
	s_endpgm
	.section	.rodata,"a",@progbits
	.p2align	6, 0x0
	.amdhsa_kernel _ZN7rocprim17ROCPRIM_400000_NS6detail17trampoline_kernelINS0_14default_configENS1_38merge_sort_block_merge_config_selectorIcNS0_10empty_typeEEEZZNS1_27merge_sort_block_merge_implIS3_PcPS5_jNS1_19radix_merge_compareILb1ELb1EcNS0_19identity_decomposerEEEEE10hipError_tT0_T1_T2_jT3_P12ihipStream_tbPNSt15iterator_traitsISE_E10value_typeEPNSK_ISF_E10value_typeEPSG_NS1_7vsmem_tEENKUlT_SE_SF_SG_E_clIS8_S8_S9_S9_EESD_ST_SE_SF_SG_EUlST_E1_NS1_11comp_targetILNS1_3genE4ELNS1_11target_archE910ELNS1_3gpuE8ELNS1_3repE0EEENS1_36merge_oddeven_config_static_selectorELNS0_4arch9wavefront6targetE1EEEvSF_
		.amdhsa_group_segment_fixed_size 0
		.amdhsa_private_segment_fixed_size 0
		.amdhsa_kernarg_size 48
		.amdhsa_user_sgpr_count 6
		.amdhsa_user_sgpr_private_segment_buffer 1
		.amdhsa_user_sgpr_dispatch_ptr 0
		.amdhsa_user_sgpr_queue_ptr 0
		.amdhsa_user_sgpr_kernarg_segment_ptr 1
		.amdhsa_user_sgpr_dispatch_id 0
		.amdhsa_user_sgpr_flat_scratch_init 0
		.amdhsa_user_sgpr_kernarg_preload_length 0
		.amdhsa_user_sgpr_kernarg_preload_offset 0
		.amdhsa_user_sgpr_private_segment_size 0
		.amdhsa_uses_dynamic_stack 0
		.amdhsa_system_sgpr_private_segment_wavefront_offset 0
		.amdhsa_system_sgpr_workgroup_id_x 1
		.amdhsa_system_sgpr_workgroup_id_y 0
		.amdhsa_system_sgpr_workgroup_id_z 0
		.amdhsa_system_sgpr_workgroup_info 0
		.amdhsa_system_vgpr_workitem_id 0
		.amdhsa_next_free_vgpr 9
		.amdhsa_next_free_sgpr 22
		.amdhsa_accum_offset 12
		.amdhsa_reserve_vcc 1
		.amdhsa_reserve_flat_scratch 0
		.amdhsa_float_round_mode_32 0
		.amdhsa_float_round_mode_16_64 0
		.amdhsa_float_denorm_mode_32 3
		.amdhsa_float_denorm_mode_16_64 3
		.amdhsa_dx10_clamp 1
		.amdhsa_ieee_mode 1
		.amdhsa_fp16_overflow 0
		.amdhsa_tg_split 0
		.amdhsa_exception_fp_ieee_invalid_op 0
		.amdhsa_exception_fp_denorm_src 0
		.amdhsa_exception_fp_ieee_div_zero 0
		.amdhsa_exception_fp_ieee_overflow 0
		.amdhsa_exception_fp_ieee_underflow 0
		.amdhsa_exception_fp_ieee_inexact 0
		.amdhsa_exception_int_div_zero 0
	.end_amdhsa_kernel
	.section	.text._ZN7rocprim17ROCPRIM_400000_NS6detail17trampoline_kernelINS0_14default_configENS1_38merge_sort_block_merge_config_selectorIcNS0_10empty_typeEEEZZNS1_27merge_sort_block_merge_implIS3_PcPS5_jNS1_19radix_merge_compareILb1ELb1EcNS0_19identity_decomposerEEEEE10hipError_tT0_T1_T2_jT3_P12ihipStream_tbPNSt15iterator_traitsISE_E10value_typeEPNSK_ISF_E10value_typeEPSG_NS1_7vsmem_tEENKUlT_SE_SF_SG_E_clIS8_S8_S9_S9_EESD_ST_SE_SF_SG_EUlST_E1_NS1_11comp_targetILNS1_3genE4ELNS1_11target_archE910ELNS1_3gpuE8ELNS1_3repE0EEENS1_36merge_oddeven_config_static_selectorELNS0_4arch9wavefront6targetE1EEEvSF_,"axG",@progbits,_ZN7rocprim17ROCPRIM_400000_NS6detail17trampoline_kernelINS0_14default_configENS1_38merge_sort_block_merge_config_selectorIcNS0_10empty_typeEEEZZNS1_27merge_sort_block_merge_implIS3_PcPS5_jNS1_19radix_merge_compareILb1ELb1EcNS0_19identity_decomposerEEEEE10hipError_tT0_T1_T2_jT3_P12ihipStream_tbPNSt15iterator_traitsISE_E10value_typeEPNSK_ISF_E10value_typeEPSG_NS1_7vsmem_tEENKUlT_SE_SF_SG_E_clIS8_S8_S9_S9_EESD_ST_SE_SF_SG_EUlST_E1_NS1_11comp_targetILNS1_3genE4ELNS1_11target_archE910ELNS1_3gpuE8ELNS1_3repE0EEENS1_36merge_oddeven_config_static_selectorELNS0_4arch9wavefront6targetE1EEEvSF_,comdat
.Lfunc_end1524:
	.size	_ZN7rocprim17ROCPRIM_400000_NS6detail17trampoline_kernelINS0_14default_configENS1_38merge_sort_block_merge_config_selectorIcNS0_10empty_typeEEEZZNS1_27merge_sort_block_merge_implIS3_PcPS5_jNS1_19radix_merge_compareILb1ELb1EcNS0_19identity_decomposerEEEEE10hipError_tT0_T1_T2_jT3_P12ihipStream_tbPNSt15iterator_traitsISE_E10value_typeEPNSK_ISF_E10value_typeEPSG_NS1_7vsmem_tEENKUlT_SE_SF_SG_E_clIS8_S8_S9_S9_EESD_ST_SE_SF_SG_EUlST_E1_NS1_11comp_targetILNS1_3genE4ELNS1_11target_archE910ELNS1_3gpuE8ELNS1_3repE0EEENS1_36merge_oddeven_config_static_selectorELNS0_4arch9wavefront6targetE1EEEvSF_, .Lfunc_end1524-_ZN7rocprim17ROCPRIM_400000_NS6detail17trampoline_kernelINS0_14default_configENS1_38merge_sort_block_merge_config_selectorIcNS0_10empty_typeEEEZZNS1_27merge_sort_block_merge_implIS3_PcPS5_jNS1_19radix_merge_compareILb1ELb1EcNS0_19identity_decomposerEEEEE10hipError_tT0_T1_T2_jT3_P12ihipStream_tbPNSt15iterator_traitsISE_E10value_typeEPNSK_ISF_E10value_typeEPSG_NS1_7vsmem_tEENKUlT_SE_SF_SG_E_clIS8_S8_S9_S9_EESD_ST_SE_SF_SG_EUlST_E1_NS1_11comp_targetILNS1_3genE4ELNS1_11target_archE910ELNS1_3gpuE8ELNS1_3repE0EEENS1_36merge_oddeven_config_static_selectorELNS0_4arch9wavefront6targetE1EEEvSF_
                                        ; -- End function
	.section	.AMDGPU.csdata,"",@progbits
; Kernel info:
; codeLenInByte = 568
; NumSgprs: 26
; NumVgprs: 9
; NumAgprs: 0
; TotalNumVgprs: 9
; ScratchSize: 0
; MemoryBound: 0
; FloatMode: 240
; IeeeMode: 1
; LDSByteSize: 0 bytes/workgroup (compile time only)
; SGPRBlocks: 3
; VGPRBlocks: 1
; NumSGPRsForWavesPerEU: 26
; NumVGPRsForWavesPerEU: 9
; AccumOffset: 12
; Occupancy: 8
; WaveLimiterHint : 0
; COMPUTE_PGM_RSRC2:SCRATCH_EN: 0
; COMPUTE_PGM_RSRC2:USER_SGPR: 6
; COMPUTE_PGM_RSRC2:TRAP_HANDLER: 0
; COMPUTE_PGM_RSRC2:TGID_X_EN: 1
; COMPUTE_PGM_RSRC2:TGID_Y_EN: 0
; COMPUTE_PGM_RSRC2:TGID_Z_EN: 0
; COMPUTE_PGM_RSRC2:TIDIG_COMP_CNT: 0
; COMPUTE_PGM_RSRC3_GFX90A:ACCUM_OFFSET: 2
; COMPUTE_PGM_RSRC3_GFX90A:TG_SPLIT: 0
	.section	.text._ZN7rocprim17ROCPRIM_400000_NS6detail17trampoline_kernelINS0_14default_configENS1_38merge_sort_block_merge_config_selectorIcNS0_10empty_typeEEEZZNS1_27merge_sort_block_merge_implIS3_PcPS5_jNS1_19radix_merge_compareILb1ELb1EcNS0_19identity_decomposerEEEEE10hipError_tT0_T1_T2_jT3_P12ihipStream_tbPNSt15iterator_traitsISE_E10value_typeEPNSK_ISF_E10value_typeEPSG_NS1_7vsmem_tEENKUlT_SE_SF_SG_E_clIS8_S8_S9_S9_EESD_ST_SE_SF_SG_EUlST_E1_NS1_11comp_targetILNS1_3genE3ELNS1_11target_archE908ELNS1_3gpuE7ELNS1_3repE0EEENS1_36merge_oddeven_config_static_selectorELNS0_4arch9wavefront6targetE1EEEvSF_,"axG",@progbits,_ZN7rocprim17ROCPRIM_400000_NS6detail17trampoline_kernelINS0_14default_configENS1_38merge_sort_block_merge_config_selectorIcNS0_10empty_typeEEEZZNS1_27merge_sort_block_merge_implIS3_PcPS5_jNS1_19radix_merge_compareILb1ELb1EcNS0_19identity_decomposerEEEEE10hipError_tT0_T1_T2_jT3_P12ihipStream_tbPNSt15iterator_traitsISE_E10value_typeEPNSK_ISF_E10value_typeEPSG_NS1_7vsmem_tEENKUlT_SE_SF_SG_E_clIS8_S8_S9_S9_EESD_ST_SE_SF_SG_EUlST_E1_NS1_11comp_targetILNS1_3genE3ELNS1_11target_archE908ELNS1_3gpuE7ELNS1_3repE0EEENS1_36merge_oddeven_config_static_selectorELNS0_4arch9wavefront6targetE1EEEvSF_,comdat
	.protected	_ZN7rocprim17ROCPRIM_400000_NS6detail17trampoline_kernelINS0_14default_configENS1_38merge_sort_block_merge_config_selectorIcNS0_10empty_typeEEEZZNS1_27merge_sort_block_merge_implIS3_PcPS5_jNS1_19radix_merge_compareILb1ELb1EcNS0_19identity_decomposerEEEEE10hipError_tT0_T1_T2_jT3_P12ihipStream_tbPNSt15iterator_traitsISE_E10value_typeEPNSK_ISF_E10value_typeEPSG_NS1_7vsmem_tEENKUlT_SE_SF_SG_E_clIS8_S8_S9_S9_EESD_ST_SE_SF_SG_EUlST_E1_NS1_11comp_targetILNS1_3genE3ELNS1_11target_archE908ELNS1_3gpuE7ELNS1_3repE0EEENS1_36merge_oddeven_config_static_selectorELNS0_4arch9wavefront6targetE1EEEvSF_ ; -- Begin function _ZN7rocprim17ROCPRIM_400000_NS6detail17trampoline_kernelINS0_14default_configENS1_38merge_sort_block_merge_config_selectorIcNS0_10empty_typeEEEZZNS1_27merge_sort_block_merge_implIS3_PcPS5_jNS1_19radix_merge_compareILb1ELb1EcNS0_19identity_decomposerEEEEE10hipError_tT0_T1_T2_jT3_P12ihipStream_tbPNSt15iterator_traitsISE_E10value_typeEPNSK_ISF_E10value_typeEPSG_NS1_7vsmem_tEENKUlT_SE_SF_SG_E_clIS8_S8_S9_S9_EESD_ST_SE_SF_SG_EUlST_E1_NS1_11comp_targetILNS1_3genE3ELNS1_11target_archE908ELNS1_3gpuE7ELNS1_3repE0EEENS1_36merge_oddeven_config_static_selectorELNS0_4arch9wavefront6targetE1EEEvSF_
	.globl	_ZN7rocprim17ROCPRIM_400000_NS6detail17trampoline_kernelINS0_14default_configENS1_38merge_sort_block_merge_config_selectorIcNS0_10empty_typeEEEZZNS1_27merge_sort_block_merge_implIS3_PcPS5_jNS1_19radix_merge_compareILb1ELb1EcNS0_19identity_decomposerEEEEE10hipError_tT0_T1_T2_jT3_P12ihipStream_tbPNSt15iterator_traitsISE_E10value_typeEPNSK_ISF_E10value_typeEPSG_NS1_7vsmem_tEENKUlT_SE_SF_SG_E_clIS8_S8_S9_S9_EESD_ST_SE_SF_SG_EUlST_E1_NS1_11comp_targetILNS1_3genE3ELNS1_11target_archE908ELNS1_3gpuE7ELNS1_3repE0EEENS1_36merge_oddeven_config_static_selectorELNS0_4arch9wavefront6targetE1EEEvSF_
	.p2align	8
	.type	_ZN7rocprim17ROCPRIM_400000_NS6detail17trampoline_kernelINS0_14default_configENS1_38merge_sort_block_merge_config_selectorIcNS0_10empty_typeEEEZZNS1_27merge_sort_block_merge_implIS3_PcPS5_jNS1_19radix_merge_compareILb1ELb1EcNS0_19identity_decomposerEEEEE10hipError_tT0_T1_T2_jT3_P12ihipStream_tbPNSt15iterator_traitsISE_E10value_typeEPNSK_ISF_E10value_typeEPSG_NS1_7vsmem_tEENKUlT_SE_SF_SG_E_clIS8_S8_S9_S9_EESD_ST_SE_SF_SG_EUlST_E1_NS1_11comp_targetILNS1_3genE3ELNS1_11target_archE908ELNS1_3gpuE7ELNS1_3repE0EEENS1_36merge_oddeven_config_static_selectorELNS0_4arch9wavefront6targetE1EEEvSF_,@function
_ZN7rocprim17ROCPRIM_400000_NS6detail17trampoline_kernelINS0_14default_configENS1_38merge_sort_block_merge_config_selectorIcNS0_10empty_typeEEEZZNS1_27merge_sort_block_merge_implIS3_PcPS5_jNS1_19radix_merge_compareILb1ELb1EcNS0_19identity_decomposerEEEEE10hipError_tT0_T1_T2_jT3_P12ihipStream_tbPNSt15iterator_traitsISE_E10value_typeEPNSK_ISF_E10value_typeEPSG_NS1_7vsmem_tEENKUlT_SE_SF_SG_E_clIS8_S8_S9_S9_EESD_ST_SE_SF_SG_EUlST_E1_NS1_11comp_targetILNS1_3genE3ELNS1_11target_archE908ELNS1_3gpuE7ELNS1_3repE0EEENS1_36merge_oddeven_config_static_selectorELNS0_4arch9wavefront6targetE1EEEvSF_: ; @_ZN7rocprim17ROCPRIM_400000_NS6detail17trampoline_kernelINS0_14default_configENS1_38merge_sort_block_merge_config_selectorIcNS0_10empty_typeEEEZZNS1_27merge_sort_block_merge_implIS3_PcPS5_jNS1_19radix_merge_compareILb1ELb1EcNS0_19identity_decomposerEEEEE10hipError_tT0_T1_T2_jT3_P12ihipStream_tbPNSt15iterator_traitsISE_E10value_typeEPNSK_ISF_E10value_typeEPSG_NS1_7vsmem_tEENKUlT_SE_SF_SG_E_clIS8_S8_S9_S9_EESD_ST_SE_SF_SG_EUlST_E1_NS1_11comp_targetILNS1_3genE3ELNS1_11target_archE908ELNS1_3gpuE7ELNS1_3repE0EEENS1_36merge_oddeven_config_static_selectorELNS0_4arch9wavefront6targetE1EEEvSF_
; %bb.0:
	.section	.rodata,"a",@progbits
	.p2align	6, 0x0
	.amdhsa_kernel _ZN7rocprim17ROCPRIM_400000_NS6detail17trampoline_kernelINS0_14default_configENS1_38merge_sort_block_merge_config_selectorIcNS0_10empty_typeEEEZZNS1_27merge_sort_block_merge_implIS3_PcPS5_jNS1_19radix_merge_compareILb1ELb1EcNS0_19identity_decomposerEEEEE10hipError_tT0_T1_T2_jT3_P12ihipStream_tbPNSt15iterator_traitsISE_E10value_typeEPNSK_ISF_E10value_typeEPSG_NS1_7vsmem_tEENKUlT_SE_SF_SG_E_clIS8_S8_S9_S9_EESD_ST_SE_SF_SG_EUlST_E1_NS1_11comp_targetILNS1_3genE3ELNS1_11target_archE908ELNS1_3gpuE7ELNS1_3repE0EEENS1_36merge_oddeven_config_static_selectorELNS0_4arch9wavefront6targetE1EEEvSF_
		.amdhsa_group_segment_fixed_size 0
		.amdhsa_private_segment_fixed_size 0
		.amdhsa_kernarg_size 48
		.amdhsa_user_sgpr_count 6
		.amdhsa_user_sgpr_private_segment_buffer 1
		.amdhsa_user_sgpr_dispatch_ptr 0
		.amdhsa_user_sgpr_queue_ptr 0
		.amdhsa_user_sgpr_kernarg_segment_ptr 1
		.amdhsa_user_sgpr_dispatch_id 0
		.amdhsa_user_sgpr_flat_scratch_init 0
		.amdhsa_user_sgpr_kernarg_preload_length 0
		.amdhsa_user_sgpr_kernarg_preload_offset 0
		.amdhsa_user_sgpr_private_segment_size 0
		.amdhsa_uses_dynamic_stack 0
		.amdhsa_system_sgpr_private_segment_wavefront_offset 0
		.amdhsa_system_sgpr_workgroup_id_x 1
		.amdhsa_system_sgpr_workgroup_id_y 0
		.amdhsa_system_sgpr_workgroup_id_z 0
		.amdhsa_system_sgpr_workgroup_info 0
		.amdhsa_system_vgpr_workitem_id 0
		.amdhsa_next_free_vgpr 1
		.amdhsa_next_free_sgpr 0
		.amdhsa_accum_offset 4
		.amdhsa_reserve_vcc 0
		.amdhsa_reserve_flat_scratch 0
		.amdhsa_float_round_mode_32 0
		.amdhsa_float_round_mode_16_64 0
		.amdhsa_float_denorm_mode_32 3
		.amdhsa_float_denorm_mode_16_64 3
		.amdhsa_dx10_clamp 1
		.amdhsa_ieee_mode 1
		.amdhsa_fp16_overflow 0
		.amdhsa_tg_split 0
		.amdhsa_exception_fp_ieee_invalid_op 0
		.amdhsa_exception_fp_denorm_src 0
		.amdhsa_exception_fp_ieee_div_zero 0
		.amdhsa_exception_fp_ieee_overflow 0
		.amdhsa_exception_fp_ieee_underflow 0
		.amdhsa_exception_fp_ieee_inexact 0
		.amdhsa_exception_int_div_zero 0
	.end_amdhsa_kernel
	.section	.text._ZN7rocprim17ROCPRIM_400000_NS6detail17trampoline_kernelINS0_14default_configENS1_38merge_sort_block_merge_config_selectorIcNS0_10empty_typeEEEZZNS1_27merge_sort_block_merge_implIS3_PcPS5_jNS1_19radix_merge_compareILb1ELb1EcNS0_19identity_decomposerEEEEE10hipError_tT0_T1_T2_jT3_P12ihipStream_tbPNSt15iterator_traitsISE_E10value_typeEPNSK_ISF_E10value_typeEPSG_NS1_7vsmem_tEENKUlT_SE_SF_SG_E_clIS8_S8_S9_S9_EESD_ST_SE_SF_SG_EUlST_E1_NS1_11comp_targetILNS1_3genE3ELNS1_11target_archE908ELNS1_3gpuE7ELNS1_3repE0EEENS1_36merge_oddeven_config_static_selectorELNS0_4arch9wavefront6targetE1EEEvSF_,"axG",@progbits,_ZN7rocprim17ROCPRIM_400000_NS6detail17trampoline_kernelINS0_14default_configENS1_38merge_sort_block_merge_config_selectorIcNS0_10empty_typeEEEZZNS1_27merge_sort_block_merge_implIS3_PcPS5_jNS1_19radix_merge_compareILb1ELb1EcNS0_19identity_decomposerEEEEE10hipError_tT0_T1_T2_jT3_P12ihipStream_tbPNSt15iterator_traitsISE_E10value_typeEPNSK_ISF_E10value_typeEPSG_NS1_7vsmem_tEENKUlT_SE_SF_SG_E_clIS8_S8_S9_S9_EESD_ST_SE_SF_SG_EUlST_E1_NS1_11comp_targetILNS1_3genE3ELNS1_11target_archE908ELNS1_3gpuE7ELNS1_3repE0EEENS1_36merge_oddeven_config_static_selectorELNS0_4arch9wavefront6targetE1EEEvSF_,comdat
.Lfunc_end1525:
	.size	_ZN7rocprim17ROCPRIM_400000_NS6detail17trampoline_kernelINS0_14default_configENS1_38merge_sort_block_merge_config_selectorIcNS0_10empty_typeEEEZZNS1_27merge_sort_block_merge_implIS3_PcPS5_jNS1_19radix_merge_compareILb1ELb1EcNS0_19identity_decomposerEEEEE10hipError_tT0_T1_T2_jT3_P12ihipStream_tbPNSt15iterator_traitsISE_E10value_typeEPNSK_ISF_E10value_typeEPSG_NS1_7vsmem_tEENKUlT_SE_SF_SG_E_clIS8_S8_S9_S9_EESD_ST_SE_SF_SG_EUlST_E1_NS1_11comp_targetILNS1_3genE3ELNS1_11target_archE908ELNS1_3gpuE7ELNS1_3repE0EEENS1_36merge_oddeven_config_static_selectorELNS0_4arch9wavefront6targetE1EEEvSF_, .Lfunc_end1525-_ZN7rocprim17ROCPRIM_400000_NS6detail17trampoline_kernelINS0_14default_configENS1_38merge_sort_block_merge_config_selectorIcNS0_10empty_typeEEEZZNS1_27merge_sort_block_merge_implIS3_PcPS5_jNS1_19radix_merge_compareILb1ELb1EcNS0_19identity_decomposerEEEEE10hipError_tT0_T1_T2_jT3_P12ihipStream_tbPNSt15iterator_traitsISE_E10value_typeEPNSK_ISF_E10value_typeEPSG_NS1_7vsmem_tEENKUlT_SE_SF_SG_E_clIS8_S8_S9_S9_EESD_ST_SE_SF_SG_EUlST_E1_NS1_11comp_targetILNS1_3genE3ELNS1_11target_archE908ELNS1_3gpuE7ELNS1_3repE0EEENS1_36merge_oddeven_config_static_selectorELNS0_4arch9wavefront6targetE1EEEvSF_
                                        ; -- End function
	.section	.AMDGPU.csdata,"",@progbits
; Kernel info:
; codeLenInByte = 0
; NumSgprs: 4
; NumVgprs: 0
; NumAgprs: 0
; TotalNumVgprs: 0
; ScratchSize: 0
; MemoryBound: 0
; FloatMode: 240
; IeeeMode: 1
; LDSByteSize: 0 bytes/workgroup (compile time only)
; SGPRBlocks: 0
; VGPRBlocks: 0
; NumSGPRsForWavesPerEU: 4
; NumVGPRsForWavesPerEU: 1
; AccumOffset: 4
; Occupancy: 8
; WaveLimiterHint : 0
; COMPUTE_PGM_RSRC2:SCRATCH_EN: 0
; COMPUTE_PGM_RSRC2:USER_SGPR: 6
; COMPUTE_PGM_RSRC2:TRAP_HANDLER: 0
; COMPUTE_PGM_RSRC2:TGID_X_EN: 1
; COMPUTE_PGM_RSRC2:TGID_Y_EN: 0
; COMPUTE_PGM_RSRC2:TGID_Z_EN: 0
; COMPUTE_PGM_RSRC2:TIDIG_COMP_CNT: 0
; COMPUTE_PGM_RSRC3_GFX90A:ACCUM_OFFSET: 0
; COMPUTE_PGM_RSRC3_GFX90A:TG_SPLIT: 0
	.section	.text._ZN7rocprim17ROCPRIM_400000_NS6detail17trampoline_kernelINS0_14default_configENS1_38merge_sort_block_merge_config_selectorIcNS0_10empty_typeEEEZZNS1_27merge_sort_block_merge_implIS3_PcPS5_jNS1_19radix_merge_compareILb1ELb1EcNS0_19identity_decomposerEEEEE10hipError_tT0_T1_T2_jT3_P12ihipStream_tbPNSt15iterator_traitsISE_E10value_typeEPNSK_ISF_E10value_typeEPSG_NS1_7vsmem_tEENKUlT_SE_SF_SG_E_clIS8_S8_S9_S9_EESD_ST_SE_SF_SG_EUlST_E1_NS1_11comp_targetILNS1_3genE2ELNS1_11target_archE906ELNS1_3gpuE6ELNS1_3repE0EEENS1_36merge_oddeven_config_static_selectorELNS0_4arch9wavefront6targetE1EEEvSF_,"axG",@progbits,_ZN7rocprim17ROCPRIM_400000_NS6detail17trampoline_kernelINS0_14default_configENS1_38merge_sort_block_merge_config_selectorIcNS0_10empty_typeEEEZZNS1_27merge_sort_block_merge_implIS3_PcPS5_jNS1_19radix_merge_compareILb1ELb1EcNS0_19identity_decomposerEEEEE10hipError_tT0_T1_T2_jT3_P12ihipStream_tbPNSt15iterator_traitsISE_E10value_typeEPNSK_ISF_E10value_typeEPSG_NS1_7vsmem_tEENKUlT_SE_SF_SG_E_clIS8_S8_S9_S9_EESD_ST_SE_SF_SG_EUlST_E1_NS1_11comp_targetILNS1_3genE2ELNS1_11target_archE906ELNS1_3gpuE6ELNS1_3repE0EEENS1_36merge_oddeven_config_static_selectorELNS0_4arch9wavefront6targetE1EEEvSF_,comdat
	.protected	_ZN7rocprim17ROCPRIM_400000_NS6detail17trampoline_kernelINS0_14default_configENS1_38merge_sort_block_merge_config_selectorIcNS0_10empty_typeEEEZZNS1_27merge_sort_block_merge_implIS3_PcPS5_jNS1_19radix_merge_compareILb1ELb1EcNS0_19identity_decomposerEEEEE10hipError_tT0_T1_T2_jT3_P12ihipStream_tbPNSt15iterator_traitsISE_E10value_typeEPNSK_ISF_E10value_typeEPSG_NS1_7vsmem_tEENKUlT_SE_SF_SG_E_clIS8_S8_S9_S9_EESD_ST_SE_SF_SG_EUlST_E1_NS1_11comp_targetILNS1_3genE2ELNS1_11target_archE906ELNS1_3gpuE6ELNS1_3repE0EEENS1_36merge_oddeven_config_static_selectorELNS0_4arch9wavefront6targetE1EEEvSF_ ; -- Begin function _ZN7rocprim17ROCPRIM_400000_NS6detail17trampoline_kernelINS0_14default_configENS1_38merge_sort_block_merge_config_selectorIcNS0_10empty_typeEEEZZNS1_27merge_sort_block_merge_implIS3_PcPS5_jNS1_19radix_merge_compareILb1ELb1EcNS0_19identity_decomposerEEEEE10hipError_tT0_T1_T2_jT3_P12ihipStream_tbPNSt15iterator_traitsISE_E10value_typeEPNSK_ISF_E10value_typeEPSG_NS1_7vsmem_tEENKUlT_SE_SF_SG_E_clIS8_S8_S9_S9_EESD_ST_SE_SF_SG_EUlST_E1_NS1_11comp_targetILNS1_3genE2ELNS1_11target_archE906ELNS1_3gpuE6ELNS1_3repE0EEENS1_36merge_oddeven_config_static_selectorELNS0_4arch9wavefront6targetE1EEEvSF_
	.globl	_ZN7rocprim17ROCPRIM_400000_NS6detail17trampoline_kernelINS0_14default_configENS1_38merge_sort_block_merge_config_selectorIcNS0_10empty_typeEEEZZNS1_27merge_sort_block_merge_implIS3_PcPS5_jNS1_19radix_merge_compareILb1ELb1EcNS0_19identity_decomposerEEEEE10hipError_tT0_T1_T2_jT3_P12ihipStream_tbPNSt15iterator_traitsISE_E10value_typeEPNSK_ISF_E10value_typeEPSG_NS1_7vsmem_tEENKUlT_SE_SF_SG_E_clIS8_S8_S9_S9_EESD_ST_SE_SF_SG_EUlST_E1_NS1_11comp_targetILNS1_3genE2ELNS1_11target_archE906ELNS1_3gpuE6ELNS1_3repE0EEENS1_36merge_oddeven_config_static_selectorELNS0_4arch9wavefront6targetE1EEEvSF_
	.p2align	8
	.type	_ZN7rocprim17ROCPRIM_400000_NS6detail17trampoline_kernelINS0_14default_configENS1_38merge_sort_block_merge_config_selectorIcNS0_10empty_typeEEEZZNS1_27merge_sort_block_merge_implIS3_PcPS5_jNS1_19radix_merge_compareILb1ELb1EcNS0_19identity_decomposerEEEEE10hipError_tT0_T1_T2_jT3_P12ihipStream_tbPNSt15iterator_traitsISE_E10value_typeEPNSK_ISF_E10value_typeEPSG_NS1_7vsmem_tEENKUlT_SE_SF_SG_E_clIS8_S8_S9_S9_EESD_ST_SE_SF_SG_EUlST_E1_NS1_11comp_targetILNS1_3genE2ELNS1_11target_archE906ELNS1_3gpuE6ELNS1_3repE0EEENS1_36merge_oddeven_config_static_selectorELNS0_4arch9wavefront6targetE1EEEvSF_,@function
_ZN7rocprim17ROCPRIM_400000_NS6detail17trampoline_kernelINS0_14default_configENS1_38merge_sort_block_merge_config_selectorIcNS0_10empty_typeEEEZZNS1_27merge_sort_block_merge_implIS3_PcPS5_jNS1_19radix_merge_compareILb1ELb1EcNS0_19identity_decomposerEEEEE10hipError_tT0_T1_T2_jT3_P12ihipStream_tbPNSt15iterator_traitsISE_E10value_typeEPNSK_ISF_E10value_typeEPSG_NS1_7vsmem_tEENKUlT_SE_SF_SG_E_clIS8_S8_S9_S9_EESD_ST_SE_SF_SG_EUlST_E1_NS1_11comp_targetILNS1_3genE2ELNS1_11target_archE906ELNS1_3gpuE6ELNS1_3repE0EEENS1_36merge_oddeven_config_static_selectorELNS0_4arch9wavefront6targetE1EEEvSF_: ; @_ZN7rocprim17ROCPRIM_400000_NS6detail17trampoline_kernelINS0_14default_configENS1_38merge_sort_block_merge_config_selectorIcNS0_10empty_typeEEEZZNS1_27merge_sort_block_merge_implIS3_PcPS5_jNS1_19radix_merge_compareILb1ELb1EcNS0_19identity_decomposerEEEEE10hipError_tT0_T1_T2_jT3_P12ihipStream_tbPNSt15iterator_traitsISE_E10value_typeEPNSK_ISF_E10value_typeEPSG_NS1_7vsmem_tEENKUlT_SE_SF_SG_E_clIS8_S8_S9_S9_EESD_ST_SE_SF_SG_EUlST_E1_NS1_11comp_targetILNS1_3genE2ELNS1_11target_archE906ELNS1_3gpuE6ELNS1_3repE0EEENS1_36merge_oddeven_config_static_selectorELNS0_4arch9wavefront6targetE1EEEvSF_
; %bb.0:
	.section	.rodata,"a",@progbits
	.p2align	6, 0x0
	.amdhsa_kernel _ZN7rocprim17ROCPRIM_400000_NS6detail17trampoline_kernelINS0_14default_configENS1_38merge_sort_block_merge_config_selectorIcNS0_10empty_typeEEEZZNS1_27merge_sort_block_merge_implIS3_PcPS5_jNS1_19radix_merge_compareILb1ELb1EcNS0_19identity_decomposerEEEEE10hipError_tT0_T1_T2_jT3_P12ihipStream_tbPNSt15iterator_traitsISE_E10value_typeEPNSK_ISF_E10value_typeEPSG_NS1_7vsmem_tEENKUlT_SE_SF_SG_E_clIS8_S8_S9_S9_EESD_ST_SE_SF_SG_EUlST_E1_NS1_11comp_targetILNS1_3genE2ELNS1_11target_archE906ELNS1_3gpuE6ELNS1_3repE0EEENS1_36merge_oddeven_config_static_selectorELNS0_4arch9wavefront6targetE1EEEvSF_
		.amdhsa_group_segment_fixed_size 0
		.amdhsa_private_segment_fixed_size 0
		.amdhsa_kernarg_size 48
		.amdhsa_user_sgpr_count 6
		.amdhsa_user_sgpr_private_segment_buffer 1
		.amdhsa_user_sgpr_dispatch_ptr 0
		.amdhsa_user_sgpr_queue_ptr 0
		.amdhsa_user_sgpr_kernarg_segment_ptr 1
		.amdhsa_user_sgpr_dispatch_id 0
		.amdhsa_user_sgpr_flat_scratch_init 0
		.amdhsa_user_sgpr_kernarg_preload_length 0
		.amdhsa_user_sgpr_kernarg_preload_offset 0
		.amdhsa_user_sgpr_private_segment_size 0
		.amdhsa_uses_dynamic_stack 0
		.amdhsa_system_sgpr_private_segment_wavefront_offset 0
		.amdhsa_system_sgpr_workgroup_id_x 1
		.amdhsa_system_sgpr_workgroup_id_y 0
		.amdhsa_system_sgpr_workgroup_id_z 0
		.amdhsa_system_sgpr_workgroup_info 0
		.amdhsa_system_vgpr_workitem_id 0
		.amdhsa_next_free_vgpr 1
		.amdhsa_next_free_sgpr 0
		.amdhsa_accum_offset 4
		.amdhsa_reserve_vcc 0
		.amdhsa_reserve_flat_scratch 0
		.amdhsa_float_round_mode_32 0
		.amdhsa_float_round_mode_16_64 0
		.amdhsa_float_denorm_mode_32 3
		.amdhsa_float_denorm_mode_16_64 3
		.amdhsa_dx10_clamp 1
		.amdhsa_ieee_mode 1
		.amdhsa_fp16_overflow 0
		.amdhsa_tg_split 0
		.amdhsa_exception_fp_ieee_invalid_op 0
		.amdhsa_exception_fp_denorm_src 0
		.amdhsa_exception_fp_ieee_div_zero 0
		.amdhsa_exception_fp_ieee_overflow 0
		.amdhsa_exception_fp_ieee_underflow 0
		.amdhsa_exception_fp_ieee_inexact 0
		.amdhsa_exception_int_div_zero 0
	.end_amdhsa_kernel
	.section	.text._ZN7rocprim17ROCPRIM_400000_NS6detail17trampoline_kernelINS0_14default_configENS1_38merge_sort_block_merge_config_selectorIcNS0_10empty_typeEEEZZNS1_27merge_sort_block_merge_implIS3_PcPS5_jNS1_19radix_merge_compareILb1ELb1EcNS0_19identity_decomposerEEEEE10hipError_tT0_T1_T2_jT3_P12ihipStream_tbPNSt15iterator_traitsISE_E10value_typeEPNSK_ISF_E10value_typeEPSG_NS1_7vsmem_tEENKUlT_SE_SF_SG_E_clIS8_S8_S9_S9_EESD_ST_SE_SF_SG_EUlST_E1_NS1_11comp_targetILNS1_3genE2ELNS1_11target_archE906ELNS1_3gpuE6ELNS1_3repE0EEENS1_36merge_oddeven_config_static_selectorELNS0_4arch9wavefront6targetE1EEEvSF_,"axG",@progbits,_ZN7rocprim17ROCPRIM_400000_NS6detail17trampoline_kernelINS0_14default_configENS1_38merge_sort_block_merge_config_selectorIcNS0_10empty_typeEEEZZNS1_27merge_sort_block_merge_implIS3_PcPS5_jNS1_19radix_merge_compareILb1ELb1EcNS0_19identity_decomposerEEEEE10hipError_tT0_T1_T2_jT3_P12ihipStream_tbPNSt15iterator_traitsISE_E10value_typeEPNSK_ISF_E10value_typeEPSG_NS1_7vsmem_tEENKUlT_SE_SF_SG_E_clIS8_S8_S9_S9_EESD_ST_SE_SF_SG_EUlST_E1_NS1_11comp_targetILNS1_3genE2ELNS1_11target_archE906ELNS1_3gpuE6ELNS1_3repE0EEENS1_36merge_oddeven_config_static_selectorELNS0_4arch9wavefront6targetE1EEEvSF_,comdat
.Lfunc_end1526:
	.size	_ZN7rocprim17ROCPRIM_400000_NS6detail17trampoline_kernelINS0_14default_configENS1_38merge_sort_block_merge_config_selectorIcNS0_10empty_typeEEEZZNS1_27merge_sort_block_merge_implIS3_PcPS5_jNS1_19radix_merge_compareILb1ELb1EcNS0_19identity_decomposerEEEEE10hipError_tT0_T1_T2_jT3_P12ihipStream_tbPNSt15iterator_traitsISE_E10value_typeEPNSK_ISF_E10value_typeEPSG_NS1_7vsmem_tEENKUlT_SE_SF_SG_E_clIS8_S8_S9_S9_EESD_ST_SE_SF_SG_EUlST_E1_NS1_11comp_targetILNS1_3genE2ELNS1_11target_archE906ELNS1_3gpuE6ELNS1_3repE0EEENS1_36merge_oddeven_config_static_selectorELNS0_4arch9wavefront6targetE1EEEvSF_, .Lfunc_end1526-_ZN7rocprim17ROCPRIM_400000_NS6detail17trampoline_kernelINS0_14default_configENS1_38merge_sort_block_merge_config_selectorIcNS0_10empty_typeEEEZZNS1_27merge_sort_block_merge_implIS3_PcPS5_jNS1_19radix_merge_compareILb1ELb1EcNS0_19identity_decomposerEEEEE10hipError_tT0_T1_T2_jT3_P12ihipStream_tbPNSt15iterator_traitsISE_E10value_typeEPNSK_ISF_E10value_typeEPSG_NS1_7vsmem_tEENKUlT_SE_SF_SG_E_clIS8_S8_S9_S9_EESD_ST_SE_SF_SG_EUlST_E1_NS1_11comp_targetILNS1_3genE2ELNS1_11target_archE906ELNS1_3gpuE6ELNS1_3repE0EEENS1_36merge_oddeven_config_static_selectorELNS0_4arch9wavefront6targetE1EEEvSF_
                                        ; -- End function
	.section	.AMDGPU.csdata,"",@progbits
; Kernel info:
; codeLenInByte = 0
; NumSgprs: 4
; NumVgprs: 0
; NumAgprs: 0
; TotalNumVgprs: 0
; ScratchSize: 0
; MemoryBound: 0
; FloatMode: 240
; IeeeMode: 1
; LDSByteSize: 0 bytes/workgroup (compile time only)
; SGPRBlocks: 0
; VGPRBlocks: 0
; NumSGPRsForWavesPerEU: 4
; NumVGPRsForWavesPerEU: 1
; AccumOffset: 4
; Occupancy: 8
; WaveLimiterHint : 0
; COMPUTE_PGM_RSRC2:SCRATCH_EN: 0
; COMPUTE_PGM_RSRC2:USER_SGPR: 6
; COMPUTE_PGM_RSRC2:TRAP_HANDLER: 0
; COMPUTE_PGM_RSRC2:TGID_X_EN: 1
; COMPUTE_PGM_RSRC2:TGID_Y_EN: 0
; COMPUTE_PGM_RSRC2:TGID_Z_EN: 0
; COMPUTE_PGM_RSRC2:TIDIG_COMP_CNT: 0
; COMPUTE_PGM_RSRC3_GFX90A:ACCUM_OFFSET: 0
; COMPUTE_PGM_RSRC3_GFX90A:TG_SPLIT: 0
	.section	.text._ZN7rocprim17ROCPRIM_400000_NS6detail17trampoline_kernelINS0_14default_configENS1_38merge_sort_block_merge_config_selectorIcNS0_10empty_typeEEEZZNS1_27merge_sort_block_merge_implIS3_PcPS5_jNS1_19radix_merge_compareILb1ELb1EcNS0_19identity_decomposerEEEEE10hipError_tT0_T1_T2_jT3_P12ihipStream_tbPNSt15iterator_traitsISE_E10value_typeEPNSK_ISF_E10value_typeEPSG_NS1_7vsmem_tEENKUlT_SE_SF_SG_E_clIS8_S8_S9_S9_EESD_ST_SE_SF_SG_EUlST_E1_NS1_11comp_targetILNS1_3genE9ELNS1_11target_archE1100ELNS1_3gpuE3ELNS1_3repE0EEENS1_36merge_oddeven_config_static_selectorELNS0_4arch9wavefront6targetE1EEEvSF_,"axG",@progbits,_ZN7rocprim17ROCPRIM_400000_NS6detail17trampoline_kernelINS0_14default_configENS1_38merge_sort_block_merge_config_selectorIcNS0_10empty_typeEEEZZNS1_27merge_sort_block_merge_implIS3_PcPS5_jNS1_19radix_merge_compareILb1ELb1EcNS0_19identity_decomposerEEEEE10hipError_tT0_T1_T2_jT3_P12ihipStream_tbPNSt15iterator_traitsISE_E10value_typeEPNSK_ISF_E10value_typeEPSG_NS1_7vsmem_tEENKUlT_SE_SF_SG_E_clIS8_S8_S9_S9_EESD_ST_SE_SF_SG_EUlST_E1_NS1_11comp_targetILNS1_3genE9ELNS1_11target_archE1100ELNS1_3gpuE3ELNS1_3repE0EEENS1_36merge_oddeven_config_static_selectorELNS0_4arch9wavefront6targetE1EEEvSF_,comdat
	.protected	_ZN7rocprim17ROCPRIM_400000_NS6detail17trampoline_kernelINS0_14default_configENS1_38merge_sort_block_merge_config_selectorIcNS0_10empty_typeEEEZZNS1_27merge_sort_block_merge_implIS3_PcPS5_jNS1_19radix_merge_compareILb1ELb1EcNS0_19identity_decomposerEEEEE10hipError_tT0_T1_T2_jT3_P12ihipStream_tbPNSt15iterator_traitsISE_E10value_typeEPNSK_ISF_E10value_typeEPSG_NS1_7vsmem_tEENKUlT_SE_SF_SG_E_clIS8_S8_S9_S9_EESD_ST_SE_SF_SG_EUlST_E1_NS1_11comp_targetILNS1_3genE9ELNS1_11target_archE1100ELNS1_3gpuE3ELNS1_3repE0EEENS1_36merge_oddeven_config_static_selectorELNS0_4arch9wavefront6targetE1EEEvSF_ ; -- Begin function _ZN7rocprim17ROCPRIM_400000_NS6detail17trampoline_kernelINS0_14default_configENS1_38merge_sort_block_merge_config_selectorIcNS0_10empty_typeEEEZZNS1_27merge_sort_block_merge_implIS3_PcPS5_jNS1_19radix_merge_compareILb1ELb1EcNS0_19identity_decomposerEEEEE10hipError_tT0_T1_T2_jT3_P12ihipStream_tbPNSt15iterator_traitsISE_E10value_typeEPNSK_ISF_E10value_typeEPSG_NS1_7vsmem_tEENKUlT_SE_SF_SG_E_clIS8_S8_S9_S9_EESD_ST_SE_SF_SG_EUlST_E1_NS1_11comp_targetILNS1_3genE9ELNS1_11target_archE1100ELNS1_3gpuE3ELNS1_3repE0EEENS1_36merge_oddeven_config_static_selectorELNS0_4arch9wavefront6targetE1EEEvSF_
	.globl	_ZN7rocprim17ROCPRIM_400000_NS6detail17trampoline_kernelINS0_14default_configENS1_38merge_sort_block_merge_config_selectorIcNS0_10empty_typeEEEZZNS1_27merge_sort_block_merge_implIS3_PcPS5_jNS1_19radix_merge_compareILb1ELb1EcNS0_19identity_decomposerEEEEE10hipError_tT0_T1_T2_jT3_P12ihipStream_tbPNSt15iterator_traitsISE_E10value_typeEPNSK_ISF_E10value_typeEPSG_NS1_7vsmem_tEENKUlT_SE_SF_SG_E_clIS8_S8_S9_S9_EESD_ST_SE_SF_SG_EUlST_E1_NS1_11comp_targetILNS1_3genE9ELNS1_11target_archE1100ELNS1_3gpuE3ELNS1_3repE0EEENS1_36merge_oddeven_config_static_selectorELNS0_4arch9wavefront6targetE1EEEvSF_
	.p2align	8
	.type	_ZN7rocprim17ROCPRIM_400000_NS6detail17trampoline_kernelINS0_14default_configENS1_38merge_sort_block_merge_config_selectorIcNS0_10empty_typeEEEZZNS1_27merge_sort_block_merge_implIS3_PcPS5_jNS1_19radix_merge_compareILb1ELb1EcNS0_19identity_decomposerEEEEE10hipError_tT0_T1_T2_jT3_P12ihipStream_tbPNSt15iterator_traitsISE_E10value_typeEPNSK_ISF_E10value_typeEPSG_NS1_7vsmem_tEENKUlT_SE_SF_SG_E_clIS8_S8_S9_S9_EESD_ST_SE_SF_SG_EUlST_E1_NS1_11comp_targetILNS1_3genE9ELNS1_11target_archE1100ELNS1_3gpuE3ELNS1_3repE0EEENS1_36merge_oddeven_config_static_selectorELNS0_4arch9wavefront6targetE1EEEvSF_,@function
_ZN7rocprim17ROCPRIM_400000_NS6detail17trampoline_kernelINS0_14default_configENS1_38merge_sort_block_merge_config_selectorIcNS0_10empty_typeEEEZZNS1_27merge_sort_block_merge_implIS3_PcPS5_jNS1_19radix_merge_compareILb1ELb1EcNS0_19identity_decomposerEEEEE10hipError_tT0_T1_T2_jT3_P12ihipStream_tbPNSt15iterator_traitsISE_E10value_typeEPNSK_ISF_E10value_typeEPSG_NS1_7vsmem_tEENKUlT_SE_SF_SG_E_clIS8_S8_S9_S9_EESD_ST_SE_SF_SG_EUlST_E1_NS1_11comp_targetILNS1_3genE9ELNS1_11target_archE1100ELNS1_3gpuE3ELNS1_3repE0EEENS1_36merge_oddeven_config_static_selectorELNS0_4arch9wavefront6targetE1EEEvSF_: ; @_ZN7rocprim17ROCPRIM_400000_NS6detail17trampoline_kernelINS0_14default_configENS1_38merge_sort_block_merge_config_selectorIcNS0_10empty_typeEEEZZNS1_27merge_sort_block_merge_implIS3_PcPS5_jNS1_19radix_merge_compareILb1ELb1EcNS0_19identity_decomposerEEEEE10hipError_tT0_T1_T2_jT3_P12ihipStream_tbPNSt15iterator_traitsISE_E10value_typeEPNSK_ISF_E10value_typeEPSG_NS1_7vsmem_tEENKUlT_SE_SF_SG_E_clIS8_S8_S9_S9_EESD_ST_SE_SF_SG_EUlST_E1_NS1_11comp_targetILNS1_3genE9ELNS1_11target_archE1100ELNS1_3gpuE3ELNS1_3repE0EEENS1_36merge_oddeven_config_static_selectorELNS0_4arch9wavefront6targetE1EEEvSF_
; %bb.0:
	.section	.rodata,"a",@progbits
	.p2align	6, 0x0
	.amdhsa_kernel _ZN7rocprim17ROCPRIM_400000_NS6detail17trampoline_kernelINS0_14default_configENS1_38merge_sort_block_merge_config_selectorIcNS0_10empty_typeEEEZZNS1_27merge_sort_block_merge_implIS3_PcPS5_jNS1_19radix_merge_compareILb1ELb1EcNS0_19identity_decomposerEEEEE10hipError_tT0_T1_T2_jT3_P12ihipStream_tbPNSt15iterator_traitsISE_E10value_typeEPNSK_ISF_E10value_typeEPSG_NS1_7vsmem_tEENKUlT_SE_SF_SG_E_clIS8_S8_S9_S9_EESD_ST_SE_SF_SG_EUlST_E1_NS1_11comp_targetILNS1_3genE9ELNS1_11target_archE1100ELNS1_3gpuE3ELNS1_3repE0EEENS1_36merge_oddeven_config_static_selectorELNS0_4arch9wavefront6targetE1EEEvSF_
		.amdhsa_group_segment_fixed_size 0
		.amdhsa_private_segment_fixed_size 0
		.amdhsa_kernarg_size 48
		.amdhsa_user_sgpr_count 6
		.amdhsa_user_sgpr_private_segment_buffer 1
		.amdhsa_user_sgpr_dispatch_ptr 0
		.amdhsa_user_sgpr_queue_ptr 0
		.amdhsa_user_sgpr_kernarg_segment_ptr 1
		.amdhsa_user_sgpr_dispatch_id 0
		.amdhsa_user_sgpr_flat_scratch_init 0
		.amdhsa_user_sgpr_kernarg_preload_length 0
		.amdhsa_user_sgpr_kernarg_preload_offset 0
		.amdhsa_user_sgpr_private_segment_size 0
		.amdhsa_uses_dynamic_stack 0
		.amdhsa_system_sgpr_private_segment_wavefront_offset 0
		.amdhsa_system_sgpr_workgroup_id_x 1
		.amdhsa_system_sgpr_workgroup_id_y 0
		.amdhsa_system_sgpr_workgroup_id_z 0
		.amdhsa_system_sgpr_workgroup_info 0
		.amdhsa_system_vgpr_workitem_id 0
		.amdhsa_next_free_vgpr 1
		.amdhsa_next_free_sgpr 0
		.amdhsa_accum_offset 4
		.amdhsa_reserve_vcc 0
		.amdhsa_reserve_flat_scratch 0
		.amdhsa_float_round_mode_32 0
		.amdhsa_float_round_mode_16_64 0
		.amdhsa_float_denorm_mode_32 3
		.amdhsa_float_denorm_mode_16_64 3
		.amdhsa_dx10_clamp 1
		.amdhsa_ieee_mode 1
		.amdhsa_fp16_overflow 0
		.amdhsa_tg_split 0
		.amdhsa_exception_fp_ieee_invalid_op 0
		.amdhsa_exception_fp_denorm_src 0
		.amdhsa_exception_fp_ieee_div_zero 0
		.amdhsa_exception_fp_ieee_overflow 0
		.amdhsa_exception_fp_ieee_underflow 0
		.amdhsa_exception_fp_ieee_inexact 0
		.amdhsa_exception_int_div_zero 0
	.end_amdhsa_kernel
	.section	.text._ZN7rocprim17ROCPRIM_400000_NS6detail17trampoline_kernelINS0_14default_configENS1_38merge_sort_block_merge_config_selectorIcNS0_10empty_typeEEEZZNS1_27merge_sort_block_merge_implIS3_PcPS5_jNS1_19radix_merge_compareILb1ELb1EcNS0_19identity_decomposerEEEEE10hipError_tT0_T1_T2_jT3_P12ihipStream_tbPNSt15iterator_traitsISE_E10value_typeEPNSK_ISF_E10value_typeEPSG_NS1_7vsmem_tEENKUlT_SE_SF_SG_E_clIS8_S8_S9_S9_EESD_ST_SE_SF_SG_EUlST_E1_NS1_11comp_targetILNS1_3genE9ELNS1_11target_archE1100ELNS1_3gpuE3ELNS1_3repE0EEENS1_36merge_oddeven_config_static_selectorELNS0_4arch9wavefront6targetE1EEEvSF_,"axG",@progbits,_ZN7rocprim17ROCPRIM_400000_NS6detail17trampoline_kernelINS0_14default_configENS1_38merge_sort_block_merge_config_selectorIcNS0_10empty_typeEEEZZNS1_27merge_sort_block_merge_implIS3_PcPS5_jNS1_19radix_merge_compareILb1ELb1EcNS0_19identity_decomposerEEEEE10hipError_tT0_T1_T2_jT3_P12ihipStream_tbPNSt15iterator_traitsISE_E10value_typeEPNSK_ISF_E10value_typeEPSG_NS1_7vsmem_tEENKUlT_SE_SF_SG_E_clIS8_S8_S9_S9_EESD_ST_SE_SF_SG_EUlST_E1_NS1_11comp_targetILNS1_3genE9ELNS1_11target_archE1100ELNS1_3gpuE3ELNS1_3repE0EEENS1_36merge_oddeven_config_static_selectorELNS0_4arch9wavefront6targetE1EEEvSF_,comdat
.Lfunc_end1527:
	.size	_ZN7rocprim17ROCPRIM_400000_NS6detail17trampoline_kernelINS0_14default_configENS1_38merge_sort_block_merge_config_selectorIcNS0_10empty_typeEEEZZNS1_27merge_sort_block_merge_implIS3_PcPS5_jNS1_19radix_merge_compareILb1ELb1EcNS0_19identity_decomposerEEEEE10hipError_tT0_T1_T2_jT3_P12ihipStream_tbPNSt15iterator_traitsISE_E10value_typeEPNSK_ISF_E10value_typeEPSG_NS1_7vsmem_tEENKUlT_SE_SF_SG_E_clIS8_S8_S9_S9_EESD_ST_SE_SF_SG_EUlST_E1_NS1_11comp_targetILNS1_3genE9ELNS1_11target_archE1100ELNS1_3gpuE3ELNS1_3repE0EEENS1_36merge_oddeven_config_static_selectorELNS0_4arch9wavefront6targetE1EEEvSF_, .Lfunc_end1527-_ZN7rocprim17ROCPRIM_400000_NS6detail17trampoline_kernelINS0_14default_configENS1_38merge_sort_block_merge_config_selectorIcNS0_10empty_typeEEEZZNS1_27merge_sort_block_merge_implIS3_PcPS5_jNS1_19radix_merge_compareILb1ELb1EcNS0_19identity_decomposerEEEEE10hipError_tT0_T1_T2_jT3_P12ihipStream_tbPNSt15iterator_traitsISE_E10value_typeEPNSK_ISF_E10value_typeEPSG_NS1_7vsmem_tEENKUlT_SE_SF_SG_E_clIS8_S8_S9_S9_EESD_ST_SE_SF_SG_EUlST_E1_NS1_11comp_targetILNS1_3genE9ELNS1_11target_archE1100ELNS1_3gpuE3ELNS1_3repE0EEENS1_36merge_oddeven_config_static_selectorELNS0_4arch9wavefront6targetE1EEEvSF_
                                        ; -- End function
	.section	.AMDGPU.csdata,"",@progbits
; Kernel info:
; codeLenInByte = 0
; NumSgprs: 4
; NumVgprs: 0
; NumAgprs: 0
; TotalNumVgprs: 0
; ScratchSize: 0
; MemoryBound: 0
; FloatMode: 240
; IeeeMode: 1
; LDSByteSize: 0 bytes/workgroup (compile time only)
; SGPRBlocks: 0
; VGPRBlocks: 0
; NumSGPRsForWavesPerEU: 4
; NumVGPRsForWavesPerEU: 1
; AccumOffset: 4
; Occupancy: 8
; WaveLimiterHint : 0
; COMPUTE_PGM_RSRC2:SCRATCH_EN: 0
; COMPUTE_PGM_RSRC2:USER_SGPR: 6
; COMPUTE_PGM_RSRC2:TRAP_HANDLER: 0
; COMPUTE_PGM_RSRC2:TGID_X_EN: 1
; COMPUTE_PGM_RSRC2:TGID_Y_EN: 0
; COMPUTE_PGM_RSRC2:TGID_Z_EN: 0
; COMPUTE_PGM_RSRC2:TIDIG_COMP_CNT: 0
; COMPUTE_PGM_RSRC3_GFX90A:ACCUM_OFFSET: 0
; COMPUTE_PGM_RSRC3_GFX90A:TG_SPLIT: 0
	.section	.text._ZN7rocprim17ROCPRIM_400000_NS6detail17trampoline_kernelINS0_14default_configENS1_38merge_sort_block_merge_config_selectorIcNS0_10empty_typeEEEZZNS1_27merge_sort_block_merge_implIS3_PcPS5_jNS1_19radix_merge_compareILb1ELb1EcNS0_19identity_decomposerEEEEE10hipError_tT0_T1_T2_jT3_P12ihipStream_tbPNSt15iterator_traitsISE_E10value_typeEPNSK_ISF_E10value_typeEPSG_NS1_7vsmem_tEENKUlT_SE_SF_SG_E_clIS8_S8_S9_S9_EESD_ST_SE_SF_SG_EUlST_E1_NS1_11comp_targetILNS1_3genE8ELNS1_11target_archE1030ELNS1_3gpuE2ELNS1_3repE0EEENS1_36merge_oddeven_config_static_selectorELNS0_4arch9wavefront6targetE1EEEvSF_,"axG",@progbits,_ZN7rocprim17ROCPRIM_400000_NS6detail17trampoline_kernelINS0_14default_configENS1_38merge_sort_block_merge_config_selectorIcNS0_10empty_typeEEEZZNS1_27merge_sort_block_merge_implIS3_PcPS5_jNS1_19radix_merge_compareILb1ELb1EcNS0_19identity_decomposerEEEEE10hipError_tT0_T1_T2_jT3_P12ihipStream_tbPNSt15iterator_traitsISE_E10value_typeEPNSK_ISF_E10value_typeEPSG_NS1_7vsmem_tEENKUlT_SE_SF_SG_E_clIS8_S8_S9_S9_EESD_ST_SE_SF_SG_EUlST_E1_NS1_11comp_targetILNS1_3genE8ELNS1_11target_archE1030ELNS1_3gpuE2ELNS1_3repE0EEENS1_36merge_oddeven_config_static_selectorELNS0_4arch9wavefront6targetE1EEEvSF_,comdat
	.protected	_ZN7rocprim17ROCPRIM_400000_NS6detail17trampoline_kernelINS0_14default_configENS1_38merge_sort_block_merge_config_selectorIcNS0_10empty_typeEEEZZNS1_27merge_sort_block_merge_implIS3_PcPS5_jNS1_19radix_merge_compareILb1ELb1EcNS0_19identity_decomposerEEEEE10hipError_tT0_T1_T2_jT3_P12ihipStream_tbPNSt15iterator_traitsISE_E10value_typeEPNSK_ISF_E10value_typeEPSG_NS1_7vsmem_tEENKUlT_SE_SF_SG_E_clIS8_S8_S9_S9_EESD_ST_SE_SF_SG_EUlST_E1_NS1_11comp_targetILNS1_3genE8ELNS1_11target_archE1030ELNS1_3gpuE2ELNS1_3repE0EEENS1_36merge_oddeven_config_static_selectorELNS0_4arch9wavefront6targetE1EEEvSF_ ; -- Begin function _ZN7rocprim17ROCPRIM_400000_NS6detail17trampoline_kernelINS0_14default_configENS1_38merge_sort_block_merge_config_selectorIcNS0_10empty_typeEEEZZNS1_27merge_sort_block_merge_implIS3_PcPS5_jNS1_19radix_merge_compareILb1ELb1EcNS0_19identity_decomposerEEEEE10hipError_tT0_T1_T2_jT3_P12ihipStream_tbPNSt15iterator_traitsISE_E10value_typeEPNSK_ISF_E10value_typeEPSG_NS1_7vsmem_tEENKUlT_SE_SF_SG_E_clIS8_S8_S9_S9_EESD_ST_SE_SF_SG_EUlST_E1_NS1_11comp_targetILNS1_3genE8ELNS1_11target_archE1030ELNS1_3gpuE2ELNS1_3repE0EEENS1_36merge_oddeven_config_static_selectorELNS0_4arch9wavefront6targetE1EEEvSF_
	.globl	_ZN7rocprim17ROCPRIM_400000_NS6detail17trampoline_kernelINS0_14default_configENS1_38merge_sort_block_merge_config_selectorIcNS0_10empty_typeEEEZZNS1_27merge_sort_block_merge_implIS3_PcPS5_jNS1_19radix_merge_compareILb1ELb1EcNS0_19identity_decomposerEEEEE10hipError_tT0_T1_T2_jT3_P12ihipStream_tbPNSt15iterator_traitsISE_E10value_typeEPNSK_ISF_E10value_typeEPSG_NS1_7vsmem_tEENKUlT_SE_SF_SG_E_clIS8_S8_S9_S9_EESD_ST_SE_SF_SG_EUlST_E1_NS1_11comp_targetILNS1_3genE8ELNS1_11target_archE1030ELNS1_3gpuE2ELNS1_3repE0EEENS1_36merge_oddeven_config_static_selectorELNS0_4arch9wavefront6targetE1EEEvSF_
	.p2align	8
	.type	_ZN7rocprim17ROCPRIM_400000_NS6detail17trampoline_kernelINS0_14default_configENS1_38merge_sort_block_merge_config_selectorIcNS0_10empty_typeEEEZZNS1_27merge_sort_block_merge_implIS3_PcPS5_jNS1_19radix_merge_compareILb1ELb1EcNS0_19identity_decomposerEEEEE10hipError_tT0_T1_T2_jT3_P12ihipStream_tbPNSt15iterator_traitsISE_E10value_typeEPNSK_ISF_E10value_typeEPSG_NS1_7vsmem_tEENKUlT_SE_SF_SG_E_clIS8_S8_S9_S9_EESD_ST_SE_SF_SG_EUlST_E1_NS1_11comp_targetILNS1_3genE8ELNS1_11target_archE1030ELNS1_3gpuE2ELNS1_3repE0EEENS1_36merge_oddeven_config_static_selectorELNS0_4arch9wavefront6targetE1EEEvSF_,@function
_ZN7rocprim17ROCPRIM_400000_NS6detail17trampoline_kernelINS0_14default_configENS1_38merge_sort_block_merge_config_selectorIcNS0_10empty_typeEEEZZNS1_27merge_sort_block_merge_implIS3_PcPS5_jNS1_19radix_merge_compareILb1ELb1EcNS0_19identity_decomposerEEEEE10hipError_tT0_T1_T2_jT3_P12ihipStream_tbPNSt15iterator_traitsISE_E10value_typeEPNSK_ISF_E10value_typeEPSG_NS1_7vsmem_tEENKUlT_SE_SF_SG_E_clIS8_S8_S9_S9_EESD_ST_SE_SF_SG_EUlST_E1_NS1_11comp_targetILNS1_3genE8ELNS1_11target_archE1030ELNS1_3gpuE2ELNS1_3repE0EEENS1_36merge_oddeven_config_static_selectorELNS0_4arch9wavefront6targetE1EEEvSF_: ; @_ZN7rocprim17ROCPRIM_400000_NS6detail17trampoline_kernelINS0_14default_configENS1_38merge_sort_block_merge_config_selectorIcNS0_10empty_typeEEEZZNS1_27merge_sort_block_merge_implIS3_PcPS5_jNS1_19radix_merge_compareILb1ELb1EcNS0_19identity_decomposerEEEEE10hipError_tT0_T1_T2_jT3_P12ihipStream_tbPNSt15iterator_traitsISE_E10value_typeEPNSK_ISF_E10value_typeEPSG_NS1_7vsmem_tEENKUlT_SE_SF_SG_E_clIS8_S8_S9_S9_EESD_ST_SE_SF_SG_EUlST_E1_NS1_11comp_targetILNS1_3genE8ELNS1_11target_archE1030ELNS1_3gpuE2ELNS1_3repE0EEENS1_36merge_oddeven_config_static_selectorELNS0_4arch9wavefront6targetE1EEEvSF_
; %bb.0:
	.section	.rodata,"a",@progbits
	.p2align	6, 0x0
	.amdhsa_kernel _ZN7rocprim17ROCPRIM_400000_NS6detail17trampoline_kernelINS0_14default_configENS1_38merge_sort_block_merge_config_selectorIcNS0_10empty_typeEEEZZNS1_27merge_sort_block_merge_implIS3_PcPS5_jNS1_19radix_merge_compareILb1ELb1EcNS0_19identity_decomposerEEEEE10hipError_tT0_T1_T2_jT3_P12ihipStream_tbPNSt15iterator_traitsISE_E10value_typeEPNSK_ISF_E10value_typeEPSG_NS1_7vsmem_tEENKUlT_SE_SF_SG_E_clIS8_S8_S9_S9_EESD_ST_SE_SF_SG_EUlST_E1_NS1_11comp_targetILNS1_3genE8ELNS1_11target_archE1030ELNS1_3gpuE2ELNS1_3repE0EEENS1_36merge_oddeven_config_static_selectorELNS0_4arch9wavefront6targetE1EEEvSF_
		.amdhsa_group_segment_fixed_size 0
		.amdhsa_private_segment_fixed_size 0
		.amdhsa_kernarg_size 48
		.amdhsa_user_sgpr_count 6
		.amdhsa_user_sgpr_private_segment_buffer 1
		.amdhsa_user_sgpr_dispatch_ptr 0
		.amdhsa_user_sgpr_queue_ptr 0
		.amdhsa_user_sgpr_kernarg_segment_ptr 1
		.amdhsa_user_sgpr_dispatch_id 0
		.amdhsa_user_sgpr_flat_scratch_init 0
		.amdhsa_user_sgpr_kernarg_preload_length 0
		.amdhsa_user_sgpr_kernarg_preload_offset 0
		.amdhsa_user_sgpr_private_segment_size 0
		.amdhsa_uses_dynamic_stack 0
		.amdhsa_system_sgpr_private_segment_wavefront_offset 0
		.amdhsa_system_sgpr_workgroup_id_x 1
		.amdhsa_system_sgpr_workgroup_id_y 0
		.amdhsa_system_sgpr_workgroup_id_z 0
		.amdhsa_system_sgpr_workgroup_info 0
		.amdhsa_system_vgpr_workitem_id 0
		.amdhsa_next_free_vgpr 1
		.amdhsa_next_free_sgpr 0
		.amdhsa_accum_offset 4
		.amdhsa_reserve_vcc 0
		.amdhsa_reserve_flat_scratch 0
		.amdhsa_float_round_mode_32 0
		.amdhsa_float_round_mode_16_64 0
		.amdhsa_float_denorm_mode_32 3
		.amdhsa_float_denorm_mode_16_64 3
		.amdhsa_dx10_clamp 1
		.amdhsa_ieee_mode 1
		.amdhsa_fp16_overflow 0
		.amdhsa_tg_split 0
		.amdhsa_exception_fp_ieee_invalid_op 0
		.amdhsa_exception_fp_denorm_src 0
		.amdhsa_exception_fp_ieee_div_zero 0
		.amdhsa_exception_fp_ieee_overflow 0
		.amdhsa_exception_fp_ieee_underflow 0
		.amdhsa_exception_fp_ieee_inexact 0
		.amdhsa_exception_int_div_zero 0
	.end_amdhsa_kernel
	.section	.text._ZN7rocprim17ROCPRIM_400000_NS6detail17trampoline_kernelINS0_14default_configENS1_38merge_sort_block_merge_config_selectorIcNS0_10empty_typeEEEZZNS1_27merge_sort_block_merge_implIS3_PcPS5_jNS1_19radix_merge_compareILb1ELb1EcNS0_19identity_decomposerEEEEE10hipError_tT0_T1_T2_jT3_P12ihipStream_tbPNSt15iterator_traitsISE_E10value_typeEPNSK_ISF_E10value_typeEPSG_NS1_7vsmem_tEENKUlT_SE_SF_SG_E_clIS8_S8_S9_S9_EESD_ST_SE_SF_SG_EUlST_E1_NS1_11comp_targetILNS1_3genE8ELNS1_11target_archE1030ELNS1_3gpuE2ELNS1_3repE0EEENS1_36merge_oddeven_config_static_selectorELNS0_4arch9wavefront6targetE1EEEvSF_,"axG",@progbits,_ZN7rocprim17ROCPRIM_400000_NS6detail17trampoline_kernelINS0_14default_configENS1_38merge_sort_block_merge_config_selectorIcNS0_10empty_typeEEEZZNS1_27merge_sort_block_merge_implIS3_PcPS5_jNS1_19radix_merge_compareILb1ELb1EcNS0_19identity_decomposerEEEEE10hipError_tT0_T1_T2_jT3_P12ihipStream_tbPNSt15iterator_traitsISE_E10value_typeEPNSK_ISF_E10value_typeEPSG_NS1_7vsmem_tEENKUlT_SE_SF_SG_E_clIS8_S8_S9_S9_EESD_ST_SE_SF_SG_EUlST_E1_NS1_11comp_targetILNS1_3genE8ELNS1_11target_archE1030ELNS1_3gpuE2ELNS1_3repE0EEENS1_36merge_oddeven_config_static_selectorELNS0_4arch9wavefront6targetE1EEEvSF_,comdat
.Lfunc_end1528:
	.size	_ZN7rocprim17ROCPRIM_400000_NS6detail17trampoline_kernelINS0_14default_configENS1_38merge_sort_block_merge_config_selectorIcNS0_10empty_typeEEEZZNS1_27merge_sort_block_merge_implIS3_PcPS5_jNS1_19radix_merge_compareILb1ELb1EcNS0_19identity_decomposerEEEEE10hipError_tT0_T1_T2_jT3_P12ihipStream_tbPNSt15iterator_traitsISE_E10value_typeEPNSK_ISF_E10value_typeEPSG_NS1_7vsmem_tEENKUlT_SE_SF_SG_E_clIS8_S8_S9_S9_EESD_ST_SE_SF_SG_EUlST_E1_NS1_11comp_targetILNS1_3genE8ELNS1_11target_archE1030ELNS1_3gpuE2ELNS1_3repE0EEENS1_36merge_oddeven_config_static_selectorELNS0_4arch9wavefront6targetE1EEEvSF_, .Lfunc_end1528-_ZN7rocprim17ROCPRIM_400000_NS6detail17trampoline_kernelINS0_14default_configENS1_38merge_sort_block_merge_config_selectorIcNS0_10empty_typeEEEZZNS1_27merge_sort_block_merge_implIS3_PcPS5_jNS1_19radix_merge_compareILb1ELb1EcNS0_19identity_decomposerEEEEE10hipError_tT0_T1_T2_jT3_P12ihipStream_tbPNSt15iterator_traitsISE_E10value_typeEPNSK_ISF_E10value_typeEPSG_NS1_7vsmem_tEENKUlT_SE_SF_SG_E_clIS8_S8_S9_S9_EESD_ST_SE_SF_SG_EUlST_E1_NS1_11comp_targetILNS1_3genE8ELNS1_11target_archE1030ELNS1_3gpuE2ELNS1_3repE0EEENS1_36merge_oddeven_config_static_selectorELNS0_4arch9wavefront6targetE1EEEvSF_
                                        ; -- End function
	.section	.AMDGPU.csdata,"",@progbits
; Kernel info:
; codeLenInByte = 0
; NumSgprs: 4
; NumVgprs: 0
; NumAgprs: 0
; TotalNumVgprs: 0
; ScratchSize: 0
; MemoryBound: 0
; FloatMode: 240
; IeeeMode: 1
; LDSByteSize: 0 bytes/workgroup (compile time only)
; SGPRBlocks: 0
; VGPRBlocks: 0
; NumSGPRsForWavesPerEU: 4
; NumVGPRsForWavesPerEU: 1
; AccumOffset: 4
; Occupancy: 8
; WaveLimiterHint : 0
; COMPUTE_PGM_RSRC2:SCRATCH_EN: 0
; COMPUTE_PGM_RSRC2:USER_SGPR: 6
; COMPUTE_PGM_RSRC2:TRAP_HANDLER: 0
; COMPUTE_PGM_RSRC2:TGID_X_EN: 1
; COMPUTE_PGM_RSRC2:TGID_Y_EN: 0
; COMPUTE_PGM_RSRC2:TGID_Z_EN: 0
; COMPUTE_PGM_RSRC2:TIDIG_COMP_CNT: 0
; COMPUTE_PGM_RSRC3_GFX90A:ACCUM_OFFSET: 0
; COMPUTE_PGM_RSRC3_GFX90A:TG_SPLIT: 0
	.section	.text._ZN7rocprim17ROCPRIM_400000_NS6detail17trampoline_kernelINS0_14default_configENS1_35radix_sort_onesweep_config_selectorIcNS0_10empty_typeEEEZNS1_34radix_sort_onesweep_global_offsetsIS3_Lb1EPcPS5_mNS0_19identity_decomposerEEE10hipError_tT1_T2_PT3_SE_jT4_jjP12ihipStream_tbEUlT_E_NS1_11comp_targetILNS1_3genE0ELNS1_11target_archE4294967295ELNS1_3gpuE0ELNS1_3repE0EEENS1_52radix_sort_onesweep_histogram_config_static_selectorELNS0_4arch9wavefront6targetE1EEEvSC_,"axG",@progbits,_ZN7rocprim17ROCPRIM_400000_NS6detail17trampoline_kernelINS0_14default_configENS1_35radix_sort_onesweep_config_selectorIcNS0_10empty_typeEEEZNS1_34radix_sort_onesweep_global_offsetsIS3_Lb1EPcPS5_mNS0_19identity_decomposerEEE10hipError_tT1_T2_PT3_SE_jT4_jjP12ihipStream_tbEUlT_E_NS1_11comp_targetILNS1_3genE0ELNS1_11target_archE4294967295ELNS1_3gpuE0ELNS1_3repE0EEENS1_52radix_sort_onesweep_histogram_config_static_selectorELNS0_4arch9wavefront6targetE1EEEvSC_,comdat
	.protected	_ZN7rocprim17ROCPRIM_400000_NS6detail17trampoline_kernelINS0_14default_configENS1_35radix_sort_onesweep_config_selectorIcNS0_10empty_typeEEEZNS1_34radix_sort_onesweep_global_offsetsIS3_Lb1EPcPS5_mNS0_19identity_decomposerEEE10hipError_tT1_T2_PT3_SE_jT4_jjP12ihipStream_tbEUlT_E_NS1_11comp_targetILNS1_3genE0ELNS1_11target_archE4294967295ELNS1_3gpuE0ELNS1_3repE0EEENS1_52radix_sort_onesweep_histogram_config_static_selectorELNS0_4arch9wavefront6targetE1EEEvSC_ ; -- Begin function _ZN7rocprim17ROCPRIM_400000_NS6detail17trampoline_kernelINS0_14default_configENS1_35radix_sort_onesweep_config_selectorIcNS0_10empty_typeEEEZNS1_34radix_sort_onesweep_global_offsetsIS3_Lb1EPcPS5_mNS0_19identity_decomposerEEE10hipError_tT1_T2_PT3_SE_jT4_jjP12ihipStream_tbEUlT_E_NS1_11comp_targetILNS1_3genE0ELNS1_11target_archE4294967295ELNS1_3gpuE0ELNS1_3repE0EEENS1_52radix_sort_onesweep_histogram_config_static_selectorELNS0_4arch9wavefront6targetE1EEEvSC_
	.globl	_ZN7rocprim17ROCPRIM_400000_NS6detail17trampoline_kernelINS0_14default_configENS1_35radix_sort_onesweep_config_selectorIcNS0_10empty_typeEEEZNS1_34radix_sort_onesweep_global_offsetsIS3_Lb1EPcPS5_mNS0_19identity_decomposerEEE10hipError_tT1_T2_PT3_SE_jT4_jjP12ihipStream_tbEUlT_E_NS1_11comp_targetILNS1_3genE0ELNS1_11target_archE4294967295ELNS1_3gpuE0ELNS1_3repE0EEENS1_52radix_sort_onesweep_histogram_config_static_selectorELNS0_4arch9wavefront6targetE1EEEvSC_
	.p2align	8
	.type	_ZN7rocprim17ROCPRIM_400000_NS6detail17trampoline_kernelINS0_14default_configENS1_35radix_sort_onesweep_config_selectorIcNS0_10empty_typeEEEZNS1_34radix_sort_onesweep_global_offsetsIS3_Lb1EPcPS5_mNS0_19identity_decomposerEEE10hipError_tT1_T2_PT3_SE_jT4_jjP12ihipStream_tbEUlT_E_NS1_11comp_targetILNS1_3genE0ELNS1_11target_archE4294967295ELNS1_3gpuE0ELNS1_3repE0EEENS1_52radix_sort_onesweep_histogram_config_static_selectorELNS0_4arch9wavefront6targetE1EEEvSC_,@function
_ZN7rocprim17ROCPRIM_400000_NS6detail17trampoline_kernelINS0_14default_configENS1_35radix_sort_onesweep_config_selectorIcNS0_10empty_typeEEEZNS1_34radix_sort_onesweep_global_offsetsIS3_Lb1EPcPS5_mNS0_19identity_decomposerEEE10hipError_tT1_T2_PT3_SE_jT4_jjP12ihipStream_tbEUlT_E_NS1_11comp_targetILNS1_3genE0ELNS1_11target_archE4294967295ELNS1_3gpuE0ELNS1_3repE0EEENS1_52radix_sort_onesweep_histogram_config_static_selectorELNS0_4arch9wavefront6targetE1EEEvSC_: ; @_ZN7rocprim17ROCPRIM_400000_NS6detail17trampoline_kernelINS0_14default_configENS1_35radix_sort_onesweep_config_selectorIcNS0_10empty_typeEEEZNS1_34radix_sort_onesweep_global_offsetsIS3_Lb1EPcPS5_mNS0_19identity_decomposerEEE10hipError_tT1_T2_PT3_SE_jT4_jjP12ihipStream_tbEUlT_E_NS1_11comp_targetILNS1_3genE0ELNS1_11target_archE4294967295ELNS1_3gpuE0ELNS1_3repE0EEENS1_52radix_sort_onesweep_histogram_config_static_selectorELNS0_4arch9wavefront6targetE1EEEvSC_
; %bb.0:
	.section	.rodata,"a",@progbits
	.p2align	6, 0x0
	.amdhsa_kernel _ZN7rocprim17ROCPRIM_400000_NS6detail17trampoline_kernelINS0_14default_configENS1_35radix_sort_onesweep_config_selectorIcNS0_10empty_typeEEEZNS1_34radix_sort_onesweep_global_offsetsIS3_Lb1EPcPS5_mNS0_19identity_decomposerEEE10hipError_tT1_T2_PT3_SE_jT4_jjP12ihipStream_tbEUlT_E_NS1_11comp_targetILNS1_3genE0ELNS1_11target_archE4294967295ELNS1_3gpuE0ELNS1_3repE0EEENS1_52radix_sort_onesweep_histogram_config_static_selectorELNS0_4arch9wavefront6targetE1EEEvSC_
		.amdhsa_group_segment_fixed_size 0
		.amdhsa_private_segment_fixed_size 0
		.amdhsa_kernarg_size 48
		.amdhsa_user_sgpr_count 6
		.amdhsa_user_sgpr_private_segment_buffer 1
		.amdhsa_user_sgpr_dispatch_ptr 0
		.amdhsa_user_sgpr_queue_ptr 0
		.amdhsa_user_sgpr_kernarg_segment_ptr 1
		.amdhsa_user_sgpr_dispatch_id 0
		.amdhsa_user_sgpr_flat_scratch_init 0
		.amdhsa_user_sgpr_kernarg_preload_length 0
		.amdhsa_user_sgpr_kernarg_preload_offset 0
		.amdhsa_user_sgpr_private_segment_size 0
		.amdhsa_uses_dynamic_stack 0
		.amdhsa_system_sgpr_private_segment_wavefront_offset 0
		.amdhsa_system_sgpr_workgroup_id_x 1
		.amdhsa_system_sgpr_workgroup_id_y 0
		.amdhsa_system_sgpr_workgroup_id_z 0
		.amdhsa_system_sgpr_workgroup_info 0
		.amdhsa_system_vgpr_workitem_id 0
		.amdhsa_next_free_vgpr 1
		.amdhsa_next_free_sgpr 0
		.amdhsa_accum_offset 4
		.amdhsa_reserve_vcc 0
		.amdhsa_reserve_flat_scratch 0
		.amdhsa_float_round_mode_32 0
		.amdhsa_float_round_mode_16_64 0
		.amdhsa_float_denorm_mode_32 3
		.amdhsa_float_denorm_mode_16_64 3
		.amdhsa_dx10_clamp 1
		.amdhsa_ieee_mode 1
		.amdhsa_fp16_overflow 0
		.amdhsa_tg_split 0
		.amdhsa_exception_fp_ieee_invalid_op 0
		.amdhsa_exception_fp_denorm_src 0
		.amdhsa_exception_fp_ieee_div_zero 0
		.amdhsa_exception_fp_ieee_overflow 0
		.amdhsa_exception_fp_ieee_underflow 0
		.amdhsa_exception_fp_ieee_inexact 0
		.amdhsa_exception_int_div_zero 0
	.end_amdhsa_kernel
	.section	.text._ZN7rocprim17ROCPRIM_400000_NS6detail17trampoline_kernelINS0_14default_configENS1_35radix_sort_onesweep_config_selectorIcNS0_10empty_typeEEEZNS1_34radix_sort_onesweep_global_offsetsIS3_Lb1EPcPS5_mNS0_19identity_decomposerEEE10hipError_tT1_T2_PT3_SE_jT4_jjP12ihipStream_tbEUlT_E_NS1_11comp_targetILNS1_3genE0ELNS1_11target_archE4294967295ELNS1_3gpuE0ELNS1_3repE0EEENS1_52radix_sort_onesweep_histogram_config_static_selectorELNS0_4arch9wavefront6targetE1EEEvSC_,"axG",@progbits,_ZN7rocprim17ROCPRIM_400000_NS6detail17trampoline_kernelINS0_14default_configENS1_35radix_sort_onesweep_config_selectorIcNS0_10empty_typeEEEZNS1_34radix_sort_onesweep_global_offsetsIS3_Lb1EPcPS5_mNS0_19identity_decomposerEEE10hipError_tT1_T2_PT3_SE_jT4_jjP12ihipStream_tbEUlT_E_NS1_11comp_targetILNS1_3genE0ELNS1_11target_archE4294967295ELNS1_3gpuE0ELNS1_3repE0EEENS1_52radix_sort_onesweep_histogram_config_static_selectorELNS0_4arch9wavefront6targetE1EEEvSC_,comdat
.Lfunc_end1529:
	.size	_ZN7rocprim17ROCPRIM_400000_NS6detail17trampoline_kernelINS0_14default_configENS1_35radix_sort_onesweep_config_selectorIcNS0_10empty_typeEEEZNS1_34radix_sort_onesweep_global_offsetsIS3_Lb1EPcPS5_mNS0_19identity_decomposerEEE10hipError_tT1_T2_PT3_SE_jT4_jjP12ihipStream_tbEUlT_E_NS1_11comp_targetILNS1_3genE0ELNS1_11target_archE4294967295ELNS1_3gpuE0ELNS1_3repE0EEENS1_52radix_sort_onesweep_histogram_config_static_selectorELNS0_4arch9wavefront6targetE1EEEvSC_, .Lfunc_end1529-_ZN7rocprim17ROCPRIM_400000_NS6detail17trampoline_kernelINS0_14default_configENS1_35radix_sort_onesweep_config_selectorIcNS0_10empty_typeEEEZNS1_34radix_sort_onesweep_global_offsetsIS3_Lb1EPcPS5_mNS0_19identity_decomposerEEE10hipError_tT1_T2_PT3_SE_jT4_jjP12ihipStream_tbEUlT_E_NS1_11comp_targetILNS1_3genE0ELNS1_11target_archE4294967295ELNS1_3gpuE0ELNS1_3repE0EEENS1_52radix_sort_onesweep_histogram_config_static_selectorELNS0_4arch9wavefront6targetE1EEEvSC_
                                        ; -- End function
	.section	.AMDGPU.csdata,"",@progbits
; Kernel info:
; codeLenInByte = 0
; NumSgprs: 4
; NumVgprs: 0
; NumAgprs: 0
; TotalNumVgprs: 0
; ScratchSize: 0
; MemoryBound: 0
; FloatMode: 240
; IeeeMode: 1
; LDSByteSize: 0 bytes/workgroup (compile time only)
; SGPRBlocks: 0
; VGPRBlocks: 0
; NumSGPRsForWavesPerEU: 4
; NumVGPRsForWavesPerEU: 1
; AccumOffset: 4
; Occupancy: 8
; WaveLimiterHint : 0
; COMPUTE_PGM_RSRC2:SCRATCH_EN: 0
; COMPUTE_PGM_RSRC2:USER_SGPR: 6
; COMPUTE_PGM_RSRC2:TRAP_HANDLER: 0
; COMPUTE_PGM_RSRC2:TGID_X_EN: 1
; COMPUTE_PGM_RSRC2:TGID_Y_EN: 0
; COMPUTE_PGM_RSRC2:TGID_Z_EN: 0
; COMPUTE_PGM_RSRC2:TIDIG_COMP_CNT: 0
; COMPUTE_PGM_RSRC3_GFX90A:ACCUM_OFFSET: 0
; COMPUTE_PGM_RSRC3_GFX90A:TG_SPLIT: 0
	.section	.text._ZN7rocprim17ROCPRIM_400000_NS6detail17trampoline_kernelINS0_14default_configENS1_35radix_sort_onesweep_config_selectorIcNS0_10empty_typeEEEZNS1_34radix_sort_onesweep_global_offsetsIS3_Lb1EPcPS5_mNS0_19identity_decomposerEEE10hipError_tT1_T2_PT3_SE_jT4_jjP12ihipStream_tbEUlT_E_NS1_11comp_targetILNS1_3genE6ELNS1_11target_archE950ELNS1_3gpuE13ELNS1_3repE0EEENS1_52radix_sort_onesweep_histogram_config_static_selectorELNS0_4arch9wavefront6targetE1EEEvSC_,"axG",@progbits,_ZN7rocprim17ROCPRIM_400000_NS6detail17trampoline_kernelINS0_14default_configENS1_35radix_sort_onesweep_config_selectorIcNS0_10empty_typeEEEZNS1_34radix_sort_onesweep_global_offsetsIS3_Lb1EPcPS5_mNS0_19identity_decomposerEEE10hipError_tT1_T2_PT3_SE_jT4_jjP12ihipStream_tbEUlT_E_NS1_11comp_targetILNS1_3genE6ELNS1_11target_archE950ELNS1_3gpuE13ELNS1_3repE0EEENS1_52radix_sort_onesweep_histogram_config_static_selectorELNS0_4arch9wavefront6targetE1EEEvSC_,comdat
	.protected	_ZN7rocprim17ROCPRIM_400000_NS6detail17trampoline_kernelINS0_14default_configENS1_35radix_sort_onesweep_config_selectorIcNS0_10empty_typeEEEZNS1_34radix_sort_onesweep_global_offsetsIS3_Lb1EPcPS5_mNS0_19identity_decomposerEEE10hipError_tT1_T2_PT3_SE_jT4_jjP12ihipStream_tbEUlT_E_NS1_11comp_targetILNS1_3genE6ELNS1_11target_archE950ELNS1_3gpuE13ELNS1_3repE0EEENS1_52radix_sort_onesweep_histogram_config_static_selectorELNS0_4arch9wavefront6targetE1EEEvSC_ ; -- Begin function _ZN7rocprim17ROCPRIM_400000_NS6detail17trampoline_kernelINS0_14default_configENS1_35radix_sort_onesweep_config_selectorIcNS0_10empty_typeEEEZNS1_34radix_sort_onesweep_global_offsetsIS3_Lb1EPcPS5_mNS0_19identity_decomposerEEE10hipError_tT1_T2_PT3_SE_jT4_jjP12ihipStream_tbEUlT_E_NS1_11comp_targetILNS1_3genE6ELNS1_11target_archE950ELNS1_3gpuE13ELNS1_3repE0EEENS1_52radix_sort_onesweep_histogram_config_static_selectorELNS0_4arch9wavefront6targetE1EEEvSC_
	.globl	_ZN7rocprim17ROCPRIM_400000_NS6detail17trampoline_kernelINS0_14default_configENS1_35radix_sort_onesweep_config_selectorIcNS0_10empty_typeEEEZNS1_34radix_sort_onesweep_global_offsetsIS3_Lb1EPcPS5_mNS0_19identity_decomposerEEE10hipError_tT1_T2_PT3_SE_jT4_jjP12ihipStream_tbEUlT_E_NS1_11comp_targetILNS1_3genE6ELNS1_11target_archE950ELNS1_3gpuE13ELNS1_3repE0EEENS1_52radix_sort_onesweep_histogram_config_static_selectorELNS0_4arch9wavefront6targetE1EEEvSC_
	.p2align	8
	.type	_ZN7rocprim17ROCPRIM_400000_NS6detail17trampoline_kernelINS0_14default_configENS1_35radix_sort_onesweep_config_selectorIcNS0_10empty_typeEEEZNS1_34radix_sort_onesweep_global_offsetsIS3_Lb1EPcPS5_mNS0_19identity_decomposerEEE10hipError_tT1_T2_PT3_SE_jT4_jjP12ihipStream_tbEUlT_E_NS1_11comp_targetILNS1_3genE6ELNS1_11target_archE950ELNS1_3gpuE13ELNS1_3repE0EEENS1_52radix_sort_onesweep_histogram_config_static_selectorELNS0_4arch9wavefront6targetE1EEEvSC_,@function
_ZN7rocprim17ROCPRIM_400000_NS6detail17trampoline_kernelINS0_14default_configENS1_35radix_sort_onesweep_config_selectorIcNS0_10empty_typeEEEZNS1_34radix_sort_onesweep_global_offsetsIS3_Lb1EPcPS5_mNS0_19identity_decomposerEEE10hipError_tT1_T2_PT3_SE_jT4_jjP12ihipStream_tbEUlT_E_NS1_11comp_targetILNS1_3genE6ELNS1_11target_archE950ELNS1_3gpuE13ELNS1_3repE0EEENS1_52radix_sort_onesweep_histogram_config_static_selectorELNS0_4arch9wavefront6targetE1EEEvSC_: ; @_ZN7rocprim17ROCPRIM_400000_NS6detail17trampoline_kernelINS0_14default_configENS1_35radix_sort_onesweep_config_selectorIcNS0_10empty_typeEEEZNS1_34radix_sort_onesweep_global_offsetsIS3_Lb1EPcPS5_mNS0_19identity_decomposerEEE10hipError_tT1_T2_PT3_SE_jT4_jjP12ihipStream_tbEUlT_E_NS1_11comp_targetILNS1_3genE6ELNS1_11target_archE950ELNS1_3gpuE13ELNS1_3repE0EEENS1_52radix_sort_onesweep_histogram_config_static_selectorELNS0_4arch9wavefront6targetE1EEEvSC_
; %bb.0:
	.section	.rodata,"a",@progbits
	.p2align	6, 0x0
	.amdhsa_kernel _ZN7rocprim17ROCPRIM_400000_NS6detail17trampoline_kernelINS0_14default_configENS1_35radix_sort_onesweep_config_selectorIcNS0_10empty_typeEEEZNS1_34radix_sort_onesweep_global_offsetsIS3_Lb1EPcPS5_mNS0_19identity_decomposerEEE10hipError_tT1_T2_PT3_SE_jT4_jjP12ihipStream_tbEUlT_E_NS1_11comp_targetILNS1_3genE6ELNS1_11target_archE950ELNS1_3gpuE13ELNS1_3repE0EEENS1_52radix_sort_onesweep_histogram_config_static_selectorELNS0_4arch9wavefront6targetE1EEEvSC_
		.amdhsa_group_segment_fixed_size 0
		.amdhsa_private_segment_fixed_size 0
		.amdhsa_kernarg_size 48
		.amdhsa_user_sgpr_count 6
		.amdhsa_user_sgpr_private_segment_buffer 1
		.amdhsa_user_sgpr_dispatch_ptr 0
		.amdhsa_user_sgpr_queue_ptr 0
		.amdhsa_user_sgpr_kernarg_segment_ptr 1
		.amdhsa_user_sgpr_dispatch_id 0
		.amdhsa_user_sgpr_flat_scratch_init 0
		.amdhsa_user_sgpr_kernarg_preload_length 0
		.amdhsa_user_sgpr_kernarg_preload_offset 0
		.amdhsa_user_sgpr_private_segment_size 0
		.amdhsa_uses_dynamic_stack 0
		.amdhsa_system_sgpr_private_segment_wavefront_offset 0
		.amdhsa_system_sgpr_workgroup_id_x 1
		.amdhsa_system_sgpr_workgroup_id_y 0
		.amdhsa_system_sgpr_workgroup_id_z 0
		.amdhsa_system_sgpr_workgroup_info 0
		.amdhsa_system_vgpr_workitem_id 0
		.amdhsa_next_free_vgpr 1
		.amdhsa_next_free_sgpr 0
		.amdhsa_accum_offset 4
		.amdhsa_reserve_vcc 0
		.amdhsa_reserve_flat_scratch 0
		.amdhsa_float_round_mode_32 0
		.amdhsa_float_round_mode_16_64 0
		.amdhsa_float_denorm_mode_32 3
		.amdhsa_float_denorm_mode_16_64 3
		.amdhsa_dx10_clamp 1
		.amdhsa_ieee_mode 1
		.amdhsa_fp16_overflow 0
		.amdhsa_tg_split 0
		.amdhsa_exception_fp_ieee_invalid_op 0
		.amdhsa_exception_fp_denorm_src 0
		.amdhsa_exception_fp_ieee_div_zero 0
		.amdhsa_exception_fp_ieee_overflow 0
		.amdhsa_exception_fp_ieee_underflow 0
		.amdhsa_exception_fp_ieee_inexact 0
		.amdhsa_exception_int_div_zero 0
	.end_amdhsa_kernel
	.section	.text._ZN7rocprim17ROCPRIM_400000_NS6detail17trampoline_kernelINS0_14default_configENS1_35radix_sort_onesweep_config_selectorIcNS0_10empty_typeEEEZNS1_34radix_sort_onesweep_global_offsetsIS3_Lb1EPcPS5_mNS0_19identity_decomposerEEE10hipError_tT1_T2_PT3_SE_jT4_jjP12ihipStream_tbEUlT_E_NS1_11comp_targetILNS1_3genE6ELNS1_11target_archE950ELNS1_3gpuE13ELNS1_3repE0EEENS1_52radix_sort_onesweep_histogram_config_static_selectorELNS0_4arch9wavefront6targetE1EEEvSC_,"axG",@progbits,_ZN7rocprim17ROCPRIM_400000_NS6detail17trampoline_kernelINS0_14default_configENS1_35radix_sort_onesweep_config_selectorIcNS0_10empty_typeEEEZNS1_34radix_sort_onesweep_global_offsetsIS3_Lb1EPcPS5_mNS0_19identity_decomposerEEE10hipError_tT1_T2_PT3_SE_jT4_jjP12ihipStream_tbEUlT_E_NS1_11comp_targetILNS1_3genE6ELNS1_11target_archE950ELNS1_3gpuE13ELNS1_3repE0EEENS1_52radix_sort_onesweep_histogram_config_static_selectorELNS0_4arch9wavefront6targetE1EEEvSC_,comdat
.Lfunc_end1530:
	.size	_ZN7rocprim17ROCPRIM_400000_NS6detail17trampoline_kernelINS0_14default_configENS1_35radix_sort_onesweep_config_selectorIcNS0_10empty_typeEEEZNS1_34radix_sort_onesweep_global_offsetsIS3_Lb1EPcPS5_mNS0_19identity_decomposerEEE10hipError_tT1_T2_PT3_SE_jT4_jjP12ihipStream_tbEUlT_E_NS1_11comp_targetILNS1_3genE6ELNS1_11target_archE950ELNS1_3gpuE13ELNS1_3repE0EEENS1_52radix_sort_onesweep_histogram_config_static_selectorELNS0_4arch9wavefront6targetE1EEEvSC_, .Lfunc_end1530-_ZN7rocprim17ROCPRIM_400000_NS6detail17trampoline_kernelINS0_14default_configENS1_35radix_sort_onesweep_config_selectorIcNS0_10empty_typeEEEZNS1_34radix_sort_onesweep_global_offsetsIS3_Lb1EPcPS5_mNS0_19identity_decomposerEEE10hipError_tT1_T2_PT3_SE_jT4_jjP12ihipStream_tbEUlT_E_NS1_11comp_targetILNS1_3genE6ELNS1_11target_archE950ELNS1_3gpuE13ELNS1_3repE0EEENS1_52radix_sort_onesweep_histogram_config_static_selectorELNS0_4arch9wavefront6targetE1EEEvSC_
                                        ; -- End function
	.section	.AMDGPU.csdata,"",@progbits
; Kernel info:
; codeLenInByte = 0
; NumSgprs: 4
; NumVgprs: 0
; NumAgprs: 0
; TotalNumVgprs: 0
; ScratchSize: 0
; MemoryBound: 0
; FloatMode: 240
; IeeeMode: 1
; LDSByteSize: 0 bytes/workgroup (compile time only)
; SGPRBlocks: 0
; VGPRBlocks: 0
; NumSGPRsForWavesPerEU: 4
; NumVGPRsForWavesPerEU: 1
; AccumOffset: 4
; Occupancy: 8
; WaveLimiterHint : 0
; COMPUTE_PGM_RSRC2:SCRATCH_EN: 0
; COMPUTE_PGM_RSRC2:USER_SGPR: 6
; COMPUTE_PGM_RSRC2:TRAP_HANDLER: 0
; COMPUTE_PGM_RSRC2:TGID_X_EN: 1
; COMPUTE_PGM_RSRC2:TGID_Y_EN: 0
; COMPUTE_PGM_RSRC2:TGID_Z_EN: 0
; COMPUTE_PGM_RSRC2:TIDIG_COMP_CNT: 0
; COMPUTE_PGM_RSRC3_GFX90A:ACCUM_OFFSET: 0
; COMPUTE_PGM_RSRC3_GFX90A:TG_SPLIT: 0
	.section	.text._ZN7rocprim17ROCPRIM_400000_NS6detail17trampoline_kernelINS0_14default_configENS1_35radix_sort_onesweep_config_selectorIcNS0_10empty_typeEEEZNS1_34radix_sort_onesweep_global_offsetsIS3_Lb1EPcPS5_mNS0_19identity_decomposerEEE10hipError_tT1_T2_PT3_SE_jT4_jjP12ihipStream_tbEUlT_E_NS1_11comp_targetILNS1_3genE5ELNS1_11target_archE942ELNS1_3gpuE9ELNS1_3repE0EEENS1_52radix_sort_onesweep_histogram_config_static_selectorELNS0_4arch9wavefront6targetE1EEEvSC_,"axG",@progbits,_ZN7rocprim17ROCPRIM_400000_NS6detail17trampoline_kernelINS0_14default_configENS1_35radix_sort_onesweep_config_selectorIcNS0_10empty_typeEEEZNS1_34radix_sort_onesweep_global_offsetsIS3_Lb1EPcPS5_mNS0_19identity_decomposerEEE10hipError_tT1_T2_PT3_SE_jT4_jjP12ihipStream_tbEUlT_E_NS1_11comp_targetILNS1_3genE5ELNS1_11target_archE942ELNS1_3gpuE9ELNS1_3repE0EEENS1_52radix_sort_onesweep_histogram_config_static_selectorELNS0_4arch9wavefront6targetE1EEEvSC_,comdat
	.protected	_ZN7rocprim17ROCPRIM_400000_NS6detail17trampoline_kernelINS0_14default_configENS1_35radix_sort_onesweep_config_selectorIcNS0_10empty_typeEEEZNS1_34radix_sort_onesweep_global_offsetsIS3_Lb1EPcPS5_mNS0_19identity_decomposerEEE10hipError_tT1_T2_PT3_SE_jT4_jjP12ihipStream_tbEUlT_E_NS1_11comp_targetILNS1_3genE5ELNS1_11target_archE942ELNS1_3gpuE9ELNS1_3repE0EEENS1_52radix_sort_onesweep_histogram_config_static_selectorELNS0_4arch9wavefront6targetE1EEEvSC_ ; -- Begin function _ZN7rocprim17ROCPRIM_400000_NS6detail17trampoline_kernelINS0_14default_configENS1_35radix_sort_onesweep_config_selectorIcNS0_10empty_typeEEEZNS1_34radix_sort_onesweep_global_offsetsIS3_Lb1EPcPS5_mNS0_19identity_decomposerEEE10hipError_tT1_T2_PT3_SE_jT4_jjP12ihipStream_tbEUlT_E_NS1_11comp_targetILNS1_3genE5ELNS1_11target_archE942ELNS1_3gpuE9ELNS1_3repE0EEENS1_52radix_sort_onesweep_histogram_config_static_selectorELNS0_4arch9wavefront6targetE1EEEvSC_
	.globl	_ZN7rocprim17ROCPRIM_400000_NS6detail17trampoline_kernelINS0_14default_configENS1_35radix_sort_onesweep_config_selectorIcNS0_10empty_typeEEEZNS1_34radix_sort_onesweep_global_offsetsIS3_Lb1EPcPS5_mNS0_19identity_decomposerEEE10hipError_tT1_T2_PT3_SE_jT4_jjP12ihipStream_tbEUlT_E_NS1_11comp_targetILNS1_3genE5ELNS1_11target_archE942ELNS1_3gpuE9ELNS1_3repE0EEENS1_52radix_sort_onesweep_histogram_config_static_selectorELNS0_4arch9wavefront6targetE1EEEvSC_
	.p2align	8
	.type	_ZN7rocprim17ROCPRIM_400000_NS6detail17trampoline_kernelINS0_14default_configENS1_35radix_sort_onesweep_config_selectorIcNS0_10empty_typeEEEZNS1_34radix_sort_onesweep_global_offsetsIS3_Lb1EPcPS5_mNS0_19identity_decomposerEEE10hipError_tT1_T2_PT3_SE_jT4_jjP12ihipStream_tbEUlT_E_NS1_11comp_targetILNS1_3genE5ELNS1_11target_archE942ELNS1_3gpuE9ELNS1_3repE0EEENS1_52radix_sort_onesweep_histogram_config_static_selectorELNS0_4arch9wavefront6targetE1EEEvSC_,@function
_ZN7rocprim17ROCPRIM_400000_NS6detail17trampoline_kernelINS0_14default_configENS1_35radix_sort_onesweep_config_selectorIcNS0_10empty_typeEEEZNS1_34radix_sort_onesweep_global_offsetsIS3_Lb1EPcPS5_mNS0_19identity_decomposerEEE10hipError_tT1_T2_PT3_SE_jT4_jjP12ihipStream_tbEUlT_E_NS1_11comp_targetILNS1_3genE5ELNS1_11target_archE942ELNS1_3gpuE9ELNS1_3repE0EEENS1_52radix_sort_onesweep_histogram_config_static_selectorELNS0_4arch9wavefront6targetE1EEEvSC_: ; @_ZN7rocprim17ROCPRIM_400000_NS6detail17trampoline_kernelINS0_14default_configENS1_35radix_sort_onesweep_config_selectorIcNS0_10empty_typeEEEZNS1_34radix_sort_onesweep_global_offsetsIS3_Lb1EPcPS5_mNS0_19identity_decomposerEEE10hipError_tT1_T2_PT3_SE_jT4_jjP12ihipStream_tbEUlT_E_NS1_11comp_targetILNS1_3genE5ELNS1_11target_archE942ELNS1_3gpuE9ELNS1_3repE0EEENS1_52radix_sort_onesweep_histogram_config_static_selectorELNS0_4arch9wavefront6targetE1EEEvSC_
; %bb.0:
	.section	.rodata,"a",@progbits
	.p2align	6, 0x0
	.amdhsa_kernel _ZN7rocprim17ROCPRIM_400000_NS6detail17trampoline_kernelINS0_14default_configENS1_35radix_sort_onesweep_config_selectorIcNS0_10empty_typeEEEZNS1_34radix_sort_onesweep_global_offsetsIS3_Lb1EPcPS5_mNS0_19identity_decomposerEEE10hipError_tT1_T2_PT3_SE_jT4_jjP12ihipStream_tbEUlT_E_NS1_11comp_targetILNS1_3genE5ELNS1_11target_archE942ELNS1_3gpuE9ELNS1_3repE0EEENS1_52radix_sort_onesweep_histogram_config_static_selectorELNS0_4arch9wavefront6targetE1EEEvSC_
		.amdhsa_group_segment_fixed_size 0
		.amdhsa_private_segment_fixed_size 0
		.amdhsa_kernarg_size 48
		.amdhsa_user_sgpr_count 6
		.amdhsa_user_sgpr_private_segment_buffer 1
		.amdhsa_user_sgpr_dispatch_ptr 0
		.amdhsa_user_sgpr_queue_ptr 0
		.amdhsa_user_sgpr_kernarg_segment_ptr 1
		.amdhsa_user_sgpr_dispatch_id 0
		.amdhsa_user_sgpr_flat_scratch_init 0
		.amdhsa_user_sgpr_kernarg_preload_length 0
		.amdhsa_user_sgpr_kernarg_preload_offset 0
		.amdhsa_user_sgpr_private_segment_size 0
		.amdhsa_uses_dynamic_stack 0
		.amdhsa_system_sgpr_private_segment_wavefront_offset 0
		.amdhsa_system_sgpr_workgroup_id_x 1
		.amdhsa_system_sgpr_workgroup_id_y 0
		.amdhsa_system_sgpr_workgroup_id_z 0
		.amdhsa_system_sgpr_workgroup_info 0
		.amdhsa_system_vgpr_workitem_id 0
		.amdhsa_next_free_vgpr 1
		.amdhsa_next_free_sgpr 0
		.amdhsa_accum_offset 4
		.amdhsa_reserve_vcc 0
		.amdhsa_reserve_flat_scratch 0
		.amdhsa_float_round_mode_32 0
		.amdhsa_float_round_mode_16_64 0
		.amdhsa_float_denorm_mode_32 3
		.amdhsa_float_denorm_mode_16_64 3
		.amdhsa_dx10_clamp 1
		.amdhsa_ieee_mode 1
		.amdhsa_fp16_overflow 0
		.amdhsa_tg_split 0
		.amdhsa_exception_fp_ieee_invalid_op 0
		.amdhsa_exception_fp_denorm_src 0
		.amdhsa_exception_fp_ieee_div_zero 0
		.amdhsa_exception_fp_ieee_overflow 0
		.amdhsa_exception_fp_ieee_underflow 0
		.amdhsa_exception_fp_ieee_inexact 0
		.amdhsa_exception_int_div_zero 0
	.end_amdhsa_kernel
	.section	.text._ZN7rocprim17ROCPRIM_400000_NS6detail17trampoline_kernelINS0_14default_configENS1_35radix_sort_onesweep_config_selectorIcNS0_10empty_typeEEEZNS1_34radix_sort_onesweep_global_offsetsIS3_Lb1EPcPS5_mNS0_19identity_decomposerEEE10hipError_tT1_T2_PT3_SE_jT4_jjP12ihipStream_tbEUlT_E_NS1_11comp_targetILNS1_3genE5ELNS1_11target_archE942ELNS1_3gpuE9ELNS1_3repE0EEENS1_52radix_sort_onesweep_histogram_config_static_selectorELNS0_4arch9wavefront6targetE1EEEvSC_,"axG",@progbits,_ZN7rocprim17ROCPRIM_400000_NS6detail17trampoline_kernelINS0_14default_configENS1_35radix_sort_onesweep_config_selectorIcNS0_10empty_typeEEEZNS1_34radix_sort_onesweep_global_offsetsIS3_Lb1EPcPS5_mNS0_19identity_decomposerEEE10hipError_tT1_T2_PT3_SE_jT4_jjP12ihipStream_tbEUlT_E_NS1_11comp_targetILNS1_3genE5ELNS1_11target_archE942ELNS1_3gpuE9ELNS1_3repE0EEENS1_52radix_sort_onesweep_histogram_config_static_selectorELNS0_4arch9wavefront6targetE1EEEvSC_,comdat
.Lfunc_end1531:
	.size	_ZN7rocprim17ROCPRIM_400000_NS6detail17trampoline_kernelINS0_14default_configENS1_35radix_sort_onesweep_config_selectorIcNS0_10empty_typeEEEZNS1_34radix_sort_onesweep_global_offsetsIS3_Lb1EPcPS5_mNS0_19identity_decomposerEEE10hipError_tT1_T2_PT3_SE_jT4_jjP12ihipStream_tbEUlT_E_NS1_11comp_targetILNS1_3genE5ELNS1_11target_archE942ELNS1_3gpuE9ELNS1_3repE0EEENS1_52radix_sort_onesweep_histogram_config_static_selectorELNS0_4arch9wavefront6targetE1EEEvSC_, .Lfunc_end1531-_ZN7rocprim17ROCPRIM_400000_NS6detail17trampoline_kernelINS0_14default_configENS1_35radix_sort_onesweep_config_selectorIcNS0_10empty_typeEEEZNS1_34radix_sort_onesweep_global_offsetsIS3_Lb1EPcPS5_mNS0_19identity_decomposerEEE10hipError_tT1_T2_PT3_SE_jT4_jjP12ihipStream_tbEUlT_E_NS1_11comp_targetILNS1_3genE5ELNS1_11target_archE942ELNS1_3gpuE9ELNS1_3repE0EEENS1_52radix_sort_onesweep_histogram_config_static_selectorELNS0_4arch9wavefront6targetE1EEEvSC_
                                        ; -- End function
	.section	.AMDGPU.csdata,"",@progbits
; Kernel info:
; codeLenInByte = 0
; NumSgprs: 4
; NumVgprs: 0
; NumAgprs: 0
; TotalNumVgprs: 0
; ScratchSize: 0
; MemoryBound: 0
; FloatMode: 240
; IeeeMode: 1
; LDSByteSize: 0 bytes/workgroup (compile time only)
; SGPRBlocks: 0
; VGPRBlocks: 0
; NumSGPRsForWavesPerEU: 4
; NumVGPRsForWavesPerEU: 1
; AccumOffset: 4
; Occupancy: 8
; WaveLimiterHint : 0
; COMPUTE_PGM_RSRC2:SCRATCH_EN: 0
; COMPUTE_PGM_RSRC2:USER_SGPR: 6
; COMPUTE_PGM_RSRC2:TRAP_HANDLER: 0
; COMPUTE_PGM_RSRC2:TGID_X_EN: 1
; COMPUTE_PGM_RSRC2:TGID_Y_EN: 0
; COMPUTE_PGM_RSRC2:TGID_Z_EN: 0
; COMPUTE_PGM_RSRC2:TIDIG_COMP_CNT: 0
; COMPUTE_PGM_RSRC3_GFX90A:ACCUM_OFFSET: 0
; COMPUTE_PGM_RSRC3_GFX90A:TG_SPLIT: 0
	.section	.text._ZN7rocprim17ROCPRIM_400000_NS6detail17trampoline_kernelINS0_14default_configENS1_35radix_sort_onesweep_config_selectorIcNS0_10empty_typeEEEZNS1_34radix_sort_onesweep_global_offsetsIS3_Lb1EPcPS5_mNS0_19identity_decomposerEEE10hipError_tT1_T2_PT3_SE_jT4_jjP12ihipStream_tbEUlT_E_NS1_11comp_targetILNS1_3genE2ELNS1_11target_archE906ELNS1_3gpuE6ELNS1_3repE0EEENS1_52radix_sort_onesweep_histogram_config_static_selectorELNS0_4arch9wavefront6targetE1EEEvSC_,"axG",@progbits,_ZN7rocprim17ROCPRIM_400000_NS6detail17trampoline_kernelINS0_14default_configENS1_35radix_sort_onesweep_config_selectorIcNS0_10empty_typeEEEZNS1_34radix_sort_onesweep_global_offsetsIS3_Lb1EPcPS5_mNS0_19identity_decomposerEEE10hipError_tT1_T2_PT3_SE_jT4_jjP12ihipStream_tbEUlT_E_NS1_11comp_targetILNS1_3genE2ELNS1_11target_archE906ELNS1_3gpuE6ELNS1_3repE0EEENS1_52radix_sort_onesweep_histogram_config_static_selectorELNS0_4arch9wavefront6targetE1EEEvSC_,comdat
	.protected	_ZN7rocprim17ROCPRIM_400000_NS6detail17trampoline_kernelINS0_14default_configENS1_35radix_sort_onesweep_config_selectorIcNS0_10empty_typeEEEZNS1_34radix_sort_onesweep_global_offsetsIS3_Lb1EPcPS5_mNS0_19identity_decomposerEEE10hipError_tT1_T2_PT3_SE_jT4_jjP12ihipStream_tbEUlT_E_NS1_11comp_targetILNS1_3genE2ELNS1_11target_archE906ELNS1_3gpuE6ELNS1_3repE0EEENS1_52radix_sort_onesweep_histogram_config_static_selectorELNS0_4arch9wavefront6targetE1EEEvSC_ ; -- Begin function _ZN7rocprim17ROCPRIM_400000_NS6detail17trampoline_kernelINS0_14default_configENS1_35radix_sort_onesweep_config_selectorIcNS0_10empty_typeEEEZNS1_34radix_sort_onesweep_global_offsetsIS3_Lb1EPcPS5_mNS0_19identity_decomposerEEE10hipError_tT1_T2_PT3_SE_jT4_jjP12ihipStream_tbEUlT_E_NS1_11comp_targetILNS1_3genE2ELNS1_11target_archE906ELNS1_3gpuE6ELNS1_3repE0EEENS1_52radix_sort_onesweep_histogram_config_static_selectorELNS0_4arch9wavefront6targetE1EEEvSC_
	.globl	_ZN7rocprim17ROCPRIM_400000_NS6detail17trampoline_kernelINS0_14default_configENS1_35radix_sort_onesweep_config_selectorIcNS0_10empty_typeEEEZNS1_34radix_sort_onesweep_global_offsetsIS3_Lb1EPcPS5_mNS0_19identity_decomposerEEE10hipError_tT1_T2_PT3_SE_jT4_jjP12ihipStream_tbEUlT_E_NS1_11comp_targetILNS1_3genE2ELNS1_11target_archE906ELNS1_3gpuE6ELNS1_3repE0EEENS1_52radix_sort_onesweep_histogram_config_static_selectorELNS0_4arch9wavefront6targetE1EEEvSC_
	.p2align	8
	.type	_ZN7rocprim17ROCPRIM_400000_NS6detail17trampoline_kernelINS0_14default_configENS1_35radix_sort_onesweep_config_selectorIcNS0_10empty_typeEEEZNS1_34radix_sort_onesweep_global_offsetsIS3_Lb1EPcPS5_mNS0_19identity_decomposerEEE10hipError_tT1_T2_PT3_SE_jT4_jjP12ihipStream_tbEUlT_E_NS1_11comp_targetILNS1_3genE2ELNS1_11target_archE906ELNS1_3gpuE6ELNS1_3repE0EEENS1_52radix_sort_onesweep_histogram_config_static_selectorELNS0_4arch9wavefront6targetE1EEEvSC_,@function
_ZN7rocprim17ROCPRIM_400000_NS6detail17trampoline_kernelINS0_14default_configENS1_35radix_sort_onesweep_config_selectorIcNS0_10empty_typeEEEZNS1_34radix_sort_onesweep_global_offsetsIS3_Lb1EPcPS5_mNS0_19identity_decomposerEEE10hipError_tT1_T2_PT3_SE_jT4_jjP12ihipStream_tbEUlT_E_NS1_11comp_targetILNS1_3genE2ELNS1_11target_archE906ELNS1_3gpuE6ELNS1_3repE0EEENS1_52radix_sort_onesweep_histogram_config_static_selectorELNS0_4arch9wavefront6targetE1EEEvSC_: ; @_ZN7rocprim17ROCPRIM_400000_NS6detail17trampoline_kernelINS0_14default_configENS1_35radix_sort_onesweep_config_selectorIcNS0_10empty_typeEEEZNS1_34radix_sort_onesweep_global_offsetsIS3_Lb1EPcPS5_mNS0_19identity_decomposerEEE10hipError_tT1_T2_PT3_SE_jT4_jjP12ihipStream_tbEUlT_E_NS1_11comp_targetILNS1_3genE2ELNS1_11target_archE906ELNS1_3gpuE6ELNS1_3repE0EEENS1_52radix_sort_onesweep_histogram_config_static_selectorELNS0_4arch9wavefront6targetE1EEEvSC_
; %bb.0:
	.section	.rodata,"a",@progbits
	.p2align	6, 0x0
	.amdhsa_kernel _ZN7rocprim17ROCPRIM_400000_NS6detail17trampoline_kernelINS0_14default_configENS1_35radix_sort_onesweep_config_selectorIcNS0_10empty_typeEEEZNS1_34radix_sort_onesweep_global_offsetsIS3_Lb1EPcPS5_mNS0_19identity_decomposerEEE10hipError_tT1_T2_PT3_SE_jT4_jjP12ihipStream_tbEUlT_E_NS1_11comp_targetILNS1_3genE2ELNS1_11target_archE906ELNS1_3gpuE6ELNS1_3repE0EEENS1_52radix_sort_onesweep_histogram_config_static_selectorELNS0_4arch9wavefront6targetE1EEEvSC_
		.amdhsa_group_segment_fixed_size 0
		.amdhsa_private_segment_fixed_size 0
		.amdhsa_kernarg_size 48
		.amdhsa_user_sgpr_count 6
		.amdhsa_user_sgpr_private_segment_buffer 1
		.amdhsa_user_sgpr_dispatch_ptr 0
		.amdhsa_user_sgpr_queue_ptr 0
		.amdhsa_user_sgpr_kernarg_segment_ptr 1
		.amdhsa_user_sgpr_dispatch_id 0
		.amdhsa_user_sgpr_flat_scratch_init 0
		.amdhsa_user_sgpr_kernarg_preload_length 0
		.amdhsa_user_sgpr_kernarg_preload_offset 0
		.amdhsa_user_sgpr_private_segment_size 0
		.amdhsa_uses_dynamic_stack 0
		.amdhsa_system_sgpr_private_segment_wavefront_offset 0
		.amdhsa_system_sgpr_workgroup_id_x 1
		.amdhsa_system_sgpr_workgroup_id_y 0
		.amdhsa_system_sgpr_workgroup_id_z 0
		.amdhsa_system_sgpr_workgroup_info 0
		.amdhsa_system_vgpr_workitem_id 0
		.amdhsa_next_free_vgpr 1
		.amdhsa_next_free_sgpr 0
		.amdhsa_accum_offset 4
		.amdhsa_reserve_vcc 0
		.amdhsa_reserve_flat_scratch 0
		.amdhsa_float_round_mode_32 0
		.amdhsa_float_round_mode_16_64 0
		.amdhsa_float_denorm_mode_32 3
		.amdhsa_float_denorm_mode_16_64 3
		.amdhsa_dx10_clamp 1
		.amdhsa_ieee_mode 1
		.amdhsa_fp16_overflow 0
		.amdhsa_tg_split 0
		.amdhsa_exception_fp_ieee_invalid_op 0
		.amdhsa_exception_fp_denorm_src 0
		.amdhsa_exception_fp_ieee_div_zero 0
		.amdhsa_exception_fp_ieee_overflow 0
		.amdhsa_exception_fp_ieee_underflow 0
		.amdhsa_exception_fp_ieee_inexact 0
		.amdhsa_exception_int_div_zero 0
	.end_amdhsa_kernel
	.section	.text._ZN7rocprim17ROCPRIM_400000_NS6detail17trampoline_kernelINS0_14default_configENS1_35radix_sort_onesweep_config_selectorIcNS0_10empty_typeEEEZNS1_34radix_sort_onesweep_global_offsetsIS3_Lb1EPcPS5_mNS0_19identity_decomposerEEE10hipError_tT1_T2_PT3_SE_jT4_jjP12ihipStream_tbEUlT_E_NS1_11comp_targetILNS1_3genE2ELNS1_11target_archE906ELNS1_3gpuE6ELNS1_3repE0EEENS1_52radix_sort_onesweep_histogram_config_static_selectorELNS0_4arch9wavefront6targetE1EEEvSC_,"axG",@progbits,_ZN7rocprim17ROCPRIM_400000_NS6detail17trampoline_kernelINS0_14default_configENS1_35radix_sort_onesweep_config_selectorIcNS0_10empty_typeEEEZNS1_34radix_sort_onesweep_global_offsetsIS3_Lb1EPcPS5_mNS0_19identity_decomposerEEE10hipError_tT1_T2_PT3_SE_jT4_jjP12ihipStream_tbEUlT_E_NS1_11comp_targetILNS1_3genE2ELNS1_11target_archE906ELNS1_3gpuE6ELNS1_3repE0EEENS1_52radix_sort_onesweep_histogram_config_static_selectorELNS0_4arch9wavefront6targetE1EEEvSC_,comdat
.Lfunc_end1532:
	.size	_ZN7rocprim17ROCPRIM_400000_NS6detail17trampoline_kernelINS0_14default_configENS1_35radix_sort_onesweep_config_selectorIcNS0_10empty_typeEEEZNS1_34radix_sort_onesweep_global_offsetsIS3_Lb1EPcPS5_mNS0_19identity_decomposerEEE10hipError_tT1_T2_PT3_SE_jT4_jjP12ihipStream_tbEUlT_E_NS1_11comp_targetILNS1_3genE2ELNS1_11target_archE906ELNS1_3gpuE6ELNS1_3repE0EEENS1_52radix_sort_onesweep_histogram_config_static_selectorELNS0_4arch9wavefront6targetE1EEEvSC_, .Lfunc_end1532-_ZN7rocprim17ROCPRIM_400000_NS6detail17trampoline_kernelINS0_14default_configENS1_35radix_sort_onesweep_config_selectorIcNS0_10empty_typeEEEZNS1_34radix_sort_onesweep_global_offsetsIS3_Lb1EPcPS5_mNS0_19identity_decomposerEEE10hipError_tT1_T2_PT3_SE_jT4_jjP12ihipStream_tbEUlT_E_NS1_11comp_targetILNS1_3genE2ELNS1_11target_archE906ELNS1_3gpuE6ELNS1_3repE0EEENS1_52radix_sort_onesweep_histogram_config_static_selectorELNS0_4arch9wavefront6targetE1EEEvSC_
                                        ; -- End function
	.section	.AMDGPU.csdata,"",@progbits
; Kernel info:
; codeLenInByte = 0
; NumSgprs: 4
; NumVgprs: 0
; NumAgprs: 0
; TotalNumVgprs: 0
; ScratchSize: 0
; MemoryBound: 0
; FloatMode: 240
; IeeeMode: 1
; LDSByteSize: 0 bytes/workgroup (compile time only)
; SGPRBlocks: 0
; VGPRBlocks: 0
; NumSGPRsForWavesPerEU: 4
; NumVGPRsForWavesPerEU: 1
; AccumOffset: 4
; Occupancy: 8
; WaveLimiterHint : 0
; COMPUTE_PGM_RSRC2:SCRATCH_EN: 0
; COMPUTE_PGM_RSRC2:USER_SGPR: 6
; COMPUTE_PGM_RSRC2:TRAP_HANDLER: 0
; COMPUTE_PGM_RSRC2:TGID_X_EN: 1
; COMPUTE_PGM_RSRC2:TGID_Y_EN: 0
; COMPUTE_PGM_RSRC2:TGID_Z_EN: 0
; COMPUTE_PGM_RSRC2:TIDIG_COMP_CNT: 0
; COMPUTE_PGM_RSRC3_GFX90A:ACCUM_OFFSET: 0
; COMPUTE_PGM_RSRC3_GFX90A:TG_SPLIT: 0
	.section	.text._ZN7rocprim17ROCPRIM_400000_NS6detail17trampoline_kernelINS0_14default_configENS1_35radix_sort_onesweep_config_selectorIcNS0_10empty_typeEEEZNS1_34radix_sort_onesweep_global_offsetsIS3_Lb1EPcPS5_mNS0_19identity_decomposerEEE10hipError_tT1_T2_PT3_SE_jT4_jjP12ihipStream_tbEUlT_E_NS1_11comp_targetILNS1_3genE4ELNS1_11target_archE910ELNS1_3gpuE8ELNS1_3repE0EEENS1_52radix_sort_onesweep_histogram_config_static_selectorELNS0_4arch9wavefront6targetE1EEEvSC_,"axG",@progbits,_ZN7rocprim17ROCPRIM_400000_NS6detail17trampoline_kernelINS0_14default_configENS1_35radix_sort_onesweep_config_selectorIcNS0_10empty_typeEEEZNS1_34radix_sort_onesweep_global_offsetsIS3_Lb1EPcPS5_mNS0_19identity_decomposerEEE10hipError_tT1_T2_PT3_SE_jT4_jjP12ihipStream_tbEUlT_E_NS1_11comp_targetILNS1_3genE4ELNS1_11target_archE910ELNS1_3gpuE8ELNS1_3repE0EEENS1_52radix_sort_onesweep_histogram_config_static_selectorELNS0_4arch9wavefront6targetE1EEEvSC_,comdat
	.protected	_ZN7rocprim17ROCPRIM_400000_NS6detail17trampoline_kernelINS0_14default_configENS1_35radix_sort_onesweep_config_selectorIcNS0_10empty_typeEEEZNS1_34radix_sort_onesweep_global_offsetsIS3_Lb1EPcPS5_mNS0_19identity_decomposerEEE10hipError_tT1_T2_PT3_SE_jT4_jjP12ihipStream_tbEUlT_E_NS1_11comp_targetILNS1_3genE4ELNS1_11target_archE910ELNS1_3gpuE8ELNS1_3repE0EEENS1_52radix_sort_onesweep_histogram_config_static_selectorELNS0_4arch9wavefront6targetE1EEEvSC_ ; -- Begin function _ZN7rocprim17ROCPRIM_400000_NS6detail17trampoline_kernelINS0_14default_configENS1_35radix_sort_onesweep_config_selectorIcNS0_10empty_typeEEEZNS1_34radix_sort_onesweep_global_offsetsIS3_Lb1EPcPS5_mNS0_19identity_decomposerEEE10hipError_tT1_T2_PT3_SE_jT4_jjP12ihipStream_tbEUlT_E_NS1_11comp_targetILNS1_3genE4ELNS1_11target_archE910ELNS1_3gpuE8ELNS1_3repE0EEENS1_52radix_sort_onesweep_histogram_config_static_selectorELNS0_4arch9wavefront6targetE1EEEvSC_
	.globl	_ZN7rocprim17ROCPRIM_400000_NS6detail17trampoline_kernelINS0_14default_configENS1_35radix_sort_onesweep_config_selectorIcNS0_10empty_typeEEEZNS1_34radix_sort_onesweep_global_offsetsIS3_Lb1EPcPS5_mNS0_19identity_decomposerEEE10hipError_tT1_T2_PT3_SE_jT4_jjP12ihipStream_tbEUlT_E_NS1_11comp_targetILNS1_3genE4ELNS1_11target_archE910ELNS1_3gpuE8ELNS1_3repE0EEENS1_52radix_sort_onesweep_histogram_config_static_selectorELNS0_4arch9wavefront6targetE1EEEvSC_
	.p2align	8
	.type	_ZN7rocprim17ROCPRIM_400000_NS6detail17trampoline_kernelINS0_14default_configENS1_35radix_sort_onesweep_config_selectorIcNS0_10empty_typeEEEZNS1_34radix_sort_onesweep_global_offsetsIS3_Lb1EPcPS5_mNS0_19identity_decomposerEEE10hipError_tT1_T2_PT3_SE_jT4_jjP12ihipStream_tbEUlT_E_NS1_11comp_targetILNS1_3genE4ELNS1_11target_archE910ELNS1_3gpuE8ELNS1_3repE0EEENS1_52radix_sort_onesweep_histogram_config_static_selectorELNS0_4arch9wavefront6targetE1EEEvSC_,@function
_ZN7rocprim17ROCPRIM_400000_NS6detail17trampoline_kernelINS0_14default_configENS1_35radix_sort_onesweep_config_selectorIcNS0_10empty_typeEEEZNS1_34radix_sort_onesweep_global_offsetsIS3_Lb1EPcPS5_mNS0_19identity_decomposerEEE10hipError_tT1_T2_PT3_SE_jT4_jjP12ihipStream_tbEUlT_E_NS1_11comp_targetILNS1_3genE4ELNS1_11target_archE910ELNS1_3gpuE8ELNS1_3repE0EEENS1_52radix_sort_onesweep_histogram_config_static_selectorELNS0_4arch9wavefront6targetE1EEEvSC_: ; @_ZN7rocprim17ROCPRIM_400000_NS6detail17trampoline_kernelINS0_14default_configENS1_35radix_sort_onesweep_config_selectorIcNS0_10empty_typeEEEZNS1_34radix_sort_onesweep_global_offsetsIS3_Lb1EPcPS5_mNS0_19identity_decomposerEEE10hipError_tT1_T2_PT3_SE_jT4_jjP12ihipStream_tbEUlT_E_NS1_11comp_targetILNS1_3genE4ELNS1_11target_archE910ELNS1_3gpuE8ELNS1_3repE0EEENS1_52radix_sort_onesweep_histogram_config_static_selectorELNS0_4arch9wavefront6targetE1EEEvSC_
; %bb.0:
	s_load_dwordx4 s[8:11], s[4:5], 0x0
	s_load_dwordx2 s[0:1], s[4:5], 0x18
	s_load_dwordx2 s[12:13], s[4:5], 0x24
	v_mov_b32_e32 v2, s6
	v_mov_b32_e32 v3, 0
	s_mul_hi_u32 s3, s6, 0x2c00
	s_mulk_i32 s6, 0x2c00
	s_waitcnt lgkmcnt(0)
	v_cmp_le_u64_e32 vcc, s[0:1], v[2:3]
	s_add_u32 s2, s8, s6
	s_addc_u32 s3, s9, s3
	v_and_b32_e32 v1, 3, v0
	s_mov_b64 s[6:7], -1
	s_cbranch_vccz .LBB1533_207
; %bb.1:
	s_load_dword s14, s[4:5], 0x10
	s_mulk_i32 s0, 0xd400
                                        ; implicit-def: $vgpr44
	s_waitcnt lgkmcnt(0)
	s_add_i32 s14, s14, s0
	v_cmp_gt_u32_e32 vcc, s14, v0
	s_and_saveexec_b64 s[0:1], vcc
	s_cbranch_execz .LBB1533_3
; %bb.2:
	global_load_ubyte v44, v0, s[2:3]
.LBB1533_3:
	s_or_b64 exec, exec, s[0:1]
	v_or_b32_e32 v42, 0x200, v0
	v_cmp_gt_u32_e32 vcc, s14, v42
                                        ; implicit-def: $vgpr43
	s_and_saveexec_b64 s[0:1], vcc
	s_cbranch_execz .LBB1533_5
; %bb.4:
	global_load_ubyte v43, v0, s[2:3] offset:512
.LBB1533_5:
	s_or_b64 exec, exec, s[0:1]
	v_or_b32_e32 v40, 0x400, v0
	v_cmp_gt_u32_e32 vcc, s14, v40
                                        ; implicit-def: $vgpr41
	s_and_saveexec_b64 s[0:1], vcc
	s_cbranch_execz .LBB1533_7
; %bb.6:
	global_load_ubyte v41, v0, s[2:3] offset:1024
.LBB1533_7:
	s_or_b64 exec, exec, s[0:1]
	v_or_b32_e32 v38, 0x600, v0
	v_cmp_gt_u32_e32 vcc, s14, v38
                                        ; implicit-def: $vgpr39
	s_and_saveexec_b64 s[0:1], vcc
	s_cbranch_execz .LBB1533_9
; %bb.8:
	global_load_ubyte v39, v0, s[2:3] offset:1536
.LBB1533_9:
	s_or_b64 exec, exec, s[0:1]
	v_or_b32_e32 v36, 0x800, v0
	v_cmp_gt_u32_e32 vcc, s14, v36
                                        ; implicit-def: $vgpr37
	s_and_saveexec_b64 s[0:1], vcc
	s_cbranch_execz .LBB1533_11
; %bb.10:
	global_load_ubyte v37, v0, s[2:3] offset:2048
.LBB1533_11:
	s_or_b64 exec, exec, s[0:1]
	v_or_b32_e32 v34, 0xa00, v0
	v_cmp_gt_u32_e32 vcc, s14, v34
                                        ; implicit-def: $vgpr35
	s_and_saveexec_b64 s[0:1], vcc
	s_cbranch_execz .LBB1533_13
; %bb.12:
	global_load_ubyte v35, v0, s[2:3] offset:2560
.LBB1533_13:
	s_or_b64 exec, exec, s[0:1]
	v_or_b32_e32 v32, 0xc00, v0
	v_cmp_gt_u32_e32 vcc, s14, v32
                                        ; implicit-def: $vgpr33
	s_and_saveexec_b64 s[0:1], vcc
	s_cbranch_execz .LBB1533_15
; %bb.14:
	global_load_ubyte v33, v0, s[2:3] offset:3072
.LBB1533_15:
	s_or_b64 exec, exec, s[0:1]
	v_or_b32_e32 v30, 0xe00, v0
	v_cmp_gt_u32_e32 vcc, s14, v30
                                        ; implicit-def: $vgpr31
	s_and_saveexec_b64 s[0:1], vcc
	s_cbranch_execz .LBB1533_17
; %bb.16:
	global_load_ubyte v31, v0, s[2:3] offset:3584
.LBB1533_17:
	s_or_b64 exec, exec, s[0:1]
	v_or_b32_e32 v28, 0x1000, v0
	v_cmp_gt_u32_e32 vcc, s14, v28
                                        ; implicit-def: $vgpr29
	s_and_saveexec_b64 s[0:1], vcc
	s_cbranch_execz .LBB1533_19
; %bb.18:
	global_load_ubyte v29, v28, s[2:3]
.LBB1533_19:
	s_or_b64 exec, exec, s[0:1]
	v_or_b32_e32 v26, 0x1200, v0
	v_cmp_gt_u32_e32 vcc, s14, v26
                                        ; implicit-def: $vgpr27
	s_and_saveexec_b64 s[0:1], vcc
	s_cbranch_execz .LBB1533_21
; %bb.20:
	global_load_ubyte v27, v26, s[2:3]
.LBB1533_21:
	s_or_b64 exec, exec, s[0:1]
	v_or_b32_e32 v24, 0x1400, v0
	v_cmp_gt_u32_e32 vcc, s14, v24
                                        ; implicit-def: $vgpr25
	s_and_saveexec_b64 s[0:1], vcc
	s_cbranch_execz .LBB1533_23
; %bb.22:
	global_load_ubyte v25, v24, s[2:3]
.LBB1533_23:
	s_or_b64 exec, exec, s[0:1]
	v_or_b32_e32 v22, 0x1600, v0
	v_cmp_gt_u32_e32 vcc, s14, v22
                                        ; implicit-def: $vgpr23
	s_and_saveexec_b64 s[0:1], vcc
	s_cbranch_execz .LBB1533_25
; %bb.24:
	global_load_ubyte v23, v22, s[2:3]
.LBB1533_25:
	s_or_b64 exec, exec, s[0:1]
	v_or_b32_e32 v20, 0x1800, v0
	v_cmp_gt_u32_e32 vcc, s14, v20
                                        ; implicit-def: $vgpr21
	s_and_saveexec_b64 s[0:1], vcc
	s_cbranch_execz .LBB1533_27
; %bb.26:
	global_load_ubyte v21, v20, s[2:3]
.LBB1533_27:
	s_or_b64 exec, exec, s[0:1]
	v_or_b32_e32 v18, 0x1a00, v0
	v_cmp_gt_u32_e32 vcc, s14, v18
                                        ; implicit-def: $vgpr19
	s_and_saveexec_b64 s[0:1], vcc
	s_cbranch_execz .LBB1533_29
; %bb.28:
	global_load_ubyte v19, v18, s[2:3]
.LBB1533_29:
	s_or_b64 exec, exec, s[0:1]
	v_or_b32_e32 v16, 0x1c00, v0
	v_cmp_gt_u32_e32 vcc, s14, v16
                                        ; implicit-def: $vgpr17
	s_and_saveexec_b64 s[0:1], vcc
	s_cbranch_execz .LBB1533_31
; %bb.30:
	global_load_ubyte v17, v16, s[2:3]
.LBB1533_31:
	s_or_b64 exec, exec, s[0:1]
	v_or_b32_e32 v14, 0x1e00, v0
	v_cmp_gt_u32_e32 vcc, s14, v14
                                        ; implicit-def: $vgpr15
	s_and_saveexec_b64 s[0:1], vcc
	s_cbranch_execz .LBB1533_33
; %bb.32:
	global_load_ubyte v15, v14, s[2:3]
.LBB1533_33:
	s_or_b64 exec, exec, s[0:1]
	v_or_b32_e32 v12, 0x2000, v0
	v_cmp_gt_u32_e32 vcc, s14, v12
                                        ; implicit-def: $vgpr13
	s_and_saveexec_b64 s[0:1], vcc
	s_cbranch_execz .LBB1533_35
; %bb.34:
	global_load_ubyte v13, v12, s[2:3]
.LBB1533_35:
	s_or_b64 exec, exec, s[0:1]
	v_or_b32_e32 v10, 0x2200, v0
	v_cmp_gt_u32_e32 vcc, s14, v10
                                        ; implicit-def: $vgpr11
	s_and_saveexec_b64 s[0:1], vcc
	s_cbranch_execz .LBB1533_37
; %bb.36:
	global_load_ubyte v11, v10, s[2:3]
.LBB1533_37:
	s_or_b64 exec, exec, s[0:1]
	v_or_b32_e32 v8, 0x2400, v0
	v_cmp_gt_u32_e32 vcc, s14, v8
                                        ; implicit-def: $vgpr9
	s_and_saveexec_b64 s[0:1], vcc
	s_cbranch_execz .LBB1533_39
; %bb.38:
	global_load_ubyte v9, v8, s[2:3]
.LBB1533_39:
	s_or_b64 exec, exec, s[0:1]
	v_or_b32_e32 v6, 0x2600, v0
	v_cmp_gt_u32_e32 vcc, s14, v6
                                        ; implicit-def: $vgpr7
	s_and_saveexec_b64 s[0:1], vcc
	s_cbranch_execz .LBB1533_41
; %bb.40:
	global_load_ubyte v7, v6, s[2:3]
.LBB1533_41:
	s_or_b64 exec, exec, s[0:1]
	v_or_b32_e32 v4, 0x2800, v0
	v_cmp_gt_u32_e32 vcc, s14, v4
                                        ; implicit-def: $vgpr5
	s_and_saveexec_b64 s[0:1], vcc
	s_cbranch_execz .LBB1533_43
; %bb.42:
	global_load_ubyte v5, v4, s[2:3]
.LBB1533_43:
	s_or_b64 exec, exec, s[0:1]
	v_or_b32_e32 v2, 0x2a00, v0
	v_cmp_gt_u32_e32 vcc, s14, v2
                                        ; implicit-def: $vgpr3
	s_and_saveexec_b64 s[0:1], vcc
	s_cbranch_execz .LBB1533_45
; %bb.44:
	global_load_ubyte v3, v2, s[2:3]
.LBB1533_45:
	s_or_b64 exec, exec, s[0:1]
	s_movk_i32 s0, 0x80
	v_cmp_gt_u32_e32 vcc, s0, v0
	s_and_saveexec_b64 s[0:1], vcc
	s_cbranch_execz .LBB1533_47
; %bb.46:
	v_lshlrev_b32_e32 v45, 2, v0
	v_mov_b32_e32 v46, 0
	ds_write_b32 v45, v46
.LBB1533_47:
	s_or_b64 exec, exec, s[0:1]
	s_cmp_le_u32 s13, s12
	s_cselect_b64 s[4:5], -1, 0
	v_cmp_le_u32_e32 vcc, s14, v0
	s_and_b64 s[0:1], s[4:5], exec
	s_cselect_b32 s15, 8, 10
	s_or_b64 s[0:1], s[4:5], vcc
	s_waitcnt vmcnt(0)
	v_xor_b32_e32 v44, 0x7f, v44
	s_xor_b64 s[6:7], s[0:1], -1
	v_mov_b32_e32 v45, s15
	s_waitcnt lgkmcnt(0)
	s_barrier
	s_and_saveexec_b64 s[0:1], s[6:7]
	s_cbranch_execz .LBB1533_49
; %bb.48:
	s_sub_i32 s6, s13, s12
	s_min_u32 s6, s6, 4
	v_lshrrev_b32_sdwa v45, s12, v44 dst_sel:DWORD dst_unused:UNUSED_PAD src0_sel:DWORD src1_sel:BYTE_0
	v_bfe_u32 v45, v45, 0, s6
	v_lshlrev_b32_e32 v46, 2, v1
	v_lshl_or_b32 v45, v45, 4, v46
	v_mov_b32_e32 v46, 1
	ds_add_u32 v45, v46
	v_mov_b32_e32 v45, 0
.LBB1533_49:
	s_or_b64 exec, exec, s[0:1]
	v_cmp_gt_i32_e64 s[0:1], 10, v45
	s_mov_b64 s[6:7], -1
	s_and_saveexec_b64 s[8:9], s[0:1]
; %bb.50:
	v_cmp_eq_u32_e64 s[0:1], 0, v45
	s_orn2_b64 s[6:7], s[0:1], exec
; %bb.51:
	s_or_b64 exec, exec, s[8:9]
	s_and_saveexec_b64 s[0:1], s[6:7]
	s_cbranch_execz .LBB1533_54
; %bb.52:
	s_add_i32 s6, s12, 4
	s_cmp_gt_u32 s13, s6
	s_cselect_b64 s[8:9], -1, 0
	s_xor_b64 s[16:17], vcc, -1
	s_and_b64 s[8:9], s[8:9], s[16:17]
	s_and_b64 exec, exec, s[8:9]
	s_cbranch_execz .LBB1533_54
; %bb.53:
	s_sub_i32 s7, s13, s6
	s_min_u32 s7, s7, 4
	v_lshrrev_b32_sdwa v44, s6, v44 dst_sel:DWORD dst_unused:UNUSED_PAD src0_sel:DWORD src1_sel:BYTE_0
	v_bfe_u32 v44, v44, 0, s7
	v_lshlrev_b32_e32 v45, 2, v1
	v_lshl_or_b32 v44, v44, 4, v45
	v_mov_b32_e32 v45, 1
	ds_add_u32 v44, v45 offset:256
.LBB1533_54:
	s_or_b64 exec, exec, s[0:1]
	v_cmp_le_u32_e32 vcc, s14, v42
	s_or_b64 s[0:1], s[4:5], vcc
	v_xor_b32_e32 v43, 0x7f, v43
	s_xor_b64 s[6:7], s[0:1], -1
	v_mov_b32_e32 v42, s15
	s_and_saveexec_b64 s[0:1], s[6:7]
	s_cbranch_execz .LBB1533_56
; %bb.55:
	s_sub_i32 s6, s13, s12
	s_min_u32 s6, s6, 4
	v_lshrrev_b32_sdwa v42, s12, v43 dst_sel:DWORD dst_unused:UNUSED_PAD src0_sel:DWORD src1_sel:BYTE_0
	v_bfe_u32 v42, v42, 0, s6
	v_lshlrev_b32_e32 v44, 2, v1
	v_lshl_or_b32 v42, v42, 4, v44
	v_mov_b32_e32 v44, 1
	ds_add_u32 v42, v44
	v_mov_b32_e32 v42, 0
.LBB1533_56:
	s_or_b64 exec, exec, s[0:1]
	v_cmp_gt_i32_e64 s[0:1], 10, v42
	s_mov_b64 s[6:7], -1
	s_and_saveexec_b64 s[8:9], s[0:1]
; %bb.57:
	v_cmp_eq_u32_e64 s[0:1], 0, v42
	s_orn2_b64 s[6:7], s[0:1], exec
; %bb.58:
	s_or_b64 exec, exec, s[8:9]
	s_and_saveexec_b64 s[0:1], s[6:7]
	s_cbranch_execz .LBB1533_61
; %bb.59:
	s_add_i32 s6, s12, 4
	s_cmp_gt_u32 s13, s6
	s_cselect_b64 s[8:9], -1, 0
	s_xor_b64 s[16:17], vcc, -1
	s_and_b64 s[8:9], s[8:9], s[16:17]
	s_and_b64 exec, exec, s[8:9]
	s_cbranch_execz .LBB1533_61
; %bb.60:
	s_sub_i32 s7, s13, s6
	s_min_u32 s7, s7, 4
	v_lshrrev_b32_sdwa v42, s6, v43 dst_sel:DWORD dst_unused:UNUSED_PAD src0_sel:DWORD src1_sel:BYTE_0
	v_bfe_u32 v42, v42, 0, s7
	v_lshlrev_b32_e32 v43, 2, v1
	v_lshl_or_b32 v42, v42, 4, v43
	v_mov_b32_e32 v43, 1
	ds_add_u32 v42, v43 offset:256
.LBB1533_61:
	s_or_b64 exec, exec, s[0:1]
	v_cmp_le_u32_e32 vcc, s14, v40
	s_or_b64 s[0:1], s[4:5], vcc
	v_xor_b32_e32 v41, 0x7f, v41
	s_xor_b64 s[6:7], s[0:1], -1
	v_mov_b32_e32 v40, s15
	s_and_saveexec_b64 s[0:1], s[6:7]
	s_cbranch_execz .LBB1533_63
; %bb.62:
	s_sub_i32 s6, s13, s12
	s_min_u32 s6, s6, 4
	v_lshrrev_b32_sdwa v40, s12, v41 dst_sel:DWORD dst_unused:UNUSED_PAD src0_sel:DWORD src1_sel:BYTE_0
	v_bfe_u32 v40, v40, 0, s6
	v_lshlrev_b32_e32 v42, 2, v1
	v_lshl_or_b32 v40, v40, 4, v42
	v_mov_b32_e32 v42, 1
	ds_add_u32 v40, v42
	v_mov_b32_e32 v40, 0
.LBB1533_63:
	s_or_b64 exec, exec, s[0:1]
	v_cmp_gt_i32_e64 s[0:1], 10, v40
	s_mov_b64 s[6:7], -1
	s_and_saveexec_b64 s[8:9], s[0:1]
; %bb.64:
	v_cmp_eq_u32_e64 s[0:1], 0, v40
	s_orn2_b64 s[6:7], s[0:1], exec
; %bb.65:
	s_or_b64 exec, exec, s[8:9]
	s_and_saveexec_b64 s[0:1], s[6:7]
	s_cbranch_execz .LBB1533_68
; %bb.66:
	s_add_i32 s6, s12, 4
	s_cmp_gt_u32 s13, s6
	s_cselect_b64 s[8:9], -1, 0
	s_xor_b64 s[16:17], vcc, -1
	s_and_b64 s[8:9], s[8:9], s[16:17]
	s_and_b64 exec, exec, s[8:9]
	s_cbranch_execz .LBB1533_68
; %bb.67:
	s_sub_i32 s7, s13, s6
	s_min_u32 s7, s7, 4
	v_lshrrev_b32_sdwa v40, s6, v41 dst_sel:DWORD dst_unused:UNUSED_PAD src0_sel:DWORD src1_sel:BYTE_0
	v_bfe_u32 v40, v40, 0, s7
	v_lshlrev_b32_e32 v41, 2, v1
	v_lshl_or_b32 v40, v40, 4, v41
	v_mov_b32_e32 v41, 1
	ds_add_u32 v40, v41 offset:256
.LBB1533_68:
	s_or_b64 exec, exec, s[0:1]
	v_cmp_le_u32_e32 vcc, s14, v38
	s_or_b64 s[0:1], s[4:5], vcc
	v_xor_b32_e32 v39, 0x7f, v39
	s_xor_b64 s[6:7], s[0:1], -1
	v_mov_b32_e32 v38, s15
	s_and_saveexec_b64 s[0:1], s[6:7]
	s_cbranch_execz .LBB1533_70
; %bb.69:
	s_sub_i32 s6, s13, s12
	s_min_u32 s6, s6, 4
	v_lshrrev_b32_sdwa v38, s12, v39 dst_sel:DWORD dst_unused:UNUSED_PAD src0_sel:DWORD src1_sel:BYTE_0
	v_bfe_u32 v38, v38, 0, s6
	v_lshlrev_b32_e32 v40, 2, v1
	v_lshl_or_b32 v38, v38, 4, v40
	v_mov_b32_e32 v40, 1
	ds_add_u32 v38, v40
	v_mov_b32_e32 v38, 0
.LBB1533_70:
	s_or_b64 exec, exec, s[0:1]
	v_cmp_gt_i32_e64 s[0:1], 10, v38
	s_mov_b64 s[6:7], -1
	s_and_saveexec_b64 s[8:9], s[0:1]
; %bb.71:
	v_cmp_eq_u32_e64 s[0:1], 0, v38
	s_orn2_b64 s[6:7], s[0:1], exec
; %bb.72:
	s_or_b64 exec, exec, s[8:9]
	s_and_saveexec_b64 s[0:1], s[6:7]
	s_cbranch_execz .LBB1533_75
; %bb.73:
	s_add_i32 s6, s12, 4
	s_cmp_gt_u32 s13, s6
	s_cselect_b64 s[8:9], -1, 0
	s_xor_b64 s[16:17], vcc, -1
	s_and_b64 s[8:9], s[8:9], s[16:17]
	s_and_b64 exec, exec, s[8:9]
	s_cbranch_execz .LBB1533_75
; %bb.74:
	s_sub_i32 s7, s13, s6
	s_min_u32 s7, s7, 4
	v_lshrrev_b32_sdwa v38, s6, v39 dst_sel:DWORD dst_unused:UNUSED_PAD src0_sel:DWORD src1_sel:BYTE_0
	v_bfe_u32 v38, v38, 0, s7
	v_lshlrev_b32_e32 v39, 2, v1
	v_lshl_or_b32 v38, v38, 4, v39
	v_mov_b32_e32 v39, 1
	ds_add_u32 v38, v39 offset:256
.LBB1533_75:
	s_or_b64 exec, exec, s[0:1]
	v_cmp_le_u32_e32 vcc, s14, v36
	s_or_b64 s[0:1], s[4:5], vcc
	v_xor_b32_e32 v37, 0x7f, v37
	s_xor_b64 s[6:7], s[0:1], -1
	v_mov_b32_e32 v36, s15
	s_and_saveexec_b64 s[0:1], s[6:7]
	s_cbranch_execz .LBB1533_77
; %bb.76:
	s_sub_i32 s6, s13, s12
	s_min_u32 s6, s6, 4
	v_lshrrev_b32_sdwa v36, s12, v37 dst_sel:DWORD dst_unused:UNUSED_PAD src0_sel:DWORD src1_sel:BYTE_0
	v_bfe_u32 v36, v36, 0, s6
	v_lshlrev_b32_e32 v38, 2, v1
	v_lshl_or_b32 v36, v36, 4, v38
	v_mov_b32_e32 v38, 1
	ds_add_u32 v36, v38
	v_mov_b32_e32 v36, 0
.LBB1533_77:
	s_or_b64 exec, exec, s[0:1]
	v_cmp_gt_i32_e64 s[0:1], 10, v36
	s_mov_b64 s[6:7], -1
	s_and_saveexec_b64 s[8:9], s[0:1]
; %bb.78:
	v_cmp_eq_u32_e64 s[0:1], 0, v36
	s_orn2_b64 s[6:7], s[0:1], exec
; %bb.79:
	s_or_b64 exec, exec, s[8:9]
	s_and_saveexec_b64 s[0:1], s[6:7]
	s_cbranch_execz .LBB1533_82
; %bb.80:
	s_add_i32 s6, s12, 4
	s_cmp_gt_u32 s13, s6
	s_cselect_b64 s[8:9], -1, 0
	s_xor_b64 s[16:17], vcc, -1
	s_and_b64 s[8:9], s[8:9], s[16:17]
	s_and_b64 exec, exec, s[8:9]
	s_cbranch_execz .LBB1533_82
; %bb.81:
	s_sub_i32 s7, s13, s6
	s_min_u32 s7, s7, 4
	v_lshrrev_b32_sdwa v36, s6, v37 dst_sel:DWORD dst_unused:UNUSED_PAD src0_sel:DWORD src1_sel:BYTE_0
	v_bfe_u32 v36, v36, 0, s7
	v_lshlrev_b32_e32 v37, 2, v1
	v_lshl_or_b32 v36, v36, 4, v37
	v_mov_b32_e32 v37, 1
	ds_add_u32 v36, v37 offset:256
.LBB1533_82:
	s_or_b64 exec, exec, s[0:1]
	v_cmp_le_u32_e32 vcc, s14, v34
	s_or_b64 s[0:1], s[4:5], vcc
	v_xor_b32_e32 v35, 0x7f, v35
	s_xor_b64 s[6:7], s[0:1], -1
	v_mov_b32_e32 v34, s15
	s_and_saveexec_b64 s[0:1], s[6:7]
	s_cbranch_execz .LBB1533_84
; %bb.83:
	s_sub_i32 s6, s13, s12
	s_min_u32 s6, s6, 4
	v_lshrrev_b32_sdwa v34, s12, v35 dst_sel:DWORD dst_unused:UNUSED_PAD src0_sel:DWORD src1_sel:BYTE_0
	v_bfe_u32 v34, v34, 0, s6
	v_lshlrev_b32_e32 v36, 2, v1
	v_lshl_or_b32 v34, v34, 4, v36
	v_mov_b32_e32 v36, 1
	ds_add_u32 v34, v36
	v_mov_b32_e32 v34, 0
.LBB1533_84:
	s_or_b64 exec, exec, s[0:1]
	v_cmp_gt_i32_e64 s[0:1], 10, v34
	s_mov_b64 s[6:7], -1
	s_and_saveexec_b64 s[8:9], s[0:1]
; %bb.85:
	v_cmp_eq_u32_e64 s[0:1], 0, v34
	s_orn2_b64 s[6:7], s[0:1], exec
; %bb.86:
	s_or_b64 exec, exec, s[8:9]
	s_and_saveexec_b64 s[0:1], s[6:7]
	s_cbranch_execz .LBB1533_89
; %bb.87:
	s_add_i32 s6, s12, 4
	s_cmp_gt_u32 s13, s6
	s_cselect_b64 s[8:9], -1, 0
	s_xor_b64 s[16:17], vcc, -1
	s_and_b64 s[8:9], s[8:9], s[16:17]
	s_and_b64 exec, exec, s[8:9]
	s_cbranch_execz .LBB1533_89
; %bb.88:
	s_sub_i32 s7, s13, s6
	s_min_u32 s7, s7, 4
	v_lshrrev_b32_sdwa v34, s6, v35 dst_sel:DWORD dst_unused:UNUSED_PAD src0_sel:DWORD src1_sel:BYTE_0
	v_bfe_u32 v34, v34, 0, s7
	v_lshlrev_b32_e32 v35, 2, v1
	v_lshl_or_b32 v34, v34, 4, v35
	v_mov_b32_e32 v35, 1
	ds_add_u32 v34, v35 offset:256
.LBB1533_89:
	s_or_b64 exec, exec, s[0:1]
	v_cmp_le_u32_e32 vcc, s14, v32
	s_or_b64 s[0:1], s[4:5], vcc
	v_xor_b32_e32 v33, 0x7f, v33
	s_xor_b64 s[6:7], s[0:1], -1
	v_mov_b32_e32 v32, s15
	s_and_saveexec_b64 s[0:1], s[6:7]
	s_cbranch_execz .LBB1533_91
; %bb.90:
	s_sub_i32 s6, s13, s12
	s_min_u32 s6, s6, 4
	v_lshrrev_b32_sdwa v32, s12, v33 dst_sel:DWORD dst_unused:UNUSED_PAD src0_sel:DWORD src1_sel:BYTE_0
	v_bfe_u32 v32, v32, 0, s6
	v_lshlrev_b32_e32 v34, 2, v1
	v_lshl_or_b32 v32, v32, 4, v34
	v_mov_b32_e32 v34, 1
	ds_add_u32 v32, v34
	v_mov_b32_e32 v32, 0
.LBB1533_91:
	s_or_b64 exec, exec, s[0:1]
	v_cmp_gt_i32_e64 s[0:1], 10, v32
	s_mov_b64 s[6:7], -1
	s_and_saveexec_b64 s[8:9], s[0:1]
; %bb.92:
	v_cmp_eq_u32_e64 s[0:1], 0, v32
	s_orn2_b64 s[6:7], s[0:1], exec
; %bb.93:
	s_or_b64 exec, exec, s[8:9]
	s_and_saveexec_b64 s[0:1], s[6:7]
	s_cbranch_execz .LBB1533_96
; %bb.94:
	s_add_i32 s6, s12, 4
	s_cmp_gt_u32 s13, s6
	s_cselect_b64 s[8:9], -1, 0
	s_xor_b64 s[16:17], vcc, -1
	s_and_b64 s[8:9], s[8:9], s[16:17]
	s_and_b64 exec, exec, s[8:9]
	s_cbranch_execz .LBB1533_96
; %bb.95:
	s_sub_i32 s7, s13, s6
	s_min_u32 s7, s7, 4
	v_lshrrev_b32_sdwa v32, s6, v33 dst_sel:DWORD dst_unused:UNUSED_PAD src0_sel:DWORD src1_sel:BYTE_0
	v_bfe_u32 v32, v32, 0, s7
	v_lshlrev_b32_e32 v33, 2, v1
	v_lshl_or_b32 v32, v32, 4, v33
	v_mov_b32_e32 v33, 1
	ds_add_u32 v32, v33 offset:256
.LBB1533_96:
	s_or_b64 exec, exec, s[0:1]
	v_cmp_le_u32_e32 vcc, s14, v30
	s_or_b64 s[0:1], s[4:5], vcc
	v_xor_b32_e32 v31, 0x7f, v31
	s_xor_b64 s[6:7], s[0:1], -1
	v_mov_b32_e32 v30, s15
	s_and_saveexec_b64 s[0:1], s[6:7]
	s_cbranch_execz .LBB1533_98
; %bb.97:
	s_sub_i32 s6, s13, s12
	s_min_u32 s6, s6, 4
	v_lshrrev_b32_sdwa v30, s12, v31 dst_sel:DWORD dst_unused:UNUSED_PAD src0_sel:DWORD src1_sel:BYTE_0
	v_bfe_u32 v30, v30, 0, s6
	v_lshlrev_b32_e32 v32, 2, v1
	v_lshl_or_b32 v30, v30, 4, v32
	v_mov_b32_e32 v32, 1
	ds_add_u32 v30, v32
	v_mov_b32_e32 v30, 0
.LBB1533_98:
	s_or_b64 exec, exec, s[0:1]
	v_cmp_gt_i32_e64 s[0:1], 10, v30
	s_mov_b64 s[6:7], -1
	s_and_saveexec_b64 s[8:9], s[0:1]
; %bb.99:
	v_cmp_eq_u32_e64 s[0:1], 0, v30
	s_orn2_b64 s[6:7], s[0:1], exec
; %bb.100:
	s_or_b64 exec, exec, s[8:9]
	s_and_saveexec_b64 s[0:1], s[6:7]
	s_cbranch_execz .LBB1533_103
; %bb.101:
	s_add_i32 s6, s12, 4
	s_cmp_gt_u32 s13, s6
	s_cselect_b64 s[8:9], -1, 0
	s_xor_b64 s[16:17], vcc, -1
	s_and_b64 s[8:9], s[8:9], s[16:17]
	s_and_b64 exec, exec, s[8:9]
	s_cbranch_execz .LBB1533_103
; %bb.102:
	s_sub_i32 s7, s13, s6
	s_min_u32 s7, s7, 4
	v_lshrrev_b32_sdwa v30, s6, v31 dst_sel:DWORD dst_unused:UNUSED_PAD src0_sel:DWORD src1_sel:BYTE_0
	v_bfe_u32 v30, v30, 0, s7
	v_lshlrev_b32_e32 v31, 2, v1
	v_lshl_or_b32 v30, v30, 4, v31
	v_mov_b32_e32 v31, 1
	ds_add_u32 v30, v31 offset:256
.LBB1533_103:
	s_or_b64 exec, exec, s[0:1]
	v_cmp_le_u32_e32 vcc, s14, v28
	s_or_b64 s[0:1], s[4:5], vcc
	v_xor_b32_e32 v29, 0x7f, v29
	s_xor_b64 s[6:7], s[0:1], -1
	v_mov_b32_e32 v28, s15
	s_and_saveexec_b64 s[0:1], s[6:7]
	s_cbranch_execz .LBB1533_105
; %bb.104:
	s_sub_i32 s6, s13, s12
	s_min_u32 s6, s6, 4
	v_lshrrev_b32_sdwa v28, s12, v29 dst_sel:DWORD dst_unused:UNUSED_PAD src0_sel:DWORD src1_sel:BYTE_0
	v_bfe_u32 v28, v28, 0, s6
	v_lshlrev_b32_e32 v30, 2, v1
	v_lshl_or_b32 v28, v28, 4, v30
	v_mov_b32_e32 v30, 1
	ds_add_u32 v28, v30
	v_mov_b32_e32 v28, 0
.LBB1533_105:
	s_or_b64 exec, exec, s[0:1]
	v_cmp_gt_i32_e64 s[0:1], 10, v28
	s_mov_b64 s[6:7], -1
	s_and_saveexec_b64 s[8:9], s[0:1]
; %bb.106:
	v_cmp_eq_u32_e64 s[0:1], 0, v28
	s_orn2_b64 s[6:7], s[0:1], exec
; %bb.107:
	s_or_b64 exec, exec, s[8:9]
	s_and_saveexec_b64 s[0:1], s[6:7]
	s_cbranch_execz .LBB1533_110
; %bb.108:
	s_add_i32 s6, s12, 4
	s_cmp_gt_u32 s13, s6
	s_cselect_b64 s[8:9], -1, 0
	s_xor_b64 s[16:17], vcc, -1
	s_and_b64 s[8:9], s[8:9], s[16:17]
	s_and_b64 exec, exec, s[8:9]
	s_cbranch_execz .LBB1533_110
; %bb.109:
	s_sub_i32 s7, s13, s6
	s_min_u32 s7, s7, 4
	v_lshrrev_b32_sdwa v28, s6, v29 dst_sel:DWORD dst_unused:UNUSED_PAD src0_sel:DWORD src1_sel:BYTE_0
	v_bfe_u32 v28, v28, 0, s7
	v_lshlrev_b32_e32 v29, 2, v1
	v_lshl_or_b32 v28, v28, 4, v29
	v_mov_b32_e32 v29, 1
	ds_add_u32 v28, v29 offset:256
.LBB1533_110:
	s_or_b64 exec, exec, s[0:1]
	v_cmp_le_u32_e32 vcc, s14, v26
	s_or_b64 s[0:1], s[4:5], vcc
	v_xor_b32_e32 v27, 0x7f, v27
	s_xor_b64 s[6:7], s[0:1], -1
	v_mov_b32_e32 v26, s15
	s_and_saveexec_b64 s[0:1], s[6:7]
	s_cbranch_execz .LBB1533_112
; %bb.111:
	s_sub_i32 s6, s13, s12
	s_min_u32 s6, s6, 4
	v_lshrrev_b32_sdwa v26, s12, v27 dst_sel:DWORD dst_unused:UNUSED_PAD src0_sel:DWORD src1_sel:BYTE_0
	v_bfe_u32 v26, v26, 0, s6
	v_lshlrev_b32_e32 v28, 2, v1
	v_lshl_or_b32 v26, v26, 4, v28
	v_mov_b32_e32 v28, 1
	ds_add_u32 v26, v28
	v_mov_b32_e32 v26, 0
.LBB1533_112:
	s_or_b64 exec, exec, s[0:1]
	v_cmp_gt_i32_e64 s[0:1], 10, v26
	s_mov_b64 s[6:7], -1
	s_and_saveexec_b64 s[8:9], s[0:1]
; %bb.113:
	v_cmp_eq_u32_e64 s[0:1], 0, v26
	s_orn2_b64 s[6:7], s[0:1], exec
; %bb.114:
	s_or_b64 exec, exec, s[8:9]
	s_and_saveexec_b64 s[0:1], s[6:7]
	s_cbranch_execz .LBB1533_117
; %bb.115:
	s_add_i32 s6, s12, 4
	s_cmp_gt_u32 s13, s6
	s_cselect_b64 s[8:9], -1, 0
	s_xor_b64 s[16:17], vcc, -1
	s_and_b64 s[8:9], s[8:9], s[16:17]
	s_and_b64 exec, exec, s[8:9]
	s_cbranch_execz .LBB1533_117
; %bb.116:
	s_sub_i32 s7, s13, s6
	s_min_u32 s7, s7, 4
	v_lshrrev_b32_sdwa v26, s6, v27 dst_sel:DWORD dst_unused:UNUSED_PAD src0_sel:DWORD src1_sel:BYTE_0
	v_bfe_u32 v26, v26, 0, s7
	v_lshlrev_b32_e32 v27, 2, v1
	v_lshl_or_b32 v26, v26, 4, v27
	v_mov_b32_e32 v27, 1
	ds_add_u32 v26, v27 offset:256
.LBB1533_117:
	s_or_b64 exec, exec, s[0:1]
	v_cmp_le_u32_e32 vcc, s14, v24
	s_or_b64 s[0:1], s[4:5], vcc
	v_xor_b32_e32 v25, 0x7f, v25
	s_xor_b64 s[6:7], s[0:1], -1
	v_mov_b32_e32 v24, s15
	s_and_saveexec_b64 s[0:1], s[6:7]
	s_cbranch_execz .LBB1533_119
; %bb.118:
	s_sub_i32 s6, s13, s12
	s_min_u32 s6, s6, 4
	v_lshrrev_b32_sdwa v24, s12, v25 dst_sel:DWORD dst_unused:UNUSED_PAD src0_sel:DWORD src1_sel:BYTE_0
	v_bfe_u32 v24, v24, 0, s6
	v_lshlrev_b32_e32 v26, 2, v1
	v_lshl_or_b32 v24, v24, 4, v26
	v_mov_b32_e32 v26, 1
	ds_add_u32 v24, v26
	v_mov_b32_e32 v24, 0
.LBB1533_119:
	s_or_b64 exec, exec, s[0:1]
	v_cmp_gt_i32_e64 s[0:1], 10, v24
	s_mov_b64 s[6:7], -1
	s_and_saveexec_b64 s[8:9], s[0:1]
; %bb.120:
	v_cmp_eq_u32_e64 s[0:1], 0, v24
	s_orn2_b64 s[6:7], s[0:1], exec
; %bb.121:
	s_or_b64 exec, exec, s[8:9]
	s_and_saveexec_b64 s[0:1], s[6:7]
	s_cbranch_execz .LBB1533_124
; %bb.122:
	s_add_i32 s6, s12, 4
	s_cmp_gt_u32 s13, s6
	s_cselect_b64 s[8:9], -1, 0
	s_xor_b64 s[16:17], vcc, -1
	s_and_b64 s[8:9], s[8:9], s[16:17]
	s_and_b64 exec, exec, s[8:9]
	s_cbranch_execz .LBB1533_124
; %bb.123:
	s_sub_i32 s7, s13, s6
	s_min_u32 s7, s7, 4
	v_lshrrev_b32_sdwa v24, s6, v25 dst_sel:DWORD dst_unused:UNUSED_PAD src0_sel:DWORD src1_sel:BYTE_0
	v_bfe_u32 v24, v24, 0, s7
	v_lshlrev_b32_e32 v25, 2, v1
	v_lshl_or_b32 v24, v24, 4, v25
	v_mov_b32_e32 v25, 1
	ds_add_u32 v24, v25 offset:256
.LBB1533_124:
	s_or_b64 exec, exec, s[0:1]
	v_cmp_le_u32_e32 vcc, s14, v22
	s_or_b64 s[0:1], s[4:5], vcc
	v_xor_b32_e32 v23, 0x7f, v23
	s_xor_b64 s[6:7], s[0:1], -1
	v_mov_b32_e32 v22, s15
	s_and_saveexec_b64 s[0:1], s[6:7]
	s_cbranch_execz .LBB1533_126
; %bb.125:
	s_sub_i32 s6, s13, s12
	s_min_u32 s6, s6, 4
	v_lshrrev_b32_sdwa v22, s12, v23 dst_sel:DWORD dst_unused:UNUSED_PAD src0_sel:DWORD src1_sel:BYTE_0
	v_bfe_u32 v22, v22, 0, s6
	v_lshlrev_b32_e32 v24, 2, v1
	v_lshl_or_b32 v22, v22, 4, v24
	v_mov_b32_e32 v24, 1
	ds_add_u32 v22, v24
	v_mov_b32_e32 v22, 0
.LBB1533_126:
	s_or_b64 exec, exec, s[0:1]
	v_cmp_gt_i32_e64 s[0:1], 10, v22
	s_mov_b64 s[6:7], -1
	s_and_saveexec_b64 s[8:9], s[0:1]
; %bb.127:
	v_cmp_eq_u32_e64 s[0:1], 0, v22
	s_orn2_b64 s[6:7], s[0:1], exec
; %bb.128:
	s_or_b64 exec, exec, s[8:9]
	s_and_saveexec_b64 s[0:1], s[6:7]
	s_cbranch_execz .LBB1533_131
; %bb.129:
	s_add_i32 s6, s12, 4
	s_cmp_gt_u32 s13, s6
	s_cselect_b64 s[8:9], -1, 0
	s_xor_b64 s[16:17], vcc, -1
	s_and_b64 s[8:9], s[8:9], s[16:17]
	s_and_b64 exec, exec, s[8:9]
	s_cbranch_execz .LBB1533_131
; %bb.130:
	s_sub_i32 s7, s13, s6
	s_min_u32 s7, s7, 4
	v_lshrrev_b32_sdwa v22, s6, v23 dst_sel:DWORD dst_unused:UNUSED_PAD src0_sel:DWORD src1_sel:BYTE_0
	v_bfe_u32 v22, v22, 0, s7
	v_lshlrev_b32_e32 v23, 2, v1
	v_lshl_or_b32 v22, v22, 4, v23
	v_mov_b32_e32 v23, 1
	ds_add_u32 v22, v23 offset:256
.LBB1533_131:
	s_or_b64 exec, exec, s[0:1]
	v_cmp_le_u32_e32 vcc, s14, v20
	s_or_b64 s[0:1], s[4:5], vcc
	v_xor_b32_e32 v21, 0x7f, v21
	s_xor_b64 s[6:7], s[0:1], -1
	v_mov_b32_e32 v20, s15
	s_and_saveexec_b64 s[0:1], s[6:7]
	s_cbranch_execz .LBB1533_133
; %bb.132:
	s_sub_i32 s6, s13, s12
	s_min_u32 s6, s6, 4
	v_lshrrev_b32_sdwa v20, s12, v21 dst_sel:DWORD dst_unused:UNUSED_PAD src0_sel:DWORD src1_sel:BYTE_0
	v_bfe_u32 v20, v20, 0, s6
	v_lshlrev_b32_e32 v22, 2, v1
	v_lshl_or_b32 v20, v20, 4, v22
	v_mov_b32_e32 v22, 1
	ds_add_u32 v20, v22
	v_mov_b32_e32 v20, 0
.LBB1533_133:
	s_or_b64 exec, exec, s[0:1]
	v_cmp_gt_i32_e64 s[0:1], 10, v20
	s_mov_b64 s[6:7], -1
	s_and_saveexec_b64 s[8:9], s[0:1]
; %bb.134:
	v_cmp_eq_u32_e64 s[0:1], 0, v20
	s_orn2_b64 s[6:7], s[0:1], exec
; %bb.135:
	s_or_b64 exec, exec, s[8:9]
	s_and_saveexec_b64 s[0:1], s[6:7]
	s_cbranch_execz .LBB1533_138
; %bb.136:
	s_add_i32 s6, s12, 4
	s_cmp_gt_u32 s13, s6
	s_cselect_b64 s[8:9], -1, 0
	s_xor_b64 s[16:17], vcc, -1
	s_and_b64 s[8:9], s[8:9], s[16:17]
	s_and_b64 exec, exec, s[8:9]
	s_cbranch_execz .LBB1533_138
; %bb.137:
	s_sub_i32 s7, s13, s6
	s_min_u32 s7, s7, 4
	v_lshrrev_b32_sdwa v20, s6, v21 dst_sel:DWORD dst_unused:UNUSED_PAD src0_sel:DWORD src1_sel:BYTE_0
	v_bfe_u32 v20, v20, 0, s7
	v_lshlrev_b32_e32 v21, 2, v1
	v_lshl_or_b32 v20, v20, 4, v21
	v_mov_b32_e32 v21, 1
	ds_add_u32 v20, v21 offset:256
.LBB1533_138:
	s_or_b64 exec, exec, s[0:1]
	v_cmp_le_u32_e32 vcc, s14, v18
	s_or_b64 s[0:1], s[4:5], vcc
	v_xor_b32_e32 v19, 0x7f, v19
	s_xor_b64 s[6:7], s[0:1], -1
	v_mov_b32_e32 v18, s15
	s_and_saveexec_b64 s[0:1], s[6:7]
	s_cbranch_execz .LBB1533_140
; %bb.139:
	s_sub_i32 s6, s13, s12
	s_min_u32 s6, s6, 4
	v_lshrrev_b32_sdwa v18, s12, v19 dst_sel:DWORD dst_unused:UNUSED_PAD src0_sel:DWORD src1_sel:BYTE_0
	v_bfe_u32 v18, v18, 0, s6
	v_lshlrev_b32_e32 v20, 2, v1
	v_lshl_or_b32 v18, v18, 4, v20
	v_mov_b32_e32 v20, 1
	ds_add_u32 v18, v20
	v_mov_b32_e32 v18, 0
.LBB1533_140:
	s_or_b64 exec, exec, s[0:1]
	v_cmp_gt_i32_e64 s[0:1], 10, v18
	s_mov_b64 s[6:7], -1
	s_and_saveexec_b64 s[8:9], s[0:1]
; %bb.141:
	v_cmp_eq_u32_e64 s[0:1], 0, v18
	s_orn2_b64 s[6:7], s[0:1], exec
; %bb.142:
	s_or_b64 exec, exec, s[8:9]
	s_and_saveexec_b64 s[0:1], s[6:7]
	s_cbranch_execz .LBB1533_145
; %bb.143:
	s_add_i32 s6, s12, 4
	s_cmp_gt_u32 s13, s6
	s_cselect_b64 s[8:9], -1, 0
	s_xor_b64 s[16:17], vcc, -1
	s_and_b64 s[8:9], s[8:9], s[16:17]
	s_and_b64 exec, exec, s[8:9]
	s_cbranch_execz .LBB1533_145
; %bb.144:
	s_sub_i32 s7, s13, s6
	s_min_u32 s7, s7, 4
	v_lshrrev_b32_sdwa v18, s6, v19 dst_sel:DWORD dst_unused:UNUSED_PAD src0_sel:DWORD src1_sel:BYTE_0
	v_bfe_u32 v18, v18, 0, s7
	v_lshlrev_b32_e32 v19, 2, v1
	v_lshl_or_b32 v18, v18, 4, v19
	v_mov_b32_e32 v19, 1
	ds_add_u32 v18, v19 offset:256
.LBB1533_145:
	s_or_b64 exec, exec, s[0:1]
	v_cmp_le_u32_e32 vcc, s14, v16
	s_or_b64 s[0:1], s[4:5], vcc
	v_xor_b32_e32 v17, 0x7f, v17
	s_xor_b64 s[6:7], s[0:1], -1
	v_mov_b32_e32 v16, s15
	s_and_saveexec_b64 s[0:1], s[6:7]
	s_cbranch_execz .LBB1533_147
; %bb.146:
	s_sub_i32 s6, s13, s12
	s_min_u32 s6, s6, 4
	v_lshrrev_b32_sdwa v16, s12, v17 dst_sel:DWORD dst_unused:UNUSED_PAD src0_sel:DWORD src1_sel:BYTE_0
	v_bfe_u32 v16, v16, 0, s6
	v_lshlrev_b32_e32 v18, 2, v1
	v_lshl_or_b32 v16, v16, 4, v18
	v_mov_b32_e32 v18, 1
	ds_add_u32 v16, v18
	v_mov_b32_e32 v16, 0
.LBB1533_147:
	s_or_b64 exec, exec, s[0:1]
	v_cmp_gt_i32_e64 s[0:1], 10, v16
	s_mov_b64 s[6:7], -1
	s_and_saveexec_b64 s[8:9], s[0:1]
; %bb.148:
	v_cmp_eq_u32_e64 s[0:1], 0, v16
	s_orn2_b64 s[6:7], s[0:1], exec
; %bb.149:
	s_or_b64 exec, exec, s[8:9]
	s_and_saveexec_b64 s[0:1], s[6:7]
	s_cbranch_execz .LBB1533_152
; %bb.150:
	s_add_i32 s6, s12, 4
	s_cmp_gt_u32 s13, s6
	s_cselect_b64 s[8:9], -1, 0
	s_xor_b64 s[16:17], vcc, -1
	s_and_b64 s[8:9], s[8:9], s[16:17]
	s_and_b64 exec, exec, s[8:9]
	s_cbranch_execz .LBB1533_152
; %bb.151:
	s_sub_i32 s7, s13, s6
	s_min_u32 s7, s7, 4
	v_lshrrev_b32_sdwa v16, s6, v17 dst_sel:DWORD dst_unused:UNUSED_PAD src0_sel:DWORD src1_sel:BYTE_0
	v_bfe_u32 v16, v16, 0, s7
	v_lshlrev_b32_e32 v17, 2, v1
	v_lshl_or_b32 v16, v16, 4, v17
	v_mov_b32_e32 v17, 1
	ds_add_u32 v16, v17 offset:256
.LBB1533_152:
	s_or_b64 exec, exec, s[0:1]
	v_cmp_le_u32_e32 vcc, s14, v14
	s_or_b64 s[0:1], s[4:5], vcc
	v_xor_b32_e32 v15, 0x7f, v15
	s_xor_b64 s[6:7], s[0:1], -1
	v_mov_b32_e32 v14, s15
	s_and_saveexec_b64 s[0:1], s[6:7]
	s_cbranch_execz .LBB1533_154
; %bb.153:
	s_sub_i32 s6, s13, s12
	s_min_u32 s6, s6, 4
	v_lshrrev_b32_sdwa v14, s12, v15 dst_sel:DWORD dst_unused:UNUSED_PAD src0_sel:DWORD src1_sel:BYTE_0
	v_bfe_u32 v14, v14, 0, s6
	v_lshlrev_b32_e32 v16, 2, v1
	v_lshl_or_b32 v14, v14, 4, v16
	v_mov_b32_e32 v16, 1
	ds_add_u32 v14, v16
	v_mov_b32_e32 v14, 0
.LBB1533_154:
	s_or_b64 exec, exec, s[0:1]
	v_cmp_gt_i32_e64 s[0:1], 10, v14
	s_mov_b64 s[6:7], -1
	s_and_saveexec_b64 s[8:9], s[0:1]
; %bb.155:
	v_cmp_eq_u32_e64 s[0:1], 0, v14
	s_orn2_b64 s[6:7], s[0:1], exec
; %bb.156:
	s_or_b64 exec, exec, s[8:9]
	s_and_saveexec_b64 s[0:1], s[6:7]
	s_cbranch_execz .LBB1533_159
; %bb.157:
	s_add_i32 s6, s12, 4
	s_cmp_gt_u32 s13, s6
	s_cselect_b64 s[8:9], -1, 0
	s_xor_b64 s[16:17], vcc, -1
	s_and_b64 s[8:9], s[8:9], s[16:17]
	s_and_b64 exec, exec, s[8:9]
	s_cbranch_execz .LBB1533_159
; %bb.158:
	s_sub_i32 s7, s13, s6
	s_min_u32 s7, s7, 4
	v_lshrrev_b32_sdwa v14, s6, v15 dst_sel:DWORD dst_unused:UNUSED_PAD src0_sel:DWORD src1_sel:BYTE_0
	v_bfe_u32 v14, v14, 0, s7
	v_lshlrev_b32_e32 v15, 2, v1
	v_lshl_or_b32 v14, v14, 4, v15
	v_mov_b32_e32 v15, 1
	ds_add_u32 v14, v15 offset:256
.LBB1533_159:
	s_or_b64 exec, exec, s[0:1]
	v_cmp_le_u32_e32 vcc, s14, v12
	s_or_b64 s[0:1], s[4:5], vcc
	v_xor_b32_e32 v13, 0x7f, v13
	s_xor_b64 s[6:7], s[0:1], -1
	v_mov_b32_e32 v12, s15
	s_and_saveexec_b64 s[0:1], s[6:7]
	s_cbranch_execz .LBB1533_161
; %bb.160:
	s_sub_i32 s6, s13, s12
	s_min_u32 s6, s6, 4
	v_lshrrev_b32_sdwa v12, s12, v13 dst_sel:DWORD dst_unused:UNUSED_PAD src0_sel:DWORD src1_sel:BYTE_0
	v_bfe_u32 v12, v12, 0, s6
	v_lshlrev_b32_e32 v14, 2, v1
	v_lshl_or_b32 v12, v12, 4, v14
	v_mov_b32_e32 v14, 1
	ds_add_u32 v12, v14
	v_mov_b32_e32 v12, 0
.LBB1533_161:
	s_or_b64 exec, exec, s[0:1]
	v_cmp_gt_i32_e64 s[0:1], 10, v12
	s_mov_b64 s[6:7], -1
	s_and_saveexec_b64 s[8:9], s[0:1]
; %bb.162:
	v_cmp_eq_u32_e64 s[0:1], 0, v12
	s_orn2_b64 s[6:7], s[0:1], exec
; %bb.163:
	s_or_b64 exec, exec, s[8:9]
	s_and_saveexec_b64 s[0:1], s[6:7]
	s_cbranch_execz .LBB1533_166
; %bb.164:
	s_add_i32 s6, s12, 4
	s_cmp_gt_u32 s13, s6
	s_cselect_b64 s[8:9], -1, 0
	s_xor_b64 s[16:17], vcc, -1
	s_and_b64 s[8:9], s[8:9], s[16:17]
	s_and_b64 exec, exec, s[8:9]
	s_cbranch_execz .LBB1533_166
; %bb.165:
	s_sub_i32 s7, s13, s6
	s_min_u32 s7, s7, 4
	v_lshrrev_b32_sdwa v12, s6, v13 dst_sel:DWORD dst_unused:UNUSED_PAD src0_sel:DWORD src1_sel:BYTE_0
	v_bfe_u32 v12, v12, 0, s7
	v_lshlrev_b32_e32 v13, 2, v1
	v_lshl_or_b32 v12, v12, 4, v13
	v_mov_b32_e32 v13, 1
	ds_add_u32 v12, v13 offset:256
.LBB1533_166:
	s_or_b64 exec, exec, s[0:1]
	v_cmp_le_u32_e32 vcc, s14, v10
	s_or_b64 s[0:1], s[4:5], vcc
	v_xor_b32_e32 v11, 0x7f, v11
	s_xor_b64 s[6:7], s[0:1], -1
	v_mov_b32_e32 v10, s15
	s_and_saveexec_b64 s[0:1], s[6:7]
	s_cbranch_execz .LBB1533_168
; %bb.167:
	s_sub_i32 s6, s13, s12
	s_min_u32 s6, s6, 4
	v_lshrrev_b32_sdwa v10, s12, v11 dst_sel:DWORD dst_unused:UNUSED_PAD src0_sel:DWORD src1_sel:BYTE_0
	v_bfe_u32 v10, v10, 0, s6
	v_lshlrev_b32_e32 v12, 2, v1
	v_lshl_or_b32 v10, v10, 4, v12
	v_mov_b32_e32 v12, 1
	ds_add_u32 v10, v12
	v_mov_b32_e32 v10, 0
.LBB1533_168:
	s_or_b64 exec, exec, s[0:1]
	v_cmp_gt_i32_e64 s[0:1], 10, v10
	s_mov_b64 s[6:7], -1
	s_and_saveexec_b64 s[8:9], s[0:1]
; %bb.169:
	v_cmp_eq_u32_e64 s[0:1], 0, v10
	s_orn2_b64 s[6:7], s[0:1], exec
; %bb.170:
	s_or_b64 exec, exec, s[8:9]
	s_and_saveexec_b64 s[0:1], s[6:7]
	s_cbranch_execz .LBB1533_173
; %bb.171:
	s_add_i32 s6, s12, 4
	s_cmp_gt_u32 s13, s6
	s_cselect_b64 s[8:9], -1, 0
	s_xor_b64 s[16:17], vcc, -1
	s_and_b64 s[8:9], s[8:9], s[16:17]
	s_and_b64 exec, exec, s[8:9]
	s_cbranch_execz .LBB1533_173
; %bb.172:
	s_sub_i32 s7, s13, s6
	s_min_u32 s7, s7, 4
	v_lshrrev_b32_sdwa v10, s6, v11 dst_sel:DWORD dst_unused:UNUSED_PAD src0_sel:DWORD src1_sel:BYTE_0
	v_bfe_u32 v10, v10, 0, s7
	v_lshlrev_b32_e32 v11, 2, v1
	v_lshl_or_b32 v10, v10, 4, v11
	v_mov_b32_e32 v11, 1
	ds_add_u32 v10, v11 offset:256
.LBB1533_173:
	s_or_b64 exec, exec, s[0:1]
	v_cmp_le_u32_e32 vcc, s14, v8
	s_or_b64 s[0:1], s[4:5], vcc
	v_xor_b32_e32 v9, 0x7f, v9
	s_xor_b64 s[6:7], s[0:1], -1
	v_mov_b32_e32 v8, s15
	s_and_saveexec_b64 s[0:1], s[6:7]
	s_cbranch_execz .LBB1533_175
; %bb.174:
	s_sub_i32 s6, s13, s12
	s_min_u32 s6, s6, 4
	v_lshrrev_b32_sdwa v8, s12, v9 dst_sel:DWORD dst_unused:UNUSED_PAD src0_sel:DWORD src1_sel:BYTE_0
	v_bfe_u32 v8, v8, 0, s6
	v_lshlrev_b32_e32 v10, 2, v1
	v_lshl_or_b32 v8, v8, 4, v10
	v_mov_b32_e32 v10, 1
	ds_add_u32 v8, v10
	v_mov_b32_e32 v8, 0
.LBB1533_175:
	s_or_b64 exec, exec, s[0:1]
	v_cmp_gt_i32_e64 s[0:1], 10, v8
	s_mov_b64 s[6:7], -1
	s_and_saveexec_b64 s[8:9], s[0:1]
; %bb.176:
	v_cmp_eq_u32_e64 s[0:1], 0, v8
	s_orn2_b64 s[6:7], s[0:1], exec
; %bb.177:
	s_or_b64 exec, exec, s[8:9]
	s_and_saveexec_b64 s[0:1], s[6:7]
	s_cbranch_execz .LBB1533_180
; %bb.178:
	s_add_i32 s6, s12, 4
	s_cmp_gt_u32 s13, s6
	s_cselect_b64 s[8:9], -1, 0
	s_xor_b64 s[16:17], vcc, -1
	s_and_b64 s[8:9], s[8:9], s[16:17]
	s_and_b64 exec, exec, s[8:9]
	s_cbranch_execz .LBB1533_180
; %bb.179:
	s_sub_i32 s7, s13, s6
	s_min_u32 s7, s7, 4
	v_lshrrev_b32_sdwa v8, s6, v9 dst_sel:DWORD dst_unused:UNUSED_PAD src0_sel:DWORD src1_sel:BYTE_0
	v_bfe_u32 v8, v8, 0, s7
	v_lshlrev_b32_e32 v9, 2, v1
	v_lshl_or_b32 v8, v8, 4, v9
	v_mov_b32_e32 v9, 1
	ds_add_u32 v8, v9 offset:256
.LBB1533_180:
	s_or_b64 exec, exec, s[0:1]
	v_cmp_le_u32_e32 vcc, s14, v6
	s_or_b64 s[0:1], s[4:5], vcc
	v_xor_b32_e32 v7, 0x7f, v7
	s_xor_b64 s[6:7], s[0:1], -1
	v_mov_b32_e32 v6, s15
	s_and_saveexec_b64 s[0:1], s[6:7]
	s_cbranch_execz .LBB1533_182
; %bb.181:
	s_sub_i32 s6, s13, s12
	s_min_u32 s6, s6, 4
	v_lshrrev_b32_sdwa v6, s12, v7 dst_sel:DWORD dst_unused:UNUSED_PAD src0_sel:DWORD src1_sel:BYTE_0
	v_bfe_u32 v6, v6, 0, s6
	v_lshlrev_b32_e32 v8, 2, v1
	v_lshl_or_b32 v6, v6, 4, v8
	v_mov_b32_e32 v8, 1
	ds_add_u32 v6, v8
	v_mov_b32_e32 v6, 0
.LBB1533_182:
	s_or_b64 exec, exec, s[0:1]
	v_cmp_gt_i32_e64 s[0:1], 10, v6
	s_mov_b64 s[6:7], -1
	s_and_saveexec_b64 s[8:9], s[0:1]
; %bb.183:
	v_cmp_eq_u32_e64 s[0:1], 0, v6
	s_orn2_b64 s[6:7], s[0:1], exec
; %bb.184:
	s_or_b64 exec, exec, s[8:9]
	s_and_saveexec_b64 s[0:1], s[6:7]
	s_cbranch_execz .LBB1533_187
; %bb.185:
	s_add_i32 s6, s12, 4
	s_cmp_gt_u32 s13, s6
	s_cselect_b64 s[8:9], -1, 0
	s_xor_b64 s[16:17], vcc, -1
	s_and_b64 s[8:9], s[8:9], s[16:17]
	s_and_b64 exec, exec, s[8:9]
	s_cbranch_execz .LBB1533_187
; %bb.186:
	s_sub_i32 s7, s13, s6
	s_min_u32 s7, s7, 4
	v_lshrrev_b32_sdwa v6, s6, v7 dst_sel:DWORD dst_unused:UNUSED_PAD src0_sel:DWORD src1_sel:BYTE_0
	v_bfe_u32 v6, v6, 0, s7
	v_lshlrev_b32_e32 v7, 2, v1
	v_lshl_or_b32 v6, v6, 4, v7
	v_mov_b32_e32 v7, 1
	ds_add_u32 v6, v7 offset:256
.LBB1533_187:
	s_or_b64 exec, exec, s[0:1]
	v_cmp_le_u32_e32 vcc, s14, v4
	s_or_b64 s[0:1], s[4:5], vcc
	v_xor_b32_e32 v5, 0x7f, v5
	s_xor_b64 s[6:7], s[0:1], -1
	v_mov_b32_e32 v4, s15
	s_and_saveexec_b64 s[0:1], s[6:7]
	s_cbranch_execz .LBB1533_189
; %bb.188:
	s_sub_i32 s6, s13, s12
	s_min_u32 s6, s6, 4
	v_lshrrev_b32_sdwa v4, s12, v5 dst_sel:DWORD dst_unused:UNUSED_PAD src0_sel:DWORD src1_sel:BYTE_0
	v_bfe_u32 v4, v4, 0, s6
	v_lshlrev_b32_e32 v6, 2, v1
	v_lshl_or_b32 v4, v4, 4, v6
	v_mov_b32_e32 v6, 1
	ds_add_u32 v4, v6
	v_mov_b32_e32 v4, 0
.LBB1533_189:
	s_or_b64 exec, exec, s[0:1]
	v_cmp_gt_i32_e64 s[0:1], 10, v4
	s_mov_b64 s[6:7], -1
	s_and_saveexec_b64 s[8:9], s[0:1]
; %bb.190:
	v_cmp_eq_u32_e64 s[0:1], 0, v4
	s_orn2_b64 s[6:7], s[0:1], exec
; %bb.191:
	s_or_b64 exec, exec, s[8:9]
	s_and_saveexec_b64 s[0:1], s[6:7]
	s_cbranch_execz .LBB1533_194
; %bb.192:
	s_add_i32 s6, s12, 4
	s_cmp_gt_u32 s13, s6
	s_cselect_b64 s[8:9], -1, 0
	s_xor_b64 s[16:17], vcc, -1
	s_and_b64 s[8:9], s[8:9], s[16:17]
	s_and_b64 exec, exec, s[8:9]
	s_cbranch_execz .LBB1533_194
; %bb.193:
	s_sub_i32 s7, s13, s6
	s_min_u32 s7, s7, 4
	v_lshrrev_b32_sdwa v4, s6, v5 dst_sel:DWORD dst_unused:UNUSED_PAD src0_sel:DWORD src1_sel:BYTE_0
	v_bfe_u32 v4, v4, 0, s7
	v_lshlrev_b32_e32 v5, 2, v1
	v_lshl_or_b32 v4, v4, 4, v5
	v_mov_b32_e32 v5, 1
	ds_add_u32 v4, v5 offset:256
.LBB1533_194:
	s_or_b64 exec, exec, s[0:1]
	v_cmp_le_u32_e32 vcc, s14, v2
	s_or_b64 s[0:1], s[4:5], vcc
	v_xor_b32_e32 v3, 0x7f, v3
	s_xor_b64 s[4:5], s[0:1], -1
	v_mov_b32_e32 v2, s15
	s_and_saveexec_b64 s[0:1], s[4:5]
	s_cbranch_execz .LBB1533_196
; %bb.195:
	s_sub_i32 s4, s13, s12
	s_min_u32 s4, s4, 4
	v_lshrrev_b32_sdwa v2, s12, v3 dst_sel:DWORD dst_unused:UNUSED_PAD src0_sel:DWORD src1_sel:BYTE_0
	v_bfe_u32 v2, v2, 0, s4
	v_lshlrev_b32_e32 v4, 2, v1
	v_lshl_or_b32 v2, v2, 4, v4
	v_mov_b32_e32 v4, 1
	ds_add_u32 v2, v4
	v_mov_b32_e32 v2, 0
.LBB1533_196:
	s_or_b64 exec, exec, s[0:1]
	v_cmp_gt_i32_e64 s[0:1], 10, v2
	s_mov_b64 s[4:5], -1
	s_and_saveexec_b64 s[6:7], s[0:1]
; %bb.197:
	v_cmp_eq_u32_e64 s[0:1], 0, v2
	s_orn2_b64 s[4:5], s[0:1], exec
; %bb.198:
	s_or_b64 exec, exec, s[6:7]
	s_and_saveexec_b64 s[0:1], s[4:5]
	s_cbranch_execz .LBB1533_201
; %bb.199:
	s_add_i32 s4, s12, 4
	s_cmp_gt_u32 s13, s4
	s_cselect_b64 s[6:7], -1, 0
	s_xor_b64 s[8:9], vcc, -1
	s_and_b64 s[6:7], s[6:7], s[8:9]
	s_and_b64 exec, exec, s[6:7]
	s_cbranch_execz .LBB1533_201
; %bb.200:
	s_sub_i32 s5, s13, s4
	s_min_u32 s5, s5, 4
	v_lshrrev_b32_sdwa v2, s4, v3 dst_sel:DWORD dst_unused:UNUSED_PAD src0_sel:DWORD src1_sel:BYTE_0
	v_bfe_u32 v2, v2, 0, s5
	v_lshlrev_b32_e32 v3, 2, v1
	v_lshl_or_b32 v2, v2, 4, v3
	v_mov_b32_e32 v3, 1
	ds_add_u32 v2, v3 offset:256
.LBB1533_201:
	s_or_b64 exec, exec, s[0:1]
	s_cmp_gt_u32 s13, s12
	s_waitcnt lgkmcnt(0)
	s_barrier
	s_cbranch_scc0 .LBB1533_206
; %bb.202:
	v_cmp_gt_u32_e32 vcc, 16, v0
	v_lshlrev_b32_e32 v4, 4, v0
	v_mov_b32_e32 v3, 0
	v_mov_b32_e32 v2, v0
	s_mov_b32 s6, s12
	s_branch .LBB1533_204
.LBB1533_203:                           ;   in Loop: Header=BB1533_204 Depth=1
	s_or_b64 exec, exec, s[4:5]
	s_add_i32 s6, s6, 4
	v_add_u32_e32 v2, 16, v2
	s_cmp_lt_u32 s6, s13
	v_add_u32_e32 v4, 0x100, v4
	s_cbranch_scc0 .LBB1533_206
.LBB1533_204:                           ; =>This Inner Loop Header: Depth=1
	s_and_saveexec_b64 s[4:5], vcc
	s_cbranch_execz .LBB1533_203
; %bb.205:                              ;   in Loop: Header=BB1533_204 Depth=1
	ds_read2_b32 v[6:7], v4 offset1:1
	ds_read2_b32 v[8:9], v4 offset0:2 offset1:3
	v_lshlrev_b64 v[10:11], 3, v[2:3]
	v_mov_b32_e32 v5, s11
	s_waitcnt lgkmcnt(1)
	v_add_u32_e32 v6, v7, v6
	s_waitcnt lgkmcnt(0)
	v_add3_u32 v6, v6, v8, v9
	v_add_co_u32_e64 v8, s[0:1], s10, v10
	v_addc_co_u32_e64 v9, s[0:1], v5, v11, s[0:1]
	v_mov_b32_e32 v7, v3
	global_atomic_add_x2 v[8:9], v[6:7], off
	s_branch .LBB1533_203
.LBB1533_206:
	s_mov_b64 s[6:7], 0
.LBB1533_207:
	s_and_b64 vcc, exec, s[6:7]
	s_cbranch_vccz .LBB1533_267
; %bb.208:
	v_mov_b32_e32 v2, s3
	v_add_co_u32_e32 v19, vcc, s2, v0
	v_addc_co_u32_e32 v20, vcc, 0, v2, vcc
	s_movk_i32 s0, 0x1000
	v_add_co_u32_e32 v2, vcc, s0, v19
	v_addc_co_u32_e32 v3, vcc, 0, v20, vcc
	global_load_ubyte v4, v0, s[2:3] offset:512
	global_load_ubyte v5, v0, s[2:3] offset:1024
	;; [unrolled: 1-line block ×7, first 2 shown]
	global_load_ubyte v11, v[2:3], off
	global_load_ubyte v12, v[2:3], off offset:512
	global_load_ubyte v13, v[2:3], off offset:1024
	;; [unrolled: 1-line block ×7, first 2 shown]
	v_add_co_u32_e32 v2, vcc, 0x2000, v19
	v_addc_co_u32_e32 v3, vcc, 0, v20, vcc
	global_load_ubyte v19, v[2:3], off
	global_load_ubyte v20, v[2:3], off offset:512
	global_load_ubyte v21, v[2:3], off offset:1024
	;; [unrolled: 1-line block ×4, first 2 shown]
	global_load_ubyte v25, v0, s[2:3]
	global_load_ubyte v24, v[2:3], off offset:2560
	s_cmp_lg_u32 s12, 0
	s_cselect_b64 s[0:1], -1, 0
	s_cmp_lg_u32 s13, 8
	s_cselect_b64 s[2:3], -1, 0
	s_or_b64 s[4:5], s[0:1], s[2:3]
	s_movk_i32 s0, 0x80
	v_cmp_gt_u32_e64 s[0:1], s0, v0
	s_mov_b64 s[2:3], -1
	s_and_b64 vcc, exec, s[4:5]
	s_cbranch_vccz .LBB1533_262
; %bb.209:
	s_and_saveexec_b64 s[2:3], s[0:1]
	s_cbranch_execz .LBB1533_211
; %bb.210:
	v_lshlrev_b32_e32 v2, 2, v0
	v_mov_b32_e32 v3, 0
	ds_write_b32 v2, v3
.LBB1533_211:
	s_or_b64 exec, exec, s[2:3]
	s_cmp_gt_u32 s13, s12
	s_cselect_b64 s[4:5], -1, 0
	s_and_b64 vcc, exec, s[4:5]
	s_waitcnt lgkmcnt(0)
	s_barrier
	s_cbranch_vccz .LBB1533_256
; %bb.212:
	s_sub_i32 s2, s13, s12
	s_min_u32 s2, s2, 4
	s_waitcnt vmcnt(1)
	v_xor_b32_e32 v26, 0x7f, v25
	s_lshl_b32 s2, -1, s2
	s_not_b32 s9, s2
	v_lshrrev_b32_sdwa v2, s12, v26 dst_sel:DWORD dst_unused:UNUSED_PAD src0_sel:DWORD src1_sel:BYTE_0
	v_and_b32_e32 v3, s9, v2
	v_lshlrev_b32_e32 v2, 2, v1
	v_lshl_or_b32 v27, v3, 4, v2
	v_mov_b32_e32 v3, 1
	ds_add_u32 v27, v3
	s_add_i32 s8, s12, 4
	s_cmp_gt_u32 s13, s8
	s_cselect_b64 s[6:7], -1, 0
	s_cmp_le_u32 s13, s8
	s_cbranch_scc1 .LBB1533_214
; %bb.213:
	s_sub_i32 s2, s13, s8
	s_min_u32 s2, s2, 4
	v_lshrrev_b32_sdwa v26, s8, v26 dst_sel:DWORD dst_unused:UNUSED_PAD src0_sel:DWORD src1_sel:BYTE_0
	v_bfe_u32 v26, v26, 0, s2
	v_lshl_or_b32 v26, v26, 4, v2
	ds_add_u32 v26, v3 offset:256
.LBB1533_214:
	v_xor_b32_e32 v26, 0x7f, v4
	v_lshrrev_b32_sdwa v27, s12, v26 dst_sel:DWORD dst_unused:UNUSED_PAD src0_sel:DWORD src1_sel:BYTE_0
	v_and_b32_e32 v27, s9, v27
	v_lshl_or_b32 v27, v27, 4, v2
	ds_add_u32 v27, v3
	v_cndmask_b32_e64 v3, 0, 1, s[6:7]
	v_cmp_ne_u32_e64 s[2:3], 1, v3
	s_andn2_b64 vcc, exec, s[6:7]
	s_cbranch_vccnz .LBB1533_216
; %bb.215:
	s_sub_i32 s6, s13, s8
	s_min_u32 s6, s6, 4
	v_lshrrev_b32_sdwa v3, s8, v26 dst_sel:DWORD dst_unused:UNUSED_PAD src0_sel:DWORD src1_sel:BYTE_0
	v_bfe_u32 v3, v3, 0, s6
	v_lshl_or_b32 v3, v3, 4, v2
	v_mov_b32_e32 v26, 1
	ds_add_u32 v3, v26 offset:256
.LBB1533_216:
	v_xor_b32_e32 v26, 0x7f, v5
	v_lshrrev_b32_sdwa v3, s12, v26 dst_sel:DWORD dst_unused:UNUSED_PAD src0_sel:DWORD src1_sel:BYTE_0
	v_and_b32_e32 v3, s9, v3
	v_lshl_or_b32 v27, v3, 4, v2
	v_mov_b32_e32 v3, 1
	ds_add_u32 v27, v3
	s_and_b64 vcc, exec, s[2:3]
	s_cbranch_vccnz .LBB1533_218
; %bb.217:
	s_sub_i32 s6, s13, s8
	s_min_u32 s6, s6, 4
	v_lshrrev_b32_sdwa v26, s8, v26 dst_sel:DWORD dst_unused:UNUSED_PAD src0_sel:DWORD src1_sel:BYTE_0
	v_bfe_u32 v26, v26, 0, s6
	v_lshl_or_b32 v26, v26, 4, v2
	ds_add_u32 v26, v3 offset:256
.LBB1533_218:
	v_xor_b32_e32 v26, 0x7f, v6
	v_lshrrev_b32_sdwa v27, s12, v26 dst_sel:DWORD dst_unused:UNUSED_PAD src0_sel:DWORD src1_sel:BYTE_0
	v_and_b32_e32 v27, s9, v27
	v_lshl_or_b32 v27, v27, 4, v2
	ds_add_u32 v27, v3
	s_and_b64 vcc, exec, s[2:3]
	s_cbranch_vccnz .LBB1533_220
; %bb.219:
	s_sub_i32 s6, s13, s8
	s_min_u32 s6, s6, 4
	v_lshrrev_b32_sdwa v3, s8, v26 dst_sel:DWORD dst_unused:UNUSED_PAD src0_sel:DWORD src1_sel:BYTE_0
	v_bfe_u32 v3, v3, 0, s6
	v_lshl_or_b32 v3, v3, 4, v2
	v_mov_b32_e32 v26, 1
	ds_add_u32 v3, v26 offset:256
.LBB1533_220:
	v_xor_b32_e32 v26, 0x7f, v7
	v_lshrrev_b32_sdwa v3, s12, v26 dst_sel:DWORD dst_unused:UNUSED_PAD src0_sel:DWORD src1_sel:BYTE_0
	v_and_b32_e32 v3, s9, v3
	v_lshl_or_b32 v27, v3, 4, v2
	v_mov_b32_e32 v3, 1
	ds_add_u32 v27, v3
	s_and_b64 vcc, exec, s[2:3]
	s_cbranch_vccnz .LBB1533_222
; %bb.221:
	s_sub_i32 s6, s13, s8
	s_min_u32 s6, s6, 4
	v_lshrrev_b32_sdwa v26, s8, v26 dst_sel:DWORD dst_unused:UNUSED_PAD src0_sel:DWORD src1_sel:BYTE_0
	v_bfe_u32 v26, v26, 0, s6
	v_lshl_or_b32 v26, v26, 4, v2
	ds_add_u32 v26, v3 offset:256
.LBB1533_222:
	v_xor_b32_e32 v26, 0x7f, v8
	v_lshrrev_b32_sdwa v27, s12, v26 dst_sel:DWORD dst_unused:UNUSED_PAD src0_sel:DWORD src1_sel:BYTE_0
	v_and_b32_e32 v27, s9, v27
	v_lshl_or_b32 v27, v27, 4, v2
	ds_add_u32 v27, v3
	s_and_b64 vcc, exec, s[2:3]
	;; [unrolled: 32-line block ×9, first 2 shown]
	s_cbranch_vccnz .LBB1533_252
; %bb.251:
	s_sub_i32 s6, s13, s8
	s_min_u32 s6, s6, 4
	v_lshrrev_b32_sdwa v3, s8, v26 dst_sel:DWORD dst_unused:UNUSED_PAD src0_sel:DWORD src1_sel:BYTE_0
	v_bfe_u32 v3, v3, 0, s6
	v_lshl_or_b32 v3, v3, 4, v2
	v_mov_b32_e32 v26, 1
	ds_add_u32 v3, v26 offset:256
.LBB1533_252:
	v_xor_b32_e32 v26, 0x7f, v23
	v_lshrrev_b32_sdwa v3, s12, v26 dst_sel:DWORD dst_unused:UNUSED_PAD src0_sel:DWORD src1_sel:BYTE_0
	v_and_b32_e32 v3, s9, v3
	v_lshl_or_b32 v27, v3, 4, v2
	v_mov_b32_e32 v3, 1
	ds_add_u32 v27, v3
	s_and_b64 vcc, exec, s[2:3]
	s_cbranch_vccnz .LBB1533_254
; %bb.253:
	s_sub_i32 s6, s13, s8
	s_min_u32 s6, s6, 4
	v_lshrrev_b32_sdwa v26, s8, v26 dst_sel:DWORD dst_unused:UNUSED_PAD src0_sel:DWORD src1_sel:BYTE_0
	v_bfe_u32 v26, v26, 0, s6
	v_lshl_or_b32 v26, v26, 4, v2
	ds_add_u32 v26, v3 offset:256
.LBB1533_254:
	s_waitcnt vmcnt(0)
	v_xor_b32_e32 v26, 0x7f, v24
	v_lshrrev_b32_sdwa v27, s12, v26 dst_sel:DWORD dst_unused:UNUSED_PAD src0_sel:DWORD src1_sel:BYTE_0
	v_and_b32_e32 v27, s9, v27
	v_lshl_or_b32 v27, v27, 4, v2
	ds_add_u32 v27, v3
	s_and_b64 vcc, exec, s[2:3]
	s_cbranch_vccnz .LBB1533_256
; %bb.255:
	s_sub_i32 s2, s13, s8
	s_min_u32 s2, s2, 4
	v_lshrrev_b32_sdwa v3, s8, v26 dst_sel:DWORD dst_unused:UNUSED_PAD src0_sel:DWORD src1_sel:BYTE_0
	v_bfe_u32 v3, v3, 0, s2
	v_lshl_or_b32 v2, v3, 4, v2
	v_mov_b32_e32 v3, 1
	ds_add_u32 v2, v3 offset:256
.LBB1533_256:
	s_and_b64 vcc, exec, s[4:5]
	s_waitcnt lgkmcnt(0)
	s_barrier
	s_cbranch_vccz .LBB1533_261
; %bb.257:
	v_cmp_gt_u32_e32 vcc, 16, v0
	v_lshlrev_b32_e32 v26, 4, v0
	v_mov_b32_e32 v3, 0
	v_mov_b32_e32 v2, v0
	s_branch .LBB1533_259
.LBB1533_258:                           ;   in Loop: Header=BB1533_259 Depth=1
	s_or_b64 exec, exec, s[4:5]
	s_add_i32 s12, s12, 4
	v_add_u32_e32 v2, 16, v2
	s_cmp_ge_u32 s12, s13
	v_add_u32_e32 v26, 0x100, v26
	s_cbranch_scc1 .LBB1533_261
.LBB1533_259:                           ; =>This Inner Loop Header: Depth=1
	s_and_saveexec_b64 s[4:5], vcc
	s_cbranch_execz .LBB1533_258
; %bb.260:                              ;   in Loop: Header=BB1533_259 Depth=1
	ds_read2_b32 v[28:29], v26 offset1:1
	ds_read2_b32 v[30:31], v26 offset0:2 offset1:3
	v_lshlrev_b64 v[32:33], 3, v[2:3]
	v_mov_b32_e32 v27, s11
	s_waitcnt lgkmcnt(1)
	v_add_u32_e32 v28, v29, v28
	s_waitcnt lgkmcnt(0)
	v_add3_u32 v28, v28, v30, v31
	v_add_co_u32_e64 v30, s[2:3], s10, v32
	v_addc_co_u32_e64 v31, s[2:3], v27, v33, s[2:3]
	v_mov_b32_e32 v29, v3
	global_atomic_add_x2 v[30:31], v[28:29], off
	s_branch .LBB1533_258
.LBB1533_261:
	s_mov_b64 s[2:3], 0
.LBB1533_262:
	s_and_b64 vcc, exec, s[2:3]
	s_cbranch_vccz .LBB1533_267
; %bb.263:
	s_and_saveexec_b64 s[2:3], s[0:1]
	s_cbranch_execz .LBB1533_265
; %bb.264:
	v_lshlrev_b32_e32 v2, 2, v0
	v_mov_b32_e32 v3, 0
	ds_write_b32 v2, v3
.LBB1533_265:
	s_or_b64 exec, exec, s[2:3]
	s_waitcnt vmcnt(1)
	v_xor_b32_e32 v2, 0x7f, v25
	v_xor_b32_e32 v3, 0x7f, v4
	;; [unrolled: 1-line block ×21, first 2 shown]
	s_waitcnt vmcnt(0)
	v_xor_b32_e32 v23, 0x7f, v24
	v_lshlrev_b32_e32 v24, 2, v2
	v_and_or_b32 v24, v24, 60, v1
	v_lshrrev_b32_e32 v2, 2, v2
	v_lshlrev_b32_e32 v24, 2, v24
	v_mov_b32_e32 v25, 1
	v_and_or_b32 v2, v2, 60, v1
	s_waitcnt lgkmcnt(0)
	s_barrier
	ds_add_u32 v24, v25
	v_lshlrev_b32_e32 v2, 2, v2
	ds_add_u32 v2, v25 offset:256
	v_lshlrev_b32_e32 v2, 2, v3
	v_and_or_b32 v2, v2, 60, v1
	v_lshlrev_b32_e32 v2, 2, v2
	ds_add_u32 v2, v25
	v_lshrrev_b32_e32 v2, 2, v3
	v_and_or_b32 v2, v2, 60, v1
	v_lshlrev_b32_e32 v2, 2, v2
	ds_add_u32 v2, v25 offset:256
	v_lshlrev_b32_e32 v2, 2, v4
	v_and_or_b32 v2, v2, 60, v1
	v_lshlrev_b32_e32 v2, 2, v2
	ds_add_u32 v2, v25
	v_lshrrev_b32_e32 v2, 2, v4
	v_and_or_b32 v2, v2, 60, v1
	;; [unrolled: 8-line block ×21, first 2 shown]
	v_lshlrev_b32_e32 v1, 2, v1
	ds_add_u32 v1, v25 offset:256
	v_cmp_gt_u32_e32 vcc, 16, v0
	s_waitcnt lgkmcnt(0)
	s_barrier
	s_and_saveexec_b64 s[0:1], vcc
	s_cbranch_execz .LBB1533_267
; %bb.266:
	v_lshlrev_b32_e32 v6, 4, v0
	ds_read2_b32 v[2:3], v6 offset1:1
	ds_read2_b32 v[4:5], v6 offset0:2 offset1:3
	v_lshlrev_b32_e32 v7, 3, v0
	v_mov_b32_e32 v1, 0
	s_waitcnt lgkmcnt(1)
	v_add_u32_e32 v0, v3, v2
	s_waitcnt lgkmcnt(0)
	v_add3_u32 v0, v0, v4, v5
	global_atomic_add_x2 v7, v[0:1], s[10:11]
	ds_read2_b32 v[2:3], v6 offset0:64 offset1:65
	ds_read2_b32 v[4:5], v6 offset0:66 offset1:67
	s_waitcnt lgkmcnt(1)
	v_add_u32_e32 v0, v3, v2
	s_waitcnt lgkmcnt(0)
	v_add3_u32 v0, v0, v4, v5
	global_atomic_add_x2 v7, v[0:1], s[10:11] offset:128
.LBB1533_267:
	s_endpgm
	.section	.rodata,"a",@progbits
	.p2align	6, 0x0
	.amdhsa_kernel _ZN7rocprim17ROCPRIM_400000_NS6detail17trampoline_kernelINS0_14default_configENS1_35radix_sort_onesweep_config_selectorIcNS0_10empty_typeEEEZNS1_34radix_sort_onesweep_global_offsetsIS3_Lb1EPcPS5_mNS0_19identity_decomposerEEE10hipError_tT1_T2_PT3_SE_jT4_jjP12ihipStream_tbEUlT_E_NS1_11comp_targetILNS1_3genE4ELNS1_11target_archE910ELNS1_3gpuE8ELNS1_3repE0EEENS1_52radix_sort_onesweep_histogram_config_static_selectorELNS0_4arch9wavefront6targetE1EEEvSC_
		.amdhsa_group_segment_fixed_size 512
		.amdhsa_private_segment_fixed_size 0
		.amdhsa_kernarg_size 48
		.amdhsa_user_sgpr_count 6
		.amdhsa_user_sgpr_private_segment_buffer 1
		.amdhsa_user_sgpr_dispatch_ptr 0
		.amdhsa_user_sgpr_queue_ptr 0
		.amdhsa_user_sgpr_kernarg_segment_ptr 1
		.amdhsa_user_sgpr_dispatch_id 0
		.amdhsa_user_sgpr_flat_scratch_init 0
		.amdhsa_user_sgpr_kernarg_preload_length 0
		.amdhsa_user_sgpr_kernarg_preload_offset 0
		.amdhsa_user_sgpr_private_segment_size 0
		.amdhsa_uses_dynamic_stack 0
		.amdhsa_system_sgpr_private_segment_wavefront_offset 0
		.amdhsa_system_sgpr_workgroup_id_x 1
		.amdhsa_system_sgpr_workgroup_id_y 0
		.amdhsa_system_sgpr_workgroup_id_z 0
		.amdhsa_system_sgpr_workgroup_info 0
		.amdhsa_system_vgpr_workitem_id 0
		.amdhsa_next_free_vgpr 47
		.amdhsa_next_free_sgpr 18
		.amdhsa_accum_offset 48
		.amdhsa_reserve_vcc 1
		.amdhsa_reserve_flat_scratch 0
		.amdhsa_float_round_mode_32 0
		.amdhsa_float_round_mode_16_64 0
		.amdhsa_float_denorm_mode_32 3
		.amdhsa_float_denorm_mode_16_64 3
		.amdhsa_dx10_clamp 1
		.amdhsa_ieee_mode 1
		.amdhsa_fp16_overflow 0
		.amdhsa_tg_split 0
		.amdhsa_exception_fp_ieee_invalid_op 0
		.amdhsa_exception_fp_denorm_src 0
		.amdhsa_exception_fp_ieee_div_zero 0
		.amdhsa_exception_fp_ieee_overflow 0
		.amdhsa_exception_fp_ieee_underflow 0
		.amdhsa_exception_fp_ieee_inexact 0
		.amdhsa_exception_int_div_zero 0
	.end_amdhsa_kernel
	.section	.text._ZN7rocprim17ROCPRIM_400000_NS6detail17trampoline_kernelINS0_14default_configENS1_35radix_sort_onesweep_config_selectorIcNS0_10empty_typeEEEZNS1_34radix_sort_onesweep_global_offsetsIS3_Lb1EPcPS5_mNS0_19identity_decomposerEEE10hipError_tT1_T2_PT3_SE_jT4_jjP12ihipStream_tbEUlT_E_NS1_11comp_targetILNS1_3genE4ELNS1_11target_archE910ELNS1_3gpuE8ELNS1_3repE0EEENS1_52radix_sort_onesweep_histogram_config_static_selectorELNS0_4arch9wavefront6targetE1EEEvSC_,"axG",@progbits,_ZN7rocprim17ROCPRIM_400000_NS6detail17trampoline_kernelINS0_14default_configENS1_35radix_sort_onesweep_config_selectorIcNS0_10empty_typeEEEZNS1_34radix_sort_onesweep_global_offsetsIS3_Lb1EPcPS5_mNS0_19identity_decomposerEEE10hipError_tT1_T2_PT3_SE_jT4_jjP12ihipStream_tbEUlT_E_NS1_11comp_targetILNS1_3genE4ELNS1_11target_archE910ELNS1_3gpuE8ELNS1_3repE0EEENS1_52radix_sort_onesweep_histogram_config_static_selectorELNS0_4arch9wavefront6targetE1EEEvSC_,comdat
.Lfunc_end1533:
	.size	_ZN7rocprim17ROCPRIM_400000_NS6detail17trampoline_kernelINS0_14default_configENS1_35radix_sort_onesweep_config_selectorIcNS0_10empty_typeEEEZNS1_34radix_sort_onesweep_global_offsetsIS3_Lb1EPcPS5_mNS0_19identity_decomposerEEE10hipError_tT1_T2_PT3_SE_jT4_jjP12ihipStream_tbEUlT_E_NS1_11comp_targetILNS1_3genE4ELNS1_11target_archE910ELNS1_3gpuE8ELNS1_3repE0EEENS1_52radix_sort_onesweep_histogram_config_static_selectorELNS0_4arch9wavefront6targetE1EEEvSC_, .Lfunc_end1533-_ZN7rocprim17ROCPRIM_400000_NS6detail17trampoline_kernelINS0_14default_configENS1_35radix_sort_onesweep_config_selectorIcNS0_10empty_typeEEEZNS1_34radix_sort_onesweep_global_offsetsIS3_Lb1EPcPS5_mNS0_19identity_decomposerEEE10hipError_tT1_T2_PT3_SE_jT4_jjP12ihipStream_tbEUlT_E_NS1_11comp_targetILNS1_3genE4ELNS1_11target_archE910ELNS1_3gpuE8ELNS1_3repE0EEENS1_52radix_sort_onesweep_histogram_config_static_selectorELNS0_4arch9wavefront6targetE1EEEvSC_
                                        ; -- End function
	.section	.AMDGPU.csdata,"",@progbits
; Kernel info:
; codeLenInByte = 9464
; NumSgprs: 22
; NumVgprs: 47
; NumAgprs: 0
; TotalNumVgprs: 47
; ScratchSize: 0
; MemoryBound: 0
; FloatMode: 240
; IeeeMode: 1
; LDSByteSize: 512 bytes/workgroup (compile time only)
; SGPRBlocks: 2
; VGPRBlocks: 5
; NumSGPRsForWavesPerEU: 22
; NumVGPRsForWavesPerEU: 47
; AccumOffset: 48
; Occupancy: 8
; WaveLimiterHint : 1
; COMPUTE_PGM_RSRC2:SCRATCH_EN: 0
; COMPUTE_PGM_RSRC2:USER_SGPR: 6
; COMPUTE_PGM_RSRC2:TRAP_HANDLER: 0
; COMPUTE_PGM_RSRC2:TGID_X_EN: 1
; COMPUTE_PGM_RSRC2:TGID_Y_EN: 0
; COMPUTE_PGM_RSRC2:TGID_Z_EN: 0
; COMPUTE_PGM_RSRC2:TIDIG_COMP_CNT: 0
; COMPUTE_PGM_RSRC3_GFX90A:ACCUM_OFFSET: 11
; COMPUTE_PGM_RSRC3_GFX90A:TG_SPLIT: 0
	.section	.text._ZN7rocprim17ROCPRIM_400000_NS6detail17trampoline_kernelINS0_14default_configENS1_35radix_sort_onesweep_config_selectorIcNS0_10empty_typeEEEZNS1_34radix_sort_onesweep_global_offsetsIS3_Lb1EPcPS5_mNS0_19identity_decomposerEEE10hipError_tT1_T2_PT3_SE_jT4_jjP12ihipStream_tbEUlT_E_NS1_11comp_targetILNS1_3genE3ELNS1_11target_archE908ELNS1_3gpuE7ELNS1_3repE0EEENS1_52radix_sort_onesweep_histogram_config_static_selectorELNS0_4arch9wavefront6targetE1EEEvSC_,"axG",@progbits,_ZN7rocprim17ROCPRIM_400000_NS6detail17trampoline_kernelINS0_14default_configENS1_35radix_sort_onesweep_config_selectorIcNS0_10empty_typeEEEZNS1_34radix_sort_onesweep_global_offsetsIS3_Lb1EPcPS5_mNS0_19identity_decomposerEEE10hipError_tT1_T2_PT3_SE_jT4_jjP12ihipStream_tbEUlT_E_NS1_11comp_targetILNS1_3genE3ELNS1_11target_archE908ELNS1_3gpuE7ELNS1_3repE0EEENS1_52radix_sort_onesweep_histogram_config_static_selectorELNS0_4arch9wavefront6targetE1EEEvSC_,comdat
	.protected	_ZN7rocprim17ROCPRIM_400000_NS6detail17trampoline_kernelINS0_14default_configENS1_35radix_sort_onesweep_config_selectorIcNS0_10empty_typeEEEZNS1_34radix_sort_onesweep_global_offsetsIS3_Lb1EPcPS5_mNS0_19identity_decomposerEEE10hipError_tT1_T2_PT3_SE_jT4_jjP12ihipStream_tbEUlT_E_NS1_11comp_targetILNS1_3genE3ELNS1_11target_archE908ELNS1_3gpuE7ELNS1_3repE0EEENS1_52radix_sort_onesweep_histogram_config_static_selectorELNS0_4arch9wavefront6targetE1EEEvSC_ ; -- Begin function _ZN7rocprim17ROCPRIM_400000_NS6detail17trampoline_kernelINS0_14default_configENS1_35radix_sort_onesweep_config_selectorIcNS0_10empty_typeEEEZNS1_34radix_sort_onesweep_global_offsetsIS3_Lb1EPcPS5_mNS0_19identity_decomposerEEE10hipError_tT1_T2_PT3_SE_jT4_jjP12ihipStream_tbEUlT_E_NS1_11comp_targetILNS1_3genE3ELNS1_11target_archE908ELNS1_3gpuE7ELNS1_3repE0EEENS1_52radix_sort_onesweep_histogram_config_static_selectorELNS0_4arch9wavefront6targetE1EEEvSC_
	.globl	_ZN7rocprim17ROCPRIM_400000_NS6detail17trampoline_kernelINS0_14default_configENS1_35radix_sort_onesweep_config_selectorIcNS0_10empty_typeEEEZNS1_34radix_sort_onesweep_global_offsetsIS3_Lb1EPcPS5_mNS0_19identity_decomposerEEE10hipError_tT1_T2_PT3_SE_jT4_jjP12ihipStream_tbEUlT_E_NS1_11comp_targetILNS1_3genE3ELNS1_11target_archE908ELNS1_3gpuE7ELNS1_3repE0EEENS1_52radix_sort_onesweep_histogram_config_static_selectorELNS0_4arch9wavefront6targetE1EEEvSC_
	.p2align	8
	.type	_ZN7rocprim17ROCPRIM_400000_NS6detail17trampoline_kernelINS0_14default_configENS1_35radix_sort_onesweep_config_selectorIcNS0_10empty_typeEEEZNS1_34radix_sort_onesweep_global_offsetsIS3_Lb1EPcPS5_mNS0_19identity_decomposerEEE10hipError_tT1_T2_PT3_SE_jT4_jjP12ihipStream_tbEUlT_E_NS1_11comp_targetILNS1_3genE3ELNS1_11target_archE908ELNS1_3gpuE7ELNS1_3repE0EEENS1_52radix_sort_onesweep_histogram_config_static_selectorELNS0_4arch9wavefront6targetE1EEEvSC_,@function
_ZN7rocprim17ROCPRIM_400000_NS6detail17trampoline_kernelINS0_14default_configENS1_35radix_sort_onesweep_config_selectorIcNS0_10empty_typeEEEZNS1_34radix_sort_onesweep_global_offsetsIS3_Lb1EPcPS5_mNS0_19identity_decomposerEEE10hipError_tT1_T2_PT3_SE_jT4_jjP12ihipStream_tbEUlT_E_NS1_11comp_targetILNS1_3genE3ELNS1_11target_archE908ELNS1_3gpuE7ELNS1_3repE0EEENS1_52radix_sort_onesweep_histogram_config_static_selectorELNS0_4arch9wavefront6targetE1EEEvSC_: ; @_ZN7rocprim17ROCPRIM_400000_NS6detail17trampoline_kernelINS0_14default_configENS1_35radix_sort_onesweep_config_selectorIcNS0_10empty_typeEEEZNS1_34radix_sort_onesweep_global_offsetsIS3_Lb1EPcPS5_mNS0_19identity_decomposerEEE10hipError_tT1_T2_PT3_SE_jT4_jjP12ihipStream_tbEUlT_E_NS1_11comp_targetILNS1_3genE3ELNS1_11target_archE908ELNS1_3gpuE7ELNS1_3repE0EEENS1_52radix_sort_onesweep_histogram_config_static_selectorELNS0_4arch9wavefront6targetE1EEEvSC_
; %bb.0:
	.section	.rodata,"a",@progbits
	.p2align	6, 0x0
	.amdhsa_kernel _ZN7rocprim17ROCPRIM_400000_NS6detail17trampoline_kernelINS0_14default_configENS1_35radix_sort_onesweep_config_selectorIcNS0_10empty_typeEEEZNS1_34radix_sort_onesweep_global_offsetsIS3_Lb1EPcPS5_mNS0_19identity_decomposerEEE10hipError_tT1_T2_PT3_SE_jT4_jjP12ihipStream_tbEUlT_E_NS1_11comp_targetILNS1_3genE3ELNS1_11target_archE908ELNS1_3gpuE7ELNS1_3repE0EEENS1_52radix_sort_onesweep_histogram_config_static_selectorELNS0_4arch9wavefront6targetE1EEEvSC_
		.amdhsa_group_segment_fixed_size 0
		.amdhsa_private_segment_fixed_size 0
		.amdhsa_kernarg_size 48
		.amdhsa_user_sgpr_count 6
		.amdhsa_user_sgpr_private_segment_buffer 1
		.amdhsa_user_sgpr_dispatch_ptr 0
		.amdhsa_user_sgpr_queue_ptr 0
		.amdhsa_user_sgpr_kernarg_segment_ptr 1
		.amdhsa_user_sgpr_dispatch_id 0
		.amdhsa_user_sgpr_flat_scratch_init 0
		.amdhsa_user_sgpr_kernarg_preload_length 0
		.amdhsa_user_sgpr_kernarg_preload_offset 0
		.amdhsa_user_sgpr_private_segment_size 0
		.amdhsa_uses_dynamic_stack 0
		.amdhsa_system_sgpr_private_segment_wavefront_offset 0
		.amdhsa_system_sgpr_workgroup_id_x 1
		.amdhsa_system_sgpr_workgroup_id_y 0
		.amdhsa_system_sgpr_workgroup_id_z 0
		.amdhsa_system_sgpr_workgroup_info 0
		.amdhsa_system_vgpr_workitem_id 0
		.amdhsa_next_free_vgpr 1
		.amdhsa_next_free_sgpr 0
		.amdhsa_accum_offset 4
		.amdhsa_reserve_vcc 0
		.amdhsa_reserve_flat_scratch 0
		.amdhsa_float_round_mode_32 0
		.amdhsa_float_round_mode_16_64 0
		.amdhsa_float_denorm_mode_32 3
		.amdhsa_float_denorm_mode_16_64 3
		.amdhsa_dx10_clamp 1
		.amdhsa_ieee_mode 1
		.amdhsa_fp16_overflow 0
		.amdhsa_tg_split 0
		.amdhsa_exception_fp_ieee_invalid_op 0
		.amdhsa_exception_fp_denorm_src 0
		.amdhsa_exception_fp_ieee_div_zero 0
		.amdhsa_exception_fp_ieee_overflow 0
		.amdhsa_exception_fp_ieee_underflow 0
		.amdhsa_exception_fp_ieee_inexact 0
		.amdhsa_exception_int_div_zero 0
	.end_amdhsa_kernel
	.section	.text._ZN7rocprim17ROCPRIM_400000_NS6detail17trampoline_kernelINS0_14default_configENS1_35radix_sort_onesweep_config_selectorIcNS0_10empty_typeEEEZNS1_34radix_sort_onesweep_global_offsetsIS3_Lb1EPcPS5_mNS0_19identity_decomposerEEE10hipError_tT1_T2_PT3_SE_jT4_jjP12ihipStream_tbEUlT_E_NS1_11comp_targetILNS1_3genE3ELNS1_11target_archE908ELNS1_3gpuE7ELNS1_3repE0EEENS1_52radix_sort_onesweep_histogram_config_static_selectorELNS0_4arch9wavefront6targetE1EEEvSC_,"axG",@progbits,_ZN7rocprim17ROCPRIM_400000_NS6detail17trampoline_kernelINS0_14default_configENS1_35radix_sort_onesweep_config_selectorIcNS0_10empty_typeEEEZNS1_34radix_sort_onesweep_global_offsetsIS3_Lb1EPcPS5_mNS0_19identity_decomposerEEE10hipError_tT1_T2_PT3_SE_jT4_jjP12ihipStream_tbEUlT_E_NS1_11comp_targetILNS1_3genE3ELNS1_11target_archE908ELNS1_3gpuE7ELNS1_3repE0EEENS1_52radix_sort_onesweep_histogram_config_static_selectorELNS0_4arch9wavefront6targetE1EEEvSC_,comdat
.Lfunc_end1534:
	.size	_ZN7rocprim17ROCPRIM_400000_NS6detail17trampoline_kernelINS0_14default_configENS1_35radix_sort_onesweep_config_selectorIcNS0_10empty_typeEEEZNS1_34radix_sort_onesweep_global_offsetsIS3_Lb1EPcPS5_mNS0_19identity_decomposerEEE10hipError_tT1_T2_PT3_SE_jT4_jjP12ihipStream_tbEUlT_E_NS1_11comp_targetILNS1_3genE3ELNS1_11target_archE908ELNS1_3gpuE7ELNS1_3repE0EEENS1_52radix_sort_onesweep_histogram_config_static_selectorELNS0_4arch9wavefront6targetE1EEEvSC_, .Lfunc_end1534-_ZN7rocprim17ROCPRIM_400000_NS6detail17trampoline_kernelINS0_14default_configENS1_35radix_sort_onesweep_config_selectorIcNS0_10empty_typeEEEZNS1_34radix_sort_onesweep_global_offsetsIS3_Lb1EPcPS5_mNS0_19identity_decomposerEEE10hipError_tT1_T2_PT3_SE_jT4_jjP12ihipStream_tbEUlT_E_NS1_11comp_targetILNS1_3genE3ELNS1_11target_archE908ELNS1_3gpuE7ELNS1_3repE0EEENS1_52radix_sort_onesweep_histogram_config_static_selectorELNS0_4arch9wavefront6targetE1EEEvSC_
                                        ; -- End function
	.section	.AMDGPU.csdata,"",@progbits
; Kernel info:
; codeLenInByte = 0
; NumSgprs: 4
; NumVgprs: 0
; NumAgprs: 0
; TotalNumVgprs: 0
; ScratchSize: 0
; MemoryBound: 0
; FloatMode: 240
; IeeeMode: 1
; LDSByteSize: 0 bytes/workgroup (compile time only)
; SGPRBlocks: 0
; VGPRBlocks: 0
; NumSGPRsForWavesPerEU: 4
; NumVGPRsForWavesPerEU: 1
; AccumOffset: 4
; Occupancy: 8
; WaveLimiterHint : 0
; COMPUTE_PGM_RSRC2:SCRATCH_EN: 0
; COMPUTE_PGM_RSRC2:USER_SGPR: 6
; COMPUTE_PGM_RSRC2:TRAP_HANDLER: 0
; COMPUTE_PGM_RSRC2:TGID_X_EN: 1
; COMPUTE_PGM_RSRC2:TGID_Y_EN: 0
; COMPUTE_PGM_RSRC2:TGID_Z_EN: 0
; COMPUTE_PGM_RSRC2:TIDIG_COMP_CNT: 0
; COMPUTE_PGM_RSRC3_GFX90A:ACCUM_OFFSET: 0
; COMPUTE_PGM_RSRC3_GFX90A:TG_SPLIT: 0
	.section	.text._ZN7rocprim17ROCPRIM_400000_NS6detail17trampoline_kernelINS0_14default_configENS1_35radix_sort_onesweep_config_selectorIcNS0_10empty_typeEEEZNS1_34radix_sort_onesweep_global_offsetsIS3_Lb1EPcPS5_mNS0_19identity_decomposerEEE10hipError_tT1_T2_PT3_SE_jT4_jjP12ihipStream_tbEUlT_E_NS1_11comp_targetILNS1_3genE10ELNS1_11target_archE1201ELNS1_3gpuE5ELNS1_3repE0EEENS1_52radix_sort_onesweep_histogram_config_static_selectorELNS0_4arch9wavefront6targetE1EEEvSC_,"axG",@progbits,_ZN7rocprim17ROCPRIM_400000_NS6detail17trampoline_kernelINS0_14default_configENS1_35radix_sort_onesweep_config_selectorIcNS0_10empty_typeEEEZNS1_34radix_sort_onesweep_global_offsetsIS3_Lb1EPcPS5_mNS0_19identity_decomposerEEE10hipError_tT1_T2_PT3_SE_jT4_jjP12ihipStream_tbEUlT_E_NS1_11comp_targetILNS1_3genE10ELNS1_11target_archE1201ELNS1_3gpuE5ELNS1_3repE0EEENS1_52radix_sort_onesweep_histogram_config_static_selectorELNS0_4arch9wavefront6targetE1EEEvSC_,comdat
	.protected	_ZN7rocprim17ROCPRIM_400000_NS6detail17trampoline_kernelINS0_14default_configENS1_35radix_sort_onesweep_config_selectorIcNS0_10empty_typeEEEZNS1_34radix_sort_onesweep_global_offsetsIS3_Lb1EPcPS5_mNS0_19identity_decomposerEEE10hipError_tT1_T2_PT3_SE_jT4_jjP12ihipStream_tbEUlT_E_NS1_11comp_targetILNS1_3genE10ELNS1_11target_archE1201ELNS1_3gpuE5ELNS1_3repE0EEENS1_52radix_sort_onesweep_histogram_config_static_selectorELNS0_4arch9wavefront6targetE1EEEvSC_ ; -- Begin function _ZN7rocprim17ROCPRIM_400000_NS6detail17trampoline_kernelINS0_14default_configENS1_35radix_sort_onesweep_config_selectorIcNS0_10empty_typeEEEZNS1_34radix_sort_onesweep_global_offsetsIS3_Lb1EPcPS5_mNS0_19identity_decomposerEEE10hipError_tT1_T2_PT3_SE_jT4_jjP12ihipStream_tbEUlT_E_NS1_11comp_targetILNS1_3genE10ELNS1_11target_archE1201ELNS1_3gpuE5ELNS1_3repE0EEENS1_52radix_sort_onesweep_histogram_config_static_selectorELNS0_4arch9wavefront6targetE1EEEvSC_
	.globl	_ZN7rocprim17ROCPRIM_400000_NS6detail17trampoline_kernelINS0_14default_configENS1_35radix_sort_onesweep_config_selectorIcNS0_10empty_typeEEEZNS1_34radix_sort_onesweep_global_offsetsIS3_Lb1EPcPS5_mNS0_19identity_decomposerEEE10hipError_tT1_T2_PT3_SE_jT4_jjP12ihipStream_tbEUlT_E_NS1_11comp_targetILNS1_3genE10ELNS1_11target_archE1201ELNS1_3gpuE5ELNS1_3repE0EEENS1_52radix_sort_onesweep_histogram_config_static_selectorELNS0_4arch9wavefront6targetE1EEEvSC_
	.p2align	8
	.type	_ZN7rocprim17ROCPRIM_400000_NS6detail17trampoline_kernelINS0_14default_configENS1_35radix_sort_onesweep_config_selectorIcNS0_10empty_typeEEEZNS1_34radix_sort_onesweep_global_offsetsIS3_Lb1EPcPS5_mNS0_19identity_decomposerEEE10hipError_tT1_T2_PT3_SE_jT4_jjP12ihipStream_tbEUlT_E_NS1_11comp_targetILNS1_3genE10ELNS1_11target_archE1201ELNS1_3gpuE5ELNS1_3repE0EEENS1_52radix_sort_onesweep_histogram_config_static_selectorELNS0_4arch9wavefront6targetE1EEEvSC_,@function
_ZN7rocprim17ROCPRIM_400000_NS6detail17trampoline_kernelINS0_14default_configENS1_35radix_sort_onesweep_config_selectorIcNS0_10empty_typeEEEZNS1_34radix_sort_onesweep_global_offsetsIS3_Lb1EPcPS5_mNS0_19identity_decomposerEEE10hipError_tT1_T2_PT3_SE_jT4_jjP12ihipStream_tbEUlT_E_NS1_11comp_targetILNS1_3genE10ELNS1_11target_archE1201ELNS1_3gpuE5ELNS1_3repE0EEENS1_52radix_sort_onesweep_histogram_config_static_selectorELNS0_4arch9wavefront6targetE1EEEvSC_: ; @_ZN7rocprim17ROCPRIM_400000_NS6detail17trampoline_kernelINS0_14default_configENS1_35radix_sort_onesweep_config_selectorIcNS0_10empty_typeEEEZNS1_34radix_sort_onesweep_global_offsetsIS3_Lb1EPcPS5_mNS0_19identity_decomposerEEE10hipError_tT1_T2_PT3_SE_jT4_jjP12ihipStream_tbEUlT_E_NS1_11comp_targetILNS1_3genE10ELNS1_11target_archE1201ELNS1_3gpuE5ELNS1_3repE0EEENS1_52radix_sort_onesweep_histogram_config_static_selectorELNS0_4arch9wavefront6targetE1EEEvSC_
; %bb.0:
	.section	.rodata,"a",@progbits
	.p2align	6, 0x0
	.amdhsa_kernel _ZN7rocprim17ROCPRIM_400000_NS6detail17trampoline_kernelINS0_14default_configENS1_35radix_sort_onesweep_config_selectorIcNS0_10empty_typeEEEZNS1_34radix_sort_onesweep_global_offsetsIS3_Lb1EPcPS5_mNS0_19identity_decomposerEEE10hipError_tT1_T2_PT3_SE_jT4_jjP12ihipStream_tbEUlT_E_NS1_11comp_targetILNS1_3genE10ELNS1_11target_archE1201ELNS1_3gpuE5ELNS1_3repE0EEENS1_52radix_sort_onesweep_histogram_config_static_selectorELNS0_4arch9wavefront6targetE1EEEvSC_
		.amdhsa_group_segment_fixed_size 0
		.amdhsa_private_segment_fixed_size 0
		.amdhsa_kernarg_size 48
		.amdhsa_user_sgpr_count 6
		.amdhsa_user_sgpr_private_segment_buffer 1
		.amdhsa_user_sgpr_dispatch_ptr 0
		.amdhsa_user_sgpr_queue_ptr 0
		.amdhsa_user_sgpr_kernarg_segment_ptr 1
		.amdhsa_user_sgpr_dispatch_id 0
		.amdhsa_user_sgpr_flat_scratch_init 0
		.amdhsa_user_sgpr_kernarg_preload_length 0
		.amdhsa_user_sgpr_kernarg_preload_offset 0
		.amdhsa_user_sgpr_private_segment_size 0
		.amdhsa_uses_dynamic_stack 0
		.amdhsa_system_sgpr_private_segment_wavefront_offset 0
		.amdhsa_system_sgpr_workgroup_id_x 1
		.amdhsa_system_sgpr_workgroup_id_y 0
		.amdhsa_system_sgpr_workgroup_id_z 0
		.amdhsa_system_sgpr_workgroup_info 0
		.amdhsa_system_vgpr_workitem_id 0
		.amdhsa_next_free_vgpr 1
		.amdhsa_next_free_sgpr 0
		.amdhsa_accum_offset 4
		.amdhsa_reserve_vcc 0
		.amdhsa_reserve_flat_scratch 0
		.amdhsa_float_round_mode_32 0
		.amdhsa_float_round_mode_16_64 0
		.amdhsa_float_denorm_mode_32 3
		.amdhsa_float_denorm_mode_16_64 3
		.amdhsa_dx10_clamp 1
		.amdhsa_ieee_mode 1
		.amdhsa_fp16_overflow 0
		.amdhsa_tg_split 0
		.amdhsa_exception_fp_ieee_invalid_op 0
		.amdhsa_exception_fp_denorm_src 0
		.amdhsa_exception_fp_ieee_div_zero 0
		.amdhsa_exception_fp_ieee_overflow 0
		.amdhsa_exception_fp_ieee_underflow 0
		.amdhsa_exception_fp_ieee_inexact 0
		.amdhsa_exception_int_div_zero 0
	.end_amdhsa_kernel
	.section	.text._ZN7rocprim17ROCPRIM_400000_NS6detail17trampoline_kernelINS0_14default_configENS1_35radix_sort_onesweep_config_selectorIcNS0_10empty_typeEEEZNS1_34radix_sort_onesweep_global_offsetsIS3_Lb1EPcPS5_mNS0_19identity_decomposerEEE10hipError_tT1_T2_PT3_SE_jT4_jjP12ihipStream_tbEUlT_E_NS1_11comp_targetILNS1_3genE10ELNS1_11target_archE1201ELNS1_3gpuE5ELNS1_3repE0EEENS1_52radix_sort_onesweep_histogram_config_static_selectorELNS0_4arch9wavefront6targetE1EEEvSC_,"axG",@progbits,_ZN7rocprim17ROCPRIM_400000_NS6detail17trampoline_kernelINS0_14default_configENS1_35radix_sort_onesweep_config_selectorIcNS0_10empty_typeEEEZNS1_34radix_sort_onesweep_global_offsetsIS3_Lb1EPcPS5_mNS0_19identity_decomposerEEE10hipError_tT1_T2_PT3_SE_jT4_jjP12ihipStream_tbEUlT_E_NS1_11comp_targetILNS1_3genE10ELNS1_11target_archE1201ELNS1_3gpuE5ELNS1_3repE0EEENS1_52radix_sort_onesweep_histogram_config_static_selectorELNS0_4arch9wavefront6targetE1EEEvSC_,comdat
.Lfunc_end1535:
	.size	_ZN7rocprim17ROCPRIM_400000_NS6detail17trampoline_kernelINS0_14default_configENS1_35radix_sort_onesweep_config_selectorIcNS0_10empty_typeEEEZNS1_34radix_sort_onesweep_global_offsetsIS3_Lb1EPcPS5_mNS0_19identity_decomposerEEE10hipError_tT1_T2_PT3_SE_jT4_jjP12ihipStream_tbEUlT_E_NS1_11comp_targetILNS1_3genE10ELNS1_11target_archE1201ELNS1_3gpuE5ELNS1_3repE0EEENS1_52radix_sort_onesweep_histogram_config_static_selectorELNS0_4arch9wavefront6targetE1EEEvSC_, .Lfunc_end1535-_ZN7rocprim17ROCPRIM_400000_NS6detail17trampoline_kernelINS0_14default_configENS1_35radix_sort_onesweep_config_selectorIcNS0_10empty_typeEEEZNS1_34radix_sort_onesweep_global_offsetsIS3_Lb1EPcPS5_mNS0_19identity_decomposerEEE10hipError_tT1_T2_PT3_SE_jT4_jjP12ihipStream_tbEUlT_E_NS1_11comp_targetILNS1_3genE10ELNS1_11target_archE1201ELNS1_3gpuE5ELNS1_3repE0EEENS1_52radix_sort_onesweep_histogram_config_static_selectorELNS0_4arch9wavefront6targetE1EEEvSC_
                                        ; -- End function
	.section	.AMDGPU.csdata,"",@progbits
; Kernel info:
; codeLenInByte = 0
; NumSgprs: 4
; NumVgprs: 0
; NumAgprs: 0
; TotalNumVgprs: 0
; ScratchSize: 0
; MemoryBound: 0
; FloatMode: 240
; IeeeMode: 1
; LDSByteSize: 0 bytes/workgroup (compile time only)
; SGPRBlocks: 0
; VGPRBlocks: 0
; NumSGPRsForWavesPerEU: 4
; NumVGPRsForWavesPerEU: 1
; AccumOffset: 4
; Occupancy: 8
; WaveLimiterHint : 0
; COMPUTE_PGM_RSRC2:SCRATCH_EN: 0
; COMPUTE_PGM_RSRC2:USER_SGPR: 6
; COMPUTE_PGM_RSRC2:TRAP_HANDLER: 0
; COMPUTE_PGM_RSRC2:TGID_X_EN: 1
; COMPUTE_PGM_RSRC2:TGID_Y_EN: 0
; COMPUTE_PGM_RSRC2:TGID_Z_EN: 0
; COMPUTE_PGM_RSRC2:TIDIG_COMP_CNT: 0
; COMPUTE_PGM_RSRC3_GFX90A:ACCUM_OFFSET: 0
; COMPUTE_PGM_RSRC3_GFX90A:TG_SPLIT: 0
	.section	.text._ZN7rocprim17ROCPRIM_400000_NS6detail17trampoline_kernelINS0_14default_configENS1_35radix_sort_onesweep_config_selectorIcNS0_10empty_typeEEEZNS1_34radix_sort_onesweep_global_offsetsIS3_Lb1EPcPS5_mNS0_19identity_decomposerEEE10hipError_tT1_T2_PT3_SE_jT4_jjP12ihipStream_tbEUlT_E_NS1_11comp_targetILNS1_3genE9ELNS1_11target_archE1100ELNS1_3gpuE3ELNS1_3repE0EEENS1_52radix_sort_onesweep_histogram_config_static_selectorELNS0_4arch9wavefront6targetE1EEEvSC_,"axG",@progbits,_ZN7rocprim17ROCPRIM_400000_NS6detail17trampoline_kernelINS0_14default_configENS1_35radix_sort_onesweep_config_selectorIcNS0_10empty_typeEEEZNS1_34radix_sort_onesweep_global_offsetsIS3_Lb1EPcPS5_mNS0_19identity_decomposerEEE10hipError_tT1_T2_PT3_SE_jT4_jjP12ihipStream_tbEUlT_E_NS1_11comp_targetILNS1_3genE9ELNS1_11target_archE1100ELNS1_3gpuE3ELNS1_3repE0EEENS1_52radix_sort_onesweep_histogram_config_static_selectorELNS0_4arch9wavefront6targetE1EEEvSC_,comdat
	.protected	_ZN7rocprim17ROCPRIM_400000_NS6detail17trampoline_kernelINS0_14default_configENS1_35radix_sort_onesweep_config_selectorIcNS0_10empty_typeEEEZNS1_34radix_sort_onesweep_global_offsetsIS3_Lb1EPcPS5_mNS0_19identity_decomposerEEE10hipError_tT1_T2_PT3_SE_jT4_jjP12ihipStream_tbEUlT_E_NS1_11comp_targetILNS1_3genE9ELNS1_11target_archE1100ELNS1_3gpuE3ELNS1_3repE0EEENS1_52radix_sort_onesweep_histogram_config_static_selectorELNS0_4arch9wavefront6targetE1EEEvSC_ ; -- Begin function _ZN7rocprim17ROCPRIM_400000_NS6detail17trampoline_kernelINS0_14default_configENS1_35radix_sort_onesweep_config_selectorIcNS0_10empty_typeEEEZNS1_34radix_sort_onesweep_global_offsetsIS3_Lb1EPcPS5_mNS0_19identity_decomposerEEE10hipError_tT1_T2_PT3_SE_jT4_jjP12ihipStream_tbEUlT_E_NS1_11comp_targetILNS1_3genE9ELNS1_11target_archE1100ELNS1_3gpuE3ELNS1_3repE0EEENS1_52radix_sort_onesweep_histogram_config_static_selectorELNS0_4arch9wavefront6targetE1EEEvSC_
	.globl	_ZN7rocprim17ROCPRIM_400000_NS6detail17trampoline_kernelINS0_14default_configENS1_35radix_sort_onesweep_config_selectorIcNS0_10empty_typeEEEZNS1_34radix_sort_onesweep_global_offsetsIS3_Lb1EPcPS5_mNS0_19identity_decomposerEEE10hipError_tT1_T2_PT3_SE_jT4_jjP12ihipStream_tbEUlT_E_NS1_11comp_targetILNS1_3genE9ELNS1_11target_archE1100ELNS1_3gpuE3ELNS1_3repE0EEENS1_52radix_sort_onesweep_histogram_config_static_selectorELNS0_4arch9wavefront6targetE1EEEvSC_
	.p2align	8
	.type	_ZN7rocprim17ROCPRIM_400000_NS6detail17trampoline_kernelINS0_14default_configENS1_35radix_sort_onesweep_config_selectorIcNS0_10empty_typeEEEZNS1_34radix_sort_onesweep_global_offsetsIS3_Lb1EPcPS5_mNS0_19identity_decomposerEEE10hipError_tT1_T2_PT3_SE_jT4_jjP12ihipStream_tbEUlT_E_NS1_11comp_targetILNS1_3genE9ELNS1_11target_archE1100ELNS1_3gpuE3ELNS1_3repE0EEENS1_52radix_sort_onesweep_histogram_config_static_selectorELNS0_4arch9wavefront6targetE1EEEvSC_,@function
_ZN7rocprim17ROCPRIM_400000_NS6detail17trampoline_kernelINS0_14default_configENS1_35radix_sort_onesweep_config_selectorIcNS0_10empty_typeEEEZNS1_34radix_sort_onesweep_global_offsetsIS3_Lb1EPcPS5_mNS0_19identity_decomposerEEE10hipError_tT1_T2_PT3_SE_jT4_jjP12ihipStream_tbEUlT_E_NS1_11comp_targetILNS1_3genE9ELNS1_11target_archE1100ELNS1_3gpuE3ELNS1_3repE0EEENS1_52radix_sort_onesweep_histogram_config_static_selectorELNS0_4arch9wavefront6targetE1EEEvSC_: ; @_ZN7rocprim17ROCPRIM_400000_NS6detail17trampoline_kernelINS0_14default_configENS1_35radix_sort_onesweep_config_selectorIcNS0_10empty_typeEEEZNS1_34radix_sort_onesweep_global_offsetsIS3_Lb1EPcPS5_mNS0_19identity_decomposerEEE10hipError_tT1_T2_PT3_SE_jT4_jjP12ihipStream_tbEUlT_E_NS1_11comp_targetILNS1_3genE9ELNS1_11target_archE1100ELNS1_3gpuE3ELNS1_3repE0EEENS1_52radix_sort_onesweep_histogram_config_static_selectorELNS0_4arch9wavefront6targetE1EEEvSC_
; %bb.0:
	.section	.rodata,"a",@progbits
	.p2align	6, 0x0
	.amdhsa_kernel _ZN7rocprim17ROCPRIM_400000_NS6detail17trampoline_kernelINS0_14default_configENS1_35radix_sort_onesweep_config_selectorIcNS0_10empty_typeEEEZNS1_34radix_sort_onesweep_global_offsetsIS3_Lb1EPcPS5_mNS0_19identity_decomposerEEE10hipError_tT1_T2_PT3_SE_jT4_jjP12ihipStream_tbEUlT_E_NS1_11comp_targetILNS1_3genE9ELNS1_11target_archE1100ELNS1_3gpuE3ELNS1_3repE0EEENS1_52radix_sort_onesweep_histogram_config_static_selectorELNS0_4arch9wavefront6targetE1EEEvSC_
		.amdhsa_group_segment_fixed_size 0
		.amdhsa_private_segment_fixed_size 0
		.amdhsa_kernarg_size 48
		.amdhsa_user_sgpr_count 6
		.amdhsa_user_sgpr_private_segment_buffer 1
		.amdhsa_user_sgpr_dispatch_ptr 0
		.amdhsa_user_sgpr_queue_ptr 0
		.amdhsa_user_sgpr_kernarg_segment_ptr 1
		.amdhsa_user_sgpr_dispatch_id 0
		.amdhsa_user_sgpr_flat_scratch_init 0
		.amdhsa_user_sgpr_kernarg_preload_length 0
		.amdhsa_user_sgpr_kernarg_preload_offset 0
		.amdhsa_user_sgpr_private_segment_size 0
		.amdhsa_uses_dynamic_stack 0
		.amdhsa_system_sgpr_private_segment_wavefront_offset 0
		.amdhsa_system_sgpr_workgroup_id_x 1
		.amdhsa_system_sgpr_workgroup_id_y 0
		.amdhsa_system_sgpr_workgroup_id_z 0
		.amdhsa_system_sgpr_workgroup_info 0
		.amdhsa_system_vgpr_workitem_id 0
		.amdhsa_next_free_vgpr 1
		.amdhsa_next_free_sgpr 0
		.amdhsa_accum_offset 4
		.amdhsa_reserve_vcc 0
		.amdhsa_reserve_flat_scratch 0
		.amdhsa_float_round_mode_32 0
		.amdhsa_float_round_mode_16_64 0
		.amdhsa_float_denorm_mode_32 3
		.amdhsa_float_denorm_mode_16_64 3
		.amdhsa_dx10_clamp 1
		.amdhsa_ieee_mode 1
		.amdhsa_fp16_overflow 0
		.amdhsa_tg_split 0
		.amdhsa_exception_fp_ieee_invalid_op 0
		.amdhsa_exception_fp_denorm_src 0
		.amdhsa_exception_fp_ieee_div_zero 0
		.amdhsa_exception_fp_ieee_overflow 0
		.amdhsa_exception_fp_ieee_underflow 0
		.amdhsa_exception_fp_ieee_inexact 0
		.amdhsa_exception_int_div_zero 0
	.end_amdhsa_kernel
	.section	.text._ZN7rocprim17ROCPRIM_400000_NS6detail17trampoline_kernelINS0_14default_configENS1_35radix_sort_onesweep_config_selectorIcNS0_10empty_typeEEEZNS1_34radix_sort_onesweep_global_offsetsIS3_Lb1EPcPS5_mNS0_19identity_decomposerEEE10hipError_tT1_T2_PT3_SE_jT4_jjP12ihipStream_tbEUlT_E_NS1_11comp_targetILNS1_3genE9ELNS1_11target_archE1100ELNS1_3gpuE3ELNS1_3repE0EEENS1_52radix_sort_onesweep_histogram_config_static_selectorELNS0_4arch9wavefront6targetE1EEEvSC_,"axG",@progbits,_ZN7rocprim17ROCPRIM_400000_NS6detail17trampoline_kernelINS0_14default_configENS1_35radix_sort_onesweep_config_selectorIcNS0_10empty_typeEEEZNS1_34radix_sort_onesweep_global_offsetsIS3_Lb1EPcPS5_mNS0_19identity_decomposerEEE10hipError_tT1_T2_PT3_SE_jT4_jjP12ihipStream_tbEUlT_E_NS1_11comp_targetILNS1_3genE9ELNS1_11target_archE1100ELNS1_3gpuE3ELNS1_3repE0EEENS1_52radix_sort_onesweep_histogram_config_static_selectorELNS0_4arch9wavefront6targetE1EEEvSC_,comdat
.Lfunc_end1536:
	.size	_ZN7rocprim17ROCPRIM_400000_NS6detail17trampoline_kernelINS0_14default_configENS1_35radix_sort_onesweep_config_selectorIcNS0_10empty_typeEEEZNS1_34radix_sort_onesweep_global_offsetsIS3_Lb1EPcPS5_mNS0_19identity_decomposerEEE10hipError_tT1_T2_PT3_SE_jT4_jjP12ihipStream_tbEUlT_E_NS1_11comp_targetILNS1_3genE9ELNS1_11target_archE1100ELNS1_3gpuE3ELNS1_3repE0EEENS1_52radix_sort_onesweep_histogram_config_static_selectorELNS0_4arch9wavefront6targetE1EEEvSC_, .Lfunc_end1536-_ZN7rocprim17ROCPRIM_400000_NS6detail17trampoline_kernelINS0_14default_configENS1_35radix_sort_onesweep_config_selectorIcNS0_10empty_typeEEEZNS1_34radix_sort_onesweep_global_offsetsIS3_Lb1EPcPS5_mNS0_19identity_decomposerEEE10hipError_tT1_T2_PT3_SE_jT4_jjP12ihipStream_tbEUlT_E_NS1_11comp_targetILNS1_3genE9ELNS1_11target_archE1100ELNS1_3gpuE3ELNS1_3repE0EEENS1_52radix_sort_onesweep_histogram_config_static_selectorELNS0_4arch9wavefront6targetE1EEEvSC_
                                        ; -- End function
	.section	.AMDGPU.csdata,"",@progbits
; Kernel info:
; codeLenInByte = 0
; NumSgprs: 4
; NumVgprs: 0
; NumAgprs: 0
; TotalNumVgprs: 0
; ScratchSize: 0
; MemoryBound: 0
; FloatMode: 240
; IeeeMode: 1
; LDSByteSize: 0 bytes/workgroup (compile time only)
; SGPRBlocks: 0
; VGPRBlocks: 0
; NumSGPRsForWavesPerEU: 4
; NumVGPRsForWavesPerEU: 1
; AccumOffset: 4
; Occupancy: 8
; WaveLimiterHint : 0
; COMPUTE_PGM_RSRC2:SCRATCH_EN: 0
; COMPUTE_PGM_RSRC2:USER_SGPR: 6
; COMPUTE_PGM_RSRC2:TRAP_HANDLER: 0
; COMPUTE_PGM_RSRC2:TGID_X_EN: 1
; COMPUTE_PGM_RSRC2:TGID_Y_EN: 0
; COMPUTE_PGM_RSRC2:TGID_Z_EN: 0
; COMPUTE_PGM_RSRC2:TIDIG_COMP_CNT: 0
; COMPUTE_PGM_RSRC3_GFX90A:ACCUM_OFFSET: 0
; COMPUTE_PGM_RSRC3_GFX90A:TG_SPLIT: 0
	.section	.text._ZN7rocprim17ROCPRIM_400000_NS6detail17trampoline_kernelINS0_14default_configENS1_35radix_sort_onesweep_config_selectorIcNS0_10empty_typeEEEZNS1_34radix_sort_onesweep_global_offsetsIS3_Lb1EPcPS5_mNS0_19identity_decomposerEEE10hipError_tT1_T2_PT3_SE_jT4_jjP12ihipStream_tbEUlT_E_NS1_11comp_targetILNS1_3genE8ELNS1_11target_archE1030ELNS1_3gpuE2ELNS1_3repE0EEENS1_52radix_sort_onesweep_histogram_config_static_selectorELNS0_4arch9wavefront6targetE1EEEvSC_,"axG",@progbits,_ZN7rocprim17ROCPRIM_400000_NS6detail17trampoline_kernelINS0_14default_configENS1_35radix_sort_onesweep_config_selectorIcNS0_10empty_typeEEEZNS1_34radix_sort_onesweep_global_offsetsIS3_Lb1EPcPS5_mNS0_19identity_decomposerEEE10hipError_tT1_T2_PT3_SE_jT4_jjP12ihipStream_tbEUlT_E_NS1_11comp_targetILNS1_3genE8ELNS1_11target_archE1030ELNS1_3gpuE2ELNS1_3repE0EEENS1_52radix_sort_onesweep_histogram_config_static_selectorELNS0_4arch9wavefront6targetE1EEEvSC_,comdat
	.protected	_ZN7rocprim17ROCPRIM_400000_NS6detail17trampoline_kernelINS0_14default_configENS1_35radix_sort_onesweep_config_selectorIcNS0_10empty_typeEEEZNS1_34radix_sort_onesweep_global_offsetsIS3_Lb1EPcPS5_mNS0_19identity_decomposerEEE10hipError_tT1_T2_PT3_SE_jT4_jjP12ihipStream_tbEUlT_E_NS1_11comp_targetILNS1_3genE8ELNS1_11target_archE1030ELNS1_3gpuE2ELNS1_3repE0EEENS1_52radix_sort_onesweep_histogram_config_static_selectorELNS0_4arch9wavefront6targetE1EEEvSC_ ; -- Begin function _ZN7rocprim17ROCPRIM_400000_NS6detail17trampoline_kernelINS0_14default_configENS1_35radix_sort_onesweep_config_selectorIcNS0_10empty_typeEEEZNS1_34radix_sort_onesweep_global_offsetsIS3_Lb1EPcPS5_mNS0_19identity_decomposerEEE10hipError_tT1_T2_PT3_SE_jT4_jjP12ihipStream_tbEUlT_E_NS1_11comp_targetILNS1_3genE8ELNS1_11target_archE1030ELNS1_3gpuE2ELNS1_3repE0EEENS1_52radix_sort_onesweep_histogram_config_static_selectorELNS0_4arch9wavefront6targetE1EEEvSC_
	.globl	_ZN7rocprim17ROCPRIM_400000_NS6detail17trampoline_kernelINS0_14default_configENS1_35radix_sort_onesweep_config_selectorIcNS0_10empty_typeEEEZNS1_34radix_sort_onesweep_global_offsetsIS3_Lb1EPcPS5_mNS0_19identity_decomposerEEE10hipError_tT1_T2_PT3_SE_jT4_jjP12ihipStream_tbEUlT_E_NS1_11comp_targetILNS1_3genE8ELNS1_11target_archE1030ELNS1_3gpuE2ELNS1_3repE0EEENS1_52radix_sort_onesweep_histogram_config_static_selectorELNS0_4arch9wavefront6targetE1EEEvSC_
	.p2align	8
	.type	_ZN7rocprim17ROCPRIM_400000_NS6detail17trampoline_kernelINS0_14default_configENS1_35radix_sort_onesweep_config_selectorIcNS0_10empty_typeEEEZNS1_34radix_sort_onesweep_global_offsetsIS3_Lb1EPcPS5_mNS0_19identity_decomposerEEE10hipError_tT1_T2_PT3_SE_jT4_jjP12ihipStream_tbEUlT_E_NS1_11comp_targetILNS1_3genE8ELNS1_11target_archE1030ELNS1_3gpuE2ELNS1_3repE0EEENS1_52radix_sort_onesweep_histogram_config_static_selectorELNS0_4arch9wavefront6targetE1EEEvSC_,@function
_ZN7rocprim17ROCPRIM_400000_NS6detail17trampoline_kernelINS0_14default_configENS1_35radix_sort_onesweep_config_selectorIcNS0_10empty_typeEEEZNS1_34radix_sort_onesweep_global_offsetsIS3_Lb1EPcPS5_mNS0_19identity_decomposerEEE10hipError_tT1_T2_PT3_SE_jT4_jjP12ihipStream_tbEUlT_E_NS1_11comp_targetILNS1_3genE8ELNS1_11target_archE1030ELNS1_3gpuE2ELNS1_3repE0EEENS1_52radix_sort_onesweep_histogram_config_static_selectorELNS0_4arch9wavefront6targetE1EEEvSC_: ; @_ZN7rocprim17ROCPRIM_400000_NS6detail17trampoline_kernelINS0_14default_configENS1_35radix_sort_onesweep_config_selectorIcNS0_10empty_typeEEEZNS1_34radix_sort_onesweep_global_offsetsIS3_Lb1EPcPS5_mNS0_19identity_decomposerEEE10hipError_tT1_T2_PT3_SE_jT4_jjP12ihipStream_tbEUlT_E_NS1_11comp_targetILNS1_3genE8ELNS1_11target_archE1030ELNS1_3gpuE2ELNS1_3repE0EEENS1_52radix_sort_onesweep_histogram_config_static_selectorELNS0_4arch9wavefront6targetE1EEEvSC_
; %bb.0:
	.section	.rodata,"a",@progbits
	.p2align	6, 0x0
	.amdhsa_kernel _ZN7rocprim17ROCPRIM_400000_NS6detail17trampoline_kernelINS0_14default_configENS1_35radix_sort_onesweep_config_selectorIcNS0_10empty_typeEEEZNS1_34radix_sort_onesweep_global_offsetsIS3_Lb1EPcPS5_mNS0_19identity_decomposerEEE10hipError_tT1_T2_PT3_SE_jT4_jjP12ihipStream_tbEUlT_E_NS1_11comp_targetILNS1_3genE8ELNS1_11target_archE1030ELNS1_3gpuE2ELNS1_3repE0EEENS1_52radix_sort_onesweep_histogram_config_static_selectorELNS0_4arch9wavefront6targetE1EEEvSC_
		.amdhsa_group_segment_fixed_size 0
		.amdhsa_private_segment_fixed_size 0
		.amdhsa_kernarg_size 48
		.amdhsa_user_sgpr_count 6
		.amdhsa_user_sgpr_private_segment_buffer 1
		.amdhsa_user_sgpr_dispatch_ptr 0
		.amdhsa_user_sgpr_queue_ptr 0
		.amdhsa_user_sgpr_kernarg_segment_ptr 1
		.amdhsa_user_sgpr_dispatch_id 0
		.amdhsa_user_sgpr_flat_scratch_init 0
		.amdhsa_user_sgpr_kernarg_preload_length 0
		.amdhsa_user_sgpr_kernarg_preload_offset 0
		.amdhsa_user_sgpr_private_segment_size 0
		.amdhsa_uses_dynamic_stack 0
		.amdhsa_system_sgpr_private_segment_wavefront_offset 0
		.amdhsa_system_sgpr_workgroup_id_x 1
		.amdhsa_system_sgpr_workgroup_id_y 0
		.amdhsa_system_sgpr_workgroup_id_z 0
		.amdhsa_system_sgpr_workgroup_info 0
		.amdhsa_system_vgpr_workitem_id 0
		.amdhsa_next_free_vgpr 1
		.amdhsa_next_free_sgpr 0
		.amdhsa_accum_offset 4
		.amdhsa_reserve_vcc 0
		.amdhsa_reserve_flat_scratch 0
		.amdhsa_float_round_mode_32 0
		.amdhsa_float_round_mode_16_64 0
		.amdhsa_float_denorm_mode_32 3
		.amdhsa_float_denorm_mode_16_64 3
		.amdhsa_dx10_clamp 1
		.amdhsa_ieee_mode 1
		.amdhsa_fp16_overflow 0
		.amdhsa_tg_split 0
		.amdhsa_exception_fp_ieee_invalid_op 0
		.amdhsa_exception_fp_denorm_src 0
		.amdhsa_exception_fp_ieee_div_zero 0
		.amdhsa_exception_fp_ieee_overflow 0
		.amdhsa_exception_fp_ieee_underflow 0
		.amdhsa_exception_fp_ieee_inexact 0
		.amdhsa_exception_int_div_zero 0
	.end_amdhsa_kernel
	.section	.text._ZN7rocprim17ROCPRIM_400000_NS6detail17trampoline_kernelINS0_14default_configENS1_35radix_sort_onesweep_config_selectorIcNS0_10empty_typeEEEZNS1_34radix_sort_onesweep_global_offsetsIS3_Lb1EPcPS5_mNS0_19identity_decomposerEEE10hipError_tT1_T2_PT3_SE_jT4_jjP12ihipStream_tbEUlT_E_NS1_11comp_targetILNS1_3genE8ELNS1_11target_archE1030ELNS1_3gpuE2ELNS1_3repE0EEENS1_52radix_sort_onesweep_histogram_config_static_selectorELNS0_4arch9wavefront6targetE1EEEvSC_,"axG",@progbits,_ZN7rocprim17ROCPRIM_400000_NS6detail17trampoline_kernelINS0_14default_configENS1_35radix_sort_onesweep_config_selectorIcNS0_10empty_typeEEEZNS1_34radix_sort_onesweep_global_offsetsIS3_Lb1EPcPS5_mNS0_19identity_decomposerEEE10hipError_tT1_T2_PT3_SE_jT4_jjP12ihipStream_tbEUlT_E_NS1_11comp_targetILNS1_3genE8ELNS1_11target_archE1030ELNS1_3gpuE2ELNS1_3repE0EEENS1_52radix_sort_onesweep_histogram_config_static_selectorELNS0_4arch9wavefront6targetE1EEEvSC_,comdat
.Lfunc_end1537:
	.size	_ZN7rocprim17ROCPRIM_400000_NS6detail17trampoline_kernelINS0_14default_configENS1_35radix_sort_onesweep_config_selectorIcNS0_10empty_typeEEEZNS1_34radix_sort_onesweep_global_offsetsIS3_Lb1EPcPS5_mNS0_19identity_decomposerEEE10hipError_tT1_T2_PT3_SE_jT4_jjP12ihipStream_tbEUlT_E_NS1_11comp_targetILNS1_3genE8ELNS1_11target_archE1030ELNS1_3gpuE2ELNS1_3repE0EEENS1_52radix_sort_onesweep_histogram_config_static_selectorELNS0_4arch9wavefront6targetE1EEEvSC_, .Lfunc_end1537-_ZN7rocprim17ROCPRIM_400000_NS6detail17trampoline_kernelINS0_14default_configENS1_35radix_sort_onesweep_config_selectorIcNS0_10empty_typeEEEZNS1_34radix_sort_onesweep_global_offsetsIS3_Lb1EPcPS5_mNS0_19identity_decomposerEEE10hipError_tT1_T2_PT3_SE_jT4_jjP12ihipStream_tbEUlT_E_NS1_11comp_targetILNS1_3genE8ELNS1_11target_archE1030ELNS1_3gpuE2ELNS1_3repE0EEENS1_52radix_sort_onesweep_histogram_config_static_selectorELNS0_4arch9wavefront6targetE1EEEvSC_
                                        ; -- End function
	.section	.AMDGPU.csdata,"",@progbits
; Kernel info:
; codeLenInByte = 0
; NumSgprs: 4
; NumVgprs: 0
; NumAgprs: 0
; TotalNumVgprs: 0
; ScratchSize: 0
; MemoryBound: 0
; FloatMode: 240
; IeeeMode: 1
; LDSByteSize: 0 bytes/workgroup (compile time only)
; SGPRBlocks: 0
; VGPRBlocks: 0
; NumSGPRsForWavesPerEU: 4
; NumVGPRsForWavesPerEU: 1
; AccumOffset: 4
; Occupancy: 8
; WaveLimiterHint : 0
; COMPUTE_PGM_RSRC2:SCRATCH_EN: 0
; COMPUTE_PGM_RSRC2:USER_SGPR: 6
; COMPUTE_PGM_RSRC2:TRAP_HANDLER: 0
; COMPUTE_PGM_RSRC2:TGID_X_EN: 1
; COMPUTE_PGM_RSRC2:TGID_Y_EN: 0
; COMPUTE_PGM_RSRC2:TGID_Z_EN: 0
; COMPUTE_PGM_RSRC2:TIDIG_COMP_CNT: 0
; COMPUTE_PGM_RSRC3_GFX90A:ACCUM_OFFSET: 0
; COMPUTE_PGM_RSRC3_GFX90A:TG_SPLIT: 0
	.section	.text._ZN7rocprim17ROCPRIM_400000_NS6detail17trampoline_kernelINS0_14default_configENS1_35radix_sort_onesweep_config_selectorIcNS0_10empty_typeEEEZNS1_34radix_sort_onesweep_global_offsetsIS3_Lb1EPcPS5_mNS0_19identity_decomposerEEE10hipError_tT1_T2_PT3_SE_jT4_jjP12ihipStream_tbEUlT_E0_NS1_11comp_targetILNS1_3genE0ELNS1_11target_archE4294967295ELNS1_3gpuE0ELNS1_3repE0EEENS1_52radix_sort_onesweep_histogram_config_static_selectorELNS0_4arch9wavefront6targetE1EEEvSC_,"axG",@progbits,_ZN7rocprim17ROCPRIM_400000_NS6detail17trampoline_kernelINS0_14default_configENS1_35radix_sort_onesweep_config_selectorIcNS0_10empty_typeEEEZNS1_34radix_sort_onesweep_global_offsetsIS3_Lb1EPcPS5_mNS0_19identity_decomposerEEE10hipError_tT1_T2_PT3_SE_jT4_jjP12ihipStream_tbEUlT_E0_NS1_11comp_targetILNS1_3genE0ELNS1_11target_archE4294967295ELNS1_3gpuE0ELNS1_3repE0EEENS1_52radix_sort_onesweep_histogram_config_static_selectorELNS0_4arch9wavefront6targetE1EEEvSC_,comdat
	.protected	_ZN7rocprim17ROCPRIM_400000_NS6detail17trampoline_kernelINS0_14default_configENS1_35radix_sort_onesweep_config_selectorIcNS0_10empty_typeEEEZNS1_34radix_sort_onesweep_global_offsetsIS3_Lb1EPcPS5_mNS0_19identity_decomposerEEE10hipError_tT1_T2_PT3_SE_jT4_jjP12ihipStream_tbEUlT_E0_NS1_11comp_targetILNS1_3genE0ELNS1_11target_archE4294967295ELNS1_3gpuE0ELNS1_3repE0EEENS1_52radix_sort_onesweep_histogram_config_static_selectorELNS0_4arch9wavefront6targetE1EEEvSC_ ; -- Begin function _ZN7rocprim17ROCPRIM_400000_NS6detail17trampoline_kernelINS0_14default_configENS1_35radix_sort_onesweep_config_selectorIcNS0_10empty_typeEEEZNS1_34radix_sort_onesweep_global_offsetsIS3_Lb1EPcPS5_mNS0_19identity_decomposerEEE10hipError_tT1_T2_PT3_SE_jT4_jjP12ihipStream_tbEUlT_E0_NS1_11comp_targetILNS1_3genE0ELNS1_11target_archE4294967295ELNS1_3gpuE0ELNS1_3repE0EEENS1_52radix_sort_onesweep_histogram_config_static_selectorELNS0_4arch9wavefront6targetE1EEEvSC_
	.globl	_ZN7rocprim17ROCPRIM_400000_NS6detail17trampoline_kernelINS0_14default_configENS1_35radix_sort_onesweep_config_selectorIcNS0_10empty_typeEEEZNS1_34radix_sort_onesweep_global_offsetsIS3_Lb1EPcPS5_mNS0_19identity_decomposerEEE10hipError_tT1_T2_PT3_SE_jT4_jjP12ihipStream_tbEUlT_E0_NS1_11comp_targetILNS1_3genE0ELNS1_11target_archE4294967295ELNS1_3gpuE0ELNS1_3repE0EEENS1_52radix_sort_onesweep_histogram_config_static_selectorELNS0_4arch9wavefront6targetE1EEEvSC_
	.p2align	8
	.type	_ZN7rocprim17ROCPRIM_400000_NS6detail17trampoline_kernelINS0_14default_configENS1_35radix_sort_onesweep_config_selectorIcNS0_10empty_typeEEEZNS1_34radix_sort_onesweep_global_offsetsIS3_Lb1EPcPS5_mNS0_19identity_decomposerEEE10hipError_tT1_T2_PT3_SE_jT4_jjP12ihipStream_tbEUlT_E0_NS1_11comp_targetILNS1_3genE0ELNS1_11target_archE4294967295ELNS1_3gpuE0ELNS1_3repE0EEENS1_52radix_sort_onesweep_histogram_config_static_selectorELNS0_4arch9wavefront6targetE1EEEvSC_,@function
_ZN7rocprim17ROCPRIM_400000_NS6detail17trampoline_kernelINS0_14default_configENS1_35radix_sort_onesweep_config_selectorIcNS0_10empty_typeEEEZNS1_34radix_sort_onesweep_global_offsetsIS3_Lb1EPcPS5_mNS0_19identity_decomposerEEE10hipError_tT1_T2_PT3_SE_jT4_jjP12ihipStream_tbEUlT_E0_NS1_11comp_targetILNS1_3genE0ELNS1_11target_archE4294967295ELNS1_3gpuE0ELNS1_3repE0EEENS1_52radix_sort_onesweep_histogram_config_static_selectorELNS0_4arch9wavefront6targetE1EEEvSC_: ; @_ZN7rocprim17ROCPRIM_400000_NS6detail17trampoline_kernelINS0_14default_configENS1_35radix_sort_onesweep_config_selectorIcNS0_10empty_typeEEEZNS1_34radix_sort_onesweep_global_offsetsIS3_Lb1EPcPS5_mNS0_19identity_decomposerEEE10hipError_tT1_T2_PT3_SE_jT4_jjP12ihipStream_tbEUlT_E0_NS1_11comp_targetILNS1_3genE0ELNS1_11target_archE4294967295ELNS1_3gpuE0ELNS1_3repE0EEENS1_52radix_sort_onesweep_histogram_config_static_selectorELNS0_4arch9wavefront6targetE1EEEvSC_
; %bb.0:
	.section	.rodata,"a",@progbits
	.p2align	6, 0x0
	.amdhsa_kernel _ZN7rocprim17ROCPRIM_400000_NS6detail17trampoline_kernelINS0_14default_configENS1_35radix_sort_onesweep_config_selectorIcNS0_10empty_typeEEEZNS1_34radix_sort_onesweep_global_offsetsIS3_Lb1EPcPS5_mNS0_19identity_decomposerEEE10hipError_tT1_T2_PT3_SE_jT4_jjP12ihipStream_tbEUlT_E0_NS1_11comp_targetILNS1_3genE0ELNS1_11target_archE4294967295ELNS1_3gpuE0ELNS1_3repE0EEENS1_52radix_sort_onesweep_histogram_config_static_selectorELNS0_4arch9wavefront6targetE1EEEvSC_
		.amdhsa_group_segment_fixed_size 0
		.amdhsa_private_segment_fixed_size 0
		.amdhsa_kernarg_size 8
		.amdhsa_user_sgpr_count 6
		.amdhsa_user_sgpr_private_segment_buffer 1
		.amdhsa_user_sgpr_dispatch_ptr 0
		.amdhsa_user_sgpr_queue_ptr 0
		.amdhsa_user_sgpr_kernarg_segment_ptr 1
		.amdhsa_user_sgpr_dispatch_id 0
		.amdhsa_user_sgpr_flat_scratch_init 0
		.amdhsa_user_sgpr_kernarg_preload_length 0
		.amdhsa_user_sgpr_kernarg_preload_offset 0
		.amdhsa_user_sgpr_private_segment_size 0
		.amdhsa_uses_dynamic_stack 0
		.amdhsa_system_sgpr_private_segment_wavefront_offset 0
		.amdhsa_system_sgpr_workgroup_id_x 1
		.amdhsa_system_sgpr_workgroup_id_y 0
		.amdhsa_system_sgpr_workgroup_id_z 0
		.amdhsa_system_sgpr_workgroup_info 0
		.amdhsa_system_vgpr_workitem_id 0
		.amdhsa_next_free_vgpr 1
		.amdhsa_next_free_sgpr 0
		.amdhsa_accum_offset 4
		.amdhsa_reserve_vcc 0
		.amdhsa_reserve_flat_scratch 0
		.amdhsa_float_round_mode_32 0
		.amdhsa_float_round_mode_16_64 0
		.amdhsa_float_denorm_mode_32 3
		.amdhsa_float_denorm_mode_16_64 3
		.amdhsa_dx10_clamp 1
		.amdhsa_ieee_mode 1
		.amdhsa_fp16_overflow 0
		.amdhsa_tg_split 0
		.amdhsa_exception_fp_ieee_invalid_op 0
		.amdhsa_exception_fp_denorm_src 0
		.amdhsa_exception_fp_ieee_div_zero 0
		.amdhsa_exception_fp_ieee_overflow 0
		.amdhsa_exception_fp_ieee_underflow 0
		.amdhsa_exception_fp_ieee_inexact 0
		.amdhsa_exception_int_div_zero 0
	.end_amdhsa_kernel
	.section	.text._ZN7rocprim17ROCPRIM_400000_NS6detail17trampoline_kernelINS0_14default_configENS1_35radix_sort_onesweep_config_selectorIcNS0_10empty_typeEEEZNS1_34radix_sort_onesweep_global_offsetsIS3_Lb1EPcPS5_mNS0_19identity_decomposerEEE10hipError_tT1_T2_PT3_SE_jT4_jjP12ihipStream_tbEUlT_E0_NS1_11comp_targetILNS1_3genE0ELNS1_11target_archE4294967295ELNS1_3gpuE0ELNS1_3repE0EEENS1_52radix_sort_onesweep_histogram_config_static_selectorELNS0_4arch9wavefront6targetE1EEEvSC_,"axG",@progbits,_ZN7rocprim17ROCPRIM_400000_NS6detail17trampoline_kernelINS0_14default_configENS1_35radix_sort_onesweep_config_selectorIcNS0_10empty_typeEEEZNS1_34radix_sort_onesweep_global_offsetsIS3_Lb1EPcPS5_mNS0_19identity_decomposerEEE10hipError_tT1_T2_PT3_SE_jT4_jjP12ihipStream_tbEUlT_E0_NS1_11comp_targetILNS1_3genE0ELNS1_11target_archE4294967295ELNS1_3gpuE0ELNS1_3repE0EEENS1_52radix_sort_onesweep_histogram_config_static_selectorELNS0_4arch9wavefront6targetE1EEEvSC_,comdat
.Lfunc_end1538:
	.size	_ZN7rocprim17ROCPRIM_400000_NS6detail17trampoline_kernelINS0_14default_configENS1_35radix_sort_onesweep_config_selectorIcNS0_10empty_typeEEEZNS1_34radix_sort_onesweep_global_offsetsIS3_Lb1EPcPS5_mNS0_19identity_decomposerEEE10hipError_tT1_T2_PT3_SE_jT4_jjP12ihipStream_tbEUlT_E0_NS1_11comp_targetILNS1_3genE0ELNS1_11target_archE4294967295ELNS1_3gpuE0ELNS1_3repE0EEENS1_52radix_sort_onesweep_histogram_config_static_selectorELNS0_4arch9wavefront6targetE1EEEvSC_, .Lfunc_end1538-_ZN7rocprim17ROCPRIM_400000_NS6detail17trampoline_kernelINS0_14default_configENS1_35radix_sort_onesweep_config_selectorIcNS0_10empty_typeEEEZNS1_34radix_sort_onesweep_global_offsetsIS3_Lb1EPcPS5_mNS0_19identity_decomposerEEE10hipError_tT1_T2_PT3_SE_jT4_jjP12ihipStream_tbEUlT_E0_NS1_11comp_targetILNS1_3genE0ELNS1_11target_archE4294967295ELNS1_3gpuE0ELNS1_3repE0EEENS1_52radix_sort_onesweep_histogram_config_static_selectorELNS0_4arch9wavefront6targetE1EEEvSC_
                                        ; -- End function
	.section	.AMDGPU.csdata,"",@progbits
; Kernel info:
; codeLenInByte = 0
; NumSgprs: 4
; NumVgprs: 0
; NumAgprs: 0
; TotalNumVgprs: 0
; ScratchSize: 0
; MemoryBound: 0
; FloatMode: 240
; IeeeMode: 1
; LDSByteSize: 0 bytes/workgroup (compile time only)
; SGPRBlocks: 0
; VGPRBlocks: 0
; NumSGPRsForWavesPerEU: 4
; NumVGPRsForWavesPerEU: 1
; AccumOffset: 4
; Occupancy: 8
; WaveLimiterHint : 0
; COMPUTE_PGM_RSRC2:SCRATCH_EN: 0
; COMPUTE_PGM_RSRC2:USER_SGPR: 6
; COMPUTE_PGM_RSRC2:TRAP_HANDLER: 0
; COMPUTE_PGM_RSRC2:TGID_X_EN: 1
; COMPUTE_PGM_RSRC2:TGID_Y_EN: 0
; COMPUTE_PGM_RSRC2:TGID_Z_EN: 0
; COMPUTE_PGM_RSRC2:TIDIG_COMP_CNT: 0
; COMPUTE_PGM_RSRC3_GFX90A:ACCUM_OFFSET: 0
; COMPUTE_PGM_RSRC3_GFX90A:TG_SPLIT: 0
	.section	.text._ZN7rocprim17ROCPRIM_400000_NS6detail17trampoline_kernelINS0_14default_configENS1_35radix_sort_onesweep_config_selectorIcNS0_10empty_typeEEEZNS1_34radix_sort_onesweep_global_offsetsIS3_Lb1EPcPS5_mNS0_19identity_decomposerEEE10hipError_tT1_T2_PT3_SE_jT4_jjP12ihipStream_tbEUlT_E0_NS1_11comp_targetILNS1_3genE6ELNS1_11target_archE950ELNS1_3gpuE13ELNS1_3repE0EEENS1_52radix_sort_onesweep_histogram_config_static_selectorELNS0_4arch9wavefront6targetE1EEEvSC_,"axG",@progbits,_ZN7rocprim17ROCPRIM_400000_NS6detail17trampoline_kernelINS0_14default_configENS1_35radix_sort_onesweep_config_selectorIcNS0_10empty_typeEEEZNS1_34radix_sort_onesweep_global_offsetsIS3_Lb1EPcPS5_mNS0_19identity_decomposerEEE10hipError_tT1_T2_PT3_SE_jT4_jjP12ihipStream_tbEUlT_E0_NS1_11comp_targetILNS1_3genE6ELNS1_11target_archE950ELNS1_3gpuE13ELNS1_3repE0EEENS1_52radix_sort_onesweep_histogram_config_static_selectorELNS0_4arch9wavefront6targetE1EEEvSC_,comdat
	.protected	_ZN7rocprim17ROCPRIM_400000_NS6detail17trampoline_kernelINS0_14default_configENS1_35radix_sort_onesweep_config_selectorIcNS0_10empty_typeEEEZNS1_34radix_sort_onesweep_global_offsetsIS3_Lb1EPcPS5_mNS0_19identity_decomposerEEE10hipError_tT1_T2_PT3_SE_jT4_jjP12ihipStream_tbEUlT_E0_NS1_11comp_targetILNS1_3genE6ELNS1_11target_archE950ELNS1_3gpuE13ELNS1_3repE0EEENS1_52radix_sort_onesweep_histogram_config_static_selectorELNS0_4arch9wavefront6targetE1EEEvSC_ ; -- Begin function _ZN7rocprim17ROCPRIM_400000_NS6detail17trampoline_kernelINS0_14default_configENS1_35radix_sort_onesweep_config_selectorIcNS0_10empty_typeEEEZNS1_34radix_sort_onesweep_global_offsetsIS3_Lb1EPcPS5_mNS0_19identity_decomposerEEE10hipError_tT1_T2_PT3_SE_jT4_jjP12ihipStream_tbEUlT_E0_NS1_11comp_targetILNS1_3genE6ELNS1_11target_archE950ELNS1_3gpuE13ELNS1_3repE0EEENS1_52radix_sort_onesweep_histogram_config_static_selectorELNS0_4arch9wavefront6targetE1EEEvSC_
	.globl	_ZN7rocprim17ROCPRIM_400000_NS6detail17trampoline_kernelINS0_14default_configENS1_35radix_sort_onesweep_config_selectorIcNS0_10empty_typeEEEZNS1_34radix_sort_onesweep_global_offsetsIS3_Lb1EPcPS5_mNS0_19identity_decomposerEEE10hipError_tT1_T2_PT3_SE_jT4_jjP12ihipStream_tbEUlT_E0_NS1_11comp_targetILNS1_3genE6ELNS1_11target_archE950ELNS1_3gpuE13ELNS1_3repE0EEENS1_52radix_sort_onesweep_histogram_config_static_selectorELNS0_4arch9wavefront6targetE1EEEvSC_
	.p2align	8
	.type	_ZN7rocprim17ROCPRIM_400000_NS6detail17trampoline_kernelINS0_14default_configENS1_35radix_sort_onesweep_config_selectorIcNS0_10empty_typeEEEZNS1_34radix_sort_onesweep_global_offsetsIS3_Lb1EPcPS5_mNS0_19identity_decomposerEEE10hipError_tT1_T2_PT3_SE_jT4_jjP12ihipStream_tbEUlT_E0_NS1_11comp_targetILNS1_3genE6ELNS1_11target_archE950ELNS1_3gpuE13ELNS1_3repE0EEENS1_52radix_sort_onesweep_histogram_config_static_selectorELNS0_4arch9wavefront6targetE1EEEvSC_,@function
_ZN7rocprim17ROCPRIM_400000_NS6detail17trampoline_kernelINS0_14default_configENS1_35radix_sort_onesweep_config_selectorIcNS0_10empty_typeEEEZNS1_34radix_sort_onesweep_global_offsetsIS3_Lb1EPcPS5_mNS0_19identity_decomposerEEE10hipError_tT1_T2_PT3_SE_jT4_jjP12ihipStream_tbEUlT_E0_NS1_11comp_targetILNS1_3genE6ELNS1_11target_archE950ELNS1_3gpuE13ELNS1_3repE0EEENS1_52radix_sort_onesweep_histogram_config_static_selectorELNS0_4arch9wavefront6targetE1EEEvSC_: ; @_ZN7rocprim17ROCPRIM_400000_NS6detail17trampoline_kernelINS0_14default_configENS1_35radix_sort_onesweep_config_selectorIcNS0_10empty_typeEEEZNS1_34radix_sort_onesweep_global_offsetsIS3_Lb1EPcPS5_mNS0_19identity_decomposerEEE10hipError_tT1_T2_PT3_SE_jT4_jjP12ihipStream_tbEUlT_E0_NS1_11comp_targetILNS1_3genE6ELNS1_11target_archE950ELNS1_3gpuE13ELNS1_3repE0EEENS1_52radix_sort_onesweep_histogram_config_static_selectorELNS0_4arch9wavefront6targetE1EEEvSC_
; %bb.0:
	.section	.rodata,"a",@progbits
	.p2align	6, 0x0
	.amdhsa_kernel _ZN7rocprim17ROCPRIM_400000_NS6detail17trampoline_kernelINS0_14default_configENS1_35radix_sort_onesweep_config_selectorIcNS0_10empty_typeEEEZNS1_34radix_sort_onesweep_global_offsetsIS3_Lb1EPcPS5_mNS0_19identity_decomposerEEE10hipError_tT1_T2_PT3_SE_jT4_jjP12ihipStream_tbEUlT_E0_NS1_11comp_targetILNS1_3genE6ELNS1_11target_archE950ELNS1_3gpuE13ELNS1_3repE0EEENS1_52radix_sort_onesweep_histogram_config_static_selectorELNS0_4arch9wavefront6targetE1EEEvSC_
		.amdhsa_group_segment_fixed_size 0
		.amdhsa_private_segment_fixed_size 0
		.amdhsa_kernarg_size 8
		.amdhsa_user_sgpr_count 6
		.amdhsa_user_sgpr_private_segment_buffer 1
		.amdhsa_user_sgpr_dispatch_ptr 0
		.amdhsa_user_sgpr_queue_ptr 0
		.amdhsa_user_sgpr_kernarg_segment_ptr 1
		.amdhsa_user_sgpr_dispatch_id 0
		.amdhsa_user_sgpr_flat_scratch_init 0
		.amdhsa_user_sgpr_kernarg_preload_length 0
		.amdhsa_user_sgpr_kernarg_preload_offset 0
		.amdhsa_user_sgpr_private_segment_size 0
		.amdhsa_uses_dynamic_stack 0
		.amdhsa_system_sgpr_private_segment_wavefront_offset 0
		.amdhsa_system_sgpr_workgroup_id_x 1
		.amdhsa_system_sgpr_workgroup_id_y 0
		.amdhsa_system_sgpr_workgroup_id_z 0
		.amdhsa_system_sgpr_workgroup_info 0
		.amdhsa_system_vgpr_workitem_id 0
		.amdhsa_next_free_vgpr 1
		.amdhsa_next_free_sgpr 0
		.amdhsa_accum_offset 4
		.amdhsa_reserve_vcc 0
		.amdhsa_reserve_flat_scratch 0
		.amdhsa_float_round_mode_32 0
		.amdhsa_float_round_mode_16_64 0
		.amdhsa_float_denorm_mode_32 3
		.amdhsa_float_denorm_mode_16_64 3
		.amdhsa_dx10_clamp 1
		.amdhsa_ieee_mode 1
		.amdhsa_fp16_overflow 0
		.amdhsa_tg_split 0
		.amdhsa_exception_fp_ieee_invalid_op 0
		.amdhsa_exception_fp_denorm_src 0
		.amdhsa_exception_fp_ieee_div_zero 0
		.amdhsa_exception_fp_ieee_overflow 0
		.amdhsa_exception_fp_ieee_underflow 0
		.amdhsa_exception_fp_ieee_inexact 0
		.amdhsa_exception_int_div_zero 0
	.end_amdhsa_kernel
	.section	.text._ZN7rocprim17ROCPRIM_400000_NS6detail17trampoline_kernelINS0_14default_configENS1_35radix_sort_onesweep_config_selectorIcNS0_10empty_typeEEEZNS1_34radix_sort_onesweep_global_offsetsIS3_Lb1EPcPS5_mNS0_19identity_decomposerEEE10hipError_tT1_T2_PT3_SE_jT4_jjP12ihipStream_tbEUlT_E0_NS1_11comp_targetILNS1_3genE6ELNS1_11target_archE950ELNS1_3gpuE13ELNS1_3repE0EEENS1_52radix_sort_onesweep_histogram_config_static_selectorELNS0_4arch9wavefront6targetE1EEEvSC_,"axG",@progbits,_ZN7rocprim17ROCPRIM_400000_NS6detail17trampoline_kernelINS0_14default_configENS1_35radix_sort_onesweep_config_selectorIcNS0_10empty_typeEEEZNS1_34radix_sort_onesweep_global_offsetsIS3_Lb1EPcPS5_mNS0_19identity_decomposerEEE10hipError_tT1_T2_PT3_SE_jT4_jjP12ihipStream_tbEUlT_E0_NS1_11comp_targetILNS1_3genE6ELNS1_11target_archE950ELNS1_3gpuE13ELNS1_3repE0EEENS1_52radix_sort_onesweep_histogram_config_static_selectorELNS0_4arch9wavefront6targetE1EEEvSC_,comdat
.Lfunc_end1539:
	.size	_ZN7rocprim17ROCPRIM_400000_NS6detail17trampoline_kernelINS0_14default_configENS1_35radix_sort_onesweep_config_selectorIcNS0_10empty_typeEEEZNS1_34radix_sort_onesweep_global_offsetsIS3_Lb1EPcPS5_mNS0_19identity_decomposerEEE10hipError_tT1_T2_PT3_SE_jT4_jjP12ihipStream_tbEUlT_E0_NS1_11comp_targetILNS1_3genE6ELNS1_11target_archE950ELNS1_3gpuE13ELNS1_3repE0EEENS1_52radix_sort_onesweep_histogram_config_static_selectorELNS0_4arch9wavefront6targetE1EEEvSC_, .Lfunc_end1539-_ZN7rocprim17ROCPRIM_400000_NS6detail17trampoline_kernelINS0_14default_configENS1_35radix_sort_onesweep_config_selectorIcNS0_10empty_typeEEEZNS1_34radix_sort_onesweep_global_offsetsIS3_Lb1EPcPS5_mNS0_19identity_decomposerEEE10hipError_tT1_T2_PT3_SE_jT4_jjP12ihipStream_tbEUlT_E0_NS1_11comp_targetILNS1_3genE6ELNS1_11target_archE950ELNS1_3gpuE13ELNS1_3repE0EEENS1_52radix_sort_onesweep_histogram_config_static_selectorELNS0_4arch9wavefront6targetE1EEEvSC_
                                        ; -- End function
	.section	.AMDGPU.csdata,"",@progbits
; Kernel info:
; codeLenInByte = 0
; NumSgprs: 4
; NumVgprs: 0
; NumAgprs: 0
; TotalNumVgprs: 0
; ScratchSize: 0
; MemoryBound: 0
; FloatMode: 240
; IeeeMode: 1
; LDSByteSize: 0 bytes/workgroup (compile time only)
; SGPRBlocks: 0
; VGPRBlocks: 0
; NumSGPRsForWavesPerEU: 4
; NumVGPRsForWavesPerEU: 1
; AccumOffset: 4
; Occupancy: 8
; WaveLimiterHint : 0
; COMPUTE_PGM_RSRC2:SCRATCH_EN: 0
; COMPUTE_PGM_RSRC2:USER_SGPR: 6
; COMPUTE_PGM_RSRC2:TRAP_HANDLER: 0
; COMPUTE_PGM_RSRC2:TGID_X_EN: 1
; COMPUTE_PGM_RSRC2:TGID_Y_EN: 0
; COMPUTE_PGM_RSRC2:TGID_Z_EN: 0
; COMPUTE_PGM_RSRC2:TIDIG_COMP_CNT: 0
; COMPUTE_PGM_RSRC3_GFX90A:ACCUM_OFFSET: 0
; COMPUTE_PGM_RSRC3_GFX90A:TG_SPLIT: 0
	.section	.text._ZN7rocprim17ROCPRIM_400000_NS6detail17trampoline_kernelINS0_14default_configENS1_35radix_sort_onesweep_config_selectorIcNS0_10empty_typeEEEZNS1_34radix_sort_onesweep_global_offsetsIS3_Lb1EPcPS5_mNS0_19identity_decomposerEEE10hipError_tT1_T2_PT3_SE_jT4_jjP12ihipStream_tbEUlT_E0_NS1_11comp_targetILNS1_3genE5ELNS1_11target_archE942ELNS1_3gpuE9ELNS1_3repE0EEENS1_52radix_sort_onesweep_histogram_config_static_selectorELNS0_4arch9wavefront6targetE1EEEvSC_,"axG",@progbits,_ZN7rocprim17ROCPRIM_400000_NS6detail17trampoline_kernelINS0_14default_configENS1_35radix_sort_onesweep_config_selectorIcNS0_10empty_typeEEEZNS1_34radix_sort_onesweep_global_offsetsIS3_Lb1EPcPS5_mNS0_19identity_decomposerEEE10hipError_tT1_T2_PT3_SE_jT4_jjP12ihipStream_tbEUlT_E0_NS1_11comp_targetILNS1_3genE5ELNS1_11target_archE942ELNS1_3gpuE9ELNS1_3repE0EEENS1_52radix_sort_onesweep_histogram_config_static_selectorELNS0_4arch9wavefront6targetE1EEEvSC_,comdat
	.protected	_ZN7rocprim17ROCPRIM_400000_NS6detail17trampoline_kernelINS0_14default_configENS1_35radix_sort_onesweep_config_selectorIcNS0_10empty_typeEEEZNS1_34radix_sort_onesweep_global_offsetsIS3_Lb1EPcPS5_mNS0_19identity_decomposerEEE10hipError_tT1_T2_PT3_SE_jT4_jjP12ihipStream_tbEUlT_E0_NS1_11comp_targetILNS1_3genE5ELNS1_11target_archE942ELNS1_3gpuE9ELNS1_3repE0EEENS1_52radix_sort_onesweep_histogram_config_static_selectorELNS0_4arch9wavefront6targetE1EEEvSC_ ; -- Begin function _ZN7rocprim17ROCPRIM_400000_NS6detail17trampoline_kernelINS0_14default_configENS1_35radix_sort_onesweep_config_selectorIcNS0_10empty_typeEEEZNS1_34radix_sort_onesweep_global_offsetsIS3_Lb1EPcPS5_mNS0_19identity_decomposerEEE10hipError_tT1_T2_PT3_SE_jT4_jjP12ihipStream_tbEUlT_E0_NS1_11comp_targetILNS1_3genE5ELNS1_11target_archE942ELNS1_3gpuE9ELNS1_3repE0EEENS1_52radix_sort_onesweep_histogram_config_static_selectorELNS0_4arch9wavefront6targetE1EEEvSC_
	.globl	_ZN7rocprim17ROCPRIM_400000_NS6detail17trampoline_kernelINS0_14default_configENS1_35radix_sort_onesweep_config_selectorIcNS0_10empty_typeEEEZNS1_34radix_sort_onesweep_global_offsetsIS3_Lb1EPcPS5_mNS0_19identity_decomposerEEE10hipError_tT1_T2_PT3_SE_jT4_jjP12ihipStream_tbEUlT_E0_NS1_11comp_targetILNS1_3genE5ELNS1_11target_archE942ELNS1_3gpuE9ELNS1_3repE0EEENS1_52radix_sort_onesweep_histogram_config_static_selectorELNS0_4arch9wavefront6targetE1EEEvSC_
	.p2align	8
	.type	_ZN7rocprim17ROCPRIM_400000_NS6detail17trampoline_kernelINS0_14default_configENS1_35radix_sort_onesweep_config_selectorIcNS0_10empty_typeEEEZNS1_34radix_sort_onesweep_global_offsetsIS3_Lb1EPcPS5_mNS0_19identity_decomposerEEE10hipError_tT1_T2_PT3_SE_jT4_jjP12ihipStream_tbEUlT_E0_NS1_11comp_targetILNS1_3genE5ELNS1_11target_archE942ELNS1_3gpuE9ELNS1_3repE0EEENS1_52radix_sort_onesweep_histogram_config_static_selectorELNS0_4arch9wavefront6targetE1EEEvSC_,@function
_ZN7rocprim17ROCPRIM_400000_NS6detail17trampoline_kernelINS0_14default_configENS1_35radix_sort_onesweep_config_selectorIcNS0_10empty_typeEEEZNS1_34radix_sort_onesweep_global_offsetsIS3_Lb1EPcPS5_mNS0_19identity_decomposerEEE10hipError_tT1_T2_PT3_SE_jT4_jjP12ihipStream_tbEUlT_E0_NS1_11comp_targetILNS1_3genE5ELNS1_11target_archE942ELNS1_3gpuE9ELNS1_3repE0EEENS1_52radix_sort_onesweep_histogram_config_static_selectorELNS0_4arch9wavefront6targetE1EEEvSC_: ; @_ZN7rocprim17ROCPRIM_400000_NS6detail17trampoline_kernelINS0_14default_configENS1_35radix_sort_onesweep_config_selectorIcNS0_10empty_typeEEEZNS1_34radix_sort_onesweep_global_offsetsIS3_Lb1EPcPS5_mNS0_19identity_decomposerEEE10hipError_tT1_T2_PT3_SE_jT4_jjP12ihipStream_tbEUlT_E0_NS1_11comp_targetILNS1_3genE5ELNS1_11target_archE942ELNS1_3gpuE9ELNS1_3repE0EEENS1_52radix_sort_onesweep_histogram_config_static_selectorELNS0_4arch9wavefront6targetE1EEEvSC_
; %bb.0:
	.section	.rodata,"a",@progbits
	.p2align	6, 0x0
	.amdhsa_kernel _ZN7rocprim17ROCPRIM_400000_NS6detail17trampoline_kernelINS0_14default_configENS1_35radix_sort_onesweep_config_selectorIcNS0_10empty_typeEEEZNS1_34radix_sort_onesweep_global_offsetsIS3_Lb1EPcPS5_mNS0_19identity_decomposerEEE10hipError_tT1_T2_PT3_SE_jT4_jjP12ihipStream_tbEUlT_E0_NS1_11comp_targetILNS1_3genE5ELNS1_11target_archE942ELNS1_3gpuE9ELNS1_3repE0EEENS1_52radix_sort_onesweep_histogram_config_static_selectorELNS0_4arch9wavefront6targetE1EEEvSC_
		.amdhsa_group_segment_fixed_size 0
		.amdhsa_private_segment_fixed_size 0
		.amdhsa_kernarg_size 8
		.amdhsa_user_sgpr_count 6
		.amdhsa_user_sgpr_private_segment_buffer 1
		.amdhsa_user_sgpr_dispatch_ptr 0
		.amdhsa_user_sgpr_queue_ptr 0
		.amdhsa_user_sgpr_kernarg_segment_ptr 1
		.amdhsa_user_sgpr_dispatch_id 0
		.amdhsa_user_sgpr_flat_scratch_init 0
		.amdhsa_user_sgpr_kernarg_preload_length 0
		.amdhsa_user_sgpr_kernarg_preload_offset 0
		.amdhsa_user_sgpr_private_segment_size 0
		.amdhsa_uses_dynamic_stack 0
		.amdhsa_system_sgpr_private_segment_wavefront_offset 0
		.amdhsa_system_sgpr_workgroup_id_x 1
		.amdhsa_system_sgpr_workgroup_id_y 0
		.amdhsa_system_sgpr_workgroup_id_z 0
		.amdhsa_system_sgpr_workgroup_info 0
		.amdhsa_system_vgpr_workitem_id 0
		.amdhsa_next_free_vgpr 1
		.amdhsa_next_free_sgpr 0
		.amdhsa_accum_offset 4
		.amdhsa_reserve_vcc 0
		.amdhsa_reserve_flat_scratch 0
		.amdhsa_float_round_mode_32 0
		.amdhsa_float_round_mode_16_64 0
		.amdhsa_float_denorm_mode_32 3
		.amdhsa_float_denorm_mode_16_64 3
		.amdhsa_dx10_clamp 1
		.amdhsa_ieee_mode 1
		.amdhsa_fp16_overflow 0
		.amdhsa_tg_split 0
		.amdhsa_exception_fp_ieee_invalid_op 0
		.amdhsa_exception_fp_denorm_src 0
		.amdhsa_exception_fp_ieee_div_zero 0
		.amdhsa_exception_fp_ieee_overflow 0
		.amdhsa_exception_fp_ieee_underflow 0
		.amdhsa_exception_fp_ieee_inexact 0
		.amdhsa_exception_int_div_zero 0
	.end_amdhsa_kernel
	.section	.text._ZN7rocprim17ROCPRIM_400000_NS6detail17trampoline_kernelINS0_14default_configENS1_35radix_sort_onesweep_config_selectorIcNS0_10empty_typeEEEZNS1_34radix_sort_onesweep_global_offsetsIS3_Lb1EPcPS5_mNS0_19identity_decomposerEEE10hipError_tT1_T2_PT3_SE_jT4_jjP12ihipStream_tbEUlT_E0_NS1_11comp_targetILNS1_3genE5ELNS1_11target_archE942ELNS1_3gpuE9ELNS1_3repE0EEENS1_52radix_sort_onesweep_histogram_config_static_selectorELNS0_4arch9wavefront6targetE1EEEvSC_,"axG",@progbits,_ZN7rocprim17ROCPRIM_400000_NS6detail17trampoline_kernelINS0_14default_configENS1_35radix_sort_onesweep_config_selectorIcNS0_10empty_typeEEEZNS1_34radix_sort_onesweep_global_offsetsIS3_Lb1EPcPS5_mNS0_19identity_decomposerEEE10hipError_tT1_T2_PT3_SE_jT4_jjP12ihipStream_tbEUlT_E0_NS1_11comp_targetILNS1_3genE5ELNS1_11target_archE942ELNS1_3gpuE9ELNS1_3repE0EEENS1_52radix_sort_onesweep_histogram_config_static_selectorELNS0_4arch9wavefront6targetE1EEEvSC_,comdat
.Lfunc_end1540:
	.size	_ZN7rocprim17ROCPRIM_400000_NS6detail17trampoline_kernelINS0_14default_configENS1_35radix_sort_onesweep_config_selectorIcNS0_10empty_typeEEEZNS1_34radix_sort_onesweep_global_offsetsIS3_Lb1EPcPS5_mNS0_19identity_decomposerEEE10hipError_tT1_T2_PT3_SE_jT4_jjP12ihipStream_tbEUlT_E0_NS1_11comp_targetILNS1_3genE5ELNS1_11target_archE942ELNS1_3gpuE9ELNS1_3repE0EEENS1_52radix_sort_onesweep_histogram_config_static_selectorELNS0_4arch9wavefront6targetE1EEEvSC_, .Lfunc_end1540-_ZN7rocprim17ROCPRIM_400000_NS6detail17trampoline_kernelINS0_14default_configENS1_35radix_sort_onesweep_config_selectorIcNS0_10empty_typeEEEZNS1_34radix_sort_onesweep_global_offsetsIS3_Lb1EPcPS5_mNS0_19identity_decomposerEEE10hipError_tT1_T2_PT3_SE_jT4_jjP12ihipStream_tbEUlT_E0_NS1_11comp_targetILNS1_3genE5ELNS1_11target_archE942ELNS1_3gpuE9ELNS1_3repE0EEENS1_52radix_sort_onesweep_histogram_config_static_selectorELNS0_4arch9wavefront6targetE1EEEvSC_
                                        ; -- End function
	.section	.AMDGPU.csdata,"",@progbits
; Kernel info:
; codeLenInByte = 0
; NumSgprs: 4
; NumVgprs: 0
; NumAgprs: 0
; TotalNumVgprs: 0
; ScratchSize: 0
; MemoryBound: 0
; FloatMode: 240
; IeeeMode: 1
; LDSByteSize: 0 bytes/workgroup (compile time only)
; SGPRBlocks: 0
; VGPRBlocks: 0
; NumSGPRsForWavesPerEU: 4
; NumVGPRsForWavesPerEU: 1
; AccumOffset: 4
; Occupancy: 8
; WaveLimiterHint : 0
; COMPUTE_PGM_RSRC2:SCRATCH_EN: 0
; COMPUTE_PGM_RSRC2:USER_SGPR: 6
; COMPUTE_PGM_RSRC2:TRAP_HANDLER: 0
; COMPUTE_PGM_RSRC2:TGID_X_EN: 1
; COMPUTE_PGM_RSRC2:TGID_Y_EN: 0
; COMPUTE_PGM_RSRC2:TGID_Z_EN: 0
; COMPUTE_PGM_RSRC2:TIDIG_COMP_CNT: 0
; COMPUTE_PGM_RSRC3_GFX90A:ACCUM_OFFSET: 0
; COMPUTE_PGM_RSRC3_GFX90A:TG_SPLIT: 0
	.section	.text._ZN7rocprim17ROCPRIM_400000_NS6detail17trampoline_kernelINS0_14default_configENS1_35radix_sort_onesweep_config_selectorIcNS0_10empty_typeEEEZNS1_34radix_sort_onesweep_global_offsetsIS3_Lb1EPcPS5_mNS0_19identity_decomposerEEE10hipError_tT1_T2_PT3_SE_jT4_jjP12ihipStream_tbEUlT_E0_NS1_11comp_targetILNS1_3genE2ELNS1_11target_archE906ELNS1_3gpuE6ELNS1_3repE0EEENS1_52radix_sort_onesweep_histogram_config_static_selectorELNS0_4arch9wavefront6targetE1EEEvSC_,"axG",@progbits,_ZN7rocprim17ROCPRIM_400000_NS6detail17trampoline_kernelINS0_14default_configENS1_35radix_sort_onesweep_config_selectorIcNS0_10empty_typeEEEZNS1_34radix_sort_onesweep_global_offsetsIS3_Lb1EPcPS5_mNS0_19identity_decomposerEEE10hipError_tT1_T2_PT3_SE_jT4_jjP12ihipStream_tbEUlT_E0_NS1_11comp_targetILNS1_3genE2ELNS1_11target_archE906ELNS1_3gpuE6ELNS1_3repE0EEENS1_52radix_sort_onesweep_histogram_config_static_selectorELNS0_4arch9wavefront6targetE1EEEvSC_,comdat
	.protected	_ZN7rocprim17ROCPRIM_400000_NS6detail17trampoline_kernelINS0_14default_configENS1_35radix_sort_onesweep_config_selectorIcNS0_10empty_typeEEEZNS1_34radix_sort_onesweep_global_offsetsIS3_Lb1EPcPS5_mNS0_19identity_decomposerEEE10hipError_tT1_T2_PT3_SE_jT4_jjP12ihipStream_tbEUlT_E0_NS1_11comp_targetILNS1_3genE2ELNS1_11target_archE906ELNS1_3gpuE6ELNS1_3repE0EEENS1_52radix_sort_onesweep_histogram_config_static_selectorELNS0_4arch9wavefront6targetE1EEEvSC_ ; -- Begin function _ZN7rocprim17ROCPRIM_400000_NS6detail17trampoline_kernelINS0_14default_configENS1_35radix_sort_onesweep_config_selectorIcNS0_10empty_typeEEEZNS1_34radix_sort_onesweep_global_offsetsIS3_Lb1EPcPS5_mNS0_19identity_decomposerEEE10hipError_tT1_T2_PT3_SE_jT4_jjP12ihipStream_tbEUlT_E0_NS1_11comp_targetILNS1_3genE2ELNS1_11target_archE906ELNS1_3gpuE6ELNS1_3repE0EEENS1_52radix_sort_onesweep_histogram_config_static_selectorELNS0_4arch9wavefront6targetE1EEEvSC_
	.globl	_ZN7rocprim17ROCPRIM_400000_NS6detail17trampoline_kernelINS0_14default_configENS1_35radix_sort_onesweep_config_selectorIcNS0_10empty_typeEEEZNS1_34radix_sort_onesweep_global_offsetsIS3_Lb1EPcPS5_mNS0_19identity_decomposerEEE10hipError_tT1_T2_PT3_SE_jT4_jjP12ihipStream_tbEUlT_E0_NS1_11comp_targetILNS1_3genE2ELNS1_11target_archE906ELNS1_3gpuE6ELNS1_3repE0EEENS1_52radix_sort_onesweep_histogram_config_static_selectorELNS0_4arch9wavefront6targetE1EEEvSC_
	.p2align	8
	.type	_ZN7rocprim17ROCPRIM_400000_NS6detail17trampoline_kernelINS0_14default_configENS1_35radix_sort_onesweep_config_selectorIcNS0_10empty_typeEEEZNS1_34radix_sort_onesweep_global_offsetsIS3_Lb1EPcPS5_mNS0_19identity_decomposerEEE10hipError_tT1_T2_PT3_SE_jT4_jjP12ihipStream_tbEUlT_E0_NS1_11comp_targetILNS1_3genE2ELNS1_11target_archE906ELNS1_3gpuE6ELNS1_3repE0EEENS1_52radix_sort_onesweep_histogram_config_static_selectorELNS0_4arch9wavefront6targetE1EEEvSC_,@function
_ZN7rocprim17ROCPRIM_400000_NS6detail17trampoline_kernelINS0_14default_configENS1_35radix_sort_onesweep_config_selectorIcNS0_10empty_typeEEEZNS1_34radix_sort_onesweep_global_offsetsIS3_Lb1EPcPS5_mNS0_19identity_decomposerEEE10hipError_tT1_T2_PT3_SE_jT4_jjP12ihipStream_tbEUlT_E0_NS1_11comp_targetILNS1_3genE2ELNS1_11target_archE906ELNS1_3gpuE6ELNS1_3repE0EEENS1_52radix_sort_onesweep_histogram_config_static_selectorELNS0_4arch9wavefront6targetE1EEEvSC_: ; @_ZN7rocprim17ROCPRIM_400000_NS6detail17trampoline_kernelINS0_14default_configENS1_35radix_sort_onesweep_config_selectorIcNS0_10empty_typeEEEZNS1_34radix_sort_onesweep_global_offsetsIS3_Lb1EPcPS5_mNS0_19identity_decomposerEEE10hipError_tT1_T2_PT3_SE_jT4_jjP12ihipStream_tbEUlT_E0_NS1_11comp_targetILNS1_3genE2ELNS1_11target_archE906ELNS1_3gpuE6ELNS1_3repE0EEENS1_52radix_sort_onesweep_histogram_config_static_selectorELNS0_4arch9wavefront6targetE1EEEvSC_
; %bb.0:
	.section	.rodata,"a",@progbits
	.p2align	6, 0x0
	.amdhsa_kernel _ZN7rocprim17ROCPRIM_400000_NS6detail17trampoline_kernelINS0_14default_configENS1_35radix_sort_onesweep_config_selectorIcNS0_10empty_typeEEEZNS1_34radix_sort_onesweep_global_offsetsIS3_Lb1EPcPS5_mNS0_19identity_decomposerEEE10hipError_tT1_T2_PT3_SE_jT4_jjP12ihipStream_tbEUlT_E0_NS1_11comp_targetILNS1_3genE2ELNS1_11target_archE906ELNS1_3gpuE6ELNS1_3repE0EEENS1_52radix_sort_onesweep_histogram_config_static_selectorELNS0_4arch9wavefront6targetE1EEEvSC_
		.amdhsa_group_segment_fixed_size 0
		.amdhsa_private_segment_fixed_size 0
		.amdhsa_kernarg_size 8
		.amdhsa_user_sgpr_count 6
		.amdhsa_user_sgpr_private_segment_buffer 1
		.amdhsa_user_sgpr_dispatch_ptr 0
		.amdhsa_user_sgpr_queue_ptr 0
		.amdhsa_user_sgpr_kernarg_segment_ptr 1
		.amdhsa_user_sgpr_dispatch_id 0
		.amdhsa_user_sgpr_flat_scratch_init 0
		.amdhsa_user_sgpr_kernarg_preload_length 0
		.amdhsa_user_sgpr_kernarg_preload_offset 0
		.amdhsa_user_sgpr_private_segment_size 0
		.amdhsa_uses_dynamic_stack 0
		.amdhsa_system_sgpr_private_segment_wavefront_offset 0
		.amdhsa_system_sgpr_workgroup_id_x 1
		.amdhsa_system_sgpr_workgroup_id_y 0
		.amdhsa_system_sgpr_workgroup_id_z 0
		.amdhsa_system_sgpr_workgroup_info 0
		.amdhsa_system_vgpr_workitem_id 0
		.amdhsa_next_free_vgpr 1
		.amdhsa_next_free_sgpr 0
		.amdhsa_accum_offset 4
		.amdhsa_reserve_vcc 0
		.amdhsa_reserve_flat_scratch 0
		.amdhsa_float_round_mode_32 0
		.amdhsa_float_round_mode_16_64 0
		.amdhsa_float_denorm_mode_32 3
		.amdhsa_float_denorm_mode_16_64 3
		.amdhsa_dx10_clamp 1
		.amdhsa_ieee_mode 1
		.amdhsa_fp16_overflow 0
		.amdhsa_tg_split 0
		.amdhsa_exception_fp_ieee_invalid_op 0
		.amdhsa_exception_fp_denorm_src 0
		.amdhsa_exception_fp_ieee_div_zero 0
		.amdhsa_exception_fp_ieee_overflow 0
		.amdhsa_exception_fp_ieee_underflow 0
		.amdhsa_exception_fp_ieee_inexact 0
		.amdhsa_exception_int_div_zero 0
	.end_amdhsa_kernel
	.section	.text._ZN7rocprim17ROCPRIM_400000_NS6detail17trampoline_kernelINS0_14default_configENS1_35radix_sort_onesweep_config_selectorIcNS0_10empty_typeEEEZNS1_34radix_sort_onesweep_global_offsetsIS3_Lb1EPcPS5_mNS0_19identity_decomposerEEE10hipError_tT1_T2_PT3_SE_jT4_jjP12ihipStream_tbEUlT_E0_NS1_11comp_targetILNS1_3genE2ELNS1_11target_archE906ELNS1_3gpuE6ELNS1_3repE0EEENS1_52radix_sort_onesweep_histogram_config_static_selectorELNS0_4arch9wavefront6targetE1EEEvSC_,"axG",@progbits,_ZN7rocprim17ROCPRIM_400000_NS6detail17trampoline_kernelINS0_14default_configENS1_35radix_sort_onesweep_config_selectorIcNS0_10empty_typeEEEZNS1_34radix_sort_onesweep_global_offsetsIS3_Lb1EPcPS5_mNS0_19identity_decomposerEEE10hipError_tT1_T2_PT3_SE_jT4_jjP12ihipStream_tbEUlT_E0_NS1_11comp_targetILNS1_3genE2ELNS1_11target_archE906ELNS1_3gpuE6ELNS1_3repE0EEENS1_52radix_sort_onesweep_histogram_config_static_selectorELNS0_4arch9wavefront6targetE1EEEvSC_,comdat
.Lfunc_end1541:
	.size	_ZN7rocprim17ROCPRIM_400000_NS6detail17trampoline_kernelINS0_14default_configENS1_35radix_sort_onesweep_config_selectorIcNS0_10empty_typeEEEZNS1_34radix_sort_onesweep_global_offsetsIS3_Lb1EPcPS5_mNS0_19identity_decomposerEEE10hipError_tT1_T2_PT3_SE_jT4_jjP12ihipStream_tbEUlT_E0_NS1_11comp_targetILNS1_3genE2ELNS1_11target_archE906ELNS1_3gpuE6ELNS1_3repE0EEENS1_52radix_sort_onesweep_histogram_config_static_selectorELNS0_4arch9wavefront6targetE1EEEvSC_, .Lfunc_end1541-_ZN7rocprim17ROCPRIM_400000_NS6detail17trampoline_kernelINS0_14default_configENS1_35radix_sort_onesweep_config_selectorIcNS0_10empty_typeEEEZNS1_34radix_sort_onesweep_global_offsetsIS3_Lb1EPcPS5_mNS0_19identity_decomposerEEE10hipError_tT1_T2_PT3_SE_jT4_jjP12ihipStream_tbEUlT_E0_NS1_11comp_targetILNS1_3genE2ELNS1_11target_archE906ELNS1_3gpuE6ELNS1_3repE0EEENS1_52radix_sort_onesweep_histogram_config_static_selectorELNS0_4arch9wavefront6targetE1EEEvSC_
                                        ; -- End function
	.section	.AMDGPU.csdata,"",@progbits
; Kernel info:
; codeLenInByte = 0
; NumSgprs: 4
; NumVgprs: 0
; NumAgprs: 0
; TotalNumVgprs: 0
; ScratchSize: 0
; MemoryBound: 0
; FloatMode: 240
; IeeeMode: 1
; LDSByteSize: 0 bytes/workgroup (compile time only)
; SGPRBlocks: 0
; VGPRBlocks: 0
; NumSGPRsForWavesPerEU: 4
; NumVGPRsForWavesPerEU: 1
; AccumOffset: 4
; Occupancy: 8
; WaveLimiterHint : 0
; COMPUTE_PGM_RSRC2:SCRATCH_EN: 0
; COMPUTE_PGM_RSRC2:USER_SGPR: 6
; COMPUTE_PGM_RSRC2:TRAP_HANDLER: 0
; COMPUTE_PGM_RSRC2:TGID_X_EN: 1
; COMPUTE_PGM_RSRC2:TGID_Y_EN: 0
; COMPUTE_PGM_RSRC2:TGID_Z_EN: 0
; COMPUTE_PGM_RSRC2:TIDIG_COMP_CNT: 0
; COMPUTE_PGM_RSRC3_GFX90A:ACCUM_OFFSET: 0
; COMPUTE_PGM_RSRC3_GFX90A:TG_SPLIT: 0
	.section	.text._ZN7rocprim17ROCPRIM_400000_NS6detail17trampoline_kernelINS0_14default_configENS1_35radix_sort_onesweep_config_selectorIcNS0_10empty_typeEEEZNS1_34radix_sort_onesweep_global_offsetsIS3_Lb1EPcPS5_mNS0_19identity_decomposerEEE10hipError_tT1_T2_PT3_SE_jT4_jjP12ihipStream_tbEUlT_E0_NS1_11comp_targetILNS1_3genE4ELNS1_11target_archE910ELNS1_3gpuE8ELNS1_3repE0EEENS1_52radix_sort_onesweep_histogram_config_static_selectorELNS0_4arch9wavefront6targetE1EEEvSC_,"axG",@progbits,_ZN7rocprim17ROCPRIM_400000_NS6detail17trampoline_kernelINS0_14default_configENS1_35radix_sort_onesweep_config_selectorIcNS0_10empty_typeEEEZNS1_34radix_sort_onesweep_global_offsetsIS3_Lb1EPcPS5_mNS0_19identity_decomposerEEE10hipError_tT1_T2_PT3_SE_jT4_jjP12ihipStream_tbEUlT_E0_NS1_11comp_targetILNS1_3genE4ELNS1_11target_archE910ELNS1_3gpuE8ELNS1_3repE0EEENS1_52radix_sort_onesweep_histogram_config_static_selectorELNS0_4arch9wavefront6targetE1EEEvSC_,comdat
	.protected	_ZN7rocprim17ROCPRIM_400000_NS6detail17trampoline_kernelINS0_14default_configENS1_35radix_sort_onesweep_config_selectorIcNS0_10empty_typeEEEZNS1_34radix_sort_onesweep_global_offsetsIS3_Lb1EPcPS5_mNS0_19identity_decomposerEEE10hipError_tT1_T2_PT3_SE_jT4_jjP12ihipStream_tbEUlT_E0_NS1_11comp_targetILNS1_3genE4ELNS1_11target_archE910ELNS1_3gpuE8ELNS1_3repE0EEENS1_52radix_sort_onesweep_histogram_config_static_selectorELNS0_4arch9wavefront6targetE1EEEvSC_ ; -- Begin function _ZN7rocprim17ROCPRIM_400000_NS6detail17trampoline_kernelINS0_14default_configENS1_35radix_sort_onesweep_config_selectorIcNS0_10empty_typeEEEZNS1_34radix_sort_onesweep_global_offsetsIS3_Lb1EPcPS5_mNS0_19identity_decomposerEEE10hipError_tT1_T2_PT3_SE_jT4_jjP12ihipStream_tbEUlT_E0_NS1_11comp_targetILNS1_3genE4ELNS1_11target_archE910ELNS1_3gpuE8ELNS1_3repE0EEENS1_52radix_sort_onesweep_histogram_config_static_selectorELNS0_4arch9wavefront6targetE1EEEvSC_
	.globl	_ZN7rocprim17ROCPRIM_400000_NS6detail17trampoline_kernelINS0_14default_configENS1_35radix_sort_onesweep_config_selectorIcNS0_10empty_typeEEEZNS1_34radix_sort_onesweep_global_offsetsIS3_Lb1EPcPS5_mNS0_19identity_decomposerEEE10hipError_tT1_T2_PT3_SE_jT4_jjP12ihipStream_tbEUlT_E0_NS1_11comp_targetILNS1_3genE4ELNS1_11target_archE910ELNS1_3gpuE8ELNS1_3repE0EEENS1_52radix_sort_onesweep_histogram_config_static_selectorELNS0_4arch9wavefront6targetE1EEEvSC_
	.p2align	8
	.type	_ZN7rocprim17ROCPRIM_400000_NS6detail17trampoline_kernelINS0_14default_configENS1_35radix_sort_onesweep_config_selectorIcNS0_10empty_typeEEEZNS1_34radix_sort_onesweep_global_offsetsIS3_Lb1EPcPS5_mNS0_19identity_decomposerEEE10hipError_tT1_T2_PT3_SE_jT4_jjP12ihipStream_tbEUlT_E0_NS1_11comp_targetILNS1_3genE4ELNS1_11target_archE910ELNS1_3gpuE8ELNS1_3repE0EEENS1_52radix_sort_onesweep_histogram_config_static_selectorELNS0_4arch9wavefront6targetE1EEEvSC_,@function
_ZN7rocprim17ROCPRIM_400000_NS6detail17trampoline_kernelINS0_14default_configENS1_35radix_sort_onesweep_config_selectorIcNS0_10empty_typeEEEZNS1_34radix_sort_onesweep_global_offsetsIS3_Lb1EPcPS5_mNS0_19identity_decomposerEEE10hipError_tT1_T2_PT3_SE_jT4_jjP12ihipStream_tbEUlT_E0_NS1_11comp_targetILNS1_3genE4ELNS1_11target_archE910ELNS1_3gpuE8ELNS1_3repE0EEENS1_52radix_sort_onesweep_histogram_config_static_selectorELNS0_4arch9wavefront6targetE1EEEvSC_: ; @_ZN7rocprim17ROCPRIM_400000_NS6detail17trampoline_kernelINS0_14default_configENS1_35radix_sort_onesweep_config_selectorIcNS0_10empty_typeEEEZNS1_34radix_sort_onesweep_global_offsetsIS3_Lb1EPcPS5_mNS0_19identity_decomposerEEE10hipError_tT1_T2_PT3_SE_jT4_jjP12ihipStream_tbEUlT_E0_NS1_11comp_targetILNS1_3genE4ELNS1_11target_archE910ELNS1_3gpuE8ELNS1_3repE0EEENS1_52radix_sort_onesweep_histogram_config_static_selectorELNS0_4arch9wavefront6targetE1EEEvSC_
; %bb.0:
	s_load_dwordx2 s[0:1], s[4:5], 0x0
	s_lshl_b32 s2, s6, 4
	s_mov_b32 s3, 0
	s_lshl_b64 s[2:3], s[2:3], 3
	v_cmp_gt_u32_e32 vcc, 16, v0
	s_waitcnt lgkmcnt(0)
	s_add_u32 s6, s0, s2
	s_addc_u32 s7, s1, s3
	v_lshlrev_b32_e32 v6, 3, v0
                                        ; implicit-def: $vgpr2_vgpr3
	s_and_saveexec_b64 s[0:1], vcc
	s_cbranch_execz .LBB1542_2
; %bb.1:
	global_load_dwordx2 v[2:3], v6, s[6:7]
.LBB1542_2:
	s_or_b64 exec, exec, s[0:1]
	s_waitcnt vmcnt(0)
	v_mov_b32_dpp v4, v2 row_shr:1 row_mask:0xf bank_mask:0xf
	v_add_co_u32_e64 v4, s[0:1], v2, v4
	v_mbcnt_lo_u32_b32 v1, -1, 0
	v_addc_co_u32_e64 v8, s[0:1], 0, v3, s[0:1]
	v_mbcnt_hi_u32_b32 v7, -1, v1
	v_mov_b32_dpp v5, v3 row_shr:1 row_mask:0xf bank_mask:0xf
	v_add_co_u32_e64 v9, s[0:1], 0, v4
	v_and_b32_e32 v1, 15, v7
	v_addc_co_u32_e64 v5, s[0:1], v5, v8, s[0:1]
	v_cmp_eq_u32_e64 s[0:1], 0, v1
	v_cndmask_b32_e64 v4, v4, v2, s[0:1]
	v_cndmask_b32_e64 v5, v5, v3, s[0:1]
	v_cndmask_b32_e64 v8, v9, v2, s[0:1]
	v_mov_b32_dpp v9, v4 row_shr:2 row_mask:0xf bank_mask:0xf
	v_mov_b32_dpp v10, v5 row_shr:2 row_mask:0xf bank_mask:0xf
	v_add_co_u32_e64 v9, s[0:1], v9, v8
	v_addc_co_u32_e64 v10, s[0:1], v10, v5, s[0:1]
	v_cmp_lt_u32_e64 s[0:1], 1, v1
	v_cndmask_b32_e64 v4, v4, v9, s[0:1]
	v_cndmask_b32_e64 v5, v5, v10, s[0:1]
	v_cndmask_b32_e64 v8, v8, v9, s[0:1]
	v_mov_b32_dpp v9, v4 row_shr:4 row_mask:0xf bank_mask:0xf
	v_mov_b32_dpp v10, v5 row_shr:4 row_mask:0xf bank_mask:0xf
	v_add_co_u32_e64 v9, s[0:1], v9, v8
	v_addc_co_u32_e64 v10, s[0:1], v10, v5, s[0:1]
	v_cmp_lt_u32_e64 s[0:1], 3, v1
	;; [unrolled: 8-line block ×3, first 2 shown]
	v_cndmask_b32_e64 v11, v4, v9, s[0:1]
	v_cndmask_b32_e64 v1, v5, v10, s[0:1]
	;; [unrolled: 1-line block ×3, first 2 shown]
	v_mov_b32_dpp v5, v11 row_bcast:15 row_mask:0xf bank_mask:0xf
	v_mov_b32_dpp v8, v1 row_bcast:15 row_mask:0xf bank_mask:0xf
	v_and_b32_e32 v10, 16, v7
	v_add_co_u32_e64 v5, s[0:1], v5, v4
	v_addc_co_u32_e64 v9, s[0:1], v8, v1, s[0:1]
	v_cmp_eq_u32_e64 s[2:3], 0, v10
	v_cndmask_b32_e64 v10, v9, v1, s[2:3]
	v_cndmask_b32_e64 v8, v5, v11, s[2:3]
	v_cmp_eq_u32_e64 s[0:1], 0, v7
	v_mov_b32_dpp v10, v10 row_bcast:31 row_mask:0xf bank_mask:0xf
	v_mov_b32_dpp v8, v8 row_bcast:31 row_mask:0xf bank_mask:0xf
	v_cmp_ne_u32_e64 s[4:5], 0, v7
	s_and_saveexec_b64 s[8:9], s[4:5]
; %bb.3:
	v_cndmask_b32_e64 v1, v9, v1, s[2:3]
	v_cndmask_b32_e64 v2, v5, v4, s[2:3]
	v_cmp_lt_u32_e64 s[2:3], 31, v7
	v_cndmask_b32_e64 v4, 0, v8, s[2:3]
	v_cndmask_b32_e64 v3, 0, v10, s[2:3]
	v_add_co_u32_e64 v2, s[2:3], v4, v2
	v_addc_co_u32_e64 v3, s[2:3], v3, v1, s[2:3]
; %bb.4:
	s_or_b64 exec, exec, s[8:9]
	v_or_b32_e32 v1, 63, v0
	v_lshrrev_b32_e32 v8, 6, v0
	v_cmp_eq_u32_e64 s[2:3], v1, v0
	s_and_saveexec_b64 s[4:5], s[2:3]
	s_cbranch_execz .LBB1542_6
; %bb.5:
	v_lshlrev_b32_e32 v1, 3, v8
	ds_write_b64 v1, v[2:3]
.LBB1542_6:
	s_or_b64 exec, exec, s[4:5]
	v_cmp_gt_u32_e64 s[2:3], 8, v0
	s_waitcnt lgkmcnt(0)
	s_barrier
	s_and_saveexec_b64 s[8:9], s[2:3]
	s_cbranch_execz .LBB1542_10
; %bb.7:
	ds_read_b64 v[4:5], v6
	v_and_b32_e32 v1, 7, v7
	v_cmp_ne_u32_e64 s[4:5], 0, v1
	s_waitcnt lgkmcnt(0)
	v_mov_b32_dpp v9, v4 row_shr:1 row_mask:0xf bank_mask:0xf
	v_add_co_u32_e64 v11, s[2:3], v4, v9
	v_addc_co_u32_e64 v12, s[2:3], 0, v5, s[2:3]
	v_mov_b32_dpp v10, v5 row_shr:1 row_mask:0xf bank_mask:0xf
	v_add_co_u32_e64 v9, s[2:3], 0, v11
	v_addc_co_u32_e64 v10, s[2:3], v10, v12, s[2:3]
	v_cmp_eq_u32_e64 s[2:3], 0, v1
	v_cndmask_b32_e64 v12, v11, v4, s[2:3]
	v_cndmask_b32_e64 v14, v10, v5, s[2:3]
	;; [unrolled: 1-line block ×3, first 2 shown]
	v_mov_b32_dpp v13, v12 row_shr:2 row_mask:0xf bank_mask:0xf
	v_mov_b32_dpp v15, v14 row_shr:2 row_mask:0xf bank_mask:0xf
	v_add_co_u32_e64 v11, s[2:3], v13, v11
	v_addc_co_u32_e64 v13, s[2:3], v15, v14, s[2:3]
	v_cmp_lt_u32_e64 s[2:3], 1, v1
	v_cndmask_b32_e64 v14, v14, v13, s[2:3]
	v_cndmask_b32_e64 v12, v12, v11, s[2:3]
	s_nop 0
	v_mov_b32_dpp v14, v14 row_shr:4 row_mask:0xf bank_mask:0xf
	v_mov_b32_dpp v12, v12 row_shr:4 row_mask:0xf bank_mask:0xf
	s_and_saveexec_b64 s[10:11], s[4:5]
; %bb.8:
	v_cndmask_b32_e64 v5, v10, v13, s[2:3]
	v_cndmask_b32_e64 v4, v9, v11, s[2:3]
	v_cmp_lt_u32_e64 s[2:3], 3, v1
	v_cndmask_b32_e64 v9, 0, v12, s[2:3]
	v_cndmask_b32_e64 v1, 0, v14, s[2:3]
	v_add_co_u32_e64 v4, s[2:3], v9, v4
	v_addc_co_u32_e64 v5, s[2:3], v1, v5, s[2:3]
; %bb.9:
	s_or_b64 exec, exec, s[10:11]
	ds_write_b64 v6, v[4:5]
.LBB1542_10:
	s_or_b64 exec, exec, s[8:9]
	v_cmp_lt_u32_e64 s[2:3], 63, v0
	v_pk_mov_b32 v[0:1], 0, 0
	s_waitcnt lgkmcnt(0)
	s_barrier
	s_and_saveexec_b64 s[4:5], s[2:3]
	s_cbranch_execz .LBB1542_12
; %bb.11:
	v_lshl_add_u32 v0, v8, 3, -8
	ds_read_b64 v[0:1], v0
.LBB1542_12:
	s_or_b64 exec, exec, s[4:5]
	s_waitcnt lgkmcnt(0)
	v_add_co_u32_e64 v2, s[2:3], v0, v2
	v_addc_co_u32_e64 v3, s[2:3], v1, v3, s[2:3]
	v_add_u32_e32 v4, -1, v7
	v_and_b32_e32 v5, 64, v7
	v_cmp_lt_i32_e64 s[2:3], v4, v5
	v_cndmask_b32_e64 v4, v4, v7, s[2:3]
	v_lshlrev_b32_e32 v4, 2, v4
	ds_bpermute_b32 v2, v4, v2
	ds_bpermute_b32 v3, v4, v3
	s_and_saveexec_b64 s[2:3], vcc
	s_cbranch_execz .LBB1542_14
; %bb.13:
	s_waitcnt lgkmcnt(0)
	v_cndmask_b32_e64 v1, v3, v1, s[0:1]
	v_cndmask_b32_e64 v0, v2, v0, s[0:1]
	global_store_dwordx2 v6, v[0:1], s[6:7]
.LBB1542_14:
	s_endpgm
	.section	.rodata,"a",@progbits
	.p2align	6, 0x0
	.amdhsa_kernel _ZN7rocprim17ROCPRIM_400000_NS6detail17trampoline_kernelINS0_14default_configENS1_35radix_sort_onesweep_config_selectorIcNS0_10empty_typeEEEZNS1_34radix_sort_onesweep_global_offsetsIS3_Lb1EPcPS5_mNS0_19identity_decomposerEEE10hipError_tT1_T2_PT3_SE_jT4_jjP12ihipStream_tbEUlT_E0_NS1_11comp_targetILNS1_3genE4ELNS1_11target_archE910ELNS1_3gpuE8ELNS1_3repE0EEENS1_52radix_sort_onesweep_histogram_config_static_selectorELNS0_4arch9wavefront6targetE1EEEvSC_
		.amdhsa_group_segment_fixed_size 64
		.amdhsa_private_segment_fixed_size 0
		.amdhsa_kernarg_size 8
		.amdhsa_user_sgpr_count 6
		.amdhsa_user_sgpr_private_segment_buffer 1
		.amdhsa_user_sgpr_dispatch_ptr 0
		.amdhsa_user_sgpr_queue_ptr 0
		.amdhsa_user_sgpr_kernarg_segment_ptr 1
		.amdhsa_user_sgpr_dispatch_id 0
		.amdhsa_user_sgpr_flat_scratch_init 0
		.amdhsa_user_sgpr_kernarg_preload_length 0
		.amdhsa_user_sgpr_kernarg_preload_offset 0
		.amdhsa_user_sgpr_private_segment_size 0
		.amdhsa_uses_dynamic_stack 0
		.amdhsa_system_sgpr_private_segment_wavefront_offset 0
		.amdhsa_system_sgpr_workgroup_id_x 1
		.amdhsa_system_sgpr_workgroup_id_y 0
		.amdhsa_system_sgpr_workgroup_id_z 0
		.amdhsa_system_sgpr_workgroup_info 0
		.amdhsa_system_vgpr_workitem_id 0
		.amdhsa_next_free_vgpr 16
		.amdhsa_next_free_sgpr 12
		.amdhsa_accum_offset 16
		.amdhsa_reserve_vcc 1
		.amdhsa_reserve_flat_scratch 0
		.amdhsa_float_round_mode_32 0
		.amdhsa_float_round_mode_16_64 0
		.amdhsa_float_denorm_mode_32 3
		.amdhsa_float_denorm_mode_16_64 3
		.amdhsa_dx10_clamp 1
		.amdhsa_ieee_mode 1
		.amdhsa_fp16_overflow 0
		.amdhsa_tg_split 0
		.amdhsa_exception_fp_ieee_invalid_op 0
		.amdhsa_exception_fp_denorm_src 0
		.amdhsa_exception_fp_ieee_div_zero 0
		.amdhsa_exception_fp_ieee_overflow 0
		.amdhsa_exception_fp_ieee_underflow 0
		.amdhsa_exception_fp_ieee_inexact 0
		.amdhsa_exception_int_div_zero 0
	.end_amdhsa_kernel
	.section	.text._ZN7rocprim17ROCPRIM_400000_NS6detail17trampoline_kernelINS0_14default_configENS1_35radix_sort_onesweep_config_selectorIcNS0_10empty_typeEEEZNS1_34radix_sort_onesweep_global_offsetsIS3_Lb1EPcPS5_mNS0_19identity_decomposerEEE10hipError_tT1_T2_PT3_SE_jT4_jjP12ihipStream_tbEUlT_E0_NS1_11comp_targetILNS1_3genE4ELNS1_11target_archE910ELNS1_3gpuE8ELNS1_3repE0EEENS1_52radix_sort_onesweep_histogram_config_static_selectorELNS0_4arch9wavefront6targetE1EEEvSC_,"axG",@progbits,_ZN7rocprim17ROCPRIM_400000_NS6detail17trampoline_kernelINS0_14default_configENS1_35radix_sort_onesweep_config_selectorIcNS0_10empty_typeEEEZNS1_34radix_sort_onesweep_global_offsetsIS3_Lb1EPcPS5_mNS0_19identity_decomposerEEE10hipError_tT1_T2_PT3_SE_jT4_jjP12ihipStream_tbEUlT_E0_NS1_11comp_targetILNS1_3genE4ELNS1_11target_archE910ELNS1_3gpuE8ELNS1_3repE0EEENS1_52radix_sort_onesweep_histogram_config_static_selectorELNS0_4arch9wavefront6targetE1EEEvSC_,comdat
.Lfunc_end1542:
	.size	_ZN7rocprim17ROCPRIM_400000_NS6detail17trampoline_kernelINS0_14default_configENS1_35radix_sort_onesweep_config_selectorIcNS0_10empty_typeEEEZNS1_34radix_sort_onesweep_global_offsetsIS3_Lb1EPcPS5_mNS0_19identity_decomposerEEE10hipError_tT1_T2_PT3_SE_jT4_jjP12ihipStream_tbEUlT_E0_NS1_11comp_targetILNS1_3genE4ELNS1_11target_archE910ELNS1_3gpuE8ELNS1_3repE0EEENS1_52radix_sort_onesweep_histogram_config_static_selectorELNS0_4arch9wavefront6targetE1EEEvSC_, .Lfunc_end1542-_ZN7rocprim17ROCPRIM_400000_NS6detail17trampoline_kernelINS0_14default_configENS1_35radix_sort_onesweep_config_selectorIcNS0_10empty_typeEEEZNS1_34radix_sort_onesweep_global_offsetsIS3_Lb1EPcPS5_mNS0_19identity_decomposerEEE10hipError_tT1_T2_PT3_SE_jT4_jjP12ihipStream_tbEUlT_E0_NS1_11comp_targetILNS1_3genE4ELNS1_11target_archE910ELNS1_3gpuE8ELNS1_3repE0EEENS1_52radix_sort_onesweep_histogram_config_static_selectorELNS0_4arch9wavefront6targetE1EEEvSC_
                                        ; -- End function
	.section	.AMDGPU.csdata,"",@progbits
; Kernel info:
; codeLenInByte = 988
; NumSgprs: 16
; NumVgprs: 16
; NumAgprs: 0
; TotalNumVgprs: 16
; ScratchSize: 0
; MemoryBound: 0
; FloatMode: 240
; IeeeMode: 1
; LDSByteSize: 64 bytes/workgroup (compile time only)
; SGPRBlocks: 1
; VGPRBlocks: 1
; NumSGPRsForWavesPerEU: 16
; NumVGPRsForWavesPerEU: 16
; AccumOffset: 16
; Occupancy: 8
; WaveLimiterHint : 0
; COMPUTE_PGM_RSRC2:SCRATCH_EN: 0
; COMPUTE_PGM_RSRC2:USER_SGPR: 6
; COMPUTE_PGM_RSRC2:TRAP_HANDLER: 0
; COMPUTE_PGM_RSRC2:TGID_X_EN: 1
; COMPUTE_PGM_RSRC2:TGID_Y_EN: 0
; COMPUTE_PGM_RSRC2:TGID_Z_EN: 0
; COMPUTE_PGM_RSRC2:TIDIG_COMP_CNT: 0
; COMPUTE_PGM_RSRC3_GFX90A:ACCUM_OFFSET: 3
; COMPUTE_PGM_RSRC3_GFX90A:TG_SPLIT: 0
	.section	.text._ZN7rocprim17ROCPRIM_400000_NS6detail17trampoline_kernelINS0_14default_configENS1_35radix_sort_onesweep_config_selectorIcNS0_10empty_typeEEEZNS1_34radix_sort_onesweep_global_offsetsIS3_Lb1EPcPS5_mNS0_19identity_decomposerEEE10hipError_tT1_T2_PT3_SE_jT4_jjP12ihipStream_tbEUlT_E0_NS1_11comp_targetILNS1_3genE3ELNS1_11target_archE908ELNS1_3gpuE7ELNS1_3repE0EEENS1_52radix_sort_onesweep_histogram_config_static_selectorELNS0_4arch9wavefront6targetE1EEEvSC_,"axG",@progbits,_ZN7rocprim17ROCPRIM_400000_NS6detail17trampoline_kernelINS0_14default_configENS1_35radix_sort_onesweep_config_selectorIcNS0_10empty_typeEEEZNS1_34radix_sort_onesweep_global_offsetsIS3_Lb1EPcPS5_mNS0_19identity_decomposerEEE10hipError_tT1_T2_PT3_SE_jT4_jjP12ihipStream_tbEUlT_E0_NS1_11comp_targetILNS1_3genE3ELNS1_11target_archE908ELNS1_3gpuE7ELNS1_3repE0EEENS1_52radix_sort_onesweep_histogram_config_static_selectorELNS0_4arch9wavefront6targetE1EEEvSC_,comdat
	.protected	_ZN7rocprim17ROCPRIM_400000_NS6detail17trampoline_kernelINS0_14default_configENS1_35radix_sort_onesweep_config_selectorIcNS0_10empty_typeEEEZNS1_34radix_sort_onesweep_global_offsetsIS3_Lb1EPcPS5_mNS0_19identity_decomposerEEE10hipError_tT1_T2_PT3_SE_jT4_jjP12ihipStream_tbEUlT_E0_NS1_11comp_targetILNS1_3genE3ELNS1_11target_archE908ELNS1_3gpuE7ELNS1_3repE0EEENS1_52radix_sort_onesweep_histogram_config_static_selectorELNS0_4arch9wavefront6targetE1EEEvSC_ ; -- Begin function _ZN7rocprim17ROCPRIM_400000_NS6detail17trampoline_kernelINS0_14default_configENS1_35radix_sort_onesweep_config_selectorIcNS0_10empty_typeEEEZNS1_34radix_sort_onesweep_global_offsetsIS3_Lb1EPcPS5_mNS0_19identity_decomposerEEE10hipError_tT1_T2_PT3_SE_jT4_jjP12ihipStream_tbEUlT_E0_NS1_11comp_targetILNS1_3genE3ELNS1_11target_archE908ELNS1_3gpuE7ELNS1_3repE0EEENS1_52radix_sort_onesweep_histogram_config_static_selectorELNS0_4arch9wavefront6targetE1EEEvSC_
	.globl	_ZN7rocprim17ROCPRIM_400000_NS6detail17trampoline_kernelINS0_14default_configENS1_35radix_sort_onesweep_config_selectorIcNS0_10empty_typeEEEZNS1_34radix_sort_onesweep_global_offsetsIS3_Lb1EPcPS5_mNS0_19identity_decomposerEEE10hipError_tT1_T2_PT3_SE_jT4_jjP12ihipStream_tbEUlT_E0_NS1_11comp_targetILNS1_3genE3ELNS1_11target_archE908ELNS1_3gpuE7ELNS1_3repE0EEENS1_52radix_sort_onesweep_histogram_config_static_selectorELNS0_4arch9wavefront6targetE1EEEvSC_
	.p2align	8
	.type	_ZN7rocprim17ROCPRIM_400000_NS6detail17trampoline_kernelINS0_14default_configENS1_35radix_sort_onesweep_config_selectorIcNS0_10empty_typeEEEZNS1_34radix_sort_onesweep_global_offsetsIS3_Lb1EPcPS5_mNS0_19identity_decomposerEEE10hipError_tT1_T2_PT3_SE_jT4_jjP12ihipStream_tbEUlT_E0_NS1_11comp_targetILNS1_3genE3ELNS1_11target_archE908ELNS1_3gpuE7ELNS1_3repE0EEENS1_52radix_sort_onesweep_histogram_config_static_selectorELNS0_4arch9wavefront6targetE1EEEvSC_,@function
_ZN7rocprim17ROCPRIM_400000_NS6detail17trampoline_kernelINS0_14default_configENS1_35radix_sort_onesweep_config_selectorIcNS0_10empty_typeEEEZNS1_34radix_sort_onesweep_global_offsetsIS3_Lb1EPcPS5_mNS0_19identity_decomposerEEE10hipError_tT1_T2_PT3_SE_jT4_jjP12ihipStream_tbEUlT_E0_NS1_11comp_targetILNS1_3genE3ELNS1_11target_archE908ELNS1_3gpuE7ELNS1_3repE0EEENS1_52radix_sort_onesweep_histogram_config_static_selectorELNS0_4arch9wavefront6targetE1EEEvSC_: ; @_ZN7rocprim17ROCPRIM_400000_NS6detail17trampoline_kernelINS0_14default_configENS1_35radix_sort_onesweep_config_selectorIcNS0_10empty_typeEEEZNS1_34radix_sort_onesweep_global_offsetsIS3_Lb1EPcPS5_mNS0_19identity_decomposerEEE10hipError_tT1_T2_PT3_SE_jT4_jjP12ihipStream_tbEUlT_E0_NS1_11comp_targetILNS1_3genE3ELNS1_11target_archE908ELNS1_3gpuE7ELNS1_3repE0EEENS1_52radix_sort_onesweep_histogram_config_static_selectorELNS0_4arch9wavefront6targetE1EEEvSC_
; %bb.0:
	.section	.rodata,"a",@progbits
	.p2align	6, 0x0
	.amdhsa_kernel _ZN7rocprim17ROCPRIM_400000_NS6detail17trampoline_kernelINS0_14default_configENS1_35radix_sort_onesweep_config_selectorIcNS0_10empty_typeEEEZNS1_34radix_sort_onesweep_global_offsetsIS3_Lb1EPcPS5_mNS0_19identity_decomposerEEE10hipError_tT1_T2_PT3_SE_jT4_jjP12ihipStream_tbEUlT_E0_NS1_11comp_targetILNS1_3genE3ELNS1_11target_archE908ELNS1_3gpuE7ELNS1_3repE0EEENS1_52radix_sort_onesweep_histogram_config_static_selectorELNS0_4arch9wavefront6targetE1EEEvSC_
		.amdhsa_group_segment_fixed_size 0
		.amdhsa_private_segment_fixed_size 0
		.amdhsa_kernarg_size 8
		.amdhsa_user_sgpr_count 6
		.amdhsa_user_sgpr_private_segment_buffer 1
		.amdhsa_user_sgpr_dispatch_ptr 0
		.amdhsa_user_sgpr_queue_ptr 0
		.amdhsa_user_sgpr_kernarg_segment_ptr 1
		.amdhsa_user_sgpr_dispatch_id 0
		.amdhsa_user_sgpr_flat_scratch_init 0
		.amdhsa_user_sgpr_kernarg_preload_length 0
		.amdhsa_user_sgpr_kernarg_preload_offset 0
		.amdhsa_user_sgpr_private_segment_size 0
		.amdhsa_uses_dynamic_stack 0
		.amdhsa_system_sgpr_private_segment_wavefront_offset 0
		.amdhsa_system_sgpr_workgroup_id_x 1
		.amdhsa_system_sgpr_workgroup_id_y 0
		.amdhsa_system_sgpr_workgroup_id_z 0
		.amdhsa_system_sgpr_workgroup_info 0
		.amdhsa_system_vgpr_workitem_id 0
		.amdhsa_next_free_vgpr 1
		.amdhsa_next_free_sgpr 0
		.amdhsa_accum_offset 4
		.amdhsa_reserve_vcc 0
		.amdhsa_reserve_flat_scratch 0
		.amdhsa_float_round_mode_32 0
		.amdhsa_float_round_mode_16_64 0
		.amdhsa_float_denorm_mode_32 3
		.amdhsa_float_denorm_mode_16_64 3
		.amdhsa_dx10_clamp 1
		.amdhsa_ieee_mode 1
		.amdhsa_fp16_overflow 0
		.amdhsa_tg_split 0
		.amdhsa_exception_fp_ieee_invalid_op 0
		.amdhsa_exception_fp_denorm_src 0
		.amdhsa_exception_fp_ieee_div_zero 0
		.amdhsa_exception_fp_ieee_overflow 0
		.amdhsa_exception_fp_ieee_underflow 0
		.amdhsa_exception_fp_ieee_inexact 0
		.amdhsa_exception_int_div_zero 0
	.end_amdhsa_kernel
	.section	.text._ZN7rocprim17ROCPRIM_400000_NS6detail17trampoline_kernelINS0_14default_configENS1_35radix_sort_onesweep_config_selectorIcNS0_10empty_typeEEEZNS1_34radix_sort_onesweep_global_offsetsIS3_Lb1EPcPS5_mNS0_19identity_decomposerEEE10hipError_tT1_T2_PT3_SE_jT4_jjP12ihipStream_tbEUlT_E0_NS1_11comp_targetILNS1_3genE3ELNS1_11target_archE908ELNS1_3gpuE7ELNS1_3repE0EEENS1_52radix_sort_onesweep_histogram_config_static_selectorELNS0_4arch9wavefront6targetE1EEEvSC_,"axG",@progbits,_ZN7rocprim17ROCPRIM_400000_NS6detail17trampoline_kernelINS0_14default_configENS1_35radix_sort_onesweep_config_selectorIcNS0_10empty_typeEEEZNS1_34radix_sort_onesweep_global_offsetsIS3_Lb1EPcPS5_mNS0_19identity_decomposerEEE10hipError_tT1_T2_PT3_SE_jT4_jjP12ihipStream_tbEUlT_E0_NS1_11comp_targetILNS1_3genE3ELNS1_11target_archE908ELNS1_3gpuE7ELNS1_3repE0EEENS1_52radix_sort_onesweep_histogram_config_static_selectorELNS0_4arch9wavefront6targetE1EEEvSC_,comdat
.Lfunc_end1543:
	.size	_ZN7rocprim17ROCPRIM_400000_NS6detail17trampoline_kernelINS0_14default_configENS1_35radix_sort_onesweep_config_selectorIcNS0_10empty_typeEEEZNS1_34radix_sort_onesweep_global_offsetsIS3_Lb1EPcPS5_mNS0_19identity_decomposerEEE10hipError_tT1_T2_PT3_SE_jT4_jjP12ihipStream_tbEUlT_E0_NS1_11comp_targetILNS1_3genE3ELNS1_11target_archE908ELNS1_3gpuE7ELNS1_3repE0EEENS1_52radix_sort_onesweep_histogram_config_static_selectorELNS0_4arch9wavefront6targetE1EEEvSC_, .Lfunc_end1543-_ZN7rocprim17ROCPRIM_400000_NS6detail17trampoline_kernelINS0_14default_configENS1_35radix_sort_onesweep_config_selectorIcNS0_10empty_typeEEEZNS1_34radix_sort_onesweep_global_offsetsIS3_Lb1EPcPS5_mNS0_19identity_decomposerEEE10hipError_tT1_T2_PT3_SE_jT4_jjP12ihipStream_tbEUlT_E0_NS1_11comp_targetILNS1_3genE3ELNS1_11target_archE908ELNS1_3gpuE7ELNS1_3repE0EEENS1_52radix_sort_onesweep_histogram_config_static_selectorELNS0_4arch9wavefront6targetE1EEEvSC_
                                        ; -- End function
	.section	.AMDGPU.csdata,"",@progbits
; Kernel info:
; codeLenInByte = 0
; NumSgprs: 4
; NumVgprs: 0
; NumAgprs: 0
; TotalNumVgprs: 0
; ScratchSize: 0
; MemoryBound: 0
; FloatMode: 240
; IeeeMode: 1
; LDSByteSize: 0 bytes/workgroup (compile time only)
; SGPRBlocks: 0
; VGPRBlocks: 0
; NumSGPRsForWavesPerEU: 4
; NumVGPRsForWavesPerEU: 1
; AccumOffset: 4
; Occupancy: 8
; WaveLimiterHint : 0
; COMPUTE_PGM_RSRC2:SCRATCH_EN: 0
; COMPUTE_PGM_RSRC2:USER_SGPR: 6
; COMPUTE_PGM_RSRC2:TRAP_HANDLER: 0
; COMPUTE_PGM_RSRC2:TGID_X_EN: 1
; COMPUTE_PGM_RSRC2:TGID_Y_EN: 0
; COMPUTE_PGM_RSRC2:TGID_Z_EN: 0
; COMPUTE_PGM_RSRC2:TIDIG_COMP_CNT: 0
; COMPUTE_PGM_RSRC3_GFX90A:ACCUM_OFFSET: 0
; COMPUTE_PGM_RSRC3_GFX90A:TG_SPLIT: 0
	.section	.text._ZN7rocprim17ROCPRIM_400000_NS6detail17trampoline_kernelINS0_14default_configENS1_35radix_sort_onesweep_config_selectorIcNS0_10empty_typeEEEZNS1_34radix_sort_onesweep_global_offsetsIS3_Lb1EPcPS5_mNS0_19identity_decomposerEEE10hipError_tT1_T2_PT3_SE_jT4_jjP12ihipStream_tbEUlT_E0_NS1_11comp_targetILNS1_3genE10ELNS1_11target_archE1201ELNS1_3gpuE5ELNS1_3repE0EEENS1_52radix_sort_onesweep_histogram_config_static_selectorELNS0_4arch9wavefront6targetE1EEEvSC_,"axG",@progbits,_ZN7rocprim17ROCPRIM_400000_NS6detail17trampoline_kernelINS0_14default_configENS1_35radix_sort_onesweep_config_selectorIcNS0_10empty_typeEEEZNS1_34radix_sort_onesweep_global_offsetsIS3_Lb1EPcPS5_mNS0_19identity_decomposerEEE10hipError_tT1_T2_PT3_SE_jT4_jjP12ihipStream_tbEUlT_E0_NS1_11comp_targetILNS1_3genE10ELNS1_11target_archE1201ELNS1_3gpuE5ELNS1_3repE0EEENS1_52radix_sort_onesweep_histogram_config_static_selectorELNS0_4arch9wavefront6targetE1EEEvSC_,comdat
	.protected	_ZN7rocprim17ROCPRIM_400000_NS6detail17trampoline_kernelINS0_14default_configENS1_35radix_sort_onesweep_config_selectorIcNS0_10empty_typeEEEZNS1_34radix_sort_onesweep_global_offsetsIS3_Lb1EPcPS5_mNS0_19identity_decomposerEEE10hipError_tT1_T2_PT3_SE_jT4_jjP12ihipStream_tbEUlT_E0_NS1_11comp_targetILNS1_3genE10ELNS1_11target_archE1201ELNS1_3gpuE5ELNS1_3repE0EEENS1_52radix_sort_onesweep_histogram_config_static_selectorELNS0_4arch9wavefront6targetE1EEEvSC_ ; -- Begin function _ZN7rocprim17ROCPRIM_400000_NS6detail17trampoline_kernelINS0_14default_configENS1_35radix_sort_onesweep_config_selectorIcNS0_10empty_typeEEEZNS1_34radix_sort_onesweep_global_offsetsIS3_Lb1EPcPS5_mNS0_19identity_decomposerEEE10hipError_tT1_T2_PT3_SE_jT4_jjP12ihipStream_tbEUlT_E0_NS1_11comp_targetILNS1_3genE10ELNS1_11target_archE1201ELNS1_3gpuE5ELNS1_3repE0EEENS1_52radix_sort_onesweep_histogram_config_static_selectorELNS0_4arch9wavefront6targetE1EEEvSC_
	.globl	_ZN7rocprim17ROCPRIM_400000_NS6detail17trampoline_kernelINS0_14default_configENS1_35radix_sort_onesweep_config_selectorIcNS0_10empty_typeEEEZNS1_34radix_sort_onesweep_global_offsetsIS3_Lb1EPcPS5_mNS0_19identity_decomposerEEE10hipError_tT1_T2_PT3_SE_jT4_jjP12ihipStream_tbEUlT_E0_NS1_11comp_targetILNS1_3genE10ELNS1_11target_archE1201ELNS1_3gpuE5ELNS1_3repE0EEENS1_52radix_sort_onesweep_histogram_config_static_selectorELNS0_4arch9wavefront6targetE1EEEvSC_
	.p2align	8
	.type	_ZN7rocprim17ROCPRIM_400000_NS6detail17trampoline_kernelINS0_14default_configENS1_35radix_sort_onesweep_config_selectorIcNS0_10empty_typeEEEZNS1_34radix_sort_onesweep_global_offsetsIS3_Lb1EPcPS5_mNS0_19identity_decomposerEEE10hipError_tT1_T2_PT3_SE_jT4_jjP12ihipStream_tbEUlT_E0_NS1_11comp_targetILNS1_3genE10ELNS1_11target_archE1201ELNS1_3gpuE5ELNS1_3repE0EEENS1_52radix_sort_onesweep_histogram_config_static_selectorELNS0_4arch9wavefront6targetE1EEEvSC_,@function
_ZN7rocprim17ROCPRIM_400000_NS6detail17trampoline_kernelINS0_14default_configENS1_35radix_sort_onesweep_config_selectorIcNS0_10empty_typeEEEZNS1_34radix_sort_onesweep_global_offsetsIS3_Lb1EPcPS5_mNS0_19identity_decomposerEEE10hipError_tT1_T2_PT3_SE_jT4_jjP12ihipStream_tbEUlT_E0_NS1_11comp_targetILNS1_3genE10ELNS1_11target_archE1201ELNS1_3gpuE5ELNS1_3repE0EEENS1_52radix_sort_onesweep_histogram_config_static_selectorELNS0_4arch9wavefront6targetE1EEEvSC_: ; @_ZN7rocprim17ROCPRIM_400000_NS6detail17trampoline_kernelINS0_14default_configENS1_35radix_sort_onesweep_config_selectorIcNS0_10empty_typeEEEZNS1_34radix_sort_onesweep_global_offsetsIS3_Lb1EPcPS5_mNS0_19identity_decomposerEEE10hipError_tT1_T2_PT3_SE_jT4_jjP12ihipStream_tbEUlT_E0_NS1_11comp_targetILNS1_3genE10ELNS1_11target_archE1201ELNS1_3gpuE5ELNS1_3repE0EEENS1_52radix_sort_onesweep_histogram_config_static_selectorELNS0_4arch9wavefront6targetE1EEEvSC_
; %bb.0:
	.section	.rodata,"a",@progbits
	.p2align	6, 0x0
	.amdhsa_kernel _ZN7rocprim17ROCPRIM_400000_NS6detail17trampoline_kernelINS0_14default_configENS1_35radix_sort_onesweep_config_selectorIcNS0_10empty_typeEEEZNS1_34radix_sort_onesweep_global_offsetsIS3_Lb1EPcPS5_mNS0_19identity_decomposerEEE10hipError_tT1_T2_PT3_SE_jT4_jjP12ihipStream_tbEUlT_E0_NS1_11comp_targetILNS1_3genE10ELNS1_11target_archE1201ELNS1_3gpuE5ELNS1_3repE0EEENS1_52radix_sort_onesweep_histogram_config_static_selectorELNS0_4arch9wavefront6targetE1EEEvSC_
		.amdhsa_group_segment_fixed_size 0
		.amdhsa_private_segment_fixed_size 0
		.amdhsa_kernarg_size 8
		.amdhsa_user_sgpr_count 6
		.amdhsa_user_sgpr_private_segment_buffer 1
		.amdhsa_user_sgpr_dispatch_ptr 0
		.amdhsa_user_sgpr_queue_ptr 0
		.amdhsa_user_sgpr_kernarg_segment_ptr 1
		.amdhsa_user_sgpr_dispatch_id 0
		.amdhsa_user_sgpr_flat_scratch_init 0
		.amdhsa_user_sgpr_kernarg_preload_length 0
		.amdhsa_user_sgpr_kernarg_preload_offset 0
		.amdhsa_user_sgpr_private_segment_size 0
		.amdhsa_uses_dynamic_stack 0
		.amdhsa_system_sgpr_private_segment_wavefront_offset 0
		.amdhsa_system_sgpr_workgroup_id_x 1
		.amdhsa_system_sgpr_workgroup_id_y 0
		.amdhsa_system_sgpr_workgroup_id_z 0
		.amdhsa_system_sgpr_workgroup_info 0
		.amdhsa_system_vgpr_workitem_id 0
		.amdhsa_next_free_vgpr 1
		.amdhsa_next_free_sgpr 0
		.amdhsa_accum_offset 4
		.amdhsa_reserve_vcc 0
		.amdhsa_reserve_flat_scratch 0
		.amdhsa_float_round_mode_32 0
		.amdhsa_float_round_mode_16_64 0
		.amdhsa_float_denorm_mode_32 3
		.amdhsa_float_denorm_mode_16_64 3
		.amdhsa_dx10_clamp 1
		.amdhsa_ieee_mode 1
		.amdhsa_fp16_overflow 0
		.amdhsa_tg_split 0
		.amdhsa_exception_fp_ieee_invalid_op 0
		.amdhsa_exception_fp_denorm_src 0
		.amdhsa_exception_fp_ieee_div_zero 0
		.amdhsa_exception_fp_ieee_overflow 0
		.amdhsa_exception_fp_ieee_underflow 0
		.amdhsa_exception_fp_ieee_inexact 0
		.amdhsa_exception_int_div_zero 0
	.end_amdhsa_kernel
	.section	.text._ZN7rocprim17ROCPRIM_400000_NS6detail17trampoline_kernelINS0_14default_configENS1_35radix_sort_onesweep_config_selectorIcNS0_10empty_typeEEEZNS1_34radix_sort_onesweep_global_offsetsIS3_Lb1EPcPS5_mNS0_19identity_decomposerEEE10hipError_tT1_T2_PT3_SE_jT4_jjP12ihipStream_tbEUlT_E0_NS1_11comp_targetILNS1_3genE10ELNS1_11target_archE1201ELNS1_3gpuE5ELNS1_3repE0EEENS1_52radix_sort_onesweep_histogram_config_static_selectorELNS0_4arch9wavefront6targetE1EEEvSC_,"axG",@progbits,_ZN7rocprim17ROCPRIM_400000_NS6detail17trampoline_kernelINS0_14default_configENS1_35radix_sort_onesweep_config_selectorIcNS0_10empty_typeEEEZNS1_34radix_sort_onesweep_global_offsetsIS3_Lb1EPcPS5_mNS0_19identity_decomposerEEE10hipError_tT1_T2_PT3_SE_jT4_jjP12ihipStream_tbEUlT_E0_NS1_11comp_targetILNS1_3genE10ELNS1_11target_archE1201ELNS1_3gpuE5ELNS1_3repE0EEENS1_52radix_sort_onesweep_histogram_config_static_selectorELNS0_4arch9wavefront6targetE1EEEvSC_,comdat
.Lfunc_end1544:
	.size	_ZN7rocprim17ROCPRIM_400000_NS6detail17trampoline_kernelINS0_14default_configENS1_35radix_sort_onesweep_config_selectorIcNS0_10empty_typeEEEZNS1_34radix_sort_onesweep_global_offsetsIS3_Lb1EPcPS5_mNS0_19identity_decomposerEEE10hipError_tT1_T2_PT3_SE_jT4_jjP12ihipStream_tbEUlT_E0_NS1_11comp_targetILNS1_3genE10ELNS1_11target_archE1201ELNS1_3gpuE5ELNS1_3repE0EEENS1_52radix_sort_onesweep_histogram_config_static_selectorELNS0_4arch9wavefront6targetE1EEEvSC_, .Lfunc_end1544-_ZN7rocprim17ROCPRIM_400000_NS6detail17trampoline_kernelINS0_14default_configENS1_35radix_sort_onesweep_config_selectorIcNS0_10empty_typeEEEZNS1_34radix_sort_onesweep_global_offsetsIS3_Lb1EPcPS5_mNS0_19identity_decomposerEEE10hipError_tT1_T2_PT3_SE_jT4_jjP12ihipStream_tbEUlT_E0_NS1_11comp_targetILNS1_3genE10ELNS1_11target_archE1201ELNS1_3gpuE5ELNS1_3repE0EEENS1_52radix_sort_onesweep_histogram_config_static_selectorELNS0_4arch9wavefront6targetE1EEEvSC_
                                        ; -- End function
	.section	.AMDGPU.csdata,"",@progbits
; Kernel info:
; codeLenInByte = 0
; NumSgprs: 4
; NumVgprs: 0
; NumAgprs: 0
; TotalNumVgprs: 0
; ScratchSize: 0
; MemoryBound: 0
; FloatMode: 240
; IeeeMode: 1
; LDSByteSize: 0 bytes/workgroup (compile time only)
; SGPRBlocks: 0
; VGPRBlocks: 0
; NumSGPRsForWavesPerEU: 4
; NumVGPRsForWavesPerEU: 1
; AccumOffset: 4
; Occupancy: 8
; WaveLimiterHint : 0
; COMPUTE_PGM_RSRC2:SCRATCH_EN: 0
; COMPUTE_PGM_RSRC2:USER_SGPR: 6
; COMPUTE_PGM_RSRC2:TRAP_HANDLER: 0
; COMPUTE_PGM_RSRC2:TGID_X_EN: 1
; COMPUTE_PGM_RSRC2:TGID_Y_EN: 0
; COMPUTE_PGM_RSRC2:TGID_Z_EN: 0
; COMPUTE_PGM_RSRC2:TIDIG_COMP_CNT: 0
; COMPUTE_PGM_RSRC3_GFX90A:ACCUM_OFFSET: 0
; COMPUTE_PGM_RSRC3_GFX90A:TG_SPLIT: 0
	.section	.text._ZN7rocprim17ROCPRIM_400000_NS6detail17trampoline_kernelINS0_14default_configENS1_35radix_sort_onesweep_config_selectorIcNS0_10empty_typeEEEZNS1_34radix_sort_onesweep_global_offsetsIS3_Lb1EPcPS5_mNS0_19identity_decomposerEEE10hipError_tT1_T2_PT3_SE_jT4_jjP12ihipStream_tbEUlT_E0_NS1_11comp_targetILNS1_3genE9ELNS1_11target_archE1100ELNS1_3gpuE3ELNS1_3repE0EEENS1_52radix_sort_onesweep_histogram_config_static_selectorELNS0_4arch9wavefront6targetE1EEEvSC_,"axG",@progbits,_ZN7rocprim17ROCPRIM_400000_NS6detail17trampoline_kernelINS0_14default_configENS1_35radix_sort_onesweep_config_selectorIcNS0_10empty_typeEEEZNS1_34radix_sort_onesweep_global_offsetsIS3_Lb1EPcPS5_mNS0_19identity_decomposerEEE10hipError_tT1_T2_PT3_SE_jT4_jjP12ihipStream_tbEUlT_E0_NS1_11comp_targetILNS1_3genE9ELNS1_11target_archE1100ELNS1_3gpuE3ELNS1_3repE0EEENS1_52radix_sort_onesweep_histogram_config_static_selectorELNS0_4arch9wavefront6targetE1EEEvSC_,comdat
	.protected	_ZN7rocprim17ROCPRIM_400000_NS6detail17trampoline_kernelINS0_14default_configENS1_35radix_sort_onesweep_config_selectorIcNS0_10empty_typeEEEZNS1_34radix_sort_onesweep_global_offsetsIS3_Lb1EPcPS5_mNS0_19identity_decomposerEEE10hipError_tT1_T2_PT3_SE_jT4_jjP12ihipStream_tbEUlT_E0_NS1_11comp_targetILNS1_3genE9ELNS1_11target_archE1100ELNS1_3gpuE3ELNS1_3repE0EEENS1_52radix_sort_onesweep_histogram_config_static_selectorELNS0_4arch9wavefront6targetE1EEEvSC_ ; -- Begin function _ZN7rocprim17ROCPRIM_400000_NS6detail17trampoline_kernelINS0_14default_configENS1_35radix_sort_onesweep_config_selectorIcNS0_10empty_typeEEEZNS1_34radix_sort_onesweep_global_offsetsIS3_Lb1EPcPS5_mNS0_19identity_decomposerEEE10hipError_tT1_T2_PT3_SE_jT4_jjP12ihipStream_tbEUlT_E0_NS1_11comp_targetILNS1_3genE9ELNS1_11target_archE1100ELNS1_3gpuE3ELNS1_3repE0EEENS1_52radix_sort_onesweep_histogram_config_static_selectorELNS0_4arch9wavefront6targetE1EEEvSC_
	.globl	_ZN7rocprim17ROCPRIM_400000_NS6detail17trampoline_kernelINS0_14default_configENS1_35radix_sort_onesweep_config_selectorIcNS0_10empty_typeEEEZNS1_34radix_sort_onesweep_global_offsetsIS3_Lb1EPcPS5_mNS0_19identity_decomposerEEE10hipError_tT1_T2_PT3_SE_jT4_jjP12ihipStream_tbEUlT_E0_NS1_11comp_targetILNS1_3genE9ELNS1_11target_archE1100ELNS1_3gpuE3ELNS1_3repE0EEENS1_52radix_sort_onesweep_histogram_config_static_selectorELNS0_4arch9wavefront6targetE1EEEvSC_
	.p2align	8
	.type	_ZN7rocprim17ROCPRIM_400000_NS6detail17trampoline_kernelINS0_14default_configENS1_35radix_sort_onesweep_config_selectorIcNS0_10empty_typeEEEZNS1_34radix_sort_onesweep_global_offsetsIS3_Lb1EPcPS5_mNS0_19identity_decomposerEEE10hipError_tT1_T2_PT3_SE_jT4_jjP12ihipStream_tbEUlT_E0_NS1_11comp_targetILNS1_3genE9ELNS1_11target_archE1100ELNS1_3gpuE3ELNS1_3repE0EEENS1_52radix_sort_onesweep_histogram_config_static_selectorELNS0_4arch9wavefront6targetE1EEEvSC_,@function
_ZN7rocprim17ROCPRIM_400000_NS6detail17trampoline_kernelINS0_14default_configENS1_35radix_sort_onesweep_config_selectorIcNS0_10empty_typeEEEZNS1_34radix_sort_onesweep_global_offsetsIS3_Lb1EPcPS5_mNS0_19identity_decomposerEEE10hipError_tT1_T2_PT3_SE_jT4_jjP12ihipStream_tbEUlT_E0_NS1_11comp_targetILNS1_3genE9ELNS1_11target_archE1100ELNS1_3gpuE3ELNS1_3repE0EEENS1_52radix_sort_onesweep_histogram_config_static_selectorELNS0_4arch9wavefront6targetE1EEEvSC_: ; @_ZN7rocprim17ROCPRIM_400000_NS6detail17trampoline_kernelINS0_14default_configENS1_35radix_sort_onesweep_config_selectorIcNS0_10empty_typeEEEZNS1_34radix_sort_onesweep_global_offsetsIS3_Lb1EPcPS5_mNS0_19identity_decomposerEEE10hipError_tT1_T2_PT3_SE_jT4_jjP12ihipStream_tbEUlT_E0_NS1_11comp_targetILNS1_3genE9ELNS1_11target_archE1100ELNS1_3gpuE3ELNS1_3repE0EEENS1_52radix_sort_onesweep_histogram_config_static_selectorELNS0_4arch9wavefront6targetE1EEEvSC_
; %bb.0:
	.section	.rodata,"a",@progbits
	.p2align	6, 0x0
	.amdhsa_kernel _ZN7rocprim17ROCPRIM_400000_NS6detail17trampoline_kernelINS0_14default_configENS1_35radix_sort_onesweep_config_selectorIcNS0_10empty_typeEEEZNS1_34radix_sort_onesweep_global_offsetsIS3_Lb1EPcPS5_mNS0_19identity_decomposerEEE10hipError_tT1_T2_PT3_SE_jT4_jjP12ihipStream_tbEUlT_E0_NS1_11comp_targetILNS1_3genE9ELNS1_11target_archE1100ELNS1_3gpuE3ELNS1_3repE0EEENS1_52radix_sort_onesweep_histogram_config_static_selectorELNS0_4arch9wavefront6targetE1EEEvSC_
		.amdhsa_group_segment_fixed_size 0
		.amdhsa_private_segment_fixed_size 0
		.amdhsa_kernarg_size 8
		.amdhsa_user_sgpr_count 6
		.amdhsa_user_sgpr_private_segment_buffer 1
		.amdhsa_user_sgpr_dispatch_ptr 0
		.amdhsa_user_sgpr_queue_ptr 0
		.amdhsa_user_sgpr_kernarg_segment_ptr 1
		.amdhsa_user_sgpr_dispatch_id 0
		.amdhsa_user_sgpr_flat_scratch_init 0
		.amdhsa_user_sgpr_kernarg_preload_length 0
		.amdhsa_user_sgpr_kernarg_preload_offset 0
		.amdhsa_user_sgpr_private_segment_size 0
		.amdhsa_uses_dynamic_stack 0
		.amdhsa_system_sgpr_private_segment_wavefront_offset 0
		.amdhsa_system_sgpr_workgroup_id_x 1
		.amdhsa_system_sgpr_workgroup_id_y 0
		.amdhsa_system_sgpr_workgroup_id_z 0
		.amdhsa_system_sgpr_workgroup_info 0
		.amdhsa_system_vgpr_workitem_id 0
		.amdhsa_next_free_vgpr 1
		.amdhsa_next_free_sgpr 0
		.amdhsa_accum_offset 4
		.amdhsa_reserve_vcc 0
		.amdhsa_reserve_flat_scratch 0
		.amdhsa_float_round_mode_32 0
		.amdhsa_float_round_mode_16_64 0
		.amdhsa_float_denorm_mode_32 3
		.amdhsa_float_denorm_mode_16_64 3
		.amdhsa_dx10_clamp 1
		.amdhsa_ieee_mode 1
		.amdhsa_fp16_overflow 0
		.amdhsa_tg_split 0
		.amdhsa_exception_fp_ieee_invalid_op 0
		.amdhsa_exception_fp_denorm_src 0
		.amdhsa_exception_fp_ieee_div_zero 0
		.amdhsa_exception_fp_ieee_overflow 0
		.amdhsa_exception_fp_ieee_underflow 0
		.amdhsa_exception_fp_ieee_inexact 0
		.amdhsa_exception_int_div_zero 0
	.end_amdhsa_kernel
	.section	.text._ZN7rocprim17ROCPRIM_400000_NS6detail17trampoline_kernelINS0_14default_configENS1_35radix_sort_onesweep_config_selectorIcNS0_10empty_typeEEEZNS1_34radix_sort_onesweep_global_offsetsIS3_Lb1EPcPS5_mNS0_19identity_decomposerEEE10hipError_tT1_T2_PT3_SE_jT4_jjP12ihipStream_tbEUlT_E0_NS1_11comp_targetILNS1_3genE9ELNS1_11target_archE1100ELNS1_3gpuE3ELNS1_3repE0EEENS1_52radix_sort_onesweep_histogram_config_static_selectorELNS0_4arch9wavefront6targetE1EEEvSC_,"axG",@progbits,_ZN7rocprim17ROCPRIM_400000_NS6detail17trampoline_kernelINS0_14default_configENS1_35radix_sort_onesweep_config_selectorIcNS0_10empty_typeEEEZNS1_34radix_sort_onesweep_global_offsetsIS3_Lb1EPcPS5_mNS0_19identity_decomposerEEE10hipError_tT1_T2_PT3_SE_jT4_jjP12ihipStream_tbEUlT_E0_NS1_11comp_targetILNS1_3genE9ELNS1_11target_archE1100ELNS1_3gpuE3ELNS1_3repE0EEENS1_52radix_sort_onesweep_histogram_config_static_selectorELNS0_4arch9wavefront6targetE1EEEvSC_,comdat
.Lfunc_end1545:
	.size	_ZN7rocprim17ROCPRIM_400000_NS6detail17trampoline_kernelINS0_14default_configENS1_35radix_sort_onesweep_config_selectorIcNS0_10empty_typeEEEZNS1_34radix_sort_onesweep_global_offsetsIS3_Lb1EPcPS5_mNS0_19identity_decomposerEEE10hipError_tT1_T2_PT3_SE_jT4_jjP12ihipStream_tbEUlT_E0_NS1_11comp_targetILNS1_3genE9ELNS1_11target_archE1100ELNS1_3gpuE3ELNS1_3repE0EEENS1_52radix_sort_onesweep_histogram_config_static_selectorELNS0_4arch9wavefront6targetE1EEEvSC_, .Lfunc_end1545-_ZN7rocprim17ROCPRIM_400000_NS6detail17trampoline_kernelINS0_14default_configENS1_35radix_sort_onesweep_config_selectorIcNS0_10empty_typeEEEZNS1_34radix_sort_onesweep_global_offsetsIS3_Lb1EPcPS5_mNS0_19identity_decomposerEEE10hipError_tT1_T2_PT3_SE_jT4_jjP12ihipStream_tbEUlT_E0_NS1_11comp_targetILNS1_3genE9ELNS1_11target_archE1100ELNS1_3gpuE3ELNS1_3repE0EEENS1_52radix_sort_onesweep_histogram_config_static_selectorELNS0_4arch9wavefront6targetE1EEEvSC_
                                        ; -- End function
	.section	.AMDGPU.csdata,"",@progbits
; Kernel info:
; codeLenInByte = 0
; NumSgprs: 4
; NumVgprs: 0
; NumAgprs: 0
; TotalNumVgprs: 0
; ScratchSize: 0
; MemoryBound: 0
; FloatMode: 240
; IeeeMode: 1
; LDSByteSize: 0 bytes/workgroup (compile time only)
; SGPRBlocks: 0
; VGPRBlocks: 0
; NumSGPRsForWavesPerEU: 4
; NumVGPRsForWavesPerEU: 1
; AccumOffset: 4
; Occupancy: 8
; WaveLimiterHint : 0
; COMPUTE_PGM_RSRC2:SCRATCH_EN: 0
; COMPUTE_PGM_RSRC2:USER_SGPR: 6
; COMPUTE_PGM_RSRC2:TRAP_HANDLER: 0
; COMPUTE_PGM_RSRC2:TGID_X_EN: 1
; COMPUTE_PGM_RSRC2:TGID_Y_EN: 0
; COMPUTE_PGM_RSRC2:TGID_Z_EN: 0
; COMPUTE_PGM_RSRC2:TIDIG_COMP_CNT: 0
; COMPUTE_PGM_RSRC3_GFX90A:ACCUM_OFFSET: 0
; COMPUTE_PGM_RSRC3_GFX90A:TG_SPLIT: 0
	.section	.text._ZN7rocprim17ROCPRIM_400000_NS6detail17trampoline_kernelINS0_14default_configENS1_35radix_sort_onesweep_config_selectorIcNS0_10empty_typeEEEZNS1_34radix_sort_onesweep_global_offsetsIS3_Lb1EPcPS5_mNS0_19identity_decomposerEEE10hipError_tT1_T2_PT3_SE_jT4_jjP12ihipStream_tbEUlT_E0_NS1_11comp_targetILNS1_3genE8ELNS1_11target_archE1030ELNS1_3gpuE2ELNS1_3repE0EEENS1_52radix_sort_onesweep_histogram_config_static_selectorELNS0_4arch9wavefront6targetE1EEEvSC_,"axG",@progbits,_ZN7rocprim17ROCPRIM_400000_NS6detail17trampoline_kernelINS0_14default_configENS1_35radix_sort_onesweep_config_selectorIcNS0_10empty_typeEEEZNS1_34radix_sort_onesweep_global_offsetsIS3_Lb1EPcPS5_mNS0_19identity_decomposerEEE10hipError_tT1_T2_PT3_SE_jT4_jjP12ihipStream_tbEUlT_E0_NS1_11comp_targetILNS1_3genE8ELNS1_11target_archE1030ELNS1_3gpuE2ELNS1_3repE0EEENS1_52radix_sort_onesweep_histogram_config_static_selectorELNS0_4arch9wavefront6targetE1EEEvSC_,comdat
	.protected	_ZN7rocprim17ROCPRIM_400000_NS6detail17trampoline_kernelINS0_14default_configENS1_35radix_sort_onesweep_config_selectorIcNS0_10empty_typeEEEZNS1_34radix_sort_onesweep_global_offsetsIS3_Lb1EPcPS5_mNS0_19identity_decomposerEEE10hipError_tT1_T2_PT3_SE_jT4_jjP12ihipStream_tbEUlT_E0_NS1_11comp_targetILNS1_3genE8ELNS1_11target_archE1030ELNS1_3gpuE2ELNS1_3repE0EEENS1_52radix_sort_onesweep_histogram_config_static_selectorELNS0_4arch9wavefront6targetE1EEEvSC_ ; -- Begin function _ZN7rocprim17ROCPRIM_400000_NS6detail17trampoline_kernelINS0_14default_configENS1_35radix_sort_onesweep_config_selectorIcNS0_10empty_typeEEEZNS1_34radix_sort_onesweep_global_offsetsIS3_Lb1EPcPS5_mNS0_19identity_decomposerEEE10hipError_tT1_T2_PT3_SE_jT4_jjP12ihipStream_tbEUlT_E0_NS1_11comp_targetILNS1_3genE8ELNS1_11target_archE1030ELNS1_3gpuE2ELNS1_3repE0EEENS1_52radix_sort_onesweep_histogram_config_static_selectorELNS0_4arch9wavefront6targetE1EEEvSC_
	.globl	_ZN7rocprim17ROCPRIM_400000_NS6detail17trampoline_kernelINS0_14default_configENS1_35radix_sort_onesweep_config_selectorIcNS0_10empty_typeEEEZNS1_34radix_sort_onesweep_global_offsetsIS3_Lb1EPcPS5_mNS0_19identity_decomposerEEE10hipError_tT1_T2_PT3_SE_jT4_jjP12ihipStream_tbEUlT_E0_NS1_11comp_targetILNS1_3genE8ELNS1_11target_archE1030ELNS1_3gpuE2ELNS1_3repE0EEENS1_52radix_sort_onesweep_histogram_config_static_selectorELNS0_4arch9wavefront6targetE1EEEvSC_
	.p2align	8
	.type	_ZN7rocprim17ROCPRIM_400000_NS6detail17trampoline_kernelINS0_14default_configENS1_35radix_sort_onesweep_config_selectorIcNS0_10empty_typeEEEZNS1_34radix_sort_onesweep_global_offsetsIS3_Lb1EPcPS5_mNS0_19identity_decomposerEEE10hipError_tT1_T2_PT3_SE_jT4_jjP12ihipStream_tbEUlT_E0_NS1_11comp_targetILNS1_3genE8ELNS1_11target_archE1030ELNS1_3gpuE2ELNS1_3repE0EEENS1_52radix_sort_onesweep_histogram_config_static_selectorELNS0_4arch9wavefront6targetE1EEEvSC_,@function
_ZN7rocprim17ROCPRIM_400000_NS6detail17trampoline_kernelINS0_14default_configENS1_35radix_sort_onesweep_config_selectorIcNS0_10empty_typeEEEZNS1_34radix_sort_onesweep_global_offsetsIS3_Lb1EPcPS5_mNS0_19identity_decomposerEEE10hipError_tT1_T2_PT3_SE_jT4_jjP12ihipStream_tbEUlT_E0_NS1_11comp_targetILNS1_3genE8ELNS1_11target_archE1030ELNS1_3gpuE2ELNS1_3repE0EEENS1_52radix_sort_onesweep_histogram_config_static_selectorELNS0_4arch9wavefront6targetE1EEEvSC_: ; @_ZN7rocprim17ROCPRIM_400000_NS6detail17trampoline_kernelINS0_14default_configENS1_35radix_sort_onesweep_config_selectorIcNS0_10empty_typeEEEZNS1_34radix_sort_onesweep_global_offsetsIS3_Lb1EPcPS5_mNS0_19identity_decomposerEEE10hipError_tT1_T2_PT3_SE_jT4_jjP12ihipStream_tbEUlT_E0_NS1_11comp_targetILNS1_3genE8ELNS1_11target_archE1030ELNS1_3gpuE2ELNS1_3repE0EEENS1_52radix_sort_onesweep_histogram_config_static_selectorELNS0_4arch9wavefront6targetE1EEEvSC_
; %bb.0:
	.section	.rodata,"a",@progbits
	.p2align	6, 0x0
	.amdhsa_kernel _ZN7rocprim17ROCPRIM_400000_NS6detail17trampoline_kernelINS0_14default_configENS1_35radix_sort_onesweep_config_selectorIcNS0_10empty_typeEEEZNS1_34radix_sort_onesweep_global_offsetsIS3_Lb1EPcPS5_mNS0_19identity_decomposerEEE10hipError_tT1_T2_PT3_SE_jT4_jjP12ihipStream_tbEUlT_E0_NS1_11comp_targetILNS1_3genE8ELNS1_11target_archE1030ELNS1_3gpuE2ELNS1_3repE0EEENS1_52radix_sort_onesweep_histogram_config_static_selectorELNS0_4arch9wavefront6targetE1EEEvSC_
		.amdhsa_group_segment_fixed_size 0
		.amdhsa_private_segment_fixed_size 0
		.amdhsa_kernarg_size 8
		.amdhsa_user_sgpr_count 6
		.amdhsa_user_sgpr_private_segment_buffer 1
		.amdhsa_user_sgpr_dispatch_ptr 0
		.amdhsa_user_sgpr_queue_ptr 0
		.amdhsa_user_sgpr_kernarg_segment_ptr 1
		.amdhsa_user_sgpr_dispatch_id 0
		.amdhsa_user_sgpr_flat_scratch_init 0
		.amdhsa_user_sgpr_kernarg_preload_length 0
		.amdhsa_user_sgpr_kernarg_preload_offset 0
		.amdhsa_user_sgpr_private_segment_size 0
		.amdhsa_uses_dynamic_stack 0
		.amdhsa_system_sgpr_private_segment_wavefront_offset 0
		.amdhsa_system_sgpr_workgroup_id_x 1
		.amdhsa_system_sgpr_workgroup_id_y 0
		.amdhsa_system_sgpr_workgroup_id_z 0
		.amdhsa_system_sgpr_workgroup_info 0
		.amdhsa_system_vgpr_workitem_id 0
		.amdhsa_next_free_vgpr 1
		.amdhsa_next_free_sgpr 0
		.amdhsa_accum_offset 4
		.amdhsa_reserve_vcc 0
		.amdhsa_reserve_flat_scratch 0
		.amdhsa_float_round_mode_32 0
		.amdhsa_float_round_mode_16_64 0
		.amdhsa_float_denorm_mode_32 3
		.amdhsa_float_denorm_mode_16_64 3
		.amdhsa_dx10_clamp 1
		.amdhsa_ieee_mode 1
		.amdhsa_fp16_overflow 0
		.amdhsa_tg_split 0
		.amdhsa_exception_fp_ieee_invalid_op 0
		.amdhsa_exception_fp_denorm_src 0
		.amdhsa_exception_fp_ieee_div_zero 0
		.amdhsa_exception_fp_ieee_overflow 0
		.amdhsa_exception_fp_ieee_underflow 0
		.amdhsa_exception_fp_ieee_inexact 0
		.amdhsa_exception_int_div_zero 0
	.end_amdhsa_kernel
	.section	.text._ZN7rocprim17ROCPRIM_400000_NS6detail17trampoline_kernelINS0_14default_configENS1_35radix_sort_onesweep_config_selectorIcNS0_10empty_typeEEEZNS1_34radix_sort_onesweep_global_offsetsIS3_Lb1EPcPS5_mNS0_19identity_decomposerEEE10hipError_tT1_T2_PT3_SE_jT4_jjP12ihipStream_tbEUlT_E0_NS1_11comp_targetILNS1_3genE8ELNS1_11target_archE1030ELNS1_3gpuE2ELNS1_3repE0EEENS1_52radix_sort_onesweep_histogram_config_static_selectorELNS0_4arch9wavefront6targetE1EEEvSC_,"axG",@progbits,_ZN7rocprim17ROCPRIM_400000_NS6detail17trampoline_kernelINS0_14default_configENS1_35radix_sort_onesweep_config_selectorIcNS0_10empty_typeEEEZNS1_34radix_sort_onesweep_global_offsetsIS3_Lb1EPcPS5_mNS0_19identity_decomposerEEE10hipError_tT1_T2_PT3_SE_jT4_jjP12ihipStream_tbEUlT_E0_NS1_11comp_targetILNS1_3genE8ELNS1_11target_archE1030ELNS1_3gpuE2ELNS1_3repE0EEENS1_52radix_sort_onesweep_histogram_config_static_selectorELNS0_4arch9wavefront6targetE1EEEvSC_,comdat
.Lfunc_end1546:
	.size	_ZN7rocprim17ROCPRIM_400000_NS6detail17trampoline_kernelINS0_14default_configENS1_35radix_sort_onesweep_config_selectorIcNS0_10empty_typeEEEZNS1_34radix_sort_onesweep_global_offsetsIS3_Lb1EPcPS5_mNS0_19identity_decomposerEEE10hipError_tT1_T2_PT3_SE_jT4_jjP12ihipStream_tbEUlT_E0_NS1_11comp_targetILNS1_3genE8ELNS1_11target_archE1030ELNS1_3gpuE2ELNS1_3repE0EEENS1_52radix_sort_onesweep_histogram_config_static_selectorELNS0_4arch9wavefront6targetE1EEEvSC_, .Lfunc_end1546-_ZN7rocprim17ROCPRIM_400000_NS6detail17trampoline_kernelINS0_14default_configENS1_35radix_sort_onesweep_config_selectorIcNS0_10empty_typeEEEZNS1_34radix_sort_onesweep_global_offsetsIS3_Lb1EPcPS5_mNS0_19identity_decomposerEEE10hipError_tT1_T2_PT3_SE_jT4_jjP12ihipStream_tbEUlT_E0_NS1_11comp_targetILNS1_3genE8ELNS1_11target_archE1030ELNS1_3gpuE2ELNS1_3repE0EEENS1_52radix_sort_onesweep_histogram_config_static_selectorELNS0_4arch9wavefront6targetE1EEEvSC_
                                        ; -- End function
	.section	.AMDGPU.csdata,"",@progbits
; Kernel info:
; codeLenInByte = 0
; NumSgprs: 4
; NumVgprs: 0
; NumAgprs: 0
; TotalNumVgprs: 0
; ScratchSize: 0
; MemoryBound: 0
; FloatMode: 240
; IeeeMode: 1
; LDSByteSize: 0 bytes/workgroup (compile time only)
; SGPRBlocks: 0
; VGPRBlocks: 0
; NumSGPRsForWavesPerEU: 4
; NumVGPRsForWavesPerEU: 1
; AccumOffset: 4
; Occupancy: 8
; WaveLimiterHint : 0
; COMPUTE_PGM_RSRC2:SCRATCH_EN: 0
; COMPUTE_PGM_RSRC2:USER_SGPR: 6
; COMPUTE_PGM_RSRC2:TRAP_HANDLER: 0
; COMPUTE_PGM_RSRC2:TGID_X_EN: 1
; COMPUTE_PGM_RSRC2:TGID_Y_EN: 0
; COMPUTE_PGM_RSRC2:TGID_Z_EN: 0
; COMPUTE_PGM_RSRC2:TIDIG_COMP_CNT: 0
; COMPUTE_PGM_RSRC3_GFX90A:ACCUM_OFFSET: 0
; COMPUTE_PGM_RSRC3_GFX90A:TG_SPLIT: 0
	.section	.text._ZN7rocprim17ROCPRIM_400000_NS6detail17trampoline_kernelINS0_14default_configENS1_35radix_sort_onesweep_config_selectorIcNS0_10empty_typeEEEZZNS1_29radix_sort_onesweep_iterationIS3_Lb1EPcS8_PS5_S9_mNS0_19identity_decomposerENS1_16block_id_wrapperIjLb1EEEEE10hipError_tT1_PNSt15iterator_traitsISE_E10value_typeET2_T3_PNSF_ISK_E10value_typeET4_T5_PSP_SQ_PNS1_23onesweep_lookback_stateEbbT6_jjT7_P12ihipStream_tbENKUlT_T0_SE_SJ_E_clIS8_S8_S9_S9_EEDaSX_SY_SE_SJ_EUlSX_E_NS1_11comp_targetILNS1_3genE0ELNS1_11target_archE4294967295ELNS1_3gpuE0ELNS1_3repE0EEENS1_47radix_sort_onesweep_sort_config_static_selectorELNS0_4arch9wavefront6targetE1EEEvSE_,"axG",@progbits,_ZN7rocprim17ROCPRIM_400000_NS6detail17trampoline_kernelINS0_14default_configENS1_35radix_sort_onesweep_config_selectorIcNS0_10empty_typeEEEZZNS1_29radix_sort_onesweep_iterationIS3_Lb1EPcS8_PS5_S9_mNS0_19identity_decomposerENS1_16block_id_wrapperIjLb1EEEEE10hipError_tT1_PNSt15iterator_traitsISE_E10value_typeET2_T3_PNSF_ISK_E10value_typeET4_T5_PSP_SQ_PNS1_23onesweep_lookback_stateEbbT6_jjT7_P12ihipStream_tbENKUlT_T0_SE_SJ_E_clIS8_S8_S9_S9_EEDaSX_SY_SE_SJ_EUlSX_E_NS1_11comp_targetILNS1_3genE0ELNS1_11target_archE4294967295ELNS1_3gpuE0ELNS1_3repE0EEENS1_47radix_sort_onesweep_sort_config_static_selectorELNS0_4arch9wavefront6targetE1EEEvSE_,comdat
	.protected	_ZN7rocprim17ROCPRIM_400000_NS6detail17trampoline_kernelINS0_14default_configENS1_35radix_sort_onesweep_config_selectorIcNS0_10empty_typeEEEZZNS1_29radix_sort_onesweep_iterationIS3_Lb1EPcS8_PS5_S9_mNS0_19identity_decomposerENS1_16block_id_wrapperIjLb1EEEEE10hipError_tT1_PNSt15iterator_traitsISE_E10value_typeET2_T3_PNSF_ISK_E10value_typeET4_T5_PSP_SQ_PNS1_23onesweep_lookback_stateEbbT6_jjT7_P12ihipStream_tbENKUlT_T0_SE_SJ_E_clIS8_S8_S9_S9_EEDaSX_SY_SE_SJ_EUlSX_E_NS1_11comp_targetILNS1_3genE0ELNS1_11target_archE4294967295ELNS1_3gpuE0ELNS1_3repE0EEENS1_47radix_sort_onesweep_sort_config_static_selectorELNS0_4arch9wavefront6targetE1EEEvSE_ ; -- Begin function _ZN7rocprim17ROCPRIM_400000_NS6detail17trampoline_kernelINS0_14default_configENS1_35radix_sort_onesweep_config_selectorIcNS0_10empty_typeEEEZZNS1_29radix_sort_onesweep_iterationIS3_Lb1EPcS8_PS5_S9_mNS0_19identity_decomposerENS1_16block_id_wrapperIjLb1EEEEE10hipError_tT1_PNSt15iterator_traitsISE_E10value_typeET2_T3_PNSF_ISK_E10value_typeET4_T5_PSP_SQ_PNS1_23onesweep_lookback_stateEbbT6_jjT7_P12ihipStream_tbENKUlT_T0_SE_SJ_E_clIS8_S8_S9_S9_EEDaSX_SY_SE_SJ_EUlSX_E_NS1_11comp_targetILNS1_3genE0ELNS1_11target_archE4294967295ELNS1_3gpuE0ELNS1_3repE0EEENS1_47radix_sort_onesweep_sort_config_static_selectorELNS0_4arch9wavefront6targetE1EEEvSE_
	.globl	_ZN7rocprim17ROCPRIM_400000_NS6detail17trampoline_kernelINS0_14default_configENS1_35radix_sort_onesweep_config_selectorIcNS0_10empty_typeEEEZZNS1_29radix_sort_onesweep_iterationIS3_Lb1EPcS8_PS5_S9_mNS0_19identity_decomposerENS1_16block_id_wrapperIjLb1EEEEE10hipError_tT1_PNSt15iterator_traitsISE_E10value_typeET2_T3_PNSF_ISK_E10value_typeET4_T5_PSP_SQ_PNS1_23onesweep_lookback_stateEbbT6_jjT7_P12ihipStream_tbENKUlT_T0_SE_SJ_E_clIS8_S8_S9_S9_EEDaSX_SY_SE_SJ_EUlSX_E_NS1_11comp_targetILNS1_3genE0ELNS1_11target_archE4294967295ELNS1_3gpuE0ELNS1_3repE0EEENS1_47radix_sort_onesweep_sort_config_static_selectorELNS0_4arch9wavefront6targetE1EEEvSE_
	.p2align	8
	.type	_ZN7rocprim17ROCPRIM_400000_NS6detail17trampoline_kernelINS0_14default_configENS1_35radix_sort_onesweep_config_selectorIcNS0_10empty_typeEEEZZNS1_29radix_sort_onesweep_iterationIS3_Lb1EPcS8_PS5_S9_mNS0_19identity_decomposerENS1_16block_id_wrapperIjLb1EEEEE10hipError_tT1_PNSt15iterator_traitsISE_E10value_typeET2_T3_PNSF_ISK_E10value_typeET4_T5_PSP_SQ_PNS1_23onesweep_lookback_stateEbbT6_jjT7_P12ihipStream_tbENKUlT_T0_SE_SJ_E_clIS8_S8_S9_S9_EEDaSX_SY_SE_SJ_EUlSX_E_NS1_11comp_targetILNS1_3genE0ELNS1_11target_archE4294967295ELNS1_3gpuE0ELNS1_3repE0EEENS1_47radix_sort_onesweep_sort_config_static_selectorELNS0_4arch9wavefront6targetE1EEEvSE_,@function
_ZN7rocprim17ROCPRIM_400000_NS6detail17trampoline_kernelINS0_14default_configENS1_35radix_sort_onesweep_config_selectorIcNS0_10empty_typeEEEZZNS1_29radix_sort_onesweep_iterationIS3_Lb1EPcS8_PS5_S9_mNS0_19identity_decomposerENS1_16block_id_wrapperIjLb1EEEEE10hipError_tT1_PNSt15iterator_traitsISE_E10value_typeET2_T3_PNSF_ISK_E10value_typeET4_T5_PSP_SQ_PNS1_23onesweep_lookback_stateEbbT6_jjT7_P12ihipStream_tbENKUlT_T0_SE_SJ_E_clIS8_S8_S9_S9_EEDaSX_SY_SE_SJ_EUlSX_E_NS1_11comp_targetILNS1_3genE0ELNS1_11target_archE4294967295ELNS1_3gpuE0ELNS1_3repE0EEENS1_47radix_sort_onesweep_sort_config_static_selectorELNS0_4arch9wavefront6targetE1EEEvSE_: ; @_ZN7rocprim17ROCPRIM_400000_NS6detail17trampoline_kernelINS0_14default_configENS1_35radix_sort_onesweep_config_selectorIcNS0_10empty_typeEEEZZNS1_29radix_sort_onesweep_iterationIS3_Lb1EPcS8_PS5_S9_mNS0_19identity_decomposerENS1_16block_id_wrapperIjLb1EEEEE10hipError_tT1_PNSt15iterator_traitsISE_E10value_typeET2_T3_PNSF_ISK_E10value_typeET4_T5_PSP_SQ_PNS1_23onesweep_lookback_stateEbbT6_jjT7_P12ihipStream_tbENKUlT_T0_SE_SJ_E_clIS8_S8_S9_S9_EEDaSX_SY_SE_SJ_EUlSX_E_NS1_11comp_targetILNS1_3genE0ELNS1_11target_archE4294967295ELNS1_3gpuE0ELNS1_3repE0EEENS1_47radix_sort_onesweep_sort_config_static_selectorELNS0_4arch9wavefront6targetE1EEEvSE_
; %bb.0:
	.section	.rodata,"a",@progbits
	.p2align	6, 0x0
	.amdhsa_kernel _ZN7rocprim17ROCPRIM_400000_NS6detail17trampoline_kernelINS0_14default_configENS1_35radix_sort_onesweep_config_selectorIcNS0_10empty_typeEEEZZNS1_29radix_sort_onesweep_iterationIS3_Lb1EPcS8_PS5_S9_mNS0_19identity_decomposerENS1_16block_id_wrapperIjLb1EEEEE10hipError_tT1_PNSt15iterator_traitsISE_E10value_typeET2_T3_PNSF_ISK_E10value_typeET4_T5_PSP_SQ_PNS1_23onesweep_lookback_stateEbbT6_jjT7_P12ihipStream_tbENKUlT_T0_SE_SJ_E_clIS8_S8_S9_S9_EEDaSX_SY_SE_SJ_EUlSX_E_NS1_11comp_targetILNS1_3genE0ELNS1_11target_archE4294967295ELNS1_3gpuE0ELNS1_3repE0EEENS1_47radix_sort_onesweep_sort_config_static_selectorELNS0_4arch9wavefront6targetE1EEEvSE_
		.amdhsa_group_segment_fixed_size 0
		.amdhsa_private_segment_fixed_size 0
		.amdhsa_kernarg_size 88
		.amdhsa_user_sgpr_count 6
		.amdhsa_user_sgpr_private_segment_buffer 1
		.amdhsa_user_sgpr_dispatch_ptr 0
		.amdhsa_user_sgpr_queue_ptr 0
		.amdhsa_user_sgpr_kernarg_segment_ptr 1
		.amdhsa_user_sgpr_dispatch_id 0
		.amdhsa_user_sgpr_flat_scratch_init 0
		.amdhsa_user_sgpr_kernarg_preload_length 0
		.amdhsa_user_sgpr_kernarg_preload_offset 0
		.amdhsa_user_sgpr_private_segment_size 0
		.amdhsa_uses_dynamic_stack 0
		.amdhsa_system_sgpr_private_segment_wavefront_offset 0
		.amdhsa_system_sgpr_workgroup_id_x 1
		.amdhsa_system_sgpr_workgroup_id_y 0
		.amdhsa_system_sgpr_workgroup_id_z 0
		.amdhsa_system_sgpr_workgroup_info 0
		.amdhsa_system_vgpr_workitem_id 0
		.amdhsa_next_free_vgpr 1
		.amdhsa_next_free_sgpr 0
		.amdhsa_accum_offset 4
		.amdhsa_reserve_vcc 0
		.amdhsa_reserve_flat_scratch 0
		.amdhsa_float_round_mode_32 0
		.amdhsa_float_round_mode_16_64 0
		.amdhsa_float_denorm_mode_32 3
		.amdhsa_float_denorm_mode_16_64 3
		.amdhsa_dx10_clamp 1
		.amdhsa_ieee_mode 1
		.amdhsa_fp16_overflow 0
		.amdhsa_tg_split 0
		.amdhsa_exception_fp_ieee_invalid_op 0
		.amdhsa_exception_fp_denorm_src 0
		.amdhsa_exception_fp_ieee_div_zero 0
		.amdhsa_exception_fp_ieee_overflow 0
		.amdhsa_exception_fp_ieee_underflow 0
		.amdhsa_exception_fp_ieee_inexact 0
		.amdhsa_exception_int_div_zero 0
	.end_amdhsa_kernel
	.section	.text._ZN7rocprim17ROCPRIM_400000_NS6detail17trampoline_kernelINS0_14default_configENS1_35radix_sort_onesweep_config_selectorIcNS0_10empty_typeEEEZZNS1_29radix_sort_onesweep_iterationIS3_Lb1EPcS8_PS5_S9_mNS0_19identity_decomposerENS1_16block_id_wrapperIjLb1EEEEE10hipError_tT1_PNSt15iterator_traitsISE_E10value_typeET2_T3_PNSF_ISK_E10value_typeET4_T5_PSP_SQ_PNS1_23onesweep_lookback_stateEbbT6_jjT7_P12ihipStream_tbENKUlT_T0_SE_SJ_E_clIS8_S8_S9_S9_EEDaSX_SY_SE_SJ_EUlSX_E_NS1_11comp_targetILNS1_3genE0ELNS1_11target_archE4294967295ELNS1_3gpuE0ELNS1_3repE0EEENS1_47radix_sort_onesweep_sort_config_static_selectorELNS0_4arch9wavefront6targetE1EEEvSE_,"axG",@progbits,_ZN7rocprim17ROCPRIM_400000_NS6detail17trampoline_kernelINS0_14default_configENS1_35radix_sort_onesweep_config_selectorIcNS0_10empty_typeEEEZZNS1_29radix_sort_onesweep_iterationIS3_Lb1EPcS8_PS5_S9_mNS0_19identity_decomposerENS1_16block_id_wrapperIjLb1EEEEE10hipError_tT1_PNSt15iterator_traitsISE_E10value_typeET2_T3_PNSF_ISK_E10value_typeET4_T5_PSP_SQ_PNS1_23onesweep_lookback_stateEbbT6_jjT7_P12ihipStream_tbENKUlT_T0_SE_SJ_E_clIS8_S8_S9_S9_EEDaSX_SY_SE_SJ_EUlSX_E_NS1_11comp_targetILNS1_3genE0ELNS1_11target_archE4294967295ELNS1_3gpuE0ELNS1_3repE0EEENS1_47radix_sort_onesweep_sort_config_static_selectorELNS0_4arch9wavefront6targetE1EEEvSE_,comdat
.Lfunc_end1547:
	.size	_ZN7rocprim17ROCPRIM_400000_NS6detail17trampoline_kernelINS0_14default_configENS1_35radix_sort_onesweep_config_selectorIcNS0_10empty_typeEEEZZNS1_29radix_sort_onesweep_iterationIS3_Lb1EPcS8_PS5_S9_mNS0_19identity_decomposerENS1_16block_id_wrapperIjLb1EEEEE10hipError_tT1_PNSt15iterator_traitsISE_E10value_typeET2_T3_PNSF_ISK_E10value_typeET4_T5_PSP_SQ_PNS1_23onesweep_lookback_stateEbbT6_jjT7_P12ihipStream_tbENKUlT_T0_SE_SJ_E_clIS8_S8_S9_S9_EEDaSX_SY_SE_SJ_EUlSX_E_NS1_11comp_targetILNS1_3genE0ELNS1_11target_archE4294967295ELNS1_3gpuE0ELNS1_3repE0EEENS1_47radix_sort_onesweep_sort_config_static_selectorELNS0_4arch9wavefront6targetE1EEEvSE_, .Lfunc_end1547-_ZN7rocprim17ROCPRIM_400000_NS6detail17trampoline_kernelINS0_14default_configENS1_35radix_sort_onesweep_config_selectorIcNS0_10empty_typeEEEZZNS1_29radix_sort_onesweep_iterationIS3_Lb1EPcS8_PS5_S9_mNS0_19identity_decomposerENS1_16block_id_wrapperIjLb1EEEEE10hipError_tT1_PNSt15iterator_traitsISE_E10value_typeET2_T3_PNSF_ISK_E10value_typeET4_T5_PSP_SQ_PNS1_23onesweep_lookback_stateEbbT6_jjT7_P12ihipStream_tbENKUlT_T0_SE_SJ_E_clIS8_S8_S9_S9_EEDaSX_SY_SE_SJ_EUlSX_E_NS1_11comp_targetILNS1_3genE0ELNS1_11target_archE4294967295ELNS1_3gpuE0ELNS1_3repE0EEENS1_47radix_sort_onesweep_sort_config_static_selectorELNS0_4arch9wavefront6targetE1EEEvSE_
                                        ; -- End function
	.section	.AMDGPU.csdata,"",@progbits
; Kernel info:
; codeLenInByte = 0
; NumSgprs: 4
; NumVgprs: 0
; NumAgprs: 0
; TotalNumVgprs: 0
; ScratchSize: 0
; MemoryBound: 0
; FloatMode: 240
; IeeeMode: 1
; LDSByteSize: 0 bytes/workgroup (compile time only)
; SGPRBlocks: 0
; VGPRBlocks: 0
; NumSGPRsForWavesPerEU: 4
; NumVGPRsForWavesPerEU: 1
; AccumOffset: 4
; Occupancy: 8
; WaveLimiterHint : 0
; COMPUTE_PGM_RSRC2:SCRATCH_EN: 0
; COMPUTE_PGM_RSRC2:USER_SGPR: 6
; COMPUTE_PGM_RSRC2:TRAP_HANDLER: 0
; COMPUTE_PGM_RSRC2:TGID_X_EN: 1
; COMPUTE_PGM_RSRC2:TGID_Y_EN: 0
; COMPUTE_PGM_RSRC2:TGID_Z_EN: 0
; COMPUTE_PGM_RSRC2:TIDIG_COMP_CNT: 0
; COMPUTE_PGM_RSRC3_GFX90A:ACCUM_OFFSET: 0
; COMPUTE_PGM_RSRC3_GFX90A:TG_SPLIT: 0
	.section	.text._ZN7rocprim17ROCPRIM_400000_NS6detail17trampoline_kernelINS0_14default_configENS1_35radix_sort_onesweep_config_selectorIcNS0_10empty_typeEEEZZNS1_29radix_sort_onesweep_iterationIS3_Lb1EPcS8_PS5_S9_mNS0_19identity_decomposerENS1_16block_id_wrapperIjLb1EEEEE10hipError_tT1_PNSt15iterator_traitsISE_E10value_typeET2_T3_PNSF_ISK_E10value_typeET4_T5_PSP_SQ_PNS1_23onesweep_lookback_stateEbbT6_jjT7_P12ihipStream_tbENKUlT_T0_SE_SJ_E_clIS8_S8_S9_S9_EEDaSX_SY_SE_SJ_EUlSX_E_NS1_11comp_targetILNS1_3genE6ELNS1_11target_archE950ELNS1_3gpuE13ELNS1_3repE0EEENS1_47radix_sort_onesweep_sort_config_static_selectorELNS0_4arch9wavefront6targetE1EEEvSE_,"axG",@progbits,_ZN7rocprim17ROCPRIM_400000_NS6detail17trampoline_kernelINS0_14default_configENS1_35radix_sort_onesweep_config_selectorIcNS0_10empty_typeEEEZZNS1_29radix_sort_onesweep_iterationIS3_Lb1EPcS8_PS5_S9_mNS0_19identity_decomposerENS1_16block_id_wrapperIjLb1EEEEE10hipError_tT1_PNSt15iterator_traitsISE_E10value_typeET2_T3_PNSF_ISK_E10value_typeET4_T5_PSP_SQ_PNS1_23onesweep_lookback_stateEbbT6_jjT7_P12ihipStream_tbENKUlT_T0_SE_SJ_E_clIS8_S8_S9_S9_EEDaSX_SY_SE_SJ_EUlSX_E_NS1_11comp_targetILNS1_3genE6ELNS1_11target_archE950ELNS1_3gpuE13ELNS1_3repE0EEENS1_47radix_sort_onesweep_sort_config_static_selectorELNS0_4arch9wavefront6targetE1EEEvSE_,comdat
	.protected	_ZN7rocprim17ROCPRIM_400000_NS6detail17trampoline_kernelINS0_14default_configENS1_35radix_sort_onesweep_config_selectorIcNS0_10empty_typeEEEZZNS1_29radix_sort_onesweep_iterationIS3_Lb1EPcS8_PS5_S9_mNS0_19identity_decomposerENS1_16block_id_wrapperIjLb1EEEEE10hipError_tT1_PNSt15iterator_traitsISE_E10value_typeET2_T3_PNSF_ISK_E10value_typeET4_T5_PSP_SQ_PNS1_23onesweep_lookback_stateEbbT6_jjT7_P12ihipStream_tbENKUlT_T0_SE_SJ_E_clIS8_S8_S9_S9_EEDaSX_SY_SE_SJ_EUlSX_E_NS1_11comp_targetILNS1_3genE6ELNS1_11target_archE950ELNS1_3gpuE13ELNS1_3repE0EEENS1_47radix_sort_onesweep_sort_config_static_selectorELNS0_4arch9wavefront6targetE1EEEvSE_ ; -- Begin function _ZN7rocprim17ROCPRIM_400000_NS6detail17trampoline_kernelINS0_14default_configENS1_35radix_sort_onesweep_config_selectorIcNS0_10empty_typeEEEZZNS1_29radix_sort_onesweep_iterationIS3_Lb1EPcS8_PS5_S9_mNS0_19identity_decomposerENS1_16block_id_wrapperIjLb1EEEEE10hipError_tT1_PNSt15iterator_traitsISE_E10value_typeET2_T3_PNSF_ISK_E10value_typeET4_T5_PSP_SQ_PNS1_23onesweep_lookback_stateEbbT6_jjT7_P12ihipStream_tbENKUlT_T0_SE_SJ_E_clIS8_S8_S9_S9_EEDaSX_SY_SE_SJ_EUlSX_E_NS1_11comp_targetILNS1_3genE6ELNS1_11target_archE950ELNS1_3gpuE13ELNS1_3repE0EEENS1_47radix_sort_onesweep_sort_config_static_selectorELNS0_4arch9wavefront6targetE1EEEvSE_
	.globl	_ZN7rocprim17ROCPRIM_400000_NS6detail17trampoline_kernelINS0_14default_configENS1_35radix_sort_onesweep_config_selectorIcNS0_10empty_typeEEEZZNS1_29radix_sort_onesweep_iterationIS3_Lb1EPcS8_PS5_S9_mNS0_19identity_decomposerENS1_16block_id_wrapperIjLb1EEEEE10hipError_tT1_PNSt15iterator_traitsISE_E10value_typeET2_T3_PNSF_ISK_E10value_typeET4_T5_PSP_SQ_PNS1_23onesweep_lookback_stateEbbT6_jjT7_P12ihipStream_tbENKUlT_T0_SE_SJ_E_clIS8_S8_S9_S9_EEDaSX_SY_SE_SJ_EUlSX_E_NS1_11comp_targetILNS1_3genE6ELNS1_11target_archE950ELNS1_3gpuE13ELNS1_3repE0EEENS1_47radix_sort_onesweep_sort_config_static_selectorELNS0_4arch9wavefront6targetE1EEEvSE_
	.p2align	8
	.type	_ZN7rocprim17ROCPRIM_400000_NS6detail17trampoline_kernelINS0_14default_configENS1_35radix_sort_onesweep_config_selectorIcNS0_10empty_typeEEEZZNS1_29radix_sort_onesweep_iterationIS3_Lb1EPcS8_PS5_S9_mNS0_19identity_decomposerENS1_16block_id_wrapperIjLb1EEEEE10hipError_tT1_PNSt15iterator_traitsISE_E10value_typeET2_T3_PNSF_ISK_E10value_typeET4_T5_PSP_SQ_PNS1_23onesweep_lookback_stateEbbT6_jjT7_P12ihipStream_tbENKUlT_T0_SE_SJ_E_clIS8_S8_S9_S9_EEDaSX_SY_SE_SJ_EUlSX_E_NS1_11comp_targetILNS1_3genE6ELNS1_11target_archE950ELNS1_3gpuE13ELNS1_3repE0EEENS1_47radix_sort_onesweep_sort_config_static_selectorELNS0_4arch9wavefront6targetE1EEEvSE_,@function
_ZN7rocprim17ROCPRIM_400000_NS6detail17trampoline_kernelINS0_14default_configENS1_35radix_sort_onesweep_config_selectorIcNS0_10empty_typeEEEZZNS1_29radix_sort_onesweep_iterationIS3_Lb1EPcS8_PS5_S9_mNS0_19identity_decomposerENS1_16block_id_wrapperIjLb1EEEEE10hipError_tT1_PNSt15iterator_traitsISE_E10value_typeET2_T3_PNSF_ISK_E10value_typeET4_T5_PSP_SQ_PNS1_23onesweep_lookback_stateEbbT6_jjT7_P12ihipStream_tbENKUlT_T0_SE_SJ_E_clIS8_S8_S9_S9_EEDaSX_SY_SE_SJ_EUlSX_E_NS1_11comp_targetILNS1_3genE6ELNS1_11target_archE950ELNS1_3gpuE13ELNS1_3repE0EEENS1_47radix_sort_onesweep_sort_config_static_selectorELNS0_4arch9wavefront6targetE1EEEvSE_: ; @_ZN7rocprim17ROCPRIM_400000_NS6detail17trampoline_kernelINS0_14default_configENS1_35radix_sort_onesweep_config_selectorIcNS0_10empty_typeEEEZZNS1_29radix_sort_onesweep_iterationIS3_Lb1EPcS8_PS5_S9_mNS0_19identity_decomposerENS1_16block_id_wrapperIjLb1EEEEE10hipError_tT1_PNSt15iterator_traitsISE_E10value_typeET2_T3_PNSF_ISK_E10value_typeET4_T5_PSP_SQ_PNS1_23onesweep_lookback_stateEbbT6_jjT7_P12ihipStream_tbENKUlT_T0_SE_SJ_E_clIS8_S8_S9_S9_EEDaSX_SY_SE_SJ_EUlSX_E_NS1_11comp_targetILNS1_3genE6ELNS1_11target_archE950ELNS1_3gpuE13ELNS1_3repE0EEENS1_47radix_sort_onesweep_sort_config_static_selectorELNS0_4arch9wavefront6targetE1EEEvSE_
; %bb.0:
	.section	.rodata,"a",@progbits
	.p2align	6, 0x0
	.amdhsa_kernel _ZN7rocprim17ROCPRIM_400000_NS6detail17trampoline_kernelINS0_14default_configENS1_35radix_sort_onesweep_config_selectorIcNS0_10empty_typeEEEZZNS1_29radix_sort_onesweep_iterationIS3_Lb1EPcS8_PS5_S9_mNS0_19identity_decomposerENS1_16block_id_wrapperIjLb1EEEEE10hipError_tT1_PNSt15iterator_traitsISE_E10value_typeET2_T3_PNSF_ISK_E10value_typeET4_T5_PSP_SQ_PNS1_23onesweep_lookback_stateEbbT6_jjT7_P12ihipStream_tbENKUlT_T0_SE_SJ_E_clIS8_S8_S9_S9_EEDaSX_SY_SE_SJ_EUlSX_E_NS1_11comp_targetILNS1_3genE6ELNS1_11target_archE950ELNS1_3gpuE13ELNS1_3repE0EEENS1_47radix_sort_onesweep_sort_config_static_selectorELNS0_4arch9wavefront6targetE1EEEvSE_
		.amdhsa_group_segment_fixed_size 0
		.amdhsa_private_segment_fixed_size 0
		.amdhsa_kernarg_size 88
		.amdhsa_user_sgpr_count 6
		.amdhsa_user_sgpr_private_segment_buffer 1
		.amdhsa_user_sgpr_dispatch_ptr 0
		.amdhsa_user_sgpr_queue_ptr 0
		.amdhsa_user_sgpr_kernarg_segment_ptr 1
		.amdhsa_user_sgpr_dispatch_id 0
		.amdhsa_user_sgpr_flat_scratch_init 0
		.amdhsa_user_sgpr_kernarg_preload_length 0
		.amdhsa_user_sgpr_kernarg_preload_offset 0
		.amdhsa_user_sgpr_private_segment_size 0
		.amdhsa_uses_dynamic_stack 0
		.amdhsa_system_sgpr_private_segment_wavefront_offset 0
		.amdhsa_system_sgpr_workgroup_id_x 1
		.amdhsa_system_sgpr_workgroup_id_y 0
		.amdhsa_system_sgpr_workgroup_id_z 0
		.amdhsa_system_sgpr_workgroup_info 0
		.amdhsa_system_vgpr_workitem_id 0
		.amdhsa_next_free_vgpr 1
		.amdhsa_next_free_sgpr 0
		.amdhsa_accum_offset 4
		.amdhsa_reserve_vcc 0
		.amdhsa_reserve_flat_scratch 0
		.amdhsa_float_round_mode_32 0
		.amdhsa_float_round_mode_16_64 0
		.amdhsa_float_denorm_mode_32 3
		.amdhsa_float_denorm_mode_16_64 3
		.amdhsa_dx10_clamp 1
		.amdhsa_ieee_mode 1
		.amdhsa_fp16_overflow 0
		.amdhsa_tg_split 0
		.amdhsa_exception_fp_ieee_invalid_op 0
		.amdhsa_exception_fp_denorm_src 0
		.amdhsa_exception_fp_ieee_div_zero 0
		.amdhsa_exception_fp_ieee_overflow 0
		.amdhsa_exception_fp_ieee_underflow 0
		.amdhsa_exception_fp_ieee_inexact 0
		.amdhsa_exception_int_div_zero 0
	.end_amdhsa_kernel
	.section	.text._ZN7rocprim17ROCPRIM_400000_NS6detail17trampoline_kernelINS0_14default_configENS1_35radix_sort_onesweep_config_selectorIcNS0_10empty_typeEEEZZNS1_29radix_sort_onesweep_iterationIS3_Lb1EPcS8_PS5_S9_mNS0_19identity_decomposerENS1_16block_id_wrapperIjLb1EEEEE10hipError_tT1_PNSt15iterator_traitsISE_E10value_typeET2_T3_PNSF_ISK_E10value_typeET4_T5_PSP_SQ_PNS1_23onesweep_lookback_stateEbbT6_jjT7_P12ihipStream_tbENKUlT_T0_SE_SJ_E_clIS8_S8_S9_S9_EEDaSX_SY_SE_SJ_EUlSX_E_NS1_11comp_targetILNS1_3genE6ELNS1_11target_archE950ELNS1_3gpuE13ELNS1_3repE0EEENS1_47radix_sort_onesweep_sort_config_static_selectorELNS0_4arch9wavefront6targetE1EEEvSE_,"axG",@progbits,_ZN7rocprim17ROCPRIM_400000_NS6detail17trampoline_kernelINS0_14default_configENS1_35radix_sort_onesweep_config_selectorIcNS0_10empty_typeEEEZZNS1_29radix_sort_onesweep_iterationIS3_Lb1EPcS8_PS5_S9_mNS0_19identity_decomposerENS1_16block_id_wrapperIjLb1EEEEE10hipError_tT1_PNSt15iterator_traitsISE_E10value_typeET2_T3_PNSF_ISK_E10value_typeET4_T5_PSP_SQ_PNS1_23onesweep_lookback_stateEbbT6_jjT7_P12ihipStream_tbENKUlT_T0_SE_SJ_E_clIS8_S8_S9_S9_EEDaSX_SY_SE_SJ_EUlSX_E_NS1_11comp_targetILNS1_3genE6ELNS1_11target_archE950ELNS1_3gpuE13ELNS1_3repE0EEENS1_47radix_sort_onesweep_sort_config_static_selectorELNS0_4arch9wavefront6targetE1EEEvSE_,comdat
.Lfunc_end1548:
	.size	_ZN7rocprim17ROCPRIM_400000_NS6detail17trampoline_kernelINS0_14default_configENS1_35radix_sort_onesweep_config_selectorIcNS0_10empty_typeEEEZZNS1_29radix_sort_onesweep_iterationIS3_Lb1EPcS8_PS5_S9_mNS0_19identity_decomposerENS1_16block_id_wrapperIjLb1EEEEE10hipError_tT1_PNSt15iterator_traitsISE_E10value_typeET2_T3_PNSF_ISK_E10value_typeET4_T5_PSP_SQ_PNS1_23onesweep_lookback_stateEbbT6_jjT7_P12ihipStream_tbENKUlT_T0_SE_SJ_E_clIS8_S8_S9_S9_EEDaSX_SY_SE_SJ_EUlSX_E_NS1_11comp_targetILNS1_3genE6ELNS1_11target_archE950ELNS1_3gpuE13ELNS1_3repE0EEENS1_47radix_sort_onesweep_sort_config_static_selectorELNS0_4arch9wavefront6targetE1EEEvSE_, .Lfunc_end1548-_ZN7rocprim17ROCPRIM_400000_NS6detail17trampoline_kernelINS0_14default_configENS1_35radix_sort_onesweep_config_selectorIcNS0_10empty_typeEEEZZNS1_29radix_sort_onesweep_iterationIS3_Lb1EPcS8_PS5_S9_mNS0_19identity_decomposerENS1_16block_id_wrapperIjLb1EEEEE10hipError_tT1_PNSt15iterator_traitsISE_E10value_typeET2_T3_PNSF_ISK_E10value_typeET4_T5_PSP_SQ_PNS1_23onesweep_lookback_stateEbbT6_jjT7_P12ihipStream_tbENKUlT_T0_SE_SJ_E_clIS8_S8_S9_S9_EEDaSX_SY_SE_SJ_EUlSX_E_NS1_11comp_targetILNS1_3genE6ELNS1_11target_archE950ELNS1_3gpuE13ELNS1_3repE0EEENS1_47radix_sort_onesweep_sort_config_static_selectorELNS0_4arch9wavefront6targetE1EEEvSE_
                                        ; -- End function
	.section	.AMDGPU.csdata,"",@progbits
; Kernel info:
; codeLenInByte = 0
; NumSgprs: 4
; NumVgprs: 0
; NumAgprs: 0
; TotalNumVgprs: 0
; ScratchSize: 0
; MemoryBound: 0
; FloatMode: 240
; IeeeMode: 1
; LDSByteSize: 0 bytes/workgroup (compile time only)
; SGPRBlocks: 0
; VGPRBlocks: 0
; NumSGPRsForWavesPerEU: 4
; NumVGPRsForWavesPerEU: 1
; AccumOffset: 4
; Occupancy: 8
; WaveLimiterHint : 0
; COMPUTE_PGM_RSRC2:SCRATCH_EN: 0
; COMPUTE_PGM_RSRC2:USER_SGPR: 6
; COMPUTE_PGM_RSRC2:TRAP_HANDLER: 0
; COMPUTE_PGM_RSRC2:TGID_X_EN: 1
; COMPUTE_PGM_RSRC2:TGID_Y_EN: 0
; COMPUTE_PGM_RSRC2:TGID_Z_EN: 0
; COMPUTE_PGM_RSRC2:TIDIG_COMP_CNT: 0
; COMPUTE_PGM_RSRC3_GFX90A:ACCUM_OFFSET: 0
; COMPUTE_PGM_RSRC3_GFX90A:TG_SPLIT: 0
	.section	.text._ZN7rocprim17ROCPRIM_400000_NS6detail17trampoline_kernelINS0_14default_configENS1_35radix_sort_onesweep_config_selectorIcNS0_10empty_typeEEEZZNS1_29radix_sort_onesweep_iterationIS3_Lb1EPcS8_PS5_S9_mNS0_19identity_decomposerENS1_16block_id_wrapperIjLb1EEEEE10hipError_tT1_PNSt15iterator_traitsISE_E10value_typeET2_T3_PNSF_ISK_E10value_typeET4_T5_PSP_SQ_PNS1_23onesweep_lookback_stateEbbT6_jjT7_P12ihipStream_tbENKUlT_T0_SE_SJ_E_clIS8_S8_S9_S9_EEDaSX_SY_SE_SJ_EUlSX_E_NS1_11comp_targetILNS1_3genE5ELNS1_11target_archE942ELNS1_3gpuE9ELNS1_3repE0EEENS1_47radix_sort_onesweep_sort_config_static_selectorELNS0_4arch9wavefront6targetE1EEEvSE_,"axG",@progbits,_ZN7rocprim17ROCPRIM_400000_NS6detail17trampoline_kernelINS0_14default_configENS1_35radix_sort_onesweep_config_selectorIcNS0_10empty_typeEEEZZNS1_29radix_sort_onesweep_iterationIS3_Lb1EPcS8_PS5_S9_mNS0_19identity_decomposerENS1_16block_id_wrapperIjLb1EEEEE10hipError_tT1_PNSt15iterator_traitsISE_E10value_typeET2_T3_PNSF_ISK_E10value_typeET4_T5_PSP_SQ_PNS1_23onesweep_lookback_stateEbbT6_jjT7_P12ihipStream_tbENKUlT_T0_SE_SJ_E_clIS8_S8_S9_S9_EEDaSX_SY_SE_SJ_EUlSX_E_NS1_11comp_targetILNS1_3genE5ELNS1_11target_archE942ELNS1_3gpuE9ELNS1_3repE0EEENS1_47radix_sort_onesweep_sort_config_static_selectorELNS0_4arch9wavefront6targetE1EEEvSE_,comdat
	.protected	_ZN7rocprim17ROCPRIM_400000_NS6detail17trampoline_kernelINS0_14default_configENS1_35radix_sort_onesweep_config_selectorIcNS0_10empty_typeEEEZZNS1_29radix_sort_onesweep_iterationIS3_Lb1EPcS8_PS5_S9_mNS0_19identity_decomposerENS1_16block_id_wrapperIjLb1EEEEE10hipError_tT1_PNSt15iterator_traitsISE_E10value_typeET2_T3_PNSF_ISK_E10value_typeET4_T5_PSP_SQ_PNS1_23onesweep_lookback_stateEbbT6_jjT7_P12ihipStream_tbENKUlT_T0_SE_SJ_E_clIS8_S8_S9_S9_EEDaSX_SY_SE_SJ_EUlSX_E_NS1_11comp_targetILNS1_3genE5ELNS1_11target_archE942ELNS1_3gpuE9ELNS1_3repE0EEENS1_47radix_sort_onesweep_sort_config_static_selectorELNS0_4arch9wavefront6targetE1EEEvSE_ ; -- Begin function _ZN7rocprim17ROCPRIM_400000_NS6detail17trampoline_kernelINS0_14default_configENS1_35radix_sort_onesweep_config_selectorIcNS0_10empty_typeEEEZZNS1_29radix_sort_onesweep_iterationIS3_Lb1EPcS8_PS5_S9_mNS0_19identity_decomposerENS1_16block_id_wrapperIjLb1EEEEE10hipError_tT1_PNSt15iterator_traitsISE_E10value_typeET2_T3_PNSF_ISK_E10value_typeET4_T5_PSP_SQ_PNS1_23onesweep_lookback_stateEbbT6_jjT7_P12ihipStream_tbENKUlT_T0_SE_SJ_E_clIS8_S8_S9_S9_EEDaSX_SY_SE_SJ_EUlSX_E_NS1_11comp_targetILNS1_3genE5ELNS1_11target_archE942ELNS1_3gpuE9ELNS1_3repE0EEENS1_47radix_sort_onesweep_sort_config_static_selectorELNS0_4arch9wavefront6targetE1EEEvSE_
	.globl	_ZN7rocprim17ROCPRIM_400000_NS6detail17trampoline_kernelINS0_14default_configENS1_35radix_sort_onesweep_config_selectorIcNS0_10empty_typeEEEZZNS1_29radix_sort_onesweep_iterationIS3_Lb1EPcS8_PS5_S9_mNS0_19identity_decomposerENS1_16block_id_wrapperIjLb1EEEEE10hipError_tT1_PNSt15iterator_traitsISE_E10value_typeET2_T3_PNSF_ISK_E10value_typeET4_T5_PSP_SQ_PNS1_23onesweep_lookback_stateEbbT6_jjT7_P12ihipStream_tbENKUlT_T0_SE_SJ_E_clIS8_S8_S9_S9_EEDaSX_SY_SE_SJ_EUlSX_E_NS1_11comp_targetILNS1_3genE5ELNS1_11target_archE942ELNS1_3gpuE9ELNS1_3repE0EEENS1_47radix_sort_onesweep_sort_config_static_selectorELNS0_4arch9wavefront6targetE1EEEvSE_
	.p2align	8
	.type	_ZN7rocprim17ROCPRIM_400000_NS6detail17trampoline_kernelINS0_14default_configENS1_35radix_sort_onesweep_config_selectorIcNS0_10empty_typeEEEZZNS1_29radix_sort_onesweep_iterationIS3_Lb1EPcS8_PS5_S9_mNS0_19identity_decomposerENS1_16block_id_wrapperIjLb1EEEEE10hipError_tT1_PNSt15iterator_traitsISE_E10value_typeET2_T3_PNSF_ISK_E10value_typeET4_T5_PSP_SQ_PNS1_23onesweep_lookback_stateEbbT6_jjT7_P12ihipStream_tbENKUlT_T0_SE_SJ_E_clIS8_S8_S9_S9_EEDaSX_SY_SE_SJ_EUlSX_E_NS1_11comp_targetILNS1_3genE5ELNS1_11target_archE942ELNS1_3gpuE9ELNS1_3repE0EEENS1_47radix_sort_onesweep_sort_config_static_selectorELNS0_4arch9wavefront6targetE1EEEvSE_,@function
_ZN7rocprim17ROCPRIM_400000_NS6detail17trampoline_kernelINS0_14default_configENS1_35radix_sort_onesweep_config_selectorIcNS0_10empty_typeEEEZZNS1_29radix_sort_onesweep_iterationIS3_Lb1EPcS8_PS5_S9_mNS0_19identity_decomposerENS1_16block_id_wrapperIjLb1EEEEE10hipError_tT1_PNSt15iterator_traitsISE_E10value_typeET2_T3_PNSF_ISK_E10value_typeET4_T5_PSP_SQ_PNS1_23onesweep_lookback_stateEbbT6_jjT7_P12ihipStream_tbENKUlT_T0_SE_SJ_E_clIS8_S8_S9_S9_EEDaSX_SY_SE_SJ_EUlSX_E_NS1_11comp_targetILNS1_3genE5ELNS1_11target_archE942ELNS1_3gpuE9ELNS1_3repE0EEENS1_47radix_sort_onesweep_sort_config_static_selectorELNS0_4arch9wavefront6targetE1EEEvSE_: ; @_ZN7rocprim17ROCPRIM_400000_NS6detail17trampoline_kernelINS0_14default_configENS1_35radix_sort_onesweep_config_selectorIcNS0_10empty_typeEEEZZNS1_29radix_sort_onesweep_iterationIS3_Lb1EPcS8_PS5_S9_mNS0_19identity_decomposerENS1_16block_id_wrapperIjLb1EEEEE10hipError_tT1_PNSt15iterator_traitsISE_E10value_typeET2_T3_PNSF_ISK_E10value_typeET4_T5_PSP_SQ_PNS1_23onesweep_lookback_stateEbbT6_jjT7_P12ihipStream_tbENKUlT_T0_SE_SJ_E_clIS8_S8_S9_S9_EEDaSX_SY_SE_SJ_EUlSX_E_NS1_11comp_targetILNS1_3genE5ELNS1_11target_archE942ELNS1_3gpuE9ELNS1_3repE0EEENS1_47radix_sort_onesweep_sort_config_static_selectorELNS0_4arch9wavefront6targetE1EEEvSE_
; %bb.0:
	.section	.rodata,"a",@progbits
	.p2align	6, 0x0
	.amdhsa_kernel _ZN7rocprim17ROCPRIM_400000_NS6detail17trampoline_kernelINS0_14default_configENS1_35radix_sort_onesweep_config_selectorIcNS0_10empty_typeEEEZZNS1_29radix_sort_onesweep_iterationIS3_Lb1EPcS8_PS5_S9_mNS0_19identity_decomposerENS1_16block_id_wrapperIjLb1EEEEE10hipError_tT1_PNSt15iterator_traitsISE_E10value_typeET2_T3_PNSF_ISK_E10value_typeET4_T5_PSP_SQ_PNS1_23onesweep_lookback_stateEbbT6_jjT7_P12ihipStream_tbENKUlT_T0_SE_SJ_E_clIS8_S8_S9_S9_EEDaSX_SY_SE_SJ_EUlSX_E_NS1_11comp_targetILNS1_3genE5ELNS1_11target_archE942ELNS1_3gpuE9ELNS1_3repE0EEENS1_47radix_sort_onesweep_sort_config_static_selectorELNS0_4arch9wavefront6targetE1EEEvSE_
		.amdhsa_group_segment_fixed_size 0
		.amdhsa_private_segment_fixed_size 0
		.amdhsa_kernarg_size 88
		.amdhsa_user_sgpr_count 6
		.amdhsa_user_sgpr_private_segment_buffer 1
		.amdhsa_user_sgpr_dispatch_ptr 0
		.amdhsa_user_sgpr_queue_ptr 0
		.amdhsa_user_sgpr_kernarg_segment_ptr 1
		.amdhsa_user_sgpr_dispatch_id 0
		.amdhsa_user_sgpr_flat_scratch_init 0
		.amdhsa_user_sgpr_kernarg_preload_length 0
		.amdhsa_user_sgpr_kernarg_preload_offset 0
		.amdhsa_user_sgpr_private_segment_size 0
		.amdhsa_uses_dynamic_stack 0
		.amdhsa_system_sgpr_private_segment_wavefront_offset 0
		.amdhsa_system_sgpr_workgroup_id_x 1
		.amdhsa_system_sgpr_workgroup_id_y 0
		.amdhsa_system_sgpr_workgroup_id_z 0
		.amdhsa_system_sgpr_workgroup_info 0
		.amdhsa_system_vgpr_workitem_id 0
		.amdhsa_next_free_vgpr 1
		.amdhsa_next_free_sgpr 0
		.amdhsa_accum_offset 4
		.amdhsa_reserve_vcc 0
		.amdhsa_reserve_flat_scratch 0
		.amdhsa_float_round_mode_32 0
		.amdhsa_float_round_mode_16_64 0
		.amdhsa_float_denorm_mode_32 3
		.amdhsa_float_denorm_mode_16_64 3
		.amdhsa_dx10_clamp 1
		.amdhsa_ieee_mode 1
		.amdhsa_fp16_overflow 0
		.amdhsa_tg_split 0
		.amdhsa_exception_fp_ieee_invalid_op 0
		.amdhsa_exception_fp_denorm_src 0
		.amdhsa_exception_fp_ieee_div_zero 0
		.amdhsa_exception_fp_ieee_overflow 0
		.amdhsa_exception_fp_ieee_underflow 0
		.amdhsa_exception_fp_ieee_inexact 0
		.amdhsa_exception_int_div_zero 0
	.end_amdhsa_kernel
	.section	.text._ZN7rocprim17ROCPRIM_400000_NS6detail17trampoline_kernelINS0_14default_configENS1_35radix_sort_onesweep_config_selectorIcNS0_10empty_typeEEEZZNS1_29radix_sort_onesweep_iterationIS3_Lb1EPcS8_PS5_S9_mNS0_19identity_decomposerENS1_16block_id_wrapperIjLb1EEEEE10hipError_tT1_PNSt15iterator_traitsISE_E10value_typeET2_T3_PNSF_ISK_E10value_typeET4_T5_PSP_SQ_PNS1_23onesweep_lookback_stateEbbT6_jjT7_P12ihipStream_tbENKUlT_T0_SE_SJ_E_clIS8_S8_S9_S9_EEDaSX_SY_SE_SJ_EUlSX_E_NS1_11comp_targetILNS1_3genE5ELNS1_11target_archE942ELNS1_3gpuE9ELNS1_3repE0EEENS1_47radix_sort_onesweep_sort_config_static_selectorELNS0_4arch9wavefront6targetE1EEEvSE_,"axG",@progbits,_ZN7rocprim17ROCPRIM_400000_NS6detail17trampoline_kernelINS0_14default_configENS1_35radix_sort_onesweep_config_selectorIcNS0_10empty_typeEEEZZNS1_29radix_sort_onesweep_iterationIS3_Lb1EPcS8_PS5_S9_mNS0_19identity_decomposerENS1_16block_id_wrapperIjLb1EEEEE10hipError_tT1_PNSt15iterator_traitsISE_E10value_typeET2_T3_PNSF_ISK_E10value_typeET4_T5_PSP_SQ_PNS1_23onesweep_lookback_stateEbbT6_jjT7_P12ihipStream_tbENKUlT_T0_SE_SJ_E_clIS8_S8_S9_S9_EEDaSX_SY_SE_SJ_EUlSX_E_NS1_11comp_targetILNS1_3genE5ELNS1_11target_archE942ELNS1_3gpuE9ELNS1_3repE0EEENS1_47radix_sort_onesweep_sort_config_static_selectorELNS0_4arch9wavefront6targetE1EEEvSE_,comdat
.Lfunc_end1549:
	.size	_ZN7rocprim17ROCPRIM_400000_NS6detail17trampoline_kernelINS0_14default_configENS1_35radix_sort_onesweep_config_selectorIcNS0_10empty_typeEEEZZNS1_29radix_sort_onesweep_iterationIS3_Lb1EPcS8_PS5_S9_mNS0_19identity_decomposerENS1_16block_id_wrapperIjLb1EEEEE10hipError_tT1_PNSt15iterator_traitsISE_E10value_typeET2_T3_PNSF_ISK_E10value_typeET4_T5_PSP_SQ_PNS1_23onesweep_lookback_stateEbbT6_jjT7_P12ihipStream_tbENKUlT_T0_SE_SJ_E_clIS8_S8_S9_S9_EEDaSX_SY_SE_SJ_EUlSX_E_NS1_11comp_targetILNS1_3genE5ELNS1_11target_archE942ELNS1_3gpuE9ELNS1_3repE0EEENS1_47radix_sort_onesweep_sort_config_static_selectorELNS0_4arch9wavefront6targetE1EEEvSE_, .Lfunc_end1549-_ZN7rocprim17ROCPRIM_400000_NS6detail17trampoline_kernelINS0_14default_configENS1_35radix_sort_onesweep_config_selectorIcNS0_10empty_typeEEEZZNS1_29radix_sort_onesweep_iterationIS3_Lb1EPcS8_PS5_S9_mNS0_19identity_decomposerENS1_16block_id_wrapperIjLb1EEEEE10hipError_tT1_PNSt15iterator_traitsISE_E10value_typeET2_T3_PNSF_ISK_E10value_typeET4_T5_PSP_SQ_PNS1_23onesweep_lookback_stateEbbT6_jjT7_P12ihipStream_tbENKUlT_T0_SE_SJ_E_clIS8_S8_S9_S9_EEDaSX_SY_SE_SJ_EUlSX_E_NS1_11comp_targetILNS1_3genE5ELNS1_11target_archE942ELNS1_3gpuE9ELNS1_3repE0EEENS1_47radix_sort_onesweep_sort_config_static_selectorELNS0_4arch9wavefront6targetE1EEEvSE_
                                        ; -- End function
	.section	.AMDGPU.csdata,"",@progbits
; Kernel info:
; codeLenInByte = 0
; NumSgprs: 4
; NumVgprs: 0
; NumAgprs: 0
; TotalNumVgprs: 0
; ScratchSize: 0
; MemoryBound: 0
; FloatMode: 240
; IeeeMode: 1
; LDSByteSize: 0 bytes/workgroup (compile time only)
; SGPRBlocks: 0
; VGPRBlocks: 0
; NumSGPRsForWavesPerEU: 4
; NumVGPRsForWavesPerEU: 1
; AccumOffset: 4
; Occupancy: 8
; WaveLimiterHint : 0
; COMPUTE_PGM_RSRC2:SCRATCH_EN: 0
; COMPUTE_PGM_RSRC2:USER_SGPR: 6
; COMPUTE_PGM_RSRC2:TRAP_HANDLER: 0
; COMPUTE_PGM_RSRC2:TGID_X_EN: 1
; COMPUTE_PGM_RSRC2:TGID_Y_EN: 0
; COMPUTE_PGM_RSRC2:TGID_Z_EN: 0
; COMPUTE_PGM_RSRC2:TIDIG_COMP_CNT: 0
; COMPUTE_PGM_RSRC3_GFX90A:ACCUM_OFFSET: 0
; COMPUTE_PGM_RSRC3_GFX90A:TG_SPLIT: 0
	.section	.text._ZN7rocprim17ROCPRIM_400000_NS6detail17trampoline_kernelINS0_14default_configENS1_35radix_sort_onesweep_config_selectorIcNS0_10empty_typeEEEZZNS1_29radix_sort_onesweep_iterationIS3_Lb1EPcS8_PS5_S9_mNS0_19identity_decomposerENS1_16block_id_wrapperIjLb1EEEEE10hipError_tT1_PNSt15iterator_traitsISE_E10value_typeET2_T3_PNSF_ISK_E10value_typeET4_T5_PSP_SQ_PNS1_23onesweep_lookback_stateEbbT6_jjT7_P12ihipStream_tbENKUlT_T0_SE_SJ_E_clIS8_S8_S9_S9_EEDaSX_SY_SE_SJ_EUlSX_E_NS1_11comp_targetILNS1_3genE2ELNS1_11target_archE906ELNS1_3gpuE6ELNS1_3repE0EEENS1_47radix_sort_onesweep_sort_config_static_selectorELNS0_4arch9wavefront6targetE1EEEvSE_,"axG",@progbits,_ZN7rocprim17ROCPRIM_400000_NS6detail17trampoline_kernelINS0_14default_configENS1_35radix_sort_onesweep_config_selectorIcNS0_10empty_typeEEEZZNS1_29radix_sort_onesweep_iterationIS3_Lb1EPcS8_PS5_S9_mNS0_19identity_decomposerENS1_16block_id_wrapperIjLb1EEEEE10hipError_tT1_PNSt15iterator_traitsISE_E10value_typeET2_T3_PNSF_ISK_E10value_typeET4_T5_PSP_SQ_PNS1_23onesweep_lookback_stateEbbT6_jjT7_P12ihipStream_tbENKUlT_T0_SE_SJ_E_clIS8_S8_S9_S9_EEDaSX_SY_SE_SJ_EUlSX_E_NS1_11comp_targetILNS1_3genE2ELNS1_11target_archE906ELNS1_3gpuE6ELNS1_3repE0EEENS1_47radix_sort_onesweep_sort_config_static_selectorELNS0_4arch9wavefront6targetE1EEEvSE_,comdat
	.protected	_ZN7rocprim17ROCPRIM_400000_NS6detail17trampoline_kernelINS0_14default_configENS1_35radix_sort_onesweep_config_selectorIcNS0_10empty_typeEEEZZNS1_29radix_sort_onesweep_iterationIS3_Lb1EPcS8_PS5_S9_mNS0_19identity_decomposerENS1_16block_id_wrapperIjLb1EEEEE10hipError_tT1_PNSt15iterator_traitsISE_E10value_typeET2_T3_PNSF_ISK_E10value_typeET4_T5_PSP_SQ_PNS1_23onesweep_lookback_stateEbbT6_jjT7_P12ihipStream_tbENKUlT_T0_SE_SJ_E_clIS8_S8_S9_S9_EEDaSX_SY_SE_SJ_EUlSX_E_NS1_11comp_targetILNS1_3genE2ELNS1_11target_archE906ELNS1_3gpuE6ELNS1_3repE0EEENS1_47radix_sort_onesweep_sort_config_static_selectorELNS0_4arch9wavefront6targetE1EEEvSE_ ; -- Begin function _ZN7rocprim17ROCPRIM_400000_NS6detail17trampoline_kernelINS0_14default_configENS1_35radix_sort_onesweep_config_selectorIcNS0_10empty_typeEEEZZNS1_29radix_sort_onesweep_iterationIS3_Lb1EPcS8_PS5_S9_mNS0_19identity_decomposerENS1_16block_id_wrapperIjLb1EEEEE10hipError_tT1_PNSt15iterator_traitsISE_E10value_typeET2_T3_PNSF_ISK_E10value_typeET4_T5_PSP_SQ_PNS1_23onesweep_lookback_stateEbbT6_jjT7_P12ihipStream_tbENKUlT_T0_SE_SJ_E_clIS8_S8_S9_S9_EEDaSX_SY_SE_SJ_EUlSX_E_NS1_11comp_targetILNS1_3genE2ELNS1_11target_archE906ELNS1_3gpuE6ELNS1_3repE0EEENS1_47radix_sort_onesweep_sort_config_static_selectorELNS0_4arch9wavefront6targetE1EEEvSE_
	.globl	_ZN7rocprim17ROCPRIM_400000_NS6detail17trampoline_kernelINS0_14default_configENS1_35radix_sort_onesweep_config_selectorIcNS0_10empty_typeEEEZZNS1_29radix_sort_onesweep_iterationIS3_Lb1EPcS8_PS5_S9_mNS0_19identity_decomposerENS1_16block_id_wrapperIjLb1EEEEE10hipError_tT1_PNSt15iterator_traitsISE_E10value_typeET2_T3_PNSF_ISK_E10value_typeET4_T5_PSP_SQ_PNS1_23onesweep_lookback_stateEbbT6_jjT7_P12ihipStream_tbENKUlT_T0_SE_SJ_E_clIS8_S8_S9_S9_EEDaSX_SY_SE_SJ_EUlSX_E_NS1_11comp_targetILNS1_3genE2ELNS1_11target_archE906ELNS1_3gpuE6ELNS1_3repE0EEENS1_47radix_sort_onesweep_sort_config_static_selectorELNS0_4arch9wavefront6targetE1EEEvSE_
	.p2align	8
	.type	_ZN7rocprim17ROCPRIM_400000_NS6detail17trampoline_kernelINS0_14default_configENS1_35radix_sort_onesweep_config_selectorIcNS0_10empty_typeEEEZZNS1_29radix_sort_onesweep_iterationIS3_Lb1EPcS8_PS5_S9_mNS0_19identity_decomposerENS1_16block_id_wrapperIjLb1EEEEE10hipError_tT1_PNSt15iterator_traitsISE_E10value_typeET2_T3_PNSF_ISK_E10value_typeET4_T5_PSP_SQ_PNS1_23onesweep_lookback_stateEbbT6_jjT7_P12ihipStream_tbENKUlT_T0_SE_SJ_E_clIS8_S8_S9_S9_EEDaSX_SY_SE_SJ_EUlSX_E_NS1_11comp_targetILNS1_3genE2ELNS1_11target_archE906ELNS1_3gpuE6ELNS1_3repE0EEENS1_47radix_sort_onesweep_sort_config_static_selectorELNS0_4arch9wavefront6targetE1EEEvSE_,@function
_ZN7rocprim17ROCPRIM_400000_NS6detail17trampoline_kernelINS0_14default_configENS1_35radix_sort_onesweep_config_selectorIcNS0_10empty_typeEEEZZNS1_29radix_sort_onesweep_iterationIS3_Lb1EPcS8_PS5_S9_mNS0_19identity_decomposerENS1_16block_id_wrapperIjLb1EEEEE10hipError_tT1_PNSt15iterator_traitsISE_E10value_typeET2_T3_PNSF_ISK_E10value_typeET4_T5_PSP_SQ_PNS1_23onesweep_lookback_stateEbbT6_jjT7_P12ihipStream_tbENKUlT_T0_SE_SJ_E_clIS8_S8_S9_S9_EEDaSX_SY_SE_SJ_EUlSX_E_NS1_11comp_targetILNS1_3genE2ELNS1_11target_archE906ELNS1_3gpuE6ELNS1_3repE0EEENS1_47radix_sort_onesweep_sort_config_static_selectorELNS0_4arch9wavefront6targetE1EEEvSE_: ; @_ZN7rocprim17ROCPRIM_400000_NS6detail17trampoline_kernelINS0_14default_configENS1_35radix_sort_onesweep_config_selectorIcNS0_10empty_typeEEEZZNS1_29radix_sort_onesweep_iterationIS3_Lb1EPcS8_PS5_S9_mNS0_19identity_decomposerENS1_16block_id_wrapperIjLb1EEEEE10hipError_tT1_PNSt15iterator_traitsISE_E10value_typeET2_T3_PNSF_ISK_E10value_typeET4_T5_PSP_SQ_PNS1_23onesweep_lookback_stateEbbT6_jjT7_P12ihipStream_tbENKUlT_T0_SE_SJ_E_clIS8_S8_S9_S9_EEDaSX_SY_SE_SJ_EUlSX_E_NS1_11comp_targetILNS1_3genE2ELNS1_11target_archE906ELNS1_3gpuE6ELNS1_3repE0EEENS1_47radix_sort_onesweep_sort_config_static_selectorELNS0_4arch9wavefront6targetE1EEEvSE_
; %bb.0:
	.section	.rodata,"a",@progbits
	.p2align	6, 0x0
	.amdhsa_kernel _ZN7rocprim17ROCPRIM_400000_NS6detail17trampoline_kernelINS0_14default_configENS1_35radix_sort_onesweep_config_selectorIcNS0_10empty_typeEEEZZNS1_29radix_sort_onesweep_iterationIS3_Lb1EPcS8_PS5_S9_mNS0_19identity_decomposerENS1_16block_id_wrapperIjLb1EEEEE10hipError_tT1_PNSt15iterator_traitsISE_E10value_typeET2_T3_PNSF_ISK_E10value_typeET4_T5_PSP_SQ_PNS1_23onesweep_lookback_stateEbbT6_jjT7_P12ihipStream_tbENKUlT_T0_SE_SJ_E_clIS8_S8_S9_S9_EEDaSX_SY_SE_SJ_EUlSX_E_NS1_11comp_targetILNS1_3genE2ELNS1_11target_archE906ELNS1_3gpuE6ELNS1_3repE0EEENS1_47radix_sort_onesweep_sort_config_static_selectorELNS0_4arch9wavefront6targetE1EEEvSE_
		.amdhsa_group_segment_fixed_size 0
		.amdhsa_private_segment_fixed_size 0
		.amdhsa_kernarg_size 88
		.amdhsa_user_sgpr_count 6
		.amdhsa_user_sgpr_private_segment_buffer 1
		.amdhsa_user_sgpr_dispatch_ptr 0
		.amdhsa_user_sgpr_queue_ptr 0
		.amdhsa_user_sgpr_kernarg_segment_ptr 1
		.amdhsa_user_sgpr_dispatch_id 0
		.amdhsa_user_sgpr_flat_scratch_init 0
		.amdhsa_user_sgpr_kernarg_preload_length 0
		.amdhsa_user_sgpr_kernarg_preload_offset 0
		.amdhsa_user_sgpr_private_segment_size 0
		.amdhsa_uses_dynamic_stack 0
		.amdhsa_system_sgpr_private_segment_wavefront_offset 0
		.amdhsa_system_sgpr_workgroup_id_x 1
		.amdhsa_system_sgpr_workgroup_id_y 0
		.amdhsa_system_sgpr_workgroup_id_z 0
		.amdhsa_system_sgpr_workgroup_info 0
		.amdhsa_system_vgpr_workitem_id 0
		.amdhsa_next_free_vgpr 1
		.amdhsa_next_free_sgpr 0
		.amdhsa_accum_offset 4
		.amdhsa_reserve_vcc 0
		.amdhsa_reserve_flat_scratch 0
		.amdhsa_float_round_mode_32 0
		.amdhsa_float_round_mode_16_64 0
		.amdhsa_float_denorm_mode_32 3
		.amdhsa_float_denorm_mode_16_64 3
		.amdhsa_dx10_clamp 1
		.amdhsa_ieee_mode 1
		.amdhsa_fp16_overflow 0
		.amdhsa_tg_split 0
		.amdhsa_exception_fp_ieee_invalid_op 0
		.amdhsa_exception_fp_denorm_src 0
		.amdhsa_exception_fp_ieee_div_zero 0
		.amdhsa_exception_fp_ieee_overflow 0
		.amdhsa_exception_fp_ieee_underflow 0
		.amdhsa_exception_fp_ieee_inexact 0
		.amdhsa_exception_int_div_zero 0
	.end_amdhsa_kernel
	.section	.text._ZN7rocprim17ROCPRIM_400000_NS6detail17trampoline_kernelINS0_14default_configENS1_35radix_sort_onesweep_config_selectorIcNS0_10empty_typeEEEZZNS1_29radix_sort_onesweep_iterationIS3_Lb1EPcS8_PS5_S9_mNS0_19identity_decomposerENS1_16block_id_wrapperIjLb1EEEEE10hipError_tT1_PNSt15iterator_traitsISE_E10value_typeET2_T3_PNSF_ISK_E10value_typeET4_T5_PSP_SQ_PNS1_23onesweep_lookback_stateEbbT6_jjT7_P12ihipStream_tbENKUlT_T0_SE_SJ_E_clIS8_S8_S9_S9_EEDaSX_SY_SE_SJ_EUlSX_E_NS1_11comp_targetILNS1_3genE2ELNS1_11target_archE906ELNS1_3gpuE6ELNS1_3repE0EEENS1_47radix_sort_onesweep_sort_config_static_selectorELNS0_4arch9wavefront6targetE1EEEvSE_,"axG",@progbits,_ZN7rocprim17ROCPRIM_400000_NS6detail17trampoline_kernelINS0_14default_configENS1_35radix_sort_onesweep_config_selectorIcNS0_10empty_typeEEEZZNS1_29radix_sort_onesweep_iterationIS3_Lb1EPcS8_PS5_S9_mNS0_19identity_decomposerENS1_16block_id_wrapperIjLb1EEEEE10hipError_tT1_PNSt15iterator_traitsISE_E10value_typeET2_T3_PNSF_ISK_E10value_typeET4_T5_PSP_SQ_PNS1_23onesweep_lookback_stateEbbT6_jjT7_P12ihipStream_tbENKUlT_T0_SE_SJ_E_clIS8_S8_S9_S9_EEDaSX_SY_SE_SJ_EUlSX_E_NS1_11comp_targetILNS1_3genE2ELNS1_11target_archE906ELNS1_3gpuE6ELNS1_3repE0EEENS1_47radix_sort_onesweep_sort_config_static_selectorELNS0_4arch9wavefront6targetE1EEEvSE_,comdat
.Lfunc_end1550:
	.size	_ZN7rocprim17ROCPRIM_400000_NS6detail17trampoline_kernelINS0_14default_configENS1_35radix_sort_onesweep_config_selectorIcNS0_10empty_typeEEEZZNS1_29radix_sort_onesweep_iterationIS3_Lb1EPcS8_PS5_S9_mNS0_19identity_decomposerENS1_16block_id_wrapperIjLb1EEEEE10hipError_tT1_PNSt15iterator_traitsISE_E10value_typeET2_T3_PNSF_ISK_E10value_typeET4_T5_PSP_SQ_PNS1_23onesweep_lookback_stateEbbT6_jjT7_P12ihipStream_tbENKUlT_T0_SE_SJ_E_clIS8_S8_S9_S9_EEDaSX_SY_SE_SJ_EUlSX_E_NS1_11comp_targetILNS1_3genE2ELNS1_11target_archE906ELNS1_3gpuE6ELNS1_3repE0EEENS1_47radix_sort_onesweep_sort_config_static_selectorELNS0_4arch9wavefront6targetE1EEEvSE_, .Lfunc_end1550-_ZN7rocprim17ROCPRIM_400000_NS6detail17trampoline_kernelINS0_14default_configENS1_35radix_sort_onesweep_config_selectorIcNS0_10empty_typeEEEZZNS1_29radix_sort_onesweep_iterationIS3_Lb1EPcS8_PS5_S9_mNS0_19identity_decomposerENS1_16block_id_wrapperIjLb1EEEEE10hipError_tT1_PNSt15iterator_traitsISE_E10value_typeET2_T3_PNSF_ISK_E10value_typeET4_T5_PSP_SQ_PNS1_23onesweep_lookback_stateEbbT6_jjT7_P12ihipStream_tbENKUlT_T0_SE_SJ_E_clIS8_S8_S9_S9_EEDaSX_SY_SE_SJ_EUlSX_E_NS1_11comp_targetILNS1_3genE2ELNS1_11target_archE906ELNS1_3gpuE6ELNS1_3repE0EEENS1_47radix_sort_onesweep_sort_config_static_selectorELNS0_4arch9wavefront6targetE1EEEvSE_
                                        ; -- End function
	.section	.AMDGPU.csdata,"",@progbits
; Kernel info:
; codeLenInByte = 0
; NumSgprs: 4
; NumVgprs: 0
; NumAgprs: 0
; TotalNumVgprs: 0
; ScratchSize: 0
; MemoryBound: 0
; FloatMode: 240
; IeeeMode: 1
; LDSByteSize: 0 bytes/workgroup (compile time only)
; SGPRBlocks: 0
; VGPRBlocks: 0
; NumSGPRsForWavesPerEU: 4
; NumVGPRsForWavesPerEU: 1
; AccumOffset: 4
; Occupancy: 8
; WaveLimiterHint : 0
; COMPUTE_PGM_RSRC2:SCRATCH_EN: 0
; COMPUTE_PGM_RSRC2:USER_SGPR: 6
; COMPUTE_PGM_RSRC2:TRAP_HANDLER: 0
; COMPUTE_PGM_RSRC2:TGID_X_EN: 1
; COMPUTE_PGM_RSRC2:TGID_Y_EN: 0
; COMPUTE_PGM_RSRC2:TGID_Z_EN: 0
; COMPUTE_PGM_RSRC2:TIDIG_COMP_CNT: 0
; COMPUTE_PGM_RSRC3_GFX90A:ACCUM_OFFSET: 0
; COMPUTE_PGM_RSRC3_GFX90A:TG_SPLIT: 0
	.section	.text._ZN7rocprim17ROCPRIM_400000_NS6detail17trampoline_kernelINS0_14default_configENS1_35radix_sort_onesweep_config_selectorIcNS0_10empty_typeEEEZZNS1_29radix_sort_onesweep_iterationIS3_Lb1EPcS8_PS5_S9_mNS0_19identity_decomposerENS1_16block_id_wrapperIjLb1EEEEE10hipError_tT1_PNSt15iterator_traitsISE_E10value_typeET2_T3_PNSF_ISK_E10value_typeET4_T5_PSP_SQ_PNS1_23onesweep_lookback_stateEbbT6_jjT7_P12ihipStream_tbENKUlT_T0_SE_SJ_E_clIS8_S8_S9_S9_EEDaSX_SY_SE_SJ_EUlSX_E_NS1_11comp_targetILNS1_3genE4ELNS1_11target_archE910ELNS1_3gpuE8ELNS1_3repE0EEENS1_47radix_sort_onesweep_sort_config_static_selectorELNS0_4arch9wavefront6targetE1EEEvSE_,"axG",@progbits,_ZN7rocprim17ROCPRIM_400000_NS6detail17trampoline_kernelINS0_14default_configENS1_35radix_sort_onesweep_config_selectorIcNS0_10empty_typeEEEZZNS1_29radix_sort_onesweep_iterationIS3_Lb1EPcS8_PS5_S9_mNS0_19identity_decomposerENS1_16block_id_wrapperIjLb1EEEEE10hipError_tT1_PNSt15iterator_traitsISE_E10value_typeET2_T3_PNSF_ISK_E10value_typeET4_T5_PSP_SQ_PNS1_23onesweep_lookback_stateEbbT6_jjT7_P12ihipStream_tbENKUlT_T0_SE_SJ_E_clIS8_S8_S9_S9_EEDaSX_SY_SE_SJ_EUlSX_E_NS1_11comp_targetILNS1_3genE4ELNS1_11target_archE910ELNS1_3gpuE8ELNS1_3repE0EEENS1_47radix_sort_onesweep_sort_config_static_selectorELNS0_4arch9wavefront6targetE1EEEvSE_,comdat
	.protected	_ZN7rocprim17ROCPRIM_400000_NS6detail17trampoline_kernelINS0_14default_configENS1_35radix_sort_onesweep_config_selectorIcNS0_10empty_typeEEEZZNS1_29radix_sort_onesweep_iterationIS3_Lb1EPcS8_PS5_S9_mNS0_19identity_decomposerENS1_16block_id_wrapperIjLb1EEEEE10hipError_tT1_PNSt15iterator_traitsISE_E10value_typeET2_T3_PNSF_ISK_E10value_typeET4_T5_PSP_SQ_PNS1_23onesweep_lookback_stateEbbT6_jjT7_P12ihipStream_tbENKUlT_T0_SE_SJ_E_clIS8_S8_S9_S9_EEDaSX_SY_SE_SJ_EUlSX_E_NS1_11comp_targetILNS1_3genE4ELNS1_11target_archE910ELNS1_3gpuE8ELNS1_3repE0EEENS1_47radix_sort_onesweep_sort_config_static_selectorELNS0_4arch9wavefront6targetE1EEEvSE_ ; -- Begin function _ZN7rocprim17ROCPRIM_400000_NS6detail17trampoline_kernelINS0_14default_configENS1_35radix_sort_onesweep_config_selectorIcNS0_10empty_typeEEEZZNS1_29radix_sort_onesweep_iterationIS3_Lb1EPcS8_PS5_S9_mNS0_19identity_decomposerENS1_16block_id_wrapperIjLb1EEEEE10hipError_tT1_PNSt15iterator_traitsISE_E10value_typeET2_T3_PNSF_ISK_E10value_typeET4_T5_PSP_SQ_PNS1_23onesweep_lookback_stateEbbT6_jjT7_P12ihipStream_tbENKUlT_T0_SE_SJ_E_clIS8_S8_S9_S9_EEDaSX_SY_SE_SJ_EUlSX_E_NS1_11comp_targetILNS1_3genE4ELNS1_11target_archE910ELNS1_3gpuE8ELNS1_3repE0EEENS1_47radix_sort_onesweep_sort_config_static_selectorELNS0_4arch9wavefront6targetE1EEEvSE_
	.globl	_ZN7rocprim17ROCPRIM_400000_NS6detail17trampoline_kernelINS0_14default_configENS1_35radix_sort_onesweep_config_selectorIcNS0_10empty_typeEEEZZNS1_29radix_sort_onesweep_iterationIS3_Lb1EPcS8_PS5_S9_mNS0_19identity_decomposerENS1_16block_id_wrapperIjLb1EEEEE10hipError_tT1_PNSt15iterator_traitsISE_E10value_typeET2_T3_PNSF_ISK_E10value_typeET4_T5_PSP_SQ_PNS1_23onesweep_lookback_stateEbbT6_jjT7_P12ihipStream_tbENKUlT_T0_SE_SJ_E_clIS8_S8_S9_S9_EEDaSX_SY_SE_SJ_EUlSX_E_NS1_11comp_targetILNS1_3genE4ELNS1_11target_archE910ELNS1_3gpuE8ELNS1_3repE0EEENS1_47radix_sort_onesweep_sort_config_static_selectorELNS0_4arch9wavefront6targetE1EEEvSE_
	.p2align	8
	.type	_ZN7rocprim17ROCPRIM_400000_NS6detail17trampoline_kernelINS0_14default_configENS1_35radix_sort_onesweep_config_selectorIcNS0_10empty_typeEEEZZNS1_29radix_sort_onesweep_iterationIS3_Lb1EPcS8_PS5_S9_mNS0_19identity_decomposerENS1_16block_id_wrapperIjLb1EEEEE10hipError_tT1_PNSt15iterator_traitsISE_E10value_typeET2_T3_PNSF_ISK_E10value_typeET4_T5_PSP_SQ_PNS1_23onesweep_lookback_stateEbbT6_jjT7_P12ihipStream_tbENKUlT_T0_SE_SJ_E_clIS8_S8_S9_S9_EEDaSX_SY_SE_SJ_EUlSX_E_NS1_11comp_targetILNS1_3genE4ELNS1_11target_archE910ELNS1_3gpuE8ELNS1_3repE0EEENS1_47radix_sort_onesweep_sort_config_static_selectorELNS0_4arch9wavefront6targetE1EEEvSE_,@function
_ZN7rocprim17ROCPRIM_400000_NS6detail17trampoline_kernelINS0_14default_configENS1_35radix_sort_onesweep_config_selectorIcNS0_10empty_typeEEEZZNS1_29radix_sort_onesweep_iterationIS3_Lb1EPcS8_PS5_S9_mNS0_19identity_decomposerENS1_16block_id_wrapperIjLb1EEEEE10hipError_tT1_PNSt15iterator_traitsISE_E10value_typeET2_T3_PNSF_ISK_E10value_typeET4_T5_PSP_SQ_PNS1_23onesweep_lookback_stateEbbT6_jjT7_P12ihipStream_tbENKUlT_T0_SE_SJ_E_clIS8_S8_S9_S9_EEDaSX_SY_SE_SJ_EUlSX_E_NS1_11comp_targetILNS1_3genE4ELNS1_11target_archE910ELNS1_3gpuE8ELNS1_3repE0EEENS1_47radix_sort_onesweep_sort_config_static_selectorELNS0_4arch9wavefront6targetE1EEEvSE_: ; @_ZN7rocprim17ROCPRIM_400000_NS6detail17trampoline_kernelINS0_14default_configENS1_35radix_sort_onesweep_config_selectorIcNS0_10empty_typeEEEZZNS1_29radix_sort_onesweep_iterationIS3_Lb1EPcS8_PS5_S9_mNS0_19identity_decomposerENS1_16block_id_wrapperIjLb1EEEEE10hipError_tT1_PNSt15iterator_traitsISE_E10value_typeET2_T3_PNSF_ISK_E10value_typeET4_T5_PSP_SQ_PNS1_23onesweep_lookback_stateEbbT6_jjT7_P12ihipStream_tbENKUlT_T0_SE_SJ_E_clIS8_S8_S9_S9_EEDaSX_SY_SE_SJ_EUlSX_E_NS1_11comp_targetILNS1_3genE4ELNS1_11target_archE910ELNS1_3gpuE8ELNS1_3repE0EEENS1_47radix_sort_onesweep_sort_config_static_selectorELNS0_4arch9wavefront6targetE1EEEvSE_
; %bb.0:
	s_load_dwordx4 s[8:11], s[4:5], 0x28
	s_load_dwordx2 s[6:7], s[4:5], 0x38
	s_load_dwordx4 s[16:19], s[4:5], 0x44
	v_cmp_eq_u32_e32 vcc, 0, v0
	s_and_saveexec_b64 s[0:1], vcc
	s_cbranch_execz .LBB1551_4
; %bb.1:
	s_mov_b64 s[12:13], exec
	v_mbcnt_lo_u32_b32 v1, s12, 0
	v_mbcnt_hi_u32_b32 v1, s13, v1
	v_cmp_eq_u32_e32 vcc, 0, v1
                                        ; implicit-def: $vgpr2
	s_and_saveexec_b64 s[2:3], vcc
	s_cbranch_execz .LBB1551_3
; %bb.2:
	s_load_dwordx2 s[14:15], s[4:5], 0x50
	s_bcnt1_i32_b64 s12, s[12:13]
	v_mov_b32_e32 v2, 0
	v_mov_b32_e32 v3, s12
	s_waitcnt lgkmcnt(0)
	global_atomic_add v2, v2, v3, s[14:15] glc
.LBB1551_3:
	s_or_b64 exec, exec, s[2:3]
	s_waitcnt vmcnt(0)
	v_readfirstlane_b32 s2, v2
	v_add_u32_e32 v1, s2, v1
	v_mov_b32_e32 v2, 0
	ds_write_b32 v2, v1 offset:16416
.LBB1551_4:
	s_or_b64 exec, exec, s[0:1]
	v_mov_b32_e32 v1, 0
	s_load_dwordx4 s[12:15], s[4:5], 0x0
	s_load_dword s0, s[4:5], 0x20
	s_waitcnt lgkmcnt(0)
	s_barrier
	ds_read_b32 v1, v1 offset:16416
	v_mul_u32_u24_e32 v10, 22, v0
	s_waitcnt lgkmcnt(0)
	s_barrier
	v_readfirstlane_b32 s24, v1
	v_cmp_le_u32_e32 vcc, s18, v1
	s_mul_i32 s25, s24, 0x2c00
	s_cbranch_vccz .LBB1551_124
; %bb.5:
	s_mul_i32 s26, s18, 0xffffd400
	s_add_i32 s26, s26, s0
	s_add_u32 s0, s12, s25
	s_addc_u32 s1, s13, 0
	v_mov_b32_e32 v1, s1
	v_add_co_u32_e32 v2, vcc, s0, v10
	v_addc_co_u32_e32 v3, vcc, 0, v1, vcc
	v_cmp_gt_u32_e32 vcc, s26, v10
	v_mov_b32_e32 v4, 0x80
	v_mov_b32_e32 v1, 0x80
	s_and_saveexec_b64 s[0:1], vcc
	s_cbranch_execz .LBB1551_7
; %bb.6:
	global_load_ubyte v1, v[2:3], off
.LBB1551_7:
	s_or_b64 exec, exec, s[0:1]
	v_or_b32_e32 v5, 1, v10
	v_cmp_gt_u32_e32 vcc, s26, v5
	s_and_saveexec_b64 s[0:1], vcc
	s_cbranch_execz .LBB1551_9
; %bb.8:
	global_load_ubyte v4, v[2:3], off offset:1
.LBB1551_9:
	s_or_b64 exec, exec, s[0:1]
	v_add_u32_e32 v5, 2, v10
	v_cmp_gt_u32_e32 vcc, s26, v5
	v_mov_b32_e32 v6, 0x80
	v_mov_b32_e32 v5, 0x80
	s_and_saveexec_b64 s[0:1], vcc
	s_cbranch_execz .LBB1551_11
; %bb.10:
	global_load_ubyte v5, v[2:3], off offset:2
.LBB1551_11:
	s_or_b64 exec, exec, s[0:1]
	v_add_u32_e32 v7, 3, v10
	v_cmp_gt_u32_e32 vcc, s26, v7
	s_and_saveexec_b64 s[0:1], vcc
	s_cbranch_execz .LBB1551_13
; %bb.12:
	global_load_ubyte v6, v[2:3], off offset:3
.LBB1551_13:
	s_or_b64 exec, exec, s[0:1]
	v_add_u32_e32 v7, 4, v10
	v_cmp_gt_u32_e32 vcc, s26, v7
	v_mov_b32_e32 v11, 0x80
	v_mov_b32_e32 v8, 0x80
	s_and_saveexec_b64 s[0:1], vcc
	s_cbranch_execz .LBB1551_15
; %bb.14:
	global_load_ubyte v8, v[2:3], off offset:4
.LBB1551_15:
	s_or_b64 exec, exec, s[0:1]
	v_add_u32_e32 v7, 5, v10
	;; [unrolled: 18-line block ×10, first 2 shown]
	v_cmp_gt_u32_e32 vcc, s26, v7
	s_and_saveexec_b64 s[0:1], vcc
	s_cbranch_execz .LBB1551_49
; %bb.48:
	global_load_ubyte v40, v[2:3], off offset:21
.LBB1551_49:
	s_or_b64 exec, exec, s[0:1]
	v_lshlrev_b32_e32 v2, 2, v0
	v_mov_b32_e32 v3, 0
	s_mov_b64 s[0:1], -1
	ds_write2st64_b32 v2, v3, v3 offset1:8
	ds_write2st64_b32 v2, v3, v3 offset0:16 offset1:24
	s_and_saveexec_b64 s[2:3], s[0:1]
	s_cbranch_execz .LBB1551_51
; %bb.50:
	ds_write_b32 v2, v3 offset:8192
.LBB1551_51:
	s_or_b64 exec, exec, s[2:3]
	s_and_saveexec_b64 s[2:3], s[0:1]
	s_cbranch_execz .LBB1551_53
; %bb.52:
	v_mov_b32_e32 v3, 0
	ds_write_b32 v2, v3 offset:10240
.LBB1551_53:
	s_or_b64 exec, exec, s[2:3]
	v_cmp_gt_u32_e64 s[0:1], 7, 6
	v_cmp_gt_u32_e64 s[18:19], 7, 5
	s_and_saveexec_b64 s[2:3], s[18:19]
	s_cbranch_execz .LBB1551_55
; %bb.54:
	v_mov_b32_e32 v3, 0
	ds_write_b32 v2, v3 offset:12288
.LBB1551_55:
	s_or_b64 exec, exec, s[2:3]
	s_and_saveexec_b64 s[2:3], s[0:1]
	s_cbranch_execz .LBB1551_57
; %bb.56:
	v_mov_b32_e32 v3, 0
	ds_write_b32 v2, v3 offset:14336
.LBB1551_57:
	s_or_b64 exec, exec, s[2:3]
	s_waitcnt vmcnt(0)
	v_xor_b32_e32 v1, 0x7f, v1
	s_lshl_b32 s0, -1, s17
	s_not_b32 s27, s0
	v_lshrrev_b32_sdwa v2, s16, v1 dst_sel:DWORD dst_unused:UNUSED_PAD src0_sel:DWORD src1_sel:BYTE_0
	v_and_b32_e32 v2, s27, v2
	v_lshrrev_b32_e32 v3, 3, v2
	v_lshlrev_b32_e32 v2, 9, v2
	s_movk_i32 s0, 0xe00
	v_and_or_b32 v2, v2, s0, v0
	v_lshlrev_b32_e32 v2, 1, v2
	v_add_lshl_u32 v2, v2, v3, 1
	ds_read_u16 v7, v2
	v_xor_b32_e32 v4, 0x7f, v4
	v_xor_b32_e32 v5, 0x7f, v5
	v_xor_b32_e32 v6, 0x7f, v6
	v_xor_b32_e32 v8, 0x7f, v8
	s_waitcnt lgkmcnt(0)
	v_add_u16_e32 v3, 1, v7
	ds_write_b16 v2, v3
	v_lshrrev_b32_sdwa v3, s16, v4 dst_sel:DWORD dst_unused:UNUSED_PAD src0_sel:DWORD src1_sel:BYTE_0
	v_and_b32_e32 v3, s27, v3
	v_lshrrev_b32_e32 v9, 3, v3
	v_lshlrev_b32_e32 v3, 9, v3
	v_and_or_b32 v3, v3, s0, v0
	v_lshlrev_b32_e32 v3, 1, v3
	v_add_lshl_u32 v3, v3, v9, 1
	ds_read_u16 v9, v3
	v_xor_b32_e32 v14, 0x7f, v14
	v_xor_b32_e32 v16, 0x7f, v16
	v_xor_b32_e32 v18, 0x7f, v18
	v_xor_b32_e32 v20, 0x7f, v20
	s_waitcnt lgkmcnt(0)
	v_add_u16_e32 v12, 1, v9
	ds_write_b16 v3, v12
	v_lshrrev_b32_sdwa v12, s16, v5 dst_sel:DWORD dst_unused:UNUSED_PAD src0_sel:DWORD src1_sel:BYTE_0
	v_and_b32_e32 v12, s27, v12
	v_lshrrev_b32_e32 v13, 3, v12
	v_lshlrev_b32_e32 v12, 9, v12
	;; [unrolled: 15-line block ×5, first 2 shown]
	v_and_or_b32 v11, v11, s0, v0
	v_lshlrev_b32_e32 v11, 1, v11
	v_add_lshl_u32 v11, v11, v19, 1
	ds_read_u16 v19, v11
	v_xor_b32_e32 v40, 0x7f, v40
	s_waitcnt lgkmcnt(0)
	v_add_u16_e32 v21, 1, v19
	ds_write_b16 v11, v21
	v_lshrrev_b32_sdwa v21, s16, v14 dst_sel:DWORD dst_unused:UNUSED_PAD src0_sel:DWORD src1_sel:BYTE_0
	v_and_b32_e32 v21, s27, v21
	v_lshrrev_b32_e32 v23, 3, v21
	v_lshlrev_b32_e32 v21, 9, v21
	v_and_or_b32 v21, v21, s0, v0
	v_lshlrev_b32_e32 v21, 1, v21
	v_add_lshl_u32 v43, v21, v23, 1
	ds_read_u16 v21, v43
	s_waitcnt lgkmcnt(0)
	v_add_u16_e32 v23, 1, v21
	ds_write_b16 v43, v23
	v_lshrrev_b32_sdwa v23, s16, v16 dst_sel:DWORD dst_unused:UNUSED_PAD src0_sel:DWORD src1_sel:BYTE_0
	v_and_b32_e32 v23, s27, v23
	v_lshrrev_b32_e32 v25, 3, v23
	v_lshlrev_b32_e32 v23, 9, v23
	v_and_or_b32 v23, v23, s0, v0
	v_lshlrev_b32_e32 v23, 1, v23
	v_add_lshl_u32 v46, v23, v25, 1
	ds_read_u16 v23, v46
	;; [unrolled: 11-line block ×16, first 2 shown]
	s_waitcnt lgkmcnt(0)
	v_add_u16_e32 v68, 1, v59
	ds_write_b16 v67, v68
	v_lshlrev_b32_e32 v68, 5, v0
	s_waitcnt lgkmcnt(0)
	s_barrier
	ds_read2_b64 v[70:73], v68 offset1:1
	ds_read2_b64 v[74:77], v68 offset0:2 offset1:3
	s_waitcnt lgkmcnt(1)
	v_add_u32_e32 v69, v71, v70
	v_add3_u32 v69, v69, v72, v73
	s_waitcnt lgkmcnt(0)
	v_add3_u32 v69, v69, v74, v75
	v_add3_u32 v70, v69, v76, v77
	v_mbcnt_lo_u32_b32 v69, -1, 0
	v_mbcnt_hi_u32_b32 v69, -1, v69
	v_and_b32_e32 v71, 15, v69
	v_mov_b32_dpp v72, v70 row_shr:1 row_mask:0xf bank_mask:0xf
	v_cmp_ne_u32_e32 vcc, 0, v71
	v_cndmask_b32_e32 v72, 0, v72, vcc
	v_add_u32_e32 v70, v72, v70
	v_cmp_lt_u32_e32 vcc, 1, v71
	s_nop 0
	v_mov_b32_dpp v72, v70 row_shr:2 row_mask:0xf bank_mask:0xf
	v_cndmask_b32_e32 v72, 0, v72, vcc
	v_add_u32_e32 v70, v70, v72
	v_cmp_lt_u32_e32 vcc, 3, v71
	s_nop 0
	v_mov_b32_dpp v72, v70 row_shr:4 row_mask:0xf bank_mask:0xf
	;; [unrolled: 5-line block ×3, first 2 shown]
	v_cndmask_b32_e32 v71, 0, v72, vcc
	v_add_u32_e32 v70, v70, v71
	v_bfe_i32 v72, v69, 4, 1
	v_cmp_lt_u32_e32 vcc, 31, v69
	v_mov_b32_dpp v71, v70 row_bcast:15 row_mask:0xf bank_mask:0xf
	v_and_b32_e32 v71, v72, v71
	v_add_u32_e32 v70, v70, v71
	v_or_b32_e32 v72, 63, v0
	s_nop 0
	v_mov_b32_dpp v71, v70 row_bcast:31 row_mask:0xf bank_mask:0xf
	v_cndmask_b32_e32 v71, 0, v71, vcc
	v_add_u32_e32 v70, v70, v71
	v_lshrrev_b32_e32 v71, 6, v0
	v_cmp_eq_u32_e32 vcc, v72, v0
	v_lshlrev_b32_e32 v71, 2, v71
	s_and_saveexec_b64 s[0:1], vcc
	s_cbranch_execz .LBB1551_59
; %bb.58:
	ds_write_b32 v71, v70 offset:16384
.LBB1551_59:
	s_or_b64 exec, exec, s[0:1]
	v_cmp_gt_u32_e32 vcc, 8, v0
	s_waitcnt lgkmcnt(0)
	s_barrier
	s_and_saveexec_b64 s[0:1], vcc
	s_cbranch_execz .LBB1551_61
; %bb.60:
	s_movk_i32 s2, 0xffe4
	v_mad_i32_i24 v72, v0, s2, v68
	ds_read_b32 v73, v72 offset:16384
	v_and_b32_e32 v74, 7, v69
	v_cmp_ne_u32_e32 vcc, 0, v74
	s_waitcnt lgkmcnt(0)
	v_mov_b32_dpp v75, v73 row_shr:1 row_mask:0xf bank_mask:0xf
	v_cndmask_b32_e32 v75, 0, v75, vcc
	v_add_u32_e32 v73, v75, v73
	v_cmp_lt_u32_e32 vcc, 1, v74
	s_nop 0
	v_mov_b32_dpp v75, v73 row_shr:2 row_mask:0xf bank_mask:0xf
	v_cndmask_b32_e32 v75, 0, v75, vcc
	v_add_u32_e32 v73, v73, v75
	v_cmp_lt_u32_e32 vcc, 3, v74
	s_nop 0
	v_mov_b32_dpp v75, v73 row_shr:4 row_mask:0xf bank_mask:0xf
	v_cndmask_b32_e32 v74, 0, v75, vcc
	v_add_u32_e32 v73, v73, v74
	ds_write_b32 v72, v73 offset:16384
.LBB1551_61:
	s_or_b64 exec, exec, s[0:1]
	v_cmp_lt_u32_e32 vcc, 63, v0
	v_mov_b32_e32 v73, 0
	v_mov_b32_e32 v72, 0
	s_waitcnt lgkmcnt(0)
	s_barrier
	s_and_saveexec_b64 s[0:1], vcc
	s_cbranch_execz .LBB1551_63
; %bb.62:
	ds_read_b32 v72, v71 offset:16380
.LBB1551_63:
	s_or_b64 exec, exec, s[0:1]
	v_add_u32_e32 v71, -1, v69
	v_and_b32_e32 v74, 64, v69
	v_cmp_lt_i32_e32 vcc, v71, v74
	v_cndmask_b32_e32 v71, v71, v69, vcc
	s_waitcnt lgkmcnt(0)
	v_add_u32_e32 v70, v72, v70
	v_lshlrev_b32_e32 v71, 2, v71
	ds_bpermute_b32 v70, v71, v70
	ds_read_b32 v71, v73 offset:16412
	ds_read2_b64 v[74:77], v68 offset1:1
	v_cmp_eq_u32_e32 vcc, 0, v69
	ds_read_b32 v78, v68 offset:24
	s_waitcnt lgkmcnt(3)
	v_cndmask_b32_e32 v69, v70, v72, vcc
	ds_read_b64 v[72:73], v68 offset:16
	s_waitcnt lgkmcnt(3)
	v_lshl_add_u32 v70, v71, 16, v69
	s_waitcnt lgkmcnt(2)
	v_add_u32_e32 v71, v70, v74
	v_add_u32_e32 v74, v75, v71
	;; [unrolled: 1-line block ×3, first 2 shown]
	ds_write2_b64 v68, v[70:71], v[74:75] offset1:1
	v_add_u32_e32 v70, v77, v75
	s_waitcnt lgkmcnt(1)
	v_add_u32_e32 v71, v72, v70
	v_add_u32_e32 v72, v73, v71
	;; [unrolled: 1-line block ×3, first 2 shown]
	ds_write2_b64 v68, v[70:71], v[72:73] offset0:2 offset1:3
	s_waitcnt lgkmcnt(0)
	s_barrier
	ds_read_u16 v68, v2
	ds_read_u16 v69, v3
	ds_read_u16 v28, v28
	ds_read_u16 v31, v31
	ds_read_u16 v36, v36
	ds_read_u16 v70, v11
	ds_read_u16 v43, v43
	ds_read_u16 v46, v46
	ds_read_u16 v48, v48
	ds_read_u16 v50, v50
	ds_read_u16 v52, v52
	ds_read_u16 v54, v54
	ds_read_u16 v56, v56
	ds_read_u16 v58, v58
	ds_read_u16 v60, v60
	ds_read_u16 v61, v61
	ds_read_u16 v62, v62
	ds_read_u16 v63, v63
	ds_read_u16 v64, v64
	ds_read_u16 v65, v65
	ds_read_u16 v66, v66
	ds_read_u16 v67, v67
	v_cmp_gt_u32_e32 vcc, 16, v0
	v_pk_mov_b32 v[2:3], 0, 0
                                        ; implicit-def: $vgpr11
	s_and_saveexec_b64 s[2:3], vcc
	s_cbranch_execz .LBB1551_67
; %bb.64:
	v_lshrrev_b32_e32 v2, 3, v0
	v_lshlrev_b32_e32 v3, 10, v0
	s_movk_i32 s20, 0x1c00
	v_and_or_b32 v2, v3, s20, v2
	v_lshlrev_b32_e32 v2, 1, v2
	ds_read_u16 v2, v2
	v_add_u32_e32 v11, 1, v0
	v_cmp_ne_u32_e64 s[0:1], 16, v11
	v_mov_b32_e32 v3, 0x2c00
	s_and_saveexec_b64 s[18:19], s[0:1]
	s_cbranch_execz .LBB1551_66
; %bb.65:
	v_lshlrev_b32_e32 v3, 10, v11
	v_lshrrev_b32_e32 v11, 3, v11
	v_and_or_b32 v3, v3, s20, v11
	v_lshlrev_b32_e32 v3, 1, v3
	ds_read_u16 v3, v3
.LBB1551_66:
	s_or_b64 exec, exec, s[18:19]
	s_waitcnt lgkmcnt(0)
	v_and_b32_e32 v2, 0xffff, v2
	s_mov_b32 s0, 0
	v_sub_u32_e32 v11, v3, v2
	v_mov_b32_e32 v3, s0
.LBB1551_67:
	s_or_b64 exec, exec, s[2:3]
	s_waitcnt lgkmcnt(14)
	v_add_u32_sdwa v7, v68, v7 dst_sel:DWORD dst_unused:UNUSED_PAD src0_sel:WORD_0 src1_sel:WORD_0
	v_add_u32_sdwa v9, v69, v9 dst_sel:DWORD dst_unused:UNUSED_PAD src0_sel:WORD_0 src1_sel:WORD_0
	;; [unrolled: 1-line block ×8, first 2 shown]
	s_waitcnt lgkmcnt(13)
	v_add_u32_sdwa v25, v48, v25 dst_sel:DWORD dst_unused:UNUSED_PAD src0_sel:WORD_0 src1_sel:WORD_0
	s_waitcnt lgkmcnt(12)
	v_add_u32_sdwa v27, v50, v27 dst_sel:DWORD dst_unused:UNUSED_PAD src0_sel:WORD_0 src1_sel:WORD_0
	;; [unrolled: 2-line block ×14, first 2 shown]
	s_barrier
	ds_write_b8 v7, v1 offset:128
	ds_write_b8 v9, v4 offset:128
	;; [unrolled: 1-line block ×22, first 2 shown]
	s_and_saveexec_b64 s[2:3], vcc
	s_cbranch_execz .LBB1551_77
; %bb.68:
	v_lshl_or_b32 v4, s24, 4, v0
	v_mov_b32_e32 v5, 0
	v_lshlrev_b64 v[6:7], 2, v[4:5]
	v_mov_b32_e32 v1, s7
	v_add_co_u32_e64 v6, s[0:1], s6, v6
	v_addc_co_u32_e64 v7, s[0:1], v1, v7, s[0:1]
	v_or_b32_e32 v4, 2.0, v11
	s_mov_b64 s[18:19], 0
	s_brev_b32 s28, 1
	s_mov_b32 s29, s24
	v_mov_b32_e32 v12, 0
	global_store_dword v[6:7], v4, off
                                        ; implicit-def: $sgpr0_sgpr1
	s_branch .LBB1551_70
.LBB1551_69:                            ;   in Loop: Header=BB1551_70 Depth=1
	s_or_b64 exec, exec, s[20:21]
	v_and_b32_e32 v8, 0x3fffffff, v13
	v_add_u32_e32 v12, v8, v12
	v_cmp_eq_u32_e64 s[0:1], s28, v4
	s_and_b64 s[20:21], exec, s[0:1]
	s_or_b64 s[18:19], s[20:21], s[18:19]
	s_andn2_b64 exec, exec, s[18:19]
	s_cbranch_execz .LBB1551_76
.LBB1551_70:                            ; =>This Loop Header: Depth=1
                                        ;     Child Loop BB1551_73 Depth 2
	s_or_b64 s[0:1], s[0:1], exec
	s_cmp_eq_u32 s29, 0
	s_cbranch_scc1 .LBB1551_75
; %bb.71:                               ;   in Loop: Header=BB1551_70 Depth=1
	s_add_i32 s29, s29, -1
	v_lshl_or_b32 v4, s29, 4, v0
	v_lshlrev_b64 v[8:9], 2, v[4:5]
	v_add_co_u32_e64 v8, s[0:1], s6, v8
	v_addc_co_u32_e64 v9, s[0:1], v1, v9, s[0:1]
	global_load_dword v13, v[8:9], off glc
	s_waitcnt vmcnt(0)
	v_and_b32_e32 v4, -2.0, v13
	v_cmp_eq_u32_e64 s[0:1], 0, v4
	s_and_saveexec_b64 s[20:21], s[0:1]
	s_cbranch_execz .LBB1551_69
; %bb.72:                               ;   in Loop: Header=BB1551_70 Depth=1
	s_mov_b64 s[22:23], 0
.LBB1551_73:                            ;   Parent Loop BB1551_70 Depth=1
                                        ; =>  This Inner Loop Header: Depth=2
	global_load_dword v13, v[8:9], off glc
	s_waitcnt vmcnt(0)
	v_and_b32_e32 v4, -2.0, v13
	v_cmp_ne_u32_e64 s[0:1], 0, v4
	s_or_b64 s[22:23], s[0:1], s[22:23]
	s_andn2_b64 exec, exec, s[22:23]
	s_cbranch_execnz .LBB1551_73
; %bb.74:                               ;   in Loop: Header=BB1551_70 Depth=1
	s_or_b64 exec, exec, s[22:23]
	s_branch .LBB1551_69
.LBB1551_75:                            ;   in Loop: Header=BB1551_70 Depth=1
                                        ; implicit-def: $sgpr29
	s_and_b64 s[20:21], exec, s[0:1]
	s_or_b64 s[18:19], s[20:21], s[18:19]
	s_andn2_b64 exec, exec, s[18:19]
	s_cbranch_execnz .LBB1551_70
.LBB1551_76:
	s_or_b64 exec, exec, s[18:19]
	v_add_u32_e32 v1, v12, v11
	v_or_b32_e32 v1, 0x80000000, v1
	global_store_dword v[6:7], v1, off
	v_lshlrev_b32_e32 v1, 3, v0
	global_load_dwordx2 v[4:5], v1, s[8:9]
	v_sub_co_u32_e64 v6, s[0:1], v12, v2
	v_subb_co_u32_e64 v7, s[0:1], 0, v3, s[0:1]
	s_waitcnt vmcnt(0)
	v_add_co_u32_e64 v4, s[0:1], v6, v4
	v_addc_co_u32_e64 v5, s[0:1], v7, v5, s[0:1]
	ds_write_b64 v1, v[4:5]
.LBB1551_77:
	s_or_b64 exec, exec, s[2:3]
	v_cmp_gt_u32_e64 s[0:1], s26, v0
	s_waitcnt lgkmcnt(0)
	s_barrier
	s_and_saveexec_b64 s[2:3], s[0:1]
	s_cbranch_execz .LBB1551_79
; %bb.78:
	ds_read_u8 v1, v0 offset:128
	v_mov_b32_e32 v6, s15
	s_waitcnt lgkmcnt(0)
	v_lshrrev_b32_sdwa v4, s16, v1 dst_sel:DWORD dst_unused:UNUSED_PAD src0_sel:DWORD src1_sel:BYTE_0
	v_and_b32_e32 v4, s27, v4
	v_lshlrev_b32_e32 v4, 3, v4
	ds_read_b64 v[4:5], v4
	v_xor_b32_e32 v1, 0x7f, v1
	s_waitcnt lgkmcnt(0)
	v_add_co_u32_e64 v4, s[0:1], s14, v4
	v_addc_co_u32_e64 v5, s[0:1], v6, v5, s[0:1]
	v_add_co_u32_e64 v4, s[0:1], v4, v0
	v_addc_co_u32_e64 v5, s[0:1], 0, v5, s[0:1]
	global_store_byte v[4:5], v1, off
.LBB1551_79:
	s_or_b64 exec, exec, s[2:3]
	v_or_b32_e32 v1, 0x200, v0
	v_cmp_gt_u32_e64 s[0:1], s26, v1
	s_and_saveexec_b64 s[2:3], s[0:1]
	s_cbranch_execz .LBB1551_81
; %bb.80:
	ds_read_u8 v1, v0 offset:640
	v_mov_b32_e32 v6, s15
	s_waitcnt lgkmcnt(0)
	v_lshrrev_b32_sdwa v4, s16, v1 dst_sel:DWORD dst_unused:UNUSED_PAD src0_sel:DWORD src1_sel:BYTE_0
	v_and_b32_e32 v4, s27, v4
	v_lshlrev_b32_e32 v4, 3, v4
	ds_read_b64 v[4:5], v4
	v_xor_b32_e32 v1, 0x7f, v1
	s_waitcnt lgkmcnt(0)
	v_add_co_u32_e64 v4, s[0:1], s14, v4
	v_addc_co_u32_e64 v5, s[0:1], v6, v5, s[0:1]
	v_add_co_u32_e64 v4, s[0:1], v4, v0
	v_addc_co_u32_e64 v5, s[0:1], 0, v5, s[0:1]
	global_store_byte v[4:5], v1, off offset:512
.LBB1551_81:
	s_or_b64 exec, exec, s[2:3]
	v_or_b32_e32 v1, 0x400, v0
	v_cmp_gt_u32_e64 s[0:1], s26, v1
	s_and_saveexec_b64 s[2:3], s[0:1]
	s_cbranch_execz .LBB1551_83
; %bb.82:
	ds_read_u8 v1, v0 offset:1152
	v_mov_b32_e32 v6, s15
	s_waitcnt lgkmcnt(0)
	v_lshrrev_b32_sdwa v4, s16, v1 dst_sel:DWORD dst_unused:UNUSED_PAD src0_sel:DWORD src1_sel:BYTE_0
	v_and_b32_e32 v4, s27, v4
	v_lshlrev_b32_e32 v4, 3, v4
	ds_read_b64 v[4:5], v4
	v_xor_b32_e32 v1, 0x7f, v1
	s_waitcnt lgkmcnt(0)
	v_add_co_u32_e64 v4, s[0:1], s14, v4
	v_addc_co_u32_e64 v5, s[0:1], v6, v5, s[0:1]
	v_add_co_u32_e64 v4, s[0:1], v4, v0
	v_addc_co_u32_e64 v5, s[0:1], 0, v5, s[0:1]
	global_store_byte v[4:5], v1, off offset:1024
.LBB1551_83:
	;; [unrolled: 21-line block ×7, first 2 shown]
	s_or_b64 exec, exec, s[2:3]
	v_or_b32_e32 v1, 0x1000, v0
	v_cmp_gt_u32_e64 s[0:1], s26, v1
	s_and_saveexec_b64 s[2:3], s[0:1]
	s_cbranch_execz .LBB1551_95
; %bb.94:
	ds_read_u8 v6, v0 offset:4224
	v_mov_b32_e32 v7, s15
	s_waitcnt lgkmcnt(0)
	v_lshrrev_b32_sdwa v4, s16, v6 dst_sel:DWORD dst_unused:UNUSED_PAD src0_sel:DWORD src1_sel:BYTE_0
	v_and_b32_e32 v4, s27, v4
	v_lshlrev_b32_e32 v4, 3, v4
	ds_read_b64 v[4:5], v4
	v_xor_b32_e32 v6, 0x7f, v6
	s_waitcnt lgkmcnt(0)
	v_add_co_u32_e64 v4, s[0:1], s14, v4
	v_addc_co_u32_e64 v5, s[0:1], v7, v5, s[0:1]
	v_add_co_u32_e64 v4, s[0:1], v4, v1
	v_addc_co_u32_e64 v5, s[0:1], 0, v5, s[0:1]
	global_store_byte v[4:5], v6, off
.LBB1551_95:
	s_or_b64 exec, exec, s[2:3]
	v_or_b32_e32 v1, 0x1200, v0
	v_cmp_gt_u32_e64 s[0:1], s26, v1
	s_and_saveexec_b64 s[2:3], s[0:1]
	s_cbranch_execz .LBB1551_97
; %bb.96:
	ds_read_u8 v6, v0 offset:4736
	v_mov_b32_e32 v7, s15
	s_waitcnt lgkmcnt(0)
	v_lshrrev_b32_sdwa v4, s16, v6 dst_sel:DWORD dst_unused:UNUSED_PAD src0_sel:DWORD src1_sel:BYTE_0
	v_and_b32_e32 v4, s27, v4
	v_lshlrev_b32_e32 v4, 3, v4
	ds_read_b64 v[4:5], v4
	v_xor_b32_e32 v6, 0x7f, v6
	s_waitcnt lgkmcnt(0)
	v_add_co_u32_e64 v4, s[0:1], s14, v4
	v_addc_co_u32_e64 v5, s[0:1], v7, v5, s[0:1]
	v_add_co_u32_e64 v4, s[0:1], v4, v1
	v_addc_co_u32_e64 v5, s[0:1], 0, v5, s[0:1]
	global_store_byte v[4:5], v6, off
.LBB1551_97:
	;; [unrolled: 21-line block ×14, first 2 shown]
	s_or_b64 exec, exec, s[2:3]
	s_load_dword s2, s[4:5], 0x58
	s_mov_b64 s[0:1], 0
	s_mov_b64 s[18:19], 0
                                        ; implicit-def: $vgpr4_vgpr5
	s_waitcnt lgkmcnt(0)
	s_add_i32 s2, s2, -1
	s_cmp_eq_u32 s2, s24
	s_cselect_b64 s[2:3], -1, 0
	s_and_b64 s[2:3], vcc, s[2:3]
	s_and_saveexec_b64 s[20:21], s[2:3]
	s_xor_b64 s[2:3], exec, s[20:21]
; %bb.122:
	v_add_co_u32_e32 v4, vcc, v2, v11
	s_mov_b64 s[18:19], exec
	v_mov_b32_e32 v1, 0
	v_addc_co_u32_e32 v5, vcc, 0, v3, vcc
; %bb.123:
	s_or_b64 exec, exec, s[2:3]
	s_and_b64 vcc, exec, s[0:1]
	s_cbranch_vccnz .LBB1551_125
	s_branch .LBB1551_158
.LBB1551_124:
	s_mov_b64 s[18:19], 0
                                        ; implicit-def: $vgpr4_vgpr5
	s_cbranch_execz .LBB1551_158
.LBB1551_125:
	s_add_u32 s0, s12, s25
	s_addc_u32 s1, s13, 0
	global_load_ushort v7, v10, s[0:1] offset:20
	global_load_dwordx4 v[2:5], v10, s[0:1]
	global_load_dword v6, v10, s[0:1] offset:16
	v_mov_b32_e32 v9, 8
	s_mov_b32 s12, 0x3020104
	v_lshlrev_b32_e32 v1, 2, v0
	v_mov_b32_e32 v8, 0
	s_mov_b64 s[0:1], -1
	ds_write2st64_b32 v1, v8, v8 offset1:8
	ds_write2st64_b32 v1, v8, v8 offset0:16 offset1:24
	s_waitcnt vmcnt(2)
	v_lshrrev_b32_sdwa v9, v9, v7 dst_sel:BYTE_1 dst_unused:UNUSED_PAD src0_sel:DWORD src1_sel:DWORD
	v_or_b32_sdwa v7, v7, v9 dst_sel:DWORD dst_unused:UNUSED_PAD src0_sel:BYTE_0 src1_sel:DWORD
	s_and_saveexec_b64 s[2:3], s[0:1]
	s_cbranch_execz .LBB1551_127
; %bb.126:
	ds_write_b32 v1, v8 offset:8192
.LBB1551_127:
	s_or_b64 exec, exec, s[2:3]
	v_and_b32_e32 v7, 0xffff, v7
	s_waitcnt vmcnt(0)
	v_perm_b32 v6, v6, v6, s12
	s_and_saveexec_b64 s[2:3], s[0:1]
	s_cbranch_execz .LBB1551_129
; %bb.128:
	v_mov_b32_e32 v8, 0
	ds_write_b32 v1, v8 offset:10240
.LBB1551_129:
	s_or_b64 exec, exec, s[2:3]
	v_cmp_gt_u32_e64 s[0:1], 7, 6
	v_cmp_gt_u32_e64 s[12:13], 7, 5
	s_and_saveexec_b64 s[2:3], s[12:13]
	s_cbranch_execz .LBB1551_131
; %bb.130:
	v_mov_b32_e32 v8, 0
	ds_write_b32 v1, v8 offset:12288
.LBB1551_131:
	s_or_b64 exec, exec, s[2:3]
	s_and_saveexec_b64 s[2:3], s[0:1]
	s_cbranch_execz .LBB1551_133
; %bb.132:
	v_mov_b32_e32 v8, 0
	ds_write_b32 v1, v8 offset:14336
.LBB1551_133:
	s_or_b64 exec, exec, s[2:3]
	v_xor_b32_e32 v1, 0x7f, v2
	s_lshl_b32 s0, -1, s17
	s_not_b32 s17, s0
	v_lshrrev_b32_sdwa v8, s16, v1 dst_sel:DWORD dst_unused:UNUSED_PAD src0_sel:DWORD src1_sel:BYTE_0
	v_and_b32_e32 v8, s17, v8
	v_lshrrev_b32_e32 v9, 3, v8
	v_lshlrev_b32_e32 v8, 9, v8
	s_movk_i32 s0, 0xe00
	v_and_or_b32 v8, v8, s0, v0
	v_lshlrev_b32_e32 v8, 1, v8
	v_add_lshl_u32 v10, v8, v9, 1
	ds_read_u16 v12, v10
	v_lshrrev_b32_e32 v8, 8, v2
	v_xor_b32_e32 v8, 0x7f, v8
	s_movk_i32 s1, 0x7f
	v_lshrrev_b64 v[18:19], 24, v[2:3]
	s_waitcnt lgkmcnt(0)
	v_add_u16_e32 v9, 1, v12
	ds_write_b16 v10, v9
	v_lshrrev_b32_sdwa v9, s16, v8 dst_sel:DWORD dst_unused:UNUSED_PAD src0_sel:DWORD src1_sel:BYTE_0
	v_and_b32_e32 v9, s17, v9
	v_lshrrev_b32_e32 v11, 3, v9
	v_lshlrev_b32_e32 v9, 9, v9
	v_and_or_b32 v9, v9, s0, v0
	v_lshlrev_b32_e32 v9, 1, v9
	v_add_lshl_u32 v27, v9, v11, 1
	ds_read_u16 v14, v27
	v_xor_b32_sdwa v9, v2, s1 dst_sel:DWORD dst_unused:UNUSED_PAD src0_sel:WORD_1 src1_sel:DWORD
	v_lshrrev_b64 v[36:37], 24, v[4:5]
	v_lshrrev_b64 v[64:65], 24, v[6:7]
	s_waitcnt lgkmcnt(0)
	v_add_u16_e32 v11, 1, v14
	ds_write_b16 v27, v11
	v_lshrrev_b32_sdwa v11, s16, v9 dst_sel:DWORD dst_unused:UNUSED_PAD src0_sel:DWORD src1_sel:BYTE_0
	v_and_b32_e32 v11, s17, v11
	v_lshrrev_b32_e32 v13, 3, v11
	v_lshlrev_b32_e32 v11, 9, v11
	v_and_or_b32 v11, v11, s0, v0
	v_lshlrev_b32_e32 v11, 1, v11
	v_add_lshl_u32 v30, v11, v13, 1
	ds_read_u16 v16, v30
	v_xor_b32_e32 v11, 0x7f, v18
	s_waitcnt lgkmcnt(0)
	v_add_u16_e32 v2, 1, v16
	ds_write_b16 v30, v2
	v_lshrrev_b32_sdwa v2, s16, v11 dst_sel:DWORD dst_unused:UNUSED_PAD src0_sel:DWORD src1_sel:BYTE_0
	v_and_b32_e32 v2, s17, v2
	v_lshrrev_b32_e32 v13, 3, v2
	v_lshlrev_b32_e32 v2, 9, v2
	v_and_or_b32 v2, v2, s0, v0
	v_lshlrev_b32_e32 v2, 1, v2
	v_add_lshl_u32 v2, v2, v13, 1
	ds_read_u16 v18, v2
	v_xor_b32_e32 v13, 0x7f, v3
	s_waitcnt lgkmcnt(0)
	v_add_u16_e32 v15, 1, v18
	ds_write_b16 v2, v15
	v_lshrrev_b32_sdwa v15, s16, v13 dst_sel:DWORD dst_unused:UNUSED_PAD src0_sel:DWORD src1_sel:BYTE_0
	v_and_b32_e32 v15, s17, v15
	v_lshrrev_b32_e32 v17, 3, v15
	v_lshlrev_b32_e32 v15, 9, v15
	v_and_or_b32 v15, v15, s0, v0
	v_lshlrev_b32_e32 v15, 1, v15
	v_add_lshl_u32 v35, v15, v17, 1
	ds_read_u16 v20, v35
	v_lshrrev_b32_e32 v15, 8, v3
	v_xor_b32_e32 v15, 0x7f, v15
	s_waitcnt lgkmcnt(0)
	v_add_u16_e32 v17, 1, v20
	ds_write_b16 v35, v17
	v_lshrrev_b32_sdwa v17, s16, v15 dst_sel:DWORD dst_unused:UNUSED_PAD src0_sel:DWORD src1_sel:BYTE_0
	v_and_b32_e32 v17, s17, v17
	v_lshrrev_b32_e32 v19, 3, v17
	v_lshlrev_b32_e32 v17, 9, v17
	v_and_or_b32 v17, v17, s0, v0
	v_lshlrev_b32_e32 v17, 1, v17
	v_add_lshl_u32 v38, v17, v19, 1
	ds_read_u16 v22, v38
	v_xor_b32_sdwa v17, v3, s1 dst_sel:DWORD dst_unused:UNUSED_PAD src0_sel:WORD_1 src1_sel:DWORD
	s_waitcnt lgkmcnt(0)
	v_add_u16_e32 v19, 1, v22
	ds_write_b16 v38, v19
	v_lshrrev_b32_sdwa v19, s16, v17 dst_sel:DWORD dst_unused:UNUSED_PAD src0_sel:DWORD src1_sel:BYTE_0
	v_and_b32_e32 v19, s17, v19
	v_lshrrev_b32_e32 v21, 3, v19
	v_lshlrev_b32_e32 v19, 9, v19
	v_and_or_b32 v19, v19, s0, v0
	v_lshlrev_b32_e32 v19, 1, v19
	v_add_lshl_u32 v40, v19, v21, 1
	ds_read_u16 v24, v40
	v_xor_b32_sdwa v19, v3, s1 dst_sel:DWORD dst_unused:UNUSED_PAD src0_sel:BYTE_3 src1_sel:DWORD
	s_waitcnt lgkmcnt(0)
	v_add_u16_e32 v3, 1, v24
	ds_write_b16 v40, v3
	v_lshrrev_b32_sdwa v3, s16, v19 dst_sel:DWORD dst_unused:UNUSED_PAD src0_sel:DWORD src1_sel:WORD_0
	v_and_b32_e32 v3, s17, v3
	v_lshrrev_b32_e32 v21, 3, v3
	v_lshlrev_b32_e32 v3, 9, v3
	v_and_or_b32 v3, v3, s0, v0
	v_lshlrev_b32_e32 v3, 1, v3
	v_add_lshl_u32 v3, v3, v21, 1
	ds_read_u16 v26, v3
	v_xor_b32_e32 v21, 0x7f, v4
	s_waitcnt lgkmcnt(0)
	v_add_u16_e32 v23, 1, v26
	ds_write_b16 v3, v23
	v_lshrrev_b32_sdwa v23, s16, v21 dst_sel:DWORD dst_unused:UNUSED_PAD src0_sel:DWORD src1_sel:BYTE_0
	v_and_b32_e32 v23, s17, v23
	v_lshrrev_b32_e32 v25, 3, v23
	v_lshlrev_b32_e32 v23, 9, v23
	v_and_or_b32 v23, v23, s0, v0
	v_lshlrev_b32_e32 v23, 1, v23
	v_add_lshl_u32 v45, v23, v25, 1
	ds_read_u16 v28, v45
	v_lshrrev_b32_e32 v23, 8, v4
	v_xor_b32_e32 v23, 0x7f, v23
	s_waitcnt lgkmcnt(0)
	v_add_u16_e32 v25, 1, v28
	ds_write_b16 v45, v25
	v_lshrrev_b32_sdwa v25, s16, v23 dst_sel:DWORD dst_unused:UNUSED_PAD src0_sel:DWORD src1_sel:BYTE_0
	v_and_b32_e32 v25, s17, v25
	v_lshrrev_b32_e32 v29, 3, v25
	v_lshlrev_b32_e32 v25, 9, v25
	v_and_or_b32 v25, v25, s0, v0
	v_lshlrev_b32_e32 v25, 1, v25
	v_add_lshl_u32 v48, v25, v29, 1
	ds_read_u16 v31, v48
	v_xor_b32_sdwa v25, v4, s1 dst_sel:DWORD dst_unused:UNUSED_PAD src0_sel:WORD_1 src1_sel:DWORD
	v_xor_b32_e32 v4, 0x7f, v36
	s_waitcnt lgkmcnt(0)
	v_add_u16_e32 v29, 1, v31
	ds_write_b16 v48, v29
	v_lshrrev_b32_sdwa v29, s16, v25 dst_sel:DWORD dst_unused:UNUSED_PAD src0_sel:DWORD src1_sel:BYTE_0
	v_and_b32_e32 v29, s17, v29
	v_lshrrev_b32_e32 v32, 3, v29
	v_lshlrev_b32_e32 v29, 9, v29
	v_and_or_b32 v29, v29, s0, v0
	v_lshlrev_b32_e32 v29, 1, v29
	v_add_lshl_u32 v50, v29, v32, 1
	ds_read_u16 v33, v50
	s_waitcnt lgkmcnt(0)
	v_add_u16_e32 v29, 1, v33
	ds_write_b16 v50, v29
	v_lshrrev_b32_sdwa v29, s16, v4 dst_sel:DWORD dst_unused:UNUSED_PAD src0_sel:DWORD src1_sel:BYTE_0
	v_and_b32_e32 v29, s17, v29
	v_lshrrev_b32_e32 v32, 3, v29
	v_lshlrev_b32_e32 v29, 9, v29
	v_and_or_b32 v29, v29, s0, v0
	v_lshlrev_b32_e32 v29, 1, v29
	v_add_lshl_u32 v53, v29, v32, 1
	ds_read_u16 v36, v53
	v_xor_b32_e32 v29, 0x7f, v5
	s_waitcnt lgkmcnt(0)
	v_add_u16_e32 v32, 1, v36
	ds_write_b16 v53, v32
	v_lshrrev_b32_sdwa v32, s16, v29 dst_sel:DWORD dst_unused:UNUSED_PAD src0_sel:DWORD src1_sel:BYTE_0
	v_and_b32_e32 v32, s17, v32
	v_lshrrev_b32_e32 v34, 3, v32
	v_lshlrev_b32_e32 v32, 9, v32
	v_and_or_b32 v32, v32, s0, v0
	v_lshlrev_b32_e32 v32, 1, v32
	v_add_lshl_u32 v54, v32, v34, 1
	ds_read_u16 v37, v54
	v_lshrrev_b32_e32 v32, 8, v5
	v_xor_b32_e32 v32, 0x7f, v32
	s_waitcnt lgkmcnt(0)
	v_add_u16_e32 v34, 1, v37
	ds_write_b16 v54, v34
	v_lshrrev_b32_sdwa v34, s16, v32 dst_sel:DWORD dst_unused:UNUSED_PAD src0_sel:DWORD src1_sel:BYTE_0
	v_and_b32_e32 v34, s17, v34
	v_lshrrev_b32_e32 v39, 3, v34
	v_lshlrev_b32_e32 v34, 9, v34
	v_and_or_b32 v34, v34, s0, v0
	v_lshlrev_b32_e32 v34, 1, v34
	v_add_lshl_u32 v57, v34, v39, 1
	ds_read_u16 v41, v57
	v_xor_b32_sdwa v34, v5, s1 dst_sel:DWORD dst_unused:UNUSED_PAD src0_sel:WORD_1 src1_sel:DWORD
	v_xor_b32_sdwa v5, v5, s1 dst_sel:DWORD dst_unused:UNUSED_PAD src0_sel:BYTE_3 src1_sel:DWORD
	s_waitcnt lgkmcnt(0)
	v_add_u16_e32 v39, 1, v41
	ds_write_b16 v57, v39
	v_lshrrev_b32_sdwa v39, s16, v34 dst_sel:DWORD dst_unused:UNUSED_PAD src0_sel:DWORD src1_sel:BYTE_0
	v_and_b32_e32 v39, s17, v39
	v_lshrrev_b32_e32 v42, 3, v39
	v_lshlrev_b32_e32 v39, 9, v39
	v_and_or_b32 v39, v39, s0, v0
	v_lshlrev_b32_e32 v39, 1, v39
	v_add_lshl_u32 v58, v39, v42, 1
	ds_read_u16 v43, v58
	s_waitcnt lgkmcnt(0)
	v_add_u16_e32 v39, 1, v43
	ds_write_b16 v58, v39
	v_lshrrev_b32_sdwa v39, s16, v5 dst_sel:DWORD dst_unused:UNUSED_PAD src0_sel:DWORD src1_sel:WORD_0
	v_and_b32_e32 v39, s17, v39
	v_lshrrev_b32_e32 v42, 3, v39
	v_lshlrev_b32_e32 v39, 9, v39
	v_and_or_b32 v39, v39, s0, v0
	v_lshlrev_b32_e32 v39, 1, v39
	v_add_lshl_u32 v60, v39, v42, 1
	ds_read_u16 v46, v60
	v_xor_b32_e32 v39, 0x7f, v6
	s_waitcnt lgkmcnt(0)
	v_add_u16_e32 v42, 1, v46
	ds_write_b16 v60, v42
	v_lshrrev_b32_sdwa v42, s16, v39 dst_sel:DWORD dst_unused:UNUSED_PAD src0_sel:DWORD src1_sel:BYTE_0
	v_and_b32_e32 v42, s17, v42
	v_lshrrev_b32_e32 v44, 3, v42
	v_lshlrev_b32_e32 v42, 9, v42
	v_and_or_b32 v42, v42, s0, v0
	v_lshlrev_b32_e32 v42, 1, v42
	v_add_lshl_u32 v61, v42, v44, 1
	ds_read_u16 v47, v61
	v_lshrrev_b32_e32 v42, 8, v6
	v_xor_b32_e32 v42, 0x7f, v42
	s_waitcnt lgkmcnt(0)
	v_add_u16_e32 v44, 1, v47
	ds_write_b16 v61, v44
	v_lshrrev_b32_sdwa v44, s16, v42 dst_sel:DWORD dst_unused:UNUSED_PAD src0_sel:DWORD src1_sel:BYTE_0
	v_and_b32_e32 v44, s17, v44
	v_lshrrev_b32_e32 v49, 3, v44
	v_lshlrev_b32_e32 v44, 9, v44
	v_and_or_b32 v44, v44, s0, v0
	v_lshlrev_b32_e32 v44, 1, v44
	v_add_lshl_u32 v62, v44, v49, 1
	ds_read_u16 v51, v62
	v_xor_b32_sdwa v44, v6, s1 dst_sel:DWORD dst_unused:UNUSED_PAD src0_sel:WORD_1 src1_sel:DWORD
	v_xor_b32_e32 v6, 0x7f, v64
	s_waitcnt lgkmcnt(0)
	v_add_u16_e32 v49, 1, v51
	ds_write_b16 v62, v49
	v_lshrrev_b32_sdwa v49, s16, v44 dst_sel:DWORD dst_unused:UNUSED_PAD src0_sel:DWORD src1_sel:BYTE_0
	v_and_b32_e32 v49, s17, v49
	v_lshrrev_b32_e32 v52, 3, v49
	v_lshlrev_b32_e32 v49, 9, v49
	v_and_or_b32 v49, v49, s0, v0
	v_lshlrev_b32_e32 v49, 1, v49
	v_add_lshl_u32 v63, v49, v52, 1
	ds_read_u16 v52, v63
	s_waitcnt lgkmcnt(0)
	v_add_u16_e32 v49, 1, v52
	ds_write_b16 v63, v49
	v_lshrrev_b32_sdwa v49, s16, v6 dst_sel:DWORD dst_unused:UNUSED_PAD src0_sel:DWORD src1_sel:BYTE_0
	v_and_b32_e32 v49, s17, v49
	v_lshrrev_b32_e32 v55, 3, v49
	v_lshlrev_b32_e32 v49, 9, v49
	v_and_or_b32 v49, v49, s0, v0
	v_lshlrev_b32_e32 v49, 1, v49
	v_add_lshl_u32 v64, v49, v55, 1
	ds_read_u16 v55, v64
	v_xor_b32_e32 v49, 0x7f, v7
	v_lshrrev_b32_e32 v7, 8, v7
	v_xor_b32_e32 v7, 0x7f, v7
	s_waitcnt lgkmcnt(0)
	v_add_u16_e32 v56, 1, v55
	ds_write_b16 v64, v56
	v_lshrrev_b32_sdwa v56, s16, v49 dst_sel:DWORD dst_unused:UNUSED_PAD src0_sel:DWORD src1_sel:BYTE_0
	v_and_b32_e32 v56, s17, v56
	v_lshrrev_b32_e32 v59, 3, v56
	v_lshlrev_b32_e32 v56, 9, v56
	v_and_or_b32 v56, v56, s0, v0
	v_lshlrev_b32_e32 v56, 1, v56
	v_add_lshl_u32 v65, v56, v59, 1
	ds_read_u16 v56, v65
	s_waitcnt lgkmcnt(0)
	v_add_u16_e32 v59, 1, v56
	ds_write_b16 v65, v59
	v_lshrrev_b32_sdwa v59, s16, v7 dst_sel:DWORD dst_unused:UNUSED_PAD src0_sel:DWORD src1_sel:BYTE_0
	v_and_b32_e32 v59, s17, v59
	v_lshrrev_b32_e32 v66, 3, v59
	v_lshlrev_b32_e32 v59, 9, v59
	v_and_or_b32 v59, v59, s0, v0
	v_lshlrev_b32_e32 v59, 1, v59
	v_add_lshl_u32 v66, v59, v66, 1
	ds_read_u16 v59, v66
	s_waitcnt lgkmcnt(0)
	v_add_u16_e32 v67, 1, v59
	ds_write_b16 v66, v67
	v_lshlrev_b32_e32 v67, 5, v0
	s_waitcnt lgkmcnt(0)
	s_barrier
	ds_read2_b64 v[68:71], v67 offset1:1
	ds_read2_b64 v[72:75], v67 offset0:2 offset1:3
	s_waitcnt lgkmcnt(1)
	v_add_u32_e32 v68, v69, v68
	v_add3_u32 v68, v68, v70, v71
	s_waitcnt lgkmcnt(0)
	v_add3_u32 v68, v68, v72, v73
	v_add3_u32 v69, v68, v74, v75
	v_mbcnt_lo_u32_b32 v68, -1, 0
	v_mbcnt_hi_u32_b32 v68, -1, v68
	v_and_b32_e32 v70, 15, v68
	v_mov_b32_dpp v71, v69 row_shr:1 row_mask:0xf bank_mask:0xf
	v_cmp_ne_u32_e32 vcc, 0, v70
	v_cndmask_b32_e32 v71, 0, v71, vcc
	v_add_u32_e32 v69, v71, v69
	v_cmp_lt_u32_e32 vcc, 1, v70
	s_nop 0
	v_mov_b32_dpp v71, v69 row_shr:2 row_mask:0xf bank_mask:0xf
	v_cndmask_b32_e32 v71, 0, v71, vcc
	v_add_u32_e32 v69, v69, v71
	v_cmp_lt_u32_e32 vcc, 3, v70
	s_nop 0
	v_mov_b32_dpp v71, v69 row_shr:4 row_mask:0xf bank_mask:0xf
	;; [unrolled: 5-line block ×3, first 2 shown]
	v_cndmask_b32_e32 v70, 0, v71, vcc
	v_add_u32_e32 v69, v69, v70
	v_bfe_i32 v71, v68, 4, 1
	v_cmp_lt_u32_e32 vcc, 31, v68
	v_mov_b32_dpp v70, v69 row_bcast:15 row_mask:0xf bank_mask:0xf
	v_and_b32_e32 v70, v71, v70
	v_add_u32_e32 v69, v69, v70
	v_or_b32_e32 v71, 63, v0
	s_nop 0
	v_mov_b32_dpp v70, v69 row_bcast:31 row_mask:0xf bank_mask:0xf
	v_cndmask_b32_e32 v70, 0, v70, vcc
	v_add_u32_e32 v69, v69, v70
	v_lshrrev_b32_e32 v70, 6, v0
	v_cmp_eq_u32_e32 vcc, v71, v0
	v_lshlrev_b32_e32 v70, 2, v70
	s_and_saveexec_b64 s[0:1], vcc
	s_cbranch_execz .LBB1551_135
; %bb.134:
	ds_write_b32 v70, v69 offset:16384
.LBB1551_135:
	s_or_b64 exec, exec, s[0:1]
	v_cmp_gt_u32_e32 vcc, 8, v0
	s_waitcnt lgkmcnt(0)
	s_barrier
	s_and_saveexec_b64 s[0:1], vcc
	s_cbranch_execz .LBB1551_137
; %bb.136:
	s_movk_i32 s2, 0xffe4
	v_mad_i32_i24 v71, v0, s2, v67
	ds_read_b32 v72, v71 offset:16384
	v_and_b32_e32 v73, 7, v68
	v_cmp_ne_u32_e32 vcc, 0, v73
	s_waitcnt lgkmcnt(0)
	v_mov_b32_dpp v74, v72 row_shr:1 row_mask:0xf bank_mask:0xf
	v_cndmask_b32_e32 v74, 0, v74, vcc
	v_add_u32_e32 v72, v74, v72
	v_cmp_lt_u32_e32 vcc, 1, v73
	s_nop 0
	v_mov_b32_dpp v74, v72 row_shr:2 row_mask:0xf bank_mask:0xf
	v_cndmask_b32_e32 v74, 0, v74, vcc
	v_add_u32_e32 v72, v72, v74
	v_cmp_lt_u32_e32 vcc, 3, v73
	s_nop 0
	v_mov_b32_dpp v74, v72 row_shr:4 row_mask:0xf bank_mask:0xf
	v_cndmask_b32_e32 v73, 0, v74, vcc
	v_add_u32_e32 v72, v72, v73
	ds_write_b32 v71, v72 offset:16384
.LBB1551_137:
	s_or_b64 exec, exec, s[0:1]
	v_cmp_lt_u32_e32 vcc, 63, v0
	v_mov_b32_e32 v72, 0
	v_mov_b32_e32 v71, 0
	s_waitcnt lgkmcnt(0)
	s_barrier
	s_and_saveexec_b64 s[0:1], vcc
	s_cbranch_execz .LBB1551_139
; %bb.138:
	ds_read_b32 v71, v70 offset:16380
.LBB1551_139:
	s_or_b64 exec, exec, s[0:1]
	v_add_u32_e32 v70, -1, v68
	v_and_b32_e32 v73, 64, v68
	v_cmp_lt_i32_e32 vcc, v70, v73
	v_cndmask_b32_e32 v70, v70, v68, vcc
	s_waitcnt lgkmcnt(0)
	v_add_u32_e32 v69, v71, v69
	v_lshlrev_b32_e32 v70, 2, v70
	ds_bpermute_b32 v69, v70, v69
	ds_read_b32 v70, v72 offset:16412
	ds_read2_b64 v[72:75], v67 offset1:1
	v_cmp_eq_u32_e32 vcc, 0, v68
	ds_read_b32 v76, v67 offset:24
	v_cmp_lt_u32_e64 s[0:1], 15, v0
	s_waitcnt lgkmcnt(3)
	v_cndmask_b32_e32 v68, v69, v71, vcc
	s_waitcnt lgkmcnt(2)
	v_lshl_add_u32 v68, v70, 16, v68
	ds_read_b64 v[70:71], v67 offset:16
	s_waitcnt lgkmcnt(2)
	v_add_u32_e32 v69, v68, v72
	v_add_u32_e32 v72, v73, v69
	;; [unrolled: 1-line block ×3, first 2 shown]
	ds_write2_b64 v67, v[68:69], v[72:73] offset1:1
	v_add_u32_e32 v68, v75, v73
	s_waitcnt lgkmcnt(1)
	v_add_u32_e32 v69, v70, v68
	v_add_u32_e32 v70, v71, v69
	;; [unrolled: 1-line block ×3, first 2 shown]
	ds_write2_b64 v67, v[68:69], v[70:71] offset0:2 offset1:3
	s_waitcnt lgkmcnt(0)
	s_barrier
	ds_read_u16 v67, v10
	ds_read_u16 v27, v27
	;; [unrolled: 1-line block ×22, first 2 shown]
	v_cmp_gt_u32_e32 vcc, 16, v0
	v_pk_mov_b32 v[2:3], 0, 0
                                        ; implicit-def: $vgpr10
	s_and_saveexec_b64 s[12:13], vcc
	s_cbranch_execz .LBB1551_143
; %bb.140:
	v_lshrrev_b32_e32 v2, 3, v0
	v_lshlrev_b32_e32 v3, 10, v0
	s_movk_i32 s22, 0x1c00
	v_and_or_b32 v2, v3, s22, v2
	v_lshlrev_b32_e32 v2, 1, v2
	ds_read_u16 v2, v2
	v_add_u32_e32 v10, 1, v0
	v_cmp_ne_u32_e64 s[2:3], 16, v10
	v_mov_b32_e32 v3, 0x2c00
	s_and_saveexec_b64 s[20:21], s[2:3]
	s_cbranch_execz .LBB1551_142
; %bb.141:
	v_lshlrev_b32_e32 v3, 10, v10
	v_lshrrev_b32_e32 v10, 3, v10
	v_and_or_b32 v3, v3, s22, v10
	v_lshlrev_b32_e32 v3, 1, v3
	ds_read_u16 v3, v3
.LBB1551_142:
	s_or_b64 exec, exec, s[20:21]
	s_waitcnt lgkmcnt(0)
	v_and_b32_e32 v2, 0xffff, v2
	s_mov_b32 s2, 0
	v_sub_u32_e32 v10, v3, v2
	v_mov_b32_e32 v3, s2
.LBB1551_143:
	s_or_b64 exec, exec, s[12:13]
	s_waitcnt lgkmcnt(14)
	v_add_u32_sdwa v12, v67, v12 dst_sel:DWORD dst_unused:UNUSED_PAD src0_sel:WORD_0 src1_sel:WORD_0
	v_add_u32_sdwa v14, v27, v14 dst_sel:DWORD dst_unused:UNUSED_PAD src0_sel:WORD_0 src1_sel:WORD_0
	;; [unrolled: 1-line block ×8, first 2 shown]
	s_waitcnt lgkmcnt(13)
	v_add_u32_sdwa v27, v45, v28 dst_sel:DWORD dst_unused:UNUSED_PAD src0_sel:WORD_0 src1_sel:WORD_0
	s_waitcnt lgkmcnt(12)
	v_add_u32_sdwa v28, v48, v31 dst_sel:DWORD dst_unused:UNUSED_PAD src0_sel:WORD_0 src1_sel:WORD_0
	;; [unrolled: 2-line block ×14, first 2 shown]
	s_barrier
	ds_write_b8 v12, v1 offset:128
	ds_write_b8 v14, v8 offset:128
	;; [unrolled: 1-line block ×22, first 2 shown]
	s_and_saveexec_b64 s[2:3], s[0:1]
	s_xor_b64 s[0:1], exec, s[2:3]
; %bb.144:
	v_mov_b32_e32 v1, 0
; %bb.145:
	s_andn2_saveexec_b64 s[2:3], s[0:1]
	s_cbranch_execz .LBB1551_155
; %bb.146:
	v_lshl_or_b32 v4, s24, 4, v0
	v_mov_b32_e32 v5, 0
	v_lshlrev_b64 v[6:7], 2, v[4:5]
	v_mov_b32_e32 v1, s7
	v_add_co_u32_e64 v6, s[0:1], s6, v6
	v_addc_co_u32_e64 v7, s[0:1], v1, v7, s[0:1]
	v_or_b32_e32 v4, 2.0, v10
	s_mov_b64 s[12:13], 0
	s_brev_b32 s7, 1
	s_mov_b32 s25, s24
	v_mov_b32_e32 v11, 0
	global_store_dword v[6:7], v4, off
                                        ; implicit-def: $sgpr0_sgpr1
	s_branch .LBB1551_149
.LBB1551_147:                           ;   in Loop: Header=BB1551_149 Depth=1
	s_or_b64 exec, exec, s[22:23]
.LBB1551_148:                           ;   in Loop: Header=BB1551_149 Depth=1
	s_or_b64 exec, exec, s[20:21]
	v_and_b32_e32 v8, 0x3fffffff, v12
	v_add_u32_e32 v11, v8, v11
	v_cmp_eq_u32_e64 s[0:1], s7, v4
	s_and_b64 s[20:21], exec, s[0:1]
	s_or_b64 s[12:13], s[20:21], s[12:13]
	s_andn2_b64 exec, exec, s[12:13]
	s_cbranch_execz .LBB1551_154
.LBB1551_149:                           ; =>This Loop Header: Depth=1
                                        ;     Child Loop BB1551_152 Depth 2
	s_or_b64 s[0:1], s[0:1], exec
	s_cmp_eq_u32 s25, 0
	s_cbranch_scc1 .LBB1551_153
; %bb.150:                              ;   in Loop: Header=BB1551_149 Depth=1
	s_add_i32 s25, s25, -1
	v_lshl_or_b32 v4, s25, 4, v0
	v_lshlrev_b64 v[8:9], 2, v[4:5]
	v_add_co_u32_e64 v8, s[0:1], s6, v8
	v_addc_co_u32_e64 v9, s[0:1], v1, v9, s[0:1]
	global_load_dword v12, v[8:9], off glc
	s_waitcnt vmcnt(0)
	v_and_b32_e32 v4, -2.0, v12
	v_cmp_eq_u32_e64 s[0:1], 0, v4
	s_and_saveexec_b64 s[20:21], s[0:1]
	s_cbranch_execz .LBB1551_148
; %bb.151:                              ;   in Loop: Header=BB1551_149 Depth=1
	s_mov_b64 s[22:23], 0
.LBB1551_152:                           ;   Parent Loop BB1551_149 Depth=1
                                        ; =>  This Inner Loop Header: Depth=2
	global_load_dword v12, v[8:9], off glc
	s_waitcnt vmcnt(0)
	v_and_b32_e32 v4, -2.0, v12
	v_cmp_ne_u32_e64 s[0:1], 0, v4
	s_or_b64 s[22:23], s[0:1], s[22:23]
	s_andn2_b64 exec, exec, s[22:23]
	s_cbranch_execnz .LBB1551_152
	s_branch .LBB1551_147
.LBB1551_153:                           ;   in Loop: Header=BB1551_149 Depth=1
                                        ; implicit-def: $sgpr25
	s_and_b64 s[20:21], exec, s[0:1]
	s_or_b64 s[12:13], s[20:21], s[12:13]
	s_andn2_b64 exec, exec, s[12:13]
	s_cbranch_execnz .LBB1551_149
.LBB1551_154:
	s_or_b64 exec, exec, s[12:13]
	v_add_u32_e32 v1, v11, v10
	v_or_b32_e32 v1, 0x80000000, v1
	global_store_dword v[6:7], v1, off
	v_lshlrev_b32_e32 v6, 3, v0
	global_load_dwordx2 v[4:5], v6, s[8:9]
	v_sub_co_u32_e64 v7, s[0:1], v11, v2
	v_subb_co_u32_e64 v8, s[0:1], 0, v3, s[0:1]
	v_mov_b32_e32 v1, 0
	s_waitcnt vmcnt(0)
	v_add_co_u32_e64 v4, s[0:1], v7, v4
	v_addc_co_u32_e64 v5, s[0:1], v8, v5, s[0:1]
	ds_write_b64 v6, v[4:5]
.LBB1551_155:
	s_or_b64 exec, exec, s[2:3]
	s_waitcnt lgkmcnt(0)
	s_barrier
	ds_read_u8 v11, v0 offset:10368
	ds_read_u8 v18, v0 offset:9344
	;; [unrolled: 1-line block ×5, first 2 shown]
	s_waitcnt lgkmcnt(4)
	v_lshrrev_b32_sdwa v4, s16, v11 dst_sel:DWORD dst_unused:UNUSED_PAD src0_sel:DWORD src1_sel:BYTE_0
	v_and_b32_e32 v4, s17, v4
	v_lshlrev_b32_e32 v4, 3, v4
	ds_read_b64 v[6:7], v4
	ds_read_u8 v8, v0 offset:128
	s_waitcnt lgkmcnt(2)
	v_lshrrev_b32_sdwa v4, s16, v21 dst_sel:DWORD dst_unused:UNUSED_PAD src0_sel:DWORD src1_sel:BYTE_0
	v_and_b32_e32 v4, s17, v4
	v_lshlrev_b32_e32 v4, 3, v4
	ds_read_b64 v[4:5], v4
	s_waitcnt lgkmcnt(1)
	v_lshrrev_b32_sdwa v9, s16, v8 dst_sel:DWORD dst_unused:UNUSED_PAD src0_sel:DWORD src1_sel:BYTE_0
	v_and_b32_e32 v9, s17, v9
	v_xor_b32_e32 v22, 0x7f, v8
	v_lshlrev_b32_e32 v8, 3, v9
	v_lshrrev_b32_sdwa v9, s16, v20 dst_sel:DWORD dst_unused:UNUSED_PAD src0_sel:DWORD src1_sel:BYTE_0
	v_and_b32_e32 v9, s17, v9
	v_lshlrev_b32_e32 v12, 3, v9
	ds_read_u8 v24, v0 offset:1152
	ds_read_u8 v25, v0 offset:1664
	;; [unrolled: 1-line block ×8, first 2 shown]
	s_waitcnt lgkmcnt(7)
	v_lshrrev_b32_sdwa v9, s16, v24 dst_sel:DWORD dst_unused:UNUSED_PAD src0_sel:DWORD src1_sel:BYTE_0
	v_and_b32_e32 v9, s17, v9
	v_lshlrev_b32_e32 v14, 3, v9
	s_waitcnt lgkmcnt(6)
	v_lshrrev_b32_sdwa v9, s16, v25 dst_sel:DWORD dst_unused:UNUSED_PAD src0_sel:DWORD src1_sel:BYTE_0
	v_and_b32_e32 v9, s17, v9
	v_lshlrev_b32_e32 v16, 3, v9
	ds_read_b64 v[8:9], v8
	ds_read_b64 v[12:13], v12
	;; [unrolled: 1-line block ×4, first 2 shown]
	v_mov_b32_e32 v23, s15
	s_waitcnt lgkmcnt(3)
	v_add_co_u32_e64 v8, s[0:1], s14, v8
	v_addc_co_u32_e64 v9, s[0:1], v23, v9, s[0:1]
	v_add_co_u32_e64 v8, s[0:1], v8, v0
	v_addc_co_u32_e64 v9, s[0:1], v9, v1, s[0:1]
	global_store_byte v[8:9], v22, off
	v_mov_b32_e32 v8, s15
	s_waitcnt lgkmcnt(2)
	v_add_co_u32_e64 v9, s[0:1], s14, v12
	v_addc_co_u32_e64 v12, s[0:1], v8, v13, s[0:1]
	v_add_co_u32_e64 v8, s[0:1], v9, v0
	v_xor_b32_e32 v20, 0x7f, v20
	v_addc_co_u32_e64 v9, s[0:1], v12, v1, s[0:1]
	global_store_byte v[8:9], v20, off offset:512
	v_mov_b32_e32 v8, s15
	s_waitcnt lgkmcnt(1)
	v_add_co_u32_e64 v9, s[0:1], s14, v14
	v_addc_co_u32_e64 v13, s[0:1], v8, v15, s[0:1]
	v_add_co_u32_e64 v8, s[0:1], v9, v0
	v_xor_b32_e32 v12, 0x7f, v24
	v_addc_co_u32_e64 v9, s[0:1], v13, v1, s[0:1]
	global_store_byte v[8:9], v12, off offset:1024
	;; [unrolled: 8-line block ×3, first 2 shown]
	v_lshrrev_b32_sdwa v9, s16, v27 dst_sel:DWORD dst_unused:UNUSED_PAD src0_sel:DWORD src1_sel:BYTE_0
	v_and_b32_e32 v9, s17, v9
	v_lshlrev_b32_e32 v12, 3, v9
	v_lshrrev_b32_sdwa v9, s16, v28 dst_sel:DWORD dst_unused:UNUSED_PAD src0_sel:DWORD src1_sel:BYTE_0
	v_and_b32_e32 v9, s17, v9
	v_lshrrev_b32_sdwa v8, s16, v26 dst_sel:DWORD dst_unused:UNUSED_PAD src0_sel:DWORD src1_sel:BYTE_0
	v_lshlrev_b32_e32 v14, 3, v9
	v_lshrrev_b32_sdwa v9, s16, v29 dst_sel:DWORD dst_unused:UNUSED_PAD src0_sel:DWORD src1_sel:BYTE_0
	v_and_b32_e32 v8, s17, v8
	v_and_b32_e32 v9, s17, v9
	v_lshlrev_b32_e32 v8, 3, v8
	v_lshlrev_b32_e32 v16, 3, v9
	ds_read_b64 v[8:9], v8
	ds_read_b64 v[12:13], v12
	;; [unrolled: 1-line block ×4, first 2 shown]
	v_mov_b32_e32 v22, s15
	s_waitcnt lgkmcnt(3)
	v_add_co_u32_e64 v8, s[0:1], s14, v8
	v_addc_co_u32_e64 v9, s[0:1], v22, v9, s[0:1]
	v_add_co_u32_e64 v8, s[0:1], v8, v0
	v_xor_b32_e32 v20, 0x7f, v26
	v_addc_co_u32_e64 v9, s[0:1], v9, v1, s[0:1]
	global_store_byte v[8:9], v20, off offset:2048
	v_mov_b32_e32 v8, s15
	s_waitcnt lgkmcnt(2)
	v_add_co_u32_e64 v9, s[0:1], s14, v12
	v_addc_co_u32_e64 v12, s[0:1], v8, v13, s[0:1]
	v_add_co_u32_e64 v8, s[0:1], v9, v0
	v_xor_b32_e32 v20, 0x7f, v27
	v_addc_co_u32_e64 v9, s[0:1], v12, v1, s[0:1]
	global_store_byte v[8:9], v20, off offset:2560
	;; [unrolled: 8-line block ×4, first 2 shown]
	v_lshrrev_b32_sdwa v9, s16, v31 dst_sel:DWORD dst_unused:UNUSED_PAD src0_sel:DWORD src1_sel:BYTE_0
	v_and_b32_e32 v9, s17, v9
	v_lshrrev_b32_sdwa v8, s16, v30 dst_sel:DWORD dst_unused:UNUSED_PAD src0_sel:DWORD src1_sel:BYTE_0
	v_xor_b32_e32 v22, 0x7f, v30
	v_lshlrev_b32_e32 v12, 3, v9
	ds_read_u8 v24, v0 offset:5248
	ds_read_u8 v25, v0 offset:5760
	;; [unrolled: 1-line block ×8, first 2 shown]
	s_waitcnt lgkmcnt(7)
	v_lshrrev_b32_sdwa v9, s16, v24 dst_sel:DWORD dst_unused:UNUSED_PAD src0_sel:DWORD src1_sel:BYTE_0
	v_and_b32_e32 v9, s17, v9
	v_lshlrev_b32_e32 v14, 3, v9
	s_waitcnt lgkmcnt(6)
	v_lshrrev_b32_sdwa v9, s16, v25 dst_sel:DWORD dst_unused:UNUSED_PAD src0_sel:DWORD src1_sel:BYTE_0
	v_and_b32_e32 v8, s17, v8
	v_and_b32_e32 v9, s17, v9
	v_lshlrev_b32_e32 v8, 3, v8
	v_lshlrev_b32_e32 v16, 3, v9
	ds_read_b64 v[8:9], v8
	ds_read_b64 v[12:13], v12
	;; [unrolled: 1-line block ×4, first 2 shown]
	v_or_b32_e32 v20, 0x1000, v0
	s_waitcnt lgkmcnt(3)
	v_add_co_u32_e64 v8, s[0:1], s14, v8
	v_addc_co_u32_e64 v9, s[0:1], v23, v9, s[0:1]
	v_add_co_u32_e64 v8, s[0:1], v8, v20
	v_addc_co_u32_e64 v9, s[0:1], 0, v9, s[0:1]
	global_store_byte v[8:9], v22, off
	v_mov_b32_e32 v9, s15
	s_waitcnt lgkmcnt(2)
	v_add_co_u32_e64 v12, s[0:1], s14, v12
	v_or_b32_e32 v8, 0x1200, v0
	v_addc_co_u32_e64 v9, s[0:1], v9, v13, s[0:1]
	v_add_co_u32_e64 v8, s[0:1], v12, v8
	v_xor_b32_e32 v20, 0x7f, v31
	v_addc_co_u32_e64 v9, s[0:1], 0, v9, s[0:1]
	global_store_byte v[8:9], v20, off
	v_mov_b32_e32 v9, s15
	s_waitcnt lgkmcnt(1)
	v_add_co_u32_e64 v13, s[0:1], s14, v14
	v_or_b32_e32 v8, 0x1400, v0
	v_addc_co_u32_e64 v9, s[0:1], v9, v15, s[0:1]
	v_add_co_u32_e64 v8, s[0:1], v13, v8
	v_xor_b32_e32 v12, 0x7f, v24
	;; [unrolled: 9-line block ×3, first 2 shown]
	v_addc_co_u32_e64 v9, s[0:1], 0, v9, s[0:1]
	global_store_byte v[8:9], v12, off
	v_lshrrev_b32_sdwa v9, s16, v27 dst_sel:DWORD dst_unused:UNUSED_PAD src0_sel:DWORD src1_sel:BYTE_0
	v_and_b32_e32 v9, s17, v9
	v_lshlrev_b32_e32 v12, 3, v9
	v_lshrrev_b32_sdwa v9, s16, v28 dst_sel:DWORD dst_unused:UNUSED_PAD src0_sel:DWORD src1_sel:BYTE_0
	v_and_b32_e32 v9, s17, v9
	v_lshrrev_b32_sdwa v8, s16, v26 dst_sel:DWORD dst_unused:UNUSED_PAD src0_sel:DWORD src1_sel:BYTE_0
	v_lshlrev_b32_e32 v14, 3, v9
	v_lshrrev_b32_sdwa v9, s16, v29 dst_sel:DWORD dst_unused:UNUSED_PAD src0_sel:DWORD src1_sel:BYTE_0
	v_and_b32_e32 v8, s17, v8
	v_and_b32_e32 v9, s17, v9
	v_lshlrev_b32_e32 v8, 3, v8
	v_lshlrev_b32_e32 v16, 3, v9
	ds_read_b64 v[8:9], v8
	ds_read_b64 v[12:13], v12
	;; [unrolled: 1-line block ×4, first 2 shown]
	v_or_b32_e32 v20, 0x1800, v0
	s_waitcnt lgkmcnt(3)
	v_add_co_u32_e64 v8, s[0:1], s14, v8
	v_addc_co_u32_e64 v9, s[0:1], v23, v9, s[0:1]
	v_add_co_u32_e64 v8, s[0:1], v8, v20
	v_xor_b32_e32 v22, 0x7f, v26
	v_addc_co_u32_e64 v9, s[0:1], 0, v9, s[0:1]
	global_store_byte v[8:9], v22, off
	v_mov_b32_e32 v9, s15
	s_waitcnt lgkmcnt(2)
	v_add_co_u32_e64 v12, s[0:1], s14, v12
	v_or_b32_e32 v8, 0x1a00, v0
	v_addc_co_u32_e64 v9, s[0:1], v9, v13, s[0:1]
	v_add_co_u32_e64 v8, s[0:1], v12, v8
	v_xor_b32_e32 v20, 0x7f, v27
	v_addc_co_u32_e64 v9, s[0:1], 0, v9, s[0:1]
	global_store_byte v[8:9], v20, off
	v_mov_b32_e32 v9, s15
	s_waitcnt lgkmcnt(1)
	v_add_co_u32_e64 v13, s[0:1], s14, v14
	v_or_b32_e32 v8, 0x1c00, v0
	;; [unrolled: 9-line block ×3, first 2 shown]
	v_addc_co_u32_e64 v9, s[0:1], v9, v17, s[0:1]
	v_add_co_u32_e64 v8, s[0:1], v13, v8
	v_xor_b32_e32 v12, 0x7f, v29
	v_addc_co_u32_e64 v9, s[0:1], 0, v9, s[0:1]
	global_store_byte v[8:9], v12, off
	v_lshrrev_b32_sdwa v9, s16, v32 dst_sel:DWORD dst_unused:UNUSED_PAD src0_sel:DWORD src1_sel:BYTE_0
	v_and_b32_e32 v9, s17, v9
	v_lshlrev_b32_e32 v12, 3, v9
	v_lshrrev_b32_sdwa v9, s16, v18 dst_sel:DWORD dst_unused:UNUSED_PAD src0_sel:DWORD src1_sel:BYTE_0
	v_and_b32_e32 v9, s17, v9
	v_lshrrev_b32_sdwa v8, s16, v30 dst_sel:DWORD dst_unused:UNUSED_PAD src0_sel:DWORD src1_sel:BYTE_0
	v_lshlrev_b32_e32 v14, 3, v9
	v_lshrrev_b32_sdwa v9, s16, v19 dst_sel:DWORD dst_unused:UNUSED_PAD src0_sel:DWORD src1_sel:BYTE_0
	v_and_b32_e32 v8, s17, v8
	v_and_b32_e32 v9, s17, v9
	v_lshlrev_b32_e32 v8, 3, v8
	v_lshlrev_b32_e32 v16, 3, v9
	ds_read_b64 v[8:9], v8
	ds_read_b64 v[12:13], v12
	;; [unrolled: 1-line block ×4, first 2 shown]
	v_or_b32_e32 v20, 0x2000, v0
	s_waitcnt lgkmcnt(3)
	v_add_co_u32_e64 v8, s[0:1], s14, v8
	v_addc_co_u32_e64 v9, s[0:1], v23, v9, s[0:1]
	v_add_co_u32_e64 v8, s[0:1], v8, v20
	v_xor_b32_e32 v22, 0x7f, v30
	v_addc_co_u32_e64 v9, s[0:1], 0, v9, s[0:1]
	global_store_byte v[8:9], v22, off
	v_mov_b32_e32 v9, s15
	s_waitcnt lgkmcnt(2)
	v_add_co_u32_e64 v12, s[0:1], s14, v12
	v_or_b32_e32 v8, 0x2200, v0
	v_addc_co_u32_e64 v9, s[0:1], v9, v13, s[0:1]
	v_add_co_u32_e64 v8, s[0:1], v12, v8
	v_xor_b32_e32 v20, 0x7f, v32
	v_addc_co_u32_e64 v9, s[0:1], 0, v9, s[0:1]
	global_store_byte v[8:9], v20, off
	v_mov_b32_e32 v9, s15
	s_waitcnt lgkmcnt(1)
	v_add_co_u32_e64 v13, s[0:1], s14, v14
	v_or_b32_e32 v8, 0x2400, v0
	;; [unrolled: 9-line block ×3, first 2 shown]
	v_addc_co_u32_e64 v9, s[0:1], v9, v17, s[0:1]
	v_add_co_u32_e64 v8, s[0:1], v13, v8
	v_xor_b32_e32 v12, 0x7f, v19
	v_addc_co_u32_e64 v9, s[0:1], 0, v9, s[0:1]
	global_store_byte v[8:9], v12, off
	v_xor_b32_e32 v9, 0x7f, v11
	v_mov_b32_e32 v11, s15
	v_add_co_u32_e64 v6, s[0:1], s14, v6
	v_or_b32_e32 v8, 0x2800, v0
	v_addc_co_u32_e64 v7, s[0:1], v11, v7, s[0:1]
	v_add_co_u32_e64 v6, s[0:1], v6, v8
	v_addc_co_u32_e64 v7, s[0:1], 0, v7, s[0:1]
	v_mov_b32_e32 v8, s15
	v_add_co_u32_e64 v4, s[0:1], s14, v4
	global_store_byte v[6:7], v9, off
	v_or_b32_e32 v6, 0x2a00, v0
	v_addc_co_u32_e64 v5, s[0:1], v8, v5, s[0:1]
	v_add_co_u32_e64 v4, s[0:1], v4, v6
	v_xor_b32_e32 v7, 0x7f, v21
	v_addc_co_u32_e64 v5, s[0:1], 0, v5, s[0:1]
	global_store_byte v[4:5], v7, off
	s_load_dword s0, s[4:5], 0x58
                                        ; implicit-def: $vgpr4_vgpr5
	s_waitcnt lgkmcnt(0)
	s_add_i32 s0, s0, -1
	s_cmp_eq_u32 s0, s24
	s_cselect_b64 s[0:1], -1, 0
	s_and_b64 s[2:3], vcc, s[0:1]
	s_and_saveexec_b64 s[0:1], s[2:3]
; %bb.156:
	v_add_co_u32_e32 v4, vcc, v2, v10
	v_addc_co_u32_e32 v5, vcc, 0, v3, vcc
	s_or_b64 s[18:19], s[18:19], exec
; %bb.157:
	s_or_b64 exec, exec, s[0:1]
.LBB1551_158:
	s_and_saveexec_b64 s[0:1], s[18:19]
	s_cbranch_execnz .LBB1551_160
; %bb.159:
	s_endpgm
.LBB1551_160:
	v_lshlrev_b32_e32 v2, 3, v0
	ds_read_b64 v[2:3], v2
	v_lshlrev_b64 v[0:1], 3, v[0:1]
	v_mov_b32_e32 v6, s11
	v_add_co_u32_e32 v0, vcc, s10, v0
	v_addc_co_u32_e32 v1, vcc, v6, v1, vcc
	s_waitcnt lgkmcnt(0)
	v_add_co_u32_e32 v2, vcc, v2, v4
	v_addc_co_u32_e32 v3, vcc, v3, v5, vcc
	global_store_dwordx2 v[0:1], v[2:3], off
	s_endpgm
	.section	.rodata,"a",@progbits
	.p2align	6, 0x0
	.amdhsa_kernel _ZN7rocprim17ROCPRIM_400000_NS6detail17trampoline_kernelINS0_14default_configENS1_35radix_sort_onesweep_config_selectorIcNS0_10empty_typeEEEZZNS1_29radix_sort_onesweep_iterationIS3_Lb1EPcS8_PS5_S9_mNS0_19identity_decomposerENS1_16block_id_wrapperIjLb1EEEEE10hipError_tT1_PNSt15iterator_traitsISE_E10value_typeET2_T3_PNSF_ISK_E10value_typeET4_T5_PSP_SQ_PNS1_23onesweep_lookback_stateEbbT6_jjT7_P12ihipStream_tbENKUlT_T0_SE_SJ_E_clIS8_S8_S9_S9_EEDaSX_SY_SE_SJ_EUlSX_E_NS1_11comp_targetILNS1_3genE4ELNS1_11target_archE910ELNS1_3gpuE8ELNS1_3repE0EEENS1_47radix_sort_onesweep_sort_config_static_selectorELNS0_4arch9wavefront6targetE1EEEvSE_
		.amdhsa_group_segment_fixed_size 16424
		.amdhsa_private_segment_fixed_size 0
		.amdhsa_kernarg_size 344
		.amdhsa_user_sgpr_count 6
		.amdhsa_user_sgpr_private_segment_buffer 1
		.amdhsa_user_sgpr_dispatch_ptr 0
		.amdhsa_user_sgpr_queue_ptr 0
		.amdhsa_user_sgpr_kernarg_segment_ptr 1
		.amdhsa_user_sgpr_dispatch_id 0
		.amdhsa_user_sgpr_flat_scratch_init 0
		.amdhsa_user_sgpr_kernarg_preload_length 0
		.amdhsa_user_sgpr_kernarg_preload_offset 0
		.amdhsa_user_sgpr_private_segment_size 0
		.amdhsa_uses_dynamic_stack 0
		.amdhsa_system_sgpr_private_segment_wavefront_offset 0
		.amdhsa_system_sgpr_workgroup_id_x 1
		.amdhsa_system_sgpr_workgroup_id_y 0
		.amdhsa_system_sgpr_workgroup_id_z 0
		.amdhsa_system_sgpr_workgroup_info 0
		.amdhsa_system_vgpr_workitem_id 0
		.amdhsa_next_free_vgpr 79
		.amdhsa_next_free_sgpr 30
		.amdhsa_accum_offset 80
		.amdhsa_reserve_vcc 1
		.amdhsa_reserve_flat_scratch 0
		.amdhsa_float_round_mode_32 0
		.amdhsa_float_round_mode_16_64 0
		.amdhsa_float_denorm_mode_32 3
		.amdhsa_float_denorm_mode_16_64 3
		.amdhsa_dx10_clamp 1
		.amdhsa_ieee_mode 1
		.amdhsa_fp16_overflow 0
		.amdhsa_tg_split 0
		.amdhsa_exception_fp_ieee_invalid_op 0
		.amdhsa_exception_fp_denorm_src 0
		.amdhsa_exception_fp_ieee_div_zero 0
		.amdhsa_exception_fp_ieee_overflow 0
		.amdhsa_exception_fp_ieee_underflow 0
		.amdhsa_exception_fp_ieee_inexact 0
		.amdhsa_exception_int_div_zero 0
	.end_amdhsa_kernel
	.section	.text._ZN7rocprim17ROCPRIM_400000_NS6detail17trampoline_kernelINS0_14default_configENS1_35radix_sort_onesweep_config_selectorIcNS0_10empty_typeEEEZZNS1_29radix_sort_onesweep_iterationIS3_Lb1EPcS8_PS5_S9_mNS0_19identity_decomposerENS1_16block_id_wrapperIjLb1EEEEE10hipError_tT1_PNSt15iterator_traitsISE_E10value_typeET2_T3_PNSF_ISK_E10value_typeET4_T5_PSP_SQ_PNS1_23onesweep_lookback_stateEbbT6_jjT7_P12ihipStream_tbENKUlT_T0_SE_SJ_E_clIS8_S8_S9_S9_EEDaSX_SY_SE_SJ_EUlSX_E_NS1_11comp_targetILNS1_3genE4ELNS1_11target_archE910ELNS1_3gpuE8ELNS1_3repE0EEENS1_47radix_sort_onesweep_sort_config_static_selectorELNS0_4arch9wavefront6targetE1EEEvSE_,"axG",@progbits,_ZN7rocprim17ROCPRIM_400000_NS6detail17trampoline_kernelINS0_14default_configENS1_35radix_sort_onesweep_config_selectorIcNS0_10empty_typeEEEZZNS1_29radix_sort_onesweep_iterationIS3_Lb1EPcS8_PS5_S9_mNS0_19identity_decomposerENS1_16block_id_wrapperIjLb1EEEEE10hipError_tT1_PNSt15iterator_traitsISE_E10value_typeET2_T3_PNSF_ISK_E10value_typeET4_T5_PSP_SQ_PNS1_23onesweep_lookback_stateEbbT6_jjT7_P12ihipStream_tbENKUlT_T0_SE_SJ_E_clIS8_S8_S9_S9_EEDaSX_SY_SE_SJ_EUlSX_E_NS1_11comp_targetILNS1_3genE4ELNS1_11target_archE910ELNS1_3gpuE8ELNS1_3repE0EEENS1_47radix_sort_onesweep_sort_config_static_selectorELNS0_4arch9wavefront6targetE1EEEvSE_,comdat
.Lfunc_end1551:
	.size	_ZN7rocprim17ROCPRIM_400000_NS6detail17trampoline_kernelINS0_14default_configENS1_35radix_sort_onesweep_config_selectorIcNS0_10empty_typeEEEZZNS1_29radix_sort_onesweep_iterationIS3_Lb1EPcS8_PS5_S9_mNS0_19identity_decomposerENS1_16block_id_wrapperIjLb1EEEEE10hipError_tT1_PNSt15iterator_traitsISE_E10value_typeET2_T3_PNSF_ISK_E10value_typeET4_T5_PSP_SQ_PNS1_23onesweep_lookback_stateEbbT6_jjT7_P12ihipStream_tbENKUlT_T0_SE_SJ_E_clIS8_S8_S9_S9_EEDaSX_SY_SE_SJ_EUlSX_E_NS1_11comp_targetILNS1_3genE4ELNS1_11target_archE910ELNS1_3gpuE8ELNS1_3repE0EEENS1_47radix_sort_onesweep_sort_config_static_selectorELNS0_4arch9wavefront6targetE1EEEvSE_, .Lfunc_end1551-_ZN7rocprim17ROCPRIM_400000_NS6detail17trampoline_kernelINS0_14default_configENS1_35radix_sort_onesweep_config_selectorIcNS0_10empty_typeEEEZZNS1_29radix_sort_onesweep_iterationIS3_Lb1EPcS8_PS5_S9_mNS0_19identity_decomposerENS1_16block_id_wrapperIjLb1EEEEE10hipError_tT1_PNSt15iterator_traitsISE_E10value_typeET2_T3_PNSF_ISK_E10value_typeET4_T5_PSP_SQ_PNS1_23onesweep_lookback_stateEbbT6_jjT7_P12ihipStream_tbENKUlT_T0_SE_SJ_E_clIS8_S8_S9_S9_EEDaSX_SY_SE_SJ_EUlSX_E_NS1_11comp_targetILNS1_3genE4ELNS1_11target_archE910ELNS1_3gpuE8ELNS1_3repE0EEENS1_47radix_sort_onesweep_sort_config_static_selectorELNS0_4arch9wavefront6targetE1EEEvSE_
                                        ; -- End function
	.section	.AMDGPU.csdata,"",@progbits
; Kernel info:
; codeLenInByte = 12872
; NumSgprs: 34
; NumVgprs: 79
; NumAgprs: 0
; TotalNumVgprs: 79
; ScratchSize: 0
; MemoryBound: 0
; FloatMode: 240
; IeeeMode: 1
; LDSByteSize: 16424 bytes/workgroup (compile time only)
; SGPRBlocks: 4
; VGPRBlocks: 9
; NumSGPRsForWavesPerEU: 34
; NumVGPRsForWavesPerEU: 79
; AccumOffset: 80
; Occupancy: 6
; WaveLimiterHint : 0
; COMPUTE_PGM_RSRC2:SCRATCH_EN: 0
; COMPUTE_PGM_RSRC2:USER_SGPR: 6
; COMPUTE_PGM_RSRC2:TRAP_HANDLER: 0
; COMPUTE_PGM_RSRC2:TGID_X_EN: 1
; COMPUTE_PGM_RSRC2:TGID_Y_EN: 0
; COMPUTE_PGM_RSRC2:TGID_Z_EN: 0
; COMPUTE_PGM_RSRC2:TIDIG_COMP_CNT: 0
; COMPUTE_PGM_RSRC3_GFX90A:ACCUM_OFFSET: 19
; COMPUTE_PGM_RSRC3_GFX90A:TG_SPLIT: 0
	.section	.text._ZN7rocprim17ROCPRIM_400000_NS6detail17trampoline_kernelINS0_14default_configENS1_35radix_sort_onesweep_config_selectorIcNS0_10empty_typeEEEZZNS1_29radix_sort_onesweep_iterationIS3_Lb1EPcS8_PS5_S9_mNS0_19identity_decomposerENS1_16block_id_wrapperIjLb1EEEEE10hipError_tT1_PNSt15iterator_traitsISE_E10value_typeET2_T3_PNSF_ISK_E10value_typeET4_T5_PSP_SQ_PNS1_23onesweep_lookback_stateEbbT6_jjT7_P12ihipStream_tbENKUlT_T0_SE_SJ_E_clIS8_S8_S9_S9_EEDaSX_SY_SE_SJ_EUlSX_E_NS1_11comp_targetILNS1_3genE3ELNS1_11target_archE908ELNS1_3gpuE7ELNS1_3repE0EEENS1_47radix_sort_onesweep_sort_config_static_selectorELNS0_4arch9wavefront6targetE1EEEvSE_,"axG",@progbits,_ZN7rocprim17ROCPRIM_400000_NS6detail17trampoline_kernelINS0_14default_configENS1_35radix_sort_onesweep_config_selectorIcNS0_10empty_typeEEEZZNS1_29radix_sort_onesweep_iterationIS3_Lb1EPcS8_PS5_S9_mNS0_19identity_decomposerENS1_16block_id_wrapperIjLb1EEEEE10hipError_tT1_PNSt15iterator_traitsISE_E10value_typeET2_T3_PNSF_ISK_E10value_typeET4_T5_PSP_SQ_PNS1_23onesweep_lookback_stateEbbT6_jjT7_P12ihipStream_tbENKUlT_T0_SE_SJ_E_clIS8_S8_S9_S9_EEDaSX_SY_SE_SJ_EUlSX_E_NS1_11comp_targetILNS1_3genE3ELNS1_11target_archE908ELNS1_3gpuE7ELNS1_3repE0EEENS1_47radix_sort_onesweep_sort_config_static_selectorELNS0_4arch9wavefront6targetE1EEEvSE_,comdat
	.protected	_ZN7rocprim17ROCPRIM_400000_NS6detail17trampoline_kernelINS0_14default_configENS1_35radix_sort_onesweep_config_selectorIcNS0_10empty_typeEEEZZNS1_29radix_sort_onesweep_iterationIS3_Lb1EPcS8_PS5_S9_mNS0_19identity_decomposerENS1_16block_id_wrapperIjLb1EEEEE10hipError_tT1_PNSt15iterator_traitsISE_E10value_typeET2_T3_PNSF_ISK_E10value_typeET4_T5_PSP_SQ_PNS1_23onesweep_lookback_stateEbbT6_jjT7_P12ihipStream_tbENKUlT_T0_SE_SJ_E_clIS8_S8_S9_S9_EEDaSX_SY_SE_SJ_EUlSX_E_NS1_11comp_targetILNS1_3genE3ELNS1_11target_archE908ELNS1_3gpuE7ELNS1_3repE0EEENS1_47radix_sort_onesweep_sort_config_static_selectorELNS0_4arch9wavefront6targetE1EEEvSE_ ; -- Begin function _ZN7rocprim17ROCPRIM_400000_NS6detail17trampoline_kernelINS0_14default_configENS1_35radix_sort_onesweep_config_selectorIcNS0_10empty_typeEEEZZNS1_29radix_sort_onesweep_iterationIS3_Lb1EPcS8_PS5_S9_mNS0_19identity_decomposerENS1_16block_id_wrapperIjLb1EEEEE10hipError_tT1_PNSt15iterator_traitsISE_E10value_typeET2_T3_PNSF_ISK_E10value_typeET4_T5_PSP_SQ_PNS1_23onesweep_lookback_stateEbbT6_jjT7_P12ihipStream_tbENKUlT_T0_SE_SJ_E_clIS8_S8_S9_S9_EEDaSX_SY_SE_SJ_EUlSX_E_NS1_11comp_targetILNS1_3genE3ELNS1_11target_archE908ELNS1_3gpuE7ELNS1_3repE0EEENS1_47radix_sort_onesweep_sort_config_static_selectorELNS0_4arch9wavefront6targetE1EEEvSE_
	.globl	_ZN7rocprim17ROCPRIM_400000_NS6detail17trampoline_kernelINS0_14default_configENS1_35radix_sort_onesweep_config_selectorIcNS0_10empty_typeEEEZZNS1_29radix_sort_onesweep_iterationIS3_Lb1EPcS8_PS5_S9_mNS0_19identity_decomposerENS1_16block_id_wrapperIjLb1EEEEE10hipError_tT1_PNSt15iterator_traitsISE_E10value_typeET2_T3_PNSF_ISK_E10value_typeET4_T5_PSP_SQ_PNS1_23onesweep_lookback_stateEbbT6_jjT7_P12ihipStream_tbENKUlT_T0_SE_SJ_E_clIS8_S8_S9_S9_EEDaSX_SY_SE_SJ_EUlSX_E_NS1_11comp_targetILNS1_3genE3ELNS1_11target_archE908ELNS1_3gpuE7ELNS1_3repE0EEENS1_47radix_sort_onesweep_sort_config_static_selectorELNS0_4arch9wavefront6targetE1EEEvSE_
	.p2align	8
	.type	_ZN7rocprim17ROCPRIM_400000_NS6detail17trampoline_kernelINS0_14default_configENS1_35radix_sort_onesweep_config_selectorIcNS0_10empty_typeEEEZZNS1_29radix_sort_onesweep_iterationIS3_Lb1EPcS8_PS5_S9_mNS0_19identity_decomposerENS1_16block_id_wrapperIjLb1EEEEE10hipError_tT1_PNSt15iterator_traitsISE_E10value_typeET2_T3_PNSF_ISK_E10value_typeET4_T5_PSP_SQ_PNS1_23onesweep_lookback_stateEbbT6_jjT7_P12ihipStream_tbENKUlT_T0_SE_SJ_E_clIS8_S8_S9_S9_EEDaSX_SY_SE_SJ_EUlSX_E_NS1_11comp_targetILNS1_3genE3ELNS1_11target_archE908ELNS1_3gpuE7ELNS1_3repE0EEENS1_47radix_sort_onesweep_sort_config_static_selectorELNS0_4arch9wavefront6targetE1EEEvSE_,@function
_ZN7rocprim17ROCPRIM_400000_NS6detail17trampoline_kernelINS0_14default_configENS1_35radix_sort_onesweep_config_selectorIcNS0_10empty_typeEEEZZNS1_29radix_sort_onesweep_iterationIS3_Lb1EPcS8_PS5_S9_mNS0_19identity_decomposerENS1_16block_id_wrapperIjLb1EEEEE10hipError_tT1_PNSt15iterator_traitsISE_E10value_typeET2_T3_PNSF_ISK_E10value_typeET4_T5_PSP_SQ_PNS1_23onesweep_lookback_stateEbbT6_jjT7_P12ihipStream_tbENKUlT_T0_SE_SJ_E_clIS8_S8_S9_S9_EEDaSX_SY_SE_SJ_EUlSX_E_NS1_11comp_targetILNS1_3genE3ELNS1_11target_archE908ELNS1_3gpuE7ELNS1_3repE0EEENS1_47radix_sort_onesweep_sort_config_static_selectorELNS0_4arch9wavefront6targetE1EEEvSE_: ; @_ZN7rocprim17ROCPRIM_400000_NS6detail17trampoline_kernelINS0_14default_configENS1_35radix_sort_onesweep_config_selectorIcNS0_10empty_typeEEEZZNS1_29radix_sort_onesweep_iterationIS3_Lb1EPcS8_PS5_S9_mNS0_19identity_decomposerENS1_16block_id_wrapperIjLb1EEEEE10hipError_tT1_PNSt15iterator_traitsISE_E10value_typeET2_T3_PNSF_ISK_E10value_typeET4_T5_PSP_SQ_PNS1_23onesweep_lookback_stateEbbT6_jjT7_P12ihipStream_tbENKUlT_T0_SE_SJ_E_clIS8_S8_S9_S9_EEDaSX_SY_SE_SJ_EUlSX_E_NS1_11comp_targetILNS1_3genE3ELNS1_11target_archE908ELNS1_3gpuE7ELNS1_3repE0EEENS1_47radix_sort_onesweep_sort_config_static_selectorELNS0_4arch9wavefront6targetE1EEEvSE_
; %bb.0:
	.section	.rodata,"a",@progbits
	.p2align	6, 0x0
	.amdhsa_kernel _ZN7rocprim17ROCPRIM_400000_NS6detail17trampoline_kernelINS0_14default_configENS1_35radix_sort_onesweep_config_selectorIcNS0_10empty_typeEEEZZNS1_29radix_sort_onesweep_iterationIS3_Lb1EPcS8_PS5_S9_mNS0_19identity_decomposerENS1_16block_id_wrapperIjLb1EEEEE10hipError_tT1_PNSt15iterator_traitsISE_E10value_typeET2_T3_PNSF_ISK_E10value_typeET4_T5_PSP_SQ_PNS1_23onesweep_lookback_stateEbbT6_jjT7_P12ihipStream_tbENKUlT_T0_SE_SJ_E_clIS8_S8_S9_S9_EEDaSX_SY_SE_SJ_EUlSX_E_NS1_11comp_targetILNS1_3genE3ELNS1_11target_archE908ELNS1_3gpuE7ELNS1_3repE0EEENS1_47radix_sort_onesweep_sort_config_static_selectorELNS0_4arch9wavefront6targetE1EEEvSE_
		.amdhsa_group_segment_fixed_size 0
		.amdhsa_private_segment_fixed_size 0
		.amdhsa_kernarg_size 88
		.amdhsa_user_sgpr_count 6
		.amdhsa_user_sgpr_private_segment_buffer 1
		.amdhsa_user_sgpr_dispatch_ptr 0
		.amdhsa_user_sgpr_queue_ptr 0
		.amdhsa_user_sgpr_kernarg_segment_ptr 1
		.amdhsa_user_sgpr_dispatch_id 0
		.amdhsa_user_sgpr_flat_scratch_init 0
		.amdhsa_user_sgpr_kernarg_preload_length 0
		.amdhsa_user_sgpr_kernarg_preload_offset 0
		.amdhsa_user_sgpr_private_segment_size 0
		.amdhsa_uses_dynamic_stack 0
		.amdhsa_system_sgpr_private_segment_wavefront_offset 0
		.amdhsa_system_sgpr_workgroup_id_x 1
		.amdhsa_system_sgpr_workgroup_id_y 0
		.amdhsa_system_sgpr_workgroup_id_z 0
		.amdhsa_system_sgpr_workgroup_info 0
		.amdhsa_system_vgpr_workitem_id 0
		.amdhsa_next_free_vgpr 1
		.amdhsa_next_free_sgpr 0
		.amdhsa_accum_offset 4
		.amdhsa_reserve_vcc 0
		.amdhsa_reserve_flat_scratch 0
		.amdhsa_float_round_mode_32 0
		.amdhsa_float_round_mode_16_64 0
		.amdhsa_float_denorm_mode_32 3
		.amdhsa_float_denorm_mode_16_64 3
		.amdhsa_dx10_clamp 1
		.amdhsa_ieee_mode 1
		.amdhsa_fp16_overflow 0
		.amdhsa_tg_split 0
		.amdhsa_exception_fp_ieee_invalid_op 0
		.amdhsa_exception_fp_denorm_src 0
		.amdhsa_exception_fp_ieee_div_zero 0
		.amdhsa_exception_fp_ieee_overflow 0
		.amdhsa_exception_fp_ieee_underflow 0
		.amdhsa_exception_fp_ieee_inexact 0
		.amdhsa_exception_int_div_zero 0
	.end_amdhsa_kernel
	.section	.text._ZN7rocprim17ROCPRIM_400000_NS6detail17trampoline_kernelINS0_14default_configENS1_35radix_sort_onesweep_config_selectorIcNS0_10empty_typeEEEZZNS1_29radix_sort_onesweep_iterationIS3_Lb1EPcS8_PS5_S9_mNS0_19identity_decomposerENS1_16block_id_wrapperIjLb1EEEEE10hipError_tT1_PNSt15iterator_traitsISE_E10value_typeET2_T3_PNSF_ISK_E10value_typeET4_T5_PSP_SQ_PNS1_23onesweep_lookback_stateEbbT6_jjT7_P12ihipStream_tbENKUlT_T0_SE_SJ_E_clIS8_S8_S9_S9_EEDaSX_SY_SE_SJ_EUlSX_E_NS1_11comp_targetILNS1_3genE3ELNS1_11target_archE908ELNS1_3gpuE7ELNS1_3repE0EEENS1_47radix_sort_onesweep_sort_config_static_selectorELNS0_4arch9wavefront6targetE1EEEvSE_,"axG",@progbits,_ZN7rocprim17ROCPRIM_400000_NS6detail17trampoline_kernelINS0_14default_configENS1_35radix_sort_onesweep_config_selectorIcNS0_10empty_typeEEEZZNS1_29radix_sort_onesweep_iterationIS3_Lb1EPcS8_PS5_S9_mNS0_19identity_decomposerENS1_16block_id_wrapperIjLb1EEEEE10hipError_tT1_PNSt15iterator_traitsISE_E10value_typeET2_T3_PNSF_ISK_E10value_typeET4_T5_PSP_SQ_PNS1_23onesweep_lookback_stateEbbT6_jjT7_P12ihipStream_tbENKUlT_T0_SE_SJ_E_clIS8_S8_S9_S9_EEDaSX_SY_SE_SJ_EUlSX_E_NS1_11comp_targetILNS1_3genE3ELNS1_11target_archE908ELNS1_3gpuE7ELNS1_3repE0EEENS1_47radix_sort_onesweep_sort_config_static_selectorELNS0_4arch9wavefront6targetE1EEEvSE_,comdat
.Lfunc_end1552:
	.size	_ZN7rocprim17ROCPRIM_400000_NS6detail17trampoline_kernelINS0_14default_configENS1_35radix_sort_onesweep_config_selectorIcNS0_10empty_typeEEEZZNS1_29radix_sort_onesweep_iterationIS3_Lb1EPcS8_PS5_S9_mNS0_19identity_decomposerENS1_16block_id_wrapperIjLb1EEEEE10hipError_tT1_PNSt15iterator_traitsISE_E10value_typeET2_T3_PNSF_ISK_E10value_typeET4_T5_PSP_SQ_PNS1_23onesweep_lookback_stateEbbT6_jjT7_P12ihipStream_tbENKUlT_T0_SE_SJ_E_clIS8_S8_S9_S9_EEDaSX_SY_SE_SJ_EUlSX_E_NS1_11comp_targetILNS1_3genE3ELNS1_11target_archE908ELNS1_3gpuE7ELNS1_3repE0EEENS1_47radix_sort_onesweep_sort_config_static_selectorELNS0_4arch9wavefront6targetE1EEEvSE_, .Lfunc_end1552-_ZN7rocprim17ROCPRIM_400000_NS6detail17trampoline_kernelINS0_14default_configENS1_35radix_sort_onesweep_config_selectorIcNS0_10empty_typeEEEZZNS1_29radix_sort_onesweep_iterationIS3_Lb1EPcS8_PS5_S9_mNS0_19identity_decomposerENS1_16block_id_wrapperIjLb1EEEEE10hipError_tT1_PNSt15iterator_traitsISE_E10value_typeET2_T3_PNSF_ISK_E10value_typeET4_T5_PSP_SQ_PNS1_23onesweep_lookback_stateEbbT6_jjT7_P12ihipStream_tbENKUlT_T0_SE_SJ_E_clIS8_S8_S9_S9_EEDaSX_SY_SE_SJ_EUlSX_E_NS1_11comp_targetILNS1_3genE3ELNS1_11target_archE908ELNS1_3gpuE7ELNS1_3repE0EEENS1_47radix_sort_onesweep_sort_config_static_selectorELNS0_4arch9wavefront6targetE1EEEvSE_
                                        ; -- End function
	.section	.AMDGPU.csdata,"",@progbits
; Kernel info:
; codeLenInByte = 0
; NumSgprs: 4
; NumVgprs: 0
; NumAgprs: 0
; TotalNumVgprs: 0
; ScratchSize: 0
; MemoryBound: 0
; FloatMode: 240
; IeeeMode: 1
; LDSByteSize: 0 bytes/workgroup (compile time only)
; SGPRBlocks: 0
; VGPRBlocks: 0
; NumSGPRsForWavesPerEU: 4
; NumVGPRsForWavesPerEU: 1
; AccumOffset: 4
; Occupancy: 8
; WaveLimiterHint : 0
; COMPUTE_PGM_RSRC2:SCRATCH_EN: 0
; COMPUTE_PGM_RSRC2:USER_SGPR: 6
; COMPUTE_PGM_RSRC2:TRAP_HANDLER: 0
; COMPUTE_PGM_RSRC2:TGID_X_EN: 1
; COMPUTE_PGM_RSRC2:TGID_Y_EN: 0
; COMPUTE_PGM_RSRC2:TGID_Z_EN: 0
; COMPUTE_PGM_RSRC2:TIDIG_COMP_CNT: 0
; COMPUTE_PGM_RSRC3_GFX90A:ACCUM_OFFSET: 0
; COMPUTE_PGM_RSRC3_GFX90A:TG_SPLIT: 0
	.section	.text._ZN7rocprim17ROCPRIM_400000_NS6detail17trampoline_kernelINS0_14default_configENS1_35radix_sort_onesweep_config_selectorIcNS0_10empty_typeEEEZZNS1_29radix_sort_onesweep_iterationIS3_Lb1EPcS8_PS5_S9_mNS0_19identity_decomposerENS1_16block_id_wrapperIjLb1EEEEE10hipError_tT1_PNSt15iterator_traitsISE_E10value_typeET2_T3_PNSF_ISK_E10value_typeET4_T5_PSP_SQ_PNS1_23onesweep_lookback_stateEbbT6_jjT7_P12ihipStream_tbENKUlT_T0_SE_SJ_E_clIS8_S8_S9_S9_EEDaSX_SY_SE_SJ_EUlSX_E_NS1_11comp_targetILNS1_3genE10ELNS1_11target_archE1201ELNS1_3gpuE5ELNS1_3repE0EEENS1_47radix_sort_onesweep_sort_config_static_selectorELNS0_4arch9wavefront6targetE1EEEvSE_,"axG",@progbits,_ZN7rocprim17ROCPRIM_400000_NS6detail17trampoline_kernelINS0_14default_configENS1_35radix_sort_onesweep_config_selectorIcNS0_10empty_typeEEEZZNS1_29radix_sort_onesweep_iterationIS3_Lb1EPcS8_PS5_S9_mNS0_19identity_decomposerENS1_16block_id_wrapperIjLb1EEEEE10hipError_tT1_PNSt15iterator_traitsISE_E10value_typeET2_T3_PNSF_ISK_E10value_typeET4_T5_PSP_SQ_PNS1_23onesweep_lookback_stateEbbT6_jjT7_P12ihipStream_tbENKUlT_T0_SE_SJ_E_clIS8_S8_S9_S9_EEDaSX_SY_SE_SJ_EUlSX_E_NS1_11comp_targetILNS1_3genE10ELNS1_11target_archE1201ELNS1_3gpuE5ELNS1_3repE0EEENS1_47radix_sort_onesweep_sort_config_static_selectorELNS0_4arch9wavefront6targetE1EEEvSE_,comdat
	.protected	_ZN7rocprim17ROCPRIM_400000_NS6detail17trampoline_kernelINS0_14default_configENS1_35radix_sort_onesweep_config_selectorIcNS0_10empty_typeEEEZZNS1_29radix_sort_onesweep_iterationIS3_Lb1EPcS8_PS5_S9_mNS0_19identity_decomposerENS1_16block_id_wrapperIjLb1EEEEE10hipError_tT1_PNSt15iterator_traitsISE_E10value_typeET2_T3_PNSF_ISK_E10value_typeET4_T5_PSP_SQ_PNS1_23onesweep_lookback_stateEbbT6_jjT7_P12ihipStream_tbENKUlT_T0_SE_SJ_E_clIS8_S8_S9_S9_EEDaSX_SY_SE_SJ_EUlSX_E_NS1_11comp_targetILNS1_3genE10ELNS1_11target_archE1201ELNS1_3gpuE5ELNS1_3repE0EEENS1_47radix_sort_onesweep_sort_config_static_selectorELNS0_4arch9wavefront6targetE1EEEvSE_ ; -- Begin function _ZN7rocprim17ROCPRIM_400000_NS6detail17trampoline_kernelINS0_14default_configENS1_35radix_sort_onesweep_config_selectorIcNS0_10empty_typeEEEZZNS1_29radix_sort_onesweep_iterationIS3_Lb1EPcS8_PS5_S9_mNS0_19identity_decomposerENS1_16block_id_wrapperIjLb1EEEEE10hipError_tT1_PNSt15iterator_traitsISE_E10value_typeET2_T3_PNSF_ISK_E10value_typeET4_T5_PSP_SQ_PNS1_23onesweep_lookback_stateEbbT6_jjT7_P12ihipStream_tbENKUlT_T0_SE_SJ_E_clIS8_S8_S9_S9_EEDaSX_SY_SE_SJ_EUlSX_E_NS1_11comp_targetILNS1_3genE10ELNS1_11target_archE1201ELNS1_3gpuE5ELNS1_3repE0EEENS1_47radix_sort_onesweep_sort_config_static_selectorELNS0_4arch9wavefront6targetE1EEEvSE_
	.globl	_ZN7rocprim17ROCPRIM_400000_NS6detail17trampoline_kernelINS0_14default_configENS1_35radix_sort_onesweep_config_selectorIcNS0_10empty_typeEEEZZNS1_29radix_sort_onesweep_iterationIS3_Lb1EPcS8_PS5_S9_mNS0_19identity_decomposerENS1_16block_id_wrapperIjLb1EEEEE10hipError_tT1_PNSt15iterator_traitsISE_E10value_typeET2_T3_PNSF_ISK_E10value_typeET4_T5_PSP_SQ_PNS1_23onesweep_lookback_stateEbbT6_jjT7_P12ihipStream_tbENKUlT_T0_SE_SJ_E_clIS8_S8_S9_S9_EEDaSX_SY_SE_SJ_EUlSX_E_NS1_11comp_targetILNS1_3genE10ELNS1_11target_archE1201ELNS1_3gpuE5ELNS1_3repE0EEENS1_47radix_sort_onesweep_sort_config_static_selectorELNS0_4arch9wavefront6targetE1EEEvSE_
	.p2align	8
	.type	_ZN7rocprim17ROCPRIM_400000_NS6detail17trampoline_kernelINS0_14default_configENS1_35radix_sort_onesweep_config_selectorIcNS0_10empty_typeEEEZZNS1_29radix_sort_onesweep_iterationIS3_Lb1EPcS8_PS5_S9_mNS0_19identity_decomposerENS1_16block_id_wrapperIjLb1EEEEE10hipError_tT1_PNSt15iterator_traitsISE_E10value_typeET2_T3_PNSF_ISK_E10value_typeET4_T5_PSP_SQ_PNS1_23onesweep_lookback_stateEbbT6_jjT7_P12ihipStream_tbENKUlT_T0_SE_SJ_E_clIS8_S8_S9_S9_EEDaSX_SY_SE_SJ_EUlSX_E_NS1_11comp_targetILNS1_3genE10ELNS1_11target_archE1201ELNS1_3gpuE5ELNS1_3repE0EEENS1_47radix_sort_onesweep_sort_config_static_selectorELNS0_4arch9wavefront6targetE1EEEvSE_,@function
_ZN7rocprim17ROCPRIM_400000_NS6detail17trampoline_kernelINS0_14default_configENS1_35radix_sort_onesweep_config_selectorIcNS0_10empty_typeEEEZZNS1_29radix_sort_onesweep_iterationIS3_Lb1EPcS8_PS5_S9_mNS0_19identity_decomposerENS1_16block_id_wrapperIjLb1EEEEE10hipError_tT1_PNSt15iterator_traitsISE_E10value_typeET2_T3_PNSF_ISK_E10value_typeET4_T5_PSP_SQ_PNS1_23onesweep_lookback_stateEbbT6_jjT7_P12ihipStream_tbENKUlT_T0_SE_SJ_E_clIS8_S8_S9_S9_EEDaSX_SY_SE_SJ_EUlSX_E_NS1_11comp_targetILNS1_3genE10ELNS1_11target_archE1201ELNS1_3gpuE5ELNS1_3repE0EEENS1_47radix_sort_onesweep_sort_config_static_selectorELNS0_4arch9wavefront6targetE1EEEvSE_: ; @_ZN7rocprim17ROCPRIM_400000_NS6detail17trampoline_kernelINS0_14default_configENS1_35radix_sort_onesweep_config_selectorIcNS0_10empty_typeEEEZZNS1_29radix_sort_onesweep_iterationIS3_Lb1EPcS8_PS5_S9_mNS0_19identity_decomposerENS1_16block_id_wrapperIjLb1EEEEE10hipError_tT1_PNSt15iterator_traitsISE_E10value_typeET2_T3_PNSF_ISK_E10value_typeET4_T5_PSP_SQ_PNS1_23onesweep_lookback_stateEbbT6_jjT7_P12ihipStream_tbENKUlT_T0_SE_SJ_E_clIS8_S8_S9_S9_EEDaSX_SY_SE_SJ_EUlSX_E_NS1_11comp_targetILNS1_3genE10ELNS1_11target_archE1201ELNS1_3gpuE5ELNS1_3repE0EEENS1_47radix_sort_onesweep_sort_config_static_selectorELNS0_4arch9wavefront6targetE1EEEvSE_
; %bb.0:
	.section	.rodata,"a",@progbits
	.p2align	6, 0x0
	.amdhsa_kernel _ZN7rocprim17ROCPRIM_400000_NS6detail17trampoline_kernelINS0_14default_configENS1_35radix_sort_onesweep_config_selectorIcNS0_10empty_typeEEEZZNS1_29radix_sort_onesweep_iterationIS3_Lb1EPcS8_PS5_S9_mNS0_19identity_decomposerENS1_16block_id_wrapperIjLb1EEEEE10hipError_tT1_PNSt15iterator_traitsISE_E10value_typeET2_T3_PNSF_ISK_E10value_typeET4_T5_PSP_SQ_PNS1_23onesweep_lookback_stateEbbT6_jjT7_P12ihipStream_tbENKUlT_T0_SE_SJ_E_clIS8_S8_S9_S9_EEDaSX_SY_SE_SJ_EUlSX_E_NS1_11comp_targetILNS1_3genE10ELNS1_11target_archE1201ELNS1_3gpuE5ELNS1_3repE0EEENS1_47radix_sort_onesweep_sort_config_static_selectorELNS0_4arch9wavefront6targetE1EEEvSE_
		.amdhsa_group_segment_fixed_size 0
		.amdhsa_private_segment_fixed_size 0
		.amdhsa_kernarg_size 88
		.amdhsa_user_sgpr_count 6
		.amdhsa_user_sgpr_private_segment_buffer 1
		.amdhsa_user_sgpr_dispatch_ptr 0
		.amdhsa_user_sgpr_queue_ptr 0
		.amdhsa_user_sgpr_kernarg_segment_ptr 1
		.amdhsa_user_sgpr_dispatch_id 0
		.amdhsa_user_sgpr_flat_scratch_init 0
		.amdhsa_user_sgpr_kernarg_preload_length 0
		.amdhsa_user_sgpr_kernarg_preload_offset 0
		.amdhsa_user_sgpr_private_segment_size 0
		.amdhsa_uses_dynamic_stack 0
		.amdhsa_system_sgpr_private_segment_wavefront_offset 0
		.amdhsa_system_sgpr_workgroup_id_x 1
		.amdhsa_system_sgpr_workgroup_id_y 0
		.amdhsa_system_sgpr_workgroup_id_z 0
		.amdhsa_system_sgpr_workgroup_info 0
		.amdhsa_system_vgpr_workitem_id 0
		.amdhsa_next_free_vgpr 1
		.amdhsa_next_free_sgpr 0
		.amdhsa_accum_offset 4
		.amdhsa_reserve_vcc 0
		.amdhsa_reserve_flat_scratch 0
		.amdhsa_float_round_mode_32 0
		.amdhsa_float_round_mode_16_64 0
		.amdhsa_float_denorm_mode_32 3
		.amdhsa_float_denorm_mode_16_64 3
		.amdhsa_dx10_clamp 1
		.amdhsa_ieee_mode 1
		.amdhsa_fp16_overflow 0
		.amdhsa_tg_split 0
		.amdhsa_exception_fp_ieee_invalid_op 0
		.amdhsa_exception_fp_denorm_src 0
		.amdhsa_exception_fp_ieee_div_zero 0
		.amdhsa_exception_fp_ieee_overflow 0
		.amdhsa_exception_fp_ieee_underflow 0
		.amdhsa_exception_fp_ieee_inexact 0
		.amdhsa_exception_int_div_zero 0
	.end_amdhsa_kernel
	.section	.text._ZN7rocprim17ROCPRIM_400000_NS6detail17trampoline_kernelINS0_14default_configENS1_35radix_sort_onesweep_config_selectorIcNS0_10empty_typeEEEZZNS1_29radix_sort_onesweep_iterationIS3_Lb1EPcS8_PS5_S9_mNS0_19identity_decomposerENS1_16block_id_wrapperIjLb1EEEEE10hipError_tT1_PNSt15iterator_traitsISE_E10value_typeET2_T3_PNSF_ISK_E10value_typeET4_T5_PSP_SQ_PNS1_23onesweep_lookback_stateEbbT6_jjT7_P12ihipStream_tbENKUlT_T0_SE_SJ_E_clIS8_S8_S9_S9_EEDaSX_SY_SE_SJ_EUlSX_E_NS1_11comp_targetILNS1_3genE10ELNS1_11target_archE1201ELNS1_3gpuE5ELNS1_3repE0EEENS1_47radix_sort_onesweep_sort_config_static_selectorELNS0_4arch9wavefront6targetE1EEEvSE_,"axG",@progbits,_ZN7rocprim17ROCPRIM_400000_NS6detail17trampoline_kernelINS0_14default_configENS1_35radix_sort_onesweep_config_selectorIcNS0_10empty_typeEEEZZNS1_29radix_sort_onesweep_iterationIS3_Lb1EPcS8_PS5_S9_mNS0_19identity_decomposerENS1_16block_id_wrapperIjLb1EEEEE10hipError_tT1_PNSt15iterator_traitsISE_E10value_typeET2_T3_PNSF_ISK_E10value_typeET4_T5_PSP_SQ_PNS1_23onesweep_lookback_stateEbbT6_jjT7_P12ihipStream_tbENKUlT_T0_SE_SJ_E_clIS8_S8_S9_S9_EEDaSX_SY_SE_SJ_EUlSX_E_NS1_11comp_targetILNS1_3genE10ELNS1_11target_archE1201ELNS1_3gpuE5ELNS1_3repE0EEENS1_47radix_sort_onesweep_sort_config_static_selectorELNS0_4arch9wavefront6targetE1EEEvSE_,comdat
.Lfunc_end1553:
	.size	_ZN7rocprim17ROCPRIM_400000_NS6detail17trampoline_kernelINS0_14default_configENS1_35radix_sort_onesweep_config_selectorIcNS0_10empty_typeEEEZZNS1_29radix_sort_onesweep_iterationIS3_Lb1EPcS8_PS5_S9_mNS0_19identity_decomposerENS1_16block_id_wrapperIjLb1EEEEE10hipError_tT1_PNSt15iterator_traitsISE_E10value_typeET2_T3_PNSF_ISK_E10value_typeET4_T5_PSP_SQ_PNS1_23onesweep_lookback_stateEbbT6_jjT7_P12ihipStream_tbENKUlT_T0_SE_SJ_E_clIS8_S8_S9_S9_EEDaSX_SY_SE_SJ_EUlSX_E_NS1_11comp_targetILNS1_3genE10ELNS1_11target_archE1201ELNS1_3gpuE5ELNS1_3repE0EEENS1_47radix_sort_onesweep_sort_config_static_selectorELNS0_4arch9wavefront6targetE1EEEvSE_, .Lfunc_end1553-_ZN7rocprim17ROCPRIM_400000_NS6detail17trampoline_kernelINS0_14default_configENS1_35radix_sort_onesweep_config_selectorIcNS0_10empty_typeEEEZZNS1_29radix_sort_onesweep_iterationIS3_Lb1EPcS8_PS5_S9_mNS0_19identity_decomposerENS1_16block_id_wrapperIjLb1EEEEE10hipError_tT1_PNSt15iterator_traitsISE_E10value_typeET2_T3_PNSF_ISK_E10value_typeET4_T5_PSP_SQ_PNS1_23onesweep_lookback_stateEbbT6_jjT7_P12ihipStream_tbENKUlT_T0_SE_SJ_E_clIS8_S8_S9_S9_EEDaSX_SY_SE_SJ_EUlSX_E_NS1_11comp_targetILNS1_3genE10ELNS1_11target_archE1201ELNS1_3gpuE5ELNS1_3repE0EEENS1_47radix_sort_onesweep_sort_config_static_selectorELNS0_4arch9wavefront6targetE1EEEvSE_
                                        ; -- End function
	.section	.AMDGPU.csdata,"",@progbits
; Kernel info:
; codeLenInByte = 0
; NumSgprs: 4
; NumVgprs: 0
; NumAgprs: 0
; TotalNumVgprs: 0
; ScratchSize: 0
; MemoryBound: 0
; FloatMode: 240
; IeeeMode: 1
; LDSByteSize: 0 bytes/workgroup (compile time only)
; SGPRBlocks: 0
; VGPRBlocks: 0
; NumSGPRsForWavesPerEU: 4
; NumVGPRsForWavesPerEU: 1
; AccumOffset: 4
; Occupancy: 8
; WaveLimiterHint : 0
; COMPUTE_PGM_RSRC2:SCRATCH_EN: 0
; COMPUTE_PGM_RSRC2:USER_SGPR: 6
; COMPUTE_PGM_RSRC2:TRAP_HANDLER: 0
; COMPUTE_PGM_RSRC2:TGID_X_EN: 1
; COMPUTE_PGM_RSRC2:TGID_Y_EN: 0
; COMPUTE_PGM_RSRC2:TGID_Z_EN: 0
; COMPUTE_PGM_RSRC2:TIDIG_COMP_CNT: 0
; COMPUTE_PGM_RSRC3_GFX90A:ACCUM_OFFSET: 0
; COMPUTE_PGM_RSRC3_GFX90A:TG_SPLIT: 0
	.section	.text._ZN7rocprim17ROCPRIM_400000_NS6detail17trampoline_kernelINS0_14default_configENS1_35radix_sort_onesweep_config_selectorIcNS0_10empty_typeEEEZZNS1_29radix_sort_onesweep_iterationIS3_Lb1EPcS8_PS5_S9_mNS0_19identity_decomposerENS1_16block_id_wrapperIjLb1EEEEE10hipError_tT1_PNSt15iterator_traitsISE_E10value_typeET2_T3_PNSF_ISK_E10value_typeET4_T5_PSP_SQ_PNS1_23onesweep_lookback_stateEbbT6_jjT7_P12ihipStream_tbENKUlT_T0_SE_SJ_E_clIS8_S8_S9_S9_EEDaSX_SY_SE_SJ_EUlSX_E_NS1_11comp_targetILNS1_3genE9ELNS1_11target_archE1100ELNS1_3gpuE3ELNS1_3repE0EEENS1_47radix_sort_onesweep_sort_config_static_selectorELNS0_4arch9wavefront6targetE1EEEvSE_,"axG",@progbits,_ZN7rocprim17ROCPRIM_400000_NS6detail17trampoline_kernelINS0_14default_configENS1_35radix_sort_onesweep_config_selectorIcNS0_10empty_typeEEEZZNS1_29radix_sort_onesweep_iterationIS3_Lb1EPcS8_PS5_S9_mNS0_19identity_decomposerENS1_16block_id_wrapperIjLb1EEEEE10hipError_tT1_PNSt15iterator_traitsISE_E10value_typeET2_T3_PNSF_ISK_E10value_typeET4_T5_PSP_SQ_PNS1_23onesweep_lookback_stateEbbT6_jjT7_P12ihipStream_tbENKUlT_T0_SE_SJ_E_clIS8_S8_S9_S9_EEDaSX_SY_SE_SJ_EUlSX_E_NS1_11comp_targetILNS1_3genE9ELNS1_11target_archE1100ELNS1_3gpuE3ELNS1_3repE0EEENS1_47radix_sort_onesweep_sort_config_static_selectorELNS0_4arch9wavefront6targetE1EEEvSE_,comdat
	.protected	_ZN7rocprim17ROCPRIM_400000_NS6detail17trampoline_kernelINS0_14default_configENS1_35radix_sort_onesweep_config_selectorIcNS0_10empty_typeEEEZZNS1_29radix_sort_onesweep_iterationIS3_Lb1EPcS8_PS5_S9_mNS0_19identity_decomposerENS1_16block_id_wrapperIjLb1EEEEE10hipError_tT1_PNSt15iterator_traitsISE_E10value_typeET2_T3_PNSF_ISK_E10value_typeET4_T5_PSP_SQ_PNS1_23onesweep_lookback_stateEbbT6_jjT7_P12ihipStream_tbENKUlT_T0_SE_SJ_E_clIS8_S8_S9_S9_EEDaSX_SY_SE_SJ_EUlSX_E_NS1_11comp_targetILNS1_3genE9ELNS1_11target_archE1100ELNS1_3gpuE3ELNS1_3repE0EEENS1_47radix_sort_onesweep_sort_config_static_selectorELNS0_4arch9wavefront6targetE1EEEvSE_ ; -- Begin function _ZN7rocprim17ROCPRIM_400000_NS6detail17trampoline_kernelINS0_14default_configENS1_35radix_sort_onesweep_config_selectorIcNS0_10empty_typeEEEZZNS1_29radix_sort_onesweep_iterationIS3_Lb1EPcS8_PS5_S9_mNS0_19identity_decomposerENS1_16block_id_wrapperIjLb1EEEEE10hipError_tT1_PNSt15iterator_traitsISE_E10value_typeET2_T3_PNSF_ISK_E10value_typeET4_T5_PSP_SQ_PNS1_23onesweep_lookback_stateEbbT6_jjT7_P12ihipStream_tbENKUlT_T0_SE_SJ_E_clIS8_S8_S9_S9_EEDaSX_SY_SE_SJ_EUlSX_E_NS1_11comp_targetILNS1_3genE9ELNS1_11target_archE1100ELNS1_3gpuE3ELNS1_3repE0EEENS1_47radix_sort_onesweep_sort_config_static_selectorELNS0_4arch9wavefront6targetE1EEEvSE_
	.globl	_ZN7rocprim17ROCPRIM_400000_NS6detail17trampoline_kernelINS0_14default_configENS1_35radix_sort_onesweep_config_selectorIcNS0_10empty_typeEEEZZNS1_29radix_sort_onesweep_iterationIS3_Lb1EPcS8_PS5_S9_mNS0_19identity_decomposerENS1_16block_id_wrapperIjLb1EEEEE10hipError_tT1_PNSt15iterator_traitsISE_E10value_typeET2_T3_PNSF_ISK_E10value_typeET4_T5_PSP_SQ_PNS1_23onesweep_lookback_stateEbbT6_jjT7_P12ihipStream_tbENKUlT_T0_SE_SJ_E_clIS8_S8_S9_S9_EEDaSX_SY_SE_SJ_EUlSX_E_NS1_11comp_targetILNS1_3genE9ELNS1_11target_archE1100ELNS1_3gpuE3ELNS1_3repE0EEENS1_47radix_sort_onesweep_sort_config_static_selectorELNS0_4arch9wavefront6targetE1EEEvSE_
	.p2align	8
	.type	_ZN7rocprim17ROCPRIM_400000_NS6detail17trampoline_kernelINS0_14default_configENS1_35radix_sort_onesweep_config_selectorIcNS0_10empty_typeEEEZZNS1_29radix_sort_onesweep_iterationIS3_Lb1EPcS8_PS5_S9_mNS0_19identity_decomposerENS1_16block_id_wrapperIjLb1EEEEE10hipError_tT1_PNSt15iterator_traitsISE_E10value_typeET2_T3_PNSF_ISK_E10value_typeET4_T5_PSP_SQ_PNS1_23onesweep_lookback_stateEbbT6_jjT7_P12ihipStream_tbENKUlT_T0_SE_SJ_E_clIS8_S8_S9_S9_EEDaSX_SY_SE_SJ_EUlSX_E_NS1_11comp_targetILNS1_3genE9ELNS1_11target_archE1100ELNS1_3gpuE3ELNS1_3repE0EEENS1_47radix_sort_onesweep_sort_config_static_selectorELNS0_4arch9wavefront6targetE1EEEvSE_,@function
_ZN7rocprim17ROCPRIM_400000_NS6detail17trampoline_kernelINS0_14default_configENS1_35radix_sort_onesweep_config_selectorIcNS0_10empty_typeEEEZZNS1_29radix_sort_onesweep_iterationIS3_Lb1EPcS8_PS5_S9_mNS0_19identity_decomposerENS1_16block_id_wrapperIjLb1EEEEE10hipError_tT1_PNSt15iterator_traitsISE_E10value_typeET2_T3_PNSF_ISK_E10value_typeET4_T5_PSP_SQ_PNS1_23onesweep_lookback_stateEbbT6_jjT7_P12ihipStream_tbENKUlT_T0_SE_SJ_E_clIS8_S8_S9_S9_EEDaSX_SY_SE_SJ_EUlSX_E_NS1_11comp_targetILNS1_3genE9ELNS1_11target_archE1100ELNS1_3gpuE3ELNS1_3repE0EEENS1_47radix_sort_onesweep_sort_config_static_selectorELNS0_4arch9wavefront6targetE1EEEvSE_: ; @_ZN7rocprim17ROCPRIM_400000_NS6detail17trampoline_kernelINS0_14default_configENS1_35radix_sort_onesweep_config_selectorIcNS0_10empty_typeEEEZZNS1_29radix_sort_onesweep_iterationIS3_Lb1EPcS8_PS5_S9_mNS0_19identity_decomposerENS1_16block_id_wrapperIjLb1EEEEE10hipError_tT1_PNSt15iterator_traitsISE_E10value_typeET2_T3_PNSF_ISK_E10value_typeET4_T5_PSP_SQ_PNS1_23onesweep_lookback_stateEbbT6_jjT7_P12ihipStream_tbENKUlT_T0_SE_SJ_E_clIS8_S8_S9_S9_EEDaSX_SY_SE_SJ_EUlSX_E_NS1_11comp_targetILNS1_3genE9ELNS1_11target_archE1100ELNS1_3gpuE3ELNS1_3repE0EEENS1_47radix_sort_onesweep_sort_config_static_selectorELNS0_4arch9wavefront6targetE1EEEvSE_
; %bb.0:
	.section	.rodata,"a",@progbits
	.p2align	6, 0x0
	.amdhsa_kernel _ZN7rocprim17ROCPRIM_400000_NS6detail17trampoline_kernelINS0_14default_configENS1_35radix_sort_onesweep_config_selectorIcNS0_10empty_typeEEEZZNS1_29radix_sort_onesweep_iterationIS3_Lb1EPcS8_PS5_S9_mNS0_19identity_decomposerENS1_16block_id_wrapperIjLb1EEEEE10hipError_tT1_PNSt15iterator_traitsISE_E10value_typeET2_T3_PNSF_ISK_E10value_typeET4_T5_PSP_SQ_PNS1_23onesweep_lookback_stateEbbT6_jjT7_P12ihipStream_tbENKUlT_T0_SE_SJ_E_clIS8_S8_S9_S9_EEDaSX_SY_SE_SJ_EUlSX_E_NS1_11comp_targetILNS1_3genE9ELNS1_11target_archE1100ELNS1_3gpuE3ELNS1_3repE0EEENS1_47radix_sort_onesweep_sort_config_static_selectorELNS0_4arch9wavefront6targetE1EEEvSE_
		.amdhsa_group_segment_fixed_size 0
		.amdhsa_private_segment_fixed_size 0
		.amdhsa_kernarg_size 88
		.amdhsa_user_sgpr_count 6
		.amdhsa_user_sgpr_private_segment_buffer 1
		.amdhsa_user_sgpr_dispatch_ptr 0
		.amdhsa_user_sgpr_queue_ptr 0
		.amdhsa_user_sgpr_kernarg_segment_ptr 1
		.amdhsa_user_sgpr_dispatch_id 0
		.amdhsa_user_sgpr_flat_scratch_init 0
		.amdhsa_user_sgpr_kernarg_preload_length 0
		.amdhsa_user_sgpr_kernarg_preload_offset 0
		.amdhsa_user_sgpr_private_segment_size 0
		.amdhsa_uses_dynamic_stack 0
		.amdhsa_system_sgpr_private_segment_wavefront_offset 0
		.amdhsa_system_sgpr_workgroup_id_x 1
		.amdhsa_system_sgpr_workgroup_id_y 0
		.amdhsa_system_sgpr_workgroup_id_z 0
		.amdhsa_system_sgpr_workgroup_info 0
		.amdhsa_system_vgpr_workitem_id 0
		.amdhsa_next_free_vgpr 1
		.amdhsa_next_free_sgpr 0
		.amdhsa_accum_offset 4
		.amdhsa_reserve_vcc 0
		.amdhsa_reserve_flat_scratch 0
		.amdhsa_float_round_mode_32 0
		.amdhsa_float_round_mode_16_64 0
		.amdhsa_float_denorm_mode_32 3
		.amdhsa_float_denorm_mode_16_64 3
		.amdhsa_dx10_clamp 1
		.amdhsa_ieee_mode 1
		.amdhsa_fp16_overflow 0
		.amdhsa_tg_split 0
		.amdhsa_exception_fp_ieee_invalid_op 0
		.amdhsa_exception_fp_denorm_src 0
		.amdhsa_exception_fp_ieee_div_zero 0
		.amdhsa_exception_fp_ieee_overflow 0
		.amdhsa_exception_fp_ieee_underflow 0
		.amdhsa_exception_fp_ieee_inexact 0
		.amdhsa_exception_int_div_zero 0
	.end_amdhsa_kernel
	.section	.text._ZN7rocprim17ROCPRIM_400000_NS6detail17trampoline_kernelINS0_14default_configENS1_35radix_sort_onesweep_config_selectorIcNS0_10empty_typeEEEZZNS1_29radix_sort_onesweep_iterationIS3_Lb1EPcS8_PS5_S9_mNS0_19identity_decomposerENS1_16block_id_wrapperIjLb1EEEEE10hipError_tT1_PNSt15iterator_traitsISE_E10value_typeET2_T3_PNSF_ISK_E10value_typeET4_T5_PSP_SQ_PNS1_23onesweep_lookback_stateEbbT6_jjT7_P12ihipStream_tbENKUlT_T0_SE_SJ_E_clIS8_S8_S9_S9_EEDaSX_SY_SE_SJ_EUlSX_E_NS1_11comp_targetILNS1_3genE9ELNS1_11target_archE1100ELNS1_3gpuE3ELNS1_3repE0EEENS1_47radix_sort_onesweep_sort_config_static_selectorELNS0_4arch9wavefront6targetE1EEEvSE_,"axG",@progbits,_ZN7rocprim17ROCPRIM_400000_NS6detail17trampoline_kernelINS0_14default_configENS1_35radix_sort_onesweep_config_selectorIcNS0_10empty_typeEEEZZNS1_29radix_sort_onesweep_iterationIS3_Lb1EPcS8_PS5_S9_mNS0_19identity_decomposerENS1_16block_id_wrapperIjLb1EEEEE10hipError_tT1_PNSt15iterator_traitsISE_E10value_typeET2_T3_PNSF_ISK_E10value_typeET4_T5_PSP_SQ_PNS1_23onesweep_lookback_stateEbbT6_jjT7_P12ihipStream_tbENKUlT_T0_SE_SJ_E_clIS8_S8_S9_S9_EEDaSX_SY_SE_SJ_EUlSX_E_NS1_11comp_targetILNS1_3genE9ELNS1_11target_archE1100ELNS1_3gpuE3ELNS1_3repE0EEENS1_47radix_sort_onesweep_sort_config_static_selectorELNS0_4arch9wavefront6targetE1EEEvSE_,comdat
.Lfunc_end1554:
	.size	_ZN7rocprim17ROCPRIM_400000_NS6detail17trampoline_kernelINS0_14default_configENS1_35radix_sort_onesweep_config_selectorIcNS0_10empty_typeEEEZZNS1_29radix_sort_onesweep_iterationIS3_Lb1EPcS8_PS5_S9_mNS0_19identity_decomposerENS1_16block_id_wrapperIjLb1EEEEE10hipError_tT1_PNSt15iterator_traitsISE_E10value_typeET2_T3_PNSF_ISK_E10value_typeET4_T5_PSP_SQ_PNS1_23onesweep_lookback_stateEbbT6_jjT7_P12ihipStream_tbENKUlT_T0_SE_SJ_E_clIS8_S8_S9_S9_EEDaSX_SY_SE_SJ_EUlSX_E_NS1_11comp_targetILNS1_3genE9ELNS1_11target_archE1100ELNS1_3gpuE3ELNS1_3repE0EEENS1_47radix_sort_onesweep_sort_config_static_selectorELNS0_4arch9wavefront6targetE1EEEvSE_, .Lfunc_end1554-_ZN7rocprim17ROCPRIM_400000_NS6detail17trampoline_kernelINS0_14default_configENS1_35radix_sort_onesweep_config_selectorIcNS0_10empty_typeEEEZZNS1_29radix_sort_onesweep_iterationIS3_Lb1EPcS8_PS5_S9_mNS0_19identity_decomposerENS1_16block_id_wrapperIjLb1EEEEE10hipError_tT1_PNSt15iterator_traitsISE_E10value_typeET2_T3_PNSF_ISK_E10value_typeET4_T5_PSP_SQ_PNS1_23onesweep_lookback_stateEbbT6_jjT7_P12ihipStream_tbENKUlT_T0_SE_SJ_E_clIS8_S8_S9_S9_EEDaSX_SY_SE_SJ_EUlSX_E_NS1_11comp_targetILNS1_3genE9ELNS1_11target_archE1100ELNS1_3gpuE3ELNS1_3repE0EEENS1_47radix_sort_onesweep_sort_config_static_selectorELNS0_4arch9wavefront6targetE1EEEvSE_
                                        ; -- End function
	.section	.AMDGPU.csdata,"",@progbits
; Kernel info:
; codeLenInByte = 0
; NumSgprs: 4
; NumVgprs: 0
; NumAgprs: 0
; TotalNumVgprs: 0
; ScratchSize: 0
; MemoryBound: 0
; FloatMode: 240
; IeeeMode: 1
; LDSByteSize: 0 bytes/workgroup (compile time only)
; SGPRBlocks: 0
; VGPRBlocks: 0
; NumSGPRsForWavesPerEU: 4
; NumVGPRsForWavesPerEU: 1
; AccumOffset: 4
; Occupancy: 8
; WaveLimiterHint : 0
; COMPUTE_PGM_RSRC2:SCRATCH_EN: 0
; COMPUTE_PGM_RSRC2:USER_SGPR: 6
; COMPUTE_PGM_RSRC2:TRAP_HANDLER: 0
; COMPUTE_PGM_RSRC2:TGID_X_EN: 1
; COMPUTE_PGM_RSRC2:TGID_Y_EN: 0
; COMPUTE_PGM_RSRC2:TGID_Z_EN: 0
; COMPUTE_PGM_RSRC2:TIDIG_COMP_CNT: 0
; COMPUTE_PGM_RSRC3_GFX90A:ACCUM_OFFSET: 0
; COMPUTE_PGM_RSRC3_GFX90A:TG_SPLIT: 0
	.section	.text._ZN7rocprim17ROCPRIM_400000_NS6detail17trampoline_kernelINS0_14default_configENS1_35radix_sort_onesweep_config_selectorIcNS0_10empty_typeEEEZZNS1_29radix_sort_onesweep_iterationIS3_Lb1EPcS8_PS5_S9_mNS0_19identity_decomposerENS1_16block_id_wrapperIjLb1EEEEE10hipError_tT1_PNSt15iterator_traitsISE_E10value_typeET2_T3_PNSF_ISK_E10value_typeET4_T5_PSP_SQ_PNS1_23onesweep_lookback_stateEbbT6_jjT7_P12ihipStream_tbENKUlT_T0_SE_SJ_E_clIS8_S8_S9_S9_EEDaSX_SY_SE_SJ_EUlSX_E_NS1_11comp_targetILNS1_3genE8ELNS1_11target_archE1030ELNS1_3gpuE2ELNS1_3repE0EEENS1_47radix_sort_onesweep_sort_config_static_selectorELNS0_4arch9wavefront6targetE1EEEvSE_,"axG",@progbits,_ZN7rocprim17ROCPRIM_400000_NS6detail17trampoline_kernelINS0_14default_configENS1_35radix_sort_onesweep_config_selectorIcNS0_10empty_typeEEEZZNS1_29radix_sort_onesweep_iterationIS3_Lb1EPcS8_PS5_S9_mNS0_19identity_decomposerENS1_16block_id_wrapperIjLb1EEEEE10hipError_tT1_PNSt15iterator_traitsISE_E10value_typeET2_T3_PNSF_ISK_E10value_typeET4_T5_PSP_SQ_PNS1_23onesweep_lookback_stateEbbT6_jjT7_P12ihipStream_tbENKUlT_T0_SE_SJ_E_clIS8_S8_S9_S9_EEDaSX_SY_SE_SJ_EUlSX_E_NS1_11comp_targetILNS1_3genE8ELNS1_11target_archE1030ELNS1_3gpuE2ELNS1_3repE0EEENS1_47radix_sort_onesweep_sort_config_static_selectorELNS0_4arch9wavefront6targetE1EEEvSE_,comdat
	.protected	_ZN7rocprim17ROCPRIM_400000_NS6detail17trampoline_kernelINS0_14default_configENS1_35radix_sort_onesweep_config_selectorIcNS0_10empty_typeEEEZZNS1_29radix_sort_onesweep_iterationIS3_Lb1EPcS8_PS5_S9_mNS0_19identity_decomposerENS1_16block_id_wrapperIjLb1EEEEE10hipError_tT1_PNSt15iterator_traitsISE_E10value_typeET2_T3_PNSF_ISK_E10value_typeET4_T5_PSP_SQ_PNS1_23onesweep_lookback_stateEbbT6_jjT7_P12ihipStream_tbENKUlT_T0_SE_SJ_E_clIS8_S8_S9_S9_EEDaSX_SY_SE_SJ_EUlSX_E_NS1_11comp_targetILNS1_3genE8ELNS1_11target_archE1030ELNS1_3gpuE2ELNS1_3repE0EEENS1_47radix_sort_onesweep_sort_config_static_selectorELNS0_4arch9wavefront6targetE1EEEvSE_ ; -- Begin function _ZN7rocprim17ROCPRIM_400000_NS6detail17trampoline_kernelINS0_14default_configENS1_35radix_sort_onesweep_config_selectorIcNS0_10empty_typeEEEZZNS1_29radix_sort_onesweep_iterationIS3_Lb1EPcS8_PS5_S9_mNS0_19identity_decomposerENS1_16block_id_wrapperIjLb1EEEEE10hipError_tT1_PNSt15iterator_traitsISE_E10value_typeET2_T3_PNSF_ISK_E10value_typeET4_T5_PSP_SQ_PNS1_23onesweep_lookback_stateEbbT6_jjT7_P12ihipStream_tbENKUlT_T0_SE_SJ_E_clIS8_S8_S9_S9_EEDaSX_SY_SE_SJ_EUlSX_E_NS1_11comp_targetILNS1_3genE8ELNS1_11target_archE1030ELNS1_3gpuE2ELNS1_3repE0EEENS1_47radix_sort_onesweep_sort_config_static_selectorELNS0_4arch9wavefront6targetE1EEEvSE_
	.globl	_ZN7rocprim17ROCPRIM_400000_NS6detail17trampoline_kernelINS0_14default_configENS1_35radix_sort_onesweep_config_selectorIcNS0_10empty_typeEEEZZNS1_29radix_sort_onesweep_iterationIS3_Lb1EPcS8_PS5_S9_mNS0_19identity_decomposerENS1_16block_id_wrapperIjLb1EEEEE10hipError_tT1_PNSt15iterator_traitsISE_E10value_typeET2_T3_PNSF_ISK_E10value_typeET4_T5_PSP_SQ_PNS1_23onesweep_lookback_stateEbbT6_jjT7_P12ihipStream_tbENKUlT_T0_SE_SJ_E_clIS8_S8_S9_S9_EEDaSX_SY_SE_SJ_EUlSX_E_NS1_11comp_targetILNS1_3genE8ELNS1_11target_archE1030ELNS1_3gpuE2ELNS1_3repE0EEENS1_47radix_sort_onesweep_sort_config_static_selectorELNS0_4arch9wavefront6targetE1EEEvSE_
	.p2align	8
	.type	_ZN7rocprim17ROCPRIM_400000_NS6detail17trampoline_kernelINS0_14default_configENS1_35radix_sort_onesweep_config_selectorIcNS0_10empty_typeEEEZZNS1_29radix_sort_onesweep_iterationIS3_Lb1EPcS8_PS5_S9_mNS0_19identity_decomposerENS1_16block_id_wrapperIjLb1EEEEE10hipError_tT1_PNSt15iterator_traitsISE_E10value_typeET2_T3_PNSF_ISK_E10value_typeET4_T5_PSP_SQ_PNS1_23onesweep_lookback_stateEbbT6_jjT7_P12ihipStream_tbENKUlT_T0_SE_SJ_E_clIS8_S8_S9_S9_EEDaSX_SY_SE_SJ_EUlSX_E_NS1_11comp_targetILNS1_3genE8ELNS1_11target_archE1030ELNS1_3gpuE2ELNS1_3repE0EEENS1_47radix_sort_onesweep_sort_config_static_selectorELNS0_4arch9wavefront6targetE1EEEvSE_,@function
_ZN7rocprim17ROCPRIM_400000_NS6detail17trampoline_kernelINS0_14default_configENS1_35radix_sort_onesweep_config_selectorIcNS0_10empty_typeEEEZZNS1_29radix_sort_onesweep_iterationIS3_Lb1EPcS8_PS5_S9_mNS0_19identity_decomposerENS1_16block_id_wrapperIjLb1EEEEE10hipError_tT1_PNSt15iterator_traitsISE_E10value_typeET2_T3_PNSF_ISK_E10value_typeET4_T5_PSP_SQ_PNS1_23onesweep_lookback_stateEbbT6_jjT7_P12ihipStream_tbENKUlT_T0_SE_SJ_E_clIS8_S8_S9_S9_EEDaSX_SY_SE_SJ_EUlSX_E_NS1_11comp_targetILNS1_3genE8ELNS1_11target_archE1030ELNS1_3gpuE2ELNS1_3repE0EEENS1_47radix_sort_onesweep_sort_config_static_selectorELNS0_4arch9wavefront6targetE1EEEvSE_: ; @_ZN7rocprim17ROCPRIM_400000_NS6detail17trampoline_kernelINS0_14default_configENS1_35radix_sort_onesweep_config_selectorIcNS0_10empty_typeEEEZZNS1_29radix_sort_onesweep_iterationIS3_Lb1EPcS8_PS5_S9_mNS0_19identity_decomposerENS1_16block_id_wrapperIjLb1EEEEE10hipError_tT1_PNSt15iterator_traitsISE_E10value_typeET2_T3_PNSF_ISK_E10value_typeET4_T5_PSP_SQ_PNS1_23onesweep_lookback_stateEbbT6_jjT7_P12ihipStream_tbENKUlT_T0_SE_SJ_E_clIS8_S8_S9_S9_EEDaSX_SY_SE_SJ_EUlSX_E_NS1_11comp_targetILNS1_3genE8ELNS1_11target_archE1030ELNS1_3gpuE2ELNS1_3repE0EEENS1_47radix_sort_onesweep_sort_config_static_selectorELNS0_4arch9wavefront6targetE1EEEvSE_
; %bb.0:
	.section	.rodata,"a",@progbits
	.p2align	6, 0x0
	.amdhsa_kernel _ZN7rocprim17ROCPRIM_400000_NS6detail17trampoline_kernelINS0_14default_configENS1_35radix_sort_onesweep_config_selectorIcNS0_10empty_typeEEEZZNS1_29radix_sort_onesweep_iterationIS3_Lb1EPcS8_PS5_S9_mNS0_19identity_decomposerENS1_16block_id_wrapperIjLb1EEEEE10hipError_tT1_PNSt15iterator_traitsISE_E10value_typeET2_T3_PNSF_ISK_E10value_typeET4_T5_PSP_SQ_PNS1_23onesweep_lookback_stateEbbT6_jjT7_P12ihipStream_tbENKUlT_T0_SE_SJ_E_clIS8_S8_S9_S9_EEDaSX_SY_SE_SJ_EUlSX_E_NS1_11comp_targetILNS1_3genE8ELNS1_11target_archE1030ELNS1_3gpuE2ELNS1_3repE0EEENS1_47radix_sort_onesweep_sort_config_static_selectorELNS0_4arch9wavefront6targetE1EEEvSE_
		.amdhsa_group_segment_fixed_size 0
		.amdhsa_private_segment_fixed_size 0
		.amdhsa_kernarg_size 88
		.amdhsa_user_sgpr_count 6
		.amdhsa_user_sgpr_private_segment_buffer 1
		.amdhsa_user_sgpr_dispatch_ptr 0
		.amdhsa_user_sgpr_queue_ptr 0
		.amdhsa_user_sgpr_kernarg_segment_ptr 1
		.amdhsa_user_sgpr_dispatch_id 0
		.amdhsa_user_sgpr_flat_scratch_init 0
		.amdhsa_user_sgpr_kernarg_preload_length 0
		.amdhsa_user_sgpr_kernarg_preload_offset 0
		.amdhsa_user_sgpr_private_segment_size 0
		.amdhsa_uses_dynamic_stack 0
		.amdhsa_system_sgpr_private_segment_wavefront_offset 0
		.amdhsa_system_sgpr_workgroup_id_x 1
		.amdhsa_system_sgpr_workgroup_id_y 0
		.amdhsa_system_sgpr_workgroup_id_z 0
		.amdhsa_system_sgpr_workgroup_info 0
		.amdhsa_system_vgpr_workitem_id 0
		.amdhsa_next_free_vgpr 1
		.amdhsa_next_free_sgpr 0
		.amdhsa_accum_offset 4
		.amdhsa_reserve_vcc 0
		.amdhsa_reserve_flat_scratch 0
		.amdhsa_float_round_mode_32 0
		.amdhsa_float_round_mode_16_64 0
		.amdhsa_float_denorm_mode_32 3
		.amdhsa_float_denorm_mode_16_64 3
		.amdhsa_dx10_clamp 1
		.amdhsa_ieee_mode 1
		.amdhsa_fp16_overflow 0
		.amdhsa_tg_split 0
		.amdhsa_exception_fp_ieee_invalid_op 0
		.amdhsa_exception_fp_denorm_src 0
		.amdhsa_exception_fp_ieee_div_zero 0
		.amdhsa_exception_fp_ieee_overflow 0
		.amdhsa_exception_fp_ieee_underflow 0
		.amdhsa_exception_fp_ieee_inexact 0
		.amdhsa_exception_int_div_zero 0
	.end_amdhsa_kernel
	.section	.text._ZN7rocprim17ROCPRIM_400000_NS6detail17trampoline_kernelINS0_14default_configENS1_35radix_sort_onesweep_config_selectorIcNS0_10empty_typeEEEZZNS1_29radix_sort_onesweep_iterationIS3_Lb1EPcS8_PS5_S9_mNS0_19identity_decomposerENS1_16block_id_wrapperIjLb1EEEEE10hipError_tT1_PNSt15iterator_traitsISE_E10value_typeET2_T3_PNSF_ISK_E10value_typeET4_T5_PSP_SQ_PNS1_23onesweep_lookback_stateEbbT6_jjT7_P12ihipStream_tbENKUlT_T0_SE_SJ_E_clIS8_S8_S9_S9_EEDaSX_SY_SE_SJ_EUlSX_E_NS1_11comp_targetILNS1_3genE8ELNS1_11target_archE1030ELNS1_3gpuE2ELNS1_3repE0EEENS1_47radix_sort_onesweep_sort_config_static_selectorELNS0_4arch9wavefront6targetE1EEEvSE_,"axG",@progbits,_ZN7rocprim17ROCPRIM_400000_NS6detail17trampoline_kernelINS0_14default_configENS1_35radix_sort_onesweep_config_selectorIcNS0_10empty_typeEEEZZNS1_29radix_sort_onesweep_iterationIS3_Lb1EPcS8_PS5_S9_mNS0_19identity_decomposerENS1_16block_id_wrapperIjLb1EEEEE10hipError_tT1_PNSt15iterator_traitsISE_E10value_typeET2_T3_PNSF_ISK_E10value_typeET4_T5_PSP_SQ_PNS1_23onesweep_lookback_stateEbbT6_jjT7_P12ihipStream_tbENKUlT_T0_SE_SJ_E_clIS8_S8_S9_S9_EEDaSX_SY_SE_SJ_EUlSX_E_NS1_11comp_targetILNS1_3genE8ELNS1_11target_archE1030ELNS1_3gpuE2ELNS1_3repE0EEENS1_47radix_sort_onesweep_sort_config_static_selectorELNS0_4arch9wavefront6targetE1EEEvSE_,comdat
.Lfunc_end1555:
	.size	_ZN7rocprim17ROCPRIM_400000_NS6detail17trampoline_kernelINS0_14default_configENS1_35radix_sort_onesweep_config_selectorIcNS0_10empty_typeEEEZZNS1_29radix_sort_onesweep_iterationIS3_Lb1EPcS8_PS5_S9_mNS0_19identity_decomposerENS1_16block_id_wrapperIjLb1EEEEE10hipError_tT1_PNSt15iterator_traitsISE_E10value_typeET2_T3_PNSF_ISK_E10value_typeET4_T5_PSP_SQ_PNS1_23onesweep_lookback_stateEbbT6_jjT7_P12ihipStream_tbENKUlT_T0_SE_SJ_E_clIS8_S8_S9_S9_EEDaSX_SY_SE_SJ_EUlSX_E_NS1_11comp_targetILNS1_3genE8ELNS1_11target_archE1030ELNS1_3gpuE2ELNS1_3repE0EEENS1_47radix_sort_onesweep_sort_config_static_selectorELNS0_4arch9wavefront6targetE1EEEvSE_, .Lfunc_end1555-_ZN7rocprim17ROCPRIM_400000_NS6detail17trampoline_kernelINS0_14default_configENS1_35radix_sort_onesweep_config_selectorIcNS0_10empty_typeEEEZZNS1_29radix_sort_onesweep_iterationIS3_Lb1EPcS8_PS5_S9_mNS0_19identity_decomposerENS1_16block_id_wrapperIjLb1EEEEE10hipError_tT1_PNSt15iterator_traitsISE_E10value_typeET2_T3_PNSF_ISK_E10value_typeET4_T5_PSP_SQ_PNS1_23onesweep_lookback_stateEbbT6_jjT7_P12ihipStream_tbENKUlT_T0_SE_SJ_E_clIS8_S8_S9_S9_EEDaSX_SY_SE_SJ_EUlSX_E_NS1_11comp_targetILNS1_3genE8ELNS1_11target_archE1030ELNS1_3gpuE2ELNS1_3repE0EEENS1_47radix_sort_onesweep_sort_config_static_selectorELNS0_4arch9wavefront6targetE1EEEvSE_
                                        ; -- End function
	.section	.AMDGPU.csdata,"",@progbits
; Kernel info:
; codeLenInByte = 0
; NumSgprs: 4
; NumVgprs: 0
; NumAgprs: 0
; TotalNumVgprs: 0
; ScratchSize: 0
; MemoryBound: 0
; FloatMode: 240
; IeeeMode: 1
; LDSByteSize: 0 bytes/workgroup (compile time only)
; SGPRBlocks: 0
; VGPRBlocks: 0
; NumSGPRsForWavesPerEU: 4
; NumVGPRsForWavesPerEU: 1
; AccumOffset: 4
; Occupancy: 8
; WaveLimiterHint : 0
; COMPUTE_PGM_RSRC2:SCRATCH_EN: 0
; COMPUTE_PGM_RSRC2:USER_SGPR: 6
; COMPUTE_PGM_RSRC2:TRAP_HANDLER: 0
; COMPUTE_PGM_RSRC2:TGID_X_EN: 1
; COMPUTE_PGM_RSRC2:TGID_Y_EN: 0
; COMPUTE_PGM_RSRC2:TGID_Z_EN: 0
; COMPUTE_PGM_RSRC2:TIDIG_COMP_CNT: 0
; COMPUTE_PGM_RSRC3_GFX90A:ACCUM_OFFSET: 0
; COMPUTE_PGM_RSRC3_GFX90A:TG_SPLIT: 0
	.section	.text._ZN7rocprim17ROCPRIM_400000_NS6detail17trampoline_kernelINS0_14default_configENS1_35radix_sort_onesweep_config_selectorIcNS0_10empty_typeEEEZZNS1_29radix_sort_onesweep_iterationIS3_Lb1EPcS8_PS5_S9_mNS0_19identity_decomposerENS1_16block_id_wrapperIjLb0EEEEE10hipError_tT1_PNSt15iterator_traitsISE_E10value_typeET2_T3_PNSF_ISK_E10value_typeET4_T5_PSP_SQ_PNS1_23onesweep_lookback_stateEbbT6_jjT7_P12ihipStream_tbENKUlT_T0_SE_SJ_E_clIS8_S8_S9_S9_EEDaSX_SY_SE_SJ_EUlSX_E_NS1_11comp_targetILNS1_3genE0ELNS1_11target_archE4294967295ELNS1_3gpuE0ELNS1_3repE0EEENS1_47radix_sort_onesweep_sort_config_static_selectorELNS0_4arch9wavefront6targetE1EEEvSE_,"axG",@progbits,_ZN7rocprim17ROCPRIM_400000_NS6detail17trampoline_kernelINS0_14default_configENS1_35radix_sort_onesweep_config_selectorIcNS0_10empty_typeEEEZZNS1_29radix_sort_onesweep_iterationIS3_Lb1EPcS8_PS5_S9_mNS0_19identity_decomposerENS1_16block_id_wrapperIjLb0EEEEE10hipError_tT1_PNSt15iterator_traitsISE_E10value_typeET2_T3_PNSF_ISK_E10value_typeET4_T5_PSP_SQ_PNS1_23onesweep_lookback_stateEbbT6_jjT7_P12ihipStream_tbENKUlT_T0_SE_SJ_E_clIS8_S8_S9_S9_EEDaSX_SY_SE_SJ_EUlSX_E_NS1_11comp_targetILNS1_3genE0ELNS1_11target_archE4294967295ELNS1_3gpuE0ELNS1_3repE0EEENS1_47radix_sort_onesweep_sort_config_static_selectorELNS0_4arch9wavefront6targetE1EEEvSE_,comdat
	.protected	_ZN7rocprim17ROCPRIM_400000_NS6detail17trampoline_kernelINS0_14default_configENS1_35radix_sort_onesweep_config_selectorIcNS0_10empty_typeEEEZZNS1_29radix_sort_onesweep_iterationIS3_Lb1EPcS8_PS5_S9_mNS0_19identity_decomposerENS1_16block_id_wrapperIjLb0EEEEE10hipError_tT1_PNSt15iterator_traitsISE_E10value_typeET2_T3_PNSF_ISK_E10value_typeET4_T5_PSP_SQ_PNS1_23onesweep_lookback_stateEbbT6_jjT7_P12ihipStream_tbENKUlT_T0_SE_SJ_E_clIS8_S8_S9_S9_EEDaSX_SY_SE_SJ_EUlSX_E_NS1_11comp_targetILNS1_3genE0ELNS1_11target_archE4294967295ELNS1_3gpuE0ELNS1_3repE0EEENS1_47radix_sort_onesweep_sort_config_static_selectorELNS0_4arch9wavefront6targetE1EEEvSE_ ; -- Begin function _ZN7rocprim17ROCPRIM_400000_NS6detail17trampoline_kernelINS0_14default_configENS1_35radix_sort_onesweep_config_selectorIcNS0_10empty_typeEEEZZNS1_29radix_sort_onesweep_iterationIS3_Lb1EPcS8_PS5_S9_mNS0_19identity_decomposerENS1_16block_id_wrapperIjLb0EEEEE10hipError_tT1_PNSt15iterator_traitsISE_E10value_typeET2_T3_PNSF_ISK_E10value_typeET4_T5_PSP_SQ_PNS1_23onesweep_lookback_stateEbbT6_jjT7_P12ihipStream_tbENKUlT_T0_SE_SJ_E_clIS8_S8_S9_S9_EEDaSX_SY_SE_SJ_EUlSX_E_NS1_11comp_targetILNS1_3genE0ELNS1_11target_archE4294967295ELNS1_3gpuE0ELNS1_3repE0EEENS1_47radix_sort_onesweep_sort_config_static_selectorELNS0_4arch9wavefront6targetE1EEEvSE_
	.globl	_ZN7rocprim17ROCPRIM_400000_NS6detail17trampoline_kernelINS0_14default_configENS1_35radix_sort_onesweep_config_selectorIcNS0_10empty_typeEEEZZNS1_29radix_sort_onesweep_iterationIS3_Lb1EPcS8_PS5_S9_mNS0_19identity_decomposerENS1_16block_id_wrapperIjLb0EEEEE10hipError_tT1_PNSt15iterator_traitsISE_E10value_typeET2_T3_PNSF_ISK_E10value_typeET4_T5_PSP_SQ_PNS1_23onesweep_lookback_stateEbbT6_jjT7_P12ihipStream_tbENKUlT_T0_SE_SJ_E_clIS8_S8_S9_S9_EEDaSX_SY_SE_SJ_EUlSX_E_NS1_11comp_targetILNS1_3genE0ELNS1_11target_archE4294967295ELNS1_3gpuE0ELNS1_3repE0EEENS1_47radix_sort_onesweep_sort_config_static_selectorELNS0_4arch9wavefront6targetE1EEEvSE_
	.p2align	8
	.type	_ZN7rocprim17ROCPRIM_400000_NS6detail17trampoline_kernelINS0_14default_configENS1_35radix_sort_onesweep_config_selectorIcNS0_10empty_typeEEEZZNS1_29radix_sort_onesweep_iterationIS3_Lb1EPcS8_PS5_S9_mNS0_19identity_decomposerENS1_16block_id_wrapperIjLb0EEEEE10hipError_tT1_PNSt15iterator_traitsISE_E10value_typeET2_T3_PNSF_ISK_E10value_typeET4_T5_PSP_SQ_PNS1_23onesweep_lookback_stateEbbT6_jjT7_P12ihipStream_tbENKUlT_T0_SE_SJ_E_clIS8_S8_S9_S9_EEDaSX_SY_SE_SJ_EUlSX_E_NS1_11comp_targetILNS1_3genE0ELNS1_11target_archE4294967295ELNS1_3gpuE0ELNS1_3repE0EEENS1_47radix_sort_onesweep_sort_config_static_selectorELNS0_4arch9wavefront6targetE1EEEvSE_,@function
_ZN7rocprim17ROCPRIM_400000_NS6detail17trampoline_kernelINS0_14default_configENS1_35radix_sort_onesweep_config_selectorIcNS0_10empty_typeEEEZZNS1_29radix_sort_onesweep_iterationIS3_Lb1EPcS8_PS5_S9_mNS0_19identity_decomposerENS1_16block_id_wrapperIjLb0EEEEE10hipError_tT1_PNSt15iterator_traitsISE_E10value_typeET2_T3_PNSF_ISK_E10value_typeET4_T5_PSP_SQ_PNS1_23onesweep_lookback_stateEbbT6_jjT7_P12ihipStream_tbENKUlT_T0_SE_SJ_E_clIS8_S8_S9_S9_EEDaSX_SY_SE_SJ_EUlSX_E_NS1_11comp_targetILNS1_3genE0ELNS1_11target_archE4294967295ELNS1_3gpuE0ELNS1_3repE0EEENS1_47radix_sort_onesweep_sort_config_static_selectorELNS0_4arch9wavefront6targetE1EEEvSE_: ; @_ZN7rocprim17ROCPRIM_400000_NS6detail17trampoline_kernelINS0_14default_configENS1_35radix_sort_onesweep_config_selectorIcNS0_10empty_typeEEEZZNS1_29radix_sort_onesweep_iterationIS3_Lb1EPcS8_PS5_S9_mNS0_19identity_decomposerENS1_16block_id_wrapperIjLb0EEEEE10hipError_tT1_PNSt15iterator_traitsISE_E10value_typeET2_T3_PNSF_ISK_E10value_typeET4_T5_PSP_SQ_PNS1_23onesweep_lookback_stateEbbT6_jjT7_P12ihipStream_tbENKUlT_T0_SE_SJ_E_clIS8_S8_S9_S9_EEDaSX_SY_SE_SJ_EUlSX_E_NS1_11comp_targetILNS1_3genE0ELNS1_11target_archE4294967295ELNS1_3gpuE0ELNS1_3repE0EEENS1_47radix_sort_onesweep_sort_config_static_selectorELNS0_4arch9wavefront6targetE1EEEvSE_
; %bb.0:
	.section	.rodata,"a",@progbits
	.p2align	6, 0x0
	.amdhsa_kernel _ZN7rocprim17ROCPRIM_400000_NS6detail17trampoline_kernelINS0_14default_configENS1_35radix_sort_onesweep_config_selectorIcNS0_10empty_typeEEEZZNS1_29radix_sort_onesweep_iterationIS3_Lb1EPcS8_PS5_S9_mNS0_19identity_decomposerENS1_16block_id_wrapperIjLb0EEEEE10hipError_tT1_PNSt15iterator_traitsISE_E10value_typeET2_T3_PNSF_ISK_E10value_typeET4_T5_PSP_SQ_PNS1_23onesweep_lookback_stateEbbT6_jjT7_P12ihipStream_tbENKUlT_T0_SE_SJ_E_clIS8_S8_S9_S9_EEDaSX_SY_SE_SJ_EUlSX_E_NS1_11comp_targetILNS1_3genE0ELNS1_11target_archE4294967295ELNS1_3gpuE0ELNS1_3repE0EEENS1_47radix_sort_onesweep_sort_config_static_selectorELNS0_4arch9wavefront6targetE1EEEvSE_
		.amdhsa_group_segment_fixed_size 0
		.amdhsa_private_segment_fixed_size 0
		.amdhsa_kernarg_size 88
		.amdhsa_user_sgpr_count 6
		.amdhsa_user_sgpr_private_segment_buffer 1
		.amdhsa_user_sgpr_dispatch_ptr 0
		.amdhsa_user_sgpr_queue_ptr 0
		.amdhsa_user_sgpr_kernarg_segment_ptr 1
		.amdhsa_user_sgpr_dispatch_id 0
		.amdhsa_user_sgpr_flat_scratch_init 0
		.amdhsa_user_sgpr_kernarg_preload_length 0
		.amdhsa_user_sgpr_kernarg_preload_offset 0
		.amdhsa_user_sgpr_private_segment_size 0
		.amdhsa_uses_dynamic_stack 0
		.amdhsa_system_sgpr_private_segment_wavefront_offset 0
		.amdhsa_system_sgpr_workgroup_id_x 1
		.amdhsa_system_sgpr_workgroup_id_y 0
		.amdhsa_system_sgpr_workgroup_id_z 0
		.amdhsa_system_sgpr_workgroup_info 0
		.amdhsa_system_vgpr_workitem_id 0
		.amdhsa_next_free_vgpr 1
		.amdhsa_next_free_sgpr 0
		.amdhsa_accum_offset 4
		.amdhsa_reserve_vcc 0
		.amdhsa_reserve_flat_scratch 0
		.amdhsa_float_round_mode_32 0
		.amdhsa_float_round_mode_16_64 0
		.amdhsa_float_denorm_mode_32 3
		.amdhsa_float_denorm_mode_16_64 3
		.amdhsa_dx10_clamp 1
		.amdhsa_ieee_mode 1
		.amdhsa_fp16_overflow 0
		.amdhsa_tg_split 0
		.amdhsa_exception_fp_ieee_invalid_op 0
		.amdhsa_exception_fp_denorm_src 0
		.amdhsa_exception_fp_ieee_div_zero 0
		.amdhsa_exception_fp_ieee_overflow 0
		.amdhsa_exception_fp_ieee_underflow 0
		.amdhsa_exception_fp_ieee_inexact 0
		.amdhsa_exception_int_div_zero 0
	.end_amdhsa_kernel
	.section	.text._ZN7rocprim17ROCPRIM_400000_NS6detail17trampoline_kernelINS0_14default_configENS1_35radix_sort_onesweep_config_selectorIcNS0_10empty_typeEEEZZNS1_29radix_sort_onesweep_iterationIS3_Lb1EPcS8_PS5_S9_mNS0_19identity_decomposerENS1_16block_id_wrapperIjLb0EEEEE10hipError_tT1_PNSt15iterator_traitsISE_E10value_typeET2_T3_PNSF_ISK_E10value_typeET4_T5_PSP_SQ_PNS1_23onesweep_lookback_stateEbbT6_jjT7_P12ihipStream_tbENKUlT_T0_SE_SJ_E_clIS8_S8_S9_S9_EEDaSX_SY_SE_SJ_EUlSX_E_NS1_11comp_targetILNS1_3genE0ELNS1_11target_archE4294967295ELNS1_3gpuE0ELNS1_3repE0EEENS1_47radix_sort_onesweep_sort_config_static_selectorELNS0_4arch9wavefront6targetE1EEEvSE_,"axG",@progbits,_ZN7rocprim17ROCPRIM_400000_NS6detail17trampoline_kernelINS0_14default_configENS1_35radix_sort_onesweep_config_selectorIcNS0_10empty_typeEEEZZNS1_29radix_sort_onesweep_iterationIS3_Lb1EPcS8_PS5_S9_mNS0_19identity_decomposerENS1_16block_id_wrapperIjLb0EEEEE10hipError_tT1_PNSt15iterator_traitsISE_E10value_typeET2_T3_PNSF_ISK_E10value_typeET4_T5_PSP_SQ_PNS1_23onesweep_lookback_stateEbbT6_jjT7_P12ihipStream_tbENKUlT_T0_SE_SJ_E_clIS8_S8_S9_S9_EEDaSX_SY_SE_SJ_EUlSX_E_NS1_11comp_targetILNS1_3genE0ELNS1_11target_archE4294967295ELNS1_3gpuE0ELNS1_3repE0EEENS1_47radix_sort_onesweep_sort_config_static_selectorELNS0_4arch9wavefront6targetE1EEEvSE_,comdat
.Lfunc_end1556:
	.size	_ZN7rocprim17ROCPRIM_400000_NS6detail17trampoline_kernelINS0_14default_configENS1_35radix_sort_onesweep_config_selectorIcNS0_10empty_typeEEEZZNS1_29radix_sort_onesweep_iterationIS3_Lb1EPcS8_PS5_S9_mNS0_19identity_decomposerENS1_16block_id_wrapperIjLb0EEEEE10hipError_tT1_PNSt15iterator_traitsISE_E10value_typeET2_T3_PNSF_ISK_E10value_typeET4_T5_PSP_SQ_PNS1_23onesweep_lookback_stateEbbT6_jjT7_P12ihipStream_tbENKUlT_T0_SE_SJ_E_clIS8_S8_S9_S9_EEDaSX_SY_SE_SJ_EUlSX_E_NS1_11comp_targetILNS1_3genE0ELNS1_11target_archE4294967295ELNS1_3gpuE0ELNS1_3repE0EEENS1_47radix_sort_onesweep_sort_config_static_selectorELNS0_4arch9wavefront6targetE1EEEvSE_, .Lfunc_end1556-_ZN7rocprim17ROCPRIM_400000_NS6detail17trampoline_kernelINS0_14default_configENS1_35radix_sort_onesweep_config_selectorIcNS0_10empty_typeEEEZZNS1_29radix_sort_onesweep_iterationIS3_Lb1EPcS8_PS5_S9_mNS0_19identity_decomposerENS1_16block_id_wrapperIjLb0EEEEE10hipError_tT1_PNSt15iterator_traitsISE_E10value_typeET2_T3_PNSF_ISK_E10value_typeET4_T5_PSP_SQ_PNS1_23onesweep_lookback_stateEbbT6_jjT7_P12ihipStream_tbENKUlT_T0_SE_SJ_E_clIS8_S8_S9_S9_EEDaSX_SY_SE_SJ_EUlSX_E_NS1_11comp_targetILNS1_3genE0ELNS1_11target_archE4294967295ELNS1_3gpuE0ELNS1_3repE0EEENS1_47radix_sort_onesweep_sort_config_static_selectorELNS0_4arch9wavefront6targetE1EEEvSE_
                                        ; -- End function
	.section	.AMDGPU.csdata,"",@progbits
; Kernel info:
; codeLenInByte = 0
; NumSgprs: 4
; NumVgprs: 0
; NumAgprs: 0
; TotalNumVgprs: 0
; ScratchSize: 0
; MemoryBound: 0
; FloatMode: 240
; IeeeMode: 1
; LDSByteSize: 0 bytes/workgroup (compile time only)
; SGPRBlocks: 0
; VGPRBlocks: 0
; NumSGPRsForWavesPerEU: 4
; NumVGPRsForWavesPerEU: 1
; AccumOffset: 4
; Occupancy: 8
; WaveLimiterHint : 0
; COMPUTE_PGM_RSRC2:SCRATCH_EN: 0
; COMPUTE_PGM_RSRC2:USER_SGPR: 6
; COMPUTE_PGM_RSRC2:TRAP_HANDLER: 0
; COMPUTE_PGM_RSRC2:TGID_X_EN: 1
; COMPUTE_PGM_RSRC2:TGID_Y_EN: 0
; COMPUTE_PGM_RSRC2:TGID_Z_EN: 0
; COMPUTE_PGM_RSRC2:TIDIG_COMP_CNT: 0
; COMPUTE_PGM_RSRC3_GFX90A:ACCUM_OFFSET: 0
; COMPUTE_PGM_RSRC3_GFX90A:TG_SPLIT: 0
	.section	.text._ZN7rocprim17ROCPRIM_400000_NS6detail17trampoline_kernelINS0_14default_configENS1_35radix_sort_onesweep_config_selectorIcNS0_10empty_typeEEEZZNS1_29radix_sort_onesweep_iterationIS3_Lb1EPcS8_PS5_S9_mNS0_19identity_decomposerENS1_16block_id_wrapperIjLb0EEEEE10hipError_tT1_PNSt15iterator_traitsISE_E10value_typeET2_T3_PNSF_ISK_E10value_typeET4_T5_PSP_SQ_PNS1_23onesweep_lookback_stateEbbT6_jjT7_P12ihipStream_tbENKUlT_T0_SE_SJ_E_clIS8_S8_S9_S9_EEDaSX_SY_SE_SJ_EUlSX_E_NS1_11comp_targetILNS1_3genE6ELNS1_11target_archE950ELNS1_3gpuE13ELNS1_3repE0EEENS1_47radix_sort_onesweep_sort_config_static_selectorELNS0_4arch9wavefront6targetE1EEEvSE_,"axG",@progbits,_ZN7rocprim17ROCPRIM_400000_NS6detail17trampoline_kernelINS0_14default_configENS1_35radix_sort_onesweep_config_selectorIcNS0_10empty_typeEEEZZNS1_29radix_sort_onesweep_iterationIS3_Lb1EPcS8_PS5_S9_mNS0_19identity_decomposerENS1_16block_id_wrapperIjLb0EEEEE10hipError_tT1_PNSt15iterator_traitsISE_E10value_typeET2_T3_PNSF_ISK_E10value_typeET4_T5_PSP_SQ_PNS1_23onesweep_lookback_stateEbbT6_jjT7_P12ihipStream_tbENKUlT_T0_SE_SJ_E_clIS8_S8_S9_S9_EEDaSX_SY_SE_SJ_EUlSX_E_NS1_11comp_targetILNS1_3genE6ELNS1_11target_archE950ELNS1_3gpuE13ELNS1_3repE0EEENS1_47radix_sort_onesweep_sort_config_static_selectorELNS0_4arch9wavefront6targetE1EEEvSE_,comdat
	.protected	_ZN7rocprim17ROCPRIM_400000_NS6detail17trampoline_kernelINS0_14default_configENS1_35radix_sort_onesweep_config_selectorIcNS0_10empty_typeEEEZZNS1_29radix_sort_onesweep_iterationIS3_Lb1EPcS8_PS5_S9_mNS0_19identity_decomposerENS1_16block_id_wrapperIjLb0EEEEE10hipError_tT1_PNSt15iterator_traitsISE_E10value_typeET2_T3_PNSF_ISK_E10value_typeET4_T5_PSP_SQ_PNS1_23onesweep_lookback_stateEbbT6_jjT7_P12ihipStream_tbENKUlT_T0_SE_SJ_E_clIS8_S8_S9_S9_EEDaSX_SY_SE_SJ_EUlSX_E_NS1_11comp_targetILNS1_3genE6ELNS1_11target_archE950ELNS1_3gpuE13ELNS1_3repE0EEENS1_47radix_sort_onesweep_sort_config_static_selectorELNS0_4arch9wavefront6targetE1EEEvSE_ ; -- Begin function _ZN7rocprim17ROCPRIM_400000_NS6detail17trampoline_kernelINS0_14default_configENS1_35radix_sort_onesweep_config_selectorIcNS0_10empty_typeEEEZZNS1_29radix_sort_onesweep_iterationIS3_Lb1EPcS8_PS5_S9_mNS0_19identity_decomposerENS1_16block_id_wrapperIjLb0EEEEE10hipError_tT1_PNSt15iterator_traitsISE_E10value_typeET2_T3_PNSF_ISK_E10value_typeET4_T5_PSP_SQ_PNS1_23onesweep_lookback_stateEbbT6_jjT7_P12ihipStream_tbENKUlT_T0_SE_SJ_E_clIS8_S8_S9_S9_EEDaSX_SY_SE_SJ_EUlSX_E_NS1_11comp_targetILNS1_3genE6ELNS1_11target_archE950ELNS1_3gpuE13ELNS1_3repE0EEENS1_47radix_sort_onesweep_sort_config_static_selectorELNS0_4arch9wavefront6targetE1EEEvSE_
	.globl	_ZN7rocprim17ROCPRIM_400000_NS6detail17trampoline_kernelINS0_14default_configENS1_35radix_sort_onesweep_config_selectorIcNS0_10empty_typeEEEZZNS1_29radix_sort_onesweep_iterationIS3_Lb1EPcS8_PS5_S9_mNS0_19identity_decomposerENS1_16block_id_wrapperIjLb0EEEEE10hipError_tT1_PNSt15iterator_traitsISE_E10value_typeET2_T3_PNSF_ISK_E10value_typeET4_T5_PSP_SQ_PNS1_23onesweep_lookback_stateEbbT6_jjT7_P12ihipStream_tbENKUlT_T0_SE_SJ_E_clIS8_S8_S9_S9_EEDaSX_SY_SE_SJ_EUlSX_E_NS1_11comp_targetILNS1_3genE6ELNS1_11target_archE950ELNS1_3gpuE13ELNS1_3repE0EEENS1_47radix_sort_onesweep_sort_config_static_selectorELNS0_4arch9wavefront6targetE1EEEvSE_
	.p2align	8
	.type	_ZN7rocprim17ROCPRIM_400000_NS6detail17trampoline_kernelINS0_14default_configENS1_35radix_sort_onesweep_config_selectorIcNS0_10empty_typeEEEZZNS1_29radix_sort_onesweep_iterationIS3_Lb1EPcS8_PS5_S9_mNS0_19identity_decomposerENS1_16block_id_wrapperIjLb0EEEEE10hipError_tT1_PNSt15iterator_traitsISE_E10value_typeET2_T3_PNSF_ISK_E10value_typeET4_T5_PSP_SQ_PNS1_23onesweep_lookback_stateEbbT6_jjT7_P12ihipStream_tbENKUlT_T0_SE_SJ_E_clIS8_S8_S9_S9_EEDaSX_SY_SE_SJ_EUlSX_E_NS1_11comp_targetILNS1_3genE6ELNS1_11target_archE950ELNS1_3gpuE13ELNS1_3repE0EEENS1_47radix_sort_onesweep_sort_config_static_selectorELNS0_4arch9wavefront6targetE1EEEvSE_,@function
_ZN7rocprim17ROCPRIM_400000_NS6detail17trampoline_kernelINS0_14default_configENS1_35radix_sort_onesweep_config_selectorIcNS0_10empty_typeEEEZZNS1_29radix_sort_onesweep_iterationIS3_Lb1EPcS8_PS5_S9_mNS0_19identity_decomposerENS1_16block_id_wrapperIjLb0EEEEE10hipError_tT1_PNSt15iterator_traitsISE_E10value_typeET2_T3_PNSF_ISK_E10value_typeET4_T5_PSP_SQ_PNS1_23onesweep_lookback_stateEbbT6_jjT7_P12ihipStream_tbENKUlT_T0_SE_SJ_E_clIS8_S8_S9_S9_EEDaSX_SY_SE_SJ_EUlSX_E_NS1_11comp_targetILNS1_3genE6ELNS1_11target_archE950ELNS1_3gpuE13ELNS1_3repE0EEENS1_47radix_sort_onesweep_sort_config_static_selectorELNS0_4arch9wavefront6targetE1EEEvSE_: ; @_ZN7rocprim17ROCPRIM_400000_NS6detail17trampoline_kernelINS0_14default_configENS1_35radix_sort_onesweep_config_selectorIcNS0_10empty_typeEEEZZNS1_29radix_sort_onesweep_iterationIS3_Lb1EPcS8_PS5_S9_mNS0_19identity_decomposerENS1_16block_id_wrapperIjLb0EEEEE10hipError_tT1_PNSt15iterator_traitsISE_E10value_typeET2_T3_PNSF_ISK_E10value_typeET4_T5_PSP_SQ_PNS1_23onesweep_lookback_stateEbbT6_jjT7_P12ihipStream_tbENKUlT_T0_SE_SJ_E_clIS8_S8_S9_S9_EEDaSX_SY_SE_SJ_EUlSX_E_NS1_11comp_targetILNS1_3genE6ELNS1_11target_archE950ELNS1_3gpuE13ELNS1_3repE0EEENS1_47radix_sort_onesweep_sort_config_static_selectorELNS0_4arch9wavefront6targetE1EEEvSE_
; %bb.0:
	.section	.rodata,"a",@progbits
	.p2align	6, 0x0
	.amdhsa_kernel _ZN7rocprim17ROCPRIM_400000_NS6detail17trampoline_kernelINS0_14default_configENS1_35radix_sort_onesweep_config_selectorIcNS0_10empty_typeEEEZZNS1_29radix_sort_onesweep_iterationIS3_Lb1EPcS8_PS5_S9_mNS0_19identity_decomposerENS1_16block_id_wrapperIjLb0EEEEE10hipError_tT1_PNSt15iterator_traitsISE_E10value_typeET2_T3_PNSF_ISK_E10value_typeET4_T5_PSP_SQ_PNS1_23onesweep_lookback_stateEbbT6_jjT7_P12ihipStream_tbENKUlT_T0_SE_SJ_E_clIS8_S8_S9_S9_EEDaSX_SY_SE_SJ_EUlSX_E_NS1_11comp_targetILNS1_3genE6ELNS1_11target_archE950ELNS1_3gpuE13ELNS1_3repE0EEENS1_47radix_sort_onesweep_sort_config_static_selectorELNS0_4arch9wavefront6targetE1EEEvSE_
		.amdhsa_group_segment_fixed_size 0
		.amdhsa_private_segment_fixed_size 0
		.amdhsa_kernarg_size 88
		.amdhsa_user_sgpr_count 6
		.amdhsa_user_sgpr_private_segment_buffer 1
		.amdhsa_user_sgpr_dispatch_ptr 0
		.amdhsa_user_sgpr_queue_ptr 0
		.amdhsa_user_sgpr_kernarg_segment_ptr 1
		.amdhsa_user_sgpr_dispatch_id 0
		.amdhsa_user_sgpr_flat_scratch_init 0
		.amdhsa_user_sgpr_kernarg_preload_length 0
		.amdhsa_user_sgpr_kernarg_preload_offset 0
		.amdhsa_user_sgpr_private_segment_size 0
		.amdhsa_uses_dynamic_stack 0
		.amdhsa_system_sgpr_private_segment_wavefront_offset 0
		.amdhsa_system_sgpr_workgroup_id_x 1
		.amdhsa_system_sgpr_workgroup_id_y 0
		.amdhsa_system_sgpr_workgroup_id_z 0
		.amdhsa_system_sgpr_workgroup_info 0
		.amdhsa_system_vgpr_workitem_id 0
		.amdhsa_next_free_vgpr 1
		.amdhsa_next_free_sgpr 0
		.amdhsa_accum_offset 4
		.amdhsa_reserve_vcc 0
		.amdhsa_reserve_flat_scratch 0
		.amdhsa_float_round_mode_32 0
		.amdhsa_float_round_mode_16_64 0
		.amdhsa_float_denorm_mode_32 3
		.amdhsa_float_denorm_mode_16_64 3
		.amdhsa_dx10_clamp 1
		.amdhsa_ieee_mode 1
		.amdhsa_fp16_overflow 0
		.amdhsa_tg_split 0
		.amdhsa_exception_fp_ieee_invalid_op 0
		.amdhsa_exception_fp_denorm_src 0
		.amdhsa_exception_fp_ieee_div_zero 0
		.amdhsa_exception_fp_ieee_overflow 0
		.amdhsa_exception_fp_ieee_underflow 0
		.amdhsa_exception_fp_ieee_inexact 0
		.amdhsa_exception_int_div_zero 0
	.end_amdhsa_kernel
	.section	.text._ZN7rocprim17ROCPRIM_400000_NS6detail17trampoline_kernelINS0_14default_configENS1_35radix_sort_onesweep_config_selectorIcNS0_10empty_typeEEEZZNS1_29radix_sort_onesweep_iterationIS3_Lb1EPcS8_PS5_S9_mNS0_19identity_decomposerENS1_16block_id_wrapperIjLb0EEEEE10hipError_tT1_PNSt15iterator_traitsISE_E10value_typeET2_T3_PNSF_ISK_E10value_typeET4_T5_PSP_SQ_PNS1_23onesweep_lookback_stateEbbT6_jjT7_P12ihipStream_tbENKUlT_T0_SE_SJ_E_clIS8_S8_S9_S9_EEDaSX_SY_SE_SJ_EUlSX_E_NS1_11comp_targetILNS1_3genE6ELNS1_11target_archE950ELNS1_3gpuE13ELNS1_3repE0EEENS1_47radix_sort_onesweep_sort_config_static_selectorELNS0_4arch9wavefront6targetE1EEEvSE_,"axG",@progbits,_ZN7rocprim17ROCPRIM_400000_NS6detail17trampoline_kernelINS0_14default_configENS1_35radix_sort_onesweep_config_selectorIcNS0_10empty_typeEEEZZNS1_29radix_sort_onesweep_iterationIS3_Lb1EPcS8_PS5_S9_mNS0_19identity_decomposerENS1_16block_id_wrapperIjLb0EEEEE10hipError_tT1_PNSt15iterator_traitsISE_E10value_typeET2_T3_PNSF_ISK_E10value_typeET4_T5_PSP_SQ_PNS1_23onesweep_lookback_stateEbbT6_jjT7_P12ihipStream_tbENKUlT_T0_SE_SJ_E_clIS8_S8_S9_S9_EEDaSX_SY_SE_SJ_EUlSX_E_NS1_11comp_targetILNS1_3genE6ELNS1_11target_archE950ELNS1_3gpuE13ELNS1_3repE0EEENS1_47radix_sort_onesweep_sort_config_static_selectorELNS0_4arch9wavefront6targetE1EEEvSE_,comdat
.Lfunc_end1557:
	.size	_ZN7rocprim17ROCPRIM_400000_NS6detail17trampoline_kernelINS0_14default_configENS1_35radix_sort_onesweep_config_selectorIcNS0_10empty_typeEEEZZNS1_29radix_sort_onesweep_iterationIS3_Lb1EPcS8_PS5_S9_mNS0_19identity_decomposerENS1_16block_id_wrapperIjLb0EEEEE10hipError_tT1_PNSt15iterator_traitsISE_E10value_typeET2_T3_PNSF_ISK_E10value_typeET4_T5_PSP_SQ_PNS1_23onesweep_lookback_stateEbbT6_jjT7_P12ihipStream_tbENKUlT_T0_SE_SJ_E_clIS8_S8_S9_S9_EEDaSX_SY_SE_SJ_EUlSX_E_NS1_11comp_targetILNS1_3genE6ELNS1_11target_archE950ELNS1_3gpuE13ELNS1_3repE0EEENS1_47radix_sort_onesweep_sort_config_static_selectorELNS0_4arch9wavefront6targetE1EEEvSE_, .Lfunc_end1557-_ZN7rocprim17ROCPRIM_400000_NS6detail17trampoline_kernelINS0_14default_configENS1_35radix_sort_onesweep_config_selectorIcNS0_10empty_typeEEEZZNS1_29radix_sort_onesweep_iterationIS3_Lb1EPcS8_PS5_S9_mNS0_19identity_decomposerENS1_16block_id_wrapperIjLb0EEEEE10hipError_tT1_PNSt15iterator_traitsISE_E10value_typeET2_T3_PNSF_ISK_E10value_typeET4_T5_PSP_SQ_PNS1_23onesweep_lookback_stateEbbT6_jjT7_P12ihipStream_tbENKUlT_T0_SE_SJ_E_clIS8_S8_S9_S9_EEDaSX_SY_SE_SJ_EUlSX_E_NS1_11comp_targetILNS1_3genE6ELNS1_11target_archE950ELNS1_3gpuE13ELNS1_3repE0EEENS1_47radix_sort_onesweep_sort_config_static_selectorELNS0_4arch9wavefront6targetE1EEEvSE_
                                        ; -- End function
	.section	.AMDGPU.csdata,"",@progbits
; Kernel info:
; codeLenInByte = 0
; NumSgprs: 4
; NumVgprs: 0
; NumAgprs: 0
; TotalNumVgprs: 0
; ScratchSize: 0
; MemoryBound: 0
; FloatMode: 240
; IeeeMode: 1
; LDSByteSize: 0 bytes/workgroup (compile time only)
; SGPRBlocks: 0
; VGPRBlocks: 0
; NumSGPRsForWavesPerEU: 4
; NumVGPRsForWavesPerEU: 1
; AccumOffset: 4
; Occupancy: 8
; WaveLimiterHint : 0
; COMPUTE_PGM_RSRC2:SCRATCH_EN: 0
; COMPUTE_PGM_RSRC2:USER_SGPR: 6
; COMPUTE_PGM_RSRC2:TRAP_HANDLER: 0
; COMPUTE_PGM_RSRC2:TGID_X_EN: 1
; COMPUTE_PGM_RSRC2:TGID_Y_EN: 0
; COMPUTE_PGM_RSRC2:TGID_Z_EN: 0
; COMPUTE_PGM_RSRC2:TIDIG_COMP_CNT: 0
; COMPUTE_PGM_RSRC3_GFX90A:ACCUM_OFFSET: 0
; COMPUTE_PGM_RSRC3_GFX90A:TG_SPLIT: 0
	.section	.text._ZN7rocprim17ROCPRIM_400000_NS6detail17trampoline_kernelINS0_14default_configENS1_35radix_sort_onesweep_config_selectorIcNS0_10empty_typeEEEZZNS1_29radix_sort_onesweep_iterationIS3_Lb1EPcS8_PS5_S9_mNS0_19identity_decomposerENS1_16block_id_wrapperIjLb0EEEEE10hipError_tT1_PNSt15iterator_traitsISE_E10value_typeET2_T3_PNSF_ISK_E10value_typeET4_T5_PSP_SQ_PNS1_23onesweep_lookback_stateEbbT6_jjT7_P12ihipStream_tbENKUlT_T0_SE_SJ_E_clIS8_S8_S9_S9_EEDaSX_SY_SE_SJ_EUlSX_E_NS1_11comp_targetILNS1_3genE5ELNS1_11target_archE942ELNS1_3gpuE9ELNS1_3repE0EEENS1_47radix_sort_onesweep_sort_config_static_selectorELNS0_4arch9wavefront6targetE1EEEvSE_,"axG",@progbits,_ZN7rocprim17ROCPRIM_400000_NS6detail17trampoline_kernelINS0_14default_configENS1_35radix_sort_onesweep_config_selectorIcNS0_10empty_typeEEEZZNS1_29radix_sort_onesweep_iterationIS3_Lb1EPcS8_PS5_S9_mNS0_19identity_decomposerENS1_16block_id_wrapperIjLb0EEEEE10hipError_tT1_PNSt15iterator_traitsISE_E10value_typeET2_T3_PNSF_ISK_E10value_typeET4_T5_PSP_SQ_PNS1_23onesweep_lookback_stateEbbT6_jjT7_P12ihipStream_tbENKUlT_T0_SE_SJ_E_clIS8_S8_S9_S9_EEDaSX_SY_SE_SJ_EUlSX_E_NS1_11comp_targetILNS1_3genE5ELNS1_11target_archE942ELNS1_3gpuE9ELNS1_3repE0EEENS1_47radix_sort_onesweep_sort_config_static_selectorELNS0_4arch9wavefront6targetE1EEEvSE_,comdat
	.protected	_ZN7rocprim17ROCPRIM_400000_NS6detail17trampoline_kernelINS0_14default_configENS1_35radix_sort_onesweep_config_selectorIcNS0_10empty_typeEEEZZNS1_29radix_sort_onesweep_iterationIS3_Lb1EPcS8_PS5_S9_mNS0_19identity_decomposerENS1_16block_id_wrapperIjLb0EEEEE10hipError_tT1_PNSt15iterator_traitsISE_E10value_typeET2_T3_PNSF_ISK_E10value_typeET4_T5_PSP_SQ_PNS1_23onesweep_lookback_stateEbbT6_jjT7_P12ihipStream_tbENKUlT_T0_SE_SJ_E_clIS8_S8_S9_S9_EEDaSX_SY_SE_SJ_EUlSX_E_NS1_11comp_targetILNS1_3genE5ELNS1_11target_archE942ELNS1_3gpuE9ELNS1_3repE0EEENS1_47radix_sort_onesweep_sort_config_static_selectorELNS0_4arch9wavefront6targetE1EEEvSE_ ; -- Begin function _ZN7rocprim17ROCPRIM_400000_NS6detail17trampoline_kernelINS0_14default_configENS1_35radix_sort_onesweep_config_selectorIcNS0_10empty_typeEEEZZNS1_29radix_sort_onesweep_iterationIS3_Lb1EPcS8_PS5_S9_mNS0_19identity_decomposerENS1_16block_id_wrapperIjLb0EEEEE10hipError_tT1_PNSt15iterator_traitsISE_E10value_typeET2_T3_PNSF_ISK_E10value_typeET4_T5_PSP_SQ_PNS1_23onesweep_lookback_stateEbbT6_jjT7_P12ihipStream_tbENKUlT_T0_SE_SJ_E_clIS8_S8_S9_S9_EEDaSX_SY_SE_SJ_EUlSX_E_NS1_11comp_targetILNS1_3genE5ELNS1_11target_archE942ELNS1_3gpuE9ELNS1_3repE0EEENS1_47radix_sort_onesweep_sort_config_static_selectorELNS0_4arch9wavefront6targetE1EEEvSE_
	.globl	_ZN7rocprim17ROCPRIM_400000_NS6detail17trampoline_kernelINS0_14default_configENS1_35radix_sort_onesweep_config_selectorIcNS0_10empty_typeEEEZZNS1_29radix_sort_onesweep_iterationIS3_Lb1EPcS8_PS5_S9_mNS0_19identity_decomposerENS1_16block_id_wrapperIjLb0EEEEE10hipError_tT1_PNSt15iterator_traitsISE_E10value_typeET2_T3_PNSF_ISK_E10value_typeET4_T5_PSP_SQ_PNS1_23onesweep_lookback_stateEbbT6_jjT7_P12ihipStream_tbENKUlT_T0_SE_SJ_E_clIS8_S8_S9_S9_EEDaSX_SY_SE_SJ_EUlSX_E_NS1_11comp_targetILNS1_3genE5ELNS1_11target_archE942ELNS1_3gpuE9ELNS1_3repE0EEENS1_47radix_sort_onesweep_sort_config_static_selectorELNS0_4arch9wavefront6targetE1EEEvSE_
	.p2align	8
	.type	_ZN7rocprim17ROCPRIM_400000_NS6detail17trampoline_kernelINS0_14default_configENS1_35radix_sort_onesweep_config_selectorIcNS0_10empty_typeEEEZZNS1_29radix_sort_onesweep_iterationIS3_Lb1EPcS8_PS5_S9_mNS0_19identity_decomposerENS1_16block_id_wrapperIjLb0EEEEE10hipError_tT1_PNSt15iterator_traitsISE_E10value_typeET2_T3_PNSF_ISK_E10value_typeET4_T5_PSP_SQ_PNS1_23onesweep_lookback_stateEbbT6_jjT7_P12ihipStream_tbENKUlT_T0_SE_SJ_E_clIS8_S8_S9_S9_EEDaSX_SY_SE_SJ_EUlSX_E_NS1_11comp_targetILNS1_3genE5ELNS1_11target_archE942ELNS1_3gpuE9ELNS1_3repE0EEENS1_47radix_sort_onesweep_sort_config_static_selectorELNS0_4arch9wavefront6targetE1EEEvSE_,@function
_ZN7rocprim17ROCPRIM_400000_NS6detail17trampoline_kernelINS0_14default_configENS1_35radix_sort_onesweep_config_selectorIcNS0_10empty_typeEEEZZNS1_29radix_sort_onesweep_iterationIS3_Lb1EPcS8_PS5_S9_mNS0_19identity_decomposerENS1_16block_id_wrapperIjLb0EEEEE10hipError_tT1_PNSt15iterator_traitsISE_E10value_typeET2_T3_PNSF_ISK_E10value_typeET4_T5_PSP_SQ_PNS1_23onesweep_lookback_stateEbbT6_jjT7_P12ihipStream_tbENKUlT_T0_SE_SJ_E_clIS8_S8_S9_S9_EEDaSX_SY_SE_SJ_EUlSX_E_NS1_11comp_targetILNS1_3genE5ELNS1_11target_archE942ELNS1_3gpuE9ELNS1_3repE0EEENS1_47radix_sort_onesweep_sort_config_static_selectorELNS0_4arch9wavefront6targetE1EEEvSE_: ; @_ZN7rocprim17ROCPRIM_400000_NS6detail17trampoline_kernelINS0_14default_configENS1_35radix_sort_onesweep_config_selectorIcNS0_10empty_typeEEEZZNS1_29radix_sort_onesweep_iterationIS3_Lb1EPcS8_PS5_S9_mNS0_19identity_decomposerENS1_16block_id_wrapperIjLb0EEEEE10hipError_tT1_PNSt15iterator_traitsISE_E10value_typeET2_T3_PNSF_ISK_E10value_typeET4_T5_PSP_SQ_PNS1_23onesweep_lookback_stateEbbT6_jjT7_P12ihipStream_tbENKUlT_T0_SE_SJ_E_clIS8_S8_S9_S9_EEDaSX_SY_SE_SJ_EUlSX_E_NS1_11comp_targetILNS1_3genE5ELNS1_11target_archE942ELNS1_3gpuE9ELNS1_3repE0EEENS1_47radix_sort_onesweep_sort_config_static_selectorELNS0_4arch9wavefront6targetE1EEEvSE_
; %bb.0:
	.section	.rodata,"a",@progbits
	.p2align	6, 0x0
	.amdhsa_kernel _ZN7rocprim17ROCPRIM_400000_NS6detail17trampoline_kernelINS0_14default_configENS1_35radix_sort_onesweep_config_selectorIcNS0_10empty_typeEEEZZNS1_29radix_sort_onesweep_iterationIS3_Lb1EPcS8_PS5_S9_mNS0_19identity_decomposerENS1_16block_id_wrapperIjLb0EEEEE10hipError_tT1_PNSt15iterator_traitsISE_E10value_typeET2_T3_PNSF_ISK_E10value_typeET4_T5_PSP_SQ_PNS1_23onesweep_lookback_stateEbbT6_jjT7_P12ihipStream_tbENKUlT_T0_SE_SJ_E_clIS8_S8_S9_S9_EEDaSX_SY_SE_SJ_EUlSX_E_NS1_11comp_targetILNS1_3genE5ELNS1_11target_archE942ELNS1_3gpuE9ELNS1_3repE0EEENS1_47radix_sort_onesweep_sort_config_static_selectorELNS0_4arch9wavefront6targetE1EEEvSE_
		.amdhsa_group_segment_fixed_size 0
		.amdhsa_private_segment_fixed_size 0
		.amdhsa_kernarg_size 88
		.amdhsa_user_sgpr_count 6
		.amdhsa_user_sgpr_private_segment_buffer 1
		.amdhsa_user_sgpr_dispatch_ptr 0
		.amdhsa_user_sgpr_queue_ptr 0
		.amdhsa_user_sgpr_kernarg_segment_ptr 1
		.amdhsa_user_sgpr_dispatch_id 0
		.amdhsa_user_sgpr_flat_scratch_init 0
		.amdhsa_user_sgpr_kernarg_preload_length 0
		.amdhsa_user_sgpr_kernarg_preload_offset 0
		.amdhsa_user_sgpr_private_segment_size 0
		.amdhsa_uses_dynamic_stack 0
		.amdhsa_system_sgpr_private_segment_wavefront_offset 0
		.amdhsa_system_sgpr_workgroup_id_x 1
		.amdhsa_system_sgpr_workgroup_id_y 0
		.amdhsa_system_sgpr_workgroup_id_z 0
		.amdhsa_system_sgpr_workgroup_info 0
		.amdhsa_system_vgpr_workitem_id 0
		.amdhsa_next_free_vgpr 1
		.amdhsa_next_free_sgpr 0
		.amdhsa_accum_offset 4
		.amdhsa_reserve_vcc 0
		.amdhsa_reserve_flat_scratch 0
		.amdhsa_float_round_mode_32 0
		.amdhsa_float_round_mode_16_64 0
		.amdhsa_float_denorm_mode_32 3
		.amdhsa_float_denorm_mode_16_64 3
		.amdhsa_dx10_clamp 1
		.amdhsa_ieee_mode 1
		.amdhsa_fp16_overflow 0
		.amdhsa_tg_split 0
		.amdhsa_exception_fp_ieee_invalid_op 0
		.amdhsa_exception_fp_denorm_src 0
		.amdhsa_exception_fp_ieee_div_zero 0
		.amdhsa_exception_fp_ieee_overflow 0
		.amdhsa_exception_fp_ieee_underflow 0
		.amdhsa_exception_fp_ieee_inexact 0
		.amdhsa_exception_int_div_zero 0
	.end_amdhsa_kernel
	.section	.text._ZN7rocprim17ROCPRIM_400000_NS6detail17trampoline_kernelINS0_14default_configENS1_35radix_sort_onesweep_config_selectorIcNS0_10empty_typeEEEZZNS1_29radix_sort_onesweep_iterationIS3_Lb1EPcS8_PS5_S9_mNS0_19identity_decomposerENS1_16block_id_wrapperIjLb0EEEEE10hipError_tT1_PNSt15iterator_traitsISE_E10value_typeET2_T3_PNSF_ISK_E10value_typeET4_T5_PSP_SQ_PNS1_23onesweep_lookback_stateEbbT6_jjT7_P12ihipStream_tbENKUlT_T0_SE_SJ_E_clIS8_S8_S9_S9_EEDaSX_SY_SE_SJ_EUlSX_E_NS1_11comp_targetILNS1_3genE5ELNS1_11target_archE942ELNS1_3gpuE9ELNS1_3repE0EEENS1_47radix_sort_onesweep_sort_config_static_selectorELNS0_4arch9wavefront6targetE1EEEvSE_,"axG",@progbits,_ZN7rocprim17ROCPRIM_400000_NS6detail17trampoline_kernelINS0_14default_configENS1_35radix_sort_onesweep_config_selectorIcNS0_10empty_typeEEEZZNS1_29radix_sort_onesweep_iterationIS3_Lb1EPcS8_PS5_S9_mNS0_19identity_decomposerENS1_16block_id_wrapperIjLb0EEEEE10hipError_tT1_PNSt15iterator_traitsISE_E10value_typeET2_T3_PNSF_ISK_E10value_typeET4_T5_PSP_SQ_PNS1_23onesweep_lookback_stateEbbT6_jjT7_P12ihipStream_tbENKUlT_T0_SE_SJ_E_clIS8_S8_S9_S9_EEDaSX_SY_SE_SJ_EUlSX_E_NS1_11comp_targetILNS1_3genE5ELNS1_11target_archE942ELNS1_3gpuE9ELNS1_3repE0EEENS1_47radix_sort_onesweep_sort_config_static_selectorELNS0_4arch9wavefront6targetE1EEEvSE_,comdat
.Lfunc_end1558:
	.size	_ZN7rocprim17ROCPRIM_400000_NS6detail17trampoline_kernelINS0_14default_configENS1_35radix_sort_onesweep_config_selectorIcNS0_10empty_typeEEEZZNS1_29radix_sort_onesweep_iterationIS3_Lb1EPcS8_PS5_S9_mNS0_19identity_decomposerENS1_16block_id_wrapperIjLb0EEEEE10hipError_tT1_PNSt15iterator_traitsISE_E10value_typeET2_T3_PNSF_ISK_E10value_typeET4_T5_PSP_SQ_PNS1_23onesweep_lookback_stateEbbT6_jjT7_P12ihipStream_tbENKUlT_T0_SE_SJ_E_clIS8_S8_S9_S9_EEDaSX_SY_SE_SJ_EUlSX_E_NS1_11comp_targetILNS1_3genE5ELNS1_11target_archE942ELNS1_3gpuE9ELNS1_3repE0EEENS1_47radix_sort_onesweep_sort_config_static_selectorELNS0_4arch9wavefront6targetE1EEEvSE_, .Lfunc_end1558-_ZN7rocprim17ROCPRIM_400000_NS6detail17trampoline_kernelINS0_14default_configENS1_35radix_sort_onesweep_config_selectorIcNS0_10empty_typeEEEZZNS1_29radix_sort_onesweep_iterationIS3_Lb1EPcS8_PS5_S9_mNS0_19identity_decomposerENS1_16block_id_wrapperIjLb0EEEEE10hipError_tT1_PNSt15iterator_traitsISE_E10value_typeET2_T3_PNSF_ISK_E10value_typeET4_T5_PSP_SQ_PNS1_23onesweep_lookback_stateEbbT6_jjT7_P12ihipStream_tbENKUlT_T0_SE_SJ_E_clIS8_S8_S9_S9_EEDaSX_SY_SE_SJ_EUlSX_E_NS1_11comp_targetILNS1_3genE5ELNS1_11target_archE942ELNS1_3gpuE9ELNS1_3repE0EEENS1_47radix_sort_onesweep_sort_config_static_selectorELNS0_4arch9wavefront6targetE1EEEvSE_
                                        ; -- End function
	.section	.AMDGPU.csdata,"",@progbits
; Kernel info:
; codeLenInByte = 0
; NumSgprs: 4
; NumVgprs: 0
; NumAgprs: 0
; TotalNumVgprs: 0
; ScratchSize: 0
; MemoryBound: 0
; FloatMode: 240
; IeeeMode: 1
; LDSByteSize: 0 bytes/workgroup (compile time only)
; SGPRBlocks: 0
; VGPRBlocks: 0
; NumSGPRsForWavesPerEU: 4
; NumVGPRsForWavesPerEU: 1
; AccumOffset: 4
; Occupancy: 8
; WaveLimiterHint : 0
; COMPUTE_PGM_RSRC2:SCRATCH_EN: 0
; COMPUTE_PGM_RSRC2:USER_SGPR: 6
; COMPUTE_PGM_RSRC2:TRAP_HANDLER: 0
; COMPUTE_PGM_RSRC2:TGID_X_EN: 1
; COMPUTE_PGM_RSRC2:TGID_Y_EN: 0
; COMPUTE_PGM_RSRC2:TGID_Z_EN: 0
; COMPUTE_PGM_RSRC2:TIDIG_COMP_CNT: 0
; COMPUTE_PGM_RSRC3_GFX90A:ACCUM_OFFSET: 0
; COMPUTE_PGM_RSRC3_GFX90A:TG_SPLIT: 0
	.section	.text._ZN7rocprim17ROCPRIM_400000_NS6detail17trampoline_kernelINS0_14default_configENS1_35radix_sort_onesweep_config_selectorIcNS0_10empty_typeEEEZZNS1_29radix_sort_onesweep_iterationIS3_Lb1EPcS8_PS5_S9_mNS0_19identity_decomposerENS1_16block_id_wrapperIjLb0EEEEE10hipError_tT1_PNSt15iterator_traitsISE_E10value_typeET2_T3_PNSF_ISK_E10value_typeET4_T5_PSP_SQ_PNS1_23onesweep_lookback_stateEbbT6_jjT7_P12ihipStream_tbENKUlT_T0_SE_SJ_E_clIS8_S8_S9_S9_EEDaSX_SY_SE_SJ_EUlSX_E_NS1_11comp_targetILNS1_3genE2ELNS1_11target_archE906ELNS1_3gpuE6ELNS1_3repE0EEENS1_47radix_sort_onesweep_sort_config_static_selectorELNS0_4arch9wavefront6targetE1EEEvSE_,"axG",@progbits,_ZN7rocprim17ROCPRIM_400000_NS6detail17trampoline_kernelINS0_14default_configENS1_35radix_sort_onesweep_config_selectorIcNS0_10empty_typeEEEZZNS1_29radix_sort_onesweep_iterationIS3_Lb1EPcS8_PS5_S9_mNS0_19identity_decomposerENS1_16block_id_wrapperIjLb0EEEEE10hipError_tT1_PNSt15iterator_traitsISE_E10value_typeET2_T3_PNSF_ISK_E10value_typeET4_T5_PSP_SQ_PNS1_23onesweep_lookback_stateEbbT6_jjT7_P12ihipStream_tbENKUlT_T0_SE_SJ_E_clIS8_S8_S9_S9_EEDaSX_SY_SE_SJ_EUlSX_E_NS1_11comp_targetILNS1_3genE2ELNS1_11target_archE906ELNS1_3gpuE6ELNS1_3repE0EEENS1_47radix_sort_onesweep_sort_config_static_selectorELNS0_4arch9wavefront6targetE1EEEvSE_,comdat
	.protected	_ZN7rocprim17ROCPRIM_400000_NS6detail17trampoline_kernelINS0_14default_configENS1_35radix_sort_onesweep_config_selectorIcNS0_10empty_typeEEEZZNS1_29radix_sort_onesweep_iterationIS3_Lb1EPcS8_PS5_S9_mNS0_19identity_decomposerENS1_16block_id_wrapperIjLb0EEEEE10hipError_tT1_PNSt15iterator_traitsISE_E10value_typeET2_T3_PNSF_ISK_E10value_typeET4_T5_PSP_SQ_PNS1_23onesweep_lookback_stateEbbT6_jjT7_P12ihipStream_tbENKUlT_T0_SE_SJ_E_clIS8_S8_S9_S9_EEDaSX_SY_SE_SJ_EUlSX_E_NS1_11comp_targetILNS1_3genE2ELNS1_11target_archE906ELNS1_3gpuE6ELNS1_3repE0EEENS1_47radix_sort_onesweep_sort_config_static_selectorELNS0_4arch9wavefront6targetE1EEEvSE_ ; -- Begin function _ZN7rocprim17ROCPRIM_400000_NS6detail17trampoline_kernelINS0_14default_configENS1_35radix_sort_onesweep_config_selectorIcNS0_10empty_typeEEEZZNS1_29radix_sort_onesweep_iterationIS3_Lb1EPcS8_PS5_S9_mNS0_19identity_decomposerENS1_16block_id_wrapperIjLb0EEEEE10hipError_tT1_PNSt15iterator_traitsISE_E10value_typeET2_T3_PNSF_ISK_E10value_typeET4_T5_PSP_SQ_PNS1_23onesweep_lookback_stateEbbT6_jjT7_P12ihipStream_tbENKUlT_T0_SE_SJ_E_clIS8_S8_S9_S9_EEDaSX_SY_SE_SJ_EUlSX_E_NS1_11comp_targetILNS1_3genE2ELNS1_11target_archE906ELNS1_3gpuE6ELNS1_3repE0EEENS1_47radix_sort_onesweep_sort_config_static_selectorELNS0_4arch9wavefront6targetE1EEEvSE_
	.globl	_ZN7rocprim17ROCPRIM_400000_NS6detail17trampoline_kernelINS0_14default_configENS1_35radix_sort_onesweep_config_selectorIcNS0_10empty_typeEEEZZNS1_29radix_sort_onesweep_iterationIS3_Lb1EPcS8_PS5_S9_mNS0_19identity_decomposerENS1_16block_id_wrapperIjLb0EEEEE10hipError_tT1_PNSt15iterator_traitsISE_E10value_typeET2_T3_PNSF_ISK_E10value_typeET4_T5_PSP_SQ_PNS1_23onesweep_lookback_stateEbbT6_jjT7_P12ihipStream_tbENKUlT_T0_SE_SJ_E_clIS8_S8_S9_S9_EEDaSX_SY_SE_SJ_EUlSX_E_NS1_11comp_targetILNS1_3genE2ELNS1_11target_archE906ELNS1_3gpuE6ELNS1_3repE0EEENS1_47radix_sort_onesweep_sort_config_static_selectorELNS0_4arch9wavefront6targetE1EEEvSE_
	.p2align	8
	.type	_ZN7rocprim17ROCPRIM_400000_NS6detail17trampoline_kernelINS0_14default_configENS1_35radix_sort_onesweep_config_selectorIcNS0_10empty_typeEEEZZNS1_29radix_sort_onesweep_iterationIS3_Lb1EPcS8_PS5_S9_mNS0_19identity_decomposerENS1_16block_id_wrapperIjLb0EEEEE10hipError_tT1_PNSt15iterator_traitsISE_E10value_typeET2_T3_PNSF_ISK_E10value_typeET4_T5_PSP_SQ_PNS1_23onesweep_lookback_stateEbbT6_jjT7_P12ihipStream_tbENKUlT_T0_SE_SJ_E_clIS8_S8_S9_S9_EEDaSX_SY_SE_SJ_EUlSX_E_NS1_11comp_targetILNS1_3genE2ELNS1_11target_archE906ELNS1_3gpuE6ELNS1_3repE0EEENS1_47radix_sort_onesweep_sort_config_static_selectorELNS0_4arch9wavefront6targetE1EEEvSE_,@function
_ZN7rocprim17ROCPRIM_400000_NS6detail17trampoline_kernelINS0_14default_configENS1_35radix_sort_onesweep_config_selectorIcNS0_10empty_typeEEEZZNS1_29radix_sort_onesweep_iterationIS3_Lb1EPcS8_PS5_S9_mNS0_19identity_decomposerENS1_16block_id_wrapperIjLb0EEEEE10hipError_tT1_PNSt15iterator_traitsISE_E10value_typeET2_T3_PNSF_ISK_E10value_typeET4_T5_PSP_SQ_PNS1_23onesweep_lookback_stateEbbT6_jjT7_P12ihipStream_tbENKUlT_T0_SE_SJ_E_clIS8_S8_S9_S9_EEDaSX_SY_SE_SJ_EUlSX_E_NS1_11comp_targetILNS1_3genE2ELNS1_11target_archE906ELNS1_3gpuE6ELNS1_3repE0EEENS1_47radix_sort_onesweep_sort_config_static_selectorELNS0_4arch9wavefront6targetE1EEEvSE_: ; @_ZN7rocprim17ROCPRIM_400000_NS6detail17trampoline_kernelINS0_14default_configENS1_35radix_sort_onesweep_config_selectorIcNS0_10empty_typeEEEZZNS1_29radix_sort_onesweep_iterationIS3_Lb1EPcS8_PS5_S9_mNS0_19identity_decomposerENS1_16block_id_wrapperIjLb0EEEEE10hipError_tT1_PNSt15iterator_traitsISE_E10value_typeET2_T3_PNSF_ISK_E10value_typeET4_T5_PSP_SQ_PNS1_23onesweep_lookback_stateEbbT6_jjT7_P12ihipStream_tbENKUlT_T0_SE_SJ_E_clIS8_S8_S9_S9_EEDaSX_SY_SE_SJ_EUlSX_E_NS1_11comp_targetILNS1_3genE2ELNS1_11target_archE906ELNS1_3gpuE6ELNS1_3repE0EEENS1_47radix_sort_onesweep_sort_config_static_selectorELNS0_4arch9wavefront6targetE1EEEvSE_
; %bb.0:
	.section	.rodata,"a",@progbits
	.p2align	6, 0x0
	.amdhsa_kernel _ZN7rocprim17ROCPRIM_400000_NS6detail17trampoline_kernelINS0_14default_configENS1_35radix_sort_onesweep_config_selectorIcNS0_10empty_typeEEEZZNS1_29radix_sort_onesweep_iterationIS3_Lb1EPcS8_PS5_S9_mNS0_19identity_decomposerENS1_16block_id_wrapperIjLb0EEEEE10hipError_tT1_PNSt15iterator_traitsISE_E10value_typeET2_T3_PNSF_ISK_E10value_typeET4_T5_PSP_SQ_PNS1_23onesweep_lookback_stateEbbT6_jjT7_P12ihipStream_tbENKUlT_T0_SE_SJ_E_clIS8_S8_S9_S9_EEDaSX_SY_SE_SJ_EUlSX_E_NS1_11comp_targetILNS1_3genE2ELNS1_11target_archE906ELNS1_3gpuE6ELNS1_3repE0EEENS1_47radix_sort_onesweep_sort_config_static_selectorELNS0_4arch9wavefront6targetE1EEEvSE_
		.amdhsa_group_segment_fixed_size 0
		.amdhsa_private_segment_fixed_size 0
		.amdhsa_kernarg_size 88
		.amdhsa_user_sgpr_count 6
		.amdhsa_user_sgpr_private_segment_buffer 1
		.amdhsa_user_sgpr_dispatch_ptr 0
		.amdhsa_user_sgpr_queue_ptr 0
		.amdhsa_user_sgpr_kernarg_segment_ptr 1
		.amdhsa_user_sgpr_dispatch_id 0
		.amdhsa_user_sgpr_flat_scratch_init 0
		.amdhsa_user_sgpr_kernarg_preload_length 0
		.amdhsa_user_sgpr_kernarg_preload_offset 0
		.amdhsa_user_sgpr_private_segment_size 0
		.amdhsa_uses_dynamic_stack 0
		.amdhsa_system_sgpr_private_segment_wavefront_offset 0
		.amdhsa_system_sgpr_workgroup_id_x 1
		.amdhsa_system_sgpr_workgroup_id_y 0
		.amdhsa_system_sgpr_workgroup_id_z 0
		.amdhsa_system_sgpr_workgroup_info 0
		.amdhsa_system_vgpr_workitem_id 0
		.amdhsa_next_free_vgpr 1
		.amdhsa_next_free_sgpr 0
		.amdhsa_accum_offset 4
		.amdhsa_reserve_vcc 0
		.amdhsa_reserve_flat_scratch 0
		.amdhsa_float_round_mode_32 0
		.amdhsa_float_round_mode_16_64 0
		.amdhsa_float_denorm_mode_32 3
		.amdhsa_float_denorm_mode_16_64 3
		.amdhsa_dx10_clamp 1
		.amdhsa_ieee_mode 1
		.amdhsa_fp16_overflow 0
		.amdhsa_tg_split 0
		.amdhsa_exception_fp_ieee_invalid_op 0
		.amdhsa_exception_fp_denorm_src 0
		.amdhsa_exception_fp_ieee_div_zero 0
		.amdhsa_exception_fp_ieee_overflow 0
		.amdhsa_exception_fp_ieee_underflow 0
		.amdhsa_exception_fp_ieee_inexact 0
		.amdhsa_exception_int_div_zero 0
	.end_amdhsa_kernel
	.section	.text._ZN7rocprim17ROCPRIM_400000_NS6detail17trampoline_kernelINS0_14default_configENS1_35radix_sort_onesweep_config_selectorIcNS0_10empty_typeEEEZZNS1_29radix_sort_onesweep_iterationIS3_Lb1EPcS8_PS5_S9_mNS0_19identity_decomposerENS1_16block_id_wrapperIjLb0EEEEE10hipError_tT1_PNSt15iterator_traitsISE_E10value_typeET2_T3_PNSF_ISK_E10value_typeET4_T5_PSP_SQ_PNS1_23onesweep_lookback_stateEbbT6_jjT7_P12ihipStream_tbENKUlT_T0_SE_SJ_E_clIS8_S8_S9_S9_EEDaSX_SY_SE_SJ_EUlSX_E_NS1_11comp_targetILNS1_3genE2ELNS1_11target_archE906ELNS1_3gpuE6ELNS1_3repE0EEENS1_47radix_sort_onesweep_sort_config_static_selectorELNS0_4arch9wavefront6targetE1EEEvSE_,"axG",@progbits,_ZN7rocprim17ROCPRIM_400000_NS6detail17trampoline_kernelINS0_14default_configENS1_35radix_sort_onesweep_config_selectorIcNS0_10empty_typeEEEZZNS1_29radix_sort_onesweep_iterationIS3_Lb1EPcS8_PS5_S9_mNS0_19identity_decomposerENS1_16block_id_wrapperIjLb0EEEEE10hipError_tT1_PNSt15iterator_traitsISE_E10value_typeET2_T3_PNSF_ISK_E10value_typeET4_T5_PSP_SQ_PNS1_23onesweep_lookback_stateEbbT6_jjT7_P12ihipStream_tbENKUlT_T0_SE_SJ_E_clIS8_S8_S9_S9_EEDaSX_SY_SE_SJ_EUlSX_E_NS1_11comp_targetILNS1_3genE2ELNS1_11target_archE906ELNS1_3gpuE6ELNS1_3repE0EEENS1_47radix_sort_onesweep_sort_config_static_selectorELNS0_4arch9wavefront6targetE1EEEvSE_,comdat
.Lfunc_end1559:
	.size	_ZN7rocprim17ROCPRIM_400000_NS6detail17trampoline_kernelINS0_14default_configENS1_35radix_sort_onesweep_config_selectorIcNS0_10empty_typeEEEZZNS1_29radix_sort_onesweep_iterationIS3_Lb1EPcS8_PS5_S9_mNS0_19identity_decomposerENS1_16block_id_wrapperIjLb0EEEEE10hipError_tT1_PNSt15iterator_traitsISE_E10value_typeET2_T3_PNSF_ISK_E10value_typeET4_T5_PSP_SQ_PNS1_23onesweep_lookback_stateEbbT6_jjT7_P12ihipStream_tbENKUlT_T0_SE_SJ_E_clIS8_S8_S9_S9_EEDaSX_SY_SE_SJ_EUlSX_E_NS1_11comp_targetILNS1_3genE2ELNS1_11target_archE906ELNS1_3gpuE6ELNS1_3repE0EEENS1_47radix_sort_onesweep_sort_config_static_selectorELNS0_4arch9wavefront6targetE1EEEvSE_, .Lfunc_end1559-_ZN7rocprim17ROCPRIM_400000_NS6detail17trampoline_kernelINS0_14default_configENS1_35radix_sort_onesweep_config_selectorIcNS0_10empty_typeEEEZZNS1_29radix_sort_onesweep_iterationIS3_Lb1EPcS8_PS5_S9_mNS0_19identity_decomposerENS1_16block_id_wrapperIjLb0EEEEE10hipError_tT1_PNSt15iterator_traitsISE_E10value_typeET2_T3_PNSF_ISK_E10value_typeET4_T5_PSP_SQ_PNS1_23onesweep_lookback_stateEbbT6_jjT7_P12ihipStream_tbENKUlT_T0_SE_SJ_E_clIS8_S8_S9_S9_EEDaSX_SY_SE_SJ_EUlSX_E_NS1_11comp_targetILNS1_3genE2ELNS1_11target_archE906ELNS1_3gpuE6ELNS1_3repE0EEENS1_47radix_sort_onesweep_sort_config_static_selectorELNS0_4arch9wavefront6targetE1EEEvSE_
                                        ; -- End function
	.section	.AMDGPU.csdata,"",@progbits
; Kernel info:
; codeLenInByte = 0
; NumSgprs: 4
; NumVgprs: 0
; NumAgprs: 0
; TotalNumVgprs: 0
; ScratchSize: 0
; MemoryBound: 0
; FloatMode: 240
; IeeeMode: 1
; LDSByteSize: 0 bytes/workgroup (compile time only)
; SGPRBlocks: 0
; VGPRBlocks: 0
; NumSGPRsForWavesPerEU: 4
; NumVGPRsForWavesPerEU: 1
; AccumOffset: 4
; Occupancy: 8
; WaveLimiterHint : 0
; COMPUTE_PGM_RSRC2:SCRATCH_EN: 0
; COMPUTE_PGM_RSRC2:USER_SGPR: 6
; COMPUTE_PGM_RSRC2:TRAP_HANDLER: 0
; COMPUTE_PGM_RSRC2:TGID_X_EN: 1
; COMPUTE_PGM_RSRC2:TGID_Y_EN: 0
; COMPUTE_PGM_RSRC2:TGID_Z_EN: 0
; COMPUTE_PGM_RSRC2:TIDIG_COMP_CNT: 0
; COMPUTE_PGM_RSRC3_GFX90A:ACCUM_OFFSET: 0
; COMPUTE_PGM_RSRC3_GFX90A:TG_SPLIT: 0
	.section	.text._ZN7rocprim17ROCPRIM_400000_NS6detail17trampoline_kernelINS0_14default_configENS1_35radix_sort_onesweep_config_selectorIcNS0_10empty_typeEEEZZNS1_29radix_sort_onesweep_iterationIS3_Lb1EPcS8_PS5_S9_mNS0_19identity_decomposerENS1_16block_id_wrapperIjLb0EEEEE10hipError_tT1_PNSt15iterator_traitsISE_E10value_typeET2_T3_PNSF_ISK_E10value_typeET4_T5_PSP_SQ_PNS1_23onesweep_lookback_stateEbbT6_jjT7_P12ihipStream_tbENKUlT_T0_SE_SJ_E_clIS8_S8_S9_S9_EEDaSX_SY_SE_SJ_EUlSX_E_NS1_11comp_targetILNS1_3genE4ELNS1_11target_archE910ELNS1_3gpuE8ELNS1_3repE0EEENS1_47radix_sort_onesweep_sort_config_static_selectorELNS0_4arch9wavefront6targetE1EEEvSE_,"axG",@progbits,_ZN7rocprim17ROCPRIM_400000_NS6detail17trampoline_kernelINS0_14default_configENS1_35radix_sort_onesweep_config_selectorIcNS0_10empty_typeEEEZZNS1_29radix_sort_onesweep_iterationIS3_Lb1EPcS8_PS5_S9_mNS0_19identity_decomposerENS1_16block_id_wrapperIjLb0EEEEE10hipError_tT1_PNSt15iterator_traitsISE_E10value_typeET2_T3_PNSF_ISK_E10value_typeET4_T5_PSP_SQ_PNS1_23onesweep_lookback_stateEbbT6_jjT7_P12ihipStream_tbENKUlT_T0_SE_SJ_E_clIS8_S8_S9_S9_EEDaSX_SY_SE_SJ_EUlSX_E_NS1_11comp_targetILNS1_3genE4ELNS1_11target_archE910ELNS1_3gpuE8ELNS1_3repE0EEENS1_47radix_sort_onesweep_sort_config_static_selectorELNS0_4arch9wavefront6targetE1EEEvSE_,comdat
	.protected	_ZN7rocprim17ROCPRIM_400000_NS6detail17trampoline_kernelINS0_14default_configENS1_35radix_sort_onesweep_config_selectorIcNS0_10empty_typeEEEZZNS1_29radix_sort_onesweep_iterationIS3_Lb1EPcS8_PS5_S9_mNS0_19identity_decomposerENS1_16block_id_wrapperIjLb0EEEEE10hipError_tT1_PNSt15iterator_traitsISE_E10value_typeET2_T3_PNSF_ISK_E10value_typeET4_T5_PSP_SQ_PNS1_23onesweep_lookback_stateEbbT6_jjT7_P12ihipStream_tbENKUlT_T0_SE_SJ_E_clIS8_S8_S9_S9_EEDaSX_SY_SE_SJ_EUlSX_E_NS1_11comp_targetILNS1_3genE4ELNS1_11target_archE910ELNS1_3gpuE8ELNS1_3repE0EEENS1_47radix_sort_onesweep_sort_config_static_selectorELNS0_4arch9wavefront6targetE1EEEvSE_ ; -- Begin function _ZN7rocprim17ROCPRIM_400000_NS6detail17trampoline_kernelINS0_14default_configENS1_35radix_sort_onesweep_config_selectorIcNS0_10empty_typeEEEZZNS1_29radix_sort_onesweep_iterationIS3_Lb1EPcS8_PS5_S9_mNS0_19identity_decomposerENS1_16block_id_wrapperIjLb0EEEEE10hipError_tT1_PNSt15iterator_traitsISE_E10value_typeET2_T3_PNSF_ISK_E10value_typeET4_T5_PSP_SQ_PNS1_23onesweep_lookback_stateEbbT6_jjT7_P12ihipStream_tbENKUlT_T0_SE_SJ_E_clIS8_S8_S9_S9_EEDaSX_SY_SE_SJ_EUlSX_E_NS1_11comp_targetILNS1_3genE4ELNS1_11target_archE910ELNS1_3gpuE8ELNS1_3repE0EEENS1_47radix_sort_onesweep_sort_config_static_selectorELNS0_4arch9wavefront6targetE1EEEvSE_
	.globl	_ZN7rocprim17ROCPRIM_400000_NS6detail17trampoline_kernelINS0_14default_configENS1_35radix_sort_onesweep_config_selectorIcNS0_10empty_typeEEEZZNS1_29radix_sort_onesweep_iterationIS3_Lb1EPcS8_PS5_S9_mNS0_19identity_decomposerENS1_16block_id_wrapperIjLb0EEEEE10hipError_tT1_PNSt15iterator_traitsISE_E10value_typeET2_T3_PNSF_ISK_E10value_typeET4_T5_PSP_SQ_PNS1_23onesweep_lookback_stateEbbT6_jjT7_P12ihipStream_tbENKUlT_T0_SE_SJ_E_clIS8_S8_S9_S9_EEDaSX_SY_SE_SJ_EUlSX_E_NS1_11comp_targetILNS1_3genE4ELNS1_11target_archE910ELNS1_3gpuE8ELNS1_3repE0EEENS1_47radix_sort_onesweep_sort_config_static_selectorELNS0_4arch9wavefront6targetE1EEEvSE_
	.p2align	8
	.type	_ZN7rocprim17ROCPRIM_400000_NS6detail17trampoline_kernelINS0_14default_configENS1_35radix_sort_onesweep_config_selectorIcNS0_10empty_typeEEEZZNS1_29radix_sort_onesweep_iterationIS3_Lb1EPcS8_PS5_S9_mNS0_19identity_decomposerENS1_16block_id_wrapperIjLb0EEEEE10hipError_tT1_PNSt15iterator_traitsISE_E10value_typeET2_T3_PNSF_ISK_E10value_typeET4_T5_PSP_SQ_PNS1_23onesweep_lookback_stateEbbT6_jjT7_P12ihipStream_tbENKUlT_T0_SE_SJ_E_clIS8_S8_S9_S9_EEDaSX_SY_SE_SJ_EUlSX_E_NS1_11comp_targetILNS1_3genE4ELNS1_11target_archE910ELNS1_3gpuE8ELNS1_3repE0EEENS1_47radix_sort_onesweep_sort_config_static_selectorELNS0_4arch9wavefront6targetE1EEEvSE_,@function
_ZN7rocprim17ROCPRIM_400000_NS6detail17trampoline_kernelINS0_14default_configENS1_35radix_sort_onesweep_config_selectorIcNS0_10empty_typeEEEZZNS1_29radix_sort_onesweep_iterationIS3_Lb1EPcS8_PS5_S9_mNS0_19identity_decomposerENS1_16block_id_wrapperIjLb0EEEEE10hipError_tT1_PNSt15iterator_traitsISE_E10value_typeET2_T3_PNSF_ISK_E10value_typeET4_T5_PSP_SQ_PNS1_23onesweep_lookback_stateEbbT6_jjT7_P12ihipStream_tbENKUlT_T0_SE_SJ_E_clIS8_S8_S9_S9_EEDaSX_SY_SE_SJ_EUlSX_E_NS1_11comp_targetILNS1_3genE4ELNS1_11target_archE910ELNS1_3gpuE8ELNS1_3repE0EEENS1_47radix_sort_onesweep_sort_config_static_selectorELNS0_4arch9wavefront6targetE1EEEvSE_: ; @_ZN7rocprim17ROCPRIM_400000_NS6detail17trampoline_kernelINS0_14default_configENS1_35radix_sort_onesweep_config_selectorIcNS0_10empty_typeEEEZZNS1_29radix_sort_onesweep_iterationIS3_Lb1EPcS8_PS5_S9_mNS0_19identity_decomposerENS1_16block_id_wrapperIjLb0EEEEE10hipError_tT1_PNSt15iterator_traitsISE_E10value_typeET2_T3_PNSF_ISK_E10value_typeET4_T5_PSP_SQ_PNS1_23onesweep_lookback_stateEbbT6_jjT7_P12ihipStream_tbENKUlT_T0_SE_SJ_E_clIS8_S8_S9_S9_EEDaSX_SY_SE_SJ_EUlSX_E_NS1_11comp_targetILNS1_3genE4ELNS1_11target_archE910ELNS1_3gpuE8ELNS1_3repE0EEENS1_47radix_sort_onesweep_sort_config_static_selectorELNS0_4arch9wavefront6targetE1EEEvSE_
; %bb.0:
	s_load_dwordx4 s[16:19], s[4:5], 0x44
	s_load_dwordx2 s[20:21], s[4:5], 0x38
	s_load_dwordx4 s[12:15], s[4:5], 0x0
	s_load_dwordx4 s[8:11], s[4:5], 0x28
	s_mul_i32 s7, s6, 0x2c00
	s_waitcnt lgkmcnt(0)
	s_cmp_ge_u32 s6, s18
	v_mul_u32_u24_e32 v10, 22, v0
	s_cbranch_scc0 .LBB1560_120
; %bb.1:
	s_load_dword s26, s[4:5], 0x20
	s_mul_i32 s0, s18, 0xffffd400
	v_mov_b32_e32 v4, 0x80
	s_waitcnt lgkmcnt(0)
	s_add_i32 s26, s26, s0
	s_add_u32 s0, s12, s7
	s_addc_u32 s1, s13, 0
	v_mov_b32_e32 v1, s1
	v_add_co_u32_e32 v2, vcc, s0, v10
	v_addc_co_u32_e32 v3, vcc, 0, v1, vcc
	v_cmp_gt_u32_e32 vcc, s26, v10
	v_mov_b32_e32 v1, 0x80
	s_and_saveexec_b64 s[0:1], vcc
	s_cbranch_execz .LBB1560_3
; %bb.2:
	global_load_ubyte v1, v[2:3], off
.LBB1560_3:
	s_or_b64 exec, exec, s[0:1]
	v_or_b32_e32 v5, 1, v10
	v_cmp_gt_u32_e32 vcc, s26, v5
	s_and_saveexec_b64 s[0:1], vcc
	s_cbranch_execz .LBB1560_5
; %bb.4:
	global_load_ubyte v4, v[2:3], off offset:1
.LBB1560_5:
	s_or_b64 exec, exec, s[0:1]
	v_add_u32_e32 v5, 2, v10
	v_cmp_gt_u32_e32 vcc, s26, v5
	v_mov_b32_e32 v6, 0x80
	v_mov_b32_e32 v5, 0x80
	s_and_saveexec_b64 s[0:1], vcc
	s_cbranch_execz .LBB1560_7
; %bb.6:
	global_load_ubyte v5, v[2:3], off offset:2
.LBB1560_7:
	s_or_b64 exec, exec, s[0:1]
	v_add_u32_e32 v7, 3, v10
	v_cmp_gt_u32_e32 vcc, s26, v7
	s_and_saveexec_b64 s[0:1], vcc
	s_cbranch_execz .LBB1560_9
; %bb.8:
	global_load_ubyte v6, v[2:3], off offset:3
.LBB1560_9:
	s_or_b64 exec, exec, s[0:1]
	v_add_u32_e32 v7, 4, v10
	v_cmp_gt_u32_e32 vcc, s26, v7
	v_mov_b32_e32 v11, 0x80
	v_mov_b32_e32 v8, 0x80
	s_and_saveexec_b64 s[0:1], vcc
	s_cbranch_execz .LBB1560_11
; %bb.10:
	global_load_ubyte v8, v[2:3], off offset:4
.LBB1560_11:
	s_or_b64 exec, exec, s[0:1]
	v_add_u32_e32 v7, 5, v10
	;; [unrolled: 18-line block ×10, first 2 shown]
	v_cmp_gt_u32_e32 vcc, s26, v7
	s_and_saveexec_b64 s[0:1], vcc
	s_cbranch_execz .LBB1560_45
; %bb.44:
	global_load_ubyte v40, v[2:3], off offset:21
.LBB1560_45:
	s_or_b64 exec, exec, s[0:1]
	v_lshlrev_b32_e32 v2, 2, v0
	v_mov_b32_e32 v3, 0
	s_mov_b64 s[0:1], -1
	ds_write2st64_b32 v2, v3, v3 offset1:8
	ds_write2st64_b32 v2, v3, v3 offset0:16 offset1:24
	s_and_saveexec_b64 s[2:3], s[0:1]
	s_cbranch_execz .LBB1560_47
; %bb.46:
	ds_write_b32 v2, v3 offset:8192
.LBB1560_47:
	s_or_b64 exec, exec, s[2:3]
	s_and_saveexec_b64 s[2:3], s[0:1]
	s_cbranch_execz .LBB1560_49
; %bb.48:
	v_mov_b32_e32 v3, 0
	ds_write_b32 v2, v3 offset:10240
.LBB1560_49:
	s_or_b64 exec, exec, s[2:3]
	v_cmp_gt_u32_e64 s[0:1], 7, 6
	v_cmp_gt_u32_e64 s[18:19], 7, 5
	s_and_saveexec_b64 s[2:3], s[18:19]
	s_cbranch_execz .LBB1560_51
; %bb.50:
	v_mov_b32_e32 v3, 0
	ds_write_b32 v2, v3 offset:12288
.LBB1560_51:
	s_or_b64 exec, exec, s[2:3]
	s_and_saveexec_b64 s[2:3], s[0:1]
	s_cbranch_execz .LBB1560_53
; %bb.52:
	v_mov_b32_e32 v3, 0
	ds_write_b32 v2, v3 offset:14336
.LBB1560_53:
	s_or_b64 exec, exec, s[2:3]
	s_waitcnt vmcnt(0)
	v_xor_b32_e32 v1, 0x7f, v1
	s_lshl_b32 s0, -1, s17
	s_not_b32 s27, s0
	v_lshrrev_b32_sdwa v2, s16, v1 dst_sel:DWORD dst_unused:UNUSED_PAD src0_sel:DWORD src1_sel:BYTE_0
	v_and_b32_e32 v2, s27, v2
	v_lshrrev_b32_e32 v3, 3, v2
	v_lshlrev_b32_e32 v2, 9, v2
	s_movk_i32 s0, 0xe00
	v_and_or_b32 v2, v2, s0, v0
	v_lshlrev_b32_e32 v2, 1, v2
	v_add_lshl_u32 v2, v2, v3, 1
	ds_read_u16 v7, v2
	v_xor_b32_e32 v4, 0x7f, v4
	v_xor_b32_e32 v5, 0x7f, v5
	v_xor_b32_e32 v6, 0x7f, v6
	v_xor_b32_e32 v8, 0x7f, v8
	s_waitcnt lgkmcnt(0)
	v_add_u16_e32 v3, 1, v7
	ds_write_b16 v2, v3
	v_lshrrev_b32_sdwa v3, s16, v4 dst_sel:DWORD dst_unused:UNUSED_PAD src0_sel:DWORD src1_sel:BYTE_0
	v_and_b32_e32 v3, s27, v3
	v_lshrrev_b32_e32 v9, 3, v3
	v_lshlrev_b32_e32 v3, 9, v3
	v_and_or_b32 v3, v3, s0, v0
	v_lshlrev_b32_e32 v3, 1, v3
	v_add_lshl_u32 v3, v3, v9, 1
	ds_read_u16 v9, v3
	v_xor_b32_e32 v14, 0x7f, v14
	v_xor_b32_e32 v16, 0x7f, v16
	v_xor_b32_e32 v18, 0x7f, v18
	v_xor_b32_e32 v20, 0x7f, v20
	s_waitcnt lgkmcnt(0)
	v_add_u16_e32 v12, 1, v9
	ds_write_b16 v3, v12
	v_lshrrev_b32_sdwa v12, s16, v5 dst_sel:DWORD dst_unused:UNUSED_PAD src0_sel:DWORD src1_sel:BYTE_0
	v_and_b32_e32 v12, s27, v12
	v_lshrrev_b32_e32 v13, 3, v12
	v_lshlrev_b32_e32 v12, 9, v12
	v_and_or_b32 v12, v12, s0, v0
	v_lshlrev_b32_e32 v12, 1, v12
	v_add_lshl_u32 v28, v12, v13, 1
	ds_read_u16 v13, v28
	v_xor_b32_e32 v22, 0x7f, v22
	v_xor_b32_e32 v24, 0x7f, v24
	v_xor_b32_e32 v26, 0x7f, v26
	v_xor_b32_e32 v29, 0x7f, v29
	s_waitcnt lgkmcnt(0)
	v_add_u16_e32 v12, 1, v13
	ds_write_b16 v28, v12
	v_lshrrev_b32_sdwa v12, s16, v6 dst_sel:DWORD dst_unused:UNUSED_PAD src0_sel:DWORD src1_sel:BYTE_0
	v_and_b32_e32 v12, s27, v12
	v_lshrrev_b32_e32 v15, 3, v12
	v_lshlrev_b32_e32 v12, 9, v12
	v_and_or_b32 v12, v12, s0, v0
	v_lshlrev_b32_e32 v12, 1, v12
	v_add_lshl_u32 v31, v12, v15, 1
	ds_read_u16 v15, v31
	v_xor_b32_e32 v33, 0x7f, v33
	v_xor_b32_e32 v32, 0x7f, v32
	v_xor_b32_e32 v39, 0x7f, v39
	v_xor_b32_e32 v35, 0x7f, v35
	s_waitcnt lgkmcnt(0)
	v_add_u16_e32 v12, 1, v15
	ds_write_b16 v31, v12
	v_lshrrev_b32_sdwa v12, s16, v8 dst_sel:DWORD dst_unused:UNUSED_PAD src0_sel:DWORD src1_sel:BYTE_0
	v_and_b32_e32 v12, s27, v12
	v_lshrrev_b32_e32 v17, 3, v12
	v_lshlrev_b32_e32 v12, 9, v12
	v_and_or_b32 v12, v12, s0, v0
	v_lshlrev_b32_e32 v12, 1, v12
	v_add_lshl_u32 v36, v12, v17, 1
	ds_read_u16 v17, v36
	v_xor_b32_e32 v12, 0x7f, v11
	v_xor_b32_e32 v41, 0x7f, v41
	v_xor_b32_e32 v37, 0x7f, v37
	v_xor_b32_e32 v44, 0x7f, v44
	s_waitcnt lgkmcnt(0)
	v_add_u16_e32 v11, 1, v17
	ds_write_b16 v36, v11
	v_lshrrev_b32_sdwa v11, s16, v12 dst_sel:DWORD dst_unused:UNUSED_PAD src0_sel:DWORD src1_sel:BYTE_0
	v_and_b32_e32 v11, s27, v11
	v_lshrrev_b32_e32 v19, 3, v11
	v_lshlrev_b32_e32 v11, 9, v11
	v_and_or_b32 v11, v11, s0, v0
	v_lshlrev_b32_e32 v11, 1, v11
	v_add_lshl_u32 v11, v11, v19, 1
	ds_read_u16 v19, v11
	v_xor_b32_e32 v40, 0x7f, v40
	s_waitcnt lgkmcnt(0)
	v_add_u16_e32 v21, 1, v19
	ds_write_b16 v11, v21
	v_lshrrev_b32_sdwa v21, s16, v14 dst_sel:DWORD dst_unused:UNUSED_PAD src0_sel:DWORD src1_sel:BYTE_0
	v_and_b32_e32 v21, s27, v21
	v_lshrrev_b32_e32 v23, 3, v21
	v_lshlrev_b32_e32 v21, 9, v21
	v_and_or_b32 v21, v21, s0, v0
	v_lshlrev_b32_e32 v21, 1, v21
	v_add_lshl_u32 v43, v21, v23, 1
	ds_read_u16 v21, v43
	s_waitcnt lgkmcnt(0)
	v_add_u16_e32 v23, 1, v21
	ds_write_b16 v43, v23
	v_lshrrev_b32_sdwa v23, s16, v16 dst_sel:DWORD dst_unused:UNUSED_PAD src0_sel:DWORD src1_sel:BYTE_0
	v_and_b32_e32 v23, s27, v23
	v_lshrrev_b32_e32 v25, 3, v23
	v_lshlrev_b32_e32 v23, 9, v23
	v_and_or_b32 v23, v23, s0, v0
	v_lshlrev_b32_e32 v23, 1, v23
	v_add_lshl_u32 v46, v23, v25, 1
	ds_read_u16 v23, v46
	;; [unrolled: 11-line block ×16, first 2 shown]
	s_waitcnt lgkmcnt(0)
	v_add_u16_e32 v68, 1, v59
	ds_write_b16 v67, v68
	v_lshlrev_b32_e32 v68, 5, v0
	s_waitcnt lgkmcnt(0)
	s_barrier
	ds_read2_b64 v[70:73], v68 offset1:1
	ds_read2_b64 v[74:77], v68 offset0:2 offset1:3
	s_waitcnt lgkmcnt(1)
	v_add_u32_e32 v69, v71, v70
	v_add3_u32 v69, v69, v72, v73
	s_waitcnt lgkmcnt(0)
	v_add3_u32 v69, v69, v74, v75
	v_add3_u32 v70, v69, v76, v77
	v_mbcnt_lo_u32_b32 v69, -1, 0
	v_mbcnt_hi_u32_b32 v69, -1, v69
	v_and_b32_e32 v71, 15, v69
	v_mov_b32_dpp v72, v70 row_shr:1 row_mask:0xf bank_mask:0xf
	v_cmp_ne_u32_e32 vcc, 0, v71
	v_cndmask_b32_e32 v72, 0, v72, vcc
	v_add_u32_e32 v70, v72, v70
	v_cmp_lt_u32_e32 vcc, 1, v71
	s_nop 0
	v_mov_b32_dpp v72, v70 row_shr:2 row_mask:0xf bank_mask:0xf
	v_cndmask_b32_e32 v72, 0, v72, vcc
	v_add_u32_e32 v70, v70, v72
	v_cmp_lt_u32_e32 vcc, 3, v71
	s_nop 0
	v_mov_b32_dpp v72, v70 row_shr:4 row_mask:0xf bank_mask:0xf
	;; [unrolled: 5-line block ×3, first 2 shown]
	v_cndmask_b32_e32 v71, 0, v72, vcc
	v_add_u32_e32 v70, v70, v71
	v_bfe_i32 v72, v69, 4, 1
	v_cmp_lt_u32_e32 vcc, 31, v69
	v_mov_b32_dpp v71, v70 row_bcast:15 row_mask:0xf bank_mask:0xf
	v_and_b32_e32 v71, v72, v71
	v_add_u32_e32 v70, v70, v71
	v_or_b32_e32 v72, 63, v0
	s_nop 0
	v_mov_b32_dpp v71, v70 row_bcast:31 row_mask:0xf bank_mask:0xf
	v_cndmask_b32_e32 v71, 0, v71, vcc
	v_add_u32_e32 v70, v70, v71
	v_lshrrev_b32_e32 v71, 6, v0
	v_cmp_eq_u32_e32 vcc, v72, v0
	v_lshlrev_b32_e32 v71, 2, v71
	s_and_saveexec_b64 s[0:1], vcc
	s_cbranch_execz .LBB1560_55
; %bb.54:
	ds_write_b32 v71, v70 offset:16384
.LBB1560_55:
	s_or_b64 exec, exec, s[0:1]
	v_cmp_gt_u32_e32 vcc, 8, v0
	s_waitcnt lgkmcnt(0)
	s_barrier
	s_and_saveexec_b64 s[0:1], vcc
	s_cbranch_execz .LBB1560_57
; %bb.56:
	s_movk_i32 s2, 0xffe4
	v_mad_i32_i24 v72, v0, s2, v68
	ds_read_b32 v73, v72 offset:16384
	v_and_b32_e32 v74, 7, v69
	v_cmp_ne_u32_e32 vcc, 0, v74
	s_waitcnt lgkmcnt(0)
	v_mov_b32_dpp v75, v73 row_shr:1 row_mask:0xf bank_mask:0xf
	v_cndmask_b32_e32 v75, 0, v75, vcc
	v_add_u32_e32 v73, v75, v73
	v_cmp_lt_u32_e32 vcc, 1, v74
	s_nop 0
	v_mov_b32_dpp v75, v73 row_shr:2 row_mask:0xf bank_mask:0xf
	v_cndmask_b32_e32 v75, 0, v75, vcc
	v_add_u32_e32 v73, v73, v75
	v_cmp_lt_u32_e32 vcc, 3, v74
	s_nop 0
	v_mov_b32_dpp v75, v73 row_shr:4 row_mask:0xf bank_mask:0xf
	v_cndmask_b32_e32 v74, 0, v75, vcc
	v_add_u32_e32 v73, v73, v74
	ds_write_b32 v72, v73 offset:16384
.LBB1560_57:
	s_or_b64 exec, exec, s[0:1]
	v_cmp_lt_u32_e32 vcc, 63, v0
	v_mov_b32_e32 v73, 0
	v_mov_b32_e32 v72, 0
	s_waitcnt lgkmcnt(0)
	s_barrier
	s_and_saveexec_b64 s[0:1], vcc
	s_cbranch_execz .LBB1560_59
; %bb.58:
	ds_read_b32 v72, v71 offset:16380
.LBB1560_59:
	s_or_b64 exec, exec, s[0:1]
	v_add_u32_e32 v71, -1, v69
	v_and_b32_e32 v74, 64, v69
	v_cmp_lt_i32_e32 vcc, v71, v74
	v_cndmask_b32_e32 v71, v71, v69, vcc
	s_waitcnt lgkmcnt(0)
	v_add_u32_e32 v70, v72, v70
	v_lshlrev_b32_e32 v71, 2, v71
	ds_bpermute_b32 v70, v71, v70
	ds_read_b32 v71, v73 offset:16412
	ds_read2_b64 v[74:77], v68 offset1:1
	v_cmp_eq_u32_e32 vcc, 0, v69
	ds_read_b32 v78, v68 offset:24
	s_waitcnt lgkmcnt(3)
	v_cndmask_b32_e32 v69, v70, v72, vcc
	ds_read_b64 v[72:73], v68 offset:16
	s_waitcnt lgkmcnt(3)
	v_lshl_add_u32 v70, v71, 16, v69
	s_waitcnt lgkmcnt(2)
	v_add_u32_e32 v71, v70, v74
	v_add_u32_e32 v74, v75, v71
	;; [unrolled: 1-line block ×3, first 2 shown]
	ds_write2_b64 v68, v[70:71], v[74:75] offset1:1
	v_add_u32_e32 v70, v77, v75
	s_waitcnt lgkmcnt(1)
	v_add_u32_e32 v71, v72, v70
	v_add_u32_e32 v72, v73, v71
	;; [unrolled: 1-line block ×3, first 2 shown]
	ds_write2_b64 v68, v[70:71], v[72:73] offset0:2 offset1:3
	s_waitcnt lgkmcnt(0)
	s_barrier
	ds_read_u16 v68, v2
	ds_read_u16 v69, v3
	;; [unrolled: 1-line block ×22, first 2 shown]
	v_cmp_gt_u32_e32 vcc, 16, v0
	v_pk_mov_b32 v[2:3], 0, 0
                                        ; implicit-def: $vgpr11
	s_and_saveexec_b64 s[2:3], vcc
	s_cbranch_execz .LBB1560_63
; %bb.60:
	v_lshrrev_b32_e32 v2, 3, v0
	v_lshlrev_b32_e32 v3, 10, v0
	s_movk_i32 s22, 0x1c00
	v_and_or_b32 v2, v3, s22, v2
	v_lshlrev_b32_e32 v2, 1, v2
	ds_read_u16 v2, v2
	v_add_u32_e32 v11, 1, v0
	v_cmp_ne_u32_e64 s[0:1], 16, v11
	v_mov_b32_e32 v3, 0x2c00
	s_and_saveexec_b64 s[18:19], s[0:1]
	s_cbranch_execz .LBB1560_62
; %bb.61:
	v_lshlrev_b32_e32 v3, 10, v11
	v_lshrrev_b32_e32 v11, 3, v11
	v_and_or_b32 v3, v3, s22, v11
	v_lshlrev_b32_e32 v3, 1, v3
	ds_read_u16 v3, v3
.LBB1560_62:
	s_or_b64 exec, exec, s[18:19]
	s_waitcnt lgkmcnt(0)
	v_and_b32_e32 v2, 0xffff, v2
	s_mov_b32 s0, 0
	v_sub_u32_e32 v11, v3, v2
	v_mov_b32_e32 v3, s0
.LBB1560_63:
	s_or_b64 exec, exec, s[2:3]
	s_waitcnt lgkmcnt(14)
	v_add_u32_sdwa v7, v68, v7 dst_sel:DWORD dst_unused:UNUSED_PAD src0_sel:WORD_0 src1_sel:WORD_0
	v_add_u32_sdwa v9, v69, v9 dst_sel:DWORD dst_unused:UNUSED_PAD src0_sel:WORD_0 src1_sel:WORD_0
	;; [unrolled: 1-line block ×8, first 2 shown]
	s_waitcnt lgkmcnt(13)
	v_add_u32_sdwa v25, v48, v25 dst_sel:DWORD dst_unused:UNUSED_PAD src0_sel:WORD_0 src1_sel:WORD_0
	s_waitcnt lgkmcnt(12)
	v_add_u32_sdwa v27, v50, v27 dst_sel:DWORD dst_unused:UNUSED_PAD src0_sel:WORD_0 src1_sel:WORD_0
	;; [unrolled: 2-line block ×14, first 2 shown]
	s_barrier
	ds_write_b8 v7, v1 offset:128
	ds_write_b8 v9, v4 offset:128
	;; [unrolled: 1-line block ×22, first 2 shown]
	s_and_saveexec_b64 s[2:3], vcc
	s_cbranch_execz .LBB1560_73
; %bb.64:
	v_lshl_or_b32 v4, s6, 4, v0
	v_mov_b32_e32 v5, 0
	v_lshlrev_b64 v[6:7], 2, v[4:5]
	v_mov_b32_e32 v1, s21
	v_add_co_u32_e64 v6, s[0:1], s20, v6
	v_addc_co_u32_e64 v7, s[0:1], v1, v7, s[0:1]
	v_or_b32_e32 v4, 2.0, v11
	s_mov_b64 s[18:19], 0
	s_brev_b32 s28, 1
	s_mov_b32 s29, s6
	v_mov_b32_e32 v12, 0
	global_store_dword v[6:7], v4, off
                                        ; implicit-def: $sgpr0_sgpr1
	s_branch .LBB1560_66
.LBB1560_65:                            ;   in Loop: Header=BB1560_66 Depth=1
	s_or_b64 exec, exec, s[22:23]
	v_and_b32_e32 v8, 0x3fffffff, v13
	v_add_u32_e32 v12, v8, v12
	v_cmp_eq_u32_e64 s[0:1], s28, v4
	s_and_b64 s[22:23], exec, s[0:1]
	s_or_b64 s[18:19], s[22:23], s[18:19]
	s_andn2_b64 exec, exec, s[18:19]
	s_cbranch_execz .LBB1560_72
.LBB1560_66:                            ; =>This Loop Header: Depth=1
                                        ;     Child Loop BB1560_69 Depth 2
	s_or_b64 s[0:1], s[0:1], exec
	s_cmp_eq_u32 s29, 0
	s_cbranch_scc1 .LBB1560_71
; %bb.67:                               ;   in Loop: Header=BB1560_66 Depth=1
	s_add_i32 s29, s29, -1
	v_lshl_or_b32 v4, s29, 4, v0
	v_lshlrev_b64 v[8:9], 2, v[4:5]
	v_add_co_u32_e64 v8, s[0:1], s20, v8
	v_addc_co_u32_e64 v9, s[0:1], v1, v9, s[0:1]
	global_load_dword v13, v[8:9], off glc
	s_waitcnt vmcnt(0)
	v_and_b32_e32 v4, -2.0, v13
	v_cmp_eq_u32_e64 s[0:1], 0, v4
	s_and_saveexec_b64 s[22:23], s[0:1]
	s_cbranch_execz .LBB1560_65
; %bb.68:                               ;   in Loop: Header=BB1560_66 Depth=1
	s_mov_b64 s[24:25], 0
.LBB1560_69:                            ;   Parent Loop BB1560_66 Depth=1
                                        ; =>  This Inner Loop Header: Depth=2
	global_load_dword v13, v[8:9], off glc
	s_waitcnt vmcnt(0)
	v_and_b32_e32 v4, -2.0, v13
	v_cmp_ne_u32_e64 s[0:1], 0, v4
	s_or_b64 s[24:25], s[0:1], s[24:25]
	s_andn2_b64 exec, exec, s[24:25]
	s_cbranch_execnz .LBB1560_69
; %bb.70:                               ;   in Loop: Header=BB1560_66 Depth=1
	s_or_b64 exec, exec, s[24:25]
	s_branch .LBB1560_65
.LBB1560_71:                            ;   in Loop: Header=BB1560_66 Depth=1
                                        ; implicit-def: $sgpr29
	s_and_b64 s[22:23], exec, s[0:1]
	s_or_b64 s[18:19], s[22:23], s[18:19]
	s_andn2_b64 exec, exec, s[18:19]
	s_cbranch_execnz .LBB1560_66
.LBB1560_72:
	s_or_b64 exec, exec, s[18:19]
	v_add_u32_e32 v1, v12, v11
	v_or_b32_e32 v1, 0x80000000, v1
	global_store_dword v[6:7], v1, off
	v_lshlrev_b32_e32 v1, 3, v0
	global_load_dwordx2 v[4:5], v1, s[8:9]
	v_sub_co_u32_e64 v6, s[0:1], v12, v2
	v_subb_co_u32_e64 v7, s[0:1], 0, v3, s[0:1]
	s_waitcnt vmcnt(0)
	v_add_co_u32_e64 v4, s[0:1], v6, v4
	v_addc_co_u32_e64 v5, s[0:1], v7, v5, s[0:1]
	ds_write_b64 v1, v[4:5]
.LBB1560_73:
	s_or_b64 exec, exec, s[2:3]
	v_cmp_gt_u32_e64 s[0:1], s26, v0
	s_waitcnt lgkmcnt(0)
	s_barrier
	s_and_saveexec_b64 s[2:3], s[0:1]
	s_cbranch_execz .LBB1560_75
; %bb.74:
	ds_read_u8 v1, v0 offset:128
	v_mov_b32_e32 v6, s15
	s_waitcnt lgkmcnt(0)
	v_lshrrev_b32_sdwa v4, s16, v1 dst_sel:DWORD dst_unused:UNUSED_PAD src0_sel:DWORD src1_sel:BYTE_0
	v_and_b32_e32 v4, s27, v4
	v_lshlrev_b32_e32 v4, 3, v4
	ds_read_b64 v[4:5], v4
	v_xor_b32_e32 v1, 0x7f, v1
	s_waitcnt lgkmcnt(0)
	v_add_co_u32_e64 v4, s[0:1], s14, v4
	v_addc_co_u32_e64 v5, s[0:1], v6, v5, s[0:1]
	v_add_co_u32_e64 v4, s[0:1], v4, v0
	v_addc_co_u32_e64 v5, s[0:1], 0, v5, s[0:1]
	global_store_byte v[4:5], v1, off
.LBB1560_75:
	s_or_b64 exec, exec, s[2:3]
	v_or_b32_e32 v1, 0x200, v0
	v_cmp_gt_u32_e64 s[0:1], s26, v1
	s_and_saveexec_b64 s[2:3], s[0:1]
	s_cbranch_execz .LBB1560_77
; %bb.76:
	ds_read_u8 v1, v0 offset:640
	v_mov_b32_e32 v6, s15
	s_waitcnt lgkmcnt(0)
	v_lshrrev_b32_sdwa v4, s16, v1 dst_sel:DWORD dst_unused:UNUSED_PAD src0_sel:DWORD src1_sel:BYTE_0
	v_and_b32_e32 v4, s27, v4
	v_lshlrev_b32_e32 v4, 3, v4
	ds_read_b64 v[4:5], v4
	v_xor_b32_e32 v1, 0x7f, v1
	s_waitcnt lgkmcnt(0)
	v_add_co_u32_e64 v4, s[0:1], s14, v4
	v_addc_co_u32_e64 v5, s[0:1], v6, v5, s[0:1]
	v_add_co_u32_e64 v4, s[0:1], v4, v0
	v_addc_co_u32_e64 v5, s[0:1], 0, v5, s[0:1]
	global_store_byte v[4:5], v1, off offset:512
.LBB1560_77:
	s_or_b64 exec, exec, s[2:3]
	v_or_b32_e32 v1, 0x400, v0
	v_cmp_gt_u32_e64 s[0:1], s26, v1
	s_and_saveexec_b64 s[2:3], s[0:1]
	s_cbranch_execz .LBB1560_79
; %bb.78:
	ds_read_u8 v1, v0 offset:1152
	v_mov_b32_e32 v6, s15
	s_waitcnt lgkmcnt(0)
	v_lshrrev_b32_sdwa v4, s16, v1 dst_sel:DWORD dst_unused:UNUSED_PAD src0_sel:DWORD src1_sel:BYTE_0
	v_and_b32_e32 v4, s27, v4
	v_lshlrev_b32_e32 v4, 3, v4
	ds_read_b64 v[4:5], v4
	v_xor_b32_e32 v1, 0x7f, v1
	s_waitcnt lgkmcnt(0)
	v_add_co_u32_e64 v4, s[0:1], s14, v4
	v_addc_co_u32_e64 v5, s[0:1], v6, v5, s[0:1]
	v_add_co_u32_e64 v4, s[0:1], v4, v0
	v_addc_co_u32_e64 v5, s[0:1], 0, v5, s[0:1]
	global_store_byte v[4:5], v1, off offset:1024
.LBB1560_79:
	;; [unrolled: 21-line block ×7, first 2 shown]
	s_or_b64 exec, exec, s[2:3]
	v_or_b32_e32 v1, 0x1000, v0
	v_cmp_gt_u32_e64 s[0:1], s26, v1
	s_and_saveexec_b64 s[2:3], s[0:1]
	s_cbranch_execz .LBB1560_91
; %bb.90:
	ds_read_u8 v6, v0 offset:4224
	v_mov_b32_e32 v7, s15
	s_waitcnt lgkmcnt(0)
	v_lshrrev_b32_sdwa v4, s16, v6 dst_sel:DWORD dst_unused:UNUSED_PAD src0_sel:DWORD src1_sel:BYTE_0
	v_and_b32_e32 v4, s27, v4
	v_lshlrev_b32_e32 v4, 3, v4
	ds_read_b64 v[4:5], v4
	v_xor_b32_e32 v6, 0x7f, v6
	s_waitcnt lgkmcnt(0)
	v_add_co_u32_e64 v4, s[0:1], s14, v4
	v_addc_co_u32_e64 v5, s[0:1], v7, v5, s[0:1]
	v_add_co_u32_e64 v4, s[0:1], v4, v1
	v_addc_co_u32_e64 v5, s[0:1], 0, v5, s[0:1]
	global_store_byte v[4:5], v6, off
.LBB1560_91:
	s_or_b64 exec, exec, s[2:3]
	v_or_b32_e32 v1, 0x1200, v0
	v_cmp_gt_u32_e64 s[0:1], s26, v1
	s_and_saveexec_b64 s[2:3], s[0:1]
	s_cbranch_execz .LBB1560_93
; %bb.92:
	ds_read_u8 v6, v0 offset:4736
	v_mov_b32_e32 v7, s15
	s_waitcnt lgkmcnt(0)
	v_lshrrev_b32_sdwa v4, s16, v6 dst_sel:DWORD dst_unused:UNUSED_PAD src0_sel:DWORD src1_sel:BYTE_0
	v_and_b32_e32 v4, s27, v4
	v_lshlrev_b32_e32 v4, 3, v4
	ds_read_b64 v[4:5], v4
	v_xor_b32_e32 v6, 0x7f, v6
	s_waitcnt lgkmcnt(0)
	v_add_co_u32_e64 v4, s[0:1], s14, v4
	v_addc_co_u32_e64 v5, s[0:1], v7, v5, s[0:1]
	v_add_co_u32_e64 v4, s[0:1], v4, v1
	v_addc_co_u32_e64 v5, s[0:1], 0, v5, s[0:1]
	global_store_byte v[4:5], v6, off
.LBB1560_93:
	;; [unrolled: 21-line block ×14, first 2 shown]
	s_or_b64 exec, exec, s[2:3]
	s_load_dword s2, s[4:5], 0x58
	s_mov_b64 s[0:1], 0
	s_mov_b64 s[18:19], 0
                                        ; implicit-def: $vgpr4_vgpr5
	s_waitcnt lgkmcnt(0)
	s_add_i32 s2, s2, -1
	s_cmp_eq_u32 s2, s6
	s_cselect_b64 s[2:3], -1, 0
	s_and_b64 s[2:3], vcc, s[2:3]
	s_and_saveexec_b64 s[22:23], s[2:3]
	s_xor_b64 s[2:3], exec, s[22:23]
; %bb.118:
	v_add_co_u32_e32 v4, vcc, v2, v11
	s_mov_b64 s[18:19], exec
	v_mov_b32_e32 v1, 0
	v_addc_co_u32_e32 v5, vcc, 0, v3, vcc
; %bb.119:
	s_or_b64 exec, exec, s[2:3]
	s_and_b64 vcc, exec, s[0:1]
	s_cbranch_vccnz .LBB1560_121
	s_branch .LBB1560_154
.LBB1560_120:
	s_mov_b64 s[18:19], 0
                                        ; implicit-def: $vgpr4_vgpr5
	s_cbranch_execz .LBB1560_154
.LBB1560_121:
	s_add_u32 s0, s12, s7
	s_addc_u32 s1, s13, 0
	global_load_ushort v7, v10, s[0:1] offset:20
	global_load_dwordx4 v[2:5], v10, s[0:1]
	global_load_dword v6, v10, s[0:1] offset:16
	v_mov_b32_e32 v9, 8
	s_mov_b32 s7, 0x3020104
	v_lshlrev_b32_e32 v1, 2, v0
	v_mov_b32_e32 v8, 0
	s_mov_b64 s[0:1], -1
	ds_write2st64_b32 v1, v8, v8 offset1:8
	ds_write2st64_b32 v1, v8, v8 offset0:16 offset1:24
	s_waitcnt vmcnt(2)
	v_lshrrev_b32_sdwa v9, v9, v7 dst_sel:BYTE_1 dst_unused:UNUSED_PAD src0_sel:DWORD src1_sel:DWORD
	v_or_b32_sdwa v7, v7, v9 dst_sel:DWORD dst_unused:UNUSED_PAD src0_sel:BYTE_0 src1_sel:DWORD
	s_and_saveexec_b64 s[2:3], s[0:1]
	s_cbranch_execz .LBB1560_123
; %bb.122:
	ds_write_b32 v1, v8 offset:8192
.LBB1560_123:
	s_or_b64 exec, exec, s[2:3]
	v_and_b32_e32 v7, 0xffff, v7
	s_waitcnt vmcnt(0)
	v_perm_b32 v6, v6, v6, s7
	s_and_saveexec_b64 s[2:3], s[0:1]
	s_cbranch_execz .LBB1560_125
; %bb.124:
	v_mov_b32_e32 v8, 0
	ds_write_b32 v1, v8 offset:10240
.LBB1560_125:
	s_or_b64 exec, exec, s[2:3]
	v_cmp_gt_u32_e64 s[0:1], 7, 6
	v_cmp_gt_u32_e64 s[12:13], 7, 5
	s_and_saveexec_b64 s[2:3], s[12:13]
	s_cbranch_execz .LBB1560_127
; %bb.126:
	v_mov_b32_e32 v8, 0
	ds_write_b32 v1, v8 offset:12288
.LBB1560_127:
	s_or_b64 exec, exec, s[2:3]
	s_and_saveexec_b64 s[2:3], s[0:1]
	s_cbranch_execz .LBB1560_129
; %bb.128:
	v_mov_b32_e32 v8, 0
	ds_write_b32 v1, v8 offset:14336
.LBB1560_129:
	s_or_b64 exec, exec, s[2:3]
	v_xor_b32_e32 v1, 0x7f, v2
	s_lshl_b32 s0, -1, s17
	s_not_b32 s7, s0
	v_lshrrev_b32_sdwa v8, s16, v1 dst_sel:DWORD dst_unused:UNUSED_PAD src0_sel:DWORD src1_sel:BYTE_0
	v_and_b32_e32 v8, s7, v8
	v_lshrrev_b32_e32 v9, 3, v8
	v_lshlrev_b32_e32 v8, 9, v8
	s_movk_i32 s0, 0xe00
	v_and_or_b32 v8, v8, s0, v0
	v_lshlrev_b32_e32 v8, 1, v8
	v_add_lshl_u32 v10, v8, v9, 1
	ds_read_u16 v12, v10
	v_lshrrev_b32_e32 v8, 8, v2
	v_xor_b32_e32 v8, 0x7f, v8
	s_movk_i32 s1, 0x7f
	v_lshrrev_b64 v[18:19], 24, v[2:3]
	s_waitcnt lgkmcnt(0)
	v_add_u16_e32 v9, 1, v12
	ds_write_b16 v10, v9
	v_lshrrev_b32_sdwa v9, s16, v8 dst_sel:DWORD dst_unused:UNUSED_PAD src0_sel:DWORD src1_sel:BYTE_0
	v_and_b32_e32 v9, s7, v9
	v_lshrrev_b32_e32 v11, 3, v9
	v_lshlrev_b32_e32 v9, 9, v9
	v_and_or_b32 v9, v9, s0, v0
	v_lshlrev_b32_e32 v9, 1, v9
	v_add_lshl_u32 v28, v9, v11, 1
	ds_read_u16 v14, v28
	v_xor_b32_sdwa v9, v2, s1 dst_sel:DWORD dst_unused:UNUSED_PAD src0_sel:WORD_1 src1_sel:DWORD
	v_lshrrev_b64 v[34:35], 24, v[4:5]
	v_lshrrev_b64 v[64:65], 24, v[6:7]
	s_waitcnt lgkmcnt(0)
	v_add_u16_e32 v11, 1, v14
	ds_write_b16 v28, v11
	v_lshrrev_b32_sdwa v11, s16, v9 dst_sel:DWORD dst_unused:UNUSED_PAD src0_sel:DWORD src1_sel:BYTE_0
	v_and_b32_e32 v11, s7, v11
	v_lshrrev_b32_e32 v13, 3, v11
	v_lshlrev_b32_e32 v11, 9, v11
	v_and_or_b32 v11, v11, s0, v0
	v_lshlrev_b32_e32 v11, 1, v11
	v_add_lshl_u32 v31, v11, v13, 1
	ds_read_u16 v16, v31
	v_xor_b32_e32 v11, 0x7f, v18
	s_waitcnt lgkmcnt(0)
	v_add_u16_e32 v2, 1, v16
	ds_write_b16 v31, v2
	v_lshrrev_b32_sdwa v2, s16, v11 dst_sel:DWORD dst_unused:UNUSED_PAD src0_sel:DWORD src1_sel:BYTE_0
	v_and_b32_e32 v2, s7, v2
	v_lshrrev_b32_e32 v13, 3, v2
	v_lshlrev_b32_e32 v2, 9, v2
	v_and_or_b32 v2, v2, s0, v0
	v_lshlrev_b32_e32 v2, 1, v2
	v_add_lshl_u32 v2, v2, v13, 1
	ds_read_u16 v18, v2
	v_xor_b32_e32 v13, 0x7f, v3
	s_waitcnt lgkmcnt(0)
	v_add_u16_e32 v15, 1, v18
	ds_write_b16 v2, v15
	v_lshrrev_b32_sdwa v15, s16, v13 dst_sel:DWORD dst_unused:UNUSED_PAD src0_sel:DWORD src1_sel:BYTE_0
	v_and_b32_e32 v15, s7, v15
	v_lshrrev_b32_e32 v17, 3, v15
	v_lshlrev_b32_e32 v15, 9, v15
	v_and_or_b32 v15, v15, s0, v0
	v_lshlrev_b32_e32 v15, 1, v15
	v_add_lshl_u32 v36, v15, v17, 1
	ds_read_u16 v20, v36
	v_lshrrev_b32_e32 v15, 8, v3
	v_xor_b32_e32 v15, 0x7f, v15
	s_waitcnt lgkmcnt(0)
	v_add_u16_e32 v17, 1, v20
	ds_write_b16 v36, v17
	v_lshrrev_b32_sdwa v17, s16, v15 dst_sel:DWORD dst_unused:UNUSED_PAD src0_sel:DWORD src1_sel:BYTE_0
	v_and_b32_e32 v17, s7, v17
	v_lshrrev_b32_e32 v19, 3, v17
	v_lshlrev_b32_e32 v17, 9, v17
	v_and_or_b32 v17, v17, s0, v0
	v_lshlrev_b32_e32 v17, 1, v17
	v_add_lshl_u32 v38, v17, v19, 1
	ds_read_u16 v22, v38
	v_xor_b32_sdwa v17, v3, s1 dst_sel:DWORD dst_unused:UNUSED_PAD src0_sel:WORD_1 src1_sel:DWORD
	s_waitcnt lgkmcnt(0)
	v_add_u16_e32 v19, 1, v22
	ds_write_b16 v38, v19
	v_lshrrev_b32_sdwa v19, s16, v17 dst_sel:DWORD dst_unused:UNUSED_PAD src0_sel:DWORD src1_sel:BYTE_0
	v_and_b32_e32 v19, s7, v19
	v_lshrrev_b32_e32 v21, 3, v19
	v_lshlrev_b32_e32 v19, 9, v19
	v_and_or_b32 v19, v19, s0, v0
	v_lshlrev_b32_e32 v19, 1, v19
	v_add_lshl_u32 v41, v19, v21, 1
	ds_read_u16 v24, v41
	v_xor_b32_sdwa v19, v3, s1 dst_sel:DWORD dst_unused:UNUSED_PAD src0_sel:BYTE_3 src1_sel:DWORD
	s_waitcnt lgkmcnt(0)
	v_add_u16_e32 v3, 1, v24
	ds_write_b16 v41, v3
	v_lshrrev_b32_sdwa v3, s16, v19 dst_sel:DWORD dst_unused:UNUSED_PAD src0_sel:DWORD src1_sel:WORD_0
	v_and_b32_e32 v3, s7, v3
	v_lshrrev_b32_e32 v21, 3, v3
	v_lshlrev_b32_e32 v3, 9, v3
	v_and_or_b32 v3, v3, s0, v0
	v_lshlrev_b32_e32 v3, 1, v3
	v_add_lshl_u32 v3, v3, v21, 1
	ds_read_u16 v26, v3
	v_xor_b32_e32 v21, 0x7f, v4
	s_waitcnt lgkmcnt(0)
	v_add_u16_e32 v23, 1, v26
	ds_write_b16 v3, v23
	v_lshrrev_b32_sdwa v23, s16, v21 dst_sel:DWORD dst_unused:UNUSED_PAD src0_sel:DWORD src1_sel:BYTE_0
	v_and_b32_e32 v23, s7, v23
	v_lshrrev_b32_e32 v25, 3, v23
	v_lshlrev_b32_e32 v23, 9, v23
	v_and_or_b32 v23, v23, s0, v0
	v_lshlrev_b32_e32 v23, 1, v23
	v_add_lshl_u32 v46, v23, v25, 1
	ds_read_u16 v27, v46
	v_lshrrev_b32_e32 v23, 8, v4
	v_xor_b32_e32 v23, 0x7f, v23
	s_waitcnt lgkmcnt(0)
	v_add_u16_e32 v25, 1, v27
	ds_write_b16 v46, v25
	v_lshrrev_b32_sdwa v25, s16, v23 dst_sel:DWORD dst_unused:UNUSED_PAD src0_sel:DWORD src1_sel:BYTE_0
	v_and_b32_e32 v25, s7, v25
	v_lshrrev_b32_e32 v29, 3, v25
	v_lshlrev_b32_e32 v25, 9, v25
	v_and_or_b32 v25, v25, s0, v0
	v_lshlrev_b32_e32 v25, 1, v25
	v_add_lshl_u32 v48, v25, v29, 1
	ds_read_u16 v30, v48
	v_xor_b32_sdwa v25, v4, s1 dst_sel:DWORD dst_unused:UNUSED_PAD src0_sel:WORD_1 src1_sel:DWORD
	v_xor_b32_e32 v4, 0x7f, v34
	s_waitcnt lgkmcnt(0)
	v_add_u16_e32 v29, 1, v30
	ds_write_b16 v48, v29
	v_lshrrev_b32_sdwa v29, s16, v25 dst_sel:DWORD dst_unused:UNUSED_PAD src0_sel:DWORD src1_sel:BYTE_0
	v_and_b32_e32 v29, s7, v29
	v_lshrrev_b32_e32 v32, 3, v29
	v_lshlrev_b32_e32 v29, 9, v29
	v_and_or_b32 v29, v29, s0, v0
	v_lshlrev_b32_e32 v29, 1, v29
	v_add_lshl_u32 v51, v29, v32, 1
	ds_read_u16 v33, v51
	s_waitcnt lgkmcnt(0)
	v_add_u16_e32 v29, 1, v33
	ds_write_b16 v51, v29
	v_lshrrev_b32_sdwa v29, s16, v4 dst_sel:DWORD dst_unused:UNUSED_PAD src0_sel:DWORD src1_sel:BYTE_0
	v_and_b32_e32 v29, s7, v29
	v_lshrrev_b32_e32 v32, 3, v29
	v_lshlrev_b32_e32 v29, 9, v29
	v_and_or_b32 v29, v29, s0, v0
	v_lshlrev_b32_e32 v29, 1, v29
	v_add_lshl_u32 v53, v29, v32, 1
	ds_read_u16 v35, v53
	v_xor_b32_e32 v29, 0x7f, v5
	s_waitcnt lgkmcnt(0)
	v_add_u16_e32 v32, 1, v35
	ds_write_b16 v53, v32
	v_lshrrev_b32_sdwa v32, s16, v29 dst_sel:DWORD dst_unused:UNUSED_PAD src0_sel:DWORD src1_sel:BYTE_0
	v_and_b32_e32 v32, s7, v32
	v_lshrrev_b32_e32 v34, 3, v32
	v_lshlrev_b32_e32 v32, 9, v32
	v_and_or_b32 v32, v32, s0, v0
	v_lshlrev_b32_e32 v32, 1, v32
	v_add_lshl_u32 v55, v32, v34, 1
	ds_read_u16 v37, v55
	v_lshrrev_b32_e32 v32, 8, v5
	v_xor_b32_e32 v32, 0x7f, v32
	s_waitcnt lgkmcnt(0)
	v_add_u16_e32 v34, 1, v37
	ds_write_b16 v55, v34
	v_lshrrev_b32_sdwa v34, s16, v32 dst_sel:DWORD dst_unused:UNUSED_PAD src0_sel:DWORD src1_sel:BYTE_0
	v_and_b32_e32 v34, s7, v34
	v_lshrrev_b32_e32 v39, 3, v34
	v_lshlrev_b32_e32 v34, 9, v34
	v_and_or_b32 v34, v34, s0, v0
	v_lshlrev_b32_e32 v34, 1, v34
	v_add_lshl_u32 v57, v34, v39, 1
	ds_read_u16 v40, v57
	v_xor_b32_sdwa v34, v5, s1 dst_sel:DWORD dst_unused:UNUSED_PAD src0_sel:WORD_1 src1_sel:DWORD
	v_xor_b32_sdwa v5, v5, s1 dst_sel:DWORD dst_unused:UNUSED_PAD src0_sel:BYTE_3 src1_sel:DWORD
	s_waitcnt lgkmcnt(0)
	v_add_u16_e32 v39, 1, v40
	ds_write_b16 v57, v39
	v_lshrrev_b32_sdwa v39, s16, v34 dst_sel:DWORD dst_unused:UNUSED_PAD src0_sel:DWORD src1_sel:BYTE_0
	v_and_b32_e32 v39, s7, v39
	v_lshrrev_b32_e32 v42, 3, v39
	v_lshlrev_b32_e32 v39, 9, v39
	v_and_or_b32 v39, v39, s0, v0
	v_lshlrev_b32_e32 v39, 1, v39
	v_add_lshl_u32 v59, v39, v42, 1
	ds_read_u16 v43, v59
	s_waitcnt lgkmcnt(0)
	v_add_u16_e32 v39, 1, v43
	ds_write_b16 v59, v39
	v_lshrrev_b32_sdwa v39, s16, v5 dst_sel:DWORD dst_unused:UNUSED_PAD src0_sel:DWORD src1_sel:WORD_0
	v_and_b32_e32 v39, s7, v39
	v_lshrrev_b32_e32 v42, 3, v39
	v_lshlrev_b32_e32 v39, 9, v39
	v_and_or_b32 v39, v39, s0, v0
	v_lshlrev_b32_e32 v39, 1, v39
	v_add_lshl_u32 v60, v39, v42, 1
	ds_read_u16 v45, v60
	v_xor_b32_e32 v39, 0x7f, v6
	s_waitcnt lgkmcnt(0)
	v_add_u16_e32 v42, 1, v45
	ds_write_b16 v60, v42
	v_lshrrev_b32_sdwa v42, s16, v39 dst_sel:DWORD dst_unused:UNUSED_PAD src0_sel:DWORD src1_sel:BYTE_0
	v_and_b32_e32 v42, s7, v42
	v_lshrrev_b32_e32 v44, 3, v42
	v_lshlrev_b32_e32 v42, 9, v42
	v_and_or_b32 v42, v42, s0, v0
	v_lshlrev_b32_e32 v42, 1, v42
	v_add_lshl_u32 v61, v42, v44, 1
	ds_read_u16 v47, v61
	v_lshrrev_b32_e32 v42, 8, v6
	v_xor_b32_e32 v42, 0x7f, v42
	s_waitcnt lgkmcnt(0)
	v_add_u16_e32 v44, 1, v47
	ds_write_b16 v61, v44
	v_lshrrev_b32_sdwa v44, s16, v42 dst_sel:DWORD dst_unused:UNUSED_PAD src0_sel:DWORD src1_sel:BYTE_0
	v_and_b32_e32 v44, s7, v44
	v_lshrrev_b32_e32 v49, 3, v44
	v_lshlrev_b32_e32 v44, 9, v44
	v_and_or_b32 v44, v44, s0, v0
	v_lshlrev_b32_e32 v44, 1, v44
	v_add_lshl_u32 v62, v44, v49, 1
	ds_read_u16 v50, v62
	v_xor_b32_sdwa v44, v6, s1 dst_sel:DWORD dst_unused:UNUSED_PAD src0_sel:WORD_1 src1_sel:DWORD
	v_xor_b32_e32 v6, 0x7f, v64
	s_waitcnt lgkmcnt(0)
	v_add_u16_e32 v49, 1, v50
	ds_write_b16 v62, v49
	v_lshrrev_b32_sdwa v49, s16, v44 dst_sel:DWORD dst_unused:UNUSED_PAD src0_sel:DWORD src1_sel:BYTE_0
	v_and_b32_e32 v49, s7, v49
	v_lshrrev_b32_e32 v52, 3, v49
	v_lshlrev_b32_e32 v49, 9, v49
	v_and_or_b32 v49, v49, s0, v0
	v_lshlrev_b32_e32 v49, 1, v49
	v_add_lshl_u32 v63, v49, v52, 1
	ds_read_u16 v52, v63
	s_waitcnt lgkmcnt(0)
	v_add_u16_e32 v49, 1, v52
	ds_write_b16 v63, v49
	v_lshrrev_b32_sdwa v49, s16, v6 dst_sel:DWORD dst_unused:UNUSED_PAD src0_sel:DWORD src1_sel:BYTE_0
	v_and_b32_e32 v49, s7, v49
	v_lshrrev_b32_e32 v54, 3, v49
	v_lshlrev_b32_e32 v49, 9, v49
	v_and_or_b32 v49, v49, s0, v0
	v_lshlrev_b32_e32 v49, 1, v49
	v_add_lshl_u32 v64, v49, v54, 1
	ds_read_u16 v54, v64
	v_xor_b32_e32 v49, 0x7f, v7
	v_lshrrev_b32_e32 v7, 8, v7
	v_xor_b32_e32 v7, 0x7f, v7
	s_waitcnt lgkmcnt(0)
	v_add_u16_e32 v56, 1, v54
	ds_write_b16 v64, v56
	v_lshrrev_b32_sdwa v56, s16, v49 dst_sel:DWORD dst_unused:UNUSED_PAD src0_sel:DWORD src1_sel:BYTE_0
	v_and_b32_e32 v56, s7, v56
	v_lshrrev_b32_e32 v58, 3, v56
	v_lshlrev_b32_e32 v56, 9, v56
	v_and_or_b32 v56, v56, s0, v0
	v_lshlrev_b32_e32 v56, 1, v56
	v_add_lshl_u32 v65, v56, v58, 1
	ds_read_u16 v56, v65
	s_waitcnt lgkmcnt(0)
	v_add_u16_e32 v58, 1, v56
	ds_write_b16 v65, v58
	v_lshrrev_b32_sdwa v58, s16, v7 dst_sel:DWORD dst_unused:UNUSED_PAD src0_sel:DWORD src1_sel:BYTE_0
	v_and_b32_e32 v58, s7, v58
	v_lshrrev_b32_e32 v66, 3, v58
	v_lshlrev_b32_e32 v58, 9, v58
	v_and_or_b32 v58, v58, s0, v0
	v_lshlrev_b32_e32 v58, 1, v58
	v_add_lshl_u32 v66, v58, v66, 1
	ds_read_u16 v58, v66
	s_waitcnt lgkmcnt(0)
	v_add_u16_e32 v67, 1, v58
	ds_write_b16 v66, v67
	v_lshlrev_b32_e32 v67, 5, v0
	s_waitcnt lgkmcnt(0)
	s_barrier
	ds_read2_b64 v[68:71], v67 offset1:1
	ds_read2_b64 v[72:75], v67 offset0:2 offset1:3
	s_waitcnt lgkmcnt(1)
	v_add_u32_e32 v68, v69, v68
	v_add3_u32 v68, v68, v70, v71
	s_waitcnt lgkmcnt(0)
	v_add3_u32 v68, v68, v72, v73
	v_add3_u32 v69, v68, v74, v75
	v_mbcnt_lo_u32_b32 v68, -1, 0
	v_mbcnt_hi_u32_b32 v68, -1, v68
	v_and_b32_e32 v70, 15, v68
	v_mov_b32_dpp v71, v69 row_shr:1 row_mask:0xf bank_mask:0xf
	v_cmp_ne_u32_e32 vcc, 0, v70
	v_cndmask_b32_e32 v71, 0, v71, vcc
	v_add_u32_e32 v69, v71, v69
	v_cmp_lt_u32_e32 vcc, 1, v70
	s_nop 0
	v_mov_b32_dpp v71, v69 row_shr:2 row_mask:0xf bank_mask:0xf
	v_cndmask_b32_e32 v71, 0, v71, vcc
	v_add_u32_e32 v69, v69, v71
	v_cmp_lt_u32_e32 vcc, 3, v70
	s_nop 0
	v_mov_b32_dpp v71, v69 row_shr:4 row_mask:0xf bank_mask:0xf
	;; [unrolled: 5-line block ×3, first 2 shown]
	v_cndmask_b32_e32 v70, 0, v71, vcc
	v_add_u32_e32 v69, v69, v70
	v_bfe_i32 v71, v68, 4, 1
	v_cmp_lt_u32_e32 vcc, 31, v68
	v_mov_b32_dpp v70, v69 row_bcast:15 row_mask:0xf bank_mask:0xf
	v_and_b32_e32 v70, v71, v70
	v_add_u32_e32 v69, v69, v70
	v_or_b32_e32 v71, 63, v0
	s_nop 0
	v_mov_b32_dpp v70, v69 row_bcast:31 row_mask:0xf bank_mask:0xf
	v_cndmask_b32_e32 v70, 0, v70, vcc
	v_add_u32_e32 v69, v69, v70
	v_lshrrev_b32_e32 v70, 6, v0
	v_cmp_eq_u32_e32 vcc, v71, v0
	v_lshlrev_b32_e32 v70, 2, v70
	s_and_saveexec_b64 s[0:1], vcc
	s_cbranch_execz .LBB1560_131
; %bb.130:
	ds_write_b32 v70, v69 offset:16384
.LBB1560_131:
	s_or_b64 exec, exec, s[0:1]
	v_cmp_gt_u32_e32 vcc, 8, v0
	s_waitcnt lgkmcnt(0)
	s_barrier
	s_and_saveexec_b64 s[0:1], vcc
	s_cbranch_execz .LBB1560_133
; %bb.132:
	s_movk_i32 s2, 0xffe4
	v_mad_i32_i24 v71, v0, s2, v67
	ds_read_b32 v72, v71 offset:16384
	v_and_b32_e32 v73, 7, v68
	v_cmp_ne_u32_e32 vcc, 0, v73
	s_waitcnt lgkmcnt(0)
	v_mov_b32_dpp v74, v72 row_shr:1 row_mask:0xf bank_mask:0xf
	v_cndmask_b32_e32 v74, 0, v74, vcc
	v_add_u32_e32 v72, v74, v72
	v_cmp_lt_u32_e32 vcc, 1, v73
	s_nop 0
	v_mov_b32_dpp v74, v72 row_shr:2 row_mask:0xf bank_mask:0xf
	v_cndmask_b32_e32 v74, 0, v74, vcc
	v_add_u32_e32 v72, v72, v74
	v_cmp_lt_u32_e32 vcc, 3, v73
	s_nop 0
	v_mov_b32_dpp v74, v72 row_shr:4 row_mask:0xf bank_mask:0xf
	v_cndmask_b32_e32 v73, 0, v74, vcc
	v_add_u32_e32 v72, v72, v73
	ds_write_b32 v71, v72 offset:16384
.LBB1560_133:
	s_or_b64 exec, exec, s[0:1]
	v_cmp_lt_u32_e32 vcc, 63, v0
	v_mov_b32_e32 v72, 0
	v_mov_b32_e32 v71, 0
	s_waitcnt lgkmcnt(0)
	s_barrier
	s_and_saveexec_b64 s[0:1], vcc
	s_cbranch_execz .LBB1560_135
; %bb.134:
	ds_read_b32 v71, v70 offset:16380
.LBB1560_135:
	s_or_b64 exec, exec, s[0:1]
	v_add_u32_e32 v70, -1, v68
	v_and_b32_e32 v73, 64, v68
	v_cmp_lt_i32_e32 vcc, v70, v73
	v_cndmask_b32_e32 v70, v70, v68, vcc
	s_waitcnt lgkmcnt(0)
	v_add_u32_e32 v69, v71, v69
	v_lshlrev_b32_e32 v70, 2, v70
	ds_bpermute_b32 v69, v70, v69
	ds_read_b32 v70, v72 offset:16412
	ds_read2_b64 v[72:75], v67 offset1:1
	v_cmp_eq_u32_e32 vcc, 0, v68
	ds_read_b32 v76, v67 offset:24
	v_cmp_lt_u32_e64 s[0:1], 15, v0
	s_waitcnt lgkmcnt(3)
	v_cndmask_b32_e32 v68, v69, v71, vcc
	s_waitcnt lgkmcnt(2)
	v_lshl_add_u32 v68, v70, 16, v68
	ds_read_b64 v[70:71], v67 offset:16
	s_waitcnt lgkmcnt(2)
	v_add_u32_e32 v69, v68, v72
	v_add_u32_e32 v72, v73, v69
	;; [unrolled: 1-line block ×3, first 2 shown]
	ds_write2_b64 v67, v[68:69], v[72:73] offset1:1
	v_add_u32_e32 v68, v75, v73
	s_waitcnt lgkmcnt(1)
	v_add_u32_e32 v69, v70, v68
	v_add_u32_e32 v70, v71, v69
	v_add_u32_e32 v71, v76, v70
	ds_write2_b64 v67, v[68:69], v[70:71] offset0:2 offset1:3
	s_waitcnt lgkmcnt(0)
	s_barrier
	ds_read_u16 v67, v10
	ds_read_u16 v28, v28
	;; [unrolled: 1-line block ×22, first 2 shown]
	v_cmp_gt_u32_e32 vcc, 16, v0
	v_pk_mov_b32 v[2:3], 0, 0
                                        ; implicit-def: $vgpr10
	s_and_saveexec_b64 s[12:13], vcc
	s_cbranch_execz .LBB1560_139
; %bb.136:
	v_lshrrev_b32_e32 v2, 3, v0
	v_lshlrev_b32_e32 v3, 10, v0
	s_movk_i32 s17, 0x1c00
	v_and_or_b32 v2, v3, s17, v2
	v_lshlrev_b32_e32 v2, 1, v2
	ds_read_u16 v2, v2
	v_add_u32_e32 v10, 1, v0
	v_cmp_ne_u32_e64 s[2:3], 16, v10
	v_mov_b32_e32 v3, 0x2c00
	s_and_saveexec_b64 s[22:23], s[2:3]
	s_cbranch_execz .LBB1560_138
; %bb.137:
	v_lshlrev_b32_e32 v3, 10, v10
	v_lshrrev_b32_e32 v10, 3, v10
	v_and_or_b32 v3, v3, s17, v10
	v_lshlrev_b32_e32 v3, 1, v3
	ds_read_u16 v3, v3
.LBB1560_138:
	s_or_b64 exec, exec, s[22:23]
	s_waitcnt lgkmcnt(0)
	v_and_b32_e32 v2, 0xffff, v2
	s_mov_b32 s2, 0
	v_sub_u32_e32 v10, v3, v2
	v_mov_b32_e32 v3, s2
.LBB1560_139:
	s_or_b64 exec, exec, s[12:13]
	s_waitcnt lgkmcnt(14)
	v_add_u32_sdwa v12, v67, v12 dst_sel:DWORD dst_unused:UNUSED_PAD src0_sel:WORD_0 src1_sel:WORD_0
	v_add_u32_sdwa v14, v28, v14 dst_sel:DWORD dst_unused:UNUSED_PAD src0_sel:WORD_0 src1_sel:WORD_0
	;; [unrolled: 1-line block ×8, first 2 shown]
	s_waitcnt lgkmcnt(13)
	v_add_u32_sdwa v27, v46, v27 dst_sel:DWORD dst_unused:UNUSED_PAD src0_sel:WORD_0 src1_sel:WORD_0
	s_waitcnt lgkmcnt(12)
	v_add_u32_sdwa v28, v48, v30 dst_sel:DWORD dst_unused:UNUSED_PAD src0_sel:WORD_0 src1_sel:WORD_0
	;; [unrolled: 2-line block ×14, first 2 shown]
	s_barrier
	ds_write_b8 v12, v1 offset:128
	ds_write_b8 v14, v8 offset:128
	;; [unrolled: 1-line block ×22, first 2 shown]
	s_and_saveexec_b64 s[2:3], s[0:1]
	s_xor_b64 s[0:1], exec, s[2:3]
; %bb.140:
	v_mov_b32_e32 v1, 0
; %bb.141:
	s_andn2_saveexec_b64 s[2:3], s[0:1]
	s_cbranch_execz .LBB1560_151
; %bb.142:
	v_lshl_or_b32 v4, s6, 4, v0
	v_mov_b32_e32 v5, 0
	v_lshlrev_b64 v[6:7], 2, v[4:5]
	v_mov_b32_e32 v1, s21
	v_add_co_u32_e64 v6, s[0:1], s20, v6
	v_addc_co_u32_e64 v7, s[0:1], v1, v7, s[0:1]
	v_or_b32_e32 v4, 2.0, v10
	s_mov_b64 s[12:13], 0
	s_brev_b32 s17, 1
	s_mov_b32 s21, s6
	v_mov_b32_e32 v11, 0
	global_store_dword v[6:7], v4, off
                                        ; implicit-def: $sgpr0_sgpr1
	s_branch .LBB1560_145
.LBB1560_143:                           ;   in Loop: Header=BB1560_145 Depth=1
	s_or_b64 exec, exec, s[24:25]
.LBB1560_144:                           ;   in Loop: Header=BB1560_145 Depth=1
	s_or_b64 exec, exec, s[22:23]
	v_and_b32_e32 v8, 0x3fffffff, v12
	v_add_u32_e32 v11, v8, v11
	v_cmp_eq_u32_e64 s[0:1], s17, v4
	s_and_b64 s[22:23], exec, s[0:1]
	s_or_b64 s[12:13], s[22:23], s[12:13]
	s_andn2_b64 exec, exec, s[12:13]
	s_cbranch_execz .LBB1560_150
.LBB1560_145:                           ; =>This Loop Header: Depth=1
                                        ;     Child Loop BB1560_148 Depth 2
	s_or_b64 s[0:1], s[0:1], exec
	s_cmp_eq_u32 s21, 0
	s_cbranch_scc1 .LBB1560_149
; %bb.146:                              ;   in Loop: Header=BB1560_145 Depth=1
	s_add_i32 s21, s21, -1
	v_lshl_or_b32 v4, s21, 4, v0
	v_lshlrev_b64 v[8:9], 2, v[4:5]
	v_add_co_u32_e64 v8, s[0:1], s20, v8
	v_addc_co_u32_e64 v9, s[0:1], v1, v9, s[0:1]
	global_load_dword v12, v[8:9], off glc
	s_waitcnt vmcnt(0)
	v_and_b32_e32 v4, -2.0, v12
	v_cmp_eq_u32_e64 s[0:1], 0, v4
	s_and_saveexec_b64 s[22:23], s[0:1]
	s_cbranch_execz .LBB1560_144
; %bb.147:                              ;   in Loop: Header=BB1560_145 Depth=1
	s_mov_b64 s[24:25], 0
.LBB1560_148:                           ;   Parent Loop BB1560_145 Depth=1
                                        ; =>  This Inner Loop Header: Depth=2
	global_load_dword v12, v[8:9], off glc
	s_waitcnt vmcnt(0)
	v_and_b32_e32 v4, -2.0, v12
	v_cmp_ne_u32_e64 s[0:1], 0, v4
	s_or_b64 s[24:25], s[0:1], s[24:25]
	s_andn2_b64 exec, exec, s[24:25]
	s_cbranch_execnz .LBB1560_148
	s_branch .LBB1560_143
.LBB1560_149:                           ;   in Loop: Header=BB1560_145 Depth=1
                                        ; implicit-def: $sgpr21
	s_and_b64 s[22:23], exec, s[0:1]
	s_or_b64 s[12:13], s[22:23], s[12:13]
	s_andn2_b64 exec, exec, s[12:13]
	s_cbranch_execnz .LBB1560_145
.LBB1560_150:
	s_or_b64 exec, exec, s[12:13]
	v_add_u32_e32 v1, v11, v10
	v_or_b32_e32 v1, 0x80000000, v1
	global_store_dword v[6:7], v1, off
	v_lshlrev_b32_e32 v6, 3, v0
	global_load_dwordx2 v[4:5], v6, s[8:9]
	v_sub_co_u32_e64 v7, s[0:1], v11, v2
	v_subb_co_u32_e64 v8, s[0:1], 0, v3, s[0:1]
	v_mov_b32_e32 v1, 0
	s_waitcnt vmcnt(0)
	v_add_co_u32_e64 v4, s[0:1], v7, v4
	v_addc_co_u32_e64 v5, s[0:1], v8, v5, s[0:1]
	ds_write_b64 v6, v[4:5]
.LBB1560_151:
	s_or_b64 exec, exec, s[2:3]
	s_waitcnt lgkmcnt(0)
	s_barrier
	ds_read_u8 v11, v0 offset:10368
	ds_read_u8 v18, v0 offset:9344
	;; [unrolled: 1-line block ×5, first 2 shown]
	s_waitcnt lgkmcnt(4)
	v_lshrrev_b32_sdwa v4, s16, v11 dst_sel:DWORD dst_unused:UNUSED_PAD src0_sel:DWORD src1_sel:BYTE_0
	v_and_b32_e32 v4, s7, v4
	v_lshlrev_b32_e32 v4, 3, v4
	ds_read_b64 v[6:7], v4
	ds_read_u8 v8, v0 offset:128
	s_waitcnt lgkmcnt(2)
	v_lshrrev_b32_sdwa v4, s16, v21 dst_sel:DWORD dst_unused:UNUSED_PAD src0_sel:DWORD src1_sel:BYTE_0
	v_and_b32_e32 v4, s7, v4
	v_lshlrev_b32_e32 v4, 3, v4
	ds_read_b64 v[4:5], v4
	s_waitcnt lgkmcnt(1)
	v_lshrrev_b32_sdwa v9, s16, v8 dst_sel:DWORD dst_unused:UNUSED_PAD src0_sel:DWORD src1_sel:BYTE_0
	v_and_b32_e32 v9, s7, v9
	v_xor_b32_e32 v22, 0x7f, v8
	v_lshlrev_b32_e32 v8, 3, v9
	v_lshrrev_b32_sdwa v9, s16, v20 dst_sel:DWORD dst_unused:UNUSED_PAD src0_sel:DWORD src1_sel:BYTE_0
	v_and_b32_e32 v9, s7, v9
	v_lshlrev_b32_e32 v12, 3, v9
	ds_read_u8 v24, v0 offset:1152
	ds_read_u8 v25, v0 offset:1664
	;; [unrolled: 1-line block ×8, first 2 shown]
	s_waitcnt lgkmcnt(7)
	v_lshrrev_b32_sdwa v9, s16, v24 dst_sel:DWORD dst_unused:UNUSED_PAD src0_sel:DWORD src1_sel:BYTE_0
	v_and_b32_e32 v9, s7, v9
	v_lshlrev_b32_e32 v14, 3, v9
	s_waitcnt lgkmcnt(6)
	v_lshrrev_b32_sdwa v9, s16, v25 dst_sel:DWORD dst_unused:UNUSED_PAD src0_sel:DWORD src1_sel:BYTE_0
	v_and_b32_e32 v9, s7, v9
	v_lshlrev_b32_e32 v16, 3, v9
	ds_read_b64 v[8:9], v8
	ds_read_b64 v[12:13], v12
	;; [unrolled: 1-line block ×4, first 2 shown]
	v_mov_b32_e32 v23, s15
	s_waitcnt lgkmcnt(3)
	v_add_co_u32_e64 v8, s[0:1], s14, v8
	v_addc_co_u32_e64 v9, s[0:1], v23, v9, s[0:1]
	v_add_co_u32_e64 v8, s[0:1], v8, v0
	v_addc_co_u32_e64 v9, s[0:1], v9, v1, s[0:1]
	global_store_byte v[8:9], v22, off
	v_mov_b32_e32 v8, s15
	s_waitcnt lgkmcnt(2)
	v_add_co_u32_e64 v9, s[0:1], s14, v12
	v_addc_co_u32_e64 v12, s[0:1], v8, v13, s[0:1]
	v_add_co_u32_e64 v8, s[0:1], v9, v0
	v_xor_b32_e32 v20, 0x7f, v20
	v_addc_co_u32_e64 v9, s[0:1], v12, v1, s[0:1]
	global_store_byte v[8:9], v20, off offset:512
	v_mov_b32_e32 v8, s15
	s_waitcnt lgkmcnt(1)
	v_add_co_u32_e64 v9, s[0:1], s14, v14
	v_addc_co_u32_e64 v13, s[0:1], v8, v15, s[0:1]
	v_add_co_u32_e64 v8, s[0:1], v9, v0
	v_xor_b32_e32 v12, 0x7f, v24
	v_addc_co_u32_e64 v9, s[0:1], v13, v1, s[0:1]
	global_store_byte v[8:9], v12, off offset:1024
	;; [unrolled: 8-line block ×3, first 2 shown]
	v_lshrrev_b32_sdwa v9, s16, v27 dst_sel:DWORD dst_unused:UNUSED_PAD src0_sel:DWORD src1_sel:BYTE_0
	v_and_b32_e32 v9, s7, v9
	v_lshlrev_b32_e32 v12, 3, v9
	v_lshrrev_b32_sdwa v9, s16, v28 dst_sel:DWORD dst_unused:UNUSED_PAD src0_sel:DWORD src1_sel:BYTE_0
	v_and_b32_e32 v9, s7, v9
	v_lshrrev_b32_sdwa v8, s16, v26 dst_sel:DWORD dst_unused:UNUSED_PAD src0_sel:DWORD src1_sel:BYTE_0
	v_lshlrev_b32_e32 v14, 3, v9
	v_lshrrev_b32_sdwa v9, s16, v29 dst_sel:DWORD dst_unused:UNUSED_PAD src0_sel:DWORD src1_sel:BYTE_0
	v_and_b32_e32 v8, s7, v8
	v_and_b32_e32 v9, s7, v9
	v_lshlrev_b32_e32 v8, 3, v8
	v_lshlrev_b32_e32 v16, 3, v9
	ds_read_b64 v[8:9], v8
	ds_read_b64 v[12:13], v12
	;; [unrolled: 1-line block ×4, first 2 shown]
	v_mov_b32_e32 v22, s15
	s_waitcnt lgkmcnt(3)
	v_add_co_u32_e64 v8, s[0:1], s14, v8
	v_addc_co_u32_e64 v9, s[0:1], v22, v9, s[0:1]
	v_add_co_u32_e64 v8, s[0:1], v8, v0
	v_xor_b32_e32 v20, 0x7f, v26
	v_addc_co_u32_e64 v9, s[0:1], v9, v1, s[0:1]
	global_store_byte v[8:9], v20, off offset:2048
	v_mov_b32_e32 v8, s15
	s_waitcnt lgkmcnt(2)
	v_add_co_u32_e64 v9, s[0:1], s14, v12
	v_addc_co_u32_e64 v12, s[0:1], v8, v13, s[0:1]
	v_add_co_u32_e64 v8, s[0:1], v9, v0
	v_xor_b32_e32 v20, 0x7f, v27
	v_addc_co_u32_e64 v9, s[0:1], v12, v1, s[0:1]
	global_store_byte v[8:9], v20, off offset:2560
	;; [unrolled: 8-line block ×4, first 2 shown]
	v_lshrrev_b32_sdwa v9, s16, v31 dst_sel:DWORD dst_unused:UNUSED_PAD src0_sel:DWORD src1_sel:BYTE_0
	v_and_b32_e32 v9, s7, v9
	v_lshrrev_b32_sdwa v8, s16, v30 dst_sel:DWORD dst_unused:UNUSED_PAD src0_sel:DWORD src1_sel:BYTE_0
	v_xor_b32_e32 v22, 0x7f, v30
	v_lshlrev_b32_e32 v12, 3, v9
	ds_read_u8 v24, v0 offset:5248
	ds_read_u8 v25, v0 offset:5760
	;; [unrolled: 1-line block ×8, first 2 shown]
	s_waitcnt lgkmcnt(7)
	v_lshrrev_b32_sdwa v9, s16, v24 dst_sel:DWORD dst_unused:UNUSED_PAD src0_sel:DWORD src1_sel:BYTE_0
	v_and_b32_e32 v9, s7, v9
	v_lshlrev_b32_e32 v14, 3, v9
	s_waitcnt lgkmcnt(6)
	v_lshrrev_b32_sdwa v9, s16, v25 dst_sel:DWORD dst_unused:UNUSED_PAD src0_sel:DWORD src1_sel:BYTE_0
	v_and_b32_e32 v8, s7, v8
	v_and_b32_e32 v9, s7, v9
	v_lshlrev_b32_e32 v8, 3, v8
	v_lshlrev_b32_e32 v16, 3, v9
	ds_read_b64 v[8:9], v8
	ds_read_b64 v[12:13], v12
	;; [unrolled: 1-line block ×4, first 2 shown]
	v_or_b32_e32 v20, 0x1000, v0
	s_waitcnt lgkmcnt(3)
	v_add_co_u32_e64 v8, s[0:1], s14, v8
	v_addc_co_u32_e64 v9, s[0:1], v23, v9, s[0:1]
	v_add_co_u32_e64 v8, s[0:1], v8, v20
	v_addc_co_u32_e64 v9, s[0:1], 0, v9, s[0:1]
	global_store_byte v[8:9], v22, off
	v_mov_b32_e32 v9, s15
	s_waitcnt lgkmcnt(2)
	v_add_co_u32_e64 v12, s[0:1], s14, v12
	v_or_b32_e32 v8, 0x1200, v0
	v_addc_co_u32_e64 v9, s[0:1], v9, v13, s[0:1]
	v_add_co_u32_e64 v8, s[0:1], v12, v8
	v_xor_b32_e32 v20, 0x7f, v31
	v_addc_co_u32_e64 v9, s[0:1], 0, v9, s[0:1]
	global_store_byte v[8:9], v20, off
	v_mov_b32_e32 v9, s15
	s_waitcnt lgkmcnt(1)
	v_add_co_u32_e64 v13, s[0:1], s14, v14
	v_or_b32_e32 v8, 0x1400, v0
	v_addc_co_u32_e64 v9, s[0:1], v9, v15, s[0:1]
	v_add_co_u32_e64 v8, s[0:1], v13, v8
	v_xor_b32_e32 v12, 0x7f, v24
	;; [unrolled: 9-line block ×3, first 2 shown]
	v_addc_co_u32_e64 v9, s[0:1], 0, v9, s[0:1]
	global_store_byte v[8:9], v12, off
	v_lshrrev_b32_sdwa v9, s16, v27 dst_sel:DWORD dst_unused:UNUSED_PAD src0_sel:DWORD src1_sel:BYTE_0
	v_and_b32_e32 v9, s7, v9
	v_lshlrev_b32_e32 v12, 3, v9
	v_lshrrev_b32_sdwa v9, s16, v28 dst_sel:DWORD dst_unused:UNUSED_PAD src0_sel:DWORD src1_sel:BYTE_0
	v_and_b32_e32 v9, s7, v9
	v_lshrrev_b32_sdwa v8, s16, v26 dst_sel:DWORD dst_unused:UNUSED_PAD src0_sel:DWORD src1_sel:BYTE_0
	v_lshlrev_b32_e32 v14, 3, v9
	v_lshrrev_b32_sdwa v9, s16, v29 dst_sel:DWORD dst_unused:UNUSED_PAD src0_sel:DWORD src1_sel:BYTE_0
	v_and_b32_e32 v8, s7, v8
	v_and_b32_e32 v9, s7, v9
	v_lshlrev_b32_e32 v8, 3, v8
	v_lshlrev_b32_e32 v16, 3, v9
	ds_read_b64 v[8:9], v8
	ds_read_b64 v[12:13], v12
	;; [unrolled: 1-line block ×4, first 2 shown]
	v_or_b32_e32 v20, 0x1800, v0
	s_waitcnt lgkmcnt(3)
	v_add_co_u32_e64 v8, s[0:1], s14, v8
	v_addc_co_u32_e64 v9, s[0:1], v23, v9, s[0:1]
	v_add_co_u32_e64 v8, s[0:1], v8, v20
	v_xor_b32_e32 v22, 0x7f, v26
	v_addc_co_u32_e64 v9, s[0:1], 0, v9, s[0:1]
	global_store_byte v[8:9], v22, off
	v_mov_b32_e32 v9, s15
	s_waitcnt lgkmcnt(2)
	v_add_co_u32_e64 v12, s[0:1], s14, v12
	v_or_b32_e32 v8, 0x1a00, v0
	v_addc_co_u32_e64 v9, s[0:1], v9, v13, s[0:1]
	v_add_co_u32_e64 v8, s[0:1], v12, v8
	v_xor_b32_e32 v20, 0x7f, v27
	v_addc_co_u32_e64 v9, s[0:1], 0, v9, s[0:1]
	global_store_byte v[8:9], v20, off
	v_mov_b32_e32 v9, s15
	s_waitcnt lgkmcnt(1)
	v_add_co_u32_e64 v13, s[0:1], s14, v14
	v_or_b32_e32 v8, 0x1c00, v0
	;; [unrolled: 9-line block ×3, first 2 shown]
	v_addc_co_u32_e64 v9, s[0:1], v9, v17, s[0:1]
	v_add_co_u32_e64 v8, s[0:1], v13, v8
	v_xor_b32_e32 v12, 0x7f, v29
	v_addc_co_u32_e64 v9, s[0:1], 0, v9, s[0:1]
	global_store_byte v[8:9], v12, off
	v_lshrrev_b32_sdwa v9, s16, v32 dst_sel:DWORD dst_unused:UNUSED_PAD src0_sel:DWORD src1_sel:BYTE_0
	v_and_b32_e32 v9, s7, v9
	v_lshlrev_b32_e32 v12, 3, v9
	v_lshrrev_b32_sdwa v9, s16, v18 dst_sel:DWORD dst_unused:UNUSED_PAD src0_sel:DWORD src1_sel:BYTE_0
	v_and_b32_e32 v9, s7, v9
	v_lshrrev_b32_sdwa v8, s16, v30 dst_sel:DWORD dst_unused:UNUSED_PAD src0_sel:DWORD src1_sel:BYTE_0
	v_lshlrev_b32_e32 v14, 3, v9
	v_lshrrev_b32_sdwa v9, s16, v19 dst_sel:DWORD dst_unused:UNUSED_PAD src0_sel:DWORD src1_sel:BYTE_0
	v_and_b32_e32 v8, s7, v8
	v_and_b32_e32 v9, s7, v9
	v_lshlrev_b32_e32 v8, 3, v8
	v_lshlrev_b32_e32 v16, 3, v9
	ds_read_b64 v[8:9], v8
	ds_read_b64 v[12:13], v12
	;; [unrolled: 1-line block ×4, first 2 shown]
	v_or_b32_e32 v20, 0x2000, v0
	s_waitcnt lgkmcnt(3)
	v_add_co_u32_e64 v8, s[0:1], s14, v8
	v_addc_co_u32_e64 v9, s[0:1], v23, v9, s[0:1]
	v_add_co_u32_e64 v8, s[0:1], v8, v20
	v_xor_b32_e32 v22, 0x7f, v30
	v_addc_co_u32_e64 v9, s[0:1], 0, v9, s[0:1]
	global_store_byte v[8:9], v22, off
	v_mov_b32_e32 v9, s15
	s_waitcnt lgkmcnt(2)
	v_add_co_u32_e64 v12, s[0:1], s14, v12
	v_or_b32_e32 v8, 0x2200, v0
	v_addc_co_u32_e64 v9, s[0:1], v9, v13, s[0:1]
	v_add_co_u32_e64 v8, s[0:1], v12, v8
	v_xor_b32_e32 v20, 0x7f, v32
	v_addc_co_u32_e64 v9, s[0:1], 0, v9, s[0:1]
	global_store_byte v[8:9], v20, off
	v_mov_b32_e32 v9, s15
	s_waitcnt lgkmcnt(1)
	v_add_co_u32_e64 v13, s[0:1], s14, v14
	v_or_b32_e32 v8, 0x2400, v0
	;; [unrolled: 9-line block ×3, first 2 shown]
	v_addc_co_u32_e64 v9, s[0:1], v9, v17, s[0:1]
	v_add_co_u32_e64 v8, s[0:1], v13, v8
	v_xor_b32_e32 v12, 0x7f, v19
	v_addc_co_u32_e64 v9, s[0:1], 0, v9, s[0:1]
	global_store_byte v[8:9], v12, off
	v_xor_b32_e32 v9, 0x7f, v11
	v_mov_b32_e32 v11, s15
	v_add_co_u32_e64 v6, s[0:1], s14, v6
	v_or_b32_e32 v8, 0x2800, v0
	v_addc_co_u32_e64 v7, s[0:1], v11, v7, s[0:1]
	v_add_co_u32_e64 v6, s[0:1], v6, v8
	v_addc_co_u32_e64 v7, s[0:1], 0, v7, s[0:1]
	v_mov_b32_e32 v8, s15
	v_add_co_u32_e64 v4, s[0:1], s14, v4
	global_store_byte v[6:7], v9, off
	v_or_b32_e32 v6, 0x2a00, v0
	v_addc_co_u32_e64 v5, s[0:1], v8, v5, s[0:1]
	v_add_co_u32_e64 v4, s[0:1], v4, v6
	v_xor_b32_e32 v7, 0x7f, v21
	v_addc_co_u32_e64 v5, s[0:1], 0, v5, s[0:1]
	global_store_byte v[4:5], v7, off
	s_load_dword s0, s[4:5], 0x58
                                        ; implicit-def: $vgpr4_vgpr5
	s_waitcnt lgkmcnt(0)
	s_add_i32 s0, s0, -1
	s_cmp_eq_u32 s0, s6
	s_cselect_b64 s[0:1], -1, 0
	s_and_b64 s[2:3], vcc, s[0:1]
	s_and_saveexec_b64 s[0:1], s[2:3]
; %bb.152:
	v_add_co_u32_e32 v4, vcc, v2, v10
	v_addc_co_u32_e32 v5, vcc, 0, v3, vcc
	s_or_b64 s[18:19], s[18:19], exec
; %bb.153:
	s_or_b64 exec, exec, s[0:1]
.LBB1560_154:
	s_and_saveexec_b64 s[0:1], s[18:19]
	s_cbranch_execnz .LBB1560_156
; %bb.155:
	s_endpgm
.LBB1560_156:
	v_lshlrev_b32_e32 v2, 3, v0
	ds_read_b64 v[2:3], v2
	v_lshlrev_b64 v[0:1], 3, v[0:1]
	v_mov_b32_e32 v6, s11
	v_add_co_u32_e32 v0, vcc, s10, v0
	v_addc_co_u32_e32 v1, vcc, v6, v1, vcc
	s_waitcnt lgkmcnt(0)
	v_add_co_u32_e32 v2, vcc, v2, v4
	v_addc_co_u32_e32 v3, vcc, v3, v5, vcc
	global_store_dwordx2 v[0:1], v[2:3], off
	s_endpgm
	.section	.rodata,"a",@progbits
	.p2align	6, 0x0
	.amdhsa_kernel _ZN7rocprim17ROCPRIM_400000_NS6detail17trampoline_kernelINS0_14default_configENS1_35radix_sort_onesweep_config_selectorIcNS0_10empty_typeEEEZZNS1_29radix_sort_onesweep_iterationIS3_Lb1EPcS8_PS5_S9_mNS0_19identity_decomposerENS1_16block_id_wrapperIjLb0EEEEE10hipError_tT1_PNSt15iterator_traitsISE_E10value_typeET2_T3_PNSF_ISK_E10value_typeET4_T5_PSP_SQ_PNS1_23onesweep_lookback_stateEbbT6_jjT7_P12ihipStream_tbENKUlT_T0_SE_SJ_E_clIS8_S8_S9_S9_EEDaSX_SY_SE_SJ_EUlSX_E_NS1_11comp_targetILNS1_3genE4ELNS1_11target_archE910ELNS1_3gpuE8ELNS1_3repE0EEENS1_47radix_sort_onesweep_sort_config_static_selectorELNS0_4arch9wavefront6targetE1EEEvSE_
		.amdhsa_group_segment_fixed_size 16424
		.amdhsa_private_segment_fixed_size 0
		.amdhsa_kernarg_size 344
		.amdhsa_user_sgpr_count 6
		.amdhsa_user_sgpr_private_segment_buffer 1
		.amdhsa_user_sgpr_dispatch_ptr 0
		.amdhsa_user_sgpr_queue_ptr 0
		.amdhsa_user_sgpr_kernarg_segment_ptr 1
		.amdhsa_user_sgpr_dispatch_id 0
		.amdhsa_user_sgpr_flat_scratch_init 0
		.amdhsa_user_sgpr_kernarg_preload_length 0
		.amdhsa_user_sgpr_kernarg_preload_offset 0
		.amdhsa_user_sgpr_private_segment_size 0
		.amdhsa_uses_dynamic_stack 0
		.amdhsa_system_sgpr_private_segment_wavefront_offset 0
		.amdhsa_system_sgpr_workgroup_id_x 1
		.amdhsa_system_sgpr_workgroup_id_y 0
		.amdhsa_system_sgpr_workgroup_id_z 0
		.amdhsa_system_sgpr_workgroup_info 0
		.amdhsa_system_vgpr_workitem_id 0
		.amdhsa_next_free_vgpr 79
		.amdhsa_next_free_sgpr 30
		.amdhsa_accum_offset 80
		.amdhsa_reserve_vcc 1
		.amdhsa_reserve_flat_scratch 0
		.amdhsa_float_round_mode_32 0
		.amdhsa_float_round_mode_16_64 0
		.amdhsa_float_denorm_mode_32 3
		.amdhsa_float_denorm_mode_16_64 3
		.amdhsa_dx10_clamp 1
		.amdhsa_ieee_mode 1
		.amdhsa_fp16_overflow 0
		.amdhsa_tg_split 0
		.amdhsa_exception_fp_ieee_invalid_op 0
		.amdhsa_exception_fp_denorm_src 0
		.amdhsa_exception_fp_ieee_div_zero 0
		.amdhsa_exception_fp_ieee_overflow 0
		.amdhsa_exception_fp_ieee_underflow 0
		.amdhsa_exception_fp_ieee_inexact 0
		.amdhsa_exception_int_div_zero 0
	.end_amdhsa_kernel
	.section	.text._ZN7rocprim17ROCPRIM_400000_NS6detail17trampoline_kernelINS0_14default_configENS1_35radix_sort_onesweep_config_selectorIcNS0_10empty_typeEEEZZNS1_29radix_sort_onesweep_iterationIS3_Lb1EPcS8_PS5_S9_mNS0_19identity_decomposerENS1_16block_id_wrapperIjLb0EEEEE10hipError_tT1_PNSt15iterator_traitsISE_E10value_typeET2_T3_PNSF_ISK_E10value_typeET4_T5_PSP_SQ_PNS1_23onesweep_lookback_stateEbbT6_jjT7_P12ihipStream_tbENKUlT_T0_SE_SJ_E_clIS8_S8_S9_S9_EEDaSX_SY_SE_SJ_EUlSX_E_NS1_11comp_targetILNS1_3genE4ELNS1_11target_archE910ELNS1_3gpuE8ELNS1_3repE0EEENS1_47radix_sort_onesweep_sort_config_static_selectorELNS0_4arch9wavefront6targetE1EEEvSE_,"axG",@progbits,_ZN7rocprim17ROCPRIM_400000_NS6detail17trampoline_kernelINS0_14default_configENS1_35radix_sort_onesweep_config_selectorIcNS0_10empty_typeEEEZZNS1_29radix_sort_onesweep_iterationIS3_Lb1EPcS8_PS5_S9_mNS0_19identity_decomposerENS1_16block_id_wrapperIjLb0EEEEE10hipError_tT1_PNSt15iterator_traitsISE_E10value_typeET2_T3_PNSF_ISK_E10value_typeET4_T5_PSP_SQ_PNS1_23onesweep_lookback_stateEbbT6_jjT7_P12ihipStream_tbENKUlT_T0_SE_SJ_E_clIS8_S8_S9_S9_EEDaSX_SY_SE_SJ_EUlSX_E_NS1_11comp_targetILNS1_3genE4ELNS1_11target_archE910ELNS1_3gpuE8ELNS1_3repE0EEENS1_47radix_sort_onesweep_sort_config_static_selectorELNS0_4arch9wavefront6targetE1EEEvSE_,comdat
.Lfunc_end1560:
	.size	_ZN7rocprim17ROCPRIM_400000_NS6detail17trampoline_kernelINS0_14default_configENS1_35radix_sort_onesweep_config_selectorIcNS0_10empty_typeEEEZZNS1_29radix_sort_onesweep_iterationIS3_Lb1EPcS8_PS5_S9_mNS0_19identity_decomposerENS1_16block_id_wrapperIjLb0EEEEE10hipError_tT1_PNSt15iterator_traitsISE_E10value_typeET2_T3_PNSF_ISK_E10value_typeET4_T5_PSP_SQ_PNS1_23onesweep_lookback_stateEbbT6_jjT7_P12ihipStream_tbENKUlT_T0_SE_SJ_E_clIS8_S8_S9_S9_EEDaSX_SY_SE_SJ_EUlSX_E_NS1_11comp_targetILNS1_3genE4ELNS1_11target_archE910ELNS1_3gpuE8ELNS1_3repE0EEENS1_47radix_sort_onesweep_sort_config_static_selectorELNS0_4arch9wavefront6targetE1EEEvSE_, .Lfunc_end1560-_ZN7rocprim17ROCPRIM_400000_NS6detail17trampoline_kernelINS0_14default_configENS1_35radix_sort_onesweep_config_selectorIcNS0_10empty_typeEEEZZNS1_29radix_sort_onesweep_iterationIS3_Lb1EPcS8_PS5_S9_mNS0_19identity_decomposerENS1_16block_id_wrapperIjLb0EEEEE10hipError_tT1_PNSt15iterator_traitsISE_E10value_typeET2_T3_PNSF_ISK_E10value_typeET4_T5_PSP_SQ_PNS1_23onesweep_lookback_stateEbbT6_jjT7_P12ihipStream_tbENKUlT_T0_SE_SJ_E_clIS8_S8_S9_S9_EEDaSX_SY_SE_SJ_EUlSX_E_NS1_11comp_targetILNS1_3genE4ELNS1_11target_archE910ELNS1_3gpuE8ELNS1_3repE0EEENS1_47radix_sort_onesweep_sort_config_static_selectorELNS0_4arch9wavefront6targetE1EEEvSE_
                                        ; -- End function
	.section	.AMDGPU.csdata,"",@progbits
; Kernel info:
; codeLenInByte = 12740
; NumSgprs: 34
; NumVgprs: 79
; NumAgprs: 0
; TotalNumVgprs: 79
; ScratchSize: 0
; MemoryBound: 0
; FloatMode: 240
; IeeeMode: 1
; LDSByteSize: 16424 bytes/workgroup (compile time only)
; SGPRBlocks: 4
; VGPRBlocks: 9
; NumSGPRsForWavesPerEU: 34
; NumVGPRsForWavesPerEU: 79
; AccumOffset: 80
; Occupancy: 6
; WaveLimiterHint : 0
; COMPUTE_PGM_RSRC2:SCRATCH_EN: 0
; COMPUTE_PGM_RSRC2:USER_SGPR: 6
; COMPUTE_PGM_RSRC2:TRAP_HANDLER: 0
; COMPUTE_PGM_RSRC2:TGID_X_EN: 1
; COMPUTE_PGM_RSRC2:TGID_Y_EN: 0
; COMPUTE_PGM_RSRC2:TGID_Z_EN: 0
; COMPUTE_PGM_RSRC2:TIDIG_COMP_CNT: 0
; COMPUTE_PGM_RSRC3_GFX90A:ACCUM_OFFSET: 19
; COMPUTE_PGM_RSRC3_GFX90A:TG_SPLIT: 0
	.section	.text._ZN7rocprim17ROCPRIM_400000_NS6detail17trampoline_kernelINS0_14default_configENS1_35radix_sort_onesweep_config_selectorIcNS0_10empty_typeEEEZZNS1_29radix_sort_onesweep_iterationIS3_Lb1EPcS8_PS5_S9_mNS0_19identity_decomposerENS1_16block_id_wrapperIjLb0EEEEE10hipError_tT1_PNSt15iterator_traitsISE_E10value_typeET2_T3_PNSF_ISK_E10value_typeET4_T5_PSP_SQ_PNS1_23onesweep_lookback_stateEbbT6_jjT7_P12ihipStream_tbENKUlT_T0_SE_SJ_E_clIS8_S8_S9_S9_EEDaSX_SY_SE_SJ_EUlSX_E_NS1_11comp_targetILNS1_3genE3ELNS1_11target_archE908ELNS1_3gpuE7ELNS1_3repE0EEENS1_47radix_sort_onesweep_sort_config_static_selectorELNS0_4arch9wavefront6targetE1EEEvSE_,"axG",@progbits,_ZN7rocprim17ROCPRIM_400000_NS6detail17trampoline_kernelINS0_14default_configENS1_35radix_sort_onesweep_config_selectorIcNS0_10empty_typeEEEZZNS1_29radix_sort_onesweep_iterationIS3_Lb1EPcS8_PS5_S9_mNS0_19identity_decomposerENS1_16block_id_wrapperIjLb0EEEEE10hipError_tT1_PNSt15iterator_traitsISE_E10value_typeET2_T3_PNSF_ISK_E10value_typeET4_T5_PSP_SQ_PNS1_23onesweep_lookback_stateEbbT6_jjT7_P12ihipStream_tbENKUlT_T0_SE_SJ_E_clIS8_S8_S9_S9_EEDaSX_SY_SE_SJ_EUlSX_E_NS1_11comp_targetILNS1_3genE3ELNS1_11target_archE908ELNS1_3gpuE7ELNS1_3repE0EEENS1_47radix_sort_onesweep_sort_config_static_selectorELNS0_4arch9wavefront6targetE1EEEvSE_,comdat
	.protected	_ZN7rocprim17ROCPRIM_400000_NS6detail17trampoline_kernelINS0_14default_configENS1_35radix_sort_onesweep_config_selectorIcNS0_10empty_typeEEEZZNS1_29radix_sort_onesweep_iterationIS3_Lb1EPcS8_PS5_S9_mNS0_19identity_decomposerENS1_16block_id_wrapperIjLb0EEEEE10hipError_tT1_PNSt15iterator_traitsISE_E10value_typeET2_T3_PNSF_ISK_E10value_typeET4_T5_PSP_SQ_PNS1_23onesweep_lookback_stateEbbT6_jjT7_P12ihipStream_tbENKUlT_T0_SE_SJ_E_clIS8_S8_S9_S9_EEDaSX_SY_SE_SJ_EUlSX_E_NS1_11comp_targetILNS1_3genE3ELNS1_11target_archE908ELNS1_3gpuE7ELNS1_3repE0EEENS1_47radix_sort_onesweep_sort_config_static_selectorELNS0_4arch9wavefront6targetE1EEEvSE_ ; -- Begin function _ZN7rocprim17ROCPRIM_400000_NS6detail17trampoline_kernelINS0_14default_configENS1_35radix_sort_onesweep_config_selectorIcNS0_10empty_typeEEEZZNS1_29radix_sort_onesweep_iterationIS3_Lb1EPcS8_PS5_S9_mNS0_19identity_decomposerENS1_16block_id_wrapperIjLb0EEEEE10hipError_tT1_PNSt15iterator_traitsISE_E10value_typeET2_T3_PNSF_ISK_E10value_typeET4_T5_PSP_SQ_PNS1_23onesweep_lookback_stateEbbT6_jjT7_P12ihipStream_tbENKUlT_T0_SE_SJ_E_clIS8_S8_S9_S9_EEDaSX_SY_SE_SJ_EUlSX_E_NS1_11comp_targetILNS1_3genE3ELNS1_11target_archE908ELNS1_3gpuE7ELNS1_3repE0EEENS1_47radix_sort_onesweep_sort_config_static_selectorELNS0_4arch9wavefront6targetE1EEEvSE_
	.globl	_ZN7rocprim17ROCPRIM_400000_NS6detail17trampoline_kernelINS0_14default_configENS1_35radix_sort_onesweep_config_selectorIcNS0_10empty_typeEEEZZNS1_29radix_sort_onesweep_iterationIS3_Lb1EPcS8_PS5_S9_mNS0_19identity_decomposerENS1_16block_id_wrapperIjLb0EEEEE10hipError_tT1_PNSt15iterator_traitsISE_E10value_typeET2_T3_PNSF_ISK_E10value_typeET4_T5_PSP_SQ_PNS1_23onesweep_lookback_stateEbbT6_jjT7_P12ihipStream_tbENKUlT_T0_SE_SJ_E_clIS8_S8_S9_S9_EEDaSX_SY_SE_SJ_EUlSX_E_NS1_11comp_targetILNS1_3genE3ELNS1_11target_archE908ELNS1_3gpuE7ELNS1_3repE0EEENS1_47radix_sort_onesweep_sort_config_static_selectorELNS0_4arch9wavefront6targetE1EEEvSE_
	.p2align	8
	.type	_ZN7rocprim17ROCPRIM_400000_NS6detail17trampoline_kernelINS0_14default_configENS1_35radix_sort_onesweep_config_selectorIcNS0_10empty_typeEEEZZNS1_29radix_sort_onesweep_iterationIS3_Lb1EPcS8_PS5_S9_mNS0_19identity_decomposerENS1_16block_id_wrapperIjLb0EEEEE10hipError_tT1_PNSt15iterator_traitsISE_E10value_typeET2_T3_PNSF_ISK_E10value_typeET4_T5_PSP_SQ_PNS1_23onesweep_lookback_stateEbbT6_jjT7_P12ihipStream_tbENKUlT_T0_SE_SJ_E_clIS8_S8_S9_S9_EEDaSX_SY_SE_SJ_EUlSX_E_NS1_11comp_targetILNS1_3genE3ELNS1_11target_archE908ELNS1_3gpuE7ELNS1_3repE0EEENS1_47radix_sort_onesweep_sort_config_static_selectorELNS0_4arch9wavefront6targetE1EEEvSE_,@function
_ZN7rocprim17ROCPRIM_400000_NS6detail17trampoline_kernelINS0_14default_configENS1_35radix_sort_onesweep_config_selectorIcNS0_10empty_typeEEEZZNS1_29radix_sort_onesweep_iterationIS3_Lb1EPcS8_PS5_S9_mNS0_19identity_decomposerENS1_16block_id_wrapperIjLb0EEEEE10hipError_tT1_PNSt15iterator_traitsISE_E10value_typeET2_T3_PNSF_ISK_E10value_typeET4_T5_PSP_SQ_PNS1_23onesweep_lookback_stateEbbT6_jjT7_P12ihipStream_tbENKUlT_T0_SE_SJ_E_clIS8_S8_S9_S9_EEDaSX_SY_SE_SJ_EUlSX_E_NS1_11comp_targetILNS1_3genE3ELNS1_11target_archE908ELNS1_3gpuE7ELNS1_3repE0EEENS1_47radix_sort_onesweep_sort_config_static_selectorELNS0_4arch9wavefront6targetE1EEEvSE_: ; @_ZN7rocprim17ROCPRIM_400000_NS6detail17trampoline_kernelINS0_14default_configENS1_35radix_sort_onesweep_config_selectorIcNS0_10empty_typeEEEZZNS1_29radix_sort_onesweep_iterationIS3_Lb1EPcS8_PS5_S9_mNS0_19identity_decomposerENS1_16block_id_wrapperIjLb0EEEEE10hipError_tT1_PNSt15iterator_traitsISE_E10value_typeET2_T3_PNSF_ISK_E10value_typeET4_T5_PSP_SQ_PNS1_23onesweep_lookback_stateEbbT6_jjT7_P12ihipStream_tbENKUlT_T0_SE_SJ_E_clIS8_S8_S9_S9_EEDaSX_SY_SE_SJ_EUlSX_E_NS1_11comp_targetILNS1_3genE3ELNS1_11target_archE908ELNS1_3gpuE7ELNS1_3repE0EEENS1_47radix_sort_onesweep_sort_config_static_selectorELNS0_4arch9wavefront6targetE1EEEvSE_
; %bb.0:
	.section	.rodata,"a",@progbits
	.p2align	6, 0x0
	.amdhsa_kernel _ZN7rocprim17ROCPRIM_400000_NS6detail17trampoline_kernelINS0_14default_configENS1_35radix_sort_onesweep_config_selectorIcNS0_10empty_typeEEEZZNS1_29radix_sort_onesweep_iterationIS3_Lb1EPcS8_PS5_S9_mNS0_19identity_decomposerENS1_16block_id_wrapperIjLb0EEEEE10hipError_tT1_PNSt15iterator_traitsISE_E10value_typeET2_T3_PNSF_ISK_E10value_typeET4_T5_PSP_SQ_PNS1_23onesweep_lookback_stateEbbT6_jjT7_P12ihipStream_tbENKUlT_T0_SE_SJ_E_clIS8_S8_S9_S9_EEDaSX_SY_SE_SJ_EUlSX_E_NS1_11comp_targetILNS1_3genE3ELNS1_11target_archE908ELNS1_3gpuE7ELNS1_3repE0EEENS1_47radix_sort_onesweep_sort_config_static_selectorELNS0_4arch9wavefront6targetE1EEEvSE_
		.amdhsa_group_segment_fixed_size 0
		.amdhsa_private_segment_fixed_size 0
		.amdhsa_kernarg_size 88
		.amdhsa_user_sgpr_count 6
		.amdhsa_user_sgpr_private_segment_buffer 1
		.amdhsa_user_sgpr_dispatch_ptr 0
		.amdhsa_user_sgpr_queue_ptr 0
		.amdhsa_user_sgpr_kernarg_segment_ptr 1
		.amdhsa_user_sgpr_dispatch_id 0
		.amdhsa_user_sgpr_flat_scratch_init 0
		.amdhsa_user_sgpr_kernarg_preload_length 0
		.amdhsa_user_sgpr_kernarg_preload_offset 0
		.amdhsa_user_sgpr_private_segment_size 0
		.amdhsa_uses_dynamic_stack 0
		.amdhsa_system_sgpr_private_segment_wavefront_offset 0
		.amdhsa_system_sgpr_workgroup_id_x 1
		.amdhsa_system_sgpr_workgroup_id_y 0
		.amdhsa_system_sgpr_workgroup_id_z 0
		.amdhsa_system_sgpr_workgroup_info 0
		.amdhsa_system_vgpr_workitem_id 0
		.amdhsa_next_free_vgpr 1
		.amdhsa_next_free_sgpr 0
		.amdhsa_accum_offset 4
		.amdhsa_reserve_vcc 0
		.amdhsa_reserve_flat_scratch 0
		.amdhsa_float_round_mode_32 0
		.amdhsa_float_round_mode_16_64 0
		.amdhsa_float_denorm_mode_32 3
		.amdhsa_float_denorm_mode_16_64 3
		.amdhsa_dx10_clamp 1
		.amdhsa_ieee_mode 1
		.amdhsa_fp16_overflow 0
		.amdhsa_tg_split 0
		.amdhsa_exception_fp_ieee_invalid_op 0
		.amdhsa_exception_fp_denorm_src 0
		.amdhsa_exception_fp_ieee_div_zero 0
		.amdhsa_exception_fp_ieee_overflow 0
		.amdhsa_exception_fp_ieee_underflow 0
		.amdhsa_exception_fp_ieee_inexact 0
		.amdhsa_exception_int_div_zero 0
	.end_amdhsa_kernel
	.section	.text._ZN7rocprim17ROCPRIM_400000_NS6detail17trampoline_kernelINS0_14default_configENS1_35radix_sort_onesweep_config_selectorIcNS0_10empty_typeEEEZZNS1_29radix_sort_onesweep_iterationIS3_Lb1EPcS8_PS5_S9_mNS0_19identity_decomposerENS1_16block_id_wrapperIjLb0EEEEE10hipError_tT1_PNSt15iterator_traitsISE_E10value_typeET2_T3_PNSF_ISK_E10value_typeET4_T5_PSP_SQ_PNS1_23onesweep_lookback_stateEbbT6_jjT7_P12ihipStream_tbENKUlT_T0_SE_SJ_E_clIS8_S8_S9_S9_EEDaSX_SY_SE_SJ_EUlSX_E_NS1_11comp_targetILNS1_3genE3ELNS1_11target_archE908ELNS1_3gpuE7ELNS1_3repE0EEENS1_47radix_sort_onesweep_sort_config_static_selectorELNS0_4arch9wavefront6targetE1EEEvSE_,"axG",@progbits,_ZN7rocprim17ROCPRIM_400000_NS6detail17trampoline_kernelINS0_14default_configENS1_35radix_sort_onesweep_config_selectorIcNS0_10empty_typeEEEZZNS1_29radix_sort_onesweep_iterationIS3_Lb1EPcS8_PS5_S9_mNS0_19identity_decomposerENS1_16block_id_wrapperIjLb0EEEEE10hipError_tT1_PNSt15iterator_traitsISE_E10value_typeET2_T3_PNSF_ISK_E10value_typeET4_T5_PSP_SQ_PNS1_23onesweep_lookback_stateEbbT6_jjT7_P12ihipStream_tbENKUlT_T0_SE_SJ_E_clIS8_S8_S9_S9_EEDaSX_SY_SE_SJ_EUlSX_E_NS1_11comp_targetILNS1_3genE3ELNS1_11target_archE908ELNS1_3gpuE7ELNS1_3repE0EEENS1_47radix_sort_onesweep_sort_config_static_selectorELNS0_4arch9wavefront6targetE1EEEvSE_,comdat
.Lfunc_end1561:
	.size	_ZN7rocprim17ROCPRIM_400000_NS6detail17trampoline_kernelINS0_14default_configENS1_35radix_sort_onesweep_config_selectorIcNS0_10empty_typeEEEZZNS1_29radix_sort_onesweep_iterationIS3_Lb1EPcS8_PS5_S9_mNS0_19identity_decomposerENS1_16block_id_wrapperIjLb0EEEEE10hipError_tT1_PNSt15iterator_traitsISE_E10value_typeET2_T3_PNSF_ISK_E10value_typeET4_T5_PSP_SQ_PNS1_23onesweep_lookback_stateEbbT6_jjT7_P12ihipStream_tbENKUlT_T0_SE_SJ_E_clIS8_S8_S9_S9_EEDaSX_SY_SE_SJ_EUlSX_E_NS1_11comp_targetILNS1_3genE3ELNS1_11target_archE908ELNS1_3gpuE7ELNS1_3repE0EEENS1_47radix_sort_onesweep_sort_config_static_selectorELNS0_4arch9wavefront6targetE1EEEvSE_, .Lfunc_end1561-_ZN7rocprim17ROCPRIM_400000_NS6detail17trampoline_kernelINS0_14default_configENS1_35radix_sort_onesweep_config_selectorIcNS0_10empty_typeEEEZZNS1_29radix_sort_onesweep_iterationIS3_Lb1EPcS8_PS5_S9_mNS0_19identity_decomposerENS1_16block_id_wrapperIjLb0EEEEE10hipError_tT1_PNSt15iterator_traitsISE_E10value_typeET2_T3_PNSF_ISK_E10value_typeET4_T5_PSP_SQ_PNS1_23onesweep_lookback_stateEbbT6_jjT7_P12ihipStream_tbENKUlT_T0_SE_SJ_E_clIS8_S8_S9_S9_EEDaSX_SY_SE_SJ_EUlSX_E_NS1_11comp_targetILNS1_3genE3ELNS1_11target_archE908ELNS1_3gpuE7ELNS1_3repE0EEENS1_47radix_sort_onesweep_sort_config_static_selectorELNS0_4arch9wavefront6targetE1EEEvSE_
                                        ; -- End function
	.section	.AMDGPU.csdata,"",@progbits
; Kernel info:
; codeLenInByte = 0
; NumSgprs: 4
; NumVgprs: 0
; NumAgprs: 0
; TotalNumVgprs: 0
; ScratchSize: 0
; MemoryBound: 0
; FloatMode: 240
; IeeeMode: 1
; LDSByteSize: 0 bytes/workgroup (compile time only)
; SGPRBlocks: 0
; VGPRBlocks: 0
; NumSGPRsForWavesPerEU: 4
; NumVGPRsForWavesPerEU: 1
; AccumOffset: 4
; Occupancy: 8
; WaveLimiterHint : 0
; COMPUTE_PGM_RSRC2:SCRATCH_EN: 0
; COMPUTE_PGM_RSRC2:USER_SGPR: 6
; COMPUTE_PGM_RSRC2:TRAP_HANDLER: 0
; COMPUTE_PGM_RSRC2:TGID_X_EN: 1
; COMPUTE_PGM_RSRC2:TGID_Y_EN: 0
; COMPUTE_PGM_RSRC2:TGID_Z_EN: 0
; COMPUTE_PGM_RSRC2:TIDIG_COMP_CNT: 0
; COMPUTE_PGM_RSRC3_GFX90A:ACCUM_OFFSET: 0
; COMPUTE_PGM_RSRC3_GFX90A:TG_SPLIT: 0
	.section	.text._ZN7rocprim17ROCPRIM_400000_NS6detail17trampoline_kernelINS0_14default_configENS1_35radix_sort_onesweep_config_selectorIcNS0_10empty_typeEEEZZNS1_29radix_sort_onesweep_iterationIS3_Lb1EPcS8_PS5_S9_mNS0_19identity_decomposerENS1_16block_id_wrapperIjLb0EEEEE10hipError_tT1_PNSt15iterator_traitsISE_E10value_typeET2_T3_PNSF_ISK_E10value_typeET4_T5_PSP_SQ_PNS1_23onesweep_lookback_stateEbbT6_jjT7_P12ihipStream_tbENKUlT_T0_SE_SJ_E_clIS8_S8_S9_S9_EEDaSX_SY_SE_SJ_EUlSX_E_NS1_11comp_targetILNS1_3genE10ELNS1_11target_archE1201ELNS1_3gpuE5ELNS1_3repE0EEENS1_47radix_sort_onesweep_sort_config_static_selectorELNS0_4arch9wavefront6targetE1EEEvSE_,"axG",@progbits,_ZN7rocprim17ROCPRIM_400000_NS6detail17trampoline_kernelINS0_14default_configENS1_35radix_sort_onesweep_config_selectorIcNS0_10empty_typeEEEZZNS1_29radix_sort_onesweep_iterationIS3_Lb1EPcS8_PS5_S9_mNS0_19identity_decomposerENS1_16block_id_wrapperIjLb0EEEEE10hipError_tT1_PNSt15iterator_traitsISE_E10value_typeET2_T3_PNSF_ISK_E10value_typeET4_T5_PSP_SQ_PNS1_23onesweep_lookback_stateEbbT6_jjT7_P12ihipStream_tbENKUlT_T0_SE_SJ_E_clIS8_S8_S9_S9_EEDaSX_SY_SE_SJ_EUlSX_E_NS1_11comp_targetILNS1_3genE10ELNS1_11target_archE1201ELNS1_3gpuE5ELNS1_3repE0EEENS1_47radix_sort_onesweep_sort_config_static_selectorELNS0_4arch9wavefront6targetE1EEEvSE_,comdat
	.protected	_ZN7rocprim17ROCPRIM_400000_NS6detail17trampoline_kernelINS0_14default_configENS1_35radix_sort_onesweep_config_selectorIcNS0_10empty_typeEEEZZNS1_29radix_sort_onesweep_iterationIS3_Lb1EPcS8_PS5_S9_mNS0_19identity_decomposerENS1_16block_id_wrapperIjLb0EEEEE10hipError_tT1_PNSt15iterator_traitsISE_E10value_typeET2_T3_PNSF_ISK_E10value_typeET4_T5_PSP_SQ_PNS1_23onesweep_lookback_stateEbbT6_jjT7_P12ihipStream_tbENKUlT_T0_SE_SJ_E_clIS8_S8_S9_S9_EEDaSX_SY_SE_SJ_EUlSX_E_NS1_11comp_targetILNS1_3genE10ELNS1_11target_archE1201ELNS1_3gpuE5ELNS1_3repE0EEENS1_47radix_sort_onesweep_sort_config_static_selectorELNS0_4arch9wavefront6targetE1EEEvSE_ ; -- Begin function _ZN7rocprim17ROCPRIM_400000_NS6detail17trampoline_kernelINS0_14default_configENS1_35radix_sort_onesweep_config_selectorIcNS0_10empty_typeEEEZZNS1_29radix_sort_onesweep_iterationIS3_Lb1EPcS8_PS5_S9_mNS0_19identity_decomposerENS1_16block_id_wrapperIjLb0EEEEE10hipError_tT1_PNSt15iterator_traitsISE_E10value_typeET2_T3_PNSF_ISK_E10value_typeET4_T5_PSP_SQ_PNS1_23onesweep_lookback_stateEbbT6_jjT7_P12ihipStream_tbENKUlT_T0_SE_SJ_E_clIS8_S8_S9_S9_EEDaSX_SY_SE_SJ_EUlSX_E_NS1_11comp_targetILNS1_3genE10ELNS1_11target_archE1201ELNS1_3gpuE5ELNS1_3repE0EEENS1_47radix_sort_onesweep_sort_config_static_selectorELNS0_4arch9wavefront6targetE1EEEvSE_
	.globl	_ZN7rocprim17ROCPRIM_400000_NS6detail17trampoline_kernelINS0_14default_configENS1_35radix_sort_onesweep_config_selectorIcNS0_10empty_typeEEEZZNS1_29radix_sort_onesweep_iterationIS3_Lb1EPcS8_PS5_S9_mNS0_19identity_decomposerENS1_16block_id_wrapperIjLb0EEEEE10hipError_tT1_PNSt15iterator_traitsISE_E10value_typeET2_T3_PNSF_ISK_E10value_typeET4_T5_PSP_SQ_PNS1_23onesweep_lookback_stateEbbT6_jjT7_P12ihipStream_tbENKUlT_T0_SE_SJ_E_clIS8_S8_S9_S9_EEDaSX_SY_SE_SJ_EUlSX_E_NS1_11comp_targetILNS1_3genE10ELNS1_11target_archE1201ELNS1_3gpuE5ELNS1_3repE0EEENS1_47radix_sort_onesweep_sort_config_static_selectorELNS0_4arch9wavefront6targetE1EEEvSE_
	.p2align	8
	.type	_ZN7rocprim17ROCPRIM_400000_NS6detail17trampoline_kernelINS0_14default_configENS1_35radix_sort_onesweep_config_selectorIcNS0_10empty_typeEEEZZNS1_29radix_sort_onesweep_iterationIS3_Lb1EPcS8_PS5_S9_mNS0_19identity_decomposerENS1_16block_id_wrapperIjLb0EEEEE10hipError_tT1_PNSt15iterator_traitsISE_E10value_typeET2_T3_PNSF_ISK_E10value_typeET4_T5_PSP_SQ_PNS1_23onesweep_lookback_stateEbbT6_jjT7_P12ihipStream_tbENKUlT_T0_SE_SJ_E_clIS8_S8_S9_S9_EEDaSX_SY_SE_SJ_EUlSX_E_NS1_11comp_targetILNS1_3genE10ELNS1_11target_archE1201ELNS1_3gpuE5ELNS1_3repE0EEENS1_47radix_sort_onesweep_sort_config_static_selectorELNS0_4arch9wavefront6targetE1EEEvSE_,@function
_ZN7rocprim17ROCPRIM_400000_NS6detail17trampoline_kernelINS0_14default_configENS1_35radix_sort_onesweep_config_selectorIcNS0_10empty_typeEEEZZNS1_29radix_sort_onesweep_iterationIS3_Lb1EPcS8_PS5_S9_mNS0_19identity_decomposerENS1_16block_id_wrapperIjLb0EEEEE10hipError_tT1_PNSt15iterator_traitsISE_E10value_typeET2_T3_PNSF_ISK_E10value_typeET4_T5_PSP_SQ_PNS1_23onesweep_lookback_stateEbbT6_jjT7_P12ihipStream_tbENKUlT_T0_SE_SJ_E_clIS8_S8_S9_S9_EEDaSX_SY_SE_SJ_EUlSX_E_NS1_11comp_targetILNS1_3genE10ELNS1_11target_archE1201ELNS1_3gpuE5ELNS1_3repE0EEENS1_47radix_sort_onesweep_sort_config_static_selectorELNS0_4arch9wavefront6targetE1EEEvSE_: ; @_ZN7rocprim17ROCPRIM_400000_NS6detail17trampoline_kernelINS0_14default_configENS1_35radix_sort_onesweep_config_selectorIcNS0_10empty_typeEEEZZNS1_29radix_sort_onesweep_iterationIS3_Lb1EPcS8_PS5_S9_mNS0_19identity_decomposerENS1_16block_id_wrapperIjLb0EEEEE10hipError_tT1_PNSt15iterator_traitsISE_E10value_typeET2_T3_PNSF_ISK_E10value_typeET4_T5_PSP_SQ_PNS1_23onesweep_lookback_stateEbbT6_jjT7_P12ihipStream_tbENKUlT_T0_SE_SJ_E_clIS8_S8_S9_S9_EEDaSX_SY_SE_SJ_EUlSX_E_NS1_11comp_targetILNS1_3genE10ELNS1_11target_archE1201ELNS1_3gpuE5ELNS1_3repE0EEENS1_47radix_sort_onesweep_sort_config_static_selectorELNS0_4arch9wavefront6targetE1EEEvSE_
; %bb.0:
	.section	.rodata,"a",@progbits
	.p2align	6, 0x0
	.amdhsa_kernel _ZN7rocprim17ROCPRIM_400000_NS6detail17trampoline_kernelINS0_14default_configENS1_35radix_sort_onesweep_config_selectorIcNS0_10empty_typeEEEZZNS1_29radix_sort_onesweep_iterationIS3_Lb1EPcS8_PS5_S9_mNS0_19identity_decomposerENS1_16block_id_wrapperIjLb0EEEEE10hipError_tT1_PNSt15iterator_traitsISE_E10value_typeET2_T3_PNSF_ISK_E10value_typeET4_T5_PSP_SQ_PNS1_23onesweep_lookback_stateEbbT6_jjT7_P12ihipStream_tbENKUlT_T0_SE_SJ_E_clIS8_S8_S9_S9_EEDaSX_SY_SE_SJ_EUlSX_E_NS1_11comp_targetILNS1_3genE10ELNS1_11target_archE1201ELNS1_3gpuE5ELNS1_3repE0EEENS1_47radix_sort_onesweep_sort_config_static_selectorELNS0_4arch9wavefront6targetE1EEEvSE_
		.amdhsa_group_segment_fixed_size 0
		.amdhsa_private_segment_fixed_size 0
		.amdhsa_kernarg_size 88
		.amdhsa_user_sgpr_count 6
		.amdhsa_user_sgpr_private_segment_buffer 1
		.amdhsa_user_sgpr_dispatch_ptr 0
		.amdhsa_user_sgpr_queue_ptr 0
		.amdhsa_user_sgpr_kernarg_segment_ptr 1
		.amdhsa_user_sgpr_dispatch_id 0
		.amdhsa_user_sgpr_flat_scratch_init 0
		.amdhsa_user_sgpr_kernarg_preload_length 0
		.amdhsa_user_sgpr_kernarg_preload_offset 0
		.amdhsa_user_sgpr_private_segment_size 0
		.amdhsa_uses_dynamic_stack 0
		.amdhsa_system_sgpr_private_segment_wavefront_offset 0
		.amdhsa_system_sgpr_workgroup_id_x 1
		.amdhsa_system_sgpr_workgroup_id_y 0
		.amdhsa_system_sgpr_workgroup_id_z 0
		.amdhsa_system_sgpr_workgroup_info 0
		.amdhsa_system_vgpr_workitem_id 0
		.amdhsa_next_free_vgpr 1
		.amdhsa_next_free_sgpr 0
		.amdhsa_accum_offset 4
		.amdhsa_reserve_vcc 0
		.amdhsa_reserve_flat_scratch 0
		.amdhsa_float_round_mode_32 0
		.amdhsa_float_round_mode_16_64 0
		.amdhsa_float_denorm_mode_32 3
		.amdhsa_float_denorm_mode_16_64 3
		.amdhsa_dx10_clamp 1
		.amdhsa_ieee_mode 1
		.amdhsa_fp16_overflow 0
		.amdhsa_tg_split 0
		.amdhsa_exception_fp_ieee_invalid_op 0
		.amdhsa_exception_fp_denorm_src 0
		.amdhsa_exception_fp_ieee_div_zero 0
		.amdhsa_exception_fp_ieee_overflow 0
		.amdhsa_exception_fp_ieee_underflow 0
		.amdhsa_exception_fp_ieee_inexact 0
		.amdhsa_exception_int_div_zero 0
	.end_amdhsa_kernel
	.section	.text._ZN7rocprim17ROCPRIM_400000_NS6detail17trampoline_kernelINS0_14default_configENS1_35radix_sort_onesweep_config_selectorIcNS0_10empty_typeEEEZZNS1_29radix_sort_onesweep_iterationIS3_Lb1EPcS8_PS5_S9_mNS0_19identity_decomposerENS1_16block_id_wrapperIjLb0EEEEE10hipError_tT1_PNSt15iterator_traitsISE_E10value_typeET2_T3_PNSF_ISK_E10value_typeET4_T5_PSP_SQ_PNS1_23onesweep_lookback_stateEbbT6_jjT7_P12ihipStream_tbENKUlT_T0_SE_SJ_E_clIS8_S8_S9_S9_EEDaSX_SY_SE_SJ_EUlSX_E_NS1_11comp_targetILNS1_3genE10ELNS1_11target_archE1201ELNS1_3gpuE5ELNS1_3repE0EEENS1_47radix_sort_onesweep_sort_config_static_selectorELNS0_4arch9wavefront6targetE1EEEvSE_,"axG",@progbits,_ZN7rocprim17ROCPRIM_400000_NS6detail17trampoline_kernelINS0_14default_configENS1_35radix_sort_onesweep_config_selectorIcNS0_10empty_typeEEEZZNS1_29radix_sort_onesweep_iterationIS3_Lb1EPcS8_PS5_S9_mNS0_19identity_decomposerENS1_16block_id_wrapperIjLb0EEEEE10hipError_tT1_PNSt15iterator_traitsISE_E10value_typeET2_T3_PNSF_ISK_E10value_typeET4_T5_PSP_SQ_PNS1_23onesweep_lookback_stateEbbT6_jjT7_P12ihipStream_tbENKUlT_T0_SE_SJ_E_clIS8_S8_S9_S9_EEDaSX_SY_SE_SJ_EUlSX_E_NS1_11comp_targetILNS1_3genE10ELNS1_11target_archE1201ELNS1_3gpuE5ELNS1_3repE0EEENS1_47radix_sort_onesweep_sort_config_static_selectorELNS0_4arch9wavefront6targetE1EEEvSE_,comdat
.Lfunc_end1562:
	.size	_ZN7rocprim17ROCPRIM_400000_NS6detail17trampoline_kernelINS0_14default_configENS1_35radix_sort_onesweep_config_selectorIcNS0_10empty_typeEEEZZNS1_29radix_sort_onesweep_iterationIS3_Lb1EPcS8_PS5_S9_mNS0_19identity_decomposerENS1_16block_id_wrapperIjLb0EEEEE10hipError_tT1_PNSt15iterator_traitsISE_E10value_typeET2_T3_PNSF_ISK_E10value_typeET4_T5_PSP_SQ_PNS1_23onesweep_lookback_stateEbbT6_jjT7_P12ihipStream_tbENKUlT_T0_SE_SJ_E_clIS8_S8_S9_S9_EEDaSX_SY_SE_SJ_EUlSX_E_NS1_11comp_targetILNS1_3genE10ELNS1_11target_archE1201ELNS1_3gpuE5ELNS1_3repE0EEENS1_47radix_sort_onesweep_sort_config_static_selectorELNS0_4arch9wavefront6targetE1EEEvSE_, .Lfunc_end1562-_ZN7rocprim17ROCPRIM_400000_NS6detail17trampoline_kernelINS0_14default_configENS1_35radix_sort_onesweep_config_selectorIcNS0_10empty_typeEEEZZNS1_29radix_sort_onesweep_iterationIS3_Lb1EPcS8_PS5_S9_mNS0_19identity_decomposerENS1_16block_id_wrapperIjLb0EEEEE10hipError_tT1_PNSt15iterator_traitsISE_E10value_typeET2_T3_PNSF_ISK_E10value_typeET4_T5_PSP_SQ_PNS1_23onesweep_lookback_stateEbbT6_jjT7_P12ihipStream_tbENKUlT_T0_SE_SJ_E_clIS8_S8_S9_S9_EEDaSX_SY_SE_SJ_EUlSX_E_NS1_11comp_targetILNS1_3genE10ELNS1_11target_archE1201ELNS1_3gpuE5ELNS1_3repE0EEENS1_47radix_sort_onesweep_sort_config_static_selectorELNS0_4arch9wavefront6targetE1EEEvSE_
                                        ; -- End function
	.section	.AMDGPU.csdata,"",@progbits
; Kernel info:
; codeLenInByte = 0
; NumSgprs: 4
; NumVgprs: 0
; NumAgprs: 0
; TotalNumVgprs: 0
; ScratchSize: 0
; MemoryBound: 0
; FloatMode: 240
; IeeeMode: 1
; LDSByteSize: 0 bytes/workgroup (compile time only)
; SGPRBlocks: 0
; VGPRBlocks: 0
; NumSGPRsForWavesPerEU: 4
; NumVGPRsForWavesPerEU: 1
; AccumOffset: 4
; Occupancy: 8
; WaveLimiterHint : 0
; COMPUTE_PGM_RSRC2:SCRATCH_EN: 0
; COMPUTE_PGM_RSRC2:USER_SGPR: 6
; COMPUTE_PGM_RSRC2:TRAP_HANDLER: 0
; COMPUTE_PGM_RSRC2:TGID_X_EN: 1
; COMPUTE_PGM_RSRC2:TGID_Y_EN: 0
; COMPUTE_PGM_RSRC2:TGID_Z_EN: 0
; COMPUTE_PGM_RSRC2:TIDIG_COMP_CNT: 0
; COMPUTE_PGM_RSRC3_GFX90A:ACCUM_OFFSET: 0
; COMPUTE_PGM_RSRC3_GFX90A:TG_SPLIT: 0
	.section	.text._ZN7rocprim17ROCPRIM_400000_NS6detail17trampoline_kernelINS0_14default_configENS1_35radix_sort_onesweep_config_selectorIcNS0_10empty_typeEEEZZNS1_29radix_sort_onesweep_iterationIS3_Lb1EPcS8_PS5_S9_mNS0_19identity_decomposerENS1_16block_id_wrapperIjLb0EEEEE10hipError_tT1_PNSt15iterator_traitsISE_E10value_typeET2_T3_PNSF_ISK_E10value_typeET4_T5_PSP_SQ_PNS1_23onesweep_lookback_stateEbbT6_jjT7_P12ihipStream_tbENKUlT_T0_SE_SJ_E_clIS8_S8_S9_S9_EEDaSX_SY_SE_SJ_EUlSX_E_NS1_11comp_targetILNS1_3genE9ELNS1_11target_archE1100ELNS1_3gpuE3ELNS1_3repE0EEENS1_47radix_sort_onesweep_sort_config_static_selectorELNS0_4arch9wavefront6targetE1EEEvSE_,"axG",@progbits,_ZN7rocprim17ROCPRIM_400000_NS6detail17trampoline_kernelINS0_14default_configENS1_35radix_sort_onesweep_config_selectorIcNS0_10empty_typeEEEZZNS1_29radix_sort_onesweep_iterationIS3_Lb1EPcS8_PS5_S9_mNS0_19identity_decomposerENS1_16block_id_wrapperIjLb0EEEEE10hipError_tT1_PNSt15iterator_traitsISE_E10value_typeET2_T3_PNSF_ISK_E10value_typeET4_T5_PSP_SQ_PNS1_23onesweep_lookback_stateEbbT6_jjT7_P12ihipStream_tbENKUlT_T0_SE_SJ_E_clIS8_S8_S9_S9_EEDaSX_SY_SE_SJ_EUlSX_E_NS1_11comp_targetILNS1_3genE9ELNS1_11target_archE1100ELNS1_3gpuE3ELNS1_3repE0EEENS1_47radix_sort_onesweep_sort_config_static_selectorELNS0_4arch9wavefront6targetE1EEEvSE_,comdat
	.protected	_ZN7rocprim17ROCPRIM_400000_NS6detail17trampoline_kernelINS0_14default_configENS1_35radix_sort_onesweep_config_selectorIcNS0_10empty_typeEEEZZNS1_29radix_sort_onesweep_iterationIS3_Lb1EPcS8_PS5_S9_mNS0_19identity_decomposerENS1_16block_id_wrapperIjLb0EEEEE10hipError_tT1_PNSt15iterator_traitsISE_E10value_typeET2_T3_PNSF_ISK_E10value_typeET4_T5_PSP_SQ_PNS1_23onesweep_lookback_stateEbbT6_jjT7_P12ihipStream_tbENKUlT_T0_SE_SJ_E_clIS8_S8_S9_S9_EEDaSX_SY_SE_SJ_EUlSX_E_NS1_11comp_targetILNS1_3genE9ELNS1_11target_archE1100ELNS1_3gpuE3ELNS1_3repE0EEENS1_47radix_sort_onesweep_sort_config_static_selectorELNS0_4arch9wavefront6targetE1EEEvSE_ ; -- Begin function _ZN7rocprim17ROCPRIM_400000_NS6detail17trampoline_kernelINS0_14default_configENS1_35radix_sort_onesweep_config_selectorIcNS0_10empty_typeEEEZZNS1_29radix_sort_onesweep_iterationIS3_Lb1EPcS8_PS5_S9_mNS0_19identity_decomposerENS1_16block_id_wrapperIjLb0EEEEE10hipError_tT1_PNSt15iterator_traitsISE_E10value_typeET2_T3_PNSF_ISK_E10value_typeET4_T5_PSP_SQ_PNS1_23onesweep_lookback_stateEbbT6_jjT7_P12ihipStream_tbENKUlT_T0_SE_SJ_E_clIS8_S8_S9_S9_EEDaSX_SY_SE_SJ_EUlSX_E_NS1_11comp_targetILNS1_3genE9ELNS1_11target_archE1100ELNS1_3gpuE3ELNS1_3repE0EEENS1_47radix_sort_onesweep_sort_config_static_selectorELNS0_4arch9wavefront6targetE1EEEvSE_
	.globl	_ZN7rocprim17ROCPRIM_400000_NS6detail17trampoline_kernelINS0_14default_configENS1_35radix_sort_onesweep_config_selectorIcNS0_10empty_typeEEEZZNS1_29radix_sort_onesweep_iterationIS3_Lb1EPcS8_PS5_S9_mNS0_19identity_decomposerENS1_16block_id_wrapperIjLb0EEEEE10hipError_tT1_PNSt15iterator_traitsISE_E10value_typeET2_T3_PNSF_ISK_E10value_typeET4_T5_PSP_SQ_PNS1_23onesweep_lookback_stateEbbT6_jjT7_P12ihipStream_tbENKUlT_T0_SE_SJ_E_clIS8_S8_S9_S9_EEDaSX_SY_SE_SJ_EUlSX_E_NS1_11comp_targetILNS1_3genE9ELNS1_11target_archE1100ELNS1_3gpuE3ELNS1_3repE0EEENS1_47radix_sort_onesweep_sort_config_static_selectorELNS0_4arch9wavefront6targetE1EEEvSE_
	.p2align	8
	.type	_ZN7rocprim17ROCPRIM_400000_NS6detail17trampoline_kernelINS0_14default_configENS1_35radix_sort_onesweep_config_selectorIcNS0_10empty_typeEEEZZNS1_29radix_sort_onesweep_iterationIS3_Lb1EPcS8_PS5_S9_mNS0_19identity_decomposerENS1_16block_id_wrapperIjLb0EEEEE10hipError_tT1_PNSt15iterator_traitsISE_E10value_typeET2_T3_PNSF_ISK_E10value_typeET4_T5_PSP_SQ_PNS1_23onesweep_lookback_stateEbbT6_jjT7_P12ihipStream_tbENKUlT_T0_SE_SJ_E_clIS8_S8_S9_S9_EEDaSX_SY_SE_SJ_EUlSX_E_NS1_11comp_targetILNS1_3genE9ELNS1_11target_archE1100ELNS1_3gpuE3ELNS1_3repE0EEENS1_47radix_sort_onesweep_sort_config_static_selectorELNS0_4arch9wavefront6targetE1EEEvSE_,@function
_ZN7rocprim17ROCPRIM_400000_NS6detail17trampoline_kernelINS0_14default_configENS1_35radix_sort_onesweep_config_selectorIcNS0_10empty_typeEEEZZNS1_29radix_sort_onesweep_iterationIS3_Lb1EPcS8_PS5_S9_mNS0_19identity_decomposerENS1_16block_id_wrapperIjLb0EEEEE10hipError_tT1_PNSt15iterator_traitsISE_E10value_typeET2_T3_PNSF_ISK_E10value_typeET4_T5_PSP_SQ_PNS1_23onesweep_lookback_stateEbbT6_jjT7_P12ihipStream_tbENKUlT_T0_SE_SJ_E_clIS8_S8_S9_S9_EEDaSX_SY_SE_SJ_EUlSX_E_NS1_11comp_targetILNS1_3genE9ELNS1_11target_archE1100ELNS1_3gpuE3ELNS1_3repE0EEENS1_47radix_sort_onesweep_sort_config_static_selectorELNS0_4arch9wavefront6targetE1EEEvSE_: ; @_ZN7rocprim17ROCPRIM_400000_NS6detail17trampoline_kernelINS0_14default_configENS1_35radix_sort_onesweep_config_selectorIcNS0_10empty_typeEEEZZNS1_29radix_sort_onesweep_iterationIS3_Lb1EPcS8_PS5_S9_mNS0_19identity_decomposerENS1_16block_id_wrapperIjLb0EEEEE10hipError_tT1_PNSt15iterator_traitsISE_E10value_typeET2_T3_PNSF_ISK_E10value_typeET4_T5_PSP_SQ_PNS1_23onesweep_lookback_stateEbbT6_jjT7_P12ihipStream_tbENKUlT_T0_SE_SJ_E_clIS8_S8_S9_S9_EEDaSX_SY_SE_SJ_EUlSX_E_NS1_11comp_targetILNS1_3genE9ELNS1_11target_archE1100ELNS1_3gpuE3ELNS1_3repE0EEENS1_47radix_sort_onesweep_sort_config_static_selectorELNS0_4arch9wavefront6targetE1EEEvSE_
; %bb.0:
	.section	.rodata,"a",@progbits
	.p2align	6, 0x0
	.amdhsa_kernel _ZN7rocprim17ROCPRIM_400000_NS6detail17trampoline_kernelINS0_14default_configENS1_35radix_sort_onesweep_config_selectorIcNS0_10empty_typeEEEZZNS1_29radix_sort_onesweep_iterationIS3_Lb1EPcS8_PS5_S9_mNS0_19identity_decomposerENS1_16block_id_wrapperIjLb0EEEEE10hipError_tT1_PNSt15iterator_traitsISE_E10value_typeET2_T3_PNSF_ISK_E10value_typeET4_T5_PSP_SQ_PNS1_23onesweep_lookback_stateEbbT6_jjT7_P12ihipStream_tbENKUlT_T0_SE_SJ_E_clIS8_S8_S9_S9_EEDaSX_SY_SE_SJ_EUlSX_E_NS1_11comp_targetILNS1_3genE9ELNS1_11target_archE1100ELNS1_3gpuE3ELNS1_3repE0EEENS1_47radix_sort_onesweep_sort_config_static_selectorELNS0_4arch9wavefront6targetE1EEEvSE_
		.amdhsa_group_segment_fixed_size 0
		.amdhsa_private_segment_fixed_size 0
		.amdhsa_kernarg_size 88
		.amdhsa_user_sgpr_count 6
		.amdhsa_user_sgpr_private_segment_buffer 1
		.amdhsa_user_sgpr_dispatch_ptr 0
		.amdhsa_user_sgpr_queue_ptr 0
		.amdhsa_user_sgpr_kernarg_segment_ptr 1
		.amdhsa_user_sgpr_dispatch_id 0
		.amdhsa_user_sgpr_flat_scratch_init 0
		.amdhsa_user_sgpr_kernarg_preload_length 0
		.amdhsa_user_sgpr_kernarg_preload_offset 0
		.amdhsa_user_sgpr_private_segment_size 0
		.amdhsa_uses_dynamic_stack 0
		.amdhsa_system_sgpr_private_segment_wavefront_offset 0
		.amdhsa_system_sgpr_workgroup_id_x 1
		.amdhsa_system_sgpr_workgroup_id_y 0
		.amdhsa_system_sgpr_workgroup_id_z 0
		.amdhsa_system_sgpr_workgroup_info 0
		.amdhsa_system_vgpr_workitem_id 0
		.amdhsa_next_free_vgpr 1
		.amdhsa_next_free_sgpr 0
		.amdhsa_accum_offset 4
		.amdhsa_reserve_vcc 0
		.amdhsa_reserve_flat_scratch 0
		.amdhsa_float_round_mode_32 0
		.amdhsa_float_round_mode_16_64 0
		.amdhsa_float_denorm_mode_32 3
		.amdhsa_float_denorm_mode_16_64 3
		.amdhsa_dx10_clamp 1
		.amdhsa_ieee_mode 1
		.amdhsa_fp16_overflow 0
		.amdhsa_tg_split 0
		.amdhsa_exception_fp_ieee_invalid_op 0
		.amdhsa_exception_fp_denorm_src 0
		.amdhsa_exception_fp_ieee_div_zero 0
		.amdhsa_exception_fp_ieee_overflow 0
		.amdhsa_exception_fp_ieee_underflow 0
		.amdhsa_exception_fp_ieee_inexact 0
		.amdhsa_exception_int_div_zero 0
	.end_amdhsa_kernel
	.section	.text._ZN7rocprim17ROCPRIM_400000_NS6detail17trampoline_kernelINS0_14default_configENS1_35radix_sort_onesweep_config_selectorIcNS0_10empty_typeEEEZZNS1_29radix_sort_onesweep_iterationIS3_Lb1EPcS8_PS5_S9_mNS0_19identity_decomposerENS1_16block_id_wrapperIjLb0EEEEE10hipError_tT1_PNSt15iterator_traitsISE_E10value_typeET2_T3_PNSF_ISK_E10value_typeET4_T5_PSP_SQ_PNS1_23onesweep_lookback_stateEbbT6_jjT7_P12ihipStream_tbENKUlT_T0_SE_SJ_E_clIS8_S8_S9_S9_EEDaSX_SY_SE_SJ_EUlSX_E_NS1_11comp_targetILNS1_3genE9ELNS1_11target_archE1100ELNS1_3gpuE3ELNS1_3repE0EEENS1_47radix_sort_onesweep_sort_config_static_selectorELNS0_4arch9wavefront6targetE1EEEvSE_,"axG",@progbits,_ZN7rocprim17ROCPRIM_400000_NS6detail17trampoline_kernelINS0_14default_configENS1_35radix_sort_onesweep_config_selectorIcNS0_10empty_typeEEEZZNS1_29radix_sort_onesweep_iterationIS3_Lb1EPcS8_PS5_S9_mNS0_19identity_decomposerENS1_16block_id_wrapperIjLb0EEEEE10hipError_tT1_PNSt15iterator_traitsISE_E10value_typeET2_T3_PNSF_ISK_E10value_typeET4_T5_PSP_SQ_PNS1_23onesweep_lookback_stateEbbT6_jjT7_P12ihipStream_tbENKUlT_T0_SE_SJ_E_clIS8_S8_S9_S9_EEDaSX_SY_SE_SJ_EUlSX_E_NS1_11comp_targetILNS1_3genE9ELNS1_11target_archE1100ELNS1_3gpuE3ELNS1_3repE0EEENS1_47radix_sort_onesweep_sort_config_static_selectorELNS0_4arch9wavefront6targetE1EEEvSE_,comdat
.Lfunc_end1563:
	.size	_ZN7rocprim17ROCPRIM_400000_NS6detail17trampoline_kernelINS0_14default_configENS1_35radix_sort_onesweep_config_selectorIcNS0_10empty_typeEEEZZNS1_29radix_sort_onesweep_iterationIS3_Lb1EPcS8_PS5_S9_mNS0_19identity_decomposerENS1_16block_id_wrapperIjLb0EEEEE10hipError_tT1_PNSt15iterator_traitsISE_E10value_typeET2_T3_PNSF_ISK_E10value_typeET4_T5_PSP_SQ_PNS1_23onesweep_lookback_stateEbbT6_jjT7_P12ihipStream_tbENKUlT_T0_SE_SJ_E_clIS8_S8_S9_S9_EEDaSX_SY_SE_SJ_EUlSX_E_NS1_11comp_targetILNS1_3genE9ELNS1_11target_archE1100ELNS1_3gpuE3ELNS1_3repE0EEENS1_47radix_sort_onesweep_sort_config_static_selectorELNS0_4arch9wavefront6targetE1EEEvSE_, .Lfunc_end1563-_ZN7rocprim17ROCPRIM_400000_NS6detail17trampoline_kernelINS0_14default_configENS1_35radix_sort_onesweep_config_selectorIcNS0_10empty_typeEEEZZNS1_29radix_sort_onesweep_iterationIS3_Lb1EPcS8_PS5_S9_mNS0_19identity_decomposerENS1_16block_id_wrapperIjLb0EEEEE10hipError_tT1_PNSt15iterator_traitsISE_E10value_typeET2_T3_PNSF_ISK_E10value_typeET4_T5_PSP_SQ_PNS1_23onesweep_lookback_stateEbbT6_jjT7_P12ihipStream_tbENKUlT_T0_SE_SJ_E_clIS8_S8_S9_S9_EEDaSX_SY_SE_SJ_EUlSX_E_NS1_11comp_targetILNS1_3genE9ELNS1_11target_archE1100ELNS1_3gpuE3ELNS1_3repE0EEENS1_47radix_sort_onesweep_sort_config_static_selectorELNS0_4arch9wavefront6targetE1EEEvSE_
                                        ; -- End function
	.section	.AMDGPU.csdata,"",@progbits
; Kernel info:
; codeLenInByte = 0
; NumSgprs: 4
; NumVgprs: 0
; NumAgprs: 0
; TotalNumVgprs: 0
; ScratchSize: 0
; MemoryBound: 0
; FloatMode: 240
; IeeeMode: 1
; LDSByteSize: 0 bytes/workgroup (compile time only)
; SGPRBlocks: 0
; VGPRBlocks: 0
; NumSGPRsForWavesPerEU: 4
; NumVGPRsForWavesPerEU: 1
; AccumOffset: 4
; Occupancy: 8
; WaveLimiterHint : 0
; COMPUTE_PGM_RSRC2:SCRATCH_EN: 0
; COMPUTE_PGM_RSRC2:USER_SGPR: 6
; COMPUTE_PGM_RSRC2:TRAP_HANDLER: 0
; COMPUTE_PGM_RSRC2:TGID_X_EN: 1
; COMPUTE_PGM_RSRC2:TGID_Y_EN: 0
; COMPUTE_PGM_RSRC2:TGID_Z_EN: 0
; COMPUTE_PGM_RSRC2:TIDIG_COMP_CNT: 0
; COMPUTE_PGM_RSRC3_GFX90A:ACCUM_OFFSET: 0
; COMPUTE_PGM_RSRC3_GFX90A:TG_SPLIT: 0
	.section	.text._ZN7rocprim17ROCPRIM_400000_NS6detail17trampoline_kernelINS0_14default_configENS1_35radix_sort_onesweep_config_selectorIcNS0_10empty_typeEEEZZNS1_29radix_sort_onesweep_iterationIS3_Lb1EPcS8_PS5_S9_mNS0_19identity_decomposerENS1_16block_id_wrapperIjLb0EEEEE10hipError_tT1_PNSt15iterator_traitsISE_E10value_typeET2_T3_PNSF_ISK_E10value_typeET4_T5_PSP_SQ_PNS1_23onesweep_lookback_stateEbbT6_jjT7_P12ihipStream_tbENKUlT_T0_SE_SJ_E_clIS8_S8_S9_S9_EEDaSX_SY_SE_SJ_EUlSX_E_NS1_11comp_targetILNS1_3genE8ELNS1_11target_archE1030ELNS1_3gpuE2ELNS1_3repE0EEENS1_47radix_sort_onesweep_sort_config_static_selectorELNS0_4arch9wavefront6targetE1EEEvSE_,"axG",@progbits,_ZN7rocprim17ROCPRIM_400000_NS6detail17trampoline_kernelINS0_14default_configENS1_35radix_sort_onesweep_config_selectorIcNS0_10empty_typeEEEZZNS1_29radix_sort_onesweep_iterationIS3_Lb1EPcS8_PS5_S9_mNS0_19identity_decomposerENS1_16block_id_wrapperIjLb0EEEEE10hipError_tT1_PNSt15iterator_traitsISE_E10value_typeET2_T3_PNSF_ISK_E10value_typeET4_T5_PSP_SQ_PNS1_23onesweep_lookback_stateEbbT6_jjT7_P12ihipStream_tbENKUlT_T0_SE_SJ_E_clIS8_S8_S9_S9_EEDaSX_SY_SE_SJ_EUlSX_E_NS1_11comp_targetILNS1_3genE8ELNS1_11target_archE1030ELNS1_3gpuE2ELNS1_3repE0EEENS1_47radix_sort_onesweep_sort_config_static_selectorELNS0_4arch9wavefront6targetE1EEEvSE_,comdat
	.protected	_ZN7rocprim17ROCPRIM_400000_NS6detail17trampoline_kernelINS0_14default_configENS1_35radix_sort_onesweep_config_selectorIcNS0_10empty_typeEEEZZNS1_29radix_sort_onesweep_iterationIS3_Lb1EPcS8_PS5_S9_mNS0_19identity_decomposerENS1_16block_id_wrapperIjLb0EEEEE10hipError_tT1_PNSt15iterator_traitsISE_E10value_typeET2_T3_PNSF_ISK_E10value_typeET4_T5_PSP_SQ_PNS1_23onesweep_lookback_stateEbbT6_jjT7_P12ihipStream_tbENKUlT_T0_SE_SJ_E_clIS8_S8_S9_S9_EEDaSX_SY_SE_SJ_EUlSX_E_NS1_11comp_targetILNS1_3genE8ELNS1_11target_archE1030ELNS1_3gpuE2ELNS1_3repE0EEENS1_47radix_sort_onesweep_sort_config_static_selectorELNS0_4arch9wavefront6targetE1EEEvSE_ ; -- Begin function _ZN7rocprim17ROCPRIM_400000_NS6detail17trampoline_kernelINS0_14default_configENS1_35radix_sort_onesweep_config_selectorIcNS0_10empty_typeEEEZZNS1_29radix_sort_onesweep_iterationIS3_Lb1EPcS8_PS5_S9_mNS0_19identity_decomposerENS1_16block_id_wrapperIjLb0EEEEE10hipError_tT1_PNSt15iterator_traitsISE_E10value_typeET2_T3_PNSF_ISK_E10value_typeET4_T5_PSP_SQ_PNS1_23onesweep_lookback_stateEbbT6_jjT7_P12ihipStream_tbENKUlT_T0_SE_SJ_E_clIS8_S8_S9_S9_EEDaSX_SY_SE_SJ_EUlSX_E_NS1_11comp_targetILNS1_3genE8ELNS1_11target_archE1030ELNS1_3gpuE2ELNS1_3repE0EEENS1_47radix_sort_onesweep_sort_config_static_selectorELNS0_4arch9wavefront6targetE1EEEvSE_
	.globl	_ZN7rocprim17ROCPRIM_400000_NS6detail17trampoline_kernelINS0_14default_configENS1_35radix_sort_onesweep_config_selectorIcNS0_10empty_typeEEEZZNS1_29radix_sort_onesweep_iterationIS3_Lb1EPcS8_PS5_S9_mNS0_19identity_decomposerENS1_16block_id_wrapperIjLb0EEEEE10hipError_tT1_PNSt15iterator_traitsISE_E10value_typeET2_T3_PNSF_ISK_E10value_typeET4_T5_PSP_SQ_PNS1_23onesweep_lookback_stateEbbT6_jjT7_P12ihipStream_tbENKUlT_T0_SE_SJ_E_clIS8_S8_S9_S9_EEDaSX_SY_SE_SJ_EUlSX_E_NS1_11comp_targetILNS1_3genE8ELNS1_11target_archE1030ELNS1_3gpuE2ELNS1_3repE0EEENS1_47radix_sort_onesweep_sort_config_static_selectorELNS0_4arch9wavefront6targetE1EEEvSE_
	.p2align	8
	.type	_ZN7rocprim17ROCPRIM_400000_NS6detail17trampoline_kernelINS0_14default_configENS1_35radix_sort_onesweep_config_selectorIcNS0_10empty_typeEEEZZNS1_29radix_sort_onesweep_iterationIS3_Lb1EPcS8_PS5_S9_mNS0_19identity_decomposerENS1_16block_id_wrapperIjLb0EEEEE10hipError_tT1_PNSt15iterator_traitsISE_E10value_typeET2_T3_PNSF_ISK_E10value_typeET4_T5_PSP_SQ_PNS1_23onesweep_lookback_stateEbbT6_jjT7_P12ihipStream_tbENKUlT_T0_SE_SJ_E_clIS8_S8_S9_S9_EEDaSX_SY_SE_SJ_EUlSX_E_NS1_11comp_targetILNS1_3genE8ELNS1_11target_archE1030ELNS1_3gpuE2ELNS1_3repE0EEENS1_47radix_sort_onesweep_sort_config_static_selectorELNS0_4arch9wavefront6targetE1EEEvSE_,@function
_ZN7rocprim17ROCPRIM_400000_NS6detail17trampoline_kernelINS0_14default_configENS1_35radix_sort_onesweep_config_selectorIcNS0_10empty_typeEEEZZNS1_29radix_sort_onesweep_iterationIS3_Lb1EPcS8_PS5_S9_mNS0_19identity_decomposerENS1_16block_id_wrapperIjLb0EEEEE10hipError_tT1_PNSt15iterator_traitsISE_E10value_typeET2_T3_PNSF_ISK_E10value_typeET4_T5_PSP_SQ_PNS1_23onesweep_lookback_stateEbbT6_jjT7_P12ihipStream_tbENKUlT_T0_SE_SJ_E_clIS8_S8_S9_S9_EEDaSX_SY_SE_SJ_EUlSX_E_NS1_11comp_targetILNS1_3genE8ELNS1_11target_archE1030ELNS1_3gpuE2ELNS1_3repE0EEENS1_47radix_sort_onesweep_sort_config_static_selectorELNS0_4arch9wavefront6targetE1EEEvSE_: ; @_ZN7rocprim17ROCPRIM_400000_NS6detail17trampoline_kernelINS0_14default_configENS1_35radix_sort_onesweep_config_selectorIcNS0_10empty_typeEEEZZNS1_29radix_sort_onesweep_iterationIS3_Lb1EPcS8_PS5_S9_mNS0_19identity_decomposerENS1_16block_id_wrapperIjLb0EEEEE10hipError_tT1_PNSt15iterator_traitsISE_E10value_typeET2_T3_PNSF_ISK_E10value_typeET4_T5_PSP_SQ_PNS1_23onesweep_lookback_stateEbbT6_jjT7_P12ihipStream_tbENKUlT_T0_SE_SJ_E_clIS8_S8_S9_S9_EEDaSX_SY_SE_SJ_EUlSX_E_NS1_11comp_targetILNS1_3genE8ELNS1_11target_archE1030ELNS1_3gpuE2ELNS1_3repE0EEENS1_47radix_sort_onesweep_sort_config_static_selectorELNS0_4arch9wavefront6targetE1EEEvSE_
; %bb.0:
	.section	.rodata,"a",@progbits
	.p2align	6, 0x0
	.amdhsa_kernel _ZN7rocprim17ROCPRIM_400000_NS6detail17trampoline_kernelINS0_14default_configENS1_35radix_sort_onesweep_config_selectorIcNS0_10empty_typeEEEZZNS1_29radix_sort_onesweep_iterationIS3_Lb1EPcS8_PS5_S9_mNS0_19identity_decomposerENS1_16block_id_wrapperIjLb0EEEEE10hipError_tT1_PNSt15iterator_traitsISE_E10value_typeET2_T3_PNSF_ISK_E10value_typeET4_T5_PSP_SQ_PNS1_23onesweep_lookback_stateEbbT6_jjT7_P12ihipStream_tbENKUlT_T0_SE_SJ_E_clIS8_S8_S9_S9_EEDaSX_SY_SE_SJ_EUlSX_E_NS1_11comp_targetILNS1_3genE8ELNS1_11target_archE1030ELNS1_3gpuE2ELNS1_3repE0EEENS1_47radix_sort_onesweep_sort_config_static_selectorELNS0_4arch9wavefront6targetE1EEEvSE_
		.amdhsa_group_segment_fixed_size 0
		.amdhsa_private_segment_fixed_size 0
		.amdhsa_kernarg_size 88
		.amdhsa_user_sgpr_count 6
		.amdhsa_user_sgpr_private_segment_buffer 1
		.amdhsa_user_sgpr_dispatch_ptr 0
		.amdhsa_user_sgpr_queue_ptr 0
		.amdhsa_user_sgpr_kernarg_segment_ptr 1
		.amdhsa_user_sgpr_dispatch_id 0
		.amdhsa_user_sgpr_flat_scratch_init 0
		.amdhsa_user_sgpr_kernarg_preload_length 0
		.amdhsa_user_sgpr_kernarg_preload_offset 0
		.amdhsa_user_sgpr_private_segment_size 0
		.amdhsa_uses_dynamic_stack 0
		.amdhsa_system_sgpr_private_segment_wavefront_offset 0
		.amdhsa_system_sgpr_workgroup_id_x 1
		.amdhsa_system_sgpr_workgroup_id_y 0
		.amdhsa_system_sgpr_workgroup_id_z 0
		.amdhsa_system_sgpr_workgroup_info 0
		.amdhsa_system_vgpr_workitem_id 0
		.amdhsa_next_free_vgpr 1
		.amdhsa_next_free_sgpr 0
		.amdhsa_accum_offset 4
		.amdhsa_reserve_vcc 0
		.amdhsa_reserve_flat_scratch 0
		.amdhsa_float_round_mode_32 0
		.amdhsa_float_round_mode_16_64 0
		.amdhsa_float_denorm_mode_32 3
		.amdhsa_float_denorm_mode_16_64 3
		.amdhsa_dx10_clamp 1
		.amdhsa_ieee_mode 1
		.amdhsa_fp16_overflow 0
		.amdhsa_tg_split 0
		.amdhsa_exception_fp_ieee_invalid_op 0
		.amdhsa_exception_fp_denorm_src 0
		.amdhsa_exception_fp_ieee_div_zero 0
		.amdhsa_exception_fp_ieee_overflow 0
		.amdhsa_exception_fp_ieee_underflow 0
		.amdhsa_exception_fp_ieee_inexact 0
		.amdhsa_exception_int_div_zero 0
	.end_amdhsa_kernel
	.section	.text._ZN7rocprim17ROCPRIM_400000_NS6detail17trampoline_kernelINS0_14default_configENS1_35radix_sort_onesweep_config_selectorIcNS0_10empty_typeEEEZZNS1_29radix_sort_onesweep_iterationIS3_Lb1EPcS8_PS5_S9_mNS0_19identity_decomposerENS1_16block_id_wrapperIjLb0EEEEE10hipError_tT1_PNSt15iterator_traitsISE_E10value_typeET2_T3_PNSF_ISK_E10value_typeET4_T5_PSP_SQ_PNS1_23onesweep_lookback_stateEbbT6_jjT7_P12ihipStream_tbENKUlT_T0_SE_SJ_E_clIS8_S8_S9_S9_EEDaSX_SY_SE_SJ_EUlSX_E_NS1_11comp_targetILNS1_3genE8ELNS1_11target_archE1030ELNS1_3gpuE2ELNS1_3repE0EEENS1_47radix_sort_onesweep_sort_config_static_selectorELNS0_4arch9wavefront6targetE1EEEvSE_,"axG",@progbits,_ZN7rocprim17ROCPRIM_400000_NS6detail17trampoline_kernelINS0_14default_configENS1_35radix_sort_onesweep_config_selectorIcNS0_10empty_typeEEEZZNS1_29radix_sort_onesweep_iterationIS3_Lb1EPcS8_PS5_S9_mNS0_19identity_decomposerENS1_16block_id_wrapperIjLb0EEEEE10hipError_tT1_PNSt15iterator_traitsISE_E10value_typeET2_T3_PNSF_ISK_E10value_typeET4_T5_PSP_SQ_PNS1_23onesweep_lookback_stateEbbT6_jjT7_P12ihipStream_tbENKUlT_T0_SE_SJ_E_clIS8_S8_S9_S9_EEDaSX_SY_SE_SJ_EUlSX_E_NS1_11comp_targetILNS1_3genE8ELNS1_11target_archE1030ELNS1_3gpuE2ELNS1_3repE0EEENS1_47radix_sort_onesweep_sort_config_static_selectorELNS0_4arch9wavefront6targetE1EEEvSE_,comdat
.Lfunc_end1564:
	.size	_ZN7rocprim17ROCPRIM_400000_NS6detail17trampoline_kernelINS0_14default_configENS1_35radix_sort_onesweep_config_selectorIcNS0_10empty_typeEEEZZNS1_29radix_sort_onesweep_iterationIS3_Lb1EPcS8_PS5_S9_mNS0_19identity_decomposerENS1_16block_id_wrapperIjLb0EEEEE10hipError_tT1_PNSt15iterator_traitsISE_E10value_typeET2_T3_PNSF_ISK_E10value_typeET4_T5_PSP_SQ_PNS1_23onesweep_lookback_stateEbbT6_jjT7_P12ihipStream_tbENKUlT_T0_SE_SJ_E_clIS8_S8_S9_S9_EEDaSX_SY_SE_SJ_EUlSX_E_NS1_11comp_targetILNS1_3genE8ELNS1_11target_archE1030ELNS1_3gpuE2ELNS1_3repE0EEENS1_47radix_sort_onesweep_sort_config_static_selectorELNS0_4arch9wavefront6targetE1EEEvSE_, .Lfunc_end1564-_ZN7rocprim17ROCPRIM_400000_NS6detail17trampoline_kernelINS0_14default_configENS1_35radix_sort_onesweep_config_selectorIcNS0_10empty_typeEEEZZNS1_29radix_sort_onesweep_iterationIS3_Lb1EPcS8_PS5_S9_mNS0_19identity_decomposerENS1_16block_id_wrapperIjLb0EEEEE10hipError_tT1_PNSt15iterator_traitsISE_E10value_typeET2_T3_PNSF_ISK_E10value_typeET4_T5_PSP_SQ_PNS1_23onesweep_lookback_stateEbbT6_jjT7_P12ihipStream_tbENKUlT_T0_SE_SJ_E_clIS8_S8_S9_S9_EEDaSX_SY_SE_SJ_EUlSX_E_NS1_11comp_targetILNS1_3genE8ELNS1_11target_archE1030ELNS1_3gpuE2ELNS1_3repE0EEENS1_47radix_sort_onesweep_sort_config_static_selectorELNS0_4arch9wavefront6targetE1EEEvSE_
                                        ; -- End function
	.section	.AMDGPU.csdata,"",@progbits
; Kernel info:
; codeLenInByte = 0
; NumSgprs: 4
; NumVgprs: 0
; NumAgprs: 0
; TotalNumVgprs: 0
; ScratchSize: 0
; MemoryBound: 0
; FloatMode: 240
; IeeeMode: 1
; LDSByteSize: 0 bytes/workgroup (compile time only)
; SGPRBlocks: 0
; VGPRBlocks: 0
; NumSGPRsForWavesPerEU: 4
; NumVGPRsForWavesPerEU: 1
; AccumOffset: 4
; Occupancy: 8
; WaveLimiterHint : 0
; COMPUTE_PGM_RSRC2:SCRATCH_EN: 0
; COMPUTE_PGM_RSRC2:USER_SGPR: 6
; COMPUTE_PGM_RSRC2:TRAP_HANDLER: 0
; COMPUTE_PGM_RSRC2:TGID_X_EN: 1
; COMPUTE_PGM_RSRC2:TGID_Y_EN: 0
; COMPUTE_PGM_RSRC2:TGID_Z_EN: 0
; COMPUTE_PGM_RSRC2:TIDIG_COMP_CNT: 0
; COMPUTE_PGM_RSRC3_GFX90A:ACCUM_OFFSET: 0
; COMPUTE_PGM_RSRC3_GFX90A:TG_SPLIT: 0
	.section	.text._ZN7rocprim17ROCPRIM_400000_NS6detail17trampoline_kernelINS0_13kernel_configILj256ELj4ELj4294967295EEENS1_37radix_sort_block_sort_config_selectorIaNS0_10empty_typeEEEZNS1_21radix_sort_block_sortIS4_Lb1EPaS9_PS6_SA_NS0_19identity_decomposerEEE10hipError_tT1_T2_T3_T4_jRjT5_jjP12ihipStream_tbEUlT_E_NS1_11comp_targetILNS1_3genE0ELNS1_11target_archE4294967295ELNS1_3gpuE0ELNS1_3repE0EEENS1_44radix_sort_block_sort_config_static_selectorELNS0_4arch9wavefront6targetE1EEEvSD_,"axG",@progbits,_ZN7rocprim17ROCPRIM_400000_NS6detail17trampoline_kernelINS0_13kernel_configILj256ELj4ELj4294967295EEENS1_37radix_sort_block_sort_config_selectorIaNS0_10empty_typeEEEZNS1_21radix_sort_block_sortIS4_Lb1EPaS9_PS6_SA_NS0_19identity_decomposerEEE10hipError_tT1_T2_T3_T4_jRjT5_jjP12ihipStream_tbEUlT_E_NS1_11comp_targetILNS1_3genE0ELNS1_11target_archE4294967295ELNS1_3gpuE0ELNS1_3repE0EEENS1_44radix_sort_block_sort_config_static_selectorELNS0_4arch9wavefront6targetE1EEEvSD_,comdat
	.protected	_ZN7rocprim17ROCPRIM_400000_NS6detail17trampoline_kernelINS0_13kernel_configILj256ELj4ELj4294967295EEENS1_37radix_sort_block_sort_config_selectorIaNS0_10empty_typeEEEZNS1_21radix_sort_block_sortIS4_Lb1EPaS9_PS6_SA_NS0_19identity_decomposerEEE10hipError_tT1_T2_T3_T4_jRjT5_jjP12ihipStream_tbEUlT_E_NS1_11comp_targetILNS1_3genE0ELNS1_11target_archE4294967295ELNS1_3gpuE0ELNS1_3repE0EEENS1_44radix_sort_block_sort_config_static_selectorELNS0_4arch9wavefront6targetE1EEEvSD_ ; -- Begin function _ZN7rocprim17ROCPRIM_400000_NS6detail17trampoline_kernelINS0_13kernel_configILj256ELj4ELj4294967295EEENS1_37radix_sort_block_sort_config_selectorIaNS0_10empty_typeEEEZNS1_21radix_sort_block_sortIS4_Lb1EPaS9_PS6_SA_NS0_19identity_decomposerEEE10hipError_tT1_T2_T3_T4_jRjT5_jjP12ihipStream_tbEUlT_E_NS1_11comp_targetILNS1_3genE0ELNS1_11target_archE4294967295ELNS1_3gpuE0ELNS1_3repE0EEENS1_44radix_sort_block_sort_config_static_selectorELNS0_4arch9wavefront6targetE1EEEvSD_
	.globl	_ZN7rocprim17ROCPRIM_400000_NS6detail17trampoline_kernelINS0_13kernel_configILj256ELj4ELj4294967295EEENS1_37radix_sort_block_sort_config_selectorIaNS0_10empty_typeEEEZNS1_21radix_sort_block_sortIS4_Lb1EPaS9_PS6_SA_NS0_19identity_decomposerEEE10hipError_tT1_T2_T3_T4_jRjT5_jjP12ihipStream_tbEUlT_E_NS1_11comp_targetILNS1_3genE0ELNS1_11target_archE4294967295ELNS1_3gpuE0ELNS1_3repE0EEENS1_44radix_sort_block_sort_config_static_selectorELNS0_4arch9wavefront6targetE1EEEvSD_
	.p2align	8
	.type	_ZN7rocprim17ROCPRIM_400000_NS6detail17trampoline_kernelINS0_13kernel_configILj256ELj4ELj4294967295EEENS1_37radix_sort_block_sort_config_selectorIaNS0_10empty_typeEEEZNS1_21radix_sort_block_sortIS4_Lb1EPaS9_PS6_SA_NS0_19identity_decomposerEEE10hipError_tT1_T2_T3_T4_jRjT5_jjP12ihipStream_tbEUlT_E_NS1_11comp_targetILNS1_3genE0ELNS1_11target_archE4294967295ELNS1_3gpuE0ELNS1_3repE0EEENS1_44radix_sort_block_sort_config_static_selectorELNS0_4arch9wavefront6targetE1EEEvSD_,@function
_ZN7rocprim17ROCPRIM_400000_NS6detail17trampoline_kernelINS0_13kernel_configILj256ELj4ELj4294967295EEENS1_37radix_sort_block_sort_config_selectorIaNS0_10empty_typeEEEZNS1_21radix_sort_block_sortIS4_Lb1EPaS9_PS6_SA_NS0_19identity_decomposerEEE10hipError_tT1_T2_T3_T4_jRjT5_jjP12ihipStream_tbEUlT_E_NS1_11comp_targetILNS1_3genE0ELNS1_11target_archE4294967295ELNS1_3gpuE0ELNS1_3repE0EEENS1_44radix_sort_block_sort_config_static_selectorELNS0_4arch9wavefront6targetE1EEEvSD_: ; @_ZN7rocprim17ROCPRIM_400000_NS6detail17trampoline_kernelINS0_13kernel_configILj256ELj4ELj4294967295EEENS1_37radix_sort_block_sort_config_selectorIaNS0_10empty_typeEEEZNS1_21radix_sort_block_sortIS4_Lb1EPaS9_PS6_SA_NS0_19identity_decomposerEEE10hipError_tT1_T2_T3_T4_jRjT5_jjP12ihipStream_tbEUlT_E_NS1_11comp_targetILNS1_3genE0ELNS1_11target_archE4294967295ELNS1_3gpuE0ELNS1_3repE0EEENS1_44radix_sort_block_sort_config_static_selectorELNS0_4arch9wavefront6targetE1EEEvSD_
; %bb.0:
	.section	.rodata,"a",@progbits
	.p2align	6, 0x0
	.amdhsa_kernel _ZN7rocprim17ROCPRIM_400000_NS6detail17trampoline_kernelINS0_13kernel_configILj256ELj4ELj4294967295EEENS1_37radix_sort_block_sort_config_selectorIaNS0_10empty_typeEEEZNS1_21radix_sort_block_sortIS4_Lb1EPaS9_PS6_SA_NS0_19identity_decomposerEEE10hipError_tT1_T2_T3_T4_jRjT5_jjP12ihipStream_tbEUlT_E_NS1_11comp_targetILNS1_3genE0ELNS1_11target_archE4294967295ELNS1_3gpuE0ELNS1_3repE0EEENS1_44radix_sort_block_sort_config_static_selectorELNS0_4arch9wavefront6targetE1EEEvSD_
		.amdhsa_group_segment_fixed_size 0
		.amdhsa_private_segment_fixed_size 0
		.amdhsa_kernarg_size 48
		.amdhsa_user_sgpr_count 6
		.amdhsa_user_sgpr_private_segment_buffer 1
		.amdhsa_user_sgpr_dispatch_ptr 0
		.amdhsa_user_sgpr_queue_ptr 0
		.amdhsa_user_sgpr_kernarg_segment_ptr 1
		.amdhsa_user_sgpr_dispatch_id 0
		.amdhsa_user_sgpr_flat_scratch_init 0
		.amdhsa_user_sgpr_kernarg_preload_length 0
		.amdhsa_user_sgpr_kernarg_preload_offset 0
		.amdhsa_user_sgpr_private_segment_size 0
		.amdhsa_uses_dynamic_stack 0
		.amdhsa_system_sgpr_private_segment_wavefront_offset 0
		.amdhsa_system_sgpr_workgroup_id_x 1
		.amdhsa_system_sgpr_workgroup_id_y 0
		.amdhsa_system_sgpr_workgroup_id_z 0
		.amdhsa_system_sgpr_workgroup_info 0
		.amdhsa_system_vgpr_workitem_id 0
		.amdhsa_next_free_vgpr 1
		.amdhsa_next_free_sgpr 0
		.amdhsa_accum_offset 4
		.amdhsa_reserve_vcc 0
		.amdhsa_reserve_flat_scratch 0
		.amdhsa_float_round_mode_32 0
		.amdhsa_float_round_mode_16_64 0
		.amdhsa_float_denorm_mode_32 3
		.amdhsa_float_denorm_mode_16_64 3
		.amdhsa_dx10_clamp 1
		.amdhsa_ieee_mode 1
		.amdhsa_fp16_overflow 0
		.amdhsa_tg_split 0
		.amdhsa_exception_fp_ieee_invalid_op 0
		.amdhsa_exception_fp_denorm_src 0
		.amdhsa_exception_fp_ieee_div_zero 0
		.amdhsa_exception_fp_ieee_overflow 0
		.amdhsa_exception_fp_ieee_underflow 0
		.amdhsa_exception_fp_ieee_inexact 0
		.amdhsa_exception_int_div_zero 0
	.end_amdhsa_kernel
	.section	.text._ZN7rocprim17ROCPRIM_400000_NS6detail17trampoline_kernelINS0_13kernel_configILj256ELj4ELj4294967295EEENS1_37radix_sort_block_sort_config_selectorIaNS0_10empty_typeEEEZNS1_21radix_sort_block_sortIS4_Lb1EPaS9_PS6_SA_NS0_19identity_decomposerEEE10hipError_tT1_T2_T3_T4_jRjT5_jjP12ihipStream_tbEUlT_E_NS1_11comp_targetILNS1_3genE0ELNS1_11target_archE4294967295ELNS1_3gpuE0ELNS1_3repE0EEENS1_44radix_sort_block_sort_config_static_selectorELNS0_4arch9wavefront6targetE1EEEvSD_,"axG",@progbits,_ZN7rocprim17ROCPRIM_400000_NS6detail17trampoline_kernelINS0_13kernel_configILj256ELj4ELj4294967295EEENS1_37radix_sort_block_sort_config_selectorIaNS0_10empty_typeEEEZNS1_21radix_sort_block_sortIS4_Lb1EPaS9_PS6_SA_NS0_19identity_decomposerEEE10hipError_tT1_T2_T3_T4_jRjT5_jjP12ihipStream_tbEUlT_E_NS1_11comp_targetILNS1_3genE0ELNS1_11target_archE4294967295ELNS1_3gpuE0ELNS1_3repE0EEENS1_44radix_sort_block_sort_config_static_selectorELNS0_4arch9wavefront6targetE1EEEvSD_,comdat
.Lfunc_end1565:
	.size	_ZN7rocprim17ROCPRIM_400000_NS6detail17trampoline_kernelINS0_13kernel_configILj256ELj4ELj4294967295EEENS1_37radix_sort_block_sort_config_selectorIaNS0_10empty_typeEEEZNS1_21radix_sort_block_sortIS4_Lb1EPaS9_PS6_SA_NS0_19identity_decomposerEEE10hipError_tT1_T2_T3_T4_jRjT5_jjP12ihipStream_tbEUlT_E_NS1_11comp_targetILNS1_3genE0ELNS1_11target_archE4294967295ELNS1_3gpuE0ELNS1_3repE0EEENS1_44radix_sort_block_sort_config_static_selectorELNS0_4arch9wavefront6targetE1EEEvSD_, .Lfunc_end1565-_ZN7rocprim17ROCPRIM_400000_NS6detail17trampoline_kernelINS0_13kernel_configILj256ELj4ELj4294967295EEENS1_37radix_sort_block_sort_config_selectorIaNS0_10empty_typeEEEZNS1_21radix_sort_block_sortIS4_Lb1EPaS9_PS6_SA_NS0_19identity_decomposerEEE10hipError_tT1_T2_T3_T4_jRjT5_jjP12ihipStream_tbEUlT_E_NS1_11comp_targetILNS1_3genE0ELNS1_11target_archE4294967295ELNS1_3gpuE0ELNS1_3repE0EEENS1_44radix_sort_block_sort_config_static_selectorELNS0_4arch9wavefront6targetE1EEEvSD_
                                        ; -- End function
	.section	.AMDGPU.csdata,"",@progbits
; Kernel info:
; codeLenInByte = 0
; NumSgprs: 4
; NumVgprs: 0
; NumAgprs: 0
; TotalNumVgprs: 0
; ScratchSize: 0
; MemoryBound: 0
; FloatMode: 240
; IeeeMode: 1
; LDSByteSize: 0 bytes/workgroup (compile time only)
; SGPRBlocks: 0
; VGPRBlocks: 0
; NumSGPRsForWavesPerEU: 4
; NumVGPRsForWavesPerEU: 1
; AccumOffset: 4
; Occupancy: 8
; WaveLimiterHint : 0
; COMPUTE_PGM_RSRC2:SCRATCH_EN: 0
; COMPUTE_PGM_RSRC2:USER_SGPR: 6
; COMPUTE_PGM_RSRC2:TRAP_HANDLER: 0
; COMPUTE_PGM_RSRC2:TGID_X_EN: 1
; COMPUTE_PGM_RSRC2:TGID_Y_EN: 0
; COMPUTE_PGM_RSRC2:TGID_Z_EN: 0
; COMPUTE_PGM_RSRC2:TIDIG_COMP_CNT: 0
; COMPUTE_PGM_RSRC3_GFX90A:ACCUM_OFFSET: 0
; COMPUTE_PGM_RSRC3_GFX90A:TG_SPLIT: 0
	.section	.text._ZN7rocprim17ROCPRIM_400000_NS6detail17trampoline_kernelINS0_13kernel_configILj256ELj4ELj4294967295EEENS1_37radix_sort_block_sort_config_selectorIaNS0_10empty_typeEEEZNS1_21radix_sort_block_sortIS4_Lb1EPaS9_PS6_SA_NS0_19identity_decomposerEEE10hipError_tT1_T2_T3_T4_jRjT5_jjP12ihipStream_tbEUlT_E_NS1_11comp_targetILNS1_3genE5ELNS1_11target_archE942ELNS1_3gpuE9ELNS1_3repE0EEENS1_44radix_sort_block_sort_config_static_selectorELNS0_4arch9wavefront6targetE1EEEvSD_,"axG",@progbits,_ZN7rocprim17ROCPRIM_400000_NS6detail17trampoline_kernelINS0_13kernel_configILj256ELj4ELj4294967295EEENS1_37radix_sort_block_sort_config_selectorIaNS0_10empty_typeEEEZNS1_21radix_sort_block_sortIS4_Lb1EPaS9_PS6_SA_NS0_19identity_decomposerEEE10hipError_tT1_T2_T3_T4_jRjT5_jjP12ihipStream_tbEUlT_E_NS1_11comp_targetILNS1_3genE5ELNS1_11target_archE942ELNS1_3gpuE9ELNS1_3repE0EEENS1_44radix_sort_block_sort_config_static_selectorELNS0_4arch9wavefront6targetE1EEEvSD_,comdat
	.protected	_ZN7rocprim17ROCPRIM_400000_NS6detail17trampoline_kernelINS0_13kernel_configILj256ELj4ELj4294967295EEENS1_37radix_sort_block_sort_config_selectorIaNS0_10empty_typeEEEZNS1_21radix_sort_block_sortIS4_Lb1EPaS9_PS6_SA_NS0_19identity_decomposerEEE10hipError_tT1_T2_T3_T4_jRjT5_jjP12ihipStream_tbEUlT_E_NS1_11comp_targetILNS1_3genE5ELNS1_11target_archE942ELNS1_3gpuE9ELNS1_3repE0EEENS1_44radix_sort_block_sort_config_static_selectorELNS0_4arch9wavefront6targetE1EEEvSD_ ; -- Begin function _ZN7rocprim17ROCPRIM_400000_NS6detail17trampoline_kernelINS0_13kernel_configILj256ELj4ELj4294967295EEENS1_37radix_sort_block_sort_config_selectorIaNS0_10empty_typeEEEZNS1_21radix_sort_block_sortIS4_Lb1EPaS9_PS6_SA_NS0_19identity_decomposerEEE10hipError_tT1_T2_T3_T4_jRjT5_jjP12ihipStream_tbEUlT_E_NS1_11comp_targetILNS1_3genE5ELNS1_11target_archE942ELNS1_3gpuE9ELNS1_3repE0EEENS1_44radix_sort_block_sort_config_static_selectorELNS0_4arch9wavefront6targetE1EEEvSD_
	.globl	_ZN7rocprim17ROCPRIM_400000_NS6detail17trampoline_kernelINS0_13kernel_configILj256ELj4ELj4294967295EEENS1_37radix_sort_block_sort_config_selectorIaNS0_10empty_typeEEEZNS1_21radix_sort_block_sortIS4_Lb1EPaS9_PS6_SA_NS0_19identity_decomposerEEE10hipError_tT1_T2_T3_T4_jRjT5_jjP12ihipStream_tbEUlT_E_NS1_11comp_targetILNS1_3genE5ELNS1_11target_archE942ELNS1_3gpuE9ELNS1_3repE0EEENS1_44radix_sort_block_sort_config_static_selectorELNS0_4arch9wavefront6targetE1EEEvSD_
	.p2align	8
	.type	_ZN7rocprim17ROCPRIM_400000_NS6detail17trampoline_kernelINS0_13kernel_configILj256ELj4ELj4294967295EEENS1_37radix_sort_block_sort_config_selectorIaNS0_10empty_typeEEEZNS1_21radix_sort_block_sortIS4_Lb1EPaS9_PS6_SA_NS0_19identity_decomposerEEE10hipError_tT1_T2_T3_T4_jRjT5_jjP12ihipStream_tbEUlT_E_NS1_11comp_targetILNS1_3genE5ELNS1_11target_archE942ELNS1_3gpuE9ELNS1_3repE0EEENS1_44radix_sort_block_sort_config_static_selectorELNS0_4arch9wavefront6targetE1EEEvSD_,@function
_ZN7rocprim17ROCPRIM_400000_NS6detail17trampoline_kernelINS0_13kernel_configILj256ELj4ELj4294967295EEENS1_37radix_sort_block_sort_config_selectorIaNS0_10empty_typeEEEZNS1_21radix_sort_block_sortIS4_Lb1EPaS9_PS6_SA_NS0_19identity_decomposerEEE10hipError_tT1_T2_T3_T4_jRjT5_jjP12ihipStream_tbEUlT_E_NS1_11comp_targetILNS1_3genE5ELNS1_11target_archE942ELNS1_3gpuE9ELNS1_3repE0EEENS1_44radix_sort_block_sort_config_static_selectorELNS0_4arch9wavefront6targetE1EEEvSD_: ; @_ZN7rocprim17ROCPRIM_400000_NS6detail17trampoline_kernelINS0_13kernel_configILj256ELj4ELj4294967295EEENS1_37radix_sort_block_sort_config_selectorIaNS0_10empty_typeEEEZNS1_21radix_sort_block_sortIS4_Lb1EPaS9_PS6_SA_NS0_19identity_decomposerEEE10hipError_tT1_T2_T3_T4_jRjT5_jjP12ihipStream_tbEUlT_E_NS1_11comp_targetILNS1_3genE5ELNS1_11target_archE942ELNS1_3gpuE9ELNS1_3repE0EEENS1_44radix_sort_block_sort_config_static_selectorELNS0_4arch9wavefront6targetE1EEEvSD_
; %bb.0:
	.section	.rodata,"a",@progbits
	.p2align	6, 0x0
	.amdhsa_kernel _ZN7rocprim17ROCPRIM_400000_NS6detail17trampoline_kernelINS0_13kernel_configILj256ELj4ELj4294967295EEENS1_37radix_sort_block_sort_config_selectorIaNS0_10empty_typeEEEZNS1_21radix_sort_block_sortIS4_Lb1EPaS9_PS6_SA_NS0_19identity_decomposerEEE10hipError_tT1_T2_T3_T4_jRjT5_jjP12ihipStream_tbEUlT_E_NS1_11comp_targetILNS1_3genE5ELNS1_11target_archE942ELNS1_3gpuE9ELNS1_3repE0EEENS1_44radix_sort_block_sort_config_static_selectorELNS0_4arch9wavefront6targetE1EEEvSD_
		.amdhsa_group_segment_fixed_size 0
		.amdhsa_private_segment_fixed_size 0
		.amdhsa_kernarg_size 48
		.amdhsa_user_sgpr_count 6
		.amdhsa_user_sgpr_private_segment_buffer 1
		.amdhsa_user_sgpr_dispatch_ptr 0
		.amdhsa_user_sgpr_queue_ptr 0
		.amdhsa_user_sgpr_kernarg_segment_ptr 1
		.amdhsa_user_sgpr_dispatch_id 0
		.amdhsa_user_sgpr_flat_scratch_init 0
		.amdhsa_user_sgpr_kernarg_preload_length 0
		.amdhsa_user_sgpr_kernarg_preload_offset 0
		.amdhsa_user_sgpr_private_segment_size 0
		.amdhsa_uses_dynamic_stack 0
		.amdhsa_system_sgpr_private_segment_wavefront_offset 0
		.amdhsa_system_sgpr_workgroup_id_x 1
		.amdhsa_system_sgpr_workgroup_id_y 0
		.amdhsa_system_sgpr_workgroup_id_z 0
		.amdhsa_system_sgpr_workgroup_info 0
		.amdhsa_system_vgpr_workitem_id 0
		.amdhsa_next_free_vgpr 1
		.amdhsa_next_free_sgpr 0
		.amdhsa_accum_offset 4
		.amdhsa_reserve_vcc 0
		.amdhsa_reserve_flat_scratch 0
		.amdhsa_float_round_mode_32 0
		.amdhsa_float_round_mode_16_64 0
		.amdhsa_float_denorm_mode_32 3
		.amdhsa_float_denorm_mode_16_64 3
		.amdhsa_dx10_clamp 1
		.amdhsa_ieee_mode 1
		.amdhsa_fp16_overflow 0
		.amdhsa_tg_split 0
		.amdhsa_exception_fp_ieee_invalid_op 0
		.amdhsa_exception_fp_denorm_src 0
		.amdhsa_exception_fp_ieee_div_zero 0
		.amdhsa_exception_fp_ieee_overflow 0
		.amdhsa_exception_fp_ieee_underflow 0
		.amdhsa_exception_fp_ieee_inexact 0
		.amdhsa_exception_int_div_zero 0
	.end_amdhsa_kernel
	.section	.text._ZN7rocprim17ROCPRIM_400000_NS6detail17trampoline_kernelINS0_13kernel_configILj256ELj4ELj4294967295EEENS1_37radix_sort_block_sort_config_selectorIaNS0_10empty_typeEEEZNS1_21radix_sort_block_sortIS4_Lb1EPaS9_PS6_SA_NS0_19identity_decomposerEEE10hipError_tT1_T2_T3_T4_jRjT5_jjP12ihipStream_tbEUlT_E_NS1_11comp_targetILNS1_3genE5ELNS1_11target_archE942ELNS1_3gpuE9ELNS1_3repE0EEENS1_44radix_sort_block_sort_config_static_selectorELNS0_4arch9wavefront6targetE1EEEvSD_,"axG",@progbits,_ZN7rocprim17ROCPRIM_400000_NS6detail17trampoline_kernelINS0_13kernel_configILj256ELj4ELj4294967295EEENS1_37radix_sort_block_sort_config_selectorIaNS0_10empty_typeEEEZNS1_21radix_sort_block_sortIS4_Lb1EPaS9_PS6_SA_NS0_19identity_decomposerEEE10hipError_tT1_T2_T3_T4_jRjT5_jjP12ihipStream_tbEUlT_E_NS1_11comp_targetILNS1_3genE5ELNS1_11target_archE942ELNS1_3gpuE9ELNS1_3repE0EEENS1_44radix_sort_block_sort_config_static_selectorELNS0_4arch9wavefront6targetE1EEEvSD_,comdat
.Lfunc_end1566:
	.size	_ZN7rocprim17ROCPRIM_400000_NS6detail17trampoline_kernelINS0_13kernel_configILj256ELj4ELj4294967295EEENS1_37radix_sort_block_sort_config_selectorIaNS0_10empty_typeEEEZNS1_21radix_sort_block_sortIS4_Lb1EPaS9_PS6_SA_NS0_19identity_decomposerEEE10hipError_tT1_T2_T3_T4_jRjT5_jjP12ihipStream_tbEUlT_E_NS1_11comp_targetILNS1_3genE5ELNS1_11target_archE942ELNS1_3gpuE9ELNS1_3repE0EEENS1_44radix_sort_block_sort_config_static_selectorELNS0_4arch9wavefront6targetE1EEEvSD_, .Lfunc_end1566-_ZN7rocprim17ROCPRIM_400000_NS6detail17trampoline_kernelINS0_13kernel_configILj256ELj4ELj4294967295EEENS1_37radix_sort_block_sort_config_selectorIaNS0_10empty_typeEEEZNS1_21radix_sort_block_sortIS4_Lb1EPaS9_PS6_SA_NS0_19identity_decomposerEEE10hipError_tT1_T2_T3_T4_jRjT5_jjP12ihipStream_tbEUlT_E_NS1_11comp_targetILNS1_3genE5ELNS1_11target_archE942ELNS1_3gpuE9ELNS1_3repE0EEENS1_44radix_sort_block_sort_config_static_selectorELNS0_4arch9wavefront6targetE1EEEvSD_
                                        ; -- End function
	.section	.AMDGPU.csdata,"",@progbits
; Kernel info:
; codeLenInByte = 0
; NumSgprs: 4
; NumVgprs: 0
; NumAgprs: 0
; TotalNumVgprs: 0
; ScratchSize: 0
; MemoryBound: 0
; FloatMode: 240
; IeeeMode: 1
; LDSByteSize: 0 bytes/workgroup (compile time only)
; SGPRBlocks: 0
; VGPRBlocks: 0
; NumSGPRsForWavesPerEU: 4
; NumVGPRsForWavesPerEU: 1
; AccumOffset: 4
; Occupancy: 8
; WaveLimiterHint : 0
; COMPUTE_PGM_RSRC2:SCRATCH_EN: 0
; COMPUTE_PGM_RSRC2:USER_SGPR: 6
; COMPUTE_PGM_RSRC2:TRAP_HANDLER: 0
; COMPUTE_PGM_RSRC2:TGID_X_EN: 1
; COMPUTE_PGM_RSRC2:TGID_Y_EN: 0
; COMPUTE_PGM_RSRC2:TGID_Z_EN: 0
; COMPUTE_PGM_RSRC2:TIDIG_COMP_CNT: 0
; COMPUTE_PGM_RSRC3_GFX90A:ACCUM_OFFSET: 0
; COMPUTE_PGM_RSRC3_GFX90A:TG_SPLIT: 0
	.section	.text._ZN7rocprim17ROCPRIM_400000_NS6detail17trampoline_kernelINS0_13kernel_configILj256ELj4ELj4294967295EEENS1_37radix_sort_block_sort_config_selectorIaNS0_10empty_typeEEEZNS1_21radix_sort_block_sortIS4_Lb1EPaS9_PS6_SA_NS0_19identity_decomposerEEE10hipError_tT1_T2_T3_T4_jRjT5_jjP12ihipStream_tbEUlT_E_NS1_11comp_targetILNS1_3genE4ELNS1_11target_archE910ELNS1_3gpuE8ELNS1_3repE0EEENS1_44radix_sort_block_sort_config_static_selectorELNS0_4arch9wavefront6targetE1EEEvSD_,"axG",@progbits,_ZN7rocprim17ROCPRIM_400000_NS6detail17trampoline_kernelINS0_13kernel_configILj256ELj4ELj4294967295EEENS1_37radix_sort_block_sort_config_selectorIaNS0_10empty_typeEEEZNS1_21radix_sort_block_sortIS4_Lb1EPaS9_PS6_SA_NS0_19identity_decomposerEEE10hipError_tT1_T2_T3_T4_jRjT5_jjP12ihipStream_tbEUlT_E_NS1_11comp_targetILNS1_3genE4ELNS1_11target_archE910ELNS1_3gpuE8ELNS1_3repE0EEENS1_44radix_sort_block_sort_config_static_selectorELNS0_4arch9wavefront6targetE1EEEvSD_,comdat
	.protected	_ZN7rocprim17ROCPRIM_400000_NS6detail17trampoline_kernelINS0_13kernel_configILj256ELj4ELj4294967295EEENS1_37radix_sort_block_sort_config_selectorIaNS0_10empty_typeEEEZNS1_21radix_sort_block_sortIS4_Lb1EPaS9_PS6_SA_NS0_19identity_decomposerEEE10hipError_tT1_T2_T3_T4_jRjT5_jjP12ihipStream_tbEUlT_E_NS1_11comp_targetILNS1_3genE4ELNS1_11target_archE910ELNS1_3gpuE8ELNS1_3repE0EEENS1_44radix_sort_block_sort_config_static_selectorELNS0_4arch9wavefront6targetE1EEEvSD_ ; -- Begin function _ZN7rocprim17ROCPRIM_400000_NS6detail17trampoline_kernelINS0_13kernel_configILj256ELj4ELj4294967295EEENS1_37radix_sort_block_sort_config_selectorIaNS0_10empty_typeEEEZNS1_21radix_sort_block_sortIS4_Lb1EPaS9_PS6_SA_NS0_19identity_decomposerEEE10hipError_tT1_T2_T3_T4_jRjT5_jjP12ihipStream_tbEUlT_E_NS1_11comp_targetILNS1_3genE4ELNS1_11target_archE910ELNS1_3gpuE8ELNS1_3repE0EEENS1_44radix_sort_block_sort_config_static_selectorELNS0_4arch9wavefront6targetE1EEEvSD_
	.globl	_ZN7rocprim17ROCPRIM_400000_NS6detail17trampoline_kernelINS0_13kernel_configILj256ELj4ELj4294967295EEENS1_37radix_sort_block_sort_config_selectorIaNS0_10empty_typeEEEZNS1_21radix_sort_block_sortIS4_Lb1EPaS9_PS6_SA_NS0_19identity_decomposerEEE10hipError_tT1_T2_T3_T4_jRjT5_jjP12ihipStream_tbEUlT_E_NS1_11comp_targetILNS1_3genE4ELNS1_11target_archE910ELNS1_3gpuE8ELNS1_3repE0EEENS1_44radix_sort_block_sort_config_static_selectorELNS0_4arch9wavefront6targetE1EEEvSD_
	.p2align	8
	.type	_ZN7rocprim17ROCPRIM_400000_NS6detail17trampoline_kernelINS0_13kernel_configILj256ELj4ELj4294967295EEENS1_37radix_sort_block_sort_config_selectorIaNS0_10empty_typeEEEZNS1_21radix_sort_block_sortIS4_Lb1EPaS9_PS6_SA_NS0_19identity_decomposerEEE10hipError_tT1_T2_T3_T4_jRjT5_jjP12ihipStream_tbEUlT_E_NS1_11comp_targetILNS1_3genE4ELNS1_11target_archE910ELNS1_3gpuE8ELNS1_3repE0EEENS1_44radix_sort_block_sort_config_static_selectorELNS0_4arch9wavefront6targetE1EEEvSD_,@function
_ZN7rocprim17ROCPRIM_400000_NS6detail17trampoline_kernelINS0_13kernel_configILj256ELj4ELj4294967295EEENS1_37radix_sort_block_sort_config_selectorIaNS0_10empty_typeEEEZNS1_21radix_sort_block_sortIS4_Lb1EPaS9_PS6_SA_NS0_19identity_decomposerEEE10hipError_tT1_T2_T3_T4_jRjT5_jjP12ihipStream_tbEUlT_E_NS1_11comp_targetILNS1_3genE4ELNS1_11target_archE910ELNS1_3gpuE8ELNS1_3repE0EEENS1_44radix_sort_block_sort_config_static_selectorELNS0_4arch9wavefront6targetE1EEEvSD_: ; @_ZN7rocprim17ROCPRIM_400000_NS6detail17trampoline_kernelINS0_13kernel_configILj256ELj4ELj4294967295EEENS1_37radix_sort_block_sort_config_selectorIaNS0_10empty_typeEEEZNS1_21radix_sort_block_sortIS4_Lb1EPaS9_PS6_SA_NS0_19identity_decomposerEEE10hipError_tT1_T2_T3_T4_jRjT5_jjP12ihipStream_tbEUlT_E_NS1_11comp_targetILNS1_3genE4ELNS1_11target_archE910ELNS1_3gpuE8ELNS1_3repE0EEENS1_44radix_sort_block_sort_config_static_selectorELNS0_4arch9wavefront6targetE1EEEvSD_
; %bb.0:
	s_load_dword s2, s[4:5], 0x20
	s_load_dwordx4 s[28:31], s[4:5], 0x0
	s_lshl_b32 s36, s6, 10
	v_mbcnt_lo_u32_b32 v1, -1, 0
	v_mbcnt_hi_u32_b32 v1, -1, v1
	s_waitcnt lgkmcnt(0)
	s_lshr_b32 s0, s2, 10
	s_cmp_lg_u32 s6, s0
	s_cselect_b64 s[34:35], -1, 0
	s_add_u32 s1, s28, s36
	v_and_b32_e32 v4, 0x3ff, v0
	s_addc_u32 s3, s29, 0
	v_and_b32_e32 v5, 63, v1
	v_lshlrev_b32_e32 v6, 2, v4
	v_mov_b32_e32 v2, s3
	v_add_co_u32_e32 v3, vcc, s1, v5
	v_and_b32_e32 v12, 0x300, v6
	v_addc_co_u32_e32 v7, vcc, 0, v2, vcc
	v_add_co_u32_e32 v2, vcc, v3, v12
	s_cmp_eq_u32 s6, s0
	v_addc_co_u32_e32 v3, vcc, 0, v7, vcc
	v_or_b32_e32 v11, v5, v12
	s_cbranch_scc1 .LBB1567_2
; %bb.1:
	global_load_ubyte v8, v[2:3], off offset:192
	global_load_ubyte v10, v[2:3], off offset:128
	;; [unrolled: 1-line block ×3, first 2 shown]
	global_load_ubyte v7, v[2:3], off
	v_or_b32_e32 v14, v5, v12
	v_or_b32_e32 v5, 64, v14
	;; [unrolled: 1-line block ×4, first 2 shown]
	s_load_dwordx2 s[28:29], s[4:5], 0x28
	s_sub_i32 s33, s2, s36
	s_cbranch_execz .LBB1567_3
	s_branch .LBB1567_12
.LBB1567_2:
                                        ; implicit-def: $vgpr7
                                        ; implicit-def: $vgpr9
                                        ; implicit-def: $vgpr10
                                        ; implicit-def: $vgpr8
                                        ; implicit-def: $vgpr14
                                        ; implicit-def: $vgpr5
                                        ; implicit-def: $vgpr12
                                        ; implicit-def: $vgpr13
	s_load_dwordx2 s[28:29], s[4:5], 0x28
	s_sub_i32 s33, s2, s36
.LBB1567_3:
	v_cmp_gt_u32_e32 vcc, s33, v11
	s_waitcnt vmcnt(0)
	v_mov_b32_e32 v7, 0x80
	v_mov_b32_e32 v8, 0x80
	;; [unrolled: 1-line block ×4, first 2 shown]
	s_and_saveexec_b64 s[0:1], vcc
	s_cbranch_execz .LBB1567_5
; %bb.4:
	global_load_ubyte v7, v[2:3], off
	v_mov_b32_e32 v9, 0x80
	v_mov_b32_e32 v10, 0x80
	;; [unrolled: 1-line block ×3, first 2 shown]
.LBB1567_5:
	s_or_b64 exec, exec, s[0:1]
	v_or_b32_e32 v5, 64, v11
	v_cmp_gt_u32_e32 vcc, s33, v5
	s_and_saveexec_b64 s[0:1], vcc
	s_cbranch_execz .LBB1567_7
; %bb.6:
	global_load_ubyte v9, v[2:3], off offset:64
.LBB1567_7:
	s_or_b64 exec, exec, s[0:1]
	v_or_b32_e32 v12, 0x80, v11
	v_cmp_gt_u32_e32 vcc, s33, v12
	s_and_saveexec_b64 s[0:1], vcc
	s_cbranch_execz .LBB1567_9
; %bb.8:
	global_load_ubyte v10, v[2:3], off offset:128
.LBB1567_9:
	;; [unrolled: 8-line block ×3, first 2 shown]
	s_or_b64 exec, exec, s[0:1]
	v_mov_b32_e32 v14, v11
.LBB1567_12:
	s_load_dword s2, s[4:5], 0x3c
	s_movk_i32 s0, 0x7f
	s_waitcnt lgkmcnt(0)
	s_add_i32 s37, s29, s28
	s_waitcnt vmcnt(0)
	v_xor_b32_e32 v2, 0x7f, v7
	v_xor_b32_sdwa v3, v9, s0 dst_sel:BYTE_1 dst_unused:UNUSED_PAD src0_sel:DWORD src1_sel:DWORD
	v_xor_b32_e32 v7, 0x7f, v10
	v_xor_b32_sdwa v8, v8, s0 dst_sel:BYTE_1 dst_unused:UNUSED_PAD src0_sel:DWORD src1_sel:DWORD
	v_or_b32_sdwa v2, v2, v3 dst_sel:DWORD dst_unused:UNUSED_PAD src0_sel:BYTE_0 src1_sel:DWORD
	v_or_b32_sdwa v3, v7, v8 dst_sel:WORD_1 dst_unused:UNUSED_PAD src0_sel:BYTE_0 src1_sel:DWORD
	s_getpc_b64 s[0:1]
	s_add_u32 s0, s0, _ZN7rocprim17ROCPRIM_400000_NS16block_radix_sortIaLj256ELj4ENS0_10empty_typeELj1ELj1ELj0ELNS0_26block_radix_rank_algorithmE1ELNS0_18block_padding_hintE2ELNS0_4arch9wavefront6targetE1EE19radix_bits_per_passE@rel32@lo+4
	s_addc_u32 s1, s1, _ZN7rocprim17ROCPRIM_400000_NS16block_radix_sortIaLj256ELj4ENS0_10empty_typeELj1ELj1ELj0ELNS0_26block_radix_rank_algorithmE1ELNS0_18block_padding_hintE2ELNS0_4arch9wavefront6targetE1EE19radix_bits_per_passE@rel32@hi+12
	v_or_b32_sdwa v17, v2, v3 dst_sel:DWORD dst_unused:UNUSED_PAD src0_sel:WORD_0 src1_sel:DWORD
	s_load_dword s38, s[0:1], 0x0
	s_lshr_b32 s0, s2, 16
	v_bfe_u32 v2, v0, 10, 10
	v_bfe_u32 v0, v0, 20, 10
	s_and_b32 s1, s2, 0xffff
	v_mad_u32_u24 v0, v0, s0, v2
	v_mad_u64_u32 v[2:3], s[0:1], v0, s1, v[4:5]
	v_and_b32_e32 v0, 15, v1
	v_cmp_eq_u32_e64 s[0:1], 0, v0
	v_cmp_lt_u32_e64 s[2:3], 1, v0
	v_cmp_lt_u32_e64 s[4:5], 3, v0
	;; [unrolled: 1-line block ×3, first 2 shown]
	v_and_b32_e32 v0, 16, v1
	v_cmp_eq_u32_e64 s[8:9], 0, v0
	v_and_b32_e32 v0, 0x3c0, v4
	v_min_u32_e32 v0, 0xc0, v0
	v_or_b32_e32 v0, 63, v0
	v_lshrrev_b32_e32 v16, 6, v2
	v_cmp_eq_u32_e64 s[12:13], v0, v4
	v_add_u32_e32 v0, -1, v1
	v_and_b32_e32 v2, 64, v1
	v_cmp_lt_i32_e32 vcc, v0, v2
	v_cndmask_b32_e32 v0, v0, v1, vcc
	s_mov_b32 s26, 0
	v_lshlrev_b32_e32 v18, 2, v0
	v_lshrrev_b32_e32 v0, 4, v4
	v_lshlrev_b32_e32 v15, 2, v6
	v_cmp_lt_u32_e64 s[10:11], 31, v1
	v_cmp_eq_u32_e64 s[18:19], 0, v1
	v_and_b32_e32 v19, 60, v0
	v_mul_i32_i24_e32 v0, -12, v4
	v_and_b32_e32 v1, 3, v1
	s_mov_b32 s27, s26
	s_mov_b32 s40, s26
	;; [unrolled: 1-line block ×3, first 2 shown]
	v_cmp_gt_u32_e64 s[14:15], 4, v4
	v_cmp_lt_u32_e64 s[16:17], 63, v4
	v_cmp_eq_u32_e64 s[20:21], 0, v4
	v_cmp_eq_u32_e64 s[22:23], 0, v1
	v_cmp_lt_u32_e64 s[24:25], 1, v1
	v_add_u32_e32 v20, -4, v19
	v_pk_mov_b32 v[6:7], s[26:27], s[26:27] op_sel:[0,1]
	v_pk_mov_b32 v[8:9], s[40:41], s[40:41] op_sel:[0,1]
	v_add_u32_e32 v21, v15, v0
	v_mov_b32_e32 v10, 0
	s_branch .LBB1567_14
.LBB1567_13:                            ;   in Loop: Header=BB1567_14 Depth=1
	v_add_u32_e32 v26, v22, v23
	s_barrier
	ds_write_b8 v26, v17
	v_add_u32_e32 v17, v25, v2
	ds_write_b8 v17, v33
	v_add_u32_e32 v17, v24, v1
	;; [unrolled: 2-line block ×3, first 2 shown]
	ds_write_b8 v17, v29
	s_waitcnt lgkmcnt(0)
	s_barrier
	ds_read_u8 v17, v5
	ds_read_u8 v26, v14
	;; [unrolled: 1-line block ×4, first 2 shown]
	s_add_i32 s29, s29, -8
	s_waitcnt lgkmcnt(3)
	v_lshlrev_b16_e32 v17, 8, v17
	s_waitcnt lgkmcnt(2)
	v_or_b32_e32 v17, v26, v17
	s_waitcnt lgkmcnt(1)
	v_lshlrev_b16_e32 v26, 8, v27
	s_waitcnt lgkmcnt(0)
	v_or_b32_sdwa v26, v28, v26 dst_sel:WORD_1 dst_unused:UNUSED_PAD src0_sel:DWORD src1_sel:DWORD
	v_or_b32_sdwa v17, v17, v26 dst_sel:DWORD dst_unused:UNUSED_PAD src0_sel:WORD_0 src1_sel:DWORD
	s_barrier
	s_cbranch_execz .LBB1567_30
.LBB1567_14:                            ; =>This Inner Loop Header: Depth=1
	s_waitcnt lgkmcnt(0)
	s_min_u32 s26, s38, s29
	s_lshl_b32 s26, -1, s26
	s_not_b32 s39, s26
	v_lshrrev_b32_sdwa v0, s28, v17 dst_sel:DWORD dst_unused:UNUSED_PAD src0_sel:DWORD src1_sel:BYTE_0
	v_and_b32_e32 v0, s39, v0
	v_lshl_add_u32 v1, v0, 2, v16
	v_lshl_add_u32 v22, v1, 2, 16
	v_and_b32_e32 v1, 1, v0
	v_add_co_u32_e32 v2, vcc, -1, v1
	v_addc_co_u32_e64 v3, s[26:27], 0, -1, vcc
	v_cmp_ne_u32_e32 vcc, 0, v1
	v_lshlrev_b32_e32 v11, 30, v0
	v_xor_b32_e32 v1, vcc_hi, v3
	v_not_b32_e32 v3, v11
	v_xor_b32_e32 v2, vcc_lo, v2
	v_cmp_gt_i64_e32 vcc, 0, v[10:11]
	v_ashrrev_i32_e32 v3, 31, v3
	v_and_b32_e32 v1, exec_hi, v1
	v_xor_b32_e32 v11, vcc_hi, v3
	v_and_b32_e32 v2, exec_lo, v2
	v_xor_b32_e32 v3, vcc_lo, v3
	v_and_b32_e32 v1, v1, v11
	v_lshlrev_b32_e32 v11, 29, v0
	v_and_b32_e32 v2, v2, v3
	v_not_b32_e32 v3, v11
	v_cmp_gt_i64_e32 vcc, 0, v[10:11]
	v_ashrrev_i32_e32 v3, 31, v3
	v_xor_b32_e32 v11, vcc_hi, v3
	v_xor_b32_e32 v3, vcc_lo, v3
	v_and_b32_e32 v1, v1, v11
	v_lshlrev_b32_e32 v11, 28, v0
	v_and_b32_e32 v2, v2, v3
	v_not_b32_e32 v3, v11
	v_cmp_gt_i64_e32 vcc, 0, v[10:11]
	v_ashrrev_i32_e32 v3, 31, v3
	v_xor_b32_e32 v11, vcc_hi, v3
	;; [unrolled: 8-line block ×5, first 2 shown]
	v_and_b32_e32 v1, v1, v11
	v_lshlrev_b32_e32 v11, 24, v0
	v_not_b32_e32 v0, v11
	v_xor_b32_e32 v3, vcc_lo, v3
	v_cmp_gt_i64_e32 vcc, 0, v[10:11]
	v_ashrrev_i32_e32 v0, 31, v0
	v_and_b32_e32 v2, v2, v3
	v_xor_b32_e32 v3, vcc_hi, v0
	v_xor_b32_e32 v0, vcc_lo, v0
	v_and_b32_e32 v0, v2, v0
	v_and_b32_e32 v1, v1, v3
	v_mbcnt_lo_u32_b32 v2, v0, 0
	v_mbcnt_hi_u32_b32 v23, v1, v2
	v_cmp_eq_u32_e32 vcc, 0, v23
	v_cmp_ne_u64_e64 s[26:27], 0, v[0:1]
	s_and_b64 s[40:41], s[26:27], vcc
	ds_write2_b64 v15, v[6:7], v[8:9] offset0:2 offset1:3
	s_waitcnt lgkmcnt(0)
	s_barrier
	s_waitcnt lgkmcnt(0)
	; wave barrier
	s_and_saveexec_b64 s[26:27], s[40:41]
	s_cbranch_execz .LBB1567_16
; %bb.15:                               ;   in Loop: Header=BB1567_14 Depth=1
	v_bcnt_u32_b32 v0, v0, 0
	v_bcnt_u32_b32 v0, v1, v0
	ds_write_b32 v22, v0
.LBB1567_16:                            ;   in Loop: Header=BB1567_14 Depth=1
	s_or_b64 exec, exec, s[26:27]
	v_lshrrev_b32_sdwa v0, s28, v17 dst_sel:DWORD dst_unused:UNUSED_PAD src0_sel:DWORD src1_sel:BYTE_1
	v_and_b32_e32 v0, s39, v0
	v_lshlrev_b32_e32 v1, 2, v0
	v_add_lshl_u32 v1, v1, v16, 2
	; wave barrier
	v_add_u32_e32 v25, 16, v1
	ds_read_b32 v24, v1 offset:16
	v_and_b32_e32 v1, 1, v0
	v_add_co_u32_e32 v2, vcc, -1, v1
	v_addc_co_u32_e64 v3, s[26:27], 0, -1, vcc
	v_cmp_ne_u32_e32 vcc, 0, v1
	v_lshlrev_b32_e32 v11, 30, v0
	v_xor_b32_e32 v1, vcc_hi, v3
	v_not_b32_e32 v3, v11
	v_xor_b32_e32 v2, vcc_lo, v2
	v_cmp_gt_i64_e32 vcc, 0, v[10:11]
	v_ashrrev_i32_e32 v3, 31, v3
	v_and_b32_e32 v1, exec_hi, v1
	v_xor_b32_e32 v11, vcc_hi, v3
	v_and_b32_e32 v2, exec_lo, v2
	v_xor_b32_e32 v3, vcc_lo, v3
	v_and_b32_e32 v1, v1, v11
	v_lshlrev_b32_e32 v11, 29, v0
	v_and_b32_e32 v2, v2, v3
	v_not_b32_e32 v3, v11
	v_cmp_gt_i64_e32 vcc, 0, v[10:11]
	v_ashrrev_i32_e32 v3, 31, v3
	v_xor_b32_e32 v11, vcc_hi, v3
	v_xor_b32_e32 v3, vcc_lo, v3
	v_and_b32_e32 v1, v1, v11
	v_lshlrev_b32_e32 v11, 28, v0
	v_and_b32_e32 v2, v2, v3
	v_not_b32_e32 v3, v11
	v_cmp_gt_i64_e32 vcc, 0, v[10:11]
	v_ashrrev_i32_e32 v3, 31, v3
	v_xor_b32_e32 v11, vcc_hi, v3
	;; [unrolled: 8-line block ×5, first 2 shown]
	v_and_b32_e32 v1, v1, v11
	v_lshlrev_b32_e32 v11, 24, v0
	v_not_b32_e32 v0, v11
	v_xor_b32_e32 v3, vcc_lo, v3
	v_cmp_gt_i64_e32 vcc, 0, v[10:11]
	v_ashrrev_i32_e32 v0, 31, v0
	v_and_b32_e32 v2, v2, v3
	v_xor_b32_e32 v3, vcc_hi, v0
	v_xor_b32_e32 v0, vcc_lo, v0
	v_and_b32_e32 v0, v2, v0
	v_and_b32_e32 v1, v1, v3
	v_mbcnt_lo_u32_b32 v2, v0, 0
	v_mbcnt_hi_u32_b32 v26, v1, v2
	v_cmp_eq_u32_e32 vcc, 0, v26
	v_cmp_ne_u64_e64 s[26:27], 0, v[0:1]
	s_and_b64 s[40:41], s[26:27], vcc
	; wave barrier
	s_and_saveexec_b64 s[26:27], s[40:41]
	s_cbranch_execz .LBB1567_18
; %bb.17:                               ;   in Loop: Header=BB1567_14 Depth=1
	v_bcnt_u32_b32 v0, v0, 0
	v_bcnt_u32_b32 v0, v1, v0
	s_waitcnt lgkmcnt(0)
	v_add_u32_e32 v0, v24, v0
	ds_write_b32 v25, v0
.LBB1567_18:                            ;   in Loop: Header=BB1567_14 Depth=1
	s_or_b64 exec, exec, s[26:27]
	v_lshrrev_b32_sdwa v0, s28, v17 dst_sel:DWORD dst_unused:UNUSED_PAD src0_sel:DWORD src1_sel:BYTE_2
	v_and_b32_e32 v0, s39, v0
	v_lshlrev_b32_e32 v1, 2, v0
	v_add_lshl_u32 v1, v1, v16, 2
	; wave barrier
	v_add_u32_e32 v28, 16, v1
	ds_read_b32 v27, v1 offset:16
	v_and_b32_e32 v1, 1, v0
	v_add_co_u32_e32 v2, vcc, -1, v1
	v_addc_co_u32_e64 v3, s[26:27], 0, -1, vcc
	v_cmp_ne_u32_e32 vcc, 0, v1
	v_lshlrev_b32_e32 v11, 30, v0
	v_xor_b32_e32 v1, vcc_hi, v3
	v_not_b32_e32 v3, v11
	v_xor_b32_e32 v2, vcc_lo, v2
	v_cmp_gt_i64_e32 vcc, 0, v[10:11]
	v_ashrrev_i32_e32 v3, 31, v3
	v_and_b32_e32 v1, exec_hi, v1
	v_xor_b32_e32 v11, vcc_hi, v3
	v_and_b32_e32 v2, exec_lo, v2
	v_xor_b32_e32 v3, vcc_lo, v3
	v_and_b32_e32 v1, v1, v11
	v_lshlrev_b32_e32 v11, 29, v0
	v_and_b32_e32 v2, v2, v3
	v_not_b32_e32 v3, v11
	v_cmp_gt_i64_e32 vcc, 0, v[10:11]
	v_ashrrev_i32_e32 v3, 31, v3
	v_xor_b32_e32 v11, vcc_hi, v3
	v_xor_b32_e32 v3, vcc_lo, v3
	v_and_b32_e32 v1, v1, v11
	v_lshlrev_b32_e32 v11, 28, v0
	v_and_b32_e32 v2, v2, v3
	v_not_b32_e32 v3, v11
	v_cmp_gt_i64_e32 vcc, 0, v[10:11]
	v_ashrrev_i32_e32 v3, 31, v3
	v_xor_b32_e32 v11, vcc_hi, v3
	;; [unrolled: 8-line block ×5, first 2 shown]
	v_and_b32_e32 v1, v1, v11
	v_lshlrev_b32_e32 v11, 24, v0
	v_not_b32_e32 v0, v11
	v_xor_b32_e32 v3, vcc_lo, v3
	v_cmp_gt_i64_e32 vcc, 0, v[10:11]
	v_ashrrev_i32_e32 v0, 31, v0
	v_and_b32_e32 v2, v2, v3
	v_xor_b32_e32 v3, vcc_hi, v0
	v_xor_b32_e32 v0, vcc_lo, v0
	v_and_b32_e32 v0, v2, v0
	v_and_b32_e32 v1, v1, v3
	v_mbcnt_lo_u32_b32 v2, v0, 0
	v_mbcnt_hi_u32_b32 v30, v1, v2
	v_cmp_eq_u32_e32 vcc, 0, v30
	v_cmp_ne_u64_e64 s[26:27], 0, v[0:1]
	s_and_b64 s[40:41], s[26:27], vcc
	; wave barrier
	s_and_saveexec_b64 s[26:27], s[40:41]
	s_cbranch_execz .LBB1567_20
; %bb.19:                               ;   in Loop: Header=BB1567_14 Depth=1
	v_bcnt_u32_b32 v0, v0, 0
	v_bcnt_u32_b32 v0, v1, v0
	s_waitcnt lgkmcnt(0)
	v_add_u32_e32 v0, v27, v0
	ds_write_b32 v28, v0
.LBB1567_20:                            ;   in Loop: Header=BB1567_14 Depth=1
	s_or_b64 exec, exec, s[26:27]
	v_lshrrev_b32_e32 v29, 24, v17
	v_lshrrev_b32_e32 v0, s28, v29
	v_and_b32_e32 v0, s39, v0
	v_lshlrev_b32_e32 v1, 2, v0
	v_add_lshl_u32 v1, v1, v16, 2
	; wave barrier
	v_add_u32_e32 v32, 16, v1
	ds_read_b32 v31, v1 offset:16
	v_and_b32_e32 v1, 1, v0
	v_add_co_u32_e32 v2, vcc, -1, v1
	v_addc_co_u32_e64 v3, s[26:27], 0, -1, vcc
	v_cmp_ne_u32_e32 vcc, 0, v1
	v_lshlrev_b32_e32 v11, 30, v0
	v_xor_b32_e32 v1, vcc_hi, v3
	v_not_b32_e32 v3, v11
	v_xor_b32_e32 v2, vcc_lo, v2
	v_cmp_gt_i64_e32 vcc, 0, v[10:11]
	v_ashrrev_i32_e32 v3, 31, v3
	v_and_b32_e32 v1, exec_hi, v1
	v_xor_b32_e32 v11, vcc_hi, v3
	v_and_b32_e32 v2, exec_lo, v2
	v_xor_b32_e32 v3, vcc_lo, v3
	v_and_b32_e32 v1, v1, v11
	v_lshlrev_b32_e32 v11, 29, v0
	v_and_b32_e32 v2, v2, v3
	v_not_b32_e32 v3, v11
	v_cmp_gt_i64_e32 vcc, 0, v[10:11]
	v_ashrrev_i32_e32 v3, 31, v3
	v_xor_b32_e32 v11, vcc_hi, v3
	v_xor_b32_e32 v3, vcc_lo, v3
	v_and_b32_e32 v1, v1, v11
	v_lshlrev_b32_e32 v11, 28, v0
	v_and_b32_e32 v2, v2, v3
	v_not_b32_e32 v3, v11
	v_cmp_gt_i64_e32 vcc, 0, v[10:11]
	v_ashrrev_i32_e32 v3, 31, v3
	v_xor_b32_e32 v11, vcc_hi, v3
	;; [unrolled: 8-line block ×5, first 2 shown]
	v_and_b32_e32 v1, v1, v11
	v_lshlrev_b32_e32 v11, 24, v0
	v_not_b32_e32 v0, v11
	v_xor_b32_e32 v3, vcc_lo, v3
	v_cmp_gt_i64_e32 vcc, 0, v[10:11]
	v_ashrrev_i32_e32 v0, 31, v0
	v_and_b32_e32 v2, v2, v3
	v_xor_b32_e32 v3, vcc_hi, v0
	v_xor_b32_e32 v0, vcc_lo, v0
	v_and_b32_e32 v0, v2, v0
	v_and_b32_e32 v1, v1, v3
	v_mbcnt_lo_u32_b32 v2, v0, 0
	v_mbcnt_hi_u32_b32 v11, v1, v2
	v_cmp_eq_u32_e32 vcc, 0, v11
	v_cmp_ne_u64_e64 s[26:27], 0, v[0:1]
	s_and_b64 s[40:41], s[26:27], vcc
	; wave barrier
	s_and_saveexec_b64 s[26:27], s[40:41]
	s_cbranch_execz .LBB1567_22
; %bb.21:                               ;   in Loop: Header=BB1567_14 Depth=1
	v_bcnt_u32_b32 v0, v0, 0
	v_bcnt_u32_b32 v0, v1, v0
	s_waitcnt lgkmcnt(0)
	v_add_u32_e32 v0, v31, v0
	ds_write_b32 v32, v0
.LBB1567_22:                            ;   in Loop: Header=BB1567_14 Depth=1
	s_or_b64 exec, exec, s[26:27]
	; wave barrier
	s_waitcnt lgkmcnt(0)
	s_barrier
	ds_read2_b64 v[0:3], v15 offset0:2 offset1:3
	s_waitcnt lgkmcnt(0)
	v_add_u32_e32 v33, v1, v0
	v_add3_u32 v3, v33, v2, v3
	s_nop 1
	v_mov_b32_dpp v33, v3 row_shr:1 row_mask:0xf bank_mask:0xf
	v_cndmask_b32_e64 v33, v33, 0, s[0:1]
	v_add_u32_e32 v3, v33, v3
	s_nop 1
	v_mov_b32_dpp v33, v3 row_shr:2 row_mask:0xf bank_mask:0xf
	v_cndmask_b32_e64 v33, 0, v33, s[2:3]
	v_add_u32_e32 v3, v3, v33
	s_nop 1
	v_mov_b32_dpp v33, v3 row_shr:4 row_mask:0xf bank_mask:0xf
	v_cndmask_b32_e64 v33, 0, v33, s[4:5]
	v_add_u32_e32 v3, v3, v33
	s_nop 1
	v_mov_b32_dpp v33, v3 row_shr:8 row_mask:0xf bank_mask:0xf
	v_cndmask_b32_e64 v33, 0, v33, s[6:7]
	v_add_u32_e32 v3, v3, v33
	s_nop 1
	v_mov_b32_dpp v33, v3 row_bcast:15 row_mask:0xf bank_mask:0xf
	v_cndmask_b32_e64 v33, v33, 0, s[8:9]
	v_add_u32_e32 v3, v3, v33
	s_nop 1
	v_mov_b32_dpp v33, v3 row_bcast:31 row_mask:0xf bank_mask:0xf
	v_cndmask_b32_e64 v33, 0, v33, s[10:11]
	v_add_u32_e32 v3, v3, v33
	s_and_saveexec_b64 s[26:27], s[12:13]
	s_cbranch_execz .LBB1567_24
; %bb.23:                               ;   in Loop: Header=BB1567_14 Depth=1
	ds_write_b32 v19, v3
.LBB1567_24:                            ;   in Loop: Header=BB1567_14 Depth=1
	s_or_b64 exec, exec, s[26:27]
	s_waitcnt lgkmcnt(0)
	s_barrier
	s_and_saveexec_b64 s[26:27], s[14:15]
	s_cbranch_execz .LBB1567_26
; %bb.25:                               ;   in Loop: Header=BB1567_14 Depth=1
	ds_read_b32 v33, v21
	s_waitcnt lgkmcnt(0)
	s_nop 0
	v_mov_b32_dpp v34, v33 row_shr:1 row_mask:0xf bank_mask:0xf
	v_cndmask_b32_e64 v34, v34, 0, s[22:23]
	v_add_u32_e32 v33, v34, v33
	s_nop 1
	v_mov_b32_dpp v34, v33 row_shr:2 row_mask:0xf bank_mask:0xf
	v_cndmask_b32_e64 v34, 0, v34, s[24:25]
	v_add_u32_e32 v33, v33, v34
	ds_write_b32 v21, v33
.LBB1567_26:                            ;   in Loop: Header=BB1567_14 Depth=1
	s_or_b64 exec, exec, s[26:27]
	v_mov_b32_e32 v35, 0
	s_waitcnt lgkmcnt(0)
	s_barrier
	s_and_saveexec_b64 s[26:27], s[16:17]
	s_cbranch_execz .LBB1567_28
; %bb.27:                               ;   in Loop: Header=BB1567_14 Depth=1
	ds_read_b32 v35, v20
.LBB1567_28:                            ;   in Loop: Header=BB1567_14 Depth=1
	s_or_b64 exec, exec, s[26:27]
	s_waitcnt lgkmcnt(0)
	v_add_u32_e32 v3, v35, v3
	ds_bpermute_b32 v36, v18, v3
	s_add_i32 s28, s28, 8
	v_mov_b32_e32 v34, v17
	v_lshrrev_b32_e32 v33, 8, v17
	v_lshrrev_b32_e32 v3, 16, v17
	s_waitcnt lgkmcnt(0)
	v_cndmask_b32_e64 v35, v36, v35, s[18:19]
	v_cndmask_b32_e64 v36, v35, 0, s[20:21]
	v_add_u32_e32 v37, v36, v0
	v_add_u32_e32 v0, v37, v1
	;; [unrolled: 1-line block ×3, first 2 shown]
	ds_write2_b64 v15, v[36:37], v[0:1] offset0:2 offset1:3
	s_waitcnt lgkmcnt(0)
	s_barrier
	ds_read_b32 v22, v22
	ds_read_b32 v2, v25
	;; [unrolled: 1-line block ×4, first 2 shown]
	s_cmp_ge_u32 s28, s37
	v_add_u32_e32 v25, v26, v24
	v_add_u32_e32 v24, v30, v27
	;; [unrolled: 1-line block ×3, first 2 shown]
	s_waitcnt lgkmcnt(0)
	s_cbranch_scc0 .LBB1567_13
; %bb.29:
                                        ; implicit-def: $sgpr28
                                        ; implicit-def: $vgpr17
.LBB1567_30:
	v_add_u32_e32 v5, v22, v23
	v_add_u32_e32 v2, v25, v2
	;; [unrolled: 1-line block ×4, first 2 shown]
	s_barrier
	ds_write_b8 v5, v34
	ds_write_b8 v2, v33
	;; [unrolled: 1-line block ×4, first 2 shown]
	s_waitcnt lgkmcnt(0)
	s_barrier
	ds_read_u8 v0, v4
	ds_read_u8 v1, v4 offset:256
	ds_read_u8 v3, v4 offset:512
	;; [unrolled: 1-line block ×3, first 2 shown]
	s_add_u32 s0, s30, s36
	s_addc_u32 s1, s31, 0
	s_waitcnt lgkmcnt(3)
	v_xor_b32_e32 v6, 0x7f, v0
	s_waitcnt lgkmcnt(2)
	v_xor_b32_e32 v5, 0x7f, v1
	v_mov_b32_e32 v1, s1
	v_add_co_u32_e64 v0, s[0:1], s0, v4
	s_waitcnt lgkmcnt(1)
	v_xor_b32_e32 v3, 0x7f, v3
	s_andn2_b64 vcc, exec, s[34:35]
	v_addc_co_u32_e64 v1, s[0:1], 0, v1, s[0:1]
	s_cbranch_vccnz .LBB1567_32
; %bb.31:
	s_mov_b64 s[0:1], -1
	global_store_byte v[0:1], v6, off
	global_store_byte v[0:1], v5, off offset:256
	global_store_byte v[0:1], v3, off offset:512
	s_cbranch_execz .LBB1567_33
	s_branch .LBB1567_40
.LBB1567_32:
	s_mov_b64 s[0:1], 0
.LBB1567_33:
	v_cmp_gt_u32_e32 vcc, s33, v4
	s_and_saveexec_b64 s[0:1], vcc
	s_cbranch_execz .LBB1567_35
; %bb.34:
	global_store_byte v[0:1], v6, off
.LBB1567_35:
	s_or_b64 exec, exec, s[0:1]
	v_add_u32_e32 v6, 0x100, v4
	v_cmp_gt_u32_e32 vcc, s33, v6
	s_and_saveexec_b64 s[0:1], vcc
	s_cbranch_execz .LBB1567_37
; %bb.36:
	global_store_byte v[0:1], v5, off offset:256
.LBB1567_37:
	s_or_b64 exec, exec, s[0:1]
	v_add_u32_e32 v5, 0x200, v4
	v_cmp_gt_u32_e32 vcc, s33, v5
	s_and_saveexec_b64 s[0:1], vcc
	s_cbranch_execz .LBB1567_39
; %bb.38:
	global_store_byte v[0:1], v3, off offset:512
.LBB1567_39:
	s_or_b64 exec, exec, s[0:1]
	v_add_u32_e32 v3, 0x300, v4
	v_cmp_gt_u32_e64 s[0:1], s33, v3
.LBB1567_40:
	s_and_saveexec_b64 s[2:3], s[0:1]
	s_cbranch_execnz .LBB1567_42
; %bb.41:
	s_endpgm
.LBB1567_42:
	s_waitcnt lgkmcnt(0)
	v_xor_b32_e32 v2, 0x7f, v2
	global_store_byte v[0:1], v2, off offset:768
	s_endpgm
	.section	.rodata,"a",@progbits
	.p2align	6, 0x0
	.amdhsa_kernel _ZN7rocprim17ROCPRIM_400000_NS6detail17trampoline_kernelINS0_13kernel_configILj256ELj4ELj4294967295EEENS1_37radix_sort_block_sort_config_selectorIaNS0_10empty_typeEEEZNS1_21radix_sort_block_sortIS4_Lb1EPaS9_PS6_SA_NS0_19identity_decomposerEEE10hipError_tT1_T2_T3_T4_jRjT5_jjP12ihipStream_tbEUlT_E_NS1_11comp_targetILNS1_3genE4ELNS1_11target_archE910ELNS1_3gpuE8ELNS1_3repE0EEENS1_44radix_sort_block_sort_config_static_selectorELNS0_4arch9wavefront6targetE1EEEvSD_
		.amdhsa_group_segment_fixed_size 4112
		.amdhsa_private_segment_fixed_size 0
		.amdhsa_kernarg_size 304
		.amdhsa_user_sgpr_count 6
		.amdhsa_user_sgpr_private_segment_buffer 1
		.amdhsa_user_sgpr_dispatch_ptr 0
		.amdhsa_user_sgpr_queue_ptr 0
		.amdhsa_user_sgpr_kernarg_segment_ptr 1
		.amdhsa_user_sgpr_dispatch_id 0
		.amdhsa_user_sgpr_flat_scratch_init 0
		.amdhsa_user_sgpr_kernarg_preload_length 0
		.amdhsa_user_sgpr_kernarg_preload_offset 0
		.amdhsa_user_sgpr_private_segment_size 0
		.amdhsa_uses_dynamic_stack 0
		.amdhsa_system_sgpr_private_segment_wavefront_offset 0
		.amdhsa_system_sgpr_workgroup_id_x 1
		.amdhsa_system_sgpr_workgroup_id_y 0
		.amdhsa_system_sgpr_workgroup_id_z 0
		.amdhsa_system_sgpr_workgroup_info 0
		.amdhsa_system_vgpr_workitem_id 2
		.amdhsa_next_free_vgpr 38
		.amdhsa_next_free_sgpr 42
		.amdhsa_accum_offset 40
		.amdhsa_reserve_vcc 1
		.amdhsa_reserve_flat_scratch 0
		.amdhsa_float_round_mode_32 0
		.amdhsa_float_round_mode_16_64 0
		.amdhsa_float_denorm_mode_32 3
		.amdhsa_float_denorm_mode_16_64 3
		.amdhsa_dx10_clamp 1
		.amdhsa_ieee_mode 1
		.amdhsa_fp16_overflow 0
		.amdhsa_tg_split 0
		.amdhsa_exception_fp_ieee_invalid_op 0
		.amdhsa_exception_fp_denorm_src 0
		.amdhsa_exception_fp_ieee_div_zero 0
		.amdhsa_exception_fp_ieee_overflow 0
		.amdhsa_exception_fp_ieee_underflow 0
		.amdhsa_exception_fp_ieee_inexact 0
		.amdhsa_exception_int_div_zero 0
	.end_amdhsa_kernel
	.section	.text._ZN7rocprim17ROCPRIM_400000_NS6detail17trampoline_kernelINS0_13kernel_configILj256ELj4ELj4294967295EEENS1_37radix_sort_block_sort_config_selectorIaNS0_10empty_typeEEEZNS1_21radix_sort_block_sortIS4_Lb1EPaS9_PS6_SA_NS0_19identity_decomposerEEE10hipError_tT1_T2_T3_T4_jRjT5_jjP12ihipStream_tbEUlT_E_NS1_11comp_targetILNS1_3genE4ELNS1_11target_archE910ELNS1_3gpuE8ELNS1_3repE0EEENS1_44radix_sort_block_sort_config_static_selectorELNS0_4arch9wavefront6targetE1EEEvSD_,"axG",@progbits,_ZN7rocprim17ROCPRIM_400000_NS6detail17trampoline_kernelINS0_13kernel_configILj256ELj4ELj4294967295EEENS1_37radix_sort_block_sort_config_selectorIaNS0_10empty_typeEEEZNS1_21radix_sort_block_sortIS4_Lb1EPaS9_PS6_SA_NS0_19identity_decomposerEEE10hipError_tT1_T2_T3_T4_jRjT5_jjP12ihipStream_tbEUlT_E_NS1_11comp_targetILNS1_3genE4ELNS1_11target_archE910ELNS1_3gpuE8ELNS1_3repE0EEENS1_44radix_sort_block_sort_config_static_selectorELNS0_4arch9wavefront6targetE1EEEvSD_,comdat
.Lfunc_end1567:
	.size	_ZN7rocprim17ROCPRIM_400000_NS6detail17trampoline_kernelINS0_13kernel_configILj256ELj4ELj4294967295EEENS1_37radix_sort_block_sort_config_selectorIaNS0_10empty_typeEEEZNS1_21radix_sort_block_sortIS4_Lb1EPaS9_PS6_SA_NS0_19identity_decomposerEEE10hipError_tT1_T2_T3_T4_jRjT5_jjP12ihipStream_tbEUlT_E_NS1_11comp_targetILNS1_3genE4ELNS1_11target_archE910ELNS1_3gpuE8ELNS1_3repE0EEENS1_44radix_sort_block_sort_config_static_selectorELNS0_4arch9wavefront6targetE1EEEvSD_, .Lfunc_end1567-_ZN7rocprim17ROCPRIM_400000_NS6detail17trampoline_kernelINS0_13kernel_configILj256ELj4ELj4294967295EEENS1_37radix_sort_block_sort_config_selectorIaNS0_10empty_typeEEEZNS1_21radix_sort_block_sortIS4_Lb1EPaS9_PS6_SA_NS0_19identity_decomposerEEE10hipError_tT1_T2_T3_T4_jRjT5_jjP12ihipStream_tbEUlT_E_NS1_11comp_targetILNS1_3genE4ELNS1_11target_archE910ELNS1_3gpuE8ELNS1_3repE0EEENS1_44radix_sort_block_sort_config_static_selectorELNS0_4arch9wavefront6targetE1EEEvSD_
                                        ; -- End function
	.section	.AMDGPU.csdata,"",@progbits
; Kernel info:
; codeLenInByte = 3212
; NumSgprs: 46
; NumVgprs: 38
; NumAgprs: 0
; TotalNumVgprs: 38
; ScratchSize: 0
; MemoryBound: 0
; FloatMode: 240
; IeeeMode: 1
; LDSByteSize: 4112 bytes/workgroup (compile time only)
; SGPRBlocks: 5
; VGPRBlocks: 4
; NumSGPRsForWavesPerEU: 46
; NumVGPRsForWavesPerEU: 38
; AccumOffset: 40
; Occupancy: 8
; WaveLimiterHint : 1
; COMPUTE_PGM_RSRC2:SCRATCH_EN: 0
; COMPUTE_PGM_RSRC2:USER_SGPR: 6
; COMPUTE_PGM_RSRC2:TRAP_HANDLER: 0
; COMPUTE_PGM_RSRC2:TGID_X_EN: 1
; COMPUTE_PGM_RSRC2:TGID_Y_EN: 0
; COMPUTE_PGM_RSRC2:TGID_Z_EN: 0
; COMPUTE_PGM_RSRC2:TIDIG_COMP_CNT: 2
; COMPUTE_PGM_RSRC3_GFX90A:ACCUM_OFFSET: 9
; COMPUTE_PGM_RSRC3_GFX90A:TG_SPLIT: 0
	.section	.text._ZN7rocprim17ROCPRIM_400000_NS6detail17trampoline_kernelINS0_13kernel_configILj256ELj4ELj4294967295EEENS1_37radix_sort_block_sort_config_selectorIaNS0_10empty_typeEEEZNS1_21radix_sort_block_sortIS4_Lb1EPaS9_PS6_SA_NS0_19identity_decomposerEEE10hipError_tT1_T2_T3_T4_jRjT5_jjP12ihipStream_tbEUlT_E_NS1_11comp_targetILNS1_3genE3ELNS1_11target_archE908ELNS1_3gpuE7ELNS1_3repE0EEENS1_44radix_sort_block_sort_config_static_selectorELNS0_4arch9wavefront6targetE1EEEvSD_,"axG",@progbits,_ZN7rocprim17ROCPRIM_400000_NS6detail17trampoline_kernelINS0_13kernel_configILj256ELj4ELj4294967295EEENS1_37radix_sort_block_sort_config_selectorIaNS0_10empty_typeEEEZNS1_21radix_sort_block_sortIS4_Lb1EPaS9_PS6_SA_NS0_19identity_decomposerEEE10hipError_tT1_T2_T3_T4_jRjT5_jjP12ihipStream_tbEUlT_E_NS1_11comp_targetILNS1_3genE3ELNS1_11target_archE908ELNS1_3gpuE7ELNS1_3repE0EEENS1_44radix_sort_block_sort_config_static_selectorELNS0_4arch9wavefront6targetE1EEEvSD_,comdat
	.protected	_ZN7rocprim17ROCPRIM_400000_NS6detail17trampoline_kernelINS0_13kernel_configILj256ELj4ELj4294967295EEENS1_37radix_sort_block_sort_config_selectorIaNS0_10empty_typeEEEZNS1_21radix_sort_block_sortIS4_Lb1EPaS9_PS6_SA_NS0_19identity_decomposerEEE10hipError_tT1_T2_T3_T4_jRjT5_jjP12ihipStream_tbEUlT_E_NS1_11comp_targetILNS1_3genE3ELNS1_11target_archE908ELNS1_3gpuE7ELNS1_3repE0EEENS1_44radix_sort_block_sort_config_static_selectorELNS0_4arch9wavefront6targetE1EEEvSD_ ; -- Begin function _ZN7rocprim17ROCPRIM_400000_NS6detail17trampoline_kernelINS0_13kernel_configILj256ELj4ELj4294967295EEENS1_37radix_sort_block_sort_config_selectorIaNS0_10empty_typeEEEZNS1_21radix_sort_block_sortIS4_Lb1EPaS9_PS6_SA_NS0_19identity_decomposerEEE10hipError_tT1_T2_T3_T4_jRjT5_jjP12ihipStream_tbEUlT_E_NS1_11comp_targetILNS1_3genE3ELNS1_11target_archE908ELNS1_3gpuE7ELNS1_3repE0EEENS1_44radix_sort_block_sort_config_static_selectorELNS0_4arch9wavefront6targetE1EEEvSD_
	.globl	_ZN7rocprim17ROCPRIM_400000_NS6detail17trampoline_kernelINS0_13kernel_configILj256ELj4ELj4294967295EEENS1_37radix_sort_block_sort_config_selectorIaNS0_10empty_typeEEEZNS1_21radix_sort_block_sortIS4_Lb1EPaS9_PS6_SA_NS0_19identity_decomposerEEE10hipError_tT1_T2_T3_T4_jRjT5_jjP12ihipStream_tbEUlT_E_NS1_11comp_targetILNS1_3genE3ELNS1_11target_archE908ELNS1_3gpuE7ELNS1_3repE0EEENS1_44radix_sort_block_sort_config_static_selectorELNS0_4arch9wavefront6targetE1EEEvSD_
	.p2align	8
	.type	_ZN7rocprim17ROCPRIM_400000_NS6detail17trampoline_kernelINS0_13kernel_configILj256ELj4ELj4294967295EEENS1_37radix_sort_block_sort_config_selectorIaNS0_10empty_typeEEEZNS1_21radix_sort_block_sortIS4_Lb1EPaS9_PS6_SA_NS0_19identity_decomposerEEE10hipError_tT1_T2_T3_T4_jRjT5_jjP12ihipStream_tbEUlT_E_NS1_11comp_targetILNS1_3genE3ELNS1_11target_archE908ELNS1_3gpuE7ELNS1_3repE0EEENS1_44radix_sort_block_sort_config_static_selectorELNS0_4arch9wavefront6targetE1EEEvSD_,@function
_ZN7rocprim17ROCPRIM_400000_NS6detail17trampoline_kernelINS0_13kernel_configILj256ELj4ELj4294967295EEENS1_37radix_sort_block_sort_config_selectorIaNS0_10empty_typeEEEZNS1_21radix_sort_block_sortIS4_Lb1EPaS9_PS6_SA_NS0_19identity_decomposerEEE10hipError_tT1_T2_T3_T4_jRjT5_jjP12ihipStream_tbEUlT_E_NS1_11comp_targetILNS1_3genE3ELNS1_11target_archE908ELNS1_3gpuE7ELNS1_3repE0EEENS1_44radix_sort_block_sort_config_static_selectorELNS0_4arch9wavefront6targetE1EEEvSD_: ; @_ZN7rocprim17ROCPRIM_400000_NS6detail17trampoline_kernelINS0_13kernel_configILj256ELj4ELj4294967295EEENS1_37radix_sort_block_sort_config_selectorIaNS0_10empty_typeEEEZNS1_21radix_sort_block_sortIS4_Lb1EPaS9_PS6_SA_NS0_19identity_decomposerEEE10hipError_tT1_T2_T3_T4_jRjT5_jjP12ihipStream_tbEUlT_E_NS1_11comp_targetILNS1_3genE3ELNS1_11target_archE908ELNS1_3gpuE7ELNS1_3repE0EEENS1_44radix_sort_block_sort_config_static_selectorELNS0_4arch9wavefront6targetE1EEEvSD_
; %bb.0:
	.section	.rodata,"a",@progbits
	.p2align	6, 0x0
	.amdhsa_kernel _ZN7rocprim17ROCPRIM_400000_NS6detail17trampoline_kernelINS0_13kernel_configILj256ELj4ELj4294967295EEENS1_37radix_sort_block_sort_config_selectorIaNS0_10empty_typeEEEZNS1_21radix_sort_block_sortIS4_Lb1EPaS9_PS6_SA_NS0_19identity_decomposerEEE10hipError_tT1_T2_T3_T4_jRjT5_jjP12ihipStream_tbEUlT_E_NS1_11comp_targetILNS1_3genE3ELNS1_11target_archE908ELNS1_3gpuE7ELNS1_3repE0EEENS1_44radix_sort_block_sort_config_static_selectorELNS0_4arch9wavefront6targetE1EEEvSD_
		.amdhsa_group_segment_fixed_size 0
		.amdhsa_private_segment_fixed_size 0
		.amdhsa_kernarg_size 48
		.amdhsa_user_sgpr_count 6
		.amdhsa_user_sgpr_private_segment_buffer 1
		.amdhsa_user_sgpr_dispatch_ptr 0
		.amdhsa_user_sgpr_queue_ptr 0
		.amdhsa_user_sgpr_kernarg_segment_ptr 1
		.amdhsa_user_sgpr_dispatch_id 0
		.amdhsa_user_sgpr_flat_scratch_init 0
		.amdhsa_user_sgpr_kernarg_preload_length 0
		.amdhsa_user_sgpr_kernarg_preload_offset 0
		.amdhsa_user_sgpr_private_segment_size 0
		.amdhsa_uses_dynamic_stack 0
		.amdhsa_system_sgpr_private_segment_wavefront_offset 0
		.amdhsa_system_sgpr_workgroup_id_x 1
		.amdhsa_system_sgpr_workgroup_id_y 0
		.amdhsa_system_sgpr_workgroup_id_z 0
		.amdhsa_system_sgpr_workgroup_info 0
		.amdhsa_system_vgpr_workitem_id 0
		.amdhsa_next_free_vgpr 1
		.amdhsa_next_free_sgpr 0
		.amdhsa_accum_offset 4
		.amdhsa_reserve_vcc 0
		.amdhsa_reserve_flat_scratch 0
		.amdhsa_float_round_mode_32 0
		.amdhsa_float_round_mode_16_64 0
		.amdhsa_float_denorm_mode_32 3
		.amdhsa_float_denorm_mode_16_64 3
		.amdhsa_dx10_clamp 1
		.amdhsa_ieee_mode 1
		.amdhsa_fp16_overflow 0
		.amdhsa_tg_split 0
		.amdhsa_exception_fp_ieee_invalid_op 0
		.amdhsa_exception_fp_denorm_src 0
		.amdhsa_exception_fp_ieee_div_zero 0
		.amdhsa_exception_fp_ieee_overflow 0
		.amdhsa_exception_fp_ieee_underflow 0
		.amdhsa_exception_fp_ieee_inexact 0
		.amdhsa_exception_int_div_zero 0
	.end_amdhsa_kernel
	.section	.text._ZN7rocprim17ROCPRIM_400000_NS6detail17trampoline_kernelINS0_13kernel_configILj256ELj4ELj4294967295EEENS1_37radix_sort_block_sort_config_selectorIaNS0_10empty_typeEEEZNS1_21radix_sort_block_sortIS4_Lb1EPaS9_PS6_SA_NS0_19identity_decomposerEEE10hipError_tT1_T2_T3_T4_jRjT5_jjP12ihipStream_tbEUlT_E_NS1_11comp_targetILNS1_3genE3ELNS1_11target_archE908ELNS1_3gpuE7ELNS1_3repE0EEENS1_44radix_sort_block_sort_config_static_selectorELNS0_4arch9wavefront6targetE1EEEvSD_,"axG",@progbits,_ZN7rocprim17ROCPRIM_400000_NS6detail17trampoline_kernelINS0_13kernel_configILj256ELj4ELj4294967295EEENS1_37radix_sort_block_sort_config_selectorIaNS0_10empty_typeEEEZNS1_21radix_sort_block_sortIS4_Lb1EPaS9_PS6_SA_NS0_19identity_decomposerEEE10hipError_tT1_T2_T3_T4_jRjT5_jjP12ihipStream_tbEUlT_E_NS1_11comp_targetILNS1_3genE3ELNS1_11target_archE908ELNS1_3gpuE7ELNS1_3repE0EEENS1_44radix_sort_block_sort_config_static_selectorELNS0_4arch9wavefront6targetE1EEEvSD_,comdat
.Lfunc_end1568:
	.size	_ZN7rocprim17ROCPRIM_400000_NS6detail17trampoline_kernelINS0_13kernel_configILj256ELj4ELj4294967295EEENS1_37radix_sort_block_sort_config_selectorIaNS0_10empty_typeEEEZNS1_21radix_sort_block_sortIS4_Lb1EPaS9_PS6_SA_NS0_19identity_decomposerEEE10hipError_tT1_T2_T3_T4_jRjT5_jjP12ihipStream_tbEUlT_E_NS1_11comp_targetILNS1_3genE3ELNS1_11target_archE908ELNS1_3gpuE7ELNS1_3repE0EEENS1_44radix_sort_block_sort_config_static_selectorELNS0_4arch9wavefront6targetE1EEEvSD_, .Lfunc_end1568-_ZN7rocprim17ROCPRIM_400000_NS6detail17trampoline_kernelINS0_13kernel_configILj256ELj4ELj4294967295EEENS1_37radix_sort_block_sort_config_selectorIaNS0_10empty_typeEEEZNS1_21radix_sort_block_sortIS4_Lb1EPaS9_PS6_SA_NS0_19identity_decomposerEEE10hipError_tT1_T2_T3_T4_jRjT5_jjP12ihipStream_tbEUlT_E_NS1_11comp_targetILNS1_3genE3ELNS1_11target_archE908ELNS1_3gpuE7ELNS1_3repE0EEENS1_44radix_sort_block_sort_config_static_selectorELNS0_4arch9wavefront6targetE1EEEvSD_
                                        ; -- End function
	.section	.AMDGPU.csdata,"",@progbits
; Kernel info:
; codeLenInByte = 0
; NumSgprs: 4
; NumVgprs: 0
; NumAgprs: 0
; TotalNumVgprs: 0
; ScratchSize: 0
; MemoryBound: 0
; FloatMode: 240
; IeeeMode: 1
; LDSByteSize: 0 bytes/workgroup (compile time only)
; SGPRBlocks: 0
; VGPRBlocks: 0
; NumSGPRsForWavesPerEU: 4
; NumVGPRsForWavesPerEU: 1
; AccumOffset: 4
; Occupancy: 8
; WaveLimiterHint : 0
; COMPUTE_PGM_RSRC2:SCRATCH_EN: 0
; COMPUTE_PGM_RSRC2:USER_SGPR: 6
; COMPUTE_PGM_RSRC2:TRAP_HANDLER: 0
; COMPUTE_PGM_RSRC2:TGID_X_EN: 1
; COMPUTE_PGM_RSRC2:TGID_Y_EN: 0
; COMPUTE_PGM_RSRC2:TGID_Z_EN: 0
; COMPUTE_PGM_RSRC2:TIDIG_COMP_CNT: 0
; COMPUTE_PGM_RSRC3_GFX90A:ACCUM_OFFSET: 0
; COMPUTE_PGM_RSRC3_GFX90A:TG_SPLIT: 0
	.section	.text._ZN7rocprim17ROCPRIM_400000_NS6detail17trampoline_kernelINS0_13kernel_configILj256ELj4ELj4294967295EEENS1_37radix_sort_block_sort_config_selectorIaNS0_10empty_typeEEEZNS1_21radix_sort_block_sortIS4_Lb1EPaS9_PS6_SA_NS0_19identity_decomposerEEE10hipError_tT1_T2_T3_T4_jRjT5_jjP12ihipStream_tbEUlT_E_NS1_11comp_targetILNS1_3genE2ELNS1_11target_archE906ELNS1_3gpuE6ELNS1_3repE0EEENS1_44radix_sort_block_sort_config_static_selectorELNS0_4arch9wavefront6targetE1EEEvSD_,"axG",@progbits,_ZN7rocprim17ROCPRIM_400000_NS6detail17trampoline_kernelINS0_13kernel_configILj256ELj4ELj4294967295EEENS1_37radix_sort_block_sort_config_selectorIaNS0_10empty_typeEEEZNS1_21radix_sort_block_sortIS4_Lb1EPaS9_PS6_SA_NS0_19identity_decomposerEEE10hipError_tT1_T2_T3_T4_jRjT5_jjP12ihipStream_tbEUlT_E_NS1_11comp_targetILNS1_3genE2ELNS1_11target_archE906ELNS1_3gpuE6ELNS1_3repE0EEENS1_44radix_sort_block_sort_config_static_selectorELNS0_4arch9wavefront6targetE1EEEvSD_,comdat
	.protected	_ZN7rocprim17ROCPRIM_400000_NS6detail17trampoline_kernelINS0_13kernel_configILj256ELj4ELj4294967295EEENS1_37radix_sort_block_sort_config_selectorIaNS0_10empty_typeEEEZNS1_21radix_sort_block_sortIS4_Lb1EPaS9_PS6_SA_NS0_19identity_decomposerEEE10hipError_tT1_T2_T3_T4_jRjT5_jjP12ihipStream_tbEUlT_E_NS1_11comp_targetILNS1_3genE2ELNS1_11target_archE906ELNS1_3gpuE6ELNS1_3repE0EEENS1_44radix_sort_block_sort_config_static_selectorELNS0_4arch9wavefront6targetE1EEEvSD_ ; -- Begin function _ZN7rocprim17ROCPRIM_400000_NS6detail17trampoline_kernelINS0_13kernel_configILj256ELj4ELj4294967295EEENS1_37radix_sort_block_sort_config_selectorIaNS0_10empty_typeEEEZNS1_21radix_sort_block_sortIS4_Lb1EPaS9_PS6_SA_NS0_19identity_decomposerEEE10hipError_tT1_T2_T3_T4_jRjT5_jjP12ihipStream_tbEUlT_E_NS1_11comp_targetILNS1_3genE2ELNS1_11target_archE906ELNS1_3gpuE6ELNS1_3repE0EEENS1_44radix_sort_block_sort_config_static_selectorELNS0_4arch9wavefront6targetE1EEEvSD_
	.globl	_ZN7rocprim17ROCPRIM_400000_NS6detail17trampoline_kernelINS0_13kernel_configILj256ELj4ELj4294967295EEENS1_37radix_sort_block_sort_config_selectorIaNS0_10empty_typeEEEZNS1_21radix_sort_block_sortIS4_Lb1EPaS9_PS6_SA_NS0_19identity_decomposerEEE10hipError_tT1_T2_T3_T4_jRjT5_jjP12ihipStream_tbEUlT_E_NS1_11comp_targetILNS1_3genE2ELNS1_11target_archE906ELNS1_3gpuE6ELNS1_3repE0EEENS1_44radix_sort_block_sort_config_static_selectorELNS0_4arch9wavefront6targetE1EEEvSD_
	.p2align	8
	.type	_ZN7rocprim17ROCPRIM_400000_NS6detail17trampoline_kernelINS0_13kernel_configILj256ELj4ELj4294967295EEENS1_37radix_sort_block_sort_config_selectorIaNS0_10empty_typeEEEZNS1_21radix_sort_block_sortIS4_Lb1EPaS9_PS6_SA_NS0_19identity_decomposerEEE10hipError_tT1_T2_T3_T4_jRjT5_jjP12ihipStream_tbEUlT_E_NS1_11comp_targetILNS1_3genE2ELNS1_11target_archE906ELNS1_3gpuE6ELNS1_3repE0EEENS1_44radix_sort_block_sort_config_static_selectorELNS0_4arch9wavefront6targetE1EEEvSD_,@function
_ZN7rocprim17ROCPRIM_400000_NS6detail17trampoline_kernelINS0_13kernel_configILj256ELj4ELj4294967295EEENS1_37radix_sort_block_sort_config_selectorIaNS0_10empty_typeEEEZNS1_21radix_sort_block_sortIS4_Lb1EPaS9_PS6_SA_NS0_19identity_decomposerEEE10hipError_tT1_T2_T3_T4_jRjT5_jjP12ihipStream_tbEUlT_E_NS1_11comp_targetILNS1_3genE2ELNS1_11target_archE906ELNS1_3gpuE6ELNS1_3repE0EEENS1_44radix_sort_block_sort_config_static_selectorELNS0_4arch9wavefront6targetE1EEEvSD_: ; @_ZN7rocprim17ROCPRIM_400000_NS6detail17trampoline_kernelINS0_13kernel_configILj256ELj4ELj4294967295EEENS1_37radix_sort_block_sort_config_selectorIaNS0_10empty_typeEEEZNS1_21radix_sort_block_sortIS4_Lb1EPaS9_PS6_SA_NS0_19identity_decomposerEEE10hipError_tT1_T2_T3_T4_jRjT5_jjP12ihipStream_tbEUlT_E_NS1_11comp_targetILNS1_3genE2ELNS1_11target_archE906ELNS1_3gpuE6ELNS1_3repE0EEENS1_44radix_sort_block_sort_config_static_selectorELNS0_4arch9wavefront6targetE1EEEvSD_
; %bb.0:
	.section	.rodata,"a",@progbits
	.p2align	6, 0x0
	.amdhsa_kernel _ZN7rocprim17ROCPRIM_400000_NS6detail17trampoline_kernelINS0_13kernel_configILj256ELj4ELj4294967295EEENS1_37radix_sort_block_sort_config_selectorIaNS0_10empty_typeEEEZNS1_21radix_sort_block_sortIS4_Lb1EPaS9_PS6_SA_NS0_19identity_decomposerEEE10hipError_tT1_T2_T3_T4_jRjT5_jjP12ihipStream_tbEUlT_E_NS1_11comp_targetILNS1_3genE2ELNS1_11target_archE906ELNS1_3gpuE6ELNS1_3repE0EEENS1_44radix_sort_block_sort_config_static_selectorELNS0_4arch9wavefront6targetE1EEEvSD_
		.amdhsa_group_segment_fixed_size 0
		.amdhsa_private_segment_fixed_size 0
		.amdhsa_kernarg_size 48
		.amdhsa_user_sgpr_count 6
		.amdhsa_user_sgpr_private_segment_buffer 1
		.amdhsa_user_sgpr_dispatch_ptr 0
		.amdhsa_user_sgpr_queue_ptr 0
		.amdhsa_user_sgpr_kernarg_segment_ptr 1
		.amdhsa_user_sgpr_dispatch_id 0
		.amdhsa_user_sgpr_flat_scratch_init 0
		.amdhsa_user_sgpr_kernarg_preload_length 0
		.amdhsa_user_sgpr_kernarg_preload_offset 0
		.amdhsa_user_sgpr_private_segment_size 0
		.amdhsa_uses_dynamic_stack 0
		.amdhsa_system_sgpr_private_segment_wavefront_offset 0
		.amdhsa_system_sgpr_workgroup_id_x 1
		.amdhsa_system_sgpr_workgroup_id_y 0
		.amdhsa_system_sgpr_workgroup_id_z 0
		.amdhsa_system_sgpr_workgroup_info 0
		.amdhsa_system_vgpr_workitem_id 0
		.amdhsa_next_free_vgpr 1
		.amdhsa_next_free_sgpr 0
		.amdhsa_accum_offset 4
		.amdhsa_reserve_vcc 0
		.amdhsa_reserve_flat_scratch 0
		.amdhsa_float_round_mode_32 0
		.amdhsa_float_round_mode_16_64 0
		.amdhsa_float_denorm_mode_32 3
		.amdhsa_float_denorm_mode_16_64 3
		.amdhsa_dx10_clamp 1
		.amdhsa_ieee_mode 1
		.amdhsa_fp16_overflow 0
		.amdhsa_tg_split 0
		.amdhsa_exception_fp_ieee_invalid_op 0
		.amdhsa_exception_fp_denorm_src 0
		.amdhsa_exception_fp_ieee_div_zero 0
		.amdhsa_exception_fp_ieee_overflow 0
		.amdhsa_exception_fp_ieee_underflow 0
		.amdhsa_exception_fp_ieee_inexact 0
		.amdhsa_exception_int_div_zero 0
	.end_amdhsa_kernel
	.section	.text._ZN7rocprim17ROCPRIM_400000_NS6detail17trampoline_kernelINS0_13kernel_configILj256ELj4ELj4294967295EEENS1_37radix_sort_block_sort_config_selectorIaNS0_10empty_typeEEEZNS1_21radix_sort_block_sortIS4_Lb1EPaS9_PS6_SA_NS0_19identity_decomposerEEE10hipError_tT1_T2_T3_T4_jRjT5_jjP12ihipStream_tbEUlT_E_NS1_11comp_targetILNS1_3genE2ELNS1_11target_archE906ELNS1_3gpuE6ELNS1_3repE0EEENS1_44radix_sort_block_sort_config_static_selectorELNS0_4arch9wavefront6targetE1EEEvSD_,"axG",@progbits,_ZN7rocprim17ROCPRIM_400000_NS6detail17trampoline_kernelINS0_13kernel_configILj256ELj4ELj4294967295EEENS1_37radix_sort_block_sort_config_selectorIaNS0_10empty_typeEEEZNS1_21radix_sort_block_sortIS4_Lb1EPaS9_PS6_SA_NS0_19identity_decomposerEEE10hipError_tT1_T2_T3_T4_jRjT5_jjP12ihipStream_tbEUlT_E_NS1_11comp_targetILNS1_3genE2ELNS1_11target_archE906ELNS1_3gpuE6ELNS1_3repE0EEENS1_44radix_sort_block_sort_config_static_selectorELNS0_4arch9wavefront6targetE1EEEvSD_,comdat
.Lfunc_end1569:
	.size	_ZN7rocprim17ROCPRIM_400000_NS6detail17trampoline_kernelINS0_13kernel_configILj256ELj4ELj4294967295EEENS1_37radix_sort_block_sort_config_selectorIaNS0_10empty_typeEEEZNS1_21radix_sort_block_sortIS4_Lb1EPaS9_PS6_SA_NS0_19identity_decomposerEEE10hipError_tT1_T2_T3_T4_jRjT5_jjP12ihipStream_tbEUlT_E_NS1_11comp_targetILNS1_3genE2ELNS1_11target_archE906ELNS1_3gpuE6ELNS1_3repE0EEENS1_44radix_sort_block_sort_config_static_selectorELNS0_4arch9wavefront6targetE1EEEvSD_, .Lfunc_end1569-_ZN7rocprim17ROCPRIM_400000_NS6detail17trampoline_kernelINS0_13kernel_configILj256ELj4ELj4294967295EEENS1_37radix_sort_block_sort_config_selectorIaNS0_10empty_typeEEEZNS1_21radix_sort_block_sortIS4_Lb1EPaS9_PS6_SA_NS0_19identity_decomposerEEE10hipError_tT1_T2_T3_T4_jRjT5_jjP12ihipStream_tbEUlT_E_NS1_11comp_targetILNS1_3genE2ELNS1_11target_archE906ELNS1_3gpuE6ELNS1_3repE0EEENS1_44radix_sort_block_sort_config_static_selectorELNS0_4arch9wavefront6targetE1EEEvSD_
                                        ; -- End function
	.section	.AMDGPU.csdata,"",@progbits
; Kernel info:
; codeLenInByte = 0
; NumSgprs: 4
; NumVgprs: 0
; NumAgprs: 0
; TotalNumVgprs: 0
; ScratchSize: 0
; MemoryBound: 0
; FloatMode: 240
; IeeeMode: 1
; LDSByteSize: 0 bytes/workgroup (compile time only)
; SGPRBlocks: 0
; VGPRBlocks: 0
; NumSGPRsForWavesPerEU: 4
; NumVGPRsForWavesPerEU: 1
; AccumOffset: 4
; Occupancy: 8
; WaveLimiterHint : 0
; COMPUTE_PGM_RSRC2:SCRATCH_EN: 0
; COMPUTE_PGM_RSRC2:USER_SGPR: 6
; COMPUTE_PGM_RSRC2:TRAP_HANDLER: 0
; COMPUTE_PGM_RSRC2:TGID_X_EN: 1
; COMPUTE_PGM_RSRC2:TGID_Y_EN: 0
; COMPUTE_PGM_RSRC2:TGID_Z_EN: 0
; COMPUTE_PGM_RSRC2:TIDIG_COMP_CNT: 0
; COMPUTE_PGM_RSRC3_GFX90A:ACCUM_OFFSET: 0
; COMPUTE_PGM_RSRC3_GFX90A:TG_SPLIT: 0
	.section	.text._ZN7rocprim17ROCPRIM_400000_NS6detail17trampoline_kernelINS0_13kernel_configILj256ELj4ELj4294967295EEENS1_37radix_sort_block_sort_config_selectorIaNS0_10empty_typeEEEZNS1_21radix_sort_block_sortIS4_Lb1EPaS9_PS6_SA_NS0_19identity_decomposerEEE10hipError_tT1_T2_T3_T4_jRjT5_jjP12ihipStream_tbEUlT_E_NS1_11comp_targetILNS1_3genE10ELNS1_11target_archE1201ELNS1_3gpuE5ELNS1_3repE0EEENS1_44radix_sort_block_sort_config_static_selectorELNS0_4arch9wavefront6targetE1EEEvSD_,"axG",@progbits,_ZN7rocprim17ROCPRIM_400000_NS6detail17trampoline_kernelINS0_13kernel_configILj256ELj4ELj4294967295EEENS1_37radix_sort_block_sort_config_selectorIaNS0_10empty_typeEEEZNS1_21radix_sort_block_sortIS4_Lb1EPaS9_PS6_SA_NS0_19identity_decomposerEEE10hipError_tT1_T2_T3_T4_jRjT5_jjP12ihipStream_tbEUlT_E_NS1_11comp_targetILNS1_3genE10ELNS1_11target_archE1201ELNS1_3gpuE5ELNS1_3repE0EEENS1_44radix_sort_block_sort_config_static_selectorELNS0_4arch9wavefront6targetE1EEEvSD_,comdat
	.protected	_ZN7rocprim17ROCPRIM_400000_NS6detail17trampoline_kernelINS0_13kernel_configILj256ELj4ELj4294967295EEENS1_37radix_sort_block_sort_config_selectorIaNS0_10empty_typeEEEZNS1_21radix_sort_block_sortIS4_Lb1EPaS9_PS6_SA_NS0_19identity_decomposerEEE10hipError_tT1_T2_T3_T4_jRjT5_jjP12ihipStream_tbEUlT_E_NS1_11comp_targetILNS1_3genE10ELNS1_11target_archE1201ELNS1_3gpuE5ELNS1_3repE0EEENS1_44radix_sort_block_sort_config_static_selectorELNS0_4arch9wavefront6targetE1EEEvSD_ ; -- Begin function _ZN7rocprim17ROCPRIM_400000_NS6detail17trampoline_kernelINS0_13kernel_configILj256ELj4ELj4294967295EEENS1_37radix_sort_block_sort_config_selectorIaNS0_10empty_typeEEEZNS1_21radix_sort_block_sortIS4_Lb1EPaS9_PS6_SA_NS0_19identity_decomposerEEE10hipError_tT1_T2_T3_T4_jRjT5_jjP12ihipStream_tbEUlT_E_NS1_11comp_targetILNS1_3genE10ELNS1_11target_archE1201ELNS1_3gpuE5ELNS1_3repE0EEENS1_44radix_sort_block_sort_config_static_selectorELNS0_4arch9wavefront6targetE1EEEvSD_
	.globl	_ZN7rocprim17ROCPRIM_400000_NS6detail17trampoline_kernelINS0_13kernel_configILj256ELj4ELj4294967295EEENS1_37radix_sort_block_sort_config_selectorIaNS0_10empty_typeEEEZNS1_21radix_sort_block_sortIS4_Lb1EPaS9_PS6_SA_NS0_19identity_decomposerEEE10hipError_tT1_T2_T3_T4_jRjT5_jjP12ihipStream_tbEUlT_E_NS1_11comp_targetILNS1_3genE10ELNS1_11target_archE1201ELNS1_3gpuE5ELNS1_3repE0EEENS1_44radix_sort_block_sort_config_static_selectorELNS0_4arch9wavefront6targetE1EEEvSD_
	.p2align	8
	.type	_ZN7rocprim17ROCPRIM_400000_NS6detail17trampoline_kernelINS0_13kernel_configILj256ELj4ELj4294967295EEENS1_37radix_sort_block_sort_config_selectorIaNS0_10empty_typeEEEZNS1_21radix_sort_block_sortIS4_Lb1EPaS9_PS6_SA_NS0_19identity_decomposerEEE10hipError_tT1_T2_T3_T4_jRjT5_jjP12ihipStream_tbEUlT_E_NS1_11comp_targetILNS1_3genE10ELNS1_11target_archE1201ELNS1_3gpuE5ELNS1_3repE0EEENS1_44radix_sort_block_sort_config_static_selectorELNS0_4arch9wavefront6targetE1EEEvSD_,@function
_ZN7rocprim17ROCPRIM_400000_NS6detail17trampoline_kernelINS0_13kernel_configILj256ELj4ELj4294967295EEENS1_37radix_sort_block_sort_config_selectorIaNS0_10empty_typeEEEZNS1_21radix_sort_block_sortIS4_Lb1EPaS9_PS6_SA_NS0_19identity_decomposerEEE10hipError_tT1_T2_T3_T4_jRjT5_jjP12ihipStream_tbEUlT_E_NS1_11comp_targetILNS1_3genE10ELNS1_11target_archE1201ELNS1_3gpuE5ELNS1_3repE0EEENS1_44radix_sort_block_sort_config_static_selectorELNS0_4arch9wavefront6targetE1EEEvSD_: ; @_ZN7rocprim17ROCPRIM_400000_NS6detail17trampoline_kernelINS0_13kernel_configILj256ELj4ELj4294967295EEENS1_37radix_sort_block_sort_config_selectorIaNS0_10empty_typeEEEZNS1_21radix_sort_block_sortIS4_Lb1EPaS9_PS6_SA_NS0_19identity_decomposerEEE10hipError_tT1_T2_T3_T4_jRjT5_jjP12ihipStream_tbEUlT_E_NS1_11comp_targetILNS1_3genE10ELNS1_11target_archE1201ELNS1_3gpuE5ELNS1_3repE0EEENS1_44radix_sort_block_sort_config_static_selectorELNS0_4arch9wavefront6targetE1EEEvSD_
; %bb.0:
	.section	.rodata,"a",@progbits
	.p2align	6, 0x0
	.amdhsa_kernel _ZN7rocprim17ROCPRIM_400000_NS6detail17trampoline_kernelINS0_13kernel_configILj256ELj4ELj4294967295EEENS1_37radix_sort_block_sort_config_selectorIaNS0_10empty_typeEEEZNS1_21radix_sort_block_sortIS4_Lb1EPaS9_PS6_SA_NS0_19identity_decomposerEEE10hipError_tT1_T2_T3_T4_jRjT5_jjP12ihipStream_tbEUlT_E_NS1_11comp_targetILNS1_3genE10ELNS1_11target_archE1201ELNS1_3gpuE5ELNS1_3repE0EEENS1_44radix_sort_block_sort_config_static_selectorELNS0_4arch9wavefront6targetE1EEEvSD_
		.amdhsa_group_segment_fixed_size 0
		.amdhsa_private_segment_fixed_size 0
		.amdhsa_kernarg_size 48
		.amdhsa_user_sgpr_count 6
		.amdhsa_user_sgpr_private_segment_buffer 1
		.amdhsa_user_sgpr_dispatch_ptr 0
		.amdhsa_user_sgpr_queue_ptr 0
		.amdhsa_user_sgpr_kernarg_segment_ptr 1
		.amdhsa_user_sgpr_dispatch_id 0
		.amdhsa_user_sgpr_flat_scratch_init 0
		.amdhsa_user_sgpr_kernarg_preload_length 0
		.amdhsa_user_sgpr_kernarg_preload_offset 0
		.amdhsa_user_sgpr_private_segment_size 0
		.amdhsa_uses_dynamic_stack 0
		.amdhsa_system_sgpr_private_segment_wavefront_offset 0
		.amdhsa_system_sgpr_workgroup_id_x 1
		.amdhsa_system_sgpr_workgroup_id_y 0
		.amdhsa_system_sgpr_workgroup_id_z 0
		.amdhsa_system_sgpr_workgroup_info 0
		.amdhsa_system_vgpr_workitem_id 0
		.amdhsa_next_free_vgpr 1
		.amdhsa_next_free_sgpr 0
		.amdhsa_accum_offset 4
		.amdhsa_reserve_vcc 0
		.amdhsa_reserve_flat_scratch 0
		.amdhsa_float_round_mode_32 0
		.amdhsa_float_round_mode_16_64 0
		.amdhsa_float_denorm_mode_32 3
		.amdhsa_float_denorm_mode_16_64 3
		.amdhsa_dx10_clamp 1
		.amdhsa_ieee_mode 1
		.amdhsa_fp16_overflow 0
		.amdhsa_tg_split 0
		.amdhsa_exception_fp_ieee_invalid_op 0
		.amdhsa_exception_fp_denorm_src 0
		.amdhsa_exception_fp_ieee_div_zero 0
		.amdhsa_exception_fp_ieee_overflow 0
		.amdhsa_exception_fp_ieee_underflow 0
		.amdhsa_exception_fp_ieee_inexact 0
		.amdhsa_exception_int_div_zero 0
	.end_amdhsa_kernel
	.section	.text._ZN7rocprim17ROCPRIM_400000_NS6detail17trampoline_kernelINS0_13kernel_configILj256ELj4ELj4294967295EEENS1_37radix_sort_block_sort_config_selectorIaNS0_10empty_typeEEEZNS1_21radix_sort_block_sortIS4_Lb1EPaS9_PS6_SA_NS0_19identity_decomposerEEE10hipError_tT1_T2_T3_T4_jRjT5_jjP12ihipStream_tbEUlT_E_NS1_11comp_targetILNS1_3genE10ELNS1_11target_archE1201ELNS1_3gpuE5ELNS1_3repE0EEENS1_44radix_sort_block_sort_config_static_selectorELNS0_4arch9wavefront6targetE1EEEvSD_,"axG",@progbits,_ZN7rocprim17ROCPRIM_400000_NS6detail17trampoline_kernelINS0_13kernel_configILj256ELj4ELj4294967295EEENS1_37radix_sort_block_sort_config_selectorIaNS0_10empty_typeEEEZNS1_21radix_sort_block_sortIS4_Lb1EPaS9_PS6_SA_NS0_19identity_decomposerEEE10hipError_tT1_T2_T3_T4_jRjT5_jjP12ihipStream_tbEUlT_E_NS1_11comp_targetILNS1_3genE10ELNS1_11target_archE1201ELNS1_3gpuE5ELNS1_3repE0EEENS1_44radix_sort_block_sort_config_static_selectorELNS0_4arch9wavefront6targetE1EEEvSD_,comdat
.Lfunc_end1570:
	.size	_ZN7rocprim17ROCPRIM_400000_NS6detail17trampoline_kernelINS0_13kernel_configILj256ELj4ELj4294967295EEENS1_37radix_sort_block_sort_config_selectorIaNS0_10empty_typeEEEZNS1_21radix_sort_block_sortIS4_Lb1EPaS9_PS6_SA_NS0_19identity_decomposerEEE10hipError_tT1_T2_T3_T4_jRjT5_jjP12ihipStream_tbEUlT_E_NS1_11comp_targetILNS1_3genE10ELNS1_11target_archE1201ELNS1_3gpuE5ELNS1_3repE0EEENS1_44radix_sort_block_sort_config_static_selectorELNS0_4arch9wavefront6targetE1EEEvSD_, .Lfunc_end1570-_ZN7rocprim17ROCPRIM_400000_NS6detail17trampoline_kernelINS0_13kernel_configILj256ELj4ELj4294967295EEENS1_37radix_sort_block_sort_config_selectorIaNS0_10empty_typeEEEZNS1_21radix_sort_block_sortIS4_Lb1EPaS9_PS6_SA_NS0_19identity_decomposerEEE10hipError_tT1_T2_T3_T4_jRjT5_jjP12ihipStream_tbEUlT_E_NS1_11comp_targetILNS1_3genE10ELNS1_11target_archE1201ELNS1_3gpuE5ELNS1_3repE0EEENS1_44radix_sort_block_sort_config_static_selectorELNS0_4arch9wavefront6targetE1EEEvSD_
                                        ; -- End function
	.section	.AMDGPU.csdata,"",@progbits
; Kernel info:
; codeLenInByte = 0
; NumSgprs: 4
; NumVgprs: 0
; NumAgprs: 0
; TotalNumVgprs: 0
; ScratchSize: 0
; MemoryBound: 0
; FloatMode: 240
; IeeeMode: 1
; LDSByteSize: 0 bytes/workgroup (compile time only)
; SGPRBlocks: 0
; VGPRBlocks: 0
; NumSGPRsForWavesPerEU: 4
; NumVGPRsForWavesPerEU: 1
; AccumOffset: 4
; Occupancy: 8
; WaveLimiterHint : 0
; COMPUTE_PGM_RSRC2:SCRATCH_EN: 0
; COMPUTE_PGM_RSRC2:USER_SGPR: 6
; COMPUTE_PGM_RSRC2:TRAP_HANDLER: 0
; COMPUTE_PGM_RSRC2:TGID_X_EN: 1
; COMPUTE_PGM_RSRC2:TGID_Y_EN: 0
; COMPUTE_PGM_RSRC2:TGID_Z_EN: 0
; COMPUTE_PGM_RSRC2:TIDIG_COMP_CNT: 0
; COMPUTE_PGM_RSRC3_GFX90A:ACCUM_OFFSET: 0
; COMPUTE_PGM_RSRC3_GFX90A:TG_SPLIT: 0
	.section	.text._ZN7rocprim17ROCPRIM_400000_NS6detail17trampoline_kernelINS0_13kernel_configILj256ELj4ELj4294967295EEENS1_37radix_sort_block_sort_config_selectorIaNS0_10empty_typeEEEZNS1_21radix_sort_block_sortIS4_Lb1EPaS9_PS6_SA_NS0_19identity_decomposerEEE10hipError_tT1_T2_T3_T4_jRjT5_jjP12ihipStream_tbEUlT_E_NS1_11comp_targetILNS1_3genE10ELNS1_11target_archE1200ELNS1_3gpuE4ELNS1_3repE0EEENS1_44radix_sort_block_sort_config_static_selectorELNS0_4arch9wavefront6targetE1EEEvSD_,"axG",@progbits,_ZN7rocprim17ROCPRIM_400000_NS6detail17trampoline_kernelINS0_13kernel_configILj256ELj4ELj4294967295EEENS1_37radix_sort_block_sort_config_selectorIaNS0_10empty_typeEEEZNS1_21radix_sort_block_sortIS4_Lb1EPaS9_PS6_SA_NS0_19identity_decomposerEEE10hipError_tT1_T2_T3_T4_jRjT5_jjP12ihipStream_tbEUlT_E_NS1_11comp_targetILNS1_3genE10ELNS1_11target_archE1200ELNS1_3gpuE4ELNS1_3repE0EEENS1_44radix_sort_block_sort_config_static_selectorELNS0_4arch9wavefront6targetE1EEEvSD_,comdat
	.protected	_ZN7rocprim17ROCPRIM_400000_NS6detail17trampoline_kernelINS0_13kernel_configILj256ELj4ELj4294967295EEENS1_37radix_sort_block_sort_config_selectorIaNS0_10empty_typeEEEZNS1_21radix_sort_block_sortIS4_Lb1EPaS9_PS6_SA_NS0_19identity_decomposerEEE10hipError_tT1_T2_T3_T4_jRjT5_jjP12ihipStream_tbEUlT_E_NS1_11comp_targetILNS1_3genE10ELNS1_11target_archE1200ELNS1_3gpuE4ELNS1_3repE0EEENS1_44radix_sort_block_sort_config_static_selectorELNS0_4arch9wavefront6targetE1EEEvSD_ ; -- Begin function _ZN7rocprim17ROCPRIM_400000_NS6detail17trampoline_kernelINS0_13kernel_configILj256ELj4ELj4294967295EEENS1_37radix_sort_block_sort_config_selectorIaNS0_10empty_typeEEEZNS1_21radix_sort_block_sortIS4_Lb1EPaS9_PS6_SA_NS0_19identity_decomposerEEE10hipError_tT1_T2_T3_T4_jRjT5_jjP12ihipStream_tbEUlT_E_NS1_11comp_targetILNS1_3genE10ELNS1_11target_archE1200ELNS1_3gpuE4ELNS1_3repE0EEENS1_44radix_sort_block_sort_config_static_selectorELNS0_4arch9wavefront6targetE1EEEvSD_
	.globl	_ZN7rocprim17ROCPRIM_400000_NS6detail17trampoline_kernelINS0_13kernel_configILj256ELj4ELj4294967295EEENS1_37radix_sort_block_sort_config_selectorIaNS0_10empty_typeEEEZNS1_21radix_sort_block_sortIS4_Lb1EPaS9_PS6_SA_NS0_19identity_decomposerEEE10hipError_tT1_T2_T3_T4_jRjT5_jjP12ihipStream_tbEUlT_E_NS1_11comp_targetILNS1_3genE10ELNS1_11target_archE1200ELNS1_3gpuE4ELNS1_3repE0EEENS1_44radix_sort_block_sort_config_static_selectorELNS0_4arch9wavefront6targetE1EEEvSD_
	.p2align	8
	.type	_ZN7rocprim17ROCPRIM_400000_NS6detail17trampoline_kernelINS0_13kernel_configILj256ELj4ELj4294967295EEENS1_37radix_sort_block_sort_config_selectorIaNS0_10empty_typeEEEZNS1_21radix_sort_block_sortIS4_Lb1EPaS9_PS6_SA_NS0_19identity_decomposerEEE10hipError_tT1_T2_T3_T4_jRjT5_jjP12ihipStream_tbEUlT_E_NS1_11comp_targetILNS1_3genE10ELNS1_11target_archE1200ELNS1_3gpuE4ELNS1_3repE0EEENS1_44radix_sort_block_sort_config_static_selectorELNS0_4arch9wavefront6targetE1EEEvSD_,@function
_ZN7rocprim17ROCPRIM_400000_NS6detail17trampoline_kernelINS0_13kernel_configILj256ELj4ELj4294967295EEENS1_37radix_sort_block_sort_config_selectorIaNS0_10empty_typeEEEZNS1_21radix_sort_block_sortIS4_Lb1EPaS9_PS6_SA_NS0_19identity_decomposerEEE10hipError_tT1_T2_T3_T4_jRjT5_jjP12ihipStream_tbEUlT_E_NS1_11comp_targetILNS1_3genE10ELNS1_11target_archE1200ELNS1_3gpuE4ELNS1_3repE0EEENS1_44radix_sort_block_sort_config_static_selectorELNS0_4arch9wavefront6targetE1EEEvSD_: ; @_ZN7rocprim17ROCPRIM_400000_NS6detail17trampoline_kernelINS0_13kernel_configILj256ELj4ELj4294967295EEENS1_37radix_sort_block_sort_config_selectorIaNS0_10empty_typeEEEZNS1_21radix_sort_block_sortIS4_Lb1EPaS9_PS6_SA_NS0_19identity_decomposerEEE10hipError_tT1_T2_T3_T4_jRjT5_jjP12ihipStream_tbEUlT_E_NS1_11comp_targetILNS1_3genE10ELNS1_11target_archE1200ELNS1_3gpuE4ELNS1_3repE0EEENS1_44radix_sort_block_sort_config_static_selectorELNS0_4arch9wavefront6targetE1EEEvSD_
; %bb.0:
	.section	.rodata,"a",@progbits
	.p2align	6, 0x0
	.amdhsa_kernel _ZN7rocprim17ROCPRIM_400000_NS6detail17trampoline_kernelINS0_13kernel_configILj256ELj4ELj4294967295EEENS1_37radix_sort_block_sort_config_selectorIaNS0_10empty_typeEEEZNS1_21radix_sort_block_sortIS4_Lb1EPaS9_PS6_SA_NS0_19identity_decomposerEEE10hipError_tT1_T2_T3_T4_jRjT5_jjP12ihipStream_tbEUlT_E_NS1_11comp_targetILNS1_3genE10ELNS1_11target_archE1200ELNS1_3gpuE4ELNS1_3repE0EEENS1_44radix_sort_block_sort_config_static_selectorELNS0_4arch9wavefront6targetE1EEEvSD_
		.amdhsa_group_segment_fixed_size 0
		.amdhsa_private_segment_fixed_size 0
		.amdhsa_kernarg_size 48
		.amdhsa_user_sgpr_count 6
		.amdhsa_user_sgpr_private_segment_buffer 1
		.amdhsa_user_sgpr_dispatch_ptr 0
		.amdhsa_user_sgpr_queue_ptr 0
		.amdhsa_user_sgpr_kernarg_segment_ptr 1
		.amdhsa_user_sgpr_dispatch_id 0
		.amdhsa_user_sgpr_flat_scratch_init 0
		.amdhsa_user_sgpr_kernarg_preload_length 0
		.amdhsa_user_sgpr_kernarg_preload_offset 0
		.amdhsa_user_sgpr_private_segment_size 0
		.amdhsa_uses_dynamic_stack 0
		.amdhsa_system_sgpr_private_segment_wavefront_offset 0
		.amdhsa_system_sgpr_workgroup_id_x 1
		.amdhsa_system_sgpr_workgroup_id_y 0
		.amdhsa_system_sgpr_workgroup_id_z 0
		.amdhsa_system_sgpr_workgroup_info 0
		.amdhsa_system_vgpr_workitem_id 0
		.amdhsa_next_free_vgpr 1
		.amdhsa_next_free_sgpr 0
		.amdhsa_accum_offset 4
		.amdhsa_reserve_vcc 0
		.amdhsa_reserve_flat_scratch 0
		.amdhsa_float_round_mode_32 0
		.amdhsa_float_round_mode_16_64 0
		.amdhsa_float_denorm_mode_32 3
		.amdhsa_float_denorm_mode_16_64 3
		.amdhsa_dx10_clamp 1
		.amdhsa_ieee_mode 1
		.amdhsa_fp16_overflow 0
		.amdhsa_tg_split 0
		.amdhsa_exception_fp_ieee_invalid_op 0
		.amdhsa_exception_fp_denorm_src 0
		.amdhsa_exception_fp_ieee_div_zero 0
		.amdhsa_exception_fp_ieee_overflow 0
		.amdhsa_exception_fp_ieee_underflow 0
		.amdhsa_exception_fp_ieee_inexact 0
		.amdhsa_exception_int_div_zero 0
	.end_amdhsa_kernel
	.section	.text._ZN7rocprim17ROCPRIM_400000_NS6detail17trampoline_kernelINS0_13kernel_configILj256ELj4ELj4294967295EEENS1_37radix_sort_block_sort_config_selectorIaNS0_10empty_typeEEEZNS1_21radix_sort_block_sortIS4_Lb1EPaS9_PS6_SA_NS0_19identity_decomposerEEE10hipError_tT1_T2_T3_T4_jRjT5_jjP12ihipStream_tbEUlT_E_NS1_11comp_targetILNS1_3genE10ELNS1_11target_archE1200ELNS1_3gpuE4ELNS1_3repE0EEENS1_44radix_sort_block_sort_config_static_selectorELNS0_4arch9wavefront6targetE1EEEvSD_,"axG",@progbits,_ZN7rocprim17ROCPRIM_400000_NS6detail17trampoline_kernelINS0_13kernel_configILj256ELj4ELj4294967295EEENS1_37radix_sort_block_sort_config_selectorIaNS0_10empty_typeEEEZNS1_21radix_sort_block_sortIS4_Lb1EPaS9_PS6_SA_NS0_19identity_decomposerEEE10hipError_tT1_T2_T3_T4_jRjT5_jjP12ihipStream_tbEUlT_E_NS1_11comp_targetILNS1_3genE10ELNS1_11target_archE1200ELNS1_3gpuE4ELNS1_3repE0EEENS1_44radix_sort_block_sort_config_static_selectorELNS0_4arch9wavefront6targetE1EEEvSD_,comdat
.Lfunc_end1571:
	.size	_ZN7rocprim17ROCPRIM_400000_NS6detail17trampoline_kernelINS0_13kernel_configILj256ELj4ELj4294967295EEENS1_37radix_sort_block_sort_config_selectorIaNS0_10empty_typeEEEZNS1_21radix_sort_block_sortIS4_Lb1EPaS9_PS6_SA_NS0_19identity_decomposerEEE10hipError_tT1_T2_T3_T4_jRjT5_jjP12ihipStream_tbEUlT_E_NS1_11comp_targetILNS1_3genE10ELNS1_11target_archE1200ELNS1_3gpuE4ELNS1_3repE0EEENS1_44radix_sort_block_sort_config_static_selectorELNS0_4arch9wavefront6targetE1EEEvSD_, .Lfunc_end1571-_ZN7rocprim17ROCPRIM_400000_NS6detail17trampoline_kernelINS0_13kernel_configILj256ELj4ELj4294967295EEENS1_37radix_sort_block_sort_config_selectorIaNS0_10empty_typeEEEZNS1_21radix_sort_block_sortIS4_Lb1EPaS9_PS6_SA_NS0_19identity_decomposerEEE10hipError_tT1_T2_T3_T4_jRjT5_jjP12ihipStream_tbEUlT_E_NS1_11comp_targetILNS1_3genE10ELNS1_11target_archE1200ELNS1_3gpuE4ELNS1_3repE0EEENS1_44radix_sort_block_sort_config_static_selectorELNS0_4arch9wavefront6targetE1EEEvSD_
                                        ; -- End function
	.section	.AMDGPU.csdata,"",@progbits
; Kernel info:
; codeLenInByte = 0
; NumSgprs: 4
; NumVgprs: 0
; NumAgprs: 0
; TotalNumVgprs: 0
; ScratchSize: 0
; MemoryBound: 0
; FloatMode: 240
; IeeeMode: 1
; LDSByteSize: 0 bytes/workgroup (compile time only)
; SGPRBlocks: 0
; VGPRBlocks: 0
; NumSGPRsForWavesPerEU: 4
; NumVGPRsForWavesPerEU: 1
; AccumOffset: 4
; Occupancy: 8
; WaveLimiterHint : 0
; COMPUTE_PGM_RSRC2:SCRATCH_EN: 0
; COMPUTE_PGM_RSRC2:USER_SGPR: 6
; COMPUTE_PGM_RSRC2:TRAP_HANDLER: 0
; COMPUTE_PGM_RSRC2:TGID_X_EN: 1
; COMPUTE_PGM_RSRC2:TGID_Y_EN: 0
; COMPUTE_PGM_RSRC2:TGID_Z_EN: 0
; COMPUTE_PGM_RSRC2:TIDIG_COMP_CNT: 0
; COMPUTE_PGM_RSRC3_GFX90A:ACCUM_OFFSET: 0
; COMPUTE_PGM_RSRC3_GFX90A:TG_SPLIT: 0
	.section	.text._ZN7rocprim17ROCPRIM_400000_NS6detail17trampoline_kernelINS0_13kernel_configILj256ELj4ELj4294967295EEENS1_37radix_sort_block_sort_config_selectorIaNS0_10empty_typeEEEZNS1_21radix_sort_block_sortIS4_Lb1EPaS9_PS6_SA_NS0_19identity_decomposerEEE10hipError_tT1_T2_T3_T4_jRjT5_jjP12ihipStream_tbEUlT_E_NS1_11comp_targetILNS1_3genE9ELNS1_11target_archE1100ELNS1_3gpuE3ELNS1_3repE0EEENS1_44radix_sort_block_sort_config_static_selectorELNS0_4arch9wavefront6targetE1EEEvSD_,"axG",@progbits,_ZN7rocprim17ROCPRIM_400000_NS6detail17trampoline_kernelINS0_13kernel_configILj256ELj4ELj4294967295EEENS1_37radix_sort_block_sort_config_selectorIaNS0_10empty_typeEEEZNS1_21radix_sort_block_sortIS4_Lb1EPaS9_PS6_SA_NS0_19identity_decomposerEEE10hipError_tT1_T2_T3_T4_jRjT5_jjP12ihipStream_tbEUlT_E_NS1_11comp_targetILNS1_3genE9ELNS1_11target_archE1100ELNS1_3gpuE3ELNS1_3repE0EEENS1_44radix_sort_block_sort_config_static_selectorELNS0_4arch9wavefront6targetE1EEEvSD_,comdat
	.protected	_ZN7rocprim17ROCPRIM_400000_NS6detail17trampoline_kernelINS0_13kernel_configILj256ELj4ELj4294967295EEENS1_37radix_sort_block_sort_config_selectorIaNS0_10empty_typeEEEZNS1_21radix_sort_block_sortIS4_Lb1EPaS9_PS6_SA_NS0_19identity_decomposerEEE10hipError_tT1_T2_T3_T4_jRjT5_jjP12ihipStream_tbEUlT_E_NS1_11comp_targetILNS1_3genE9ELNS1_11target_archE1100ELNS1_3gpuE3ELNS1_3repE0EEENS1_44radix_sort_block_sort_config_static_selectorELNS0_4arch9wavefront6targetE1EEEvSD_ ; -- Begin function _ZN7rocprim17ROCPRIM_400000_NS6detail17trampoline_kernelINS0_13kernel_configILj256ELj4ELj4294967295EEENS1_37radix_sort_block_sort_config_selectorIaNS0_10empty_typeEEEZNS1_21radix_sort_block_sortIS4_Lb1EPaS9_PS6_SA_NS0_19identity_decomposerEEE10hipError_tT1_T2_T3_T4_jRjT5_jjP12ihipStream_tbEUlT_E_NS1_11comp_targetILNS1_3genE9ELNS1_11target_archE1100ELNS1_3gpuE3ELNS1_3repE0EEENS1_44radix_sort_block_sort_config_static_selectorELNS0_4arch9wavefront6targetE1EEEvSD_
	.globl	_ZN7rocprim17ROCPRIM_400000_NS6detail17trampoline_kernelINS0_13kernel_configILj256ELj4ELj4294967295EEENS1_37radix_sort_block_sort_config_selectorIaNS0_10empty_typeEEEZNS1_21radix_sort_block_sortIS4_Lb1EPaS9_PS6_SA_NS0_19identity_decomposerEEE10hipError_tT1_T2_T3_T4_jRjT5_jjP12ihipStream_tbEUlT_E_NS1_11comp_targetILNS1_3genE9ELNS1_11target_archE1100ELNS1_3gpuE3ELNS1_3repE0EEENS1_44radix_sort_block_sort_config_static_selectorELNS0_4arch9wavefront6targetE1EEEvSD_
	.p2align	8
	.type	_ZN7rocprim17ROCPRIM_400000_NS6detail17trampoline_kernelINS0_13kernel_configILj256ELj4ELj4294967295EEENS1_37radix_sort_block_sort_config_selectorIaNS0_10empty_typeEEEZNS1_21radix_sort_block_sortIS4_Lb1EPaS9_PS6_SA_NS0_19identity_decomposerEEE10hipError_tT1_T2_T3_T4_jRjT5_jjP12ihipStream_tbEUlT_E_NS1_11comp_targetILNS1_3genE9ELNS1_11target_archE1100ELNS1_3gpuE3ELNS1_3repE0EEENS1_44radix_sort_block_sort_config_static_selectorELNS0_4arch9wavefront6targetE1EEEvSD_,@function
_ZN7rocprim17ROCPRIM_400000_NS6detail17trampoline_kernelINS0_13kernel_configILj256ELj4ELj4294967295EEENS1_37radix_sort_block_sort_config_selectorIaNS0_10empty_typeEEEZNS1_21radix_sort_block_sortIS4_Lb1EPaS9_PS6_SA_NS0_19identity_decomposerEEE10hipError_tT1_T2_T3_T4_jRjT5_jjP12ihipStream_tbEUlT_E_NS1_11comp_targetILNS1_3genE9ELNS1_11target_archE1100ELNS1_3gpuE3ELNS1_3repE0EEENS1_44radix_sort_block_sort_config_static_selectorELNS0_4arch9wavefront6targetE1EEEvSD_: ; @_ZN7rocprim17ROCPRIM_400000_NS6detail17trampoline_kernelINS0_13kernel_configILj256ELj4ELj4294967295EEENS1_37radix_sort_block_sort_config_selectorIaNS0_10empty_typeEEEZNS1_21radix_sort_block_sortIS4_Lb1EPaS9_PS6_SA_NS0_19identity_decomposerEEE10hipError_tT1_T2_T3_T4_jRjT5_jjP12ihipStream_tbEUlT_E_NS1_11comp_targetILNS1_3genE9ELNS1_11target_archE1100ELNS1_3gpuE3ELNS1_3repE0EEENS1_44radix_sort_block_sort_config_static_selectorELNS0_4arch9wavefront6targetE1EEEvSD_
; %bb.0:
	.section	.rodata,"a",@progbits
	.p2align	6, 0x0
	.amdhsa_kernel _ZN7rocprim17ROCPRIM_400000_NS6detail17trampoline_kernelINS0_13kernel_configILj256ELj4ELj4294967295EEENS1_37radix_sort_block_sort_config_selectorIaNS0_10empty_typeEEEZNS1_21radix_sort_block_sortIS4_Lb1EPaS9_PS6_SA_NS0_19identity_decomposerEEE10hipError_tT1_T2_T3_T4_jRjT5_jjP12ihipStream_tbEUlT_E_NS1_11comp_targetILNS1_3genE9ELNS1_11target_archE1100ELNS1_3gpuE3ELNS1_3repE0EEENS1_44radix_sort_block_sort_config_static_selectorELNS0_4arch9wavefront6targetE1EEEvSD_
		.amdhsa_group_segment_fixed_size 0
		.amdhsa_private_segment_fixed_size 0
		.amdhsa_kernarg_size 48
		.amdhsa_user_sgpr_count 6
		.amdhsa_user_sgpr_private_segment_buffer 1
		.amdhsa_user_sgpr_dispatch_ptr 0
		.amdhsa_user_sgpr_queue_ptr 0
		.amdhsa_user_sgpr_kernarg_segment_ptr 1
		.amdhsa_user_sgpr_dispatch_id 0
		.amdhsa_user_sgpr_flat_scratch_init 0
		.amdhsa_user_sgpr_kernarg_preload_length 0
		.amdhsa_user_sgpr_kernarg_preload_offset 0
		.amdhsa_user_sgpr_private_segment_size 0
		.amdhsa_uses_dynamic_stack 0
		.amdhsa_system_sgpr_private_segment_wavefront_offset 0
		.amdhsa_system_sgpr_workgroup_id_x 1
		.amdhsa_system_sgpr_workgroup_id_y 0
		.amdhsa_system_sgpr_workgroup_id_z 0
		.amdhsa_system_sgpr_workgroup_info 0
		.amdhsa_system_vgpr_workitem_id 0
		.amdhsa_next_free_vgpr 1
		.amdhsa_next_free_sgpr 0
		.amdhsa_accum_offset 4
		.amdhsa_reserve_vcc 0
		.amdhsa_reserve_flat_scratch 0
		.amdhsa_float_round_mode_32 0
		.amdhsa_float_round_mode_16_64 0
		.amdhsa_float_denorm_mode_32 3
		.amdhsa_float_denorm_mode_16_64 3
		.amdhsa_dx10_clamp 1
		.amdhsa_ieee_mode 1
		.amdhsa_fp16_overflow 0
		.amdhsa_tg_split 0
		.amdhsa_exception_fp_ieee_invalid_op 0
		.amdhsa_exception_fp_denorm_src 0
		.amdhsa_exception_fp_ieee_div_zero 0
		.amdhsa_exception_fp_ieee_overflow 0
		.amdhsa_exception_fp_ieee_underflow 0
		.amdhsa_exception_fp_ieee_inexact 0
		.amdhsa_exception_int_div_zero 0
	.end_amdhsa_kernel
	.section	.text._ZN7rocprim17ROCPRIM_400000_NS6detail17trampoline_kernelINS0_13kernel_configILj256ELj4ELj4294967295EEENS1_37radix_sort_block_sort_config_selectorIaNS0_10empty_typeEEEZNS1_21radix_sort_block_sortIS4_Lb1EPaS9_PS6_SA_NS0_19identity_decomposerEEE10hipError_tT1_T2_T3_T4_jRjT5_jjP12ihipStream_tbEUlT_E_NS1_11comp_targetILNS1_3genE9ELNS1_11target_archE1100ELNS1_3gpuE3ELNS1_3repE0EEENS1_44radix_sort_block_sort_config_static_selectorELNS0_4arch9wavefront6targetE1EEEvSD_,"axG",@progbits,_ZN7rocprim17ROCPRIM_400000_NS6detail17trampoline_kernelINS0_13kernel_configILj256ELj4ELj4294967295EEENS1_37radix_sort_block_sort_config_selectorIaNS0_10empty_typeEEEZNS1_21radix_sort_block_sortIS4_Lb1EPaS9_PS6_SA_NS0_19identity_decomposerEEE10hipError_tT1_T2_T3_T4_jRjT5_jjP12ihipStream_tbEUlT_E_NS1_11comp_targetILNS1_3genE9ELNS1_11target_archE1100ELNS1_3gpuE3ELNS1_3repE0EEENS1_44radix_sort_block_sort_config_static_selectorELNS0_4arch9wavefront6targetE1EEEvSD_,comdat
.Lfunc_end1572:
	.size	_ZN7rocprim17ROCPRIM_400000_NS6detail17trampoline_kernelINS0_13kernel_configILj256ELj4ELj4294967295EEENS1_37radix_sort_block_sort_config_selectorIaNS0_10empty_typeEEEZNS1_21radix_sort_block_sortIS4_Lb1EPaS9_PS6_SA_NS0_19identity_decomposerEEE10hipError_tT1_T2_T3_T4_jRjT5_jjP12ihipStream_tbEUlT_E_NS1_11comp_targetILNS1_3genE9ELNS1_11target_archE1100ELNS1_3gpuE3ELNS1_3repE0EEENS1_44radix_sort_block_sort_config_static_selectorELNS0_4arch9wavefront6targetE1EEEvSD_, .Lfunc_end1572-_ZN7rocprim17ROCPRIM_400000_NS6detail17trampoline_kernelINS0_13kernel_configILj256ELj4ELj4294967295EEENS1_37radix_sort_block_sort_config_selectorIaNS0_10empty_typeEEEZNS1_21radix_sort_block_sortIS4_Lb1EPaS9_PS6_SA_NS0_19identity_decomposerEEE10hipError_tT1_T2_T3_T4_jRjT5_jjP12ihipStream_tbEUlT_E_NS1_11comp_targetILNS1_3genE9ELNS1_11target_archE1100ELNS1_3gpuE3ELNS1_3repE0EEENS1_44radix_sort_block_sort_config_static_selectorELNS0_4arch9wavefront6targetE1EEEvSD_
                                        ; -- End function
	.section	.AMDGPU.csdata,"",@progbits
; Kernel info:
; codeLenInByte = 0
; NumSgprs: 4
; NumVgprs: 0
; NumAgprs: 0
; TotalNumVgprs: 0
; ScratchSize: 0
; MemoryBound: 0
; FloatMode: 240
; IeeeMode: 1
; LDSByteSize: 0 bytes/workgroup (compile time only)
; SGPRBlocks: 0
; VGPRBlocks: 0
; NumSGPRsForWavesPerEU: 4
; NumVGPRsForWavesPerEU: 1
; AccumOffset: 4
; Occupancy: 8
; WaveLimiterHint : 0
; COMPUTE_PGM_RSRC2:SCRATCH_EN: 0
; COMPUTE_PGM_RSRC2:USER_SGPR: 6
; COMPUTE_PGM_RSRC2:TRAP_HANDLER: 0
; COMPUTE_PGM_RSRC2:TGID_X_EN: 1
; COMPUTE_PGM_RSRC2:TGID_Y_EN: 0
; COMPUTE_PGM_RSRC2:TGID_Z_EN: 0
; COMPUTE_PGM_RSRC2:TIDIG_COMP_CNT: 0
; COMPUTE_PGM_RSRC3_GFX90A:ACCUM_OFFSET: 0
; COMPUTE_PGM_RSRC3_GFX90A:TG_SPLIT: 0
	.section	.text._ZN7rocprim17ROCPRIM_400000_NS6detail17trampoline_kernelINS0_13kernel_configILj256ELj4ELj4294967295EEENS1_37radix_sort_block_sort_config_selectorIaNS0_10empty_typeEEEZNS1_21radix_sort_block_sortIS4_Lb1EPaS9_PS6_SA_NS0_19identity_decomposerEEE10hipError_tT1_T2_T3_T4_jRjT5_jjP12ihipStream_tbEUlT_E_NS1_11comp_targetILNS1_3genE8ELNS1_11target_archE1030ELNS1_3gpuE2ELNS1_3repE0EEENS1_44radix_sort_block_sort_config_static_selectorELNS0_4arch9wavefront6targetE1EEEvSD_,"axG",@progbits,_ZN7rocprim17ROCPRIM_400000_NS6detail17trampoline_kernelINS0_13kernel_configILj256ELj4ELj4294967295EEENS1_37radix_sort_block_sort_config_selectorIaNS0_10empty_typeEEEZNS1_21radix_sort_block_sortIS4_Lb1EPaS9_PS6_SA_NS0_19identity_decomposerEEE10hipError_tT1_T2_T3_T4_jRjT5_jjP12ihipStream_tbEUlT_E_NS1_11comp_targetILNS1_3genE8ELNS1_11target_archE1030ELNS1_3gpuE2ELNS1_3repE0EEENS1_44radix_sort_block_sort_config_static_selectorELNS0_4arch9wavefront6targetE1EEEvSD_,comdat
	.protected	_ZN7rocprim17ROCPRIM_400000_NS6detail17trampoline_kernelINS0_13kernel_configILj256ELj4ELj4294967295EEENS1_37radix_sort_block_sort_config_selectorIaNS0_10empty_typeEEEZNS1_21radix_sort_block_sortIS4_Lb1EPaS9_PS6_SA_NS0_19identity_decomposerEEE10hipError_tT1_T2_T3_T4_jRjT5_jjP12ihipStream_tbEUlT_E_NS1_11comp_targetILNS1_3genE8ELNS1_11target_archE1030ELNS1_3gpuE2ELNS1_3repE0EEENS1_44radix_sort_block_sort_config_static_selectorELNS0_4arch9wavefront6targetE1EEEvSD_ ; -- Begin function _ZN7rocprim17ROCPRIM_400000_NS6detail17trampoline_kernelINS0_13kernel_configILj256ELj4ELj4294967295EEENS1_37radix_sort_block_sort_config_selectorIaNS0_10empty_typeEEEZNS1_21radix_sort_block_sortIS4_Lb1EPaS9_PS6_SA_NS0_19identity_decomposerEEE10hipError_tT1_T2_T3_T4_jRjT5_jjP12ihipStream_tbEUlT_E_NS1_11comp_targetILNS1_3genE8ELNS1_11target_archE1030ELNS1_3gpuE2ELNS1_3repE0EEENS1_44radix_sort_block_sort_config_static_selectorELNS0_4arch9wavefront6targetE1EEEvSD_
	.globl	_ZN7rocprim17ROCPRIM_400000_NS6detail17trampoline_kernelINS0_13kernel_configILj256ELj4ELj4294967295EEENS1_37radix_sort_block_sort_config_selectorIaNS0_10empty_typeEEEZNS1_21radix_sort_block_sortIS4_Lb1EPaS9_PS6_SA_NS0_19identity_decomposerEEE10hipError_tT1_T2_T3_T4_jRjT5_jjP12ihipStream_tbEUlT_E_NS1_11comp_targetILNS1_3genE8ELNS1_11target_archE1030ELNS1_3gpuE2ELNS1_3repE0EEENS1_44radix_sort_block_sort_config_static_selectorELNS0_4arch9wavefront6targetE1EEEvSD_
	.p2align	8
	.type	_ZN7rocprim17ROCPRIM_400000_NS6detail17trampoline_kernelINS0_13kernel_configILj256ELj4ELj4294967295EEENS1_37radix_sort_block_sort_config_selectorIaNS0_10empty_typeEEEZNS1_21radix_sort_block_sortIS4_Lb1EPaS9_PS6_SA_NS0_19identity_decomposerEEE10hipError_tT1_T2_T3_T4_jRjT5_jjP12ihipStream_tbEUlT_E_NS1_11comp_targetILNS1_3genE8ELNS1_11target_archE1030ELNS1_3gpuE2ELNS1_3repE0EEENS1_44radix_sort_block_sort_config_static_selectorELNS0_4arch9wavefront6targetE1EEEvSD_,@function
_ZN7rocprim17ROCPRIM_400000_NS6detail17trampoline_kernelINS0_13kernel_configILj256ELj4ELj4294967295EEENS1_37radix_sort_block_sort_config_selectorIaNS0_10empty_typeEEEZNS1_21radix_sort_block_sortIS4_Lb1EPaS9_PS6_SA_NS0_19identity_decomposerEEE10hipError_tT1_T2_T3_T4_jRjT5_jjP12ihipStream_tbEUlT_E_NS1_11comp_targetILNS1_3genE8ELNS1_11target_archE1030ELNS1_3gpuE2ELNS1_3repE0EEENS1_44radix_sort_block_sort_config_static_selectorELNS0_4arch9wavefront6targetE1EEEvSD_: ; @_ZN7rocprim17ROCPRIM_400000_NS6detail17trampoline_kernelINS0_13kernel_configILj256ELj4ELj4294967295EEENS1_37radix_sort_block_sort_config_selectorIaNS0_10empty_typeEEEZNS1_21radix_sort_block_sortIS4_Lb1EPaS9_PS6_SA_NS0_19identity_decomposerEEE10hipError_tT1_T2_T3_T4_jRjT5_jjP12ihipStream_tbEUlT_E_NS1_11comp_targetILNS1_3genE8ELNS1_11target_archE1030ELNS1_3gpuE2ELNS1_3repE0EEENS1_44radix_sort_block_sort_config_static_selectorELNS0_4arch9wavefront6targetE1EEEvSD_
; %bb.0:
	.section	.rodata,"a",@progbits
	.p2align	6, 0x0
	.amdhsa_kernel _ZN7rocprim17ROCPRIM_400000_NS6detail17trampoline_kernelINS0_13kernel_configILj256ELj4ELj4294967295EEENS1_37radix_sort_block_sort_config_selectorIaNS0_10empty_typeEEEZNS1_21radix_sort_block_sortIS4_Lb1EPaS9_PS6_SA_NS0_19identity_decomposerEEE10hipError_tT1_T2_T3_T4_jRjT5_jjP12ihipStream_tbEUlT_E_NS1_11comp_targetILNS1_3genE8ELNS1_11target_archE1030ELNS1_3gpuE2ELNS1_3repE0EEENS1_44radix_sort_block_sort_config_static_selectorELNS0_4arch9wavefront6targetE1EEEvSD_
		.amdhsa_group_segment_fixed_size 0
		.amdhsa_private_segment_fixed_size 0
		.amdhsa_kernarg_size 48
		.amdhsa_user_sgpr_count 6
		.amdhsa_user_sgpr_private_segment_buffer 1
		.amdhsa_user_sgpr_dispatch_ptr 0
		.amdhsa_user_sgpr_queue_ptr 0
		.amdhsa_user_sgpr_kernarg_segment_ptr 1
		.amdhsa_user_sgpr_dispatch_id 0
		.amdhsa_user_sgpr_flat_scratch_init 0
		.amdhsa_user_sgpr_kernarg_preload_length 0
		.amdhsa_user_sgpr_kernarg_preload_offset 0
		.amdhsa_user_sgpr_private_segment_size 0
		.amdhsa_uses_dynamic_stack 0
		.amdhsa_system_sgpr_private_segment_wavefront_offset 0
		.amdhsa_system_sgpr_workgroup_id_x 1
		.amdhsa_system_sgpr_workgroup_id_y 0
		.amdhsa_system_sgpr_workgroup_id_z 0
		.amdhsa_system_sgpr_workgroup_info 0
		.amdhsa_system_vgpr_workitem_id 0
		.amdhsa_next_free_vgpr 1
		.amdhsa_next_free_sgpr 0
		.amdhsa_accum_offset 4
		.amdhsa_reserve_vcc 0
		.amdhsa_reserve_flat_scratch 0
		.amdhsa_float_round_mode_32 0
		.amdhsa_float_round_mode_16_64 0
		.amdhsa_float_denorm_mode_32 3
		.amdhsa_float_denorm_mode_16_64 3
		.amdhsa_dx10_clamp 1
		.amdhsa_ieee_mode 1
		.amdhsa_fp16_overflow 0
		.amdhsa_tg_split 0
		.amdhsa_exception_fp_ieee_invalid_op 0
		.amdhsa_exception_fp_denorm_src 0
		.amdhsa_exception_fp_ieee_div_zero 0
		.amdhsa_exception_fp_ieee_overflow 0
		.amdhsa_exception_fp_ieee_underflow 0
		.amdhsa_exception_fp_ieee_inexact 0
		.amdhsa_exception_int_div_zero 0
	.end_amdhsa_kernel
	.section	.text._ZN7rocprim17ROCPRIM_400000_NS6detail17trampoline_kernelINS0_13kernel_configILj256ELj4ELj4294967295EEENS1_37radix_sort_block_sort_config_selectorIaNS0_10empty_typeEEEZNS1_21radix_sort_block_sortIS4_Lb1EPaS9_PS6_SA_NS0_19identity_decomposerEEE10hipError_tT1_T2_T3_T4_jRjT5_jjP12ihipStream_tbEUlT_E_NS1_11comp_targetILNS1_3genE8ELNS1_11target_archE1030ELNS1_3gpuE2ELNS1_3repE0EEENS1_44radix_sort_block_sort_config_static_selectorELNS0_4arch9wavefront6targetE1EEEvSD_,"axG",@progbits,_ZN7rocprim17ROCPRIM_400000_NS6detail17trampoline_kernelINS0_13kernel_configILj256ELj4ELj4294967295EEENS1_37radix_sort_block_sort_config_selectorIaNS0_10empty_typeEEEZNS1_21radix_sort_block_sortIS4_Lb1EPaS9_PS6_SA_NS0_19identity_decomposerEEE10hipError_tT1_T2_T3_T4_jRjT5_jjP12ihipStream_tbEUlT_E_NS1_11comp_targetILNS1_3genE8ELNS1_11target_archE1030ELNS1_3gpuE2ELNS1_3repE0EEENS1_44radix_sort_block_sort_config_static_selectorELNS0_4arch9wavefront6targetE1EEEvSD_,comdat
.Lfunc_end1573:
	.size	_ZN7rocprim17ROCPRIM_400000_NS6detail17trampoline_kernelINS0_13kernel_configILj256ELj4ELj4294967295EEENS1_37radix_sort_block_sort_config_selectorIaNS0_10empty_typeEEEZNS1_21radix_sort_block_sortIS4_Lb1EPaS9_PS6_SA_NS0_19identity_decomposerEEE10hipError_tT1_T2_T3_T4_jRjT5_jjP12ihipStream_tbEUlT_E_NS1_11comp_targetILNS1_3genE8ELNS1_11target_archE1030ELNS1_3gpuE2ELNS1_3repE0EEENS1_44radix_sort_block_sort_config_static_selectorELNS0_4arch9wavefront6targetE1EEEvSD_, .Lfunc_end1573-_ZN7rocprim17ROCPRIM_400000_NS6detail17trampoline_kernelINS0_13kernel_configILj256ELj4ELj4294967295EEENS1_37radix_sort_block_sort_config_selectorIaNS0_10empty_typeEEEZNS1_21radix_sort_block_sortIS4_Lb1EPaS9_PS6_SA_NS0_19identity_decomposerEEE10hipError_tT1_T2_T3_T4_jRjT5_jjP12ihipStream_tbEUlT_E_NS1_11comp_targetILNS1_3genE8ELNS1_11target_archE1030ELNS1_3gpuE2ELNS1_3repE0EEENS1_44radix_sort_block_sort_config_static_selectorELNS0_4arch9wavefront6targetE1EEEvSD_
                                        ; -- End function
	.section	.AMDGPU.csdata,"",@progbits
; Kernel info:
; codeLenInByte = 0
; NumSgprs: 4
; NumVgprs: 0
; NumAgprs: 0
; TotalNumVgprs: 0
; ScratchSize: 0
; MemoryBound: 0
; FloatMode: 240
; IeeeMode: 1
; LDSByteSize: 0 bytes/workgroup (compile time only)
; SGPRBlocks: 0
; VGPRBlocks: 0
; NumSGPRsForWavesPerEU: 4
; NumVGPRsForWavesPerEU: 1
; AccumOffset: 4
; Occupancy: 8
; WaveLimiterHint : 0
; COMPUTE_PGM_RSRC2:SCRATCH_EN: 0
; COMPUTE_PGM_RSRC2:USER_SGPR: 6
; COMPUTE_PGM_RSRC2:TRAP_HANDLER: 0
; COMPUTE_PGM_RSRC2:TGID_X_EN: 1
; COMPUTE_PGM_RSRC2:TGID_Y_EN: 0
; COMPUTE_PGM_RSRC2:TGID_Z_EN: 0
; COMPUTE_PGM_RSRC2:TIDIG_COMP_CNT: 0
; COMPUTE_PGM_RSRC3_GFX90A:ACCUM_OFFSET: 0
; COMPUTE_PGM_RSRC3_GFX90A:TG_SPLIT: 0
	.section	.text._ZN7rocprim17ROCPRIM_400000_NS6detail17trampoline_kernelINS0_14default_configENS1_38merge_sort_block_merge_config_selectorIaNS0_10empty_typeEEEZZNS1_27merge_sort_block_merge_implIS3_PaPS5_jNS1_19radix_merge_compareILb1ELb0EaNS0_19identity_decomposerEEEEE10hipError_tT0_T1_T2_jT3_P12ihipStream_tbPNSt15iterator_traitsISE_E10value_typeEPNSK_ISF_E10value_typeEPSG_NS1_7vsmem_tEENKUlT_SE_SF_SG_E_clIS8_S8_S9_S9_EESD_ST_SE_SF_SG_EUlST_E_NS1_11comp_targetILNS1_3genE0ELNS1_11target_archE4294967295ELNS1_3gpuE0ELNS1_3repE0EEENS1_48merge_mergepath_partition_config_static_selectorELNS0_4arch9wavefront6targetE1EEEvSF_,"axG",@progbits,_ZN7rocprim17ROCPRIM_400000_NS6detail17trampoline_kernelINS0_14default_configENS1_38merge_sort_block_merge_config_selectorIaNS0_10empty_typeEEEZZNS1_27merge_sort_block_merge_implIS3_PaPS5_jNS1_19radix_merge_compareILb1ELb0EaNS0_19identity_decomposerEEEEE10hipError_tT0_T1_T2_jT3_P12ihipStream_tbPNSt15iterator_traitsISE_E10value_typeEPNSK_ISF_E10value_typeEPSG_NS1_7vsmem_tEENKUlT_SE_SF_SG_E_clIS8_S8_S9_S9_EESD_ST_SE_SF_SG_EUlST_E_NS1_11comp_targetILNS1_3genE0ELNS1_11target_archE4294967295ELNS1_3gpuE0ELNS1_3repE0EEENS1_48merge_mergepath_partition_config_static_selectorELNS0_4arch9wavefront6targetE1EEEvSF_,comdat
	.protected	_ZN7rocprim17ROCPRIM_400000_NS6detail17trampoline_kernelINS0_14default_configENS1_38merge_sort_block_merge_config_selectorIaNS0_10empty_typeEEEZZNS1_27merge_sort_block_merge_implIS3_PaPS5_jNS1_19radix_merge_compareILb1ELb0EaNS0_19identity_decomposerEEEEE10hipError_tT0_T1_T2_jT3_P12ihipStream_tbPNSt15iterator_traitsISE_E10value_typeEPNSK_ISF_E10value_typeEPSG_NS1_7vsmem_tEENKUlT_SE_SF_SG_E_clIS8_S8_S9_S9_EESD_ST_SE_SF_SG_EUlST_E_NS1_11comp_targetILNS1_3genE0ELNS1_11target_archE4294967295ELNS1_3gpuE0ELNS1_3repE0EEENS1_48merge_mergepath_partition_config_static_selectorELNS0_4arch9wavefront6targetE1EEEvSF_ ; -- Begin function _ZN7rocprim17ROCPRIM_400000_NS6detail17trampoline_kernelINS0_14default_configENS1_38merge_sort_block_merge_config_selectorIaNS0_10empty_typeEEEZZNS1_27merge_sort_block_merge_implIS3_PaPS5_jNS1_19radix_merge_compareILb1ELb0EaNS0_19identity_decomposerEEEEE10hipError_tT0_T1_T2_jT3_P12ihipStream_tbPNSt15iterator_traitsISE_E10value_typeEPNSK_ISF_E10value_typeEPSG_NS1_7vsmem_tEENKUlT_SE_SF_SG_E_clIS8_S8_S9_S9_EESD_ST_SE_SF_SG_EUlST_E_NS1_11comp_targetILNS1_3genE0ELNS1_11target_archE4294967295ELNS1_3gpuE0ELNS1_3repE0EEENS1_48merge_mergepath_partition_config_static_selectorELNS0_4arch9wavefront6targetE1EEEvSF_
	.globl	_ZN7rocprim17ROCPRIM_400000_NS6detail17trampoline_kernelINS0_14default_configENS1_38merge_sort_block_merge_config_selectorIaNS0_10empty_typeEEEZZNS1_27merge_sort_block_merge_implIS3_PaPS5_jNS1_19radix_merge_compareILb1ELb0EaNS0_19identity_decomposerEEEEE10hipError_tT0_T1_T2_jT3_P12ihipStream_tbPNSt15iterator_traitsISE_E10value_typeEPNSK_ISF_E10value_typeEPSG_NS1_7vsmem_tEENKUlT_SE_SF_SG_E_clIS8_S8_S9_S9_EESD_ST_SE_SF_SG_EUlST_E_NS1_11comp_targetILNS1_3genE0ELNS1_11target_archE4294967295ELNS1_3gpuE0ELNS1_3repE0EEENS1_48merge_mergepath_partition_config_static_selectorELNS0_4arch9wavefront6targetE1EEEvSF_
	.p2align	8
	.type	_ZN7rocprim17ROCPRIM_400000_NS6detail17trampoline_kernelINS0_14default_configENS1_38merge_sort_block_merge_config_selectorIaNS0_10empty_typeEEEZZNS1_27merge_sort_block_merge_implIS3_PaPS5_jNS1_19radix_merge_compareILb1ELb0EaNS0_19identity_decomposerEEEEE10hipError_tT0_T1_T2_jT3_P12ihipStream_tbPNSt15iterator_traitsISE_E10value_typeEPNSK_ISF_E10value_typeEPSG_NS1_7vsmem_tEENKUlT_SE_SF_SG_E_clIS8_S8_S9_S9_EESD_ST_SE_SF_SG_EUlST_E_NS1_11comp_targetILNS1_3genE0ELNS1_11target_archE4294967295ELNS1_3gpuE0ELNS1_3repE0EEENS1_48merge_mergepath_partition_config_static_selectorELNS0_4arch9wavefront6targetE1EEEvSF_,@function
_ZN7rocprim17ROCPRIM_400000_NS6detail17trampoline_kernelINS0_14default_configENS1_38merge_sort_block_merge_config_selectorIaNS0_10empty_typeEEEZZNS1_27merge_sort_block_merge_implIS3_PaPS5_jNS1_19radix_merge_compareILb1ELb0EaNS0_19identity_decomposerEEEEE10hipError_tT0_T1_T2_jT3_P12ihipStream_tbPNSt15iterator_traitsISE_E10value_typeEPNSK_ISF_E10value_typeEPSG_NS1_7vsmem_tEENKUlT_SE_SF_SG_E_clIS8_S8_S9_S9_EESD_ST_SE_SF_SG_EUlST_E_NS1_11comp_targetILNS1_3genE0ELNS1_11target_archE4294967295ELNS1_3gpuE0ELNS1_3repE0EEENS1_48merge_mergepath_partition_config_static_selectorELNS0_4arch9wavefront6targetE1EEEvSF_: ; @_ZN7rocprim17ROCPRIM_400000_NS6detail17trampoline_kernelINS0_14default_configENS1_38merge_sort_block_merge_config_selectorIaNS0_10empty_typeEEEZZNS1_27merge_sort_block_merge_implIS3_PaPS5_jNS1_19radix_merge_compareILb1ELb0EaNS0_19identity_decomposerEEEEE10hipError_tT0_T1_T2_jT3_P12ihipStream_tbPNSt15iterator_traitsISE_E10value_typeEPNSK_ISF_E10value_typeEPSG_NS1_7vsmem_tEENKUlT_SE_SF_SG_E_clIS8_S8_S9_S9_EESD_ST_SE_SF_SG_EUlST_E_NS1_11comp_targetILNS1_3genE0ELNS1_11target_archE4294967295ELNS1_3gpuE0ELNS1_3repE0EEENS1_48merge_mergepath_partition_config_static_selectorELNS0_4arch9wavefront6targetE1EEEvSF_
; %bb.0:
	.section	.rodata,"a",@progbits
	.p2align	6, 0x0
	.amdhsa_kernel _ZN7rocprim17ROCPRIM_400000_NS6detail17trampoline_kernelINS0_14default_configENS1_38merge_sort_block_merge_config_selectorIaNS0_10empty_typeEEEZZNS1_27merge_sort_block_merge_implIS3_PaPS5_jNS1_19radix_merge_compareILb1ELb0EaNS0_19identity_decomposerEEEEE10hipError_tT0_T1_T2_jT3_P12ihipStream_tbPNSt15iterator_traitsISE_E10value_typeEPNSK_ISF_E10value_typeEPSG_NS1_7vsmem_tEENKUlT_SE_SF_SG_E_clIS8_S8_S9_S9_EESD_ST_SE_SF_SG_EUlST_E_NS1_11comp_targetILNS1_3genE0ELNS1_11target_archE4294967295ELNS1_3gpuE0ELNS1_3repE0EEENS1_48merge_mergepath_partition_config_static_selectorELNS0_4arch9wavefront6targetE1EEEvSF_
		.amdhsa_group_segment_fixed_size 0
		.amdhsa_private_segment_fixed_size 0
		.amdhsa_kernarg_size 40
		.amdhsa_user_sgpr_count 6
		.amdhsa_user_sgpr_private_segment_buffer 1
		.amdhsa_user_sgpr_dispatch_ptr 0
		.amdhsa_user_sgpr_queue_ptr 0
		.amdhsa_user_sgpr_kernarg_segment_ptr 1
		.amdhsa_user_sgpr_dispatch_id 0
		.amdhsa_user_sgpr_flat_scratch_init 0
		.amdhsa_user_sgpr_kernarg_preload_length 0
		.amdhsa_user_sgpr_kernarg_preload_offset 0
		.amdhsa_user_sgpr_private_segment_size 0
		.amdhsa_uses_dynamic_stack 0
		.amdhsa_system_sgpr_private_segment_wavefront_offset 0
		.amdhsa_system_sgpr_workgroup_id_x 1
		.amdhsa_system_sgpr_workgroup_id_y 0
		.amdhsa_system_sgpr_workgroup_id_z 0
		.amdhsa_system_sgpr_workgroup_info 0
		.amdhsa_system_vgpr_workitem_id 0
		.amdhsa_next_free_vgpr 1
		.amdhsa_next_free_sgpr 0
		.amdhsa_accum_offset 4
		.amdhsa_reserve_vcc 0
		.amdhsa_reserve_flat_scratch 0
		.amdhsa_float_round_mode_32 0
		.amdhsa_float_round_mode_16_64 0
		.amdhsa_float_denorm_mode_32 3
		.amdhsa_float_denorm_mode_16_64 3
		.amdhsa_dx10_clamp 1
		.amdhsa_ieee_mode 1
		.amdhsa_fp16_overflow 0
		.amdhsa_tg_split 0
		.amdhsa_exception_fp_ieee_invalid_op 0
		.amdhsa_exception_fp_denorm_src 0
		.amdhsa_exception_fp_ieee_div_zero 0
		.amdhsa_exception_fp_ieee_overflow 0
		.amdhsa_exception_fp_ieee_underflow 0
		.amdhsa_exception_fp_ieee_inexact 0
		.amdhsa_exception_int_div_zero 0
	.end_amdhsa_kernel
	.section	.text._ZN7rocprim17ROCPRIM_400000_NS6detail17trampoline_kernelINS0_14default_configENS1_38merge_sort_block_merge_config_selectorIaNS0_10empty_typeEEEZZNS1_27merge_sort_block_merge_implIS3_PaPS5_jNS1_19radix_merge_compareILb1ELb0EaNS0_19identity_decomposerEEEEE10hipError_tT0_T1_T2_jT3_P12ihipStream_tbPNSt15iterator_traitsISE_E10value_typeEPNSK_ISF_E10value_typeEPSG_NS1_7vsmem_tEENKUlT_SE_SF_SG_E_clIS8_S8_S9_S9_EESD_ST_SE_SF_SG_EUlST_E_NS1_11comp_targetILNS1_3genE0ELNS1_11target_archE4294967295ELNS1_3gpuE0ELNS1_3repE0EEENS1_48merge_mergepath_partition_config_static_selectorELNS0_4arch9wavefront6targetE1EEEvSF_,"axG",@progbits,_ZN7rocprim17ROCPRIM_400000_NS6detail17trampoline_kernelINS0_14default_configENS1_38merge_sort_block_merge_config_selectorIaNS0_10empty_typeEEEZZNS1_27merge_sort_block_merge_implIS3_PaPS5_jNS1_19radix_merge_compareILb1ELb0EaNS0_19identity_decomposerEEEEE10hipError_tT0_T1_T2_jT3_P12ihipStream_tbPNSt15iterator_traitsISE_E10value_typeEPNSK_ISF_E10value_typeEPSG_NS1_7vsmem_tEENKUlT_SE_SF_SG_E_clIS8_S8_S9_S9_EESD_ST_SE_SF_SG_EUlST_E_NS1_11comp_targetILNS1_3genE0ELNS1_11target_archE4294967295ELNS1_3gpuE0ELNS1_3repE0EEENS1_48merge_mergepath_partition_config_static_selectorELNS0_4arch9wavefront6targetE1EEEvSF_,comdat
.Lfunc_end1574:
	.size	_ZN7rocprim17ROCPRIM_400000_NS6detail17trampoline_kernelINS0_14default_configENS1_38merge_sort_block_merge_config_selectorIaNS0_10empty_typeEEEZZNS1_27merge_sort_block_merge_implIS3_PaPS5_jNS1_19radix_merge_compareILb1ELb0EaNS0_19identity_decomposerEEEEE10hipError_tT0_T1_T2_jT3_P12ihipStream_tbPNSt15iterator_traitsISE_E10value_typeEPNSK_ISF_E10value_typeEPSG_NS1_7vsmem_tEENKUlT_SE_SF_SG_E_clIS8_S8_S9_S9_EESD_ST_SE_SF_SG_EUlST_E_NS1_11comp_targetILNS1_3genE0ELNS1_11target_archE4294967295ELNS1_3gpuE0ELNS1_3repE0EEENS1_48merge_mergepath_partition_config_static_selectorELNS0_4arch9wavefront6targetE1EEEvSF_, .Lfunc_end1574-_ZN7rocprim17ROCPRIM_400000_NS6detail17trampoline_kernelINS0_14default_configENS1_38merge_sort_block_merge_config_selectorIaNS0_10empty_typeEEEZZNS1_27merge_sort_block_merge_implIS3_PaPS5_jNS1_19radix_merge_compareILb1ELb0EaNS0_19identity_decomposerEEEEE10hipError_tT0_T1_T2_jT3_P12ihipStream_tbPNSt15iterator_traitsISE_E10value_typeEPNSK_ISF_E10value_typeEPSG_NS1_7vsmem_tEENKUlT_SE_SF_SG_E_clIS8_S8_S9_S9_EESD_ST_SE_SF_SG_EUlST_E_NS1_11comp_targetILNS1_3genE0ELNS1_11target_archE4294967295ELNS1_3gpuE0ELNS1_3repE0EEENS1_48merge_mergepath_partition_config_static_selectorELNS0_4arch9wavefront6targetE1EEEvSF_
                                        ; -- End function
	.section	.AMDGPU.csdata,"",@progbits
; Kernel info:
; codeLenInByte = 0
; NumSgprs: 4
; NumVgprs: 0
; NumAgprs: 0
; TotalNumVgprs: 0
; ScratchSize: 0
; MemoryBound: 0
; FloatMode: 240
; IeeeMode: 1
; LDSByteSize: 0 bytes/workgroup (compile time only)
; SGPRBlocks: 0
; VGPRBlocks: 0
; NumSGPRsForWavesPerEU: 4
; NumVGPRsForWavesPerEU: 1
; AccumOffset: 4
; Occupancy: 8
; WaveLimiterHint : 0
; COMPUTE_PGM_RSRC2:SCRATCH_EN: 0
; COMPUTE_PGM_RSRC2:USER_SGPR: 6
; COMPUTE_PGM_RSRC2:TRAP_HANDLER: 0
; COMPUTE_PGM_RSRC2:TGID_X_EN: 1
; COMPUTE_PGM_RSRC2:TGID_Y_EN: 0
; COMPUTE_PGM_RSRC2:TGID_Z_EN: 0
; COMPUTE_PGM_RSRC2:TIDIG_COMP_CNT: 0
; COMPUTE_PGM_RSRC3_GFX90A:ACCUM_OFFSET: 0
; COMPUTE_PGM_RSRC3_GFX90A:TG_SPLIT: 0
	.section	.text._ZN7rocprim17ROCPRIM_400000_NS6detail17trampoline_kernelINS0_14default_configENS1_38merge_sort_block_merge_config_selectorIaNS0_10empty_typeEEEZZNS1_27merge_sort_block_merge_implIS3_PaPS5_jNS1_19radix_merge_compareILb1ELb0EaNS0_19identity_decomposerEEEEE10hipError_tT0_T1_T2_jT3_P12ihipStream_tbPNSt15iterator_traitsISE_E10value_typeEPNSK_ISF_E10value_typeEPSG_NS1_7vsmem_tEENKUlT_SE_SF_SG_E_clIS8_S8_S9_S9_EESD_ST_SE_SF_SG_EUlST_E_NS1_11comp_targetILNS1_3genE10ELNS1_11target_archE1201ELNS1_3gpuE5ELNS1_3repE0EEENS1_48merge_mergepath_partition_config_static_selectorELNS0_4arch9wavefront6targetE1EEEvSF_,"axG",@progbits,_ZN7rocprim17ROCPRIM_400000_NS6detail17trampoline_kernelINS0_14default_configENS1_38merge_sort_block_merge_config_selectorIaNS0_10empty_typeEEEZZNS1_27merge_sort_block_merge_implIS3_PaPS5_jNS1_19radix_merge_compareILb1ELb0EaNS0_19identity_decomposerEEEEE10hipError_tT0_T1_T2_jT3_P12ihipStream_tbPNSt15iterator_traitsISE_E10value_typeEPNSK_ISF_E10value_typeEPSG_NS1_7vsmem_tEENKUlT_SE_SF_SG_E_clIS8_S8_S9_S9_EESD_ST_SE_SF_SG_EUlST_E_NS1_11comp_targetILNS1_3genE10ELNS1_11target_archE1201ELNS1_3gpuE5ELNS1_3repE0EEENS1_48merge_mergepath_partition_config_static_selectorELNS0_4arch9wavefront6targetE1EEEvSF_,comdat
	.protected	_ZN7rocprim17ROCPRIM_400000_NS6detail17trampoline_kernelINS0_14default_configENS1_38merge_sort_block_merge_config_selectorIaNS0_10empty_typeEEEZZNS1_27merge_sort_block_merge_implIS3_PaPS5_jNS1_19radix_merge_compareILb1ELb0EaNS0_19identity_decomposerEEEEE10hipError_tT0_T1_T2_jT3_P12ihipStream_tbPNSt15iterator_traitsISE_E10value_typeEPNSK_ISF_E10value_typeEPSG_NS1_7vsmem_tEENKUlT_SE_SF_SG_E_clIS8_S8_S9_S9_EESD_ST_SE_SF_SG_EUlST_E_NS1_11comp_targetILNS1_3genE10ELNS1_11target_archE1201ELNS1_3gpuE5ELNS1_3repE0EEENS1_48merge_mergepath_partition_config_static_selectorELNS0_4arch9wavefront6targetE1EEEvSF_ ; -- Begin function _ZN7rocprim17ROCPRIM_400000_NS6detail17trampoline_kernelINS0_14default_configENS1_38merge_sort_block_merge_config_selectorIaNS0_10empty_typeEEEZZNS1_27merge_sort_block_merge_implIS3_PaPS5_jNS1_19radix_merge_compareILb1ELb0EaNS0_19identity_decomposerEEEEE10hipError_tT0_T1_T2_jT3_P12ihipStream_tbPNSt15iterator_traitsISE_E10value_typeEPNSK_ISF_E10value_typeEPSG_NS1_7vsmem_tEENKUlT_SE_SF_SG_E_clIS8_S8_S9_S9_EESD_ST_SE_SF_SG_EUlST_E_NS1_11comp_targetILNS1_3genE10ELNS1_11target_archE1201ELNS1_3gpuE5ELNS1_3repE0EEENS1_48merge_mergepath_partition_config_static_selectorELNS0_4arch9wavefront6targetE1EEEvSF_
	.globl	_ZN7rocprim17ROCPRIM_400000_NS6detail17trampoline_kernelINS0_14default_configENS1_38merge_sort_block_merge_config_selectorIaNS0_10empty_typeEEEZZNS1_27merge_sort_block_merge_implIS3_PaPS5_jNS1_19radix_merge_compareILb1ELb0EaNS0_19identity_decomposerEEEEE10hipError_tT0_T1_T2_jT3_P12ihipStream_tbPNSt15iterator_traitsISE_E10value_typeEPNSK_ISF_E10value_typeEPSG_NS1_7vsmem_tEENKUlT_SE_SF_SG_E_clIS8_S8_S9_S9_EESD_ST_SE_SF_SG_EUlST_E_NS1_11comp_targetILNS1_3genE10ELNS1_11target_archE1201ELNS1_3gpuE5ELNS1_3repE0EEENS1_48merge_mergepath_partition_config_static_selectorELNS0_4arch9wavefront6targetE1EEEvSF_
	.p2align	8
	.type	_ZN7rocprim17ROCPRIM_400000_NS6detail17trampoline_kernelINS0_14default_configENS1_38merge_sort_block_merge_config_selectorIaNS0_10empty_typeEEEZZNS1_27merge_sort_block_merge_implIS3_PaPS5_jNS1_19radix_merge_compareILb1ELb0EaNS0_19identity_decomposerEEEEE10hipError_tT0_T1_T2_jT3_P12ihipStream_tbPNSt15iterator_traitsISE_E10value_typeEPNSK_ISF_E10value_typeEPSG_NS1_7vsmem_tEENKUlT_SE_SF_SG_E_clIS8_S8_S9_S9_EESD_ST_SE_SF_SG_EUlST_E_NS1_11comp_targetILNS1_3genE10ELNS1_11target_archE1201ELNS1_3gpuE5ELNS1_3repE0EEENS1_48merge_mergepath_partition_config_static_selectorELNS0_4arch9wavefront6targetE1EEEvSF_,@function
_ZN7rocprim17ROCPRIM_400000_NS6detail17trampoline_kernelINS0_14default_configENS1_38merge_sort_block_merge_config_selectorIaNS0_10empty_typeEEEZZNS1_27merge_sort_block_merge_implIS3_PaPS5_jNS1_19radix_merge_compareILb1ELb0EaNS0_19identity_decomposerEEEEE10hipError_tT0_T1_T2_jT3_P12ihipStream_tbPNSt15iterator_traitsISE_E10value_typeEPNSK_ISF_E10value_typeEPSG_NS1_7vsmem_tEENKUlT_SE_SF_SG_E_clIS8_S8_S9_S9_EESD_ST_SE_SF_SG_EUlST_E_NS1_11comp_targetILNS1_3genE10ELNS1_11target_archE1201ELNS1_3gpuE5ELNS1_3repE0EEENS1_48merge_mergepath_partition_config_static_selectorELNS0_4arch9wavefront6targetE1EEEvSF_: ; @_ZN7rocprim17ROCPRIM_400000_NS6detail17trampoline_kernelINS0_14default_configENS1_38merge_sort_block_merge_config_selectorIaNS0_10empty_typeEEEZZNS1_27merge_sort_block_merge_implIS3_PaPS5_jNS1_19radix_merge_compareILb1ELb0EaNS0_19identity_decomposerEEEEE10hipError_tT0_T1_T2_jT3_P12ihipStream_tbPNSt15iterator_traitsISE_E10value_typeEPNSK_ISF_E10value_typeEPSG_NS1_7vsmem_tEENKUlT_SE_SF_SG_E_clIS8_S8_S9_S9_EESD_ST_SE_SF_SG_EUlST_E_NS1_11comp_targetILNS1_3genE10ELNS1_11target_archE1201ELNS1_3gpuE5ELNS1_3repE0EEENS1_48merge_mergepath_partition_config_static_selectorELNS0_4arch9wavefront6targetE1EEEvSF_
; %bb.0:
	.section	.rodata,"a",@progbits
	.p2align	6, 0x0
	.amdhsa_kernel _ZN7rocprim17ROCPRIM_400000_NS6detail17trampoline_kernelINS0_14default_configENS1_38merge_sort_block_merge_config_selectorIaNS0_10empty_typeEEEZZNS1_27merge_sort_block_merge_implIS3_PaPS5_jNS1_19radix_merge_compareILb1ELb0EaNS0_19identity_decomposerEEEEE10hipError_tT0_T1_T2_jT3_P12ihipStream_tbPNSt15iterator_traitsISE_E10value_typeEPNSK_ISF_E10value_typeEPSG_NS1_7vsmem_tEENKUlT_SE_SF_SG_E_clIS8_S8_S9_S9_EESD_ST_SE_SF_SG_EUlST_E_NS1_11comp_targetILNS1_3genE10ELNS1_11target_archE1201ELNS1_3gpuE5ELNS1_3repE0EEENS1_48merge_mergepath_partition_config_static_selectorELNS0_4arch9wavefront6targetE1EEEvSF_
		.amdhsa_group_segment_fixed_size 0
		.amdhsa_private_segment_fixed_size 0
		.amdhsa_kernarg_size 40
		.amdhsa_user_sgpr_count 6
		.amdhsa_user_sgpr_private_segment_buffer 1
		.amdhsa_user_sgpr_dispatch_ptr 0
		.amdhsa_user_sgpr_queue_ptr 0
		.amdhsa_user_sgpr_kernarg_segment_ptr 1
		.amdhsa_user_sgpr_dispatch_id 0
		.amdhsa_user_sgpr_flat_scratch_init 0
		.amdhsa_user_sgpr_kernarg_preload_length 0
		.amdhsa_user_sgpr_kernarg_preload_offset 0
		.amdhsa_user_sgpr_private_segment_size 0
		.amdhsa_uses_dynamic_stack 0
		.amdhsa_system_sgpr_private_segment_wavefront_offset 0
		.amdhsa_system_sgpr_workgroup_id_x 1
		.amdhsa_system_sgpr_workgroup_id_y 0
		.amdhsa_system_sgpr_workgroup_id_z 0
		.amdhsa_system_sgpr_workgroup_info 0
		.amdhsa_system_vgpr_workitem_id 0
		.amdhsa_next_free_vgpr 1
		.amdhsa_next_free_sgpr 0
		.amdhsa_accum_offset 4
		.amdhsa_reserve_vcc 0
		.amdhsa_reserve_flat_scratch 0
		.amdhsa_float_round_mode_32 0
		.amdhsa_float_round_mode_16_64 0
		.amdhsa_float_denorm_mode_32 3
		.amdhsa_float_denorm_mode_16_64 3
		.amdhsa_dx10_clamp 1
		.amdhsa_ieee_mode 1
		.amdhsa_fp16_overflow 0
		.amdhsa_tg_split 0
		.amdhsa_exception_fp_ieee_invalid_op 0
		.amdhsa_exception_fp_denorm_src 0
		.amdhsa_exception_fp_ieee_div_zero 0
		.amdhsa_exception_fp_ieee_overflow 0
		.amdhsa_exception_fp_ieee_underflow 0
		.amdhsa_exception_fp_ieee_inexact 0
		.amdhsa_exception_int_div_zero 0
	.end_amdhsa_kernel
	.section	.text._ZN7rocprim17ROCPRIM_400000_NS6detail17trampoline_kernelINS0_14default_configENS1_38merge_sort_block_merge_config_selectorIaNS0_10empty_typeEEEZZNS1_27merge_sort_block_merge_implIS3_PaPS5_jNS1_19radix_merge_compareILb1ELb0EaNS0_19identity_decomposerEEEEE10hipError_tT0_T1_T2_jT3_P12ihipStream_tbPNSt15iterator_traitsISE_E10value_typeEPNSK_ISF_E10value_typeEPSG_NS1_7vsmem_tEENKUlT_SE_SF_SG_E_clIS8_S8_S9_S9_EESD_ST_SE_SF_SG_EUlST_E_NS1_11comp_targetILNS1_3genE10ELNS1_11target_archE1201ELNS1_3gpuE5ELNS1_3repE0EEENS1_48merge_mergepath_partition_config_static_selectorELNS0_4arch9wavefront6targetE1EEEvSF_,"axG",@progbits,_ZN7rocprim17ROCPRIM_400000_NS6detail17trampoline_kernelINS0_14default_configENS1_38merge_sort_block_merge_config_selectorIaNS0_10empty_typeEEEZZNS1_27merge_sort_block_merge_implIS3_PaPS5_jNS1_19radix_merge_compareILb1ELb0EaNS0_19identity_decomposerEEEEE10hipError_tT0_T1_T2_jT3_P12ihipStream_tbPNSt15iterator_traitsISE_E10value_typeEPNSK_ISF_E10value_typeEPSG_NS1_7vsmem_tEENKUlT_SE_SF_SG_E_clIS8_S8_S9_S9_EESD_ST_SE_SF_SG_EUlST_E_NS1_11comp_targetILNS1_3genE10ELNS1_11target_archE1201ELNS1_3gpuE5ELNS1_3repE0EEENS1_48merge_mergepath_partition_config_static_selectorELNS0_4arch9wavefront6targetE1EEEvSF_,comdat
.Lfunc_end1575:
	.size	_ZN7rocprim17ROCPRIM_400000_NS6detail17trampoline_kernelINS0_14default_configENS1_38merge_sort_block_merge_config_selectorIaNS0_10empty_typeEEEZZNS1_27merge_sort_block_merge_implIS3_PaPS5_jNS1_19radix_merge_compareILb1ELb0EaNS0_19identity_decomposerEEEEE10hipError_tT0_T1_T2_jT3_P12ihipStream_tbPNSt15iterator_traitsISE_E10value_typeEPNSK_ISF_E10value_typeEPSG_NS1_7vsmem_tEENKUlT_SE_SF_SG_E_clIS8_S8_S9_S9_EESD_ST_SE_SF_SG_EUlST_E_NS1_11comp_targetILNS1_3genE10ELNS1_11target_archE1201ELNS1_3gpuE5ELNS1_3repE0EEENS1_48merge_mergepath_partition_config_static_selectorELNS0_4arch9wavefront6targetE1EEEvSF_, .Lfunc_end1575-_ZN7rocprim17ROCPRIM_400000_NS6detail17trampoline_kernelINS0_14default_configENS1_38merge_sort_block_merge_config_selectorIaNS0_10empty_typeEEEZZNS1_27merge_sort_block_merge_implIS3_PaPS5_jNS1_19radix_merge_compareILb1ELb0EaNS0_19identity_decomposerEEEEE10hipError_tT0_T1_T2_jT3_P12ihipStream_tbPNSt15iterator_traitsISE_E10value_typeEPNSK_ISF_E10value_typeEPSG_NS1_7vsmem_tEENKUlT_SE_SF_SG_E_clIS8_S8_S9_S9_EESD_ST_SE_SF_SG_EUlST_E_NS1_11comp_targetILNS1_3genE10ELNS1_11target_archE1201ELNS1_3gpuE5ELNS1_3repE0EEENS1_48merge_mergepath_partition_config_static_selectorELNS0_4arch9wavefront6targetE1EEEvSF_
                                        ; -- End function
	.section	.AMDGPU.csdata,"",@progbits
; Kernel info:
; codeLenInByte = 0
; NumSgprs: 4
; NumVgprs: 0
; NumAgprs: 0
; TotalNumVgprs: 0
; ScratchSize: 0
; MemoryBound: 0
; FloatMode: 240
; IeeeMode: 1
; LDSByteSize: 0 bytes/workgroup (compile time only)
; SGPRBlocks: 0
; VGPRBlocks: 0
; NumSGPRsForWavesPerEU: 4
; NumVGPRsForWavesPerEU: 1
; AccumOffset: 4
; Occupancy: 8
; WaveLimiterHint : 0
; COMPUTE_PGM_RSRC2:SCRATCH_EN: 0
; COMPUTE_PGM_RSRC2:USER_SGPR: 6
; COMPUTE_PGM_RSRC2:TRAP_HANDLER: 0
; COMPUTE_PGM_RSRC2:TGID_X_EN: 1
; COMPUTE_PGM_RSRC2:TGID_Y_EN: 0
; COMPUTE_PGM_RSRC2:TGID_Z_EN: 0
; COMPUTE_PGM_RSRC2:TIDIG_COMP_CNT: 0
; COMPUTE_PGM_RSRC3_GFX90A:ACCUM_OFFSET: 0
; COMPUTE_PGM_RSRC3_GFX90A:TG_SPLIT: 0
	.section	.text._ZN7rocprim17ROCPRIM_400000_NS6detail17trampoline_kernelINS0_14default_configENS1_38merge_sort_block_merge_config_selectorIaNS0_10empty_typeEEEZZNS1_27merge_sort_block_merge_implIS3_PaPS5_jNS1_19radix_merge_compareILb1ELb0EaNS0_19identity_decomposerEEEEE10hipError_tT0_T1_T2_jT3_P12ihipStream_tbPNSt15iterator_traitsISE_E10value_typeEPNSK_ISF_E10value_typeEPSG_NS1_7vsmem_tEENKUlT_SE_SF_SG_E_clIS8_S8_S9_S9_EESD_ST_SE_SF_SG_EUlST_E_NS1_11comp_targetILNS1_3genE5ELNS1_11target_archE942ELNS1_3gpuE9ELNS1_3repE0EEENS1_48merge_mergepath_partition_config_static_selectorELNS0_4arch9wavefront6targetE1EEEvSF_,"axG",@progbits,_ZN7rocprim17ROCPRIM_400000_NS6detail17trampoline_kernelINS0_14default_configENS1_38merge_sort_block_merge_config_selectorIaNS0_10empty_typeEEEZZNS1_27merge_sort_block_merge_implIS3_PaPS5_jNS1_19radix_merge_compareILb1ELb0EaNS0_19identity_decomposerEEEEE10hipError_tT0_T1_T2_jT3_P12ihipStream_tbPNSt15iterator_traitsISE_E10value_typeEPNSK_ISF_E10value_typeEPSG_NS1_7vsmem_tEENKUlT_SE_SF_SG_E_clIS8_S8_S9_S9_EESD_ST_SE_SF_SG_EUlST_E_NS1_11comp_targetILNS1_3genE5ELNS1_11target_archE942ELNS1_3gpuE9ELNS1_3repE0EEENS1_48merge_mergepath_partition_config_static_selectorELNS0_4arch9wavefront6targetE1EEEvSF_,comdat
	.protected	_ZN7rocprim17ROCPRIM_400000_NS6detail17trampoline_kernelINS0_14default_configENS1_38merge_sort_block_merge_config_selectorIaNS0_10empty_typeEEEZZNS1_27merge_sort_block_merge_implIS3_PaPS5_jNS1_19radix_merge_compareILb1ELb0EaNS0_19identity_decomposerEEEEE10hipError_tT0_T1_T2_jT3_P12ihipStream_tbPNSt15iterator_traitsISE_E10value_typeEPNSK_ISF_E10value_typeEPSG_NS1_7vsmem_tEENKUlT_SE_SF_SG_E_clIS8_S8_S9_S9_EESD_ST_SE_SF_SG_EUlST_E_NS1_11comp_targetILNS1_3genE5ELNS1_11target_archE942ELNS1_3gpuE9ELNS1_3repE0EEENS1_48merge_mergepath_partition_config_static_selectorELNS0_4arch9wavefront6targetE1EEEvSF_ ; -- Begin function _ZN7rocprim17ROCPRIM_400000_NS6detail17trampoline_kernelINS0_14default_configENS1_38merge_sort_block_merge_config_selectorIaNS0_10empty_typeEEEZZNS1_27merge_sort_block_merge_implIS3_PaPS5_jNS1_19radix_merge_compareILb1ELb0EaNS0_19identity_decomposerEEEEE10hipError_tT0_T1_T2_jT3_P12ihipStream_tbPNSt15iterator_traitsISE_E10value_typeEPNSK_ISF_E10value_typeEPSG_NS1_7vsmem_tEENKUlT_SE_SF_SG_E_clIS8_S8_S9_S9_EESD_ST_SE_SF_SG_EUlST_E_NS1_11comp_targetILNS1_3genE5ELNS1_11target_archE942ELNS1_3gpuE9ELNS1_3repE0EEENS1_48merge_mergepath_partition_config_static_selectorELNS0_4arch9wavefront6targetE1EEEvSF_
	.globl	_ZN7rocprim17ROCPRIM_400000_NS6detail17trampoline_kernelINS0_14default_configENS1_38merge_sort_block_merge_config_selectorIaNS0_10empty_typeEEEZZNS1_27merge_sort_block_merge_implIS3_PaPS5_jNS1_19radix_merge_compareILb1ELb0EaNS0_19identity_decomposerEEEEE10hipError_tT0_T1_T2_jT3_P12ihipStream_tbPNSt15iterator_traitsISE_E10value_typeEPNSK_ISF_E10value_typeEPSG_NS1_7vsmem_tEENKUlT_SE_SF_SG_E_clIS8_S8_S9_S9_EESD_ST_SE_SF_SG_EUlST_E_NS1_11comp_targetILNS1_3genE5ELNS1_11target_archE942ELNS1_3gpuE9ELNS1_3repE0EEENS1_48merge_mergepath_partition_config_static_selectorELNS0_4arch9wavefront6targetE1EEEvSF_
	.p2align	8
	.type	_ZN7rocprim17ROCPRIM_400000_NS6detail17trampoline_kernelINS0_14default_configENS1_38merge_sort_block_merge_config_selectorIaNS0_10empty_typeEEEZZNS1_27merge_sort_block_merge_implIS3_PaPS5_jNS1_19radix_merge_compareILb1ELb0EaNS0_19identity_decomposerEEEEE10hipError_tT0_T1_T2_jT3_P12ihipStream_tbPNSt15iterator_traitsISE_E10value_typeEPNSK_ISF_E10value_typeEPSG_NS1_7vsmem_tEENKUlT_SE_SF_SG_E_clIS8_S8_S9_S9_EESD_ST_SE_SF_SG_EUlST_E_NS1_11comp_targetILNS1_3genE5ELNS1_11target_archE942ELNS1_3gpuE9ELNS1_3repE0EEENS1_48merge_mergepath_partition_config_static_selectorELNS0_4arch9wavefront6targetE1EEEvSF_,@function
_ZN7rocprim17ROCPRIM_400000_NS6detail17trampoline_kernelINS0_14default_configENS1_38merge_sort_block_merge_config_selectorIaNS0_10empty_typeEEEZZNS1_27merge_sort_block_merge_implIS3_PaPS5_jNS1_19radix_merge_compareILb1ELb0EaNS0_19identity_decomposerEEEEE10hipError_tT0_T1_T2_jT3_P12ihipStream_tbPNSt15iterator_traitsISE_E10value_typeEPNSK_ISF_E10value_typeEPSG_NS1_7vsmem_tEENKUlT_SE_SF_SG_E_clIS8_S8_S9_S9_EESD_ST_SE_SF_SG_EUlST_E_NS1_11comp_targetILNS1_3genE5ELNS1_11target_archE942ELNS1_3gpuE9ELNS1_3repE0EEENS1_48merge_mergepath_partition_config_static_selectorELNS0_4arch9wavefront6targetE1EEEvSF_: ; @_ZN7rocprim17ROCPRIM_400000_NS6detail17trampoline_kernelINS0_14default_configENS1_38merge_sort_block_merge_config_selectorIaNS0_10empty_typeEEEZZNS1_27merge_sort_block_merge_implIS3_PaPS5_jNS1_19radix_merge_compareILb1ELb0EaNS0_19identity_decomposerEEEEE10hipError_tT0_T1_T2_jT3_P12ihipStream_tbPNSt15iterator_traitsISE_E10value_typeEPNSK_ISF_E10value_typeEPSG_NS1_7vsmem_tEENKUlT_SE_SF_SG_E_clIS8_S8_S9_S9_EESD_ST_SE_SF_SG_EUlST_E_NS1_11comp_targetILNS1_3genE5ELNS1_11target_archE942ELNS1_3gpuE9ELNS1_3repE0EEENS1_48merge_mergepath_partition_config_static_selectorELNS0_4arch9wavefront6targetE1EEEvSF_
; %bb.0:
	.section	.rodata,"a",@progbits
	.p2align	6, 0x0
	.amdhsa_kernel _ZN7rocprim17ROCPRIM_400000_NS6detail17trampoline_kernelINS0_14default_configENS1_38merge_sort_block_merge_config_selectorIaNS0_10empty_typeEEEZZNS1_27merge_sort_block_merge_implIS3_PaPS5_jNS1_19radix_merge_compareILb1ELb0EaNS0_19identity_decomposerEEEEE10hipError_tT0_T1_T2_jT3_P12ihipStream_tbPNSt15iterator_traitsISE_E10value_typeEPNSK_ISF_E10value_typeEPSG_NS1_7vsmem_tEENKUlT_SE_SF_SG_E_clIS8_S8_S9_S9_EESD_ST_SE_SF_SG_EUlST_E_NS1_11comp_targetILNS1_3genE5ELNS1_11target_archE942ELNS1_3gpuE9ELNS1_3repE0EEENS1_48merge_mergepath_partition_config_static_selectorELNS0_4arch9wavefront6targetE1EEEvSF_
		.amdhsa_group_segment_fixed_size 0
		.amdhsa_private_segment_fixed_size 0
		.amdhsa_kernarg_size 40
		.amdhsa_user_sgpr_count 6
		.amdhsa_user_sgpr_private_segment_buffer 1
		.amdhsa_user_sgpr_dispatch_ptr 0
		.amdhsa_user_sgpr_queue_ptr 0
		.amdhsa_user_sgpr_kernarg_segment_ptr 1
		.amdhsa_user_sgpr_dispatch_id 0
		.amdhsa_user_sgpr_flat_scratch_init 0
		.amdhsa_user_sgpr_kernarg_preload_length 0
		.amdhsa_user_sgpr_kernarg_preload_offset 0
		.amdhsa_user_sgpr_private_segment_size 0
		.amdhsa_uses_dynamic_stack 0
		.amdhsa_system_sgpr_private_segment_wavefront_offset 0
		.amdhsa_system_sgpr_workgroup_id_x 1
		.amdhsa_system_sgpr_workgroup_id_y 0
		.amdhsa_system_sgpr_workgroup_id_z 0
		.amdhsa_system_sgpr_workgroup_info 0
		.amdhsa_system_vgpr_workitem_id 0
		.amdhsa_next_free_vgpr 1
		.amdhsa_next_free_sgpr 0
		.amdhsa_accum_offset 4
		.amdhsa_reserve_vcc 0
		.amdhsa_reserve_flat_scratch 0
		.amdhsa_float_round_mode_32 0
		.amdhsa_float_round_mode_16_64 0
		.amdhsa_float_denorm_mode_32 3
		.amdhsa_float_denorm_mode_16_64 3
		.amdhsa_dx10_clamp 1
		.amdhsa_ieee_mode 1
		.amdhsa_fp16_overflow 0
		.amdhsa_tg_split 0
		.amdhsa_exception_fp_ieee_invalid_op 0
		.amdhsa_exception_fp_denorm_src 0
		.amdhsa_exception_fp_ieee_div_zero 0
		.amdhsa_exception_fp_ieee_overflow 0
		.amdhsa_exception_fp_ieee_underflow 0
		.amdhsa_exception_fp_ieee_inexact 0
		.amdhsa_exception_int_div_zero 0
	.end_amdhsa_kernel
	.section	.text._ZN7rocprim17ROCPRIM_400000_NS6detail17trampoline_kernelINS0_14default_configENS1_38merge_sort_block_merge_config_selectorIaNS0_10empty_typeEEEZZNS1_27merge_sort_block_merge_implIS3_PaPS5_jNS1_19radix_merge_compareILb1ELb0EaNS0_19identity_decomposerEEEEE10hipError_tT0_T1_T2_jT3_P12ihipStream_tbPNSt15iterator_traitsISE_E10value_typeEPNSK_ISF_E10value_typeEPSG_NS1_7vsmem_tEENKUlT_SE_SF_SG_E_clIS8_S8_S9_S9_EESD_ST_SE_SF_SG_EUlST_E_NS1_11comp_targetILNS1_3genE5ELNS1_11target_archE942ELNS1_3gpuE9ELNS1_3repE0EEENS1_48merge_mergepath_partition_config_static_selectorELNS0_4arch9wavefront6targetE1EEEvSF_,"axG",@progbits,_ZN7rocprim17ROCPRIM_400000_NS6detail17trampoline_kernelINS0_14default_configENS1_38merge_sort_block_merge_config_selectorIaNS0_10empty_typeEEEZZNS1_27merge_sort_block_merge_implIS3_PaPS5_jNS1_19radix_merge_compareILb1ELb0EaNS0_19identity_decomposerEEEEE10hipError_tT0_T1_T2_jT3_P12ihipStream_tbPNSt15iterator_traitsISE_E10value_typeEPNSK_ISF_E10value_typeEPSG_NS1_7vsmem_tEENKUlT_SE_SF_SG_E_clIS8_S8_S9_S9_EESD_ST_SE_SF_SG_EUlST_E_NS1_11comp_targetILNS1_3genE5ELNS1_11target_archE942ELNS1_3gpuE9ELNS1_3repE0EEENS1_48merge_mergepath_partition_config_static_selectorELNS0_4arch9wavefront6targetE1EEEvSF_,comdat
.Lfunc_end1576:
	.size	_ZN7rocprim17ROCPRIM_400000_NS6detail17trampoline_kernelINS0_14default_configENS1_38merge_sort_block_merge_config_selectorIaNS0_10empty_typeEEEZZNS1_27merge_sort_block_merge_implIS3_PaPS5_jNS1_19radix_merge_compareILb1ELb0EaNS0_19identity_decomposerEEEEE10hipError_tT0_T1_T2_jT3_P12ihipStream_tbPNSt15iterator_traitsISE_E10value_typeEPNSK_ISF_E10value_typeEPSG_NS1_7vsmem_tEENKUlT_SE_SF_SG_E_clIS8_S8_S9_S9_EESD_ST_SE_SF_SG_EUlST_E_NS1_11comp_targetILNS1_3genE5ELNS1_11target_archE942ELNS1_3gpuE9ELNS1_3repE0EEENS1_48merge_mergepath_partition_config_static_selectorELNS0_4arch9wavefront6targetE1EEEvSF_, .Lfunc_end1576-_ZN7rocprim17ROCPRIM_400000_NS6detail17trampoline_kernelINS0_14default_configENS1_38merge_sort_block_merge_config_selectorIaNS0_10empty_typeEEEZZNS1_27merge_sort_block_merge_implIS3_PaPS5_jNS1_19radix_merge_compareILb1ELb0EaNS0_19identity_decomposerEEEEE10hipError_tT0_T1_T2_jT3_P12ihipStream_tbPNSt15iterator_traitsISE_E10value_typeEPNSK_ISF_E10value_typeEPSG_NS1_7vsmem_tEENKUlT_SE_SF_SG_E_clIS8_S8_S9_S9_EESD_ST_SE_SF_SG_EUlST_E_NS1_11comp_targetILNS1_3genE5ELNS1_11target_archE942ELNS1_3gpuE9ELNS1_3repE0EEENS1_48merge_mergepath_partition_config_static_selectorELNS0_4arch9wavefront6targetE1EEEvSF_
                                        ; -- End function
	.section	.AMDGPU.csdata,"",@progbits
; Kernel info:
; codeLenInByte = 0
; NumSgprs: 4
; NumVgprs: 0
; NumAgprs: 0
; TotalNumVgprs: 0
; ScratchSize: 0
; MemoryBound: 0
; FloatMode: 240
; IeeeMode: 1
; LDSByteSize: 0 bytes/workgroup (compile time only)
; SGPRBlocks: 0
; VGPRBlocks: 0
; NumSGPRsForWavesPerEU: 4
; NumVGPRsForWavesPerEU: 1
; AccumOffset: 4
; Occupancy: 8
; WaveLimiterHint : 0
; COMPUTE_PGM_RSRC2:SCRATCH_EN: 0
; COMPUTE_PGM_RSRC2:USER_SGPR: 6
; COMPUTE_PGM_RSRC2:TRAP_HANDLER: 0
; COMPUTE_PGM_RSRC2:TGID_X_EN: 1
; COMPUTE_PGM_RSRC2:TGID_Y_EN: 0
; COMPUTE_PGM_RSRC2:TGID_Z_EN: 0
; COMPUTE_PGM_RSRC2:TIDIG_COMP_CNT: 0
; COMPUTE_PGM_RSRC3_GFX90A:ACCUM_OFFSET: 0
; COMPUTE_PGM_RSRC3_GFX90A:TG_SPLIT: 0
	.section	.text._ZN7rocprim17ROCPRIM_400000_NS6detail17trampoline_kernelINS0_14default_configENS1_38merge_sort_block_merge_config_selectorIaNS0_10empty_typeEEEZZNS1_27merge_sort_block_merge_implIS3_PaPS5_jNS1_19radix_merge_compareILb1ELb0EaNS0_19identity_decomposerEEEEE10hipError_tT0_T1_T2_jT3_P12ihipStream_tbPNSt15iterator_traitsISE_E10value_typeEPNSK_ISF_E10value_typeEPSG_NS1_7vsmem_tEENKUlT_SE_SF_SG_E_clIS8_S8_S9_S9_EESD_ST_SE_SF_SG_EUlST_E_NS1_11comp_targetILNS1_3genE4ELNS1_11target_archE910ELNS1_3gpuE8ELNS1_3repE0EEENS1_48merge_mergepath_partition_config_static_selectorELNS0_4arch9wavefront6targetE1EEEvSF_,"axG",@progbits,_ZN7rocprim17ROCPRIM_400000_NS6detail17trampoline_kernelINS0_14default_configENS1_38merge_sort_block_merge_config_selectorIaNS0_10empty_typeEEEZZNS1_27merge_sort_block_merge_implIS3_PaPS5_jNS1_19radix_merge_compareILb1ELb0EaNS0_19identity_decomposerEEEEE10hipError_tT0_T1_T2_jT3_P12ihipStream_tbPNSt15iterator_traitsISE_E10value_typeEPNSK_ISF_E10value_typeEPSG_NS1_7vsmem_tEENKUlT_SE_SF_SG_E_clIS8_S8_S9_S9_EESD_ST_SE_SF_SG_EUlST_E_NS1_11comp_targetILNS1_3genE4ELNS1_11target_archE910ELNS1_3gpuE8ELNS1_3repE0EEENS1_48merge_mergepath_partition_config_static_selectorELNS0_4arch9wavefront6targetE1EEEvSF_,comdat
	.protected	_ZN7rocprim17ROCPRIM_400000_NS6detail17trampoline_kernelINS0_14default_configENS1_38merge_sort_block_merge_config_selectorIaNS0_10empty_typeEEEZZNS1_27merge_sort_block_merge_implIS3_PaPS5_jNS1_19radix_merge_compareILb1ELb0EaNS0_19identity_decomposerEEEEE10hipError_tT0_T1_T2_jT3_P12ihipStream_tbPNSt15iterator_traitsISE_E10value_typeEPNSK_ISF_E10value_typeEPSG_NS1_7vsmem_tEENKUlT_SE_SF_SG_E_clIS8_S8_S9_S9_EESD_ST_SE_SF_SG_EUlST_E_NS1_11comp_targetILNS1_3genE4ELNS1_11target_archE910ELNS1_3gpuE8ELNS1_3repE0EEENS1_48merge_mergepath_partition_config_static_selectorELNS0_4arch9wavefront6targetE1EEEvSF_ ; -- Begin function _ZN7rocprim17ROCPRIM_400000_NS6detail17trampoline_kernelINS0_14default_configENS1_38merge_sort_block_merge_config_selectorIaNS0_10empty_typeEEEZZNS1_27merge_sort_block_merge_implIS3_PaPS5_jNS1_19radix_merge_compareILb1ELb0EaNS0_19identity_decomposerEEEEE10hipError_tT0_T1_T2_jT3_P12ihipStream_tbPNSt15iterator_traitsISE_E10value_typeEPNSK_ISF_E10value_typeEPSG_NS1_7vsmem_tEENKUlT_SE_SF_SG_E_clIS8_S8_S9_S9_EESD_ST_SE_SF_SG_EUlST_E_NS1_11comp_targetILNS1_3genE4ELNS1_11target_archE910ELNS1_3gpuE8ELNS1_3repE0EEENS1_48merge_mergepath_partition_config_static_selectorELNS0_4arch9wavefront6targetE1EEEvSF_
	.globl	_ZN7rocprim17ROCPRIM_400000_NS6detail17trampoline_kernelINS0_14default_configENS1_38merge_sort_block_merge_config_selectorIaNS0_10empty_typeEEEZZNS1_27merge_sort_block_merge_implIS3_PaPS5_jNS1_19radix_merge_compareILb1ELb0EaNS0_19identity_decomposerEEEEE10hipError_tT0_T1_T2_jT3_P12ihipStream_tbPNSt15iterator_traitsISE_E10value_typeEPNSK_ISF_E10value_typeEPSG_NS1_7vsmem_tEENKUlT_SE_SF_SG_E_clIS8_S8_S9_S9_EESD_ST_SE_SF_SG_EUlST_E_NS1_11comp_targetILNS1_3genE4ELNS1_11target_archE910ELNS1_3gpuE8ELNS1_3repE0EEENS1_48merge_mergepath_partition_config_static_selectorELNS0_4arch9wavefront6targetE1EEEvSF_
	.p2align	8
	.type	_ZN7rocprim17ROCPRIM_400000_NS6detail17trampoline_kernelINS0_14default_configENS1_38merge_sort_block_merge_config_selectorIaNS0_10empty_typeEEEZZNS1_27merge_sort_block_merge_implIS3_PaPS5_jNS1_19radix_merge_compareILb1ELb0EaNS0_19identity_decomposerEEEEE10hipError_tT0_T1_T2_jT3_P12ihipStream_tbPNSt15iterator_traitsISE_E10value_typeEPNSK_ISF_E10value_typeEPSG_NS1_7vsmem_tEENKUlT_SE_SF_SG_E_clIS8_S8_S9_S9_EESD_ST_SE_SF_SG_EUlST_E_NS1_11comp_targetILNS1_3genE4ELNS1_11target_archE910ELNS1_3gpuE8ELNS1_3repE0EEENS1_48merge_mergepath_partition_config_static_selectorELNS0_4arch9wavefront6targetE1EEEvSF_,@function
_ZN7rocprim17ROCPRIM_400000_NS6detail17trampoline_kernelINS0_14default_configENS1_38merge_sort_block_merge_config_selectorIaNS0_10empty_typeEEEZZNS1_27merge_sort_block_merge_implIS3_PaPS5_jNS1_19radix_merge_compareILb1ELb0EaNS0_19identity_decomposerEEEEE10hipError_tT0_T1_T2_jT3_P12ihipStream_tbPNSt15iterator_traitsISE_E10value_typeEPNSK_ISF_E10value_typeEPSG_NS1_7vsmem_tEENKUlT_SE_SF_SG_E_clIS8_S8_S9_S9_EESD_ST_SE_SF_SG_EUlST_E_NS1_11comp_targetILNS1_3genE4ELNS1_11target_archE910ELNS1_3gpuE8ELNS1_3repE0EEENS1_48merge_mergepath_partition_config_static_selectorELNS0_4arch9wavefront6targetE1EEEvSF_: ; @_ZN7rocprim17ROCPRIM_400000_NS6detail17trampoline_kernelINS0_14default_configENS1_38merge_sort_block_merge_config_selectorIaNS0_10empty_typeEEEZZNS1_27merge_sort_block_merge_implIS3_PaPS5_jNS1_19radix_merge_compareILb1ELb0EaNS0_19identity_decomposerEEEEE10hipError_tT0_T1_T2_jT3_P12ihipStream_tbPNSt15iterator_traitsISE_E10value_typeEPNSK_ISF_E10value_typeEPSG_NS1_7vsmem_tEENKUlT_SE_SF_SG_E_clIS8_S8_S9_S9_EESD_ST_SE_SF_SG_EUlST_E_NS1_11comp_targetILNS1_3genE4ELNS1_11target_archE910ELNS1_3gpuE8ELNS1_3repE0EEENS1_48merge_mergepath_partition_config_static_selectorELNS0_4arch9wavefront6targetE1EEEvSF_
; %bb.0:
	s_load_dword s0, s[4:5], 0x0
	v_lshl_or_b32 v0, s6, 7, v0
	s_waitcnt lgkmcnt(0)
	v_cmp_gt_u32_e32 vcc, s0, v0
	s_and_saveexec_b64 s[0:1], vcc
	s_cbranch_execz .LBB1577_6
; %bb.1:
	s_load_dwordx2 s[2:3], s[4:5], 0x4
	s_load_dwordx2 s[0:1], s[4:5], 0x20
	s_waitcnt lgkmcnt(0)
	s_lshr_b32 s6, s2, 9
	s_and_b32 s6, s6, 0x7ffffe
	s_add_i32 s7, s6, -1
	s_sub_i32 s6, 0, s6
	v_and_b32_e32 v1, s6, v0
	v_lshlrev_b32_e32 v3, 10, v1
	v_min_u32_e32 v1, s3, v3
	v_add_u32_e32 v3, s2, v3
	v_min_u32_e32 v7, s3, v3
	v_add_u32_e32 v3, s2, v7
	v_and_b32_e32 v2, s7, v0
	v_min_u32_e32 v4, s3, v3
	v_sub_u32_e32 v3, v4, v1
	v_lshlrev_b32_e32 v2, 10, v2
	v_min_u32_e32 v3, v3, v2
	v_sub_u32_e32 v5, v7, v1
	v_sub_u32_e32 v2, v4, v7
	v_sub_u32_e64 v2, v3, v2 clamp
	v_min_u32_e32 v4, v3, v5
	v_cmp_lt_u32_e32 vcc, v2, v4
	s_and_saveexec_b64 s[2:3], vcc
	s_cbranch_execz .LBB1577_5
; %bb.2:
	s_load_dwordx2 s[4:5], s[4:5], 0x10
	s_waitcnt lgkmcnt(0)
	v_mov_b32_e32 v8, s5
	v_add_co_u32_e32 v5, vcc, s4, v1
	v_addc_co_u32_e32 v6, vcc, 0, v8, vcc
	v_add_co_u32_e32 v7, vcc, s4, v7
	v_addc_co_u32_e32 v8, vcc, 0, v8, vcc
	s_mov_b64 s[4:5], 0
.LBB1577_3:                             ; =>This Inner Loop Header: Depth=1
	v_add_u32_e32 v9, v4, v2
	v_lshrrev_b32_e32 v9, 1, v9
	v_add_co_u32_e32 v10, vcc, v5, v9
	v_xad_u32 v12, v9, -1, v3
	v_addc_co_u32_e32 v11, vcc, 0, v6, vcc
	v_add_co_u32_e32 v12, vcc, v7, v12
	v_addc_co_u32_e32 v13, vcc, 0, v8, vcc
	global_load_sbyte v14, v[10:11], off
	global_load_sbyte v15, v[12:13], off
	v_add_u32_e32 v10, 1, v9
	s_waitcnt vmcnt(0)
	v_cmp_gt_i16_e32 vcc, v15, v14
	v_cndmask_b32_e32 v4, v4, v9, vcc
	v_cndmask_b32_e32 v2, v10, v2, vcc
	v_cmp_ge_u32_e32 vcc, v2, v4
	s_or_b64 s[4:5], vcc, s[4:5]
	s_andn2_b64 exec, exec, s[4:5]
	s_cbranch_execnz .LBB1577_3
; %bb.4:
	s_or_b64 exec, exec, s[4:5]
.LBB1577_5:
	s_or_b64 exec, exec, s[2:3]
	v_add_u32_e32 v2, v2, v1
	v_mov_b32_e32 v1, 0
	v_lshlrev_b64 v[0:1], 2, v[0:1]
	v_mov_b32_e32 v3, s1
	v_add_co_u32_e32 v0, vcc, s0, v0
	v_addc_co_u32_e32 v1, vcc, v3, v1, vcc
	global_store_dword v[0:1], v2, off
.LBB1577_6:
	s_endpgm
	.section	.rodata,"a",@progbits
	.p2align	6, 0x0
	.amdhsa_kernel _ZN7rocprim17ROCPRIM_400000_NS6detail17trampoline_kernelINS0_14default_configENS1_38merge_sort_block_merge_config_selectorIaNS0_10empty_typeEEEZZNS1_27merge_sort_block_merge_implIS3_PaPS5_jNS1_19radix_merge_compareILb1ELb0EaNS0_19identity_decomposerEEEEE10hipError_tT0_T1_T2_jT3_P12ihipStream_tbPNSt15iterator_traitsISE_E10value_typeEPNSK_ISF_E10value_typeEPSG_NS1_7vsmem_tEENKUlT_SE_SF_SG_E_clIS8_S8_S9_S9_EESD_ST_SE_SF_SG_EUlST_E_NS1_11comp_targetILNS1_3genE4ELNS1_11target_archE910ELNS1_3gpuE8ELNS1_3repE0EEENS1_48merge_mergepath_partition_config_static_selectorELNS0_4arch9wavefront6targetE1EEEvSF_
		.amdhsa_group_segment_fixed_size 0
		.amdhsa_private_segment_fixed_size 0
		.amdhsa_kernarg_size 40
		.amdhsa_user_sgpr_count 6
		.amdhsa_user_sgpr_private_segment_buffer 1
		.amdhsa_user_sgpr_dispatch_ptr 0
		.amdhsa_user_sgpr_queue_ptr 0
		.amdhsa_user_sgpr_kernarg_segment_ptr 1
		.amdhsa_user_sgpr_dispatch_id 0
		.amdhsa_user_sgpr_flat_scratch_init 0
		.amdhsa_user_sgpr_kernarg_preload_length 0
		.amdhsa_user_sgpr_kernarg_preload_offset 0
		.amdhsa_user_sgpr_private_segment_size 0
		.amdhsa_uses_dynamic_stack 0
		.amdhsa_system_sgpr_private_segment_wavefront_offset 0
		.amdhsa_system_sgpr_workgroup_id_x 1
		.amdhsa_system_sgpr_workgroup_id_y 0
		.amdhsa_system_sgpr_workgroup_id_z 0
		.amdhsa_system_sgpr_workgroup_info 0
		.amdhsa_system_vgpr_workitem_id 0
		.amdhsa_next_free_vgpr 16
		.amdhsa_next_free_sgpr 8
		.amdhsa_accum_offset 16
		.amdhsa_reserve_vcc 1
		.amdhsa_reserve_flat_scratch 0
		.amdhsa_float_round_mode_32 0
		.amdhsa_float_round_mode_16_64 0
		.amdhsa_float_denorm_mode_32 3
		.amdhsa_float_denorm_mode_16_64 3
		.amdhsa_dx10_clamp 1
		.amdhsa_ieee_mode 1
		.amdhsa_fp16_overflow 0
		.amdhsa_tg_split 0
		.amdhsa_exception_fp_ieee_invalid_op 0
		.amdhsa_exception_fp_denorm_src 0
		.amdhsa_exception_fp_ieee_div_zero 0
		.amdhsa_exception_fp_ieee_overflow 0
		.amdhsa_exception_fp_ieee_underflow 0
		.amdhsa_exception_fp_ieee_inexact 0
		.amdhsa_exception_int_div_zero 0
	.end_amdhsa_kernel
	.section	.text._ZN7rocprim17ROCPRIM_400000_NS6detail17trampoline_kernelINS0_14default_configENS1_38merge_sort_block_merge_config_selectorIaNS0_10empty_typeEEEZZNS1_27merge_sort_block_merge_implIS3_PaPS5_jNS1_19radix_merge_compareILb1ELb0EaNS0_19identity_decomposerEEEEE10hipError_tT0_T1_T2_jT3_P12ihipStream_tbPNSt15iterator_traitsISE_E10value_typeEPNSK_ISF_E10value_typeEPSG_NS1_7vsmem_tEENKUlT_SE_SF_SG_E_clIS8_S8_S9_S9_EESD_ST_SE_SF_SG_EUlST_E_NS1_11comp_targetILNS1_3genE4ELNS1_11target_archE910ELNS1_3gpuE8ELNS1_3repE0EEENS1_48merge_mergepath_partition_config_static_selectorELNS0_4arch9wavefront6targetE1EEEvSF_,"axG",@progbits,_ZN7rocprim17ROCPRIM_400000_NS6detail17trampoline_kernelINS0_14default_configENS1_38merge_sort_block_merge_config_selectorIaNS0_10empty_typeEEEZZNS1_27merge_sort_block_merge_implIS3_PaPS5_jNS1_19radix_merge_compareILb1ELb0EaNS0_19identity_decomposerEEEEE10hipError_tT0_T1_T2_jT3_P12ihipStream_tbPNSt15iterator_traitsISE_E10value_typeEPNSK_ISF_E10value_typeEPSG_NS1_7vsmem_tEENKUlT_SE_SF_SG_E_clIS8_S8_S9_S9_EESD_ST_SE_SF_SG_EUlST_E_NS1_11comp_targetILNS1_3genE4ELNS1_11target_archE910ELNS1_3gpuE8ELNS1_3repE0EEENS1_48merge_mergepath_partition_config_static_selectorELNS0_4arch9wavefront6targetE1EEEvSF_,comdat
.Lfunc_end1577:
	.size	_ZN7rocprim17ROCPRIM_400000_NS6detail17trampoline_kernelINS0_14default_configENS1_38merge_sort_block_merge_config_selectorIaNS0_10empty_typeEEEZZNS1_27merge_sort_block_merge_implIS3_PaPS5_jNS1_19radix_merge_compareILb1ELb0EaNS0_19identity_decomposerEEEEE10hipError_tT0_T1_T2_jT3_P12ihipStream_tbPNSt15iterator_traitsISE_E10value_typeEPNSK_ISF_E10value_typeEPSG_NS1_7vsmem_tEENKUlT_SE_SF_SG_E_clIS8_S8_S9_S9_EESD_ST_SE_SF_SG_EUlST_E_NS1_11comp_targetILNS1_3genE4ELNS1_11target_archE910ELNS1_3gpuE8ELNS1_3repE0EEENS1_48merge_mergepath_partition_config_static_selectorELNS0_4arch9wavefront6targetE1EEEvSF_, .Lfunc_end1577-_ZN7rocprim17ROCPRIM_400000_NS6detail17trampoline_kernelINS0_14default_configENS1_38merge_sort_block_merge_config_selectorIaNS0_10empty_typeEEEZZNS1_27merge_sort_block_merge_implIS3_PaPS5_jNS1_19radix_merge_compareILb1ELb0EaNS0_19identity_decomposerEEEEE10hipError_tT0_T1_T2_jT3_P12ihipStream_tbPNSt15iterator_traitsISE_E10value_typeEPNSK_ISF_E10value_typeEPSG_NS1_7vsmem_tEENKUlT_SE_SF_SG_E_clIS8_S8_S9_S9_EESD_ST_SE_SF_SG_EUlST_E_NS1_11comp_targetILNS1_3genE4ELNS1_11target_archE910ELNS1_3gpuE8ELNS1_3repE0EEENS1_48merge_mergepath_partition_config_static_selectorELNS0_4arch9wavefront6targetE1EEEvSF_
                                        ; -- End function
	.section	.AMDGPU.csdata,"",@progbits
; Kernel info:
; codeLenInByte = 316
; NumSgprs: 12
; NumVgprs: 16
; NumAgprs: 0
; TotalNumVgprs: 16
; ScratchSize: 0
; MemoryBound: 0
; FloatMode: 240
; IeeeMode: 1
; LDSByteSize: 0 bytes/workgroup (compile time only)
; SGPRBlocks: 1
; VGPRBlocks: 1
; NumSGPRsForWavesPerEU: 12
; NumVGPRsForWavesPerEU: 16
; AccumOffset: 16
; Occupancy: 8
; WaveLimiterHint : 0
; COMPUTE_PGM_RSRC2:SCRATCH_EN: 0
; COMPUTE_PGM_RSRC2:USER_SGPR: 6
; COMPUTE_PGM_RSRC2:TRAP_HANDLER: 0
; COMPUTE_PGM_RSRC2:TGID_X_EN: 1
; COMPUTE_PGM_RSRC2:TGID_Y_EN: 0
; COMPUTE_PGM_RSRC2:TGID_Z_EN: 0
; COMPUTE_PGM_RSRC2:TIDIG_COMP_CNT: 0
; COMPUTE_PGM_RSRC3_GFX90A:ACCUM_OFFSET: 3
; COMPUTE_PGM_RSRC3_GFX90A:TG_SPLIT: 0
	.section	.text._ZN7rocprim17ROCPRIM_400000_NS6detail17trampoline_kernelINS0_14default_configENS1_38merge_sort_block_merge_config_selectorIaNS0_10empty_typeEEEZZNS1_27merge_sort_block_merge_implIS3_PaPS5_jNS1_19radix_merge_compareILb1ELb0EaNS0_19identity_decomposerEEEEE10hipError_tT0_T1_T2_jT3_P12ihipStream_tbPNSt15iterator_traitsISE_E10value_typeEPNSK_ISF_E10value_typeEPSG_NS1_7vsmem_tEENKUlT_SE_SF_SG_E_clIS8_S8_S9_S9_EESD_ST_SE_SF_SG_EUlST_E_NS1_11comp_targetILNS1_3genE3ELNS1_11target_archE908ELNS1_3gpuE7ELNS1_3repE0EEENS1_48merge_mergepath_partition_config_static_selectorELNS0_4arch9wavefront6targetE1EEEvSF_,"axG",@progbits,_ZN7rocprim17ROCPRIM_400000_NS6detail17trampoline_kernelINS0_14default_configENS1_38merge_sort_block_merge_config_selectorIaNS0_10empty_typeEEEZZNS1_27merge_sort_block_merge_implIS3_PaPS5_jNS1_19radix_merge_compareILb1ELb0EaNS0_19identity_decomposerEEEEE10hipError_tT0_T1_T2_jT3_P12ihipStream_tbPNSt15iterator_traitsISE_E10value_typeEPNSK_ISF_E10value_typeEPSG_NS1_7vsmem_tEENKUlT_SE_SF_SG_E_clIS8_S8_S9_S9_EESD_ST_SE_SF_SG_EUlST_E_NS1_11comp_targetILNS1_3genE3ELNS1_11target_archE908ELNS1_3gpuE7ELNS1_3repE0EEENS1_48merge_mergepath_partition_config_static_selectorELNS0_4arch9wavefront6targetE1EEEvSF_,comdat
	.protected	_ZN7rocprim17ROCPRIM_400000_NS6detail17trampoline_kernelINS0_14default_configENS1_38merge_sort_block_merge_config_selectorIaNS0_10empty_typeEEEZZNS1_27merge_sort_block_merge_implIS3_PaPS5_jNS1_19radix_merge_compareILb1ELb0EaNS0_19identity_decomposerEEEEE10hipError_tT0_T1_T2_jT3_P12ihipStream_tbPNSt15iterator_traitsISE_E10value_typeEPNSK_ISF_E10value_typeEPSG_NS1_7vsmem_tEENKUlT_SE_SF_SG_E_clIS8_S8_S9_S9_EESD_ST_SE_SF_SG_EUlST_E_NS1_11comp_targetILNS1_3genE3ELNS1_11target_archE908ELNS1_3gpuE7ELNS1_3repE0EEENS1_48merge_mergepath_partition_config_static_selectorELNS0_4arch9wavefront6targetE1EEEvSF_ ; -- Begin function _ZN7rocprim17ROCPRIM_400000_NS6detail17trampoline_kernelINS0_14default_configENS1_38merge_sort_block_merge_config_selectorIaNS0_10empty_typeEEEZZNS1_27merge_sort_block_merge_implIS3_PaPS5_jNS1_19radix_merge_compareILb1ELb0EaNS0_19identity_decomposerEEEEE10hipError_tT0_T1_T2_jT3_P12ihipStream_tbPNSt15iterator_traitsISE_E10value_typeEPNSK_ISF_E10value_typeEPSG_NS1_7vsmem_tEENKUlT_SE_SF_SG_E_clIS8_S8_S9_S9_EESD_ST_SE_SF_SG_EUlST_E_NS1_11comp_targetILNS1_3genE3ELNS1_11target_archE908ELNS1_3gpuE7ELNS1_3repE0EEENS1_48merge_mergepath_partition_config_static_selectorELNS0_4arch9wavefront6targetE1EEEvSF_
	.globl	_ZN7rocprim17ROCPRIM_400000_NS6detail17trampoline_kernelINS0_14default_configENS1_38merge_sort_block_merge_config_selectorIaNS0_10empty_typeEEEZZNS1_27merge_sort_block_merge_implIS3_PaPS5_jNS1_19radix_merge_compareILb1ELb0EaNS0_19identity_decomposerEEEEE10hipError_tT0_T1_T2_jT3_P12ihipStream_tbPNSt15iterator_traitsISE_E10value_typeEPNSK_ISF_E10value_typeEPSG_NS1_7vsmem_tEENKUlT_SE_SF_SG_E_clIS8_S8_S9_S9_EESD_ST_SE_SF_SG_EUlST_E_NS1_11comp_targetILNS1_3genE3ELNS1_11target_archE908ELNS1_3gpuE7ELNS1_3repE0EEENS1_48merge_mergepath_partition_config_static_selectorELNS0_4arch9wavefront6targetE1EEEvSF_
	.p2align	8
	.type	_ZN7rocprim17ROCPRIM_400000_NS6detail17trampoline_kernelINS0_14default_configENS1_38merge_sort_block_merge_config_selectorIaNS0_10empty_typeEEEZZNS1_27merge_sort_block_merge_implIS3_PaPS5_jNS1_19radix_merge_compareILb1ELb0EaNS0_19identity_decomposerEEEEE10hipError_tT0_T1_T2_jT3_P12ihipStream_tbPNSt15iterator_traitsISE_E10value_typeEPNSK_ISF_E10value_typeEPSG_NS1_7vsmem_tEENKUlT_SE_SF_SG_E_clIS8_S8_S9_S9_EESD_ST_SE_SF_SG_EUlST_E_NS1_11comp_targetILNS1_3genE3ELNS1_11target_archE908ELNS1_3gpuE7ELNS1_3repE0EEENS1_48merge_mergepath_partition_config_static_selectorELNS0_4arch9wavefront6targetE1EEEvSF_,@function
_ZN7rocprim17ROCPRIM_400000_NS6detail17trampoline_kernelINS0_14default_configENS1_38merge_sort_block_merge_config_selectorIaNS0_10empty_typeEEEZZNS1_27merge_sort_block_merge_implIS3_PaPS5_jNS1_19radix_merge_compareILb1ELb0EaNS0_19identity_decomposerEEEEE10hipError_tT0_T1_T2_jT3_P12ihipStream_tbPNSt15iterator_traitsISE_E10value_typeEPNSK_ISF_E10value_typeEPSG_NS1_7vsmem_tEENKUlT_SE_SF_SG_E_clIS8_S8_S9_S9_EESD_ST_SE_SF_SG_EUlST_E_NS1_11comp_targetILNS1_3genE3ELNS1_11target_archE908ELNS1_3gpuE7ELNS1_3repE0EEENS1_48merge_mergepath_partition_config_static_selectorELNS0_4arch9wavefront6targetE1EEEvSF_: ; @_ZN7rocprim17ROCPRIM_400000_NS6detail17trampoline_kernelINS0_14default_configENS1_38merge_sort_block_merge_config_selectorIaNS0_10empty_typeEEEZZNS1_27merge_sort_block_merge_implIS3_PaPS5_jNS1_19radix_merge_compareILb1ELb0EaNS0_19identity_decomposerEEEEE10hipError_tT0_T1_T2_jT3_P12ihipStream_tbPNSt15iterator_traitsISE_E10value_typeEPNSK_ISF_E10value_typeEPSG_NS1_7vsmem_tEENKUlT_SE_SF_SG_E_clIS8_S8_S9_S9_EESD_ST_SE_SF_SG_EUlST_E_NS1_11comp_targetILNS1_3genE3ELNS1_11target_archE908ELNS1_3gpuE7ELNS1_3repE0EEENS1_48merge_mergepath_partition_config_static_selectorELNS0_4arch9wavefront6targetE1EEEvSF_
; %bb.0:
	.section	.rodata,"a",@progbits
	.p2align	6, 0x0
	.amdhsa_kernel _ZN7rocprim17ROCPRIM_400000_NS6detail17trampoline_kernelINS0_14default_configENS1_38merge_sort_block_merge_config_selectorIaNS0_10empty_typeEEEZZNS1_27merge_sort_block_merge_implIS3_PaPS5_jNS1_19radix_merge_compareILb1ELb0EaNS0_19identity_decomposerEEEEE10hipError_tT0_T1_T2_jT3_P12ihipStream_tbPNSt15iterator_traitsISE_E10value_typeEPNSK_ISF_E10value_typeEPSG_NS1_7vsmem_tEENKUlT_SE_SF_SG_E_clIS8_S8_S9_S9_EESD_ST_SE_SF_SG_EUlST_E_NS1_11comp_targetILNS1_3genE3ELNS1_11target_archE908ELNS1_3gpuE7ELNS1_3repE0EEENS1_48merge_mergepath_partition_config_static_selectorELNS0_4arch9wavefront6targetE1EEEvSF_
		.amdhsa_group_segment_fixed_size 0
		.amdhsa_private_segment_fixed_size 0
		.amdhsa_kernarg_size 40
		.amdhsa_user_sgpr_count 6
		.amdhsa_user_sgpr_private_segment_buffer 1
		.amdhsa_user_sgpr_dispatch_ptr 0
		.amdhsa_user_sgpr_queue_ptr 0
		.amdhsa_user_sgpr_kernarg_segment_ptr 1
		.amdhsa_user_sgpr_dispatch_id 0
		.amdhsa_user_sgpr_flat_scratch_init 0
		.amdhsa_user_sgpr_kernarg_preload_length 0
		.amdhsa_user_sgpr_kernarg_preload_offset 0
		.amdhsa_user_sgpr_private_segment_size 0
		.amdhsa_uses_dynamic_stack 0
		.amdhsa_system_sgpr_private_segment_wavefront_offset 0
		.amdhsa_system_sgpr_workgroup_id_x 1
		.amdhsa_system_sgpr_workgroup_id_y 0
		.amdhsa_system_sgpr_workgroup_id_z 0
		.amdhsa_system_sgpr_workgroup_info 0
		.amdhsa_system_vgpr_workitem_id 0
		.amdhsa_next_free_vgpr 1
		.amdhsa_next_free_sgpr 0
		.amdhsa_accum_offset 4
		.amdhsa_reserve_vcc 0
		.amdhsa_reserve_flat_scratch 0
		.amdhsa_float_round_mode_32 0
		.amdhsa_float_round_mode_16_64 0
		.amdhsa_float_denorm_mode_32 3
		.amdhsa_float_denorm_mode_16_64 3
		.amdhsa_dx10_clamp 1
		.amdhsa_ieee_mode 1
		.amdhsa_fp16_overflow 0
		.amdhsa_tg_split 0
		.amdhsa_exception_fp_ieee_invalid_op 0
		.amdhsa_exception_fp_denorm_src 0
		.amdhsa_exception_fp_ieee_div_zero 0
		.amdhsa_exception_fp_ieee_overflow 0
		.amdhsa_exception_fp_ieee_underflow 0
		.amdhsa_exception_fp_ieee_inexact 0
		.amdhsa_exception_int_div_zero 0
	.end_amdhsa_kernel
	.section	.text._ZN7rocprim17ROCPRIM_400000_NS6detail17trampoline_kernelINS0_14default_configENS1_38merge_sort_block_merge_config_selectorIaNS0_10empty_typeEEEZZNS1_27merge_sort_block_merge_implIS3_PaPS5_jNS1_19radix_merge_compareILb1ELb0EaNS0_19identity_decomposerEEEEE10hipError_tT0_T1_T2_jT3_P12ihipStream_tbPNSt15iterator_traitsISE_E10value_typeEPNSK_ISF_E10value_typeEPSG_NS1_7vsmem_tEENKUlT_SE_SF_SG_E_clIS8_S8_S9_S9_EESD_ST_SE_SF_SG_EUlST_E_NS1_11comp_targetILNS1_3genE3ELNS1_11target_archE908ELNS1_3gpuE7ELNS1_3repE0EEENS1_48merge_mergepath_partition_config_static_selectorELNS0_4arch9wavefront6targetE1EEEvSF_,"axG",@progbits,_ZN7rocprim17ROCPRIM_400000_NS6detail17trampoline_kernelINS0_14default_configENS1_38merge_sort_block_merge_config_selectorIaNS0_10empty_typeEEEZZNS1_27merge_sort_block_merge_implIS3_PaPS5_jNS1_19radix_merge_compareILb1ELb0EaNS0_19identity_decomposerEEEEE10hipError_tT0_T1_T2_jT3_P12ihipStream_tbPNSt15iterator_traitsISE_E10value_typeEPNSK_ISF_E10value_typeEPSG_NS1_7vsmem_tEENKUlT_SE_SF_SG_E_clIS8_S8_S9_S9_EESD_ST_SE_SF_SG_EUlST_E_NS1_11comp_targetILNS1_3genE3ELNS1_11target_archE908ELNS1_3gpuE7ELNS1_3repE0EEENS1_48merge_mergepath_partition_config_static_selectorELNS0_4arch9wavefront6targetE1EEEvSF_,comdat
.Lfunc_end1578:
	.size	_ZN7rocprim17ROCPRIM_400000_NS6detail17trampoline_kernelINS0_14default_configENS1_38merge_sort_block_merge_config_selectorIaNS0_10empty_typeEEEZZNS1_27merge_sort_block_merge_implIS3_PaPS5_jNS1_19radix_merge_compareILb1ELb0EaNS0_19identity_decomposerEEEEE10hipError_tT0_T1_T2_jT3_P12ihipStream_tbPNSt15iterator_traitsISE_E10value_typeEPNSK_ISF_E10value_typeEPSG_NS1_7vsmem_tEENKUlT_SE_SF_SG_E_clIS8_S8_S9_S9_EESD_ST_SE_SF_SG_EUlST_E_NS1_11comp_targetILNS1_3genE3ELNS1_11target_archE908ELNS1_3gpuE7ELNS1_3repE0EEENS1_48merge_mergepath_partition_config_static_selectorELNS0_4arch9wavefront6targetE1EEEvSF_, .Lfunc_end1578-_ZN7rocprim17ROCPRIM_400000_NS6detail17trampoline_kernelINS0_14default_configENS1_38merge_sort_block_merge_config_selectorIaNS0_10empty_typeEEEZZNS1_27merge_sort_block_merge_implIS3_PaPS5_jNS1_19radix_merge_compareILb1ELb0EaNS0_19identity_decomposerEEEEE10hipError_tT0_T1_T2_jT3_P12ihipStream_tbPNSt15iterator_traitsISE_E10value_typeEPNSK_ISF_E10value_typeEPSG_NS1_7vsmem_tEENKUlT_SE_SF_SG_E_clIS8_S8_S9_S9_EESD_ST_SE_SF_SG_EUlST_E_NS1_11comp_targetILNS1_3genE3ELNS1_11target_archE908ELNS1_3gpuE7ELNS1_3repE0EEENS1_48merge_mergepath_partition_config_static_selectorELNS0_4arch9wavefront6targetE1EEEvSF_
                                        ; -- End function
	.section	.AMDGPU.csdata,"",@progbits
; Kernel info:
; codeLenInByte = 0
; NumSgprs: 4
; NumVgprs: 0
; NumAgprs: 0
; TotalNumVgprs: 0
; ScratchSize: 0
; MemoryBound: 0
; FloatMode: 240
; IeeeMode: 1
; LDSByteSize: 0 bytes/workgroup (compile time only)
; SGPRBlocks: 0
; VGPRBlocks: 0
; NumSGPRsForWavesPerEU: 4
; NumVGPRsForWavesPerEU: 1
; AccumOffset: 4
; Occupancy: 8
; WaveLimiterHint : 0
; COMPUTE_PGM_RSRC2:SCRATCH_EN: 0
; COMPUTE_PGM_RSRC2:USER_SGPR: 6
; COMPUTE_PGM_RSRC2:TRAP_HANDLER: 0
; COMPUTE_PGM_RSRC2:TGID_X_EN: 1
; COMPUTE_PGM_RSRC2:TGID_Y_EN: 0
; COMPUTE_PGM_RSRC2:TGID_Z_EN: 0
; COMPUTE_PGM_RSRC2:TIDIG_COMP_CNT: 0
; COMPUTE_PGM_RSRC3_GFX90A:ACCUM_OFFSET: 0
; COMPUTE_PGM_RSRC3_GFX90A:TG_SPLIT: 0
	.section	.text._ZN7rocprim17ROCPRIM_400000_NS6detail17trampoline_kernelINS0_14default_configENS1_38merge_sort_block_merge_config_selectorIaNS0_10empty_typeEEEZZNS1_27merge_sort_block_merge_implIS3_PaPS5_jNS1_19radix_merge_compareILb1ELb0EaNS0_19identity_decomposerEEEEE10hipError_tT0_T1_T2_jT3_P12ihipStream_tbPNSt15iterator_traitsISE_E10value_typeEPNSK_ISF_E10value_typeEPSG_NS1_7vsmem_tEENKUlT_SE_SF_SG_E_clIS8_S8_S9_S9_EESD_ST_SE_SF_SG_EUlST_E_NS1_11comp_targetILNS1_3genE2ELNS1_11target_archE906ELNS1_3gpuE6ELNS1_3repE0EEENS1_48merge_mergepath_partition_config_static_selectorELNS0_4arch9wavefront6targetE1EEEvSF_,"axG",@progbits,_ZN7rocprim17ROCPRIM_400000_NS6detail17trampoline_kernelINS0_14default_configENS1_38merge_sort_block_merge_config_selectorIaNS0_10empty_typeEEEZZNS1_27merge_sort_block_merge_implIS3_PaPS5_jNS1_19radix_merge_compareILb1ELb0EaNS0_19identity_decomposerEEEEE10hipError_tT0_T1_T2_jT3_P12ihipStream_tbPNSt15iterator_traitsISE_E10value_typeEPNSK_ISF_E10value_typeEPSG_NS1_7vsmem_tEENKUlT_SE_SF_SG_E_clIS8_S8_S9_S9_EESD_ST_SE_SF_SG_EUlST_E_NS1_11comp_targetILNS1_3genE2ELNS1_11target_archE906ELNS1_3gpuE6ELNS1_3repE0EEENS1_48merge_mergepath_partition_config_static_selectorELNS0_4arch9wavefront6targetE1EEEvSF_,comdat
	.protected	_ZN7rocprim17ROCPRIM_400000_NS6detail17trampoline_kernelINS0_14default_configENS1_38merge_sort_block_merge_config_selectorIaNS0_10empty_typeEEEZZNS1_27merge_sort_block_merge_implIS3_PaPS5_jNS1_19radix_merge_compareILb1ELb0EaNS0_19identity_decomposerEEEEE10hipError_tT0_T1_T2_jT3_P12ihipStream_tbPNSt15iterator_traitsISE_E10value_typeEPNSK_ISF_E10value_typeEPSG_NS1_7vsmem_tEENKUlT_SE_SF_SG_E_clIS8_S8_S9_S9_EESD_ST_SE_SF_SG_EUlST_E_NS1_11comp_targetILNS1_3genE2ELNS1_11target_archE906ELNS1_3gpuE6ELNS1_3repE0EEENS1_48merge_mergepath_partition_config_static_selectorELNS0_4arch9wavefront6targetE1EEEvSF_ ; -- Begin function _ZN7rocprim17ROCPRIM_400000_NS6detail17trampoline_kernelINS0_14default_configENS1_38merge_sort_block_merge_config_selectorIaNS0_10empty_typeEEEZZNS1_27merge_sort_block_merge_implIS3_PaPS5_jNS1_19radix_merge_compareILb1ELb0EaNS0_19identity_decomposerEEEEE10hipError_tT0_T1_T2_jT3_P12ihipStream_tbPNSt15iterator_traitsISE_E10value_typeEPNSK_ISF_E10value_typeEPSG_NS1_7vsmem_tEENKUlT_SE_SF_SG_E_clIS8_S8_S9_S9_EESD_ST_SE_SF_SG_EUlST_E_NS1_11comp_targetILNS1_3genE2ELNS1_11target_archE906ELNS1_3gpuE6ELNS1_3repE0EEENS1_48merge_mergepath_partition_config_static_selectorELNS0_4arch9wavefront6targetE1EEEvSF_
	.globl	_ZN7rocprim17ROCPRIM_400000_NS6detail17trampoline_kernelINS0_14default_configENS1_38merge_sort_block_merge_config_selectorIaNS0_10empty_typeEEEZZNS1_27merge_sort_block_merge_implIS3_PaPS5_jNS1_19radix_merge_compareILb1ELb0EaNS0_19identity_decomposerEEEEE10hipError_tT0_T1_T2_jT3_P12ihipStream_tbPNSt15iterator_traitsISE_E10value_typeEPNSK_ISF_E10value_typeEPSG_NS1_7vsmem_tEENKUlT_SE_SF_SG_E_clIS8_S8_S9_S9_EESD_ST_SE_SF_SG_EUlST_E_NS1_11comp_targetILNS1_3genE2ELNS1_11target_archE906ELNS1_3gpuE6ELNS1_3repE0EEENS1_48merge_mergepath_partition_config_static_selectorELNS0_4arch9wavefront6targetE1EEEvSF_
	.p2align	8
	.type	_ZN7rocprim17ROCPRIM_400000_NS6detail17trampoline_kernelINS0_14default_configENS1_38merge_sort_block_merge_config_selectorIaNS0_10empty_typeEEEZZNS1_27merge_sort_block_merge_implIS3_PaPS5_jNS1_19radix_merge_compareILb1ELb0EaNS0_19identity_decomposerEEEEE10hipError_tT0_T1_T2_jT3_P12ihipStream_tbPNSt15iterator_traitsISE_E10value_typeEPNSK_ISF_E10value_typeEPSG_NS1_7vsmem_tEENKUlT_SE_SF_SG_E_clIS8_S8_S9_S9_EESD_ST_SE_SF_SG_EUlST_E_NS1_11comp_targetILNS1_3genE2ELNS1_11target_archE906ELNS1_3gpuE6ELNS1_3repE0EEENS1_48merge_mergepath_partition_config_static_selectorELNS0_4arch9wavefront6targetE1EEEvSF_,@function
_ZN7rocprim17ROCPRIM_400000_NS6detail17trampoline_kernelINS0_14default_configENS1_38merge_sort_block_merge_config_selectorIaNS0_10empty_typeEEEZZNS1_27merge_sort_block_merge_implIS3_PaPS5_jNS1_19radix_merge_compareILb1ELb0EaNS0_19identity_decomposerEEEEE10hipError_tT0_T1_T2_jT3_P12ihipStream_tbPNSt15iterator_traitsISE_E10value_typeEPNSK_ISF_E10value_typeEPSG_NS1_7vsmem_tEENKUlT_SE_SF_SG_E_clIS8_S8_S9_S9_EESD_ST_SE_SF_SG_EUlST_E_NS1_11comp_targetILNS1_3genE2ELNS1_11target_archE906ELNS1_3gpuE6ELNS1_3repE0EEENS1_48merge_mergepath_partition_config_static_selectorELNS0_4arch9wavefront6targetE1EEEvSF_: ; @_ZN7rocprim17ROCPRIM_400000_NS6detail17trampoline_kernelINS0_14default_configENS1_38merge_sort_block_merge_config_selectorIaNS0_10empty_typeEEEZZNS1_27merge_sort_block_merge_implIS3_PaPS5_jNS1_19radix_merge_compareILb1ELb0EaNS0_19identity_decomposerEEEEE10hipError_tT0_T1_T2_jT3_P12ihipStream_tbPNSt15iterator_traitsISE_E10value_typeEPNSK_ISF_E10value_typeEPSG_NS1_7vsmem_tEENKUlT_SE_SF_SG_E_clIS8_S8_S9_S9_EESD_ST_SE_SF_SG_EUlST_E_NS1_11comp_targetILNS1_3genE2ELNS1_11target_archE906ELNS1_3gpuE6ELNS1_3repE0EEENS1_48merge_mergepath_partition_config_static_selectorELNS0_4arch9wavefront6targetE1EEEvSF_
; %bb.0:
	.section	.rodata,"a",@progbits
	.p2align	6, 0x0
	.amdhsa_kernel _ZN7rocprim17ROCPRIM_400000_NS6detail17trampoline_kernelINS0_14default_configENS1_38merge_sort_block_merge_config_selectorIaNS0_10empty_typeEEEZZNS1_27merge_sort_block_merge_implIS3_PaPS5_jNS1_19radix_merge_compareILb1ELb0EaNS0_19identity_decomposerEEEEE10hipError_tT0_T1_T2_jT3_P12ihipStream_tbPNSt15iterator_traitsISE_E10value_typeEPNSK_ISF_E10value_typeEPSG_NS1_7vsmem_tEENKUlT_SE_SF_SG_E_clIS8_S8_S9_S9_EESD_ST_SE_SF_SG_EUlST_E_NS1_11comp_targetILNS1_3genE2ELNS1_11target_archE906ELNS1_3gpuE6ELNS1_3repE0EEENS1_48merge_mergepath_partition_config_static_selectorELNS0_4arch9wavefront6targetE1EEEvSF_
		.amdhsa_group_segment_fixed_size 0
		.amdhsa_private_segment_fixed_size 0
		.amdhsa_kernarg_size 40
		.amdhsa_user_sgpr_count 6
		.amdhsa_user_sgpr_private_segment_buffer 1
		.amdhsa_user_sgpr_dispatch_ptr 0
		.amdhsa_user_sgpr_queue_ptr 0
		.amdhsa_user_sgpr_kernarg_segment_ptr 1
		.amdhsa_user_sgpr_dispatch_id 0
		.amdhsa_user_sgpr_flat_scratch_init 0
		.amdhsa_user_sgpr_kernarg_preload_length 0
		.amdhsa_user_sgpr_kernarg_preload_offset 0
		.amdhsa_user_sgpr_private_segment_size 0
		.amdhsa_uses_dynamic_stack 0
		.amdhsa_system_sgpr_private_segment_wavefront_offset 0
		.amdhsa_system_sgpr_workgroup_id_x 1
		.amdhsa_system_sgpr_workgroup_id_y 0
		.amdhsa_system_sgpr_workgroup_id_z 0
		.amdhsa_system_sgpr_workgroup_info 0
		.amdhsa_system_vgpr_workitem_id 0
		.amdhsa_next_free_vgpr 1
		.amdhsa_next_free_sgpr 0
		.amdhsa_accum_offset 4
		.amdhsa_reserve_vcc 0
		.amdhsa_reserve_flat_scratch 0
		.amdhsa_float_round_mode_32 0
		.amdhsa_float_round_mode_16_64 0
		.amdhsa_float_denorm_mode_32 3
		.amdhsa_float_denorm_mode_16_64 3
		.amdhsa_dx10_clamp 1
		.amdhsa_ieee_mode 1
		.amdhsa_fp16_overflow 0
		.amdhsa_tg_split 0
		.amdhsa_exception_fp_ieee_invalid_op 0
		.amdhsa_exception_fp_denorm_src 0
		.amdhsa_exception_fp_ieee_div_zero 0
		.amdhsa_exception_fp_ieee_overflow 0
		.amdhsa_exception_fp_ieee_underflow 0
		.amdhsa_exception_fp_ieee_inexact 0
		.amdhsa_exception_int_div_zero 0
	.end_amdhsa_kernel
	.section	.text._ZN7rocprim17ROCPRIM_400000_NS6detail17trampoline_kernelINS0_14default_configENS1_38merge_sort_block_merge_config_selectorIaNS0_10empty_typeEEEZZNS1_27merge_sort_block_merge_implIS3_PaPS5_jNS1_19radix_merge_compareILb1ELb0EaNS0_19identity_decomposerEEEEE10hipError_tT0_T1_T2_jT3_P12ihipStream_tbPNSt15iterator_traitsISE_E10value_typeEPNSK_ISF_E10value_typeEPSG_NS1_7vsmem_tEENKUlT_SE_SF_SG_E_clIS8_S8_S9_S9_EESD_ST_SE_SF_SG_EUlST_E_NS1_11comp_targetILNS1_3genE2ELNS1_11target_archE906ELNS1_3gpuE6ELNS1_3repE0EEENS1_48merge_mergepath_partition_config_static_selectorELNS0_4arch9wavefront6targetE1EEEvSF_,"axG",@progbits,_ZN7rocprim17ROCPRIM_400000_NS6detail17trampoline_kernelINS0_14default_configENS1_38merge_sort_block_merge_config_selectorIaNS0_10empty_typeEEEZZNS1_27merge_sort_block_merge_implIS3_PaPS5_jNS1_19radix_merge_compareILb1ELb0EaNS0_19identity_decomposerEEEEE10hipError_tT0_T1_T2_jT3_P12ihipStream_tbPNSt15iterator_traitsISE_E10value_typeEPNSK_ISF_E10value_typeEPSG_NS1_7vsmem_tEENKUlT_SE_SF_SG_E_clIS8_S8_S9_S9_EESD_ST_SE_SF_SG_EUlST_E_NS1_11comp_targetILNS1_3genE2ELNS1_11target_archE906ELNS1_3gpuE6ELNS1_3repE0EEENS1_48merge_mergepath_partition_config_static_selectorELNS0_4arch9wavefront6targetE1EEEvSF_,comdat
.Lfunc_end1579:
	.size	_ZN7rocprim17ROCPRIM_400000_NS6detail17trampoline_kernelINS0_14default_configENS1_38merge_sort_block_merge_config_selectorIaNS0_10empty_typeEEEZZNS1_27merge_sort_block_merge_implIS3_PaPS5_jNS1_19radix_merge_compareILb1ELb0EaNS0_19identity_decomposerEEEEE10hipError_tT0_T1_T2_jT3_P12ihipStream_tbPNSt15iterator_traitsISE_E10value_typeEPNSK_ISF_E10value_typeEPSG_NS1_7vsmem_tEENKUlT_SE_SF_SG_E_clIS8_S8_S9_S9_EESD_ST_SE_SF_SG_EUlST_E_NS1_11comp_targetILNS1_3genE2ELNS1_11target_archE906ELNS1_3gpuE6ELNS1_3repE0EEENS1_48merge_mergepath_partition_config_static_selectorELNS0_4arch9wavefront6targetE1EEEvSF_, .Lfunc_end1579-_ZN7rocprim17ROCPRIM_400000_NS6detail17trampoline_kernelINS0_14default_configENS1_38merge_sort_block_merge_config_selectorIaNS0_10empty_typeEEEZZNS1_27merge_sort_block_merge_implIS3_PaPS5_jNS1_19radix_merge_compareILb1ELb0EaNS0_19identity_decomposerEEEEE10hipError_tT0_T1_T2_jT3_P12ihipStream_tbPNSt15iterator_traitsISE_E10value_typeEPNSK_ISF_E10value_typeEPSG_NS1_7vsmem_tEENKUlT_SE_SF_SG_E_clIS8_S8_S9_S9_EESD_ST_SE_SF_SG_EUlST_E_NS1_11comp_targetILNS1_3genE2ELNS1_11target_archE906ELNS1_3gpuE6ELNS1_3repE0EEENS1_48merge_mergepath_partition_config_static_selectorELNS0_4arch9wavefront6targetE1EEEvSF_
                                        ; -- End function
	.section	.AMDGPU.csdata,"",@progbits
; Kernel info:
; codeLenInByte = 0
; NumSgprs: 4
; NumVgprs: 0
; NumAgprs: 0
; TotalNumVgprs: 0
; ScratchSize: 0
; MemoryBound: 0
; FloatMode: 240
; IeeeMode: 1
; LDSByteSize: 0 bytes/workgroup (compile time only)
; SGPRBlocks: 0
; VGPRBlocks: 0
; NumSGPRsForWavesPerEU: 4
; NumVGPRsForWavesPerEU: 1
; AccumOffset: 4
; Occupancy: 8
; WaveLimiterHint : 0
; COMPUTE_PGM_RSRC2:SCRATCH_EN: 0
; COMPUTE_PGM_RSRC2:USER_SGPR: 6
; COMPUTE_PGM_RSRC2:TRAP_HANDLER: 0
; COMPUTE_PGM_RSRC2:TGID_X_EN: 1
; COMPUTE_PGM_RSRC2:TGID_Y_EN: 0
; COMPUTE_PGM_RSRC2:TGID_Z_EN: 0
; COMPUTE_PGM_RSRC2:TIDIG_COMP_CNT: 0
; COMPUTE_PGM_RSRC3_GFX90A:ACCUM_OFFSET: 0
; COMPUTE_PGM_RSRC3_GFX90A:TG_SPLIT: 0
	.section	.text._ZN7rocprim17ROCPRIM_400000_NS6detail17trampoline_kernelINS0_14default_configENS1_38merge_sort_block_merge_config_selectorIaNS0_10empty_typeEEEZZNS1_27merge_sort_block_merge_implIS3_PaPS5_jNS1_19radix_merge_compareILb1ELb0EaNS0_19identity_decomposerEEEEE10hipError_tT0_T1_T2_jT3_P12ihipStream_tbPNSt15iterator_traitsISE_E10value_typeEPNSK_ISF_E10value_typeEPSG_NS1_7vsmem_tEENKUlT_SE_SF_SG_E_clIS8_S8_S9_S9_EESD_ST_SE_SF_SG_EUlST_E_NS1_11comp_targetILNS1_3genE9ELNS1_11target_archE1100ELNS1_3gpuE3ELNS1_3repE0EEENS1_48merge_mergepath_partition_config_static_selectorELNS0_4arch9wavefront6targetE1EEEvSF_,"axG",@progbits,_ZN7rocprim17ROCPRIM_400000_NS6detail17trampoline_kernelINS0_14default_configENS1_38merge_sort_block_merge_config_selectorIaNS0_10empty_typeEEEZZNS1_27merge_sort_block_merge_implIS3_PaPS5_jNS1_19radix_merge_compareILb1ELb0EaNS0_19identity_decomposerEEEEE10hipError_tT0_T1_T2_jT3_P12ihipStream_tbPNSt15iterator_traitsISE_E10value_typeEPNSK_ISF_E10value_typeEPSG_NS1_7vsmem_tEENKUlT_SE_SF_SG_E_clIS8_S8_S9_S9_EESD_ST_SE_SF_SG_EUlST_E_NS1_11comp_targetILNS1_3genE9ELNS1_11target_archE1100ELNS1_3gpuE3ELNS1_3repE0EEENS1_48merge_mergepath_partition_config_static_selectorELNS0_4arch9wavefront6targetE1EEEvSF_,comdat
	.protected	_ZN7rocprim17ROCPRIM_400000_NS6detail17trampoline_kernelINS0_14default_configENS1_38merge_sort_block_merge_config_selectorIaNS0_10empty_typeEEEZZNS1_27merge_sort_block_merge_implIS3_PaPS5_jNS1_19radix_merge_compareILb1ELb0EaNS0_19identity_decomposerEEEEE10hipError_tT0_T1_T2_jT3_P12ihipStream_tbPNSt15iterator_traitsISE_E10value_typeEPNSK_ISF_E10value_typeEPSG_NS1_7vsmem_tEENKUlT_SE_SF_SG_E_clIS8_S8_S9_S9_EESD_ST_SE_SF_SG_EUlST_E_NS1_11comp_targetILNS1_3genE9ELNS1_11target_archE1100ELNS1_3gpuE3ELNS1_3repE0EEENS1_48merge_mergepath_partition_config_static_selectorELNS0_4arch9wavefront6targetE1EEEvSF_ ; -- Begin function _ZN7rocprim17ROCPRIM_400000_NS6detail17trampoline_kernelINS0_14default_configENS1_38merge_sort_block_merge_config_selectorIaNS0_10empty_typeEEEZZNS1_27merge_sort_block_merge_implIS3_PaPS5_jNS1_19radix_merge_compareILb1ELb0EaNS0_19identity_decomposerEEEEE10hipError_tT0_T1_T2_jT3_P12ihipStream_tbPNSt15iterator_traitsISE_E10value_typeEPNSK_ISF_E10value_typeEPSG_NS1_7vsmem_tEENKUlT_SE_SF_SG_E_clIS8_S8_S9_S9_EESD_ST_SE_SF_SG_EUlST_E_NS1_11comp_targetILNS1_3genE9ELNS1_11target_archE1100ELNS1_3gpuE3ELNS1_3repE0EEENS1_48merge_mergepath_partition_config_static_selectorELNS0_4arch9wavefront6targetE1EEEvSF_
	.globl	_ZN7rocprim17ROCPRIM_400000_NS6detail17trampoline_kernelINS0_14default_configENS1_38merge_sort_block_merge_config_selectorIaNS0_10empty_typeEEEZZNS1_27merge_sort_block_merge_implIS3_PaPS5_jNS1_19radix_merge_compareILb1ELb0EaNS0_19identity_decomposerEEEEE10hipError_tT0_T1_T2_jT3_P12ihipStream_tbPNSt15iterator_traitsISE_E10value_typeEPNSK_ISF_E10value_typeEPSG_NS1_7vsmem_tEENKUlT_SE_SF_SG_E_clIS8_S8_S9_S9_EESD_ST_SE_SF_SG_EUlST_E_NS1_11comp_targetILNS1_3genE9ELNS1_11target_archE1100ELNS1_3gpuE3ELNS1_3repE0EEENS1_48merge_mergepath_partition_config_static_selectorELNS0_4arch9wavefront6targetE1EEEvSF_
	.p2align	8
	.type	_ZN7rocprim17ROCPRIM_400000_NS6detail17trampoline_kernelINS0_14default_configENS1_38merge_sort_block_merge_config_selectorIaNS0_10empty_typeEEEZZNS1_27merge_sort_block_merge_implIS3_PaPS5_jNS1_19radix_merge_compareILb1ELb0EaNS0_19identity_decomposerEEEEE10hipError_tT0_T1_T2_jT3_P12ihipStream_tbPNSt15iterator_traitsISE_E10value_typeEPNSK_ISF_E10value_typeEPSG_NS1_7vsmem_tEENKUlT_SE_SF_SG_E_clIS8_S8_S9_S9_EESD_ST_SE_SF_SG_EUlST_E_NS1_11comp_targetILNS1_3genE9ELNS1_11target_archE1100ELNS1_3gpuE3ELNS1_3repE0EEENS1_48merge_mergepath_partition_config_static_selectorELNS0_4arch9wavefront6targetE1EEEvSF_,@function
_ZN7rocprim17ROCPRIM_400000_NS6detail17trampoline_kernelINS0_14default_configENS1_38merge_sort_block_merge_config_selectorIaNS0_10empty_typeEEEZZNS1_27merge_sort_block_merge_implIS3_PaPS5_jNS1_19radix_merge_compareILb1ELb0EaNS0_19identity_decomposerEEEEE10hipError_tT0_T1_T2_jT3_P12ihipStream_tbPNSt15iterator_traitsISE_E10value_typeEPNSK_ISF_E10value_typeEPSG_NS1_7vsmem_tEENKUlT_SE_SF_SG_E_clIS8_S8_S9_S9_EESD_ST_SE_SF_SG_EUlST_E_NS1_11comp_targetILNS1_3genE9ELNS1_11target_archE1100ELNS1_3gpuE3ELNS1_3repE0EEENS1_48merge_mergepath_partition_config_static_selectorELNS0_4arch9wavefront6targetE1EEEvSF_: ; @_ZN7rocprim17ROCPRIM_400000_NS6detail17trampoline_kernelINS0_14default_configENS1_38merge_sort_block_merge_config_selectorIaNS0_10empty_typeEEEZZNS1_27merge_sort_block_merge_implIS3_PaPS5_jNS1_19radix_merge_compareILb1ELb0EaNS0_19identity_decomposerEEEEE10hipError_tT0_T1_T2_jT3_P12ihipStream_tbPNSt15iterator_traitsISE_E10value_typeEPNSK_ISF_E10value_typeEPSG_NS1_7vsmem_tEENKUlT_SE_SF_SG_E_clIS8_S8_S9_S9_EESD_ST_SE_SF_SG_EUlST_E_NS1_11comp_targetILNS1_3genE9ELNS1_11target_archE1100ELNS1_3gpuE3ELNS1_3repE0EEENS1_48merge_mergepath_partition_config_static_selectorELNS0_4arch9wavefront6targetE1EEEvSF_
; %bb.0:
	.section	.rodata,"a",@progbits
	.p2align	6, 0x0
	.amdhsa_kernel _ZN7rocprim17ROCPRIM_400000_NS6detail17trampoline_kernelINS0_14default_configENS1_38merge_sort_block_merge_config_selectorIaNS0_10empty_typeEEEZZNS1_27merge_sort_block_merge_implIS3_PaPS5_jNS1_19radix_merge_compareILb1ELb0EaNS0_19identity_decomposerEEEEE10hipError_tT0_T1_T2_jT3_P12ihipStream_tbPNSt15iterator_traitsISE_E10value_typeEPNSK_ISF_E10value_typeEPSG_NS1_7vsmem_tEENKUlT_SE_SF_SG_E_clIS8_S8_S9_S9_EESD_ST_SE_SF_SG_EUlST_E_NS1_11comp_targetILNS1_3genE9ELNS1_11target_archE1100ELNS1_3gpuE3ELNS1_3repE0EEENS1_48merge_mergepath_partition_config_static_selectorELNS0_4arch9wavefront6targetE1EEEvSF_
		.amdhsa_group_segment_fixed_size 0
		.amdhsa_private_segment_fixed_size 0
		.amdhsa_kernarg_size 40
		.amdhsa_user_sgpr_count 6
		.amdhsa_user_sgpr_private_segment_buffer 1
		.amdhsa_user_sgpr_dispatch_ptr 0
		.amdhsa_user_sgpr_queue_ptr 0
		.amdhsa_user_sgpr_kernarg_segment_ptr 1
		.amdhsa_user_sgpr_dispatch_id 0
		.amdhsa_user_sgpr_flat_scratch_init 0
		.amdhsa_user_sgpr_kernarg_preload_length 0
		.amdhsa_user_sgpr_kernarg_preload_offset 0
		.amdhsa_user_sgpr_private_segment_size 0
		.amdhsa_uses_dynamic_stack 0
		.amdhsa_system_sgpr_private_segment_wavefront_offset 0
		.amdhsa_system_sgpr_workgroup_id_x 1
		.amdhsa_system_sgpr_workgroup_id_y 0
		.amdhsa_system_sgpr_workgroup_id_z 0
		.amdhsa_system_sgpr_workgroup_info 0
		.amdhsa_system_vgpr_workitem_id 0
		.amdhsa_next_free_vgpr 1
		.amdhsa_next_free_sgpr 0
		.amdhsa_accum_offset 4
		.amdhsa_reserve_vcc 0
		.amdhsa_reserve_flat_scratch 0
		.amdhsa_float_round_mode_32 0
		.amdhsa_float_round_mode_16_64 0
		.amdhsa_float_denorm_mode_32 3
		.amdhsa_float_denorm_mode_16_64 3
		.amdhsa_dx10_clamp 1
		.amdhsa_ieee_mode 1
		.amdhsa_fp16_overflow 0
		.amdhsa_tg_split 0
		.amdhsa_exception_fp_ieee_invalid_op 0
		.amdhsa_exception_fp_denorm_src 0
		.amdhsa_exception_fp_ieee_div_zero 0
		.amdhsa_exception_fp_ieee_overflow 0
		.amdhsa_exception_fp_ieee_underflow 0
		.amdhsa_exception_fp_ieee_inexact 0
		.amdhsa_exception_int_div_zero 0
	.end_amdhsa_kernel
	.section	.text._ZN7rocprim17ROCPRIM_400000_NS6detail17trampoline_kernelINS0_14default_configENS1_38merge_sort_block_merge_config_selectorIaNS0_10empty_typeEEEZZNS1_27merge_sort_block_merge_implIS3_PaPS5_jNS1_19radix_merge_compareILb1ELb0EaNS0_19identity_decomposerEEEEE10hipError_tT0_T1_T2_jT3_P12ihipStream_tbPNSt15iterator_traitsISE_E10value_typeEPNSK_ISF_E10value_typeEPSG_NS1_7vsmem_tEENKUlT_SE_SF_SG_E_clIS8_S8_S9_S9_EESD_ST_SE_SF_SG_EUlST_E_NS1_11comp_targetILNS1_3genE9ELNS1_11target_archE1100ELNS1_3gpuE3ELNS1_3repE0EEENS1_48merge_mergepath_partition_config_static_selectorELNS0_4arch9wavefront6targetE1EEEvSF_,"axG",@progbits,_ZN7rocprim17ROCPRIM_400000_NS6detail17trampoline_kernelINS0_14default_configENS1_38merge_sort_block_merge_config_selectorIaNS0_10empty_typeEEEZZNS1_27merge_sort_block_merge_implIS3_PaPS5_jNS1_19radix_merge_compareILb1ELb0EaNS0_19identity_decomposerEEEEE10hipError_tT0_T1_T2_jT3_P12ihipStream_tbPNSt15iterator_traitsISE_E10value_typeEPNSK_ISF_E10value_typeEPSG_NS1_7vsmem_tEENKUlT_SE_SF_SG_E_clIS8_S8_S9_S9_EESD_ST_SE_SF_SG_EUlST_E_NS1_11comp_targetILNS1_3genE9ELNS1_11target_archE1100ELNS1_3gpuE3ELNS1_3repE0EEENS1_48merge_mergepath_partition_config_static_selectorELNS0_4arch9wavefront6targetE1EEEvSF_,comdat
.Lfunc_end1580:
	.size	_ZN7rocprim17ROCPRIM_400000_NS6detail17trampoline_kernelINS0_14default_configENS1_38merge_sort_block_merge_config_selectorIaNS0_10empty_typeEEEZZNS1_27merge_sort_block_merge_implIS3_PaPS5_jNS1_19radix_merge_compareILb1ELb0EaNS0_19identity_decomposerEEEEE10hipError_tT0_T1_T2_jT3_P12ihipStream_tbPNSt15iterator_traitsISE_E10value_typeEPNSK_ISF_E10value_typeEPSG_NS1_7vsmem_tEENKUlT_SE_SF_SG_E_clIS8_S8_S9_S9_EESD_ST_SE_SF_SG_EUlST_E_NS1_11comp_targetILNS1_3genE9ELNS1_11target_archE1100ELNS1_3gpuE3ELNS1_3repE0EEENS1_48merge_mergepath_partition_config_static_selectorELNS0_4arch9wavefront6targetE1EEEvSF_, .Lfunc_end1580-_ZN7rocprim17ROCPRIM_400000_NS6detail17trampoline_kernelINS0_14default_configENS1_38merge_sort_block_merge_config_selectorIaNS0_10empty_typeEEEZZNS1_27merge_sort_block_merge_implIS3_PaPS5_jNS1_19radix_merge_compareILb1ELb0EaNS0_19identity_decomposerEEEEE10hipError_tT0_T1_T2_jT3_P12ihipStream_tbPNSt15iterator_traitsISE_E10value_typeEPNSK_ISF_E10value_typeEPSG_NS1_7vsmem_tEENKUlT_SE_SF_SG_E_clIS8_S8_S9_S9_EESD_ST_SE_SF_SG_EUlST_E_NS1_11comp_targetILNS1_3genE9ELNS1_11target_archE1100ELNS1_3gpuE3ELNS1_3repE0EEENS1_48merge_mergepath_partition_config_static_selectorELNS0_4arch9wavefront6targetE1EEEvSF_
                                        ; -- End function
	.section	.AMDGPU.csdata,"",@progbits
; Kernel info:
; codeLenInByte = 0
; NumSgprs: 4
; NumVgprs: 0
; NumAgprs: 0
; TotalNumVgprs: 0
; ScratchSize: 0
; MemoryBound: 0
; FloatMode: 240
; IeeeMode: 1
; LDSByteSize: 0 bytes/workgroup (compile time only)
; SGPRBlocks: 0
; VGPRBlocks: 0
; NumSGPRsForWavesPerEU: 4
; NumVGPRsForWavesPerEU: 1
; AccumOffset: 4
; Occupancy: 8
; WaveLimiterHint : 0
; COMPUTE_PGM_RSRC2:SCRATCH_EN: 0
; COMPUTE_PGM_RSRC2:USER_SGPR: 6
; COMPUTE_PGM_RSRC2:TRAP_HANDLER: 0
; COMPUTE_PGM_RSRC2:TGID_X_EN: 1
; COMPUTE_PGM_RSRC2:TGID_Y_EN: 0
; COMPUTE_PGM_RSRC2:TGID_Z_EN: 0
; COMPUTE_PGM_RSRC2:TIDIG_COMP_CNT: 0
; COMPUTE_PGM_RSRC3_GFX90A:ACCUM_OFFSET: 0
; COMPUTE_PGM_RSRC3_GFX90A:TG_SPLIT: 0
	.section	.text._ZN7rocprim17ROCPRIM_400000_NS6detail17trampoline_kernelINS0_14default_configENS1_38merge_sort_block_merge_config_selectorIaNS0_10empty_typeEEEZZNS1_27merge_sort_block_merge_implIS3_PaPS5_jNS1_19radix_merge_compareILb1ELb0EaNS0_19identity_decomposerEEEEE10hipError_tT0_T1_T2_jT3_P12ihipStream_tbPNSt15iterator_traitsISE_E10value_typeEPNSK_ISF_E10value_typeEPSG_NS1_7vsmem_tEENKUlT_SE_SF_SG_E_clIS8_S8_S9_S9_EESD_ST_SE_SF_SG_EUlST_E_NS1_11comp_targetILNS1_3genE8ELNS1_11target_archE1030ELNS1_3gpuE2ELNS1_3repE0EEENS1_48merge_mergepath_partition_config_static_selectorELNS0_4arch9wavefront6targetE1EEEvSF_,"axG",@progbits,_ZN7rocprim17ROCPRIM_400000_NS6detail17trampoline_kernelINS0_14default_configENS1_38merge_sort_block_merge_config_selectorIaNS0_10empty_typeEEEZZNS1_27merge_sort_block_merge_implIS3_PaPS5_jNS1_19radix_merge_compareILb1ELb0EaNS0_19identity_decomposerEEEEE10hipError_tT0_T1_T2_jT3_P12ihipStream_tbPNSt15iterator_traitsISE_E10value_typeEPNSK_ISF_E10value_typeEPSG_NS1_7vsmem_tEENKUlT_SE_SF_SG_E_clIS8_S8_S9_S9_EESD_ST_SE_SF_SG_EUlST_E_NS1_11comp_targetILNS1_3genE8ELNS1_11target_archE1030ELNS1_3gpuE2ELNS1_3repE0EEENS1_48merge_mergepath_partition_config_static_selectorELNS0_4arch9wavefront6targetE1EEEvSF_,comdat
	.protected	_ZN7rocprim17ROCPRIM_400000_NS6detail17trampoline_kernelINS0_14default_configENS1_38merge_sort_block_merge_config_selectorIaNS0_10empty_typeEEEZZNS1_27merge_sort_block_merge_implIS3_PaPS5_jNS1_19radix_merge_compareILb1ELb0EaNS0_19identity_decomposerEEEEE10hipError_tT0_T1_T2_jT3_P12ihipStream_tbPNSt15iterator_traitsISE_E10value_typeEPNSK_ISF_E10value_typeEPSG_NS1_7vsmem_tEENKUlT_SE_SF_SG_E_clIS8_S8_S9_S9_EESD_ST_SE_SF_SG_EUlST_E_NS1_11comp_targetILNS1_3genE8ELNS1_11target_archE1030ELNS1_3gpuE2ELNS1_3repE0EEENS1_48merge_mergepath_partition_config_static_selectorELNS0_4arch9wavefront6targetE1EEEvSF_ ; -- Begin function _ZN7rocprim17ROCPRIM_400000_NS6detail17trampoline_kernelINS0_14default_configENS1_38merge_sort_block_merge_config_selectorIaNS0_10empty_typeEEEZZNS1_27merge_sort_block_merge_implIS3_PaPS5_jNS1_19radix_merge_compareILb1ELb0EaNS0_19identity_decomposerEEEEE10hipError_tT0_T1_T2_jT3_P12ihipStream_tbPNSt15iterator_traitsISE_E10value_typeEPNSK_ISF_E10value_typeEPSG_NS1_7vsmem_tEENKUlT_SE_SF_SG_E_clIS8_S8_S9_S9_EESD_ST_SE_SF_SG_EUlST_E_NS1_11comp_targetILNS1_3genE8ELNS1_11target_archE1030ELNS1_3gpuE2ELNS1_3repE0EEENS1_48merge_mergepath_partition_config_static_selectorELNS0_4arch9wavefront6targetE1EEEvSF_
	.globl	_ZN7rocprim17ROCPRIM_400000_NS6detail17trampoline_kernelINS0_14default_configENS1_38merge_sort_block_merge_config_selectorIaNS0_10empty_typeEEEZZNS1_27merge_sort_block_merge_implIS3_PaPS5_jNS1_19radix_merge_compareILb1ELb0EaNS0_19identity_decomposerEEEEE10hipError_tT0_T1_T2_jT3_P12ihipStream_tbPNSt15iterator_traitsISE_E10value_typeEPNSK_ISF_E10value_typeEPSG_NS1_7vsmem_tEENKUlT_SE_SF_SG_E_clIS8_S8_S9_S9_EESD_ST_SE_SF_SG_EUlST_E_NS1_11comp_targetILNS1_3genE8ELNS1_11target_archE1030ELNS1_3gpuE2ELNS1_3repE0EEENS1_48merge_mergepath_partition_config_static_selectorELNS0_4arch9wavefront6targetE1EEEvSF_
	.p2align	8
	.type	_ZN7rocprim17ROCPRIM_400000_NS6detail17trampoline_kernelINS0_14default_configENS1_38merge_sort_block_merge_config_selectorIaNS0_10empty_typeEEEZZNS1_27merge_sort_block_merge_implIS3_PaPS5_jNS1_19radix_merge_compareILb1ELb0EaNS0_19identity_decomposerEEEEE10hipError_tT0_T1_T2_jT3_P12ihipStream_tbPNSt15iterator_traitsISE_E10value_typeEPNSK_ISF_E10value_typeEPSG_NS1_7vsmem_tEENKUlT_SE_SF_SG_E_clIS8_S8_S9_S9_EESD_ST_SE_SF_SG_EUlST_E_NS1_11comp_targetILNS1_3genE8ELNS1_11target_archE1030ELNS1_3gpuE2ELNS1_3repE0EEENS1_48merge_mergepath_partition_config_static_selectorELNS0_4arch9wavefront6targetE1EEEvSF_,@function
_ZN7rocprim17ROCPRIM_400000_NS6detail17trampoline_kernelINS0_14default_configENS1_38merge_sort_block_merge_config_selectorIaNS0_10empty_typeEEEZZNS1_27merge_sort_block_merge_implIS3_PaPS5_jNS1_19radix_merge_compareILb1ELb0EaNS0_19identity_decomposerEEEEE10hipError_tT0_T1_T2_jT3_P12ihipStream_tbPNSt15iterator_traitsISE_E10value_typeEPNSK_ISF_E10value_typeEPSG_NS1_7vsmem_tEENKUlT_SE_SF_SG_E_clIS8_S8_S9_S9_EESD_ST_SE_SF_SG_EUlST_E_NS1_11comp_targetILNS1_3genE8ELNS1_11target_archE1030ELNS1_3gpuE2ELNS1_3repE0EEENS1_48merge_mergepath_partition_config_static_selectorELNS0_4arch9wavefront6targetE1EEEvSF_: ; @_ZN7rocprim17ROCPRIM_400000_NS6detail17trampoline_kernelINS0_14default_configENS1_38merge_sort_block_merge_config_selectorIaNS0_10empty_typeEEEZZNS1_27merge_sort_block_merge_implIS3_PaPS5_jNS1_19radix_merge_compareILb1ELb0EaNS0_19identity_decomposerEEEEE10hipError_tT0_T1_T2_jT3_P12ihipStream_tbPNSt15iterator_traitsISE_E10value_typeEPNSK_ISF_E10value_typeEPSG_NS1_7vsmem_tEENKUlT_SE_SF_SG_E_clIS8_S8_S9_S9_EESD_ST_SE_SF_SG_EUlST_E_NS1_11comp_targetILNS1_3genE8ELNS1_11target_archE1030ELNS1_3gpuE2ELNS1_3repE0EEENS1_48merge_mergepath_partition_config_static_selectorELNS0_4arch9wavefront6targetE1EEEvSF_
; %bb.0:
	.section	.rodata,"a",@progbits
	.p2align	6, 0x0
	.amdhsa_kernel _ZN7rocprim17ROCPRIM_400000_NS6detail17trampoline_kernelINS0_14default_configENS1_38merge_sort_block_merge_config_selectorIaNS0_10empty_typeEEEZZNS1_27merge_sort_block_merge_implIS3_PaPS5_jNS1_19radix_merge_compareILb1ELb0EaNS0_19identity_decomposerEEEEE10hipError_tT0_T1_T2_jT3_P12ihipStream_tbPNSt15iterator_traitsISE_E10value_typeEPNSK_ISF_E10value_typeEPSG_NS1_7vsmem_tEENKUlT_SE_SF_SG_E_clIS8_S8_S9_S9_EESD_ST_SE_SF_SG_EUlST_E_NS1_11comp_targetILNS1_3genE8ELNS1_11target_archE1030ELNS1_3gpuE2ELNS1_3repE0EEENS1_48merge_mergepath_partition_config_static_selectorELNS0_4arch9wavefront6targetE1EEEvSF_
		.amdhsa_group_segment_fixed_size 0
		.amdhsa_private_segment_fixed_size 0
		.amdhsa_kernarg_size 40
		.amdhsa_user_sgpr_count 6
		.amdhsa_user_sgpr_private_segment_buffer 1
		.amdhsa_user_sgpr_dispatch_ptr 0
		.amdhsa_user_sgpr_queue_ptr 0
		.amdhsa_user_sgpr_kernarg_segment_ptr 1
		.amdhsa_user_sgpr_dispatch_id 0
		.amdhsa_user_sgpr_flat_scratch_init 0
		.amdhsa_user_sgpr_kernarg_preload_length 0
		.amdhsa_user_sgpr_kernarg_preload_offset 0
		.amdhsa_user_sgpr_private_segment_size 0
		.amdhsa_uses_dynamic_stack 0
		.amdhsa_system_sgpr_private_segment_wavefront_offset 0
		.amdhsa_system_sgpr_workgroup_id_x 1
		.amdhsa_system_sgpr_workgroup_id_y 0
		.amdhsa_system_sgpr_workgroup_id_z 0
		.amdhsa_system_sgpr_workgroup_info 0
		.amdhsa_system_vgpr_workitem_id 0
		.amdhsa_next_free_vgpr 1
		.amdhsa_next_free_sgpr 0
		.amdhsa_accum_offset 4
		.amdhsa_reserve_vcc 0
		.amdhsa_reserve_flat_scratch 0
		.amdhsa_float_round_mode_32 0
		.amdhsa_float_round_mode_16_64 0
		.amdhsa_float_denorm_mode_32 3
		.amdhsa_float_denorm_mode_16_64 3
		.amdhsa_dx10_clamp 1
		.amdhsa_ieee_mode 1
		.amdhsa_fp16_overflow 0
		.amdhsa_tg_split 0
		.amdhsa_exception_fp_ieee_invalid_op 0
		.amdhsa_exception_fp_denorm_src 0
		.amdhsa_exception_fp_ieee_div_zero 0
		.amdhsa_exception_fp_ieee_overflow 0
		.amdhsa_exception_fp_ieee_underflow 0
		.amdhsa_exception_fp_ieee_inexact 0
		.amdhsa_exception_int_div_zero 0
	.end_amdhsa_kernel
	.section	.text._ZN7rocprim17ROCPRIM_400000_NS6detail17trampoline_kernelINS0_14default_configENS1_38merge_sort_block_merge_config_selectorIaNS0_10empty_typeEEEZZNS1_27merge_sort_block_merge_implIS3_PaPS5_jNS1_19radix_merge_compareILb1ELb0EaNS0_19identity_decomposerEEEEE10hipError_tT0_T1_T2_jT3_P12ihipStream_tbPNSt15iterator_traitsISE_E10value_typeEPNSK_ISF_E10value_typeEPSG_NS1_7vsmem_tEENKUlT_SE_SF_SG_E_clIS8_S8_S9_S9_EESD_ST_SE_SF_SG_EUlST_E_NS1_11comp_targetILNS1_3genE8ELNS1_11target_archE1030ELNS1_3gpuE2ELNS1_3repE0EEENS1_48merge_mergepath_partition_config_static_selectorELNS0_4arch9wavefront6targetE1EEEvSF_,"axG",@progbits,_ZN7rocprim17ROCPRIM_400000_NS6detail17trampoline_kernelINS0_14default_configENS1_38merge_sort_block_merge_config_selectorIaNS0_10empty_typeEEEZZNS1_27merge_sort_block_merge_implIS3_PaPS5_jNS1_19radix_merge_compareILb1ELb0EaNS0_19identity_decomposerEEEEE10hipError_tT0_T1_T2_jT3_P12ihipStream_tbPNSt15iterator_traitsISE_E10value_typeEPNSK_ISF_E10value_typeEPSG_NS1_7vsmem_tEENKUlT_SE_SF_SG_E_clIS8_S8_S9_S9_EESD_ST_SE_SF_SG_EUlST_E_NS1_11comp_targetILNS1_3genE8ELNS1_11target_archE1030ELNS1_3gpuE2ELNS1_3repE0EEENS1_48merge_mergepath_partition_config_static_selectorELNS0_4arch9wavefront6targetE1EEEvSF_,comdat
.Lfunc_end1581:
	.size	_ZN7rocprim17ROCPRIM_400000_NS6detail17trampoline_kernelINS0_14default_configENS1_38merge_sort_block_merge_config_selectorIaNS0_10empty_typeEEEZZNS1_27merge_sort_block_merge_implIS3_PaPS5_jNS1_19radix_merge_compareILb1ELb0EaNS0_19identity_decomposerEEEEE10hipError_tT0_T1_T2_jT3_P12ihipStream_tbPNSt15iterator_traitsISE_E10value_typeEPNSK_ISF_E10value_typeEPSG_NS1_7vsmem_tEENKUlT_SE_SF_SG_E_clIS8_S8_S9_S9_EESD_ST_SE_SF_SG_EUlST_E_NS1_11comp_targetILNS1_3genE8ELNS1_11target_archE1030ELNS1_3gpuE2ELNS1_3repE0EEENS1_48merge_mergepath_partition_config_static_selectorELNS0_4arch9wavefront6targetE1EEEvSF_, .Lfunc_end1581-_ZN7rocprim17ROCPRIM_400000_NS6detail17trampoline_kernelINS0_14default_configENS1_38merge_sort_block_merge_config_selectorIaNS0_10empty_typeEEEZZNS1_27merge_sort_block_merge_implIS3_PaPS5_jNS1_19radix_merge_compareILb1ELb0EaNS0_19identity_decomposerEEEEE10hipError_tT0_T1_T2_jT3_P12ihipStream_tbPNSt15iterator_traitsISE_E10value_typeEPNSK_ISF_E10value_typeEPSG_NS1_7vsmem_tEENKUlT_SE_SF_SG_E_clIS8_S8_S9_S9_EESD_ST_SE_SF_SG_EUlST_E_NS1_11comp_targetILNS1_3genE8ELNS1_11target_archE1030ELNS1_3gpuE2ELNS1_3repE0EEENS1_48merge_mergepath_partition_config_static_selectorELNS0_4arch9wavefront6targetE1EEEvSF_
                                        ; -- End function
	.section	.AMDGPU.csdata,"",@progbits
; Kernel info:
; codeLenInByte = 0
; NumSgprs: 4
; NumVgprs: 0
; NumAgprs: 0
; TotalNumVgprs: 0
; ScratchSize: 0
; MemoryBound: 0
; FloatMode: 240
; IeeeMode: 1
; LDSByteSize: 0 bytes/workgroup (compile time only)
; SGPRBlocks: 0
; VGPRBlocks: 0
; NumSGPRsForWavesPerEU: 4
; NumVGPRsForWavesPerEU: 1
; AccumOffset: 4
; Occupancy: 8
; WaveLimiterHint : 0
; COMPUTE_PGM_RSRC2:SCRATCH_EN: 0
; COMPUTE_PGM_RSRC2:USER_SGPR: 6
; COMPUTE_PGM_RSRC2:TRAP_HANDLER: 0
; COMPUTE_PGM_RSRC2:TGID_X_EN: 1
; COMPUTE_PGM_RSRC2:TGID_Y_EN: 0
; COMPUTE_PGM_RSRC2:TGID_Z_EN: 0
; COMPUTE_PGM_RSRC2:TIDIG_COMP_CNT: 0
; COMPUTE_PGM_RSRC3_GFX90A:ACCUM_OFFSET: 0
; COMPUTE_PGM_RSRC3_GFX90A:TG_SPLIT: 0
	.section	.text._ZN7rocprim17ROCPRIM_400000_NS6detail17trampoline_kernelINS0_14default_configENS1_38merge_sort_block_merge_config_selectorIaNS0_10empty_typeEEEZZNS1_27merge_sort_block_merge_implIS3_PaPS5_jNS1_19radix_merge_compareILb1ELb0EaNS0_19identity_decomposerEEEEE10hipError_tT0_T1_T2_jT3_P12ihipStream_tbPNSt15iterator_traitsISE_E10value_typeEPNSK_ISF_E10value_typeEPSG_NS1_7vsmem_tEENKUlT_SE_SF_SG_E_clIS8_S8_S9_S9_EESD_ST_SE_SF_SG_EUlST_E0_NS1_11comp_targetILNS1_3genE0ELNS1_11target_archE4294967295ELNS1_3gpuE0ELNS1_3repE0EEENS1_38merge_mergepath_config_static_selectorELNS0_4arch9wavefront6targetE1EEEvSF_,"axG",@progbits,_ZN7rocprim17ROCPRIM_400000_NS6detail17trampoline_kernelINS0_14default_configENS1_38merge_sort_block_merge_config_selectorIaNS0_10empty_typeEEEZZNS1_27merge_sort_block_merge_implIS3_PaPS5_jNS1_19radix_merge_compareILb1ELb0EaNS0_19identity_decomposerEEEEE10hipError_tT0_T1_T2_jT3_P12ihipStream_tbPNSt15iterator_traitsISE_E10value_typeEPNSK_ISF_E10value_typeEPSG_NS1_7vsmem_tEENKUlT_SE_SF_SG_E_clIS8_S8_S9_S9_EESD_ST_SE_SF_SG_EUlST_E0_NS1_11comp_targetILNS1_3genE0ELNS1_11target_archE4294967295ELNS1_3gpuE0ELNS1_3repE0EEENS1_38merge_mergepath_config_static_selectorELNS0_4arch9wavefront6targetE1EEEvSF_,comdat
	.protected	_ZN7rocprim17ROCPRIM_400000_NS6detail17trampoline_kernelINS0_14default_configENS1_38merge_sort_block_merge_config_selectorIaNS0_10empty_typeEEEZZNS1_27merge_sort_block_merge_implIS3_PaPS5_jNS1_19radix_merge_compareILb1ELb0EaNS0_19identity_decomposerEEEEE10hipError_tT0_T1_T2_jT3_P12ihipStream_tbPNSt15iterator_traitsISE_E10value_typeEPNSK_ISF_E10value_typeEPSG_NS1_7vsmem_tEENKUlT_SE_SF_SG_E_clIS8_S8_S9_S9_EESD_ST_SE_SF_SG_EUlST_E0_NS1_11comp_targetILNS1_3genE0ELNS1_11target_archE4294967295ELNS1_3gpuE0ELNS1_3repE0EEENS1_38merge_mergepath_config_static_selectorELNS0_4arch9wavefront6targetE1EEEvSF_ ; -- Begin function _ZN7rocprim17ROCPRIM_400000_NS6detail17trampoline_kernelINS0_14default_configENS1_38merge_sort_block_merge_config_selectorIaNS0_10empty_typeEEEZZNS1_27merge_sort_block_merge_implIS3_PaPS5_jNS1_19radix_merge_compareILb1ELb0EaNS0_19identity_decomposerEEEEE10hipError_tT0_T1_T2_jT3_P12ihipStream_tbPNSt15iterator_traitsISE_E10value_typeEPNSK_ISF_E10value_typeEPSG_NS1_7vsmem_tEENKUlT_SE_SF_SG_E_clIS8_S8_S9_S9_EESD_ST_SE_SF_SG_EUlST_E0_NS1_11comp_targetILNS1_3genE0ELNS1_11target_archE4294967295ELNS1_3gpuE0ELNS1_3repE0EEENS1_38merge_mergepath_config_static_selectorELNS0_4arch9wavefront6targetE1EEEvSF_
	.globl	_ZN7rocprim17ROCPRIM_400000_NS6detail17trampoline_kernelINS0_14default_configENS1_38merge_sort_block_merge_config_selectorIaNS0_10empty_typeEEEZZNS1_27merge_sort_block_merge_implIS3_PaPS5_jNS1_19radix_merge_compareILb1ELb0EaNS0_19identity_decomposerEEEEE10hipError_tT0_T1_T2_jT3_P12ihipStream_tbPNSt15iterator_traitsISE_E10value_typeEPNSK_ISF_E10value_typeEPSG_NS1_7vsmem_tEENKUlT_SE_SF_SG_E_clIS8_S8_S9_S9_EESD_ST_SE_SF_SG_EUlST_E0_NS1_11comp_targetILNS1_3genE0ELNS1_11target_archE4294967295ELNS1_3gpuE0ELNS1_3repE0EEENS1_38merge_mergepath_config_static_selectorELNS0_4arch9wavefront6targetE1EEEvSF_
	.p2align	8
	.type	_ZN7rocprim17ROCPRIM_400000_NS6detail17trampoline_kernelINS0_14default_configENS1_38merge_sort_block_merge_config_selectorIaNS0_10empty_typeEEEZZNS1_27merge_sort_block_merge_implIS3_PaPS5_jNS1_19radix_merge_compareILb1ELb0EaNS0_19identity_decomposerEEEEE10hipError_tT0_T1_T2_jT3_P12ihipStream_tbPNSt15iterator_traitsISE_E10value_typeEPNSK_ISF_E10value_typeEPSG_NS1_7vsmem_tEENKUlT_SE_SF_SG_E_clIS8_S8_S9_S9_EESD_ST_SE_SF_SG_EUlST_E0_NS1_11comp_targetILNS1_3genE0ELNS1_11target_archE4294967295ELNS1_3gpuE0ELNS1_3repE0EEENS1_38merge_mergepath_config_static_selectorELNS0_4arch9wavefront6targetE1EEEvSF_,@function
_ZN7rocprim17ROCPRIM_400000_NS6detail17trampoline_kernelINS0_14default_configENS1_38merge_sort_block_merge_config_selectorIaNS0_10empty_typeEEEZZNS1_27merge_sort_block_merge_implIS3_PaPS5_jNS1_19radix_merge_compareILb1ELb0EaNS0_19identity_decomposerEEEEE10hipError_tT0_T1_T2_jT3_P12ihipStream_tbPNSt15iterator_traitsISE_E10value_typeEPNSK_ISF_E10value_typeEPSG_NS1_7vsmem_tEENKUlT_SE_SF_SG_E_clIS8_S8_S9_S9_EESD_ST_SE_SF_SG_EUlST_E0_NS1_11comp_targetILNS1_3genE0ELNS1_11target_archE4294967295ELNS1_3gpuE0ELNS1_3repE0EEENS1_38merge_mergepath_config_static_selectorELNS0_4arch9wavefront6targetE1EEEvSF_: ; @_ZN7rocprim17ROCPRIM_400000_NS6detail17trampoline_kernelINS0_14default_configENS1_38merge_sort_block_merge_config_selectorIaNS0_10empty_typeEEEZZNS1_27merge_sort_block_merge_implIS3_PaPS5_jNS1_19radix_merge_compareILb1ELb0EaNS0_19identity_decomposerEEEEE10hipError_tT0_T1_T2_jT3_P12ihipStream_tbPNSt15iterator_traitsISE_E10value_typeEPNSK_ISF_E10value_typeEPSG_NS1_7vsmem_tEENKUlT_SE_SF_SG_E_clIS8_S8_S9_S9_EESD_ST_SE_SF_SG_EUlST_E0_NS1_11comp_targetILNS1_3genE0ELNS1_11target_archE4294967295ELNS1_3gpuE0ELNS1_3repE0EEENS1_38merge_mergepath_config_static_selectorELNS0_4arch9wavefront6targetE1EEEvSF_
; %bb.0:
	.section	.rodata,"a",@progbits
	.p2align	6, 0x0
	.amdhsa_kernel _ZN7rocprim17ROCPRIM_400000_NS6detail17trampoline_kernelINS0_14default_configENS1_38merge_sort_block_merge_config_selectorIaNS0_10empty_typeEEEZZNS1_27merge_sort_block_merge_implIS3_PaPS5_jNS1_19radix_merge_compareILb1ELb0EaNS0_19identity_decomposerEEEEE10hipError_tT0_T1_T2_jT3_P12ihipStream_tbPNSt15iterator_traitsISE_E10value_typeEPNSK_ISF_E10value_typeEPSG_NS1_7vsmem_tEENKUlT_SE_SF_SG_E_clIS8_S8_S9_S9_EESD_ST_SE_SF_SG_EUlST_E0_NS1_11comp_targetILNS1_3genE0ELNS1_11target_archE4294967295ELNS1_3gpuE0ELNS1_3repE0EEENS1_38merge_mergepath_config_static_selectorELNS0_4arch9wavefront6targetE1EEEvSF_
		.amdhsa_group_segment_fixed_size 0
		.amdhsa_private_segment_fixed_size 0
		.amdhsa_kernarg_size 64
		.amdhsa_user_sgpr_count 6
		.amdhsa_user_sgpr_private_segment_buffer 1
		.amdhsa_user_sgpr_dispatch_ptr 0
		.amdhsa_user_sgpr_queue_ptr 0
		.amdhsa_user_sgpr_kernarg_segment_ptr 1
		.amdhsa_user_sgpr_dispatch_id 0
		.amdhsa_user_sgpr_flat_scratch_init 0
		.amdhsa_user_sgpr_kernarg_preload_length 0
		.amdhsa_user_sgpr_kernarg_preload_offset 0
		.amdhsa_user_sgpr_private_segment_size 0
		.amdhsa_uses_dynamic_stack 0
		.amdhsa_system_sgpr_private_segment_wavefront_offset 0
		.amdhsa_system_sgpr_workgroup_id_x 1
		.amdhsa_system_sgpr_workgroup_id_y 0
		.amdhsa_system_sgpr_workgroup_id_z 0
		.amdhsa_system_sgpr_workgroup_info 0
		.amdhsa_system_vgpr_workitem_id 0
		.amdhsa_next_free_vgpr 1
		.amdhsa_next_free_sgpr 0
		.amdhsa_accum_offset 4
		.amdhsa_reserve_vcc 0
		.amdhsa_reserve_flat_scratch 0
		.amdhsa_float_round_mode_32 0
		.amdhsa_float_round_mode_16_64 0
		.amdhsa_float_denorm_mode_32 3
		.amdhsa_float_denorm_mode_16_64 3
		.amdhsa_dx10_clamp 1
		.amdhsa_ieee_mode 1
		.amdhsa_fp16_overflow 0
		.amdhsa_tg_split 0
		.amdhsa_exception_fp_ieee_invalid_op 0
		.amdhsa_exception_fp_denorm_src 0
		.amdhsa_exception_fp_ieee_div_zero 0
		.amdhsa_exception_fp_ieee_overflow 0
		.amdhsa_exception_fp_ieee_underflow 0
		.amdhsa_exception_fp_ieee_inexact 0
		.amdhsa_exception_int_div_zero 0
	.end_amdhsa_kernel
	.section	.text._ZN7rocprim17ROCPRIM_400000_NS6detail17trampoline_kernelINS0_14default_configENS1_38merge_sort_block_merge_config_selectorIaNS0_10empty_typeEEEZZNS1_27merge_sort_block_merge_implIS3_PaPS5_jNS1_19radix_merge_compareILb1ELb0EaNS0_19identity_decomposerEEEEE10hipError_tT0_T1_T2_jT3_P12ihipStream_tbPNSt15iterator_traitsISE_E10value_typeEPNSK_ISF_E10value_typeEPSG_NS1_7vsmem_tEENKUlT_SE_SF_SG_E_clIS8_S8_S9_S9_EESD_ST_SE_SF_SG_EUlST_E0_NS1_11comp_targetILNS1_3genE0ELNS1_11target_archE4294967295ELNS1_3gpuE0ELNS1_3repE0EEENS1_38merge_mergepath_config_static_selectorELNS0_4arch9wavefront6targetE1EEEvSF_,"axG",@progbits,_ZN7rocprim17ROCPRIM_400000_NS6detail17trampoline_kernelINS0_14default_configENS1_38merge_sort_block_merge_config_selectorIaNS0_10empty_typeEEEZZNS1_27merge_sort_block_merge_implIS3_PaPS5_jNS1_19radix_merge_compareILb1ELb0EaNS0_19identity_decomposerEEEEE10hipError_tT0_T1_T2_jT3_P12ihipStream_tbPNSt15iterator_traitsISE_E10value_typeEPNSK_ISF_E10value_typeEPSG_NS1_7vsmem_tEENKUlT_SE_SF_SG_E_clIS8_S8_S9_S9_EESD_ST_SE_SF_SG_EUlST_E0_NS1_11comp_targetILNS1_3genE0ELNS1_11target_archE4294967295ELNS1_3gpuE0ELNS1_3repE0EEENS1_38merge_mergepath_config_static_selectorELNS0_4arch9wavefront6targetE1EEEvSF_,comdat
.Lfunc_end1582:
	.size	_ZN7rocprim17ROCPRIM_400000_NS6detail17trampoline_kernelINS0_14default_configENS1_38merge_sort_block_merge_config_selectorIaNS0_10empty_typeEEEZZNS1_27merge_sort_block_merge_implIS3_PaPS5_jNS1_19radix_merge_compareILb1ELb0EaNS0_19identity_decomposerEEEEE10hipError_tT0_T1_T2_jT3_P12ihipStream_tbPNSt15iterator_traitsISE_E10value_typeEPNSK_ISF_E10value_typeEPSG_NS1_7vsmem_tEENKUlT_SE_SF_SG_E_clIS8_S8_S9_S9_EESD_ST_SE_SF_SG_EUlST_E0_NS1_11comp_targetILNS1_3genE0ELNS1_11target_archE4294967295ELNS1_3gpuE0ELNS1_3repE0EEENS1_38merge_mergepath_config_static_selectorELNS0_4arch9wavefront6targetE1EEEvSF_, .Lfunc_end1582-_ZN7rocprim17ROCPRIM_400000_NS6detail17trampoline_kernelINS0_14default_configENS1_38merge_sort_block_merge_config_selectorIaNS0_10empty_typeEEEZZNS1_27merge_sort_block_merge_implIS3_PaPS5_jNS1_19radix_merge_compareILb1ELb0EaNS0_19identity_decomposerEEEEE10hipError_tT0_T1_T2_jT3_P12ihipStream_tbPNSt15iterator_traitsISE_E10value_typeEPNSK_ISF_E10value_typeEPSG_NS1_7vsmem_tEENKUlT_SE_SF_SG_E_clIS8_S8_S9_S9_EESD_ST_SE_SF_SG_EUlST_E0_NS1_11comp_targetILNS1_3genE0ELNS1_11target_archE4294967295ELNS1_3gpuE0ELNS1_3repE0EEENS1_38merge_mergepath_config_static_selectorELNS0_4arch9wavefront6targetE1EEEvSF_
                                        ; -- End function
	.section	.AMDGPU.csdata,"",@progbits
; Kernel info:
; codeLenInByte = 0
; NumSgprs: 4
; NumVgprs: 0
; NumAgprs: 0
; TotalNumVgprs: 0
; ScratchSize: 0
; MemoryBound: 0
; FloatMode: 240
; IeeeMode: 1
; LDSByteSize: 0 bytes/workgroup (compile time only)
; SGPRBlocks: 0
; VGPRBlocks: 0
; NumSGPRsForWavesPerEU: 4
; NumVGPRsForWavesPerEU: 1
; AccumOffset: 4
; Occupancy: 8
; WaveLimiterHint : 0
; COMPUTE_PGM_RSRC2:SCRATCH_EN: 0
; COMPUTE_PGM_RSRC2:USER_SGPR: 6
; COMPUTE_PGM_RSRC2:TRAP_HANDLER: 0
; COMPUTE_PGM_RSRC2:TGID_X_EN: 1
; COMPUTE_PGM_RSRC2:TGID_Y_EN: 0
; COMPUTE_PGM_RSRC2:TGID_Z_EN: 0
; COMPUTE_PGM_RSRC2:TIDIG_COMP_CNT: 0
; COMPUTE_PGM_RSRC3_GFX90A:ACCUM_OFFSET: 0
; COMPUTE_PGM_RSRC3_GFX90A:TG_SPLIT: 0
	.section	.text._ZN7rocprim17ROCPRIM_400000_NS6detail17trampoline_kernelINS0_14default_configENS1_38merge_sort_block_merge_config_selectorIaNS0_10empty_typeEEEZZNS1_27merge_sort_block_merge_implIS3_PaPS5_jNS1_19radix_merge_compareILb1ELb0EaNS0_19identity_decomposerEEEEE10hipError_tT0_T1_T2_jT3_P12ihipStream_tbPNSt15iterator_traitsISE_E10value_typeEPNSK_ISF_E10value_typeEPSG_NS1_7vsmem_tEENKUlT_SE_SF_SG_E_clIS8_S8_S9_S9_EESD_ST_SE_SF_SG_EUlST_E0_NS1_11comp_targetILNS1_3genE10ELNS1_11target_archE1201ELNS1_3gpuE5ELNS1_3repE0EEENS1_38merge_mergepath_config_static_selectorELNS0_4arch9wavefront6targetE1EEEvSF_,"axG",@progbits,_ZN7rocprim17ROCPRIM_400000_NS6detail17trampoline_kernelINS0_14default_configENS1_38merge_sort_block_merge_config_selectorIaNS0_10empty_typeEEEZZNS1_27merge_sort_block_merge_implIS3_PaPS5_jNS1_19radix_merge_compareILb1ELb0EaNS0_19identity_decomposerEEEEE10hipError_tT0_T1_T2_jT3_P12ihipStream_tbPNSt15iterator_traitsISE_E10value_typeEPNSK_ISF_E10value_typeEPSG_NS1_7vsmem_tEENKUlT_SE_SF_SG_E_clIS8_S8_S9_S9_EESD_ST_SE_SF_SG_EUlST_E0_NS1_11comp_targetILNS1_3genE10ELNS1_11target_archE1201ELNS1_3gpuE5ELNS1_3repE0EEENS1_38merge_mergepath_config_static_selectorELNS0_4arch9wavefront6targetE1EEEvSF_,comdat
	.protected	_ZN7rocprim17ROCPRIM_400000_NS6detail17trampoline_kernelINS0_14default_configENS1_38merge_sort_block_merge_config_selectorIaNS0_10empty_typeEEEZZNS1_27merge_sort_block_merge_implIS3_PaPS5_jNS1_19radix_merge_compareILb1ELb0EaNS0_19identity_decomposerEEEEE10hipError_tT0_T1_T2_jT3_P12ihipStream_tbPNSt15iterator_traitsISE_E10value_typeEPNSK_ISF_E10value_typeEPSG_NS1_7vsmem_tEENKUlT_SE_SF_SG_E_clIS8_S8_S9_S9_EESD_ST_SE_SF_SG_EUlST_E0_NS1_11comp_targetILNS1_3genE10ELNS1_11target_archE1201ELNS1_3gpuE5ELNS1_3repE0EEENS1_38merge_mergepath_config_static_selectorELNS0_4arch9wavefront6targetE1EEEvSF_ ; -- Begin function _ZN7rocprim17ROCPRIM_400000_NS6detail17trampoline_kernelINS0_14default_configENS1_38merge_sort_block_merge_config_selectorIaNS0_10empty_typeEEEZZNS1_27merge_sort_block_merge_implIS3_PaPS5_jNS1_19radix_merge_compareILb1ELb0EaNS0_19identity_decomposerEEEEE10hipError_tT0_T1_T2_jT3_P12ihipStream_tbPNSt15iterator_traitsISE_E10value_typeEPNSK_ISF_E10value_typeEPSG_NS1_7vsmem_tEENKUlT_SE_SF_SG_E_clIS8_S8_S9_S9_EESD_ST_SE_SF_SG_EUlST_E0_NS1_11comp_targetILNS1_3genE10ELNS1_11target_archE1201ELNS1_3gpuE5ELNS1_3repE0EEENS1_38merge_mergepath_config_static_selectorELNS0_4arch9wavefront6targetE1EEEvSF_
	.globl	_ZN7rocprim17ROCPRIM_400000_NS6detail17trampoline_kernelINS0_14default_configENS1_38merge_sort_block_merge_config_selectorIaNS0_10empty_typeEEEZZNS1_27merge_sort_block_merge_implIS3_PaPS5_jNS1_19radix_merge_compareILb1ELb0EaNS0_19identity_decomposerEEEEE10hipError_tT0_T1_T2_jT3_P12ihipStream_tbPNSt15iterator_traitsISE_E10value_typeEPNSK_ISF_E10value_typeEPSG_NS1_7vsmem_tEENKUlT_SE_SF_SG_E_clIS8_S8_S9_S9_EESD_ST_SE_SF_SG_EUlST_E0_NS1_11comp_targetILNS1_3genE10ELNS1_11target_archE1201ELNS1_3gpuE5ELNS1_3repE0EEENS1_38merge_mergepath_config_static_selectorELNS0_4arch9wavefront6targetE1EEEvSF_
	.p2align	8
	.type	_ZN7rocprim17ROCPRIM_400000_NS6detail17trampoline_kernelINS0_14default_configENS1_38merge_sort_block_merge_config_selectorIaNS0_10empty_typeEEEZZNS1_27merge_sort_block_merge_implIS3_PaPS5_jNS1_19radix_merge_compareILb1ELb0EaNS0_19identity_decomposerEEEEE10hipError_tT0_T1_T2_jT3_P12ihipStream_tbPNSt15iterator_traitsISE_E10value_typeEPNSK_ISF_E10value_typeEPSG_NS1_7vsmem_tEENKUlT_SE_SF_SG_E_clIS8_S8_S9_S9_EESD_ST_SE_SF_SG_EUlST_E0_NS1_11comp_targetILNS1_3genE10ELNS1_11target_archE1201ELNS1_3gpuE5ELNS1_3repE0EEENS1_38merge_mergepath_config_static_selectorELNS0_4arch9wavefront6targetE1EEEvSF_,@function
_ZN7rocprim17ROCPRIM_400000_NS6detail17trampoline_kernelINS0_14default_configENS1_38merge_sort_block_merge_config_selectorIaNS0_10empty_typeEEEZZNS1_27merge_sort_block_merge_implIS3_PaPS5_jNS1_19radix_merge_compareILb1ELb0EaNS0_19identity_decomposerEEEEE10hipError_tT0_T1_T2_jT3_P12ihipStream_tbPNSt15iterator_traitsISE_E10value_typeEPNSK_ISF_E10value_typeEPSG_NS1_7vsmem_tEENKUlT_SE_SF_SG_E_clIS8_S8_S9_S9_EESD_ST_SE_SF_SG_EUlST_E0_NS1_11comp_targetILNS1_3genE10ELNS1_11target_archE1201ELNS1_3gpuE5ELNS1_3repE0EEENS1_38merge_mergepath_config_static_selectorELNS0_4arch9wavefront6targetE1EEEvSF_: ; @_ZN7rocprim17ROCPRIM_400000_NS6detail17trampoline_kernelINS0_14default_configENS1_38merge_sort_block_merge_config_selectorIaNS0_10empty_typeEEEZZNS1_27merge_sort_block_merge_implIS3_PaPS5_jNS1_19radix_merge_compareILb1ELb0EaNS0_19identity_decomposerEEEEE10hipError_tT0_T1_T2_jT3_P12ihipStream_tbPNSt15iterator_traitsISE_E10value_typeEPNSK_ISF_E10value_typeEPSG_NS1_7vsmem_tEENKUlT_SE_SF_SG_E_clIS8_S8_S9_S9_EESD_ST_SE_SF_SG_EUlST_E0_NS1_11comp_targetILNS1_3genE10ELNS1_11target_archE1201ELNS1_3gpuE5ELNS1_3repE0EEENS1_38merge_mergepath_config_static_selectorELNS0_4arch9wavefront6targetE1EEEvSF_
; %bb.0:
	.section	.rodata,"a",@progbits
	.p2align	6, 0x0
	.amdhsa_kernel _ZN7rocprim17ROCPRIM_400000_NS6detail17trampoline_kernelINS0_14default_configENS1_38merge_sort_block_merge_config_selectorIaNS0_10empty_typeEEEZZNS1_27merge_sort_block_merge_implIS3_PaPS5_jNS1_19radix_merge_compareILb1ELb0EaNS0_19identity_decomposerEEEEE10hipError_tT0_T1_T2_jT3_P12ihipStream_tbPNSt15iterator_traitsISE_E10value_typeEPNSK_ISF_E10value_typeEPSG_NS1_7vsmem_tEENKUlT_SE_SF_SG_E_clIS8_S8_S9_S9_EESD_ST_SE_SF_SG_EUlST_E0_NS1_11comp_targetILNS1_3genE10ELNS1_11target_archE1201ELNS1_3gpuE5ELNS1_3repE0EEENS1_38merge_mergepath_config_static_selectorELNS0_4arch9wavefront6targetE1EEEvSF_
		.amdhsa_group_segment_fixed_size 0
		.amdhsa_private_segment_fixed_size 0
		.amdhsa_kernarg_size 64
		.amdhsa_user_sgpr_count 6
		.amdhsa_user_sgpr_private_segment_buffer 1
		.amdhsa_user_sgpr_dispatch_ptr 0
		.amdhsa_user_sgpr_queue_ptr 0
		.amdhsa_user_sgpr_kernarg_segment_ptr 1
		.amdhsa_user_sgpr_dispatch_id 0
		.amdhsa_user_sgpr_flat_scratch_init 0
		.amdhsa_user_sgpr_kernarg_preload_length 0
		.amdhsa_user_sgpr_kernarg_preload_offset 0
		.amdhsa_user_sgpr_private_segment_size 0
		.amdhsa_uses_dynamic_stack 0
		.amdhsa_system_sgpr_private_segment_wavefront_offset 0
		.amdhsa_system_sgpr_workgroup_id_x 1
		.amdhsa_system_sgpr_workgroup_id_y 0
		.amdhsa_system_sgpr_workgroup_id_z 0
		.amdhsa_system_sgpr_workgroup_info 0
		.amdhsa_system_vgpr_workitem_id 0
		.amdhsa_next_free_vgpr 1
		.amdhsa_next_free_sgpr 0
		.amdhsa_accum_offset 4
		.amdhsa_reserve_vcc 0
		.amdhsa_reserve_flat_scratch 0
		.amdhsa_float_round_mode_32 0
		.amdhsa_float_round_mode_16_64 0
		.amdhsa_float_denorm_mode_32 3
		.amdhsa_float_denorm_mode_16_64 3
		.amdhsa_dx10_clamp 1
		.amdhsa_ieee_mode 1
		.amdhsa_fp16_overflow 0
		.amdhsa_tg_split 0
		.amdhsa_exception_fp_ieee_invalid_op 0
		.amdhsa_exception_fp_denorm_src 0
		.amdhsa_exception_fp_ieee_div_zero 0
		.amdhsa_exception_fp_ieee_overflow 0
		.amdhsa_exception_fp_ieee_underflow 0
		.amdhsa_exception_fp_ieee_inexact 0
		.amdhsa_exception_int_div_zero 0
	.end_amdhsa_kernel
	.section	.text._ZN7rocprim17ROCPRIM_400000_NS6detail17trampoline_kernelINS0_14default_configENS1_38merge_sort_block_merge_config_selectorIaNS0_10empty_typeEEEZZNS1_27merge_sort_block_merge_implIS3_PaPS5_jNS1_19radix_merge_compareILb1ELb0EaNS0_19identity_decomposerEEEEE10hipError_tT0_T1_T2_jT3_P12ihipStream_tbPNSt15iterator_traitsISE_E10value_typeEPNSK_ISF_E10value_typeEPSG_NS1_7vsmem_tEENKUlT_SE_SF_SG_E_clIS8_S8_S9_S9_EESD_ST_SE_SF_SG_EUlST_E0_NS1_11comp_targetILNS1_3genE10ELNS1_11target_archE1201ELNS1_3gpuE5ELNS1_3repE0EEENS1_38merge_mergepath_config_static_selectorELNS0_4arch9wavefront6targetE1EEEvSF_,"axG",@progbits,_ZN7rocprim17ROCPRIM_400000_NS6detail17trampoline_kernelINS0_14default_configENS1_38merge_sort_block_merge_config_selectorIaNS0_10empty_typeEEEZZNS1_27merge_sort_block_merge_implIS3_PaPS5_jNS1_19radix_merge_compareILb1ELb0EaNS0_19identity_decomposerEEEEE10hipError_tT0_T1_T2_jT3_P12ihipStream_tbPNSt15iterator_traitsISE_E10value_typeEPNSK_ISF_E10value_typeEPSG_NS1_7vsmem_tEENKUlT_SE_SF_SG_E_clIS8_S8_S9_S9_EESD_ST_SE_SF_SG_EUlST_E0_NS1_11comp_targetILNS1_3genE10ELNS1_11target_archE1201ELNS1_3gpuE5ELNS1_3repE0EEENS1_38merge_mergepath_config_static_selectorELNS0_4arch9wavefront6targetE1EEEvSF_,comdat
.Lfunc_end1583:
	.size	_ZN7rocprim17ROCPRIM_400000_NS6detail17trampoline_kernelINS0_14default_configENS1_38merge_sort_block_merge_config_selectorIaNS0_10empty_typeEEEZZNS1_27merge_sort_block_merge_implIS3_PaPS5_jNS1_19radix_merge_compareILb1ELb0EaNS0_19identity_decomposerEEEEE10hipError_tT0_T1_T2_jT3_P12ihipStream_tbPNSt15iterator_traitsISE_E10value_typeEPNSK_ISF_E10value_typeEPSG_NS1_7vsmem_tEENKUlT_SE_SF_SG_E_clIS8_S8_S9_S9_EESD_ST_SE_SF_SG_EUlST_E0_NS1_11comp_targetILNS1_3genE10ELNS1_11target_archE1201ELNS1_3gpuE5ELNS1_3repE0EEENS1_38merge_mergepath_config_static_selectorELNS0_4arch9wavefront6targetE1EEEvSF_, .Lfunc_end1583-_ZN7rocprim17ROCPRIM_400000_NS6detail17trampoline_kernelINS0_14default_configENS1_38merge_sort_block_merge_config_selectorIaNS0_10empty_typeEEEZZNS1_27merge_sort_block_merge_implIS3_PaPS5_jNS1_19radix_merge_compareILb1ELb0EaNS0_19identity_decomposerEEEEE10hipError_tT0_T1_T2_jT3_P12ihipStream_tbPNSt15iterator_traitsISE_E10value_typeEPNSK_ISF_E10value_typeEPSG_NS1_7vsmem_tEENKUlT_SE_SF_SG_E_clIS8_S8_S9_S9_EESD_ST_SE_SF_SG_EUlST_E0_NS1_11comp_targetILNS1_3genE10ELNS1_11target_archE1201ELNS1_3gpuE5ELNS1_3repE0EEENS1_38merge_mergepath_config_static_selectorELNS0_4arch9wavefront6targetE1EEEvSF_
                                        ; -- End function
	.section	.AMDGPU.csdata,"",@progbits
; Kernel info:
; codeLenInByte = 0
; NumSgprs: 4
; NumVgprs: 0
; NumAgprs: 0
; TotalNumVgprs: 0
; ScratchSize: 0
; MemoryBound: 0
; FloatMode: 240
; IeeeMode: 1
; LDSByteSize: 0 bytes/workgroup (compile time only)
; SGPRBlocks: 0
; VGPRBlocks: 0
; NumSGPRsForWavesPerEU: 4
; NumVGPRsForWavesPerEU: 1
; AccumOffset: 4
; Occupancy: 8
; WaveLimiterHint : 0
; COMPUTE_PGM_RSRC2:SCRATCH_EN: 0
; COMPUTE_PGM_RSRC2:USER_SGPR: 6
; COMPUTE_PGM_RSRC2:TRAP_HANDLER: 0
; COMPUTE_PGM_RSRC2:TGID_X_EN: 1
; COMPUTE_PGM_RSRC2:TGID_Y_EN: 0
; COMPUTE_PGM_RSRC2:TGID_Z_EN: 0
; COMPUTE_PGM_RSRC2:TIDIG_COMP_CNT: 0
; COMPUTE_PGM_RSRC3_GFX90A:ACCUM_OFFSET: 0
; COMPUTE_PGM_RSRC3_GFX90A:TG_SPLIT: 0
	.section	.text._ZN7rocprim17ROCPRIM_400000_NS6detail17trampoline_kernelINS0_14default_configENS1_38merge_sort_block_merge_config_selectorIaNS0_10empty_typeEEEZZNS1_27merge_sort_block_merge_implIS3_PaPS5_jNS1_19radix_merge_compareILb1ELb0EaNS0_19identity_decomposerEEEEE10hipError_tT0_T1_T2_jT3_P12ihipStream_tbPNSt15iterator_traitsISE_E10value_typeEPNSK_ISF_E10value_typeEPSG_NS1_7vsmem_tEENKUlT_SE_SF_SG_E_clIS8_S8_S9_S9_EESD_ST_SE_SF_SG_EUlST_E0_NS1_11comp_targetILNS1_3genE5ELNS1_11target_archE942ELNS1_3gpuE9ELNS1_3repE0EEENS1_38merge_mergepath_config_static_selectorELNS0_4arch9wavefront6targetE1EEEvSF_,"axG",@progbits,_ZN7rocprim17ROCPRIM_400000_NS6detail17trampoline_kernelINS0_14default_configENS1_38merge_sort_block_merge_config_selectorIaNS0_10empty_typeEEEZZNS1_27merge_sort_block_merge_implIS3_PaPS5_jNS1_19radix_merge_compareILb1ELb0EaNS0_19identity_decomposerEEEEE10hipError_tT0_T1_T2_jT3_P12ihipStream_tbPNSt15iterator_traitsISE_E10value_typeEPNSK_ISF_E10value_typeEPSG_NS1_7vsmem_tEENKUlT_SE_SF_SG_E_clIS8_S8_S9_S9_EESD_ST_SE_SF_SG_EUlST_E0_NS1_11comp_targetILNS1_3genE5ELNS1_11target_archE942ELNS1_3gpuE9ELNS1_3repE0EEENS1_38merge_mergepath_config_static_selectorELNS0_4arch9wavefront6targetE1EEEvSF_,comdat
	.protected	_ZN7rocprim17ROCPRIM_400000_NS6detail17trampoline_kernelINS0_14default_configENS1_38merge_sort_block_merge_config_selectorIaNS0_10empty_typeEEEZZNS1_27merge_sort_block_merge_implIS3_PaPS5_jNS1_19radix_merge_compareILb1ELb0EaNS0_19identity_decomposerEEEEE10hipError_tT0_T1_T2_jT3_P12ihipStream_tbPNSt15iterator_traitsISE_E10value_typeEPNSK_ISF_E10value_typeEPSG_NS1_7vsmem_tEENKUlT_SE_SF_SG_E_clIS8_S8_S9_S9_EESD_ST_SE_SF_SG_EUlST_E0_NS1_11comp_targetILNS1_3genE5ELNS1_11target_archE942ELNS1_3gpuE9ELNS1_3repE0EEENS1_38merge_mergepath_config_static_selectorELNS0_4arch9wavefront6targetE1EEEvSF_ ; -- Begin function _ZN7rocprim17ROCPRIM_400000_NS6detail17trampoline_kernelINS0_14default_configENS1_38merge_sort_block_merge_config_selectorIaNS0_10empty_typeEEEZZNS1_27merge_sort_block_merge_implIS3_PaPS5_jNS1_19radix_merge_compareILb1ELb0EaNS0_19identity_decomposerEEEEE10hipError_tT0_T1_T2_jT3_P12ihipStream_tbPNSt15iterator_traitsISE_E10value_typeEPNSK_ISF_E10value_typeEPSG_NS1_7vsmem_tEENKUlT_SE_SF_SG_E_clIS8_S8_S9_S9_EESD_ST_SE_SF_SG_EUlST_E0_NS1_11comp_targetILNS1_3genE5ELNS1_11target_archE942ELNS1_3gpuE9ELNS1_3repE0EEENS1_38merge_mergepath_config_static_selectorELNS0_4arch9wavefront6targetE1EEEvSF_
	.globl	_ZN7rocprim17ROCPRIM_400000_NS6detail17trampoline_kernelINS0_14default_configENS1_38merge_sort_block_merge_config_selectorIaNS0_10empty_typeEEEZZNS1_27merge_sort_block_merge_implIS3_PaPS5_jNS1_19radix_merge_compareILb1ELb0EaNS0_19identity_decomposerEEEEE10hipError_tT0_T1_T2_jT3_P12ihipStream_tbPNSt15iterator_traitsISE_E10value_typeEPNSK_ISF_E10value_typeEPSG_NS1_7vsmem_tEENKUlT_SE_SF_SG_E_clIS8_S8_S9_S9_EESD_ST_SE_SF_SG_EUlST_E0_NS1_11comp_targetILNS1_3genE5ELNS1_11target_archE942ELNS1_3gpuE9ELNS1_3repE0EEENS1_38merge_mergepath_config_static_selectorELNS0_4arch9wavefront6targetE1EEEvSF_
	.p2align	8
	.type	_ZN7rocprim17ROCPRIM_400000_NS6detail17trampoline_kernelINS0_14default_configENS1_38merge_sort_block_merge_config_selectorIaNS0_10empty_typeEEEZZNS1_27merge_sort_block_merge_implIS3_PaPS5_jNS1_19radix_merge_compareILb1ELb0EaNS0_19identity_decomposerEEEEE10hipError_tT0_T1_T2_jT3_P12ihipStream_tbPNSt15iterator_traitsISE_E10value_typeEPNSK_ISF_E10value_typeEPSG_NS1_7vsmem_tEENKUlT_SE_SF_SG_E_clIS8_S8_S9_S9_EESD_ST_SE_SF_SG_EUlST_E0_NS1_11comp_targetILNS1_3genE5ELNS1_11target_archE942ELNS1_3gpuE9ELNS1_3repE0EEENS1_38merge_mergepath_config_static_selectorELNS0_4arch9wavefront6targetE1EEEvSF_,@function
_ZN7rocprim17ROCPRIM_400000_NS6detail17trampoline_kernelINS0_14default_configENS1_38merge_sort_block_merge_config_selectorIaNS0_10empty_typeEEEZZNS1_27merge_sort_block_merge_implIS3_PaPS5_jNS1_19radix_merge_compareILb1ELb0EaNS0_19identity_decomposerEEEEE10hipError_tT0_T1_T2_jT3_P12ihipStream_tbPNSt15iterator_traitsISE_E10value_typeEPNSK_ISF_E10value_typeEPSG_NS1_7vsmem_tEENKUlT_SE_SF_SG_E_clIS8_S8_S9_S9_EESD_ST_SE_SF_SG_EUlST_E0_NS1_11comp_targetILNS1_3genE5ELNS1_11target_archE942ELNS1_3gpuE9ELNS1_3repE0EEENS1_38merge_mergepath_config_static_selectorELNS0_4arch9wavefront6targetE1EEEvSF_: ; @_ZN7rocprim17ROCPRIM_400000_NS6detail17trampoline_kernelINS0_14default_configENS1_38merge_sort_block_merge_config_selectorIaNS0_10empty_typeEEEZZNS1_27merge_sort_block_merge_implIS3_PaPS5_jNS1_19radix_merge_compareILb1ELb0EaNS0_19identity_decomposerEEEEE10hipError_tT0_T1_T2_jT3_P12ihipStream_tbPNSt15iterator_traitsISE_E10value_typeEPNSK_ISF_E10value_typeEPSG_NS1_7vsmem_tEENKUlT_SE_SF_SG_E_clIS8_S8_S9_S9_EESD_ST_SE_SF_SG_EUlST_E0_NS1_11comp_targetILNS1_3genE5ELNS1_11target_archE942ELNS1_3gpuE9ELNS1_3repE0EEENS1_38merge_mergepath_config_static_selectorELNS0_4arch9wavefront6targetE1EEEvSF_
; %bb.0:
	.section	.rodata,"a",@progbits
	.p2align	6, 0x0
	.amdhsa_kernel _ZN7rocprim17ROCPRIM_400000_NS6detail17trampoline_kernelINS0_14default_configENS1_38merge_sort_block_merge_config_selectorIaNS0_10empty_typeEEEZZNS1_27merge_sort_block_merge_implIS3_PaPS5_jNS1_19radix_merge_compareILb1ELb0EaNS0_19identity_decomposerEEEEE10hipError_tT0_T1_T2_jT3_P12ihipStream_tbPNSt15iterator_traitsISE_E10value_typeEPNSK_ISF_E10value_typeEPSG_NS1_7vsmem_tEENKUlT_SE_SF_SG_E_clIS8_S8_S9_S9_EESD_ST_SE_SF_SG_EUlST_E0_NS1_11comp_targetILNS1_3genE5ELNS1_11target_archE942ELNS1_3gpuE9ELNS1_3repE0EEENS1_38merge_mergepath_config_static_selectorELNS0_4arch9wavefront6targetE1EEEvSF_
		.amdhsa_group_segment_fixed_size 0
		.amdhsa_private_segment_fixed_size 0
		.amdhsa_kernarg_size 64
		.amdhsa_user_sgpr_count 6
		.amdhsa_user_sgpr_private_segment_buffer 1
		.amdhsa_user_sgpr_dispatch_ptr 0
		.amdhsa_user_sgpr_queue_ptr 0
		.amdhsa_user_sgpr_kernarg_segment_ptr 1
		.amdhsa_user_sgpr_dispatch_id 0
		.amdhsa_user_sgpr_flat_scratch_init 0
		.amdhsa_user_sgpr_kernarg_preload_length 0
		.amdhsa_user_sgpr_kernarg_preload_offset 0
		.amdhsa_user_sgpr_private_segment_size 0
		.amdhsa_uses_dynamic_stack 0
		.amdhsa_system_sgpr_private_segment_wavefront_offset 0
		.amdhsa_system_sgpr_workgroup_id_x 1
		.amdhsa_system_sgpr_workgroup_id_y 0
		.amdhsa_system_sgpr_workgroup_id_z 0
		.amdhsa_system_sgpr_workgroup_info 0
		.amdhsa_system_vgpr_workitem_id 0
		.amdhsa_next_free_vgpr 1
		.amdhsa_next_free_sgpr 0
		.amdhsa_accum_offset 4
		.amdhsa_reserve_vcc 0
		.amdhsa_reserve_flat_scratch 0
		.amdhsa_float_round_mode_32 0
		.amdhsa_float_round_mode_16_64 0
		.amdhsa_float_denorm_mode_32 3
		.amdhsa_float_denorm_mode_16_64 3
		.amdhsa_dx10_clamp 1
		.amdhsa_ieee_mode 1
		.amdhsa_fp16_overflow 0
		.amdhsa_tg_split 0
		.amdhsa_exception_fp_ieee_invalid_op 0
		.amdhsa_exception_fp_denorm_src 0
		.amdhsa_exception_fp_ieee_div_zero 0
		.amdhsa_exception_fp_ieee_overflow 0
		.amdhsa_exception_fp_ieee_underflow 0
		.amdhsa_exception_fp_ieee_inexact 0
		.amdhsa_exception_int_div_zero 0
	.end_amdhsa_kernel
	.section	.text._ZN7rocprim17ROCPRIM_400000_NS6detail17trampoline_kernelINS0_14default_configENS1_38merge_sort_block_merge_config_selectorIaNS0_10empty_typeEEEZZNS1_27merge_sort_block_merge_implIS3_PaPS5_jNS1_19radix_merge_compareILb1ELb0EaNS0_19identity_decomposerEEEEE10hipError_tT0_T1_T2_jT3_P12ihipStream_tbPNSt15iterator_traitsISE_E10value_typeEPNSK_ISF_E10value_typeEPSG_NS1_7vsmem_tEENKUlT_SE_SF_SG_E_clIS8_S8_S9_S9_EESD_ST_SE_SF_SG_EUlST_E0_NS1_11comp_targetILNS1_3genE5ELNS1_11target_archE942ELNS1_3gpuE9ELNS1_3repE0EEENS1_38merge_mergepath_config_static_selectorELNS0_4arch9wavefront6targetE1EEEvSF_,"axG",@progbits,_ZN7rocprim17ROCPRIM_400000_NS6detail17trampoline_kernelINS0_14default_configENS1_38merge_sort_block_merge_config_selectorIaNS0_10empty_typeEEEZZNS1_27merge_sort_block_merge_implIS3_PaPS5_jNS1_19radix_merge_compareILb1ELb0EaNS0_19identity_decomposerEEEEE10hipError_tT0_T1_T2_jT3_P12ihipStream_tbPNSt15iterator_traitsISE_E10value_typeEPNSK_ISF_E10value_typeEPSG_NS1_7vsmem_tEENKUlT_SE_SF_SG_E_clIS8_S8_S9_S9_EESD_ST_SE_SF_SG_EUlST_E0_NS1_11comp_targetILNS1_3genE5ELNS1_11target_archE942ELNS1_3gpuE9ELNS1_3repE0EEENS1_38merge_mergepath_config_static_selectorELNS0_4arch9wavefront6targetE1EEEvSF_,comdat
.Lfunc_end1584:
	.size	_ZN7rocprim17ROCPRIM_400000_NS6detail17trampoline_kernelINS0_14default_configENS1_38merge_sort_block_merge_config_selectorIaNS0_10empty_typeEEEZZNS1_27merge_sort_block_merge_implIS3_PaPS5_jNS1_19radix_merge_compareILb1ELb0EaNS0_19identity_decomposerEEEEE10hipError_tT0_T1_T2_jT3_P12ihipStream_tbPNSt15iterator_traitsISE_E10value_typeEPNSK_ISF_E10value_typeEPSG_NS1_7vsmem_tEENKUlT_SE_SF_SG_E_clIS8_S8_S9_S9_EESD_ST_SE_SF_SG_EUlST_E0_NS1_11comp_targetILNS1_3genE5ELNS1_11target_archE942ELNS1_3gpuE9ELNS1_3repE0EEENS1_38merge_mergepath_config_static_selectorELNS0_4arch9wavefront6targetE1EEEvSF_, .Lfunc_end1584-_ZN7rocprim17ROCPRIM_400000_NS6detail17trampoline_kernelINS0_14default_configENS1_38merge_sort_block_merge_config_selectorIaNS0_10empty_typeEEEZZNS1_27merge_sort_block_merge_implIS3_PaPS5_jNS1_19radix_merge_compareILb1ELb0EaNS0_19identity_decomposerEEEEE10hipError_tT0_T1_T2_jT3_P12ihipStream_tbPNSt15iterator_traitsISE_E10value_typeEPNSK_ISF_E10value_typeEPSG_NS1_7vsmem_tEENKUlT_SE_SF_SG_E_clIS8_S8_S9_S9_EESD_ST_SE_SF_SG_EUlST_E0_NS1_11comp_targetILNS1_3genE5ELNS1_11target_archE942ELNS1_3gpuE9ELNS1_3repE0EEENS1_38merge_mergepath_config_static_selectorELNS0_4arch9wavefront6targetE1EEEvSF_
                                        ; -- End function
	.section	.AMDGPU.csdata,"",@progbits
; Kernel info:
; codeLenInByte = 0
; NumSgprs: 4
; NumVgprs: 0
; NumAgprs: 0
; TotalNumVgprs: 0
; ScratchSize: 0
; MemoryBound: 0
; FloatMode: 240
; IeeeMode: 1
; LDSByteSize: 0 bytes/workgroup (compile time only)
; SGPRBlocks: 0
; VGPRBlocks: 0
; NumSGPRsForWavesPerEU: 4
; NumVGPRsForWavesPerEU: 1
; AccumOffset: 4
; Occupancy: 8
; WaveLimiterHint : 0
; COMPUTE_PGM_RSRC2:SCRATCH_EN: 0
; COMPUTE_PGM_RSRC2:USER_SGPR: 6
; COMPUTE_PGM_RSRC2:TRAP_HANDLER: 0
; COMPUTE_PGM_RSRC2:TGID_X_EN: 1
; COMPUTE_PGM_RSRC2:TGID_Y_EN: 0
; COMPUTE_PGM_RSRC2:TGID_Z_EN: 0
; COMPUTE_PGM_RSRC2:TIDIG_COMP_CNT: 0
; COMPUTE_PGM_RSRC3_GFX90A:ACCUM_OFFSET: 0
; COMPUTE_PGM_RSRC3_GFX90A:TG_SPLIT: 0
	.section	.text._ZN7rocprim17ROCPRIM_400000_NS6detail17trampoline_kernelINS0_14default_configENS1_38merge_sort_block_merge_config_selectorIaNS0_10empty_typeEEEZZNS1_27merge_sort_block_merge_implIS3_PaPS5_jNS1_19radix_merge_compareILb1ELb0EaNS0_19identity_decomposerEEEEE10hipError_tT0_T1_T2_jT3_P12ihipStream_tbPNSt15iterator_traitsISE_E10value_typeEPNSK_ISF_E10value_typeEPSG_NS1_7vsmem_tEENKUlT_SE_SF_SG_E_clIS8_S8_S9_S9_EESD_ST_SE_SF_SG_EUlST_E0_NS1_11comp_targetILNS1_3genE4ELNS1_11target_archE910ELNS1_3gpuE8ELNS1_3repE0EEENS1_38merge_mergepath_config_static_selectorELNS0_4arch9wavefront6targetE1EEEvSF_,"axG",@progbits,_ZN7rocprim17ROCPRIM_400000_NS6detail17trampoline_kernelINS0_14default_configENS1_38merge_sort_block_merge_config_selectorIaNS0_10empty_typeEEEZZNS1_27merge_sort_block_merge_implIS3_PaPS5_jNS1_19radix_merge_compareILb1ELb0EaNS0_19identity_decomposerEEEEE10hipError_tT0_T1_T2_jT3_P12ihipStream_tbPNSt15iterator_traitsISE_E10value_typeEPNSK_ISF_E10value_typeEPSG_NS1_7vsmem_tEENKUlT_SE_SF_SG_E_clIS8_S8_S9_S9_EESD_ST_SE_SF_SG_EUlST_E0_NS1_11comp_targetILNS1_3genE4ELNS1_11target_archE910ELNS1_3gpuE8ELNS1_3repE0EEENS1_38merge_mergepath_config_static_selectorELNS0_4arch9wavefront6targetE1EEEvSF_,comdat
	.protected	_ZN7rocprim17ROCPRIM_400000_NS6detail17trampoline_kernelINS0_14default_configENS1_38merge_sort_block_merge_config_selectorIaNS0_10empty_typeEEEZZNS1_27merge_sort_block_merge_implIS3_PaPS5_jNS1_19radix_merge_compareILb1ELb0EaNS0_19identity_decomposerEEEEE10hipError_tT0_T1_T2_jT3_P12ihipStream_tbPNSt15iterator_traitsISE_E10value_typeEPNSK_ISF_E10value_typeEPSG_NS1_7vsmem_tEENKUlT_SE_SF_SG_E_clIS8_S8_S9_S9_EESD_ST_SE_SF_SG_EUlST_E0_NS1_11comp_targetILNS1_3genE4ELNS1_11target_archE910ELNS1_3gpuE8ELNS1_3repE0EEENS1_38merge_mergepath_config_static_selectorELNS0_4arch9wavefront6targetE1EEEvSF_ ; -- Begin function _ZN7rocprim17ROCPRIM_400000_NS6detail17trampoline_kernelINS0_14default_configENS1_38merge_sort_block_merge_config_selectorIaNS0_10empty_typeEEEZZNS1_27merge_sort_block_merge_implIS3_PaPS5_jNS1_19radix_merge_compareILb1ELb0EaNS0_19identity_decomposerEEEEE10hipError_tT0_T1_T2_jT3_P12ihipStream_tbPNSt15iterator_traitsISE_E10value_typeEPNSK_ISF_E10value_typeEPSG_NS1_7vsmem_tEENKUlT_SE_SF_SG_E_clIS8_S8_S9_S9_EESD_ST_SE_SF_SG_EUlST_E0_NS1_11comp_targetILNS1_3genE4ELNS1_11target_archE910ELNS1_3gpuE8ELNS1_3repE0EEENS1_38merge_mergepath_config_static_selectorELNS0_4arch9wavefront6targetE1EEEvSF_
	.globl	_ZN7rocprim17ROCPRIM_400000_NS6detail17trampoline_kernelINS0_14default_configENS1_38merge_sort_block_merge_config_selectorIaNS0_10empty_typeEEEZZNS1_27merge_sort_block_merge_implIS3_PaPS5_jNS1_19radix_merge_compareILb1ELb0EaNS0_19identity_decomposerEEEEE10hipError_tT0_T1_T2_jT3_P12ihipStream_tbPNSt15iterator_traitsISE_E10value_typeEPNSK_ISF_E10value_typeEPSG_NS1_7vsmem_tEENKUlT_SE_SF_SG_E_clIS8_S8_S9_S9_EESD_ST_SE_SF_SG_EUlST_E0_NS1_11comp_targetILNS1_3genE4ELNS1_11target_archE910ELNS1_3gpuE8ELNS1_3repE0EEENS1_38merge_mergepath_config_static_selectorELNS0_4arch9wavefront6targetE1EEEvSF_
	.p2align	8
	.type	_ZN7rocprim17ROCPRIM_400000_NS6detail17trampoline_kernelINS0_14default_configENS1_38merge_sort_block_merge_config_selectorIaNS0_10empty_typeEEEZZNS1_27merge_sort_block_merge_implIS3_PaPS5_jNS1_19radix_merge_compareILb1ELb0EaNS0_19identity_decomposerEEEEE10hipError_tT0_T1_T2_jT3_P12ihipStream_tbPNSt15iterator_traitsISE_E10value_typeEPNSK_ISF_E10value_typeEPSG_NS1_7vsmem_tEENKUlT_SE_SF_SG_E_clIS8_S8_S9_S9_EESD_ST_SE_SF_SG_EUlST_E0_NS1_11comp_targetILNS1_3genE4ELNS1_11target_archE910ELNS1_3gpuE8ELNS1_3repE0EEENS1_38merge_mergepath_config_static_selectorELNS0_4arch9wavefront6targetE1EEEvSF_,@function
_ZN7rocprim17ROCPRIM_400000_NS6detail17trampoline_kernelINS0_14default_configENS1_38merge_sort_block_merge_config_selectorIaNS0_10empty_typeEEEZZNS1_27merge_sort_block_merge_implIS3_PaPS5_jNS1_19radix_merge_compareILb1ELb0EaNS0_19identity_decomposerEEEEE10hipError_tT0_T1_T2_jT3_P12ihipStream_tbPNSt15iterator_traitsISE_E10value_typeEPNSK_ISF_E10value_typeEPSG_NS1_7vsmem_tEENKUlT_SE_SF_SG_E_clIS8_S8_S9_S9_EESD_ST_SE_SF_SG_EUlST_E0_NS1_11comp_targetILNS1_3genE4ELNS1_11target_archE910ELNS1_3gpuE8ELNS1_3repE0EEENS1_38merge_mergepath_config_static_selectorELNS0_4arch9wavefront6targetE1EEEvSF_: ; @_ZN7rocprim17ROCPRIM_400000_NS6detail17trampoline_kernelINS0_14default_configENS1_38merge_sort_block_merge_config_selectorIaNS0_10empty_typeEEEZZNS1_27merge_sort_block_merge_implIS3_PaPS5_jNS1_19radix_merge_compareILb1ELb0EaNS0_19identity_decomposerEEEEE10hipError_tT0_T1_T2_jT3_P12ihipStream_tbPNSt15iterator_traitsISE_E10value_typeEPNSK_ISF_E10value_typeEPSG_NS1_7vsmem_tEENKUlT_SE_SF_SG_E_clIS8_S8_S9_S9_EESD_ST_SE_SF_SG_EUlST_E0_NS1_11comp_targetILNS1_3genE4ELNS1_11target_archE910ELNS1_3gpuE8ELNS1_3repE0EEENS1_38merge_mergepath_config_static_selectorELNS0_4arch9wavefront6targetE1EEEvSF_
; %bb.0:
	s_load_dwordx2 s[10:11], s[4:5], 0x40
	s_load_dword s1, s[4:5], 0x30
	s_add_u32 s2, s4, 64
	s_addc_u32 s3, s5, 0
	s_waitcnt lgkmcnt(0)
	s_mul_i32 s0, s11, s8
	s_add_i32 s0, s0, s7
	s_mul_i32 s0, s0, s10
	s_add_i32 s0, s0, s6
	s_cmp_ge_u32 s0, s1
	s_cbranch_scc1 .LBB1585_51
; %bb.1:
	s_load_dwordx2 s[12:13], s[4:5], 0x28
	s_load_dwordx2 s[8:9], s[4:5], 0x38
	;; [unrolled: 1-line block ×3, first 2 shown]
	s_mov_b32 s1, 0
	v_mov_b32_e32 v1, 0
	s_waitcnt lgkmcnt(0)
	s_lshr_b32 s21, s12, 10
	s_cmp_lg_u32 s0, s21
	s_cselect_b64 s[14:15], -1, 0
	s_lshl_b64 s[18:19], s[0:1], 2
	s_add_u32 s8, s8, s18
	s_addc_u32 s9, s9, s19
	s_lshr_b32 s1, s13, 9
	s_and_b32 s1, s1, 0x7ffffe
	s_load_dwordx2 s[8:9], s[8:9], 0x0
	s_sub_i32 s1, 0, s1
	s_and_b32 s7, s0, s1
	s_lshl_b32 s11, s7, 10
	s_lshl_b32 s20, s0, 10
	s_lshl_b32 s7, s7, 11
	s_sub_i32 s18, s20, s11
	s_add_i32 s7, s7, s13
	s_add_i32 s18, s7, s18
	s_waitcnt lgkmcnt(0)
	s_sub_i32 s19, s18, s8
	s_sub_i32 s18, s18, s9
	s_sub_i32 s7, s7, s11
	s_min_u32 s19, s12, s19
	s_addk_i32 s18, 0x400
	s_or_b32 s1, s0, s1
	s_min_u32 s11, s12, s7
	s_add_i32 s7, s7, s13
	s_cmp_eq_u32 s1, -1
	s_cselect_b32 s1, s7, s18
	s_cselect_b32 s7, s11, s9
	s_min_u32 s1, s1, s12
	s_sub_i32 s13, s7, s8
	s_sub_i32 s7, s1, s19
	s_add_u32 s11, s16, s8
	s_addc_u32 s18, s17, 0
	s_add_u32 s8, s16, s19
	s_addc_u32 s9, s17, 0
	s_cmp_lt_u32 s6, s10
	s_cselect_b32 s1, 12, 18
	global_load_dword v2, v1, s[2:3] offset:14
	s_add_u32 s2, s2, s1
	s_addc_u32 s3, s3, 0
	global_load_ushort v1, v1, s[2:3]
	s_cmp_eq_u32 s0, s21
	s_waitcnt vmcnt(1)
	v_lshrrev_b32_e32 v3, 16, v2
	v_and_b32_e32 v2, 0xffff, v2
	v_mul_lo_u32 v2, v2, v3
	s_waitcnt vmcnt(0)
	v_mul_lo_u32 v4, v2, v1
	v_add_u32_e32 v10, v4, v0
	v_add_u32_e32 v8, v10, v4
	s_cbranch_scc1 .LBB1585_3
; %bb.2:
	v_mov_b32_e32 v1, s18
	v_add_co_u32_e32 v2, vcc, s11, v0
	v_addc_co_u32_e32 v1, vcc, 0, v1, vcc
	v_subrev_u32_e32 v3, s13, v0
	v_mov_b32_e32 v5, s9
	v_add_co_u32_e32 v3, vcc, s8, v3
	v_addc_co_u32_e32 v5, vcc, 0, v5, vcc
	v_cmp_gt_u32_e32 vcc, s13, v0
	v_cndmask_b32_e32 v13, v5, v1, vcc
	v_cndmask_b32_e32 v12, v3, v2, vcc
	v_mov_b32_e32 v1, s18
	v_add_co_u32_e32 v2, vcc, s11, v10
	v_addc_co_u32_e32 v1, vcc, 0, v1, vcc
	v_subrev_u32_e32 v3, s13, v10
	v_mov_b32_e32 v5, s9
	v_add_co_u32_e32 v3, vcc, s8, v3
	v_addc_co_u32_e32 v5, vcc, 0, v5, vcc
	v_cmp_gt_u32_e32 vcc, s13, v10
	v_cndmask_b32_e32 v15, v5, v1, vcc
	v_cndmask_b32_e32 v14, v3, v2, vcc
	v_mov_b32_e32 v1, s18
	v_add_co_u32_e32 v2, vcc, s11, v8
	v_addc_co_u32_e32 v1, vcc, 0, v1, vcc
	v_subrev_u32_e32 v3, s13, v8
	v_mov_b32_e32 v5, s9
	v_add_co_u32_e32 v3, vcc, s8, v3
	v_addc_co_u32_e32 v5, vcc, 0, v5, vcc
	v_cmp_gt_u32_e32 vcc, s13, v8
	v_cndmask_b32_e32 v17, v5, v1, vcc
	v_add_u32_e32 v1, v8, v4
	v_cndmask_b32_e32 v16, v3, v2, vcc
	v_mov_b32_e32 v2, s18
	v_add_co_u32_e32 v3, vcc, s11, v1
	v_addc_co_u32_e32 v2, vcc, 0, v2, vcc
	v_subrev_u32_e32 v5, s13, v1
	v_mov_b32_e32 v6, s9
	v_add_co_u32_e32 v5, vcc, s8, v5
	v_addc_co_u32_e32 v6, vcc, 0, v6, vcc
	v_cmp_gt_u32_e32 vcc, s13, v1
	v_add_u32_e32 v1, v1, v4
	v_cndmask_b32_e32 v19, v6, v2, vcc
	v_cndmask_b32_e32 v18, v5, v3, vcc
	v_mov_b32_e32 v2, s18
	v_add_co_u32_e32 v3, vcc, s11, v1
	v_addc_co_u32_e32 v2, vcc, 0, v2, vcc
	v_subrev_u32_e32 v5, s13, v1
	v_mov_b32_e32 v6, s9
	v_add_co_u32_e32 v5, vcc, s8, v5
	v_addc_co_u32_e32 v6, vcc, 0, v6, vcc
	v_cmp_gt_u32_e32 vcc, s13, v1
	v_add_u32_e32 v1, v1, v4
	v_cndmask_b32_e32 v21, v6, v2, vcc
	;; [unrolled: 11-line block ×4, first 2 shown]
	v_cndmask_b32_e32 v24, v5, v3, vcc
	v_mov_b32_e32 v2, s18
	v_add_co_u32_e32 v3, vcc, s11, v1
	v_addc_co_u32_e32 v2, vcc, 0, v2, vcc
	v_subrev_u32_e32 v5, s13, v1
	v_mov_b32_e32 v6, s9
	v_add_co_u32_e32 v5, vcc, s8, v5
	v_addc_co_u32_e32 v6, vcc, 0, v6, vcc
	v_cmp_gt_u32_e32 vcc, s13, v1
	v_cndmask_b32_e32 v27, v6, v2, vcc
	v_cndmask_b32_e32 v26, v5, v3, vcc
	global_load_ubyte v1, v[12:13], off
	global_load_ubyte v2, v[14:15], off
	global_load_ubyte v3, v[16:17], off
	global_load_ubyte v5, v[18:19], off
	global_load_ubyte v6, v[20:21], off
	global_load_ubyte v7, v[22:23], off
	global_load_ubyte v9, v[24:25], off
	global_load_ubyte v11, v[26:27], off
	s_add_i32 s21, s7, s13
	s_load_dwordx2 s[16:17], s[4:5], 0x10
	s_cbranch_execz .LBB1585_4
	s_branch .LBB1585_21
.LBB1585_3:
                                        ; implicit-def: $vgpr1
                                        ; implicit-def: $vgpr2
                                        ; implicit-def: $vgpr3
                                        ; implicit-def: $vgpr5
                                        ; implicit-def: $vgpr6
                                        ; implicit-def: $vgpr7
                                        ; implicit-def: $vgpr9
                                        ; implicit-def: $vgpr11
                                        ; implicit-def: $sgpr21
	s_load_dwordx2 s[16:17], s[4:5], 0x10
.LBB1585_4:
	s_add_i32 s21, s7, s13
	v_cmp_gt_u32_e32 vcc, s21, v0
                                        ; implicit-def: $vgpr1
	s_and_saveexec_b64 s[0:1], vcc
	s_cbranch_execz .LBB1585_6
; %bb.5:
	s_waitcnt vmcnt(7)
	v_mov_b32_e32 v1, s18
	s_waitcnt vmcnt(6)
	v_add_co_u32_e32 v2, vcc, s11, v0
	v_addc_co_u32_e32 v1, vcc, 0, v1, vcc
	s_waitcnt vmcnt(5)
	v_subrev_u32_e32 v3, s13, v0
	s_waitcnt vmcnt(4)
	v_mov_b32_e32 v5, s9
	s_waitcnt vmcnt(3)
	v_add_co_u32_e32 v6, vcc, s8, v3
	v_addc_co_u32_e32 v3, vcc, 0, v5, vcc
	v_cmp_gt_u32_e32 vcc, s13, v0
	v_cndmask_b32_e32 v3, v3, v1, vcc
	v_cndmask_b32_e32 v2, v6, v2, vcc
	global_load_ubyte v1, v[2:3], off
.LBB1585_6:
	s_or_b64 exec, exec, s[0:1]
	v_cmp_gt_u32_e32 vcc, s21, v10
                                        ; implicit-def: $vgpr2
	s_and_saveexec_b64 s[0:1], vcc
	s_cbranch_execz .LBB1585_8
; %bb.7:
	s_waitcnt vmcnt(6)
	v_mov_b32_e32 v2, s18
	s_waitcnt vmcnt(4)
	v_add_co_u32_e32 v5, vcc, s11, v10
	v_addc_co_u32_e32 v2, vcc, 0, v2, vcc
	v_subrev_u32_e32 v3, s13, v10
	s_waitcnt vmcnt(3)
	v_mov_b32_e32 v6, s9
	s_waitcnt vmcnt(2)
	v_add_co_u32_e32 v7, vcc, s8, v3
	v_addc_co_u32_e32 v3, vcc, 0, v6, vcc
	v_cmp_gt_u32_e32 vcc, s13, v10
	v_cndmask_b32_e32 v3, v3, v2, vcc
	v_cndmask_b32_e32 v2, v7, v5, vcc
	global_load_ubyte v2, v[2:3], off
.LBB1585_8:
	s_or_b64 exec, exec, s[0:1]
	v_cmp_gt_u32_e32 vcc, s21, v8
                                        ; implicit-def: $vgpr3
	s_and_saveexec_b64 s[0:1], vcc
	s_cbranch_execz .LBB1585_10
; %bb.9:
	s_waitcnt vmcnt(5)
	v_mov_b32_e32 v3, s18
	s_waitcnt vmcnt(4)
	v_add_co_u32_e32 v5, vcc, s11, v8
	v_addc_co_u32_e32 v3, vcc, 0, v3, vcc
	s_waitcnt vmcnt(3)
	v_subrev_u32_e32 v6, s13, v8
	s_waitcnt vmcnt(2)
	v_mov_b32_e32 v7, s9
	v_add_co_u32_e32 v6, vcc, s8, v6
	v_addc_co_u32_e32 v7, vcc, 0, v7, vcc
	v_cmp_gt_u32_e32 vcc, s13, v8
	v_cndmask_b32_e32 v7, v7, v3, vcc
	v_cndmask_b32_e32 v6, v6, v5, vcc
	global_load_ubyte v3, v[6:7], off
.LBB1585_10:
	s_or_b64 exec, exec, s[0:1]
	s_waitcnt vmcnt(3)
	v_add_u32_e32 v6, v8, v4
	v_cmp_gt_u32_e32 vcc, s21, v6
                                        ; implicit-def: $vgpr5
	s_and_saveexec_b64 s[0:1], vcc
	s_cbranch_execz .LBB1585_12
; %bb.11:
	v_mov_b32_e32 v5, s18
	s_waitcnt vmcnt(2)
	v_add_co_u32_e32 v7, vcc, s11, v6
	v_addc_co_u32_e32 v5, vcc, 0, v5, vcc
	v_subrev_u32_e32 v8, s13, v6
	s_waitcnt vmcnt(1)
	v_mov_b32_e32 v9, s9
	v_add_co_u32_e32 v8, vcc, s8, v8
	v_addc_co_u32_e32 v9, vcc, 0, v9, vcc
	v_cmp_gt_u32_e32 vcc, s13, v6
	v_cndmask_b32_e32 v9, v9, v5, vcc
	v_cndmask_b32_e32 v8, v8, v7, vcc
	global_load_ubyte v5, v[8:9], off
.LBB1585_12:
	s_or_b64 exec, exec, s[0:1]
	s_waitcnt vmcnt(2)
	v_add_u32_e32 v7, v6, v4
	v_cmp_gt_u32_e32 vcc, s21, v7
                                        ; implicit-def: $vgpr6
	s_and_saveexec_b64 s[0:1], vcc
	s_cbranch_execz .LBB1585_14
; %bb.13:
	v_mov_b32_e32 v6, s18
	v_add_co_u32_e32 v8, vcc, s11, v7
	v_addc_co_u32_e32 v6, vcc, 0, v6, vcc
	s_waitcnt vmcnt(1)
	v_subrev_u32_e32 v9, s13, v7
	v_mov_b32_e32 v10, s9
	s_waitcnt vmcnt(0)
	v_add_co_u32_e32 v11, vcc, s8, v9
	v_addc_co_u32_e32 v9, vcc, 0, v10, vcc
	v_cmp_gt_u32_e32 vcc, s13, v7
	v_cndmask_b32_e32 v9, v9, v6, vcc
	v_cndmask_b32_e32 v8, v11, v8, vcc
	global_load_ubyte v6, v[8:9], off
.LBB1585_14:
	s_or_b64 exec, exec, s[0:1]
	v_add_u32_e32 v8, v7, v4
	v_cmp_gt_u32_e32 vcc, s21, v8
                                        ; implicit-def: $vgpr7
	s_and_saveexec_b64 s[0:1], vcc
	s_cbranch_execz .LBB1585_16
; %bb.15:
	v_mov_b32_e32 v7, s18
	s_waitcnt vmcnt(1)
	v_add_co_u32_e32 v9, vcc, s11, v8
	v_addc_co_u32_e32 v7, vcc, 0, v7, vcc
	v_subrev_u32_e32 v10, s13, v8
	s_waitcnt vmcnt(0)
	v_mov_b32_e32 v11, s9
	v_add_co_u32_e32 v10, vcc, s8, v10
	v_addc_co_u32_e32 v11, vcc, 0, v11, vcc
	v_cmp_gt_u32_e32 vcc, s13, v8
	v_cndmask_b32_e32 v11, v11, v7, vcc
	v_cndmask_b32_e32 v10, v10, v9, vcc
	global_load_ubyte v7, v[10:11], off
.LBB1585_16:
	s_or_b64 exec, exec, s[0:1]
	v_add_u32_e32 v8, v8, v4
	v_cmp_gt_u32_e32 vcc, s21, v8
                                        ; implicit-def: $vgpr9
	s_and_saveexec_b64 s[0:1], vcc
	s_cbranch_execz .LBB1585_18
; %bb.17:
	s_waitcnt vmcnt(1)
	v_mov_b32_e32 v9, s18
	v_add_co_u32_e32 v10, vcc, s11, v8
	v_addc_co_u32_e32 v9, vcc, 0, v9, vcc
	s_waitcnt vmcnt(0)
	v_subrev_u32_e32 v11, s13, v8
	v_mov_b32_e32 v12, s9
	v_add_co_u32_e32 v13, vcc, s8, v11
	v_addc_co_u32_e32 v11, vcc, 0, v12, vcc
	v_cmp_gt_u32_e32 vcc, s13, v8
	v_cndmask_b32_e32 v11, v11, v9, vcc
	v_cndmask_b32_e32 v10, v13, v10, vcc
	global_load_ubyte v9, v[10:11], off
.LBB1585_18:
	s_or_b64 exec, exec, s[0:1]
	v_add_u32_e32 v4, v8, v4
	v_cmp_gt_u32_e32 vcc, s21, v4
                                        ; implicit-def: $vgpr11
	s_and_saveexec_b64 s[0:1], vcc
	s_cbranch_execz .LBB1585_20
; %bb.19:
	v_mov_b32_e32 v8, s18
	v_add_co_u32_e32 v10, vcc, s11, v4
	v_addc_co_u32_e32 v8, vcc, 0, v8, vcc
	s_waitcnt vmcnt(0)
	v_subrev_u32_e32 v11, s13, v4
	v_mov_b32_e32 v12, s9
	v_add_co_u32_e32 v13, vcc, s8, v11
	v_addc_co_u32_e32 v11, vcc, 0, v12, vcc
	v_cmp_gt_u32_e32 vcc, s13, v4
	v_cndmask_b32_e32 v11, v11, v8, vcc
	v_cndmask_b32_e32 v10, v13, v10, vcc
	global_load_ubyte v11, v[10:11], off
.LBB1585_20:
	s_or_b64 exec, exec, s[0:1]
.LBB1585_21:
	v_lshlrev_b32_e32 v4, 3, v0
	v_min_u32_e32 v10, s21, v4
	v_sub_u32_e64 v8, v10, s7 clamp
	v_min_u32_e32 v12, s13, v10
	v_cmp_lt_u32_e32 vcc, v8, v12
	s_waitcnt vmcnt(0)
	ds_write_b8 v0, v1
	ds_write_b8 v0, v2 offset:128
	ds_write_b8 v0, v3 offset:256
	;; [unrolled: 1-line block ×7, first 2 shown]
	s_waitcnt lgkmcnt(0)
	s_barrier
	s_and_saveexec_b64 s[0:1], vcc
	s_cbranch_execz .LBB1585_25
; %bb.22:
	v_add_u32_e32 v13, s13, v10
	s_mov_b64 s[2:3], 0
.LBB1585_23:                            ; =>This Inner Loop Header: Depth=1
	v_add_u32_e32 v14, v12, v8
	v_lshrrev_b32_e32 v14, 1, v14
	v_xad_u32 v15, v14, -1, v13
	ds_read_i8 v16, v14
	ds_read_i8 v15, v15
	v_add_u32_e32 v17, 1, v14
	s_waitcnt lgkmcnt(0)
	v_cmp_gt_i16_e32 vcc, v15, v16
	v_cndmask_b32_e32 v12, v12, v14, vcc
	v_cndmask_b32_e32 v8, v17, v8, vcc
	v_cmp_ge_u32_e32 vcc, v8, v12
	s_or_b64 s[2:3], vcc, s[2:3]
	s_andn2_b64 exec, exec, s[2:3]
	s_cbranch_execnz .LBB1585_23
; %bb.24:
	s_or_b64 exec, exec, s[2:3]
.LBB1585_25:
	s_or_b64 exec, exec, s[0:1]
	v_sub_u32_e32 v10, v10, v8
	v_add_u32_e32 v10, s13, v10
	v_cmp_ge_u32_e32 vcc, s13, v8
	v_cmp_ge_u32_e64 s[0:1], s21, v10
	s_or_b64 s[0:1], vcc, s[0:1]
	s_and_saveexec_b64 s[18:19], s[0:1]
	s_cbranch_execz .LBB1585_31
; %bb.26:
	v_cmp_gt_u32_e32 vcc, s13, v8
                                        ; implicit-def: $vgpr1
	s_and_saveexec_b64 s[0:1], vcc
	s_cbranch_execz .LBB1585_28
; %bb.27:
	ds_read_u8 v1, v8
.LBB1585_28:
	s_or_b64 exec, exec, s[0:1]
	v_cmp_le_u32_e64 s[0:1], s21, v10
	v_cmp_gt_u32_e64 s[2:3], s21, v10
                                        ; implicit-def: $vgpr2
	s_and_saveexec_b64 s[4:5], s[2:3]
	s_cbranch_execz .LBB1585_30
; %bb.29:
	ds_read_u8 v2, v10
.LBB1585_30:
	s_or_b64 exec, exec, s[4:5]
	s_waitcnt lgkmcnt(0)
	v_cmp_le_i16_sdwa s[2:3], sext(v2), sext(v1) src0_sel:BYTE_0 src1_sel:BYTE_0
	s_and_b64 s[2:3], vcc, s[2:3]
	s_or_b64 vcc, s[0:1], s[2:3]
	v_mov_b32_e32 v5, s21
	v_mov_b32_e32 v6, s13
	v_cndmask_b32_e32 v3, v10, v8, vcc
	v_cndmask_b32_e32 v7, v5, v6, vcc
	v_add_u32_e32 v3, 1, v3
	v_add_u32_e32 v7, -1, v7
	v_min_u32_e32 v7, v3, v7
	ds_read_u8 v7, v7
	v_cndmask_b32_e32 v10, v3, v10, vcc
	v_cndmask_b32_e32 v3, v8, v3, vcc
	v_cmp_gt_u32_e64 s[2:3], s13, v3
	v_cmp_le_u32_e64 s[0:1], s21, v10
	s_waitcnt lgkmcnt(0)
	v_cndmask_b32_e32 v9, v7, v2, vcc
	v_cndmask_b32_e32 v7, v1, v7, vcc
	v_cmp_le_i16_sdwa s[4:5], sext(v9), sext(v7) src0_sel:BYTE_0 src1_sel:BYTE_0
	s_and_b64 s[2:3], s[2:3], s[4:5]
	s_or_b64 s[0:1], s[0:1], s[2:3]
	v_cndmask_b32_e64 v8, v10, v3, s[0:1]
	v_cndmask_b32_e64 v11, v5, v6, s[0:1]
	v_add_u32_e32 v8, 1, v8
	v_add_u32_e32 v11, -1, v11
	v_min_u32_e32 v11, v8, v11
	ds_read_u8 v11, v11
	v_cndmask_b32_e64 v3, v3, v8, s[0:1]
	v_cndmask_b32_e64 v10, v8, v10, s[0:1]
	v_cmp_gt_u32_e64 s[4:5], s13, v3
	v_cmp_le_u32_e64 s[2:3], s21, v10
	s_waitcnt lgkmcnt(0)
	v_cndmask_b32_e64 v12, v11, v9, s[0:1]
	v_cndmask_b32_e64 v11, v7, v11, s[0:1]
	v_cmp_le_i16_sdwa s[6:7], sext(v12), sext(v11) src0_sel:BYTE_0 src1_sel:BYTE_0
	s_and_b64 s[4:5], s[4:5], s[6:7]
	s_or_b64 s[2:3], s[2:3], s[4:5]
	v_cndmask_b32_e64 v8, v10, v3, s[2:3]
	v_cndmask_b32_e64 v13, v5, v6, s[2:3]
	v_add_u32_e32 v8, 1, v8
	v_add_u32_e32 v13, -1, v13
	v_min_u32_e32 v13, v8, v13
	ds_read_u8 v13, v13
	v_cndmask_b32_e64 v3, v3, v8, s[2:3]
	v_cndmask_b32_e64 v10, v8, v10, s[2:3]
	v_cmp_gt_u32_e64 s[6:7], s13, v3
	v_cmp_le_u32_e64 s[4:5], s21, v10
	s_waitcnt lgkmcnt(0)
	v_cndmask_b32_e64 v14, v13, v12, s[2:3]
	v_cndmask_b32_e64 v13, v11, v13, s[2:3]
	;; [unrolled: 16-line block ×4, first 2 shown]
	v_cmp_le_i16_sdwa s[22:23], sext(v18), sext(v17) src0_sel:BYTE_0 src1_sel:BYTE_0
	s_and_b64 s[10:11], s[10:11], s[22:23]
	s_or_b64 s[8:9], s[8:9], s[10:11]
	v_cndmask_b32_e64 v3, v10, v8, s[8:9]
	v_cndmask_b32_e64 v19, v5, v6, s[8:9]
	v_add_u32_e32 v20, 1, v3
	v_add_u32_e32 v3, -1, v19
	v_min_u32_e32 v3, v20, v3
	ds_read_u8 v19, v3
	v_cndmask_b32_e64 v3, v12, v11, s[2:3]
	v_cndmask_b32_e64 v8, v8, v20, s[8:9]
	v_cndmask_b32_e32 v1, v2, v1, vcc
	v_cndmask_b32_e64 v2, v9, v7, s[0:1]
	s_waitcnt lgkmcnt(0)
	v_cndmask_b32_e64 v11, v19, v18, s[8:9]
	v_cndmask_b32_e64 v12, v17, v19, s[8:9]
	v_cndmask_b32_e64 v10, v20, v10, s[8:9]
	v_cmp_gt_u32_e64 s[0:1], s13, v8
	v_cmp_le_i16_sdwa s[2:3], sext(v11), sext(v12) src0_sel:BYTE_0 src1_sel:BYTE_0
	v_cmp_le_u32_e32 vcc, s21, v10
	s_and_b64 s[0:1], s[0:1], s[2:3]
	s_or_b64 vcc, vcc, s[0:1]
	v_cndmask_b32_e32 v7, v10, v8, vcc
	v_cndmask_b32_e32 v5, v5, v6, vcc
	v_add_u32_e32 v19, 1, v7
	v_add_u32_e32 v5, -1, v5
	v_min_u32_e32 v5, v19, v5
	ds_read_u8 v20, v5
	v_cndmask_b32_e32 v9, v11, v12, vcc
	v_cndmask_b32_e32 v8, v8, v19, vcc
	;; [unrolled: 1-line block ×3, first 2 shown]
	v_cmp_gt_u32_e64 s[0:1], s13, v8
	s_waitcnt lgkmcnt(0)
	v_cndmask_b32_e32 v11, v20, v11, vcc
	v_cndmask_b32_e32 v12, v12, v20, vcc
	v_cmp_le_i16_sdwa s[2:3], sext(v11), sext(v12) src0_sel:BYTE_0 src1_sel:BYTE_0
	v_cmp_le_u32_e32 vcc, s21, v10
	s_and_b64 s[0:1], s[0:1], s[2:3]
	s_or_b64 vcc, vcc, s[0:1]
	v_cndmask_b32_e64 v5, v14, v13, s[4:5]
	v_cndmask_b32_e64 v6, v16, v15, s[6:7]
	;; [unrolled: 1-line block ×3, first 2 shown]
	v_cndmask_b32_e32 v11, v11, v12, vcc
.LBB1585_31:
	s_or_b64 exec, exec, s[18:19]
	v_lshlrev_b16_e32 v7, 8, v7
	v_lshlrev_b16_e32 v2, 8, v2
	v_lshrrev_b32_e32 v8, 2, v0
	v_or_b32_sdwa v6, v6, v7 dst_sel:DWORD dst_unused:UNUSED_PAD src0_sel:BYTE_0 src1_sel:DWORD
	v_lshlrev_b16_e32 v7, 8, v11
	v_or_b32_sdwa v1, v1, v2 dst_sel:DWORD dst_unused:UNUSED_PAD src0_sel:BYTE_0 src1_sel:DWORD
	v_lshlrev_b16_e32 v2, 8, v5
	s_add_u32 s0, s16, s20
	v_and_b32_e32 v8, 28, v8
	v_or_b32_sdwa v7, v9, v7 dst_sel:WORD_1 dst_unused:UNUSED_PAD src0_sel:BYTE_0 src1_sel:DWORD
	v_or_b32_sdwa v2, v3, v2 dst_sel:WORD_1 dst_unused:UNUSED_PAD src0_sel:BYTE_0 src1_sel:DWORD
	s_addc_u32 s1, s17, 0
	v_add_u32_e32 v4, v8, v4
	v_or_b32_sdwa v6, v6, v7 dst_sel:DWORD dst_unused:UNUSED_PAD src0_sel:WORD_0 src1_sel:DWORD
	v_or_b32_sdwa v1, v1, v2 dst_sel:DWORD dst_unused:UNUSED_PAD src0_sel:WORD_0 src1_sel:DWORD
	s_barrier
	s_barrier
	ds_write2_b32 v4, v1, v6 offset1:1
	v_mov_b32_e32 v1, s1
	v_add_co_u32_e32 v2, vcc, s0, v0
	v_addc_co_u32_e32 v3, vcc, 0, v1, vcc
	s_and_b64 vcc, exec, s[14:15]
	v_add_u32_e32 v4, 4, v0
	v_add_u32_e32 v5, 8, v0
	;; [unrolled: 1-line block ×7, first 2 shown]
	s_waitcnt lgkmcnt(0)
	s_cbranch_vccz .LBB1585_33
; %bb.32:
	s_barrier
	ds_read_u8 v11, v0
	ds_read_u8 v12, v4 offset:128
	ds_read_u8 v13, v5 offset:256
	;; [unrolled: 1-line block ×7, first 2 shown]
	s_waitcnt lgkmcnt(7)
	global_store_byte v[2:3], v11, off
	s_waitcnt lgkmcnt(6)
	global_store_byte v[2:3], v12, off offset:128
	s_waitcnt lgkmcnt(5)
	global_store_byte v[2:3], v13, off offset:256
	;; [unrolled: 2-line block ×6, first 2 shown]
	s_mov_b64 s[0:1], -1
	s_cbranch_execz .LBB1585_34
	s_branch .LBB1585_49
.LBB1585_33:
	s_mov_b64 s[0:1], 0
                                        ; implicit-def: $vgpr1
.LBB1585_34:
	s_barrier
	s_waitcnt lgkmcnt(0)
	ds_read_u8 v13, v4 offset:128
	ds_read_u8 v12, v5 offset:256
	;; [unrolled: 1-line block ×7, first 2 shown]
	s_sub_i32 s2, s12, s20
	v_or_b32_e32 v7, 0x80, v0
	v_cmp_gt_u32_e32 vcc, s2, v0
	s_and_saveexec_b64 s[0:1], vcc
	s_cbranch_execz .LBB1585_36
; %bb.35:
	ds_read_u8 v8, v0
	s_waitcnt lgkmcnt(0)
	global_store_byte v[2:3], v8, off
.LBB1585_36:
	s_or_b64 exec, exec, s[0:1]
	v_or_b32_e32 v8, 0x100, v0
	v_cmp_gt_u32_e32 vcc, s2, v7
	s_and_saveexec_b64 s[0:1], vcc
	s_cbranch_execz .LBB1585_38
; %bb.37:
	s_waitcnt lgkmcnt(6)
	global_store_byte v[2:3], v13, off offset:128
.LBB1585_38:
	s_or_b64 exec, exec, s[0:1]
	v_or_b32_e32 v7, 0x180, v0
	v_cmp_gt_u32_e32 vcc, s2, v8
	s_and_saveexec_b64 s[0:1], vcc
	s_cbranch_execz .LBB1585_40
; %bb.39:
	s_waitcnt lgkmcnt(5)
	global_store_byte v[2:3], v12, off offset:256
.LBB1585_40:
	;; [unrolled: 9-line block ×4, first 2 shown]
	s_or_b64 exec, exec, s[0:1]
	s_waitcnt lgkmcnt(3)
	v_or_b32_e32 v6, 0x300, v0
	v_cmp_gt_u32_e32 vcc, s2, v7
	s_and_saveexec_b64 s[0:1], vcc
	s_cbranch_execz .LBB1585_46
; %bb.45:
	s_waitcnt lgkmcnt(2)
	global_store_byte v[2:3], v5, off offset:640
.LBB1585_46:
	s_or_b64 exec, exec, s[0:1]
	v_or_b32_e32 v0, 0x380, v0
	v_cmp_gt_u32_e32 vcc, s2, v6
	s_and_saveexec_b64 s[0:1], vcc
	s_cbranch_execz .LBB1585_48
; %bb.47:
	s_waitcnt lgkmcnt(1)
	global_store_byte v[2:3], v4, off offset:768
.LBB1585_48:
	s_or_b64 exec, exec, s[0:1]
	v_cmp_gt_u32_e64 s[0:1], s2, v0
.LBB1585_49:
	s_and_saveexec_b64 s[2:3], s[0:1]
	s_cbranch_execz .LBB1585_51
; %bb.50:
	s_waitcnt lgkmcnt(0)
	global_store_byte v[2:3], v1, off offset:896
.LBB1585_51:
	s_endpgm
	.section	.rodata,"a",@progbits
	.p2align	6, 0x0
	.amdhsa_kernel _ZN7rocprim17ROCPRIM_400000_NS6detail17trampoline_kernelINS0_14default_configENS1_38merge_sort_block_merge_config_selectorIaNS0_10empty_typeEEEZZNS1_27merge_sort_block_merge_implIS3_PaPS5_jNS1_19radix_merge_compareILb1ELb0EaNS0_19identity_decomposerEEEEE10hipError_tT0_T1_T2_jT3_P12ihipStream_tbPNSt15iterator_traitsISE_E10value_typeEPNSK_ISF_E10value_typeEPSG_NS1_7vsmem_tEENKUlT_SE_SF_SG_E_clIS8_S8_S9_S9_EESD_ST_SE_SF_SG_EUlST_E0_NS1_11comp_targetILNS1_3genE4ELNS1_11target_archE910ELNS1_3gpuE8ELNS1_3repE0EEENS1_38merge_mergepath_config_static_selectorELNS0_4arch9wavefront6targetE1EEEvSF_
		.amdhsa_group_segment_fixed_size 1056
		.amdhsa_private_segment_fixed_size 0
		.amdhsa_kernarg_size 320
		.amdhsa_user_sgpr_count 6
		.amdhsa_user_sgpr_private_segment_buffer 1
		.amdhsa_user_sgpr_dispatch_ptr 0
		.amdhsa_user_sgpr_queue_ptr 0
		.amdhsa_user_sgpr_kernarg_segment_ptr 1
		.amdhsa_user_sgpr_dispatch_id 0
		.amdhsa_user_sgpr_flat_scratch_init 0
		.amdhsa_user_sgpr_kernarg_preload_length 0
		.amdhsa_user_sgpr_kernarg_preload_offset 0
		.amdhsa_user_sgpr_private_segment_size 0
		.amdhsa_uses_dynamic_stack 0
		.amdhsa_system_sgpr_private_segment_wavefront_offset 0
		.amdhsa_system_sgpr_workgroup_id_x 1
		.amdhsa_system_sgpr_workgroup_id_y 1
		.amdhsa_system_sgpr_workgroup_id_z 1
		.amdhsa_system_sgpr_workgroup_info 0
		.amdhsa_system_vgpr_workitem_id 0
		.amdhsa_next_free_vgpr 28
		.amdhsa_next_free_sgpr 24
		.amdhsa_accum_offset 28
		.amdhsa_reserve_vcc 1
		.amdhsa_reserve_flat_scratch 0
		.amdhsa_float_round_mode_32 0
		.amdhsa_float_round_mode_16_64 0
		.amdhsa_float_denorm_mode_32 3
		.amdhsa_float_denorm_mode_16_64 3
		.amdhsa_dx10_clamp 1
		.amdhsa_ieee_mode 1
		.amdhsa_fp16_overflow 0
		.amdhsa_tg_split 0
		.amdhsa_exception_fp_ieee_invalid_op 0
		.amdhsa_exception_fp_denorm_src 0
		.amdhsa_exception_fp_ieee_div_zero 0
		.amdhsa_exception_fp_ieee_overflow 0
		.amdhsa_exception_fp_ieee_underflow 0
		.amdhsa_exception_fp_ieee_inexact 0
		.amdhsa_exception_int_div_zero 0
	.end_amdhsa_kernel
	.section	.text._ZN7rocprim17ROCPRIM_400000_NS6detail17trampoline_kernelINS0_14default_configENS1_38merge_sort_block_merge_config_selectorIaNS0_10empty_typeEEEZZNS1_27merge_sort_block_merge_implIS3_PaPS5_jNS1_19radix_merge_compareILb1ELb0EaNS0_19identity_decomposerEEEEE10hipError_tT0_T1_T2_jT3_P12ihipStream_tbPNSt15iterator_traitsISE_E10value_typeEPNSK_ISF_E10value_typeEPSG_NS1_7vsmem_tEENKUlT_SE_SF_SG_E_clIS8_S8_S9_S9_EESD_ST_SE_SF_SG_EUlST_E0_NS1_11comp_targetILNS1_3genE4ELNS1_11target_archE910ELNS1_3gpuE8ELNS1_3repE0EEENS1_38merge_mergepath_config_static_selectorELNS0_4arch9wavefront6targetE1EEEvSF_,"axG",@progbits,_ZN7rocprim17ROCPRIM_400000_NS6detail17trampoline_kernelINS0_14default_configENS1_38merge_sort_block_merge_config_selectorIaNS0_10empty_typeEEEZZNS1_27merge_sort_block_merge_implIS3_PaPS5_jNS1_19radix_merge_compareILb1ELb0EaNS0_19identity_decomposerEEEEE10hipError_tT0_T1_T2_jT3_P12ihipStream_tbPNSt15iterator_traitsISE_E10value_typeEPNSK_ISF_E10value_typeEPSG_NS1_7vsmem_tEENKUlT_SE_SF_SG_E_clIS8_S8_S9_S9_EESD_ST_SE_SF_SG_EUlST_E0_NS1_11comp_targetILNS1_3genE4ELNS1_11target_archE910ELNS1_3gpuE8ELNS1_3repE0EEENS1_38merge_mergepath_config_static_selectorELNS0_4arch9wavefront6targetE1EEEvSF_,comdat
.Lfunc_end1585:
	.size	_ZN7rocprim17ROCPRIM_400000_NS6detail17trampoline_kernelINS0_14default_configENS1_38merge_sort_block_merge_config_selectorIaNS0_10empty_typeEEEZZNS1_27merge_sort_block_merge_implIS3_PaPS5_jNS1_19radix_merge_compareILb1ELb0EaNS0_19identity_decomposerEEEEE10hipError_tT0_T1_T2_jT3_P12ihipStream_tbPNSt15iterator_traitsISE_E10value_typeEPNSK_ISF_E10value_typeEPSG_NS1_7vsmem_tEENKUlT_SE_SF_SG_E_clIS8_S8_S9_S9_EESD_ST_SE_SF_SG_EUlST_E0_NS1_11comp_targetILNS1_3genE4ELNS1_11target_archE910ELNS1_3gpuE8ELNS1_3repE0EEENS1_38merge_mergepath_config_static_selectorELNS0_4arch9wavefront6targetE1EEEvSF_, .Lfunc_end1585-_ZN7rocprim17ROCPRIM_400000_NS6detail17trampoline_kernelINS0_14default_configENS1_38merge_sort_block_merge_config_selectorIaNS0_10empty_typeEEEZZNS1_27merge_sort_block_merge_implIS3_PaPS5_jNS1_19radix_merge_compareILb1ELb0EaNS0_19identity_decomposerEEEEE10hipError_tT0_T1_T2_jT3_P12ihipStream_tbPNSt15iterator_traitsISE_E10value_typeEPNSK_ISF_E10value_typeEPSG_NS1_7vsmem_tEENKUlT_SE_SF_SG_E_clIS8_S8_S9_S9_EESD_ST_SE_SF_SG_EUlST_E0_NS1_11comp_targetILNS1_3genE4ELNS1_11target_archE910ELNS1_3gpuE8ELNS1_3repE0EEENS1_38merge_mergepath_config_static_selectorELNS0_4arch9wavefront6targetE1EEEvSF_
                                        ; -- End function
	.section	.AMDGPU.csdata,"",@progbits
; Kernel info:
; codeLenInByte = 3112
; NumSgprs: 28
; NumVgprs: 28
; NumAgprs: 0
; TotalNumVgprs: 28
; ScratchSize: 0
; MemoryBound: 0
; FloatMode: 240
; IeeeMode: 1
; LDSByteSize: 1056 bytes/workgroup (compile time only)
; SGPRBlocks: 3
; VGPRBlocks: 3
; NumSGPRsForWavesPerEU: 28
; NumVGPRsForWavesPerEU: 28
; AccumOffset: 28
; Occupancy: 8
; WaveLimiterHint : 1
; COMPUTE_PGM_RSRC2:SCRATCH_EN: 0
; COMPUTE_PGM_RSRC2:USER_SGPR: 6
; COMPUTE_PGM_RSRC2:TRAP_HANDLER: 0
; COMPUTE_PGM_RSRC2:TGID_X_EN: 1
; COMPUTE_PGM_RSRC2:TGID_Y_EN: 1
; COMPUTE_PGM_RSRC2:TGID_Z_EN: 1
; COMPUTE_PGM_RSRC2:TIDIG_COMP_CNT: 0
; COMPUTE_PGM_RSRC3_GFX90A:ACCUM_OFFSET: 6
; COMPUTE_PGM_RSRC3_GFX90A:TG_SPLIT: 0
	.section	.text._ZN7rocprim17ROCPRIM_400000_NS6detail17trampoline_kernelINS0_14default_configENS1_38merge_sort_block_merge_config_selectorIaNS0_10empty_typeEEEZZNS1_27merge_sort_block_merge_implIS3_PaPS5_jNS1_19radix_merge_compareILb1ELb0EaNS0_19identity_decomposerEEEEE10hipError_tT0_T1_T2_jT3_P12ihipStream_tbPNSt15iterator_traitsISE_E10value_typeEPNSK_ISF_E10value_typeEPSG_NS1_7vsmem_tEENKUlT_SE_SF_SG_E_clIS8_S8_S9_S9_EESD_ST_SE_SF_SG_EUlST_E0_NS1_11comp_targetILNS1_3genE3ELNS1_11target_archE908ELNS1_3gpuE7ELNS1_3repE0EEENS1_38merge_mergepath_config_static_selectorELNS0_4arch9wavefront6targetE1EEEvSF_,"axG",@progbits,_ZN7rocprim17ROCPRIM_400000_NS6detail17trampoline_kernelINS0_14default_configENS1_38merge_sort_block_merge_config_selectorIaNS0_10empty_typeEEEZZNS1_27merge_sort_block_merge_implIS3_PaPS5_jNS1_19radix_merge_compareILb1ELb0EaNS0_19identity_decomposerEEEEE10hipError_tT0_T1_T2_jT3_P12ihipStream_tbPNSt15iterator_traitsISE_E10value_typeEPNSK_ISF_E10value_typeEPSG_NS1_7vsmem_tEENKUlT_SE_SF_SG_E_clIS8_S8_S9_S9_EESD_ST_SE_SF_SG_EUlST_E0_NS1_11comp_targetILNS1_3genE3ELNS1_11target_archE908ELNS1_3gpuE7ELNS1_3repE0EEENS1_38merge_mergepath_config_static_selectorELNS0_4arch9wavefront6targetE1EEEvSF_,comdat
	.protected	_ZN7rocprim17ROCPRIM_400000_NS6detail17trampoline_kernelINS0_14default_configENS1_38merge_sort_block_merge_config_selectorIaNS0_10empty_typeEEEZZNS1_27merge_sort_block_merge_implIS3_PaPS5_jNS1_19radix_merge_compareILb1ELb0EaNS0_19identity_decomposerEEEEE10hipError_tT0_T1_T2_jT3_P12ihipStream_tbPNSt15iterator_traitsISE_E10value_typeEPNSK_ISF_E10value_typeEPSG_NS1_7vsmem_tEENKUlT_SE_SF_SG_E_clIS8_S8_S9_S9_EESD_ST_SE_SF_SG_EUlST_E0_NS1_11comp_targetILNS1_3genE3ELNS1_11target_archE908ELNS1_3gpuE7ELNS1_3repE0EEENS1_38merge_mergepath_config_static_selectorELNS0_4arch9wavefront6targetE1EEEvSF_ ; -- Begin function _ZN7rocprim17ROCPRIM_400000_NS6detail17trampoline_kernelINS0_14default_configENS1_38merge_sort_block_merge_config_selectorIaNS0_10empty_typeEEEZZNS1_27merge_sort_block_merge_implIS3_PaPS5_jNS1_19radix_merge_compareILb1ELb0EaNS0_19identity_decomposerEEEEE10hipError_tT0_T1_T2_jT3_P12ihipStream_tbPNSt15iterator_traitsISE_E10value_typeEPNSK_ISF_E10value_typeEPSG_NS1_7vsmem_tEENKUlT_SE_SF_SG_E_clIS8_S8_S9_S9_EESD_ST_SE_SF_SG_EUlST_E0_NS1_11comp_targetILNS1_3genE3ELNS1_11target_archE908ELNS1_3gpuE7ELNS1_3repE0EEENS1_38merge_mergepath_config_static_selectorELNS0_4arch9wavefront6targetE1EEEvSF_
	.globl	_ZN7rocprim17ROCPRIM_400000_NS6detail17trampoline_kernelINS0_14default_configENS1_38merge_sort_block_merge_config_selectorIaNS0_10empty_typeEEEZZNS1_27merge_sort_block_merge_implIS3_PaPS5_jNS1_19radix_merge_compareILb1ELb0EaNS0_19identity_decomposerEEEEE10hipError_tT0_T1_T2_jT3_P12ihipStream_tbPNSt15iterator_traitsISE_E10value_typeEPNSK_ISF_E10value_typeEPSG_NS1_7vsmem_tEENKUlT_SE_SF_SG_E_clIS8_S8_S9_S9_EESD_ST_SE_SF_SG_EUlST_E0_NS1_11comp_targetILNS1_3genE3ELNS1_11target_archE908ELNS1_3gpuE7ELNS1_3repE0EEENS1_38merge_mergepath_config_static_selectorELNS0_4arch9wavefront6targetE1EEEvSF_
	.p2align	8
	.type	_ZN7rocprim17ROCPRIM_400000_NS6detail17trampoline_kernelINS0_14default_configENS1_38merge_sort_block_merge_config_selectorIaNS0_10empty_typeEEEZZNS1_27merge_sort_block_merge_implIS3_PaPS5_jNS1_19radix_merge_compareILb1ELb0EaNS0_19identity_decomposerEEEEE10hipError_tT0_T1_T2_jT3_P12ihipStream_tbPNSt15iterator_traitsISE_E10value_typeEPNSK_ISF_E10value_typeEPSG_NS1_7vsmem_tEENKUlT_SE_SF_SG_E_clIS8_S8_S9_S9_EESD_ST_SE_SF_SG_EUlST_E0_NS1_11comp_targetILNS1_3genE3ELNS1_11target_archE908ELNS1_3gpuE7ELNS1_3repE0EEENS1_38merge_mergepath_config_static_selectorELNS0_4arch9wavefront6targetE1EEEvSF_,@function
_ZN7rocprim17ROCPRIM_400000_NS6detail17trampoline_kernelINS0_14default_configENS1_38merge_sort_block_merge_config_selectorIaNS0_10empty_typeEEEZZNS1_27merge_sort_block_merge_implIS3_PaPS5_jNS1_19radix_merge_compareILb1ELb0EaNS0_19identity_decomposerEEEEE10hipError_tT0_T1_T2_jT3_P12ihipStream_tbPNSt15iterator_traitsISE_E10value_typeEPNSK_ISF_E10value_typeEPSG_NS1_7vsmem_tEENKUlT_SE_SF_SG_E_clIS8_S8_S9_S9_EESD_ST_SE_SF_SG_EUlST_E0_NS1_11comp_targetILNS1_3genE3ELNS1_11target_archE908ELNS1_3gpuE7ELNS1_3repE0EEENS1_38merge_mergepath_config_static_selectorELNS0_4arch9wavefront6targetE1EEEvSF_: ; @_ZN7rocprim17ROCPRIM_400000_NS6detail17trampoline_kernelINS0_14default_configENS1_38merge_sort_block_merge_config_selectorIaNS0_10empty_typeEEEZZNS1_27merge_sort_block_merge_implIS3_PaPS5_jNS1_19radix_merge_compareILb1ELb0EaNS0_19identity_decomposerEEEEE10hipError_tT0_T1_T2_jT3_P12ihipStream_tbPNSt15iterator_traitsISE_E10value_typeEPNSK_ISF_E10value_typeEPSG_NS1_7vsmem_tEENKUlT_SE_SF_SG_E_clIS8_S8_S9_S9_EESD_ST_SE_SF_SG_EUlST_E0_NS1_11comp_targetILNS1_3genE3ELNS1_11target_archE908ELNS1_3gpuE7ELNS1_3repE0EEENS1_38merge_mergepath_config_static_selectorELNS0_4arch9wavefront6targetE1EEEvSF_
; %bb.0:
	.section	.rodata,"a",@progbits
	.p2align	6, 0x0
	.amdhsa_kernel _ZN7rocprim17ROCPRIM_400000_NS6detail17trampoline_kernelINS0_14default_configENS1_38merge_sort_block_merge_config_selectorIaNS0_10empty_typeEEEZZNS1_27merge_sort_block_merge_implIS3_PaPS5_jNS1_19radix_merge_compareILb1ELb0EaNS0_19identity_decomposerEEEEE10hipError_tT0_T1_T2_jT3_P12ihipStream_tbPNSt15iterator_traitsISE_E10value_typeEPNSK_ISF_E10value_typeEPSG_NS1_7vsmem_tEENKUlT_SE_SF_SG_E_clIS8_S8_S9_S9_EESD_ST_SE_SF_SG_EUlST_E0_NS1_11comp_targetILNS1_3genE3ELNS1_11target_archE908ELNS1_3gpuE7ELNS1_3repE0EEENS1_38merge_mergepath_config_static_selectorELNS0_4arch9wavefront6targetE1EEEvSF_
		.amdhsa_group_segment_fixed_size 0
		.amdhsa_private_segment_fixed_size 0
		.amdhsa_kernarg_size 64
		.amdhsa_user_sgpr_count 6
		.amdhsa_user_sgpr_private_segment_buffer 1
		.amdhsa_user_sgpr_dispatch_ptr 0
		.amdhsa_user_sgpr_queue_ptr 0
		.amdhsa_user_sgpr_kernarg_segment_ptr 1
		.amdhsa_user_sgpr_dispatch_id 0
		.amdhsa_user_sgpr_flat_scratch_init 0
		.amdhsa_user_sgpr_kernarg_preload_length 0
		.amdhsa_user_sgpr_kernarg_preload_offset 0
		.amdhsa_user_sgpr_private_segment_size 0
		.amdhsa_uses_dynamic_stack 0
		.amdhsa_system_sgpr_private_segment_wavefront_offset 0
		.amdhsa_system_sgpr_workgroup_id_x 1
		.amdhsa_system_sgpr_workgroup_id_y 0
		.amdhsa_system_sgpr_workgroup_id_z 0
		.amdhsa_system_sgpr_workgroup_info 0
		.amdhsa_system_vgpr_workitem_id 0
		.amdhsa_next_free_vgpr 1
		.amdhsa_next_free_sgpr 0
		.amdhsa_accum_offset 4
		.amdhsa_reserve_vcc 0
		.amdhsa_reserve_flat_scratch 0
		.amdhsa_float_round_mode_32 0
		.amdhsa_float_round_mode_16_64 0
		.amdhsa_float_denorm_mode_32 3
		.amdhsa_float_denorm_mode_16_64 3
		.amdhsa_dx10_clamp 1
		.amdhsa_ieee_mode 1
		.amdhsa_fp16_overflow 0
		.amdhsa_tg_split 0
		.amdhsa_exception_fp_ieee_invalid_op 0
		.amdhsa_exception_fp_denorm_src 0
		.amdhsa_exception_fp_ieee_div_zero 0
		.amdhsa_exception_fp_ieee_overflow 0
		.amdhsa_exception_fp_ieee_underflow 0
		.amdhsa_exception_fp_ieee_inexact 0
		.amdhsa_exception_int_div_zero 0
	.end_amdhsa_kernel
	.section	.text._ZN7rocprim17ROCPRIM_400000_NS6detail17trampoline_kernelINS0_14default_configENS1_38merge_sort_block_merge_config_selectorIaNS0_10empty_typeEEEZZNS1_27merge_sort_block_merge_implIS3_PaPS5_jNS1_19radix_merge_compareILb1ELb0EaNS0_19identity_decomposerEEEEE10hipError_tT0_T1_T2_jT3_P12ihipStream_tbPNSt15iterator_traitsISE_E10value_typeEPNSK_ISF_E10value_typeEPSG_NS1_7vsmem_tEENKUlT_SE_SF_SG_E_clIS8_S8_S9_S9_EESD_ST_SE_SF_SG_EUlST_E0_NS1_11comp_targetILNS1_3genE3ELNS1_11target_archE908ELNS1_3gpuE7ELNS1_3repE0EEENS1_38merge_mergepath_config_static_selectorELNS0_4arch9wavefront6targetE1EEEvSF_,"axG",@progbits,_ZN7rocprim17ROCPRIM_400000_NS6detail17trampoline_kernelINS0_14default_configENS1_38merge_sort_block_merge_config_selectorIaNS0_10empty_typeEEEZZNS1_27merge_sort_block_merge_implIS3_PaPS5_jNS1_19radix_merge_compareILb1ELb0EaNS0_19identity_decomposerEEEEE10hipError_tT0_T1_T2_jT3_P12ihipStream_tbPNSt15iterator_traitsISE_E10value_typeEPNSK_ISF_E10value_typeEPSG_NS1_7vsmem_tEENKUlT_SE_SF_SG_E_clIS8_S8_S9_S9_EESD_ST_SE_SF_SG_EUlST_E0_NS1_11comp_targetILNS1_3genE3ELNS1_11target_archE908ELNS1_3gpuE7ELNS1_3repE0EEENS1_38merge_mergepath_config_static_selectorELNS0_4arch9wavefront6targetE1EEEvSF_,comdat
.Lfunc_end1586:
	.size	_ZN7rocprim17ROCPRIM_400000_NS6detail17trampoline_kernelINS0_14default_configENS1_38merge_sort_block_merge_config_selectorIaNS0_10empty_typeEEEZZNS1_27merge_sort_block_merge_implIS3_PaPS5_jNS1_19radix_merge_compareILb1ELb0EaNS0_19identity_decomposerEEEEE10hipError_tT0_T1_T2_jT3_P12ihipStream_tbPNSt15iterator_traitsISE_E10value_typeEPNSK_ISF_E10value_typeEPSG_NS1_7vsmem_tEENKUlT_SE_SF_SG_E_clIS8_S8_S9_S9_EESD_ST_SE_SF_SG_EUlST_E0_NS1_11comp_targetILNS1_3genE3ELNS1_11target_archE908ELNS1_3gpuE7ELNS1_3repE0EEENS1_38merge_mergepath_config_static_selectorELNS0_4arch9wavefront6targetE1EEEvSF_, .Lfunc_end1586-_ZN7rocprim17ROCPRIM_400000_NS6detail17trampoline_kernelINS0_14default_configENS1_38merge_sort_block_merge_config_selectorIaNS0_10empty_typeEEEZZNS1_27merge_sort_block_merge_implIS3_PaPS5_jNS1_19radix_merge_compareILb1ELb0EaNS0_19identity_decomposerEEEEE10hipError_tT0_T1_T2_jT3_P12ihipStream_tbPNSt15iterator_traitsISE_E10value_typeEPNSK_ISF_E10value_typeEPSG_NS1_7vsmem_tEENKUlT_SE_SF_SG_E_clIS8_S8_S9_S9_EESD_ST_SE_SF_SG_EUlST_E0_NS1_11comp_targetILNS1_3genE3ELNS1_11target_archE908ELNS1_3gpuE7ELNS1_3repE0EEENS1_38merge_mergepath_config_static_selectorELNS0_4arch9wavefront6targetE1EEEvSF_
                                        ; -- End function
	.section	.AMDGPU.csdata,"",@progbits
; Kernel info:
; codeLenInByte = 0
; NumSgprs: 4
; NumVgprs: 0
; NumAgprs: 0
; TotalNumVgprs: 0
; ScratchSize: 0
; MemoryBound: 0
; FloatMode: 240
; IeeeMode: 1
; LDSByteSize: 0 bytes/workgroup (compile time only)
; SGPRBlocks: 0
; VGPRBlocks: 0
; NumSGPRsForWavesPerEU: 4
; NumVGPRsForWavesPerEU: 1
; AccumOffset: 4
; Occupancy: 8
; WaveLimiterHint : 0
; COMPUTE_PGM_RSRC2:SCRATCH_EN: 0
; COMPUTE_PGM_RSRC2:USER_SGPR: 6
; COMPUTE_PGM_RSRC2:TRAP_HANDLER: 0
; COMPUTE_PGM_RSRC2:TGID_X_EN: 1
; COMPUTE_PGM_RSRC2:TGID_Y_EN: 0
; COMPUTE_PGM_RSRC2:TGID_Z_EN: 0
; COMPUTE_PGM_RSRC2:TIDIG_COMP_CNT: 0
; COMPUTE_PGM_RSRC3_GFX90A:ACCUM_OFFSET: 0
; COMPUTE_PGM_RSRC3_GFX90A:TG_SPLIT: 0
	.section	.text._ZN7rocprim17ROCPRIM_400000_NS6detail17trampoline_kernelINS0_14default_configENS1_38merge_sort_block_merge_config_selectorIaNS0_10empty_typeEEEZZNS1_27merge_sort_block_merge_implIS3_PaPS5_jNS1_19radix_merge_compareILb1ELb0EaNS0_19identity_decomposerEEEEE10hipError_tT0_T1_T2_jT3_P12ihipStream_tbPNSt15iterator_traitsISE_E10value_typeEPNSK_ISF_E10value_typeEPSG_NS1_7vsmem_tEENKUlT_SE_SF_SG_E_clIS8_S8_S9_S9_EESD_ST_SE_SF_SG_EUlST_E0_NS1_11comp_targetILNS1_3genE2ELNS1_11target_archE906ELNS1_3gpuE6ELNS1_3repE0EEENS1_38merge_mergepath_config_static_selectorELNS0_4arch9wavefront6targetE1EEEvSF_,"axG",@progbits,_ZN7rocprim17ROCPRIM_400000_NS6detail17trampoline_kernelINS0_14default_configENS1_38merge_sort_block_merge_config_selectorIaNS0_10empty_typeEEEZZNS1_27merge_sort_block_merge_implIS3_PaPS5_jNS1_19radix_merge_compareILb1ELb0EaNS0_19identity_decomposerEEEEE10hipError_tT0_T1_T2_jT3_P12ihipStream_tbPNSt15iterator_traitsISE_E10value_typeEPNSK_ISF_E10value_typeEPSG_NS1_7vsmem_tEENKUlT_SE_SF_SG_E_clIS8_S8_S9_S9_EESD_ST_SE_SF_SG_EUlST_E0_NS1_11comp_targetILNS1_3genE2ELNS1_11target_archE906ELNS1_3gpuE6ELNS1_3repE0EEENS1_38merge_mergepath_config_static_selectorELNS0_4arch9wavefront6targetE1EEEvSF_,comdat
	.protected	_ZN7rocprim17ROCPRIM_400000_NS6detail17trampoline_kernelINS0_14default_configENS1_38merge_sort_block_merge_config_selectorIaNS0_10empty_typeEEEZZNS1_27merge_sort_block_merge_implIS3_PaPS5_jNS1_19radix_merge_compareILb1ELb0EaNS0_19identity_decomposerEEEEE10hipError_tT0_T1_T2_jT3_P12ihipStream_tbPNSt15iterator_traitsISE_E10value_typeEPNSK_ISF_E10value_typeEPSG_NS1_7vsmem_tEENKUlT_SE_SF_SG_E_clIS8_S8_S9_S9_EESD_ST_SE_SF_SG_EUlST_E0_NS1_11comp_targetILNS1_3genE2ELNS1_11target_archE906ELNS1_3gpuE6ELNS1_3repE0EEENS1_38merge_mergepath_config_static_selectorELNS0_4arch9wavefront6targetE1EEEvSF_ ; -- Begin function _ZN7rocprim17ROCPRIM_400000_NS6detail17trampoline_kernelINS0_14default_configENS1_38merge_sort_block_merge_config_selectorIaNS0_10empty_typeEEEZZNS1_27merge_sort_block_merge_implIS3_PaPS5_jNS1_19radix_merge_compareILb1ELb0EaNS0_19identity_decomposerEEEEE10hipError_tT0_T1_T2_jT3_P12ihipStream_tbPNSt15iterator_traitsISE_E10value_typeEPNSK_ISF_E10value_typeEPSG_NS1_7vsmem_tEENKUlT_SE_SF_SG_E_clIS8_S8_S9_S9_EESD_ST_SE_SF_SG_EUlST_E0_NS1_11comp_targetILNS1_3genE2ELNS1_11target_archE906ELNS1_3gpuE6ELNS1_3repE0EEENS1_38merge_mergepath_config_static_selectorELNS0_4arch9wavefront6targetE1EEEvSF_
	.globl	_ZN7rocprim17ROCPRIM_400000_NS6detail17trampoline_kernelINS0_14default_configENS1_38merge_sort_block_merge_config_selectorIaNS0_10empty_typeEEEZZNS1_27merge_sort_block_merge_implIS3_PaPS5_jNS1_19radix_merge_compareILb1ELb0EaNS0_19identity_decomposerEEEEE10hipError_tT0_T1_T2_jT3_P12ihipStream_tbPNSt15iterator_traitsISE_E10value_typeEPNSK_ISF_E10value_typeEPSG_NS1_7vsmem_tEENKUlT_SE_SF_SG_E_clIS8_S8_S9_S9_EESD_ST_SE_SF_SG_EUlST_E0_NS1_11comp_targetILNS1_3genE2ELNS1_11target_archE906ELNS1_3gpuE6ELNS1_3repE0EEENS1_38merge_mergepath_config_static_selectorELNS0_4arch9wavefront6targetE1EEEvSF_
	.p2align	8
	.type	_ZN7rocprim17ROCPRIM_400000_NS6detail17trampoline_kernelINS0_14default_configENS1_38merge_sort_block_merge_config_selectorIaNS0_10empty_typeEEEZZNS1_27merge_sort_block_merge_implIS3_PaPS5_jNS1_19radix_merge_compareILb1ELb0EaNS0_19identity_decomposerEEEEE10hipError_tT0_T1_T2_jT3_P12ihipStream_tbPNSt15iterator_traitsISE_E10value_typeEPNSK_ISF_E10value_typeEPSG_NS1_7vsmem_tEENKUlT_SE_SF_SG_E_clIS8_S8_S9_S9_EESD_ST_SE_SF_SG_EUlST_E0_NS1_11comp_targetILNS1_3genE2ELNS1_11target_archE906ELNS1_3gpuE6ELNS1_3repE0EEENS1_38merge_mergepath_config_static_selectorELNS0_4arch9wavefront6targetE1EEEvSF_,@function
_ZN7rocprim17ROCPRIM_400000_NS6detail17trampoline_kernelINS0_14default_configENS1_38merge_sort_block_merge_config_selectorIaNS0_10empty_typeEEEZZNS1_27merge_sort_block_merge_implIS3_PaPS5_jNS1_19radix_merge_compareILb1ELb0EaNS0_19identity_decomposerEEEEE10hipError_tT0_T1_T2_jT3_P12ihipStream_tbPNSt15iterator_traitsISE_E10value_typeEPNSK_ISF_E10value_typeEPSG_NS1_7vsmem_tEENKUlT_SE_SF_SG_E_clIS8_S8_S9_S9_EESD_ST_SE_SF_SG_EUlST_E0_NS1_11comp_targetILNS1_3genE2ELNS1_11target_archE906ELNS1_3gpuE6ELNS1_3repE0EEENS1_38merge_mergepath_config_static_selectorELNS0_4arch9wavefront6targetE1EEEvSF_: ; @_ZN7rocprim17ROCPRIM_400000_NS6detail17trampoline_kernelINS0_14default_configENS1_38merge_sort_block_merge_config_selectorIaNS0_10empty_typeEEEZZNS1_27merge_sort_block_merge_implIS3_PaPS5_jNS1_19radix_merge_compareILb1ELb0EaNS0_19identity_decomposerEEEEE10hipError_tT0_T1_T2_jT3_P12ihipStream_tbPNSt15iterator_traitsISE_E10value_typeEPNSK_ISF_E10value_typeEPSG_NS1_7vsmem_tEENKUlT_SE_SF_SG_E_clIS8_S8_S9_S9_EESD_ST_SE_SF_SG_EUlST_E0_NS1_11comp_targetILNS1_3genE2ELNS1_11target_archE906ELNS1_3gpuE6ELNS1_3repE0EEENS1_38merge_mergepath_config_static_selectorELNS0_4arch9wavefront6targetE1EEEvSF_
; %bb.0:
	.section	.rodata,"a",@progbits
	.p2align	6, 0x0
	.amdhsa_kernel _ZN7rocprim17ROCPRIM_400000_NS6detail17trampoline_kernelINS0_14default_configENS1_38merge_sort_block_merge_config_selectorIaNS0_10empty_typeEEEZZNS1_27merge_sort_block_merge_implIS3_PaPS5_jNS1_19radix_merge_compareILb1ELb0EaNS0_19identity_decomposerEEEEE10hipError_tT0_T1_T2_jT3_P12ihipStream_tbPNSt15iterator_traitsISE_E10value_typeEPNSK_ISF_E10value_typeEPSG_NS1_7vsmem_tEENKUlT_SE_SF_SG_E_clIS8_S8_S9_S9_EESD_ST_SE_SF_SG_EUlST_E0_NS1_11comp_targetILNS1_3genE2ELNS1_11target_archE906ELNS1_3gpuE6ELNS1_3repE0EEENS1_38merge_mergepath_config_static_selectorELNS0_4arch9wavefront6targetE1EEEvSF_
		.amdhsa_group_segment_fixed_size 0
		.amdhsa_private_segment_fixed_size 0
		.amdhsa_kernarg_size 64
		.amdhsa_user_sgpr_count 6
		.amdhsa_user_sgpr_private_segment_buffer 1
		.amdhsa_user_sgpr_dispatch_ptr 0
		.amdhsa_user_sgpr_queue_ptr 0
		.amdhsa_user_sgpr_kernarg_segment_ptr 1
		.amdhsa_user_sgpr_dispatch_id 0
		.amdhsa_user_sgpr_flat_scratch_init 0
		.amdhsa_user_sgpr_kernarg_preload_length 0
		.amdhsa_user_sgpr_kernarg_preload_offset 0
		.amdhsa_user_sgpr_private_segment_size 0
		.amdhsa_uses_dynamic_stack 0
		.amdhsa_system_sgpr_private_segment_wavefront_offset 0
		.amdhsa_system_sgpr_workgroup_id_x 1
		.amdhsa_system_sgpr_workgroup_id_y 0
		.amdhsa_system_sgpr_workgroup_id_z 0
		.amdhsa_system_sgpr_workgroup_info 0
		.amdhsa_system_vgpr_workitem_id 0
		.amdhsa_next_free_vgpr 1
		.amdhsa_next_free_sgpr 0
		.amdhsa_accum_offset 4
		.amdhsa_reserve_vcc 0
		.amdhsa_reserve_flat_scratch 0
		.amdhsa_float_round_mode_32 0
		.amdhsa_float_round_mode_16_64 0
		.amdhsa_float_denorm_mode_32 3
		.amdhsa_float_denorm_mode_16_64 3
		.amdhsa_dx10_clamp 1
		.amdhsa_ieee_mode 1
		.amdhsa_fp16_overflow 0
		.amdhsa_tg_split 0
		.amdhsa_exception_fp_ieee_invalid_op 0
		.amdhsa_exception_fp_denorm_src 0
		.amdhsa_exception_fp_ieee_div_zero 0
		.amdhsa_exception_fp_ieee_overflow 0
		.amdhsa_exception_fp_ieee_underflow 0
		.amdhsa_exception_fp_ieee_inexact 0
		.amdhsa_exception_int_div_zero 0
	.end_amdhsa_kernel
	.section	.text._ZN7rocprim17ROCPRIM_400000_NS6detail17trampoline_kernelINS0_14default_configENS1_38merge_sort_block_merge_config_selectorIaNS0_10empty_typeEEEZZNS1_27merge_sort_block_merge_implIS3_PaPS5_jNS1_19radix_merge_compareILb1ELb0EaNS0_19identity_decomposerEEEEE10hipError_tT0_T1_T2_jT3_P12ihipStream_tbPNSt15iterator_traitsISE_E10value_typeEPNSK_ISF_E10value_typeEPSG_NS1_7vsmem_tEENKUlT_SE_SF_SG_E_clIS8_S8_S9_S9_EESD_ST_SE_SF_SG_EUlST_E0_NS1_11comp_targetILNS1_3genE2ELNS1_11target_archE906ELNS1_3gpuE6ELNS1_3repE0EEENS1_38merge_mergepath_config_static_selectorELNS0_4arch9wavefront6targetE1EEEvSF_,"axG",@progbits,_ZN7rocprim17ROCPRIM_400000_NS6detail17trampoline_kernelINS0_14default_configENS1_38merge_sort_block_merge_config_selectorIaNS0_10empty_typeEEEZZNS1_27merge_sort_block_merge_implIS3_PaPS5_jNS1_19radix_merge_compareILb1ELb0EaNS0_19identity_decomposerEEEEE10hipError_tT0_T1_T2_jT3_P12ihipStream_tbPNSt15iterator_traitsISE_E10value_typeEPNSK_ISF_E10value_typeEPSG_NS1_7vsmem_tEENKUlT_SE_SF_SG_E_clIS8_S8_S9_S9_EESD_ST_SE_SF_SG_EUlST_E0_NS1_11comp_targetILNS1_3genE2ELNS1_11target_archE906ELNS1_3gpuE6ELNS1_3repE0EEENS1_38merge_mergepath_config_static_selectorELNS0_4arch9wavefront6targetE1EEEvSF_,comdat
.Lfunc_end1587:
	.size	_ZN7rocprim17ROCPRIM_400000_NS6detail17trampoline_kernelINS0_14default_configENS1_38merge_sort_block_merge_config_selectorIaNS0_10empty_typeEEEZZNS1_27merge_sort_block_merge_implIS3_PaPS5_jNS1_19radix_merge_compareILb1ELb0EaNS0_19identity_decomposerEEEEE10hipError_tT0_T1_T2_jT3_P12ihipStream_tbPNSt15iterator_traitsISE_E10value_typeEPNSK_ISF_E10value_typeEPSG_NS1_7vsmem_tEENKUlT_SE_SF_SG_E_clIS8_S8_S9_S9_EESD_ST_SE_SF_SG_EUlST_E0_NS1_11comp_targetILNS1_3genE2ELNS1_11target_archE906ELNS1_3gpuE6ELNS1_3repE0EEENS1_38merge_mergepath_config_static_selectorELNS0_4arch9wavefront6targetE1EEEvSF_, .Lfunc_end1587-_ZN7rocprim17ROCPRIM_400000_NS6detail17trampoline_kernelINS0_14default_configENS1_38merge_sort_block_merge_config_selectorIaNS0_10empty_typeEEEZZNS1_27merge_sort_block_merge_implIS3_PaPS5_jNS1_19radix_merge_compareILb1ELb0EaNS0_19identity_decomposerEEEEE10hipError_tT0_T1_T2_jT3_P12ihipStream_tbPNSt15iterator_traitsISE_E10value_typeEPNSK_ISF_E10value_typeEPSG_NS1_7vsmem_tEENKUlT_SE_SF_SG_E_clIS8_S8_S9_S9_EESD_ST_SE_SF_SG_EUlST_E0_NS1_11comp_targetILNS1_3genE2ELNS1_11target_archE906ELNS1_3gpuE6ELNS1_3repE0EEENS1_38merge_mergepath_config_static_selectorELNS0_4arch9wavefront6targetE1EEEvSF_
                                        ; -- End function
	.section	.AMDGPU.csdata,"",@progbits
; Kernel info:
; codeLenInByte = 0
; NumSgprs: 4
; NumVgprs: 0
; NumAgprs: 0
; TotalNumVgprs: 0
; ScratchSize: 0
; MemoryBound: 0
; FloatMode: 240
; IeeeMode: 1
; LDSByteSize: 0 bytes/workgroup (compile time only)
; SGPRBlocks: 0
; VGPRBlocks: 0
; NumSGPRsForWavesPerEU: 4
; NumVGPRsForWavesPerEU: 1
; AccumOffset: 4
; Occupancy: 8
; WaveLimiterHint : 0
; COMPUTE_PGM_RSRC2:SCRATCH_EN: 0
; COMPUTE_PGM_RSRC2:USER_SGPR: 6
; COMPUTE_PGM_RSRC2:TRAP_HANDLER: 0
; COMPUTE_PGM_RSRC2:TGID_X_EN: 1
; COMPUTE_PGM_RSRC2:TGID_Y_EN: 0
; COMPUTE_PGM_RSRC2:TGID_Z_EN: 0
; COMPUTE_PGM_RSRC2:TIDIG_COMP_CNT: 0
; COMPUTE_PGM_RSRC3_GFX90A:ACCUM_OFFSET: 0
; COMPUTE_PGM_RSRC3_GFX90A:TG_SPLIT: 0
	.section	.text._ZN7rocprim17ROCPRIM_400000_NS6detail17trampoline_kernelINS0_14default_configENS1_38merge_sort_block_merge_config_selectorIaNS0_10empty_typeEEEZZNS1_27merge_sort_block_merge_implIS3_PaPS5_jNS1_19radix_merge_compareILb1ELb0EaNS0_19identity_decomposerEEEEE10hipError_tT0_T1_T2_jT3_P12ihipStream_tbPNSt15iterator_traitsISE_E10value_typeEPNSK_ISF_E10value_typeEPSG_NS1_7vsmem_tEENKUlT_SE_SF_SG_E_clIS8_S8_S9_S9_EESD_ST_SE_SF_SG_EUlST_E0_NS1_11comp_targetILNS1_3genE9ELNS1_11target_archE1100ELNS1_3gpuE3ELNS1_3repE0EEENS1_38merge_mergepath_config_static_selectorELNS0_4arch9wavefront6targetE1EEEvSF_,"axG",@progbits,_ZN7rocprim17ROCPRIM_400000_NS6detail17trampoline_kernelINS0_14default_configENS1_38merge_sort_block_merge_config_selectorIaNS0_10empty_typeEEEZZNS1_27merge_sort_block_merge_implIS3_PaPS5_jNS1_19radix_merge_compareILb1ELb0EaNS0_19identity_decomposerEEEEE10hipError_tT0_T1_T2_jT3_P12ihipStream_tbPNSt15iterator_traitsISE_E10value_typeEPNSK_ISF_E10value_typeEPSG_NS1_7vsmem_tEENKUlT_SE_SF_SG_E_clIS8_S8_S9_S9_EESD_ST_SE_SF_SG_EUlST_E0_NS1_11comp_targetILNS1_3genE9ELNS1_11target_archE1100ELNS1_3gpuE3ELNS1_3repE0EEENS1_38merge_mergepath_config_static_selectorELNS0_4arch9wavefront6targetE1EEEvSF_,comdat
	.protected	_ZN7rocprim17ROCPRIM_400000_NS6detail17trampoline_kernelINS0_14default_configENS1_38merge_sort_block_merge_config_selectorIaNS0_10empty_typeEEEZZNS1_27merge_sort_block_merge_implIS3_PaPS5_jNS1_19radix_merge_compareILb1ELb0EaNS0_19identity_decomposerEEEEE10hipError_tT0_T1_T2_jT3_P12ihipStream_tbPNSt15iterator_traitsISE_E10value_typeEPNSK_ISF_E10value_typeEPSG_NS1_7vsmem_tEENKUlT_SE_SF_SG_E_clIS8_S8_S9_S9_EESD_ST_SE_SF_SG_EUlST_E0_NS1_11comp_targetILNS1_3genE9ELNS1_11target_archE1100ELNS1_3gpuE3ELNS1_3repE0EEENS1_38merge_mergepath_config_static_selectorELNS0_4arch9wavefront6targetE1EEEvSF_ ; -- Begin function _ZN7rocprim17ROCPRIM_400000_NS6detail17trampoline_kernelINS0_14default_configENS1_38merge_sort_block_merge_config_selectorIaNS0_10empty_typeEEEZZNS1_27merge_sort_block_merge_implIS3_PaPS5_jNS1_19radix_merge_compareILb1ELb0EaNS0_19identity_decomposerEEEEE10hipError_tT0_T1_T2_jT3_P12ihipStream_tbPNSt15iterator_traitsISE_E10value_typeEPNSK_ISF_E10value_typeEPSG_NS1_7vsmem_tEENKUlT_SE_SF_SG_E_clIS8_S8_S9_S9_EESD_ST_SE_SF_SG_EUlST_E0_NS1_11comp_targetILNS1_3genE9ELNS1_11target_archE1100ELNS1_3gpuE3ELNS1_3repE0EEENS1_38merge_mergepath_config_static_selectorELNS0_4arch9wavefront6targetE1EEEvSF_
	.globl	_ZN7rocprim17ROCPRIM_400000_NS6detail17trampoline_kernelINS0_14default_configENS1_38merge_sort_block_merge_config_selectorIaNS0_10empty_typeEEEZZNS1_27merge_sort_block_merge_implIS3_PaPS5_jNS1_19radix_merge_compareILb1ELb0EaNS0_19identity_decomposerEEEEE10hipError_tT0_T1_T2_jT3_P12ihipStream_tbPNSt15iterator_traitsISE_E10value_typeEPNSK_ISF_E10value_typeEPSG_NS1_7vsmem_tEENKUlT_SE_SF_SG_E_clIS8_S8_S9_S9_EESD_ST_SE_SF_SG_EUlST_E0_NS1_11comp_targetILNS1_3genE9ELNS1_11target_archE1100ELNS1_3gpuE3ELNS1_3repE0EEENS1_38merge_mergepath_config_static_selectorELNS0_4arch9wavefront6targetE1EEEvSF_
	.p2align	8
	.type	_ZN7rocprim17ROCPRIM_400000_NS6detail17trampoline_kernelINS0_14default_configENS1_38merge_sort_block_merge_config_selectorIaNS0_10empty_typeEEEZZNS1_27merge_sort_block_merge_implIS3_PaPS5_jNS1_19radix_merge_compareILb1ELb0EaNS0_19identity_decomposerEEEEE10hipError_tT0_T1_T2_jT3_P12ihipStream_tbPNSt15iterator_traitsISE_E10value_typeEPNSK_ISF_E10value_typeEPSG_NS1_7vsmem_tEENKUlT_SE_SF_SG_E_clIS8_S8_S9_S9_EESD_ST_SE_SF_SG_EUlST_E0_NS1_11comp_targetILNS1_3genE9ELNS1_11target_archE1100ELNS1_3gpuE3ELNS1_3repE0EEENS1_38merge_mergepath_config_static_selectorELNS0_4arch9wavefront6targetE1EEEvSF_,@function
_ZN7rocprim17ROCPRIM_400000_NS6detail17trampoline_kernelINS0_14default_configENS1_38merge_sort_block_merge_config_selectorIaNS0_10empty_typeEEEZZNS1_27merge_sort_block_merge_implIS3_PaPS5_jNS1_19radix_merge_compareILb1ELb0EaNS0_19identity_decomposerEEEEE10hipError_tT0_T1_T2_jT3_P12ihipStream_tbPNSt15iterator_traitsISE_E10value_typeEPNSK_ISF_E10value_typeEPSG_NS1_7vsmem_tEENKUlT_SE_SF_SG_E_clIS8_S8_S9_S9_EESD_ST_SE_SF_SG_EUlST_E0_NS1_11comp_targetILNS1_3genE9ELNS1_11target_archE1100ELNS1_3gpuE3ELNS1_3repE0EEENS1_38merge_mergepath_config_static_selectorELNS0_4arch9wavefront6targetE1EEEvSF_: ; @_ZN7rocprim17ROCPRIM_400000_NS6detail17trampoline_kernelINS0_14default_configENS1_38merge_sort_block_merge_config_selectorIaNS0_10empty_typeEEEZZNS1_27merge_sort_block_merge_implIS3_PaPS5_jNS1_19radix_merge_compareILb1ELb0EaNS0_19identity_decomposerEEEEE10hipError_tT0_T1_T2_jT3_P12ihipStream_tbPNSt15iterator_traitsISE_E10value_typeEPNSK_ISF_E10value_typeEPSG_NS1_7vsmem_tEENKUlT_SE_SF_SG_E_clIS8_S8_S9_S9_EESD_ST_SE_SF_SG_EUlST_E0_NS1_11comp_targetILNS1_3genE9ELNS1_11target_archE1100ELNS1_3gpuE3ELNS1_3repE0EEENS1_38merge_mergepath_config_static_selectorELNS0_4arch9wavefront6targetE1EEEvSF_
; %bb.0:
	.section	.rodata,"a",@progbits
	.p2align	6, 0x0
	.amdhsa_kernel _ZN7rocprim17ROCPRIM_400000_NS6detail17trampoline_kernelINS0_14default_configENS1_38merge_sort_block_merge_config_selectorIaNS0_10empty_typeEEEZZNS1_27merge_sort_block_merge_implIS3_PaPS5_jNS1_19radix_merge_compareILb1ELb0EaNS0_19identity_decomposerEEEEE10hipError_tT0_T1_T2_jT3_P12ihipStream_tbPNSt15iterator_traitsISE_E10value_typeEPNSK_ISF_E10value_typeEPSG_NS1_7vsmem_tEENKUlT_SE_SF_SG_E_clIS8_S8_S9_S9_EESD_ST_SE_SF_SG_EUlST_E0_NS1_11comp_targetILNS1_3genE9ELNS1_11target_archE1100ELNS1_3gpuE3ELNS1_3repE0EEENS1_38merge_mergepath_config_static_selectorELNS0_4arch9wavefront6targetE1EEEvSF_
		.amdhsa_group_segment_fixed_size 0
		.amdhsa_private_segment_fixed_size 0
		.amdhsa_kernarg_size 64
		.amdhsa_user_sgpr_count 6
		.amdhsa_user_sgpr_private_segment_buffer 1
		.amdhsa_user_sgpr_dispatch_ptr 0
		.amdhsa_user_sgpr_queue_ptr 0
		.amdhsa_user_sgpr_kernarg_segment_ptr 1
		.amdhsa_user_sgpr_dispatch_id 0
		.amdhsa_user_sgpr_flat_scratch_init 0
		.amdhsa_user_sgpr_kernarg_preload_length 0
		.amdhsa_user_sgpr_kernarg_preload_offset 0
		.amdhsa_user_sgpr_private_segment_size 0
		.amdhsa_uses_dynamic_stack 0
		.amdhsa_system_sgpr_private_segment_wavefront_offset 0
		.amdhsa_system_sgpr_workgroup_id_x 1
		.amdhsa_system_sgpr_workgroup_id_y 0
		.amdhsa_system_sgpr_workgroup_id_z 0
		.amdhsa_system_sgpr_workgroup_info 0
		.amdhsa_system_vgpr_workitem_id 0
		.amdhsa_next_free_vgpr 1
		.amdhsa_next_free_sgpr 0
		.amdhsa_accum_offset 4
		.amdhsa_reserve_vcc 0
		.amdhsa_reserve_flat_scratch 0
		.amdhsa_float_round_mode_32 0
		.amdhsa_float_round_mode_16_64 0
		.amdhsa_float_denorm_mode_32 3
		.amdhsa_float_denorm_mode_16_64 3
		.amdhsa_dx10_clamp 1
		.amdhsa_ieee_mode 1
		.amdhsa_fp16_overflow 0
		.amdhsa_tg_split 0
		.amdhsa_exception_fp_ieee_invalid_op 0
		.amdhsa_exception_fp_denorm_src 0
		.amdhsa_exception_fp_ieee_div_zero 0
		.amdhsa_exception_fp_ieee_overflow 0
		.amdhsa_exception_fp_ieee_underflow 0
		.amdhsa_exception_fp_ieee_inexact 0
		.amdhsa_exception_int_div_zero 0
	.end_amdhsa_kernel
	.section	.text._ZN7rocprim17ROCPRIM_400000_NS6detail17trampoline_kernelINS0_14default_configENS1_38merge_sort_block_merge_config_selectorIaNS0_10empty_typeEEEZZNS1_27merge_sort_block_merge_implIS3_PaPS5_jNS1_19radix_merge_compareILb1ELb0EaNS0_19identity_decomposerEEEEE10hipError_tT0_T1_T2_jT3_P12ihipStream_tbPNSt15iterator_traitsISE_E10value_typeEPNSK_ISF_E10value_typeEPSG_NS1_7vsmem_tEENKUlT_SE_SF_SG_E_clIS8_S8_S9_S9_EESD_ST_SE_SF_SG_EUlST_E0_NS1_11comp_targetILNS1_3genE9ELNS1_11target_archE1100ELNS1_3gpuE3ELNS1_3repE0EEENS1_38merge_mergepath_config_static_selectorELNS0_4arch9wavefront6targetE1EEEvSF_,"axG",@progbits,_ZN7rocprim17ROCPRIM_400000_NS6detail17trampoline_kernelINS0_14default_configENS1_38merge_sort_block_merge_config_selectorIaNS0_10empty_typeEEEZZNS1_27merge_sort_block_merge_implIS3_PaPS5_jNS1_19radix_merge_compareILb1ELb0EaNS0_19identity_decomposerEEEEE10hipError_tT0_T1_T2_jT3_P12ihipStream_tbPNSt15iterator_traitsISE_E10value_typeEPNSK_ISF_E10value_typeEPSG_NS1_7vsmem_tEENKUlT_SE_SF_SG_E_clIS8_S8_S9_S9_EESD_ST_SE_SF_SG_EUlST_E0_NS1_11comp_targetILNS1_3genE9ELNS1_11target_archE1100ELNS1_3gpuE3ELNS1_3repE0EEENS1_38merge_mergepath_config_static_selectorELNS0_4arch9wavefront6targetE1EEEvSF_,comdat
.Lfunc_end1588:
	.size	_ZN7rocprim17ROCPRIM_400000_NS6detail17trampoline_kernelINS0_14default_configENS1_38merge_sort_block_merge_config_selectorIaNS0_10empty_typeEEEZZNS1_27merge_sort_block_merge_implIS3_PaPS5_jNS1_19radix_merge_compareILb1ELb0EaNS0_19identity_decomposerEEEEE10hipError_tT0_T1_T2_jT3_P12ihipStream_tbPNSt15iterator_traitsISE_E10value_typeEPNSK_ISF_E10value_typeEPSG_NS1_7vsmem_tEENKUlT_SE_SF_SG_E_clIS8_S8_S9_S9_EESD_ST_SE_SF_SG_EUlST_E0_NS1_11comp_targetILNS1_3genE9ELNS1_11target_archE1100ELNS1_3gpuE3ELNS1_3repE0EEENS1_38merge_mergepath_config_static_selectorELNS0_4arch9wavefront6targetE1EEEvSF_, .Lfunc_end1588-_ZN7rocprim17ROCPRIM_400000_NS6detail17trampoline_kernelINS0_14default_configENS1_38merge_sort_block_merge_config_selectorIaNS0_10empty_typeEEEZZNS1_27merge_sort_block_merge_implIS3_PaPS5_jNS1_19radix_merge_compareILb1ELb0EaNS0_19identity_decomposerEEEEE10hipError_tT0_T1_T2_jT3_P12ihipStream_tbPNSt15iterator_traitsISE_E10value_typeEPNSK_ISF_E10value_typeEPSG_NS1_7vsmem_tEENKUlT_SE_SF_SG_E_clIS8_S8_S9_S9_EESD_ST_SE_SF_SG_EUlST_E0_NS1_11comp_targetILNS1_3genE9ELNS1_11target_archE1100ELNS1_3gpuE3ELNS1_3repE0EEENS1_38merge_mergepath_config_static_selectorELNS0_4arch9wavefront6targetE1EEEvSF_
                                        ; -- End function
	.section	.AMDGPU.csdata,"",@progbits
; Kernel info:
; codeLenInByte = 0
; NumSgprs: 4
; NumVgprs: 0
; NumAgprs: 0
; TotalNumVgprs: 0
; ScratchSize: 0
; MemoryBound: 0
; FloatMode: 240
; IeeeMode: 1
; LDSByteSize: 0 bytes/workgroup (compile time only)
; SGPRBlocks: 0
; VGPRBlocks: 0
; NumSGPRsForWavesPerEU: 4
; NumVGPRsForWavesPerEU: 1
; AccumOffset: 4
; Occupancy: 8
; WaveLimiterHint : 0
; COMPUTE_PGM_RSRC2:SCRATCH_EN: 0
; COMPUTE_PGM_RSRC2:USER_SGPR: 6
; COMPUTE_PGM_RSRC2:TRAP_HANDLER: 0
; COMPUTE_PGM_RSRC2:TGID_X_EN: 1
; COMPUTE_PGM_RSRC2:TGID_Y_EN: 0
; COMPUTE_PGM_RSRC2:TGID_Z_EN: 0
; COMPUTE_PGM_RSRC2:TIDIG_COMP_CNT: 0
; COMPUTE_PGM_RSRC3_GFX90A:ACCUM_OFFSET: 0
; COMPUTE_PGM_RSRC3_GFX90A:TG_SPLIT: 0
	.section	.text._ZN7rocprim17ROCPRIM_400000_NS6detail17trampoline_kernelINS0_14default_configENS1_38merge_sort_block_merge_config_selectorIaNS0_10empty_typeEEEZZNS1_27merge_sort_block_merge_implIS3_PaPS5_jNS1_19radix_merge_compareILb1ELb0EaNS0_19identity_decomposerEEEEE10hipError_tT0_T1_T2_jT3_P12ihipStream_tbPNSt15iterator_traitsISE_E10value_typeEPNSK_ISF_E10value_typeEPSG_NS1_7vsmem_tEENKUlT_SE_SF_SG_E_clIS8_S8_S9_S9_EESD_ST_SE_SF_SG_EUlST_E0_NS1_11comp_targetILNS1_3genE8ELNS1_11target_archE1030ELNS1_3gpuE2ELNS1_3repE0EEENS1_38merge_mergepath_config_static_selectorELNS0_4arch9wavefront6targetE1EEEvSF_,"axG",@progbits,_ZN7rocprim17ROCPRIM_400000_NS6detail17trampoline_kernelINS0_14default_configENS1_38merge_sort_block_merge_config_selectorIaNS0_10empty_typeEEEZZNS1_27merge_sort_block_merge_implIS3_PaPS5_jNS1_19radix_merge_compareILb1ELb0EaNS0_19identity_decomposerEEEEE10hipError_tT0_T1_T2_jT3_P12ihipStream_tbPNSt15iterator_traitsISE_E10value_typeEPNSK_ISF_E10value_typeEPSG_NS1_7vsmem_tEENKUlT_SE_SF_SG_E_clIS8_S8_S9_S9_EESD_ST_SE_SF_SG_EUlST_E0_NS1_11comp_targetILNS1_3genE8ELNS1_11target_archE1030ELNS1_3gpuE2ELNS1_3repE0EEENS1_38merge_mergepath_config_static_selectorELNS0_4arch9wavefront6targetE1EEEvSF_,comdat
	.protected	_ZN7rocprim17ROCPRIM_400000_NS6detail17trampoline_kernelINS0_14default_configENS1_38merge_sort_block_merge_config_selectorIaNS0_10empty_typeEEEZZNS1_27merge_sort_block_merge_implIS3_PaPS5_jNS1_19radix_merge_compareILb1ELb0EaNS0_19identity_decomposerEEEEE10hipError_tT0_T1_T2_jT3_P12ihipStream_tbPNSt15iterator_traitsISE_E10value_typeEPNSK_ISF_E10value_typeEPSG_NS1_7vsmem_tEENKUlT_SE_SF_SG_E_clIS8_S8_S9_S9_EESD_ST_SE_SF_SG_EUlST_E0_NS1_11comp_targetILNS1_3genE8ELNS1_11target_archE1030ELNS1_3gpuE2ELNS1_3repE0EEENS1_38merge_mergepath_config_static_selectorELNS0_4arch9wavefront6targetE1EEEvSF_ ; -- Begin function _ZN7rocprim17ROCPRIM_400000_NS6detail17trampoline_kernelINS0_14default_configENS1_38merge_sort_block_merge_config_selectorIaNS0_10empty_typeEEEZZNS1_27merge_sort_block_merge_implIS3_PaPS5_jNS1_19radix_merge_compareILb1ELb0EaNS0_19identity_decomposerEEEEE10hipError_tT0_T1_T2_jT3_P12ihipStream_tbPNSt15iterator_traitsISE_E10value_typeEPNSK_ISF_E10value_typeEPSG_NS1_7vsmem_tEENKUlT_SE_SF_SG_E_clIS8_S8_S9_S9_EESD_ST_SE_SF_SG_EUlST_E0_NS1_11comp_targetILNS1_3genE8ELNS1_11target_archE1030ELNS1_3gpuE2ELNS1_3repE0EEENS1_38merge_mergepath_config_static_selectorELNS0_4arch9wavefront6targetE1EEEvSF_
	.globl	_ZN7rocprim17ROCPRIM_400000_NS6detail17trampoline_kernelINS0_14default_configENS1_38merge_sort_block_merge_config_selectorIaNS0_10empty_typeEEEZZNS1_27merge_sort_block_merge_implIS3_PaPS5_jNS1_19radix_merge_compareILb1ELb0EaNS0_19identity_decomposerEEEEE10hipError_tT0_T1_T2_jT3_P12ihipStream_tbPNSt15iterator_traitsISE_E10value_typeEPNSK_ISF_E10value_typeEPSG_NS1_7vsmem_tEENKUlT_SE_SF_SG_E_clIS8_S8_S9_S9_EESD_ST_SE_SF_SG_EUlST_E0_NS1_11comp_targetILNS1_3genE8ELNS1_11target_archE1030ELNS1_3gpuE2ELNS1_3repE0EEENS1_38merge_mergepath_config_static_selectorELNS0_4arch9wavefront6targetE1EEEvSF_
	.p2align	8
	.type	_ZN7rocprim17ROCPRIM_400000_NS6detail17trampoline_kernelINS0_14default_configENS1_38merge_sort_block_merge_config_selectorIaNS0_10empty_typeEEEZZNS1_27merge_sort_block_merge_implIS3_PaPS5_jNS1_19radix_merge_compareILb1ELb0EaNS0_19identity_decomposerEEEEE10hipError_tT0_T1_T2_jT3_P12ihipStream_tbPNSt15iterator_traitsISE_E10value_typeEPNSK_ISF_E10value_typeEPSG_NS1_7vsmem_tEENKUlT_SE_SF_SG_E_clIS8_S8_S9_S9_EESD_ST_SE_SF_SG_EUlST_E0_NS1_11comp_targetILNS1_3genE8ELNS1_11target_archE1030ELNS1_3gpuE2ELNS1_3repE0EEENS1_38merge_mergepath_config_static_selectorELNS0_4arch9wavefront6targetE1EEEvSF_,@function
_ZN7rocprim17ROCPRIM_400000_NS6detail17trampoline_kernelINS0_14default_configENS1_38merge_sort_block_merge_config_selectorIaNS0_10empty_typeEEEZZNS1_27merge_sort_block_merge_implIS3_PaPS5_jNS1_19radix_merge_compareILb1ELb0EaNS0_19identity_decomposerEEEEE10hipError_tT0_T1_T2_jT3_P12ihipStream_tbPNSt15iterator_traitsISE_E10value_typeEPNSK_ISF_E10value_typeEPSG_NS1_7vsmem_tEENKUlT_SE_SF_SG_E_clIS8_S8_S9_S9_EESD_ST_SE_SF_SG_EUlST_E0_NS1_11comp_targetILNS1_3genE8ELNS1_11target_archE1030ELNS1_3gpuE2ELNS1_3repE0EEENS1_38merge_mergepath_config_static_selectorELNS0_4arch9wavefront6targetE1EEEvSF_: ; @_ZN7rocprim17ROCPRIM_400000_NS6detail17trampoline_kernelINS0_14default_configENS1_38merge_sort_block_merge_config_selectorIaNS0_10empty_typeEEEZZNS1_27merge_sort_block_merge_implIS3_PaPS5_jNS1_19radix_merge_compareILb1ELb0EaNS0_19identity_decomposerEEEEE10hipError_tT0_T1_T2_jT3_P12ihipStream_tbPNSt15iterator_traitsISE_E10value_typeEPNSK_ISF_E10value_typeEPSG_NS1_7vsmem_tEENKUlT_SE_SF_SG_E_clIS8_S8_S9_S9_EESD_ST_SE_SF_SG_EUlST_E0_NS1_11comp_targetILNS1_3genE8ELNS1_11target_archE1030ELNS1_3gpuE2ELNS1_3repE0EEENS1_38merge_mergepath_config_static_selectorELNS0_4arch9wavefront6targetE1EEEvSF_
; %bb.0:
	.section	.rodata,"a",@progbits
	.p2align	6, 0x0
	.amdhsa_kernel _ZN7rocprim17ROCPRIM_400000_NS6detail17trampoline_kernelINS0_14default_configENS1_38merge_sort_block_merge_config_selectorIaNS0_10empty_typeEEEZZNS1_27merge_sort_block_merge_implIS3_PaPS5_jNS1_19radix_merge_compareILb1ELb0EaNS0_19identity_decomposerEEEEE10hipError_tT0_T1_T2_jT3_P12ihipStream_tbPNSt15iterator_traitsISE_E10value_typeEPNSK_ISF_E10value_typeEPSG_NS1_7vsmem_tEENKUlT_SE_SF_SG_E_clIS8_S8_S9_S9_EESD_ST_SE_SF_SG_EUlST_E0_NS1_11comp_targetILNS1_3genE8ELNS1_11target_archE1030ELNS1_3gpuE2ELNS1_3repE0EEENS1_38merge_mergepath_config_static_selectorELNS0_4arch9wavefront6targetE1EEEvSF_
		.amdhsa_group_segment_fixed_size 0
		.amdhsa_private_segment_fixed_size 0
		.amdhsa_kernarg_size 64
		.amdhsa_user_sgpr_count 6
		.amdhsa_user_sgpr_private_segment_buffer 1
		.amdhsa_user_sgpr_dispatch_ptr 0
		.amdhsa_user_sgpr_queue_ptr 0
		.amdhsa_user_sgpr_kernarg_segment_ptr 1
		.amdhsa_user_sgpr_dispatch_id 0
		.amdhsa_user_sgpr_flat_scratch_init 0
		.amdhsa_user_sgpr_kernarg_preload_length 0
		.amdhsa_user_sgpr_kernarg_preload_offset 0
		.amdhsa_user_sgpr_private_segment_size 0
		.amdhsa_uses_dynamic_stack 0
		.amdhsa_system_sgpr_private_segment_wavefront_offset 0
		.amdhsa_system_sgpr_workgroup_id_x 1
		.amdhsa_system_sgpr_workgroup_id_y 0
		.amdhsa_system_sgpr_workgroup_id_z 0
		.amdhsa_system_sgpr_workgroup_info 0
		.amdhsa_system_vgpr_workitem_id 0
		.amdhsa_next_free_vgpr 1
		.amdhsa_next_free_sgpr 0
		.amdhsa_accum_offset 4
		.amdhsa_reserve_vcc 0
		.amdhsa_reserve_flat_scratch 0
		.amdhsa_float_round_mode_32 0
		.amdhsa_float_round_mode_16_64 0
		.amdhsa_float_denorm_mode_32 3
		.amdhsa_float_denorm_mode_16_64 3
		.amdhsa_dx10_clamp 1
		.amdhsa_ieee_mode 1
		.amdhsa_fp16_overflow 0
		.amdhsa_tg_split 0
		.amdhsa_exception_fp_ieee_invalid_op 0
		.amdhsa_exception_fp_denorm_src 0
		.amdhsa_exception_fp_ieee_div_zero 0
		.amdhsa_exception_fp_ieee_overflow 0
		.amdhsa_exception_fp_ieee_underflow 0
		.amdhsa_exception_fp_ieee_inexact 0
		.amdhsa_exception_int_div_zero 0
	.end_amdhsa_kernel
	.section	.text._ZN7rocprim17ROCPRIM_400000_NS6detail17trampoline_kernelINS0_14default_configENS1_38merge_sort_block_merge_config_selectorIaNS0_10empty_typeEEEZZNS1_27merge_sort_block_merge_implIS3_PaPS5_jNS1_19radix_merge_compareILb1ELb0EaNS0_19identity_decomposerEEEEE10hipError_tT0_T1_T2_jT3_P12ihipStream_tbPNSt15iterator_traitsISE_E10value_typeEPNSK_ISF_E10value_typeEPSG_NS1_7vsmem_tEENKUlT_SE_SF_SG_E_clIS8_S8_S9_S9_EESD_ST_SE_SF_SG_EUlST_E0_NS1_11comp_targetILNS1_3genE8ELNS1_11target_archE1030ELNS1_3gpuE2ELNS1_3repE0EEENS1_38merge_mergepath_config_static_selectorELNS0_4arch9wavefront6targetE1EEEvSF_,"axG",@progbits,_ZN7rocprim17ROCPRIM_400000_NS6detail17trampoline_kernelINS0_14default_configENS1_38merge_sort_block_merge_config_selectorIaNS0_10empty_typeEEEZZNS1_27merge_sort_block_merge_implIS3_PaPS5_jNS1_19radix_merge_compareILb1ELb0EaNS0_19identity_decomposerEEEEE10hipError_tT0_T1_T2_jT3_P12ihipStream_tbPNSt15iterator_traitsISE_E10value_typeEPNSK_ISF_E10value_typeEPSG_NS1_7vsmem_tEENKUlT_SE_SF_SG_E_clIS8_S8_S9_S9_EESD_ST_SE_SF_SG_EUlST_E0_NS1_11comp_targetILNS1_3genE8ELNS1_11target_archE1030ELNS1_3gpuE2ELNS1_3repE0EEENS1_38merge_mergepath_config_static_selectorELNS0_4arch9wavefront6targetE1EEEvSF_,comdat
.Lfunc_end1589:
	.size	_ZN7rocprim17ROCPRIM_400000_NS6detail17trampoline_kernelINS0_14default_configENS1_38merge_sort_block_merge_config_selectorIaNS0_10empty_typeEEEZZNS1_27merge_sort_block_merge_implIS3_PaPS5_jNS1_19radix_merge_compareILb1ELb0EaNS0_19identity_decomposerEEEEE10hipError_tT0_T1_T2_jT3_P12ihipStream_tbPNSt15iterator_traitsISE_E10value_typeEPNSK_ISF_E10value_typeEPSG_NS1_7vsmem_tEENKUlT_SE_SF_SG_E_clIS8_S8_S9_S9_EESD_ST_SE_SF_SG_EUlST_E0_NS1_11comp_targetILNS1_3genE8ELNS1_11target_archE1030ELNS1_3gpuE2ELNS1_3repE0EEENS1_38merge_mergepath_config_static_selectorELNS0_4arch9wavefront6targetE1EEEvSF_, .Lfunc_end1589-_ZN7rocprim17ROCPRIM_400000_NS6detail17trampoline_kernelINS0_14default_configENS1_38merge_sort_block_merge_config_selectorIaNS0_10empty_typeEEEZZNS1_27merge_sort_block_merge_implIS3_PaPS5_jNS1_19radix_merge_compareILb1ELb0EaNS0_19identity_decomposerEEEEE10hipError_tT0_T1_T2_jT3_P12ihipStream_tbPNSt15iterator_traitsISE_E10value_typeEPNSK_ISF_E10value_typeEPSG_NS1_7vsmem_tEENKUlT_SE_SF_SG_E_clIS8_S8_S9_S9_EESD_ST_SE_SF_SG_EUlST_E0_NS1_11comp_targetILNS1_3genE8ELNS1_11target_archE1030ELNS1_3gpuE2ELNS1_3repE0EEENS1_38merge_mergepath_config_static_selectorELNS0_4arch9wavefront6targetE1EEEvSF_
                                        ; -- End function
	.section	.AMDGPU.csdata,"",@progbits
; Kernel info:
; codeLenInByte = 0
; NumSgprs: 4
; NumVgprs: 0
; NumAgprs: 0
; TotalNumVgprs: 0
; ScratchSize: 0
; MemoryBound: 0
; FloatMode: 240
; IeeeMode: 1
; LDSByteSize: 0 bytes/workgroup (compile time only)
; SGPRBlocks: 0
; VGPRBlocks: 0
; NumSGPRsForWavesPerEU: 4
; NumVGPRsForWavesPerEU: 1
; AccumOffset: 4
; Occupancy: 8
; WaveLimiterHint : 0
; COMPUTE_PGM_RSRC2:SCRATCH_EN: 0
; COMPUTE_PGM_RSRC2:USER_SGPR: 6
; COMPUTE_PGM_RSRC2:TRAP_HANDLER: 0
; COMPUTE_PGM_RSRC2:TGID_X_EN: 1
; COMPUTE_PGM_RSRC2:TGID_Y_EN: 0
; COMPUTE_PGM_RSRC2:TGID_Z_EN: 0
; COMPUTE_PGM_RSRC2:TIDIG_COMP_CNT: 0
; COMPUTE_PGM_RSRC3_GFX90A:ACCUM_OFFSET: 0
; COMPUTE_PGM_RSRC3_GFX90A:TG_SPLIT: 0
	.section	.text._ZN7rocprim17ROCPRIM_400000_NS6detail17trampoline_kernelINS0_14default_configENS1_38merge_sort_block_merge_config_selectorIaNS0_10empty_typeEEEZZNS1_27merge_sort_block_merge_implIS3_PaPS5_jNS1_19radix_merge_compareILb1ELb0EaNS0_19identity_decomposerEEEEE10hipError_tT0_T1_T2_jT3_P12ihipStream_tbPNSt15iterator_traitsISE_E10value_typeEPNSK_ISF_E10value_typeEPSG_NS1_7vsmem_tEENKUlT_SE_SF_SG_E_clIS8_S8_S9_S9_EESD_ST_SE_SF_SG_EUlST_E1_NS1_11comp_targetILNS1_3genE0ELNS1_11target_archE4294967295ELNS1_3gpuE0ELNS1_3repE0EEENS1_36merge_oddeven_config_static_selectorELNS0_4arch9wavefront6targetE1EEEvSF_,"axG",@progbits,_ZN7rocprim17ROCPRIM_400000_NS6detail17trampoline_kernelINS0_14default_configENS1_38merge_sort_block_merge_config_selectorIaNS0_10empty_typeEEEZZNS1_27merge_sort_block_merge_implIS3_PaPS5_jNS1_19radix_merge_compareILb1ELb0EaNS0_19identity_decomposerEEEEE10hipError_tT0_T1_T2_jT3_P12ihipStream_tbPNSt15iterator_traitsISE_E10value_typeEPNSK_ISF_E10value_typeEPSG_NS1_7vsmem_tEENKUlT_SE_SF_SG_E_clIS8_S8_S9_S9_EESD_ST_SE_SF_SG_EUlST_E1_NS1_11comp_targetILNS1_3genE0ELNS1_11target_archE4294967295ELNS1_3gpuE0ELNS1_3repE0EEENS1_36merge_oddeven_config_static_selectorELNS0_4arch9wavefront6targetE1EEEvSF_,comdat
	.protected	_ZN7rocprim17ROCPRIM_400000_NS6detail17trampoline_kernelINS0_14default_configENS1_38merge_sort_block_merge_config_selectorIaNS0_10empty_typeEEEZZNS1_27merge_sort_block_merge_implIS3_PaPS5_jNS1_19radix_merge_compareILb1ELb0EaNS0_19identity_decomposerEEEEE10hipError_tT0_T1_T2_jT3_P12ihipStream_tbPNSt15iterator_traitsISE_E10value_typeEPNSK_ISF_E10value_typeEPSG_NS1_7vsmem_tEENKUlT_SE_SF_SG_E_clIS8_S8_S9_S9_EESD_ST_SE_SF_SG_EUlST_E1_NS1_11comp_targetILNS1_3genE0ELNS1_11target_archE4294967295ELNS1_3gpuE0ELNS1_3repE0EEENS1_36merge_oddeven_config_static_selectorELNS0_4arch9wavefront6targetE1EEEvSF_ ; -- Begin function _ZN7rocprim17ROCPRIM_400000_NS6detail17trampoline_kernelINS0_14default_configENS1_38merge_sort_block_merge_config_selectorIaNS0_10empty_typeEEEZZNS1_27merge_sort_block_merge_implIS3_PaPS5_jNS1_19radix_merge_compareILb1ELb0EaNS0_19identity_decomposerEEEEE10hipError_tT0_T1_T2_jT3_P12ihipStream_tbPNSt15iterator_traitsISE_E10value_typeEPNSK_ISF_E10value_typeEPSG_NS1_7vsmem_tEENKUlT_SE_SF_SG_E_clIS8_S8_S9_S9_EESD_ST_SE_SF_SG_EUlST_E1_NS1_11comp_targetILNS1_3genE0ELNS1_11target_archE4294967295ELNS1_3gpuE0ELNS1_3repE0EEENS1_36merge_oddeven_config_static_selectorELNS0_4arch9wavefront6targetE1EEEvSF_
	.globl	_ZN7rocprim17ROCPRIM_400000_NS6detail17trampoline_kernelINS0_14default_configENS1_38merge_sort_block_merge_config_selectorIaNS0_10empty_typeEEEZZNS1_27merge_sort_block_merge_implIS3_PaPS5_jNS1_19radix_merge_compareILb1ELb0EaNS0_19identity_decomposerEEEEE10hipError_tT0_T1_T2_jT3_P12ihipStream_tbPNSt15iterator_traitsISE_E10value_typeEPNSK_ISF_E10value_typeEPSG_NS1_7vsmem_tEENKUlT_SE_SF_SG_E_clIS8_S8_S9_S9_EESD_ST_SE_SF_SG_EUlST_E1_NS1_11comp_targetILNS1_3genE0ELNS1_11target_archE4294967295ELNS1_3gpuE0ELNS1_3repE0EEENS1_36merge_oddeven_config_static_selectorELNS0_4arch9wavefront6targetE1EEEvSF_
	.p2align	8
	.type	_ZN7rocprim17ROCPRIM_400000_NS6detail17trampoline_kernelINS0_14default_configENS1_38merge_sort_block_merge_config_selectorIaNS0_10empty_typeEEEZZNS1_27merge_sort_block_merge_implIS3_PaPS5_jNS1_19radix_merge_compareILb1ELb0EaNS0_19identity_decomposerEEEEE10hipError_tT0_T1_T2_jT3_P12ihipStream_tbPNSt15iterator_traitsISE_E10value_typeEPNSK_ISF_E10value_typeEPSG_NS1_7vsmem_tEENKUlT_SE_SF_SG_E_clIS8_S8_S9_S9_EESD_ST_SE_SF_SG_EUlST_E1_NS1_11comp_targetILNS1_3genE0ELNS1_11target_archE4294967295ELNS1_3gpuE0ELNS1_3repE0EEENS1_36merge_oddeven_config_static_selectorELNS0_4arch9wavefront6targetE1EEEvSF_,@function
_ZN7rocprim17ROCPRIM_400000_NS6detail17trampoline_kernelINS0_14default_configENS1_38merge_sort_block_merge_config_selectorIaNS0_10empty_typeEEEZZNS1_27merge_sort_block_merge_implIS3_PaPS5_jNS1_19radix_merge_compareILb1ELb0EaNS0_19identity_decomposerEEEEE10hipError_tT0_T1_T2_jT3_P12ihipStream_tbPNSt15iterator_traitsISE_E10value_typeEPNSK_ISF_E10value_typeEPSG_NS1_7vsmem_tEENKUlT_SE_SF_SG_E_clIS8_S8_S9_S9_EESD_ST_SE_SF_SG_EUlST_E1_NS1_11comp_targetILNS1_3genE0ELNS1_11target_archE4294967295ELNS1_3gpuE0ELNS1_3repE0EEENS1_36merge_oddeven_config_static_selectorELNS0_4arch9wavefront6targetE1EEEvSF_: ; @_ZN7rocprim17ROCPRIM_400000_NS6detail17trampoline_kernelINS0_14default_configENS1_38merge_sort_block_merge_config_selectorIaNS0_10empty_typeEEEZZNS1_27merge_sort_block_merge_implIS3_PaPS5_jNS1_19radix_merge_compareILb1ELb0EaNS0_19identity_decomposerEEEEE10hipError_tT0_T1_T2_jT3_P12ihipStream_tbPNSt15iterator_traitsISE_E10value_typeEPNSK_ISF_E10value_typeEPSG_NS1_7vsmem_tEENKUlT_SE_SF_SG_E_clIS8_S8_S9_S9_EESD_ST_SE_SF_SG_EUlST_E1_NS1_11comp_targetILNS1_3genE0ELNS1_11target_archE4294967295ELNS1_3gpuE0ELNS1_3repE0EEENS1_36merge_oddeven_config_static_selectorELNS0_4arch9wavefront6targetE1EEEvSF_
; %bb.0:
	.section	.rodata,"a",@progbits
	.p2align	6, 0x0
	.amdhsa_kernel _ZN7rocprim17ROCPRIM_400000_NS6detail17trampoline_kernelINS0_14default_configENS1_38merge_sort_block_merge_config_selectorIaNS0_10empty_typeEEEZZNS1_27merge_sort_block_merge_implIS3_PaPS5_jNS1_19radix_merge_compareILb1ELb0EaNS0_19identity_decomposerEEEEE10hipError_tT0_T1_T2_jT3_P12ihipStream_tbPNSt15iterator_traitsISE_E10value_typeEPNSK_ISF_E10value_typeEPSG_NS1_7vsmem_tEENKUlT_SE_SF_SG_E_clIS8_S8_S9_S9_EESD_ST_SE_SF_SG_EUlST_E1_NS1_11comp_targetILNS1_3genE0ELNS1_11target_archE4294967295ELNS1_3gpuE0ELNS1_3repE0EEENS1_36merge_oddeven_config_static_selectorELNS0_4arch9wavefront6targetE1EEEvSF_
		.amdhsa_group_segment_fixed_size 0
		.amdhsa_private_segment_fixed_size 0
		.amdhsa_kernarg_size 48
		.amdhsa_user_sgpr_count 6
		.amdhsa_user_sgpr_private_segment_buffer 1
		.amdhsa_user_sgpr_dispatch_ptr 0
		.amdhsa_user_sgpr_queue_ptr 0
		.amdhsa_user_sgpr_kernarg_segment_ptr 1
		.amdhsa_user_sgpr_dispatch_id 0
		.amdhsa_user_sgpr_flat_scratch_init 0
		.amdhsa_user_sgpr_kernarg_preload_length 0
		.amdhsa_user_sgpr_kernarg_preload_offset 0
		.amdhsa_user_sgpr_private_segment_size 0
		.amdhsa_uses_dynamic_stack 0
		.amdhsa_system_sgpr_private_segment_wavefront_offset 0
		.amdhsa_system_sgpr_workgroup_id_x 1
		.amdhsa_system_sgpr_workgroup_id_y 0
		.amdhsa_system_sgpr_workgroup_id_z 0
		.amdhsa_system_sgpr_workgroup_info 0
		.amdhsa_system_vgpr_workitem_id 0
		.amdhsa_next_free_vgpr 1
		.amdhsa_next_free_sgpr 0
		.amdhsa_accum_offset 4
		.amdhsa_reserve_vcc 0
		.amdhsa_reserve_flat_scratch 0
		.amdhsa_float_round_mode_32 0
		.amdhsa_float_round_mode_16_64 0
		.amdhsa_float_denorm_mode_32 3
		.amdhsa_float_denorm_mode_16_64 3
		.amdhsa_dx10_clamp 1
		.amdhsa_ieee_mode 1
		.amdhsa_fp16_overflow 0
		.amdhsa_tg_split 0
		.amdhsa_exception_fp_ieee_invalid_op 0
		.amdhsa_exception_fp_denorm_src 0
		.amdhsa_exception_fp_ieee_div_zero 0
		.amdhsa_exception_fp_ieee_overflow 0
		.amdhsa_exception_fp_ieee_underflow 0
		.amdhsa_exception_fp_ieee_inexact 0
		.amdhsa_exception_int_div_zero 0
	.end_amdhsa_kernel
	.section	.text._ZN7rocprim17ROCPRIM_400000_NS6detail17trampoline_kernelINS0_14default_configENS1_38merge_sort_block_merge_config_selectorIaNS0_10empty_typeEEEZZNS1_27merge_sort_block_merge_implIS3_PaPS5_jNS1_19radix_merge_compareILb1ELb0EaNS0_19identity_decomposerEEEEE10hipError_tT0_T1_T2_jT3_P12ihipStream_tbPNSt15iterator_traitsISE_E10value_typeEPNSK_ISF_E10value_typeEPSG_NS1_7vsmem_tEENKUlT_SE_SF_SG_E_clIS8_S8_S9_S9_EESD_ST_SE_SF_SG_EUlST_E1_NS1_11comp_targetILNS1_3genE0ELNS1_11target_archE4294967295ELNS1_3gpuE0ELNS1_3repE0EEENS1_36merge_oddeven_config_static_selectorELNS0_4arch9wavefront6targetE1EEEvSF_,"axG",@progbits,_ZN7rocprim17ROCPRIM_400000_NS6detail17trampoline_kernelINS0_14default_configENS1_38merge_sort_block_merge_config_selectorIaNS0_10empty_typeEEEZZNS1_27merge_sort_block_merge_implIS3_PaPS5_jNS1_19radix_merge_compareILb1ELb0EaNS0_19identity_decomposerEEEEE10hipError_tT0_T1_T2_jT3_P12ihipStream_tbPNSt15iterator_traitsISE_E10value_typeEPNSK_ISF_E10value_typeEPSG_NS1_7vsmem_tEENKUlT_SE_SF_SG_E_clIS8_S8_S9_S9_EESD_ST_SE_SF_SG_EUlST_E1_NS1_11comp_targetILNS1_3genE0ELNS1_11target_archE4294967295ELNS1_3gpuE0ELNS1_3repE0EEENS1_36merge_oddeven_config_static_selectorELNS0_4arch9wavefront6targetE1EEEvSF_,comdat
.Lfunc_end1590:
	.size	_ZN7rocprim17ROCPRIM_400000_NS6detail17trampoline_kernelINS0_14default_configENS1_38merge_sort_block_merge_config_selectorIaNS0_10empty_typeEEEZZNS1_27merge_sort_block_merge_implIS3_PaPS5_jNS1_19radix_merge_compareILb1ELb0EaNS0_19identity_decomposerEEEEE10hipError_tT0_T1_T2_jT3_P12ihipStream_tbPNSt15iterator_traitsISE_E10value_typeEPNSK_ISF_E10value_typeEPSG_NS1_7vsmem_tEENKUlT_SE_SF_SG_E_clIS8_S8_S9_S9_EESD_ST_SE_SF_SG_EUlST_E1_NS1_11comp_targetILNS1_3genE0ELNS1_11target_archE4294967295ELNS1_3gpuE0ELNS1_3repE0EEENS1_36merge_oddeven_config_static_selectorELNS0_4arch9wavefront6targetE1EEEvSF_, .Lfunc_end1590-_ZN7rocprim17ROCPRIM_400000_NS6detail17trampoline_kernelINS0_14default_configENS1_38merge_sort_block_merge_config_selectorIaNS0_10empty_typeEEEZZNS1_27merge_sort_block_merge_implIS3_PaPS5_jNS1_19radix_merge_compareILb1ELb0EaNS0_19identity_decomposerEEEEE10hipError_tT0_T1_T2_jT3_P12ihipStream_tbPNSt15iterator_traitsISE_E10value_typeEPNSK_ISF_E10value_typeEPSG_NS1_7vsmem_tEENKUlT_SE_SF_SG_E_clIS8_S8_S9_S9_EESD_ST_SE_SF_SG_EUlST_E1_NS1_11comp_targetILNS1_3genE0ELNS1_11target_archE4294967295ELNS1_3gpuE0ELNS1_3repE0EEENS1_36merge_oddeven_config_static_selectorELNS0_4arch9wavefront6targetE1EEEvSF_
                                        ; -- End function
	.section	.AMDGPU.csdata,"",@progbits
; Kernel info:
; codeLenInByte = 0
; NumSgprs: 4
; NumVgprs: 0
; NumAgprs: 0
; TotalNumVgprs: 0
; ScratchSize: 0
; MemoryBound: 0
; FloatMode: 240
; IeeeMode: 1
; LDSByteSize: 0 bytes/workgroup (compile time only)
; SGPRBlocks: 0
; VGPRBlocks: 0
; NumSGPRsForWavesPerEU: 4
; NumVGPRsForWavesPerEU: 1
; AccumOffset: 4
; Occupancy: 8
; WaveLimiterHint : 0
; COMPUTE_PGM_RSRC2:SCRATCH_EN: 0
; COMPUTE_PGM_RSRC2:USER_SGPR: 6
; COMPUTE_PGM_RSRC2:TRAP_HANDLER: 0
; COMPUTE_PGM_RSRC2:TGID_X_EN: 1
; COMPUTE_PGM_RSRC2:TGID_Y_EN: 0
; COMPUTE_PGM_RSRC2:TGID_Z_EN: 0
; COMPUTE_PGM_RSRC2:TIDIG_COMP_CNT: 0
; COMPUTE_PGM_RSRC3_GFX90A:ACCUM_OFFSET: 0
; COMPUTE_PGM_RSRC3_GFX90A:TG_SPLIT: 0
	.section	.text._ZN7rocprim17ROCPRIM_400000_NS6detail17trampoline_kernelINS0_14default_configENS1_38merge_sort_block_merge_config_selectorIaNS0_10empty_typeEEEZZNS1_27merge_sort_block_merge_implIS3_PaPS5_jNS1_19radix_merge_compareILb1ELb0EaNS0_19identity_decomposerEEEEE10hipError_tT0_T1_T2_jT3_P12ihipStream_tbPNSt15iterator_traitsISE_E10value_typeEPNSK_ISF_E10value_typeEPSG_NS1_7vsmem_tEENKUlT_SE_SF_SG_E_clIS8_S8_S9_S9_EESD_ST_SE_SF_SG_EUlST_E1_NS1_11comp_targetILNS1_3genE10ELNS1_11target_archE1201ELNS1_3gpuE5ELNS1_3repE0EEENS1_36merge_oddeven_config_static_selectorELNS0_4arch9wavefront6targetE1EEEvSF_,"axG",@progbits,_ZN7rocprim17ROCPRIM_400000_NS6detail17trampoline_kernelINS0_14default_configENS1_38merge_sort_block_merge_config_selectorIaNS0_10empty_typeEEEZZNS1_27merge_sort_block_merge_implIS3_PaPS5_jNS1_19radix_merge_compareILb1ELb0EaNS0_19identity_decomposerEEEEE10hipError_tT0_T1_T2_jT3_P12ihipStream_tbPNSt15iterator_traitsISE_E10value_typeEPNSK_ISF_E10value_typeEPSG_NS1_7vsmem_tEENKUlT_SE_SF_SG_E_clIS8_S8_S9_S9_EESD_ST_SE_SF_SG_EUlST_E1_NS1_11comp_targetILNS1_3genE10ELNS1_11target_archE1201ELNS1_3gpuE5ELNS1_3repE0EEENS1_36merge_oddeven_config_static_selectorELNS0_4arch9wavefront6targetE1EEEvSF_,comdat
	.protected	_ZN7rocprim17ROCPRIM_400000_NS6detail17trampoline_kernelINS0_14default_configENS1_38merge_sort_block_merge_config_selectorIaNS0_10empty_typeEEEZZNS1_27merge_sort_block_merge_implIS3_PaPS5_jNS1_19radix_merge_compareILb1ELb0EaNS0_19identity_decomposerEEEEE10hipError_tT0_T1_T2_jT3_P12ihipStream_tbPNSt15iterator_traitsISE_E10value_typeEPNSK_ISF_E10value_typeEPSG_NS1_7vsmem_tEENKUlT_SE_SF_SG_E_clIS8_S8_S9_S9_EESD_ST_SE_SF_SG_EUlST_E1_NS1_11comp_targetILNS1_3genE10ELNS1_11target_archE1201ELNS1_3gpuE5ELNS1_3repE0EEENS1_36merge_oddeven_config_static_selectorELNS0_4arch9wavefront6targetE1EEEvSF_ ; -- Begin function _ZN7rocprim17ROCPRIM_400000_NS6detail17trampoline_kernelINS0_14default_configENS1_38merge_sort_block_merge_config_selectorIaNS0_10empty_typeEEEZZNS1_27merge_sort_block_merge_implIS3_PaPS5_jNS1_19radix_merge_compareILb1ELb0EaNS0_19identity_decomposerEEEEE10hipError_tT0_T1_T2_jT3_P12ihipStream_tbPNSt15iterator_traitsISE_E10value_typeEPNSK_ISF_E10value_typeEPSG_NS1_7vsmem_tEENKUlT_SE_SF_SG_E_clIS8_S8_S9_S9_EESD_ST_SE_SF_SG_EUlST_E1_NS1_11comp_targetILNS1_3genE10ELNS1_11target_archE1201ELNS1_3gpuE5ELNS1_3repE0EEENS1_36merge_oddeven_config_static_selectorELNS0_4arch9wavefront6targetE1EEEvSF_
	.globl	_ZN7rocprim17ROCPRIM_400000_NS6detail17trampoline_kernelINS0_14default_configENS1_38merge_sort_block_merge_config_selectorIaNS0_10empty_typeEEEZZNS1_27merge_sort_block_merge_implIS3_PaPS5_jNS1_19radix_merge_compareILb1ELb0EaNS0_19identity_decomposerEEEEE10hipError_tT0_T1_T2_jT3_P12ihipStream_tbPNSt15iterator_traitsISE_E10value_typeEPNSK_ISF_E10value_typeEPSG_NS1_7vsmem_tEENKUlT_SE_SF_SG_E_clIS8_S8_S9_S9_EESD_ST_SE_SF_SG_EUlST_E1_NS1_11comp_targetILNS1_3genE10ELNS1_11target_archE1201ELNS1_3gpuE5ELNS1_3repE0EEENS1_36merge_oddeven_config_static_selectorELNS0_4arch9wavefront6targetE1EEEvSF_
	.p2align	8
	.type	_ZN7rocprim17ROCPRIM_400000_NS6detail17trampoline_kernelINS0_14default_configENS1_38merge_sort_block_merge_config_selectorIaNS0_10empty_typeEEEZZNS1_27merge_sort_block_merge_implIS3_PaPS5_jNS1_19radix_merge_compareILb1ELb0EaNS0_19identity_decomposerEEEEE10hipError_tT0_T1_T2_jT3_P12ihipStream_tbPNSt15iterator_traitsISE_E10value_typeEPNSK_ISF_E10value_typeEPSG_NS1_7vsmem_tEENKUlT_SE_SF_SG_E_clIS8_S8_S9_S9_EESD_ST_SE_SF_SG_EUlST_E1_NS1_11comp_targetILNS1_3genE10ELNS1_11target_archE1201ELNS1_3gpuE5ELNS1_3repE0EEENS1_36merge_oddeven_config_static_selectorELNS0_4arch9wavefront6targetE1EEEvSF_,@function
_ZN7rocprim17ROCPRIM_400000_NS6detail17trampoline_kernelINS0_14default_configENS1_38merge_sort_block_merge_config_selectorIaNS0_10empty_typeEEEZZNS1_27merge_sort_block_merge_implIS3_PaPS5_jNS1_19radix_merge_compareILb1ELb0EaNS0_19identity_decomposerEEEEE10hipError_tT0_T1_T2_jT3_P12ihipStream_tbPNSt15iterator_traitsISE_E10value_typeEPNSK_ISF_E10value_typeEPSG_NS1_7vsmem_tEENKUlT_SE_SF_SG_E_clIS8_S8_S9_S9_EESD_ST_SE_SF_SG_EUlST_E1_NS1_11comp_targetILNS1_3genE10ELNS1_11target_archE1201ELNS1_3gpuE5ELNS1_3repE0EEENS1_36merge_oddeven_config_static_selectorELNS0_4arch9wavefront6targetE1EEEvSF_: ; @_ZN7rocprim17ROCPRIM_400000_NS6detail17trampoline_kernelINS0_14default_configENS1_38merge_sort_block_merge_config_selectorIaNS0_10empty_typeEEEZZNS1_27merge_sort_block_merge_implIS3_PaPS5_jNS1_19radix_merge_compareILb1ELb0EaNS0_19identity_decomposerEEEEE10hipError_tT0_T1_T2_jT3_P12ihipStream_tbPNSt15iterator_traitsISE_E10value_typeEPNSK_ISF_E10value_typeEPSG_NS1_7vsmem_tEENKUlT_SE_SF_SG_E_clIS8_S8_S9_S9_EESD_ST_SE_SF_SG_EUlST_E1_NS1_11comp_targetILNS1_3genE10ELNS1_11target_archE1201ELNS1_3gpuE5ELNS1_3repE0EEENS1_36merge_oddeven_config_static_selectorELNS0_4arch9wavefront6targetE1EEEvSF_
; %bb.0:
	.section	.rodata,"a",@progbits
	.p2align	6, 0x0
	.amdhsa_kernel _ZN7rocprim17ROCPRIM_400000_NS6detail17trampoline_kernelINS0_14default_configENS1_38merge_sort_block_merge_config_selectorIaNS0_10empty_typeEEEZZNS1_27merge_sort_block_merge_implIS3_PaPS5_jNS1_19radix_merge_compareILb1ELb0EaNS0_19identity_decomposerEEEEE10hipError_tT0_T1_T2_jT3_P12ihipStream_tbPNSt15iterator_traitsISE_E10value_typeEPNSK_ISF_E10value_typeEPSG_NS1_7vsmem_tEENKUlT_SE_SF_SG_E_clIS8_S8_S9_S9_EESD_ST_SE_SF_SG_EUlST_E1_NS1_11comp_targetILNS1_3genE10ELNS1_11target_archE1201ELNS1_3gpuE5ELNS1_3repE0EEENS1_36merge_oddeven_config_static_selectorELNS0_4arch9wavefront6targetE1EEEvSF_
		.amdhsa_group_segment_fixed_size 0
		.amdhsa_private_segment_fixed_size 0
		.amdhsa_kernarg_size 48
		.amdhsa_user_sgpr_count 6
		.amdhsa_user_sgpr_private_segment_buffer 1
		.amdhsa_user_sgpr_dispatch_ptr 0
		.amdhsa_user_sgpr_queue_ptr 0
		.amdhsa_user_sgpr_kernarg_segment_ptr 1
		.amdhsa_user_sgpr_dispatch_id 0
		.amdhsa_user_sgpr_flat_scratch_init 0
		.amdhsa_user_sgpr_kernarg_preload_length 0
		.amdhsa_user_sgpr_kernarg_preload_offset 0
		.amdhsa_user_sgpr_private_segment_size 0
		.amdhsa_uses_dynamic_stack 0
		.amdhsa_system_sgpr_private_segment_wavefront_offset 0
		.amdhsa_system_sgpr_workgroup_id_x 1
		.amdhsa_system_sgpr_workgroup_id_y 0
		.amdhsa_system_sgpr_workgroup_id_z 0
		.amdhsa_system_sgpr_workgroup_info 0
		.amdhsa_system_vgpr_workitem_id 0
		.amdhsa_next_free_vgpr 1
		.amdhsa_next_free_sgpr 0
		.amdhsa_accum_offset 4
		.amdhsa_reserve_vcc 0
		.amdhsa_reserve_flat_scratch 0
		.amdhsa_float_round_mode_32 0
		.amdhsa_float_round_mode_16_64 0
		.amdhsa_float_denorm_mode_32 3
		.amdhsa_float_denorm_mode_16_64 3
		.amdhsa_dx10_clamp 1
		.amdhsa_ieee_mode 1
		.amdhsa_fp16_overflow 0
		.amdhsa_tg_split 0
		.amdhsa_exception_fp_ieee_invalid_op 0
		.amdhsa_exception_fp_denorm_src 0
		.amdhsa_exception_fp_ieee_div_zero 0
		.amdhsa_exception_fp_ieee_overflow 0
		.amdhsa_exception_fp_ieee_underflow 0
		.amdhsa_exception_fp_ieee_inexact 0
		.amdhsa_exception_int_div_zero 0
	.end_amdhsa_kernel
	.section	.text._ZN7rocprim17ROCPRIM_400000_NS6detail17trampoline_kernelINS0_14default_configENS1_38merge_sort_block_merge_config_selectorIaNS0_10empty_typeEEEZZNS1_27merge_sort_block_merge_implIS3_PaPS5_jNS1_19radix_merge_compareILb1ELb0EaNS0_19identity_decomposerEEEEE10hipError_tT0_T1_T2_jT3_P12ihipStream_tbPNSt15iterator_traitsISE_E10value_typeEPNSK_ISF_E10value_typeEPSG_NS1_7vsmem_tEENKUlT_SE_SF_SG_E_clIS8_S8_S9_S9_EESD_ST_SE_SF_SG_EUlST_E1_NS1_11comp_targetILNS1_3genE10ELNS1_11target_archE1201ELNS1_3gpuE5ELNS1_3repE0EEENS1_36merge_oddeven_config_static_selectorELNS0_4arch9wavefront6targetE1EEEvSF_,"axG",@progbits,_ZN7rocprim17ROCPRIM_400000_NS6detail17trampoline_kernelINS0_14default_configENS1_38merge_sort_block_merge_config_selectorIaNS0_10empty_typeEEEZZNS1_27merge_sort_block_merge_implIS3_PaPS5_jNS1_19radix_merge_compareILb1ELb0EaNS0_19identity_decomposerEEEEE10hipError_tT0_T1_T2_jT3_P12ihipStream_tbPNSt15iterator_traitsISE_E10value_typeEPNSK_ISF_E10value_typeEPSG_NS1_7vsmem_tEENKUlT_SE_SF_SG_E_clIS8_S8_S9_S9_EESD_ST_SE_SF_SG_EUlST_E1_NS1_11comp_targetILNS1_3genE10ELNS1_11target_archE1201ELNS1_3gpuE5ELNS1_3repE0EEENS1_36merge_oddeven_config_static_selectorELNS0_4arch9wavefront6targetE1EEEvSF_,comdat
.Lfunc_end1591:
	.size	_ZN7rocprim17ROCPRIM_400000_NS6detail17trampoline_kernelINS0_14default_configENS1_38merge_sort_block_merge_config_selectorIaNS0_10empty_typeEEEZZNS1_27merge_sort_block_merge_implIS3_PaPS5_jNS1_19radix_merge_compareILb1ELb0EaNS0_19identity_decomposerEEEEE10hipError_tT0_T1_T2_jT3_P12ihipStream_tbPNSt15iterator_traitsISE_E10value_typeEPNSK_ISF_E10value_typeEPSG_NS1_7vsmem_tEENKUlT_SE_SF_SG_E_clIS8_S8_S9_S9_EESD_ST_SE_SF_SG_EUlST_E1_NS1_11comp_targetILNS1_3genE10ELNS1_11target_archE1201ELNS1_3gpuE5ELNS1_3repE0EEENS1_36merge_oddeven_config_static_selectorELNS0_4arch9wavefront6targetE1EEEvSF_, .Lfunc_end1591-_ZN7rocprim17ROCPRIM_400000_NS6detail17trampoline_kernelINS0_14default_configENS1_38merge_sort_block_merge_config_selectorIaNS0_10empty_typeEEEZZNS1_27merge_sort_block_merge_implIS3_PaPS5_jNS1_19radix_merge_compareILb1ELb0EaNS0_19identity_decomposerEEEEE10hipError_tT0_T1_T2_jT3_P12ihipStream_tbPNSt15iterator_traitsISE_E10value_typeEPNSK_ISF_E10value_typeEPSG_NS1_7vsmem_tEENKUlT_SE_SF_SG_E_clIS8_S8_S9_S9_EESD_ST_SE_SF_SG_EUlST_E1_NS1_11comp_targetILNS1_3genE10ELNS1_11target_archE1201ELNS1_3gpuE5ELNS1_3repE0EEENS1_36merge_oddeven_config_static_selectorELNS0_4arch9wavefront6targetE1EEEvSF_
                                        ; -- End function
	.section	.AMDGPU.csdata,"",@progbits
; Kernel info:
; codeLenInByte = 0
; NumSgprs: 4
; NumVgprs: 0
; NumAgprs: 0
; TotalNumVgprs: 0
; ScratchSize: 0
; MemoryBound: 0
; FloatMode: 240
; IeeeMode: 1
; LDSByteSize: 0 bytes/workgroup (compile time only)
; SGPRBlocks: 0
; VGPRBlocks: 0
; NumSGPRsForWavesPerEU: 4
; NumVGPRsForWavesPerEU: 1
; AccumOffset: 4
; Occupancy: 8
; WaveLimiterHint : 0
; COMPUTE_PGM_RSRC2:SCRATCH_EN: 0
; COMPUTE_PGM_RSRC2:USER_SGPR: 6
; COMPUTE_PGM_RSRC2:TRAP_HANDLER: 0
; COMPUTE_PGM_RSRC2:TGID_X_EN: 1
; COMPUTE_PGM_RSRC2:TGID_Y_EN: 0
; COMPUTE_PGM_RSRC2:TGID_Z_EN: 0
; COMPUTE_PGM_RSRC2:TIDIG_COMP_CNT: 0
; COMPUTE_PGM_RSRC3_GFX90A:ACCUM_OFFSET: 0
; COMPUTE_PGM_RSRC3_GFX90A:TG_SPLIT: 0
	.section	.text._ZN7rocprim17ROCPRIM_400000_NS6detail17trampoline_kernelINS0_14default_configENS1_38merge_sort_block_merge_config_selectorIaNS0_10empty_typeEEEZZNS1_27merge_sort_block_merge_implIS3_PaPS5_jNS1_19radix_merge_compareILb1ELb0EaNS0_19identity_decomposerEEEEE10hipError_tT0_T1_T2_jT3_P12ihipStream_tbPNSt15iterator_traitsISE_E10value_typeEPNSK_ISF_E10value_typeEPSG_NS1_7vsmem_tEENKUlT_SE_SF_SG_E_clIS8_S8_S9_S9_EESD_ST_SE_SF_SG_EUlST_E1_NS1_11comp_targetILNS1_3genE5ELNS1_11target_archE942ELNS1_3gpuE9ELNS1_3repE0EEENS1_36merge_oddeven_config_static_selectorELNS0_4arch9wavefront6targetE1EEEvSF_,"axG",@progbits,_ZN7rocprim17ROCPRIM_400000_NS6detail17trampoline_kernelINS0_14default_configENS1_38merge_sort_block_merge_config_selectorIaNS0_10empty_typeEEEZZNS1_27merge_sort_block_merge_implIS3_PaPS5_jNS1_19radix_merge_compareILb1ELb0EaNS0_19identity_decomposerEEEEE10hipError_tT0_T1_T2_jT3_P12ihipStream_tbPNSt15iterator_traitsISE_E10value_typeEPNSK_ISF_E10value_typeEPSG_NS1_7vsmem_tEENKUlT_SE_SF_SG_E_clIS8_S8_S9_S9_EESD_ST_SE_SF_SG_EUlST_E1_NS1_11comp_targetILNS1_3genE5ELNS1_11target_archE942ELNS1_3gpuE9ELNS1_3repE0EEENS1_36merge_oddeven_config_static_selectorELNS0_4arch9wavefront6targetE1EEEvSF_,comdat
	.protected	_ZN7rocprim17ROCPRIM_400000_NS6detail17trampoline_kernelINS0_14default_configENS1_38merge_sort_block_merge_config_selectorIaNS0_10empty_typeEEEZZNS1_27merge_sort_block_merge_implIS3_PaPS5_jNS1_19radix_merge_compareILb1ELb0EaNS0_19identity_decomposerEEEEE10hipError_tT0_T1_T2_jT3_P12ihipStream_tbPNSt15iterator_traitsISE_E10value_typeEPNSK_ISF_E10value_typeEPSG_NS1_7vsmem_tEENKUlT_SE_SF_SG_E_clIS8_S8_S9_S9_EESD_ST_SE_SF_SG_EUlST_E1_NS1_11comp_targetILNS1_3genE5ELNS1_11target_archE942ELNS1_3gpuE9ELNS1_3repE0EEENS1_36merge_oddeven_config_static_selectorELNS0_4arch9wavefront6targetE1EEEvSF_ ; -- Begin function _ZN7rocprim17ROCPRIM_400000_NS6detail17trampoline_kernelINS0_14default_configENS1_38merge_sort_block_merge_config_selectorIaNS0_10empty_typeEEEZZNS1_27merge_sort_block_merge_implIS3_PaPS5_jNS1_19radix_merge_compareILb1ELb0EaNS0_19identity_decomposerEEEEE10hipError_tT0_T1_T2_jT3_P12ihipStream_tbPNSt15iterator_traitsISE_E10value_typeEPNSK_ISF_E10value_typeEPSG_NS1_7vsmem_tEENKUlT_SE_SF_SG_E_clIS8_S8_S9_S9_EESD_ST_SE_SF_SG_EUlST_E1_NS1_11comp_targetILNS1_3genE5ELNS1_11target_archE942ELNS1_3gpuE9ELNS1_3repE0EEENS1_36merge_oddeven_config_static_selectorELNS0_4arch9wavefront6targetE1EEEvSF_
	.globl	_ZN7rocprim17ROCPRIM_400000_NS6detail17trampoline_kernelINS0_14default_configENS1_38merge_sort_block_merge_config_selectorIaNS0_10empty_typeEEEZZNS1_27merge_sort_block_merge_implIS3_PaPS5_jNS1_19radix_merge_compareILb1ELb0EaNS0_19identity_decomposerEEEEE10hipError_tT0_T1_T2_jT3_P12ihipStream_tbPNSt15iterator_traitsISE_E10value_typeEPNSK_ISF_E10value_typeEPSG_NS1_7vsmem_tEENKUlT_SE_SF_SG_E_clIS8_S8_S9_S9_EESD_ST_SE_SF_SG_EUlST_E1_NS1_11comp_targetILNS1_3genE5ELNS1_11target_archE942ELNS1_3gpuE9ELNS1_3repE0EEENS1_36merge_oddeven_config_static_selectorELNS0_4arch9wavefront6targetE1EEEvSF_
	.p2align	8
	.type	_ZN7rocprim17ROCPRIM_400000_NS6detail17trampoline_kernelINS0_14default_configENS1_38merge_sort_block_merge_config_selectorIaNS0_10empty_typeEEEZZNS1_27merge_sort_block_merge_implIS3_PaPS5_jNS1_19radix_merge_compareILb1ELb0EaNS0_19identity_decomposerEEEEE10hipError_tT0_T1_T2_jT3_P12ihipStream_tbPNSt15iterator_traitsISE_E10value_typeEPNSK_ISF_E10value_typeEPSG_NS1_7vsmem_tEENKUlT_SE_SF_SG_E_clIS8_S8_S9_S9_EESD_ST_SE_SF_SG_EUlST_E1_NS1_11comp_targetILNS1_3genE5ELNS1_11target_archE942ELNS1_3gpuE9ELNS1_3repE0EEENS1_36merge_oddeven_config_static_selectorELNS0_4arch9wavefront6targetE1EEEvSF_,@function
_ZN7rocprim17ROCPRIM_400000_NS6detail17trampoline_kernelINS0_14default_configENS1_38merge_sort_block_merge_config_selectorIaNS0_10empty_typeEEEZZNS1_27merge_sort_block_merge_implIS3_PaPS5_jNS1_19radix_merge_compareILb1ELb0EaNS0_19identity_decomposerEEEEE10hipError_tT0_T1_T2_jT3_P12ihipStream_tbPNSt15iterator_traitsISE_E10value_typeEPNSK_ISF_E10value_typeEPSG_NS1_7vsmem_tEENKUlT_SE_SF_SG_E_clIS8_S8_S9_S9_EESD_ST_SE_SF_SG_EUlST_E1_NS1_11comp_targetILNS1_3genE5ELNS1_11target_archE942ELNS1_3gpuE9ELNS1_3repE0EEENS1_36merge_oddeven_config_static_selectorELNS0_4arch9wavefront6targetE1EEEvSF_: ; @_ZN7rocprim17ROCPRIM_400000_NS6detail17trampoline_kernelINS0_14default_configENS1_38merge_sort_block_merge_config_selectorIaNS0_10empty_typeEEEZZNS1_27merge_sort_block_merge_implIS3_PaPS5_jNS1_19radix_merge_compareILb1ELb0EaNS0_19identity_decomposerEEEEE10hipError_tT0_T1_T2_jT3_P12ihipStream_tbPNSt15iterator_traitsISE_E10value_typeEPNSK_ISF_E10value_typeEPSG_NS1_7vsmem_tEENKUlT_SE_SF_SG_E_clIS8_S8_S9_S9_EESD_ST_SE_SF_SG_EUlST_E1_NS1_11comp_targetILNS1_3genE5ELNS1_11target_archE942ELNS1_3gpuE9ELNS1_3repE0EEENS1_36merge_oddeven_config_static_selectorELNS0_4arch9wavefront6targetE1EEEvSF_
; %bb.0:
	.section	.rodata,"a",@progbits
	.p2align	6, 0x0
	.amdhsa_kernel _ZN7rocprim17ROCPRIM_400000_NS6detail17trampoline_kernelINS0_14default_configENS1_38merge_sort_block_merge_config_selectorIaNS0_10empty_typeEEEZZNS1_27merge_sort_block_merge_implIS3_PaPS5_jNS1_19radix_merge_compareILb1ELb0EaNS0_19identity_decomposerEEEEE10hipError_tT0_T1_T2_jT3_P12ihipStream_tbPNSt15iterator_traitsISE_E10value_typeEPNSK_ISF_E10value_typeEPSG_NS1_7vsmem_tEENKUlT_SE_SF_SG_E_clIS8_S8_S9_S9_EESD_ST_SE_SF_SG_EUlST_E1_NS1_11comp_targetILNS1_3genE5ELNS1_11target_archE942ELNS1_3gpuE9ELNS1_3repE0EEENS1_36merge_oddeven_config_static_selectorELNS0_4arch9wavefront6targetE1EEEvSF_
		.amdhsa_group_segment_fixed_size 0
		.amdhsa_private_segment_fixed_size 0
		.amdhsa_kernarg_size 48
		.amdhsa_user_sgpr_count 6
		.amdhsa_user_sgpr_private_segment_buffer 1
		.amdhsa_user_sgpr_dispatch_ptr 0
		.amdhsa_user_sgpr_queue_ptr 0
		.amdhsa_user_sgpr_kernarg_segment_ptr 1
		.amdhsa_user_sgpr_dispatch_id 0
		.amdhsa_user_sgpr_flat_scratch_init 0
		.amdhsa_user_sgpr_kernarg_preload_length 0
		.amdhsa_user_sgpr_kernarg_preload_offset 0
		.amdhsa_user_sgpr_private_segment_size 0
		.amdhsa_uses_dynamic_stack 0
		.amdhsa_system_sgpr_private_segment_wavefront_offset 0
		.amdhsa_system_sgpr_workgroup_id_x 1
		.amdhsa_system_sgpr_workgroup_id_y 0
		.amdhsa_system_sgpr_workgroup_id_z 0
		.amdhsa_system_sgpr_workgroup_info 0
		.amdhsa_system_vgpr_workitem_id 0
		.amdhsa_next_free_vgpr 1
		.amdhsa_next_free_sgpr 0
		.amdhsa_accum_offset 4
		.amdhsa_reserve_vcc 0
		.amdhsa_reserve_flat_scratch 0
		.amdhsa_float_round_mode_32 0
		.amdhsa_float_round_mode_16_64 0
		.amdhsa_float_denorm_mode_32 3
		.amdhsa_float_denorm_mode_16_64 3
		.amdhsa_dx10_clamp 1
		.amdhsa_ieee_mode 1
		.amdhsa_fp16_overflow 0
		.amdhsa_tg_split 0
		.amdhsa_exception_fp_ieee_invalid_op 0
		.amdhsa_exception_fp_denorm_src 0
		.amdhsa_exception_fp_ieee_div_zero 0
		.amdhsa_exception_fp_ieee_overflow 0
		.amdhsa_exception_fp_ieee_underflow 0
		.amdhsa_exception_fp_ieee_inexact 0
		.amdhsa_exception_int_div_zero 0
	.end_amdhsa_kernel
	.section	.text._ZN7rocprim17ROCPRIM_400000_NS6detail17trampoline_kernelINS0_14default_configENS1_38merge_sort_block_merge_config_selectorIaNS0_10empty_typeEEEZZNS1_27merge_sort_block_merge_implIS3_PaPS5_jNS1_19radix_merge_compareILb1ELb0EaNS0_19identity_decomposerEEEEE10hipError_tT0_T1_T2_jT3_P12ihipStream_tbPNSt15iterator_traitsISE_E10value_typeEPNSK_ISF_E10value_typeEPSG_NS1_7vsmem_tEENKUlT_SE_SF_SG_E_clIS8_S8_S9_S9_EESD_ST_SE_SF_SG_EUlST_E1_NS1_11comp_targetILNS1_3genE5ELNS1_11target_archE942ELNS1_3gpuE9ELNS1_3repE0EEENS1_36merge_oddeven_config_static_selectorELNS0_4arch9wavefront6targetE1EEEvSF_,"axG",@progbits,_ZN7rocprim17ROCPRIM_400000_NS6detail17trampoline_kernelINS0_14default_configENS1_38merge_sort_block_merge_config_selectorIaNS0_10empty_typeEEEZZNS1_27merge_sort_block_merge_implIS3_PaPS5_jNS1_19radix_merge_compareILb1ELb0EaNS0_19identity_decomposerEEEEE10hipError_tT0_T1_T2_jT3_P12ihipStream_tbPNSt15iterator_traitsISE_E10value_typeEPNSK_ISF_E10value_typeEPSG_NS1_7vsmem_tEENKUlT_SE_SF_SG_E_clIS8_S8_S9_S9_EESD_ST_SE_SF_SG_EUlST_E1_NS1_11comp_targetILNS1_3genE5ELNS1_11target_archE942ELNS1_3gpuE9ELNS1_3repE0EEENS1_36merge_oddeven_config_static_selectorELNS0_4arch9wavefront6targetE1EEEvSF_,comdat
.Lfunc_end1592:
	.size	_ZN7rocprim17ROCPRIM_400000_NS6detail17trampoline_kernelINS0_14default_configENS1_38merge_sort_block_merge_config_selectorIaNS0_10empty_typeEEEZZNS1_27merge_sort_block_merge_implIS3_PaPS5_jNS1_19radix_merge_compareILb1ELb0EaNS0_19identity_decomposerEEEEE10hipError_tT0_T1_T2_jT3_P12ihipStream_tbPNSt15iterator_traitsISE_E10value_typeEPNSK_ISF_E10value_typeEPSG_NS1_7vsmem_tEENKUlT_SE_SF_SG_E_clIS8_S8_S9_S9_EESD_ST_SE_SF_SG_EUlST_E1_NS1_11comp_targetILNS1_3genE5ELNS1_11target_archE942ELNS1_3gpuE9ELNS1_3repE0EEENS1_36merge_oddeven_config_static_selectorELNS0_4arch9wavefront6targetE1EEEvSF_, .Lfunc_end1592-_ZN7rocprim17ROCPRIM_400000_NS6detail17trampoline_kernelINS0_14default_configENS1_38merge_sort_block_merge_config_selectorIaNS0_10empty_typeEEEZZNS1_27merge_sort_block_merge_implIS3_PaPS5_jNS1_19radix_merge_compareILb1ELb0EaNS0_19identity_decomposerEEEEE10hipError_tT0_T1_T2_jT3_P12ihipStream_tbPNSt15iterator_traitsISE_E10value_typeEPNSK_ISF_E10value_typeEPSG_NS1_7vsmem_tEENKUlT_SE_SF_SG_E_clIS8_S8_S9_S9_EESD_ST_SE_SF_SG_EUlST_E1_NS1_11comp_targetILNS1_3genE5ELNS1_11target_archE942ELNS1_3gpuE9ELNS1_3repE0EEENS1_36merge_oddeven_config_static_selectorELNS0_4arch9wavefront6targetE1EEEvSF_
                                        ; -- End function
	.section	.AMDGPU.csdata,"",@progbits
; Kernel info:
; codeLenInByte = 0
; NumSgprs: 4
; NumVgprs: 0
; NumAgprs: 0
; TotalNumVgprs: 0
; ScratchSize: 0
; MemoryBound: 0
; FloatMode: 240
; IeeeMode: 1
; LDSByteSize: 0 bytes/workgroup (compile time only)
; SGPRBlocks: 0
; VGPRBlocks: 0
; NumSGPRsForWavesPerEU: 4
; NumVGPRsForWavesPerEU: 1
; AccumOffset: 4
; Occupancy: 8
; WaveLimiterHint : 0
; COMPUTE_PGM_RSRC2:SCRATCH_EN: 0
; COMPUTE_PGM_RSRC2:USER_SGPR: 6
; COMPUTE_PGM_RSRC2:TRAP_HANDLER: 0
; COMPUTE_PGM_RSRC2:TGID_X_EN: 1
; COMPUTE_PGM_RSRC2:TGID_Y_EN: 0
; COMPUTE_PGM_RSRC2:TGID_Z_EN: 0
; COMPUTE_PGM_RSRC2:TIDIG_COMP_CNT: 0
; COMPUTE_PGM_RSRC3_GFX90A:ACCUM_OFFSET: 0
; COMPUTE_PGM_RSRC3_GFX90A:TG_SPLIT: 0
	.section	.text._ZN7rocprim17ROCPRIM_400000_NS6detail17trampoline_kernelINS0_14default_configENS1_38merge_sort_block_merge_config_selectorIaNS0_10empty_typeEEEZZNS1_27merge_sort_block_merge_implIS3_PaPS5_jNS1_19radix_merge_compareILb1ELb0EaNS0_19identity_decomposerEEEEE10hipError_tT0_T1_T2_jT3_P12ihipStream_tbPNSt15iterator_traitsISE_E10value_typeEPNSK_ISF_E10value_typeEPSG_NS1_7vsmem_tEENKUlT_SE_SF_SG_E_clIS8_S8_S9_S9_EESD_ST_SE_SF_SG_EUlST_E1_NS1_11comp_targetILNS1_3genE4ELNS1_11target_archE910ELNS1_3gpuE8ELNS1_3repE0EEENS1_36merge_oddeven_config_static_selectorELNS0_4arch9wavefront6targetE1EEEvSF_,"axG",@progbits,_ZN7rocprim17ROCPRIM_400000_NS6detail17trampoline_kernelINS0_14default_configENS1_38merge_sort_block_merge_config_selectorIaNS0_10empty_typeEEEZZNS1_27merge_sort_block_merge_implIS3_PaPS5_jNS1_19radix_merge_compareILb1ELb0EaNS0_19identity_decomposerEEEEE10hipError_tT0_T1_T2_jT3_P12ihipStream_tbPNSt15iterator_traitsISE_E10value_typeEPNSK_ISF_E10value_typeEPSG_NS1_7vsmem_tEENKUlT_SE_SF_SG_E_clIS8_S8_S9_S9_EESD_ST_SE_SF_SG_EUlST_E1_NS1_11comp_targetILNS1_3genE4ELNS1_11target_archE910ELNS1_3gpuE8ELNS1_3repE0EEENS1_36merge_oddeven_config_static_selectorELNS0_4arch9wavefront6targetE1EEEvSF_,comdat
	.protected	_ZN7rocprim17ROCPRIM_400000_NS6detail17trampoline_kernelINS0_14default_configENS1_38merge_sort_block_merge_config_selectorIaNS0_10empty_typeEEEZZNS1_27merge_sort_block_merge_implIS3_PaPS5_jNS1_19radix_merge_compareILb1ELb0EaNS0_19identity_decomposerEEEEE10hipError_tT0_T1_T2_jT3_P12ihipStream_tbPNSt15iterator_traitsISE_E10value_typeEPNSK_ISF_E10value_typeEPSG_NS1_7vsmem_tEENKUlT_SE_SF_SG_E_clIS8_S8_S9_S9_EESD_ST_SE_SF_SG_EUlST_E1_NS1_11comp_targetILNS1_3genE4ELNS1_11target_archE910ELNS1_3gpuE8ELNS1_3repE0EEENS1_36merge_oddeven_config_static_selectorELNS0_4arch9wavefront6targetE1EEEvSF_ ; -- Begin function _ZN7rocprim17ROCPRIM_400000_NS6detail17trampoline_kernelINS0_14default_configENS1_38merge_sort_block_merge_config_selectorIaNS0_10empty_typeEEEZZNS1_27merge_sort_block_merge_implIS3_PaPS5_jNS1_19radix_merge_compareILb1ELb0EaNS0_19identity_decomposerEEEEE10hipError_tT0_T1_T2_jT3_P12ihipStream_tbPNSt15iterator_traitsISE_E10value_typeEPNSK_ISF_E10value_typeEPSG_NS1_7vsmem_tEENKUlT_SE_SF_SG_E_clIS8_S8_S9_S9_EESD_ST_SE_SF_SG_EUlST_E1_NS1_11comp_targetILNS1_3genE4ELNS1_11target_archE910ELNS1_3gpuE8ELNS1_3repE0EEENS1_36merge_oddeven_config_static_selectorELNS0_4arch9wavefront6targetE1EEEvSF_
	.globl	_ZN7rocprim17ROCPRIM_400000_NS6detail17trampoline_kernelINS0_14default_configENS1_38merge_sort_block_merge_config_selectorIaNS0_10empty_typeEEEZZNS1_27merge_sort_block_merge_implIS3_PaPS5_jNS1_19radix_merge_compareILb1ELb0EaNS0_19identity_decomposerEEEEE10hipError_tT0_T1_T2_jT3_P12ihipStream_tbPNSt15iterator_traitsISE_E10value_typeEPNSK_ISF_E10value_typeEPSG_NS1_7vsmem_tEENKUlT_SE_SF_SG_E_clIS8_S8_S9_S9_EESD_ST_SE_SF_SG_EUlST_E1_NS1_11comp_targetILNS1_3genE4ELNS1_11target_archE910ELNS1_3gpuE8ELNS1_3repE0EEENS1_36merge_oddeven_config_static_selectorELNS0_4arch9wavefront6targetE1EEEvSF_
	.p2align	8
	.type	_ZN7rocprim17ROCPRIM_400000_NS6detail17trampoline_kernelINS0_14default_configENS1_38merge_sort_block_merge_config_selectorIaNS0_10empty_typeEEEZZNS1_27merge_sort_block_merge_implIS3_PaPS5_jNS1_19radix_merge_compareILb1ELb0EaNS0_19identity_decomposerEEEEE10hipError_tT0_T1_T2_jT3_P12ihipStream_tbPNSt15iterator_traitsISE_E10value_typeEPNSK_ISF_E10value_typeEPSG_NS1_7vsmem_tEENKUlT_SE_SF_SG_E_clIS8_S8_S9_S9_EESD_ST_SE_SF_SG_EUlST_E1_NS1_11comp_targetILNS1_3genE4ELNS1_11target_archE910ELNS1_3gpuE8ELNS1_3repE0EEENS1_36merge_oddeven_config_static_selectorELNS0_4arch9wavefront6targetE1EEEvSF_,@function
_ZN7rocprim17ROCPRIM_400000_NS6detail17trampoline_kernelINS0_14default_configENS1_38merge_sort_block_merge_config_selectorIaNS0_10empty_typeEEEZZNS1_27merge_sort_block_merge_implIS3_PaPS5_jNS1_19radix_merge_compareILb1ELb0EaNS0_19identity_decomposerEEEEE10hipError_tT0_T1_T2_jT3_P12ihipStream_tbPNSt15iterator_traitsISE_E10value_typeEPNSK_ISF_E10value_typeEPSG_NS1_7vsmem_tEENKUlT_SE_SF_SG_E_clIS8_S8_S9_S9_EESD_ST_SE_SF_SG_EUlST_E1_NS1_11comp_targetILNS1_3genE4ELNS1_11target_archE910ELNS1_3gpuE8ELNS1_3repE0EEENS1_36merge_oddeven_config_static_selectorELNS0_4arch9wavefront6targetE1EEEvSF_: ; @_ZN7rocprim17ROCPRIM_400000_NS6detail17trampoline_kernelINS0_14default_configENS1_38merge_sort_block_merge_config_selectorIaNS0_10empty_typeEEEZZNS1_27merge_sort_block_merge_implIS3_PaPS5_jNS1_19radix_merge_compareILb1ELb0EaNS0_19identity_decomposerEEEEE10hipError_tT0_T1_T2_jT3_P12ihipStream_tbPNSt15iterator_traitsISE_E10value_typeEPNSK_ISF_E10value_typeEPSG_NS1_7vsmem_tEENKUlT_SE_SF_SG_E_clIS8_S8_S9_S9_EESD_ST_SE_SF_SG_EUlST_E1_NS1_11comp_targetILNS1_3genE4ELNS1_11target_archE910ELNS1_3gpuE8ELNS1_3repE0EEENS1_36merge_oddeven_config_static_selectorELNS0_4arch9wavefront6targetE1EEEvSF_
; %bb.0:
	s_load_dword s17, s[4:5], 0x20
	s_waitcnt lgkmcnt(0)
	s_lshr_b32 s0, s17, 8
	s_cmp_lg_u32 s6, s0
	s_cselect_b64 s[14:15], -1, 0
	s_cmp_eq_u32 s6, s0
	s_cselect_b64 s[12:13], -1, 0
	s_lshl_b32 s7, s6, 8
	s_sub_i32 s0, s17, s7
	v_cmp_gt_u32_e64 s[2:3], s0, v0
	s_or_b64 s[0:1], s[14:15], s[2:3]
	s_and_saveexec_b64 s[8:9], s[0:1]
	s_cbranch_execz .LBB1593_20
; %bb.1:
	s_load_dwordx4 s[8:11], s[4:5], 0x0
	s_load_dword s18, s[4:5], 0x24
	v_add_u32_e32 v2, s7, v0
	s_waitcnt lgkmcnt(0)
	s_add_u32 s0, s8, s7
	s_addc_u32 s1, s9, 0
	global_load_sbyte v1, v0, s[0:1]
	s_lshr_b32 s0, s18, 8
	s_sub_i32 s1, 0, s0
	s_and_b32 s1, s6, s1
	s_and_b32 s0, s1, s0
	s_lshl_b32 s19, s1, 8
	s_sub_i32 s6, 0, s18
	s_cmp_eq_u32 s0, 0
	s_cselect_b64 s[0:1], -1, 0
	s_and_b64 s[4:5], s[0:1], exec
	s_cselect_b32 s16, s18, s6
	s_add_i32 s16, s16, s19
	s_cmp_lt_u32 s16, s17
	s_cbranch_scc1 .LBB1593_3
; %bb.2:
	v_cmp_gt_u32_e32 vcc, s17, v2
	s_or_b64 s[4:5], vcc, s[14:15]
	s_and_b64 s[4:5], s[4:5], exec
	s_cbranch_execz .LBB1593_4
	s_branch .LBB1593_18
.LBB1593_3:
	s_mov_b64 s[4:5], 0
.LBB1593_4:
	s_min_u32 s14, s16, s17
	s_add_i32 s6, s14, s18
	s_min_u32 s15, s6, s17
	s_min_u32 s6, s19, s14
	s_add_i32 s19, s19, s14
	v_subrev_u32_e32 v0, s19, v2
	v_add_u32_e32 v0, s6, v0
	s_and_b64 vcc, exec, s[12:13]
	s_cbranch_vccz .LBB1593_12
; %bb.5:
                                        ; implicit-def: $vgpr2
	s_and_saveexec_b64 s[6:7], s[2:3]
	s_cbranch_execz .LBB1593_11
; %bb.6:
	s_cmp_ge_u32 s16, s15
	v_mov_b32_e32 v2, s14
	s_cbranch_scc1 .LBB1593_10
; %bb.7:
	s_mov_b64 s[2:3], 0
	v_mov_b32_e32 v3, s15
	v_mov_b32_e32 v2, s14
.LBB1593_8:                             ; =>This Inner Loop Header: Depth=1
	v_add_u32_e32 v4, v2, v3
	v_lshrrev_b32_e32 v4, 1, v4
	global_load_sbyte v5, v4, s[8:9]
	v_add_u32_e32 v6, 1, v4
	s_waitcnt vmcnt(0)
	v_cmp_gt_i16_e32 vcc, v5, v1
	v_cndmask_b32_e64 v7, 0, 1, vcc
	v_cmp_le_i16_e32 vcc, v1, v5
	v_cndmask_b32_e64 v5, 0, 1, vcc
	v_cndmask_b32_e64 v5, v5, v7, s[0:1]
	v_and_b32_e32 v5, 1, v5
	v_cmp_eq_u32_e32 vcc, 1, v5
	v_cndmask_b32_e32 v3, v4, v3, vcc
	v_cndmask_b32_e32 v2, v2, v6, vcc
	v_cmp_ge_u32_e32 vcc, v2, v3
	s_or_b64 s[2:3], vcc, s[2:3]
	s_andn2_b64 exec, exec, s[2:3]
	s_cbranch_execnz .LBB1593_8
; %bb.9:
	s_or_b64 exec, exec, s[2:3]
.LBB1593_10:
	v_add_u32_e32 v2, v2, v0
	s_or_b64 s[4:5], s[4:5], exec
.LBB1593_11:
	s_or_b64 exec, exec, s[6:7]
	s_branch .LBB1593_18
.LBB1593_12:
                                        ; implicit-def: $vgpr2
	s_cbranch_execz .LBB1593_18
; %bb.13:
	s_cmp_ge_u32 s16, s15
	v_mov_b32_e32 v2, s14
	s_cbranch_scc1 .LBB1593_17
; %bb.14:
	s_mov_b64 s[2:3], 0
	v_mov_b32_e32 v3, s15
	v_mov_b32_e32 v2, s14
.LBB1593_15:                            ; =>This Inner Loop Header: Depth=1
	v_add_u32_e32 v4, v2, v3
	v_lshrrev_b32_e32 v4, 1, v4
	global_load_sbyte v5, v4, s[8:9]
	v_add_u32_e32 v6, 1, v4
	s_waitcnt vmcnt(0)
	v_cmp_gt_i16_e32 vcc, v5, v1
	v_cndmask_b32_e64 v7, 0, 1, vcc
	v_cmp_le_i16_e32 vcc, v1, v5
	v_cndmask_b32_e64 v5, 0, 1, vcc
	v_cndmask_b32_e64 v5, v5, v7, s[0:1]
	v_and_b32_e32 v5, 1, v5
	v_cmp_eq_u32_e32 vcc, 1, v5
	v_cndmask_b32_e32 v3, v4, v3, vcc
	v_cndmask_b32_e32 v2, v2, v6, vcc
	v_cmp_ge_u32_e32 vcc, v2, v3
	s_or_b64 s[2:3], vcc, s[2:3]
	s_andn2_b64 exec, exec, s[2:3]
	s_cbranch_execnz .LBB1593_15
; %bb.16:
	s_or_b64 exec, exec, s[2:3]
.LBB1593_17:
	v_add_u32_e32 v2, v2, v0
	s_mov_b64 s[4:5], -1
.LBB1593_18:
	s_and_b64 exec, exec, s[4:5]
	s_cbranch_execz .LBB1593_20
; %bb.19:
	s_waitcnt vmcnt(0)
	global_store_byte v2, v1, s[10:11]
.LBB1593_20:
	s_endpgm
	.section	.rodata,"a",@progbits
	.p2align	6, 0x0
	.amdhsa_kernel _ZN7rocprim17ROCPRIM_400000_NS6detail17trampoline_kernelINS0_14default_configENS1_38merge_sort_block_merge_config_selectorIaNS0_10empty_typeEEEZZNS1_27merge_sort_block_merge_implIS3_PaPS5_jNS1_19radix_merge_compareILb1ELb0EaNS0_19identity_decomposerEEEEE10hipError_tT0_T1_T2_jT3_P12ihipStream_tbPNSt15iterator_traitsISE_E10value_typeEPNSK_ISF_E10value_typeEPSG_NS1_7vsmem_tEENKUlT_SE_SF_SG_E_clIS8_S8_S9_S9_EESD_ST_SE_SF_SG_EUlST_E1_NS1_11comp_targetILNS1_3genE4ELNS1_11target_archE910ELNS1_3gpuE8ELNS1_3repE0EEENS1_36merge_oddeven_config_static_selectorELNS0_4arch9wavefront6targetE1EEEvSF_
		.amdhsa_group_segment_fixed_size 0
		.amdhsa_private_segment_fixed_size 0
		.amdhsa_kernarg_size 48
		.amdhsa_user_sgpr_count 6
		.amdhsa_user_sgpr_private_segment_buffer 1
		.amdhsa_user_sgpr_dispatch_ptr 0
		.amdhsa_user_sgpr_queue_ptr 0
		.amdhsa_user_sgpr_kernarg_segment_ptr 1
		.amdhsa_user_sgpr_dispatch_id 0
		.amdhsa_user_sgpr_flat_scratch_init 0
		.amdhsa_user_sgpr_kernarg_preload_length 0
		.amdhsa_user_sgpr_kernarg_preload_offset 0
		.amdhsa_user_sgpr_private_segment_size 0
		.amdhsa_uses_dynamic_stack 0
		.amdhsa_system_sgpr_private_segment_wavefront_offset 0
		.amdhsa_system_sgpr_workgroup_id_x 1
		.amdhsa_system_sgpr_workgroup_id_y 0
		.amdhsa_system_sgpr_workgroup_id_z 0
		.amdhsa_system_sgpr_workgroup_info 0
		.amdhsa_system_vgpr_workitem_id 0
		.amdhsa_next_free_vgpr 8
		.amdhsa_next_free_sgpr 20
		.amdhsa_accum_offset 8
		.amdhsa_reserve_vcc 1
		.amdhsa_reserve_flat_scratch 0
		.amdhsa_float_round_mode_32 0
		.amdhsa_float_round_mode_16_64 0
		.amdhsa_float_denorm_mode_32 3
		.amdhsa_float_denorm_mode_16_64 3
		.amdhsa_dx10_clamp 1
		.amdhsa_ieee_mode 1
		.amdhsa_fp16_overflow 0
		.amdhsa_tg_split 0
		.amdhsa_exception_fp_ieee_invalid_op 0
		.amdhsa_exception_fp_denorm_src 0
		.amdhsa_exception_fp_ieee_div_zero 0
		.amdhsa_exception_fp_ieee_overflow 0
		.amdhsa_exception_fp_ieee_underflow 0
		.amdhsa_exception_fp_ieee_inexact 0
		.amdhsa_exception_int_div_zero 0
	.end_amdhsa_kernel
	.section	.text._ZN7rocprim17ROCPRIM_400000_NS6detail17trampoline_kernelINS0_14default_configENS1_38merge_sort_block_merge_config_selectorIaNS0_10empty_typeEEEZZNS1_27merge_sort_block_merge_implIS3_PaPS5_jNS1_19radix_merge_compareILb1ELb0EaNS0_19identity_decomposerEEEEE10hipError_tT0_T1_T2_jT3_P12ihipStream_tbPNSt15iterator_traitsISE_E10value_typeEPNSK_ISF_E10value_typeEPSG_NS1_7vsmem_tEENKUlT_SE_SF_SG_E_clIS8_S8_S9_S9_EESD_ST_SE_SF_SG_EUlST_E1_NS1_11comp_targetILNS1_3genE4ELNS1_11target_archE910ELNS1_3gpuE8ELNS1_3repE0EEENS1_36merge_oddeven_config_static_selectorELNS0_4arch9wavefront6targetE1EEEvSF_,"axG",@progbits,_ZN7rocprim17ROCPRIM_400000_NS6detail17trampoline_kernelINS0_14default_configENS1_38merge_sort_block_merge_config_selectorIaNS0_10empty_typeEEEZZNS1_27merge_sort_block_merge_implIS3_PaPS5_jNS1_19radix_merge_compareILb1ELb0EaNS0_19identity_decomposerEEEEE10hipError_tT0_T1_T2_jT3_P12ihipStream_tbPNSt15iterator_traitsISE_E10value_typeEPNSK_ISF_E10value_typeEPSG_NS1_7vsmem_tEENKUlT_SE_SF_SG_E_clIS8_S8_S9_S9_EESD_ST_SE_SF_SG_EUlST_E1_NS1_11comp_targetILNS1_3genE4ELNS1_11target_archE910ELNS1_3gpuE8ELNS1_3repE0EEENS1_36merge_oddeven_config_static_selectorELNS0_4arch9wavefront6targetE1EEEvSF_,comdat
.Lfunc_end1593:
	.size	_ZN7rocprim17ROCPRIM_400000_NS6detail17trampoline_kernelINS0_14default_configENS1_38merge_sort_block_merge_config_selectorIaNS0_10empty_typeEEEZZNS1_27merge_sort_block_merge_implIS3_PaPS5_jNS1_19radix_merge_compareILb1ELb0EaNS0_19identity_decomposerEEEEE10hipError_tT0_T1_T2_jT3_P12ihipStream_tbPNSt15iterator_traitsISE_E10value_typeEPNSK_ISF_E10value_typeEPSG_NS1_7vsmem_tEENKUlT_SE_SF_SG_E_clIS8_S8_S9_S9_EESD_ST_SE_SF_SG_EUlST_E1_NS1_11comp_targetILNS1_3genE4ELNS1_11target_archE910ELNS1_3gpuE8ELNS1_3repE0EEENS1_36merge_oddeven_config_static_selectorELNS0_4arch9wavefront6targetE1EEEvSF_, .Lfunc_end1593-_ZN7rocprim17ROCPRIM_400000_NS6detail17trampoline_kernelINS0_14default_configENS1_38merge_sort_block_merge_config_selectorIaNS0_10empty_typeEEEZZNS1_27merge_sort_block_merge_implIS3_PaPS5_jNS1_19radix_merge_compareILb1ELb0EaNS0_19identity_decomposerEEEEE10hipError_tT0_T1_T2_jT3_P12ihipStream_tbPNSt15iterator_traitsISE_E10value_typeEPNSK_ISF_E10value_typeEPSG_NS1_7vsmem_tEENKUlT_SE_SF_SG_E_clIS8_S8_S9_S9_EESD_ST_SE_SF_SG_EUlST_E1_NS1_11comp_targetILNS1_3genE4ELNS1_11target_archE910ELNS1_3gpuE8ELNS1_3repE0EEENS1_36merge_oddeven_config_static_selectorELNS0_4arch9wavefront6targetE1EEEvSF_
                                        ; -- End function
	.section	.AMDGPU.csdata,"",@progbits
; Kernel info:
; codeLenInByte = 504
; NumSgprs: 24
; NumVgprs: 8
; NumAgprs: 0
; TotalNumVgprs: 8
; ScratchSize: 0
; MemoryBound: 0
; FloatMode: 240
; IeeeMode: 1
; LDSByteSize: 0 bytes/workgroup (compile time only)
; SGPRBlocks: 2
; VGPRBlocks: 0
; NumSGPRsForWavesPerEU: 24
; NumVGPRsForWavesPerEU: 8
; AccumOffset: 8
; Occupancy: 8
; WaveLimiterHint : 0
; COMPUTE_PGM_RSRC2:SCRATCH_EN: 0
; COMPUTE_PGM_RSRC2:USER_SGPR: 6
; COMPUTE_PGM_RSRC2:TRAP_HANDLER: 0
; COMPUTE_PGM_RSRC2:TGID_X_EN: 1
; COMPUTE_PGM_RSRC2:TGID_Y_EN: 0
; COMPUTE_PGM_RSRC2:TGID_Z_EN: 0
; COMPUTE_PGM_RSRC2:TIDIG_COMP_CNT: 0
; COMPUTE_PGM_RSRC3_GFX90A:ACCUM_OFFSET: 1
; COMPUTE_PGM_RSRC3_GFX90A:TG_SPLIT: 0
	.section	.text._ZN7rocprim17ROCPRIM_400000_NS6detail17trampoline_kernelINS0_14default_configENS1_38merge_sort_block_merge_config_selectorIaNS0_10empty_typeEEEZZNS1_27merge_sort_block_merge_implIS3_PaPS5_jNS1_19radix_merge_compareILb1ELb0EaNS0_19identity_decomposerEEEEE10hipError_tT0_T1_T2_jT3_P12ihipStream_tbPNSt15iterator_traitsISE_E10value_typeEPNSK_ISF_E10value_typeEPSG_NS1_7vsmem_tEENKUlT_SE_SF_SG_E_clIS8_S8_S9_S9_EESD_ST_SE_SF_SG_EUlST_E1_NS1_11comp_targetILNS1_3genE3ELNS1_11target_archE908ELNS1_3gpuE7ELNS1_3repE0EEENS1_36merge_oddeven_config_static_selectorELNS0_4arch9wavefront6targetE1EEEvSF_,"axG",@progbits,_ZN7rocprim17ROCPRIM_400000_NS6detail17trampoline_kernelINS0_14default_configENS1_38merge_sort_block_merge_config_selectorIaNS0_10empty_typeEEEZZNS1_27merge_sort_block_merge_implIS3_PaPS5_jNS1_19radix_merge_compareILb1ELb0EaNS0_19identity_decomposerEEEEE10hipError_tT0_T1_T2_jT3_P12ihipStream_tbPNSt15iterator_traitsISE_E10value_typeEPNSK_ISF_E10value_typeEPSG_NS1_7vsmem_tEENKUlT_SE_SF_SG_E_clIS8_S8_S9_S9_EESD_ST_SE_SF_SG_EUlST_E1_NS1_11comp_targetILNS1_3genE3ELNS1_11target_archE908ELNS1_3gpuE7ELNS1_3repE0EEENS1_36merge_oddeven_config_static_selectorELNS0_4arch9wavefront6targetE1EEEvSF_,comdat
	.protected	_ZN7rocprim17ROCPRIM_400000_NS6detail17trampoline_kernelINS0_14default_configENS1_38merge_sort_block_merge_config_selectorIaNS0_10empty_typeEEEZZNS1_27merge_sort_block_merge_implIS3_PaPS5_jNS1_19radix_merge_compareILb1ELb0EaNS0_19identity_decomposerEEEEE10hipError_tT0_T1_T2_jT3_P12ihipStream_tbPNSt15iterator_traitsISE_E10value_typeEPNSK_ISF_E10value_typeEPSG_NS1_7vsmem_tEENKUlT_SE_SF_SG_E_clIS8_S8_S9_S9_EESD_ST_SE_SF_SG_EUlST_E1_NS1_11comp_targetILNS1_3genE3ELNS1_11target_archE908ELNS1_3gpuE7ELNS1_3repE0EEENS1_36merge_oddeven_config_static_selectorELNS0_4arch9wavefront6targetE1EEEvSF_ ; -- Begin function _ZN7rocprim17ROCPRIM_400000_NS6detail17trampoline_kernelINS0_14default_configENS1_38merge_sort_block_merge_config_selectorIaNS0_10empty_typeEEEZZNS1_27merge_sort_block_merge_implIS3_PaPS5_jNS1_19radix_merge_compareILb1ELb0EaNS0_19identity_decomposerEEEEE10hipError_tT0_T1_T2_jT3_P12ihipStream_tbPNSt15iterator_traitsISE_E10value_typeEPNSK_ISF_E10value_typeEPSG_NS1_7vsmem_tEENKUlT_SE_SF_SG_E_clIS8_S8_S9_S9_EESD_ST_SE_SF_SG_EUlST_E1_NS1_11comp_targetILNS1_3genE3ELNS1_11target_archE908ELNS1_3gpuE7ELNS1_3repE0EEENS1_36merge_oddeven_config_static_selectorELNS0_4arch9wavefront6targetE1EEEvSF_
	.globl	_ZN7rocprim17ROCPRIM_400000_NS6detail17trampoline_kernelINS0_14default_configENS1_38merge_sort_block_merge_config_selectorIaNS0_10empty_typeEEEZZNS1_27merge_sort_block_merge_implIS3_PaPS5_jNS1_19radix_merge_compareILb1ELb0EaNS0_19identity_decomposerEEEEE10hipError_tT0_T1_T2_jT3_P12ihipStream_tbPNSt15iterator_traitsISE_E10value_typeEPNSK_ISF_E10value_typeEPSG_NS1_7vsmem_tEENKUlT_SE_SF_SG_E_clIS8_S8_S9_S9_EESD_ST_SE_SF_SG_EUlST_E1_NS1_11comp_targetILNS1_3genE3ELNS1_11target_archE908ELNS1_3gpuE7ELNS1_3repE0EEENS1_36merge_oddeven_config_static_selectorELNS0_4arch9wavefront6targetE1EEEvSF_
	.p2align	8
	.type	_ZN7rocprim17ROCPRIM_400000_NS6detail17trampoline_kernelINS0_14default_configENS1_38merge_sort_block_merge_config_selectorIaNS0_10empty_typeEEEZZNS1_27merge_sort_block_merge_implIS3_PaPS5_jNS1_19radix_merge_compareILb1ELb0EaNS0_19identity_decomposerEEEEE10hipError_tT0_T1_T2_jT3_P12ihipStream_tbPNSt15iterator_traitsISE_E10value_typeEPNSK_ISF_E10value_typeEPSG_NS1_7vsmem_tEENKUlT_SE_SF_SG_E_clIS8_S8_S9_S9_EESD_ST_SE_SF_SG_EUlST_E1_NS1_11comp_targetILNS1_3genE3ELNS1_11target_archE908ELNS1_3gpuE7ELNS1_3repE0EEENS1_36merge_oddeven_config_static_selectorELNS0_4arch9wavefront6targetE1EEEvSF_,@function
_ZN7rocprim17ROCPRIM_400000_NS6detail17trampoline_kernelINS0_14default_configENS1_38merge_sort_block_merge_config_selectorIaNS0_10empty_typeEEEZZNS1_27merge_sort_block_merge_implIS3_PaPS5_jNS1_19radix_merge_compareILb1ELb0EaNS0_19identity_decomposerEEEEE10hipError_tT0_T1_T2_jT3_P12ihipStream_tbPNSt15iterator_traitsISE_E10value_typeEPNSK_ISF_E10value_typeEPSG_NS1_7vsmem_tEENKUlT_SE_SF_SG_E_clIS8_S8_S9_S9_EESD_ST_SE_SF_SG_EUlST_E1_NS1_11comp_targetILNS1_3genE3ELNS1_11target_archE908ELNS1_3gpuE7ELNS1_3repE0EEENS1_36merge_oddeven_config_static_selectorELNS0_4arch9wavefront6targetE1EEEvSF_: ; @_ZN7rocprim17ROCPRIM_400000_NS6detail17trampoline_kernelINS0_14default_configENS1_38merge_sort_block_merge_config_selectorIaNS0_10empty_typeEEEZZNS1_27merge_sort_block_merge_implIS3_PaPS5_jNS1_19radix_merge_compareILb1ELb0EaNS0_19identity_decomposerEEEEE10hipError_tT0_T1_T2_jT3_P12ihipStream_tbPNSt15iterator_traitsISE_E10value_typeEPNSK_ISF_E10value_typeEPSG_NS1_7vsmem_tEENKUlT_SE_SF_SG_E_clIS8_S8_S9_S9_EESD_ST_SE_SF_SG_EUlST_E1_NS1_11comp_targetILNS1_3genE3ELNS1_11target_archE908ELNS1_3gpuE7ELNS1_3repE0EEENS1_36merge_oddeven_config_static_selectorELNS0_4arch9wavefront6targetE1EEEvSF_
; %bb.0:
	.section	.rodata,"a",@progbits
	.p2align	6, 0x0
	.amdhsa_kernel _ZN7rocprim17ROCPRIM_400000_NS6detail17trampoline_kernelINS0_14default_configENS1_38merge_sort_block_merge_config_selectorIaNS0_10empty_typeEEEZZNS1_27merge_sort_block_merge_implIS3_PaPS5_jNS1_19radix_merge_compareILb1ELb0EaNS0_19identity_decomposerEEEEE10hipError_tT0_T1_T2_jT3_P12ihipStream_tbPNSt15iterator_traitsISE_E10value_typeEPNSK_ISF_E10value_typeEPSG_NS1_7vsmem_tEENKUlT_SE_SF_SG_E_clIS8_S8_S9_S9_EESD_ST_SE_SF_SG_EUlST_E1_NS1_11comp_targetILNS1_3genE3ELNS1_11target_archE908ELNS1_3gpuE7ELNS1_3repE0EEENS1_36merge_oddeven_config_static_selectorELNS0_4arch9wavefront6targetE1EEEvSF_
		.amdhsa_group_segment_fixed_size 0
		.amdhsa_private_segment_fixed_size 0
		.amdhsa_kernarg_size 48
		.amdhsa_user_sgpr_count 6
		.amdhsa_user_sgpr_private_segment_buffer 1
		.amdhsa_user_sgpr_dispatch_ptr 0
		.amdhsa_user_sgpr_queue_ptr 0
		.amdhsa_user_sgpr_kernarg_segment_ptr 1
		.amdhsa_user_sgpr_dispatch_id 0
		.amdhsa_user_sgpr_flat_scratch_init 0
		.amdhsa_user_sgpr_kernarg_preload_length 0
		.amdhsa_user_sgpr_kernarg_preload_offset 0
		.amdhsa_user_sgpr_private_segment_size 0
		.amdhsa_uses_dynamic_stack 0
		.amdhsa_system_sgpr_private_segment_wavefront_offset 0
		.amdhsa_system_sgpr_workgroup_id_x 1
		.amdhsa_system_sgpr_workgroup_id_y 0
		.amdhsa_system_sgpr_workgroup_id_z 0
		.amdhsa_system_sgpr_workgroup_info 0
		.amdhsa_system_vgpr_workitem_id 0
		.amdhsa_next_free_vgpr 1
		.amdhsa_next_free_sgpr 0
		.amdhsa_accum_offset 4
		.amdhsa_reserve_vcc 0
		.amdhsa_reserve_flat_scratch 0
		.amdhsa_float_round_mode_32 0
		.amdhsa_float_round_mode_16_64 0
		.amdhsa_float_denorm_mode_32 3
		.amdhsa_float_denorm_mode_16_64 3
		.amdhsa_dx10_clamp 1
		.amdhsa_ieee_mode 1
		.amdhsa_fp16_overflow 0
		.amdhsa_tg_split 0
		.amdhsa_exception_fp_ieee_invalid_op 0
		.amdhsa_exception_fp_denorm_src 0
		.amdhsa_exception_fp_ieee_div_zero 0
		.amdhsa_exception_fp_ieee_overflow 0
		.amdhsa_exception_fp_ieee_underflow 0
		.amdhsa_exception_fp_ieee_inexact 0
		.amdhsa_exception_int_div_zero 0
	.end_amdhsa_kernel
	.section	.text._ZN7rocprim17ROCPRIM_400000_NS6detail17trampoline_kernelINS0_14default_configENS1_38merge_sort_block_merge_config_selectorIaNS0_10empty_typeEEEZZNS1_27merge_sort_block_merge_implIS3_PaPS5_jNS1_19radix_merge_compareILb1ELb0EaNS0_19identity_decomposerEEEEE10hipError_tT0_T1_T2_jT3_P12ihipStream_tbPNSt15iterator_traitsISE_E10value_typeEPNSK_ISF_E10value_typeEPSG_NS1_7vsmem_tEENKUlT_SE_SF_SG_E_clIS8_S8_S9_S9_EESD_ST_SE_SF_SG_EUlST_E1_NS1_11comp_targetILNS1_3genE3ELNS1_11target_archE908ELNS1_3gpuE7ELNS1_3repE0EEENS1_36merge_oddeven_config_static_selectorELNS0_4arch9wavefront6targetE1EEEvSF_,"axG",@progbits,_ZN7rocprim17ROCPRIM_400000_NS6detail17trampoline_kernelINS0_14default_configENS1_38merge_sort_block_merge_config_selectorIaNS0_10empty_typeEEEZZNS1_27merge_sort_block_merge_implIS3_PaPS5_jNS1_19radix_merge_compareILb1ELb0EaNS0_19identity_decomposerEEEEE10hipError_tT0_T1_T2_jT3_P12ihipStream_tbPNSt15iterator_traitsISE_E10value_typeEPNSK_ISF_E10value_typeEPSG_NS1_7vsmem_tEENKUlT_SE_SF_SG_E_clIS8_S8_S9_S9_EESD_ST_SE_SF_SG_EUlST_E1_NS1_11comp_targetILNS1_3genE3ELNS1_11target_archE908ELNS1_3gpuE7ELNS1_3repE0EEENS1_36merge_oddeven_config_static_selectorELNS0_4arch9wavefront6targetE1EEEvSF_,comdat
.Lfunc_end1594:
	.size	_ZN7rocprim17ROCPRIM_400000_NS6detail17trampoline_kernelINS0_14default_configENS1_38merge_sort_block_merge_config_selectorIaNS0_10empty_typeEEEZZNS1_27merge_sort_block_merge_implIS3_PaPS5_jNS1_19radix_merge_compareILb1ELb0EaNS0_19identity_decomposerEEEEE10hipError_tT0_T1_T2_jT3_P12ihipStream_tbPNSt15iterator_traitsISE_E10value_typeEPNSK_ISF_E10value_typeEPSG_NS1_7vsmem_tEENKUlT_SE_SF_SG_E_clIS8_S8_S9_S9_EESD_ST_SE_SF_SG_EUlST_E1_NS1_11comp_targetILNS1_3genE3ELNS1_11target_archE908ELNS1_3gpuE7ELNS1_3repE0EEENS1_36merge_oddeven_config_static_selectorELNS0_4arch9wavefront6targetE1EEEvSF_, .Lfunc_end1594-_ZN7rocprim17ROCPRIM_400000_NS6detail17trampoline_kernelINS0_14default_configENS1_38merge_sort_block_merge_config_selectorIaNS0_10empty_typeEEEZZNS1_27merge_sort_block_merge_implIS3_PaPS5_jNS1_19radix_merge_compareILb1ELb0EaNS0_19identity_decomposerEEEEE10hipError_tT0_T1_T2_jT3_P12ihipStream_tbPNSt15iterator_traitsISE_E10value_typeEPNSK_ISF_E10value_typeEPSG_NS1_7vsmem_tEENKUlT_SE_SF_SG_E_clIS8_S8_S9_S9_EESD_ST_SE_SF_SG_EUlST_E1_NS1_11comp_targetILNS1_3genE3ELNS1_11target_archE908ELNS1_3gpuE7ELNS1_3repE0EEENS1_36merge_oddeven_config_static_selectorELNS0_4arch9wavefront6targetE1EEEvSF_
                                        ; -- End function
	.section	.AMDGPU.csdata,"",@progbits
; Kernel info:
; codeLenInByte = 0
; NumSgprs: 4
; NumVgprs: 0
; NumAgprs: 0
; TotalNumVgprs: 0
; ScratchSize: 0
; MemoryBound: 0
; FloatMode: 240
; IeeeMode: 1
; LDSByteSize: 0 bytes/workgroup (compile time only)
; SGPRBlocks: 0
; VGPRBlocks: 0
; NumSGPRsForWavesPerEU: 4
; NumVGPRsForWavesPerEU: 1
; AccumOffset: 4
; Occupancy: 8
; WaveLimiterHint : 0
; COMPUTE_PGM_RSRC2:SCRATCH_EN: 0
; COMPUTE_PGM_RSRC2:USER_SGPR: 6
; COMPUTE_PGM_RSRC2:TRAP_HANDLER: 0
; COMPUTE_PGM_RSRC2:TGID_X_EN: 1
; COMPUTE_PGM_RSRC2:TGID_Y_EN: 0
; COMPUTE_PGM_RSRC2:TGID_Z_EN: 0
; COMPUTE_PGM_RSRC2:TIDIG_COMP_CNT: 0
; COMPUTE_PGM_RSRC3_GFX90A:ACCUM_OFFSET: 0
; COMPUTE_PGM_RSRC3_GFX90A:TG_SPLIT: 0
	.section	.text._ZN7rocprim17ROCPRIM_400000_NS6detail17trampoline_kernelINS0_14default_configENS1_38merge_sort_block_merge_config_selectorIaNS0_10empty_typeEEEZZNS1_27merge_sort_block_merge_implIS3_PaPS5_jNS1_19radix_merge_compareILb1ELb0EaNS0_19identity_decomposerEEEEE10hipError_tT0_T1_T2_jT3_P12ihipStream_tbPNSt15iterator_traitsISE_E10value_typeEPNSK_ISF_E10value_typeEPSG_NS1_7vsmem_tEENKUlT_SE_SF_SG_E_clIS8_S8_S9_S9_EESD_ST_SE_SF_SG_EUlST_E1_NS1_11comp_targetILNS1_3genE2ELNS1_11target_archE906ELNS1_3gpuE6ELNS1_3repE0EEENS1_36merge_oddeven_config_static_selectorELNS0_4arch9wavefront6targetE1EEEvSF_,"axG",@progbits,_ZN7rocprim17ROCPRIM_400000_NS6detail17trampoline_kernelINS0_14default_configENS1_38merge_sort_block_merge_config_selectorIaNS0_10empty_typeEEEZZNS1_27merge_sort_block_merge_implIS3_PaPS5_jNS1_19radix_merge_compareILb1ELb0EaNS0_19identity_decomposerEEEEE10hipError_tT0_T1_T2_jT3_P12ihipStream_tbPNSt15iterator_traitsISE_E10value_typeEPNSK_ISF_E10value_typeEPSG_NS1_7vsmem_tEENKUlT_SE_SF_SG_E_clIS8_S8_S9_S9_EESD_ST_SE_SF_SG_EUlST_E1_NS1_11comp_targetILNS1_3genE2ELNS1_11target_archE906ELNS1_3gpuE6ELNS1_3repE0EEENS1_36merge_oddeven_config_static_selectorELNS0_4arch9wavefront6targetE1EEEvSF_,comdat
	.protected	_ZN7rocprim17ROCPRIM_400000_NS6detail17trampoline_kernelINS0_14default_configENS1_38merge_sort_block_merge_config_selectorIaNS0_10empty_typeEEEZZNS1_27merge_sort_block_merge_implIS3_PaPS5_jNS1_19radix_merge_compareILb1ELb0EaNS0_19identity_decomposerEEEEE10hipError_tT0_T1_T2_jT3_P12ihipStream_tbPNSt15iterator_traitsISE_E10value_typeEPNSK_ISF_E10value_typeEPSG_NS1_7vsmem_tEENKUlT_SE_SF_SG_E_clIS8_S8_S9_S9_EESD_ST_SE_SF_SG_EUlST_E1_NS1_11comp_targetILNS1_3genE2ELNS1_11target_archE906ELNS1_3gpuE6ELNS1_3repE0EEENS1_36merge_oddeven_config_static_selectorELNS0_4arch9wavefront6targetE1EEEvSF_ ; -- Begin function _ZN7rocprim17ROCPRIM_400000_NS6detail17trampoline_kernelINS0_14default_configENS1_38merge_sort_block_merge_config_selectorIaNS0_10empty_typeEEEZZNS1_27merge_sort_block_merge_implIS3_PaPS5_jNS1_19radix_merge_compareILb1ELb0EaNS0_19identity_decomposerEEEEE10hipError_tT0_T1_T2_jT3_P12ihipStream_tbPNSt15iterator_traitsISE_E10value_typeEPNSK_ISF_E10value_typeEPSG_NS1_7vsmem_tEENKUlT_SE_SF_SG_E_clIS8_S8_S9_S9_EESD_ST_SE_SF_SG_EUlST_E1_NS1_11comp_targetILNS1_3genE2ELNS1_11target_archE906ELNS1_3gpuE6ELNS1_3repE0EEENS1_36merge_oddeven_config_static_selectorELNS0_4arch9wavefront6targetE1EEEvSF_
	.globl	_ZN7rocprim17ROCPRIM_400000_NS6detail17trampoline_kernelINS0_14default_configENS1_38merge_sort_block_merge_config_selectorIaNS0_10empty_typeEEEZZNS1_27merge_sort_block_merge_implIS3_PaPS5_jNS1_19radix_merge_compareILb1ELb0EaNS0_19identity_decomposerEEEEE10hipError_tT0_T1_T2_jT3_P12ihipStream_tbPNSt15iterator_traitsISE_E10value_typeEPNSK_ISF_E10value_typeEPSG_NS1_7vsmem_tEENKUlT_SE_SF_SG_E_clIS8_S8_S9_S9_EESD_ST_SE_SF_SG_EUlST_E1_NS1_11comp_targetILNS1_3genE2ELNS1_11target_archE906ELNS1_3gpuE6ELNS1_3repE0EEENS1_36merge_oddeven_config_static_selectorELNS0_4arch9wavefront6targetE1EEEvSF_
	.p2align	8
	.type	_ZN7rocprim17ROCPRIM_400000_NS6detail17trampoline_kernelINS0_14default_configENS1_38merge_sort_block_merge_config_selectorIaNS0_10empty_typeEEEZZNS1_27merge_sort_block_merge_implIS3_PaPS5_jNS1_19radix_merge_compareILb1ELb0EaNS0_19identity_decomposerEEEEE10hipError_tT0_T1_T2_jT3_P12ihipStream_tbPNSt15iterator_traitsISE_E10value_typeEPNSK_ISF_E10value_typeEPSG_NS1_7vsmem_tEENKUlT_SE_SF_SG_E_clIS8_S8_S9_S9_EESD_ST_SE_SF_SG_EUlST_E1_NS1_11comp_targetILNS1_3genE2ELNS1_11target_archE906ELNS1_3gpuE6ELNS1_3repE0EEENS1_36merge_oddeven_config_static_selectorELNS0_4arch9wavefront6targetE1EEEvSF_,@function
_ZN7rocprim17ROCPRIM_400000_NS6detail17trampoline_kernelINS0_14default_configENS1_38merge_sort_block_merge_config_selectorIaNS0_10empty_typeEEEZZNS1_27merge_sort_block_merge_implIS3_PaPS5_jNS1_19radix_merge_compareILb1ELb0EaNS0_19identity_decomposerEEEEE10hipError_tT0_T1_T2_jT3_P12ihipStream_tbPNSt15iterator_traitsISE_E10value_typeEPNSK_ISF_E10value_typeEPSG_NS1_7vsmem_tEENKUlT_SE_SF_SG_E_clIS8_S8_S9_S9_EESD_ST_SE_SF_SG_EUlST_E1_NS1_11comp_targetILNS1_3genE2ELNS1_11target_archE906ELNS1_3gpuE6ELNS1_3repE0EEENS1_36merge_oddeven_config_static_selectorELNS0_4arch9wavefront6targetE1EEEvSF_: ; @_ZN7rocprim17ROCPRIM_400000_NS6detail17trampoline_kernelINS0_14default_configENS1_38merge_sort_block_merge_config_selectorIaNS0_10empty_typeEEEZZNS1_27merge_sort_block_merge_implIS3_PaPS5_jNS1_19radix_merge_compareILb1ELb0EaNS0_19identity_decomposerEEEEE10hipError_tT0_T1_T2_jT3_P12ihipStream_tbPNSt15iterator_traitsISE_E10value_typeEPNSK_ISF_E10value_typeEPSG_NS1_7vsmem_tEENKUlT_SE_SF_SG_E_clIS8_S8_S9_S9_EESD_ST_SE_SF_SG_EUlST_E1_NS1_11comp_targetILNS1_3genE2ELNS1_11target_archE906ELNS1_3gpuE6ELNS1_3repE0EEENS1_36merge_oddeven_config_static_selectorELNS0_4arch9wavefront6targetE1EEEvSF_
; %bb.0:
	.section	.rodata,"a",@progbits
	.p2align	6, 0x0
	.amdhsa_kernel _ZN7rocprim17ROCPRIM_400000_NS6detail17trampoline_kernelINS0_14default_configENS1_38merge_sort_block_merge_config_selectorIaNS0_10empty_typeEEEZZNS1_27merge_sort_block_merge_implIS3_PaPS5_jNS1_19radix_merge_compareILb1ELb0EaNS0_19identity_decomposerEEEEE10hipError_tT0_T1_T2_jT3_P12ihipStream_tbPNSt15iterator_traitsISE_E10value_typeEPNSK_ISF_E10value_typeEPSG_NS1_7vsmem_tEENKUlT_SE_SF_SG_E_clIS8_S8_S9_S9_EESD_ST_SE_SF_SG_EUlST_E1_NS1_11comp_targetILNS1_3genE2ELNS1_11target_archE906ELNS1_3gpuE6ELNS1_3repE0EEENS1_36merge_oddeven_config_static_selectorELNS0_4arch9wavefront6targetE1EEEvSF_
		.amdhsa_group_segment_fixed_size 0
		.amdhsa_private_segment_fixed_size 0
		.amdhsa_kernarg_size 48
		.amdhsa_user_sgpr_count 6
		.amdhsa_user_sgpr_private_segment_buffer 1
		.amdhsa_user_sgpr_dispatch_ptr 0
		.amdhsa_user_sgpr_queue_ptr 0
		.amdhsa_user_sgpr_kernarg_segment_ptr 1
		.amdhsa_user_sgpr_dispatch_id 0
		.amdhsa_user_sgpr_flat_scratch_init 0
		.amdhsa_user_sgpr_kernarg_preload_length 0
		.amdhsa_user_sgpr_kernarg_preload_offset 0
		.amdhsa_user_sgpr_private_segment_size 0
		.amdhsa_uses_dynamic_stack 0
		.amdhsa_system_sgpr_private_segment_wavefront_offset 0
		.amdhsa_system_sgpr_workgroup_id_x 1
		.amdhsa_system_sgpr_workgroup_id_y 0
		.amdhsa_system_sgpr_workgroup_id_z 0
		.amdhsa_system_sgpr_workgroup_info 0
		.amdhsa_system_vgpr_workitem_id 0
		.amdhsa_next_free_vgpr 1
		.amdhsa_next_free_sgpr 0
		.amdhsa_accum_offset 4
		.amdhsa_reserve_vcc 0
		.amdhsa_reserve_flat_scratch 0
		.amdhsa_float_round_mode_32 0
		.amdhsa_float_round_mode_16_64 0
		.amdhsa_float_denorm_mode_32 3
		.amdhsa_float_denorm_mode_16_64 3
		.amdhsa_dx10_clamp 1
		.amdhsa_ieee_mode 1
		.amdhsa_fp16_overflow 0
		.amdhsa_tg_split 0
		.amdhsa_exception_fp_ieee_invalid_op 0
		.amdhsa_exception_fp_denorm_src 0
		.amdhsa_exception_fp_ieee_div_zero 0
		.amdhsa_exception_fp_ieee_overflow 0
		.amdhsa_exception_fp_ieee_underflow 0
		.amdhsa_exception_fp_ieee_inexact 0
		.amdhsa_exception_int_div_zero 0
	.end_amdhsa_kernel
	.section	.text._ZN7rocprim17ROCPRIM_400000_NS6detail17trampoline_kernelINS0_14default_configENS1_38merge_sort_block_merge_config_selectorIaNS0_10empty_typeEEEZZNS1_27merge_sort_block_merge_implIS3_PaPS5_jNS1_19radix_merge_compareILb1ELb0EaNS0_19identity_decomposerEEEEE10hipError_tT0_T1_T2_jT3_P12ihipStream_tbPNSt15iterator_traitsISE_E10value_typeEPNSK_ISF_E10value_typeEPSG_NS1_7vsmem_tEENKUlT_SE_SF_SG_E_clIS8_S8_S9_S9_EESD_ST_SE_SF_SG_EUlST_E1_NS1_11comp_targetILNS1_3genE2ELNS1_11target_archE906ELNS1_3gpuE6ELNS1_3repE0EEENS1_36merge_oddeven_config_static_selectorELNS0_4arch9wavefront6targetE1EEEvSF_,"axG",@progbits,_ZN7rocprim17ROCPRIM_400000_NS6detail17trampoline_kernelINS0_14default_configENS1_38merge_sort_block_merge_config_selectorIaNS0_10empty_typeEEEZZNS1_27merge_sort_block_merge_implIS3_PaPS5_jNS1_19radix_merge_compareILb1ELb0EaNS0_19identity_decomposerEEEEE10hipError_tT0_T1_T2_jT3_P12ihipStream_tbPNSt15iterator_traitsISE_E10value_typeEPNSK_ISF_E10value_typeEPSG_NS1_7vsmem_tEENKUlT_SE_SF_SG_E_clIS8_S8_S9_S9_EESD_ST_SE_SF_SG_EUlST_E1_NS1_11comp_targetILNS1_3genE2ELNS1_11target_archE906ELNS1_3gpuE6ELNS1_3repE0EEENS1_36merge_oddeven_config_static_selectorELNS0_4arch9wavefront6targetE1EEEvSF_,comdat
.Lfunc_end1595:
	.size	_ZN7rocprim17ROCPRIM_400000_NS6detail17trampoline_kernelINS0_14default_configENS1_38merge_sort_block_merge_config_selectorIaNS0_10empty_typeEEEZZNS1_27merge_sort_block_merge_implIS3_PaPS5_jNS1_19radix_merge_compareILb1ELb0EaNS0_19identity_decomposerEEEEE10hipError_tT0_T1_T2_jT3_P12ihipStream_tbPNSt15iterator_traitsISE_E10value_typeEPNSK_ISF_E10value_typeEPSG_NS1_7vsmem_tEENKUlT_SE_SF_SG_E_clIS8_S8_S9_S9_EESD_ST_SE_SF_SG_EUlST_E1_NS1_11comp_targetILNS1_3genE2ELNS1_11target_archE906ELNS1_3gpuE6ELNS1_3repE0EEENS1_36merge_oddeven_config_static_selectorELNS0_4arch9wavefront6targetE1EEEvSF_, .Lfunc_end1595-_ZN7rocprim17ROCPRIM_400000_NS6detail17trampoline_kernelINS0_14default_configENS1_38merge_sort_block_merge_config_selectorIaNS0_10empty_typeEEEZZNS1_27merge_sort_block_merge_implIS3_PaPS5_jNS1_19radix_merge_compareILb1ELb0EaNS0_19identity_decomposerEEEEE10hipError_tT0_T1_T2_jT3_P12ihipStream_tbPNSt15iterator_traitsISE_E10value_typeEPNSK_ISF_E10value_typeEPSG_NS1_7vsmem_tEENKUlT_SE_SF_SG_E_clIS8_S8_S9_S9_EESD_ST_SE_SF_SG_EUlST_E1_NS1_11comp_targetILNS1_3genE2ELNS1_11target_archE906ELNS1_3gpuE6ELNS1_3repE0EEENS1_36merge_oddeven_config_static_selectorELNS0_4arch9wavefront6targetE1EEEvSF_
                                        ; -- End function
	.section	.AMDGPU.csdata,"",@progbits
; Kernel info:
; codeLenInByte = 0
; NumSgprs: 4
; NumVgprs: 0
; NumAgprs: 0
; TotalNumVgprs: 0
; ScratchSize: 0
; MemoryBound: 0
; FloatMode: 240
; IeeeMode: 1
; LDSByteSize: 0 bytes/workgroup (compile time only)
; SGPRBlocks: 0
; VGPRBlocks: 0
; NumSGPRsForWavesPerEU: 4
; NumVGPRsForWavesPerEU: 1
; AccumOffset: 4
; Occupancy: 8
; WaveLimiterHint : 0
; COMPUTE_PGM_RSRC2:SCRATCH_EN: 0
; COMPUTE_PGM_RSRC2:USER_SGPR: 6
; COMPUTE_PGM_RSRC2:TRAP_HANDLER: 0
; COMPUTE_PGM_RSRC2:TGID_X_EN: 1
; COMPUTE_PGM_RSRC2:TGID_Y_EN: 0
; COMPUTE_PGM_RSRC2:TGID_Z_EN: 0
; COMPUTE_PGM_RSRC2:TIDIG_COMP_CNT: 0
; COMPUTE_PGM_RSRC3_GFX90A:ACCUM_OFFSET: 0
; COMPUTE_PGM_RSRC3_GFX90A:TG_SPLIT: 0
	.section	.text._ZN7rocprim17ROCPRIM_400000_NS6detail17trampoline_kernelINS0_14default_configENS1_38merge_sort_block_merge_config_selectorIaNS0_10empty_typeEEEZZNS1_27merge_sort_block_merge_implIS3_PaPS5_jNS1_19radix_merge_compareILb1ELb0EaNS0_19identity_decomposerEEEEE10hipError_tT0_T1_T2_jT3_P12ihipStream_tbPNSt15iterator_traitsISE_E10value_typeEPNSK_ISF_E10value_typeEPSG_NS1_7vsmem_tEENKUlT_SE_SF_SG_E_clIS8_S8_S9_S9_EESD_ST_SE_SF_SG_EUlST_E1_NS1_11comp_targetILNS1_3genE9ELNS1_11target_archE1100ELNS1_3gpuE3ELNS1_3repE0EEENS1_36merge_oddeven_config_static_selectorELNS0_4arch9wavefront6targetE1EEEvSF_,"axG",@progbits,_ZN7rocprim17ROCPRIM_400000_NS6detail17trampoline_kernelINS0_14default_configENS1_38merge_sort_block_merge_config_selectorIaNS0_10empty_typeEEEZZNS1_27merge_sort_block_merge_implIS3_PaPS5_jNS1_19radix_merge_compareILb1ELb0EaNS0_19identity_decomposerEEEEE10hipError_tT0_T1_T2_jT3_P12ihipStream_tbPNSt15iterator_traitsISE_E10value_typeEPNSK_ISF_E10value_typeEPSG_NS1_7vsmem_tEENKUlT_SE_SF_SG_E_clIS8_S8_S9_S9_EESD_ST_SE_SF_SG_EUlST_E1_NS1_11comp_targetILNS1_3genE9ELNS1_11target_archE1100ELNS1_3gpuE3ELNS1_3repE0EEENS1_36merge_oddeven_config_static_selectorELNS0_4arch9wavefront6targetE1EEEvSF_,comdat
	.protected	_ZN7rocprim17ROCPRIM_400000_NS6detail17trampoline_kernelINS0_14default_configENS1_38merge_sort_block_merge_config_selectorIaNS0_10empty_typeEEEZZNS1_27merge_sort_block_merge_implIS3_PaPS5_jNS1_19radix_merge_compareILb1ELb0EaNS0_19identity_decomposerEEEEE10hipError_tT0_T1_T2_jT3_P12ihipStream_tbPNSt15iterator_traitsISE_E10value_typeEPNSK_ISF_E10value_typeEPSG_NS1_7vsmem_tEENKUlT_SE_SF_SG_E_clIS8_S8_S9_S9_EESD_ST_SE_SF_SG_EUlST_E1_NS1_11comp_targetILNS1_3genE9ELNS1_11target_archE1100ELNS1_3gpuE3ELNS1_3repE0EEENS1_36merge_oddeven_config_static_selectorELNS0_4arch9wavefront6targetE1EEEvSF_ ; -- Begin function _ZN7rocprim17ROCPRIM_400000_NS6detail17trampoline_kernelINS0_14default_configENS1_38merge_sort_block_merge_config_selectorIaNS0_10empty_typeEEEZZNS1_27merge_sort_block_merge_implIS3_PaPS5_jNS1_19radix_merge_compareILb1ELb0EaNS0_19identity_decomposerEEEEE10hipError_tT0_T1_T2_jT3_P12ihipStream_tbPNSt15iterator_traitsISE_E10value_typeEPNSK_ISF_E10value_typeEPSG_NS1_7vsmem_tEENKUlT_SE_SF_SG_E_clIS8_S8_S9_S9_EESD_ST_SE_SF_SG_EUlST_E1_NS1_11comp_targetILNS1_3genE9ELNS1_11target_archE1100ELNS1_3gpuE3ELNS1_3repE0EEENS1_36merge_oddeven_config_static_selectorELNS0_4arch9wavefront6targetE1EEEvSF_
	.globl	_ZN7rocprim17ROCPRIM_400000_NS6detail17trampoline_kernelINS0_14default_configENS1_38merge_sort_block_merge_config_selectorIaNS0_10empty_typeEEEZZNS1_27merge_sort_block_merge_implIS3_PaPS5_jNS1_19radix_merge_compareILb1ELb0EaNS0_19identity_decomposerEEEEE10hipError_tT0_T1_T2_jT3_P12ihipStream_tbPNSt15iterator_traitsISE_E10value_typeEPNSK_ISF_E10value_typeEPSG_NS1_7vsmem_tEENKUlT_SE_SF_SG_E_clIS8_S8_S9_S9_EESD_ST_SE_SF_SG_EUlST_E1_NS1_11comp_targetILNS1_3genE9ELNS1_11target_archE1100ELNS1_3gpuE3ELNS1_3repE0EEENS1_36merge_oddeven_config_static_selectorELNS0_4arch9wavefront6targetE1EEEvSF_
	.p2align	8
	.type	_ZN7rocprim17ROCPRIM_400000_NS6detail17trampoline_kernelINS0_14default_configENS1_38merge_sort_block_merge_config_selectorIaNS0_10empty_typeEEEZZNS1_27merge_sort_block_merge_implIS3_PaPS5_jNS1_19radix_merge_compareILb1ELb0EaNS0_19identity_decomposerEEEEE10hipError_tT0_T1_T2_jT3_P12ihipStream_tbPNSt15iterator_traitsISE_E10value_typeEPNSK_ISF_E10value_typeEPSG_NS1_7vsmem_tEENKUlT_SE_SF_SG_E_clIS8_S8_S9_S9_EESD_ST_SE_SF_SG_EUlST_E1_NS1_11comp_targetILNS1_3genE9ELNS1_11target_archE1100ELNS1_3gpuE3ELNS1_3repE0EEENS1_36merge_oddeven_config_static_selectorELNS0_4arch9wavefront6targetE1EEEvSF_,@function
_ZN7rocprim17ROCPRIM_400000_NS6detail17trampoline_kernelINS0_14default_configENS1_38merge_sort_block_merge_config_selectorIaNS0_10empty_typeEEEZZNS1_27merge_sort_block_merge_implIS3_PaPS5_jNS1_19radix_merge_compareILb1ELb0EaNS0_19identity_decomposerEEEEE10hipError_tT0_T1_T2_jT3_P12ihipStream_tbPNSt15iterator_traitsISE_E10value_typeEPNSK_ISF_E10value_typeEPSG_NS1_7vsmem_tEENKUlT_SE_SF_SG_E_clIS8_S8_S9_S9_EESD_ST_SE_SF_SG_EUlST_E1_NS1_11comp_targetILNS1_3genE9ELNS1_11target_archE1100ELNS1_3gpuE3ELNS1_3repE0EEENS1_36merge_oddeven_config_static_selectorELNS0_4arch9wavefront6targetE1EEEvSF_: ; @_ZN7rocprim17ROCPRIM_400000_NS6detail17trampoline_kernelINS0_14default_configENS1_38merge_sort_block_merge_config_selectorIaNS0_10empty_typeEEEZZNS1_27merge_sort_block_merge_implIS3_PaPS5_jNS1_19radix_merge_compareILb1ELb0EaNS0_19identity_decomposerEEEEE10hipError_tT0_T1_T2_jT3_P12ihipStream_tbPNSt15iterator_traitsISE_E10value_typeEPNSK_ISF_E10value_typeEPSG_NS1_7vsmem_tEENKUlT_SE_SF_SG_E_clIS8_S8_S9_S9_EESD_ST_SE_SF_SG_EUlST_E1_NS1_11comp_targetILNS1_3genE9ELNS1_11target_archE1100ELNS1_3gpuE3ELNS1_3repE0EEENS1_36merge_oddeven_config_static_selectorELNS0_4arch9wavefront6targetE1EEEvSF_
; %bb.0:
	.section	.rodata,"a",@progbits
	.p2align	6, 0x0
	.amdhsa_kernel _ZN7rocprim17ROCPRIM_400000_NS6detail17trampoline_kernelINS0_14default_configENS1_38merge_sort_block_merge_config_selectorIaNS0_10empty_typeEEEZZNS1_27merge_sort_block_merge_implIS3_PaPS5_jNS1_19radix_merge_compareILb1ELb0EaNS0_19identity_decomposerEEEEE10hipError_tT0_T1_T2_jT3_P12ihipStream_tbPNSt15iterator_traitsISE_E10value_typeEPNSK_ISF_E10value_typeEPSG_NS1_7vsmem_tEENKUlT_SE_SF_SG_E_clIS8_S8_S9_S9_EESD_ST_SE_SF_SG_EUlST_E1_NS1_11comp_targetILNS1_3genE9ELNS1_11target_archE1100ELNS1_3gpuE3ELNS1_3repE0EEENS1_36merge_oddeven_config_static_selectorELNS0_4arch9wavefront6targetE1EEEvSF_
		.amdhsa_group_segment_fixed_size 0
		.amdhsa_private_segment_fixed_size 0
		.amdhsa_kernarg_size 48
		.amdhsa_user_sgpr_count 6
		.amdhsa_user_sgpr_private_segment_buffer 1
		.amdhsa_user_sgpr_dispatch_ptr 0
		.amdhsa_user_sgpr_queue_ptr 0
		.amdhsa_user_sgpr_kernarg_segment_ptr 1
		.amdhsa_user_sgpr_dispatch_id 0
		.amdhsa_user_sgpr_flat_scratch_init 0
		.amdhsa_user_sgpr_kernarg_preload_length 0
		.amdhsa_user_sgpr_kernarg_preload_offset 0
		.amdhsa_user_sgpr_private_segment_size 0
		.amdhsa_uses_dynamic_stack 0
		.amdhsa_system_sgpr_private_segment_wavefront_offset 0
		.amdhsa_system_sgpr_workgroup_id_x 1
		.amdhsa_system_sgpr_workgroup_id_y 0
		.amdhsa_system_sgpr_workgroup_id_z 0
		.amdhsa_system_sgpr_workgroup_info 0
		.amdhsa_system_vgpr_workitem_id 0
		.amdhsa_next_free_vgpr 1
		.amdhsa_next_free_sgpr 0
		.amdhsa_accum_offset 4
		.amdhsa_reserve_vcc 0
		.amdhsa_reserve_flat_scratch 0
		.amdhsa_float_round_mode_32 0
		.amdhsa_float_round_mode_16_64 0
		.amdhsa_float_denorm_mode_32 3
		.amdhsa_float_denorm_mode_16_64 3
		.amdhsa_dx10_clamp 1
		.amdhsa_ieee_mode 1
		.amdhsa_fp16_overflow 0
		.amdhsa_tg_split 0
		.amdhsa_exception_fp_ieee_invalid_op 0
		.amdhsa_exception_fp_denorm_src 0
		.amdhsa_exception_fp_ieee_div_zero 0
		.amdhsa_exception_fp_ieee_overflow 0
		.amdhsa_exception_fp_ieee_underflow 0
		.amdhsa_exception_fp_ieee_inexact 0
		.amdhsa_exception_int_div_zero 0
	.end_amdhsa_kernel
	.section	.text._ZN7rocprim17ROCPRIM_400000_NS6detail17trampoline_kernelINS0_14default_configENS1_38merge_sort_block_merge_config_selectorIaNS0_10empty_typeEEEZZNS1_27merge_sort_block_merge_implIS3_PaPS5_jNS1_19radix_merge_compareILb1ELb0EaNS0_19identity_decomposerEEEEE10hipError_tT0_T1_T2_jT3_P12ihipStream_tbPNSt15iterator_traitsISE_E10value_typeEPNSK_ISF_E10value_typeEPSG_NS1_7vsmem_tEENKUlT_SE_SF_SG_E_clIS8_S8_S9_S9_EESD_ST_SE_SF_SG_EUlST_E1_NS1_11comp_targetILNS1_3genE9ELNS1_11target_archE1100ELNS1_3gpuE3ELNS1_3repE0EEENS1_36merge_oddeven_config_static_selectorELNS0_4arch9wavefront6targetE1EEEvSF_,"axG",@progbits,_ZN7rocprim17ROCPRIM_400000_NS6detail17trampoline_kernelINS0_14default_configENS1_38merge_sort_block_merge_config_selectorIaNS0_10empty_typeEEEZZNS1_27merge_sort_block_merge_implIS3_PaPS5_jNS1_19radix_merge_compareILb1ELb0EaNS0_19identity_decomposerEEEEE10hipError_tT0_T1_T2_jT3_P12ihipStream_tbPNSt15iterator_traitsISE_E10value_typeEPNSK_ISF_E10value_typeEPSG_NS1_7vsmem_tEENKUlT_SE_SF_SG_E_clIS8_S8_S9_S9_EESD_ST_SE_SF_SG_EUlST_E1_NS1_11comp_targetILNS1_3genE9ELNS1_11target_archE1100ELNS1_3gpuE3ELNS1_3repE0EEENS1_36merge_oddeven_config_static_selectorELNS0_4arch9wavefront6targetE1EEEvSF_,comdat
.Lfunc_end1596:
	.size	_ZN7rocprim17ROCPRIM_400000_NS6detail17trampoline_kernelINS0_14default_configENS1_38merge_sort_block_merge_config_selectorIaNS0_10empty_typeEEEZZNS1_27merge_sort_block_merge_implIS3_PaPS5_jNS1_19radix_merge_compareILb1ELb0EaNS0_19identity_decomposerEEEEE10hipError_tT0_T1_T2_jT3_P12ihipStream_tbPNSt15iterator_traitsISE_E10value_typeEPNSK_ISF_E10value_typeEPSG_NS1_7vsmem_tEENKUlT_SE_SF_SG_E_clIS8_S8_S9_S9_EESD_ST_SE_SF_SG_EUlST_E1_NS1_11comp_targetILNS1_3genE9ELNS1_11target_archE1100ELNS1_3gpuE3ELNS1_3repE0EEENS1_36merge_oddeven_config_static_selectorELNS0_4arch9wavefront6targetE1EEEvSF_, .Lfunc_end1596-_ZN7rocprim17ROCPRIM_400000_NS6detail17trampoline_kernelINS0_14default_configENS1_38merge_sort_block_merge_config_selectorIaNS0_10empty_typeEEEZZNS1_27merge_sort_block_merge_implIS3_PaPS5_jNS1_19radix_merge_compareILb1ELb0EaNS0_19identity_decomposerEEEEE10hipError_tT0_T1_T2_jT3_P12ihipStream_tbPNSt15iterator_traitsISE_E10value_typeEPNSK_ISF_E10value_typeEPSG_NS1_7vsmem_tEENKUlT_SE_SF_SG_E_clIS8_S8_S9_S9_EESD_ST_SE_SF_SG_EUlST_E1_NS1_11comp_targetILNS1_3genE9ELNS1_11target_archE1100ELNS1_3gpuE3ELNS1_3repE0EEENS1_36merge_oddeven_config_static_selectorELNS0_4arch9wavefront6targetE1EEEvSF_
                                        ; -- End function
	.section	.AMDGPU.csdata,"",@progbits
; Kernel info:
; codeLenInByte = 0
; NumSgprs: 4
; NumVgprs: 0
; NumAgprs: 0
; TotalNumVgprs: 0
; ScratchSize: 0
; MemoryBound: 0
; FloatMode: 240
; IeeeMode: 1
; LDSByteSize: 0 bytes/workgroup (compile time only)
; SGPRBlocks: 0
; VGPRBlocks: 0
; NumSGPRsForWavesPerEU: 4
; NumVGPRsForWavesPerEU: 1
; AccumOffset: 4
; Occupancy: 8
; WaveLimiterHint : 0
; COMPUTE_PGM_RSRC2:SCRATCH_EN: 0
; COMPUTE_PGM_RSRC2:USER_SGPR: 6
; COMPUTE_PGM_RSRC2:TRAP_HANDLER: 0
; COMPUTE_PGM_RSRC2:TGID_X_EN: 1
; COMPUTE_PGM_RSRC2:TGID_Y_EN: 0
; COMPUTE_PGM_RSRC2:TGID_Z_EN: 0
; COMPUTE_PGM_RSRC2:TIDIG_COMP_CNT: 0
; COMPUTE_PGM_RSRC3_GFX90A:ACCUM_OFFSET: 0
; COMPUTE_PGM_RSRC3_GFX90A:TG_SPLIT: 0
	.section	.text._ZN7rocprim17ROCPRIM_400000_NS6detail17trampoline_kernelINS0_14default_configENS1_38merge_sort_block_merge_config_selectorIaNS0_10empty_typeEEEZZNS1_27merge_sort_block_merge_implIS3_PaPS5_jNS1_19radix_merge_compareILb1ELb0EaNS0_19identity_decomposerEEEEE10hipError_tT0_T1_T2_jT3_P12ihipStream_tbPNSt15iterator_traitsISE_E10value_typeEPNSK_ISF_E10value_typeEPSG_NS1_7vsmem_tEENKUlT_SE_SF_SG_E_clIS8_S8_S9_S9_EESD_ST_SE_SF_SG_EUlST_E1_NS1_11comp_targetILNS1_3genE8ELNS1_11target_archE1030ELNS1_3gpuE2ELNS1_3repE0EEENS1_36merge_oddeven_config_static_selectorELNS0_4arch9wavefront6targetE1EEEvSF_,"axG",@progbits,_ZN7rocprim17ROCPRIM_400000_NS6detail17trampoline_kernelINS0_14default_configENS1_38merge_sort_block_merge_config_selectorIaNS0_10empty_typeEEEZZNS1_27merge_sort_block_merge_implIS3_PaPS5_jNS1_19radix_merge_compareILb1ELb0EaNS0_19identity_decomposerEEEEE10hipError_tT0_T1_T2_jT3_P12ihipStream_tbPNSt15iterator_traitsISE_E10value_typeEPNSK_ISF_E10value_typeEPSG_NS1_7vsmem_tEENKUlT_SE_SF_SG_E_clIS8_S8_S9_S9_EESD_ST_SE_SF_SG_EUlST_E1_NS1_11comp_targetILNS1_3genE8ELNS1_11target_archE1030ELNS1_3gpuE2ELNS1_3repE0EEENS1_36merge_oddeven_config_static_selectorELNS0_4arch9wavefront6targetE1EEEvSF_,comdat
	.protected	_ZN7rocprim17ROCPRIM_400000_NS6detail17trampoline_kernelINS0_14default_configENS1_38merge_sort_block_merge_config_selectorIaNS0_10empty_typeEEEZZNS1_27merge_sort_block_merge_implIS3_PaPS5_jNS1_19radix_merge_compareILb1ELb0EaNS0_19identity_decomposerEEEEE10hipError_tT0_T1_T2_jT3_P12ihipStream_tbPNSt15iterator_traitsISE_E10value_typeEPNSK_ISF_E10value_typeEPSG_NS1_7vsmem_tEENKUlT_SE_SF_SG_E_clIS8_S8_S9_S9_EESD_ST_SE_SF_SG_EUlST_E1_NS1_11comp_targetILNS1_3genE8ELNS1_11target_archE1030ELNS1_3gpuE2ELNS1_3repE0EEENS1_36merge_oddeven_config_static_selectorELNS0_4arch9wavefront6targetE1EEEvSF_ ; -- Begin function _ZN7rocprim17ROCPRIM_400000_NS6detail17trampoline_kernelINS0_14default_configENS1_38merge_sort_block_merge_config_selectorIaNS0_10empty_typeEEEZZNS1_27merge_sort_block_merge_implIS3_PaPS5_jNS1_19radix_merge_compareILb1ELb0EaNS0_19identity_decomposerEEEEE10hipError_tT0_T1_T2_jT3_P12ihipStream_tbPNSt15iterator_traitsISE_E10value_typeEPNSK_ISF_E10value_typeEPSG_NS1_7vsmem_tEENKUlT_SE_SF_SG_E_clIS8_S8_S9_S9_EESD_ST_SE_SF_SG_EUlST_E1_NS1_11comp_targetILNS1_3genE8ELNS1_11target_archE1030ELNS1_3gpuE2ELNS1_3repE0EEENS1_36merge_oddeven_config_static_selectorELNS0_4arch9wavefront6targetE1EEEvSF_
	.globl	_ZN7rocprim17ROCPRIM_400000_NS6detail17trampoline_kernelINS0_14default_configENS1_38merge_sort_block_merge_config_selectorIaNS0_10empty_typeEEEZZNS1_27merge_sort_block_merge_implIS3_PaPS5_jNS1_19radix_merge_compareILb1ELb0EaNS0_19identity_decomposerEEEEE10hipError_tT0_T1_T2_jT3_P12ihipStream_tbPNSt15iterator_traitsISE_E10value_typeEPNSK_ISF_E10value_typeEPSG_NS1_7vsmem_tEENKUlT_SE_SF_SG_E_clIS8_S8_S9_S9_EESD_ST_SE_SF_SG_EUlST_E1_NS1_11comp_targetILNS1_3genE8ELNS1_11target_archE1030ELNS1_3gpuE2ELNS1_3repE0EEENS1_36merge_oddeven_config_static_selectorELNS0_4arch9wavefront6targetE1EEEvSF_
	.p2align	8
	.type	_ZN7rocprim17ROCPRIM_400000_NS6detail17trampoline_kernelINS0_14default_configENS1_38merge_sort_block_merge_config_selectorIaNS0_10empty_typeEEEZZNS1_27merge_sort_block_merge_implIS3_PaPS5_jNS1_19radix_merge_compareILb1ELb0EaNS0_19identity_decomposerEEEEE10hipError_tT0_T1_T2_jT3_P12ihipStream_tbPNSt15iterator_traitsISE_E10value_typeEPNSK_ISF_E10value_typeEPSG_NS1_7vsmem_tEENKUlT_SE_SF_SG_E_clIS8_S8_S9_S9_EESD_ST_SE_SF_SG_EUlST_E1_NS1_11comp_targetILNS1_3genE8ELNS1_11target_archE1030ELNS1_3gpuE2ELNS1_3repE0EEENS1_36merge_oddeven_config_static_selectorELNS0_4arch9wavefront6targetE1EEEvSF_,@function
_ZN7rocprim17ROCPRIM_400000_NS6detail17trampoline_kernelINS0_14default_configENS1_38merge_sort_block_merge_config_selectorIaNS0_10empty_typeEEEZZNS1_27merge_sort_block_merge_implIS3_PaPS5_jNS1_19radix_merge_compareILb1ELb0EaNS0_19identity_decomposerEEEEE10hipError_tT0_T1_T2_jT3_P12ihipStream_tbPNSt15iterator_traitsISE_E10value_typeEPNSK_ISF_E10value_typeEPSG_NS1_7vsmem_tEENKUlT_SE_SF_SG_E_clIS8_S8_S9_S9_EESD_ST_SE_SF_SG_EUlST_E1_NS1_11comp_targetILNS1_3genE8ELNS1_11target_archE1030ELNS1_3gpuE2ELNS1_3repE0EEENS1_36merge_oddeven_config_static_selectorELNS0_4arch9wavefront6targetE1EEEvSF_: ; @_ZN7rocprim17ROCPRIM_400000_NS6detail17trampoline_kernelINS0_14default_configENS1_38merge_sort_block_merge_config_selectorIaNS0_10empty_typeEEEZZNS1_27merge_sort_block_merge_implIS3_PaPS5_jNS1_19radix_merge_compareILb1ELb0EaNS0_19identity_decomposerEEEEE10hipError_tT0_T1_T2_jT3_P12ihipStream_tbPNSt15iterator_traitsISE_E10value_typeEPNSK_ISF_E10value_typeEPSG_NS1_7vsmem_tEENKUlT_SE_SF_SG_E_clIS8_S8_S9_S9_EESD_ST_SE_SF_SG_EUlST_E1_NS1_11comp_targetILNS1_3genE8ELNS1_11target_archE1030ELNS1_3gpuE2ELNS1_3repE0EEENS1_36merge_oddeven_config_static_selectorELNS0_4arch9wavefront6targetE1EEEvSF_
; %bb.0:
	.section	.rodata,"a",@progbits
	.p2align	6, 0x0
	.amdhsa_kernel _ZN7rocprim17ROCPRIM_400000_NS6detail17trampoline_kernelINS0_14default_configENS1_38merge_sort_block_merge_config_selectorIaNS0_10empty_typeEEEZZNS1_27merge_sort_block_merge_implIS3_PaPS5_jNS1_19radix_merge_compareILb1ELb0EaNS0_19identity_decomposerEEEEE10hipError_tT0_T1_T2_jT3_P12ihipStream_tbPNSt15iterator_traitsISE_E10value_typeEPNSK_ISF_E10value_typeEPSG_NS1_7vsmem_tEENKUlT_SE_SF_SG_E_clIS8_S8_S9_S9_EESD_ST_SE_SF_SG_EUlST_E1_NS1_11comp_targetILNS1_3genE8ELNS1_11target_archE1030ELNS1_3gpuE2ELNS1_3repE0EEENS1_36merge_oddeven_config_static_selectorELNS0_4arch9wavefront6targetE1EEEvSF_
		.amdhsa_group_segment_fixed_size 0
		.amdhsa_private_segment_fixed_size 0
		.amdhsa_kernarg_size 48
		.amdhsa_user_sgpr_count 6
		.amdhsa_user_sgpr_private_segment_buffer 1
		.amdhsa_user_sgpr_dispatch_ptr 0
		.amdhsa_user_sgpr_queue_ptr 0
		.amdhsa_user_sgpr_kernarg_segment_ptr 1
		.amdhsa_user_sgpr_dispatch_id 0
		.amdhsa_user_sgpr_flat_scratch_init 0
		.amdhsa_user_sgpr_kernarg_preload_length 0
		.amdhsa_user_sgpr_kernarg_preload_offset 0
		.amdhsa_user_sgpr_private_segment_size 0
		.amdhsa_uses_dynamic_stack 0
		.amdhsa_system_sgpr_private_segment_wavefront_offset 0
		.amdhsa_system_sgpr_workgroup_id_x 1
		.amdhsa_system_sgpr_workgroup_id_y 0
		.amdhsa_system_sgpr_workgroup_id_z 0
		.amdhsa_system_sgpr_workgroup_info 0
		.amdhsa_system_vgpr_workitem_id 0
		.amdhsa_next_free_vgpr 1
		.amdhsa_next_free_sgpr 0
		.amdhsa_accum_offset 4
		.amdhsa_reserve_vcc 0
		.amdhsa_reserve_flat_scratch 0
		.amdhsa_float_round_mode_32 0
		.amdhsa_float_round_mode_16_64 0
		.amdhsa_float_denorm_mode_32 3
		.amdhsa_float_denorm_mode_16_64 3
		.amdhsa_dx10_clamp 1
		.amdhsa_ieee_mode 1
		.amdhsa_fp16_overflow 0
		.amdhsa_tg_split 0
		.amdhsa_exception_fp_ieee_invalid_op 0
		.amdhsa_exception_fp_denorm_src 0
		.amdhsa_exception_fp_ieee_div_zero 0
		.amdhsa_exception_fp_ieee_overflow 0
		.amdhsa_exception_fp_ieee_underflow 0
		.amdhsa_exception_fp_ieee_inexact 0
		.amdhsa_exception_int_div_zero 0
	.end_amdhsa_kernel
	.section	.text._ZN7rocprim17ROCPRIM_400000_NS6detail17trampoline_kernelINS0_14default_configENS1_38merge_sort_block_merge_config_selectorIaNS0_10empty_typeEEEZZNS1_27merge_sort_block_merge_implIS3_PaPS5_jNS1_19radix_merge_compareILb1ELb0EaNS0_19identity_decomposerEEEEE10hipError_tT0_T1_T2_jT3_P12ihipStream_tbPNSt15iterator_traitsISE_E10value_typeEPNSK_ISF_E10value_typeEPSG_NS1_7vsmem_tEENKUlT_SE_SF_SG_E_clIS8_S8_S9_S9_EESD_ST_SE_SF_SG_EUlST_E1_NS1_11comp_targetILNS1_3genE8ELNS1_11target_archE1030ELNS1_3gpuE2ELNS1_3repE0EEENS1_36merge_oddeven_config_static_selectorELNS0_4arch9wavefront6targetE1EEEvSF_,"axG",@progbits,_ZN7rocprim17ROCPRIM_400000_NS6detail17trampoline_kernelINS0_14default_configENS1_38merge_sort_block_merge_config_selectorIaNS0_10empty_typeEEEZZNS1_27merge_sort_block_merge_implIS3_PaPS5_jNS1_19radix_merge_compareILb1ELb0EaNS0_19identity_decomposerEEEEE10hipError_tT0_T1_T2_jT3_P12ihipStream_tbPNSt15iterator_traitsISE_E10value_typeEPNSK_ISF_E10value_typeEPSG_NS1_7vsmem_tEENKUlT_SE_SF_SG_E_clIS8_S8_S9_S9_EESD_ST_SE_SF_SG_EUlST_E1_NS1_11comp_targetILNS1_3genE8ELNS1_11target_archE1030ELNS1_3gpuE2ELNS1_3repE0EEENS1_36merge_oddeven_config_static_selectorELNS0_4arch9wavefront6targetE1EEEvSF_,comdat
.Lfunc_end1597:
	.size	_ZN7rocprim17ROCPRIM_400000_NS6detail17trampoline_kernelINS0_14default_configENS1_38merge_sort_block_merge_config_selectorIaNS0_10empty_typeEEEZZNS1_27merge_sort_block_merge_implIS3_PaPS5_jNS1_19radix_merge_compareILb1ELb0EaNS0_19identity_decomposerEEEEE10hipError_tT0_T1_T2_jT3_P12ihipStream_tbPNSt15iterator_traitsISE_E10value_typeEPNSK_ISF_E10value_typeEPSG_NS1_7vsmem_tEENKUlT_SE_SF_SG_E_clIS8_S8_S9_S9_EESD_ST_SE_SF_SG_EUlST_E1_NS1_11comp_targetILNS1_3genE8ELNS1_11target_archE1030ELNS1_3gpuE2ELNS1_3repE0EEENS1_36merge_oddeven_config_static_selectorELNS0_4arch9wavefront6targetE1EEEvSF_, .Lfunc_end1597-_ZN7rocprim17ROCPRIM_400000_NS6detail17trampoline_kernelINS0_14default_configENS1_38merge_sort_block_merge_config_selectorIaNS0_10empty_typeEEEZZNS1_27merge_sort_block_merge_implIS3_PaPS5_jNS1_19radix_merge_compareILb1ELb0EaNS0_19identity_decomposerEEEEE10hipError_tT0_T1_T2_jT3_P12ihipStream_tbPNSt15iterator_traitsISE_E10value_typeEPNSK_ISF_E10value_typeEPSG_NS1_7vsmem_tEENKUlT_SE_SF_SG_E_clIS8_S8_S9_S9_EESD_ST_SE_SF_SG_EUlST_E1_NS1_11comp_targetILNS1_3genE8ELNS1_11target_archE1030ELNS1_3gpuE2ELNS1_3repE0EEENS1_36merge_oddeven_config_static_selectorELNS0_4arch9wavefront6targetE1EEEvSF_
                                        ; -- End function
	.section	.AMDGPU.csdata,"",@progbits
; Kernel info:
; codeLenInByte = 0
; NumSgprs: 4
; NumVgprs: 0
; NumAgprs: 0
; TotalNumVgprs: 0
; ScratchSize: 0
; MemoryBound: 0
; FloatMode: 240
; IeeeMode: 1
; LDSByteSize: 0 bytes/workgroup (compile time only)
; SGPRBlocks: 0
; VGPRBlocks: 0
; NumSGPRsForWavesPerEU: 4
; NumVGPRsForWavesPerEU: 1
; AccumOffset: 4
; Occupancy: 8
; WaveLimiterHint : 0
; COMPUTE_PGM_RSRC2:SCRATCH_EN: 0
; COMPUTE_PGM_RSRC2:USER_SGPR: 6
; COMPUTE_PGM_RSRC2:TRAP_HANDLER: 0
; COMPUTE_PGM_RSRC2:TGID_X_EN: 1
; COMPUTE_PGM_RSRC2:TGID_Y_EN: 0
; COMPUTE_PGM_RSRC2:TGID_Z_EN: 0
; COMPUTE_PGM_RSRC2:TIDIG_COMP_CNT: 0
; COMPUTE_PGM_RSRC3_GFX90A:ACCUM_OFFSET: 0
; COMPUTE_PGM_RSRC3_GFX90A:TG_SPLIT: 0
	.section	.text._ZN7rocprim17ROCPRIM_400000_NS6detail17trampoline_kernelINS0_14default_configENS1_38merge_sort_block_merge_config_selectorIaNS0_10empty_typeEEEZZNS1_27merge_sort_block_merge_implIS3_PaPS5_jNS1_19radix_merge_compareILb1ELb1EaNS0_19identity_decomposerEEEEE10hipError_tT0_T1_T2_jT3_P12ihipStream_tbPNSt15iterator_traitsISE_E10value_typeEPNSK_ISF_E10value_typeEPSG_NS1_7vsmem_tEENKUlT_SE_SF_SG_E_clIS8_S8_S9_S9_EESD_ST_SE_SF_SG_EUlST_E_NS1_11comp_targetILNS1_3genE0ELNS1_11target_archE4294967295ELNS1_3gpuE0ELNS1_3repE0EEENS1_48merge_mergepath_partition_config_static_selectorELNS0_4arch9wavefront6targetE1EEEvSF_,"axG",@progbits,_ZN7rocprim17ROCPRIM_400000_NS6detail17trampoline_kernelINS0_14default_configENS1_38merge_sort_block_merge_config_selectorIaNS0_10empty_typeEEEZZNS1_27merge_sort_block_merge_implIS3_PaPS5_jNS1_19radix_merge_compareILb1ELb1EaNS0_19identity_decomposerEEEEE10hipError_tT0_T1_T2_jT3_P12ihipStream_tbPNSt15iterator_traitsISE_E10value_typeEPNSK_ISF_E10value_typeEPSG_NS1_7vsmem_tEENKUlT_SE_SF_SG_E_clIS8_S8_S9_S9_EESD_ST_SE_SF_SG_EUlST_E_NS1_11comp_targetILNS1_3genE0ELNS1_11target_archE4294967295ELNS1_3gpuE0ELNS1_3repE0EEENS1_48merge_mergepath_partition_config_static_selectorELNS0_4arch9wavefront6targetE1EEEvSF_,comdat
	.protected	_ZN7rocprim17ROCPRIM_400000_NS6detail17trampoline_kernelINS0_14default_configENS1_38merge_sort_block_merge_config_selectorIaNS0_10empty_typeEEEZZNS1_27merge_sort_block_merge_implIS3_PaPS5_jNS1_19radix_merge_compareILb1ELb1EaNS0_19identity_decomposerEEEEE10hipError_tT0_T1_T2_jT3_P12ihipStream_tbPNSt15iterator_traitsISE_E10value_typeEPNSK_ISF_E10value_typeEPSG_NS1_7vsmem_tEENKUlT_SE_SF_SG_E_clIS8_S8_S9_S9_EESD_ST_SE_SF_SG_EUlST_E_NS1_11comp_targetILNS1_3genE0ELNS1_11target_archE4294967295ELNS1_3gpuE0ELNS1_3repE0EEENS1_48merge_mergepath_partition_config_static_selectorELNS0_4arch9wavefront6targetE1EEEvSF_ ; -- Begin function _ZN7rocprim17ROCPRIM_400000_NS6detail17trampoline_kernelINS0_14default_configENS1_38merge_sort_block_merge_config_selectorIaNS0_10empty_typeEEEZZNS1_27merge_sort_block_merge_implIS3_PaPS5_jNS1_19radix_merge_compareILb1ELb1EaNS0_19identity_decomposerEEEEE10hipError_tT0_T1_T2_jT3_P12ihipStream_tbPNSt15iterator_traitsISE_E10value_typeEPNSK_ISF_E10value_typeEPSG_NS1_7vsmem_tEENKUlT_SE_SF_SG_E_clIS8_S8_S9_S9_EESD_ST_SE_SF_SG_EUlST_E_NS1_11comp_targetILNS1_3genE0ELNS1_11target_archE4294967295ELNS1_3gpuE0ELNS1_3repE0EEENS1_48merge_mergepath_partition_config_static_selectorELNS0_4arch9wavefront6targetE1EEEvSF_
	.globl	_ZN7rocprim17ROCPRIM_400000_NS6detail17trampoline_kernelINS0_14default_configENS1_38merge_sort_block_merge_config_selectorIaNS0_10empty_typeEEEZZNS1_27merge_sort_block_merge_implIS3_PaPS5_jNS1_19radix_merge_compareILb1ELb1EaNS0_19identity_decomposerEEEEE10hipError_tT0_T1_T2_jT3_P12ihipStream_tbPNSt15iterator_traitsISE_E10value_typeEPNSK_ISF_E10value_typeEPSG_NS1_7vsmem_tEENKUlT_SE_SF_SG_E_clIS8_S8_S9_S9_EESD_ST_SE_SF_SG_EUlST_E_NS1_11comp_targetILNS1_3genE0ELNS1_11target_archE4294967295ELNS1_3gpuE0ELNS1_3repE0EEENS1_48merge_mergepath_partition_config_static_selectorELNS0_4arch9wavefront6targetE1EEEvSF_
	.p2align	8
	.type	_ZN7rocprim17ROCPRIM_400000_NS6detail17trampoline_kernelINS0_14default_configENS1_38merge_sort_block_merge_config_selectorIaNS0_10empty_typeEEEZZNS1_27merge_sort_block_merge_implIS3_PaPS5_jNS1_19radix_merge_compareILb1ELb1EaNS0_19identity_decomposerEEEEE10hipError_tT0_T1_T2_jT3_P12ihipStream_tbPNSt15iterator_traitsISE_E10value_typeEPNSK_ISF_E10value_typeEPSG_NS1_7vsmem_tEENKUlT_SE_SF_SG_E_clIS8_S8_S9_S9_EESD_ST_SE_SF_SG_EUlST_E_NS1_11comp_targetILNS1_3genE0ELNS1_11target_archE4294967295ELNS1_3gpuE0ELNS1_3repE0EEENS1_48merge_mergepath_partition_config_static_selectorELNS0_4arch9wavefront6targetE1EEEvSF_,@function
_ZN7rocprim17ROCPRIM_400000_NS6detail17trampoline_kernelINS0_14default_configENS1_38merge_sort_block_merge_config_selectorIaNS0_10empty_typeEEEZZNS1_27merge_sort_block_merge_implIS3_PaPS5_jNS1_19radix_merge_compareILb1ELb1EaNS0_19identity_decomposerEEEEE10hipError_tT0_T1_T2_jT3_P12ihipStream_tbPNSt15iterator_traitsISE_E10value_typeEPNSK_ISF_E10value_typeEPSG_NS1_7vsmem_tEENKUlT_SE_SF_SG_E_clIS8_S8_S9_S9_EESD_ST_SE_SF_SG_EUlST_E_NS1_11comp_targetILNS1_3genE0ELNS1_11target_archE4294967295ELNS1_3gpuE0ELNS1_3repE0EEENS1_48merge_mergepath_partition_config_static_selectorELNS0_4arch9wavefront6targetE1EEEvSF_: ; @_ZN7rocprim17ROCPRIM_400000_NS6detail17trampoline_kernelINS0_14default_configENS1_38merge_sort_block_merge_config_selectorIaNS0_10empty_typeEEEZZNS1_27merge_sort_block_merge_implIS3_PaPS5_jNS1_19radix_merge_compareILb1ELb1EaNS0_19identity_decomposerEEEEE10hipError_tT0_T1_T2_jT3_P12ihipStream_tbPNSt15iterator_traitsISE_E10value_typeEPNSK_ISF_E10value_typeEPSG_NS1_7vsmem_tEENKUlT_SE_SF_SG_E_clIS8_S8_S9_S9_EESD_ST_SE_SF_SG_EUlST_E_NS1_11comp_targetILNS1_3genE0ELNS1_11target_archE4294967295ELNS1_3gpuE0ELNS1_3repE0EEENS1_48merge_mergepath_partition_config_static_selectorELNS0_4arch9wavefront6targetE1EEEvSF_
; %bb.0:
	.section	.rodata,"a",@progbits
	.p2align	6, 0x0
	.amdhsa_kernel _ZN7rocprim17ROCPRIM_400000_NS6detail17trampoline_kernelINS0_14default_configENS1_38merge_sort_block_merge_config_selectorIaNS0_10empty_typeEEEZZNS1_27merge_sort_block_merge_implIS3_PaPS5_jNS1_19radix_merge_compareILb1ELb1EaNS0_19identity_decomposerEEEEE10hipError_tT0_T1_T2_jT3_P12ihipStream_tbPNSt15iterator_traitsISE_E10value_typeEPNSK_ISF_E10value_typeEPSG_NS1_7vsmem_tEENKUlT_SE_SF_SG_E_clIS8_S8_S9_S9_EESD_ST_SE_SF_SG_EUlST_E_NS1_11comp_targetILNS1_3genE0ELNS1_11target_archE4294967295ELNS1_3gpuE0ELNS1_3repE0EEENS1_48merge_mergepath_partition_config_static_selectorELNS0_4arch9wavefront6targetE1EEEvSF_
		.amdhsa_group_segment_fixed_size 0
		.amdhsa_private_segment_fixed_size 0
		.amdhsa_kernarg_size 40
		.amdhsa_user_sgpr_count 6
		.amdhsa_user_sgpr_private_segment_buffer 1
		.amdhsa_user_sgpr_dispatch_ptr 0
		.amdhsa_user_sgpr_queue_ptr 0
		.amdhsa_user_sgpr_kernarg_segment_ptr 1
		.amdhsa_user_sgpr_dispatch_id 0
		.amdhsa_user_sgpr_flat_scratch_init 0
		.amdhsa_user_sgpr_kernarg_preload_length 0
		.amdhsa_user_sgpr_kernarg_preload_offset 0
		.amdhsa_user_sgpr_private_segment_size 0
		.amdhsa_uses_dynamic_stack 0
		.amdhsa_system_sgpr_private_segment_wavefront_offset 0
		.amdhsa_system_sgpr_workgroup_id_x 1
		.amdhsa_system_sgpr_workgroup_id_y 0
		.amdhsa_system_sgpr_workgroup_id_z 0
		.amdhsa_system_sgpr_workgroup_info 0
		.amdhsa_system_vgpr_workitem_id 0
		.amdhsa_next_free_vgpr 1
		.amdhsa_next_free_sgpr 0
		.amdhsa_accum_offset 4
		.amdhsa_reserve_vcc 0
		.amdhsa_reserve_flat_scratch 0
		.amdhsa_float_round_mode_32 0
		.amdhsa_float_round_mode_16_64 0
		.amdhsa_float_denorm_mode_32 3
		.amdhsa_float_denorm_mode_16_64 3
		.amdhsa_dx10_clamp 1
		.amdhsa_ieee_mode 1
		.amdhsa_fp16_overflow 0
		.amdhsa_tg_split 0
		.amdhsa_exception_fp_ieee_invalid_op 0
		.amdhsa_exception_fp_denorm_src 0
		.amdhsa_exception_fp_ieee_div_zero 0
		.amdhsa_exception_fp_ieee_overflow 0
		.amdhsa_exception_fp_ieee_underflow 0
		.amdhsa_exception_fp_ieee_inexact 0
		.amdhsa_exception_int_div_zero 0
	.end_amdhsa_kernel
	.section	.text._ZN7rocprim17ROCPRIM_400000_NS6detail17trampoline_kernelINS0_14default_configENS1_38merge_sort_block_merge_config_selectorIaNS0_10empty_typeEEEZZNS1_27merge_sort_block_merge_implIS3_PaPS5_jNS1_19radix_merge_compareILb1ELb1EaNS0_19identity_decomposerEEEEE10hipError_tT0_T1_T2_jT3_P12ihipStream_tbPNSt15iterator_traitsISE_E10value_typeEPNSK_ISF_E10value_typeEPSG_NS1_7vsmem_tEENKUlT_SE_SF_SG_E_clIS8_S8_S9_S9_EESD_ST_SE_SF_SG_EUlST_E_NS1_11comp_targetILNS1_3genE0ELNS1_11target_archE4294967295ELNS1_3gpuE0ELNS1_3repE0EEENS1_48merge_mergepath_partition_config_static_selectorELNS0_4arch9wavefront6targetE1EEEvSF_,"axG",@progbits,_ZN7rocprim17ROCPRIM_400000_NS6detail17trampoline_kernelINS0_14default_configENS1_38merge_sort_block_merge_config_selectorIaNS0_10empty_typeEEEZZNS1_27merge_sort_block_merge_implIS3_PaPS5_jNS1_19radix_merge_compareILb1ELb1EaNS0_19identity_decomposerEEEEE10hipError_tT0_T1_T2_jT3_P12ihipStream_tbPNSt15iterator_traitsISE_E10value_typeEPNSK_ISF_E10value_typeEPSG_NS1_7vsmem_tEENKUlT_SE_SF_SG_E_clIS8_S8_S9_S9_EESD_ST_SE_SF_SG_EUlST_E_NS1_11comp_targetILNS1_3genE0ELNS1_11target_archE4294967295ELNS1_3gpuE0ELNS1_3repE0EEENS1_48merge_mergepath_partition_config_static_selectorELNS0_4arch9wavefront6targetE1EEEvSF_,comdat
.Lfunc_end1598:
	.size	_ZN7rocprim17ROCPRIM_400000_NS6detail17trampoline_kernelINS0_14default_configENS1_38merge_sort_block_merge_config_selectorIaNS0_10empty_typeEEEZZNS1_27merge_sort_block_merge_implIS3_PaPS5_jNS1_19radix_merge_compareILb1ELb1EaNS0_19identity_decomposerEEEEE10hipError_tT0_T1_T2_jT3_P12ihipStream_tbPNSt15iterator_traitsISE_E10value_typeEPNSK_ISF_E10value_typeEPSG_NS1_7vsmem_tEENKUlT_SE_SF_SG_E_clIS8_S8_S9_S9_EESD_ST_SE_SF_SG_EUlST_E_NS1_11comp_targetILNS1_3genE0ELNS1_11target_archE4294967295ELNS1_3gpuE0ELNS1_3repE0EEENS1_48merge_mergepath_partition_config_static_selectorELNS0_4arch9wavefront6targetE1EEEvSF_, .Lfunc_end1598-_ZN7rocprim17ROCPRIM_400000_NS6detail17trampoline_kernelINS0_14default_configENS1_38merge_sort_block_merge_config_selectorIaNS0_10empty_typeEEEZZNS1_27merge_sort_block_merge_implIS3_PaPS5_jNS1_19radix_merge_compareILb1ELb1EaNS0_19identity_decomposerEEEEE10hipError_tT0_T1_T2_jT3_P12ihipStream_tbPNSt15iterator_traitsISE_E10value_typeEPNSK_ISF_E10value_typeEPSG_NS1_7vsmem_tEENKUlT_SE_SF_SG_E_clIS8_S8_S9_S9_EESD_ST_SE_SF_SG_EUlST_E_NS1_11comp_targetILNS1_3genE0ELNS1_11target_archE4294967295ELNS1_3gpuE0ELNS1_3repE0EEENS1_48merge_mergepath_partition_config_static_selectorELNS0_4arch9wavefront6targetE1EEEvSF_
                                        ; -- End function
	.section	.AMDGPU.csdata,"",@progbits
; Kernel info:
; codeLenInByte = 0
; NumSgprs: 4
; NumVgprs: 0
; NumAgprs: 0
; TotalNumVgprs: 0
; ScratchSize: 0
; MemoryBound: 0
; FloatMode: 240
; IeeeMode: 1
; LDSByteSize: 0 bytes/workgroup (compile time only)
; SGPRBlocks: 0
; VGPRBlocks: 0
; NumSGPRsForWavesPerEU: 4
; NumVGPRsForWavesPerEU: 1
; AccumOffset: 4
; Occupancy: 8
; WaveLimiterHint : 0
; COMPUTE_PGM_RSRC2:SCRATCH_EN: 0
; COMPUTE_PGM_RSRC2:USER_SGPR: 6
; COMPUTE_PGM_RSRC2:TRAP_HANDLER: 0
; COMPUTE_PGM_RSRC2:TGID_X_EN: 1
; COMPUTE_PGM_RSRC2:TGID_Y_EN: 0
; COMPUTE_PGM_RSRC2:TGID_Z_EN: 0
; COMPUTE_PGM_RSRC2:TIDIG_COMP_CNT: 0
; COMPUTE_PGM_RSRC3_GFX90A:ACCUM_OFFSET: 0
; COMPUTE_PGM_RSRC3_GFX90A:TG_SPLIT: 0
	.section	.text._ZN7rocprim17ROCPRIM_400000_NS6detail17trampoline_kernelINS0_14default_configENS1_38merge_sort_block_merge_config_selectorIaNS0_10empty_typeEEEZZNS1_27merge_sort_block_merge_implIS3_PaPS5_jNS1_19radix_merge_compareILb1ELb1EaNS0_19identity_decomposerEEEEE10hipError_tT0_T1_T2_jT3_P12ihipStream_tbPNSt15iterator_traitsISE_E10value_typeEPNSK_ISF_E10value_typeEPSG_NS1_7vsmem_tEENKUlT_SE_SF_SG_E_clIS8_S8_S9_S9_EESD_ST_SE_SF_SG_EUlST_E_NS1_11comp_targetILNS1_3genE10ELNS1_11target_archE1201ELNS1_3gpuE5ELNS1_3repE0EEENS1_48merge_mergepath_partition_config_static_selectorELNS0_4arch9wavefront6targetE1EEEvSF_,"axG",@progbits,_ZN7rocprim17ROCPRIM_400000_NS6detail17trampoline_kernelINS0_14default_configENS1_38merge_sort_block_merge_config_selectorIaNS0_10empty_typeEEEZZNS1_27merge_sort_block_merge_implIS3_PaPS5_jNS1_19radix_merge_compareILb1ELb1EaNS0_19identity_decomposerEEEEE10hipError_tT0_T1_T2_jT3_P12ihipStream_tbPNSt15iterator_traitsISE_E10value_typeEPNSK_ISF_E10value_typeEPSG_NS1_7vsmem_tEENKUlT_SE_SF_SG_E_clIS8_S8_S9_S9_EESD_ST_SE_SF_SG_EUlST_E_NS1_11comp_targetILNS1_3genE10ELNS1_11target_archE1201ELNS1_3gpuE5ELNS1_3repE0EEENS1_48merge_mergepath_partition_config_static_selectorELNS0_4arch9wavefront6targetE1EEEvSF_,comdat
	.protected	_ZN7rocprim17ROCPRIM_400000_NS6detail17trampoline_kernelINS0_14default_configENS1_38merge_sort_block_merge_config_selectorIaNS0_10empty_typeEEEZZNS1_27merge_sort_block_merge_implIS3_PaPS5_jNS1_19radix_merge_compareILb1ELb1EaNS0_19identity_decomposerEEEEE10hipError_tT0_T1_T2_jT3_P12ihipStream_tbPNSt15iterator_traitsISE_E10value_typeEPNSK_ISF_E10value_typeEPSG_NS1_7vsmem_tEENKUlT_SE_SF_SG_E_clIS8_S8_S9_S9_EESD_ST_SE_SF_SG_EUlST_E_NS1_11comp_targetILNS1_3genE10ELNS1_11target_archE1201ELNS1_3gpuE5ELNS1_3repE0EEENS1_48merge_mergepath_partition_config_static_selectorELNS0_4arch9wavefront6targetE1EEEvSF_ ; -- Begin function _ZN7rocprim17ROCPRIM_400000_NS6detail17trampoline_kernelINS0_14default_configENS1_38merge_sort_block_merge_config_selectorIaNS0_10empty_typeEEEZZNS1_27merge_sort_block_merge_implIS3_PaPS5_jNS1_19radix_merge_compareILb1ELb1EaNS0_19identity_decomposerEEEEE10hipError_tT0_T1_T2_jT3_P12ihipStream_tbPNSt15iterator_traitsISE_E10value_typeEPNSK_ISF_E10value_typeEPSG_NS1_7vsmem_tEENKUlT_SE_SF_SG_E_clIS8_S8_S9_S9_EESD_ST_SE_SF_SG_EUlST_E_NS1_11comp_targetILNS1_3genE10ELNS1_11target_archE1201ELNS1_3gpuE5ELNS1_3repE0EEENS1_48merge_mergepath_partition_config_static_selectorELNS0_4arch9wavefront6targetE1EEEvSF_
	.globl	_ZN7rocprim17ROCPRIM_400000_NS6detail17trampoline_kernelINS0_14default_configENS1_38merge_sort_block_merge_config_selectorIaNS0_10empty_typeEEEZZNS1_27merge_sort_block_merge_implIS3_PaPS5_jNS1_19radix_merge_compareILb1ELb1EaNS0_19identity_decomposerEEEEE10hipError_tT0_T1_T2_jT3_P12ihipStream_tbPNSt15iterator_traitsISE_E10value_typeEPNSK_ISF_E10value_typeEPSG_NS1_7vsmem_tEENKUlT_SE_SF_SG_E_clIS8_S8_S9_S9_EESD_ST_SE_SF_SG_EUlST_E_NS1_11comp_targetILNS1_3genE10ELNS1_11target_archE1201ELNS1_3gpuE5ELNS1_3repE0EEENS1_48merge_mergepath_partition_config_static_selectorELNS0_4arch9wavefront6targetE1EEEvSF_
	.p2align	8
	.type	_ZN7rocprim17ROCPRIM_400000_NS6detail17trampoline_kernelINS0_14default_configENS1_38merge_sort_block_merge_config_selectorIaNS0_10empty_typeEEEZZNS1_27merge_sort_block_merge_implIS3_PaPS5_jNS1_19radix_merge_compareILb1ELb1EaNS0_19identity_decomposerEEEEE10hipError_tT0_T1_T2_jT3_P12ihipStream_tbPNSt15iterator_traitsISE_E10value_typeEPNSK_ISF_E10value_typeEPSG_NS1_7vsmem_tEENKUlT_SE_SF_SG_E_clIS8_S8_S9_S9_EESD_ST_SE_SF_SG_EUlST_E_NS1_11comp_targetILNS1_3genE10ELNS1_11target_archE1201ELNS1_3gpuE5ELNS1_3repE0EEENS1_48merge_mergepath_partition_config_static_selectorELNS0_4arch9wavefront6targetE1EEEvSF_,@function
_ZN7rocprim17ROCPRIM_400000_NS6detail17trampoline_kernelINS0_14default_configENS1_38merge_sort_block_merge_config_selectorIaNS0_10empty_typeEEEZZNS1_27merge_sort_block_merge_implIS3_PaPS5_jNS1_19radix_merge_compareILb1ELb1EaNS0_19identity_decomposerEEEEE10hipError_tT0_T1_T2_jT3_P12ihipStream_tbPNSt15iterator_traitsISE_E10value_typeEPNSK_ISF_E10value_typeEPSG_NS1_7vsmem_tEENKUlT_SE_SF_SG_E_clIS8_S8_S9_S9_EESD_ST_SE_SF_SG_EUlST_E_NS1_11comp_targetILNS1_3genE10ELNS1_11target_archE1201ELNS1_3gpuE5ELNS1_3repE0EEENS1_48merge_mergepath_partition_config_static_selectorELNS0_4arch9wavefront6targetE1EEEvSF_: ; @_ZN7rocprim17ROCPRIM_400000_NS6detail17trampoline_kernelINS0_14default_configENS1_38merge_sort_block_merge_config_selectorIaNS0_10empty_typeEEEZZNS1_27merge_sort_block_merge_implIS3_PaPS5_jNS1_19radix_merge_compareILb1ELb1EaNS0_19identity_decomposerEEEEE10hipError_tT0_T1_T2_jT3_P12ihipStream_tbPNSt15iterator_traitsISE_E10value_typeEPNSK_ISF_E10value_typeEPSG_NS1_7vsmem_tEENKUlT_SE_SF_SG_E_clIS8_S8_S9_S9_EESD_ST_SE_SF_SG_EUlST_E_NS1_11comp_targetILNS1_3genE10ELNS1_11target_archE1201ELNS1_3gpuE5ELNS1_3repE0EEENS1_48merge_mergepath_partition_config_static_selectorELNS0_4arch9wavefront6targetE1EEEvSF_
; %bb.0:
	.section	.rodata,"a",@progbits
	.p2align	6, 0x0
	.amdhsa_kernel _ZN7rocprim17ROCPRIM_400000_NS6detail17trampoline_kernelINS0_14default_configENS1_38merge_sort_block_merge_config_selectorIaNS0_10empty_typeEEEZZNS1_27merge_sort_block_merge_implIS3_PaPS5_jNS1_19radix_merge_compareILb1ELb1EaNS0_19identity_decomposerEEEEE10hipError_tT0_T1_T2_jT3_P12ihipStream_tbPNSt15iterator_traitsISE_E10value_typeEPNSK_ISF_E10value_typeEPSG_NS1_7vsmem_tEENKUlT_SE_SF_SG_E_clIS8_S8_S9_S9_EESD_ST_SE_SF_SG_EUlST_E_NS1_11comp_targetILNS1_3genE10ELNS1_11target_archE1201ELNS1_3gpuE5ELNS1_3repE0EEENS1_48merge_mergepath_partition_config_static_selectorELNS0_4arch9wavefront6targetE1EEEvSF_
		.amdhsa_group_segment_fixed_size 0
		.amdhsa_private_segment_fixed_size 0
		.amdhsa_kernarg_size 40
		.amdhsa_user_sgpr_count 6
		.amdhsa_user_sgpr_private_segment_buffer 1
		.amdhsa_user_sgpr_dispatch_ptr 0
		.amdhsa_user_sgpr_queue_ptr 0
		.amdhsa_user_sgpr_kernarg_segment_ptr 1
		.amdhsa_user_sgpr_dispatch_id 0
		.amdhsa_user_sgpr_flat_scratch_init 0
		.amdhsa_user_sgpr_kernarg_preload_length 0
		.amdhsa_user_sgpr_kernarg_preload_offset 0
		.amdhsa_user_sgpr_private_segment_size 0
		.amdhsa_uses_dynamic_stack 0
		.amdhsa_system_sgpr_private_segment_wavefront_offset 0
		.amdhsa_system_sgpr_workgroup_id_x 1
		.amdhsa_system_sgpr_workgroup_id_y 0
		.amdhsa_system_sgpr_workgroup_id_z 0
		.amdhsa_system_sgpr_workgroup_info 0
		.amdhsa_system_vgpr_workitem_id 0
		.amdhsa_next_free_vgpr 1
		.amdhsa_next_free_sgpr 0
		.amdhsa_accum_offset 4
		.amdhsa_reserve_vcc 0
		.amdhsa_reserve_flat_scratch 0
		.amdhsa_float_round_mode_32 0
		.amdhsa_float_round_mode_16_64 0
		.amdhsa_float_denorm_mode_32 3
		.amdhsa_float_denorm_mode_16_64 3
		.amdhsa_dx10_clamp 1
		.amdhsa_ieee_mode 1
		.amdhsa_fp16_overflow 0
		.amdhsa_tg_split 0
		.amdhsa_exception_fp_ieee_invalid_op 0
		.amdhsa_exception_fp_denorm_src 0
		.amdhsa_exception_fp_ieee_div_zero 0
		.amdhsa_exception_fp_ieee_overflow 0
		.amdhsa_exception_fp_ieee_underflow 0
		.amdhsa_exception_fp_ieee_inexact 0
		.amdhsa_exception_int_div_zero 0
	.end_amdhsa_kernel
	.section	.text._ZN7rocprim17ROCPRIM_400000_NS6detail17trampoline_kernelINS0_14default_configENS1_38merge_sort_block_merge_config_selectorIaNS0_10empty_typeEEEZZNS1_27merge_sort_block_merge_implIS3_PaPS5_jNS1_19radix_merge_compareILb1ELb1EaNS0_19identity_decomposerEEEEE10hipError_tT0_T1_T2_jT3_P12ihipStream_tbPNSt15iterator_traitsISE_E10value_typeEPNSK_ISF_E10value_typeEPSG_NS1_7vsmem_tEENKUlT_SE_SF_SG_E_clIS8_S8_S9_S9_EESD_ST_SE_SF_SG_EUlST_E_NS1_11comp_targetILNS1_3genE10ELNS1_11target_archE1201ELNS1_3gpuE5ELNS1_3repE0EEENS1_48merge_mergepath_partition_config_static_selectorELNS0_4arch9wavefront6targetE1EEEvSF_,"axG",@progbits,_ZN7rocprim17ROCPRIM_400000_NS6detail17trampoline_kernelINS0_14default_configENS1_38merge_sort_block_merge_config_selectorIaNS0_10empty_typeEEEZZNS1_27merge_sort_block_merge_implIS3_PaPS5_jNS1_19radix_merge_compareILb1ELb1EaNS0_19identity_decomposerEEEEE10hipError_tT0_T1_T2_jT3_P12ihipStream_tbPNSt15iterator_traitsISE_E10value_typeEPNSK_ISF_E10value_typeEPSG_NS1_7vsmem_tEENKUlT_SE_SF_SG_E_clIS8_S8_S9_S9_EESD_ST_SE_SF_SG_EUlST_E_NS1_11comp_targetILNS1_3genE10ELNS1_11target_archE1201ELNS1_3gpuE5ELNS1_3repE0EEENS1_48merge_mergepath_partition_config_static_selectorELNS0_4arch9wavefront6targetE1EEEvSF_,comdat
.Lfunc_end1599:
	.size	_ZN7rocprim17ROCPRIM_400000_NS6detail17trampoline_kernelINS0_14default_configENS1_38merge_sort_block_merge_config_selectorIaNS0_10empty_typeEEEZZNS1_27merge_sort_block_merge_implIS3_PaPS5_jNS1_19radix_merge_compareILb1ELb1EaNS0_19identity_decomposerEEEEE10hipError_tT0_T1_T2_jT3_P12ihipStream_tbPNSt15iterator_traitsISE_E10value_typeEPNSK_ISF_E10value_typeEPSG_NS1_7vsmem_tEENKUlT_SE_SF_SG_E_clIS8_S8_S9_S9_EESD_ST_SE_SF_SG_EUlST_E_NS1_11comp_targetILNS1_3genE10ELNS1_11target_archE1201ELNS1_3gpuE5ELNS1_3repE0EEENS1_48merge_mergepath_partition_config_static_selectorELNS0_4arch9wavefront6targetE1EEEvSF_, .Lfunc_end1599-_ZN7rocprim17ROCPRIM_400000_NS6detail17trampoline_kernelINS0_14default_configENS1_38merge_sort_block_merge_config_selectorIaNS0_10empty_typeEEEZZNS1_27merge_sort_block_merge_implIS3_PaPS5_jNS1_19radix_merge_compareILb1ELb1EaNS0_19identity_decomposerEEEEE10hipError_tT0_T1_T2_jT3_P12ihipStream_tbPNSt15iterator_traitsISE_E10value_typeEPNSK_ISF_E10value_typeEPSG_NS1_7vsmem_tEENKUlT_SE_SF_SG_E_clIS8_S8_S9_S9_EESD_ST_SE_SF_SG_EUlST_E_NS1_11comp_targetILNS1_3genE10ELNS1_11target_archE1201ELNS1_3gpuE5ELNS1_3repE0EEENS1_48merge_mergepath_partition_config_static_selectorELNS0_4arch9wavefront6targetE1EEEvSF_
                                        ; -- End function
	.section	.AMDGPU.csdata,"",@progbits
; Kernel info:
; codeLenInByte = 0
; NumSgprs: 4
; NumVgprs: 0
; NumAgprs: 0
; TotalNumVgprs: 0
; ScratchSize: 0
; MemoryBound: 0
; FloatMode: 240
; IeeeMode: 1
; LDSByteSize: 0 bytes/workgroup (compile time only)
; SGPRBlocks: 0
; VGPRBlocks: 0
; NumSGPRsForWavesPerEU: 4
; NumVGPRsForWavesPerEU: 1
; AccumOffset: 4
; Occupancy: 8
; WaveLimiterHint : 0
; COMPUTE_PGM_RSRC2:SCRATCH_EN: 0
; COMPUTE_PGM_RSRC2:USER_SGPR: 6
; COMPUTE_PGM_RSRC2:TRAP_HANDLER: 0
; COMPUTE_PGM_RSRC2:TGID_X_EN: 1
; COMPUTE_PGM_RSRC2:TGID_Y_EN: 0
; COMPUTE_PGM_RSRC2:TGID_Z_EN: 0
; COMPUTE_PGM_RSRC2:TIDIG_COMP_CNT: 0
; COMPUTE_PGM_RSRC3_GFX90A:ACCUM_OFFSET: 0
; COMPUTE_PGM_RSRC3_GFX90A:TG_SPLIT: 0
	.section	.text._ZN7rocprim17ROCPRIM_400000_NS6detail17trampoline_kernelINS0_14default_configENS1_38merge_sort_block_merge_config_selectorIaNS0_10empty_typeEEEZZNS1_27merge_sort_block_merge_implIS3_PaPS5_jNS1_19radix_merge_compareILb1ELb1EaNS0_19identity_decomposerEEEEE10hipError_tT0_T1_T2_jT3_P12ihipStream_tbPNSt15iterator_traitsISE_E10value_typeEPNSK_ISF_E10value_typeEPSG_NS1_7vsmem_tEENKUlT_SE_SF_SG_E_clIS8_S8_S9_S9_EESD_ST_SE_SF_SG_EUlST_E_NS1_11comp_targetILNS1_3genE5ELNS1_11target_archE942ELNS1_3gpuE9ELNS1_3repE0EEENS1_48merge_mergepath_partition_config_static_selectorELNS0_4arch9wavefront6targetE1EEEvSF_,"axG",@progbits,_ZN7rocprim17ROCPRIM_400000_NS6detail17trampoline_kernelINS0_14default_configENS1_38merge_sort_block_merge_config_selectorIaNS0_10empty_typeEEEZZNS1_27merge_sort_block_merge_implIS3_PaPS5_jNS1_19radix_merge_compareILb1ELb1EaNS0_19identity_decomposerEEEEE10hipError_tT0_T1_T2_jT3_P12ihipStream_tbPNSt15iterator_traitsISE_E10value_typeEPNSK_ISF_E10value_typeEPSG_NS1_7vsmem_tEENKUlT_SE_SF_SG_E_clIS8_S8_S9_S9_EESD_ST_SE_SF_SG_EUlST_E_NS1_11comp_targetILNS1_3genE5ELNS1_11target_archE942ELNS1_3gpuE9ELNS1_3repE0EEENS1_48merge_mergepath_partition_config_static_selectorELNS0_4arch9wavefront6targetE1EEEvSF_,comdat
	.protected	_ZN7rocprim17ROCPRIM_400000_NS6detail17trampoline_kernelINS0_14default_configENS1_38merge_sort_block_merge_config_selectorIaNS0_10empty_typeEEEZZNS1_27merge_sort_block_merge_implIS3_PaPS5_jNS1_19radix_merge_compareILb1ELb1EaNS0_19identity_decomposerEEEEE10hipError_tT0_T1_T2_jT3_P12ihipStream_tbPNSt15iterator_traitsISE_E10value_typeEPNSK_ISF_E10value_typeEPSG_NS1_7vsmem_tEENKUlT_SE_SF_SG_E_clIS8_S8_S9_S9_EESD_ST_SE_SF_SG_EUlST_E_NS1_11comp_targetILNS1_3genE5ELNS1_11target_archE942ELNS1_3gpuE9ELNS1_3repE0EEENS1_48merge_mergepath_partition_config_static_selectorELNS0_4arch9wavefront6targetE1EEEvSF_ ; -- Begin function _ZN7rocprim17ROCPRIM_400000_NS6detail17trampoline_kernelINS0_14default_configENS1_38merge_sort_block_merge_config_selectorIaNS0_10empty_typeEEEZZNS1_27merge_sort_block_merge_implIS3_PaPS5_jNS1_19radix_merge_compareILb1ELb1EaNS0_19identity_decomposerEEEEE10hipError_tT0_T1_T2_jT3_P12ihipStream_tbPNSt15iterator_traitsISE_E10value_typeEPNSK_ISF_E10value_typeEPSG_NS1_7vsmem_tEENKUlT_SE_SF_SG_E_clIS8_S8_S9_S9_EESD_ST_SE_SF_SG_EUlST_E_NS1_11comp_targetILNS1_3genE5ELNS1_11target_archE942ELNS1_3gpuE9ELNS1_3repE0EEENS1_48merge_mergepath_partition_config_static_selectorELNS0_4arch9wavefront6targetE1EEEvSF_
	.globl	_ZN7rocprim17ROCPRIM_400000_NS6detail17trampoline_kernelINS0_14default_configENS1_38merge_sort_block_merge_config_selectorIaNS0_10empty_typeEEEZZNS1_27merge_sort_block_merge_implIS3_PaPS5_jNS1_19radix_merge_compareILb1ELb1EaNS0_19identity_decomposerEEEEE10hipError_tT0_T1_T2_jT3_P12ihipStream_tbPNSt15iterator_traitsISE_E10value_typeEPNSK_ISF_E10value_typeEPSG_NS1_7vsmem_tEENKUlT_SE_SF_SG_E_clIS8_S8_S9_S9_EESD_ST_SE_SF_SG_EUlST_E_NS1_11comp_targetILNS1_3genE5ELNS1_11target_archE942ELNS1_3gpuE9ELNS1_3repE0EEENS1_48merge_mergepath_partition_config_static_selectorELNS0_4arch9wavefront6targetE1EEEvSF_
	.p2align	8
	.type	_ZN7rocprim17ROCPRIM_400000_NS6detail17trampoline_kernelINS0_14default_configENS1_38merge_sort_block_merge_config_selectorIaNS0_10empty_typeEEEZZNS1_27merge_sort_block_merge_implIS3_PaPS5_jNS1_19radix_merge_compareILb1ELb1EaNS0_19identity_decomposerEEEEE10hipError_tT0_T1_T2_jT3_P12ihipStream_tbPNSt15iterator_traitsISE_E10value_typeEPNSK_ISF_E10value_typeEPSG_NS1_7vsmem_tEENKUlT_SE_SF_SG_E_clIS8_S8_S9_S9_EESD_ST_SE_SF_SG_EUlST_E_NS1_11comp_targetILNS1_3genE5ELNS1_11target_archE942ELNS1_3gpuE9ELNS1_3repE0EEENS1_48merge_mergepath_partition_config_static_selectorELNS0_4arch9wavefront6targetE1EEEvSF_,@function
_ZN7rocprim17ROCPRIM_400000_NS6detail17trampoline_kernelINS0_14default_configENS1_38merge_sort_block_merge_config_selectorIaNS0_10empty_typeEEEZZNS1_27merge_sort_block_merge_implIS3_PaPS5_jNS1_19radix_merge_compareILb1ELb1EaNS0_19identity_decomposerEEEEE10hipError_tT0_T1_T2_jT3_P12ihipStream_tbPNSt15iterator_traitsISE_E10value_typeEPNSK_ISF_E10value_typeEPSG_NS1_7vsmem_tEENKUlT_SE_SF_SG_E_clIS8_S8_S9_S9_EESD_ST_SE_SF_SG_EUlST_E_NS1_11comp_targetILNS1_3genE5ELNS1_11target_archE942ELNS1_3gpuE9ELNS1_3repE0EEENS1_48merge_mergepath_partition_config_static_selectorELNS0_4arch9wavefront6targetE1EEEvSF_: ; @_ZN7rocprim17ROCPRIM_400000_NS6detail17trampoline_kernelINS0_14default_configENS1_38merge_sort_block_merge_config_selectorIaNS0_10empty_typeEEEZZNS1_27merge_sort_block_merge_implIS3_PaPS5_jNS1_19radix_merge_compareILb1ELb1EaNS0_19identity_decomposerEEEEE10hipError_tT0_T1_T2_jT3_P12ihipStream_tbPNSt15iterator_traitsISE_E10value_typeEPNSK_ISF_E10value_typeEPSG_NS1_7vsmem_tEENKUlT_SE_SF_SG_E_clIS8_S8_S9_S9_EESD_ST_SE_SF_SG_EUlST_E_NS1_11comp_targetILNS1_3genE5ELNS1_11target_archE942ELNS1_3gpuE9ELNS1_3repE0EEENS1_48merge_mergepath_partition_config_static_selectorELNS0_4arch9wavefront6targetE1EEEvSF_
; %bb.0:
	.section	.rodata,"a",@progbits
	.p2align	6, 0x0
	.amdhsa_kernel _ZN7rocprim17ROCPRIM_400000_NS6detail17trampoline_kernelINS0_14default_configENS1_38merge_sort_block_merge_config_selectorIaNS0_10empty_typeEEEZZNS1_27merge_sort_block_merge_implIS3_PaPS5_jNS1_19radix_merge_compareILb1ELb1EaNS0_19identity_decomposerEEEEE10hipError_tT0_T1_T2_jT3_P12ihipStream_tbPNSt15iterator_traitsISE_E10value_typeEPNSK_ISF_E10value_typeEPSG_NS1_7vsmem_tEENKUlT_SE_SF_SG_E_clIS8_S8_S9_S9_EESD_ST_SE_SF_SG_EUlST_E_NS1_11comp_targetILNS1_3genE5ELNS1_11target_archE942ELNS1_3gpuE9ELNS1_3repE0EEENS1_48merge_mergepath_partition_config_static_selectorELNS0_4arch9wavefront6targetE1EEEvSF_
		.amdhsa_group_segment_fixed_size 0
		.amdhsa_private_segment_fixed_size 0
		.amdhsa_kernarg_size 40
		.amdhsa_user_sgpr_count 6
		.amdhsa_user_sgpr_private_segment_buffer 1
		.amdhsa_user_sgpr_dispatch_ptr 0
		.amdhsa_user_sgpr_queue_ptr 0
		.amdhsa_user_sgpr_kernarg_segment_ptr 1
		.amdhsa_user_sgpr_dispatch_id 0
		.amdhsa_user_sgpr_flat_scratch_init 0
		.amdhsa_user_sgpr_kernarg_preload_length 0
		.amdhsa_user_sgpr_kernarg_preload_offset 0
		.amdhsa_user_sgpr_private_segment_size 0
		.amdhsa_uses_dynamic_stack 0
		.amdhsa_system_sgpr_private_segment_wavefront_offset 0
		.amdhsa_system_sgpr_workgroup_id_x 1
		.amdhsa_system_sgpr_workgroup_id_y 0
		.amdhsa_system_sgpr_workgroup_id_z 0
		.amdhsa_system_sgpr_workgroup_info 0
		.amdhsa_system_vgpr_workitem_id 0
		.amdhsa_next_free_vgpr 1
		.amdhsa_next_free_sgpr 0
		.amdhsa_accum_offset 4
		.amdhsa_reserve_vcc 0
		.amdhsa_reserve_flat_scratch 0
		.amdhsa_float_round_mode_32 0
		.amdhsa_float_round_mode_16_64 0
		.amdhsa_float_denorm_mode_32 3
		.amdhsa_float_denorm_mode_16_64 3
		.amdhsa_dx10_clamp 1
		.amdhsa_ieee_mode 1
		.amdhsa_fp16_overflow 0
		.amdhsa_tg_split 0
		.amdhsa_exception_fp_ieee_invalid_op 0
		.amdhsa_exception_fp_denorm_src 0
		.amdhsa_exception_fp_ieee_div_zero 0
		.amdhsa_exception_fp_ieee_overflow 0
		.amdhsa_exception_fp_ieee_underflow 0
		.amdhsa_exception_fp_ieee_inexact 0
		.amdhsa_exception_int_div_zero 0
	.end_amdhsa_kernel
	.section	.text._ZN7rocprim17ROCPRIM_400000_NS6detail17trampoline_kernelINS0_14default_configENS1_38merge_sort_block_merge_config_selectorIaNS0_10empty_typeEEEZZNS1_27merge_sort_block_merge_implIS3_PaPS5_jNS1_19radix_merge_compareILb1ELb1EaNS0_19identity_decomposerEEEEE10hipError_tT0_T1_T2_jT3_P12ihipStream_tbPNSt15iterator_traitsISE_E10value_typeEPNSK_ISF_E10value_typeEPSG_NS1_7vsmem_tEENKUlT_SE_SF_SG_E_clIS8_S8_S9_S9_EESD_ST_SE_SF_SG_EUlST_E_NS1_11comp_targetILNS1_3genE5ELNS1_11target_archE942ELNS1_3gpuE9ELNS1_3repE0EEENS1_48merge_mergepath_partition_config_static_selectorELNS0_4arch9wavefront6targetE1EEEvSF_,"axG",@progbits,_ZN7rocprim17ROCPRIM_400000_NS6detail17trampoline_kernelINS0_14default_configENS1_38merge_sort_block_merge_config_selectorIaNS0_10empty_typeEEEZZNS1_27merge_sort_block_merge_implIS3_PaPS5_jNS1_19radix_merge_compareILb1ELb1EaNS0_19identity_decomposerEEEEE10hipError_tT0_T1_T2_jT3_P12ihipStream_tbPNSt15iterator_traitsISE_E10value_typeEPNSK_ISF_E10value_typeEPSG_NS1_7vsmem_tEENKUlT_SE_SF_SG_E_clIS8_S8_S9_S9_EESD_ST_SE_SF_SG_EUlST_E_NS1_11comp_targetILNS1_3genE5ELNS1_11target_archE942ELNS1_3gpuE9ELNS1_3repE0EEENS1_48merge_mergepath_partition_config_static_selectorELNS0_4arch9wavefront6targetE1EEEvSF_,comdat
.Lfunc_end1600:
	.size	_ZN7rocprim17ROCPRIM_400000_NS6detail17trampoline_kernelINS0_14default_configENS1_38merge_sort_block_merge_config_selectorIaNS0_10empty_typeEEEZZNS1_27merge_sort_block_merge_implIS3_PaPS5_jNS1_19radix_merge_compareILb1ELb1EaNS0_19identity_decomposerEEEEE10hipError_tT0_T1_T2_jT3_P12ihipStream_tbPNSt15iterator_traitsISE_E10value_typeEPNSK_ISF_E10value_typeEPSG_NS1_7vsmem_tEENKUlT_SE_SF_SG_E_clIS8_S8_S9_S9_EESD_ST_SE_SF_SG_EUlST_E_NS1_11comp_targetILNS1_3genE5ELNS1_11target_archE942ELNS1_3gpuE9ELNS1_3repE0EEENS1_48merge_mergepath_partition_config_static_selectorELNS0_4arch9wavefront6targetE1EEEvSF_, .Lfunc_end1600-_ZN7rocprim17ROCPRIM_400000_NS6detail17trampoline_kernelINS0_14default_configENS1_38merge_sort_block_merge_config_selectorIaNS0_10empty_typeEEEZZNS1_27merge_sort_block_merge_implIS3_PaPS5_jNS1_19radix_merge_compareILb1ELb1EaNS0_19identity_decomposerEEEEE10hipError_tT0_T1_T2_jT3_P12ihipStream_tbPNSt15iterator_traitsISE_E10value_typeEPNSK_ISF_E10value_typeEPSG_NS1_7vsmem_tEENKUlT_SE_SF_SG_E_clIS8_S8_S9_S9_EESD_ST_SE_SF_SG_EUlST_E_NS1_11comp_targetILNS1_3genE5ELNS1_11target_archE942ELNS1_3gpuE9ELNS1_3repE0EEENS1_48merge_mergepath_partition_config_static_selectorELNS0_4arch9wavefront6targetE1EEEvSF_
                                        ; -- End function
	.section	.AMDGPU.csdata,"",@progbits
; Kernel info:
; codeLenInByte = 0
; NumSgprs: 4
; NumVgprs: 0
; NumAgprs: 0
; TotalNumVgprs: 0
; ScratchSize: 0
; MemoryBound: 0
; FloatMode: 240
; IeeeMode: 1
; LDSByteSize: 0 bytes/workgroup (compile time only)
; SGPRBlocks: 0
; VGPRBlocks: 0
; NumSGPRsForWavesPerEU: 4
; NumVGPRsForWavesPerEU: 1
; AccumOffset: 4
; Occupancy: 8
; WaveLimiterHint : 0
; COMPUTE_PGM_RSRC2:SCRATCH_EN: 0
; COMPUTE_PGM_RSRC2:USER_SGPR: 6
; COMPUTE_PGM_RSRC2:TRAP_HANDLER: 0
; COMPUTE_PGM_RSRC2:TGID_X_EN: 1
; COMPUTE_PGM_RSRC2:TGID_Y_EN: 0
; COMPUTE_PGM_RSRC2:TGID_Z_EN: 0
; COMPUTE_PGM_RSRC2:TIDIG_COMP_CNT: 0
; COMPUTE_PGM_RSRC3_GFX90A:ACCUM_OFFSET: 0
; COMPUTE_PGM_RSRC3_GFX90A:TG_SPLIT: 0
	.section	.text._ZN7rocprim17ROCPRIM_400000_NS6detail17trampoline_kernelINS0_14default_configENS1_38merge_sort_block_merge_config_selectorIaNS0_10empty_typeEEEZZNS1_27merge_sort_block_merge_implIS3_PaPS5_jNS1_19radix_merge_compareILb1ELb1EaNS0_19identity_decomposerEEEEE10hipError_tT0_T1_T2_jT3_P12ihipStream_tbPNSt15iterator_traitsISE_E10value_typeEPNSK_ISF_E10value_typeEPSG_NS1_7vsmem_tEENKUlT_SE_SF_SG_E_clIS8_S8_S9_S9_EESD_ST_SE_SF_SG_EUlST_E_NS1_11comp_targetILNS1_3genE4ELNS1_11target_archE910ELNS1_3gpuE8ELNS1_3repE0EEENS1_48merge_mergepath_partition_config_static_selectorELNS0_4arch9wavefront6targetE1EEEvSF_,"axG",@progbits,_ZN7rocprim17ROCPRIM_400000_NS6detail17trampoline_kernelINS0_14default_configENS1_38merge_sort_block_merge_config_selectorIaNS0_10empty_typeEEEZZNS1_27merge_sort_block_merge_implIS3_PaPS5_jNS1_19radix_merge_compareILb1ELb1EaNS0_19identity_decomposerEEEEE10hipError_tT0_T1_T2_jT3_P12ihipStream_tbPNSt15iterator_traitsISE_E10value_typeEPNSK_ISF_E10value_typeEPSG_NS1_7vsmem_tEENKUlT_SE_SF_SG_E_clIS8_S8_S9_S9_EESD_ST_SE_SF_SG_EUlST_E_NS1_11comp_targetILNS1_3genE4ELNS1_11target_archE910ELNS1_3gpuE8ELNS1_3repE0EEENS1_48merge_mergepath_partition_config_static_selectorELNS0_4arch9wavefront6targetE1EEEvSF_,comdat
	.protected	_ZN7rocprim17ROCPRIM_400000_NS6detail17trampoline_kernelINS0_14default_configENS1_38merge_sort_block_merge_config_selectorIaNS0_10empty_typeEEEZZNS1_27merge_sort_block_merge_implIS3_PaPS5_jNS1_19radix_merge_compareILb1ELb1EaNS0_19identity_decomposerEEEEE10hipError_tT0_T1_T2_jT3_P12ihipStream_tbPNSt15iterator_traitsISE_E10value_typeEPNSK_ISF_E10value_typeEPSG_NS1_7vsmem_tEENKUlT_SE_SF_SG_E_clIS8_S8_S9_S9_EESD_ST_SE_SF_SG_EUlST_E_NS1_11comp_targetILNS1_3genE4ELNS1_11target_archE910ELNS1_3gpuE8ELNS1_3repE0EEENS1_48merge_mergepath_partition_config_static_selectorELNS0_4arch9wavefront6targetE1EEEvSF_ ; -- Begin function _ZN7rocprim17ROCPRIM_400000_NS6detail17trampoline_kernelINS0_14default_configENS1_38merge_sort_block_merge_config_selectorIaNS0_10empty_typeEEEZZNS1_27merge_sort_block_merge_implIS3_PaPS5_jNS1_19radix_merge_compareILb1ELb1EaNS0_19identity_decomposerEEEEE10hipError_tT0_T1_T2_jT3_P12ihipStream_tbPNSt15iterator_traitsISE_E10value_typeEPNSK_ISF_E10value_typeEPSG_NS1_7vsmem_tEENKUlT_SE_SF_SG_E_clIS8_S8_S9_S9_EESD_ST_SE_SF_SG_EUlST_E_NS1_11comp_targetILNS1_3genE4ELNS1_11target_archE910ELNS1_3gpuE8ELNS1_3repE0EEENS1_48merge_mergepath_partition_config_static_selectorELNS0_4arch9wavefront6targetE1EEEvSF_
	.globl	_ZN7rocprim17ROCPRIM_400000_NS6detail17trampoline_kernelINS0_14default_configENS1_38merge_sort_block_merge_config_selectorIaNS0_10empty_typeEEEZZNS1_27merge_sort_block_merge_implIS3_PaPS5_jNS1_19radix_merge_compareILb1ELb1EaNS0_19identity_decomposerEEEEE10hipError_tT0_T1_T2_jT3_P12ihipStream_tbPNSt15iterator_traitsISE_E10value_typeEPNSK_ISF_E10value_typeEPSG_NS1_7vsmem_tEENKUlT_SE_SF_SG_E_clIS8_S8_S9_S9_EESD_ST_SE_SF_SG_EUlST_E_NS1_11comp_targetILNS1_3genE4ELNS1_11target_archE910ELNS1_3gpuE8ELNS1_3repE0EEENS1_48merge_mergepath_partition_config_static_selectorELNS0_4arch9wavefront6targetE1EEEvSF_
	.p2align	8
	.type	_ZN7rocprim17ROCPRIM_400000_NS6detail17trampoline_kernelINS0_14default_configENS1_38merge_sort_block_merge_config_selectorIaNS0_10empty_typeEEEZZNS1_27merge_sort_block_merge_implIS3_PaPS5_jNS1_19radix_merge_compareILb1ELb1EaNS0_19identity_decomposerEEEEE10hipError_tT0_T1_T2_jT3_P12ihipStream_tbPNSt15iterator_traitsISE_E10value_typeEPNSK_ISF_E10value_typeEPSG_NS1_7vsmem_tEENKUlT_SE_SF_SG_E_clIS8_S8_S9_S9_EESD_ST_SE_SF_SG_EUlST_E_NS1_11comp_targetILNS1_3genE4ELNS1_11target_archE910ELNS1_3gpuE8ELNS1_3repE0EEENS1_48merge_mergepath_partition_config_static_selectorELNS0_4arch9wavefront6targetE1EEEvSF_,@function
_ZN7rocprim17ROCPRIM_400000_NS6detail17trampoline_kernelINS0_14default_configENS1_38merge_sort_block_merge_config_selectorIaNS0_10empty_typeEEEZZNS1_27merge_sort_block_merge_implIS3_PaPS5_jNS1_19radix_merge_compareILb1ELb1EaNS0_19identity_decomposerEEEEE10hipError_tT0_T1_T2_jT3_P12ihipStream_tbPNSt15iterator_traitsISE_E10value_typeEPNSK_ISF_E10value_typeEPSG_NS1_7vsmem_tEENKUlT_SE_SF_SG_E_clIS8_S8_S9_S9_EESD_ST_SE_SF_SG_EUlST_E_NS1_11comp_targetILNS1_3genE4ELNS1_11target_archE910ELNS1_3gpuE8ELNS1_3repE0EEENS1_48merge_mergepath_partition_config_static_selectorELNS0_4arch9wavefront6targetE1EEEvSF_: ; @_ZN7rocprim17ROCPRIM_400000_NS6detail17trampoline_kernelINS0_14default_configENS1_38merge_sort_block_merge_config_selectorIaNS0_10empty_typeEEEZZNS1_27merge_sort_block_merge_implIS3_PaPS5_jNS1_19radix_merge_compareILb1ELb1EaNS0_19identity_decomposerEEEEE10hipError_tT0_T1_T2_jT3_P12ihipStream_tbPNSt15iterator_traitsISE_E10value_typeEPNSK_ISF_E10value_typeEPSG_NS1_7vsmem_tEENKUlT_SE_SF_SG_E_clIS8_S8_S9_S9_EESD_ST_SE_SF_SG_EUlST_E_NS1_11comp_targetILNS1_3genE4ELNS1_11target_archE910ELNS1_3gpuE8ELNS1_3repE0EEENS1_48merge_mergepath_partition_config_static_selectorELNS0_4arch9wavefront6targetE1EEEvSF_
; %bb.0:
	s_load_dword s0, s[4:5], 0x0
	v_lshl_or_b32 v0, s6, 7, v0
	s_waitcnt lgkmcnt(0)
	v_cmp_gt_u32_e32 vcc, s0, v0
	s_and_saveexec_b64 s[0:1], vcc
	s_cbranch_execz .LBB1601_6
; %bb.1:
	s_load_dwordx2 s[2:3], s[4:5], 0x4
	s_load_dwordx2 s[0:1], s[4:5], 0x20
	s_waitcnt lgkmcnt(0)
	s_lshr_b32 s6, s2, 9
	s_and_b32 s6, s6, 0x7ffffe
	s_add_i32 s7, s6, -1
	s_sub_i32 s6, 0, s6
	v_and_b32_e32 v1, s6, v0
	v_lshlrev_b32_e32 v3, 10, v1
	v_min_u32_e32 v1, s3, v3
	v_add_u32_e32 v3, s2, v3
	v_min_u32_e32 v7, s3, v3
	v_add_u32_e32 v3, s2, v7
	v_and_b32_e32 v2, s7, v0
	v_min_u32_e32 v4, s3, v3
	v_sub_u32_e32 v3, v4, v1
	v_lshlrev_b32_e32 v2, 10, v2
	v_min_u32_e32 v3, v3, v2
	v_sub_u32_e32 v5, v7, v1
	v_sub_u32_e32 v2, v4, v7
	v_sub_u32_e64 v2, v3, v2 clamp
	v_min_u32_e32 v4, v3, v5
	v_cmp_lt_u32_e32 vcc, v2, v4
	s_and_saveexec_b64 s[2:3], vcc
	s_cbranch_execz .LBB1601_5
; %bb.2:
	s_load_dwordx2 s[8:9], s[4:5], 0x10
	s_load_dword s6, s[4:5], 0x18
	s_mov_b64 s[4:5], 0
	s_waitcnt lgkmcnt(0)
	v_mov_b32_e32 v8, s9
	v_add_co_u32_e32 v5, vcc, s8, v1
	v_addc_co_u32_e32 v6, vcc, 0, v8, vcc
	v_add_co_u32_e32 v7, vcc, s8, v7
	v_addc_co_u32_e32 v8, vcc, 0, v8, vcc
.LBB1601_3:                             ; =>This Inner Loop Header: Depth=1
	v_add_u32_e32 v9, v4, v2
	v_lshrrev_b32_e32 v9, 1, v9
	v_add_co_u32_e32 v10, vcc, v5, v9
	v_xad_u32 v12, v9, -1, v3
	v_addc_co_u32_e32 v11, vcc, 0, v6, vcc
	v_add_co_u32_e32 v12, vcc, v7, v12
	v_addc_co_u32_e32 v13, vcc, 0, v8, vcc
	global_load_ubyte v14, v[10:11], off
	global_load_ubyte v15, v[12:13], off
	v_add_u32_e32 v10, 1, v9
	s_waitcnt vmcnt(1)
	v_and_b32_e32 v11, s6, v14
	s_waitcnt vmcnt(0)
	v_and_b32_e32 v12, s6, v15
	v_cmp_gt_i16_sdwa vcc, sext(v12), sext(v11) src0_sel:BYTE_0 src1_sel:BYTE_0
	v_cndmask_b32_e32 v4, v4, v9, vcc
	v_cndmask_b32_e32 v2, v10, v2, vcc
	v_cmp_ge_u32_e32 vcc, v2, v4
	s_or_b64 s[4:5], vcc, s[4:5]
	s_andn2_b64 exec, exec, s[4:5]
	s_cbranch_execnz .LBB1601_3
; %bb.4:
	s_or_b64 exec, exec, s[4:5]
.LBB1601_5:
	s_or_b64 exec, exec, s[2:3]
	v_add_u32_e32 v2, v2, v1
	v_mov_b32_e32 v1, 0
	v_lshlrev_b64 v[0:1], 2, v[0:1]
	v_mov_b32_e32 v3, s1
	v_add_co_u32_e32 v0, vcc, s0, v0
	v_addc_co_u32_e32 v1, vcc, v3, v1, vcc
	global_store_dword v[0:1], v2, off
.LBB1601_6:
	s_endpgm
	.section	.rodata,"a",@progbits
	.p2align	6, 0x0
	.amdhsa_kernel _ZN7rocprim17ROCPRIM_400000_NS6detail17trampoline_kernelINS0_14default_configENS1_38merge_sort_block_merge_config_selectorIaNS0_10empty_typeEEEZZNS1_27merge_sort_block_merge_implIS3_PaPS5_jNS1_19radix_merge_compareILb1ELb1EaNS0_19identity_decomposerEEEEE10hipError_tT0_T1_T2_jT3_P12ihipStream_tbPNSt15iterator_traitsISE_E10value_typeEPNSK_ISF_E10value_typeEPSG_NS1_7vsmem_tEENKUlT_SE_SF_SG_E_clIS8_S8_S9_S9_EESD_ST_SE_SF_SG_EUlST_E_NS1_11comp_targetILNS1_3genE4ELNS1_11target_archE910ELNS1_3gpuE8ELNS1_3repE0EEENS1_48merge_mergepath_partition_config_static_selectorELNS0_4arch9wavefront6targetE1EEEvSF_
		.amdhsa_group_segment_fixed_size 0
		.amdhsa_private_segment_fixed_size 0
		.amdhsa_kernarg_size 40
		.amdhsa_user_sgpr_count 6
		.amdhsa_user_sgpr_private_segment_buffer 1
		.amdhsa_user_sgpr_dispatch_ptr 0
		.amdhsa_user_sgpr_queue_ptr 0
		.amdhsa_user_sgpr_kernarg_segment_ptr 1
		.amdhsa_user_sgpr_dispatch_id 0
		.amdhsa_user_sgpr_flat_scratch_init 0
		.amdhsa_user_sgpr_kernarg_preload_length 0
		.amdhsa_user_sgpr_kernarg_preload_offset 0
		.amdhsa_user_sgpr_private_segment_size 0
		.amdhsa_uses_dynamic_stack 0
		.amdhsa_system_sgpr_private_segment_wavefront_offset 0
		.amdhsa_system_sgpr_workgroup_id_x 1
		.amdhsa_system_sgpr_workgroup_id_y 0
		.amdhsa_system_sgpr_workgroup_id_z 0
		.amdhsa_system_sgpr_workgroup_info 0
		.amdhsa_system_vgpr_workitem_id 0
		.amdhsa_next_free_vgpr 16
		.amdhsa_next_free_sgpr 10
		.amdhsa_accum_offset 16
		.amdhsa_reserve_vcc 1
		.amdhsa_reserve_flat_scratch 0
		.amdhsa_float_round_mode_32 0
		.amdhsa_float_round_mode_16_64 0
		.amdhsa_float_denorm_mode_32 3
		.amdhsa_float_denorm_mode_16_64 3
		.amdhsa_dx10_clamp 1
		.amdhsa_ieee_mode 1
		.amdhsa_fp16_overflow 0
		.amdhsa_tg_split 0
		.amdhsa_exception_fp_ieee_invalid_op 0
		.amdhsa_exception_fp_denorm_src 0
		.amdhsa_exception_fp_ieee_div_zero 0
		.amdhsa_exception_fp_ieee_overflow 0
		.amdhsa_exception_fp_ieee_underflow 0
		.amdhsa_exception_fp_ieee_inexact 0
		.amdhsa_exception_int_div_zero 0
	.end_amdhsa_kernel
	.section	.text._ZN7rocprim17ROCPRIM_400000_NS6detail17trampoline_kernelINS0_14default_configENS1_38merge_sort_block_merge_config_selectorIaNS0_10empty_typeEEEZZNS1_27merge_sort_block_merge_implIS3_PaPS5_jNS1_19radix_merge_compareILb1ELb1EaNS0_19identity_decomposerEEEEE10hipError_tT0_T1_T2_jT3_P12ihipStream_tbPNSt15iterator_traitsISE_E10value_typeEPNSK_ISF_E10value_typeEPSG_NS1_7vsmem_tEENKUlT_SE_SF_SG_E_clIS8_S8_S9_S9_EESD_ST_SE_SF_SG_EUlST_E_NS1_11comp_targetILNS1_3genE4ELNS1_11target_archE910ELNS1_3gpuE8ELNS1_3repE0EEENS1_48merge_mergepath_partition_config_static_selectorELNS0_4arch9wavefront6targetE1EEEvSF_,"axG",@progbits,_ZN7rocprim17ROCPRIM_400000_NS6detail17trampoline_kernelINS0_14default_configENS1_38merge_sort_block_merge_config_selectorIaNS0_10empty_typeEEEZZNS1_27merge_sort_block_merge_implIS3_PaPS5_jNS1_19radix_merge_compareILb1ELb1EaNS0_19identity_decomposerEEEEE10hipError_tT0_T1_T2_jT3_P12ihipStream_tbPNSt15iterator_traitsISE_E10value_typeEPNSK_ISF_E10value_typeEPSG_NS1_7vsmem_tEENKUlT_SE_SF_SG_E_clIS8_S8_S9_S9_EESD_ST_SE_SF_SG_EUlST_E_NS1_11comp_targetILNS1_3genE4ELNS1_11target_archE910ELNS1_3gpuE8ELNS1_3repE0EEENS1_48merge_mergepath_partition_config_static_selectorELNS0_4arch9wavefront6targetE1EEEvSF_,comdat
.Lfunc_end1601:
	.size	_ZN7rocprim17ROCPRIM_400000_NS6detail17trampoline_kernelINS0_14default_configENS1_38merge_sort_block_merge_config_selectorIaNS0_10empty_typeEEEZZNS1_27merge_sort_block_merge_implIS3_PaPS5_jNS1_19radix_merge_compareILb1ELb1EaNS0_19identity_decomposerEEEEE10hipError_tT0_T1_T2_jT3_P12ihipStream_tbPNSt15iterator_traitsISE_E10value_typeEPNSK_ISF_E10value_typeEPSG_NS1_7vsmem_tEENKUlT_SE_SF_SG_E_clIS8_S8_S9_S9_EESD_ST_SE_SF_SG_EUlST_E_NS1_11comp_targetILNS1_3genE4ELNS1_11target_archE910ELNS1_3gpuE8ELNS1_3repE0EEENS1_48merge_mergepath_partition_config_static_selectorELNS0_4arch9wavefront6targetE1EEEvSF_, .Lfunc_end1601-_ZN7rocprim17ROCPRIM_400000_NS6detail17trampoline_kernelINS0_14default_configENS1_38merge_sort_block_merge_config_selectorIaNS0_10empty_typeEEEZZNS1_27merge_sort_block_merge_implIS3_PaPS5_jNS1_19radix_merge_compareILb1ELb1EaNS0_19identity_decomposerEEEEE10hipError_tT0_T1_T2_jT3_P12ihipStream_tbPNSt15iterator_traitsISE_E10value_typeEPNSK_ISF_E10value_typeEPSG_NS1_7vsmem_tEENKUlT_SE_SF_SG_E_clIS8_S8_S9_S9_EESD_ST_SE_SF_SG_EUlST_E_NS1_11comp_targetILNS1_3genE4ELNS1_11target_archE910ELNS1_3gpuE8ELNS1_3repE0EEENS1_48merge_mergepath_partition_config_static_selectorELNS0_4arch9wavefront6targetE1EEEvSF_
                                        ; -- End function
	.section	.AMDGPU.csdata,"",@progbits
; Kernel info:
; codeLenInByte = 340
; NumSgprs: 14
; NumVgprs: 16
; NumAgprs: 0
; TotalNumVgprs: 16
; ScratchSize: 0
; MemoryBound: 0
; FloatMode: 240
; IeeeMode: 1
; LDSByteSize: 0 bytes/workgroup (compile time only)
; SGPRBlocks: 1
; VGPRBlocks: 1
; NumSGPRsForWavesPerEU: 14
; NumVGPRsForWavesPerEU: 16
; AccumOffset: 16
; Occupancy: 8
; WaveLimiterHint : 0
; COMPUTE_PGM_RSRC2:SCRATCH_EN: 0
; COMPUTE_PGM_RSRC2:USER_SGPR: 6
; COMPUTE_PGM_RSRC2:TRAP_HANDLER: 0
; COMPUTE_PGM_RSRC2:TGID_X_EN: 1
; COMPUTE_PGM_RSRC2:TGID_Y_EN: 0
; COMPUTE_PGM_RSRC2:TGID_Z_EN: 0
; COMPUTE_PGM_RSRC2:TIDIG_COMP_CNT: 0
; COMPUTE_PGM_RSRC3_GFX90A:ACCUM_OFFSET: 3
; COMPUTE_PGM_RSRC3_GFX90A:TG_SPLIT: 0
	.section	.text._ZN7rocprim17ROCPRIM_400000_NS6detail17trampoline_kernelINS0_14default_configENS1_38merge_sort_block_merge_config_selectorIaNS0_10empty_typeEEEZZNS1_27merge_sort_block_merge_implIS3_PaPS5_jNS1_19radix_merge_compareILb1ELb1EaNS0_19identity_decomposerEEEEE10hipError_tT0_T1_T2_jT3_P12ihipStream_tbPNSt15iterator_traitsISE_E10value_typeEPNSK_ISF_E10value_typeEPSG_NS1_7vsmem_tEENKUlT_SE_SF_SG_E_clIS8_S8_S9_S9_EESD_ST_SE_SF_SG_EUlST_E_NS1_11comp_targetILNS1_3genE3ELNS1_11target_archE908ELNS1_3gpuE7ELNS1_3repE0EEENS1_48merge_mergepath_partition_config_static_selectorELNS0_4arch9wavefront6targetE1EEEvSF_,"axG",@progbits,_ZN7rocprim17ROCPRIM_400000_NS6detail17trampoline_kernelINS0_14default_configENS1_38merge_sort_block_merge_config_selectorIaNS0_10empty_typeEEEZZNS1_27merge_sort_block_merge_implIS3_PaPS5_jNS1_19radix_merge_compareILb1ELb1EaNS0_19identity_decomposerEEEEE10hipError_tT0_T1_T2_jT3_P12ihipStream_tbPNSt15iterator_traitsISE_E10value_typeEPNSK_ISF_E10value_typeEPSG_NS1_7vsmem_tEENKUlT_SE_SF_SG_E_clIS8_S8_S9_S9_EESD_ST_SE_SF_SG_EUlST_E_NS1_11comp_targetILNS1_3genE3ELNS1_11target_archE908ELNS1_3gpuE7ELNS1_3repE0EEENS1_48merge_mergepath_partition_config_static_selectorELNS0_4arch9wavefront6targetE1EEEvSF_,comdat
	.protected	_ZN7rocprim17ROCPRIM_400000_NS6detail17trampoline_kernelINS0_14default_configENS1_38merge_sort_block_merge_config_selectorIaNS0_10empty_typeEEEZZNS1_27merge_sort_block_merge_implIS3_PaPS5_jNS1_19radix_merge_compareILb1ELb1EaNS0_19identity_decomposerEEEEE10hipError_tT0_T1_T2_jT3_P12ihipStream_tbPNSt15iterator_traitsISE_E10value_typeEPNSK_ISF_E10value_typeEPSG_NS1_7vsmem_tEENKUlT_SE_SF_SG_E_clIS8_S8_S9_S9_EESD_ST_SE_SF_SG_EUlST_E_NS1_11comp_targetILNS1_3genE3ELNS1_11target_archE908ELNS1_3gpuE7ELNS1_3repE0EEENS1_48merge_mergepath_partition_config_static_selectorELNS0_4arch9wavefront6targetE1EEEvSF_ ; -- Begin function _ZN7rocprim17ROCPRIM_400000_NS6detail17trampoline_kernelINS0_14default_configENS1_38merge_sort_block_merge_config_selectorIaNS0_10empty_typeEEEZZNS1_27merge_sort_block_merge_implIS3_PaPS5_jNS1_19radix_merge_compareILb1ELb1EaNS0_19identity_decomposerEEEEE10hipError_tT0_T1_T2_jT3_P12ihipStream_tbPNSt15iterator_traitsISE_E10value_typeEPNSK_ISF_E10value_typeEPSG_NS1_7vsmem_tEENKUlT_SE_SF_SG_E_clIS8_S8_S9_S9_EESD_ST_SE_SF_SG_EUlST_E_NS1_11comp_targetILNS1_3genE3ELNS1_11target_archE908ELNS1_3gpuE7ELNS1_3repE0EEENS1_48merge_mergepath_partition_config_static_selectorELNS0_4arch9wavefront6targetE1EEEvSF_
	.globl	_ZN7rocprim17ROCPRIM_400000_NS6detail17trampoline_kernelINS0_14default_configENS1_38merge_sort_block_merge_config_selectorIaNS0_10empty_typeEEEZZNS1_27merge_sort_block_merge_implIS3_PaPS5_jNS1_19radix_merge_compareILb1ELb1EaNS0_19identity_decomposerEEEEE10hipError_tT0_T1_T2_jT3_P12ihipStream_tbPNSt15iterator_traitsISE_E10value_typeEPNSK_ISF_E10value_typeEPSG_NS1_7vsmem_tEENKUlT_SE_SF_SG_E_clIS8_S8_S9_S9_EESD_ST_SE_SF_SG_EUlST_E_NS1_11comp_targetILNS1_3genE3ELNS1_11target_archE908ELNS1_3gpuE7ELNS1_3repE0EEENS1_48merge_mergepath_partition_config_static_selectorELNS0_4arch9wavefront6targetE1EEEvSF_
	.p2align	8
	.type	_ZN7rocprim17ROCPRIM_400000_NS6detail17trampoline_kernelINS0_14default_configENS1_38merge_sort_block_merge_config_selectorIaNS0_10empty_typeEEEZZNS1_27merge_sort_block_merge_implIS3_PaPS5_jNS1_19radix_merge_compareILb1ELb1EaNS0_19identity_decomposerEEEEE10hipError_tT0_T1_T2_jT3_P12ihipStream_tbPNSt15iterator_traitsISE_E10value_typeEPNSK_ISF_E10value_typeEPSG_NS1_7vsmem_tEENKUlT_SE_SF_SG_E_clIS8_S8_S9_S9_EESD_ST_SE_SF_SG_EUlST_E_NS1_11comp_targetILNS1_3genE3ELNS1_11target_archE908ELNS1_3gpuE7ELNS1_3repE0EEENS1_48merge_mergepath_partition_config_static_selectorELNS0_4arch9wavefront6targetE1EEEvSF_,@function
_ZN7rocprim17ROCPRIM_400000_NS6detail17trampoline_kernelINS0_14default_configENS1_38merge_sort_block_merge_config_selectorIaNS0_10empty_typeEEEZZNS1_27merge_sort_block_merge_implIS3_PaPS5_jNS1_19radix_merge_compareILb1ELb1EaNS0_19identity_decomposerEEEEE10hipError_tT0_T1_T2_jT3_P12ihipStream_tbPNSt15iterator_traitsISE_E10value_typeEPNSK_ISF_E10value_typeEPSG_NS1_7vsmem_tEENKUlT_SE_SF_SG_E_clIS8_S8_S9_S9_EESD_ST_SE_SF_SG_EUlST_E_NS1_11comp_targetILNS1_3genE3ELNS1_11target_archE908ELNS1_3gpuE7ELNS1_3repE0EEENS1_48merge_mergepath_partition_config_static_selectorELNS0_4arch9wavefront6targetE1EEEvSF_: ; @_ZN7rocprim17ROCPRIM_400000_NS6detail17trampoline_kernelINS0_14default_configENS1_38merge_sort_block_merge_config_selectorIaNS0_10empty_typeEEEZZNS1_27merge_sort_block_merge_implIS3_PaPS5_jNS1_19radix_merge_compareILb1ELb1EaNS0_19identity_decomposerEEEEE10hipError_tT0_T1_T2_jT3_P12ihipStream_tbPNSt15iterator_traitsISE_E10value_typeEPNSK_ISF_E10value_typeEPSG_NS1_7vsmem_tEENKUlT_SE_SF_SG_E_clIS8_S8_S9_S9_EESD_ST_SE_SF_SG_EUlST_E_NS1_11comp_targetILNS1_3genE3ELNS1_11target_archE908ELNS1_3gpuE7ELNS1_3repE0EEENS1_48merge_mergepath_partition_config_static_selectorELNS0_4arch9wavefront6targetE1EEEvSF_
; %bb.0:
	.section	.rodata,"a",@progbits
	.p2align	6, 0x0
	.amdhsa_kernel _ZN7rocprim17ROCPRIM_400000_NS6detail17trampoline_kernelINS0_14default_configENS1_38merge_sort_block_merge_config_selectorIaNS0_10empty_typeEEEZZNS1_27merge_sort_block_merge_implIS3_PaPS5_jNS1_19radix_merge_compareILb1ELb1EaNS0_19identity_decomposerEEEEE10hipError_tT0_T1_T2_jT3_P12ihipStream_tbPNSt15iterator_traitsISE_E10value_typeEPNSK_ISF_E10value_typeEPSG_NS1_7vsmem_tEENKUlT_SE_SF_SG_E_clIS8_S8_S9_S9_EESD_ST_SE_SF_SG_EUlST_E_NS1_11comp_targetILNS1_3genE3ELNS1_11target_archE908ELNS1_3gpuE7ELNS1_3repE0EEENS1_48merge_mergepath_partition_config_static_selectorELNS0_4arch9wavefront6targetE1EEEvSF_
		.amdhsa_group_segment_fixed_size 0
		.amdhsa_private_segment_fixed_size 0
		.amdhsa_kernarg_size 40
		.amdhsa_user_sgpr_count 6
		.amdhsa_user_sgpr_private_segment_buffer 1
		.amdhsa_user_sgpr_dispatch_ptr 0
		.amdhsa_user_sgpr_queue_ptr 0
		.amdhsa_user_sgpr_kernarg_segment_ptr 1
		.amdhsa_user_sgpr_dispatch_id 0
		.amdhsa_user_sgpr_flat_scratch_init 0
		.amdhsa_user_sgpr_kernarg_preload_length 0
		.amdhsa_user_sgpr_kernarg_preload_offset 0
		.amdhsa_user_sgpr_private_segment_size 0
		.amdhsa_uses_dynamic_stack 0
		.amdhsa_system_sgpr_private_segment_wavefront_offset 0
		.amdhsa_system_sgpr_workgroup_id_x 1
		.amdhsa_system_sgpr_workgroup_id_y 0
		.amdhsa_system_sgpr_workgroup_id_z 0
		.amdhsa_system_sgpr_workgroup_info 0
		.amdhsa_system_vgpr_workitem_id 0
		.amdhsa_next_free_vgpr 1
		.amdhsa_next_free_sgpr 0
		.amdhsa_accum_offset 4
		.amdhsa_reserve_vcc 0
		.amdhsa_reserve_flat_scratch 0
		.amdhsa_float_round_mode_32 0
		.amdhsa_float_round_mode_16_64 0
		.amdhsa_float_denorm_mode_32 3
		.amdhsa_float_denorm_mode_16_64 3
		.amdhsa_dx10_clamp 1
		.amdhsa_ieee_mode 1
		.amdhsa_fp16_overflow 0
		.amdhsa_tg_split 0
		.amdhsa_exception_fp_ieee_invalid_op 0
		.amdhsa_exception_fp_denorm_src 0
		.amdhsa_exception_fp_ieee_div_zero 0
		.amdhsa_exception_fp_ieee_overflow 0
		.amdhsa_exception_fp_ieee_underflow 0
		.amdhsa_exception_fp_ieee_inexact 0
		.amdhsa_exception_int_div_zero 0
	.end_amdhsa_kernel
	.section	.text._ZN7rocprim17ROCPRIM_400000_NS6detail17trampoline_kernelINS0_14default_configENS1_38merge_sort_block_merge_config_selectorIaNS0_10empty_typeEEEZZNS1_27merge_sort_block_merge_implIS3_PaPS5_jNS1_19radix_merge_compareILb1ELb1EaNS0_19identity_decomposerEEEEE10hipError_tT0_T1_T2_jT3_P12ihipStream_tbPNSt15iterator_traitsISE_E10value_typeEPNSK_ISF_E10value_typeEPSG_NS1_7vsmem_tEENKUlT_SE_SF_SG_E_clIS8_S8_S9_S9_EESD_ST_SE_SF_SG_EUlST_E_NS1_11comp_targetILNS1_3genE3ELNS1_11target_archE908ELNS1_3gpuE7ELNS1_3repE0EEENS1_48merge_mergepath_partition_config_static_selectorELNS0_4arch9wavefront6targetE1EEEvSF_,"axG",@progbits,_ZN7rocprim17ROCPRIM_400000_NS6detail17trampoline_kernelINS0_14default_configENS1_38merge_sort_block_merge_config_selectorIaNS0_10empty_typeEEEZZNS1_27merge_sort_block_merge_implIS3_PaPS5_jNS1_19radix_merge_compareILb1ELb1EaNS0_19identity_decomposerEEEEE10hipError_tT0_T1_T2_jT3_P12ihipStream_tbPNSt15iterator_traitsISE_E10value_typeEPNSK_ISF_E10value_typeEPSG_NS1_7vsmem_tEENKUlT_SE_SF_SG_E_clIS8_S8_S9_S9_EESD_ST_SE_SF_SG_EUlST_E_NS1_11comp_targetILNS1_3genE3ELNS1_11target_archE908ELNS1_3gpuE7ELNS1_3repE0EEENS1_48merge_mergepath_partition_config_static_selectorELNS0_4arch9wavefront6targetE1EEEvSF_,comdat
.Lfunc_end1602:
	.size	_ZN7rocprim17ROCPRIM_400000_NS6detail17trampoline_kernelINS0_14default_configENS1_38merge_sort_block_merge_config_selectorIaNS0_10empty_typeEEEZZNS1_27merge_sort_block_merge_implIS3_PaPS5_jNS1_19radix_merge_compareILb1ELb1EaNS0_19identity_decomposerEEEEE10hipError_tT0_T1_T2_jT3_P12ihipStream_tbPNSt15iterator_traitsISE_E10value_typeEPNSK_ISF_E10value_typeEPSG_NS1_7vsmem_tEENKUlT_SE_SF_SG_E_clIS8_S8_S9_S9_EESD_ST_SE_SF_SG_EUlST_E_NS1_11comp_targetILNS1_3genE3ELNS1_11target_archE908ELNS1_3gpuE7ELNS1_3repE0EEENS1_48merge_mergepath_partition_config_static_selectorELNS0_4arch9wavefront6targetE1EEEvSF_, .Lfunc_end1602-_ZN7rocprim17ROCPRIM_400000_NS6detail17trampoline_kernelINS0_14default_configENS1_38merge_sort_block_merge_config_selectorIaNS0_10empty_typeEEEZZNS1_27merge_sort_block_merge_implIS3_PaPS5_jNS1_19radix_merge_compareILb1ELb1EaNS0_19identity_decomposerEEEEE10hipError_tT0_T1_T2_jT3_P12ihipStream_tbPNSt15iterator_traitsISE_E10value_typeEPNSK_ISF_E10value_typeEPSG_NS1_7vsmem_tEENKUlT_SE_SF_SG_E_clIS8_S8_S9_S9_EESD_ST_SE_SF_SG_EUlST_E_NS1_11comp_targetILNS1_3genE3ELNS1_11target_archE908ELNS1_3gpuE7ELNS1_3repE0EEENS1_48merge_mergepath_partition_config_static_selectorELNS0_4arch9wavefront6targetE1EEEvSF_
                                        ; -- End function
	.section	.AMDGPU.csdata,"",@progbits
; Kernel info:
; codeLenInByte = 0
; NumSgprs: 4
; NumVgprs: 0
; NumAgprs: 0
; TotalNumVgprs: 0
; ScratchSize: 0
; MemoryBound: 0
; FloatMode: 240
; IeeeMode: 1
; LDSByteSize: 0 bytes/workgroup (compile time only)
; SGPRBlocks: 0
; VGPRBlocks: 0
; NumSGPRsForWavesPerEU: 4
; NumVGPRsForWavesPerEU: 1
; AccumOffset: 4
; Occupancy: 8
; WaveLimiterHint : 0
; COMPUTE_PGM_RSRC2:SCRATCH_EN: 0
; COMPUTE_PGM_RSRC2:USER_SGPR: 6
; COMPUTE_PGM_RSRC2:TRAP_HANDLER: 0
; COMPUTE_PGM_RSRC2:TGID_X_EN: 1
; COMPUTE_PGM_RSRC2:TGID_Y_EN: 0
; COMPUTE_PGM_RSRC2:TGID_Z_EN: 0
; COMPUTE_PGM_RSRC2:TIDIG_COMP_CNT: 0
; COMPUTE_PGM_RSRC3_GFX90A:ACCUM_OFFSET: 0
; COMPUTE_PGM_RSRC3_GFX90A:TG_SPLIT: 0
	.section	.text._ZN7rocprim17ROCPRIM_400000_NS6detail17trampoline_kernelINS0_14default_configENS1_38merge_sort_block_merge_config_selectorIaNS0_10empty_typeEEEZZNS1_27merge_sort_block_merge_implIS3_PaPS5_jNS1_19radix_merge_compareILb1ELb1EaNS0_19identity_decomposerEEEEE10hipError_tT0_T1_T2_jT3_P12ihipStream_tbPNSt15iterator_traitsISE_E10value_typeEPNSK_ISF_E10value_typeEPSG_NS1_7vsmem_tEENKUlT_SE_SF_SG_E_clIS8_S8_S9_S9_EESD_ST_SE_SF_SG_EUlST_E_NS1_11comp_targetILNS1_3genE2ELNS1_11target_archE906ELNS1_3gpuE6ELNS1_3repE0EEENS1_48merge_mergepath_partition_config_static_selectorELNS0_4arch9wavefront6targetE1EEEvSF_,"axG",@progbits,_ZN7rocprim17ROCPRIM_400000_NS6detail17trampoline_kernelINS0_14default_configENS1_38merge_sort_block_merge_config_selectorIaNS0_10empty_typeEEEZZNS1_27merge_sort_block_merge_implIS3_PaPS5_jNS1_19radix_merge_compareILb1ELb1EaNS0_19identity_decomposerEEEEE10hipError_tT0_T1_T2_jT3_P12ihipStream_tbPNSt15iterator_traitsISE_E10value_typeEPNSK_ISF_E10value_typeEPSG_NS1_7vsmem_tEENKUlT_SE_SF_SG_E_clIS8_S8_S9_S9_EESD_ST_SE_SF_SG_EUlST_E_NS1_11comp_targetILNS1_3genE2ELNS1_11target_archE906ELNS1_3gpuE6ELNS1_3repE0EEENS1_48merge_mergepath_partition_config_static_selectorELNS0_4arch9wavefront6targetE1EEEvSF_,comdat
	.protected	_ZN7rocprim17ROCPRIM_400000_NS6detail17trampoline_kernelINS0_14default_configENS1_38merge_sort_block_merge_config_selectorIaNS0_10empty_typeEEEZZNS1_27merge_sort_block_merge_implIS3_PaPS5_jNS1_19radix_merge_compareILb1ELb1EaNS0_19identity_decomposerEEEEE10hipError_tT0_T1_T2_jT3_P12ihipStream_tbPNSt15iterator_traitsISE_E10value_typeEPNSK_ISF_E10value_typeEPSG_NS1_7vsmem_tEENKUlT_SE_SF_SG_E_clIS8_S8_S9_S9_EESD_ST_SE_SF_SG_EUlST_E_NS1_11comp_targetILNS1_3genE2ELNS1_11target_archE906ELNS1_3gpuE6ELNS1_3repE0EEENS1_48merge_mergepath_partition_config_static_selectorELNS0_4arch9wavefront6targetE1EEEvSF_ ; -- Begin function _ZN7rocprim17ROCPRIM_400000_NS6detail17trampoline_kernelINS0_14default_configENS1_38merge_sort_block_merge_config_selectorIaNS0_10empty_typeEEEZZNS1_27merge_sort_block_merge_implIS3_PaPS5_jNS1_19radix_merge_compareILb1ELb1EaNS0_19identity_decomposerEEEEE10hipError_tT0_T1_T2_jT3_P12ihipStream_tbPNSt15iterator_traitsISE_E10value_typeEPNSK_ISF_E10value_typeEPSG_NS1_7vsmem_tEENKUlT_SE_SF_SG_E_clIS8_S8_S9_S9_EESD_ST_SE_SF_SG_EUlST_E_NS1_11comp_targetILNS1_3genE2ELNS1_11target_archE906ELNS1_3gpuE6ELNS1_3repE0EEENS1_48merge_mergepath_partition_config_static_selectorELNS0_4arch9wavefront6targetE1EEEvSF_
	.globl	_ZN7rocprim17ROCPRIM_400000_NS6detail17trampoline_kernelINS0_14default_configENS1_38merge_sort_block_merge_config_selectorIaNS0_10empty_typeEEEZZNS1_27merge_sort_block_merge_implIS3_PaPS5_jNS1_19radix_merge_compareILb1ELb1EaNS0_19identity_decomposerEEEEE10hipError_tT0_T1_T2_jT3_P12ihipStream_tbPNSt15iterator_traitsISE_E10value_typeEPNSK_ISF_E10value_typeEPSG_NS1_7vsmem_tEENKUlT_SE_SF_SG_E_clIS8_S8_S9_S9_EESD_ST_SE_SF_SG_EUlST_E_NS1_11comp_targetILNS1_3genE2ELNS1_11target_archE906ELNS1_3gpuE6ELNS1_3repE0EEENS1_48merge_mergepath_partition_config_static_selectorELNS0_4arch9wavefront6targetE1EEEvSF_
	.p2align	8
	.type	_ZN7rocprim17ROCPRIM_400000_NS6detail17trampoline_kernelINS0_14default_configENS1_38merge_sort_block_merge_config_selectorIaNS0_10empty_typeEEEZZNS1_27merge_sort_block_merge_implIS3_PaPS5_jNS1_19radix_merge_compareILb1ELb1EaNS0_19identity_decomposerEEEEE10hipError_tT0_T1_T2_jT3_P12ihipStream_tbPNSt15iterator_traitsISE_E10value_typeEPNSK_ISF_E10value_typeEPSG_NS1_7vsmem_tEENKUlT_SE_SF_SG_E_clIS8_S8_S9_S9_EESD_ST_SE_SF_SG_EUlST_E_NS1_11comp_targetILNS1_3genE2ELNS1_11target_archE906ELNS1_3gpuE6ELNS1_3repE0EEENS1_48merge_mergepath_partition_config_static_selectorELNS0_4arch9wavefront6targetE1EEEvSF_,@function
_ZN7rocprim17ROCPRIM_400000_NS6detail17trampoline_kernelINS0_14default_configENS1_38merge_sort_block_merge_config_selectorIaNS0_10empty_typeEEEZZNS1_27merge_sort_block_merge_implIS3_PaPS5_jNS1_19radix_merge_compareILb1ELb1EaNS0_19identity_decomposerEEEEE10hipError_tT0_T1_T2_jT3_P12ihipStream_tbPNSt15iterator_traitsISE_E10value_typeEPNSK_ISF_E10value_typeEPSG_NS1_7vsmem_tEENKUlT_SE_SF_SG_E_clIS8_S8_S9_S9_EESD_ST_SE_SF_SG_EUlST_E_NS1_11comp_targetILNS1_3genE2ELNS1_11target_archE906ELNS1_3gpuE6ELNS1_3repE0EEENS1_48merge_mergepath_partition_config_static_selectorELNS0_4arch9wavefront6targetE1EEEvSF_: ; @_ZN7rocprim17ROCPRIM_400000_NS6detail17trampoline_kernelINS0_14default_configENS1_38merge_sort_block_merge_config_selectorIaNS0_10empty_typeEEEZZNS1_27merge_sort_block_merge_implIS3_PaPS5_jNS1_19radix_merge_compareILb1ELb1EaNS0_19identity_decomposerEEEEE10hipError_tT0_T1_T2_jT3_P12ihipStream_tbPNSt15iterator_traitsISE_E10value_typeEPNSK_ISF_E10value_typeEPSG_NS1_7vsmem_tEENKUlT_SE_SF_SG_E_clIS8_S8_S9_S9_EESD_ST_SE_SF_SG_EUlST_E_NS1_11comp_targetILNS1_3genE2ELNS1_11target_archE906ELNS1_3gpuE6ELNS1_3repE0EEENS1_48merge_mergepath_partition_config_static_selectorELNS0_4arch9wavefront6targetE1EEEvSF_
; %bb.0:
	.section	.rodata,"a",@progbits
	.p2align	6, 0x0
	.amdhsa_kernel _ZN7rocprim17ROCPRIM_400000_NS6detail17trampoline_kernelINS0_14default_configENS1_38merge_sort_block_merge_config_selectorIaNS0_10empty_typeEEEZZNS1_27merge_sort_block_merge_implIS3_PaPS5_jNS1_19radix_merge_compareILb1ELb1EaNS0_19identity_decomposerEEEEE10hipError_tT0_T1_T2_jT3_P12ihipStream_tbPNSt15iterator_traitsISE_E10value_typeEPNSK_ISF_E10value_typeEPSG_NS1_7vsmem_tEENKUlT_SE_SF_SG_E_clIS8_S8_S9_S9_EESD_ST_SE_SF_SG_EUlST_E_NS1_11comp_targetILNS1_3genE2ELNS1_11target_archE906ELNS1_3gpuE6ELNS1_3repE0EEENS1_48merge_mergepath_partition_config_static_selectorELNS0_4arch9wavefront6targetE1EEEvSF_
		.amdhsa_group_segment_fixed_size 0
		.amdhsa_private_segment_fixed_size 0
		.amdhsa_kernarg_size 40
		.amdhsa_user_sgpr_count 6
		.amdhsa_user_sgpr_private_segment_buffer 1
		.amdhsa_user_sgpr_dispatch_ptr 0
		.amdhsa_user_sgpr_queue_ptr 0
		.amdhsa_user_sgpr_kernarg_segment_ptr 1
		.amdhsa_user_sgpr_dispatch_id 0
		.amdhsa_user_sgpr_flat_scratch_init 0
		.amdhsa_user_sgpr_kernarg_preload_length 0
		.amdhsa_user_sgpr_kernarg_preload_offset 0
		.amdhsa_user_sgpr_private_segment_size 0
		.amdhsa_uses_dynamic_stack 0
		.amdhsa_system_sgpr_private_segment_wavefront_offset 0
		.amdhsa_system_sgpr_workgroup_id_x 1
		.amdhsa_system_sgpr_workgroup_id_y 0
		.amdhsa_system_sgpr_workgroup_id_z 0
		.amdhsa_system_sgpr_workgroup_info 0
		.amdhsa_system_vgpr_workitem_id 0
		.amdhsa_next_free_vgpr 1
		.amdhsa_next_free_sgpr 0
		.amdhsa_accum_offset 4
		.amdhsa_reserve_vcc 0
		.amdhsa_reserve_flat_scratch 0
		.amdhsa_float_round_mode_32 0
		.amdhsa_float_round_mode_16_64 0
		.amdhsa_float_denorm_mode_32 3
		.amdhsa_float_denorm_mode_16_64 3
		.amdhsa_dx10_clamp 1
		.amdhsa_ieee_mode 1
		.amdhsa_fp16_overflow 0
		.amdhsa_tg_split 0
		.amdhsa_exception_fp_ieee_invalid_op 0
		.amdhsa_exception_fp_denorm_src 0
		.amdhsa_exception_fp_ieee_div_zero 0
		.amdhsa_exception_fp_ieee_overflow 0
		.amdhsa_exception_fp_ieee_underflow 0
		.amdhsa_exception_fp_ieee_inexact 0
		.amdhsa_exception_int_div_zero 0
	.end_amdhsa_kernel
	.section	.text._ZN7rocprim17ROCPRIM_400000_NS6detail17trampoline_kernelINS0_14default_configENS1_38merge_sort_block_merge_config_selectorIaNS0_10empty_typeEEEZZNS1_27merge_sort_block_merge_implIS3_PaPS5_jNS1_19radix_merge_compareILb1ELb1EaNS0_19identity_decomposerEEEEE10hipError_tT0_T1_T2_jT3_P12ihipStream_tbPNSt15iterator_traitsISE_E10value_typeEPNSK_ISF_E10value_typeEPSG_NS1_7vsmem_tEENKUlT_SE_SF_SG_E_clIS8_S8_S9_S9_EESD_ST_SE_SF_SG_EUlST_E_NS1_11comp_targetILNS1_3genE2ELNS1_11target_archE906ELNS1_3gpuE6ELNS1_3repE0EEENS1_48merge_mergepath_partition_config_static_selectorELNS0_4arch9wavefront6targetE1EEEvSF_,"axG",@progbits,_ZN7rocprim17ROCPRIM_400000_NS6detail17trampoline_kernelINS0_14default_configENS1_38merge_sort_block_merge_config_selectorIaNS0_10empty_typeEEEZZNS1_27merge_sort_block_merge_implIS3_PaPS5_jNS1_19radix_merge_compareILb1ELb1EaNS0_19identity_decomposerEEEEE10hipError_tT0_T1_T2_jT3_P12ihipStream_tbPNSt15iterator_traitsISE_E10value_typeEPNSK_ISF_E10value_typeEPSG_NS1_7vsmem_tEENKUlT_SE_SF_SG_E_clIS8_S8_S9_S9_EESD_ST_SE_SF_SG_EUlST_E_NS1_11comp_targetILNS1_3genE2ELNS1_11target_archE906ELNS1_3gpuE6ELNS1_3repE0EEENS1_48merge_mergepath_partition_config_static_selectorELNS0_4arch9wavefront6targetE1EEEvSF_,comdat
.Lfunc_end1603:
	.size	_ZN7rocprim17ROCPRIM_400000_NS6detail17trampoline_kernelINS0_14default_configENS1_38merge_sort_block_merge_config_selectorIaNS0_10empty_typeEEEZZNS1_27merge_sort_block_merge_implIS3_PaPS5_jNS1_19radix_merge_compareILb1ELb1EaNS0_19identity_decomposerEEEEE10hipError_tT0_T1_T2_jT3_P12ihipStream_tbPNSt15iterator_traitsISE_E10value_typeEPNSK_ISF_E10value_typeEPSG_NS1_7vsmem_tEENKUlT_SE_SF_SG_E_clIS8_S8_S9_S9_EESD_ST_SE_SF_SG_EUlST_E_NS1_11comp_targetILNS1_3genE2ELNS1_11target_archE906ELNS1_3gpuE6ELNS1_3repE0EEENS1_48merge_mergepath_partition_config_static_selectorELNS0_4arch9wavefront6targetE1EEEvSF_, .Lfunc_end1603-_ZN7rocprim17ROCPRIM_400000_NS6detail17trampoline_kernelINS0_14default_configENS1_38merge_sort_block_merge_config_selectorIaNS0_10empty_typeEEEZZNS1_27merge_sort_block_merge_implIS3_PaPS5_jNS1_19radix_merge_compareILb1ELb1EaNS0_19identity_decomposerEEEEE10hipError_tT0_T1_T2_jT3_P12ihipStream_tbPNSt15iterator_traitsISE_E10value_typeEPNSK_ISF_E10value_typeEPSG_NS1_7vsmem_tEENKUlT_SE_SF_SG_E_clIS8_S8_S9_S9_EESD_ST_SE_SF_SG_EUlST_E_NS1_11comp_targetILNS1_3genE2ELNS1_11target_archE906ELNS1_3gpuE6ELNS1_3repE0EEENS1_48merge_mergepath_partition_config_static_selectorELNS0_4arch9wavefront6targetE1EEEvSF_
                                        ; -- End function
	.section	.AMDGPU.csdata,"",@progbits
; Kernel info:
; codeLenInByte = 0
; NumSgprs: 4
; NumVgprs: 0
; NumAgprs: 0
; TotalNumVgprs: 0
; ScratchSize: 0
; MemoryBound: 0
; FloatMode: 240
; IeeeMode: 1
; LDSByteSize: 0 bytes/workgroup (compile time only)
; SGPRBlocks: 0
; VGPRBlocks: 0
; NumSGPRsForWavesPerEU: 4
; NumVGPRsForWavesPerEU: 1
; AccumOffset: 4
; Occupancy: 8
; WaveLimiterHint : 0
; COMPUTE_PGM_RSRC2:SCRATCH_EN: 0
; COMPUTE_PGM_RSRC2:USER_SGPR: 6
; COMPUTE_PGM_RSRC2:TRAP_HANDLER: 0
; COMPUTE_PGM_RSRC2:TGID_X_EN: 1
; COMPUTE_PGM_RSRC2:TGID_Y_EN: 0
; COMPUTE_PGM_RSRC2:TGID_Z_EN: 0
; COMPUTE_PGM_RSRC2:TIDIG_COMP_CNT: 0
; COMPUTE_PGM_RSRC3_GFX90A:ACCUM_OFFSET: 0
; COMPUTE_PGM_RSRC3_GFX90A:TG_SPLIT: 0
	.section	.text._ZN7rocprim17ROCPRIM_400000_NS6detail17trampoline_kernelINS0_14default_configENS1_38merge_sort_block_merge_config_selectorIaNS0_10empty_typeEEEZZNS1_27merge_sort_block_merge_implIS3_PaPS5_jNS1_19radix_merge_compareILb1ELb1EaNS0_19identity_decomposerEEEEE10hipError_tT0_T1_T2_jT3_P12ihipStream_tbPNSt15iterator_traitsISE_E10value_typeEPNSK_ISF_E10value_typeEPSG_NS1_7vsmem_tEENKUlT_SE_SF_SG_E_clIS8_S8_S9_S9_EESD_ST_SE_SF_SG_EUlST_E_NS1_11comp_targetILNS1_3genE9ELNS1_11target_archE1100ELNS1_3gpuE3ELNS1_3repE0EEENS1_48merge_mergepath_partition_config_static_selectorELNS0_4arch9wavefront6targetE1EEEvSF_,"axG",@progbits,_ZN7rocprim17ROCPRIM_400000_NS6detail17trampoline_kernelINS0_14default_configENS1_38merge_sort_block_merge_config_selectorIaNS0_10empty_typeEEEZZNS1_27merge_sort_block_merge_implIS3_PaPS5_jNS1_19radix_merge_compareILb1ELb1EaNS0_19identity_decomposerEEEEE10hipError_tT0_T1_T2_jT3_P12ihipStream_tbPNSt15iterator_traitsISE_E10value_typeEPNSK_ISF_E10value_typeEPSG_NS1_7vsmem_tEENKUlT_SE_SF_SG_E_clIS8_S8_S9_S9_EESD_ST_SE_SF_SG_EUlST_E_NS1_11comp_targetILNS1_3genE9ELNS1_11target_archE1100ELNS1_3gpuE3ELNS1_3repE0EEENS1_48merge_mergepath_partition_config_static_selectorELNS0_4arch9wavefront6targetE1EEEvSF_,comdat
	.protected	_ZN7rocprim17ROCPRIM_400000_NS6detail17trampoline_kernelINS0_14default_configENS1_38merge_sort_block_merge_config_selectorIaNS0_10empty_typeEEEZZNS1_27merge_sort_block_merge_implIS3_PaPS5_jNS1_19radix_merge_compareILb1ELb1EaNS0_19identity_decomposerEEEEE10hipError_tT0_T1_T2_jT3_P12ihipStream_tbPNSt15iterator_traitsISE_E10value_typeEPNSK_ISF_E10value_typeEPSG_NS1_7vsmem_tEENKUlT_SE_SF_SG_E_clIS8_S8_S9_S9_EESD_ST_SE_SF_SG_EUlST_E_NS1_11comp_targetILNS1_3genE9ELNS1_11target_archE1100ELNS1_3gpuE3ELNS1_3repE0EEENS1_48merge_mergepath_partition_config_static_selectorELNS0_4arch9wavefront6targetE1EEEvSF_ ; -- Begin function _ZN7rocprim17ROCPRIM_400000_NS6detail17trampoline_kernelINS0_14default_configENS1_38merge_sort_block_merge_config_selectorIaNS0_10empty_typeEEEZZNS1_27merge_sort_block_merge_implIS3_PaPS5_jNS1_19radix_merge_compareILb1ELb1EaNS0_19identity_decomposerEEEEE10hipError_tT0_T1_T2_jT3_P12ihipStream_tbPNSt15iterator_traitsISE_E10value_typeEPNSK_ISF_E10value_typeEPSG_NS1_7vsmem_tEENKUlT_SE_SF_SG_E_clIS8_S8_S9_S9_EESD_ST_SE_SF_SG_EUlST_E_NS1_11comp_targetILNS1_3genE9ELNS1_11target_archE1100ELNS1_3gpuE3ELNS1_3repE0EEENS1_48merge_mergepath_partition_config_static_selectorELNS0_4arch9wavefront6targetE1EEEvSF_
	.globl	_ZN7rocprim17ROCPRIM_400000_NS6detail17trampoline_kernelINS0_14default_configENS1_38merge_sort_block_merge_config_selectorIaNS0_10empty_typeEEEZZNS1_27merge_sort_block_merge_implIS3_PaPS5_jNS1_19radix_merge_compareILb1ELb1EaNS0_19identity_decomposerEEEEE10hipError_tT0_T1_T2_jT3_P12ihipStream_tbPNSt15iterator_traitsISE_E10value_typeEPNSK_ISF_E10value_typeEPSG_NS1_7vsmem_tEENKUlT_SE_SF_SG_E_clIS8_S8_S9_S9_EESD_ST_SE_SF_SG_EUlST_E_NS1_11comp_targetILNS1_3genE9ELNS1_11target_archE1100ELNS1_3gpuE3ELNS1_3repE0EEENS1_48merge_mergepath_partition_config_static_selectorELNS0_4arch9wavefront6targetE1EEEvSF_
	.p2align	8
	.type	_ZN7rocprim17ROCPRIM_400000_NS6detail17trampoline_kernelINS0_14default_configENS1_38merge_sort_block_merge_config_selectorIaNS0_10empty_typeEEEZZNS1_27merge_sort_block_merge_implIS3_PaPS5_jNS1_19radix_merge_compareILb1ELb1EaNS0_19identity_decomposerEEEEE10hipError_tT0_T1_T2_jT3_P12ihipStream_tbPNSt15iterator_traitsISE_E10value_typeEPNSK_ISF_E10value_typeEPSG_NS1_7vsmem_tEENKUlT_SE_SF_SG_E_clIS8_S8_S9_S9_EESD_ST_SE_SF_SG_EUlST_E_NS1_11comp_targetILNS1_3genE9ELNS1_11target_archE1100ELNS1_3gpuE3ELNS1_3repE0EEENS1_48merge_mergepath_partition_config_static_selectorELNS0_4arch9wavefront6targetE1EEEvSF_,@function
_ZN7rocprim17ROCPRIM_400000_NS6detail17trampoline_kernelINS0_14default_configENS1_38merge_sort_block_merge_config_selectorIaNS0_10empty_typeEEEZZNS1_27merge_sort_block_merge_implIS3_PaPS5_jNS1_19radix_merge_compareILb1ELb1EaNS0_19identity_decomposerEEEEE10hipError_tT0_T1_T2_jT3_P12ihipStream_tbPNSt15iterator_traitsISE_E10value_typeEPNSK_ISF_E10value_typeEPSG_NS1_7vsmem_tEENKUlT_SE_SF_SG_E_clIS8_S8_S9_S9_EESD_ST_SE_SF_SG_EUlST_E_NS1_11comp_targetILNS1_3genE9ELNS1_11target_archE1100ELNS1_3gpuE3ELNS1_3repE0EEENS1_48merge_mergepath_partition_config_static_selectorELNS0_4arch9wavefront6targetE1EEEvSF_: ; @_ZN7rocprim17ROCPRIM_400000_NS6detail17trampoline_kernelINS0_14default_configENS1_38merge_sort_block_merge_config_selectorIaNS0_10empty_typeEEEZZNS1_27merge_sort_block_merge_implIS3_PaPS5_jNS1_19radix_merge_compareILb1ELb1EaNS0_19identity_decomposerEEEEE10hipError_tT0_T1_T2_jT3_P12ihipStream_tbPNSt15iterator_traitsISE_E10value_typeEPNSK_ISF_E10value_typeEPSG_NS1_7vsmem_tEENKUlT_SE_SF_SG_E_clIS8_S8_S9_S9_EESD_ST_SE_SF_SG_EUlST_E_NS1_11comp_targetILNS1_3genE9ELNS1_11target_archE1100ELNS1_3gpuE3ELNS1_3repE0EEENS1_48merge_mergepath_partition_config_static_selectorELNS0_4arch9wavefront6targetE1EEEvSF_
; %bb.0:
	.section	.rodata,"a",@progbits
	.p2align	6, 0x0
	.amdhsa_kernel _ZN7rocprim17ROCPRIM_400000_NS6detail17trampoline_kernelINS0_14default_configENS1_38merge_sort_block_merge_config_selectorIaNS0_10empty_typeEEEZZNS1_27merge_sort_block_merge_implIS3_PaPS5_jNS1_19radix_merge_compareILb1ELb1EaNS0_19identity_decomposerEEEEE10hipError_tT0_T1_T2_jT3_P12ihipStream_tbPNSt15iterator_traitsISE_E10value_typeEPNSK_ISF_E10value_typeEPSG_NS1_7vsmem_tEENKUlT_SE_SF_SG_E_clIS8_S8_S9_S9_EESD_ST_SE_SF_SG_EUlST_E_NS1_11comp_targetILNS1_3genE9ELNS1_11target_archE1100ELNS1_3gpuE3ELNS1_3repE0EEENS1_48merge_mergepath_partition_config_static_selectorELNS0_4arch9wavefront6targetE1EEEvSF_
		.amdhsa_group_segment_fixed_size 0
		.amdhsa_private_segment_fixed_size 0
		.amdhsa_kernarg_size 40
		.amdhsa_user_sgpr_count 6
		.amdhsa_user_sgpr_private_segment_buffer 1
		.amdhsa_user_sgpr_dispatch_ptr 0
		.amdhsa_user_sgpr_queue_ptr 0
		.amdhsa_user_sgpr_kernarg_segment_ptr 1
		.amdhsa_user_sgpr_dispatch_id 0
		.amdhsa_user_sgpr_flat_scratch_init 0
		.amdhsa_user_sgpr_kernarg_preload_length 0
		.amdhsa_user_sgpr_kernarg_preload_offset 0
		.amdhsa_user_sgpr_private_segment_size 0
		.amdhsa_uses_dynamic_stack 0
		.amdhsa_system_sgpr_private_segment_wavefront_offset 0
		.amdhsa_system_sgpr_workgroup_id_x 1
		.amdhsa_system_sgpr_workgroup_id_y 0
		.amdhsa_system_sgpr_workgroup_id_z 0
		.amdhsa_system_sgpr_workgroup_info 0
		.amdhsa_system_vgpr_workitem_id 0
		.amdhsa_next_free_vgpr 1
		.amdhsa_next_free_sgpr 0
		.amdhsa_accum_offset 4
		.amdhsa_reserve_vcc 0
		.amdhsa_reserve_flat_scratch 0
		.amdhsa_float_round_mode_32 0
		.amdhsa_float_round_mode_16_64 0
		.amdhsa_float_denorm_mode_32 3
		.amdhsa_float_denorm_mode_16_64 3
		.amdhsa_dx10_clamp 1
		.amdhsa_ieee_mode 1
		.amdhsa_fp16_overflow 0
		.amdhsa_tg_split 0
		.amdhsa_exception_fp_ieee_invalid_op 0
		.amdhsa_exception_fp_denorm_src 0
		.amdhsa_exception_fp_ieee_div_zero 0
		.amdhsa_exception_fp_ieee_overflow 0
		.amdhsa_exception_fp_ieee_underflow 0
		.amdhsa_exception_fp_ieee_inexact 0
		.amdhsa_exception_int_div_zero 0
	.end_amdhsa_kernel
	.section	.text._ZN7rocprim17ROCPRIM_400000_NS6detail17trampoline_kernelINS0_14default_configENS1_38merge_sort_block_merge_config_selectorIaNS0_10empty_typeEEEZZNS1_27merge_sort_block_merge_implIS3_PaPS5_jNS1_19radix_merge_compareILb1ELb1EaNS0_19identity_decomposerEEEEE10hipError_tT0_T1_T2_jT3_P12ihipStream_tbPNSt15iterator_traitsISE_E10value_typeEPNSK_ISF_E10value_typeEPSG_NS1_7vsmem_tEENKUlT_SE_SF_SG_E_clIS8_S8_S9_S9_EESD_ST_SE_SF_SG_EUlST_E_NS1_11comp_targetILNS1_3genE9ELNS1_11target_archE1100ELNS1_3gpuE3ELNS1_3repE0EEENS1_48merge_mergepath_partition_config_static_selectorELNS0_4arch9wavefront6targetE1EEEvSF_,"axG",@progbits,_ZN7rocprim17ROCPRIM_400000_NS6detail17trampoline_kernelINS0_14default_configENS1_38merge_sort_block_merge_config_selectorIaNS0_10empty_typeEEEZZNS1_27merge_sort_block_merge_implIS3_PaPS5_jNS1_19radix_merge_compareILb1ELb1EaNS0_19identity_decomposerEEEEE10hipError_tT0_T1_T2_jT3_P12ihipStream_tbPNSt15iterator_traitsISE_E10value_typeEPNSK_ISF_E10value_typeEPSG_NS1_7vsmem_tEENKUlT_SE_SF_SG_E_clIS8_S8_S9_S9_EESD_ST_SE_SF_SG_EUlST_E_NS1_11comp_targetILNS1_3genE9ELNS1_11target_archE1100ELNS1_3gpuE3ELNS1_3repE0EEENS1_48merge_mergepath_partition_config_static_selectorELNS0_4arch9wavefront6targetE1EEEvSF_,comdat
.Lfunc_end1604:
	.size	_ZN7rocprim17ROCPRIM_400000_NS6detail17trampoline_kernelINS0_14default_configENS1_38merge_sort_block_merge_config_selectorIaNS0_10empty_typeEEEZZNS1_27merge_sort_block_merge_implIS3_PaPS5_jNS1_19radix_merge_compareILb1ELb1EaNS0_19identity_decomposerEEEEE10hipError_tT0_T1_T2_jT3_P12ihipStream_tbPNSt15iterator_traitsISE_E10value_typeEPNSK_ISF_E10value_typeEPSG_NS1_7vsmem_tEENKUlT_SE_SF_SG_E_clIS8_S8_S9_S9_EESD_ST_SE_SF_SG_EUlST_E_NS1_11comp_targetILNS1_3genE9ELNS1_11target_archE1100ELNS1_3gpuE3ELNS1_3repE0EEENS1_48merge_mergepath_partition_config_static_selectorELNS0_4arch9wavefront6targetE1EEEvSF_, .Lfunc_end1604-_ZN7rocprim17ROCPRIM_400000_NS6detail17trampoline_kernelINS0_14default_configENS1_38merge_sort_block_merge_config_selectorIaNS0_10empty_typeEEEZZNS1_27merge_sort_block_merge_implIS3_PaPS5_jNS1_19radix_merge_compareILb1ELb1EaNS0_19identity_decomposerEEEEE10hipError_tT0_T1_T2_jT3_P12ihipStream_tbPNSt15iterator_traitsISE_E10value_typeEPNSK_ISF_E10value_typeEPSG_NS1_7vsmem_tEENKUlT_SE_SF_SG_E_clIS8_S8_S9_S9_EESD_ST_SE_SF_SG_EUlST_E_NS1_11comp_targetILNS1_3genE9ELNS1_11target_archE1100ELNS1_3gpuE3ELNS1_3repE0EEENS1_48merge_mergepath_partition_config_static_selectorELNS0_4arch9wavefront6targetE1EEEvSF_
                                        ; -- End function
	.section	.AMDGPU.csdata,"",@progbits
; Kernel info:
; codeLenInByte = 0
; NumSgprs: 4
; NumVgprs: 0
; NumAgprs: 0
; TotalNumVgprs: 0
; ScratchSize: 0
; MemoryBound: 0
; FloatMode: 240
; IeeeMode: 1
; LDSByteSize: 0 bytes/workgroup (compile time only)
; SGPRBlocks: 0
; VGPRBlocks: 0
; NumSGPRsForWavesPerEU: 4
; NumVGPRsForWavesPerEU: 1
; AccumOffset: 4
; Occupancy: 8
; WaveLimiterHint : 0
; COMPUTE_PGM_RSRC2:SCRATCH_EN: 0
; COMPUTE_PGM_RSRC2:USER_SGPR: 6
; COMPUTE_PGM_RSRC2:TRAP_HANDLER: 0
; COMPUTE_PGM_RSRC2:TGID_X_EN: 1
; COMPUTE_PGM_RSRC2:TGID_Y_EN: 0
; COMPUTE_PGM_RSRC2:TGID_Z_EN: 0
; COMPUTE_PGM_RSRC2:TIDIG_COMP_CNT: 0
; COMPUTE_PGM_RSRC3_GFX90A:ACCUM_OFFSET: 0
; COMPUTE_PGM_RSRC3_GFX90A:TG_SPLIT: 0
	.section	.text._ZN7rocprim17ROCPRIM_400000_NS6detail17trampoline_kernelINS0_14default_configENS1_38merge_sort_block_merge_config_selectorIaNS0_10empty_typeEEEZZNS1_27merge_sort_block_merge_implIS3_PaPS5_jNS1_19radix_merge_compareILb1ELb1EaNS0_19identity_decomposerEEEEE10hipError_tT0_T1_T2_jT3_P12ihipStream_tbPNSt15iterator_traitsISE_E10value_typeEPNSK_ISF_E10value_typeEPSG_NS1_7vsmem_tEENKUlT_SE_SF_SG_E_clIS8_S8_S9_S9_EESD_ST_SE_SF_SG_EUlST_E_NS1_11comp_targetILNS1_3genE8ELNS1_11target_archE1030ELNS1_3gpuE2ELNS1_3repE0EEENS1_48merge_mergepath_partition_config_static_selectorELNS0_4arch9wavefront6targetE1EEEvSF_,"axG",@progbits,_ZN7rocprim17ROCPRIM_400000_NS6detail17trampoline_kernelINS0_14default_configENS1_38merge_sort_block_merge_config_selectorIaNS0_10empty_typeEEEZZNS1_27merge_sort_block_merge_implIS3_PaPS5_jNS1_19radix_merge_compareILb1ELb1EaNS0_19identity_decomposerEEEEE10hipError_tT0_T1_T2_jT3_P12ihipStream_tbPNSt15iterator_traitsISE_E10value_typeEPNSK_ISF_E10value_typeEPSG_NS1_7vsmem_tEENKUlT_SE_SF_SG_E_clIS8_S8_S9_S9_EESD_ST_SE_SF_SG_EUlST_E_NS1_11comp_targetILNS1_3genE8ELNS1_11target_archE1030ELNS1_3gpuE2ELNS1_3repE0EEENS1_48merge_mergepath_partition_config_static_selectorELNS0_4arch9wavefront6targetE1EEEvSF_,comdat
	.protected	_ZN7rocprim17ROCPRIM_400000_NS6detail17trampoline_kernelINS0_14default_configENS1_38merge_sort_block_merge_config_selectorIaNS0_10empty_typeEEEZZNS1_27merge_sort_block_merge_implIS3_PaPS5_jNS1_19radix_merge_compareILb1ELb1EaNS0_19identity_decomposerEEEEE10hipError_tT0_T1_T2_jT3_P12ihipStream_tbPNSt15iterator_traitsISE_E10value_typeEPNSK_ISF_E10value_typeEPSG_NS1_7vsmem_tEENKUlT_SE_SF_SG_E_clIS8_S8_S9_S9_EESD_ST_SE_SF_SG_EUlST_E_NS1_11comp_targetILNS1_3genE8ELNS1_11target_archE1030ELNS1_3gpuE2ELNS1_3repE0EEENS1_48merge_mergepath_partition_config_static_selectorELNS0_4arch9wavefront6targetE1EEEvSF_ ; -- Begin function _ZN7rocprim17ROCPRIM_400000_NS6detail17trampoline_kernelINS0_14default_configENS1_38merge_sort_block_merge_config_selectorIaNS0_10empty_typeEEEZZNS1_27merge_sort_block_merge_implIS3_PaPS5_jNS1_19radix_merge_compareILb1ELb1EaNS0_19identity_decomposerEEEEE10hipError_tT0_T1_T2_jT3_P12ihipStream_tbPNSt15iterator_traitsISE_E10value_typeEPNSK_ISF_E10value_typeEPSG_NS1_7vsmem_tEENKUlT_SE_SF_SG_E_clIS8_S8_S9_S9_EESD_ST_SE_SF_SG_EUlST_E_NS1_11comp_targetILNS1_3genE8ELNS1_11target_archE1030ELNS1_3gpuE2ELNS1_3repE0EEENS1_48merge_mergepath_partition_config_static_selectorELNS0_4arch9wavefront6targetE1EEEvSF_
	.globl	_ZN7rocprim17ROCPRIM_400000_NS6detail17trampoline_kernelINS0_14default_configENS1_38merge_sort_block_merge_config_selectorIaNS0_10empty_typeEEEZZNS1_27merge_sort_block_merge_implIS3_PaPS5_jNS1_19radix_merge_compareILb1ELb1EaNS0_19identity_decomposerEEEEE10hipError_tT0_T1_T2_jT3_P12ihipStream_tbPNSt15iterator_traitsISE_E10value_typeEPNSK_ISF_E10value_typeEPSG_NS1_7vsmem_tEENKUlT_SE_SF_SG_E_clIS8_S8_S9_S9_EESD_ST_SE_SF_SG_EUlST_E_NS1_11comp_targetILNS1_3genE8ELNS1_11target_archE1030ELNS1_3gpuE2ELNS1_3repE0EEENS1_48merge_mergepath_partition_config_static_selectorELNS0_4arch9wavefront6targetE1EEEvSF_
	.p2align	8
	.type	_ZN7rocprim17ROCPRIM_400000_NS6detail17trampoline_kernelINS0_14default_configENS1_38merge_sort_block_merge_config_selectorIaNS0_10empty_typeEEEZZNS1_27merge_sort_block_merge_implIS3_PaPS5_jNS1_19radix_merge_compareILb1ELb1EaNS0_19identity_decomposerEEEEE10hipError_tT0_T1_T2_jT3_P12ihipStream_tbPNSt15iterator_traitsISE_E10value_typeEPNSK_ISF_E10value_typeEPSG_NS1_7vsmem_tEENKUlT_SE_SF_SG_E_clIS8_S8_S9_S9_EESD_ST_SE_SF_SG_EUlST_E_NS1_11comp_targetILNS1_3genE8ELNS1_11target_archE1030ELNS1_3gpuE2ELNS1_3repE0EEENS1_48merge_mergepath_partition_config_static_selectorELNS0_4arch9wavefront6targetE1EEEvSF_,@function
_ZN7rocprim17ROCPRIM_400000_NS6detail17trampoline_kernelINS0_14default_configENS1_38merge_sort_block_merge_config_selectorIaNS0_10empty_typeEEEZZNS1_27merge_sort_block_merge_implIS3_PaPS5_jNS1_19radix_merge_compareILb1ELb1EaNS0_19identity_decomposerEEEEE10hipError_tT0_T1_T2_jT3_P12ihipStream_tbPNSt15iterator_traitsISE_E10value_typeEPNSK_ISF_E10value_typeEPSG_NS1_7vsmem_tEENKUlT_SE_SF_SG_E_clIS8_S8_S9_S9_EESD_ST_SE_SF_SG_EUlST_E_NS1_11comp_targetILNS1_3genE8ELNS1_11target_archE1030ELNS1_3gpuE2ELNS1_3repE0EEENS1_48merge_mergepath_partition_config_static_selectorELNS0_4arch9wavefront6targetE1EEEvSF_: ; @_ZN7rocprim17ROCPRIM_400000_NS6detail17trampoline_kernelINS0_14default_configENS1_38merge_sort_block_merge_config_selectorIaNS0_10empty_typeEEEZZNS1_27merge_sort_block_merge_implIS3_PaPS5_jNS1_19radix_merge_compareILb1ELb1EaNS0_19identity_decomposerEEEEE10hipError_tT0_T1_T2_jT3_P12ihipStream_tbPNSt15iterator_traitsISE_E10value_typeEPNSK_ISF_E10value_typeEPSG_NS1_7vsmem_tEENKUlT_SE_SF_SG_E_clIS8_S8_S9_S9_EESD_ST_SE_SF_SG_EUlST_E_NS1_11comp_targetILNS1_3genE8ELNS1_11target_archE1030ELNS1_3gpuE2ELNS1_3repE0EEENS1_48merge_mergepath_partition_config_static_selectorELNS0_4arch9wavefront6targetE1EEEvSF_
; %bb.0:
	.section	.rodata,"a",@progbits
	.p2align	6, 0x0
	.amdhsa_kernel _ZN7rocprim17ROCPRIM_400000_NS6detail17trampoline_kernelINS0_14default_configENS1_38merge_sort_block_merge_config_selectorIaNS0_10empty_typeEEEZZNS1_27merge_sort_block_merge_implIS3_PaPS5_jNS1_19radix_merge_compareILb1ELb1EaNS0_19identity_decomposerEEEEE10hipError_tT0_T1_T2_jT3_P12ihipStream_tbPNSt15iterator_traitsISE_E10value_typeEPNSK_ISF_E10value_typeEPSG_NS1_7vsmem_tEENKUlT_SE_SF_SG_E_clIS8_S8_S9_S9_EESD_ST_SE_SF_SG_EUlST_E_NS1_11comp_targetILNS1_3genE8ELNS1_11target_archE1030ELNS1_3gpuE2ELNS1_3repE0EEENS1_48merge_mergepath_partition_config_static_selectorELNS0_4arch9wavefront6targetE1EEEvSF_
		.amdhsa_group_segment_fixed_size 0
		.amdhsa_private_segment_fixed_size 0
		.amdhsa_kernarg_size 40
		.amdhsa_user_sgpr_count 6
		.amdhsa_user_sgpr_private_segment_buffer 1
		.amdhsa_user_sgpr_dispatch_ptr 0
		.amdhsa_user_sgpr_queue_ptr 0
		.amdhsa_user_sgpr_kernarg_segment_ptr 1
		.amdhsa_user_sgpr_dispatch_id 0
		.amdhsa_user_sgpr_flat_scratch_init 0
		.amdhsa_user_sgpr_kernarg_preload_length 0
		.amdhsa_user_sgpr_kernarg_preload_offset 0
		.amdhsa_user_sgpr_private_segment_size 0
		.amdhsa_uses_dynamic_stack 0
		.amdhsa_system_sgpr_private_segment_wavefront_offset 0
		.amdhsa_system_sgpr_workgroup_id_x 1
		.amdhsa_system_sgpr_workgroup_id_y 0
		.amdhsa_system_sgpr_workgroup_id_z 0
		.amdhsa_system_sgpr_workgroup_info 0
		.amdhsa_system_vgpr_workitem_id 0
		.amdhsa_next_free_vgpr 1
		.amdhsa_next_free_sgpr 0
		.amdhsa_accum_offset 4
		.amdhsa_reserve_vcc 0
		.amdhsa_reserve_flat_scratch 0
		.amdhsa_float_round_mode_32 0
		.amdhsa_float_round_mode_16_64 0
		.amdhsa_float_denorm_mode_32 3
		.amdhsa_float_denorm_mode_16_64 3
		.amdhsa_dx10_clamp 1
		.amdhsa_ieee_mode 1
		.amdhsa_fp16_overflow 0
		.amdhsa_tg_split 0
		.amdhsa_exception_fp_ieee_invalid_op 0
		.amdhsa_exception_fp_denorm_src 0
		.amdhsa_exception_fp_ieee_div_zero 0
		.amdhsa_exception_fp_ieee_overflow 0
		.amdhsa_exception_fp_ieee_underflow 0
		.amdhsa_exception_fp_ieee_inexact 0
		.amdhsa_exception_int_div_zero 0
	.end_amdhsa_kernel
	.section	.text._ZN7rocprim17ROCPRIM_400000_NS6detail17trampoline_kernelINS0_14default_configENS1_38merge_sort_block_merge_config_selectorIaNS0_10empty_typeEEEZZNS1_27merge_sort_block_merge_implIS3_PaPS5_jNS1_19radix_merge_compareILb1ELb1EaNS0_19identity_decomposerEEEEE10hipError_tT0_T1_T2_jT3_P12ihipStream_tbPNSt15iterator_traitsISE_E10value_typeEPNSK_ISF_E10value_typeEPSG_NS1_7vsmem_tEENKUlT_SE_SF_SG_E_clIS8_S8_S9_S9_EESD_ST_SE_SF_SG_EUlST_E_NS1_11comp_targetILNS1_3genE8ELNS1_11target_archE1030ELNS1_3gpuE2ELNS1_3repE0EEENS1_48merge_mergepath_partition_config_static_selectorELNS0_4arch9wavefront6targetE1EEEvSF_,"axG",@progbits,_ZN7rocprim17ROCPRIM_400000_NS6detail17trampoline_kernelINS0_14default_configENS1_38merge_sort_block_merge_config_selectorIaNS0_10empty_typeEEEZZNS1_27merge_sort_block_merge_implIS3_PaPS5_jNS1_19radix_merge_compareILb1ELb1EaNS0_19identity_decomposerEEEEE10hipError_tT0_T1_T2_jT3_P12ihipStream_tbPNSt15iterator_traitsISE_E10value_typeEPNSK_ISF_E10value_typeEPSG_NS1_7vsmem_tEENKUlT_SE_SF_SG_E_clIS8_S8_S9_S9_EESD_ST_SE_SF_SG_EUlST_E_NS1_11comp_targetILNS1_3genE8ELNS1_11target_archE1030ELNS1_3gpuE2ELNS1_3repE0EEENS1_48merge_mergepath_partition_config_static_selectorELNS0_4arch9wavefront6targetE1EEEvSF_,comdat
.Lfunc_end1605:
	.size	_ZN7rocprim17ROCPRIM_400000_NS6detail17trampoline_kernelINS0_14default_configENS1_38merge_sort_block_merge_config_selectorIaNS0_10empty_typeEEEZZNS1_27merge_sort_block_merge_implIS3_PaPS5_jNS1_19radix_merge_compareILb1ELb1EaNS0_19identity_decomposerEEEEE10hipError_tT0_T1_T2_jT3_P12ihipStream_tbPNSt15iterator_traitsISE_E10value_typeEPNSK_ISF_E10value_typeEPSG_NS1_7vsmem_tEENKUlT_SE_SF_SG_E_clIS8_S8_S9_S9_EESD_ST_SE_SF_SG_EUlST_E_NS1_11comp_targetILNS1_3genE8ELNS1_11target_archE1030ELNS1_3gpuE2ELNS1_3repE0EEENS1_48merge_mergepath_partition_config_static_selectorELNS0_4arch9wavefront6targetE1EEEvSF_, .Lfunc_end1605-_ZN7rocprim17ROCPRIM_400000_NS6detail17trampoline_kernelINS0_14default_configENS1_38merge_sort_block_merge_config_selectorIaNS0_10empty_typeEEEZZNS1_27merge_sort_block_merge_implIS3_PaPS5_jNS1_19radix_merge_compareILb1ELb1EaNS0_19identity_decomposerEEEEE10hipError_tT0_T1_T2_jT3_P12ihipStream_tbPNSt15iterator_traitsISE_E10value_typeEPNSK_ISF_E10value_typeEPSG_NS1_7vsmem_tEENKUlT_SE_SF_SG_E_clIS8_S8_S9_S9_EESD_ST_SE_SF_SG_EUlST_E_NS1_11comp_targetILNS1_3genE8ELNS1_11target_archE1030ELNS1_3gpuE2ELNS1_3repE0EEENS1_48merge_mergepath_partition_config_static_selectorELNS0_4arch9wavefront6targetE1EEEvSF_
                                        ; -- End function
	.section	.AMDGPU.csdata,"",@progbits
; Kernel info:
; codeLenInByte = 0
; NumSgprs: 4
; NumVgprs: 0
; NumAgprs: 0
; TotalNumVgprs: 0
; ScratchSize: 0
; MemoryBound: 0
; FloatMode: 240
; IeeeMode: 1
; LDSByteSize: 0 bytes/workgroup (compile time only)
; SGPRBlocks: 0
; VGPRBlocks: 0
; NumSGPRsForWavesPerEU: 4
; NumVGPRsForWavesPerEU: 1
; AccumOffset: 4
; Occupancy: 8
; WaveLimiterHint : 0
; COMPUTE_PGM_RSRC2:SCRATCH_EN: 0
; COMPUTE_PGM_RSRC2:USER_SGPR: 6
; COMPUTE_PGM_RSRC2:TRAP_HANDLER: 0
; COMPUTE_PGM_RSRC2:TGID_X_EN: 1
; COMPUTE_PGM_RSRC2:TGID_Y_EN: 0
; COMPUTE_PGM_RSRC2:TGID_Z_EN: 0
; COMPUTE_PGM_RSRC2:TIDIG_COMP_CNT: 0
; COMPUTE_PGM_RSRC3_GFX90A:ACCUM_OFFSET: 0
; COMPUTE_PGM_RSRC3_GFX90A:TG_SPLIT: 0
	.section	.text._ZN7rocprim17ROCPRIM_400000_NS6detail17trampoline_kernelINS0_14default_configENS1_38merge_sort_block_merge_config_selectorIaNS0_10empty_typeEEEZZNS1_27merge_sort_block_merge_implIS3_PaPS5_jNS1_19radix_merge_compareILb1ELb1EaNS0_19identity_decomposerEEEEE10hipError_tT0_T1_T2_jT3_P12ihipStream_tbPNSt15iterator_traitsISE_E10value_typeEPNSK_ISF_E10value_typeEPSG_NS1_7vsmem_tEENKUlT_SE_SF_SG_E_clIS8_S8_S9_S9_EESD_ST_SE_SF_SG_EUlST_E0_NS1_11comp_targetILNS1_3genE0ELNS1_11target_archE4294967295ELNS1_3gpuE0ELNS1_3repE0EEENS1_38merge_mergepath_config_static_selectorELNS0_4arch9wavefront6targetE1EEEvSF_,"axG",@progbits,_ZN7rocprim17ROCPRIM_400000_NS6detail17trampoline_kernelINS0_14default_configENS1_38merge_sort_block_merge_config_selectorIaNS0_10empty_typeEEEZZNS1_27merge_sort_block_merge_implIS3_PaPS5_jNS1_19radix_merge_compareILb1ELb1EaNS0_19identity_decomposerEEEEE10hipError_tT0_T1_T2_jT3_P12ihipStream_tbPNSt15iterator_traitsISE_E10value_typeEPNSK_ISF_E10value_typeEPSG_NS1_7vsmem_tEENKUlT_SE_SF_SG_E_clIS8_S8_S9_S9_EESD_ST_SE_SF_SG_EUlST_E0_NS1_11comp_targetILNS1_3genE0ELNS1_11target_archE4294967295ELNS1_3gpuE0ELNS1_3repE0EEENS1_38merge_mergepath_config_static_selectorELNS0_4arch9wavefront6targetE1EEEvSF_,comdat
	.protected	_ZN7rocprim17ROCPRIM_400000_NS6detail17trampoline_kernelINS0_14default_configENS1_38merge_sort_block_merge_config_selectorIaNS0_10empty_typeEEEZZNS1_27merge_sort_block_merge_implIS3_PaPS5_jNS1_19radix_merge_compareILb1ELb1EaNS0_19identity_decomposerEEEEE10hipError_tT0_T1_T2_jT3_P12ihipStream_tbPNSt15iterator_traitsISE_E10value_typeEPNSK_ISF_E10value_typeEPSG_NS1_7vsmem_tEENKUlT_SE_SF_SG_E_clIS8_S8_S9_S9_EESD_ST_SE_SF_SG_EUlST_E0_NS1_11comp_targetILNS1_3genE0ELNS1_11target_archE4294967295ELNS1_3gpuE0ELNS1_3repE0EEENS1_38merge_mergepath_config_static_selectorELNS0_4arch9wavefront6targetE1EEEvSF_ ; -- Begin function _ZN7rocprim17ROCPRIM_400000_NS6detail17trampoline_kernelINS0_14default_configENS1_38merge_sort_block_merge_config_selectorIaNS0_10empty_typeEEEZZNS1_27merge_sort_block_merge_implIS3_PaPS5_jNS1_19radix_merge_compareILb1ELb1EaNS0_19identity_decomposerEEEEE10hipError_tT0_T1_T2_jT3_P12ihipStream_tbPNSt15iterator_traitsISE_E10value_typeEPNSK_ISF_E10value_typeEPSG_NS1_7vsmem_tEENKUlT_SE_SF_SG_E_clIS8_S8_S9_S9_EESD_ST_SE_SF_SG_EUlST_E0_NS1_11comp_targetILNS1_3genE0ELNS1_11target_archE4294967295ELNS1_3gpuE0ELNS1_3repE0EEENS1_38merge_mergepath_config_static_selectorELNS0_4arch9wavefront6targetE1EEEvSF_
	.globl	_ZN7rocprim17ROCPRIM_400000_NS6detail17trampoline_kernelINS0_14default_configENS1_38merge_sort_block_merge_config_selectorIaNS0_10empty_typeEEEZZNS1_27merge_sort_block_merge_implIS3_PaPS5_jNS1_19radix_merge_compareILb1ELb1EaNS0_19identity_decomposerEEEEE10hipError_tT0_T1_T2_jT3_P12ihipStream_tbPNSt15iterator_traitsISE_E10value_typeEPNSK_ISF_E10value_typeEPSG_NS1_7vsmem_tEENKUlT_SE_SF_SG_E_clIS8_S8_S9_S9_EESD_ST_SE_SF_SG_EUlST_E0_NS1_11comp_targetILNS1_3genE0ELNS1_11target_archE4294967295ELNS1_3gpuE0ELNS1_3repE0EEENS1_38merge_mergepath_config_static_selectorELNS0_4arch9wavefront6targetE1EEEvSF_
	.p2align	8
	.type	_ZN7rocprim17ROCPRIM_400000_NS6detail17trampoline_kernelINS0_14default_configENS1_38merge_sort_block_merge_config_selectorIaNS0_10empty_typeEEEZZNS1_27merge_sort_block_merge_implIS3_PaPS5_jNS1_19radix_merge_compareILb1ELb1EaNS0_19identity_decomposerEEEEE10hipError_tT0_T1_T2_jT3_P12ihipStream_tbPNSt15iterator_traitsISE_E10value_typeEPNSK_ISF_E10value_typeEPSG_NS1_7vsmem_tEENKUlT_SE_SF_SG_E_clIS8_S8_S9_S9_EESD_ST_SE_SF_SG_EUlST_E0_NS1_11comp_targetILNS1_3genE0ELNS1_11target_archE4294967295ELNS1_3gpuE0ELNS1_3repE0EEENS1_38merge_mergepath_config_static_selectorELNS0_4arch9wavefront6targetE1EEEvSF_,@function
_ZN7rocprim17ROCPRIM_400000_NS6detail17trampoline_kernelINS0_14default_configENS1_38merge_sort_block_merge_config_selectorIaNS0_10empty_typeEEEZZNS1_27merge_sort_block_merge_implIS3_PaPS5_jNS1_19radix_merge_compareILb1ELb1EaNS0_19identity_decomposerEEEEE10hipError_tT0_T1_T2_jT3_P12ihipStream_tbPNSt15iterator_traitsISE_E10value_typeEPNSK_ISF_E10value_typeEPSG_NS1_7vsmem_tEENKUlT_SE_SF_SG_E_clIS8_S8_S9_S9_EESD_ST_SE_SF_SG_EUlST_E0_NS1_11comp_targetILNS1_3genE0ELNS1_11target_archE4294967295ELNS1_3gpuE0ELNS1_3repE0EEENS1_38merge_mergepath_config_static_selectorELNS0_4arch9wavefront6targetE1EEEvSF_: ; @_ZN7rocprim17ROCPRIM_400000_NS6detail17trampoline_kernelINS0_14default_configENS1_38merge_sort_block_merge_config_selectorIaNS0_10empty_typeEEEZZNS1_27merge_sort_block_merge_implIS3_PaPS5_jNS1_19radix_merge_compareILb1ELb1EaNS0_19identity_decomposerEEEEE10hipError_tT0_T1_T2_jT3_P12ihipStream_tbPNSt15iterator_traitsISE_E10value_typeEPNSK_ISF_E10value_typeEPSG_NS1_7vsmem_tEENKUlT_SE_SF_SG_E_clIS8_S8_S9_S9_EESD_ST_SE_SF_SG_EUlST_E0_NS1_11comp_targetILNS1_3genE0ELNS1_11target_archE4294967295ELNS1_3gpuE0ELNS1_3repE0EEENS1_38merge_mergepath_config_static_selectorELNS0_4arch9wavefront6targetE1EEEvSF_
; %bb.0:
	.section	.rodata,"a",@progbits
	.p2align	6, 0x0
	.amdhsa_kernel _ZN7rocprim17ROCPRIM_400000_NS6detail17trampoline_kernelINS0_14default_configENS1_38merge_sort_block_merge_config_selectorIaNS0_10empty_typeEEEZZNS1_27merge_sort_block_merge_implIS3_PaPS5_jNS1_19radix_merge_compareILb1ELb1EaNS0_19identity_decomposerEEEEE10hipError_tT0_T1_T2_jT3_P12ihipStream_tbPNSt15iterator_traitsISE_E10value_typeEPNSK_ISF_E10value_typeEPSG_NS1_7vsmem_tEENKUlT_SE_SF_SG_E_clIS8_S8_S9_S9_EESD_ST_SE_SF_SG_EUlST_E0_NS1_11comp_targetILNS1_3genE0ELNS1_11target_archE4294967295ELNS1_3gpuE0ELNS1_3repE0EEENS1_38merge_mergepath_config_static_selectorELNS0_4arch9wavefront6targetE1EEEvSF_
		.amdhsa_group_segment_fixed_size 0
		.amdhsa_private_segment_fixed_size 0
		.amdhsa_kernarg_size 64
		.amdhsa_user_sgpr_count 6
		.amdhsa_user_sgpr_private_segment_buffer 1
		.amdhsa_user_sgpr_dispatch_ptr 0
		.amdhsa_user_sgpr_queue_ptr 0
		.amdhsa_user_sgpr_kernarg_segment_ptr 1
		.amdhsa_user_sgpr_dispatch_id 0
		.amdhsa_user_sgpr_flat_scratch_init 0
		.amdhsa_user_sgpr_kernarg_preload_length 0
		.amdhsa_user_sgpr_kernarg_preload_offset 0
		.amdhsa_user_sgpr_private_segment_size 0
		.amdhsa_uses_dynamic_stack 0
		.amdhsa_system_sgpr_private_segment_wavefront_offset 0
		.amdhsa_system_sgpr_workgroup_id_x 1
		.amdhsa_system_sgpr_workgroup_id_y 0
		.amdhsa_system_sgpr_workgroup_id_z 0
		.amdhsa_system_sgpr_workgroup_info 0
		.amdhsa_system_vgpr_workitem_id 0
		.amdhsa_next_free_vgpr 1
		.amdhsa_next_free_sgpr 0
		.amdhsa_accum_offset 4
		.amdhsa_reserve_vcc 0
		.amdhsa_reserve_flat_scratch 0
		.amdhsa_float_round_mode_32 0
		.amdhsa_float_round_mode_16_64 0
		.amdhsa_float_denorm_mode_32 3
		.amdhsa_float_denorm_mode_16_64 3
		.amdhsa_dx10_clamp 1
		.amdhsa_ieee_mode 1
		.amdhsa_fp16_overflow 0
		.amdhsa_tg_split 0
		.amdhsa_exception_fp_ieee_invalid_op 0
		.amdhsa_exception_fp_denorm_src 0
		.amdhsa_exception_fp_ieee_div_zero 0
		.amdhsa_exception_fp_ieee_overflow 0
		.amdhsa_exception_fp_ieee_underflow 0
		.amdhsa_exception_fp_ieee_inexact 0
		.amdhsa_exception_int_div_zero 0
	.end_amdhsa_kernel
	.section	.text._ZN7rocprim17ROCPRIM_400000_NS6detail17trampoline_kernelINS0_14default_configENS1_38merge_sort_block_merge_config_selectorIaNS0_10empty_typeEEEZZNS1_27merge_sort_block_merge_implIS3_PaPS5_jNS1_19radix_merge_compareILb1ELb1EaNS0_19identity_decomposerEEEEE10hipError_tT0_T1_T2_jT3_P12ihipStream_tbPNSt15iterator_traitsISE_E10value_typeEPNSK_ISF_E10value_typeEPSG_NS1_7vsmem_tEENKUlT_SE_SF_SG_E_clIS8_S8_S9_S9_EESD_ST_SE_SF_SG_EUlST_E0_NS1_11comp_targetILNS1_3genE0ELNS1_11target_archE4294967295ELNS1_3gpuE0ELNS1_3repE0EEENS1_38merge_mergepath_config_static_selectorELNS0_4arch9wavefront6targetE1EEEvSF_,"axG",@progbits,_ZN7rocprim17ROCPRIM_400000_NS6detail17trampoline_kernelINS0_14default_configENS1_38merge_sort_block_merge_config_selectorIaNS0_10empty_typeEEEZZNS1_27merge_sort_block_merge_implIS3_PaPS5_jNS1_19radix_merge_compareILb1ELb1EaNS0_19identity_decomposerEEEEE10hipError_tT0_T1_T2_jT3_P12ihipStream_tbPNSt15iterator_traitsISE_E10value_typeEPNSK_ISF_E10value_typeEPSG_NS1_7vsmem_tEENKUlT_SE_SF_SG_E_clIS8_S8_S9_S9_EESD_ST_SE_SF_SG_EUlST_E0_NS1_11comp_targetILNS1_3genE0ELNS1_11target_archE4294967295ELNS1_3gpuE0ELNS1_3repE0EEENS1_38merge_mergepath_config_static_selectorELNS0_4arch9wavefront6targetE1EEEvSF_,comdat
.Lfunc_end1606:
	.size	_ZN7rocprim17ROCPRIM_400000_NS6detail17trampoline_kernelINS0_14default_configENS1_38merge_sort_block_merge_config_selectorIaNS0_10empty_typeEEEZZNS1_27merge_sort_block_merge_implIS3_PaPS5_jNS1_19radix_merge_compareILb1ELb1EaNS0_19identity_decomposerEEEEE10hipError_tT0_T1_T2_jT3_P12ihipStream_tbPNSt15iterator_traitsISE_E10value_typeEPNSK_ISF_E10value_typeEPSG_NS1_7vsmem_tEENKUlT_SE_SF_SG_E_clIS8_S8_S9_S9_EESD_ST_SE_SF_SG_EUlST_E0_NS1_11comp_targetILNS1_3genE0ELNS1_11target_archE4294967295ELNS1_3gpuE0ELNS1_3repE0EEENS1_38merge_mergepath_config_static_selectorELNS0_4arch9wavefront6targetE1EEEvSF_, .Lfunc_end1606-_ZN7rocprim17ROCPRIM_400000_NS6detail17trampoline_kernelINS0_14default_configENS1_38merge_sort_block_merge_config_selectorIaNS0_10empty_typeEEEZZNS1_27merge_sort_block_merge_implIS3_PaPS5_jNS1_19radix_merge_compareILb1ELb1EaNS0_19identity_decomposerEEEEE10hipError_tT0_T1_T2_jT3_P12ihipStream_tbPNSt15iterator_traitsISE_E10value_typeEPNSK_ISF_E10value_typeEPSG_NS1_7vsmem_tEENKUlT_SE_SF_SG_E_clIS8_S8_S9_S9_EESD_ST_SE_SF_SG_EUlST_E0_NS1_11comp_targetILNS1_3genE0ELNS1_11target_archE4294967295ELNS1_3gpuE0ELNS1_3repE0EEENS1_38merge_mergepath_config_static_selectorELNS0_4arch9wavefront6targetE1EEEvSF_
                                        ; -- End function
	.section	.AMDGPU.csdata,"",@progbits
; Kernel info:
; codeLenInByte = 0
; NumSgprs: 4
; NumVgprs: 0
; NumAgprs: 0
; TotalNumVgprs: 0
; ScratchSize: 0
; MemoryBound: 0
; FloatMode: 240
; IeeeMode: 1
; LDSByteSize: 0 bytes/workgroup (compile time only)
; SGPRBlocks: 0
; VGPRBlocks: 0
; NumSGPRsForWavesPerEU: 4
; NumVGPRsForWavesPerEU: 1
; AccumOffset: 4
; Occupancy: 8
; WaveLimiterHint : 0
; COMPUTE_PGM_RSRC2:SCRATCH_EN: 0
; COMPUTE_PGM_RSRC2:USER_SGPR: 6
; COMPUTE_PGM_RSRC2:TRAP_HANDLER: 0
; COMPUTE_PGM_RSRC2:TGID_X_EN: 1
; COMPUTE_PGM_RSRC2:TGID_Y_EN: 0
; COMPUTE_PGM_RSRC2:TGID_Z_EN: 0
; COMPUTE_PGM_RSRC2:TIDIG_COMP_CNT: 0
; COMPUTE_PGM_RSRC3_GFX90A:ACCUM_OFFSET: 0
; COMPUTE_PGM_RSRC3_GFX90A:TG_SPLIT: 0
	.section	.text._ZN7rocprim17ROCPRIM_400000_NS6detail17trampoline_kernelINS0_14default_configENS1_38merge_sort_block_merge_config_selectorIaNS0_10empty_typeEEEZZNS1_27merge_sort_block_merge_implIS3_PaPS5_jNS1_19radix_merge_compareILb1ELb1EaNS0_19identity_decomposerEEEEE10hipError_tT0_T1_T2_jT3_P12ihipStream_tbPNSt15iterator_traitsISE_E10value_typeEPNSK_ISF_E10value_typeEPSG_NS1_7vsmem_tEENKUlT_SE_SF_SG_E_clIS8_S8_S9_S9_EESD_ST_SE_SF_SG_EUlST_E0_NS1_11comp_targetILNS1_3genE10ELNS1_11target_archE1201ELNS1_3gpuE5ELNS1_3repE0EEENS1_38merge_mergepath_config_static_selectorELNS0_4arch9wavefront6targetE1EEEvSF_,"axG",@progbits,_ZN7rocprim17ROCPRIM_400000_NS6detail17trampoline_kernelINS0_14default_configENS1_38merge_sort_block_merge_config_selectorIaNS0_10empty_typeEEEZZNS1_27merge_sort_block_merge_implIS3_PaPS5_jNS1_19radix_merge_compareILb1ELb1EaNS0_19identity_decomposerEEEEE10hipError_tT0_T1_T2_jT3_P12ihipStream_tbPNSt15iterator_traitsISE_E10value_typeEPNSK_ISF_E10value_typeEPSG_NS1_7vsmem_tEENKUlT_SE_SF_SG_E_clIS8_S8_S9_S9_EESD_ST_SE_SF_SG_EUlST_E0_NS1_11comp_targetILNS1_3genE10ELNS1_11target_archE1201ELNS1_3gpuE5ELNS1_3repE0EEENS1_38merge_mergepath_config_static_selectorELNS0_4arch9wavefront6targetE1EEEvSF_,comdat
	.protected	_ZN7rocprim17ROCPRIM_400000_NS6detail17trampoline_kernelINS0_14default_configENS1_38merge_sort_block_merge_config_selectorIaNS0_10empty_typeEEEZZNS1_27merge_sort_block_merge_implIS3_PaPS5_jNS1_19radix_merge_compareILb1ELb1EaNS0_19identity_decomposerEEEEE10hipError_tT0_T1_T2_jT3_P12ihipStream_tbPNSt15iterator_traitsISE_E10value_typeEPNSK_ISF_E10value_typeEPSG_NS1_7vsmem_tEENKUlT_SE_SF_SG_E_clIS8_S8_S9_S9_EESD_ST_SE_SF_SG_EUlST_E0_NS1_11comp_targetILNS1_3genE10ELNS1_11target_archE1201ELNS1_3gpuE5ELNS1_3repE0EEENS1_38merge_mergepath_config_static_selectorELNS0_4arch9wavefront6targetE1EEEvSF_ ; -- Begin function _ZN7rocprim17ROCPRIM_400000_NS6detail17trampoline_kernelINS0_14default_configENS1_38merge_sort_block_merge_config_selectorIaNS0_10empty_typeEEEZZNS1_27merge_sort_block_merge_implIS3_PaPS5_jNS1_19radix_merge_compareILb1ELb1EaNS0_19identity_decomposerEEEEE10hipError_tT0_T1_T2_jT3_P12ihipStream_tbPNSt15iterator_traitsISE_E10value_typeEPNSK_ISF_E10value_typeEPSG_NS1_7vsmem_tEENKUlT_SE_SF_SG_E_clIS8_S8_S9_S9_EESD_ST_SE_SF_SG_EUlST_E0_NS1_11comp_targetILNS1_3genE10ELNS1_11target_archE1201ELNS1_3gpuE5ELNS1_3repE0EEENS1_38merge_mergepath_config_static_selectorELNS0_4arch9wavefront6targetE1EEEvSF_
	.globl	_ZN7rocprim17ROCPRIM_400000_NS6detail17trampoline_kernelINS0_14default_configENS1_38merge_sort_block_merge_config_selectorIaNS0_10empty_typeEEEZZNS1_27merge_sort_block_merge_implIS3_PaPS5_jNS1_19radix_merge_compareILb1ELb1EaNS0_19identity_decomposerEEEEE10hipError_tT0_T1_T2_jT3_P12ihipStream_tbPNSt15iterator_traitsISE_E10value_typeEPNSK_ISF_E10value_typeEPSG_NS1_7vsmem_tEENKUlT_SE_SF_SG_E_clIS8_S8_S9_S9_EESD_ST_SE_SF_SG_EUlST_E0_NS1_11comp_targetILNS1_3genE10ELNS1_11target_archE1201ELNS1_3gpuE5ELNS1_3repE0EEENS1_38merge_mergepath_config_static_selectorELNS0_4arch9wavefront6targetE1EEEvSF_
	.p2align	8
	.type	_ZN7rocprim17ROCPRIM_400000_NS6detail17trampoline_kernelINS0_14default_configENS1_38merge_sort_block_merge_config_selectorIaNS0_10empty_typeEEEZZNS1_27merge_sort_block_merge_implIS3_PaPS5_jNS1_19radix_merge_compareILb1ELb1EaNS0_19identity_decomposerEEEEE10hipError_tT0_T1_T2_jT3_P12ihipStream_tbPNSt15iterator_traitsISE_E10value_typeEPNSK_ISF_E10value_typeEPSG_NS1_7vsmem_tEENKUlT_SE_SF_SG_E_clIS8_S8_S9_S9_EESD_ST_SE_SF_SG_EUlST_E0_NS1_11comp_targetILNS1_3genE10ELNS1_11target_archE1201ELNS1_3gpuE5ELNS1_3repE0EEENS1_38merge_mergepath_config_static_selectorELNS0_4arch9wavefront6targetE1EEEvSF_,@function
_ZN7rocprim17ROCPRIM_400000_NS6detail17trampoline_kernelINS0_14default_configENS1_38merge_sort_block_merge_config_selectorIaNS0_10empty_typeEEEZZNS1_27merge_sort_block_merge_implIS3_PaPS5_jNS1_19radix_merge_compareILb1ELb1EaNS0_19identity_decomposerEEEEE10hipError_tT0_T1_T2_jT3_P12ihipStream_tbPNSt15iterator_traitsISE_E10value_typeEPNSK_ISF_E10value_typeEPSG_NS1_7vsmem_tEENKUlT_SE_SF_SG_E_clIS8_S8_S9_S9_EESD_ST_SE_SF_SG_EUlST_E0_NS1_11comp_targetILNS1_3genE10ELNS1_11target_archE1201ELNS1_3gpuE5ELNS1_3repE0EEENS1_38merge_mergepath_config_static_selectorELNS0_4arch9wavefront6targetE1EEEvSF_: ; @_ZN7rocprim17ROCPRIM_400000_NS6detail17trampoline_kernelINS0_14default_configENS1_38merge_sort_block_merge_config_selectorIaNS0_10empty_typeEEEZZNS1_27merge_sort_block_merge_implIS3_PaPS5_jNS1_19radix_merge_compareILb1ELb1EaNS0_19identity_decomposerEEEEE10hipError_tT0_T1_T2_jT3_P12ihipStream_tbPNSt15iterator_traitsISE_E10value_typeEPNSK_ISF_E10value_typeEPSG_NS1_7vsmem_tEENKUlT_SE_SF_SG_E_clIS8_S8_S9_S9_EESD_ST_SE_SF_SG_EUlST_E0_NS1_11comp_targetILNS1_3genE10ELNS1_11target_archE1201ELNS1_3gpuE5ELNS1_3repE0EEENS1_38merge_mergepath_config_static_selectorELNS0_4arch9wavefront6targetE1EEEvSF_
; %bb.0:
	.section	.rodata,"a",@progbits
	.p2align	6, 0x0
	.amdhsa_kernel _ZN7rocprim17ROCPRIM_400000_NS6detail17trampoline_kernelINS0_14default_configENS1_38merge_sort_block_merge_config_selectorIaNS0_10empty_typeEEEZZNS1_27merge_sort_block_merge_implIS3_PaPS5_jNS1_19radix_merge_compareILb1ELb1EaNS0_19identity_decomposerEEEEE10hipError_tT0_T1_T2_jT3_P12ihipStream_tbPNSt15iterator_traitsISE_E10value_typeEPNSK_ISF_E10value_typeEPSG_NS1_7vsmem_tEENKUlT_SE_SF_SG_E_clIS8_S8_S9_S9_EESD_ST_SE_SF_SG_EUlST_E0_NS1_11comp_targetILNS1_3genE10ELNS1_11target_archE1201ELNS1_3gpuE5ELNS1_3repE0EEENS1_38merge_mergepath_config_static_selectorELNS0_4arch9wavefront6targetE1EEEvSF_
		.amdhsa_group_segment_fixed_size 0
		.amdhsa_private_segment_fixed_size 0
		.amdhsa_kernarg_size 64
		.amdhsa_user_sgpr_count 6
		.amdhsa_user_sgpr_private_segment_buffer 1
		.amdhsa_user_sgpr_dispatch_ptr 0
		.amdhsa_user_sgpr_queue_ptr 0
		.amdhsa_user_sgpr_kernarg_segment_ptr 1
		.amdhsa_user_sgpr_dispatch_id 0
		.amdhsa_user_sgpr_flat_scratch_init 0
		.amdhsa_user_sgpr_kernarg_preload_length 0
		.amdhsa_user_sgpr_kernarg_preload_offset 0
		.amdhsa_user_sgpr_private_segment_size 0
		.amdhsa_uses_dynamic_stack 0
		.amdhsa_system_sgpr_private_segment_wavefront_offset 0
		.amdhsa_system_sgpr_workgroup_id_x 1
		.amdhsa_system_sgpr_workgroup_id_y 0
		.amdhsa_system_sgpr_workgroup_id_z 0
		.amdhsa_system_sgpr_workgroup_info 0
		.amdhsa_system_vgpr_workitem_id 0
		.amdhsa_next_free_vgpr 1
		.amdhsa_next_free_sgpr 0
		.amdhsa_accum_offset 4
		.amdhsa_reserve_vcc 0
		.amdhsa_reserve_flat_scratch 0
		.amdhsa_float_round_mode_32 0
		.amdhsa_float_round_mode_16_64 0
		.amdhsa_float_denorm_mode_32 3
		.amdhsa_float_denorm_mode_16_64 3
		.amdhsa_dx10_clamp 1
		.amdhsa_ieee_mode 1
		.amdhsa_fp16_overflow 0
		.amdhsa_tg_split 0
		.amdhsa_exception_fp_ieee_invalid_op 0
		.amdhsa_exception_fp_denorm_src 0
		.amdhsa_exception_fp_ieee_div_zero 0
		.amdhsa_exception_fp_ieee_overflow 0
		.amdhsa_exception_fp_ieee_underflow 0
		.amdhsa_exception_fp_ieee_inexact 0
		.amdhsa_exception_int_div_zero 0
	.end_amdhsa_kernel
	.section	.text._ZN7rocprim17ROCPRIM_400000_NS6detail17trampoline_kernelINS0_14default_configENS1_38merge_sort_block_merge_config_selectorIaNS0_10empty_typeEEEZZNS1_27merge_sort_block_merge_implIS3_PaPS5_jNS1_19radix_merge_compareILb1ELb1EaNS0_19identity_decomposerEEEEE10hipError_tT0_T1_T2_jT3_P12ihipStream_tbPNSt15iterator_traitsISE_E10value_typeEPNSK_ISF_E10value_typeEPSG_NS1_7vsmem_tEENKUlT_SE_SF_SG_E_clIS8_S8_S9_S9_EESD_ST_SE_SF_SG_EUlST_E0_NS1_11comp_targetILNS1_3genE10ELNS1_11target_archE1201ELNS1_3gpuE5ELNS1_3repE0EEENS1_38merge_mergepath_config_static_selectorELNS0_4arch9wavefront6targetE1EEEvSF_,"axG",@progbits,_ZN7rocprim17ROCPRIM_400000_NS6detail17trampoline_kernelINS0_14default_configENS1_38merge_sort_block_merge_config_selectorIaNS0_10empty_typeEEEZZNS1_27merge_sort_block_merge_implIS3_PaPS5_jNS1_19radix_merge_compareILb1ELb1EaNS0_19identity_decomposerEEEEE10hipError_tT0_T1_T2_jT3_P12ihipStream_tbPNSt15iterator_traitsISE_E10value_typeEPNSK_ISF_E10value_typeEPSG_NS1_7vsmem_tEENKUlT_SE_SF_SG_E_clIS8_S8_S9_S9_EESD_ST_SE_SF_SG_EUlST_E0_NS1_11comp_targetILNS1_3genE10ELNS1_11target_archE1201ELNS1_3gpuE5ELNS1_3repE0EEENS1_38merge_mergepath_config_static_selectorELNS0_4arch9wavefront6targetE1EEEvSF_,comdat
.Lfunc_end1607:
	.size	_ZN7rocprim17ROCPRIM_400000_NS6detail17trampoline_kernelINS0_14default_configENS1_38merge_sort_block_merge_config_selectorIaNS0_10empty_typeEEEZZNS1_27merge_sort_block_merge_implIS3_PaPS5_jNS1_19radix_merge_compareILb1ELb1EaNS0_19identity_decomposerEEEEE10hipError_tT0_T1_T2_jT3_P12ihipStream_tbPNSt15iterator_traitsISE_E10value_typeEPNSK_ISF_E10value_typeEPSG_NS1_7vsmem_tEENKUlT_SE_SF_SG_E_clIS8_S8_S9_S9_EESD_ST_SE_SF_SG_EUlST_E0_NS1_11comp_targetILNS1_3genE10ELNS1_11target_archE1201ELNS1_3gpuE5ELNS1_3repE0EEENS1_38merge_mergepath_config_static_selectorELNS0_4arch9wavefront6targetE1EEEvSF_, .Lfunc_end1607-_ZN7rocprim17ROCPRIM_400000_NS6detail17trampoline_kernelINS0_14default_configENS1_38merge_sort_block_merge_config_selectorIaNS0_10empty_typeEEEZZNS1_27merge_sort_block_merge_implIS3_PaPS5_jNS1_19radix_merge_compareILb1ELb1EaNS0_19identity_decomposerEEEEE10hipError_tT0_T1_T2_jT3_P12ihipStream_tbPNSt15iterator_traitsISE_E10value_typeEPNSK_ISF_E10value_typeEPSG_NS1_7vsmem_tEENKUlT_SE_SF_SG_E_clIS8_S8_S9_S9_EESD_ST_SE_SF_SG_EUlST_E0_NS1_11comp_targetILNS1_3genE10ELNS1_11target_archE1201ELNS1_3gpuE5ELNS1_3repE0EEENS1_38merge_mergepath_config_static_selectorELNS0_4arch9wavefront6targetE1EEEvSF_
                                        ; -- End function
	.section	.AMDGPU.csdata,"",@progbits
; Kernel info:
; codeLenInByte = 0
; NumSgprs: 4
; NumVgprs: 0
; NumAgprs: 0
; TotalNumVgprs: 0
; ScratchSize: 0
; MemoryBound: 0
; FloatMode: 240
; IeeeMode: 1
; LDSByteSize: 0 bytes/workgroup (compile time only)
; SGPRBlocks: 0
; VGPRBlocks: 0
; NumSGPRsForWavesPerEU: 4
; NumVGPRsForWavesPerEU: 1
; AccumOffset: 4
; Occupancy: 8
; WaveLimiterHint : 0
; COMPUTE_PGM_RSRC2:SCRATCH_EN: 0
; COMPUTE_PGM_RSRC2:USER_SGPR: 6
; COMPUTE_PGM_RSRC2:TRAP_HANDLER: 0
; COMPUTE_PGM_RSRC2:TGID_X_EN: 1
; COMPUTE_PGM_RSRC2:TGID_Y_EN: 0
; COMPUTE_PGM_RSRC2:TGID_Z_EN: 0
; COMPUTE_PGM_RSRC2:TIDIG_COMP_CNT: 0
; COMPUTE_PGM_RSRC3_GFX90A:ACCUM_OFFSET: 0
; COMPUTE_PGM_RSRC3_GFX90A:TG_SPLIT: 0
	.section	.text._ZN7rocprim17ROCPRIM_400000_NS6detail17trampoline_kernelINS0_14default_configENS1_38merge_sort_block_merge_config_selectorIaNS0_10empty_typeEEEZZNS1_27merge_sort_block_merge_implIS3_PaPS5_jNS1_19radix_merge_compareILb1ELb1EaNS0_19identity_decomposerEEEEE10hipError_tT0_T1_T2_jT3_P12ihipStream_tbPNSt15iterator_traitsISE_E10value_typeEPNSK_ISF_E10value_typeEPSG_NS1_7vsmem_tEENKUlT_SE_SF_SG_E_clIS8_S8_S9_S9_EESD_ST_SE_SF_SG_EUlST_E0_NS1_11comp_targetILNS1_3genE5ELNS1_11target_archE942ELNS1_3gpuE9ELNS1_3repE0EEENS1_38merge_mergepath_config_static_selectorELNS0_4arch9wavefront6targetE1EEEvSF_,"axG",@progbits,_ZN7rocprim17ROCPRIM_400000_NS6detail17trampoline_kernelINS0_14default_configENS1_38merge_sort_block_merge_config_selectorIaNS0_10empty_typeEEEZZNS1_27merge_sort_block_merge_implIS3_PaPS5_jNS1_19radix_merge_compareILb1ELb1EaNS0_19identity_decomposerEEEEE10hipError_tT0_T1_T2_jT3_P12ihipStream_tbPNSt15iterator_traitsISE_E10value_typeEPNSK_ISF_E10value_typeEPSG_NS1_7vsmem_tEENKUlT_SE_SF_SG_E_clIS8_S8_S9_S9_EESD_ST_SE_SF_SG_EUlST_E0_NS1_11comp_targetILNS1_3genE5ELNS1_11target_archE942ELNS1_3gpuE9ELNS1_3repE0EEENS1_38merge_mergepath_config_static_selectorELNS0_4arch9wavefront6targetE1EEEvSF_,comdat
	.protected	_ZN7rocprim17ROCPRIM_400000_NS6detail17trampoline_kernelINS0_14default_configENS1_38merge_sort_block_merge_config_selectorIaNS0_10empty_typeEEEZZNS1_27merge_sort_block_merge_implIS3_PaPS5_jNS1_19radix_merge_compareILb1ELb1EaNS0_19identity_decomposerEEEEE10hipError_tT0_T1_T2_jT3_P12ihipStream_tbPNSt15iterator_traitsISE_E10value_typeEPNSK_ISF_E10value_typeEPSG_NS1_7vsmem_tEENKUlT_SE_SF_SG_E_clIS8_S8_S9_S9_EESD_ST_SE_SF_SG_EUlST_E0_NS1_11comp_targetILNS1_3genE5ELNS1_11target_archE942ELNS1_3gpuE9ELNS1_3repE0EEENS1_38merge_mergepath_config_static_selectorELNS0_4arch9wavefront6targetE1EEEvSF_ ; -- Begin function _ZN7rocprim17ROCPRIM_400000_NS6detail17trampoline_kernelINS0_14default_configENS1_38merge_sort_block_merge_config_selectorIaNS0_10empty_typeEEEZZNS1_27merge_sort_block_merge_implIS3_PaPS5_jNS1_19radix_merge_compareILb1ELb1EaNS0_19identity_decomposerEEEEE10hipError_tT0_T1_T2_jT3_P12ihipStream_tbPNSt15iterator_traitsISE_E10value_typeEPNSK_ISF_E10value_typeEPSG_NS1_7vsmem_tEENKUlT_SE_SF_SG_E_clIS8_S8_S9_S9_EESD_ST_SE_SF_SG_EUlST_E0_NS1_11comp_targetILNS1_3genE5ELNS1_11target_archE942ELNS1_3gpuE9ELNS1_3repE0EEENS1_38merge_mergepath_config_static_selectorELNS0_4arch9wavefront6targetE1EEEvSF_
	.globl	_ZN7rocprim17ROCPRIM_400000_NS6detail17trampoline_kernelINS0_14default_configENS1_38merge_sort_block_merge_config_selectorIaNS0_10empty_typeEEEZZNS1_27merge_sort_block_merge_implIS3_PaPS5_jNS1_19radix_merge_compareILb1ELb1EaNS0_19identity_decomposerEEEEE10hipError_tT0_T1_T2_jT3_P12ihipStream_tbPNSt15iterator_traitsISE_E10value_typeEPNSK_ISF_E10value_typeEPSG_NS1_7vsmem_tEENKUlT_SE_SF_SG_E_clIS8_S8_S9_S9_EESD_ST_SE_SF_SG_EUlST_E0_NS1_11comp_targetILNS1_3genE5ELNS1_11target_archE942ELNS1_3gpuE9ELNS1_3repE0EEENS1_38merge_mergepath_config_static_selectorELNS0_4arch9wavefront6targetE1EEEvSF_
	.p2align	8
	.type	_ZN7rocprim17ROCPRIM_400000_NS6detail17trampoline_kernelINS0_14default_configENS1_38merge_sort_block_merge_config_selectorIaNS0_10empty_typeEEEZZNS1_27merge_sort_block_merge_implIS3_PaPS5_jNS1_19radix_merge_compareILb1ELb1EaNS0_19identity_decomposerEEEEE10hipError_tT0_T1_T2_jT3_P12ihipStream_tbPNSt15iterator_traitsISE_E10value_typeEPNSK_ISF_E10value_typeEPSG_NS1_7vsmem_tEENKUlT_SE_SF_SG_E_clIS8_S8_S9_S9_EESD_ST_SE_SF_SG_EUlST_E0_NS1_11comp_targetILNS1_3genE5ELNS1_11target_archE942ELNS1_3gpuE9ELNS1_3repE0EEENS1_38merge_mergepath_config_static_selectorELNS0_4arch9wavefront6targetE1EEEvSF_,@function
_ZN7rocprim17ROCPRIM_400000_NS6detail17trampoline_kernelINS0_14default_configENS1_38merge_sort_block_merge_config_selectorIaNS0_10empty_typeEEEZZNS1_27merge_sort_block_merge_implIS3_PaPS5_jNS1_19radix_merge_compareILb1ELb1EaNS0_19identity_decomposerEEEEE10hipError_tT0_T1_T2_jT3_P12ihipStream_tbPNSt15iterator_traitsISE_E10value_typeEPNSK_ISF_E10value_typeEPSG_NS1_7vsmem_tEENKUlT_SE_SF_SG_E_clIS8_S8_S9_S9_EESD_ST_SE_SF_SG_EUlST_E0_NS1_11comp_targetILNS1_3genE5ELNS1_11target_archE942ELNS1_3gpuE9ELNS1_3repE0EEENS1_38merge_mergepath_config_static_selectorELNS0_4arch9wavefront6targetE1EEEvSF_: ; @_ZN7rocprim17ROCPRIM_400000_NS6detail17trampoline_kernelINS0_14default_configENS1_38merge_sort_block_merge_config_selectorIaNS0_10empty_typeEEEZZNS1_27merge_sort_block_merge_implIS3_PaPS5_jNS1_19radix_merge_compareILb1ELb1EaNS0_19identity_decomposerEEEEE10hipError_tT0_T1_T2_jT3_P12ihipStream_tbPNSt15iterator_traitsISE_E10value_typeEPNSK_ISF_E10value_typeEPSG_NS1_7vsmem_tEENKUlT_SE_SF_SG_E_clIS8_S8_S9_S9_EESD_ST_SE_SF_SG_EUlST_E0_NS1_11comp_targetILNS1_3genE5ELNS1_11target_archE942ELNS1_3gpuE9ELNS1_3repE0EEENS1_38merge_mergepath_config_static_selectorELNS0_4arch9wavefront6targetE1EEEvSF_
; %bb.0:
	.section	.rodata,"a",@progbits
	.p2align	6, 0x0
	.amdhsa_kernel _ZN7rocprim17ROCPRIM_400000_NS6detail17trampoline_kernelINS0_14default_configENS1_38merge_sort_block_merge_config_selectorIaNS0_10empty_typeEEEZZNS1_27merge_sort_block_merge_implIS3_PaPS5_jNS1_19radix_merge_compareILb1ELb1EaNS0_19identity_decomposerEEEEE10hipError_tT0_T1_T2_jT3_P12ihipStream_tbPNSt15iterator_traitsISE_E10value_typeEPNSK_ISF_E10value_typeEPSG_NS1_7vsmem_tEENKUlT_SE_SF_SG_E_clIS8_S8_S9_S9_EESD_ST_SE_SF_SG_EUlST_E0_NS1_11comp_targetILNS1_3genE5ELNS1_11target_archE942ELNS1_3gpuE9ELNS1_3repE0EEENS1_38merge_mergepath_config_static_selectorELNS0_4arch9wavefront6targetE1EEEvSF_
		.amdhsa_group_segment_fixed_size 0
		.amdhsa_private_segment_fixed_size 0
		.amdhsa_kernarg_size 64
		.amdhsa_user_sgpr_count 6
		.amdhsa_user_sgpr_private_segment_buffer 1
		.amdhsa_user_sgpr_dispatch_ptr 0
		.amdhsa_user_sgpr_queue_ptr 0
		.amdhsa_user_sgpr_kernarg_segment_ptr 1
		.amdhsa_user_sgpr_dispatch_id 0
		.amdhsa_user_sgpr_flat_scratch_init 0
		.amdhsa_user_sgpr_kernarg_preload_length 0
		.amdhsa_user_sgpr_kernarg_preload_offset 0
		.amdhsa_user_sgpr_private_segment_size 0
		.amdhsa_uses_dynamic_stack 0
		.amdhsa_system_sgpr_private_segment_wavefront_offset 0
		.amdhsa_system_sgpr_workgroup_id_x 1
		.amdhsa_system_sgpr_workgroup_id_y 0
		.amdhsa_system_sgpr_workgroup_id_z 0
		.amdhsa_system_sgpr_workgroup_info 0
		.amdhsa_system_vgpr_workitem_id 0
		.amdhsa_next_free_vgpr 1
		.amdhsa_next_free_sgpr 0
		.amdhsa_accum_offset 4
		.amdhsa_reserve_vcc 0
		.amdhsa_reserve_flat_scratch 0
		.amdhsa_float_round_mode_32 0
		.amdhsa_float_round_mode_16_64 0
		.amdhsa_float_denorm_mode_32 3
		.amdhsa_float_denorm_mode_16_64 3
		.amdhsa_dx10_clamp 1
		.amdhsa_ieee_mode 1
		.amdhsa_fp16_overflow 0
		.amdhsa_tg_split 0
		.amdhsa_exception_fp_ieee_invalid_op 0
		.amdhsa_exception_fp_denorm_src 0
		.amdhsa_exception_fp_ieee_div_zero 0
		.amdhsa_exception_fp_ieee_overflow 0
		.amdhsa_exception_fp_ieee_underflow 0
		.amdhsa_exception_fp_ieee_inexact 0
		.amdhsa_exception_int_div_zero 0
	.end_amdhsa_kernel
	.section	.text._ZN7rocprim17ROCPRIM_400000_NS6detail17trampoline_kernelINS0_14default_configENS1_38merge_sort_block_merge_config_selectorIaNS0_10empty_typeEEEZZNS1_27merge_sort_block_merge_implIS3_PaPS5_jNS1_19radix_merge_compareILb1ELb1EaNS0_19identity_decomposerEEEEE10hipError_tT0_T1_T2_jT3_P12ihipStream_tbPNSt15iterator_traitsISE_E10value_typeEPNSK_ISF_E10value_typeEPSG_NS1_7vsmem_tEENKUlT_SE_SF_SG_E_clIS8_S8_S9_S9_EESD_ST_SE_SF_SG_EUlST_E0_NS1_11comp_targetILNS1_3genE5ELNS1_11target_archE942ELNS1_3gpuE9ELNS1_3repE0EEENS1_38merge_mergepath_config_static_selectorELNS0_4arch9wavefront6targetE1EEEvSF_,"axG",@progbits,_ZN7rocprim17ROCPRIM_400000_NS6detail17trampoline_kernelINS0_14default_configENS1_38merge_sort_block_merge_config_selectorIaNS0_10empty_typeEEEZZNS1_27merge_sort_block_merge_implIS3_PaPS5_jNS1_19radix_merge_compareILb1ELb1EaNS0_19identity_decomposerEEEEE10hipError_tT0_T1_T2_jT3_P12ihipStream_tbPNSt15iterator_traitsISE_E10value_typeEPNSK_ISF_E10value_typeEPSG_NS1_7vsmem_tEENKUlT_SE_SF_SG_E_clIS8_S8_S9_S9_EESD_ST_SE_SF_SG_EUlST_E0_NS1_11comp_targetILNS1_3genE5ELNS1_11target_archE942ELNS1_3gpuE9ELNS1_3repE0EEENS1_38merge_mergepath_config_static_selectorELNS0_4arch9wavefront6targetE1EEEvSF_,comdat
.Lfunc_end1608:
	.size	_ZN7rocprim17ROCPRIM_400000_NS6detail17trampoline_kernelINS0_14default_configENS1_38merge_sort_block_merge_config_selectorIaNS0_10empty_typeEEEZZNS1_27merge_sort_block_merge_implIS3_PaPS5_jNS1_19radix_merge_compareILb1ELb1EaNS0_19identity_decomposerEEEEE10hipError_tT0_T1_T2_jT3_P12ihipStream_tbPNSt15iterator_traitsISE_E10value_typeEPNSK_ISF_E10value_typeEPSG_NS1_7vsmem_tEENKUlT_SE_SF_SG_E_clIS8_S8_S9_S9_EESD_ST_SE_SF_SG_EUlST_E0_NS1_11comp_targetILNS1_3genE5ELNS1_11target_archE942ELNS1_3gpuE9ELNS1_3repE0EEENS1_38merge_mergepath_config_static_selectorELNS0_4arch9wavefront6targetE1EEEvSF_, .Lfunc_end1608-_ZN7rocprim17ROCPRIM_400000_NS6detail17trampoline_kernelINS0_14default_configENS1_38merge_sort_block_merge_config_selectorIaNS0_10empty_typeEEEZZNS1_27merge_sort_block_merge_implIS3_PaPS5_jNS1_19radix_merge_compareILb1ELb1EaNS0_19identity_decomposerEEEEE10hipError_tT0_T1_T2_jT3_P12ihipStream_tbPNSt15iterator_traitsISE_E10value_typeEPNSK_ISF_E10value_typeEPSG_NS1_7vsmem_tEENKUlT_SE_SF_SG_E_clIS8_S8_S9_S9_EESD_ST_SE_SF_SG_EUlST_E0_NS1_11comp_targetILNS1_3genE5ELNS1_11target_archE942ELNS1_3gpuE9ELNS1_3repE0EEENS1_38merge_mergepath_config_static_selectorELNS0_4arch9wavefront6targetE1EEEvSF_
                                        ; -- End function
	.section	.AMDGPU.csdata,"",@progbits
; Kernel info:
; codeLenInByte = 0
; NumSgprs: 4
; NumVgprs: 0
; NumAgprs: 0
; TotalNumVgprs: 0
; ScratchSize: 0
; MemoryBound: 0
; FloatMode: 240
; IeeeMode: 1
; LDSByteSize: 0 bytes/workgroup (compile time only)
; SGPRBlocks: 0
; VGPRBlocks: 0
; NumSGPRsForWavesPerEU: 4
; NumVGPRsForWavesPerEU: 1
; AccumOffset: 4
; Occupancy: 8
; WaveLimiterHint : 0
; COMPUTE_PGM_RSRC2:SCRATCH_EN: 0
; COMPUTE_PGM_RSRC2:USER_SGPR: 6
; COMPUTE_PGM_RSRC2:TRAP_HANDLER: 0
; COMPUTE_PGM_RSRC2:TGID_X_EN: 1
; COMPUTE_PGM_RSRC2:TGID_Y_EN: 0
; COMPUTE_PGM_RSRC2:TGID_Z_EN: 0
; COMPUTE_PGM_RSRC2:TIDIG_COMP_CNT: 0
; COMPUTE_PGM_RSRC3_GFX90A:ACCUM_OFFSET: 0
; COMPUTE_PGM_RSRC3_GFX90A:TG_SPLIT: 0
	.section	.text._ZN7rocprim17ROCPRIM_400000_NS6detail17trampoline_kernelINS0_14default_configENS1_38merge_sort_block_merge_config_selectorIaNS0_10empty_typeEEEZZNS1_27merge_sort_block_merge_implIS3_PaPS5_jNS1_19radix_merge_compareILb1ELb1EaNS0_19identity_decomposerEEEEE10hipError_tT0_T1_T2_jT3_P12ihipStream_tbPNSt15iterator_traitsISE_E10value_typeEPNSK_ISF_E10value_typeEPSG_NS1_7vsmem_tEENKUlT_SE_SF_SG_E_clIS8_S8_S9_S9_EESD_ST_SE_SF_SG_EUlST_E0_NS1_11comp_targetILNS1_3genE4ELNS1_11target_archE910ELNS1_3gpuE8ELNS1_3repE0EEENS1_38merge_mergepath_config_static_selectorELNS0_4arch9wavefront6targetE1EEEvSF_,"axG",@progbits,_ZN7rocprim17ROCPRIM_400000_NS6detail17trampoline_kernelINS0_14default_configENS1_38merge_sort_block_merge_config_selectorIaNS0_10empty_typeEEEZZNS1_27merge_sort_block_merge_implIS3_PaPS5_jNS1_19radix_merge_compareILb1ELb1EaNS0_19identity_decomposerEEEEE10hipError_tT0_T1_T2_jT3_P12ihipStream_tbPNSt15iterator_traitsISE_E10value_typeEPNSK_ISF_E10value_typeEPSG_NS1_7vsmem_tEENKUlT_SE_SF_SG_E_clIS8_S8_S9_S9_EESD_ST_SE_SF_SG_EUlST_E0_NS1_11comp_targetILNS1_3genE4ELNS1_11target_archE910ELNS1_3gpuE8ELNS1_3repE0EEENS1_38merge_mergepath_config_static_selectorELNS0_4arch9wavefront6targetE1EEEvSF_,comdat
	.protected	_ZN7rocprim17ROCPRIM_400000_NS6detail17trampoline_kernelINS0_14default_configENS1_38merge_sort_block_merge_config_selectorIaNS0_10empty_typeEEEZZNS1_27merge_sort_block_merge_implIS3_PaPS5_jNS1_19radix_merge_compareILb1ELb1EaNS0_19identity_decomposerEEEEE10hipError_tT0_T1_T2_jT3_P12ihipStream_tbPNSt15iterator_traitsISE_E10value_typeEPNSK_ISF_E10value_typeEPSG_NS1_7vsmem_tEENKUlT_SE_SF_SG_E_clIS8_S8_S9_S9_EESD_ST_SE_SF_SG_EUlST_E0_NS1_11comp_targetILNS1_3genE4ELNS1_11target_archE910ELNS1_3gpuE8ELNS1_3repE0EEENS1_38merge_mergepath_config_static_selectorELNS0_4arch9wavefront6targetE1EEEvSF_ ; -- Begin function _ZN7rocprim17ROCPRIM_400000_NS6detail17trampoline_kernelINS0_14default_configENS1_38merge_sort_block_merge_config_selectorIaNS0_10empty_typeEEEZZNS1_27merge_sort_block_merge_implIS3_PaPS5_jNS1_19radix_merge_compareILb1ELb1EaNS0_19identity_decomposerEEEEE10hipError_tT0_T1_T2_jT3_P12ihipStream_tbPNSt15iterator_traitsISE_E10value_typeEPNSK_ISF_E10value_typeEPSG_NS1_7vsmem_tEENKUlT_SE_SF_SG_E_clIS8_S8_S9_S9_EESD_ST_SE_SF_SG_EUlST_E0_NS1_11comp_targetILNS1_3genE4ELNS1_11target_archE910ELNS1_3gpuE8ELNS1_3repE0EEENS1_38merge_mergepath_config_static_selectorELNS0_4arch9wavefront6targetE1EEEvSF_
	.globl	_ZN7rocprim17ROCPRIM_400000_NS6detail17trampoline_kernelINS0_14default_configENS1_38merge_sort_block_merge_config_selectorIaNS0_10empty_typeEEEZZNS1_27merge_sort_block_merge_implIS3_PaPS5_jNS1_19radix_merge_compareILb1ELb1EaNS0_19identity_decomposerEEEEE10hipError_tT0_T1_T2_jT3_P12ihipStream_tbPNSt15iterator_traitsISE_E10value_typeEPNSK_ISF_E10value_typeEPSG_NS1_7vsmem_tEENKUlT_SE_SF_SG_E_clIS8_S8_S9_S9_EESD_ST_SE_SF_SG_EUlST_E0_NS1_11comp_targetILNS1_3genE4ELNS1_11target_archE910ELNS1_3gpuE8ELNS1_3repE0EEENS1_38merge_mergepath_config_static_selectorELNS0_4arch9wavefront6targetE1EEEvSF_
	.p2align	8
	.type	_ZN7rocprim17ROCPRIM_400000_NS6detail17trampoline_kernelINS0_14default_configENS1_38merge_sort_block_merge_config_selectorIaNS0_10empty_typeEEEZZNS1_27merge_sort_block_merge_implIS3_PaPS5_jNS1_19radix_merge_compareILb1ELb1EaNS0_19identity_decomposerEEEEE10hipError_tT0_T1_T2_jT3_P12ihipStream_tbPNSt15iterator_traitsISE_E10value_typeEPNSK_ISF_E10value_typeEPSG_NS1_7vsmem_tEENKUlT_SE_SF_SG_E_clIS8_S8_S9_S9_EESD_ST_SE_SF_SG_EUlST_E0_NS1_11comp_targetILNS1_3genE4ELNS1_11target_archE910ELNS1_3gpuE8ELNS1_3repE0EEENS1_38merge_mergepath_config_static_selectorELNS0_4arch9wavefront6targetE1EEEvSF_,@function
_ZN7rocprim17ROCPRIM_400000_NS6detail17trampoline_kernelINS0_14default_configENS1_38merge_sort_block_merge_config_selectorIaNS0_10empty_typeEEEZZNS1_27merge_sort_block_merge_implIS3_PaPS5_jNS1_19radix_merge_compareILb1ELb1EaNS0_19identity_decomposerEEEEE10hipError_tT0_T1_T2_jT3_P12ihipStream_tbPNSt15iterator_traitsISE_E10value_typeEPNSK_ISF_E10value_typeEPSG_NS1_7vsmem_tEENKUlT_SE_SF_SG_E_clIS8_S8_S9_S9_EESD_ST_SE_SF_SG_EUlST_E0_NS1_11comp_targetILNS1_3genE4ELNS1_11target_archE910ELNS1_3gpuE8ELNS1_3repE0EEENS1_38merge_mergepath_config_static_selectorELNS0_4arch9wavefront6targetE1EEEvSF_: ; @_ZN7rocprim17ROCPRIM_400000_NS6detail17trampoline_kernelINS0_14default_configENS1_38merge_sort_block_merge_config_selectorIaNS0_10empty_typeEEEZZNS1_27merge_sort_block_merge_implIS3_PaPS5_jNS1_19radix_merge_compareILb1ELb1EaNS0_19identity_decomposerEEEEE10hipError_tT0_T1_T2_jT3_P12ihipStream_tbPNSt15iterator_traitsISE_E10value_typeEPNSK_ISF_E10value_typeEPSG_NS1_7vsmem_tEENKUlT_SE_SF_SG_E_clIS8_S8_S9_S9_EESD_ST_SE_SF_SG_EUlST_E0_NS1_11comp_targetILNS1_3genE4ELNS1_11target_archE910ELNS1_3gpuE8ELNS1_3repE0EEENS1_38merge_mergepath_config_static_selectorELNS0_4arch9wavefront6targetE1EEEvSF_
; %bb.0:
	s_load_dwordx2 s[10:11], s[4:5], 0x40
	s_load_dword s1, s[4:5], 0x30
	s_add_u32 s2, s4, 64
	s_addc_u32 s3, s5, 0
	s_waitcnt lgkmcnt(0)
	s_mul_i32 s0, s11, s8
	s_add_i32 s0, s0, s7
	s_mul_i32 s0, s0, s10
	s_add_i32 s0, s0, s6
	s_cmp_ge_u32 s0, s1
	s_cbranch_scc1 .LBB1609_51
; %bb.1:
	s_load_dwordx2 s[12:13], s[4:5], 0x28
	s_load_dwordx2 s[8:9], s[4:5], 0x38
	;; [unrolled: 1-line block ×3, first 2 shown]
	s_mov_b32 s1, 0
	v_mov_b32_e32 v1, 0
	s_waitcnt lgkmcnt(0)
	s_lshr_b32 s21, s12, 10
	s_cmp_lg_u32 s0, s21
	s_cselect_b64 s[14:15], -1, 0
	s_lshl_b64 s[18:19], s[0:1], 2
	s_add_u32 s8, s8, s18
	s_addc_u32 s9, s9, s19
	s_lshr_b32 s1, s13, 9
	s_and_b32 s1, s1, 0x7ffffe
	s_load_dwordx2 s[8:9], s[8:9], 0x0
	s_sub_i32 s1, 0, s1
	s_and_b32 s7, s0, s1
	s_lshl_b32 s11, s7, 10
	s_lshl_b32 s20, s0, 10
	s_lshl_b32 s7, s7, 11
	s_sub_i32 s18, s20, s11
	s_add_i32 s7, s7, s13
	s_add_i32 s18, s7, s18
	s_waitcnt lgkmcnt(0)
	s_sub_i32 s19, s18, s8
	s_sub_i32 s18, s18, s9
	;; [unrolled: 1-line block ×3, first 2 shown]
	s_min_u32 s19, s12, s19
	s_addk_i32 s18, 0x400
	s_or_b32 s1, s0, s1
	s_min_u32 s11, s12, s7
	s_add_i32 s7, s7, s13
	s_cmp_eq_u32 s1, -1
	s_cselect_b32 s1, s7, s18
	s_cselect_b32 s7, s11, s9
	s_min_u32 s1, s1, s12
	s_sub_i32 s13, s7, s8
	s_sub_i32 s7, s1, s19
	s_add_u32 s11, s16, s8
	s_addc_u32 s18, s17, 0
	s_add_u32 s8, s16, s19
	s_addc_u32 s9, s17, 0
	s_cmp_lt_u32 s6, s10
	s_cselect_b32 s1, 12, 18
	global_load_dword v2, v1, s[2:3] offset:14
	s_add_u32 s2, s2, s1
	s_addc_u32 s3, s3, 0
	global_load_ushort v1, v1, s[2:3]
	s_cmp_eq_u32 s0, s21
	s_waitcnt vmcnt(1)
	v_lshrrev_b32_e32 v3, 16, v2
	v_and_b32_e32 v2, 0xffff, v2
	v_mul_lo_u32 v2, v2, v3
	s_waitcnt vmcnt(0)
	v_mul_lo_u32 v4, v2, v1
	v_add_u32_e32 v10, v4, v0
	v_add_u32_e32 v9, v10, v4
	s_cbranch_scc1 .LBB1609_3
; %bb.2:
	v_mov_b32_e32 v1, s18
	v_add_co_u32_e32 v2, vcc, s11, v0
	v_addc_co_u32_e32 v1, vcc, 0, v1, vcc
	v_subrev_u32_e32 v3, s13, v0
	v_mov_b32_e32 v5, s9
	v_add_co_u32_e32 v3, vcc, s8, v3
	v_addc_co_u32_e32 v5, vcc, 0, v5, vcc
	v_cmp_gt_u32_e32 vcc, s13, v0
	v_cndmask_b32_e32 v13, v5, v1, vcc
	v_cndmask_b32_e32 v12, v3, v2, vcc
	v_mov_b32_e32 v1, s18
	v_add_co_u32_e32 v2, vcc, s11, v10
	v_addc_co_u32_e32 v1, vcc, 0, v1, vcc
	v_subrev_u32_e32 v3, s13, v10
	v_mov_b32_e32 v5, s9
	v_add_co_u32_e32 v3, vcc, s8, v3
	v_addc_co_u32_e32 v5, vcc, 0, v5, vcc
	v_cmp_gt_u32_e32 vcc, s13, v10
	v_cndmask_b32_e32 v15, v5, v1, vcc
	v_cndmask_b32_e32 v14, v3, v2, vcc
	v_mov_b32_e32 v1, s18
	v_add_co_u32_e32 v2, vcc, s11, v9
	v_addc_co_u32_e32 v1, vcc, 0, v1, vcc
	v_subrev_u32_e32 v3, s13, v9
	v_mov_b32_e32 v5, s9
	v_add_co_u32_e32 v3, vcc, s8, v3
	v_addc_co_u32_e32 v5, vcc, 0, v5, vcc
	v_cmp_gt_u32_e32 vcc, s13, v9
	v_cndmask_b32_e32 v17, v5, v1, vcc
	v_add_u32_e32 v1, v9, v4
	v_cndmask_b32_e32 v16, v3, v2, vcc
	v_mov_b32_e32 v2, s18
	v_add_co_u32_e32 v3, vcc, s11, v1
	v_addc_co_u32_e32 v2, vcc, 0, v2, vcc
	v_subrev_u32_e32 v5, s13, v1
	v_mov_b32_e32 v6, s9
	v_add_co_u32_e32 v5, vcc, s8, v5
	v_addc_co_u32_e32 v6, vcc, 0, v6, vcc
	v_cmp_gt_u32_e32 vcc, s13, v1
	v_add_u32_e32 v1, v1, v4
	v_cndmask_b32_e32 v19, v6, v2, vcc
	v_cndmask_b32_e32 v18, v5, v3, vcc
	v_mov_b32_e32 v2, s18
	v_add_co_u32_e32 v3, vcc, s11, v1
	v_addc_co_u32_e32 v2, vcc, 0, v2, vcc
	v_subrev_u32_e32 v5, s13, v1
	v_mov_b32_e32 v6, s9
	v_add_co_u32_e32 v5, vcc, s8, v5
	v_addc_co_u32_e32 v6, vcc, 0, v6, vcc
	v_cmp_gt_u32_e32 vcc, s13, v1
	v_add_u32_e32 v1, v1, v4
	v_cndmask_b32_e32 v21, v6, v2, vcc
	;; [unrolled: 11-line block ×4, first 2 shown]
	v_cndmask_b32_e32 v24, v5, v3, vcc
	v_mov_b32_e32 v2, s18
	v_add_co_u32_e32 v3, vcc, s11, v1
	v_addc_co_u32_e32 v2, vcc, 0, v2, vcc
	v_subrev_u32_e32 v5, s13, v1
	v_mov_b32_e32 v6, s9
	v_add_co_u32_e32 v5, vcc, s8, v5
	v_addc_co_u32_e32 v6, vcc, 0, v6, vcc
	v_cmp_gt_u32_e32 vcc, s13, v1
	v_cndmask_b32_e32 v27, v6, v2, vcc
	v_cndmask_b32_e32 v26, v5, v3, vcc
	global_load_ubyte v1, v[12:13], off
	global_load_ubyte v2, v[14:15], off
	;; [unrolled: 1-line block ×8, first 2 shown]
	s_add_i32 s21, s7, s13
	s_load_dwordx2 s[16:17], s[4:5], 0x10
	s_cbranch_execz .LBB1609_4
	s_branch .LBB1609_21
.LBB1609_3:
                                        ; implicit-def: $vgpr1
                                        ; implicit-def: $vgpr2
                                        ; implicit-def: $vgpr3
                                        ; implicit-def: $vgpr5
                                        ; implicit-def: $vgpr6
                                        ; implicit-def: $vgpr7
                                        ; implicit-def: $vgpr8
                                        ; implicit-def: $vgpr11
                                        ; implicit-def: $sgpr21
	s_load_dwordx2 s[16:17], s[4:5], 0x10
.LBB1609_4:
	s_add_i32 s21, s7, s13
	v_cmp_gt_u32_e32 vcc, s21, v0
                                        ; implicit-def: $vgpr1
	s_and_saveexec_b64 s[0:1], vcc
	s_cbranch_execz .LBB1609_6
; %bb.5:
	s_waitcnt vmcnt(7)
	v_mov_b32_e32 v1, s18
	s_waitcnt vmcnt(6)
	v_add_co_u32_e32 v2, vcc, s11, v0
	v_addc_co_u32_e32 v1, vcc, 0, v1, vcc
	s_waitcnt vmcnt(5)
	v_subrev_u32_e32 v3, s13, v0
	s_waitcnt vmcnt(4)
	v_mov_b32_e32 v5, s9
	s_waitcnt vmcnt(3)
	v_add_co_u32_e32 v6, vcc, s8, v3
	v_addc_co_u32_e32 v3, vcc, 0, v5, vcc
	v_cmp_gt_u32_e32 vcc, s13, v0
	v_cndmask_b32_e32 v3, v3, v1, vcc
	v_cndmask_b32_e32 v2, v6, v2, vcc
	global_load_ubyte v1, v[2:3], off
.LBB1609_6:
	s_or_b64 exec, exec, s[0:1]
	v_cmp_gt_u32_e32 vcc, s21, v10
                                        ; implicit-def: $vgpr2
	s_and_saveexec_b64 s[0:1], vcc
	s_cbranch_execz .LBB1609_8
; %bb.7:
	s_waitcnt vmcnt(6)
	v_mov_b32_e32 v2, s18
	s_waitcnt vmcnt(4)
	v_add_co_u32_e32 v5, vcc, s11, v10
	v_addc_co_u32_e32 v2, vcc, 0, v2, vcc
	v_subrev_u32_e32 v3, s13, v10
	s_waitcnt vmcnt(3)
	v_mov_b32_e32 v6, s9
	s_waitcnt vmcnt(2)
	v_add_co_u32_e32 v7, vcc, s8, v3
	v_addc_co_u32_e32 v3, vcc, 0, v6, vcc
	v_cmp_gt_u32_e32 vcc, s13, v10
	v_cndmask_b32_e32 v3, v3, v2, vcc
	v_cndmask_b32_e32 v2, v7, v5, vcc
	global_load_ubyte v2, v[2:3], off
.LBB1609_8:
	s_or_b64 exec, exec, s[0:1]
	v_cmp_gt_u32_e32 vcc, s21, v9
                                        ; implicit-def: $vgpr3
	s_and_saveexec_b64 s[0:1], vcc
	s_cbranch_execz .LBB1609_10
; %bb.9:
	s_waitcnt vmcnt(5)
	v_mov_b32_e32 v3, s18
	s_waitcnt vmcnt(4)
	v_add_co_u32_e32 v5, vcc, s11, v9
	v_addc_co_u32_e32 v3, vcc, 0, v3, vcc
	s_waitcnt vmcnt(3)
	v_subrev_u32_e32 v6, s13, v9
	s_waitcnt vmcnt(2)
	v_mov_b32_e32 v7, s9
	v_add_co_u32_e32 v6, vcc, s8, v6
	v_addc_co_u32_e32 v7, vcc, 0, v7, vcc
	v_cmp_gt_u32_e32 vcc, s13, v9
	v_cndmask_b32_e32 v7, v7, v3, vcc
	v_cndmask_b32_e32 v6, v6, v5, vcc
	global_load_ubyte v3, v[6:7], off
.LBB1609_10:
	s_or_b64 exec, exec, s[0:1]
	s_waitcnt vmcnt(3)
	v_add_u32_e32 v6, v9, v4
	v_cmp_gt_u32_e32 vcc, s21, v6
                                        ; implicit-def: $vgpr5
	s_and_saveexec_b64 s[0:1], vcc
	s_cbranch_execz .LBB1609_12
; %bb.11:
	v_mov_b32_e32 v5, s18
	s_waitcnt vmcnt(2)
	v_add_co_u32_e32 v7, vcc, s11, v6
	v_addc_co_u32_e32 v5, vcc, 0, v5, vcc
	s_waitcnt vmcnt(1)
	v_subrev_u32_e32 v8, s13, v6
	v_mov_b32_e32 v9, s9
	v_add_co_u32_e32 v8, vcc, s8, v8
	v_addc_co_u32_e32 v9, vcc, 0, v9, vcc
	v_cmp_gt_u32_e32 vcc, s13, v6
	v_cndmask_b32_e32 v9, v9, v5, vcc
	v_cndmask_b32_e32 v8, v8, v7, vcc
	global_load_ubyte v5, v[8:9], off
.LBB1609_12:
	s_or_b64 exec, exec, s[0:1]
	s_waitcnt vmcnt(2)
	v_add_u32_e32 v7, v6, v4
	v_cmp_gt_u32_e32 vcc, s21, v7
                                        ; implicit-def: $vgpr6
	s_and_saveexec_b64 s[0:1], vcc
	s_cbranch_execz .LBB1609_14
; %bb.13:
	v_mov_b32_e32 v6, s18
	s_waitcnt vmcnt(1)
	v_add_co_u32_e32 v8, vcc, s11, v7
	v_addc_co_u32_e32 v6, vcc, 0, v6, vcc
	v_subrev_u32_e32 v9, s13, v7
	v_mov_b32_e32 v10, s9
	s_waitcnt vmcnt(0)
	v_add_co_u32_e32 v11, vcc, s8, v9
	v_addc_co_u32_e32 v9, vcc, 0, v10, vcc
	v_cmp_gt_u32_e32 vcc, s13, v7
	v_cndmask_b32_e32 v9, v9, v6, vcc
	v_cndmask_b32_e32 v8, v11, v8, vcc
	global_load_ubyte v6, v[8:9], off
.LBB1609_14:
	s_or_b64 exec, exec, s[0:1]
	s_waitcnt vmcnt(1)
	v_add_u32_e32 v8, v7, v4
	v_cmp_gt_u32_e32 vcc, s21, v8
                                        ; implicit-def: $vgpr7
	s_and_saveexec_b64 s[0:1], vcc
	s_cbranch_execz .LBB1609_16
; %bb.15:
	v_mov_b32_e32 v7, s18
	v_add_co_u32_e32 v9, vcc, s11, v8
	v_addc_co_u32_e32 v7, vcc, 0, v7, vcc
	v_subrev_u32_e32 v10, s13, v8
	s_waitcnt vmcnt(0)
	v_mov_b32_e32 v11, s9
	v_add_co_u32_e32 v10, vcc, s8, v10
	v_addc_co_u32_e32 v11, vcc, 0, v11, vcc
	v_cmp_gt_u32_e32 vcc, s13, v8
	v_cndmask_b32_e32 v11, v11, v7, vcc
	v_cndmask_b32_e32 v10, v10, v9, vcc
	global_load_ubyte v7, v[10:11], off
.LBB1609_16:
	s_or_b64 exec, exec, s[0:1]
	v_add_u32_e32 v9, v8, v4
	v_cmp_gt_u32_e32 vcc, s21, v9
                                        ; implicit-def: $vgpr8
	s_and_saveexec_b64 s[0:1], vcc
	s_cbranch_execz .LBB1609_18
; %bb.17:
	v_mov_b32_e32 v8, s18
	v_add_co_u32_e32 v10, vcc, s11, v9
	v_addc_co_u32_e32 v8, vcc, 0, v8, vcc
	s_waitcnt vmcnt(0)
	v_subrev_u32_e32 v11, s13, v9
	v_mov_b32_e32 v12, s9
	v_add_co_u32_e32 v13, vcc, s8, v11
	v_addc_co_u32_e32 v11, vcc, 0, v12, vcc
	v_cmp_gt_u32_e32 vcc, s13, v9
	v_cndmask_b32_e32 v11, v11, v8, vcc
	v_cndmask_b32_e32 v10, v13, v10, vcc
	global_load_ubyte v8, v[10:11], off
.LBB1609_18:
	s_or_b64 exec, exec, s[0:1]
	v_add_u32_e32 v4, v9, v4
	v_cmp_gt_u32_e32 vcc, s21, v4
                                        ; implicit-def: $vgpr11
	s_and_saveexec_b64 s[0:1], vcc
	s_cbranch_execz .LBB1609_20
; %bb.19:
	v_mov_b32_e32 v9, s18
	v_add_co_u32_e32 v10, vcc, s11, v4
	v_addc_co_u32_e32 v9, vcc, 0, v9, vcc
	s_waitcnt vmcnt(0)
	v_subrev_u32_e32 v11, s13, v4
	v_mov_b32_e32 v12, s9
	v_add_co_u32_e32 v13, vcc, s8, v11
	v_addc_co_u32_e32 v11, vcc, 0, v12, vcc
	v_cmp_gt_u32_e32 vcc, s13, v4
	v_cndmask_b32_e32 v11, v11, v9, vcc
	v_cndmask_b32_e32 v10, v13, v10, vcc
	global_load_ubyte v11, v[10:11], off
.LBB1609_20:
	s_or_b64 exec, exec, s[0:1]
.LBB1609_21:
	s_load_dword s22, s[4:5], 0x34
	v_lshlrev_b32_e32 v4, 3, v0
	v_min_u32_e32 v10, s21, v4
	v_sub_u32_e64 v9, v10, s7 clamp
	v_min_u32_e32 v12, s13, v10
	v_cmp_lt_u32_e32 vcc, v9, v12
	s_waitcnt vmcnt(0)
	ds_write_b8 v0, v1
	ds_write_b8 v0, v2 offset:128
	ds_write_b8 v0, v3 offset:256
	;; [unrolled: 1-line block ×7, first 2 shown]
	s_waitcnt lgkmcnt(0)
	s_barrier
	s_and_saveexec_b64 s[0:1], vcc
	s_cbranch_execz .LBB1609_25
; %bb.22:
	v_add_u32_e32 v13, s13, v10
	s_mov_b64 s[2:3], 0
.LBB1609_23:                            ; =>This Inner Loop Header: Depth=1
	v_add_u32_e32 v14, v12, v9
	v_lshrrev_b32_e32 v14, 1, v14
	v_xad_u32 v15, v14, -1, v13
	ds_read_u8 v16, v14
	ds_read_u8 v15, v15
	v_add_u32_e32 v17, 1, v14
	s_waitcnt lgkmcnt(1)
	v_and_b32_e32 v16, s22, v16
	s_waitcnt lgkmcnt(0)
	v_and_b32_e32 v15, s22, v15
	v_cmp_gt_i16_sdwa vcc, sext(v15), sext(v16) src0_sel:BYTE_0 src1_sel:BYTE_0
	v_cndmask_b32_e32 v12, v12, v14, vcc
	v_cndmask_b32_e32 v9, v17, v9, vcc
	v_cmp_ge_u32_e32 vcc, v9, v12
	s_or_b64 s[2:3], vcc, s[2:3]
	s_andn2_b64 exec, exec, s[2:3]
	s_cbranch_execnz .LBB1609_23
; %bb.24:
	s_or_b64 exec, exec, s[2:3]
.LBB1609_25:
	s_or_b64 exec, exec, s[0:1]
	v_sub_u32_e32 v10, v10, v9
	v_add_u32_e32 v10, s13, v10
	v_cmp_ge_u32_e32 vcc, s13, v9
	v_cmp_ge_u32_e64 s[0:1], s21, v10
	s_or_b64 s[0:1], vcc, s[0:1]
	s_and_saveexec_b64 s[18:19], s[0:1]
	s_cbranch_execz .LBB1609_31
; %bb.26:
	v_cmp_gt_u32_e32 vcc, s13, v9
                                        ; implicit-def: $vgpr1
	s_and_saveexec_b64 s[0:1], vcc
	s_cbranch_execz .LBB1609_28
; %bb.27:
	ds_read_u8 v1, v9
.LBB1609_28:
	s_or_b64 exec, exec, s[0:1]
	v_cmp_le_u32_e64 s[0:1], s21, v10
	v_cmp_gt_u32_e64 s[2:3], s21, v10
                                        ; implicit-def: $vgpr2
	s_and_saveexec_b64 s[4:5], s[2:3]
	s_cbranch_execz .LBB1609_30
; %bb.29:
	ds_read_u8 v2, v10
.LBB1609_30:
	s_or_b64 exec, exec, s[4:5]
	s_waitcnt lgkmcnt(0)
	v_and_b32_e32 v3, s22, v2
	v_and_b32_e32 v5, s22, v1
	v_cmp_le_i16_sdwa s[2:3], sext(v3), sext(v5) src0_sel:BYTE_0 src1_sel:BYTE_0
	s_and_b64 s[2:3], vcc, s[2:3]
	s_or_b64 vcc, s[0:1], s[2:3]
	v_mov_b32_e32 v5, s21
	v_mov_b32_e32 v6, s13
	v_cndmask_b32_e32 v3, v10, v9, vcc
	v_cndmask_b32_e32 v7, v5, v6, vcc
	v_add_u32_e32 v3, 1, v3
	v_add_u32_e32 v7, -1, v7
	v_min_u32_e32 v7, v3, v7
	ds_read_u8 v7, v7
	v_cndmask_b32_e32 v10, v3, v10, vcc
	v_cndmask_b32_e32 v3, v9, v3, vcc
	v_cmp_gt_u32_e64 s[2:3], s13, v3
	v_cmp_le_u32_e64 s[0:1], s21, v10
	s_waitcnt lgkmcnt(0)
	v_cndmask_b32_e32 v8, v7, v2, vcc
	v_cndmask_b32_e32 v7, v1, v7, vcc
	v_and_b32_e32 v9, s22, v8
	v_and_b32_e32 v11, s22, v7
	v_cmp_le_i16_sdwa s[4:5], sext(v9), sext(v11) src0_sel:BYTE_0 src1_sel:BYTE_0
	s_and_b64 s[2:3], s[2:3], s[4:5]
	s_or_b64 s[0:1], s[0:1], s[2:3]
	v_cndmask_b32_e64 v9, v10, v3, s[0:1]
	v_cndmask_b32_e64 v11, v5, v6, s[0:1]
	v_add_u32_e32 v9, 1, v9
	v_add_u32_e32 v11, -1, v11
	v_min_u32_e32 v11, v9, v11
	ds_read_u8 v11, v11
	v_cndmask_b32_e64 v10, v9, v10, s[0:1]
	v_cndmask_b32_e64 v3, v3, v9, s[0:1]
	v_cmp_gt_u32_e64 s[4:5], s13, v3
	v_cmp_le_u32_e64 s[2:3], s21, v10
	s_waitcnt lgkmcnt(0)
	v_cndmask_b32_e64 v12, v11, v8, s[0:1]
	v_cndmask_b32_e64 v11, v7, v11, s[0:1]
	v_and_b32_e32 v9, s22, v12
	v_and_b32_e32 v13, s22, v11
	v_cmp_le_i16_sdwa s[6:7], sext(v9), sext(v13) src0_sel:BYTE_0 src1_sel:BYTE_0
	s_and_b64 s[4:5], s[4:5], s[6:7]
	s_or_b64 s[2:3], s[2:3], s[4:5]
	v_cndmask_b32_e64 v9, v10, v3, s[2:3]
	v_cndmask_b32_e64 v13, v5, v6, s[2:3]
	v_add_u32_e32 v9, 1, v9
	v_add_u32_e32 v13, -1, v13
	v_min_u32_e32 v13, v9, v13
	ds_read_u8 v13, v13
	v_cndmask_b32_e64 v10, v9, v10, s[2:3]
	v_cndmask_b32_e64 v3, v3, v9, s[2:3]
	v_cmp_gt_u32_e64 s[6:7], s13, v3
	v_cmp_le_u32_e64 s[4:5], s21, v10
	s_waitcnt lgkmcnt(0)
	v_cndmask_b32_e64 v14, v13, v12, s[2:3]
	v_cndmask_b32_e64 v13, v11, v13, s[2:3]
	;; [unrolled: 18-line block ×4, first 2 shown]
	v_and_b32_e32 v3, s22, v18
	v_and_b32_e32 v19, s22, v17
	v_cmp_le_i16_sdwa s[24:25], sext(v3), sext(v19) src0_sel:BYTE_0 src1_sel:BYTE_0
	s_and_b64 s[10:11], s[10:11], s[24:25]
	s_or_b64 s[8:9], s[8:9], s[10:11]
	v_cndmask_b32_e64 v3, v10, v9, s[8:9]
	v_cndmask_b32_e64 v19, v5, v6, s[8:9]
	v_add_u32_e32 v20, 1, v3
	v_add_u32_e32 v3, -1, v19
	v_min_u32_e32 v3, v20, v3
	ds_read_u8 v19, v3
	v_cndmask_b32_e64 v3, v12, v11, s[2:3]
	v_cndmask_b32_e32 v1, v2, v1, vcc
	v_cndmask_b32_e64 v2, v8, v7, s[0:1]
	v_cndmask_b32_e64 v9, v9, v20, s[8:9]
	s_waitcnt lgkmcnt(0)
	v_cndmask_b32_e64 v11, v19, v18, s[8:9]
	v_cndmask_b32_e64 v12, v17, v19, s[8:9]
	v_and_b32_e32 v7, s22, v11
	v_and_b32_e32 v8, s22, v12
	v_cndmask_b32_e64 v10, v20, v10, s[8:9]
	v_cmp_gt_u32_e64 s[0:1], s13, v9
	v_cmp_le_i16_sdwa s[2:3], sext(v7), sext(v8) src0_sel:BYTE_0 src1_sel:BYTE_0
	v_cmp_le_u32_e32 vcc, s21, v10
	s_and_b64 s[0:1], s[0:1], s[2:3]
	s_or_b64 vcc, vcc, s[0:1]
	v_cndmask_b32_e32 v7, v10, v9, vcc
	v_cndmask_b32_e32 v5, v5, v6, vcc
	v_add_u32_e32 v19, 1, v7
	v_add_u32_e32 v5, -1, v5
	v_min_u32_e32 v5, v19, v5
	ds_read_u8 v20, v5
	v_cndmask_b32_e32 v8, v11, v12, vcc
	v_cndmask_b32_e32 v10, v19, v10, vcc
	;; [unrolled: 1-line block ×3, first 2 shown]
	v_cmp_gt_u32_e64 s[0:1], s13, v9
	s_waitcnt lgkmcnt(0)
	v_cndmask_b32_e32 v11, v20, v11, vcc
	v_cndmask_b32_e32 v12, v12, v20, vcc
	v_cmp_le_u32_e32 vcc, s21, v10
	v_and_b32_e32 v9, s22, v11
	v_and_b32_e32 v10, s22, v12
	v_cmp_le_i16_sdwa s[2:3], sext(v9), sext(v10) src0_sel:BYTE_0 src1_sel:BYTE_0
	s_and_b64 s[0:1], s[0:1], s[2:3]
	s_or_b64 vcc, vcc, s[0:1]
	v_cndmask_b32_e64 v5, v14, v13, s[4:5]
	v_cndmask_b32_e64 v6, v16, v15, s[6:7]
	;; [unrolled: 1-line block ×3, first 2 shown]
	v_cndmask_b32_e32 v11, v11, v12, vcc
.LBB1609_31:
	s_or_b64 exec, exec, s[18:19]
	v_lshlrev_b16_e32 v7, 8, v7
	v_lshlrev_b16_e32 v2, 8, v2
	v_lshrrev_b32_e32 v9, 2, v0
	v_or_b32_sdwa v6, v6, v7 dst_sel:DWORD dst_unused:UNUSED_PAD src0_sel:BYTE_0 src1_sel:DWORD
	v_lshlrev_b16_e32 v7, 8, v11
	v_or_b32_sdwa v1, v1, v2 dst_sel:DWORD dst_unused:UNUSED_PAD src0_sel:BYTE_0 src1_sel:DWORD
	v_lshlrev_b16_e32 v2, 8, v5
	s_add_u32 s0, s16, s20
	v_and_b32_e32 v9, 28, v9
	v_or_b32_sdwa v7, v8, v7 dst_sel:WORD_1 dst_unused:UNUSED_PAD src0_sel:BYTE_0 src1_sel:DWORD
	v_or_b32_sdwa v2, v3, v2 dst_sel:WORD_1 dst_unused:UNUSED_PAD src0_sel:BYTE_0 src1_sel:DWORD
	s_addc_u32 s1, s17, 0
	v_add_u32_e32 v4, v9, v4
	v_or_b32_sdwa v6, v6, v7 dst_sel:DWORD dst_unused:UNUSED_PAD src0_sel:WORD_0 src1_sel:DWORD
	v_or_b32_sdwa v1, v1, v2 dst_sel:DWORD dst_unused:UNUSED_PAD src0_sel:WORD_0 src1_sel:DWORD
	s_barrier
	s_barrier
	ds_write2_b32 v4, v1, v6 offset1:1
	v_mov_b32_e32 v1, s1
	v_add_co_u32_e32 v2, vcc, s0, v0
	v_addc_co_u32_e32 v3, vcc, 0, v1, vcc
	s_and_b64 vcc, exec, s[14:15]
	v_add_u32_e32 v4, 4, v0
	v_add_u32_e32 v5, 8, v0
	;; [unrolled: 1-line block ×7, first 2 shown]
	s_waitcnt lgkmcnt(0)
	s_cbranch_vccz .LBB1609_33
; %bb.32:
	s_barrier
	ds_read_u8 v11, v0
	ds_read_u8 v12, v4 offset:128
	ds_read_u8 v13, v5 offset:256
	;; [unrolled: 1-line block ×7, first 2 shown]
	s_waitcnt lgkmcnt(7)
	global_store_byte v[2:3], v11, off
	s_waitcnt lgkmcnt(6)
	global_store_byte v[2:3], v12, off offset:128
	s_waitcnt lgkmcnt(5)
	global_store_byte v[2:3], v13, off offset:256
	;; [unrolled: 2-line block ×6, first 2 shown]
	s_mov_b64 s[0:1], -1
	s_cbranch_execz .LBB1609_34
	s_branch .LBB1609_49
.LBB1609_33:
	s_mov_b64 s[0:1], 0
                                        ; implicit-def: $vgpr1
.LBB1609_34:
	s_barrier
	s_waitcnt lgkmcnt(0)
	ds_read_u8 v13, v4 offset:128
	ds_read_u8 v12, v5 offset:256
	;; [unrolled: 1-line block ×7, first 2 shown]
	s_sub_i32 s2, s12, s20
	v_or_b32_e32 v7, 0x80, v0
	v_cmp_gt_u32_e32 vcc, s2, v0
	s_and_saveexec_b64 s[0:1], vcc
	s_cbranch_execz .LBB1609_36
; %bb.35:
	ds_read_u8 v8, v0
	s_waitcnt lgkmcnt(0)
	global_store_byte v[2:3], v8, off
.LBB1609_36:
	s_or_b64 exec, exec, s[0:1]
	v_or_b32_e32 v8, 0x100, v0
	v_cmp_gt_u32_e32 vcc, s2, v7
	s_and_saveexec_b64 s[0:1], vcc
	s_cbranch_execz .LBB1609_38
; %bb.37:
	s_waitcnt lgkmcnt(6)
	global_store_byte v[2:3], v13, off offset:128
.LBB1609_38:
	s_or_b64 exec, exec, s[0:1]
	v_or_b32_e32 v7, 0x180, v0
	v_cmp_gt_u32_e32 vcc, s2, v8
	s_and_saveexec_b64 s[0:1], vcc
	s_cbranch_execz .LBB1609_40
; %bb.39:
	s_waitcnt lgkmcnt(5)
	global_store_byte v[2:3], v12, off offset:256
.LBB1609_40:
	;; [unrolled: 9-line block ×4, first 2 shown]
	s_or_b64 exec, exec, s[0:1]
	s_waitcnt lgkmcnt(3)
	v_or_b32_e32 v6, 0x300, v0
	v_cmp_gt_u32_e32 vcc, s2, v7
	s_and_saveexec_b64 s[0:1], vcc
	s_cbranch_execz .LBB1609_46
; %bb.45:
	s_waitcnt lgkmcnt(2)
	global_store_byte v[2:3], v5, off offset:640
.LBB1609_46:
	s_or_b64 exec, exec, s[0:1]
	v_or_b32_e32 v0, 0x380, v0
	v_cmp_gt_u32_e32 vcc, s2, v6
	s_and_saveexec_b64 s[0:1], vcc
	s_cbranch_execz .LBB1609_48
; %bb.47:
	s_waitcnt lgkmcnt(1)
	global_store_byte v[2:3], v4, off offset:768
.LBB1609_48:
	s_or_b64 exec, exec, s[0:1]
	v_cmp_gt_u32_e64 s[0:1], s2, v0
.LBB1609_49:
	s_and_saveexec_b64 s[2:3], s[0:1]
	s_cbranch_execz .LBB1609_51
; %bb.50:
	s_waitcnt lgkmcnt(0)
	global_store_byte v[2:3], v1, off offset:896
.LBB1609_51:
	s_endpgm
	.section	.rodata,"a",@progbits
	.p2align	6, 0x0
	.amdhsa_kernel _ZN7rocprim17ROCPRIM_400000_NS6detail17trampoline_kernelINS0_14default_configENS1_38merge_sort_block_merge_config_selectorIaNS0_10empty_typeEEEZZNS1_27merge_sort_block_merge_implIS3_PaPS5_jNS1_19radix_merge_compareILb1ELb1EaNS0_19identity_decomposerEEEEE10hipError_tT0_T1_T2_jT3_P12ihipStream_tbPNSt15iterator_traitsISE_E10value_typeEPNSK_ISF_E10value_typeEPSG_NS1_7vsmem_tEENKUlT_SE_SF_SG_E_clIS8_S8_S9_S9_EESD_ST_SE_SF_SG_EUlST_E0_NS1_11comp_targetILNS1_3genE4ELNS1_11target_archE910ELNS1_3gpuE8ELNS1_3repE0EEENS1_38merge_mergepath_config_static_selectorELNS0_4arch9wavefront6targetE1EEEvSF_
		.amdhsa_group_segment_fixed_size 1056
		.amdhsa_private_segment_fixed_size 0
		.amdhsa_kernarg_size 320
		.amdhsa_user_sgpr_count 6
		.amdhsa_user_sgpr_private_segment_buffer 1
		.amdhsa_user_sgpr_dispatch_ptr 0
		.amdhsa_user_sgpr_queue_ptr 0
		.amdhsa_user_sgpr_kernarg_segment_ptr 1
		.amdhsa_user_sgpr_dispatch_id 0
		.amdhsa_user_sgpr_flat_scratch_init 0
		.amdhsa_user_sgpr_kernarg_preload_length 0
		.amdhsa_user_sgpr_kernarg_preload_offset 0
		.amdhsa_user_sgpr_private_segment_size 0
		.amdhsa_uses_dynamic_stack 0
		.amdhsa_system_sgpr_private_segment_wavefront_offset 0
		.amdhsa_system_sgpr_workgroup_id_x 1
		.amdhsa_system_sgpr_workgroup_id_y 1
		.amdhsa_system_sgpr_workgroup_id_z 1
		.amdhsa_system_sgpr_workgroup_info 0
		.amdhsa_system_vgpr_workitem_id 0
		.amdhsa_next_free_vgpr 28
		.amdhsa_next_free_sgpr 26
		.amdhsa_accum_offset 28
		.amdhsa_reserve_vcc 1
		.amdhsa_reserve_flat_scratch 0
		.amdhsa_float_round_mode_32 0
		.amdhsa_float_round_mode_16_64 0
		.amdhsa_float_denorm_mode_32 3
		.amdhsa_float_denorm_mode_16_64 3
		.amdhsa_dx10_clamp 1
		.amdhsa_ieee_mode 1
		.amdhsa_fp16_overflow 0
		.amdhsa_tg_split 0
		.amdhsa_exception_fp_ieee_invalid_op 0
		.amdhsa_exception_fp_denorm_src 0
		.amdhsa_exception_fp_ieee_div_zero 0
		.amdhsa_exception_fp_ieee_overflow 0
		.amdhsa_exception_fp_ieee_underflow 0
		.amdhsa_exception_fp_ieee_inexact 0
		.amdhsa_exception_int_div_zero 0
	.end_amdhsa_kernel
	.section	.text._ZN7rocprim17ROCPRIM_400000_NS6detail17trampoline_kernelINS0_14default_configENS1_38merge_sort_block_merge_config_selectorIaNS0_10empty_typeEEEZZNS1_27merge_sort_block_merge_implIS3_PaPS5_jNS1_19radix_merge_compareILb1ELb1EaNS0_19identity_decomposerEEEEE10hipError_tT0_T1_T2_jT3_P12ihipStream_tbPNSt15iterator_traitsISE_E10value_typeEPNSK_ISF_E10value_typeEPSG_NS1_7vsmem_tEENKUlT_SE_SF_SG_E_clIS8_S8_S9_S9_EESD_ST_SE_SF_SG_EUlST_E0_NS1_11comp_targetILNS1_3genE4ELNS1_11target_archE910ELNS1_3gpuE8ELNS1_3repE0EEENS1_38merge_mergepath_config_static_selectorELNS0_4arch9wavefront6targetE1EEEvSF_,"axG",@progbits,_ZN7rocprim17ROCPRIM_400000_NS6detail17trampoline_kernelINS0_14default_configENS1_38merge_sort_block_merge_config_selectorIaNS0_10empty_typeEEEZZNS1_27merge_sort_block_merge_implIS3_PaPS5_jNS1_19radix_merge_compareILb1ELb1EaNS0_19identity_decomposerEEEEE10hipError_tT0_T1_T2_jT3_P12ihipStream_tbPNSt15iterator_traitsISE_E10value_typeEPNSK_ISF_E10value_typeEPSG_NS1_7vsmem_tEENKUlT_SE_SF_SG_E_clIS8_S8_S9_S9_EESD_ST_SE_SF_SG_EUlST_E0_NS1_11comp_targetILNS1_3genE4ELNS1_11target_archE910ELNS1_3gpuE8ELNS1_3repE0EEENS1_38merge_mergepath_config_static_selectorELNS0_4arch9wavefront6targetE1EEEvSF_,comdat
.Lfunc_end1609:
	.size	_ZN7rocprim17ROCPRIM_400000_NS6detail17trampoline_kernelINS0_14default_configENS1_38merge_sort_block_merge_config_selectorIaNS0_10empty_typeEEEZZNS1_27merge_sort_block_merge_implIS3_PaPS5_jNS1_19radix_merge_compareILb1ELb1EaNS0_19identity_decomposerEEEEE10hipError_tT0_T1_T2_jT3_P12ihipStream_tbPNSt15iterator_traitsISE_E10value_typeEPNSK_ISF_E10value_typeEPSG_NS1_7vsmem_tEENKUlT_SE_SF_SG_E_clIS8_S8_S9_S9_EESD_ST_SE_SF_SG_EUlST_E0_NS1_11comp_targetILNS1_3genE4ELNS1_11target_archE910ELNS1_3gpuE8ELNS1_3repE0EEENS1_38merge_mergepath_config_static_selectorELNS0_4arch9wavefront6targetE1EEEvSF_, .Lfunc_end1609-_ZN7rocprim17ROCPRIM_400000_NS6detail17trampoline_kernelINS0_14default_configENS1_38merge_sort_block_merge_config_selectorIaNS0_10empty_typeEEEZZNS1_27merge_sort_block_merge_implIS3_PaPS5_jNS1_19radix_merge_compareILb1ELb1EaNS0_19identity_decomposerEEEEE10hipError_tT0_T1_T2_jT3_P12ihipStream_tbPNSt15iterator_traitsISE_E10value_typeEPNSK_ISF_E10value_typeEPSG_NS1_7vsmem_tEENKUlT_SE_SF_SG_E_clIS8_S8_S9_S9_EESD_ST_SE_SF_SG_EUlST_E0_NS1_11comp_targetILNS1_3genE4ELNS1_11target_archE910ELNS1_3gpuE8ELNS1_3repE0EEENS1_38merge_mergepath_config_static_selectorELNS0_4arch9wavefront6targetE1EEEvSF_
                                        ; -- End function
	.section	.AMDGPU.csdata,"",@progbits
; Kernel info:
; codeLenInByte = 3196
; NumSgprs: 30
; NumVgprs: 28
; NumAgprs: 0
; TotalNumVgprs: 28
; ScratchSize: 0
; MemoryBound: 0
; FloatMode: 240
; IeeeMode: 1
; LDSByteSize: 1056 bytes/workgroup (compile time only)
; SGPRBlocks: 3
; VGPRBlocks: 3
; NumSGPRsForWavesPerEU: 30
; NumVGPRsForWavesPerEU: 28
; AccumOffset: 28
; Occupancy: 8
; WaveLimiterHint : 1
; COMPUTE_PGM_RSRC2:SCRATCH_EN: 0
; COMPUTE_PGM_RSRC2:USER_SGPR: 6
; COMPUTE_PGM_RSRC2:TRAP_HANDLER: 0
; COMPUTE_PGM_RSRC2:TGID_X_EN: 1
; COMPUTE_PGM_RSRC2:TGID_Y_EN: 1
; COMPUTE_PGM_RSRC2:TGID_Z_EN: 1
; COMPUTE_PGM_RSRC2:TIDIG_COMP_CNT: 0
; COMPUTE_PGM_RSRC3_GFX90A:ACCUM_OFFSET: 6
; COMPUTE_PGM_RSRC3_GFX90A:TG_SPLIT: 0
	.section	.text._ZN7rocprim17ROCPRIM_400000_NS6detail17trampoline_kernelINS0_14default_configENS1_38merge_sort_block_merge_config_selectorIaNS0_10empty_typeEEEZZNS1_27merge_sort_block_merge_implIS3_PaPS5_jNS1_19radix_merge_compareILb1ELb1EaNS0_19identity_decomposerEEEEE10hipError_tT0_T1_T2_jT3_P12ihipStream_tbPNSt15iterator_traitsISE_E10value_typeEPNSK_ISF_E10value_typeEPSG_NS1_7vsmem_tEENKUlT_SE_SF_SG_E_clIS8_S8_S9_S9_EESD_ST_SE_SF_SG_EUlST_E0_NS1_11comp_targetILNS1_3genE3ELNS1_11target_archE908ELNS1_3gpuE7ELNS1_3repE0EEENS1_38merge_mergepath_config_static_selectorELNS0_4arch9wavefront6targetE1EEEvSF_,"axG",@progbits,_ZN7rocprim17ROCPRIM_400000_NS6detail17trampoline_kernelINS0_14default_configENS1_38merge_sort_block_merge_config_selectorIaNS0_10empty_typeEEEZZNS1_27merge_sort_block_merge_implIS3_PaPS5_jNS1_19radix_merge_compareILb1ELb1EaNS0_19identity_decomposerEEEEE10hipError_tT0_T1_T2_jT3_P12ihipStream_tbPNSt15iterator_traitsISE_E10value_typeEPNSK_ISF_E10value_typeEPSG_NS1_7vsmem_tEENKUlT_SE_SF_SG_E_clIS8_S8_S9_S9_EESD_ST_SE_SF_SG_EUlST_E0_NS1_11comp_targetILNS1_3genE3ELNS1_11target_archE908ELNS1_3gpuE7ELNS1_3repE0EEENS1_38merge_mergepath_config_static_selectorELNS0_4arch9wavefront6targetE1EEEvSF_,comdat
	.protected	_ZN7rocprim17ROCPRIM_400000_NS6detail17trampoline_kernelINS0_14default_configENS1_38merge_sort_block_merge_config_selectorIaNS0_10empty_typeEEEZZNS1_27merge_sort_block_merge_implIS3_PaPS5_jNS1_19radix_merge_compareILb1ELb1EaNS0_19identity_decomposerEEEEE10hipError_tT0_T1_T2_jT3_P12ihipStream_tbPNSt15iterator_traitsISE_E10value_typeEPNSK_ISF_E10value_typeEPSG_NS1_7vsmem_tEENKUlT_SE_SF_SG_E_clIS8_S8_S9_S9_EESD_ST_SE_SF_SG_EUlST_E0_NS1_11comp_targetILNS1_3genE3ELNS1_11target_archE908ELNS1_3gpuE7ELNS1_3repE0EEENS1_38merge_mergepath_config_static_selectorELNS0_4arch9wavefront6targetE1EEEvSF_ ; -- Begin function _ZN7rocprim17ROCPRIM_400000_NS6detail17trampoline_kernelINS0_14default_configENS1_38merge_sort_block_merge_config_selectorIaNS0_10empty_typeEEEZZNS1_27merge_sort_block_merge_implIS3_PaPS5_jNS1_19radix_merge_compareILb1ELb1EaNS0_19identity_decomposerEEEEE10hipError_tT0_T1_T2_jT3_P12ihipStream_tbPNSt15iterator_traitsISE_E10value_typeEPNSK_ISF_E10value_typeEPSG_NS1_7vsmem_tEENKUlT_SE_SF_SG_E_clIS8_S8_S9_S9_EESD_ST_SE_SF_SG_EUlST_E0_NS1_11comp_targetILNS1_3genE3ELNS1_11target_archE908ELNS1_3gpuE7ELNS1_3repE0EEENS1_38merge_mergepath_config_static_selectorELNS0_4arch9wavefront6targetE1EEEvSF_
	.globl	_ZN7rocprim17ROCPRIM_400000_NS6detail17trampoline_kernelINS0_14default_configENS1_38merge_sort_block_merge_config_selectorIaNS0_10empty_typeEEEZZNS1_27merge_sort_block_merge_implIS3_PaPS5_jNS1_19radix_merge_compareILb1ELb1EaNS0_19identity_decomposerEEEEE10hipError_tT0_T1_T2_jT3_P12ihipStream_tbPNSt15iterator_traitsISE_E10value_typeEPNSK_ISF_E10value_typeEPSG_NS1_7vsmem_tEENKUlT_SE_SF_SG_E_clIS8_S8_S9_S9_EESD_ST_SE_SF_SG_EUlST_E0_NS1_11comp_targetILNS1_3genE3ELNS1_11target_archE908ELNS1_3gpuE7ELNS1_3repE0EEENS1_38merge_mergepath_config_static_selectorELNS0_4arch9wavefront6targetE1EEEvSF_
	.p2align	8
	.type	_ZN7rocprim17ROCPRIM_400000_NS6detail17trampoline_kernelINS0_14default_configENS1_38merge_sort_block_merge_config_selectorIaNS0_10empty_typeEEEZZNS1_27merge_sort_block_merge_implIS3_PaPS5_jNS1_19radix_merge_compareILb1ELb1EaNS0_19identity_decomposerEEEEE10hipError_tT0_T1_T2_jT3_P12ihipStream_tbPNSt15iterator_traitsISE_E10value_typeEPNSK_ISF_E10value_typeEPSG_NS1_7vsmem_tEENKUlT_SE_SF_SG_E_clIS8_S8_S9_S9_EESD_ST_SE_SF_SG_EUlST_E0_NS1_11comp_targetILNS1_3genE3ELNS1_11target_archE908ELNS1_3gpuE7ELNS1_3repE0EEENS1_38merge_mergepath_config_static_selectorELNS0_4arch9wavefront6targetE1EEEvSF_,@function
_ZN7rocprim17ROCPRIM_400000_NS6detail17trampoline_kernelINS0_14default_configENS1_38merge_sort_block_merge_config_selectorIaNS0_10empty_typeEEEZZNS1_27merge_sort_block_merge_implIS3_PaPS5_jNS1_19radix_merge_compareILb1ELb1EaNS0_19identity_decomposerEEEEE10hipError_tT0_T1_T2_jT3_P12ihipStream_tbPNSt15iterator_traitsISE_E10value_typeEPNSK_ISF_E10value_typeEPSG_NS1_7vsmem_tEENKUlT_SE_SF_SG_E_clIS8_S8_S9_S9_EESD_ST_SE_SF_SG_EUlST_E0_NS1_11comp_targetILNS1_3genE3ELNS1_11target_archE908ELNS1_3gpuE7ELNS1_3repE0EEENS1_38merge_mergepath_config_static_selectorELNS0_4arch9wavefront6targetE1EEEvSF_: ; @_ZN7rocprim17ROCPRIM_400000_NS6detail17trampoline_kernelINS0_14default_configENS1_38merge_sort_block_merge_config_selectorIaNS0_10empty_typeEEEZZNS1_27merge_sort_block_merge_implIS3_PaPS5_jNS1_19radix_merge_compareILb1ELb1EaNS0_19identity_decomposerEEEEE10hipError_tT0_T1_T2_jT3_P12ihipStream_tbPNSt15iterator_traitsISE_E10value_typeEPNSK_ISF_E10value_typeEPSG_NS1_7vsmem_tEENKUlT_SE_SF_SG_E_clIS8_S8_S9_S9_EESD_ST_SE_SF_SG_EUlST_E0_NS1_11comp_targetILNS1_3genE3ELNS1_11target_archE908ELNS1_3gpuE7ELNS1_3repE0EEENS1_38merge_mergepath_config_static_selectorELNS0_4arch9wavefront6targetE1EEEvSF_
; %bb.0:
	.section	.rodata,"a",@progbits
	.p2align	6, 0x0
	.amdhsa_kernel _ZN7rocprim17ROCPRIM_400000_NS6detail17trampoline_kernelINS0_14default_configENS1_38merge_sort_block_merge_config_selectorIaNS0_10empty_typeEEEZZNS1_27merge_sort_block_merge_implIS3_PaPS5_jNS1_19radix_merge_compareILb1ELb1EaNS0_19identity_decomposerEEEEE10hipError_tT0_T1_T2_jT3_P12ihipStream_tbPNSt15iterator_traitsISE_E10value_typeEPNSK_ISF_E10value_typeEPSG_NS1_7vsmem_tEENKUlT_SE_SF_SG_E_clIS8_S8_S9_S9_EESD_ST_SE_SF_SG_EUlST_E0_NS1_11comp_targetILNS1_3genE3ELNS1_11target_archE908ELNS1_3gpuE7ELNS1_3repE0EEENS1_38merge_mergepath_config_static_selectorELNS0_4arch9wavefront6targetE1EEEvSF_
		.amdhsa_group_segment_fixed_size 0
		.amdhsa_private_segment_fixed_size 0
		.amdhsa_kernarg_size 64
		.amdhsa_user_sgpr_count 6
		.amdhsa_user_sgpr_private_segment_buffer 1
		.amdhsa_user_sgpr_dispatch_ptr 0
		.amdhsa_user_sgpr_queue_ptr 0
		.amdhsa_user_sgpr_kernarg_segment_ptr 1
		.amdhsa_user_sgpr_dispatch_id 0
		.amdhsa_user_sgpr_flat_scratch_init 0
		.amdhsa_user_sgpr_kernarg_preload_length 0
		.amdhsa_user_sgpr_kernarg_preload_offset 0
		.amdhsa_user_sgpr_private_segment_size 0
		.amdhsa_uses_dynamic_stack 0
		.amdhsa_system_sgpr_private_segment_wavefront_offset 0
		.amdhsa_system_sgpr_workgroup_id_x 1
		.amdhsa_system_sgpr_workgroup_id_y 0
		.amdhsa_system_sgpr_workgroup_id_z 0
		.amdhsa_system_sgpr_workgroup_info 0
		.amdhsa_system_vgpr_workitem_id 0
		.amdhsa_next_free_vgpr 1
		.amdhsa_next_free_sgpr 0
		.amdhsa_accum_offset 4
		.amdhsa_reserve_vcc 0
		.amdhsa_reserve_flat_scratch 0
		.amdhsa_float_round_mode_32 0
		.amdhsa_float_round_mode_16_64 0
		.amdhsa_float_denorm_mode_32 3
		.amdhsa_float_denorm_mode_16_64 3
		.amdhsa_dx10_clamp 1
		.amdhsa_ieee_mode 1
		.amdhsa_fp16_overflow 0
		.amdhsa_tg_split 0
		.amdhsa_exception_fp_ieee_invalid_op 0
		.amdhsa_exception_fp_denorm_src 0
		.amdhsa_exception_fp_ieee_div_zero 0
		.amdhsa_exception_fp_ieee_overflow 0
		.amdhsa_exception_fp_ieee_underflow 0
		.amdhsa_exception_fp_ieee_inexact 0
		.amdhsa_exception_int_div_zero 0
	.end_amdhsa_kernel
	.section	.text._ZN7rocprim17ROCPRIM_400000_NS6detail17trampoline_kernelINS0_14default_configENS1_38merge_sort_block_merge_config_selectorIaNS0_10empty_typeEEEZZNS1_27merge_sort_block_merge_implIS3_PaPS5_jNS1_19radix_merge_compareILb1ELb1EaNS0_19identity_decomposerEEEEE10hipError_tT0_T1_T2_jT3_P12ihipStream_tbPNSt15iterator_traitsISE_E10value_typeEPNSK_ISF_E10value_typeEPSG_NS1_7vsmem_tEENKUlT_SE_SF_SG_E_clIS8_S8_S9_S9_EESD_ST_SE_SF_SG_EUlST_E0_NS1_11comp_targetILNS1_3genE3ELNS1_11target_archE908ELNS1_3gpuE7ELNS1_3repE0EEENS1_38merge_mergepath_config_static_selectorELNS0_4arch9wavefront6targetE1EEEvSF_,"axG",@progbits,_ZN7rocprim17ROCPRIM_400000_NS6detail17trampoline_kernelINS0_14default_configENS1_38merge_sort_block_merge_config_selectorIaNS0_10empty_typeEEEZZNS1_27merge_sort_block_merge_implIS3_PaPS5_jNS1_19radix_merge_compareILb1ELb1EaNS0_19identity_decomposerEEEEE10hipError_tT0_T1_T2_jT3_P12ihipStream_tbPNSt15iterator_traitsISE_E10value_typeEPNSK_ISF_E10value_typeEPSG_NS1_7vsmem_tEENKUlT_SE_SF_SG_E_clIS8_S8_S9_S9_EESD_ST_SE_SF_SG_EUlST_E0_NS1_11comp_targetILNS1_3genE3ELNS1_11target_archE908ELNS1_3gpuE7ELNS1_3repE0EEENS1_38merge_mergepath_config_static_selectorELNS0_4arch9wavefront6targetE1EEEvSF_,comdat
.Lfunc_end1610:
	.size	_ZN7rocprim17ROCPRIM_400000_NS6detail17trampoline_kernelINS0_14default_configENS1_38merge_sort_block_merge_config_selectorIaNS0_10empty_typeEEEZZNS1_27merge_sort_block_merge_implIS3_PaPS5_jNS1_19radix_merge_compareILb1ELb1EaNS0_19identity_decomposerEEEEE10hipError_tT0_T1_T2_jT3_P12ihipStream_tbPNSt15iterator_traitsISE_E10value_typeEPNSK_ISF_E10value_typeEPSG_NS1_7vsmem_tEENKUlT_SE_SF_SG_E_clIS8_S8_S9_S9_EESD_ST_SE_SF_SG_EUlST_E0_NS1_11comp_targetILNS1_3genE3ELNS1_11target_archE908ELNS1_3gpuE7ELNS1_3repE0EEENS1_38merge_mergepath_config_static_selectorELNS0_4arch9wavefront6targetE1EEEvSF_, .Lfunc_end1610-_ZN7rocprim17ROCPRIM_400000_NS6detail17trampoline_kernelINS0_14default_configENS1_38merge_sort_block_merge_config_selectorIaNS0_10empty_typeEEEZZNS1_27merge_sort_block_merge_implIS3_PaPS5_jNS1_19radix_merge_compareILb1ELb1EaNS0_19identity_decomposerEEEEE10hipError_tT0_T1_T2_jT3_P12ihipStream_tbPNSt15iterator_traitsISE_E10value_typeEPNSK_ISF_E10value_typeEPSG_NS1_7vsmem_tEENKUlT_SE_SF_SG_E_clIS8_S8_S9_S9_EESD_ST_SE_SF_SG_EUlST_E0_NS1_11comp_targetILNS1_3genE3ELNS1_11target_archE908ELNS1_3gpuE7ELNS1_3repE0EEENS1_38merge_mergepath_config_static_selectorELNS0_4arch9wavefront6targetE1EEEvSF_
                                        ; -- End function
	.section	.AMDGPU.csdata,"",@progbits
; Kernel info:
; codeLenInByte = 0
; NumSgprs: 4
; NumVgprs: 0
; NumAgprs: 0
; TotalNumVgprs: 0
; ScratchSize: 0
; MemoryBound: 0
; FloatMode: 240
; IeeeMode: 1
; LDSByteSize: 0 bytes/workgroup (compile time only)
; SGPRBlocks: 0
; VGPRBlocks: 0
; NumSGPRsForWavesPerEU: 4
; NumVGPRsForWavesPerEU: 1
; AccumOffset: 4
; Occupancy: 8
; WaveLimiterHint : 0
; COMPUTE_PGM_RSRC2:SCRATCH_EN: 0
; COMPUTE_PGM_RSRC2:USER_SGPR: 6
; COMPUTE_PGM_RSRC2:TRAP_HANDLER: 0
; COMPUTE_PGM_RSRC2:TGID_X_EN: 1
; COMPUTE_PGM_RSRC2:TGID_Y_EN: 0
; COMPUTE_PGM_RSRC2:TGID_Z_EN: 0
; COMPUTE_PGM_RSRC2:TIDIG_COMP_CNT: 0
; COMPUTE_PGM_RSRC3_GFX90A:ACCUM_OFFSET: 0
; COMPUTE_PGM_RSRC3_GFX90A:TG_SPLIT: 0
	.section	.text._ZN7rocprim17ROCPRIM_400000_NS6detail17trampoline_kernelINS0_14default_configENS1_38merge_sort_block_merge_config_selectorIaNS0_10empty_typeEEEZZNS1_27merge_sort_block_merge_implIS3_PaPS5_jNS1_19radix_merge_compareILb1ELb1EaNS0_19identity_decomposerEEEEE10hipError_tT0_T1_T2_jT3_P12ihipStream_tbPNSt15iterator_traitsISE_E10value_typeEPNSK_ISF_E10value_typeEPSG_NS1_7vsmem_tEENKUlT_SE_SF_SG_E_clIS8_S8_S9_S9_EESD_ST_SE_SF_SG_EUlST_E0_NS1_11comp_targetILNS1_3genE2ELNS1_11target_archE906ELNS1_3gpuE6ELNS1_3repE0EEENS1_38merge_mergepath_config_static_selectorELNS0_4arch9wavefront6targetE1EEEvSF_,"axG",@progbits,_ZN7rocprim17ROCPRIM_400000_NS6detail17trampoline_kernelINS0_14default_configENS1_38merge_sort_block_merge_config_selectorIaNS0_10empty_typeEEEZZNS1_27merge_sort_block_merge_implIS3_PaPS5_jNS1_19radix_merge_compareILb1ELb1EaNS0_19identity_decomposerEEEEE10hipError_tT0_T1_T2_jT3_P12ihipStream_tbPNSt15iterator_traitsISE_E10value_typeEPNSK_ISF_E10value_typeEPSG_NS1_7vsmem_tEENKUlT_SE_SF_SG_E_clIS8_S8_S9_S9_EESD_ST_SE_SF_SG_EUlST_E0_NS1_11comp_targetILNS1_3genE2ELNS1_11target_archE906ELNS1_3gpuE6ELNS1_3repE0EEENS1_38merge_mergepath_config_static_selectorELNS0_4arch9wavefront6targetE1EEEvSF_,comdat
	.protected	_ZN7rocprim17ROCPRIM_400000_NS6detail17trampoline_kernelINS0_14default_configENS1_38merge_sort_block_merge_config_selectorIaNS0_10empty_typeEEEZZNS1_27merge_sort_block_merge_implIS3_PaPS5_jNS1_19radix_merge_compareILb1ELb1EaNS0_19identity_decomposerEEEEE10hipError_tT0_T1_T2_jT3_P12ihipStream_tbPNSt15iterator_traitsISE_E10value_typeEPNSK_ISF_E10value_typeEPSG_NS1_7vsmem_tEENKUlT_SE_SF_SG_E_clIS8_S8_S9_S9_EESD_ST_SE_SF_SG_EUlST_E0_NS1_11comp_targetILNS1_3genE2ELNS1_11target_archE906ELNS1_3gpuE6ELNS1_3repE0EEENS1_38merge_mergepath_config_static_selectorELNS0_4arch9wavefront6targetE1EEEvSF_ ; -- Begin function _ZN7rocprim17ROCPRIM_400000_NS6detail17trampoline_kernelINS0_14default_configENS1_38merge_sort_block_merge_config_selectorIaNS0_10empty_typeEEEZZNS1_27merge_sort_block_merge_implIS3_PaPS5_jNS1_19radix_merge_compareILb1ELb1EaNS0_19identity_decomposerEEEEE10hipError_tT0_T1_T2_jT3_P12ihipStream_tbPNSt15iterator_traitsISE_E10value_typeEPNSK_ISF_E10value_typeEPSG_NS1_7vsmem_tEENKUlT_SE_SF_SG_E_clIS8_S8_S9_S9_EESD_ST_SE_SF_SG_EUlST_E0_NS1_11comp_targetILNS1_3genE2ELNS1_11target_archE906ELNS1_3gpuE6ELNS1_3repE0EEENS1_38merge_mergepath_config_static_selectorELNS0_4arch9wavefront6targetE1EEEvSF_
	.globl	_ZN7rocprim17ROCPRIM_400000_NS6detail17trampoline_kernelINS0_14default_configENS1_38merge_sort_block_merge_config_selectorIaNS0_10empty_typeEEEZZNS1_27merge_sort_block_merge_implIS3_PaPS5_jNS1_19radix_merge_compareILb1ELb1EaNS0_19identity_decomposerEEEEE10hipError_tT0_T1_T2_jT3_P12ihipStream_tbPNSt15iterator_traitsISE_E10value_typeEPNSK_ISF_E10value_typeEPSG_NS1_7vsmem_tEENKUlT_SE_SF_SG_E_clIS8_S8_S9_S9_EESD_ST_SE_SF_SG_EUlST_E0_NS1_11comp_targetILNS1_3genE2ELNS1_11target_archE906ELNS1_3gpuE6ELNS1_3repE0EEENS1_38merge_mergepath_config_static_selectorELNS0_4arch9wavefront6targetE1EEEvSF_
	.p2align	8
	.type	_ZN7rocprim17ROCPRIM_400000_NS6detail17trampoline_kernelINS0_14default_configENS1_38merge_sort_block_merge_config_selectorIaNS0_10empty_typeEEEZZNS1_27merge_sort_block_merge_implIS3_PaPS5_jNS1_19radix_merge_compareILb1ELb1EaNS0_19identity_decomposerEEEEE10hipError_tT0_T1_T2_jT3_P12ihipStream_tbPNSt15iterator_traitsISE_E10value_typeEPNSK_ISF_E10value_typeEPSG_NS1_7vsmem_tEENKUlT_SE_SF_SG_E_clIS8_S8_S9_S9_EESD_ST_SE_SF_SG_EUlST_E0_NS1_11comp_targetILNS1_3genE2ELNS1_11target_archE906ELNS1_3gpuE6ELNS1_3repE0EEENS1_38merge_mergepath_config_static_selectorELNS0_4arch9wavefront6targetE1EEEvSF_,@function
_ZN7rocprim17ROCPRIM_400000_NS6detail17trampoline_kernelINS0_14default_configENS1_38merge_sort_block_merge_config_selectorIaNS0_10empty_typeEEEZZNS1_27merge_sort_block_merge_implIS3_PaPS5_jNS1_19radix_merge_compareILb1ELb1EaNS0_19identity_decomposerEEEEE10hipError_tT0_T1_T2_jT3_P12ihipStream_tbPNSt15iterator_traitsISE_E10value_typeEPNSK_ISF_E10value_typeEPSG_NS1_7vsmem_tEENKUlT_SE_SF_SG_E_clIS8_S8_S9_S9_EESD_ST_SE_SF_SG_EUlST_E0_NS1_11comp_targetILNS1_3genE2ELNS1_11target_archE906ELNS1_3gpuE6ELNS1_3repE0EEENS1_38merge_mergepath_config_static_selectorELNS0_4arch9wavefront6targetE1EEEvSF_: ; @_ZN7rocprim17ROCPRIM_400000_NS6detail17trampoline_kernelINS0_14default_configENS1_38merge_sort_block_merge_config_selectorIaNS0_10empty_typeEEEZZNS1_27merge_sort_block_merge_implIS3_PaPS5_jNS1_19radix_merge_compareILb1ELb1EaNS0_19identity_decomposerEEEEE10hipError_tT0_T1_T2_jT3_P12ihipStream_tbPNSt15iterator_traitsISE_E10value_typeEPNSK_ISF_E10value_typeEPSG_NS1_7vsmem_tEENKUlT_SE_SF_SG_E_clIS8_S8_S9_S9_EESD_ST_SE_SF_SG_EUlST_E0_NS1_11comp_targetILNS1_3genE2ELNS1_11target_archE906ELNS1_3gpuE6ELNS1_3repE0EEENS1_38merge_mergepath_config_static_selectorELNS0_4arch9wavefront6targetE1EEEvSF_
; %bb.0:
	.section	.rodata,"a",@progbits
	.p2align	6, 0x0
	.amdhsa_kernel _ZN7rocprim17ROCPRIM_400000_NS6detail17trampoline_kernelINS0_14default_configENS1_38merge_sort_block_merge_config_selectorIaNS0_10empty_typeEEEZZNS1_27merge_sort_block_merge_implIS3_PaPS5_jNS1_19radix_merge_compareILb1ELb1EaNS0_19identity_decomposerEEEEE10hipError_tT0_T1_T2_jT3_P12ihipStream_tbPNSt15iterator_traitsISE_E10value_typeEPNSK_ISF_E10value_typeEPSG_NS1_7vsmem_tEENKUlT_SE_SF_SG_E_clIS8_S8_S9_S9_EESD_ST_SE_SF_SG_EUlST_E0_NS1_11comp_targetILNS1_3genE2ELNS1_11target_archE906ELNS1_3gpuE6ELNS1_3repE0EEENS1_38merge_mergepath_config_static_selectorELNS0_4arch9wavefront6targetE1EEEvSF_
		.amdhsa_group_segment_fixed_size 0
		.amdhsa_private_segment_fixed_size 0
		.amdhsa_kernarg_size 64
		.amdhsa_user_sgpr_count 6
		.amdhsa_user_sgpr_private_segment_buffer 1
		.amdhsa_user_sgpr_dispatch_ptr 0
		.amdhsa_user_sgpr_queue_ptr 0
		.amdhsa_user_sgpr_kernarg_segment_ptr 1
		.amdhsa_user_sgpr_dispatch_id 0
		.amdhsa_user_sgpr_flat_scratch_init 0
		.amdhsa_user_sgpr_kernarg_preload_length 0
		.amdhsa_user_sgpr_kernarg_preload_offset 0
		.amdhsa_user_sgpr_private_segment_size 0
		.amdhsa_uses_dynamic_stack 0
		.amdhsa_system_sgpr_private_segment_wavefront_offset 0
		.amdhsa_system_sgpr_workgroup_id_x 1
		.amdhsa_system_sgpr_workgroup_id_y 0
		.amdhsa_system_sgpr_workgroup_id_z 0
		.amdhsa_system_sgpr_workgroup_info 0
		.amdhsa_system_vgpr_workitem_id 0
		.amdhsa_next_free_vgpr 1
		.amdhsa_next_free_sgpr 0
		.amdhsa_accum_offset 4
		.amdhsa_reserve_vcc 0
		.amdhsa_reserve_flat_scratch 0
		.amdhsa_float_round_mode_32 0
		.amdhsa_float_round_mode_16_64 0
		.amdhsa_float_denorm_mode_32 3
		.amdhsa_float_denorm_mode_16_64 3
		.amdhsa_dx10_clamp 1
		.amdhsa_ieee_mode 1
		.amdhsa_fp16_overflow 0
		.amdhsa_tg_split 0
		.amdhsa_exception_fp_ieee_invalid_op 0
		.amdhsa_exception_fp_denorm_src 0
		.amdhsa_exception_fp_ieee_div_zero 0
		.amdhsa_exception_fp_ieee_overflow 0
		.amdhsa_exception_fp_ieee_underflow 0
		.amdhsa_exception_fp_ieee_inexact 0
		.amdhsa_exception_int_div_zero 0
	.end_amdhsa_kernel
	.section	.text._ZN7rocprim17ROCPRIM_400000_NS6detail17trampoline_kernelINS0_14default_configENS1_38merge_sort_block_merge_config_selectorIaNS0_10empty_typeEEEZZNS1_27merge_sort_block_merge_implIS3_PaPS5_jNS1_19radix_merge_compareILb1ELb1EaNS0_19identity_decomposerEEEEE10hipError_tT0_T1_T2_jT3_P12ihipStream_tbPNSt15iterator_traitsISE_E10value_typeEPNSK_ISF_E10value_typeEPSG_NS1_7vsmem_tEENKUlT_SE_SF_SG_E_clIS8_S8_S9_S9_EESD_ST_SE_SF_SG_EUlST_E0_NS1_11comp_targetILNS1_3genE2ELNS1_11target_archE906ELNS1_3gpuE6ELNS1_3repE0EEENS1_38merge_mergepath_config_static_selectorELNS0_4arch9wavefront6targetE1EEEvSF_,"axG",@progbits,_ZN7rocprim17ROCPRIM_400000_NS6detail17trampoline_kernelINS0_14default_configENS1_38merge_sort_block_merge_config_selectorIaNS0_10empty_typeEEEZZNS1_27merge_sort_block_merge_implIS3_PaPS5_jNS1_19radix_merge_compareILb1ELb1EaNS0_19identity_decomposerEEEEE10hipError_tT0_T1_T2_jT3_P12ihipStream_tbPNSt15iterator_traitsISE_E10value_typeEPNSK_ISF_E10value_typeEPSG_NS1_7vsmem_tEENKUlT_SE_SF_SG_E_clIS8_S8_S9_S9_EESD_ST_SE_SF_SG_EUlST_E0_NS1_11comp_targetILNS1_3genE2ELNS1_11target_archE906ELNS1_3gpuE6ELNS1_3repE0EEENS1_38merge_mergepath_config_static_selectorELNS0_4arch9wavefront6targetE1EEEvSF_,comdat
.Lfunc_end1611:
	.size	_ZN7rocprim17ROCPRIM_400000_NS6detail17trampoline_kernelINS0_14default_configENS1_38merge_sort_block_merge_config_selectorIaNS0_10empty_typeEEEZZNS1_27merge_sort_block_merge_implIS3_PaPS5_jNS1_19radix_merge_compareILb1ELb1EaNS0_19identity_decomposerEEEEE10hipError_tT0_T1_T2_jT3_P12ihipStream_tbPNSt15iterator_traitsISE_E10value_typeEPNSK_ISF_E10value_typeEPSG_NS1_7vsmem_tEENKUlT_SE_SF_SG_E_clIS8_S8_S9_S9_EESD_ST_SE_SF_SG_EUlST_E0_NS1_11comp_targetILNS1_3genE2ELNS1_11target_archE906ELNS1_3gpuE6ELNS1_3repE0EEENS1_38merge_mergepath_config_static_selectorELNS0_4arch9wavefront6targetE1EEEvSF_, .Lfunc_end1611-_ZN7rocprim17ROCPRIM_400000_NS6detail17trampoline_kernelINS0_14default_configENS1_38merge_sort_block_merge_config_selectorIaNS0_10empty_typeEEEZZNS1_27merge_sort_block_merge_implIS3_PaPS5_jNS1_19radix_merge_compareILb1ELb1EaNS0_19identity_decomposerEEEEE10hipError_tT0_T1_T2_jT3_P12ihipStream_tbPNSt15iterator_traitsISE_E10value_typeEPNSK_ISF_E10value_typeEPSG_NS1_7vsmem_tEENKUlT_SE_SF_SG_E_clIS8_S8_S9_S9_EESD_ST_SE_SF_SG_EUlST_E0_NS1_11comp_targetILNS1_3genE2ELNS1_11target_archE906ELNS1_3gpuE6ELNS1_3repE0EEENS1_38merge_mergepath_config_static_selectorELNS0_4arch9wavefront6targetE1EEEvSF_
                                        ; -- End function
	.section	.AMDGPU.csdata,"",@progbits
; Kernel info:
; codeLenInByte = 0
; NumSgprs: 4
; NumVgprs: 0
; NumAgprs: 0
; TotalNumVgprs: 0
; ScratchSize: 0
; MemoryBound: 0
; FloatMode: 240
; IeeeMode: 1
; LDSByteSize: 0 bytes/workgroup (compile time only)
; SGPRBlocks: 0
; VGPRBlocks: 0
; NumSGPRsForWavesPerEU: 4
; NumVGPRsForWavesPerEU: 1
; AccumOffset: 4
; Occupancy: 8
; WaveLimiterHint : 0
; COMPUTE_PGM_RSRC2:SCRATCH_EN: 0
; COMPUTE_PGM_RSRC2:USER_SGPR: 6
; COMPUTE_PGM_RSRC2:TRAP_HANDLER: 0
; COMPUTE_PGM_RSRC2:TGID_X_EN: 1
; COMPUTE_PGM_RSRC2:TGID_Y_EN: 0
; COMPUTE_PGM_RSRC2:TGID_Z_EN: 0
; COMPUTE_PGM_RSRC2:TIDIG_COMP_CNT: 0
; COMPUTE_PGM_RSRC3_GFX90A:ACCUM_OFFSET: 0
; COMPUTE_PGM_RSRC3_GFX90A:TG_SPLIT: 0
	.section	.text._ZN7rocprim17ROCPRIM_400000_NS6detail17trampoline_kernelINS0_14default_configENS1_38merge_sort_block_merge_config_selectorIaNS0_10empty_typeEEEZZNS1_27merge_sort_block_merge_implIS3_PaPS5_jNS1_19radix_merge_compareILb1ELb1EaNS0_19identity_decomposerEEEEE10hipError_tT0_T1_T2_jT3_P12ihipStream_tbPNSt15iterator_traitsISE_E10value_typeEPNSK_ISF_E10value_typeEPSG_NS1_7vsmem_tEENKUlT_SE_SF_SG_E_clIS8_S8_S9_S9_EESD_ST_SE_SF_SG_EUlST_E0_NS1_11comp_targetILNS1_3genE9ELNS1_11target_archE1100ELNS1_3gpuE3ELNS1_3repE0EEENS1_38merge_mergepath_config_static_selectorELNS0_4arch9wavefront6targetE1EEEvSF_,"axG",@progbits,_ZN7rocprim17ROCPRIM_400000_NS6detail17trampoline_kernelINS0_14default_configENS1_38merge_sort_block_merge_config_selectorIaNS0_10empty_typeEEEZZNS1_27merge_sort_block_merge_implIS3_PaPS5_jNS1_19radix_merge_compareILb1ELb1EaNS0_19identity_decomposerEEEEE10hipError_tT0_T1_T2_jT3_P12ihipStream_tbPNSt15iterator_traitsISE_E10value_typeEPNSK_ISF_E10value_typeEPSG_NS1_7vsmem_tEENKUlT_SE_SF_SG_E_clIS8_S8_S9_S9_EESD_ST_SE_SF_SG_EUlST_E0_NS1_11comp_targetILNS1_3genE9ELNS1_11target_archE1100ELNS1_3gpuE3ELNS1_3repE0EEENS1_38merge_mergepath_config_static_selectorELNS0_4arch9wavefront6targetE1EEEvSF_,comdat
	.protected	_ZN7rocprim17ROCPRIM_400000_NS6detail17trampoline_kernelINS0_14default_configENS1_38merge_sort_block_merge_config_selectorIaNS0_10empty_typeEEEZZNS1_27merge_sort_block_merge_implIS3_PaPS5_jNS1_19radix_merge_compareILb1ELb1EaNS0_19identity_decomposerEEEEE10hipError_tT0_T1_T2_jT3_P12ihipStream_tbPNSt15iterator_traitsISE_E10value_typeEPNSK_ISF_E10value_typeEPSG_NS1_7vsmem_tEENKUlT_SE_SF_SG_E_clIS8_S8_S9_S9_EESD_ST_SE_SF_SG_EUlST_E0_NS1_11comp_targetILNS1_3genE9ELNS1_11target_archE1100ELNS1_3gpuE3ELNS1_3repE0EEENS1_38merge_mergepath_config_static_selectorELNS0_4arch9wavefront6targetE1EEEvSF_ ; -- Begin function _ZN7rocprim17ROCPRIM_400000_NS6detail17trampoline_kernelINS0_14default_configENS1_38merge_sort_block_merge_config_selectorIaNS0_10empty_typeEEEZZNS1_27merge_sort_block_merge_implIS3_PaPS5_jNS1_19radix_merge_compareILb1ELb1EaNS0_19identity_decomposerEEEEE10hipError_tT0_T1_T2_jT3_P12ihipStream_tbPNSt15iterator_traitsISE_E10value_typeEPNSK_ISF_E10value_typeEPSG_NS1_7vsmem_tEENKUlT_SE_SF_SG_E_clIS8_S8_S9_S9_EESD_ST_SE_SF_SG_EUlST_E0_NS1_11comp_targetILNS1_3genE9ELNS1_11target_archE1100ELNS1_3gpuE3ELNS1_3repE0EEENS1_38merge_mergepath_config_static_selectorELNS0_4arch9wavefront6targetE1EEEvSF_
	.globl	_ZN7rocprim17ROCPRIM_400000_NS6detail17trampoline_kernelINS0_14default_configENS1_38merge_sort_block_merge_config_selectorIaNS0_10empty_typeEEEZZNS1_27merge_sort_block_merge_implIS3_PaPS5_jNS1_19radix_merge_compareILb1ELb1EaNS0_19identity_decomposerEEEEE10hipError_tT0_T1_T2_jT3_P12ihipStream_tbPNSt15iterator_traitsISE_E10value_typeEPNSK_ISF_E10value_typeEPSG_NS1_7vsmem_tEENKUlT_SE_SF_SG_E_clIS8_S8_S9_S9_EESD_ST_SE_SF_SG_EUlST_E0_NS1_11comp_targetILNS1_3genE9ELNS1_11target_archE1100ELNS1_3gpuE3ELNS1_3repE0EEENS1_38merge_mergepath_config_static_selectorELNS0_4arch9wavefront6targetE1EEEvSF_
	.p2align	8
	.type	_ZN7rocprim17ROCPRIM_400000_NS6detail17trampoline_kernelINS0_14default_configENS1_38merge_sort_block_merge_config_selectorIaNS0_10empty_typeEEEZZNS1_27merge_sort_block_merge_implIS3_PaPS5_jNS1_19radix_merge_compareILb1ELb1EaNS0_19identity_decomposerEEEEE10hipError_tT0_T1_T2_jT3_P12ihipStream_tbPNSt15iterator_traitsISE_E10value_typeEPNSK_ISF_E10value_typeEPSG_NS1_7vsmem_tEENKUlT_SE_SF_SG_E_clIS8_S8_S9_S9_EESD_ST_SE_SF_SG_EUlST_E0_NS1_11comp_targetILNS1_3genE9ELNS1_11target_archE1100ELNS1_3gpuE3ELNS1_3repE0EEENS1_38merge_mergepath_config_static_selectorELNS0_4arch9wavefront6targetE1EEEvSF_,@function
_ZN7rocprim17ROCPRIM_400000_NS6detail17trampoline_kernelINS0_14default_configENS1_38merge_sort_block_merge_config_selectorIaNS0_10empty_typeEEEZZNS1_27merge_sort_block_merge_implIS3_PaPS5_jNS1_19radix_merge_compareILb1ELb1EaNS0_19identity_decomposerEEEEE10hipError_tT0_T1_T2_jT3_P12ihipStream_tbPNSt15iterator_traitsISE_E10value_typeEPNSK_ISF_E10value_typeEPSG_NS1_7vsmem_tEENKUlT_SE_SF_SG_E_clIS8_S8_S9_S9_EESD_ST_SE_SF_SG_EUlST_E0_NS1_11comp_targetILNS1_3genE9ELNS1_11target_archE1100ELNS1_3gpuE3ELNS1_3repE0EEENS1_38merge_mergepath_config_static_selectorELNS0_4arch9wavefront6targetE1EEEvSF_: ; @_ZN7rocprim17ROCPRIM_400000_NS6detail17trampoline_kernelINS0_14default_configENS1_38merge_sort_block_merge_config_selectorIaNS0_10empty_typeEEEZZNS1_27merge_sort_block_merge_implIS3_PaPS5_jNS1_19radix_merge_compareILb1ELb1EaNS0_19identity_decomposerEEEEE10hipError_tT0_T1_T2_jT3_P12ihipStream_tbPNSt15iterator_traitsISE_E10value_typeEPNSK_ISF_E10value_typeEPSG_NS1_7vsmem_tEENKUlT_SE_SF_SG_E_clIS8_S8_S9_S9_EESD_ST_SE_SF_SG_EUlST_E0_NS1_11comp_targetILNS1_3genE9ELNS1_11target_archE1100ELNS1_3gpuE3ELNS1_3repE0EEENS1_38merge_mergepath_config_static_selectorELNS0_4arch9wavefront6targetE1EEEvSF_
; %bb.0:
	.section	.rodata,"a",@progbits
	.p2align	6, 0x0
	.amdhsa_kernel _ZN7rocprim17ROCPRIM_400000_NS6detail17trampoline_kernelINS0_14default_configENS1_38merge_sort_block_merge_config_selectorIaNS0_10empty_typeEEEZZNS1_27merge_sort_block_merge_implIS3_PaPS5_jNS1_19radix_merge_compareILb1ELb1EaNS0_19identity_decomposerEEEEE10hipError_tT0_T1_T2_jT3_P12ihipStream_tbPNSt15iterator_traitsISE_E10value_typeEPNSK_ISF_E10value_typeEPSG_NS1_7vsmem_tEENKUlT_SE_SF_SG_E_clIS8_S8_S9_S9_EESD_ST_SE_SF_SG_EUlST_E0_NS1_11comp_targetILNS1_3genE9ELNS1_11target_archE1100ELNS1_3gpuE3ELNS1_3repE0EEENS1_38merge_mergepath_config_static_selectorELNS0_4arch9wavefront6targetE1EEEvSF_
		.amdhsa_group_segment_fixed_size 0
		.amdhsa_private_segment_fixed_size 0
		.amdhsa_kernarg_size 64
		.amdhsa_user_sgpr_count 6
		.amdhsa_user_sgpr_private_segment_buffer 1
		.amdhsa_user_sgpr_dispatch_ptr 0
		.amdhsa_user_sgpr_queue_ptr 0
		.amdhsa_user_sgpr_kernarg_segment_ptr 1
		.amdhsa_user_sgpr_dispatch_id 0
		.amdhsa_user_sgpr_flat_scratch_init 0
		.amdhsa_user_sgpr_kernarg_preload_length 0
		.amdhsa_user_sgpr_kernarg_preload_offset 0
		.amdhsa_user_sgpr_private_segment_size 0
		.amdhsa_uses_dynamic_stack 0
		.amdhsa_system_sgpr_private_segment_wavefront_offset 0
		.amdhsa_system_sgpr_workgroup_id_x 1
		.amdhsa_system_sgpr_workgroup_id_y 0
		.amdhsa_system_sgpr_workgroup_id_z 0
		.amdhsa_system_sgpr_workgroup_info 0
		.amdhsa_system_vgpr_workitem_id 0
		.amdhsa_next_free_vgpr 1
		.amdhsa_next_free_sgpr 0
		.amdhsa_accum_offset 4
		.amdhsa_reserve_vcc 0
		.amdhsa_reserve_flat_scratch 0
		.amdhsa_float_round_mode_32 0
		.amdhsa_float_round_mode_16_64 0
		.amdhsa_float_denorm_mode_32 3
		.amdhsa_float_denorm_mode_16_64 3
		.amdhsa_dx10_clamp 1
		.amdhsa_ieee_mode 1
		.amdhsa_fp16_overflow 0
		.amdhsa_tg_split 0
		.amdhsa_exception_fp_ieee_invalid_op 0
		.amdhsa_exception_fp_denorm_src 0
		.amdhsa_exception_fp_ieee_div_zero 0
		.amdhsa_exception_fp_ieee_overflow 0
		.amdhsa_exception_fp_ieee_underflow 0
		.amdhsa_exception_fp_ieee_inexact 0
		.amdhsa_exception_int_div_zero 0
	.end_amdhsa_kernel
	.section	.text._ZN7rocprim17ROCPRIM_400000_NS6detail17trampoline_kernelINS0_14default_configENS1_38merge_sort_block_merge_config_selectorIaNS0_10empty_typeEEEZZNS1_27merge_sort_block_merge_implIS3_PaPS5_jNS1_19radix_merge_compareILb1ELb1EaNS0_19identity_decomposerEEEEE10hipError_tT0_T1_T2_jT3_P12ihipStream_tbPNSt15iterator_traitsISE_E10value_typeEPNSK_ISF_E10value_typeEPSG_NS1_7vsmem_tEENKUlT_SE_SF_SG_E_clIS8_S8_S9_S9_EESD_ST_SE_SF_SG_EUlST_E0_NS1_11comp_targetILNS1_3genE9ELNS1_11target_archE1100ELNS1_3gpuE3ELNS1_3repE0EEENS1_38merge_mergepath_config_static_selectorELNS0_4arch9wavefront6targetE1EEEvSF_,"axG",@progbits,_ZN7rocprim17ROCPRIM_400000_NS6detail17trampoline_kernelINS0_14default_configENS1_38merge_sort_block_merge_config_selectorIaNS0_10empty_typeEEEZZNS1_27merge_sort_block_merge_implIS3_PaPS5_jNS1_19radix_merge_compareILb1ELb1EaNS0_19identity_decomposerEEEEE10hipError_tT0_T1_T2_jT3_P12ihipStream_tbPNSt15iterator_traitsISE_E10value_typeEPNSK_ISF_E10value_typeEPSG_NS1_7vsmem_tEENKUlT_SE_SF_SG_E_clIS8_S8_S9_S9_EESD_ST_SE_SF_SG_EUlST_E0_NS1_11comp_targetILNS1_3genE9ELNS1_11target_archE1100ELNS1_3gpuE3ELNS1_3repE0EEENS1_38merge_mergepath_config_static_selectorELNS0_4arch9wavefront6targetE1EEEvSF_,comdat
.Lfunc_end1612:
	.size	_ZN7rocprim17ROCPRIM_400000_NS6detail17trampoline_kernelINS0_14default_configENS1_38merge_sort_block_merge_config_selectorIaNS0_10empty_typeEEEZZNS1_27merge_sort_block_merge_implIS3_PaPS5_jNS1_19radix_merge_compareILb1ELb1EaNS0_19identity_decomposerEEEEE10hipError_tT0_T1_T2_jT3_P12ihipStream_tbPNSt15iterator_traitsISE_E10value_typeEPNSK_ISF_E10value_typeEPSG_NS1_7vsmem_tEENKUlT_SE_SF_SG_E_clIS8_S8_S9_S9_EESD_ST_SE_SF_SG_EUlST_E0_NS1_11comp_targetILNS1_3genE9ELNS1_11target_archE1100ELNS1_3gpuE3ELNS1_3repE0EEENS1_38merge_mergepath_config_static_selectorELNS0_4arch9wavefront6targetE1EEEvSF_, .Lfunc_end1612-_ZN7rocprim17ROCPRIM_400000_NS6detail17trampoline_kernelINS0_14default_configENS1_38merge_sort_block_merge_config_selectorIaNS0_10empty_typeEEEZZNS1_27merge_sort_block_merge_implIS3_PaPS5_jNS1_19radix_merge_compareILb1ELb1EaNS0_19identity_decomposerEEEEE10hipError_tT0_T1_T2_jT3_P12ihipStream_tbPNSt15iterator_traitsISE_E10value_typeEPNSK_ISF_E10value_typeEPSG_NS1_7vsmem_tEENKUlT_SE_SF_SG_E_clIS8_S8_S9_S9_EESD_ST_SE_SF_SG_EUlST_E0_NS1_11comp_targetILNS1_3genE9ELNS1_11target_archE1100ELNS1_3gpuE3ELNS1_3repE0EEENS1_38merge_mergepath_config_static_selectorELNS0_4arch9wavefront6targetE1EEEvSF_
                                        ; -- End function
	.section	.AMDGPU.csdata,"",@progbits
; Kernel info:
; codeLenInByte = 0
; NumSgprs: 4
; NumVgprs: 0
; NumAgprs: 0
; TotalNumVgprs: 0
; ScratchSize: 0
; MemoryBound: 0
; FloatMode: 240
; IeeeMode: 1
; LDSByteSize: 0 bytes/workgroup (compile time only)
; SGPRBlocks: 0
; VGPRBlocks: 0
; NumSGPRsForWavesPerEU: 4
; NumVGPRsForWavesPerEU: 1
; AccumOffset: 4
; Occupancy: 8
; WaveLimiterHint : 0
; COMPUTE_PGM_RSRC2:SCRATCH_EN: 0
; COMPUTE_PGM_RSRC2:USER_SGPR: 6
; COMPUTE_PGM_RSRC2:TRAP_HANDLER: 0
; COMPUTE_PGM_RSRC2:TGID_X_EN: 1
; COMPUTE_PGM_RSRC2:TGID_Y_EN: 0
; COMPUTE_PGM_RSRC2:TGID_Z_EN: 0
; COMPUTE_PGM_RSRC2:TIDIG_COMP_CNT: 0
; COMPUTE_PGM_RSRC3_GFX90A:ACCUM_OFFSET: 0
; COMPUTE_PGM_RSRC3_GFX90A:TG_SPLIT: 0
	.section	.text._ZN7rocprim17ROCPRIM_400000_NS6detail17trampoline_kernelINS0_14default_configENS1_38merge_sort_block_merge_config_selectorIaNS0_10empty_typeEEEZZNS1_27merge_sort_block_merge_implIS3_PaPS5_jNS1_19radix_merge_compareILb1ELb1EaNS0_19identity_decomposerEEEEE10hipError_tT0_T1_T2_jT3_P12ihipStream_tbPNSt15iterator_traitsISE_E10value_typeEPNSK_ISF_E10value_typeEPSG_NS1_7vsmem_tEENKUlT_SE_SF_SG_E_clIS8_S8_S9_S9_EESD_ST_SE_SF_SG_EUlST_E0_NS1_11comp_targetILNS1_3genE8ELNS1_11target_archE1030ELNS1_3gpuE2ELNS1_3repE0EEENS1_38merge_mergepath_config_static_selectorELNS0_4arch9wavefront6targetE1EEEvSF_,"axG",@progbits,_ZN7rocprim17ROCPRIM_400000_NS6detail17trampoline_kernelINS0_14default_configENS1_38merge_sort_block_merge_config_selectorIaNS0_10empty_typeEEEZZNS1_27merge_sort_block_merge_implIS3_PaPS5_jNS1_19radix_merge_compareILb1ELb1EaNS0_19identity_decomposerEEEEE10hipError_tT0_T1_T2_jT3_P12ihipStream_tbPNSt15iterator_traitsISE_E10value_typeEPNSK_ISF_E10value_typeEPSG_NS1_7vsmem_tEENKUlT_SE_SF_SG_E_clIS8_S8_S9_S9_EESD_ST_SE_SF_SG_EUlST_E0_NS1_11comp_targetILNS1_3genE8ELNS1_11target_archE1030ELNS1_3gpuE2ELNS1_3repE0EEENS1_38merge_mergepath_config_static_selectorELNS0_4arch9wavefront6targetE1EEEvSF_,comdat
	.protected	_ZN7rocprim17ROCPRIM_400000_NS6detail17trampoline_kernelINS0_14default_configENS1_38merge_sort_block_merge_config_selectorIaNS0_10empty_typeEEEZZNS1_27merge_sort_block_merge_implIS3_PaPS5_jNS1_19radix_merge_compareILb1ELb1EaNS0_19identity_decomposerEEEEE10hipError_tT0_T1_T2_jT3_P12ihipStream_tbPNSt15iterator_traitsISE_E10value_typeEPNSK_ISF_E10value_typeEPSG_NS1_7vsmem_tEENKUlT_SE_SF_SG_E_clIS8_S8_S9_S9_EESD_ST_SE_SF_SG_EUlST_E0_NS1_11comp_targetILNS1_3genE8ELNS1_11target_archE1030ELNS1_3gpuE2ELNS1_3repE0EEENS1_38merge_mergepath_config_static_selectorELNS0_4arch9wavefront6targetE1EEEvSF_ ; -- Begin function _ZN7rocprim17ROCPRIM_400000_NS6detail17trampoline_kernelINS0_14default_configENS1_38merge_sort_block_merge_config_selectorIaNS0_10empty_typeEEEZZNS1_27merge_sort_block_merge_implIS3_PaPS5_jNS1_19radix_merge_compareILb1ELb1EaNS0_19identity_decomposerEEEEE10hipError_tT0_T1_T2_jT3_P12ihipStream_tbPNSt15iterator_traitsISE_E10value_typeEPNSK_ISF_E10value_typeEPSG_NS1_7vsmem_tEENKUlT_SE_SF_SG_E_clIS8_S8_S9_S9_EESD_ST_SE_SF_SG_EUlST_E0_NS1_11comp_targetILNS1_3genE8ELNS1_11target_archE1030ELNS1_3gpuE2ELNS1_3repE0EEENS1_38merge_mergepath_config_static_selectorELNS0_4arch9wavefront6targetE1EEEvSF_
	.globl	_ZN7rocprim17ROCPRIM_400000_NS6detail17trampoline_kernelINS0_14default_configENS1_38merge_sort_block_merge_config_selectorIaNS0_10empty_typeEEEZZNS1_27merge_sort_block_merge_implIS3_PaPS5_jNS1_19radix_merge_compareILb1ELb1EaNS0_19identity_decomposerEEEEE10hipError_tT0_T1_T2_jT3_P12ihipStream_tbPNSt15iterator_traitsISE_E10value_typeEPNSK_ISF_E10value_typeEPSG_NS1_7vsmem_tEENKUlT_SE_SF_SG_E_clIS8_S8_S9_S9_EESD_ST_SE_SF_SG_EUlST_E0_NS1_11comp_targetILNS1_3genE8ELNS1_11target_archE1030ELNS1_3gpuE2ELNS1_3repE0EEENS1_38merge_mergepath_config_static_selectorELNS0_4arch9wavefront6targetE1EEEvSF_
	.p2align	8
	.type	_ZN7rocprim17ROCPRIM_400000_NS6detail17trampoline_kernelINS0_14default_configENS1_38merge_sort_block_merge_config_selectorIaNS0_10empty_typeEEEZZNS1_27merge_sort_block_merge_implIS3_PaPS5_jNS1_19radix_merge_compareILb1ELb1EaNS0_19identity_decomposerEEEEE10hipError_tT0_T1_T2_jT3_P12ihipStream_tbPNSt15iterator_traitsISE_E10value_typeEPNSK_ISF_E10value_typeEPSG_NS1_7vsmem_tEENKUlT_SE_SF_SG_E_clIS8_S8_S9_S9_EESD_ST_SE_SF_SG_EUlST_E0_NS1_11comp_targetILNS1_3genE8ELNS1_11target_archE1030ELNS1_3gpuE2ELNS1_3repE0EEENS1_38merge_mergepath_config_static_selectorELNS0_4arch9wavefront6targetE1EEEvSF_,@function
_ZN7rocprim17ROCPRIM_400000_NS6detail17trampoline_kernelINS0_14default_configENS1_38merge_sort_block_merge_config_selectorIaNS0_10empty_typeEEEZZNS1_27merge_sort_block_merge_implIS3_PaPS5_jNS1_19radix_merge_compareILb1ELb1EaNS0_19identity_decomposerEEEEE10hipError_tT0_T1_T2_jT3_P12ihipStream_tbPNSt15iterator_traitsISE_E10value_typeEPNSK_ISF_E10value_typeEPSG_NS1_7vsmem_tEENKUlT_SE_SF_SG_E_clIS8_S8_S9_S9_EESD_ST_SE_SF_SG_EUlST_E0_NS1_11comp_targetILNS1_3genE8ELNS1_11target_archE1030ELNS1_3gpuE2ELNS1_3repE0EEENS1_38merge_mergepath_config_static_selectorELNS0_4arch9wavefront6targetE1EEEvSF_: ; @_ZN7rocprim17ROCPRIM_400000_NS6detail17trampoline_kernelINS0_14default_configENS1_38merge_sort_block_merge_config_selectorIaNS0_10empty_typeEEEZZNS1_27merge_sort_block_merge_implIS3_PaPS5_jNS1_19radix_merge_compareILb1ELb1EaNS0_19identity_decomposerEEEEE10hipError_tT0_T1_T2_jT3_P12ihipStream_tbPNSt15iterator_traitsISE_E10value_typeEPNSK_ISF_E10value_typeEPSG_NS1_7vsmem_tEENKUlT_SE_SF_SG_E_clIS8_S8_S9_S9_EESD_ST_SE_SF_SG_EUlST_E0_NS1_11comp_targetILNS1_3genE8ELNS1_11target_archE1030ELNS1_3gpuE2ELNS1_3repE0EEENS1_38merge_mergepath_config_static_selectorELNS0_4arch9wavefront6targetE1EEEvSF_
; %bb.0:
	.section	.rodata,"a",@progbits
	.p2align	6, 0x0
	.amdhsa_kernel _ZN7rocprim17ROCPRIM_400000_NS6detail17trampoline_kernelINS0_14default_configENS1_38merge_sort_block_merge_config_selectorIaNS0_10empty_typeEEEZZNS1_27merge_sort_block_merge_implIS3_PaPS5_jNS1_19radix_merge_compareILb1ELb1EaNS0_19identity_decomposerEEEEE10hipError_tT0_T1_T2_jT3_P12ihipStream_tbPNSt15iterator_traitsISE_E10value_typeEPNSK_ISF_E10value_typeEPSG_NS1_7vsmem_tEENKUlT_SE_SF_SG_E_clIS8_S8_S9_S9_EESD_ST_SE_SF_SG_EUlST_E0_NS1_11comp_targetILNS1_3genE8ELNS1_11target_archE1030ELNS1_3gpuE2ELNS1_3repE0EEENS1_38merge_mergepath_config_static_selectorELNS0_4arch9wavefront6targetE1EEEvSF_
		.amdhsa_group_segment_fixed_size 0
		.amdhsa_private_segment_fixed_size 0
		.amdhsa_kernarg_size 64
		.amdhsa_user_sgpr_count 6
		.amdhsa_user_sgpr_private_segment_buffer 1
		.amdhsa_user_sgpr_dispatch_ptr 0
		.amdhsa_user_sgpr_queue_ptr 0
		.amdhsa_user_sgpr_kernarg_segment_ptr 1
		.amdhsa_user_sgpr_dispatch_id 0
		.amdhsa_user_sgpr_flat_scratch_init 0
		.amdhsa_user_sgpr_kernarg_preload_length 0
		.amdhsa_user_sgpr_kernarg_preload_offset 0
		.amdhsa_user_sgpr_private_segment_size 0
		.amdhsa_uses_dynamic_stack 0
		.amdhsa_system_sgpr_private_segment_wavefront_offset 0
		.amdhsa_system_sgpr_workgroup_id_x 1
		.amdhsa_system_sgpr_workgroup_id_y 0
		.amdhsa_system_sgpr_workgroup_id_z 0
		.amdhsa_system_sgpr_workgroup_info 0
		.amdhsa_system_vgpr_workitem_id 0
		.amdhsa_next_free_vgpr 1
		.amdhsa_next_free_sgpr 0
		.amdhsa_accum_offset 4
		.amdhsa_reserve_vcc 0
		.amdhsa_reserve_flat_scratch 0
		.amdhsa_float_round_mode_32 0
		.amdhsa_float_round_mode_16_64 0
		.amdhsa_float_denorm_mode_32 3
		.amdhsa_float_denorm_mode_16_64 3
		.amdhsa_dx10_clamp 1
		.amdhsa_ieee_mode 1
		.amdhsa_fp16_overflow 0
		.amdhsa_tg_split 0
		.amdhsa_exception_fp_ieee_invalid_op 0
		.amdhsa_exception_fp_denorm_src 0
		.amdhsa_exception_fp_ieee_div_zero 0
		.amdhsa_exception_fp_ieee_overflow 0
		.amdhsa_exception_fp_ieee_underflow 0
		.amdhsa_exception_fp_ieee_inexact 0
		.amdhsa_exception_int_div_zero 0
	.end_amdhsa_kernel
	.section	.text._ZN7rocprim17ROCPRIM_400000_NS6detail17trampoline_kernelINS0_14default_configENS1_38merge_sort_block_merge_config_selectorIaNS0_10empty_typeEEEZZNS1_27merge_sort_block_merge_implIS3_PaPS5_jNS1_19radix_merge_compareILb1ELb1EaNS0_19identity_decomposerEEEEE10hipError_tT0_T1_T2_jT3_P12ihipStream_tbPNSt15iterator_traitsISE_E10value_typeEPNSK_ISF_E10value_typeEPSG_NS1_7vsmem_tEENKUlT_SE_SF_SG_E_clIS8_S8_S9_S9_EESD_ST_SE_SF_SG_EUlST_E0_NS1_11comp_targetILNS1_3genE8ELNS1_11target_archE1030ELNS1_3gpuE2ELNS1_3repE0EEENS1_38merge_mergepath_config_static_selectorELNS0_4arch9wavefront6targetE1EEEvSF_,"axG",@progbits,_ZN7rocprim17ROCPRIM_400000_NS6detail17trampoline_kernelINS0_14default_configENS1_38merge_sort_block_merge_config_selectorIaNS0_10empty_typeEEEZZNS1_27merge_sort_block_merge_implIS3_PaPS5_jNS1_19radix_merge_compareILb1ELb1EaNS0_19identity_decomposerEEEEE10hipError_tT0_T1_T2_jT3_P12ihipStream_tbPNSt15iterator_traitsISE_E10value_typeEPNSK_ISF_E10value_typeEPSG_NS1_7vsmem_tEENKUlT_SE_SF_SG_E_clIS8_S8_S9_S9_EESD_ST_SE_SF_SG_EUlST_E0_NS1_11comp_targetILNS1_3genE8ELNS1_11target_archE1030ELNS1_3gpuE2ELNS1_3repE0EEENS1_38merge_mergepath_config_static_selectorELNS0_4arch9wavefront6targetE1EEEvSF_,comdat
.Lfunc_end1613:
	.size	_ZN7rocprim17ROCPRIM_400000_NS6detail17trampoline_kernelINS0_14default_configENS1_38merge_sort_block_merge_config_selectorIaNS0_10empty_typeEEEZZNS1_27merge_sort_block_merge_implIS3_PaPS5_jNS1_19radix_merge_compareILb1ELb1EaNS0_19identity_decomposerEEEEE10hipError_tT0_T1_T2_jT3_P12ihipStream_tbPNSt15iterator_traitsISE_E10value_typeEPNSK_ISF_E10value_typeEPSG_NS1_7vsmem_tEENKUlT_SE_SF_SG_E_clIS8_S8_S9_S9_EESD_ST_SE_SF_SG_EUlST_E0_NS1_11comp_targetILNS1_3genE8ELNS1_11target_archE1030ELNS1_3gpuE2ELNS1_3repE0EEENS1_38merge_mergepath_config_static_selectorELNS0_4arch9wavefront6targetE1EEEvSF_, .Lfunc_end1613-_ZN7rocprim17ROCPRIM_400000_NS6detail17trampoline_kernelINS0_14default_configENS1_38merge_sort_block_merge_config_selectorIaNS0_10empty_typeEEEZZNS1_27merge_sort_block_merge_implIS3_PaPS5_jNS1_19radix_merge_compareILb1ELb1EaNS0_19identity_decomposerEEEEE10hipError_tT0_T1_T2_jT3_P12ihipStream_tbPNSt15iterator_traitsISE_E10value_typeEPNSK_ISF_E10value_typeEPSG_NS1_7vsmem_tEENKUlT_SE_SF_SG_E_clIS8_S8_S9_S9_EESD_ST_SE_SF_SG_EUlST_E0_NS1_11comp_targetILNS1_3genE8ELNS1_11target_archE1030ELNS1_3gpuE2ELNS1_3repE0EEENS1_38merge_mergepath_config_static_selectorELNS0_4arch9wavefront6targetE1EEEvSF_
                                        ; -- End function
	.section	.AMDGPU.csdata,"",@progbits
; Kernel info:
; codeLenInByte = 0
; NumSgprs: 4
; NumVgprs: 0
; NumAgprs: 0
; TotalNumVgprs: 0
; ScratchSize: 0
; MemoryBound: 0
; FloatMode: 240
; IeeeMode: 1
; LDSByteSize: 0 bytes/workgroup (compile time only)
; SGPRBlocks: 0
; VGPRBlocks: 0
; NumSGPRsForWavesPerEU: 4
; NumVGPRsForWavesPerEU: 1
; AccumOffset: 4
; Occupancy: 8
; WaveLimiterHint : 0
; COMPUTE_PGM_RSRC2:SCRATCH_EN: 0
; COMPUTE_PGM_RSRC2:USER_SGPR: 6
; COMPUTE_PGM_RSRC2:TRAP_HANDLER: 0
; COMPUTE_PGM_RSRC2:TGID_X_EN: 1
; COMPUTE_PGM_RSRC2:TGID_Y_EN: 0
; COMPUTE_PGM_RSRC2:TGID_Z_EN: 0
; COMPUTE_PGM_RSRC2:TIDIG_COMP_CNT: 0
; COMPUTE_PGM_RSRC3_GFX90A:ACCUM_OFFSET: 0
; COMPUTE_PGM_RSRC3_GFX90A:TG_SPLIT: 0
	.section	.text._ZN7rocprim17ROCPRIM_400000_NS6detail17trampoline_kernelINS0_14default_configENS1_38merge_sort_block_merge_config_selectorIaNS0_10empty_typeEEEZZNS1_27merge_sort_block_merge_implIS3_PaPS5_jNS1_19radix_merge_compareILb1ELb1EaNS0_19identity_decomposerEEEEE10hipError_tT0_T1_T2_jT3_P12ihipStream_tbPNSt15iterator_traitsISE_E10value_typeEPNSK_ISF_E10value_typeEPSG_NS1_7vsmem_tEENKUlT_SE_SF_SG_E_clIS8_S8_S9_S9_EESD_ST_SE_SF_SG_EUlST_E1_NS1_11comp_targetILNS1_3genE0ELNS1_11target_archE4294967295ELNS1_3gpuE0ELNS1_3repE0EEENS1_36merge_oddeven_config_static_selectorELNS0_4arch9wavefront6targetE1EEEvSF_,"axG",@progbits,_ZN7rocprim17ROCPRIM_400000_NS6detail17trampoline_kernelINS0_14default_configENS1_38merge_sort_block_merge_config_selectorIaNS0_10empty_typeEEEZZNS1_27merge_sort_block_merge_implIS3_PaPS5_jNS1_19radix_merge_compareILb1ELb1EaNS0_19identity_decomposerEEEEE10hipError_tT0_T1_T2_jT3_P12ihipStream_tbPNSt15iterator_traitsISE_E10value_typeEPNSK_ISF_E10value_typeEPSG_NS1_7vsmem_tEENKUlT_SE_SF_SG_E_clIS8_S8_S9_S9_EESD_ST_SE_SF_SG_EUlST_E1_NS1_11comp_targetILNS1_3genE0ELNS1_11target_archE4294967295ELNS1_3gpuE0ELNS1_3repE0EEENS1_36merge_oddeven_config_static_selectorELNS0_4arch9wavefront6targetE1EEEvSF_,comdat
	.protected	_ZN7rocprim17ROCPRIM_400000_NS6detail17trampoline_kernelINS0_14default_configENS1_38merge_sort_block_merge_config_selectorIaNS0_10empty_typeEEEZZNS1_27merge_sort_block_merge_implIS3_PaPS5_jNS1_19radix_merge_compareILb1ELb1EaNS0_19identity_decomposerEEEEE10hipError_tT0_T1_T2_jT3_P12ihipStream_tbPNSt15iterator_traitsISE_E10value_typeEPNSK_ISF_E10value_typeEPSG_NS1_7vsmem_tEENKUlT_SE_SF_SG_E_clIS8_S8_S9_S9_EESD_ST_SE_SF_SG_EUlST_E1_NS1_11comp_targetILNS1_3genE0ELNS1_11target_archE4294967295ELNS1_3gpuE0ELNS1_3repE0EEENS1_36merge_oddeven_config_static_selectorELNS0_4arch9wavefront6targetE1EEEvSF_ ; -- Begin function _ZN7rocprim17ROCPRIM_400000_NS6detail17trampoline_kernelINS0_14default_configENS1_38merge_sort_block_merge_config_selectorIaNS0_10empty_typeEEEZZNS1_27merge_sort_block_merge_implIS3_PaPS5_jNS1_19radix_merge_compareILb1ELb1EaNS0_19identity_decomposerEEEEE10hipError_tT0_T1_T2_jT3_P12ihipStream_tbPNSt15iterator_traitsISE_E10value_typeEPNSK_ISF_E10value_typeEPSG_NS1_7vsmem_tEENKUlT_SE_SF_SG_E_clIS8_S8_S9_S9_EESD_ST_SE_SF_SG_EUlST_E1_NS1_11comp_targetILNS1_3genE0ELNS1_11target_archE4294967295ELNS1_3gpuE0ELNS1_3repE0EEENS1_36merge_oddeven_config_static_selectorELNS0_4arch9wavefront6targetE1EEEvSF_
	.globl	_ZN7rocprim17ROCPRIM_400000_NS6detail17trampoline_kernelINS0_14default_configENS1_38merge_sort_block_merge_config_selectorIaNS0_10empty_typeEEEZZNS1_27merge_sort_block_merge_implIS3_PaPS5_jNS1_19radix_merge_compareILb1ELb1EaNS0_19identity_decomposerEEEEE10hipError_tT0_T1_T2_jT3_P12ihipStream_tbPNSt15iterator_traitsISE_E10value_typeEPNSK_ISF_E10value_typeEPSG_NS1_7vsmem_tEENKUlT_SE_SF_SG_E_clIS8_S8_S9_S9_EESD_ST_SE_SF_SG_EUlST_E1_NS1_11comp_targetILNS1_3genE0ELNS1_11target_archE4294967295ELNS1_3gpuE0ELNS1_3repE0EEENS1_36merge_oddeven_config_static_selectorELNS0_4arch9wavefront6targetE1EEEvSF_
	.p2align	8
	.type	_ZN7rocprim17ROCPRIM_400000_NS6detail17trampoline_kernelINS0_14default_configENS1_38merge_sort_block_merge_config_selectorIaNS0_10empty_typeEEEZZNS1_27merge_sort_block_merge_implIS3_PaPS5_jNS1_19radix_merge_compareILb1ELb1EaNS0_19identity_decomposerEEEEE10hipError_tT0_T1_T2_jT3_P12ihipStream_tbPNSt15iterator_traitsISE_E10value_typeEPNSK_ISF_E10value_typeEPSG_NS1_7vsmem_tEENKUlT_SE_SF_SG_E_clIS8_S8_S9_S9_EESD_ST_SE_SF_SG_EUlST_E1_NS1_11comp_targetILNS1_3genE0ELNS1_11target_archE4294967295ELNS1_3gpuE0ELNS1_3repE0EEENS1_36merge_oddeven_config_static_selectorELNS0_4arch9wavefront6targetE1EEEvSF_,@function
_ZN7rocprim17ROCPRIM_400000_NS6detail17trampoline_kernelINS0_14default_configENS1_38merge_sort_block_merge_config_selectorIaNS0_10empty_typeEEEZZNS1_27merge_sort_block_merge_implIS3_PaPS5_jNS1_19radix_merge_compareILb1ELb1EaNS0_19identity_decomposerEEEEE10hipError_tT0_T1_T2_jT3_P12ihipStream_tbPNSt15iterator_traitsISE_E10value_typeEPNSK_ISF_E10value_typeEPSG_NS1_7vsmem_tEENKUlT_SE_SF_SG_E_clIS8_S8_S9_S9_EESD_ST_SE_SF_SG_EUlST_E1_NS1_11comp_targetILNS1_3genE0ELNS1_11target_archE4294967295ELNS1_3gpuE0ELNS1_3repE0EEENS1_36merge_oddeven_config_static_selectorELNS0_4arch9wavefront6targetE1EEEvSF_: ; @_ZN7rocprim17ROCPRIM_400000_NS6detail17trampoline_kernelINS0_14default_configENS1_38merge_sort_block_merge_config_selectorIaNS0_10empty_typeEEEZZNS1_27merge_sort_block_merge_implIS3_PaPS5_jNS1_19radix_merge_compareILb1ELb1EaNS0_19identity_decomposerEEEEE10hipError_tT0_T1_T2_jT3_P12ihipStream_tbPNSt15iterator_traitsISE_E10value_typeEPNSK_ISF_E10value_typeEPSG_NS1_7vsmem_tEENKUlT_SE_SF_SG_E_clIS8_S8_S9_S9_EESD_ST_SE_SF_SG_EUlST_E1_NS1_11comp_targetILNS1_3genE0ELNS1_11target_archE4294967295ELNS1_3gpuE0ELNS1_3repE0EEENS1_36merge_oddeven_config_static_selectorELNS0_4arch9wavefront6targetE1EEEvSF_
; %bb.0:
	.section	.rodata,"a",@progbits
	.p2align	6, 0x0
	.amdhsa_kernel _ZN7rocprim17ROCPRIM_400000_NS6detail17trampoline_kernelINS0_14default_configENS1_38merge_sort_block_merge_config_selectorIaNS0_10empty_typeEEEZZNS1_27merge_sort_block_merge_implIS3_PaPS5_jNS1_19radix_merge_compareILb1ELb1EaNS0_19identity_decomposerEEEEE10hipError_tT0_T1_T2_jT3_P12ihipStream_tbPNSt15iterator_traitsISE_E10value_typeEPNSK_ISF_E10value_typeEPSG_NS1_7vsmem_tEENKUlT_SE_SF_SG_E_clIS8_S8_S9_S9_EESD_ST_SE_SF_SG_EUlST_E1_NS1_11comp_targetILNS1_3genE0ELNS1_11target_archE4294967295ELNS1_3gpuE0ELNS1_3repE0EEENS1_36merge_oddeven_config_static_selectorELNS0_4arch9wavefront6targetE1EEEvSF_
		.amdhsa_group_segment_fixed_size 0
		.amdhsa_private_segment_fixed_size 0
		.amdhsa_kernarg_size 48
		.amdhsa_user_sgpr_count 6
		.amdhsa_user_sgpr_private_segment_buffer 1
		.amdhsa_user_sgpr_dispatch_ptr 0
		.amdhsa_user_sgpr_queue_ptr 0
		.amdhsa_user_sgpr_kernarg_segment_ptr 1
		.amdhsa_user_sgpr_dispatch_id 0
		.amdhsa_user_sgpr_flat_scratch_init 0
		.amdhsa_user_sgpr_kernarg_preload_length 0
		.amdhsa_user_sgpr_kernarg_preload_offset 0
		.amdhsa_user_sgpr_private_segment_size 0
		.amdhsa_uses_dynamic_stack 0
		.amdhsa_system_sgpr_private_segment_wavefront_offset 0
		.amdhsa_system_sgpr_workgroup_id_x 1
		.amdhsa_system_sgpr_workgroup_id_y 0
		.amdhsa_system_sgpr_workgroup_id_z 0
		.amdhsa_system_sgpr_workgroup_info 0
		.amdhsa_system_vgpr_workitem_id 0
		.amdhsa_next_free_vgpr 1
		.amdhsa_next_free_sgpr 0
		.amdhsa_accum_offset 4
		.amdhsa_reserve_vcc 0
		.amdhsa_reserve_flat_scratch 0
		.amdhsa_float_round_mode_32 0
		.amdhsa_float_round_mode_16_64 0
		.amdhsa_float_denorm_mode_32 3
		.amdhsa_float_denorm_mode_16_64 3
		.amdhsa_dx10_clamp 1
		.amdhsa_ieee_mode 1
		.amdhsa_fp16_overflow 0
		.amdhsa_tg_split 0
		.amdhsa_exception_fp_ieee_invalid_op 0
		.amdhsa_exception_fp_denorm_src 0
		.amdhsa_exception_fp_ieee_div_zero 0
		.amdhsa_exception_fp_ieee_overflow 0
		.amdhsa_exception_fp_ieee_underflow 0
		.amdhsa_exception_fp_ieee_inexact 0
		.amdhsa_exception_int_div_zero 0
	.end_amdhsa_kernel
	.section	.text._ZN7rocprim17ROCPRIM_400000_NS6detail17trampoline_kernelINS0_14default_configENS1_38merge_sort_block_merge_config_selectorIaNS0_10empty_typeEEEZZNS1_27merge_sort_block_merge_implIS3_PaPS5_jNS1_19radix_merge_compareILb1ELb1EaNS0_19identity_decomposerEEEEE10hipError_tT0_T1_T2_jT3_P12ihipStream_tbPNSt15iterator_traitsISE_E10value_typeEPNSK_ISF_E10value_typeEPSG_NS1_7vsmem_tEENKUlT_SE_SF_SG_E_clIS8_S8_S9_S9_EESD_ST_SE_SF_SG_EUlST_E1_NS1_11comp_targetILNS1_3genE0ELNS1_11target_archE4294967295ELNS1_3gpuE0ELNS1_3repE0EEENS1_36merge_oddeven_config_static_selectorELNS0_4arch9wavefront6targetE1EEEvSF_,"axG",@progbits,_ZN7rocprim17ROCPRIM_400000_NS6detail17trampoline_kernelINS0_14default_configENS1_38merge_sort_block_merge_config_selectorIaNS0_10empty_typeEEEZZNS1_27merge_sort_block_merge_implIS3_PaPS5_jNS1_19radix_merge_compareILb1ELb1EaNS0_19identity_decomposerEEEEE10hipError_tT0_T1_T2_jT3_P12ihipStream_tbPNSt15iterator_traitsISE_E10value_typeEPNSK_ISF_E10value_typeEPSG_NS1_7vsmem_tEENKUlT_SE_SF_SG_E_clIS8_S8_S9_S9_EESD_ST_SE_SF_SG_EUlST_E1_NS1_11comp_targetILNS1_3genE0ELNS1_11target_archE4294967295ELNS1_3gpuE0ELNS1_3repE0EEENS1_36merge_oddeven_config_static_selectorELNS0_4arch9wavefront6targetE1EEEvSF_,comdat
.Lfunc_end1614:
	.size	_ZN7rocprim17ROCPRIM_400000_NS6detail17trampoline_kernelINS0_14default_configENS1_38merge_sort_block_merge_config_selectorIaNS0_10empty_typeEEEZZNS1_27merge_sort_block_merge_implIS3_PaPS5_jNS1_19radix_merge_compareILb1ELb1EaNS0_19identity_decomposerEEEEE10hipError_tT0_T1_T2_jT3_P12ihipStream_tbPNSt15iterator_traitsISE_E10value_typeEPNSK_ISF_E10value_typeEPSG_NS1_7vsmem_tEENKUlT_SE_SF_SG_E_clIS8_S8_S9_S9_EESD_ST_SE_SF_SG_EUlST_E1_NS1_11comp_targetILNS1_3genE0ELNS1_11target_archE4294967295ELNS1_3gpuE0ELNS1_3repE0EEENS1_36merge_oddeven_config_static_selectorELNS0_4arch9wavefront6targetE1EEEvSF_, .Lfunc_end1614-_ZN7rocprim17ROCPRIM_400000_NS6detail17trampoline_kernelINS0_14default_configENS1_38merge_sort_block_merge_config_selectorIaNS0_10empty_typeEEEZZNS1_27merge_sort_block_merge_implIS3_PaPS5_jNS1_19radix_merge_compareILb1ELb1EaNS0_19identity_decomposerEEEEE10hipError_tT0_T1_T2_jT3_P12ihipStream_tbPNSt15iterator_traitsISE_E10value_typeEPNSK_ISF_E10value_typeEPSG_NS1_7vsmem_tEENKUlT_SE_SF_SG_E_clIS8_S8_S9_S9_EESD_ST_SE_SF_SG_EUlST_E1_NS1_11comp_targetILNS1_3genE0ELNS1_11target_archE4294967295ELNS1_3gpuE0ELNS1_3repE0EEENS1_36merge_oddeven_config_static_selectorELNS0_4arch9wavefront6targetE1EEEvSF_
                                        ; -- End function
	.section	.AMDGPU.csdata,"",@progbits
; Kernel info:
; codeLenInByte = 0
; NumSgprs: 4
; NumVgprs: 0
; NumAgprs: 0
; TotalNumVgprs: 0
; ScratchSize: 0
; MemoryBound: 0
; FloatMode: 240
; IeeeMode: 1
; LDSByteSize: 0 bytes/workgroup (compile time only)
; SGPRBlocks: 0
; VGPRBlocks: 0
; NumSGPRsForWavesPerEU: 4
; NumVGPRsForWavesPerEU: 1
; AccumOffset: 4
; Occupancy: 8
; WaveLimiterHint : 0
; COMPUTE_PGM_RSRC2:SCRATCH_EN: 0
; COMPUTE_PGM_RSRC2:USER_SGPR: 6
; COMPUTE_PGM_RSRC2:TRAP_HANDLER: 0
; COMPUTE_PGM_RSRC2:TGID_X_EN: 1
; COMPUTE_PGM_RSRC2:TGID_Y_EN: 0
; COMPUTE_PGM_RSRC2:TGID_Z_EN: 0
; COMPUTE_PGM_RSRC2:TIDIG_COMP_CNT: 0
; COMPUTE_PGM_RSRC3_GFX90A:ACCUM_OFFSET: 0
; COMPUTE_PGM_RSRC3_GFX90A:TG_SPLIT: 0
	.section	.text._ZN7rocprim17ROCPRIM_400000_NS6detail17trampoline_kernelINS0_14default_configENS1_38merge_sort_block_merge_config_selectorIaNS0_10empty_typeEEEZZNS1_27merge_sort_block_merge_implIS3_PaPS5_jNS1_19radix_merge_compareILb1ELb1EaNS0_19identity_decomposerEEEEE10hipError_tT0_T1_T2_jT3_P12ihipStream_tbPNSt15iterator_traitsISE_E10value_typeEPNSK_ISF_E10value_typeEPSG_NS1_7vsmem_tEENKUlT_SE_SF_SG_E_clIS8_S8_S9_S9_EESD_ST_SE_SF_SG_EUlST_E1_NS1_11comp_targetILNS1_3genE10ELNS1_11target_archE1201ELNS1_3gpuE5ELNS1_3repE0EEENS1_36merge_oddeven_config_static_selectorELNS0_4arch9wavefront6targetE1EEEvSF_,"axG",@progbits,_ZN7rocprim17ROCPRIM_400000_NS6detail17trampoline_kernelINS0_14default_configENS1_38merge_sort_block_merge_config_selectorIaNS0_10empty_typeEEEZZNS1_27merge_sort_block_merge_implIS3_PaPS5_jNS1_19radix_merge_compareILb1ELb1EaNS0_19identity_decomposerEEEEE10hipError_tT0_T1_T2_jT3_P12ihipStream_tbPNSt15iterator_traitsISE_E10value_typeEPNSK_ISF_E10value_typeEPSG_NS1_7vsmem_tEENKUlT_SE_SF_SG_E_clIS8_S8_S9_S9_EESD_ST_SE_SF_SG_EUlST_E1_NS1_11comp_targetILNS1_3genE10ELNS1_11target_archE1201ELNS1_3gpuE5ELNS1_3repE0EEENS1_36merge_oddeven_config_static_selectorELNS0_4arch9wavefront6targetE1EEEvSF_,comdat
	.protected	_ZN7rocprim17ROCPRIM_400000_NS6detail17trampoline_kernelINS0_14default_configENS1_38merge_sort_block_merge_config_selectorIaNS0_10empty_typeEEEZZNS1_27merge_sort_block_merge_implIS3_PaPS5_jNS1_19radix_merge_compareILb1ELb1EaNS0_19identity_decomposerEEEEE10hipError_tT0_T1_T2_jT3_P12ihipStream_tbPNSt15iterator_traitsISE_E10value_typeEPNSK_ISF_E10value_typeEPSG_NS1_7vsmem_tEENKUlT_SE_SF_SG_E_clIS8_S8_S9_S9_EESD_ST_SE_SF_SG_EUlST_E1_NS1_11comp_targetILNS1_3genE10ELNS1_11target_archE1201ELNS1_3gpuE5ELNS1_3repE0EEENS1_36merge_oddeven_config_static_selectorELNS0_4arch9wavefront6targetE1EEEvSF_ ; -- Begin function _ZN7rocprim17ROCPRIM_400000_NS6detail17trampoline_kernelINS0_14default_configENS1_38merge_sort_block_merge_config_selectorIaNS0_10empty_typeEEEZZNS1_27merge_sort_block_merge_implIS3_PaPS5_jNS1_19radix_merge_compareILb1ELb1EaNS0_19identity_decomposerEEEEE10hipError_tT0_T1_T2_jT3_P12ihipStream_tbPNSt15iterator_traitsISE_E10value_typeEPNSK_ISF_E10value_typeEPSG_NS1_7vsmem_tEENKUlT_SE_SF_SG_E_clIS8_S8_S9_S9_EESD_ST_SE_SF_SG_EUlST_E1_NS1_11comp_targetILNS1_3genE10ELNS1_11target_archE1201ELNS1_3gpuE5ELNS1_3repE0EEENS1_36merge_oddeven_config_static_selectorELNS0_4arch9wavefront6targetE1EEEvSF_
	.globl	_ZN7rocprim17ROCPRIM_400000_NS6detail17trampoline_kernelINS0_14default_configENS1_38merge_sort_block_merge_config_selectorIaNS0_10empty_typeEEEZZNS1_27merge_sort_block_merge_implIS3_PaPS5_jNS1_19radix_merge_compareILb1ELb1EaNS0_19identity_decomposerEEEEE10hipError_tT0_T1_T2_jT3_P12ihipStream_tbPNSt15iterator_traitsISE_E10value_typeEPNSK_ISF_E10value_typeEPSG_NS1_7vsmem_tEENKUlT_SE_SF_SG_E_clIS8_S8_S9_S9_EESD_ST_SE_SF_SG_EUlST_E1_NS1_11comp_targetILNS1_3genE10ELNS1_11target_archE1201ELNS1_3gpuE5ELNS1_3repE0EEENS1_36merge_oddeven_config_static_selectorELNS0_4arch9wavefront6targetE1EEEvSF_
	.p2align	8
	.type	_ZN7rocprim17ROCPRIM_400000_NS6detail17trampoline_kernelINS0_14default_configENS1_38merge_sort_block_merge_config_selectorIaNS0_10empty_typeEEEZZNS1_27merge_sort_block_merge_implIS3_PaPS5_jNS1_19radix_merge_compareILb1ELb1EaNS0_19identity_decomposerEEEEE10hipError_tT0_T1_T2_jT3_P12ihipStream_tbPNSt15iterator_traitsISE_E10value_typeEPNSK_ISF_E10value_typeEPSG_NS1_7vsmem_tEENKUlT_SE_SF_SG_E_clIS8_S8_S9_S9_EESD_ST_SE_SF_SG_EUlST_E1_NS1_11comp_targetILNS1_3genE10ELNS1_11target_archE1201ELNS1_3gpuE5ELNS1_3repE0EEENS1_36merge_oddeven_config_static_selectorELNS0_4arch9wavefront6targetE1EEEvSF_,@function
_ZN7rocprim17ROCPRIM_400000_NS6detail17trampoline_kernelINS0_14default_configENS1_38merge_sort_block_merge_config_selectorIaNS0_10empty_typeEEEZZNS1_27merge_sort_block_merge_implIS3_PaPS5_jNS1_19radix_merge_compareILb1ELb1EaNS0_19identity_decomposerEEEEE10hipError_tT0_T1_T2_jT3_P12ihipStream_tbPNSt15iterator_traitsISE_E10value_typeEPNSK_ISF_E10value_typeEPSG_NS1_7vsmem_tEENKUlT_SE_SF_SG_E_clIS8_S8_S9_S9_EESD_ST_SE_SF_SG_EUlST_E1_NS1_11comp_targetILNS1_3genE10ELNS1_11target_archE1201ELNS1_3gpuE5ELNS1_3repE0EEENS1_36merge_oddeven_config_static_selectorELNS0_4arch9wavefront6targetE1EEEvSF_: ; @_ZN7rocprim17ROCPRIM_400000_NS6detail17trampoline_kernelINS0_14default_configENS1_38merge_sort_block_merge_config_selectorIaNS0_10empty_typeEEEZZNS1_27merge_sort_block_merge_implIS3_PaPS5_jNS1_19radix_merge_compareILb1ELb1EaNS0_19identity_decomposerEEEEE10hipError_tT0_T1_T2_jT3_P12ihipStream_tbPNSt15iterator_traitsISE_E10value_typeEPNSK_ISF_E10value_typeEPSG_NS1_7vsmem_tEENKUlT_SE_SF_SG_E_clIS8_S8_S9_S9_EESD_ST_SE_SF_SG_EUlST_E1_NS1_11comp_targetILNS1_3genE10ELNS1_11target_archE1201ELNS1_3gpuE5ELNS1_3repE0EEENS1_36merge_oddeven_config_static_selectorELNS0_4arch9wavefront6targetE1EEEvSF_
; %bb.0:
	.section	.rodata,"a",@progbits
	.p2align	6, 0x0
	.amdhsa_kernel _ZN7rocprim17ROCPRIM_400000_NS6detail17trampoline_kernelINS0_14default_configENS1_38merge_sort_block_merge_config_selectorIaNS0_10empty_typeEEEZZNS1_27merge_sort_block_merge_implIS3_PaPS5_jNS1_19radix_merge_compareILb1ELb1EaNS0_19identity_decomposerEEEEE10hipError_tT0_T1_T2_jT3_P12ihipStream_tbPNSt15iterator_traitsISE_E10value_typeEPNSK_ISF_E10value_typeEPSG_NS1_7vsmem_tEENKUlT_SE_SF_SG_E_clIS8_S8_S9_S9_EESD_ST_SE_SF_SG_EUlST_E1_NS1_11comp_targetILNS1_3genE10ELNS1_11target_archE1201ELNS1_3gpuE5ELNS1_3repE0EEENS1_36merge_oddeven_config_static_selectorELNS0_4arch9wavefront6targetE1EEEvSF_
		.amdhsa_group_segment_fixed_size 0
		.amdhsa_private_segment_fixed_size 0
		.amdhsa_kernarg_size 48
		.amdhsa_user_sgpr_count 6
		.amdhsa_user_sgpr_private_segment_buffer 1
		.amdhsa_user_sgpr_dispatch_ptr 0
		.amdhsa_user_sgpr_queue_ptr 0
		.amdhsa_user_sgpr_kernarg_segment_ptr 1
		.amdhsa_user_sgpr_dispatch_id 0
		.amdhsa_user_sgpr_flat_scratch_init 0
		.amdhsa_user_sgpr_kernarg_preload_length 0
		.amdhsa_user_sgpr_kernarg_preload_offset 0
		.amdhsa_user_sgpr_private_segment_size 0
		.amdhsa_uses_dynamic_stack 0
		.amdhsa_system_sgpr_private_segment_wavefront_offset 0
		.amdhsa_system_sgpr_workgroup_id_x 1
		.amdhsa_system_sgpr_workgroup_id_y 0
		.amdhsa_system_sgpr_workgroup_id_z 0
		.amdhsa_system_sgpr_workgroup_info 0
		.amdhsa_system_vgpr_workitem_id 0
		.amdhsa_next_free_vgpr 1
		.amdhsa_next_free_sgpr 0
		.amdhsa_accum_offset 4
		.amdhsa_reserve_vcc 0
		.amdhsa_reserve_flat_scratch 0
		.amdhsa_float_round_mode_32 0
		.amdhsa_float_round_mode_16_64 0
		.amdhsa_float_denorm_mode_32 3
		.amdhsa_float_denorm_mode_16_64 3
		.amdhsa_dx10_clamp 1
		.amdhsa_ieee_mode 1
		.amdhsa_fp16_overflow 0
		.amdhsa_tg_split 0
		.amdhsa_exception_fp_ieee_invalid_op 0
		.amdhsa_exception_fp_denorm_src 0
		.amdhsa_exception_fp_ieee_div_zero 0
		.amdhsa_exception_fp_ieee_overflow 0
		.amdhsa_exception_fp_ieee_underflow 0
		.amdhsa_exception_fp_ieee_inexact 0
		.amdhsa_exception_int_div_zero 0
	.end_amdhsa_kernel
	.section	.text._ZN7rocprim17ROCPRIM_400000_NS6detail17trampoline_kernelINS0_14default_configENS1_38merge_sort_block_merge_config_selectorIaNS0_10empty_typeEEEZZNS1_27merge_sort_block_merge_implIS3_PaPS5_jNS1_19radix_merge_compareILb1ELb1EaNS0_19identity_decomposerEEEEE10hipError_tT0_T1_T2_jT3_P12ihipStream_tbPNSt15iterator_traitsISE_E10value_typeEPNSK_ISF_E10value_typeEPSG_NS1_7vsmem_tEENKUlT_SE_SF_SG_E_clIS8_S8_S9_S9_EESD_ST_SE_SF_SG_EUlST_E1_NS1_11comp_targetILNS1_3genE10ELNS1_11target_archE1201ELNS1_3gpuE5ELNS1_3repE0EEENS1_36merge_oddeven_config_static_selectorELNS0_4arch9wavefront6targetE1EEEvSF_,"axG",@progbits,_ZN7rocprim17ROCPRIM_400000_NS6detail17trampoline_kernelINS0_14default_configENS1_38merge_sort_block_merge_config_selectorIaNS0_10empty_typeEEEZZNS1_27merge_sort_block_merge_implIS3_PaPS5_jNS1_19radix_merge_compareILb1ELb1EaNS0_19identity_decomposerEEEEE10hipError_tT0_T1_T2_jT3_P12ihipStream_tbPNSt15iterator_traitsISE_E10value_typeEPNSK_ISF_E10value_typeEPSG_NS1_7vsmem_tEENKUlT_SE_SF_SG_E_clIS8_S8_S9_S9_EESD_ST_SE_SF_SG_EUlST_E1_NS1_11comp_targetILNS1_3genE10ELNS1_11target_archE1201ELNS1_3gpuE5ELNS1_3repE0EEENS1_36merge_oddeven_config_static_selectorELNS0_4arch9wavefront6targetE1EEEvSF_,comdat
.Lfunc_end1615:
	.size	_ZN7rocprim17ROCPRIM_400000_NS6detail17trampoline_kernelINS0_14default_configENS1_38merge_sort_block_merge_config_selectorIaNS0_10empty_typeEEEZZNS1_27merge_sort_block_merge_implIS3_PaPS5_jNS1_19radix_merge_compareILb1ELb1EaNS0_19identity_decomposerEEEEE10hipError_tT0_T1_T2_jT3_P12ihipStream_tbPNSt15iterator_traitsISE_E10value_typeEPNSK_ISF_E10value_typeEPSG_NS1_7vsmem_tEENKUlT_SE_SF_SG_E_clIS8_S8_S9_S9_EESD_ST_SE_SF_SG_EUlST_E1_NS1_11comp_targetILNS1_3genE10ELNS1_11target_archE1201ELNS1_3gpuE5ELNS1_3repE0EEENS1_36merge_oddeven_config_static_selectorELNS0_4arch9wavefront6targetE1EEEvSF_, .Lfunc_end1615-_ZN7rocprim17ROCPRIM_400000_NS6detail17trampoline_kernelINS0_14default_configENS1_38merge_sort_block_merge_config_selectorIaNS0_10empty_typeEEEZZNS1_27merge_sort_block_merge_implIS3_PaPS5_jNS1_19radix_merge_compareILb1ELb1EaNS0_19identity_decomposerEEEEE10hipError_tT0_T1_T2_jT3_P12ihipStream_tbPNSt15iterator_traitsISE_E10value_typeEPNSK_ISF_E10value_typeEPSG_NS1_7vsmem_tEENKUlT_SE_SF_SG_E_clIS8_S8_S9_S9_EESD_ST_SE_SF_SG_EUlST_E1_NS1_11comp_targetILNS1_3genE10ELNS1_11target_archE1201ELNS1_3gpuE5ELNS1_3repE0EEENS1_36merge_oddeven_config_static_selectorELNS0_4arch9wavefront6targetE1EEEvSF_
                                        ; -- End function
	.section	.AMDGPU.csdata,"",@progbits
; Kernel info:
; codeLenInByte = 0
; NumSgprs: 4
; NumVgprs: 0
; NumAgprs: 0
; TotalNumVgprs: 0
; ScratchSize: 0
; MemoryBound: 0
; FloatMode: 240
; IeeeMode: 1
; LDSByteSize: 0 bytes/workgroup (compile time only)
; SGPRBlocks: 0
; VGPRBlocks: 0
; NumSGPRsForWavesPerEU: 4
; NumVGPRsForWavesPerEU: 1
; AccumOffset: 4
; Occupancy: 8
; WaveLimiterHint : 0
; COMPUTE_PGM_RSRC2:SCRATCH_EN: 0
; COMPUTE_PGM_RSRC2:USER_SGPR: 6
; COMPUTE_PGM_RSRC2:TRAP_HANDLER: 0
; COMPUTE_PGM_RSRC2:TGID_X_EN: 1
; COMPUTE_PGM_RSRC2:TGID_Y_EN: 0
; COMPUTE_PGM_RSRC2:TGID_Z_EN: 0
; COMPUTE_PGM_RSRC2:TIDIG_COMP_CNT: 0
; COMPUTE_PGM_RSRC3_GFX90A:ACCUM_OFFSET: 0
; COMPUTE_PGM_RSRC3_GFX90A:TG_SPLIT: 0
	.section	.text._ZN7rocprim17ROCPRIM_400000_NS6detail17trampoline_kernelINS0_14default_configENS1_38merge_sort_block_merge_config_selectorIaNS0_10empty_typeEEEZZNS1_27merge_sort_block_merge_implIS3_PaPS5_jNS1_19radix_merge_compareILb1ELb1EaNS0_19identity_decomposerEEEEE10hipError_tT0_T1_T2_jT3_P12ihipStream_tbPNSt15iterator_traitsISE_E10value_typeEPNSK_ISF_E10value_typeEPSG_NS1_7vsmem_tEENKUlT_SE_SF_SG_E_clIS8_S8_S9_S9_EESD_ST_SE_SF_SG_EUlST_E1_NS1_11comp_targetILNS1_3genE5ELNS1_11target_archE942ELNS1_3gpuE9ELNS1_3repE0EEENS1_36merge_oddeven_config_static_selectorELNS0_4arch9wavefront6targetE1EEEvSF_,"axG",@progbits,_ZN7rocprim17ROCPRIM_400000_NS6detail17trampoline_kernelINS0_14default_configENS1_38merge_sort_block_merge_config_selectorIaNS0_10empty_typeEEEZZNS1_27merge_sort_block_merge_implIS3_PaPS5_jNS1_19radix_merge_compareILb1ELb1EaNS0_19identity_decomposerEEEEE10hipError_tT0_T1_T2_jT3_P12ihipStream_tbPNSt15iterator_traitsISE_E10value_typeEPNSK_ISF_E10value_typeEPSG_NS1_7vsmem_tEENKUlT_SE_SF_SG_E_clIS8_S8_S9_S9_EESD_ST_SE_SF_SG_EUlST_E1_NS1_11comp_targetILNS1_3genE5ELNS1_11target_archE942ELNS1_3gpuE9ELNS1_3repE0EEENS1_36merge_oddeven_config_static_selectorELNS0_4arch9wavefront6targetE1EEEvSF_,comdat
	.protected	_ZN7rocprim17ROCPRIM_400000_NS6detail17trampoline_kernelINS0_14default_configENS1_38merge_sort_block_merge_config_selectorIaNS0_10empty_typeEEEZZNS1_27merge_sort_block_merge_implIS3_PaPS5_jNS1_19radix_merge_compareILb1ELb1EaNS0_19identity_decomposerEEEEE10hipError_tT0_T1_T2_jT3_P12ihipStream_tbPNSt15iterator_traitsISE_E10value_typeEPNSK_ISF_E10value_typeEPSG_NS1_7vsmem_tEENKUlT_SE_SF_SG_E_clIS8_S8_S9_S9_EESD_ST_SE_SF_SG_EUlST_E1_NS1_11comp_targetILNS1_3genE5ELNS1_11target_archE942ELNS1_3gpuE9ELNS1_3repE0EEENS1_36merge_oddeven_config_static_selectorELNS0_4arch9wavefront6targetE1EEEvSF_ ; -- Begin function _ZN7rocprim17ROCPRIM_400000_NS6detail17trampoline_kernelINS0_14default_configENS1_38merge_sort_block_merge_config_selectorIaNS0_10empty_typeEEEZZNS1_27merge_sort_block_merge_implIS3_PaPS5_jNS1_19radix_merge_compareILb1ELb1EaNS0_19identity_decomposerEEEEE10hipError_tT0_T1_T2_jT3_P12ihipStream_tbPNSt15iterator_traitsISE_E10value_typeEPNSK_ISF_E10value_typeEPSG_NS1_7vsmem_tEENKUlT_SE_SF_SG_E_clIS8_S8_S9_S9_EESD_ST_SE_SF_SG_EUlST_E1_NS1_11comp_targetILNS1_3genE5ELNS1_11target_archE942ELNS1_3gpuE9ELNS1_3repE0EEENS1_36merge_oddeven_config_static_selectorELNS0_4arch9wavefront6targetE1EEEvSF_
	.globl	_ZN7rocprim17ROCPRIM_400000_NS6detail17trampoline_kernelINS0_14default_configENS1_38merge_sort_block_merge_config_selectorIaNS0_10empty_typeEEEZZNS1_27merge_sort_block_merge_implIS3_PaPS5_jNS1_19radix_merge_compareILb1ELb1EaNS0_19identity_decomposerEEEEE10hipError_tT0_T1_T2_jT3_P12ihipStream_tbPNSt15iterator_traitsISE_E10value_typeEPNSK_ISF_E10value_typeEPSG_NS1_7vsmem_tEENKUlT_SE_SF_SG_E_clIS8_S8_S9_S9_EESD_ST_SE_SF_SG_EUlST_E1_NS1_11comp_targetILNS1_3genE5ELNS1_11target_archE942ELNS1_3gpuE9ELNS1_3repE0EEENS1_36merge_oddeven_config_static_selectorELNS0_4arch9wavefront6targetE1EEEvSF_
	.p2align	8
	.type	_ZN7rocprim17ROCPRIM_400000_NS6detail17trampoline_kernelINS0_14default_configENS1_38merge_sort_block_merge_config_selectorIaNS0_10empty_typeEEEZZNS1_27merge_sort_block_merge_implIS3_PaPS5_jNS1_19radix_merge_compareILb1ELb1EaNS0_19identity_decomposerEEEEE10hipError_tT0_T1_T2_jT3_P12ihipStream_tbPNSt15iterator_traitsISE_E10value_typeEPNSK_ISF_E10value_typeEPSG_NS1_7vsmem_tEENKUlT_SE_SF_SG_E_clIS8_S8_S9_S9_EESD_ST_SE_SF_SG_EUlST_E1_NS1_11comp_targetILNS1_3genE5ELNS1_11target_archE942ELNS1_3gpuE9ELNS1_3repE0EEENS1_36merge_oddeven_config_static_selectorELNS0_4arch9wavefront6targetE1EEEvSF_,@function
_ZN7rocprim17ROCPRIM_400000_NS6detail17trampoline_kernelINS0_14default_configENS1_38merge_sort_block_merge_config_selectorIaNS0_10empty_typeEEEZZNS1_27merge_sort_block_merge_implIS3_PaPS5_jNS1_19radix_merge_compareILb1ELb1EaNS0_19identity_decomposerEEEEE10hipError_tT0_T1_T2_jT3_P12ihipStream_tbPNSt15iterator_traitsISE_E10value_typeEPNSK_ISF_E10value_typeEPSG_NS1_7vsmem_tEENKUlT_SE_SF_SG_E_clIS8_S8_S9_S9_EESD_ST_SE_SF_SG_EUlST_E1_NS1_11comp_targetILNS1_3genE5ELNS1_11target_archE942ELNS1_3gpuE9ELNS1_3repE0EEENS1_36merge_oddeven_config_static_selectorELNS0_4arch9wavefront6targetE1EEEvSF_: ; @_ZN7rocprim17ROCPRIM_400000_NS6detail17trampoline_kernelINS0_14default_configENS1_38merge_sort_block_merge_config_selectorIaNS0_10empty_typeEEEZZNS1_27merge_sort_block_merge_implIS3_PaPS5_jNS1_19radix_merge_compareILb1ELb1EaNS0_19identity_decomposerEEEEE10hipError_tT0_T1_T2_jT3_P12ihipStream_tbPNSt15iterator_traitsISE_E10value_typeEPNSK_ISF_E10value_typeEPSG_NS1_7vsmem_tEENKUlT_SE_SF_SG_E_clIS8_S8_S9_S9_EESD_ST_SE_SF_SG_EUlST_E1_NS1_11comp_targetILNS1_3genE5ELNS1_11target_archE942ELNS1_3gpuE9ELNS1_3repE0EEENS1_36merge_oddeven_config_static_selectorELNS0_4arch9wavefront6targetE1EEEvSF_
; %bb.0:
	.section	.rodata,"a",@progbits
	.p2align	6, 0x0
	.amdhsa_kernel _ZN7rocprim17ROCPRIM_400000_NS6detail17trampoline_kernelINS0_14default_configENS1_38merge_sort_block_merge_config_selectorIaNS0_10empty_typeEEEZZNS1_27merge_sort_block_merge_implIS3_PaPS5_jNS1_19radix_merge_compareILb1ELb1EaNS0_19identity_decomposerEEEEE10hipError_tT0_T1_T2_jT3_P12ihipStream_tbPNSt15iterator_traitsISE_E10value_typeEPNSK_ISF_E10value_typeEPSG_NS1_7vsmem_tEENKUlT_SE_SF_SG_E_clIS8_S8_S9_S9_EESD_ST_SE_SF_SG_EUlST_E1_NS1_11comp_targetILNS1_3genE5ELNS1_11target_archE942ELNS1_3gpuE9ELNS1_3repE0EEENS1_36merge_oddeven_config_static_selectorELNS0_4arch9wavefront6targetE1EEEvSF_
		.amdhsa_group_segment_fixed_size 0
		.amdhsa_private_segment_fixed_size 0
		.amdhsa_kernarg_size 48
		.amdhsa_user_sgpr_count 6
		.amdhsa_user_sgpr_private_segment_buffer 1
		.amdhsa_user_sgpr_dispatch_ptr 0
		.amdhsa_user_sgpr_queue_ptr 0
		.amdhsa_user_sgpr_kernarg_segment_ptr 1
		.amdhsa_user_sgpr_dispatch_id 0
		.amdhsa_user_sgpr_flat_scratch_init 0
		.amdhsa_user_sgpr_kernarg_preload_length 0
		.amdhsa_user_sgpr_kernarg_preload_offset 0
		.amdhsa_user_sgpr_private_segment_size 0
		.amdhsa_uses_dynamic_stack 0
		.amdhsa_system_sgpr_private_segment_wavefront_offset 0
		.amdhsa_system_sgpr_workgroup_id_x 1
		.amdhsa_system_sgpr_workgroup_id_y 0
		.amdhsa_system_sgpr_workgroup_id_z 0
		.amdhsa_system_sgpr_workgroup_info 0
		.amdhsa_system_vgpr_workitem_id 0
		.amdhsa_next_free_vgpr 1
		.amdhsa_next_free_sgpr 0
		.amdhsa_accum_offset 4
		.amdhsa_reserve_vcc 0
		.amdhsa_reserve_flat_scratch 0
		.amdhsa_float_round_mode_32 0
		.amdhsa_float_round_mode_16_64 0
		.amdhsa_float_denorm_mode_32 3
		.amdhsa_float_denorm_mode_16_64 3
		.amdhsa_dx10_clamp 1
		.amdhsa_ieee_mode 1
		.amdhsa_fp16_overflow 0
		.amdhsa_tg_split 0
		.amdhsa_exception_fp_ieee_invalid_op 0
		.amdhsa_exception_fp_denorm_src 0
		.amdhsa_exception_fp_ieee_div_zero 0
		.amdhsa_exception_fp_ieee_overflow 0
		.amdhsa_exception_fp_ieee_underflow 0
		.amdhsa_exception_fp_ieee_inexact 0
		.amdhsa_exception_int_div_zero 0
	.end_amdhsa_kernel
	.section	.text._ZN7rocprim17ROCPRIM_400000_NS6detail17trampoline_kernelINS0_14default_configENS1_38merge_sort_block_merge_config_selectorIaNS0_10empty_typeEEEZZNS1_27merge_sort_block_merge_implIS3_PaPS5_jNS1_19radix_merge_compareILb1ELb1EaNS0_19identity_decomposerEEEEE10hipError_tT0_T1_T2_jT3_P12ihipStream_tbPNSt15iterator_traitsISE_E10value_typeEPNSK_ISF_E10value_typeEPSG_NS1_7vsmem_tEENKUlT_SE_SF_SG_E_clIS8_S8_S9_S9_EESD_ST_SE_SF_SG_EUlST_E1_NS1_11comp_targetILNS1_3genE5ELNS1_11target_archE942ELNS1_3gpuE9ELNS1_3repE0EEENS1_36merge_oddeven_config_static_selectorELNS0_4arch9wavefront6targetE1EEEvSF_,"axG",@progbits,_ZN7rocprim17ROCPRIM_400000_NS6detail17trampoline_kernelINS0_14default_configENS1_38merge_sort_block_merge_config_selectorIaNS0_10empty_typeEEEZZNS1_27merge_sort_block_merge_implIS3_PaPS5_jNS1_19radix_merge_compareILb1ELb1EaNS0_19identity_decomposerEEEEE10hipError_tT0_T1_T2_jT3_P12ihipStream_tbPNSt15iterator_traitsISE_E10value_typeEPNSK_ISF_E10value_typeEPSG_NS1_7vsmem_tEENKUlT_SE_SF_SG_E_clIS8_S8_S9_S9_EESD_ST_SE_SF_SG_EUlST_E1_NS1_11comp_targetILNS1_3genE5ELNS1_11target_archE942ELNS1_3gpuE9ELNS1_3repE0EEENS1_36merge_oddeven_config_static_selectorELNS0_4arch9wavefront6targetE1EEEvSF_,comdat
.Lfunc_end1616:
	.size	_ZN7rocprim17ROCPRIM_400000_NS6detail17trampoline_kernelINS0_14default_configENS1_38merge_sort_block_merge_config_selectorIaNS0_10empty_typeEEEZZNS1_27merge_sort_block_merge_implIS3_PaPS5_jNS1_19radix_merge_compareILb1ELb1EaNS0_19identity_decomposerEEEEE10hipError_tT0_T1_T2_jT3_P12ihipStream_tbPNSt15iterator_traitsISE_E10value_typeEPNSK_ISF_E10value_typeEPSG_NS1_7vsmem_tEENKUlT_SE_SF_SG_E_clIS8_S8_S9_S9_EESD_ST_SE_SF_SG_EUlST_E1_NS1_11comp_targetILNS1_3genE5ELNS1_11target_archE942ELNS1_3gpuE9ELNS1_3repE0EEENS1_36merge_oddeven_config_static_selectorELNS0_4arch9wavefront6targetE1EEEvSF_, .Lfunc_end1616-_ZN7rocprim17ROCPRIM_400000_NS6detail17trampoline_kernelINS0_14default_configENS1_38merge_sort_block_merge_config_selectorIaNS0_10empty_typeEEEZZNS1_27merge_sort_block_merge_implIS3_PaPS5_jNS1_19radix_merge_compareILb1ELb1EaNS0_19identity_decomposerEEEEE10hipError_tT0_T1_T2_jT3_P12ihipStream_tbPNSt15iterator_traitsISE_E10value_typeEPNSK_ISF_E10value_typeEPSG_NS1_7vsmem_tEENKUlT_SE_SF_SG_E_clIS8_S8_S9_S9_EESD_ST_SE_SF_SG_EUlST_E1_NS1_11comp_targetILNS1_3genE5ELNS1_11target_archE942ELNS1_3gpuE9ELNS1_3repE0EEENS1_36merge_oddeven_config_static_selectorELNS0_4arch9wavefront6targetE1EEEvSF_
                                        ; -- End function
	.section	.AMDGPU.csdata,"",@progbits
; Kernel info:
; codeLenInByte = 0
; NumSgprs: 4
; NumVgprs: 0
; NumAgprs: 0
; TotalNumVgprs: 0
; ScratchSize: 0
; MemoryBound: 0
; FloatMode: 240
; IeeeMode: 1
; LDSByteSize: 0 bytes/workgroup (compile time only)
; SGPRBlocks: 0
; VGPRBlocks: 0
; NumSGPRsForWavesPerEU: 4
; NumVGPRsForWavesPerEU: 1
; AccumOffset: 4
; Occupancy: 8
; WaveLimiterHint : 0
; COMPUTE_PGM_RSRC2:SCRATCH_EN: 0
; COMPUTE_PGM_RSRC2:USER_SGPR: 6
; COMPUTE_PGM_RSRC2:TRAP_HANDLER: 0
; COMPUTE_PGM_RSRC2:TGID_X_EN: 1
; COMPUTE_PGM_RSRC2:TGID_Y_EN: 0
; COMPUTE_PGM_RSRC2:TGID_Z_EN: 0
; COMPUTE_PGM_RSRC2:TIDIG_COMP_CNT: 0
; COMPUTE_PGM_RSRC3_GFX90A:ACCUM_OFFSET: 0
; COMPUTE_PGM_RSRC3_GFX90A:TG_SPLIT: 0
	.section	.text._ZN7rocprim17ROCPRIM_400000_NS6detail17trampoline_kernelINS0_14default_configENS1_38merge_sort_block_merge_config_selectorIaNS0_10empty_typeEEEZZNS1_27merge_sort_block_merge_implIS3_PaPS5_jNS1_19radix_merge_compareILb1ELb1EaNS0_19identity_decomposerEEEEE10hipError_tT0_T1_T2_jT3_P12ihipStream_tbPNSt15iterator_traitsISE_E10value_typeEPNSK_ISF_E10value_typeEPSG_NS1_7vsmem_tEENKUlT_SE_SF_SG_E_clIS8_S8_S9_S9_EESD_ST_SE_SF_SG_EUlST_E1_NS1_11comp_targetILNS1_3genE4ELNS1_11target_archE910ELNS1_3gpuE8ELNS1_3repE0EEENS1_36merge_oddeven_config_static_selectorELNS0_4arch9wavefront6targetE1EEEvSF_,"axG",@progbits,_ZN7rocprim17ROCPRIM_400000_NS6detail17trampoline_kernelINS0_14default_configENS1_38merge_sort_block_merge_config_selectorIaNS0_10empty_typeEEEZZNS1_27merge_sort_block_merge_implIS3_PaPS5_jNS1_19radix_merge_compareILb1ELb1EaNS0_19identity_decomposerEEEEE10hipError_tT0_T1_T2_jT3_P12ihipStream_tbPNSt15iterator_traitsISE_E10value_typeEPNSK_ISF_E10value_typeEPSG_NS1_7vsmem_tEENKUlT_SE_SF_SG_E_clIS8_S8_S9_S9_EESD_ST_SE_SF_SG_EUlST_E1_NS1_11comp_targetILNS1_3genE4ELNS1_11target_archE910ELNS1_3gpuE8ELNS1_3repE0EEENS1_36merge_oddeven_config_static_selectorELNS0_4arch9wavefront6targetE1EEEvSF_,comdat
	.protected	_ZN7rocprim17ROCPRIM_400000_NS6detail17trampoline_kernelINS0_14default_configENS1_38merge_sort_block_merge_config_selectorIaNS0_10empty_typeEEEZZNS1_27merge_sort_block_merge_implIS3_PaPS5_jNS1_19radix_merge_compareILb1ELb1EaNS0_19identity_decomposerEEEEE10hipError_tT0_T1_T2_jT3_P12ihipStream_tbPNSt15iterator_traitsISE_E10value_typeEPNSK_ISF_E10value_typeEPSG_NS1_7vsmem_tEENKUlT_SE_SF_SG_E_clIS8_S8_S9_S9_EESD_ST_SE_SF_SG_EUlST_E1_NS1_11comp_targetILNS1_3genE4ELNS1_11target_archE910ELNS1_3gpuE8ELNS1_3repE0EEENS1_36merge_oddeven_config_static_selectorELNS0_4arch9wavefront6targetE1EEEvSF_ ; -- Begin function _ZN7rocprim17ROCPRIM_400000_NS6detail17trampoline_kernelINS0_14default_configENS1_38merge_sort_block_merge_config_selectorIaNS0_10empty_typeEEEZZNS1_27merge_sort_block_merge_implIS3_PaPS5_jNS1_19radix_merge_compareILb1ELb1EaNS0_19identity_decomposerEEEEE10hipError_tT0_T1_T2_jT3_P12ihipStream_tbPNSt15iterator_traitsISE_E10value_typeEPNSK_ISF_E10value_typeEPSG_NS1_7vsmem_tEENKUlT_SE_SF_SG_E_clIS8_S8_S9_S9_EESD_ST_SE_SF_SG_EUlST_E1_NS1_11comp_targetILNS1_3genE4ELNS1_11target_archE910ELNS1_3gpuE8ELNS1_3repE0EEENS1_36merge_oddeven_config_static_selectorELNS0_4arch9wavefront6targetE1EEEvSF_
	.globl	_ZN7rocprim17ROCPRIM_400000_NS6detail17trampoline_kernelINS0_14default_configENS1_38merge_sort_block_merge_config_selectorIaNS0_10empty_typeEEEZZNS1_27merge_sort_block_merge_implIS3_PaPS5_jNS1_19radix_merge_compareILb1ELb1EaNS0_19identity_decomposerEEEEE10hipError_tT0_T1_T2_jT3_P12ihipStream_tbPNSt15iterator_traitsISE_E10value_typeEPNSK_ISF_E10value_typeEPSG_NS1_7vsmem_tEENKUlT_SE_SF_SG_E_clIS8_S8_S9_S9_EESD_ST_SE_SF_SG_EUlST_E1_NS1_11comp_targetILNS1_3genE4ELNS1_11target_archE910ELNS1_3gpuE8ELNS1_3repE0EEENS1_36merge_oddeven_config_static_selectorELNS0_4arch9wavefront6targetE1EEEvSF_
	.p2align	8
	.type	_ZN7rocprim17ROCPRIM_400000_NS6detail17trampoline_kernelINS0_14default_configENS1_38merge_sort_block_merge_config_selectorIaNS0_10empty_typeEEEZZNS1_27merge_sort_block_merge_implIS3_PaPS5_jNS1_19radix_merge_compareILb1ELb1EaNS0_19identity_decomposerEEEEE10hipError_tT0_T1_T2_jT3_P12ihipStream_tbPNSt15iterator_traitsISE_E10value_typeEPNSK_ISF_E10value_typeEPSG_NS1_7vsmem_tEENKUlT_SE_SF_SG_E_clIS8_S8_S9_S9_EESD_ST_SE_SF_SG_EUlST_E1_NS1_11comp_targetILNS1_3genE4ELNS1_11target_archE910ELNS1_3gpuE8ELNS1_3repE0EEENS1_36merge_oddeven_config_static_selectorELNS0_4arch9wavefront6targetE1EEEvSF_,@function
_ZN7rocprim17ROCPRIM_400000_NS6detail17trampoline_kernelINS0_14default_configENS1_38merge_sort_block_merge_config_selectorIaNS0_10empty_typeEEEZZNS1_27merge_sort_block_merge_implIS3_PaPS5_jNS1_19radix_merge_compareILb1ELb1EaNS0_19identity_decomposerEEEEE10hipError_tT0_T1_T2_jT3_P12ihipStream_tbPNSt15iterator_traitsISE_E10value_typeEPNSK_ISF_E10value_typeEPSG_NS1_7vsmem_tEENKUlT_SE_SF_SG_E_clIS8_S8_S9_S9_EESD_ST_SE_SF_SG_EUlST_E1_NS1_11comp_targetILNS1_3genE4ELNS1_11target_archE910ELNS1_3gpuE8ELNS1_3repE0EEENS1_36merge_oddeven_config_static_selectorELNS0_4arch9wavefront6targetE1EEEvSF_: ; @_ZN7rocprim17ROCPRIM_400000_NS6detail17trampoline_kernelINS0_14default_configENS1_38merge_sort_block_merge_config_selectorIaNS0_10empty_typeEEEZZNS1_27merge_sort_block_merge_implIS3_PaPS5_jNS1_19radix_merge_compareILb1ELb1EaNS0_19identity_decomposerEEEEE10hipError_tT0_T1_T2_jT3_P12ihipStream_tbPNSt15iterator_traitsISE_E10value_typeEPNSK_ISF_E10value_typeEPSG_NS1_7vsmem_tEENKUlT_SE_SF_SG_E_clIS8_S8_S9_S9_EESD_ST_SE_SF_SG_EUlST_E1_NS1_11comp_targetILNS1_3genE4ELNS1_11target_archE910ELNS1_3gpuE8ELNS1_3repE0EEENS1_36merge_oddeven_config_static_selectorELNS0_4arch9wavefront6targetE1EEEvSF_
; %bb.0:
	s_load_dword s17, s[4:5], 0x20
	s_waitcnt lgkmcnt(0)
	s_lshr_b32 s0, s17, 8
	s_cmp_lg_u32 s6, s0
	s_cselect_b64 s[14:15], -1, 0
	s_cmp_eq_u32 s6, s0
	s_cselect_b64 s[12:13], -1, 0
	s_lshl_b32 s7, s6, 8
	s_sub_i32 s0, s17, s7
	v_cmp_gt_u32_e64 s[2:3], s0, v0
	s_or_b64 s[0:1], s[14:15], s[2:3]
	s_and_saveexec_b64 s[8:9], s[0:1]
	s_cbranch_execz .LBB1617_20
; %bb.1:
	s_load_dwordx4 s[8:11], s[4:5], 0x0
	s_load_dword s18, s[4:5], 0x24
	v_add_u32_e32 v2, s7, v0
	s_waitcnt lgkmcnt(0)
	s_add_u32 s0, s8, s7
	s_addc_u32 s1, s9, 0
	global_load_ubyte v1, v0, s[0:1]
	s_lshr_b32 s0, s18, 8
	s_sub_i32 s1, 0, s0
	s_and_b32 s1, s6, s1
	s_and_b32 s0, s1, s0
	s_lshl_b32 s19, s1, 8
	s_sub_i32 s6, 0, s18
	s_cmp_eq_u32 s0, 0
	s_cselect_b64 s[0:1], -1, 0
	s_and_b64 s[20:21], s[0:1], exec
	s_cselect_b32 s16, s18, s6
	s_add_i32 s16, s16, s19
	s_cmp_lt_u32 s16, s17
	s_cbranch_scc1 .LBB1617_3
; %bb.2:
	v_cmp_gt_u32_e32 vcc, s17, v2
	s_or_b64 s[6:7], vcc, s[14:15]
	s_and_b64 s[6:7], s[6:7], exec
	s_cbranch_execz .LBB1617_4
	s_branch .LBB1617_18
.LBB1617_3:
	s_mov_b64 s[6:7], 0
.LBB1617_4:
	s_load_dword s14, s[4:5], 0x28
	s_min_u32 s15, s16, s17
	s_add_i32 s4, s15, s18
	s_min_u32 s17, s4, s17
	s_min_u32 s4, s19, s15
	s_add_i32 s19, s19, s15
	v_subrev_u32_e32 v0, s19, v2
	v_add_u32_e32 v0, s4, v0
	s_and_b64 vcc, exec, s[12:13]
	s_cbranch_vccz .LBB1617_12
; %bb.5:
                                        ; implicit-def: $vgpr2
	s_and_saveexec_b64 s[4:5], s[2:3]
	s_cbranch_execz .LBB1617_11
; %bb.6:
	s_cmp_ge_u32 s16, s17
	v_mov_b32_e32 v2, s15
	s_cbranch_scc1 .LBB1617_10
; %bb.7:
	s_waitcnt vmcnt(0) lgkmcnt(0)
	v_and_b32_e32 v3, s14, v1
	s_mov_b64 s[2:3], 0
	v_mov_b32_e32 v4, s17
	v_mov_b32_e32 v2, s15
.LBB1617_8:                             ; =>This Inner Loop Header: Depth=1
	v_add_u32_e32 v5, v2, v4
	v_lshrrev_b32_e32 v5, 1, v5
	global_load_ubyte v6, v5, s[8:9]
	v_add_u32_e32 v7, 1, v5
	s_waitcnt vmcnt(0)
	v_and_b32_e32 v6, s14, v6
	v_bfe_i32 v6, v6, 0, 8
	v_cmp_gt_i16_sdwa s[12:13], v6, sext(v3) src0_sel:DWORD src1_sel:BYTE_0
	v_cndmask_b32_e64 v8, 0, 1, s[12:13]
	v_cmp_le_i16_sdwa s[12:13], sext(v3), v6 src0_sel:BYTE_0 src1_sel:DWORD
	v_cndmask_b32_e64 v6, 0, 1, s[12:13]
	v_cndmask_b32_e64 v6, v6, v8, s[0:1]
	v_and_b32_e32 v6, 1, v6
	v_cmp_eq_u32_e32 vcc, 1, v6
	v_cndmask_b32_e32 v4, v5, v4, vcc
	v_cndmask_b32_e32 v2, v2, v7, vcc
	v_cmp_ge_u32_e32 vcc, v2, v4
	s_or_b64 s[2:3], vcc, s[2:3]
	s_andn2_b64 exec, exec, s[2:3]
	s_cbranch_execnz .LBB1617_8
; %bb.9:
	s_or_b64 exec, exec, s[2:3]
.LBB1617_10:
	v_add_u32_e32 v2, v2, v0
	s_or_b64 s[6:7], s[6:7], exec
.LBB1617_11:
	s_or_b64 exec, exec, s[4:5]
	s_branch .LBB1617_18
.LBB1617_12:
                                        ; implicit-def: $vgpr2
	s_cbranch_execz .LBB1617_18
; %bb.13:
	s_cmp_ge_u32 s16, s17
	v_mov_b32_e32 v2, s15
	s_cbranch_scc1 .LBB1617_17
; %bb.14:
	s_waitcnt vmcnt(0) lgkmcnt(0)
	v_and_b32_e32 v3, s14, v1
	s_mov_b64 s[2:3], 0
	v_mov_b32_e32 v4, s17
	v_mov_b32_e32 v2, s15
.LBB1617_15:                            ; =>This Inner Loop Header: Depth=1
	v_add_u32_e32 v5, v2, v4
	v_lshrrev_b32_e32 v5, 1, v5
	global_load_ubyte v6, v5, s[8:9]
	v_add_u32_e32 v7, 1, v5
	s_waitcnt vmcnt(0)
	v_and_b32_e32 v6, s14, v6
	v_bfe_i32 v6, v6, 0, 8
	v_cmp_gt_i16_sdwa s[4:5], v6, sext(v3) src0_sel:DWORD src1_sel:BYTE_0
	v_cndmask_b32_e64 v8, 0, 1, s[4:5]
	v_cmp_le_i16_sdwa s[4:5], sext(v3), v6 src0_sel:BYTE_0 src1_sel:DWORD
	v_cndmask_b32_e64 v6, 0, 1, s[4:5]
	v_cndmask_b32_e64 v6, v6, v8, s[0:1]
	v_and_b32_e32 v6, 1, v6
	v_cmp_eq_u32_e32 vcc, 1, v6
	v_cndmask_b32_e32 v4, v5, v4, vcc
	v_cndmask_b32_e32 v2, v2, v7, vcc
	v_cmp_ge_u32_e32 vcc, v2, v4
	s_or_b64 s[2:3], vcc, s[2:3]
	s_andn2_b64 exec, exec, s[2:3]
	s_cbranch_execnz .LBB1617_15
; %bb.16:
	s_or_b64 exec, exec, s[2:3]
.LBB1617_17:
	v_add_u32_e32 v2, v2, v0
	s_mov_b64 s[6:7], -1
.LBB1617_18:
	s_and_b64 exec, exec, s[6:7]
	s_cbranch_execz .LBB1617_20
; %bb.19:
	s_waitcnt vmcnt(0)
	global_store_byte v2, v1, s[10:11]
.LBB1617_20:
	s_endpgm
	.section	.rodata,"a",@progbits
	.p2align	6, 0x0
	.amdhsa_kernel _ZN7rocprim17ROCPRIM_400000_NS6detail17trampoline_kernelINS0_14default_configENS1_38merge_sort_block_merge_config_selectorIaNS0_10empty_typeEEEZZNS1_27merge_sort_block_merge_implIS3_PaPS5_jNS1_19radix_merge_compareILb1ELb1EaNS0_19identity_decomposerEEEEE10hipError_tT0_T1_T2_jT3_P12ihipStream_tbPNSt15iterator_traitsISE_E10value_typeEPNSK_ISF_E10value_typeEPSG_NS1_7vsmem_tEENKUlT_SE_SF_SG_E_clIS8_S8_S9_S9_EESD_ST_SE_SF_SG_EUlST_E1_NS1_11comp_targetILNS1_3genE4ELNS1_11target_archE910ELNS1_3gpuE8ELNS1_3repE0EEENS1_36merge_oddeven_config_static_selectorELNS0_4arch9wavefront6targetE1EEEvSF_
		.amdhsa_group_segment_fixed_size 0
		.amdhsa_private_segment_fixed_size 0
		.amdhsa_kernarg_size 48
		.amdhsa_user_sgpr_count 6
		.amdhsa_user_sgpr_private_segment_buffer 1
		.amdhsa_user_sgpr_dispatch_ptr 0
		.amdhsa_user_sgpr_queue_ptr 0
		.amdhsa_user_sgpr_kernarg_segment_ptr 1
		.amdhsa_user_sgpr_dispatch_id 0
		.amdhsa_user_sgpr_flat_scratch_init 0
		.amdhsa_user_sgpr_kernarg_preload_length 0
		.amdhsa_user_sgpr_kernarg_preload_offset 0
		.amdhsa_user_sgpr_private_segment_size 0
		.amdhsa_uses_dynamic_stack 0
		.amdhsa_system_sgpr_private_segment_wavefront_offset 0
		.amdhsa_system_sgpr_workgroup_id_x 1
		.amdhsa_system_sgpr_workgroup_id_y 0
		.amdhsa_system_sgpr_workgroup_id_z 0
		.amdhsa_system_sgpr_workgroup_info 0
		.amdhsa_system_vgpr_workitem_id 0
		.amdhsa_next_free_vgpr 9
		.amdhsa_next_free_sgpr 22
		.amdhsa_accum_offset 12
		.amdhsa_reserve_vcc 1
		.amdhsa_reserve_flat_scratch 0
		.amdhsa_float_round_mode_32 0
		.amdhsa_float_round_mode_16_64 0
		.amdhsa_float_denorm_mode_32 3
		.amdhsa_float_denorm_mode_16_64 3
		.amdhsa_dx10_clamp 1
		.amdhsa_ieee_mode 1
		.amdhsa_fp16_overflow 0
		.amdhsa_tg_split 0
		.amdhsa_exception_fp_ieee_invalid_op 0
		.amdhsa_exception_fp_denorm_src 0
		.amdhsa_exception_fp_ieee_div_zero 0
		.amdhsa_exception_fp_ieee_overflow 0
		.amdhsa_exception_fp_ieee_underflow 0
		.amdhsa_exception_fp_ieee_inexact 0
		.amdhsa_exception_int_div_zero 0
	.end_amdhsa_kernel
	.section	.text._ZN7rocprim17ROCPRIM_400000_NS6detail17trampoline_kernelINS0_14default_configENS1_38merge_sort_block_merge_config_selectorIaNS0_10empty_typeEEEZZNS1_27merge_sort_block_merge_implIS3_PaPS5_jNS1_19radix_merge_compareILb1ELb1EaNS0_19identity_decomposerEEEEE10hipError_tT0_T1_T2_jT3_P12ihipStream_tbPNSt15iterator_traitsISE_E10value_typeEPNSK_ISF_E10value_typeEPSG_NS1_7vsmem_tEENKUlT_SE_SF_SG_E_clIS8_S8_S9_S9_EESD_ST_SE_SF_SG_EUlST_E1_NS1_11comp_targetILNS1_3genE4ELNS1_11target_archE910ELNS1_3gpuE8ELNS1_3repE0EEENS1_36merge_oddeven_config_static_selectorELNS0_4arch9wavefront6targetE1EEEvSF_,"axG",@progbits,_ZN7rocprim17ROCPRIM_400000_NS6detail17trampoline_kernelINS0_14default_configENS1_38merge_sort_block_merge_config_selectorIaNS0_10empty_typeEEEZZNS1_27merge_sort_block_merge_implIS3_PaPS5_jNS1_19radix_merge_compareILb1ELb1EaNS0_19identity_decomposerEEEEE10hipError_tT0_T1_T2_jT3_P12ihipStream_tbPNSt15iterator_traitsISE_E10value_typeEPNSK_ISF_E10value_typeEPSG_NS1_7vsmem_tEENKUlT_SE_SF_SG_E_clIS8_S8_S9_S9_EESD_ST_SE_SF_SG_EUlST_E1_NS1_11comp_targetILNS1_3genE4ELNS1_11target_archE910ELNS1_3gpuE8ELNS1_3repE0EEENS1_36merge_oddeven_config_static_selectorELNS0_4arch9wavefront6targetE1EEEvSF_,comdat
.Lfunc_end1617:
	.size	_ZN7rocprim17ROCPRIM_400000_NS6detail17trampoline_kernelINS0_14default_configENS1_38merge_sort_block_merge_config_selectorIaNS0_10empty_typeEEEZZNS1_27merge_sort_block_merge_implIS3_PaPS5_jNS1_19radix_merge_compareILb1ELb1EaNS0_19identity_decomposerEEEEE10hipError_tT0_T1_T2_jT3_P12ihipStream_tbPNSt15iterator_traitsISE_E10value_typeEPNSK_ISF_E10value_typeEPSG_NS1_7vsmem_tEENKUlT_SE_SF_SG_E_clIS8_S8_S9_S9_EESD_ST_SE_SF_SG_EUlST_E1_NS1_11comp_targetILNS1_3genE4ELNS1_11target_archE910ELNS1_3gpuE8ELNS1_3repE0EEENS1_36merge_oddeven_config_static_selectorELNS0_4arch9wavefront6targetE1EEEvSF_, .Lfunc_end1617-_ZN7rocprim17ROCPRIM_400000_NS6detail17trampoline_kernelINS0_14default_configENS1_38merge_sort_block_merge_config_selectorIaNS0_10empty_typeEEEZZNS1_27merge_sort_block_merge_implIS3_PaPS5_jNS1_19radix_merge_compareILb1ELb1EaNS0_19identity_decomposerEEEEE10hipError_tT0_T1_T2_jT3_P12ihipStream_tbPNSt15iterator_traitsISE_E10value_typeEPNSK_ISF_E10value_typeEPSG_NS1_7vsmem_tEENKUlT_SE_SF_SG_E_clIS8_S8_S9_S9_EESD_ST_SE_SF_SG_EUlST_E1_NS1_11comp_targetILNS1_3genE4ELNS1_11target_archE910ELNS1_3gpuE8ELNS1_3repE0EEENS1_36merge_oddeven_config_static_selectorELNS0_4arch9wavefront6targetE1EEEvSF_
                                        ; -- End function
	.section	.AMDGPU.csdata,"",@progbits
; Kernel info:
; codeLenInByte = 568
; NumSgprs: 26
; NumVgprs: 9
; NumAgprs: 0
; TotalNumVgprs: 9
; ScratchSize: 0
; MemoryBound: 0
; FloatMode: 240
; IeeeMode: 1
; LDSByteSize: 0 bytes/workgroup (compile time only)
; SGPRBlocks: 3
; VGPRBlocks: 1
; NumSGPRsForWavesPerEU: 26
; NumVGPRsForWavesPerEU: 9
; AccumOffset: 12
; Occupancy: 8
; WaveLimiterHint : 0
; COMPUTE_PGM_RSRC2:SCRATCH_EN: 0
; COMPUTE_PGM_RSRC2:USER_SGPR: 6
; COMPUTE_PGM_RSRC2:TRAP_HANDLER: 0
; COMPUTE_PGM_RSRC2:TGID_X_EN: 1
; COMPUTE_PGM_RSRC2:TGID_Y_EN: 0
; COMPUTE_PGM_RSRC2:TGID_Z_EN: 0
; COMPUTE_PGM_RSRC2:TIDIG_COMP_CNT: 0
; COMPUTE_PGM_RSRC3_GFX90A:ACCUM_OFFSET: 2
; COMPUTE_PGM_RSRC3_GFX90A:TG_SPLIT: 0
	.section	.text._ZN7rocprim17ROCPRIM_400000_NS6detail17trampoline_kernelINS0_14default_configENS1_38merge_sort_block_merge_config_selectorIaNS0_10empty_typeEEEZZNS1_27merge_sort_block_merge_implIS3_PaPS5_jNS1_19radix_merge_compareILb1ELb1EaNS0_19identity_decomposerEEEEE10hipError_tT0_T1_T2_jT3_P12ihipStream_tbPNSt15iterator_traitsISE_E10value_typeEPNSK_ISF_E10value_typeEPSG_NS1_7vsmem_tEENKUlT_SE_SF_SG_E_clIS8_S8_S9_S9_EESD_ST_SE_SF_SG_EUlST_E1_NS1_11comp_targetILNS1_3genE3ELNS1_11target_archE908ELNS1_3gpuE7ELNS1_3repE0EEENS1_36merge_oddeven_config_static_selectorELNS0_4arch9wavefront6targetE1EEEvSF_,"axG",@progbits,_ZN7rocprim17ROCPRIM_400000_NS6detail17trampoline_kernelINS0_14default_configENS1_38merge_sort_block_merge_config_selectorIaNS0_10empty_typeEEEZZNS1_27merge_sort_block_merge_implIS3_PaPS5_jNS1_19radix_merge_compareILb1ELb1EaNS0_19identity_decomposerEEEEE10hipError_tT0_T1_T2_jT3_P12ihipStream_tbPNSt15iterator_traitsISE_E10value_typeEPNSK_ISF_E10value_typeEPSG_NS1_7vsmem_tEENKUlT_SE_SF_SG_E_clIS8_S8_S9_S9_EESD_ST_SE_SF_SG_EUlST_E1_NS1_11comp_targetILNS1_3genE3ELNS1_11target_archE908ELNS1_3gpuE7ELNS1_3repE0EEENS1_36merge_oddeven_config_static_selectorELNS0_4arch9wavefront6targetE1EEEvSF_,comdat
	.protected	_ZN7rocprim17ROCPRIM_400000_NS6detail17trampoline_kernelINS0_14default_configENS1_38merge_sort_block_merge_config_selectorIaNS0_10empty_typeEEEZZNS1_27merge_sort_block_merge_implIS3_PaPS5_jNS1_19radix_merge_compareILb1ELb1EaNS0_19identity_decomposerEEEEE10hipError_tT0_T1_T2_jT3_P12ihipStream_tbPNSt15iterator_traitsISE_E10value_typeEPNSK_ISF_E10value_typeEPSG_NS1_7vsmem_tEENKUlT_SE_SF_SG_E_clIS8_S8_S9_S9_EESD_ST_SE_SF_SG_EUlST_E1_NS1_11comp_targetILNS1_3genE3ELNS1_11target_archE908ELNS1_3gpuE7ELNS1_3repE0EEENS1_36merge_oddeven_config_static_selectorELNS0_4arch9wavefront6targetE1EEEvSF_ ; -- Begin function _ZN7rocprim17ROCPRIM_400000_NS6detail17trampoline_kernelINS0_14default_configENS1_38merge_sort_block_merge_config_selectorIaNS0_10empty_typeEEEZZNS1_27merge_sort_block_merge_implIS3_PaPS5_jNS1_19radix_merge_compareILb1ELb1EaNS0_19identity_decomposerEEEEE10hipError_tT0_T1_T2_jT3_P12ihipStream_tbPNSt15iterator_traitsISE_E10value_typeEPNSK_ISF_E10value_typeEPSG_NS1_7vsmem_tEENKUlT_SE_SF_SG_E_clIS8_S8_S9_S9_EESD_ST_SE_SF_SG_EUlST_E1_NS1_11comp_targetILNS1_3genE3ELNS1_11target_archE908ELNS1_3gpuE7ELNS1_3repE0EEENS1_36merge_oddeven_config_static_selectorELNS0_4arch9wavefront6targetE1EEEvSF_
	.globl	_ZN7rocprim17ROCPRIM_400000_NS6detail17trampoline_kernelINS0_14default_configENS1_38merge_sort_block_merge_config_selectorIaNS0_10empty_typeEEEZZNS1_27merge_sort_block_merge_implIS3_PaPS5_jNS1_19radix_merge_compareILb1ELb1EaNS0_19identity_decomposerEEEEE10hipError_tT0_T1_T2_jT3_P12ihipStream_tbPNSt15iterator_traitsISE_E10value_typeEPNSK_ISF_E10value_typeEPSG_NS1_7vsmem_tEENKUlT_SE_SF_SG_E_clIS8_S8_S9_S9_EESD_ST_SE_SF_SG_EUlST_E1_NS1_11comp_targetILNS1_3genE3ELNS1_11target_archE908ELNS1_3gpuE7ELNS1_3repE0EEENS1_36merge_oddeven_config_static_selectorELNS0_4arch9wavefront6targetE1EEEvSF_
	.p2align	8
	.type	_ZN7rocprim17ROCPRIM_400000_NS6detail17trampoline_kernelINS0_14default_configENS1_38merge_sort_block_merge_config_selectorIaNS0_10empty_typeEEEZZNS1_27merge_sort_block_merge_implIS3_PaPS5_jNS1_19radix_merge_compareILb1ELb1EaNS0_19identity_decomposerEEEEE10hipError_tT0_T1_T2_jT3_P12ihipStream_tbPNSt15iterator_traitsISE_E10value_typeEPNSK_ISF_E10value_typeEPSG_NS1_7vsmem_tEENKUlT_SE_SF_SG_E_clIS8_S8_S9_S9_EESD_ST_SE_SF_SG_EUlST_E1_NS1_11comp_targetILNS1_3genE3ELNS1_11target_archE908ELNS1_3gpuE7ELNS1_3repE0EEENS1_36merge_oddeven_config_static_selectorELNS0_4arch9wavefront6targetE1EEEvSF_,@function
_ZN7rocprim17ROCPRIM_400000_NS6detail17trampoline_kernelINS0_14default_configENS1_38merge_sort_block_merge_config_selectorIaNS0_10empty_typeEEEZZNS1_27merge_sort_block_merge_implIS3_PaPS5_jNS1_19radix_merge_compareILb1ELb1EaNS0_19identity_decomposerEEEEE10hipError_tT0_T1_T2_jT3_P12ihipStream_tbPNSt15iterator_traitsISE_E10value_typeEPNSK_ISF_E10value_typeEPSG_NS1_7vsmem_tEENKUlT_SE_SF_SG_E_clIS8_S8_S9_S9_EESD_ST_SE_SF_SG_EUlST_E1_NS1_11comp_targetILNS1_3genE3ELNS1_11target_archE908ELNS1_3gpuE7ELNS1_3repE0EEENS1_36merge_oddeven_config_static_selectorELNS0_4arch9wavefront6targetE1EEEvSF_: ; @_ZN7rocprim17ROCPRIM_400000_NS6detail17trampoline_kernelINS0_14default_configENS1_38merge_sort_block_merge_config_selectorIaNS0_10empty_typeEEEZZNS1_27merge_sort_block_merge_implIS3_PaPS5_jNS1_19radix_merge_compareILb1ELb1EaNS0_19identity_decomposerEEEEE10hipError_tT0_T1_T2_jT3_P12ihipStream_tbPNSt15iterator_traitsISE_E10value_typeEPNSK_ISF_E10value_typeEPSG_NS1_7vsmem_tEENKUlT_SE_SF_SG_E_clIS8_S8_S9_S9_EESD_ST_SE_SF_SG_EUlST_E1_NS1_11comp_targetILNS1_3genE3ELNS1_11target_archE908ELNS1_3gpuE7ELNS1_3repE0EEENS1_36merge_oddeven_config_static_selectorELNS0_4arch9wavefront6targetE1EEEvSF_
; %bb.0:
	.section	.rodata,"a",@progbits
	.p2align	6, 0x0
	.amdhsa_kernel _ZN7rocprim17ROCPRIM_400000_NS6detail17trampoline_kernelINS0_14default_configENS1_38merge_sort_block_merge_config_selectorIaNS0_10empty_typeEEEZZNS1_27merge_sort_block_merge_implIS3_PaPS5_jNS1_19radix_merge_compareILb1ELb1EaNS0_19identity_decomposerEEEEE10hipError_tT0_T1_T2_jT3_P12ihipStream_tbPNSt15iterator_traitsISE_E10value_typeEPNSK_ISF_E10value_typeEPSG_NS1_7vsmem_tEENKUlT_SE_SF_SG_E_clIS8_S8_S9_S9_EESD_ST_SE_SF_SG_EUlST_E1_NS1_11comp_targetILNS1_3genE3ELNS1_11target_archE908ELNS1_3gpuE7ELNS1_3repE0EEENS1_36merge_oddeven_config_static_selectorELNS0_4arch9wavefront6targetE1EEEvSF_
		.amdhsa_group_segment_fixed_size 0
		.amdhsa_private_segment_fixed_size 0
		.amdhsa_kernarg_size 48
		.amdhsa_user_sgpr_count 6
		.amdhsa_user_sgpr_private_segment_buffer 1
		.amdhsa_user_sgpr_dispatch_ptr 0
		.amdhsa_user_sgpr_queue_ptr 0
		.amdhsa_user_sgpr_kernarg_segment_ptr 1
		.amdhsa_user_sgpr_dispatch_id 0
		.amdhsa_user_sgpr_flat_scratch_init 0
		.amdhsa_user_sgpr_kernarg_preload_length 0
		.amdhsa_user_sgpr_kernarg_preload_offset 0
		.amdhsa_user_sgpr_private_segment_size 0
		.amdhsa_uses_dynamic_stack 0
		.amdhsa_system_sgpr_private_segment_wavefront_offset 0
		.amdhsa_system_sgpr_workgroup_id_x 1
		.amdhsa_system_sgpr_workgroup_id_y 0
		.amdhsa_system_sgpr_workgroup_id_z 0
		.amdhsa_system_sgpr_workgroup_info 0
		.amdhsa_system_vgpr_workitem_id 0
		.amdhsa_next_free_vgpr 1
		.amdhsa_next_free_sgpr 0
		.amdhsa_accum_offset 4
		.amdhsa_reserve_vcc 0
		.amdhsa_reserve_flat_scratch 0
		.amdhsa_float_round_mode_32 0
		.amdhsa_float_round_mode_16_64 0
		.amdhsa_float_denorm_mode_32 3
		.amdhsa_float_denorm_mode_16_64 3
		.amdhsa_dx10_clamp 1
		.amdhsa_ieee_mode 1
		.amdhsa_fp16_overflow 0
		.amdhsa_tg_split 0
		.amdhsa_exception_fp_ieee_invalid_op 0
		.amdhsa_exception_fp_denorm_src 0
		.amdhsa_exception_fp_ieee_div_zero 0
		.amdhsa_exception_fp_ieee_overflow 0
		.amdhsa_exception_fp_ieee_underflow 0
		.amdhsa_exception_fp_ieee_inexact 0
		.amdhsa_exception_int_div_zero 0
	.end_amdhsa_kernel
	.section	.text._ZN7rocprim17ROCPRIM_400000_NS6detail17trampoline_kernelINS0_14default_configENS1_38merge_sort_block_merge_config_selectorIaNS0_10empty_typeEEEZZNS1_27merge_sort_block_merge_implIS3_PaPS5_jNS1_19radix_merge_compareILb1ELb1EaNS0_19identity_decomposerEEEEE10hipError_tT0_T1_T2_jT3_P12ihipStream_tbPNSt15iterator_traitsISE_E10value_typeEPNSK_ISF_E10value_typeEPSG_NS1_7vsmem_tEENKUlT_SE_SF_SG_E_clIS8_S8_S9_S9_EESD_ST_SE_SF_SG_EUlST_E1_NS1_11comp_targetILNS1_3genE3ELNS1_11target_archE908ELNS1_3gpuE7ELNS1_3repE0EEENS1_36merge_oddeven_config_static_selectorELNS0_4arch9wavefront6targetE1EEEvSF_,"axG",@progbits,_ZN7rocprim17ROCPRIM_400000_NS6detail17trampoline_kernelINS0_14default_configENS1_38merge_sort_block_merge_config_selectorIaNS0_10empty_typeEEEZZNS1_27merge_sort_block_merge_implIS3_PaPS5_jNS1_19radix_merge_compareILb1ELb1EaNS0_19identity_decomposerEEEEE10hipError_tT0_T1_T2_jT3_P12ihipStream_tbPNSt15iterator_traitsISE_E10value_typeEPNSK_ISF_E10value_typeEPSG_NS1_7vsmem_tEENKUlT_SE_SF_SG_E_clIS8_S8_S9_S9_EESD_ST_SE_SF_SG_EUlST_E1_NS1_11comp_targetILNS1_3genE3ELNS1_11target_archE908ELNS1_3gpuE7ELNS1_3repE0EEENS1_36merge_oddeven_config_static_selectorELNS0_4arch9wavefront6targetE1EEEvSF_,comdat
.Lfunc_end1618:
	.size	_ZN7rocprim17ROCPRIM_400000_NS6detail17trampoline_kernelINS0_14default_configENS1_38merge_sort_block_merge_config_selectorIaNS0_10empty_typeEEEZZNS1_27merge_sort_block_merge_implIS3_PaPS5_jNS1_19radix_merge_compareILb1ELb1EaNS0_19identity_decomposerEEEEE10hipError_tT0_T1_T2_jT3_P12ihipStream_tbPNSt15iterator_traitsISE_E10value_typeEPNSK_ISF_E10value_typeEPSG_NS1_7vsmem_tEENKUlT_SE_SF_SG_E_clIS8_S8_S9_S9_EESD_ST_SE_SF_SG_EUlST_E1_NS1_11comp_targetILNS1_3genE3ELNS1_11target_archE908ELNS1_3gpuE7ELNS1_3repE0EEENS1_36merge_oddeven_config_static_selectorELNS0_4arch9wavefront6targetE1EEEvSF_, .Lfunc_end1618-_ZN7rocprim17ROCPRIM_400000_NS6detail17trampoline_kernelINS0_14default_configENS1_38merge_sort_block_merge_config_selectorIaNS0_10empty_typeEEEZZNS1_27merge_sort_block_merge_implIS3_PaPS5_jNS1_19radix_merge_compareILb1ELb1EaNS0_19identity_decomposerEEEEE10hipError_tT0_T1_T2_jT3_P12ihipStream_tbPNSt15iterator_traitsISE_E10value_typeEPNSK_ISF_E10value_typeEPSG_NS1_7vsmem_tEENKUlT_SE_SF_SG_E_clIS8_S8_S9_S9_EESD_ST_SE_SF_SG_EUlST_E1_NS1_11comp_targetILNS1_3genE3ELNS1_11target_archE908ELNS1_3gpuE7ELNS1_3repE0EEENS1_36merge_oddeven_config_static_selectorELNS0_4arch9wavefront6targetE1EEEvSF_
                                        ; -- End function
	.section	.AMDGPU.csdata,"",@progbits
; Kernel info:
; codeLenInByte = 0
; NumSgprs: 4
; NumVgprs: 0
; NumAgprs: 0
; TotalNumVgprs: 0
; ScratchSize: 0
; MemoryBound: 0
; FloatMode: 240
; IeeeMode: 1
; LDSByteSize: 0 bytes/workgroup (compile time only)
; SGPRBlocks: 0
; VGPRBlocks: 0
; NumSGPRsForWavesPerEU: 4
; NumVGPRsForWavesPerEU: 1
; AccumOffset: 4
; Occupancy: 8
; WaveLimiterHint : 0
; COMPUTE_PGM_RSRC2:SCRATCH_EN: 0
; COMPUTE_PGM_RSRC2:USER_SGPR: 6
; COMPUTE_PGM_RSRC2:TRAP_HANDLER: 0
; COMPUTE_PGM_RSRC2:TGID_X_EN: 1
; COMPUTE_PGM_RSRC2:TGID_Y_EN: 0
; COMPUTE_PGM_RSRC2:TGID_Z_EN: 0
; COMPUTE_PGM_RSRC2:TIDIG_COMP_CNT: 0
; COMPUTE_PGM_RSRC3_GFX90A:ACCUM_OFFSET: 0
; COMPUTE_PGM_RSRC3_GFX90A:TG_SPLIT: 0
	.section	.text._ZN7rocprim17ROCPRIM_400000_NS6detail17trampoline_kernelINS0_14default_configENS1_38merge_sort_block_merge_config_selectorIaNS0_10empty_typeEEEZZNS1_27merge_sort_block_merge_implIS3_PaPS5_jNS1_19radix_merge_compareILb1ELb1EaNS0_19identity_decomposerEEEEE10hipError_tT0_T1_T2_jT3_P12ihipStream_tbPNSt15iterator_traitsISE_E10value_typeEPNSK_ISF_E10value_typeEPSG_NS1_7vsmem_tEENKUlT_SE_SF_SG_E_clIS8_S8_S9_S9_EESD_ST_SE_SF_SG_EUlST_E1_NS1_11comp_targetILNS1_3genE2ELNS1_11target_archE906ELNS1_3gpuE6ELNS1_3repE0EEENS1_36merge_oddeven_config_static_selectorELNS0_4arch9wavefront6targetE1EEEvSF_,"axG",@progbits,_ZN7rocprim17ROCPRIM_400000_NS6detail17trampoline_kernelINS0_14default_configENS1_38merge_sort_block_merge_config_selectorIaNS0_10empty_typeEEEZZNS1_27merge_sort_block_merge_implIS3_PaPS5_jNS1_19radix_merge_compareILb1ELb1EaNS0_19identity_decomposerEEEEE10hipError_tT0_T1_T2_jT3_P12ihipStream_tbPNSt15iterator_traitsISE_E10value_typeEPNSK_ISF_E10value_typeEPSG_NS1_7vsmem_tEENKUlT_SE_SF_SG_E_clIS8_S8_S9_S9_EESD_ST_SE_SF_SG_EUlST_E1_NS1_11comp_targetILNS1_3genE2ELNS1_11target_archE906ELNS1_3gpuE6ELNS1_3repE0EEENS1_36merge_oddeven_config_static_selectorELNS0_4arch9wavefront6targetE1EEEvSF_,comdat
	.protected	_ZN7rocprim17ROCPRIM_400000_NS6detail17trampoline_kernelINS0_14default_configENS1_38merge_sort_block_merge_config_selectorIaNS0_10empty_typeEEEZZNS1_27merge_sort_block_merge_implIS3_PaPS5_jNS1_19radix_merge_compareILb1ELb1EaNS0_19identity_decomposerEEEEE10hipError_tT0_T1_T2_jT3_P12ihipStream_tbPNSt15iterator_traitsISE_E10value_typeEPNSK_ISF_E10value_typeEPSG_NS1_7vsmem_tEENKUlT_SE_SF_SG_E_clIS8_S8_S9_S9_EESD_ST_SE_SF_SG_EUlST_E1_NS1_11comp_targetILNS1_3genE2ELNS1_11target_archE906ELNS1_3gpuE6ELNS1_3repE0EEENS1_36merge_oddeven_config_static_selectorELNS0_4arch9wavefront6targetE1EEEvSF_ ; -- Begin function _ZN7rocprim17ROCPRIM_400000_NS6detail17trampoline_kernelINS0_14default_configENS1_38merge_sort_block_merge_config_selectorIaNS0_10empty_typeEEEZZNS1_27merge_sort_block_merge_implIS3_PaPS5_jNS1_19radix_merge_compareILb1ELb1EaNS0_19identity_decomposerEEEEE10hipError_tT0_T1_T2_jT3_P12ihipStream_tbPNSt15iterator_traitsISE_E10value_typeEPNSK_ISF_E10value_typeEPSG_NS1_7vsmem_tEENKUlT_SE_SF_SG_E_clIS8_S8_S9_S9_EESD_ST_SE_SF_SG_EUlST_E1_NS1_11comp_targetILNS1_3genE2ELNS1_11target_archE906ELNS1_3gpuE6ELNS1_3repE0EEENS1_36merge_oddeven_config_static_selectorELNS0_4arch9wavefront6targetE1EEEvSF_
	.globl	_ZN7rocprim17ROCPRIM_400000_NS6detail17trampoline_kernelINS0_14default_configENS1_38merge_sort_block_merge_config_selectorIaNS0_10empty_typeEEEZZNS1_27merge_sort_block_merge_implIS3_PaPS5_jNS1_19radix_merge_compareILb1ELb1EaNS0_19identity_decomposerEEEEE10hipError_tT0_T1_T2_jT3_P12ihipStream_tbPNSt15iterator_traitsISE_E10value_typeEPNSK_ISF_E10value_typeEPSG_NS1_7vsmem_tEENKUlT_SE_SF_SG_E_clIS8_S8_S9_S9_EESD_ST_SE_SF_SG_EUlST_E1_NS1_11comp_targetILNS1_3genE2ELNS1_11target_archE906ELNS1_3gpuE6ELNS1_3repE0EEENS1_36merge_oddeven_config_static_selectorELNS0_4arch9wavefront6targetE1EEEvSF_
	.p2align	8
	.type	_ZN7rocprim17ROCPRIM_400000_NS6detail17trampoline_kernelINS0_14default_configENS1_38merge_sort_block_merge_config_selectorIaNS0_10empty_typeEEEZZNS1_27merge_sort_block_merge_implIS3_PaPS5_jNS1_19radix_merge_compareILb1ELb1EaNS0_19identity_decomposerEEEEE10hipError_tT0_T1_T2_jT3_P12ihipStream_tbPNSt15iterator_traitsISE_E10value_typeEPNSK_ISF_E10value_typeEPSG_NS1_7vsmem_tEENKUlT_SE_SF_SG_E_clIS8_S8_S9_S9_EESD_ST_SE_SF_SG_EUlST_E1_NS1_11comp_targetILNS1_3genE2ELNS1_11target_archE906ELNS1_3gpuE6ELNS1_3repE0EEENS1_36merge_oddeven_config_static_selectorELNS0_4arch9wavefront6targetE1EEEvSF_,@function
_ZN7rocprim17ROCPRIM_400000_NS6detail17trampoline_kernelINS0_14default_configENS1_38merge_sort_block_merge_config_selectorIaNS0_10empty_typeEEEZZNS1_27merge_sort_block_merge_implIS3_PaPS5_jNS1_19radix_merge_compareILb1ELb1EaNS0_19identity_decomposerEEEEE10hipError_tT0_T1_T2_jT3_P12ihipStream_tbPNSt15iterator_traitsISE_E10value_typeEPNSK_ISF_E10value_typeEPSG_NS1_7vsmem_tEENKUlT_SE_SF_SG_E_clIS8_S8_S9_S9_EESD_ST_SE_SF_SG_EUlST_E1_NS1_11comp_targetILNS1_3genE2ELNS1_11target_archE906ELNS1_3gpuE6ELNS1_3repE0EEENS1_36merge_oddeven_config_static_selectorELNS0_4arch9wavefront6targetE1EEEvSF_: ; @_ZN7rocprim17ROCPRIM_400000_NS6detail17trampoline_kernelINS0_14default_configENS1_38merge_sort_block_merge_config_selectorIaNS0_10empty_typeEEEZZNS1_27merge_sort_block_merge_implIS3_PaPS5_jNS1_19radix_merge_compareILb1ELb1EaNS0_19identity_decomposerEEEEE10hipError_tT0_T1_T2_jT3_P12ihipStream_tbPNSt15iterator_traitsISE_E10value_typeEPNSK_ISF_E10value_typeEPSG_NS1_7vsmem_tEENKUlT_SE_SF_SG_E_clIS8_S8_S9_S9_EESD_ST_SE_SF_SG_EUlST_E1_NS1_11comp_targetILNS1_3genE2ELNS1_11target_archE906ELNS1_3gpuE6ELNS1_3repE0EEENS1_36merge_oddeven_config_static_selectorELNS0_4arch9wavefront6targetE1EEEvSF_
; %bb.0:
	.section	.rodata,"a",@progbits
	.p2align	6, 0x0
	.amdhsa_kernel _ZN7rocprim17ROCPRIM_400000_NS6detail17trampoline_kernelINS0_14default_configENS1_38merge_sort_block_merge_config_selectorIaNS0_10empty_typeEEEZZNS1_27merge_sort_block_merge_implIS3_PaPS5_jNS1_19radix_merge_compareILb1ELb1EaNS0_19identity_decomposerEEEEE10hipError_tT0_T1_T2_jT3_P12ihipStream_tbPNSt15iterator_traitsISE_E10value_typeEPNSK_ISF_E10value_typeEPSG_NS1_7vsmem_tEENKUlT_SE_SF_SG_E_clIS8_S8_S9_S9_EESD_ST_SE_SF_SG_EUlST_E1_NS1_11comp_targetILNS1_3genE2ELNS1_11target_archE906ELNS1_3gpuE6ELNS1_3repE0EEENS1_36merge_oddeven_config_static_selectorELNS0_4arch9wavefront6targetE1EEEvSF_
		.amdhsa_group_segment_fixed_size 0
		.amdhsa_private_segment_fixed_size 0
		.amdhsa_kernarg_size 48
		.amdhsa_user_sgpr_count 6
		.amdhsa_user_sgpr_private_segment_buffer 1
		.amdhsa_user_sgpr_dispatch_ptr 0
		.amdhsa_user_sgpr_queue_ptr 0
		.amdhsa_user_sgpr_kernarg_segment_ptr 1
		.amdhsa_user_sgpr_dispatch_id 0
		.amdhsa_user_sgpr_flat_scratch_init 0
		.amdhsa_user_sgpr_kernarg_preload_length 0
		.amdhsa_user_sgpr_kernarg_preload_offset 0
		.amdhsa_user_sgpr_private_segment_size 0
		.amdhsa_uses_dynamic_stack 0
		.amdhsa_system_sgpr_private_segment_wavefront_offset 0
		.amdhsa_system_sgpr_workgroup_id_x 1
		.amdhsa_system_sgpr_workgroup_id_y 0
		.amdhsa_system_sgpr_workgroup_id_z 0
		.amdhsa_system_sgpr_workgroup_info 0
		.amdhsa_system_vgpr_workitem_id 0
		.amdhsa_next_free_vgpr 1
		.amdhsa_next_free_sgpr 0
		.amdhsa_accum_offset 4
		.amdhsa_reserve_vcc 0
		.amdhsa_reserve_flat_scratch 0
		.amdhsa_float_round_mode_32 0
		.amdhsa_float_round_mode_16_64 0
		.amdhsa_float_denorm_mode_32 3
		.amdhsa_float_denorm_mode_16_64 3
		.amdhsa_dx10_clamp 1
		.amdhsa_ieee_mode 1
		.amdhsa_fp16_overflow 0
		.amdhsa_tg_split 0
		.amdhsa_exception_fp_ieee_invalid_op 0
		.amdhsa_exception_fp_denorm_src 0
		.amdhsa_exception_fp_ieee_div_zero 0
		.amdhsa_exception_fp_ieee_overflow 0
		.amdhsa_exception_fp_ieee_underflow 0
		.amdhsa_exception_fp_ieee_inexact 0
		.amdhsa_exception_int_div_zero 0
	.end_amdhsa_kernel
	.section	.text._ZN7rocprim17ROCPRIM_400000_NS6detail17trampoline_kernelINS0_14default_configENS1_38merge_sort_block_merge_config_selectorIaNS0_10empty_typeEEEZZNS1_27merge_sort_block_merge_implIS3_PaPS5_jNS1_19radix_merge_compareILb1ELb1EaNS0_19identity_decomposerEEEEE10hipError_tT0_T1_T2_jT3_P12ihipStream_tbPNSt15iterator_traitsISE_E10value_typeEPNSK_ISF_E10value_typeEPSG_NS1_7vsmem_tEENKUlT_SE_SF_SG_E_clIS8_S8_S9_S9_EESD_ST_SE_SF_SG_EUlST_E1_NS1_11comp_targetILNS1_3genE2ELNS1_11target_archE906ELNS1_3gpuE6ELNS1_3repE0EEENS1_36merge_oddeven_config_static_selectorELNS0_4arch9wavefront6targetE1EEEvSF_,"axG",@progbits,_ZN7rocprim17ROCPRIM_400000_NS6detail17trampoline_kernelINS0_14default_configENS1_38merge_sort_block_merge_config_selectorIaNS0_10empty_typeEEEZZNS1_27merge_sort_block_merge_implIS3_PaPS5_jNS1_19radix_merge_compareILb1ELb1EaNS0_19identity_decomposerEEEEE10hipError_tT0_T1_T2_jT3_P12ihipStream_tbPNSt15iterator_traitsISE_E10value_typeEPNSK_ISF_E10value_typeEPSG_NS1_7vsmem_tEENKUlT_SE_SF_SG_E_clIS8_S8_S9_S9_EESD_ST_SE_SF_SG_EUlST_E1_NS1_11comp_targetILNS1_3genE2ELNS1_11target_archE906ELNS1_3gpuE6ELNS1_3repE0EEENS1_36merge_oddeven_config_static_selectorELNS0_4arch9wavefront6targetE1EEEvSF_,comdat
.Lfunc_end1619:
	.size	_ZN7rocprim17ROCPRIM_400000_NS6detail17trampoline_kernelINS0_14default_configENS1_38merge_sort_block_merge_config_selectorIaNS0_10empty_typeEEEZZNS1_27merge_sort_block_merge_implIS3_PaPS5_jNS1_19radix_merge_compareILb1ELb1EaNS0_19identity_decomposerEEEEE10hipError_tT0_T1_T2_jT3_P12ihipStream_tbPNSt15iterator_traitsISE_E10value_typeEPNSK_ISF_E10value_typeEPSG_NS1_7vsmem_tEENKUlT_SE_SF_SG_E_clIS8_S8_S9_S9_EESD_ST_SE_SF_SG_EUlST_E1_NS1_11comp_targetILNS1_3genE2ELNS1_11target_archE906ELNS1_3gpuE6ELNS1_3repE0EEENS1_36merge_oddeven_config_static_selectorELNS0_4arch9wavefront6targetE1EEEvSF_, .Lfunc_end1619-_ZN7rocprim17ROCPRIM_400000_NS6detail17trampoline_kernelINS0_14default_configENS1_38merge_sort_block_merge_config_selectorIaNS0_10empty_typeEEEZZNS1_27merge_sort_block_merge_implIS3_PaPS5_jNS1_19radix_merge_compareILb1ELb1EaNS0_19identity_decomposerEEEEE10hipError_tT0_T1_T2_jT3_P12ihipStream_tbPNSt15iterator_traitsISE_E10value_typeEPNSK_ISF_E10value_typeEPSG_NS1_7vsmem_tEENKUlT_SE_SF_SG_E_clIS8_S8_S9_S9_EESD_ST_SE_SF_SG_EUlST_E1_NS1_11comp_targetILNS1_3genE2ELNS1_11target_archE906ELNS1_3gpuE6ELNS1_3repE0EEENS1_36merge_oddeven_config_static_selectorELNS0_4arch9wavefront6targetE1EEEvSF_
                                        ; -- End function
	.section	.AMDGPU.csdata,"",@progbits
; Kernel info:
; codeLenInByte = 0
; NumSgprs: 4
; NumVgprs: 0
; NumAgprs: 0
; TotalNumVgprs: 0
; ScratchSize: 0
; MemoryBound: 0
; FloatMode: 240
; IeeeMode: 1
; LDSByteSize: 0 bytes/workgroup (compile time only)
; SGPRBlocks: 0
; VGPRBlocks: 0
; NumSGPRsForWavesPerEU: 4
; NumVGPRsForWavesPerEU: 1
; AccumOffset: 4
; Occupancy: 8
; WaveLimiterHint : 0
; COMPUTE_PGM_RSRC2:SCRATCH_EN: 0
; COMPUTE_PGM_RSRC2:USER_SGPR: 6
; COMPUTE_PGM_RSRC2:TRAP_HANDLER: 0
; COMPUTE_PGM_RSRC2:TGID_X_EN: 1
; COMPUTE_PGM_RSRC2:TGID_Y_EN: 0
; COMPUTE_PGM_RSRC2:TGID_Z_EN: 0
; COMPUTE_PGM_RSRC2:TIDIG_COMP_CNT: 0
; COMPUTE_PGM_RSRC3_GFX90A:ACCUM_OFFSET: 0
; COMPUTE_PGM_RSRC3_GFX90A:TG_SPLIT: 0
	.section	.text._ZN7rocprim17ROCPRIM_400000_NS6detail17trampoline_kernelINS0_14default_configENS1_38merge_sort_block_merge_config_selectorIaNS0_10empty_typeEEEZZNS1_27merge_sort_block_merge_implIS3_PaPS5_jNS1_19radix_merge_compareILb1ELb1EaNS0_19identity_decomposerEEEEE10hipError_tT0_T1_T2_jT3_P12ihipStream_tbPNSt15iterator_traitsISE_E10value_typeEPNSK_ISF_E10value_typeEPSG_NS1_7vsmem_tEENKUlT_SE_SF_SG_E_clIS8_S8_S9_S9_EESD_ST_SE_SF_SG_EUlST_E1_NS1_11comp_targetILNS1_3genE9ELNS1_11target_archE1100ELNS1_3gpuE3ELNS1_3repE0EEENS1_36merge_oddeven_config_static_selectorELNS0_4arch9wavefront6targetE1EEEvSF_,"axG",@progbits,_ZN7rocprim17ROCPRIM_400000_NS6detail17trampoline_kernelINS0_14default_configENS1_38merge_sort_block_merge_config_selectorIaNS0_10empty_typeEEEZZNS1_27merge_sort_block_merge_implIS3_PaPS5_jNS1_19radix_merge_compareILb1ELb1EaNS0_19identity_decomposerEEEEE10hipError_tT0_T1_T2_jT3_P12ihipStream_tbPNSt15iterator_traitsISE_E10value_typeEPNSK_ISF_E10value_typeEPSG_NS1_7vsmem_tEENKUlT_SE_SF_SG_E_clIS8_S8_S9_S9_EESD_ST_SE_SF_SG_EUlST_E1_NS1_11comp_targetILNS1_3genE9ELNS1_11target_archE1100ELNS1_3gpuE3ELNS1_3repE0EEENS1_36merge_oddeven_config_static_selectorELNS0_4arch9wavefront6targetE1EEEvSF_,comdat
	.protected	_ZN7rocprim17ROCPRIM_400000_NS6detail17trampoline_kernelINS0_14default_configENS1_38merge_sort_block_merge_config_selectorIaNS0_10empty_typeEEEZZNS1_27merge_sort_block_merge_implIS3_PaPS5_jNS1_19radix_merge_compareILb1ELb1EaNS0_19identity_decomposerEEEEE10hipError_tT0_T1_T2_jT3_P12ihipStream_tbPNSt15iterator_traitsISE_E10value_typeEPNSK_ISF_E10value_typeEPSG_NS1_7vsmem_tEENKUlT_SE_SF_SG_E_clIS8_S8_S9_S9_EESD_ST_SE_SF_SG_EUlST_E1_NS1_11comp_targetILNS1_3genE9ELNS1_11target_archE1100ELNS1_3gpuE3ELNS1_3repE0EEENS1_36merge_oddeven_config_static_selectorELNS0_4arch9wavefront6targetE1EEEvSF_ ; -- Begin function _ZN7rocprim17ROCPRIM_400000_NS6detail17trampoline_kernelINS0_14default_configENS1_38merge_sort_block_merge_config_selectorIaNS0_10empty_typeEEEZZNS1_27merge_sort_block_merge_implIS3_PaPS5_jNS1_19radix_merge_compareILb1ELb1EaNS0_19identity_decomposerEEEEE10hipError_tT0_T1_T2_jT3_P12ihipStream_tbPNSt15iterator_traitsISE_E10value_typeEPNSK_ISF_E10value_typeEPSG_NS1_7vsmem_tEENKUlT_SE_SF_SG_E_clIS8_S8_S9_S9_EESD_ST_SE_SF_SG_EUlST_E1_NS1_11comp_targetILNS1_3genE9ELNS1_11target_archE1100ELNS1_3gpuE3ELNS1_3repE0EEENS1_36merge_oddeven_config_static_selectorELNS0_4arch9wavefront6targetE1EEEvSF_
	.globl	_ZN7rocprim17ROCPRIM_400000_NS6detail17trampoline_kernelINS0_14default_configENS1_38merge_sort_block_merge_config_selectorIaNS0_10empty_typeEEEZZNS1_27merge_sort_block_merge_implIS3_PaPS5_jNS1_19radix_merge_compareILb1ELb1EaNS0_19identity_decomposerEEEEE10hipError_tT0_T1_T2_jT3_P12ihipStream_tbPNSt15iterator_traitsISE_E10value_typeEPNSK_ISF_E10value_typeEPSG_NS1_7vsmem_tEENKUlT_SE_SF_SG_E_clIS8_S8_S9_S9_EESD_ST_SE_SF_SG_EUlST_E1_NS1_11comp_targetILNS1_3genE9ELNS1_11target_archE1100ELNS1_3gpuE3ELNS1_3repE0EEENS1_36merge_oddeven_config_static_selectorELNS0_4arch9wavefront6targetE1EEEvSF_
	.p2align	8
	.type	_ZN7rocprim17ROCPRIM_400000_NS6detail17trampoline_kernelINS0_14default_configENS1_38merge_sort_block_merge_config_selectorIaNS0_10empty_typeEEEZZNS1_27merge_sort_block_merge_implIS3_PaPS5_jNS1_19radix_merge_compareILb1ELb1EaNS0_19identity_decomposerEEEEE10hipError_tT0_T1_T2_jT3_P12ihipStream_tbPNSt15iterator_traitsISE_E10value_typeEPNSK_ISF_E10value_typeEPSG_NS1_7vsmem_tEENKUlT_SE_SF_SG_E_clIS8_S8_S9_S9_EESD_ST_SE_SF_SG_EUlST_E1_NS1_11comp_targetILNS1_3genE9ELNS1_11target_archE1100ELNS1_3gpuE3ELNS1_3repE0EEENS1_36merge_oddeven_config_static_selectorELNS0_4arch9wavefront6targetE1EEEvSF_,@function
_ZN7rocprim17ROCPRIM_400000_NS6detail17trampoline_kernelINS0_14default_configENS1_38merge_sort_block_merge_config_selectorIaNS0_10empty_typeEEEZZNS1_27merge_sort_block_merge_implIS3_PaPS5_jNS1_19radix_merge_compareILb1ELb1EaNS0_19identity_decomposerEEEEE10hipError_tT0_T1_T2_jT3_P12ihipStream_tbPNSt15iterator_traitsISE_E10value_typeEPNSK_ISF_E10value_typeEPSG_NS1_7vsmem_tEENKUlT_SE_SF_SG_E_clIS8_S8_S9_S9_EESD_ST_SE_SF_SG_EUlST_E1_NS1_11comp_targetILNS1_3genE9ELNS1_11target_archE1100ELNS1_3gpuE3ELNS1_3repE0EEENS1_36merge_oddeven_config_static_selectorELNS0_4arch9wavefront6targetE1EEEvSF_: ; @_ZN7rocprim17ROCPRIM_400000_NS6detail17trampoline_kernelINS0_14default_configENS1_38merge_sort_block_merge_config_selectorIaNS0_10empty_typeEEEZZNS1_27merge_sort_block_merge_implIS3_PaPS5_jNS1_19radix_merge_compareILb1ELb1EaNS0_19identity_decomposerEEEEE10hipError_tT0_T1_T2_jT3_P12ihipStream_tbPNSt15iterator_traitsISE_E10value_typeEPNSK_ISF_E10value_typeEPSG_NS1_7vsmem_tEENKUlT_SE_SF_SG_E_clIS8_S8_S9_S9_EESD_ST_SE_SF_SG_EUlST_E1_NS1_11comp_targetILNS1_3genE9ELNS1_11target_archE1100ELNS1_3gpuE3ELNS1_3repE0EEENS1_36merge_oddeven_config_static_selectorELNS0_4arch9wavefront6targetE1EEEvSF_
; %bb.0:
	.section	.rodata,"a",@progbits
	.p2align	6, 0x0
	.amdhsa_kernel _ZN7rocprim17ROCPRIM_400000_NS6detail17trampoline_kernelINS0_14default_configENS1_38merge_sort_block_merge_config_selectorIaNS0_10empty_typeEEEZZNS1_27merge_sort_block_merge_implIS3_PaPS5_jNS1_19radix_merge_compareILb1ELb1EaNS0_19identity_decomposerEEEEE10hipError_tT0_T1_T2_jT3_P12ihipStream_tbPNSt15iterator_traitsISE_E10value_typeEPNSK_ISF_E10value_typeEPSG_NS1_7vsmem_tEENKUlT_SE_SF_SG_E_clIS8_S8_S9_S9_EESD_ST_SE_SF_SG_EUlST_E1_NS1_11comp_targetILNS1_3genE9ELNS1_11target_archE1100ELNS1_3gpuE3ELNS1_3repE0EEENS1_36merge_oddeven_config_static_selectorELNS0_4arch9wavefront6targetE1EEEvSF_
		.amdhsa_group_segment_fixed_size 0
		.amdhsa_private_segment_fixed_size 0
		.amdhsa_kernarg_size 48
		.amdhsa_user_sgpr_count 6
		.amdhsa_user_sgpr_private_segment_buffer 1
		.amdhsa_user_sgpr_dispatch_ptr 0
		.amdhsa_user_sgpr_queue_ptr 0
		.amdhsa_user_sgpr_kernarg_segment_ptr 1
		.amdhsa_user_sgpr_dispatch_id 0
		.amdhsa_user_sgpr_flat_scratch_init 0
		.amdhsa_user_sgpr_kernarg_preload_length 0
		.amdhsa_user_sgpr_kernarg_preload_offset 0
		.amdhsa_user_sgpr_private_segment_size 0
		.amdhsa_uses_dynamic_stack 0
		.amdhsa_system_sgpr_private_segment_wavefront_offset 0
		.amdhsa_system_sgpr_workgroup_id_x 1
		.amdhsa_system_sgpr_workgroup_id_y 0
		.amdhsa_system_sgpr_workgroup_id_z 0
		.amdhsa_system_sgpr_workgroup_info 0
		.amdhsa_system_vgpr_workitem_id 0
		.amdhsa_next_free_vgpr 1
		.amdhsa_next_free_sgpr 0
		.amdhsa_accum_offset 4
		.amdhsa_reserve_vcc 0
		.amdhsa_reserve_flat_scratch 0
		.amdhsa_float_round_mode_32 0
		.amdhsa_float_round_mode_16_64 0
		.amdhsa_float_denorm_mode_32 3
		.amdhsa_float_denorm_mode_16_64 3
		.amdhsa_dx10_clamp 1
		.amdhsa_ieee_mode 1
		.amdhsa_fp16_overflow 0
		.amdhsa_tg_split 0
		.amdhsa_exception_fp_ieee_invalid_op 0
		.amdhsa_exception_fp_denorm_src 0
		.amdhsa_exception_fp_ieee_div_zero 0
		.amdhsa_exception_fp_ieee_overflow 0
		.amdhsa_exception_fp_ieee_underflow 0
		.amdhsa_exception_fp_ieee_inexact 0
		.amdhsa_exception_int_div_zero 0
	.end_amdhsa_kernel
	.section	.text._ZN7rocprim17ROCPRIM_400000_NS6detail17trampoline_kernelINS0_14default_configENS1_38merge_sort_block_merge_config_selectorIaNS0_10empty_typeEEEZZNS1_27merge_sort_block_merge_implIS3_PaPS5_jNS1_19radix_merge_compareILb1ELb1EaNS0_19identity_decomposerEEEEE10hipError_tT0_T1_T2_jT3_P12ihipStream_tbPNSt15iterator_traitsISE_E10value_typeEPNSK_ISF_E10value_typeEPSG_NS1_7vsmem_tEENKUlT_SE_SF_SG_E_clIS8_S8_S9_S9_EESD_ST_SE_SF_SG_EUlST_E1_NS1_11comp_targetILNS1_3genE9ELNS1_11target_archE1100ELNS1_3gpuE3ELNS1_3repE0EEENS1_36merge_oddeven_config_static_selectorELNS0_4arch9wavefront6targetE1EEEvSF_,"axG",@progbits,_ZN7rocprim17ROCPRIM_400000_NS6detail17trampoline_kernelINS0_14default_configENS1_38merge_sort_block_merge_config_selectorIaNS0_10empty_typeEEEZZNS1_27merge_sort_block_merge_implIS3_PaPS5_jNS1_19radix_merge_compareILb1ELb1EaNS0_19identity_decomposerEEEEE10hipError_tT0_T1_T2_jT3_P12ihipStream_tbPNSt15iterator_traitsISE_E10value_typeEPNSK_ISF_E10value_typeEPSG_NS1_7vsmem_tEENKUlT_SE_SF_SG_E_clIS8_S8_S9_S9_EESD_ST_SE_SF_SG_EUlST_E1_NS1_11comp_targetILNS1_3genE9ELNS1_11target_archE1100ELNS1_3gpuE3ELNS1_3repE0EEENS1_36merge_oddeven_config_static_selectorELNS0_4arch9wavefront6targetE1EEEvSF_,comdat
.Lfunc_end1620:
	.size	_ZN7rocprim17ROCPRIM_400000_NS6detail17trampoline_kernelINS0_14default_configENS1_38merge_sort_block_merge_config_selectorIaNS0_10empty_typeEEEZZNS1_27merge_sort_block_merge_implIS3_PaPS5_jNS1_19radix_merge_compareILb1ELb1EaNS0_19identity_decomposerEEEEE10hipError_tT0_T1_T2_jT3_P12ihipStream_tbPNSt15iterator_traitsISE_E10value_typeEPNSK_ISF_E10value_typeEPSG_NS1_7vsmem_tEENKUlT_SE_SF_SG_E_clIS8_S8_S9_S9_EESD_ST_SE_SF_SG_EUlST_E1_NS1_11comp_targetILNS1_3genE9ELNS1_11target_archE1100ELNS1_3gpuE3ELNS1_3repE0EEENS1_36merge_oddeven_config_static_selectorELNS0_4arch9wavefront6targetE1EEEvSF_, .Lfunc_end1620-_ZN7rocprim17ROCPRIM_400000_NS6detail17trampoline_kernelINS0_14default_configENS1_38merge_sort_block_merge_config_selectorIaNS0_10empty_typeEEEZZNS1_27merge_sort_block_merge_implIS3_PaPS5_jNS1_19radix_merge_compareILb1ELb1EaNS0_19identity_decomposerEEEEE10hipError_tT0_T1_T2_jT3_P12ihipStream_tbPNSt15iterator_traitsISE_E10value_typeEPNSK_ISF_E10value_typeEPSG_NS1_7vsmem_tEENKUlT_SE_SF_SG_E_clIS8_S8_S9_S9_EESD_ST_SE_SF_SG_EUlST_E1_NS1_11comp_targetILNS1_3genE9ELNS1_11target_archE1100ELNS1_3gpuE3ELNS1_3repE0EEENS1_36merge_oddeven_config_static_selectorELNS0_4arch9wavefront6targetE1EEEvSF_
                                        ; -- End function
	.section	.AMDGPU.csdata,"",@progbits
; Kernel info:
; codeLenInByte = 0
; NumSgprs: 4
; NumVgprs: 0
; NumAgprs: 0
; TotalNumVgprs: 0
; ScratchSize: 0
; MemoryBound: 0
; FloatMode: 240
; IeeeMode: 1
; LDSByteSize: 0 bytes/workgroup (compile time only)
; SGPRBlocks: 0
; VGPRBlocks: 0
; NumSGPRsForWavesPerEU: 4
; NumVGPRsForWavesPerEU: 1
; AccumOffset: 4
; Occupancy: 8
; WaveLimiterHint : 0
; COMPUTE_PGM_RSRC2:SCRATCH_EN: 0
; COMPUTE_PGM_RSRC2:USER_SGPR: 6
; COMPUTE_PGM_RSRC2:TRAP_HANDLER: 0
; COMPUTE_PGM_RSRC2:TGID_X_EN: 1
; COMPUTE_PGM_RSRC2:TGID_Y_EN: 0
; COMPUTE_PGM_RSRC2:TGID_Z_EN: 0
; COMPUTE_PGM_RSRC2:TIDIG_COMP_CNT: 0
; COMPUTE_PGM_RSRC3_GFX90A:ACCUM_OFFSET: 0
; COMPUTE_PGM_RSRC3_GFX90A:TG_SPLIT: 0
	.section	.text._ZN7rocprim17ROCPRIM_400000_NS6detail17trampoline_kernelINS0_14default_configENS1_38merge_sort_block_merge_config_selectorIaNS0_10empty_typeEEEZZNS1_27merge_sort_block_merge_implIS3_PaPS5_jNS1_19radix_merge_compareILb1ELb1EaNS0_19identity_decomposerEEEEE10hipError_tT0_T1_T2_jT3_P12ihipStream_tbPNSt15iterator_traitsISE_E10value_typeEPNSK_ISF_E10value_typeEPSG_NS1_7vsmem_tEENKUlT_SE_SF_SG_E_clIS8_S8_S9_S9_EESD_ST_SE_SF_SG_EUlST_E1_NS1_11comp_targetILNS1_3genE8ELNS1_11target_archE1030ELNS1_3gpuE2ELNS1_3repE0EEENS1_36merge_oddeven_config_static_selectorELNS0_4arch9wavefront6targetE1EEEvSF_,"axG",@progbits,_ZN7rocprim17ROCPRIM_400000_NS6detail17trampoline_kernelINS0_14default_configENS1_38merge_sort_block_merge_config_selectorIaNS0_10empty_typeEEEZZNS1_27merge_sort_block_merge_implIS3_PaPS5_jNS1_19radix_merge_compareILb1ELb1EaNS0_19identity_decomposerEEEEE10hipError_tT0_T1_T2_jT3_P12ihipStream_tbPNSt15iterator_traitsISE_E10value_typeEPNSK_ISF_E10value_typeEPSG_NS1_7vsmem_tEENKUlT_SE_SF_SG_E_clIS8_S8_S9_S9_EESD_ST_SE_SF_SG_EUlST_E1_NS1_11comp_targetILNS1_3genE8ELNS1_11target_archE1030ELNS1_3gpuE2ELNS1_3repE0EEENS1_36merge_oddeven_config_static_selectorELNS0_4arch9wavefront6targetE1EEEvSF_,comdat
	.protected	_ZN7rocprim17ROCPRIM_400000_NS6detail17trampoline_kernelINS0_14default_configENS1_38merge_sort_block_merge_config_selectorIaNS0_10empty_typeEEEZZNS1_27merge_sort_block_merge_implIS3_PaPS5_jNS1_19radix_merge_compareILb1ELb1EaNS0_19identity_decomposerEEEEE10hipError_tT0_T1_T2_jT3_P12ihipStream_tbPNSt15iterator_traitsISE_E10value_typeEPNSK_ISF_E10value_typeEPSG_NS1_7vsmem_tEENKUlT_SE_SF_SG_E_clIS8_S8_S9_S9_EESD_ST_SE_SF_SG_EUlST_E1_NS1_11comp_targetILNS1_3genE8ELNS1_11target_archE1030ELNS1_3gpuE2ELNS1_3repE0EEENS1_36merge_oddeven_config_static_selectorELNS0_4arch9wavefront6targetE1EEEvSF_ ; -- Begin function _ZN7rocprim17ROCPRIM_400000_NS6detail17trampoline_kernelINS0_14default_configENS1_38merge_sort_block_merge_config_selectorIaNS0_10empty_typeEEEZZNS1_27merge_sort_block_merge_implIS3_PaPS5_jNS1_19radix_merge_compareILb1ELb1EaNS0_19identity_decomposerEEEEE10hipError_tT0_T1_T2_jT3_P12ihipStream_tbPNSt15iterator_traitsISE_E10value_typeEPNSK_ISF_E10value_typeEPSG_NS1_7vsmem_tEENKUlT_SE_SF_SG_E_clIS8_S8_S9_S9_EESD_ST_SE_SF_SG_EUlST_E1_NS1_11comp_targetILNS1_3genE8ELNS1_11target_archE1030ELNS1_3gpuE2ELNS1_3repE0EEENS1_36merge_oddeven_config_static_selectorELNS0_4arch9wavefront6targetE1EEEvSF_
	.globl	_ZN7rocprim17ROCPRIM_400000_NS6detail17trampoline_kernelINS0_14default_configENS1_38merge_sort_block_merge_config_selectorIaNS0_10empty_typeEEEZZNS1_27merge_sort_block_merge_implIS3_PaPS5_jNS1_19radix_merge_compareILb1ELb1EaNS0_19identity_decomposerEEEEE10hipError_tT0_T1_T2_jT3_P12ihipStream_tbPNSt15iterator_traitsISE_E10value_typeEPNSK_ISF_E10value_typeEPSG_NS1_7vsmem_tEENKUlT_SE_SF_SG_E_clIS8_S8_S9_S9_EESD_ST_SE_SF_SG_EUlST_E1_NS1_11comp_targetILNS1_3genE8ELNS1_11target_archE1030ELNS1_3gpuE2ELNS1_3repE0EEENS1_36merge_oddeven_config_static_selectorELNS0_4arch9wavefront6targetE1EEEvSF_
	.p2align	8
	.type	_ZN7rocprim17ROCPRIM_400000_NS6detail17trampoline_kernelINS0_14default_configENS1_38merge_sort_block_merge_config_selectorIaNS0_10empty_typeEEEZZNS1_27merge_sort_block_merge_implIS3_PaPS5_jNS1_19radix_merge_compareILb1ELb1EaNS0_19identity_decomposerEEEEE10hipError_tT0_T1_T2_jT3_P12ihipStream_tbPNSt15iterator_traitsISE_E10value_typeEPNSK_ISF_E10value_typeEPSG_NS1_7vsmem_tEENKUlT_SE_SF_SG_E_clIS8_S8_S9_S9_EESD_ST_SE_SF_SG_EUlST_E1_NS1_11comp_targetILNS1_3genE8ELNS1_11target_archE1030ELNS1_3gpuE2ELNS1_3repE0EEENS1_36merge_oddeven_config_static_selectorELNS0_4arch9wavefront6targetE1EEEvSF_,@function
_ZN7rocprim17ROCPRIM_400000_NS6detail17trampoline_kernelINS0_14default_configENS1_38merge_sort_block_merge_config_selectorIaNS0_10empty_typeEEEZZNS1_27merge_sort_block_merge_implIS3_PaPS5_jNS1_19radix_merge_compareILb1ELb1EaNS0_19identity_decomposerEEEEE10hipError_tT0_T1_T2_jT3_P12ihipStream_tbPNSt15iterator_traitsISE_E10value_typeEPNSK_ISF_E10value_typeEPSG_NS1_7vsmem_tEENKUlT_SE_SF_SG_E_clIS8_S8_S9_S9_EESD_ST_SE_SF_SG_EUlST_E1_NS1_11comp_targetILNS1_3genE8ELNS1_11target_archE1030ELNS1_3gpuE2ELNS1_3repE0EEENS1_36merge_oddeven_config_static_selectorELNS0_4arch9wavefront6targetE1EEEvSF_: ; @_ZN7rocprim17ROCPRIM_400000_NS6detail17trampoline_kernelINS0_14default_configENS1_38merge_sort_block_merge_config_selectorIaNS0_10empty_typeEEEZZNS1_27merge_sort_block_merge_implIS3_PaPS5_jNS1_19radix_merge_compareILb1ELb1EaNS0_19identity_decomposerEEEEE10hipError_tT0_T1_T2_jT3_P12ihipStream_tbPNSt15iterator_traitsISE_E10value_typeEPNSK_ISF_E10value_typeEPSG_NS1_7vsmem_tEENKUlT_SE_SF_SG_E_clIS8_S8_S9_S9_EESD_ST_SE_SF_SG_EUlST_E1_NS1_11comp_targetILNS1_3genE8ELNS1_11target_archE1030ELNS1_3gpuE2ELNS1_3repE0EEENS1_36merge_oddeven_config_static_selectorELNS0_4arch9wavefront6targetE1EEEvSF_
; %bb.0:
	.section	.rodata,"a",@progbits
	.p2align	6, 0x0
	.amdhsa_kernel _ZN7rocprim17ROCPRIM_400000_NS6detail17trampoline_kernelINS0_14default_configENS1_38merge_sort_block_merge_config_selectorIaNS0_10empty_typeEEEZZNS1_27merge_sort_block_merge_implIS3_PaPS5_jNS1_19radix_merge_compareILb1ELb1EaNS0_19identity_decomposerEEEEE10hipError_tT0_T1_T2_jT3_P12ihipStream_tbPNSt15iterator_traitsISE_E10value_typeEPNSK_ISF_E10value_typeEPSG_NS1_7vsmem_tEENKUlT_SE_SF_SG_E_clIS8_S8_S9_S9_EESD_ST_SE_SF_SG_EUlST_E1_NS1_11comp_targetILNS1_3genE8ELNS1_11target_archE1030ELNS1_3gpuE2ELNS1_3repE0EEENS1_36merge_oddeven_config_static_selectorELNS0_4arch9wavefront6targetE1EEEvSF_
		.amdhsa_group_segment_fixed_size 0
		.amdhsa_private_segment_fixed_size 0
		.amdhsa_kernarg_size 48
		.amdhsa_user_sgpr_count 6
		.amdhsa_user_sgpr_private_segment_buffer 1
		.amdhsa_user_sgpr_dispatch_ptr 0
		.amdhsa_user_sgpr_queue_ptr 0
		.amdhsa_user_sgpr_kernarg_segment_ptr 1
		.amdhsa_user_sgpr_dispatch_id 0
		.amdhsa_user_sgpr_flat_scratch_init 0
		.amdhsa_user_sgpr_kernarg_preload_length 0
		.amdhsa_user_sgpr_kernarg_preload_offset 0
		.amdhsa_user_sgpr_private_segment_size 0
		.amdhsa_uses_dynamic_stack 0
		.amdhsa_system_sgpr_private_segment_wavefront_offset 0
		.amdhsa_system_sgpr_workgroup_id_x 1
		.amdhsa_system_sgpr_workgroup_id_y 0
		.amdhsa_system_sgpr_workgroup_id_z 0
		.amdhsa_system_sgpr_workgroup_info 0
		.amdhsa_system_vgpr_workitem_id 0
		.amdhsa_next_free_vgpr 1
		.amdhsa_next_free_sgpr 0
		.amdhsa_accum_offset 4
		.amdhsa_reserve_vcc 0
		.amdhsa_reserve_flat_scratch 0
		.amdhsa_float_round_mode_32 0
		.amdhsa_float_round_mode_16_64 0
		.amdhsa_float_denorm_mode_32 3
		.amdhsa_float_denorm_mode_16_64 3
		.amdhsa_dx10_clamp 1
		.amdhsa_ieee_mode 1
		.amdhsa_fp16_overflow 0
		.amdhsa_tg_split 0
		.amdhsa_exception_fp_ieee_invalid_op 0
		.amdhsa_exception_fp_denorm_src 0
		.amdhsa_exception_fp_ieee_div_zero 0
		.amdhsa_exception_fp_ieee_overflow 0
		.amdhsa_exception_fp_ieee_underflow 0
		.amdhsa_exception_fp_ieee_inexact 0
		.amdhsa_exception_int_div_zero 0
	.end_amdhsa_kernel
	.section	.text._ZN7rocprim17ROCPRIM_400000_NS6detail17trampoline_kernelINS0_14default_configENS1_38merge_sort_block_merge_config_selectorIaNS0_10empty_typeEEEZZNS1_27merge_sort_block_merge_implIS3_PaPS5_jNS1_19radix_merge_compareILb1ELb1EaNS0_19identity_decomposerEEEEE10hipError_tT0_T1_T2_jT3_P12ihipStream_tbPNSt15iterator_traitsISE_E10value_typeEPNSK_ISF_E10value_typeEPSG_NS1_7vsmem_tEENKUlT_SE_SF_SG_E_clIS8_S8_S9_S9_EESD_ST_SE_SF_SG_EUlST_E1_NS1_11comp_targetILNS1_3genE8ELNS1_11target_archE1030ELNS1_3gpuE2ELNS1_3repE0EEENS1_36merge_oddeven_config_static_selectorELNS0_4arch9wavefront6targetE1EEEvSF_,"axG",@progbits,_ZN7rocprim17ROCPRIM_400000_NS6detail17trampoline_kernelINS0_14default_configENS1_38merge_sort_block_merge_config_selectorIaNS0_10empty_typeEEEZZNS1_27merge_sort_block_merge_implIS3_PaPS5_jNS1_19radix_merge_compareILb1ELb1EaNS0_19identity_decomposerEEEEE10hipError_tT0_T1_T2_jT3_P12ihipStream_tbPNSt15iterator_traitsISE_E10value_typeEPNSK_ISF_E10value_typeEPSG_NS1_7vsmem_tEENKUlT_SE_SF_SG_E_clIS8_S8_S9_S9_EESD_ST_SE_SF_SG_EUlST_E1_NS1_11comp_targetILNS1_3genE8ELNS1_11target_archE1030ELNS1_3gpuE2ELNS1_3repE0EEENS1_36merge_oddeven_config_static_selectorELNS0_4arch9wavefront6targetE1EEEvSF_,comdat
.Lfunc_end1621:
	.size	_ZN7rocprim17ROCPRIM_400000_NS6detail17trampoline_kernelINS0_14default_configENS1_38merge_sort_block_merge_config_selectorIaNS0_10empty_typeEEEZZNS1_27merge_sort_block_merge_implIS3_PaPS5_jNS1_19radix_merge_compareILb1ELb1EaNS0_19identity_decomposerEEEEE10hipError_tT0_T1_T2_jT3_P12ihipStream_tbPNSt15iterator_traitsISE_E10value_typeEPNSK_ISF_E10value_typeEPSG_NS1_7vsmem_tEENKUlT_SE_SF_SG_E_clIS8_S8_S9_S9_EESD_ST_SE_SF_SG_EUlST_E1_NS1_11comp_targetILNS1_3genE8ELNS1_11target_archE1030ELNS1_3gpuE2ELNS1_3repE0EEENS1_36merge_oddeven_config_static_selectorELNS0_4arch9wavefront6targetE1EEEvSF_, .Lfunc_end1621-_ZN7rocprim17ROCPRIM_400000_NS6detail17trampoline_kernelINS0_14default_configENS1_38merge_sort_block_merge_config_selectorIaNS0_10empty_typeEEEZZNS1_27merge_sort_block_merge_implIS3_PaPS5_jNS1_19radix_merge_compareILb1ELb1EaNS0_19identity_decomposerEEEEE10hipError_tT0_T1_T2_jT3_P12ihipStream_tbPNSt15iterator_traitsISE_E10value_typeEPNSK_ISF_E10value_typeEPSG_NS1_7vsmem_tEENKUlT_SE_SF_SG_E_clIS8_S8_S9_S9_EESD_ST_SE_SF_SG_EUlST_E1_NS1_11comp_targetILNS1_3genE8ELNS1_11target_archE1030ELNS1_3gpuE2ELNS1_3repE0EEENS1_36merge_oddeven_config_static_selectorELNS0_4arch9wavefront6targetE1EEEvSF_
                                        ; -- End function
	.section	.AMDGPU.csdata,"",@progbits
; Kernel info:
; codeLenInByte = 0
; NumSgprs: 4
; NumVgprs: 0
; NumAgprs: 0
; TotalNumVgprs: 0
; ScratchSize: 0
; MemoryBound: 0
; FloatMode: 240
; IeeeMode: 1
; LDSByteSize: 0 bytes/workgroup (compile time only)
; SGPRBlocks: 0
; VGPRBlocks: 0
; NumSGPRsForWavesPerEU: 4
; NumVGPRsForWavesPerEU: 1
; AccumOffset: 4
; Occupancy: 8
; WaveLimiterHint : 0
; COMPUTE_PGM_RSRC2:SCRATCH_EN: 0
; COMPUTE_PGM_RSRC2:USER_SGPR: 6
; COMPUTE_PGM_RSRC2:TRAP_HANDLER: 0
; COMPUTE_PGM_RSRC2:TGID_X_EN: 1
; COMPUTE_PGM_RSRC2:TGID_Y_EN: 0
; COMPUTE_PGM_RSRC2:TGID_Z_EN: 0
; COMPUTE_PGM_RSRC2:TIDIG_COMP_CNT: 0
; COMPUTE_PGM_RSRC3_GFX90A:ACCUM_OFFSET: 0
; COMPUTE_PGM_RSRC3_GFX90A:TG_SPLIT: 0
	.section	.text._ZN7rocprim17ROCPRIM_400000_NS6detail17trampoline_kernelINS0_14default_configENS1_35radix_sort_onesweep_config_selectorIaNS0_10empty_typeEEEZNS1_34radix_sort_onesweep_global_offsetsIS3_Lb1EPaPS5_mNS0_19identity_decomposerEEE10hipError_tT1_T2_PT3_SE_jT4_jjP12ihipStream_tbEUlT_E_NS1_11comp_targetILNS1_3genE0ELNS1_11target_archE4294967295ELNS1_3gpuE0ELNS1_3repE0EEENS1_52radix_sort_onesweep_histogram_config_static_selectorELNS0_4arch9wavefront6targetE1EEEvSC_,"axG",@progbits,_ZN7rocprim17ROCPRIM_400000_NS6detail17trampoline_kernelINS0_14default_configENS1_35radix_sort_onesweep_config_selectorIaNS0_10empty_typeEEEZNS1_34radix_sort_onesweep_global_offsetsIS3_Lb1EPaPS5_mNS0_19identity_decomposerEEE10hipError_tT1_T2_PT3_SE_jT4_jjP12ihipStream_tbEUlT_E_NS1_11comp_targetILNS1_3genE0ELNS1_11target_archE4294967295ELNS1_3gpuE0ELNS1_3repE0EEENS1_52radix_sort_onesweep_histogram_config_static_selectorELNS0_4arch9wavefront6targetE1EEEvSC_,comdat
	.protected	_ZN7rocprim17ROCPRIM_400000_NS6detail17trampoline_kernelINS0_14default_configENS1_35radix_sort_onesweep_config_selectorIaNS0_10empty_typeEEEZNS1_34radix_sort_onesweep_global_offsetsIS3_Lb1EPaPS5_mNS0_19identity_decomposerEEE10hipError_tT1_T2_PT3_SE_jT4_jjP12ihipStream_tbEUlT_E_NS1_11comp_targetILNS1_3genE0ELNS1_11target_archE4294967295ELNS1_3gpuE0ELNS1_3repE0EEENS1_52radix_sort_onesweep_histogram_config_static_selectorELNS0_4arch9wavefront6targetE1EEEvSC_ ; -- Begin function _ZN7rocprim17ROCPRIM_400000_NS6detail17trampoline_kernelINS0_14default_configENS1_35radix_sort_onesweep_config_selectorIaNS0_10empty_typeEEEZNS1_34radix_sort_onesweep_global_offsetsIS3_Lb1EPaPS5_mNS0_19identity_decomposerEEE10hipError_tT1_T2_PT3_SE_jT4_jjP12ihipStream_tbEUlT_E_NS1_11comp_targetILNS1_3genE0ELNS1_11target_archE4294967295ELNS1_3gpuE0ELNS1_3repE0EEENS1_52radix_sort_onesweep_histogram_config_static_selectorELNS0_4arch9wavefront6targetE1EEEvSC_
	.globl	_ZN7rocprim17ROCPRIM_400000_NS6detail17trampoline_kernelINS0_14default_configENS1_35radix_sort_onesweep_config_selectorIaNS0_10empty_typeEEEZNS1_34radix_sort_onesweep_global_offsetsIS3_Lb1EPaPS5_mNS0_19identity_decomposerEEE10hipError_tT1_T2_PT3_SE_jT4_jjP12ihipStream_tbEUlT_E_NS1_11comp_targetILNS1_3genE0ELNS1_11target_archE4294967295ELNS1_3gpuE0ELNS1_3repE0EEENS1_52radix_sort_onesweep_histogram_config_static_selectorELNS0_4arch9wavefront6targetE1EEEvSC_
	.p2align	8
	.type	_ZN7rocprim17ROCPRIM_400000_NS6detail17trampoline_kernelINS0_14default_configENS1_35radix_sort_onesweep_config_selectorIaNS0_10empty_typeEEEZNS1_34radix_sort_onesweep_global_offsetsIS3_Lb1EPaPS5_mNS0_19identity_decomposerEEE10hipError_tT1_T2_PT3_SE_jT4_jjP12ihipStream_tbEUlT_E_NS1_11comp_targetILNS1_3genE0ELNS1_11target_archE4294967295ELNS1_3gpuE0ELNS1_3repE0EEENS1_52radix_sort_onesweep_histogram_config_static_selectorELNS0_4arch9wavefront6targetE1EEEvSC_,@function
_ZN7rocprim17ROCPRIM_400000_NS6detail17trampoline_kernelINS0_14default_configENS1_35radix_sort_onesweep_config_selectorIaNS0_10empty_typeEEEZNS1_34radix_sort_onesweep_global_offsetsIS3_Lb1EPaPS5_mNS0_19identity_decomposerEEE10hipError_tT1_T2_PT3_SE_jT4_jjP12ihipStream_tbEUlT_E_NS1_11comp_targetILNS1_3genE0ELNS1_11target_archE4294967295ELNS1_3gpuE0ELNS1_3repE0EEENS1_52radix_sort_onesweep_histogram_config_static_selectorELNS0_4arch9wavefront6targetE1EEEvSC_: ; @_ZN7rocprim17ROCPRIM_400000_NS6detail17trampoline_kernelINS0_14default_configENS1_35radix_sort_onesweep_config_selectorIaNS0_10empty_typeEEEZNS1_34radix_sort_onesweep_global_offsetsIS3_Lb1EPaPS5_mNS0_19identity_decomposerEEE10hipError_tT1_T2_PT3_SE_jT4_jjP12ihipStream_tbEUlT_E_NS1_11comp_targetILNS1_3genE0ELNS1_11target_archE4294967295ELNS1_3gpuE0ELNS1_3repE0EEENS1_52radix_sort_onesweep_histogram_config_static_selectorELNS0_4arch9wavefront6targetE1EEEvSC_
; %bb.0:
	.section	.rodata,"a",@progbits
	.p2align	6, 0x0
	.amdhsa_kernel _ZN7rocprim17ROCPRIM_400000_NS6detail17trampoline_kernelINS0_14default_configENS1_35radix_sort_onesweep_config_selectorIaNS0_10empty_typeEEEZNS1_34radix_sort_onesweep_global_offsetsIS3_Lb1EPaPS5_mNS0_19identity_decomposerEEE10hipError_tT1_T2_PT3_SE_jT4_jjP12ihipStream_tbEUlT_E_NS1_11comp_targetILNS1_3genE0ELNS1_11target_archE4294967295ELNS1_3gpuE0ELNS1_3repE0EEENS1_52radix_sort_onesweep_histogram_config_static_selectorELNS0_4arch9wavefront6targetE1EEEvSC_
		.amdhsa_group_segment_fixed_size 0
		.amdhsa_private_segment_fixed_size 0
		.amdhsa_kernarg_size 48
		.amdhsa_user_sgpr_count 6
		.amdhsa_user_sgpr_private_segment_buffer 1
		.amdhsa_user_sgpr_dispatch_ptr 0
		.amdhsa_user_sgpr_queue_ptr 0
		.amdhsa_user_sgpr_kernarg_segment_ptr 1
		.amdhsa_user_sgpr_dispatch_id 0
		.amdhsa_user_sgpr_flat_scratch_init 0
		.amdhsa_user_sgpr_kernarg_preload_length 0
		.amdhsa_user_sgpr_kernarg_preload_offset 0
		.amdhsa_user_sgpr_private_segment_size 0
		.amdhsa_uses_dynamic_stack 0
		.amdhsa_system_sgpr_private_segment_wavefront_offset 0
		.amdhsa_system_sgpr_workgroup_id_x 1
		.amdhsa_system_sgpr_workgroup_id_y 0
		.amdhsa_system_sgpr_workgroup_id_z 0
		.amdhsa_system_sgpr_workgroup_info 0
		.amdhsa_system_vgpr_workitem_id 0
		.amdhsa_next_free_vgpr 1
		.amdhsa_next_free_sgpr 0
		.amdhsa_accum_offset 4
		.amdhsa_reserve_vcc 0
		.amdhsa_reserve_flat_scratch 0
		.amdhsa_float_round_mode_32 0
		.amdhsa_float_round_mode_16_64 0
		.amdhsa_float_denorm_mode_32 3
		.amdhsa_float_denorm_mode_16_64 3
		.amdhsa_dx10_clamp 1
		.amdhsa_ieee_mode 1
		.amdhsa_fp16_overflow 0
		.amdhsa_tg_split 0
		.amdhsa_exception_fp_ieee_invalid_op 0
		.amdhsa_exception_fp_denorm_src 0
		.amdhsa_exception_fp_ieee_div_zero 0
		.amdhsa_exception_fp_ieee_overflow 0
		.amdhsa_exception_fp_ieee_underflow 0
		.amdhsa_exception_fp_ieee_inexact 0
		.amdhsa_exception_int_div_zero 0
	.end_amdhsa_kernel
	.section	.text._ZN7rocprim17ROCPRIM_400000_NS6detail17trampoline_kernelINS0_14default_configENS1_35radix_sort_onesweep_config_selectorIaNS0_10empty_typeEEEZNS1_34radix_sort_onesweep_global_offsetsIS3_Lb1EPaPS5_mNS0_19identity_decomposerEEE10hipError_tT1_T2_PT3_SE_jT4_jjP12ihipStream_tbEUlT_E_NS1_11comp_targetILNS1_3genE0ELNS1_11target_archE4294967295ELNS1_3gpuE0ELNS1_3repE0EEENS1_52radix_sort_onesweep_histogram_config_static_selectorELNS0_4arch9wavefront6targetE1EEEvSC_,"axG",@progbits,_ZN7rocprim17ROCPRIM_400000_NS6detail17trampoline_kernelINS0_14default_configENS1_35radix_sort_onesweep_config_selectorIaNS0_10empty_typeEEEZNS1_34radix_sort_onesweep_global_offsetsIS3_Lb1EPaPS5_mNS0_19identity_decomposerEEE10hipError_tT1_T2_PT3_SE_jT4_jjP12ihipStream_tbEUlT_E_NS1_11comp_targetILNS1_3genE0ELNS1_11target_archE4294967295ELNS1_3gpuE0ELNS1_3repE0EEENS1_52radix_sort_onesweep_histogram_config_static_selectorELNS0_4arch9wavefront6targetE1EEEvSC_,comdat
.Lfunc_end1622:
	.size	_ZN7rocprim17ROCPRIM_400000_NS6detail17trampoline_kernelINS0_14default_configENS1_35radix_sort_onesweep_config_selectorIaNS0_10empty_typeEEEZNS1_34radix_sort_onesweep_global_offsetsIS3_Lb1EPaPS5_mNS0_19identity_decomposerEEE10hipError_tT1_T2_PT3_SE_jT4_jjP12ihipStream_tbEUlT_E_NS1_11comp_targetILNS1_3genE0ELNS1_11target_archE4294967295ELNS1_3gpuE0ELNS1_3repE0EEENS1_52radix_sort_onesweep_histogram_config_static_selectorELNS0_4arch9wavefront6targetE1EEEvSC_, .Lfunc_end1622-_ZN7rocprim17ROCPRIM_400000_NS6detail17trampoline_kernelINS0_14default_configENS1_35radix_sort_onesweep_config_selectorIaNS0_10empty_typeEEEZNS1_34radix_sort_onesweep_global_offsetsIS3_Lb1EPaPS5_mNS0_19identity_decomposerEEE10hipError_tT1_T2_PT3_SE_jT4_jjP12ihipStream_tbEUlT_E_NS1_11comp_targetILNS1_3genE0ELNS1_11target_archE4294967295ELNS1_3gpuE0ELNS1_3repE0EEENS1_52radix_sort_onesweep_histogram_config_static_selectorELNS0_4arch9wavefront6targetE1EEEvSC_
                                        ; -- End function
	.section	.AMDGPU.csdata,"",@progbits
; Kernel info:
; codeLenInByte = 0
; NumSgprs: 4
; NumVgprs: 0
; NumAgprs: 0
; TotalNumVgprs: 0
; ScratchSize: 0
; MemoryBound: 0
; FloatMode: 240
; IeeeMode: 1
; LDSByteSize: 0 bytes/workgroup (compile time only)
; SGPRBlocks: 0
; VGPRBlocks: 0
; NumSGPRsForWavesPerEU: 4
; NumVGPRsForWavesPerEU: 1
; AccumOffset: 4
; Occupancy: 8
; WaveLimiterHint : 0
; COMPUTE_PGM_RSRC2:SCRATCH_EN: 0
; COMPUTE_PGM_RSRC2:USER_SGPR: 6
; COMPUTE_PGM_RSRC2:TRAP_HANDLER: 0
; COMPUTE_PGM_RSRC2:TGID_X_EN: 1
; COMPUTE_PGM_RSRC2:TGID_Y_EN: 0
; COMPUTE_PGM_RSRC2:TGID_Z_EN: 0
; COMPUTE_PGM_RSRC2:TIDIG_COMP_CNT: 0
; COMPUTE_PGM_RSRC3_GFX90A:ACCUM_OFFSET: 0
; COMPUTE_PGM_RSRC3_GFX90A:TG_SPLIT: 0
	.section	.text._ZN7rocprim17ROCPRIM_400000_NS6detail17trampoline_kernelINS0_14default_configENS1_35radix_sort_onesweep_config_selectorIaNS0_10empty_typeEEEZNS1_34radix_sort_onesweep_global_offsetsIS3_Lb1EPaPS5_mNS0_19identity_decomposerEEE10hipError_tT1_T2_PT3_SE_jT4_jjP12ihipStream_tbEUlT_E_NS1_11comp_targetILNS1_3genE6ELNS1_11target_archE950ELNS1_3gpuE13ELNS1_3repE0EEENS1_52radix_sort_onesweep_histogram_config_static_selectorELNS0_4arch9wavefront6targetE1EEEvSC_,"axG",@progbits,_ZN7rocprim17ROCPRIM_400000_NS6detail17trampoline_kernelINS0_14default_configENS1_35radix_sort_onesweep_config_selectorIaNS0_10empty_typeEEEZNS1_34radix_sort_onesweep_global_offsetsIS3_Lb1EPaPS5_mNS0_19identity_decomposerEEE10hipError_tT1_T2_PT3_SE_jT4_jjP12ihipStream_tbEUlT_E_NS1_11comp_targetILNS1_3genE6ELNS1_11target_archE950ELNS1_3gpuE13ELNS1_3repE0EEENS1_52radix_sort_onesweep_histogram_config_static_selectorELNS0_4arch9wavefront6targetE1EEEvSC_,comdat
	.protected	_ZN7rocprim17ROCPRIM_400000_NS6detail17trampoline_kernelINS0_14default_configENS1_35radix_sort_onesweep_config_selectorIaNS0_10empty_typeEEEZNS1_34radix_sort_onesweep_global_offsetsIS3_Lb1EPaPS5_mNS0_19identity_decomposerEEE10hipError_tT1_T2_PT3_SE_jT4_jjP12ihipStream_tbEUlT_E_NS1_11comp_targetILNS1_3genE6ELNS1_11target_archE950ELNS1_3gpuE13ELNS1_3repE0EEENS1_52radix_sort_onesweep_histogram_config_static_selectorELNS0_4arch9wavefront6targetE1EEEvSC_ ; -- Begin function _ZN7rocprim17ROCPRIM_400000_NS6detail17trampoline_kernelINS0_14default_configENS1_35radix_sort_onesweep_config_selectorIaNS0_10empty_typeEEEZNS1_34radix_sort_onesweep_global_offsetsIS3_Lb1EPaPS5_mNS0_19identity_decomposerEEE10hipError_tT1_T2_PT3_SE_jT4_jjP12ihipStream_tbEUlT_E_NS1_11comp_targetILNS1_3genE6ELNS1_11target_archE950ELNS1_3gpuE13ELNS1_3repE0EEENS1_52radix_sort_onesweep_histogram_config_static_selectorELNS0_4arch9wavefront6targetE1EEEvSC_
	.globl	_ZN7rocprim17ROCPRIM_400000_NS6detail17trampoline_kernelINS0_14default_configENS1_35radix_sort_onesweep_config_selectorIaNS0_10empty_typeEEEZNS1_34radix_sort_onesweep_global_offsetsIS3_Lb1EPaPS5_mNS0_19identity_decomposerEEE10hipError_tT1_T2_PT3_SE_jT4_jjP12ihipStream_tbEUlT_E_NS1_11comp_targetILNS1_3genE6ELNS1_11target_archE950ELNS1_3gpuE13ELNS1_3repE0EEENS1_52radix_sort_onesweep_histogram_config_static_selectorELNS0_4arch9wavefront6targetE1EEEvSC_
	.p2align	8
	.type	_ZN7rocprim17ROCPRIM_400000_NS6detail17trampoline_kernelINS0_14default_configENS1_35radix_sort_onesweep_config_selectorIaNS0_10empty_typeEEEZNS1_34radix_sort_onesweep_global_offsetsIS3_Lb1EPaPS5_mNS0_19identity_decomposerEEE10hipError_tT1_T2_PT3_SE_jT4_jjP12ihipStream_tbEUlT_E_NS1_11comp_targetILNS1_3genE6ELNS1_11target_archE950ELNS1_3gpuE13ELNS1_3repE0EEENS1_52radix_sort_onesweep_histogram_config_static_selectorELNS0_4arch9wavefront6targetE1EEEvSC_,@function
_ZN7rocprim17ROCPRIM_400000_NS6detail17trampoline_kernelINS0_14default_configENS1_35radix_sort_onesweep_config_selectorIaNS0_10empty_typeEEEZNS1_34radix_sort_onesweep_global_offsetsIS3_Lb1EPaPS5_mNS0_19identity_decomposerEEE10hipError_tT1_T2_PT3_SE_jT4_jjP12ihipStream_tbEUlT_E_NS1_11comp_targetILNS1_3genE6ELNS1_11target_archE950ELNS1_3gpuE13ELNS1_3repE0EEENS1_52radix_sort_onesweep_histogram_config_static_selectorELNS0_4arch9wavefront6targetE1EEEvSC_: ; @_ZN7rocprim17ROCPRIM_400000_NS6detail17trampoline_kernelINS0_14default_configENS1_35radix_sort_onesweep_config_selectorIaNS0_10empty_typeEEEZNS1_34radix_sort_onesweep_global_offsetsIS3_Lb1EPaPS5_mNS0_19identity_decomposerEEE10hipError_tT1_T2_PT3_SE_jT4_jjP12ihipStream_tbEUlT_E_NS1_11comp_targetILNS1_3genE6ELNS1_11target_archE950ELNS1_3gpuE13ELNS1_3repE0EEENS1_52radix_sort_onesweep_histogram_config_static_selectorELNS0_4arch9wavefront6targetE1EEEvSC_
; %bb.0:
	.section	.rodata,"a",@progbits
	.p2align	6, 0x0
	.amdhsa_kernel _ZN7rocprim17ROCPRIM_400000_NS6detail17trampoline_kernelINS0_14default_configENS1_35radix_sort_onesweep_config_selectorIaNS0_10empty_typeEEEZNS1_34radix_sort_onesweep_global_offsetsIS3_Lb1EPaPS5_mNS0_19identity_decomposerEEE10hipError_tT1_T2_PT3_SE_jT4_jjP12ihipStream_tbEUlT_E_NS1_11comp_targetILNS1_3genE6ELNS1_11target_archE950ELNS1_3gpuE13ELNS1_3repE0EEENS1_52radix_sort_onesweep_histogram_config_static_selectorELNS0_4arch9wavefront6targetE1EEEvSC_
		.amdhsa_group_segment_fixed_size 0
		.amdhsa_private_segment_fixed_size 0
		.amdhsa_kernarg_size 48
		.amdhsa_user_sgpr_count 6
		.amdhsa_user_sgpr_private_segment_buffer 1
		.amdhsa_user_sgpr_dispatch_ptr 0
		.amdhsa_user_sgpr_queue_ptr 0
		.amdhsa_user_sgpr_kernarg_segment_ptr 1
		.amdhsa_user_sgpr_dispatch_id 0
		.amdhsa_user_sgpr_flat_scratch_init 0
		.amdhsa_user_sgpr_kernarg_preload_length 0
		.amdhsa_user_sgpr_kernarg_preload_offset 0
		.amdhsa_user_sgpr_private_segment_size 0
		.amdhsa_uses_dynamic_stack 0
		.amdhsa_system_sgpr_private_segment_wavefront_offset 0
		.amdhsa_system_sgpr_workgroup_id_x 1
		.amdhsa_system_sgpr_workgroup_id_y 0
		.amdhsa_system_sgpr_workgroup_id_z 0
		.amdhsa_system_sgpr_workgroup_info 0
		.amdhsa_system_vgpr_workitem_id 0
		.amdhsa_next_free_vgpr 1
		.amdhsa_next_free_sgpr 0
		.amdhsa_accum_offset 4
		.amdhsa_reserve_vcc 0
		.amdhsa_reserve_flat_scratch 0
		.amdhsa_float_round_mode_32 0
		.amdhsa_float_round_mode_16_64 0
		.amdhsa_float_denorm_mode_32 3
		.amdhsa_float_denorm_mode_16_64 3
		.amdhsa_dx10_clamp 1
		.amdhsa_ieee_mode 1
		.amdhsa_fp16_overflow 0
		.amdhsa_tg_split 0
		.amdhsa_exception_fp_ieee_invalid_op 0
		.amdhsa_exception_fp_denorm_src 0
		.amdhsa_exception_fp_ieee_div_zero 0
		.amdhsa_exception_fp_ieee_overflow 0
		.amdhsa_exception_fp_ieee_underflow 0
		.amdhsa_exception_fp_ieee_inexact 0
		.amdhsa_exception_int_div_zero 0
	.end_amdhsa_kernel
	.section	.text._ZN7rocprim17ROCPRIM_400000_NS6detail17trampoline_kernelINS0_14default_configENS1_35radix_sort_onesweep_config_selectorIaNS0_10empty_typeEEEZNS1_34radix_sort_onesweep_global_offsetsIS3_Lb1EPaPS5_mNS0_19identity_decomposerEEE10hipError_tT1_T2_PT3_SE_jT4_jjP12ihipStream_tbEUlT_E_NS1_11comp_targetILNS1_3genE6ELNS1_11target_archE950ELNS1_3gpuE13ELNS1_3repE0EEENS1_52radix_sort_onesweep_histogram_config_static_selectorELNS0_4arch9wavefront6targetE1EEEvSC_,"axG",@progbits,_ZN7rocprim17ROCPRIM_400000_NS6detail17trampoline_kernelINS0_14default_configENS1_35radix_sort_onesweep_config_selectorIaNS0_10empty_typeEEEZNS1_34radix_sort_onesweep_global_offsetsIS3_Lb1EPaPS5_mNS0_19identity_decomposerEEE10hipError_tT1_T2_PT3_SE_jT4_jjP12ihipStream_tbEUlT_E_NS1_11comp_targetILNS1_3genE6ELNS1_11target_archE950ELNS1_3gpuE13ELNS1_3repE0EEENS1_52radix_sort_onesweep_histogram_config_static_selectorELNS0_4arch9wavefront6targetE1EEEvSC_,comdat
.Lfunc_end1623:
	.size	_ZN7rocprim17ROCPRIM_400000_NS6detail17trampoline_kernelINS0_14default_configENS1_35radix_sort_onesweep_config_selectorIaNS0_10empty_typeEEEZNS1_34radix_sort_onesweep_global_offsetsIS3_Lb1EPaPS5_mNS0_19identity_decomposerEEE10hipError_tT1_T2_PT3_SE_jT4_jjP12ihipStream_tbEUlT_E_NS1_11comp_targetILNS1_3genE6ELNS1_11target_archE950ELNS1_3gpuE13ELNS1_3repE0EEENS1_52radix_sort_onesweep_histogram_config_static_selectorELNS0_4arch9wavefront6targetE1EEEvSC_, .Lfunc_end1623-_ZN7rocprim17ROCPRIM_400000_NS6detail17trampoline_kernelINS0_14default_configENS1_35radix_sort_onesweep_config_selectorIaNS0_10empty_typeEEEZNS1_34radix_sort_onesweep_global_offsetsIS3_Lb1EPaPS5_mNS0_19identity_decomposerEEE10hipError_tT1_T2_PT3_SE_jT4_jjP12ihipStream_tbEUlT_E_NS1_11comp_targetILNS1_3genE6ELNS1_11target_archE950ELNS1_3gpuE13ELNS1_3repE0EEENS1_52radix_sort_onesweep_histogram_config_static_selectorELNS0_4arch9wavefront6targetE1EEEvSC_
                                        ; -- End function
	.section	.AMDGPU.csdata,"",@progbits
; Kernel info:
; codeLenInByte = 0
; NumSgprs: 4
; NumVgprs: 0
; NumAgprs: 0
; TotalNumVgprs: 0
; ScratchSize: 0
; MemoryBound: 0
; FloatMode: 240
; IeeeMode: 1
; LDSByteSize: 0 bytes/workgroup (compile time only)
; SGPRBlocks: 0
; VGPRBlocks: 0
; NumSGPRsForWavesPerEU: 4
; NumVGPRsForWavesPerEU: 1
; AccumOffset: 4
; Occupancy: 8
; WaveLimiterHint : 0
; COMPUTE_PGM_RSRC2:SCRATCH_EN: 0
; COMPUTE_PGM_RSRC2:USER_SGPR: 6
; COMPUTE_PGM_RSRC2:TRAP_HANDLER: 0
; COMPUTE_PGM_RSRC2:TGID_X_EN: 1
; COMPUTE_PGM_RSRC2:TGID_Y_EN: 0
; COMPUTE_PGM_RSRC2:TGID_Z_EN: 0
; COMPUTE_PGM_RSRC2:TIDIG_COMP_CNT: 0
; COMPUTE_PGM_RSRC3_GFX90A:ACCUM_OFFSET: 0
; COMPUTE_PGM_RSRC3_GFX90A:TG_SPLIT: 0
	.section	.text._ZN7rocprim17ROCPRIM_400000_NS6detail17trampoline_kernelINS0_14default_configENS1_35radix_sort_onesweep_config_selectorIaNS0_10empty_typeEEEZNS1_34radix_sort_onesweep_global_offsetsIS3_Lb1EPaPS5_mNS0_19identity_decomposerEEE10hipError_tT1_T2_PT3_SE_jT4_jjP12ihipStream_tbEUlT_E_NS1_11comp_targetILNS1_3genE5ELNS1_11target_archE942ELNS1_3gpuE9ELNS1_3repE0EEENS1_52radix_sort_onesweep_histogram_config_static_selectorELNS0_4arch9wavefront6targetE1EEEvSC_,"axG",@progbits,_ZN7rocprim17ROCPRIM_400000_NS6detail17trampoline_kernelINS0_14default_configENS1_35radix_sort_onesweep_config_selectorIaNS0_10empty_typeEEEZNS1_34radix_sort_onesweep_global_offsetsIS3_Lb1EPaPS5_mNS0_19identity_decomposerEEE10hipError_tT1_T2_PT3_SE_jT4_jjP12ihipStream_tbEUlT_E_NS1_11comp_targetILNS1_3genE5ELNS1_11target_archE942ELNS1_3gpuE9ELNS1_3repE0EEENS1_52radix_sort_onesweep_histogram_config_static_selectorELNS0_4arch9wavefront6targetE1EEEvSC_,comdat
	.protected	_ZN7rocprim17ROCPRIM_400000_NS6detail17trampoline_kernelINS0_14default_configENS1_35radix_sort_onesweep_config_selectorIaNS0_10empty_typeEEEZNS1_34radix_sort_onesweep_global_offsetsIS3_Lb1EPaPS5_mNS0_19identity_decomposerEEE10hipError_tT1_T2_PT3_SE_jT4_jjP12ihipStream_tbEUlT_E_NS1_11comp_targetILNS1_3genE5ELNS1_11target_archE942ELNS1_3gpuE9ELNS1_3repE0EEENS1_52radix_sort_onesweep_histogram_config_static_selectorELNS0_4arch9wavefront6targetE1EEEvSC_ ; -- Begin function _ZN7rocprim17ROCPRIM_400000_NS6detail17trampoline_kernelINS0_14default_configENS1_35radix_sort_onesweep_config_selectorIaNS0_10empty_typeEEEZNS1_34radix_sort_onesweep_global_offsetsIS3_Lb1EPaPS5_mNS0_19identity_decomposerEEE10hipError_tT1_T2_PT3_SE_jT4_jjP12ihipStream_tbEUlT_E_NS1_11comp_targetILNS1_3genE5ELNS1_11target_archE942ELNS1_3gpuE9ELNS1_3repE0EEENS1_52radix_sort_onesweep_histogram_config_static_selectorELNS0_4arch9wavefront6targetE1EEEvSC_
	.globl	_ZN7rocprim17ROCPRIM_400000_NS6detail17trampoline_kernelINS0_14default_configENS1_35radix_sort_onesweep_config_selectorIaNS0_10empty_typeEEEZNS1_34radix_sort_onesweep_global_offsetsIS3_Lb1EPaPS5_mNS0_19identity_decomposerEEE10hipError_tT1_T2_PT3_SE_jT4_jjP12ihipStream_tbEUlT_E_NS1_11comp_targetILNS1_3genE5ELNS1_11target_archE942ELNS1_3gpuE9ELNS1_3repE0EEENS1_52radix_sort_onesweep_histogram_config_static_selectorELNS0_4arch9wavefront6targetE1EEEvSC_
	.p2align	8
	.type	_ZN7rocprim17ROCPRIM_400000_NS6detail17trampoline_kernelINS0_14default_configENS1_35radix_sort_onesweep_config_selectorIaNS0_10empty_typeEEEZNS1_34radix_sort_onesweep_global_offsetsIS3_Lb1EPaPS5_mNS0_19identity_decomposerEEE10hipError_tT1_T2_PT3_SE_jT4_jjP12ihipStream_tbEUlT_E_NS1_11comp_targetILNS1_3genE5ELNS1_11target_archE942ELNS1_3gpuE9ELNS1_3repE0EEENS1_52radix_sort_onesweep_histogram_config_static_selectorELNS0_4arch9wavefront6targetE1EEEvSC_,@function
_ZN7rocprim17ROCPRIM_400000_NS6detail17trampoline_kernelINS0_14default_configENS1_35radix_sort_onesweep_config_selectorIaNS0_10empty_typeEEEZNS1_34radix_sort_onesweep_global_offsetsIS3_Lb1EPaPS5_mNS0_19identity_decomposerEEE10hipError_tT1_T2_PT3_SE_jT4_jjP12ihipStream_tbEUlT_E_NS1_11comp_targetILNS1_3genE5ELNS1_11target_archE942ELNS1_3gpuE9ELNS1_3repE0EEENS1_52radix_sort_onesweep_histogram_config_static_selectorELNS0_4arch9wavefront6targetE1EEEvSC_: ; @_ZN7rocprim17ROCPRIM_400000_NS6detail17trampoline_kernelINS0_14default_configENS1_35radix_sort_onesweep_config_selectorIaNS0_10empty_typeEEEZNS1_34radix_sort_onesweep_global_offsetsIS3_Lb1EPaPS5_mNS0_19identity_decomposerEEE10hipError_tT1_T2_PT3_SE_jT4_jjP12ihipStream_tbEUlT_E_NS1_11comp_targetILNS1_3genE5ELNS1_11target_archE942ELNS1_3gpuE9ELNS1_3repE0EEENS1_52radix_sort_onesweep_histogram_config_static_selectorELNS0_4arch9wavefront6targetE1EEEvSC_
; %bb.0:
	.section	.rodata,"a",@progbits
	.p2align	6, 0x0
	.amdhsa_kernel _ZN7rocprim17ROCPRIM_400000_NS6detail17trampoline_kernelINS0_14default_configENS1_35radix_sort_onesweep_config_selectorIaNS0_10empty_typeEEEZNS1_34radix_sort_onesweep_global_offsetsIS3_Lb1EPaPS5_mNS0_19identity_decomposerEEE10hipError_tT1_T2_PT3_SE_jT4_jjP12ihipStream_tbEUlT_E_NS1_11comp_targetILNS1_3genE5ELNS1_11target_archE942ELNS1_3gpuE9ELNS1_3repE0EEENS1_52radix_sort_onesweep_histogram_config_static_selectorELNS0_4arch9wavefront6targetE1EEEvSC_
		.amdhsa_group_segment_fixed_size 0
		.amdhsa_private_segment_fixed_size 0
		.amdhsa_kernarg_size 48
		.amdhsa_user_sgpr_count 6
		.amdhsa_user_sgpr_private_segment_buffer 1
		.amdhsa_user_sgpr_dispatch_ptr 0
		.amdhsa_user_sgpr_queue_ptr 0
		.amdhsa_user_sgpr_kernarg_segment_ptr 1
		.amdhsa_user_sgpr_dispatch_id 0
		.amdhsa_user_sgpr_flat_scratch_init 0
		.amdhsa_user_sgpr_kernarg_preload_length 0
		.amdhsa_user_sgpr_kernarg_preload_offset 0
		.amdhsa_user_sgpr_private_segment_size 0
		.amdhsa_uses_dynamic_stack 0
		.amdhsa_system_sgpr_private_segment_wavefront_offset 0
		.amdhsa_system_sgpr_workgroup_id_x 1
		.amdhsa_system_sgpr_workgroup_id_y 0
		.amdhsa_system_sgpr_workgroup_id_z 0
		.amdhsa_system_sgpr_workgroup_info 0
		.amdhsa_system_vgpr_workitem_id 0
		.amdhsa_next_free_vgpr 1
		.amdhsa_next_free_sgpr 0
		.amdhsa_accum_offset 4
		.amdhsa_reserve_vcc 0
		.amdhsa_reserve_flat_scratch 0
		.amdhsa_float_round_mode_32 0
		.amdhsa_float_round_mode_16_64 0
		.amdhsa_float_denorm_mode_32 3
		.amdhsa_float_denorm_mode_16_64 3
		.amdhsa_dx10_clamp 1
		.amdhsa_ieee_mode 1
		.amdhsa_fp16_overflow 0
		.amdhsa_tg_split 0
		.amdhsa_exception_fp_ieee_invalid_op 0
		.amdhsa_exception_fp_denorm_src 0
		.amdhsa_exception_fp_ieee_div_zero 0
		.amdhsa_exception_fp_ieee_overflow 0
		.amdhsa_exception_fp_ieee_underflow 0
		.amdhsa_exception_fp_ieee_inexact 0
		.amdhsa_exception_int_div_zero 0
	.end_amdhsa_kernel
	.section	.text._ZN7rocprim17ROCPRIM_400000_NS6detail17trampoline_kernelINS0_14default_configENS1_35radix_sort_onesweep_config_selectorIaNS0_10empty_typeEEEZNS1_34radix_sort_onesweep_global_offsetsIS3_Lb1EPaPS5_mNS0_19identity_decomposerEEE10hipError_tT1_T2_PT3_SE_jT4_jjP12ihipStream_tbEUlT_E_NS1_11comp_targetILNS1_3genE5ELNS1_11target_archE942ELNS1_3gpuE9ELNS1_3repE0EEENS1_52radix_sort_onesweep_histogram_config_static_selectorELNS0_4arch9wavefront6targetE1EEEvSC_,"axG",@progbits,_ZN7rocprim17ROCPRIM_400000_NS6detail17trampoline_kernelINS0_14default_configENS1_35radix_sort_onesweep_config_selectorIaNS0_10empty_typeEEEZNS1_34radix_sort_onesweep_global_offsetsIS3_Lb1EPaPS5_mNS0_19identity_decomposerEEE10hipError_tT1_T2_PT3_SE_jT4_jjP12ihipStream_tbEUlT_E_NS1_11comp_targetILNS1_3genE5ELNS1_11target_archE942ELNS1_3gpuE9ELNS1_3repE0EEENS1_52radix_sort_onesweep_histogram_config_static_selectorELNS0_4arch9wavefront6targetE1EEEvSC_,comdat
.Lfunc_end1624:
	.size	_ZN7rocprim17ROCPRIM_400000_NS6detail17trampoline_kernelINS0_14default_configENS1_35radix_sort_onesweep_config_selectorIaNS0_10empty_typeEEEZNS1_34radix_sort_onesweep_global_offsetsIS3_Lb1EPaPS5_mNS0_19identity_decomposerEEE10hipError_tT1_T2_PT3_SE_jT4_jjP12ihipStream_tbEUlT_E_NS1_11comp_targetILNS1_3genE5ELNS1_11target_archE942ELNS1_3gpuE9ELNS1_3repE0EEENS1_52radix_sort_onesweep_histogram_config_static_selectorELNS0_4arch9wavefront6targetE1EEEvSC_, .Lfunc_end1624-_ZN7rocprim17ROCPRIM_400000_NS6detail17trampoline_kernelINS0_14default_configENS1_35radix_sort_onesweep_config_selectorIaNS0_10empty_typeEEEZNS1_34radix_sort_onesweep_global_offsetsIS3_Lb1EPaPS5_mNS0_19identity_decomposerEEE10hipError_tT1_T2_PT3_SE_jT4_jjP12ihipStream_tbEUlT_E_NS1_11comp_targetILNS1_3genE5ELNS1_11target_archE942ELNS1_3gpuE9ELNS1_3repE0EEENS1_52radix_sort_onesweep_histogram_config_static_selectorELNS0_4arch9wavefront6targetE1EEEvSC_
                                        ; -- End function
	.section	.AMDGPU.csdata,"",@progbits
; Kernel info:
; codeLenInByte = 0
; NumSgprs: 4
; NumVgprs: 0
; NumAgprs: 0
; TotalNumVgprs: 0
; ScratchSize: 0
; MemoryBound: 0
; FloatMode: 240
; IeeeMode: 1
; LDSByteSize: 0 bytes/workgroup (compile time only)
; SGPRBlocks: 0
; VGPRBlocks: 0
; NumSGPRsForWavesPerEU: 4
; NumVGPRsForWavesPerEU: 1
; AccumOffset: 4
; Occupancy: 8
; WaveLimiterHint : 0
; COMPUTE_PGM_RSRC2:SCRATCH_EN: 0
; COMPUTE_PGM_RSRC2:USER_SGPR: 6
; COMPUTE_PGM_RSRC2:TRAP_HANDLER: 0
; COMPUTE_PGM_RSRC2:TGID_X_EN: 1
; COMPUTE_PGM_RSRC2:TGID_Y_EN: 0
; COMPUTE_PGM_RSRC2:TGID_Z_EN: 0
; COMPUTE_PGM_RSRC2:TIDIG_COMP_CNT: 0
; COMPUTE_PGM_RSRC3_GFX90A:ACCUM_OFFSET: 0
; COMPUTE_PGM_RSRC3_GFX90A:TG_SPLIT: 0
	.section	.text._ZN7rocprim17ROCPRIM_400000_NS6detail17trampoline_kernelINS0_14default_configENS1_35radix_sort_onesweep_config_selectorIaNS0_10empty_typeEEEZNS1_34radix_sort_onesweep_global_offsetsIS3_Lb1EPaPS5_mNS0_19identity_decomposerEEE10hipError_tT1_T2_PT3_SE_jT4_jjP12ihipStream_tbEUlT_E_NS1_11comp_targetILNS1_3genE2ELNS1_11target_archE906ELNS1_3gpuE6ELNS1_3repE0EEENS1_52radix_sort_onesweep_histogram_config_static_selectorELNS0_4arch9wavefront6targetE1EEEvSC_,"axG",@progbits,_ZN7rocprim17ROCPRIM_400000_NS6detail17trampoline_kernelINS0_14default_configENS1_35radix_sort_onesweep_config_selectorIaNS0_10empty_typeEEEZNS1_34radix_sort_onesweep_global_offsetsIS3_Lb1EPaPS5_mNS0_19identity_decomposerEEE10hipError_tT1_T2_PT3_SE_jT4_jjP12ihipStream_tbEUlT_E_NS1_11comp_targetILNS1_3genE2ELNS1_11target_archE906ELNS1_3gpuE6ELNS1_3repE0EEENS1_52radix_sort_onesweep_histogram_config_static_selectorELNS0_4arch9wavefront6targetE1EEEvSC_,comdat
	.protected	_ZN7rocprim17ROCPRIM_400000_NS6detail17trampoline_kernelINS0_14default_configENS1_35radix_sort_onesweep_config_selectorIaNS0_10empty_typeEEEZNS1_34radix_sort_onesweep_global_offsetsIS3_Lb1EPaPS5_mNS0_19identity_decomposerEEE10hipError_tT1_T2_PT3_SE_jT4_jjP12ihipStream_tbEUlT_E_NS1_11comp_targetILNS1_3genE2ELNS1_11target_archE906ELNS1_3gpuE6ELNS1_3repE0EEENS1_52radix_sort_onesweep_histogram_config_static_selectorELNS0_4arch9wavefront6targetE1EEEvSC_ ; -- Begin function _ZN7rocprim17ROCPRIM_400000_NS6detail17trampoline_kernelINS0_14default_configENS1_35radix_sort_onesweep_config_selectorIaNS0_10empty_typeEEEZNS1_34radix_sort_onesweep_global_offsetsIS3_Lb1EPaPS5_mNS0_19identity_decomposerEEE10hipError_tT1_T2_PT3_SE_jT4_jjP12ihipStream_tbEUlT_E_NS1_11comp_targetILNS1_3genE2ELNS1_11target_archE906ELNS1_3gpuE6ELNS1_3repE0EEENS1_52radix_sort_onesweep_histogram_config_static_selectorELNS0_4arch9wavefront6targetE1EEEvSC_
	.globl	_ZN7rocprim17ROCPRIM_400000_NS6detail17trampoline_kernelINS0_14default_configENS1_35radix_sort_onesweep_config_selectorIaNS0_10empty_typeEEEZNS1_34radix_sort_onesweep_global_offsetsIS3_Lb1EPaPS5_mNS0_19identity_decomposerEEE10hipError_tT1_T2_PT3_SE_jT4_jjP12ihipStream_tbEUlT_E_NS1_11comp_targetILNS1_3genE2ELNS1_11target_archE906ELNS1_3gpuE6ELNS1_3repE0EEENS1_52radix_sort_onesweep_histogram_config_static_selectorELNS0_4arch9wavefront6targetE1EEEvSC_
	.p2align	8
	.type	_ZN7rocprim17ROCPRIM_400000_NS6detail17trampoline_kernelINS0_14default_configENS1_35radix_sort_onesweep_config_selectorIaNS0_10empty_typeEEEZNS1_34radix_sort_onesweep_global_offsetsIS3_Lb1EPaPS5_mNS0_19identity_decomposerEEE10hipError_tT1_T2_PT3_SE_jT4_jjP12ihipStream_tbEUlT_E_NS1_11comp_targetILNS1_3genE2ELNS1_11target_archE906ELNS1_3gpuE6ELNS1_3repE0EEENS1_52radix_sort_onesweep_histogram_config_static_selectorELNS0_4arch9wavefront6targetE1EEEvSC_,@function
_ZN7rocprim17ROCPRIM_400000_NS6detail17trampoline_kernelINS0_14default_configENS1_35radix_sort_onesweep_config_selectorIaNS0_10empty_typeEEEZNS1_34radix_sort_onesweep_global_offsetsIS3_Lb1EPaPS5_mNS0_19identity_decomposerEEE10hipError_tT1_T2_PT3_SE_jT4_jjP12ihipStream_tbEUlT_E_NS1_11comp_targetILNS1_3genE2ELNS1_11target_archE906ELNS1_3gpuE6ELNS1_3repE0EEENS1_52radix_sort_onesweep_histogram_config_static_selectorELNS0_4arch9wavefront6targetE1EEEvSC_: ; @_ZN7rocprim17ROCPRIM_400000_NS6detail17trampoline_kernelINS0_14default_configENS1_35radix_sort_onesweep_config_selectorIaNS0_10empty_typeEEEZNS1_34radix_sort_onesweep_global_offsetsIS3_Lb1EPaPS5_mNS0_19identity_decomposerEEE10hipError_tT1_T2_PT3_SE_jT4_jjP12ihipStream_tbEUlT_E_NS1_11comp_targetILNS1_3genE2ELNS1_11target_archE906ELNS1_3gpuE6ELNS1_3repE0EEENS1_52radix_sort_onesweep_histogram_config_static_selectorELNS0_4arch9wavefront6targetE1EEEvSC_
; %bb.0:
	.section	.rodata,"a",@progbits
	.p2align	6, 0x0
	.amdhsa_kernel _ZN7rocprim17ROCPRIM_400000_NS6detail17trampoline_kernelINS0_14default_configENS1_35radix_sort_onesweep_config_selectorIaNS0_10empty_typeEEEZNS1_34radix_sort_onesweep_global_offsetsIS3_Lb1EPaPS5_mNS0_19identity_decomposerEEE10hipError_tT1_T2_PT3_SE_jT4_jjP12ihipStream_tbEUlT_E_NS1_11comp_targetILNS1_3genE2ELNS1_11target_archE906ELNS1_3gpuE6ELNS1_3repE0EEENS1_52radix_sort_onesweep_histogram_config_static_selectorELNS0_4arch9wavefront6targetE1EEEvSC_
		.amdhsa_group_segment_fixed_size 0
		.amdhsa_private_segment_fixed_size 0
		.amdhsa_kernarg_size 48
		.amdhsa_user_sgpr_count 6
		.amdhsa_user_sgpr_private_segment_buffer 1
		.amdhsa_user_sgpr_dispatch_ptr 0
		.amdhsa_user_sgpr_queue_ptr 0
		.amdhsa_user_sgpr_kernarg_segment_ptr 1
		.amdhsa_user_sgpr_dispatch_id 0
		.amdhsa_user_sgpr_flat_scratch_init 0
		.amdhsa_user_sgpr_kernarg_preload_length 0
		.amdhsa_user_sgpr_kernarg_preload_offset 0
		.amdhsa_user_sgpr_private_segment_size 0
		.amdhsa_uses_dynamic_stack 0
		.amdhsa_system_sgpr_private_segment_wavefront_offset 0
		.amdhsa_system_sgpr_workgroup_id_x 1
		.amdhsa_system_sgpr_workgroup_id_y 0
		.amdhsa_system_sgpr_workgroup_id_z 0
		.amdhsa_system_sgpr_workgroup_info 0
		.amdhsa_system_vgpr_workitem_id 0
		.amdhsa_next_free_vgpr 1
		.amdhsa_next_free_sgpr 0
		.amdhsa_accum_offset 4
		.amdhsa_reserve_vcc 0
		.amdhsa_reserve_flat_scratch 0
		.amdhsa_float_round_mode_32 0
		.amdhsa_float_round_mode_16_64 0
		.amdhsa_float_denorm_mode_32 3
		.amdhsa_float_denorm_mode_16_64 3
		.amdhsa_dx10_clamp 1
		.amdhsa_ieee_mode 1
		.amdhsa_fp16_overflow 0
		.amdhsa_tg_split 0
		.amdhsa_exception_fp_ieee_invalid_op 0
		.amdhsa_exception_fp_denorm_src 0
		.amdhsa_exception_fp_ieee_div_zero 0
		.amdhsa_exception_fp_ieee_overflow 0
		.amdhsa_exception_fp_ieee_underflow 0
		.amdhsa_exception_fp_ieee_inexact 0
		.amdhsa_exception_int_div_zero 0
	.end_amdhsa_kernel
	.section	.text._ZN7rocprim17ROCPRIM_400000_NS6detail17trampoline_kernelINS0_14default_configENS1_35radix_sort_onesweep_config_selectorIaNS0_10empty_typeEEEZNS1_34radix_sort_onesweep_global_offsetsIS3_Lb1EPaPS5_mNS0_19identity_decomposerEEE10hipError_tT1_T2_PT3_SE_jT4_jjP12ihipStream_tbEUlT_E_NS1_11comp_targetILNS1_3genE2ELNS1_11target_archE906ELNS1_3gpuE6ELNS1_3repE0EEENS1_52radix_sort_onesweep_histogram_config_static_selectorELNS0_4arch9wavefront6targetE1EEEvSC_,"axG",@progbits,_ZN7rocprim17ROCPRIM_400000_NS6detail17trampoline_kernelINS0_14default_configENS1_35radix_sort_onesweep_config_selectorIaNS0_10empty_typeEEEZNS1_34radix_sort_onesweep_global_offsetsIS3_Lb1EPaPS5_mNS0_19identity_decomposerEEE10hipError_tT1_T2_PT3_SE_jT4_jjP12ihipStream_tbEUlT_E_NS1_11comp_targetILNS1_3genE2ELNS1_11target_archE906ELNS1_3gpuE6ELNS1_3repE0EEENS1_52radix_sort_onesweep_histogram_config_static_selectorELNS0_4arch9wavefront6targetE1EEEvSC_,comdat
.Lfunc_end1625:
	.size	_ZN7rocprim17ROCPRIM_400000_NS6detail17trampoline_kernelINS0_14default_configENS1_35radix_sort_onesweep_config_selectorIaNS0_10empty_typeEEEZNS1_34radix_sort_onesweep_global_offsetsIS3_Lb1EPaPS5_mNS0_19identity_decomposerEEE10hipError_tT1_T2_PT3_SE_jT4_jjP12ihipStream_tbEUlT_E_NS1_11comp_targetILNS1_3genE2ELNS1_11target_archE906ELNS1_3gpuE6ELNS1_3repE0EEENS1_52radix_sort_onesweep_histogram_config_static_selectorELNS0_4arch9wavefront6targetE1EEEvSC_, .Lfunc_end1625-_ZN7rocprim17ROCPRIM_400000_NS6detail17trampoline_kernelINS0_14default_configENS1_35radix_sort_onesweep_config_selectorIaNS0_10empty_typeEEEZNS1_34radix_sort_onesweep_global_offsetsIS3_Lb1EPaPS5_mNS0_19identity_decomposerEEE10hipError_tT1_T2_PT3_SE_jT4_jjP12ihipStream_tbEUlT_E_NS1_11comp_targetILNS1_3genE2ELNS1_11target_archE906ELNS1_3gpuE6ELNS1_3repE0EEENS1_52radix_sort_onesweep_histogram_config_static_selectorELNS0_4arch9wavefront6targetE1EEEvSC_
                                        ; -- End function
	.section	.AMDGPU.csdata,"",@progbits
; Kernel info:
; codeLenInByte = 0
; NumSgprs: 4
; NumVgprs: 0
; NumAgprs: 0
; TotalNumVgprs: 0
; ScratchSize: 0
; MemoryBound: 0
; FloatMode: 240
; IeeeMode: 1
; LDSByteSize: 0 bytes/workgroup (compile time only)
; SGPRBlocks: 0
; VGPRBlocks: 0
; NumSGPRsForWavesPerEU: 4
; NumVGPRsForWavesPerEU: 1
; AccumOffset: 4
; Occupancy: 8
; WaveLimiterHint : 0
; COMPUTE_PGM_RSRC2:SCRATCH_EN: 0
; COMPUTE_PGM_RSRC2:USER_SGPR: 6
; COMPUTE_PGM_RSRC2:TRAP_HANDLER: 0
; COMPUTE_PGM_RSRC2:TGID_X_EN: 1
; COMPUTE_PGM_RSRC2:TGID_Y_EN: 0
; COMPUTE_PGM_RSRC2:TGID_Z_EN: 0
; COMPUTE_PGM_RSRC2:TIDIG_COMP_CNT: 0
; COMPUTE_PGM_RSRC3_GFX90A:ACCUM_OFFSET: 0
; COMPUTE_PGM_RSRC3_GFX90A:TG_SPLIT: 0
	.section	.text._ZN7rocprim17ROCPRIM_400000_NS6detail17trampoline_kernelINS0_14default_configENS1_35radix_sort_onesweep_config_selectorIaNS0_10empty_typeEEEZNS1_34radix_sort_onesweep_global_offsetsIS3_Lb1EPaPS5_mNS0_19identity_decomposerEEE10hipError_tT1_T2_PT3_SE_jT4_jjP12ihipStream_tbEUlT_E_NS1_11comp_targetILNS1_3genE4ELNS1_11target_archE910ELNS1_3gpuE8ELNS1_3repE0EEENS1_52radix_sort_onesweep_histogram_config_static_selectorELNS0_4arch9wavefront6targetE1EEEvSC_,"axG",@progbits,_ZN7rocprim17ROCPRIM_400000_NS6detail17trampoline_kernelINS0_14default_configENS1_35radix_sort_onesweep_config_selectorIaNS0_10empty_typeEEEZNS1_34radix_sort_onesweep_global_offsetsIS3_Lb1EPaPS5_mNS0_19identity_decomposerEEE10hipError_tT1_T2_PT3_SE_jT4_jjP12ihipStream_tbEUlT_E_NS1_11comp_targetILNS1_3genE4ELNS1_11target_archE910ELNS1_3gpuE8ELNS1_3repE0EEENS1_52radix_sort_onesweep_histogram_config_static_selectorELNS0_4arch9wavefront6targetE1EEEvSC_,comdat
	.protected	_ZN7rocprim17ROCPRIM_400000_NS6detail17trampoline_kernelINS0_14default_configENS1_35radix_sort_onesweep_config_selectorIaNS0_10empty_typeEEEZNS1_34radix_sort_onesweep_global_offsetsIS3_Lb1EPaPS5_mNS0_19identity_decomposerEEE10hipError_tT1_T2_PT3_SE_jT4_jjP12ihipStream_tbEUlT_E_NS1_11comp_targetILNS1_3genE4ELNS1_11target_archE910ELNS1_3gpuE8ELNS1_3repE0EEENS1_52radix_sort_onesweep_histogram_config_static_selectorELNS0_4arch9wavefront6targetE1EEEvSC_ ; -- Begin function _ZN7rocprim17ROCPRIM_400000_NS6detail17trampoline_kernelINS0_14default_configENS1_35radix_sort_onesweep_config_selectorIaNS0_10empty_typeEEEZNS1_34radix_sort_onesweep_global_offsetsIS3_Lb1EPaPS5_mNS0_19identity_decomposerEEE10hipError_tT1_T2_PT3_SE_jT4_jjP12ihipStream_tbEUlT_E_NS1_11comp_targetILNS1_3genE4ELNS1_11target_archE910ELNS1_3gpuE8ELNS1_3repE0EEENS1_52radix_sort_onesweep_histogram_config_static_selectorELNS0_4arch9wavefront6targetE1EEEvSC_
	.globl	_ZN7rocprim17ROCPRIM_400000_NS6detail17trampoline_kernelINS0_14default_configENS1_35radix_sort_onesweep_config_selectorIaNS0_10empty_typeEEEZNS1_34radix_sort_onesweep_global_offsetsIS3_Lb1EPaPS5_mNS0_19identity_decomposerEEE10hipError_tT1_T2_PT3_SE_jT4_jjP12ihipStream_tbEUlT_E_NS1_11comp_targetILNS1_3genE4ELNS1_11target_archE910ELNS1_3gpuE8ELNS1_3repE0EEENS1_52radix_sort_onesweep_histogram_config_static_selectorELNS0_4arch9wavefront6targetE1EEEvSC_
	.p2align	8
	.type	_ZN7rocprim17ROCPRIM_400000_NS6detail17trampoline_kernelINS0_14default_configENS1_35radix_sort_onesweep_config_selectorIaNS0_10empty_typeEEEZNS1_34radix_sort_onesweep_global_offsetsIS3_Lb1EPaPS5_mNS0_19identity_decomposerEEE10hipError_tT1_T2_PT3_SE_jT4_jjP12ihipStream_tbEUlT_E_NS1_11comp_targetILNS1_3genE4ELNS1_11target_archE910ELNS1_3gpuE8ELNS1_3repE0EEENS1_52radix_sort_onesweep_histogram_config_static_selectorELNS0_4arch9wavefront6targetE1EEEvSC_,@function
_ZN7rocprim17ROCPRIM_400000_NS6detail17trampoline_kernelINS0_14default_configENS1_35radix_sort_onesweep_config_selectorIaNS0_10empty_typeEEEZNS1_34radix_sort_onesweep_global_offsetsIS3_Lb1EPaPS5_mNS0_19identity_decomposerEEE10hipError_tT1_T2_PT3_SE_jT4_jjP12ihipStream_tbEUlT_E_NS1_11comp_targetILNS1_3genE4ELNS1_11target_archE910ELNS1_3gpuE8ELNS1_3repE0EEENS1_52radix_sort_onesweep_histogram_config_static_selectorELNS0_4arch9wavefront6targetE1EEEvSC_: ; @_ZN7rocprim17ROCPRIM_400000_NS6detail17trampoline_kernelINS0_14default_configENS1_35radix_sort_onesweep_config_selectorIaNS0_10empty_typeEEEZNS1_34radix_sort_onesweep_global_offsetsIS3_Lb1EPaPS5_mNS0_19identity_decomposerEEE10hipError_tT1_T2_PT3_SE_jT4_jjP12ihipStream_tbEUlT_E_NS1_11comp_targetILNS1_3genE4ELNS1_11target_archE910ELNS1_3gpuE8ELNS1_3repE0EEENS1_52radix_sort_onesweep_histogram_config_static_selectorELNS0_4arch9wavefront6targetE1EEEvSC_
; %bb.0:
	s_load_dwordx4 s[8:11], s[4:5], 0x0
	s_load_dwordx2 s[0:1], s[4:5], 0x18
	s_load_dwordx2 s[12:13], s[4:5], 0x24
	v_mov_b32_e32 v2, s6
	v_mov_b32_e32 v3, 0
	s_mul_hi_u32 s3, s6, 0x2c00
	s_mulk_i32 s6, 0x2c00
	s_waitcnt lgkmcnt(0)
	v_cmp_le_u64_e32 vcc, s[0:1], v[2:3]
	s_add_u32 s2, s8, s6
	s_addc_u32 s3, s9, s3
	v_and_b32_e32 v1, 3, v0
	s_mov_b64 s[6:7], -1
	s_cbranch_vccz .LBB1626_207
; %bb.1:
	s_load_dword s14, s[4:5], 0x10
	s_mulk_i32 s0, 0xd400
                                        ; implicit-def: $vgpr44
	s_waitcnt lgkmcnt(0)
	s_add_i32 s14, s14, s0
	v_cmp_gt_u32_e32 vcc, s14, v0
	s_and_saveexec_b64 s[0:1], vcc
	s_cbranch_execz .LBB1626_3
; %bb.2:
	global_load_ubyte v44, v0, s[2:3]
.LBB1626_3:
	s_or_b64 exec, exec, s[0:1]
	v_or_b32_e32 v42, 0x200, v0
	v_cmp_gt_u32_e32 vcc, s14, v42
                                        ; implicit-def: $vgpr43
	s_and_saveexec_b64 s[0:1], vcc
	s_cbranch_execz .LBB1626_5
; %bb.4:
	global_load_ubyte v43, v0, s[2:3] offset:512
.LBB1626_5:
	s_or_b64 exec, exec, s[0:1]
	v_or_b32_e32 v40, 0x400, v0
	v_cmp_gt_u32_e32 vcc, s14, v40
                                        ; implicit-def: $vgpr41
	s_and_saveexec_b64 s[0:1], vcc
	s_cbranch_execz .LBB1626_7
; %bb.6:
	global_load_ubyte v41, v0, s[2:3] offset:1024
.LBB1626_7:
	s_or_b64 exec, exec, s[0:1]
	v_or_b32_e32 v38, 0x600, v0
	v_cmp_gt_u32_e32 vcc, s14, v38
                                        ; implicit-def: $vgpr39
	s_and_saveexec_b64 s[0:1], vcc
	s_cbranch_execz .LBB1626_9
; %bb.8:
	global_load_ubyte v39, v0, s[2:3] offset:1536
.LBB1626_9:
	s_or_b64 exec, exec, s[0:1]
	v_or_b32_e32 v36, 0x800, v0
	v_cmp_gt_u32_e32 vcc, s14, v36
                                        ; implicit-def: $vgpr37
	s_and_saveexec_b64 s[0:1], vcc
	s_cbranch_execz .LBB1626_11
; %bb.10:
	global_load_ubyte v37, v0, s[2:3] offset:2048
.LBB1626_11:
	s_or_b64 exec, exec, s[0:1]
	v_or_b32_e32 v34, 0xa00, v0
	v_cmp_gt_u32_e32 vcc, s14, v34
                                        ; implicit-def: $vgpr35
	s_and_saveexec_b64 s[0:1], vcc
	s_cbranch_execz .LBB1626_13
; %bb.12:
	global_load_ubyte v35, v0, s[2:3] offset:2560
.LBB1626_13:
	s_or_b64 exec, exec, s[0:1]
	v_or_b32_e32 v32, 0xc00, v0
	v_cmp_gt_u32_e32 vcc, s14, v32
                                        ; implicit-def: $vgpr33
	s_and_saveexec_b64 s[0:1], vcc
	s_cbranch_execz .LBB1626_15
; %bb.14:
	global_load_ubyte v33, v0, s[2:3] offset:3072
.LBB1626_15:
	s_or_b64 exec, exec, s[0:1]
	v_or_b32_e32 v30, 0xe00, v0
	v_cmp_gt_u32_e32 vcc, s14, v30
                                        ; implicit-def: $vgpr31
	s_and_saveexec_b64 s[0:1], vcc
	s_cbranch_execz .LBB1626_17
; %bb.16:
	global_load_ubyte v31, v0, s[2:3] offset:3584
.LBB1626_17:
	s_or_b64 exec, exec, s[0:1]
	v_or_b32_e32 v28, 0x1000, v0
	v_cmp_gt_u32_e32 vcc, s14, v28
                                        ; implicit-def: $vgpr29
	s_and_saveexec_b64 s[0:1], vcc
	s_cbranch_execz .LBB1626_19
; %bb.18:
	global_load_ubyte v29, v28, s[2:3]
.LBB1626_19:
	s_or_b64 exec, exec, s[0:1]
	v_or_b32_e32 v26, 0x1200, v0
	v_cmp_gt_u32_e32 vcc, s14, v26
                                        ; implicit-def: $vgpr27
	s_and_saveexec_b64 s[0:1], vcc
	s_cbranch_execz .LBB1626_21
; %bb.20:
	global_load_ubyte v27, v26, s[2:3]
.LBB1626_21:
	s_or_b64 exec, exec, s[0:1]
	v_or_b32_e32 v24, 0x1400, v0
	v_cmp_gt_u32_e32 vcc, s14, v24
                                        ; implicit-def: $vgpr25
	s_and_saveexec_b64 s[0:1], vcc
	s_cbranch_execz .LBB1626_23
; %bb.22:
	global_load_ubyte v25, v24, s[2:3]
.LBB1626_23:
	s_or_b64 exec, exec, s[0:1]
	v_or_b32_e32 v22, 0x1600, v0
	v_cmp_gt_u32_e32 vcc, s14, v22
                                        ; implicit-def: $vgpr23
	s_and_saveexec_b64 s[0:1], vcc
	s_cbranch_execz .LBB1626_25
; %bb.24:
	global_load_ubyte v23, v22, s[2:3]
.LBB1626_25:
	s_or_b64 exec, exec, s[0:1]
	v_or_b32_e32 v20, 0x1800, v0
	v_cmp_gt_u32_e32 vcc, s14, v20
                                        ; implicit-def: $vgpr21
	s_and_saveexec_b64 s[0:1], vcc
	s_cbranch_execz .LBB1626_27
; %bb.26:
	global_load_ubyte v21, v20, s[2:3]
.LBB1626_27:
	s_or_b64 exec, exec, s[0:1]
	v_or_b32_e32 v18, 0x1a00, v0
	v_cmp_gt_u32_e32 vcc, s14, v18
                                        ; implicit-def: $vgpr19
	s_and_saveexec_b64 s[0:1], vcc
	s_cbranch_execz .LBB1626_29
; %bb.28:
	global_load_ubyte v19, v18, s[2:3]
.LBB1626_29:
	s_or_b64 exec, exec, s[0:1]
	v_or_b32_e32 v16, 0x1c00, v0
	v_cmp_gt_u32_e32 vcc, s14, v16
                                        ; implicit-def: $vgpr17
	s_and_saveexec_b64 s[0:1], vcc
	s_cbranch_execz .LBB1626_31
; %bb.30:
	global_load_ubyte v17, v16, s[2:3]
.LBB1626_31:
	s_or_b64 exec, exec, s[0:1]
	v_or_b32_e32 v14, 0x1e00, v0
	v_cmp_gt_u32_e32 vcc, s14, v14
                                        ; implicit-def: $vgpr15
	s_and_saveexec_b64 s[0:1], vcc
	s_cbranch_execz .LBB1626_33
; %bb.32:
	global_load_ubyte v15, v14, s[2:3]
.LBB1626_33:
	s_or_b64 exec, exec, s[0:1]
	v_or_b32_e32 v12, 0x2000, v0
	v_cmp_gt_u32_e32 vcc, s14, v12
                                        ; implicit-def: $vgpr13
	s_and_saveexec_b64 s[0:1], vcc
	s_cbranch_execz .LBB1626_35
; %bb.34:
	global_load_ubyte v13, v12, s[2:3]
.LBB1626_35:
	s_or_b64 exec, exec, s[0:1]
	v_or_b32_e32 v10, 0x2200, v0
	v_cmp_gt_u32_e32 vcc, s14, v10
                                        ; implicit-def: $vgpr11
	s_and_saveexec_b64 s[0:1], vcc
	s_cbranch_execz .LBB1626_37
; %bb.36:
	global_load_ubyte v11, v10, s[2:3]
.LBB1626_37:
	s_or_b64 exec, exec, s[0:1]
	v_or_b32_e32 v8, 0x2400, v0
	v_cmp_gt_u32_e32 vcc, s14, v8
                                        ; implicit-def: $vgpr9
	s_and_saveexec_b64 s[0:1], vcc
	s_cbranch_execz .LBB1626_39
; %bb.38:
	global_load_ubyte v9, v8, s[2:3]
.LBB1626_39:
	s_or_b64 exec, exec, s[0:1]
	v_or_b32_e32 v6, 0x2600, v0
	v_cmp_gt_u32_e32 vcc, s14, v6
                                        ; implicit-def: $vgpr7
	s_and_saveexec_b64 s[0:1], vcc
	s_cbranch_execz .LBB1626_41
; %bb.40:
	global_load_ubyte v7, v6, s[2:3]
.LBB1626_41:
	s_or_b64 exec, exec, s[0:1]
	v_or_b32_e32 v4, 0x2800, v0
	v_cmp_gt_u32_e32 vcc, s14, v4
                                        ; implicit-def: $vgpr5
	s_and_saveexec_b64 s[0:1], vcc
	s_cbranch_execz .LBB1626_43
; %bb.42:
	global_load_ubyte v5, v4, s[2:3]
.LBB1626_43:
	s_or_b64 exec, exec, s[0:1]
	v_or_b32_e32 v2, 0x2a00, v0
	v_cmp_gt_u32_e32 vcc, s14, v2
                                        ; implicit-def: $vgpr3
	s_and_saveexec_b64 s[0:1], vcc
	s_cbranch_execz .LBB1626_45
; %bb.44:
	global_load_ubyte v3, v2, s[2:3]
.LBB1626_45:
	s_or_b64 exec, exec, s[0:1]
	s_movk_i32 s0, 0x80
	v_cmp_gt_u32_e32 vcc, s0, v0
	s_and_saveexec_b64 s[0:1], vcc
	s_cbranch_execz .LBB1626_47
; %bb.46:
	v_lshlrev_b32_e32 v45, 2, v0
	v_mov_b32_e32 v46, 0
	ds_write_b32 v45, v46
.LBB1626_47:
	s_or_b64 exec, exec, s[0:1]
	s_cmp_le_u32 s13, s12
	s_cselect_b64 s[4:5], -1, 0
	v_cmp_le_u32_e32 vcc, s14, v0
	s_and_b64 s[0:1], s[4:5], exec
	s_cselect_b32 s15, 8, 10
	s_or_b64 s[0:1], s[4:5], vcc
	s_waitcnt vmcnt(0)
	v_xor_b32_e32 v44, 0x7f, v44
	s_xor_b64 s[6:7], s[0:1], -1
	v_mov_b32_e32 v45, s15
	s_waitcnt lgkmcnt(0)
	s_barrier
	s_and_saveexec_b64 s[0:1], s[6:7]
	s_cbranch_execz .LBB1626_49
; %bb.48:
	s_sub_i32 s6, s13, s12
	s_min_u32 s6, s6, 4
	v_lshrrev_b32_sdwa v45, s12, v44 dst_sel:DWORD dst_unused:UNUSED_PAD src0_sel:DWORD src1_sel:BYTE_0
	v_bfe_u32 v45, v45, 0, s6
	v_lshlrev_b32_e32 v46, 2, v1
	v_lshl_or_b32 v45, v45, 4, v46
	v_mov_b32_e32 v46, 1
	ds_add_u32 v45, v46
	v_mov_b32_e32 v45, 0
.LBB1626_49:
	s_or_b64 exec, exec, s[0:1]
	v_cmp_gt_i32_e64 s[0:1], 10, v45
	s_mov_b64 s[6:7], -1
	s_and_saveexec_b64 s[8:9], s[0:1]
; %bb.50:
	v_cmp_eq_u32_e64 s[0:1], 0, v45
	s_orn2_b64 s[6:7], s[0:1], exec
; %bb.51:
	s_or_b64 exec, exec, s[8:9]
	s_and_saveexec_b64 s[0:1], s[6:7]
	s_cbranch_execz .LBB1626_54
; %bb.52:
	s_add_i32 s6, s12, 4
	s_cmp_gt_u32 s13, s6
	s_cselect_b64 s[8:9], -1, 0
	s_xor_b64 s[16:17], vcc, -1
	s_and_b64 s[8:9], s[8:9], s[16:17]
	s_and_b64 exec, exec, s[8:9]
	s_cbranch_execz .LBB1626_54
; %bb.53:
	s_sub_i32 s7, s13, s6
	s_min_u32 s7, s7, 4
	v_lshrrev_b32_sdwa v44, s6, v44 dst_sel:DWORD dst_unused:UNUSED_PAD src0_sel:DWORD src1_sel:BYTE_0
	v_bfe_u32 v44, v44, 0, s7
	v_lshlrev_b32_e32 v45, 2, v1
	v_lshl_or_b32 v44, v44, 4, v45
	v_mov_b32_e32 v45, 1
	ds_add_u32 v44, v45 offset:256
.LBB1626_54:
	s_or_b64 exec, exec, s[0:1]
	v_cmp_le_u32_e32 vcc, s14, v42
	s_or_b64 s[0:1], s[4:5], vcc
	v_xor_b32_e32 v43, 0x7f, v43
	s_xor_b64 s[6:7], s[0:1], -1
	v_mov_b32_e32 v42, s15
	s_and_saveexec_b64 s[0:1], s[6:7]
	s_cbranch_execz .LBB1626_56
; %bb.55:
	s_sub_i32 s6, s13, s12
	s_min_u32 s6, s6, 4
	v_lshrrev_b32_sdwa v42, s12, v43 dst_sel:DWORD dst_unused:UNUSED_PAD src0_sel:DWORD src1_sel:BYTE_0
	v_bfe_u32 v42, v42, 0, s6
	v_lshlrev_b32_e32 v44, 2, v1
	v_lshl_or_b32 v42, v42, 4, v44
	v_mov_b32_e32 v44, 1
	ds_add_u32 v42, v44
	v_mov_b32_e32 v42, 0
.LBB1626_56:
	s_or_b64 exec, exec, s[0:1]
	v_cmp_gt_i32_e64 s[0:1], 10, v42
	s_mov_b64 s[6:7], -1
	s_and_saveexec_b64 s[8:9], s[0:1]
; %bb.57:
	v_cmp_eq_u32_e64 s[0:1], 0, v42
	s_orn2_b64 s[6:7], s[0:1], exec
; %bb.58:
	s_or_b64 exec, exec, s[8:9]
	s_and_saveexec_b64 s[0:1], s[6:7]
	s_cbranch_execz .LBB1626_61
; %bb.59:
	s_add_i32 s6, s12, 4
	s_cmp_gt_u32 s13, s6
	s_cselect_b64 s[8:9], -1, 0
	s_xor_b64 s[16:17], vcc, -1
	s_and_b64 s[8:9], s[8:9], s[16:17]
	s_and_b64 exec, exec, s[8:9]
	s_cbranch_execz .LBB1626_61
; %bb.60:
	s_sub_i32 s7, s13, s6
	s_min_u32 s7, s7, 4
	v_lshrrev_b32_sdwa v42, s6, v43 dst_sel:DWORD dst_unused:UNUSED_PAD src0_sel:DWORD src1_sel:BYTE_0
	v_bfe_u32 v42, v42, 0, s7
	v_lshlrev_b32_e32 v43, 2, v1
	v_lshl_or_b32 v42, v42, 4, v43
	v_mov_b32_e32 v43, 1
	ds_add_u32 v42, v43 offset:256
.LBB1626_61:
	s_or_b64 exec, exec, s[0:1]
	v_cmp_le_u32_e32 vcc, s14, v40
	s_or_b64 s[0:1], s[4:5], vcc
	v_xor_b32_e32 v41, 0x7f, v41
	s_xor_b64 s[6:7], s[0:1], -1
	v_mov_b32_e32 v40, s15
	;; [unrolled: 48-line block ×21, first 2 shown]
	s_and_saveexec_b64 s[0:1], s[4:5]
	s_cbranch_execz .LBB1626_196
; %bb.195:
	s_sub_i32 s4, s13, s12
	s_min_u32 s4, s4, 4
	v_lshrrev_b32_sdwa v2, s12, v3 dst_sel:DWORD dst_unused:UNUSED_PAD src0_sel:DWORD src1_sel:BYTE_0
	v_bfe_u32 v2, v2, 0, s4
	v_lshlrev_b32_e32 v4, 2, v1
	v_lshl_or_b32 v2, v2, 4, v4
	v_mov_b32_e32 v4, 1
	ds_add_u32 v2, v4
	v_mov_b32_e32 v2, 0
.LBB1626_196:
	s_or_b64 exec, exec, s[0:1]
	v_cmp_gt_i32_e64 s[0:1], 10, v2
	s_mov_b64 s[4:5], -1
	s_and_saveexec_b64 s[6:7], s[0:1]
; %bb.197:
	v_cmp_eq_u32_e64 s[0:1], 0, v2
	s_orn2_b64 s[4:5], s[0:1], exec
; %bb.198:
	s_or_b64 exec, exec, s[6:7]
	s_and_saveexec_b64 s[0:1], s[4:5]
	s_cbranch_execz .LBB1626_201
; %bb.199:
	s_add_i32 s4, s12, 4
	s_cmp_gt_u32 s13, s4
	s_cselect_b64 s[6:7], -1, 0
	s_xor_b64 s[8:9], vcc, -1
	s_and_b64 s[6:7], s[6:7], s[8:9]
	s_and_b64 exec, exec, s[6:7]
	s_cbranch_execz .LBB1626_201
; %bb.200:
	s_sub_i32 s5, s13, s4
	s_min_u32 s5, s5, 4
	v_lshrrev_b32_sdwa v2, s4, v3 dst_sel:DWORD dst_unused:UNUSED_PAD src0_sel:DWORD src1_sel:BYTE_0
	v_bfe_u32 v2, v2, 0, s5
	v_lshlrev_b32_e32 v3, 2, v1
	v_lshl_or_b32 v2, v2, 4, v3
	v_mov_b32_e32 v3, 1
	ds_add_u32 v2, v3 offset:256
.LBB1626_201:
	s_or_b64 exec, exec, s[0:1]
	s_cmp_gt_u32 s13, s12
	s_waitcnt lgkmcnt(0)
	s_barrier
	s_cbranch_scc0 .LBB1626_206
; %bb.202:
	v_cmp_gt_u32_e32 vcc, 16, v0
	v_lshlrev_b32_e32 v4, 4, v0
	v_mov_b32_e32 v3, 0
	v_mov_b32_e32 v2, v0
	s_mov_b32 s6, s12
	s_branch .LBB1626_204
.LBB1626_203:                           ;   in Loop: Header=BB1626_204 Depth=1
	s_or_b64 exec, exec, s[4:5]
	s_add_i32 s6, s6, 4
	v_add_u32_e32 v2, 16, v2
	s_cmp_lt_u32 s6, s13
	v_add_u32_e32 v4, 0x100, v4
	s_cbranch_scc0 .LBB1626_206
.LBB1626_204:                           ; =>This Inner Loop Header: Depth=1
	s_and_saveexec_b64 s[4:5], vcc
	s_cbranch_execz .LBB1626_203
; %bb.205:                              ;   in Loop: Header=BB1626_204 Depth=1
	ds_read2_b32 v[6:7], v4 offset1:1
	ds_read2_b32 v[8:9], v4 offset0:2 offset1:3
	v_lshlrev_b64 v[10:11], 3, v[2:3]
	v_mov_b32_e32 v5, s11
	s_waitcnt lgkmcnt(1)
	v_add_u32_e32 v6, v7, v6
	s_waitcnt lgkmcnt(0)
	v_add3_u32 v6, v6, v8, v9
	v_add_co_u32_e64 v8, s[0:1], s10, v10
	v_addc_co_u32_e64 v9, s[0:1], v5, v11, s[0:1]
	v_mov_b32_e32 v7, v3
	global_atomic_add_x2 v[8:9], v[6:7], off
	s_branch .LBB1626_203
.LBB1626_206:
	s_mov_b64 s[6:7], 0
.LBB1626_207:
	s_and_b64 vcc, exec, s[6:7]
	s_cbranch_vccz .LBB1626_267
; %bb.208:
	v_mov_b32_e32 v2, s3
	v_add_co_u32_e32 v19, vcc, s2, v0
	v_addc_co_u32_e32 v20, vcc, 0, v2, vcc
	s_movk_i32 s0, 0x1000
	v_add_co_u32_e32 v2, vcc, s0, v19
	v_addc_co_u32_e32 v3, vcc, 0, v20, vcc
	global_load_ubyte v4, v0, s[2:3] offset:512
	global_load_ubyte v5, v0, s[2:3] offset:1024
	;; [unrolled: 1-line block ×7, first 2 shown]
	global_load_ubyte v11, v[2:3], off
	global_load_ubyte v12, v[2:3], off offset:512
	global_load_ubyte v13, v[2:3], off offset:1024
	;; [unrolled: 1-line block ×7, first 2 shown]
	v_add_co_u32_e32 v2, vcc, 0x2000, v19
	v_addc_co_u32_e32 v3, vcc, 0, v20, vcc
	global_load_ubyte v19, v[2:3], off
	global_load_ubyte v20, v[2:3], off offset:512
	global_load_ubyte v21, v[2:3], off offset:1024
	;; [unrolled: 1-line block ×4, first 2 shown]
	global_load_ubyte v25, v0, s[2:3]
	global_load_ubyte v24, v[2:3], off offset:2560
	s_cmp_lg_u32 s12, 0
	s_cselect_b64 s[0:1], -1, 0
	s_cmp_lg_u32 s13, 8
	s_cselect_b64 s[2:3], -1, 0
	s_or_b64 s[4:5], s[0:1], s[2:3]
	s_movk_i32 s0, 0x80
	v_cmp_gt_u32_e64 s[0:1], s0, v0
	s_mov_b64 s[2:3], -1
	s_and_b64 vcc, exec, s[4:5]
	s_cbranch_vccz .LBB1626_262
; %bb.209:
	s_and_saveexec_b64 s[2:3], s[0:1]
	s_cbranch_execz .LBB1626_211
; %bb.210:
	v_lshlrev_b32_e32 v2, 2, v0
	v_mov_b32_e32 v3, 0
	ds_write_b32 v2, v3
.LBB1626_211:
	s_or_b64 exec, exec, s[2:3]
	s_cmp_gt_u32 s13, s12
	s_cselect_b64 s[4:5], -1, 0
	s_and_b64 vcc, exec, s[4:5]
	s_waitcnt lgkmcnt(0)
	s_barrier
	s_cbranch_vccz .LBB1626_256
; %bb.212:
	s_sub_i32 s2, s13, s12
	s_min_u32 s2, s2, 4
	s_waitcnt vmcnt(1)
	v_xor_b32_e32 v26, 0x7f, v25
	s_lshl_b32 s2, -1, s2
	s_not_b32 s9, s2
	v_lshrrev_b32_sdwa v2, s12, v26 dst_sel:DWORD dst_unused:UNUSED_PAD src0_sel:DWORD src1_sel:BYTE_0
	v_and_b32_e32 v3, s9, v2
	v_lshlrev_b32_e32 v2, 2, v1
	v_lshl_or_b32 v27, v3, 4, v2
	v_mov_b32_e32 v3, 1
	ds_add_u32 v27, v3
	s_add_i32 s8, s12, 4
	s_cmp_gt_u32 s13, s8
	s_cselect_b64 s[6:7], -1, 0
	s_cmp_le_u32 s13, s8
	s_cbranch_scc1 .LBB1626_214
; %bb.213:
	s_sub_i32 s2, s13, s8
	s_min_u32 s2, s2, 4
	v_lshrrev_b32_sdwa v26, s8, v26 dst_sel:DWORD dst_unused:UNUSED_PAD src0_sel:DWORD src1_sel:BYTE_0
	v_bfe_u32 v26, v26, 0, s2
	v_lshl_or_b32 v26, v26, 4, v2
	ds_add_u32 v26, v3 offset:256
.LBB1626_214:
	v_xor_b32_e32 v26, 0x7f, v4
	v_lshrrev_b32_sdwa v27, s12, v26 dst_sel:DWORD dst_unused:UNUSED_PAD src0_sel:DWORD src1_sel:BYTE_0
	v_and_b32_e32 v27, s9, v27
	v_lshl_or_b32 v27, v27, 4, v2
	ds_add_u32 v27, v3
	v_cndmask_b32_e64 v3, 0, 1, s[6:7]
	v_cmp_ne_u32_e64 s[2:3], 1, v3
	s_andn2_b64 vcc, exec, s[6:7]
	s_cbranch_vccnz .LBB1626_216
; %bb.215:
	s_sub_i32 s6, s13, s8
	s_min_u32 s6, s6, 4
	v_lshrrev_b32_sdwa v3, s8, v26 dst_sel:DWORD dst_unused:UNUSED_PAD src0_sel:DWORD src1_sel:BYTE_0
	v_bfe_u32 v3, v3, 0, s6
	v_lshl_or_b32 v3, v3, 4, v2
	v_mov_b32_e32 v26, 1
	ds_add_u32 v3, v26 offset:256
.LBB1626_216:
	v_xor_b32_e32 v26, 0x7f, v5
	v_lshrrev_b32_sdwa v3, s12, v26 dst_sel:DWORD dst_unused:UNUSED_PAD src0_sel:DWORD src1_sel:BYTE_0
	v_and_b32_e32 v3, s9, v3
	v_lshl_or_b32 v27, v3, 4, v2
	v_mov_b32_e32 v3, 1
	ds_add_u32 v27, v3
	s_and_b64 vcc, exec, s[2:3]
	s_cbranch_vccnz .LBB1626_218
; %bb.217:
	s_sub_i32 s6, s13, s8
	s_min_u32 s6, s6, 4
	v_lshrrev_b32_sdwa v26, s8, v26 dst_sel:DWORD dst_unused:UNUSED_PAD src0_sel:DWORD src1_sel:BYTE_0
	v_bfe_u32 v26, v26, 0, s6
	v_lshl_or_b32 v26, v26, 4, v2
	ds_add_u32 v26, v3 offset:256
.LBB1626_218:
	v_xor_b32_e32 v26, 0x7f, v6
	v_lshrrev_b32_sdwa v27, s12, v26 dst_sel:DWORD dst_unused:UNUSED_PAD src0_sel:DWORD src1_sel:BYTE_0
	v_and_b32_e32 v27, s9, v27
	v_lshl_or_b32 v27, v27, 4, v2
	ds_add_u32 v27, v3
	s_and_b64 vcc, exec, s[2:3]
	s_cbranch_vccnz .LBB1626_220
; %bb.219:
	s_sub_i32 s6, s13, s8
	s_min_u32 s6, s6, 4
	v_lshrrev_b32_sdwa v3, s8, v26 dst_sel:DWORD dst_unused:UNUSED_PAD src0_sel:DWORD src1_sel:BYTE_0
	v_bfe_u32 v3, v3, 0, s6
	v_lshl_or_b32 v3, v3, 4, v2
	v_mov_b32_e32 v26, 1
	ds_add_u32 v3, v26 offset:256
.LBB1626_220:
	v_xor_b32_e32 v26, 0x7f, v7
	v_lshrrev_b32_sdwa v3, s12, v26 dst_sel:DWORD dst_unused:UNUSED_PAD src0_sel:DWORD src1_sel:BYTE_0
	v_and_b32_e32 v3, s9, v3
	v_lshl_or_b32 v27, v3, 4, v2
	v_mov_b32_e32 v3, 1
	ds_add_u32 v27, v3
	s_and_b64 vcc, exec, s[2:3]
	s_cbranch_vccnz .LBB1626_222
; %bb.221:
	s_sub_i32 s6, s13, s8
	s_min_u32 s6, s6, 4
	v_lshrrev_b32_sdwa v26, s8, v26 dst_sel:DWORD dst_unused:UNUSED_PAD src0_sel:DWORD src1_sel:BYTE_0
	v_bfe_u32 v26, v26, 0, s6
	v_lshl_or_b32 v26, v26, 4, v2
	ds_add_u32 v26, v3 offset:256
.LBB1626_222:
	v_xor_b32_e32 v26, 0x7f, v8
	v_lshrrev_b32_sdwa v27, s12, v26 dst_sel:DWORD dst_unused:UNUSED_PAD src0_sel:DWORD src1_sel:BYTE_0
	v_and_b32_e32 v27, s9, v27
	v_lshl_or_b32 v27, v27, 4, v2
	ds_add_u32 v27, v3
	s_and_b64 vcc, exec, s[2:3]
	;; [unrolled: 32-line block ×9, first 2 shown]
	s_cbranch_vccnz .LBB1626_252
; %bb.251:
	s_sub_i32 s6, s13, s8
	s_min_u32 s6, s6, 4
	v_lshrrev_b32_sdwa v3, s8, v26 dst_sel:DWORD dst_unused:UNUSED_PAD src0_sel:DWORD src1_sel:BYTE_0
	v_bfe_u32 v3, v3, 0, s6
	v_lshl_or_b32 v3, v3, 4, v2
	v_mov_b32_e32 v26, 1
	ds_add_u32 v3, v26 offset:256
.LBB1626_252:
	v_xor_b32_e32 v26, 0x7f, v23
	v_lshrrev_b32_sdwa v3, s12, v26 dst_sel:DWORD dst_unused:UNUSED_PAD src0_sel:DWORD src1_sel:BYTE_0
	v_and_b32_e32 v3, s9, v3
	v_lshl_or_b32 v27, v3, 4, v2
	v_mov_b32_e32 v3, 1
	ds_add_u32 v27, v3
	s_and_b64 vcc, exec, s[2:3]
	s_cbranch_vccnz .LBB1626_254
; %bb.253:
	s_sub_i32 s6, s13, s8
	s_min_u32 s6, s6, 4
	v_lshrrev_b32_sdwa v26, s8, v26 dst_sel:DWORD dst_unused:UNUSED_PAD src0_sel:DWORD src1_sel:BYTE_0
	v_bfe_u32 v26, v26, 0, s6
	v_lshl_or_b32 v26, v26, 4, v2
	ds_add_u32 v26, v3 offset:256
.LBB1626_254:
	s_waitcnt vmcnt(0)
	v_xor_b32_e32 v26, 0x7f, v24
	v_lshrrev_b32_sdwa v27, s12, v26 dst_sel:DWORD dst_unused:UNUSED_PAD src0_sel:DWORD src1_sel:BYTE_0
	v_and_b32_e32 v27, s9, v27
	v_lshl_or_b32 v27, v27, 4, v2
	ds_add_u32 v27, v3
	s_and_b64 vcc, exec, s[2:3]
	s_cbranch_vccnz .LBB1626_256
; %bb.255:
	s_sub_i32 s2, s13, s8
	s_min_u32 s2, s2, 4
	v_lshrrev_b32_sdwa v3, s8, v26 dst_sel:DWORD dst_unused:UNUSED_PAD src0_sel:DWORD src1_sel:BYTE_0
	v_bfe_u32 v3, v3, 0, s2
	v_lshl_or_b32 v2, v3, 4, v2
	v_mov_b32_e32 v3, 1
	ds_add_u32 v2, v3 offset:256
.LBB1626_256:
	s_and_b64 vcc, exec, s[4:5]
	s_waitcnt lgkmcnt(0)
	s_barrier
	s_cbranch_vccz .LBB1626_261
; %bb.257:
	v_cmp_gt_u32_e32 vcc, 16, v0
	v_lshlrev_b32_e32 v26, 4, v0
	v_mov_b32_e32 v3, 0
	v_mov_b32_e32 v2, v0
	s_branch .LBB1626_259
.LBB1626_258:                           ;   in Loop: Header=BB1626_259 Depth=1
	s_or_b64 exec, exec, s[4:5]
	s_add_i32 s12, s12, 4
	v_add_u32_e32 v2, 16, v2
	s_cmp_ge_u32 s12, s13
	v_add_u32_e32 v26, 0x100, v26
	s_cbranch_scc1 .LBB1626_261
.LBB1626_259:                           ; =>This Inner Loop Header: Depth=1
	s_and_saveexec_b64 s[4:5], vcc
	s_cbranch_execz .LBB1626_258
; %bb.260:                              ;   in Loop: Header=BB1626_259 Depth=1
	ds_read2_b32 v[28:29], v26 offset1:1
	ds_read2_b32 v[30:31], v26 offset0:2 offset1:3
	v_lshlrev_b64 v[32:33], 3, v[2:3]
	v_mov_b32_e32 v27, s11
	s_waitcnt lgkmcnt(1)
	v_add_u32_e32 v28, v29, v28
	s_waitcnt lgkmcnt(0)
	v_add3_u32 v28, v28, v30, v31
	v_add_co_u32_e64 v30, s[2:3], s10, v32
	v_addc_co_u32_e64 v31, s[2:3], v27, v33, s[2:3]
	v_mov_b32_e32 v29, v3
	global_atomic_add_x2 v[30:31], v[28:29], off
	s_branch .LBB1626_258
.LBB1626_261:
	s_mov_b64 s[2:3], 0
.LBB1626_262:
	s_and_b64 vcc, exec, s[2:3]
	s_cbranch_vccz .LBB1626_267
; %bb.263:
	s_and_saveexec_b64 s[2:3], s[0:1]
	s_cbranch_execz .LBB1626_265
; %bb.264:
	v_lshlrev_b32_e32 v2, 2, v0
	v_mov_b32_e32 v3, 0
	ds_write_b32 v2, v3
.LBB1626_265:
	s_or_b64 exec, exec, s[2:3]
	s_waitcnt vmcnt(1)
	v_xor_b32_e32 v2, 0x7f, v25
	v_xor_b32_e32 v3, 0x7f, v4
	;; [unrolled: 1-line block ×21, first 2 shown]
	s_waitcnt vmcnt(0)
	v_xor_b32_e32 v23, 0x7f, v24
	v_lshlrev_b32_e32 v24, 2, v2
	v_and_or_b32 v24, v24, 60, v1
	v_lshrrev_b32_e32 v2, 2, v2
	v_lshlrev_b32_e32 v24, 2, v24
	v_mov_b32_e32 v25, 1
	v_and_or_b32 v2, v2, 60, v1
	s_waitcnt lgkmcnt(0)
	s_barrier
	ds_add_u32 v24, v25
	v_lshlrev_b32_e32 v2, 2, v2
	ds_add_u32 v2, v25 offset:256
	v_lshlrev_b32_e32 v2, 2, v3
	v_and_or_b32 v2, v2, 60, v1
	v_lshlrev_b32_e32 v2, 2, v2
	ds_add_u32 v2, v25
	v_lshrrev_b32_e32 v2, 2, v3
	v_and_or_b32 v2, v2, 60, v1
	v_lshlrev_b32_e32 v2, 2, v2
	ds_add_u32 v2, v25 offset:256
	v_lshlrev_b32_e32 v2, 2, v4
	v_and_or_b32 v2, v2, 60, v1
	v_lshlrev_b32_e32 v2, 2, v2
	ds_add_u32 v2, v25
	v_lshrrev_b32_e32 v2, 2, v4
	v_and_or_b32 v2, v2, 60, v1
	;; [unrolled: 8-line block ×21, first 2 shown]
	v_lshlrev_b32_e32 v1, 2, v1
	ds_add_u32 v1, v25 offset:256
	v_cmp_gt_u32_e32 vcc, 16, v0
	s_waitcnt lgkmcnt(0)
	s_barrier
	s_and_saveexec_b64 s[0:1], vcc
	s_cbranch_execz .LBB1626_267
; %bb.266:
	v_lshlrev_b32_e32 v6, 4, v0
	ds_read2_b32 v[2:3], v6 offset1:1
	ds_read2_b32 v[4:5], v6 offset0:2 offset1:3
	v_lshlrev_b32_e32 v7, 3, v0
	v_mov_b32_e32 v1, 0
	s_waitcnt lgkmcnt(1)
	v_add_u32_e32 v0, v3, v2
	s_waitcnt lgkmcnt(0)
	v_add3_u32 v0, v0, v4, v5
	global_atomic_add_x2 v7, v[0:1], s[10:11]
	ds_read2_b32 v[2:3], v6 offset0:64 offset1:65
	ds_read2_b32 v[4:5], v6 offset0:66 offset1:67
	s_waitcnt lgkmcnt(1)
	v_add_u32_e32 v0, v3, v2
	s_waitcnt lgkmcnt(0)
	v_add3_u32 v0, v0, v4, v5
	global_atomic_add_x2 v7, v[0:1], s[10:11] offset:128
.LBB1626_267:
	s_endpgm
	.section	.rodata,"a",@progbits
	.p2align	6, 0x0
	.amdhsa_kernel _ZN7rocprim17ROCPRIM_400000_NS6detail17trampoline_kernelINS0_14default_configENS1_35radix_sort_onesweep_config_selectorIaNS0_10empty_typeEEEZNS1_34radix_sort_onesweep_global_offsetsIS3_Lb1EPaPS5_mNS0_19identity_decomposerEEE10hipError_tT1_T2_PT3_SE_jT4_jjP12ihipStream_tbEUlT_E_NS1_11comp_targetILNS1_3genE4ELNS1_11target_archE910ELNS1_3gpuE8ELNS1_3repE0EEENS1_52radix_sort_onesweep_histogram_config_static_selectorELNS0_4arch9wavefront6targetE1EEEvSC_
		.amdhsa_group_segment_fixed_size 512
		.amdhsa_private_segment_fixed_size 0
		.amdhsa_kernarg_size 48
		.amdhsa_user_sgpr_count 6
		.amdhsa_user_sgpr_private_segment_buffer 1
		.amdhsa_user_sgpr_dispatch_ptr 0
		.amdhsa_user_sgpr_queue_ptr 0
		.amdhsa_user_sgpr_kernarg_segment_ptr 1
		.amdhsa_user_sgpr_dispatch_id 0
		.amdhsa_user_sgpr_flat_scratch_init 0
		.amdhsa_user_sgpr_kernarg_preload_length 0
		.amdhsa_user_sgpr_kernarg_preload_offset 0
		.amdhsa_user_sgpr_private_segment_size 0
		.amdhsa_uses_dynamic_stack 0
		.amdhsa_system_sgpr_private_segment_wavefront_offset 0
		.amdhsa_system_sgpr_workgroup_id_x 1
		.amdhsa_system_sgpr_workgroup_id_y 0
		.amdhsa_system_sgpr_workgroup_id_z 0
		.amdhsa_system_sgpr_workgroup_info 0
		.amdhsa_system_vgpr_workitem_id 0
		.amdhsa_next_free_vgpr 47
		.amdhsa_next_free_sgpr 18
		.amdhsa_accum_offset 48
		.amdhsa_reserve_vcc 1
		.amdhsa_reserve_flat_scratch 0
		.amdhsa_float_round_mode_32 0
		.amdhsa_float_round_mode_16_64 0
		.amdhsa_float_denorm_mode_32 3
		.amdhsa_float_denorm_mode_16_64 3
		.amdhsa_dx10_clamp 1
		.amdhsa_ieee_mode 1
		.amdhsa_fp16_overflow 0
		.amdhsa_tg_split 0
		.amdhsa_exception_fp_ieee_invalid_op 0
		.amdhsa_exception_fp_denorm_src 0
		.amdhsa_exception_fp_ieee_div_zero 0
		.amdhsa_exception_fp_ieee_overflow 0
		.amdhsa_exception_fp_ieee_underflow 0
		.amdhsa_exception_fp_ieee_inexact 0
		.amdhsa_exception_int_div_zero 0
	.end_amdhsa_kernel
	.section	.text._ZN7rocprim17ROCPRIM_400000_NS6detail17trampoline_kernelINS0_14default_configENS1_35radix_sort_onesweep_config_selectorIaNS0_10empty_typeEEEZNS1_34radix_sort_onesweep_global_offsetsIS3_Lb1EPaPS5_mNS0_19identity_decomposerEEE10hipError_tT1_T2_PT3_SE_jT4_jjP12ihipStream_tbEUlT_E_NS1_11comp_targetILNS1_3genE4ELNS1_11target_archE910ELNS1_3gpuE8ELNS1_3repE0EEENS1_52radix_sort_onesweep_histogram_config_static_selectorELNS0_4arch9wavefront6targetE1EEEvSC_,"axG",@progbits,_ZN7rocprim17ROCPRIM_400000_NS6detail17trampoline_kernelINS0_14default_configENS1_35radix_sort_onesweep_config_selectorIaNS0_10empty_typeEEEZNS1_34radix_sort_onesweep_global_offsetsIS3_Lb1EPaPS5_mNS0_19identity_decomposerEEE10hipError_tT1_T2_PT3_SE_jT4_jjP12ihipStream_tbEUlT_E_NS1_11comp_targetILNS1_3genE4ELNS1_11target_archE910ELNS1_3gpuE8ELNS1_3repE0EEENS1_52radix_sort_onesweep_histogram_config_static_selectorELNS0_4arch9wavefront6targetE1EEEvSC_,comdat
.Lfunc_end1626:
	.size	_ZN7rocprim17ROCPRIM_400000_NS6detail17trampoline_kernelINS0_14default_configENS1_35radix_sort_onesweep_config_selectorIaNS0_10empty_typeEEEZNS1_34radix_sort_onesweep_global_offsetsIS3_Lb1EPaPS5_mNS0_19identity_decomposerEEE10hipError_tT1_T2_PT3_SE_jT4_jjP12ihipStream_tbEUlT_E_NS1_11comp_targetILNS1_3genE4ELNS1_11target_archE910ELNS1_3gpuE8ELNS1_3repE0EEENS1_52radix_sort_onesweep_histogram_config_static_selectorELNS0_4arch9wavefront6targetE1EEEvSC_, .Lfunc_end1626-_ZN7rocprim17ROCPRIM_400000_NS6detail17trampoline_kernelINS0_14default_configENS1_35radix_sort_onesweep_config_selectorIaNS0_10empty_typeEEEZNS1_34radix_sort_onesweep_global_offsetsIS3_Lb1EPaPS5_mNS0_19identity_decomposerEEE10hipError_tT1_T2_PT3_SE_jT4_jjP12ihipStream_tbEUlT_E_NS1_11comp_targetILNS1_3genE4ELNS1_11target_archE910ELNS1_3gpuE8ELNS1_3repE0EEENS1_52radix_sort_onesweep_histogram_config_static_selectorELNS0_4arch9wavefront6targetE1EEEvSC_
                                        ; -- End function
	.section	.AMDGPU.csdata,"",@progbits
; Kernel info:
; codeLenInByte = 9464
; NumSgprs: 22
; NumVgprs: 47
; NumAgprs: 0
; TotalNumVgprs: 47
; ScratchSize: 0
; MemoryBound: 0
; FloatMode: 240
; IeeeMode: 1
; LDSByteSize: 512 bytes/workgroup (compile time only)
; SGPRBlocks: 2
; VGPRBlocks: 5
; NumSGPRsForWavesPerEU: 22
; NumVGPRsForWavesPerEU: 47
; AccumOffset: 48
; Occupancy: 8
; WaveLimiterHint : 1
; COMPUTE_PGM_RSRC2:SCRATCH_EN: 0
; COMPUTE_PGM_RSRC2:USER_SGPR: 6
; COMPUTE_PGM_RSRC2:TRAP_HANDLER: 0
; COMPUTE_PGM_RSRC2:TGID_X_EN: 1
; COMPUTE_PGM_RSRC2:TGID_Y_EN: 0
; COMPUTE_PGM_RSRC2:TGID_Z_EN: 0
; COMPUTE_PGM_RSRC2:TIDIG_COMP_CNT: 0
; COMPUTE_PGM_RSRC3_GFX90A:ACCUM_OFFSET: 11
; COMPUTE_PGM_RSRC3_GFX90A:TG_SPLIT: 0
	.section	.text._ZN7rocprim17ROCPRIM_400000_NS6detail17trampoline_kernelINS0_14default_configENS1_35radix_sort_onesweep_config_selectorIaNS0_10empty_typeEEEZNS1_34radix_sort_onesweep_global_offsetsIS3_Lb1EPaPS5_mNS0_19identity_decomposerEEE10hipError_tT1_T2_PT3_SE_jT4_jjP12ihipStream_tbEUlT_E_NS1_11comp_targetILNS1_3genE3ELNS1_11target_archE908ELNS1_3gpuE7ELNS1_3repE0EEENS1_52radix_sort_onesweep_histogram_config_static_selectorELNS0_4arch9wavefront6targetE1EEEvSC_,"axG",@progbits,_ZN7rocprim17ROCPRIM_400000_NS6detail17trampoline_kernelINS0_14default_configENS1_35radix_sort_onesweep_config_selectorIaNS0_10empty_typeEEEZNS1_34radix_sort_onesweep_global_offsetsIS3_Lb1EPaPS5_mNS0_19identity_decomposerEEE10hipError_tT1_T2_PT3_SE_jT4_jjP12ihipStream_tbEUlT_E_NS1_11comp_targetILNS1_3genE3ELNS1_11target_archE908ELNS1_3gpuE7ELNS1_3repE0EEENS1_52radix_sort_onesweep_histogram_config_static_selectorELNS0_4arch9wavefront6targetE1EEEvSC_,comdat
	.protected	_ZN7rocprim17ROCPRIM_400000_NS6detail17trampoline_kernelINS0_14default_configENS1_35radix_sort_onesweep_config_selectorIaNS0_10empty_typeEEEZNS1_34radix_sort_onesweep_global_offsetsIS3_Lb1EPaPS5_mNS0_19identity_decomposerEEE10hipError_tT1_T2_PT3_SE_jT4_jjP12ihipStream_tbEUlT_E_NS1_11comp_targetILNS1_3genE3ELNS1_11target_archE908ELNS1_3gpuE7ELNS1_3repE0EEENS1_52radix_sort_onesweep_histogram_config_static_selectorELNS0_4arch9wavefront6targetE1EEEvSC_ ; -- Begin function _ZN7rocprim17ROCPRIM_400000_NS6detail17trampoline_kernelINS0_14default_configENS1_35radix_sort_onesweep_config_selectorIaNS0_10empty_typeEEEZNS1_34radix_sort_onesweep_global_offsetsIS3_Lb1EPaPS5_mNS0_19identity_decomposerEEE10hipError_tT1_T2_PT3_SE_jT4_jjP12ihipStream_tbEUlT_E_NS1_11comp_targetILNS1_3genE3ELNS1_11target_archE908ELNS1_3gpuE7ELNS1_3repE0EEENS1_52radix_sort_onesweep_histogram_config_static_selectorELNS0_4arch9wavefront6targetE1EEEvSC_
	.globl	_ZN7rocprim17ROCPRIM_400000_NS6detail17trampoline_kernelINS0_14default_configENS1_35radix_sort_onesweep_config_selectorIaNS0_10empty_typeEEEZNS1_34radix_sort_onesweep_global_offsetsIS3_Lb1EPaPS5_mNS0_19identity_decomposerEEE10hipError_tT1_T2_PT3_SE_jT4_jjP12ihipStream_tbEUlT_E_NS1_11comp_targetILNS1_3genE3ELNS1_11target_archE908ELNS1_3gpuE7ELNS1_3repE0EEENS1_52radix_sort_onesweep_histogram_config_static_selectorELNS0_4arch9wavefront6targetE1EEEvSC_
	.p2align	8
	.type	_ZN7rocprim17ROCPRIM_400000_NS6detail17trampoline_kernelINS0_14default_configENS1_35radix_sort_onesweep_config_selectorIaNS0_10empty_typeEEEZNS1_34radix_sort_onesweep_global_offsetsIS3_Lb1EPaPS5_mNS0_19identity_decomposerEEE10hipError_tT1_T2_PT3_SE_jT4_jjP12ihipStream_tbEUlT_E_NS1_11comp_targetILNS1_3genE3ELNS1_11target_archE908ELNS1_3gpuE7ELNS1_3repE0EEENS1_52radix_sort_onesweep_histogram_config_static_selectorELNS0_4arch9wavefront6targetE1EEEvSC_,@function
_ZN7rocprim17ROCPRIM_400000_NS6detail17trampoline_kernelINS0_14default_configENS1_35radix_sort_onesweep_config_selectorIaNS0_10empty_typeEEEZNS1_34radix_sort_onesweep_global_offsetsIS3_Lb1EPaPS5_mNS0_19identity_decomposerEEE10hipError_tT1_T2_PT3_SE_jT4_jjP12ihipStream_tbEUlT_E_NS1_11comp_targetILNS1_3genE3ELNS1_11target_archE908ELNS1_3gpuE7ELNS1_3repE0EEENS1_52radix_sort_onesweep_histogram_config_static_selectorELNS0_4arch9wavefront6targetE1EEEvSC_: ; @_ZN7rocprim17ROCPRIM_400000_NS6detail17trampoline_kernelINS0_14default_configENS1_35radix_sort_onesweep_config_selectorIaNS0_10empty_typeEEEZNS1_34radix_sort_onesweep_global_offsetsIS3_Lb1EPaPS5_mNS0_19identity_decomposerEEE10hipError_tT1_T2_PT3_SE_jT4_jjP12ihipStream_tbEUlT_E_NS1_11comp_targetILNS1_3genE3ELNS1_11target_archE908ELNS1_3gpuE7ELNS1_3repE0EEENS1_52radix_sort_onesweep_histogram_config_static_selectorELNS0_4arch9wavefront6targetE1EEEvSC_
; %bb.0:
	.section	.rodata,"a",@progbits
	.p2align	6, 0x0
	.amdhsa_kernel _ZN7rocprim17ROCPRIM_400000_NS6detail17trampoline_kernelINS0_14default_configENS1_35radix_sort_onesweep_config_selectorIaNS0_10empty_typeEEEZNS1_34radix_sort_onesweep_global_offsetsIS3_Lb1EPaPS5_mNS0_19identity_decomposerEEE10hipError_tT1_T2_PT3_SE_jT4_jjP12ihipStream_tbEUlT_E_NS1_11comp_targetILNS1_3genE3ELNS1_11target_archE908ELNS1_3gpuE7ELNS1_3repE0EEENS1_52radix_sort_onesweep_histogram_config_static_selectorELNS0_4arch9wavefront6targetE1EEEvSC_
		.amdhsa_group_segment_fixed_size 0
		.amdhsa_private_segment_fixed_size 0
		.amdhsa_kernarg_size 48
		.amdhsa_user_sgpr_count 6
		.amdhsa_user_sgpr_private_segment_buffer 1
		.amdhsa_user_sgpr_dispatch_ptr 0
		.amdhsa_user_sgpr_queue_ptr 0
		.amdhsa_user_sgpr_kernarg_segment_ptr 1
		.amdhsa_user_sgpr_dispatch_id 0
		.amdhsa_user_sgpr_flat_scratch_init 0
		.amdhsa_user_sgpr_kernarg_preload_length 0
		.amdhsa_user_sgpr_kernarg_preload_offset 0
		.amdhsa_user_sgpr_private_segment_size 0
		.amdhsa_uses_dynamic_stack 0
		.amdhsa_system_sgpr_private_segment_wavefront_offset 0
		.amdhsa_system_sgpr_workgroup_id_x 1
		.amdhsa_system_sgpr_workgroup_id_y 0
		.amdhsa_system_sgpr_workgroup_id_z 0
		.amdhsa_system_sgpr_workgroup_info 0
		.amdhsa_system_vgpr_workitem_id 0
		.amdhsa_next_free_vgpr 1
		.amdhsa_next_free_sgpr 0
		.amdhsa_accum_offset 4
		.amdhsa_reserve_vcc 0
		.amdhsa_reserve_flat_scratch 0
		.amdhsa_float_round_mode_32 0
		.amdhsa_float_round_mode_16_64 0
		.amdhsa_float_denorm_mode_32 3
		.amdhsa_float_denorm_mode_16_64 3
		.amdhsa_dx10_clamp 1
		.amdhsa_ieee_mode 1
		.amdhsa_fp16_overflow 0
		.amdhsa_tg_split 0
		.amdhsa_exception_fp_ieee_invalid_op 0
		.amdhsa_exception_fp_denorm_src 0
		.amdhsa_exception_fp_ieee_div_zero 0
		.amdhsa_exception_fp_ieee_overflow 0
		.amdhsa_exception_fp_ieee_underflow 0
		.amdhsa_exception_fp_ieee_inexact 0
		.amdhsa_exception_int_div_zero 0
	.end_amdhsa_kernel
	.section	.text._ZN7rocprim17ROCPRIM_400000_NS6detail17trampoline_kernelINS0_14default_configENS1_35radix_sort_onesweep_config_selectorIaNS0_10empty_typeEEEZNS1_34radix_sort_onesweep_global_offsetsIS3_Lb1EPaPS5_mNS0_19identity_decomposerEEE10hipError_tT1_T2_PT3_SE_jT4_jjP12ihipStream_tbEUlT_E_NS1_11comp_targetILNS1_3genE3ELNS1_11target_archE908ELNS1_3gpuE7ELNS1_3repE0EEENS1_52radix_sort_onesweep_histogram_config_static_selectorELNS0_4arch9wavefront6targetE1EEEvSC_,"axG",@progbits,_ZN7rocprim17ROCPRIM_400000_NS6detail17trampoline_kernelINS0_14default_configENS1_35radix_sort_onesweep_config_selectorIaNS0_10empty_typeEEEZNS1_34radix_sort_onesweep_global_offsetsIS3_Lb1EPaPS5_mNS0_19identity_decomposerEEE10hipError_tT1_T2_PT3_SE_jT4_jjP12ihipStream_tbEUlT_E_NS1_11comp_targetILNS1_3genE3ELNS1_11target_archE908ELNS1_3gpuE7ELNS1_3repE0EEENS1_52radix_sort_onesweep_histogram_config_static_selectorELNS0_4arch9wavefront6targetE1EEEvSC_,comdat
.Lfunc_end1627:
	.size	_ZN7rocprim17ROCPRIM_400000_NS6detail17trampoline_kernelINS0_14default_configENS1_35radix_sort_onesweep_config_selectorIaNS0_10empty_typeEEEZNS1_34radix_sort_onesweep_global_offsetsIS3_Lb1EPaPS5_mNS0_19identity_decomposerEEE10hipError_tT1_T2_PT3_SE_jT4_jjP12ihipStream_tbEUlT_E_NS1_11comp_targetILNS1_3genE3ELNS1_11target_archE908ELNS1_3gpuE7ELNS1_3repE0EEENS1_52radix_sort_onesweep_histogram_config_static_selectorELNS0_4arch9wavefront6targetE1EEEvSC_, .Lfunc_end1627-_ZN7rocprim17ROCPRIM_400000_NS6detail17trampoline_kernelINS0_14default_configENS1_35radix_sort_onesweep_config_selectorIaNS0_10empty_typeEEEZNS1_34radix_sort_onesweep_global_offsetsIS3_Lb1EPaPS5_mNS0_19identity_decomposerEEE10hipError_tT1_T2_PT3_SE_jT4_jjP12ihipStream_tbEUlT_E_NS1_11comp_targetILNS1_3genE3ELNS1_11target_archE908ELNS1_3gpuE7ELNS1_3repE0EEENS1_52radix_sort_onesweep_histogram_config_static_selectorELNS0_4arch9wavefront6targetE1EEEvSC_
                                        ; -- End function
	.section	.AMDGPU.csdata,"",@progbits
; Kernel info:
; codeLenInByte = 0
; NumSgprs: 4
; NumVgprs: 0
; NumAgprs: 0
; TotalNumVgprs: 0
; ScratchSize: 0
; MemoryBound: 0
; FloatMode: 240
; IeeeMode: 1
; LDSByteSize: 0 bytes/workgroup (compile time only)
; SGPRBlocks: 0
; VGPRBlocks: 0
; NumSGPRsForWavesPerEU: 4
; NumVGPRsForWavesPerEU: 1
; AccumOffset: 4
; Occupancy: 8
; WaveLimiterHint : 0
; COMPUTE_PGM_RSRC2:SCRATCH_EN: 0
; COMPUTE_PGM_RSRC2:USER_SGPR: 6
; COMPUTE_PGM_RSRC2:TRAP_HANDLER: 0
; COMPUTE_PGM_RSRC2:TGID_X_EN: 1
; COMPUTE_PGM_RSRC2:TGID_Y_EN: 0
; COMPUTE_PGM_RSRC2:TGID_Z_EN: 0
; COMPUTE_PGM_RSRC2:TIDIG_COMP_CNT: 0
; COMPUTE_PGM_RSRC3_GFX90A:ACCUM_OFFSET: 0
; COMPUTE_PGM_RSRC3_GFX90A:TG_SPLIT: 0
	.section	.text._ZN7rocprim17ROCPRIM_400000_NS6detail17trampoline_kernelINS0_14default_configENS1_35radix_sort_onesweep_config_selectorIaNS0_10empty_typeEEEZNS1_34radix_sort_onesweep_global_offsetsIS3_Lb1EPaPS5_mNS0_19identity_decomposerEEE10hipError_tT1_T2_PT3_SE_jT4_jjP12ihipStream_tbEUlT_E_NS1_11comp_targetILNS1_3genE10ELNS1_11target_archE1201ELNS1_3gpuE5ELNS1_3repE0EEENS1_52radix_sort_onesweep_histogram_config_static_selectorELNS0_4arch9wavefront6targetE1EEEvSC_,"axG",@progbits,_ZN7rocprim17ROCPRIM_400000_NS6detail17trampoline_kernelINS0_14default_configENS1_35radix_sort_onesweep_config_selectorIaNS0_10empty_typeEEEZNS1_34radix_sort_onesweep_global_offsetsIS3_Lb1EPaPS5_mNS0_19identity_decomposerEEE10hipError_tT1_T2_PT3_SE_jT4_jjP12ihipStream_tbEUlT_E_NS1_11comp_targetILNS1_3genE10ELNS1_11target_archE1201ELNS1_3gpuE5ELNS1_3repE0EEENS1_52radix_sort_onesweep_histogram_config_static_selectorELNS0_4arch9wavefront6targetE1EEEvSC_,comdat
	.protected	_ZN7rocprim17ROCPRIM_400000_NS6detail17trampoline_kernelINS0_14default_configENS1_35radix_sort_onesweep_config_selectorIaNS0_10empty_typeEEEZNS1_34radix_sort_onesweep_global_offsetsIS3_Lb1EPaPS5_mNS0_19identity_decomposerEEE10hipError_tT1_T2_PT3_SE_jT4_jjP12ihipStream_tbEUlT_E_NS1_11comp_targetILNS1_3genE10ELNS1_11target_archE1201ELNS1_3gpuE5ELNS1_3repE0EEENS1_52radix_sort_onesweep_histogram_config_static_selectorELNS0_4arch9wavefront6targetE1EEEvSC_ ; -- Begin function _ZN7rocprim17ROCPRIM_400000_NS6detail17trampoline_kernelINS0_14default_configENS1_35radix_sort_onesweep_config_selectorIaNS0_10empty_typeEEEZNS1_34radix_sort_onesweep_global_offsetsIS3_Lb1EPaPS5_mNS0_19identity_decomposerEEE10hipError_tT1_T2_PT3_SE_jT4_jjP12ihipStream_tbEUlT_E_NS1_11comp_targetILNS1_3genE10ELNS1_11target_archE1201ELNS1_3gpuE5ELNS1_3repE0EEENS1_52radix_sort_onesweep_histogram_config_static_selectorELNS0_4arch9wavefront6targetE1EEEvSC_
	.globl	_ZN7rocprim17ROCPRIM_400000_NS6detail17trampoline_kernelINS0_14default_configENS1_35radix_sort_onesweep_config_selectorIaNS0_10empty_typeEEEZNS1_34radix_sort_onesweep_global_offsetsIS3_Lb1EPaPS5_mNS0_19identity_decomposerEEE10hipError_tT1_T2_PT3_SE_jT4_jjP12ihipStream_tbEUlT_E_NS1_11comp_targetILNS1_3genE10ELNS1_11target_archE1201ELNS1_3gpuE5ELNS1_3repE0EEENS1_52radix_sort_onesweep_histogram_config_static_selectorELNS0_4arch9wavefront6targetE1EEEvSC_
	.p2align	8
	.type	_ZN7rocprim17ROCPRIM_400000_NS6detail17trampoline_kernelINS0_14default_configENS1_35radix_sort_onesweep_config_selectorIaNS0_10empty_typeEEEZNS1_34radix_sort_onesweep_global_offsetsIS3_Lb1EPaPS5_mNS0_19identity_decomposerEEE10hipError_tT1_T2_PT3_SE_jT4_jjP12ihipStream_tbEUlT_E_NS1_11comp_targetILNS1_3genE10ELNS1_11target_archE1201ELNS1_3gpuE5ELNS1_3repE0EEENS1_52radix_sort_onesweep_histogram_config_static_selectorELNS0_4arch9wavefront6targetE1EEEvSC_,@function
_ZN7rocprim17ROCPRIM_400000_NS6detail17trampoline_kernelINS0_14default_configENS1_35radix_sort_onesweep_config_selectorIaNS0_10empty_typeEEEZNS1_34radix_sort_onesweep_global_offsetsIS3_Lb1EPaPS5_mNS0_19identity_decomposerEEE10hipError_tT1_T2_PT3_SE_jT4_jjP12ihipStream_tbEUlT_E_NS1_11comp_targetILNS1_3genE10ELNS1_11target_archE1201ELNS1_3gpuE5ELNS1_3repE0EEENS1_52radix_sort_onesweep_histogram_config_static_selectorELNS0_4arch9wavefront6targetE1EEEvSC_: ; @_ZN7rocprim17ROCPRIM_400000_NS6detail17trampoline_kernelINS0_14default_configENS1_35radix_sort_onesweep_config_selectorIaNS0_10empty_typeEEEZNS1_34radix_sort_onesweep_global_offsetsIS3_Lb1EPaPS5_mNS0_19identity_decomposerEEE10hipError_tT1_T2_PT3_SE_jT4_jjP12ihipStream_tbEUlT_E_NS1_11comp_targetILNS1_3genE10ELNS1_11target_archE1201ELNS1_3gpuE5ELNS1_3repE0EEENS1_52radix_sort_onesweep_histogram_config_static_selectorELNS0_4arch9wavefront6targetE1EEEvSC_
; %bb.0:
	.section	.rodata,"a",@progbits
	.p2align	6, 0x0
	.amdhsa_kernel _ZN7rocprim17ROCPRIM_400000_NS6detail17trampoline_kernelINS0_14default_configENS1_35radix_sort_onesweep_config_selectorIaNS0_10empty_typeEEEZNS1_34radix_sort_onesweep_global_offsetsIS3_Lb1EPaPS5_mNS0_19identity_decomposerEEE10hipError_tT1_T2_PT3_SE_jT4_jjP12ihipStream_tbEUlT_E_NS1_11comp_targetILNS1_3genE10ELNS1_11target_archE1201ELNS1_3gpuE5ELNS1_3repE0EEENS1_52radix_sort_onesweep_histogram_config_static_selectorELNS0_4arch9wavefront6targetE1EEEvSC_
		.amdhsa_group_segment_fixed_size 0
		.amdhsa_private_segment_fixed_size 0
		.amdhsa_kernarg_size 48
		.amdhsa_user_sgpr_count 6
		.amdhsa_user_sgpr_private_segment_buffer 1
		.amdhsa_user_sgpr_dispatch_ptr 0
		.amdhsa_user_sgpr_queue_ptr 0
		.amdhsa_user_sgpr_kernarg_segment_ptr 1
		.amdhsa_user_sgpr_dispatch_id 0
		.amdhsa_user_sgpr_flat_scratch_init 0
		.amdhsa_user_sgpr_kernarg_preload_length 0
		.amdhsa_user_sgpr_kernarg_preload_offset 0
		.amdhsa_user_sgpr_private_segment_size 0
		.amdhsa_uses_dynamic_stack 0
		.amdhsa_system_sgpr_private_segment_wavefront_offset 0
		.amdhsa_system_sgpr_workgroup_id_x 1
		.amdhsa_system_sgpr_workgroup_id_y 0
		.amdhsa_system_sgpr_workgroup_id_z 0
		.amdhsa_system_sgpr_workgroup_info 0
		.amdhsa_system_vgpr_workitem_id 0
		.amdhsa_next_free_vgpr 1
		.amdhsa_next_free_sgpr 0
		.amdhsa_accum_offset 4
		.amdhsa_reserve_vcc 0
		.amdhsa_reserve_flat_scratch 0
		.amdhsa_float_round_mode_32 0
		.amdhsa_float_round_mode_16_64 0
		.amdhsa_float_denorm_mode_32 3
		.amdhsa_float_denorm_mode_16_64 3
		.amdhsa_dx10_clamp 1
		.amdhsa_ieee_mode 1
		.amdhsa_fp16_overflow 0
		.amdhsa_tg_split 0
		.amdhsa_exception_fp_ieee_invalid_op 0
		.amdhsa_exception_fp_denorm_src 0
		.amdhsa_exception_fp_ieee_div_zero 0
		.amdhsa_exception_fp_ieee_overflow 0
		.amdhsa_exception_fp_ieee_underflow 0
		.amdhsa_exception_fp_ieee_inexact 0
		.amdhsa_exception_int_div_zero 0
	.end_amdhsa_kernel
	.section	.text._ZN7rocprim17ROCPRIM_400000_NS6detail17trampoline_kernelINS0_14default_configENS1_35radix_sort_onesweep_config_selectorIaNS0_10empty_typeEEEZNS1_34radix_sort_onesweep_global_offsetsIS3_Lb1EPaPS5_mNS0_19identity_decomposerEEE10hipError_tT1_T2_PT3_SE_jT4_jjP12ihipStream_tbEUlT_E_NS1_11comp_targetILNS1_3genE10ELNS1_11target_archE1201ELNS1_3gpuE5ELNS1_3repE0EEENS1_52radix_sort_onesweep_histogram_config_static_selectorELNS0_4arch9wavefront6targetE1EEEvSC_,"axG",@progbits,_ZN7rocprim17ROCPRIM_400000_NS6detail17trampoline_kernelINS0_14default_configENS1_35radix_sort_onesweep_config_selectorIaNS0_10empty_typeEEEZNS1_34radix_sort_onesweep_global_offsetsIS3_Lb1EPaPS5_mNS0_19identity_decomposerEEE10hipError_tT1_T2_PT3_SE_jT4_jjP12ihipStream_tbEUlT_E_NS1_11comp_targetILNS1_3genE10ELNS1_11target_archE1201ELNS1_3gpuE5ELNS1_3repE0EEENS1_52radix_sort_onesweep_histogram_config_static_selectorELNS0_4arch9wavefront6targetE1EEEvSC_,comdat
.Lfunc_end1628:
	.size	_ZN7rocprim17ROCPRIM_400000_NS6detail17trampoline_kernelINS0_14default_configENS1_35radix_sort_onesweep_config_selectorIaNS0_10empty_typeEEEZNS1_34radix_sort_onesweep_global_offsetsIS3_Lb1EPaPS5_mNS0_19identity_decomposerEEE10hipError_tT1_T2_PT3_SE_jT4_jjP12ihipStream_tbEUlT_E_NS1_11comp_targetILNS1_3genE10ELNS1_11target_archE1201ELNS1_3gpuE5ELNS1_3repE0EEENS1_52radix_sort_onesweep_histogram_config_static_selectorELNS0_4arch9wavefront6targetE1EEEvSC_, .Lfunc_end1628-_ZN7rocprim17ROCPRIM_400000_NS6detail17trampoline_kernelINS0_14default_configENS1_35radix_sort_onesweep_config_selectorIaNS0_10empty_typeEEEZNS1_34radix_sort_onesweep_global_offsetsIS3_Lb1EPaPS5_mNS0_19identity_decomposerEEE10hipError_tT1_T2_PT3_SE_jT4_jjP12ihipStream_tbEUlT_E_NS1_11comp_targetILNS1_3genE10ELNS1_11target_archE1201ELNS1_3gpuE5ELNS1_3repE0EEENS1_52radix_sort_onesweep_histogram_config_static_selectorELNS0_4arch9wavefront6targetE1EEEvSC_
                                        ; -- End function
	.section	.AMDGPU.csdata,"",@progbits
; Kernel info:
; codeLenInByte = 0
; NumSgprs: 4
; NumVgprs: 0
; NumAgprs: 0
; TotalNumVgprs: 0
; ScratchSize: 0
; MemoryBound: 0
; FloatMode: 240
; IeeeMode: 1
; LDSByteSize: 0 bytes/workgroup (compile time only)
; SGPRBlocks: 0
; VGPRBlocks: 0
; NumSGPRsForWavesPerEU: 4
; NumVGPRsForWavesPerEU: 1
; AccumOffset: 4
; Occupancy: 8
; WaveLimiterHint : 0
; COMPUTE_PGM_RSRC2:SCRATCH_EN: 0
; COMPUTE_PGM_RSRC2:USER_SGPR: 6
; COMPUTE_PGM_RSRC2:TRAP_HANDLER: 0
; COMPUTE_PGM_RSRC2:TGID_X_EN: 1
; COMPUTE_PGM_RSRC2:TGID_Y_EN: 0
; COMPUTE_PGM_RSRC2:TGID_Z_EN: 0
; COMPUTE_PGM_RSRC2:TIDIG_COMP_CNT: 0
; COMPUTE_PGM_RSRC3_GFX90A:ACCUM_OFFSET: 0
; COMPUTE_PGM_RSRC3_GFX90A:TG_SPLIT: 0
	.section	.text._ZN7rocprim17ROCPRIM_400000_NS6detail17trampoline_kernelINS0_14default_configENS1_35radix_sort_onesweep_config_selectorIaNS0_10empty_typeEEEZNS1_34radix_sort_onesweep_global_offsetsIS3_Lb1EPaPS5_mNS0_19identity_decomposerEEE10hipError_tT1_T2_PT3_SE_jT4_jjP12ihipStream_tbEUlT_E_NS1_11comp_targetILNS1_3genE9ELNS1_11target_archE1100ELNS1_3gpuE3ELNS1_3repE0EEENS1_52radix_sort_onesweep_histogram_config_static_selectorELNS0_4arch9wavefront6targetE1EEEvSC_,"axG",@progbits,_ZN7rocprim17ROCPRIM_400000_NS6detail17trampoline_kernelINS0_14default_configENS1_35radix_sort_onesweep_config_selectorIaNS0_10empty_typeEEEZNS1_34radix_sort_onesweep_global_offsetsIS3_Lb1EPaPS5_mNS0_19identity_decomposerEEE10hipError_tT1_T2_PT3_SE_jT4_jjP12ihipStream_tbEUlT_E_NS1_11comp_targetILNS1_3genE9ELNS1_11target_archE1100ELNS1_3gpuE3ELNS1_3repE0EEENS1_52radix_sort_onesweep_histogram_config_static_selectorELNS0_4arch9wavefront6targetE1EEEvSC_,comdat
	.protected	_ZN7rocprim17ROCPRIM_400000_NS6detail17trampoline_kernelINS0_14default_configENS1_35radix_sort_onesweep_config_selectorIaNS0_10empty_typeEEEZNS1_34radix_sort_onesweep_global_offsetsIS3_Lb1EPaPS5_mNS0_19identity_decomposerEEE10hipError_tT1_T2_PT3_SE_jT4_jjP12ihipStream_tbEUlT_E_NS1_11comp_targetILNS1_3genE9ELNS1_11target_archE1100ELNS1_3gpuE3ELNS1_3repE0EEENS1_52radix_sort_onesweep_histogram_config_static_selectorELNS0_4arch9wavefront6targetE1EEEvSC_ ; -- Begin function _ZN7rocprim17ROCPRIM_400000_NS6detail17trampoline_kernelINS0_14default_configENS1_35radix_sort_onesweep_config_selectorIaNS0_10empty_typeEEEZNS1_34radix_sort_onesweep_global_offsetsIS3_Lb1EPaPS5_mNS0_19identity_decomposerEEE10hipError_tT1_T2_PT3_SE_jT4_jjP12ihipStream_tbEUlT_E_NS1_11comp_targetILNS1_3genE9ELNS1_11target_archE1100ELNS1_3gpuE3ELNS1_3repE0EEENS1_52radix_sort_onesweep_histogram_config_static_selectorELNS0_4arch9wavefront6targetE1EEEvSC_
	.globl	_ZN7rocprim17ROCPRIM_400000_NS6detail17trampoline_kernelINS0_14default_configENS1_35radix_sort_onesweep_config_selectorIaNS0_10empty_typeEEEZNS1_34radix_sort_onesweep_global_offsetsIS3_Lb1EPaPS5_mNS0_19identity_decomposerEEE10hipError_tT1_T2_PT3_SE_jT4_jjP12ihipStream_tbEUlT_E_NS1_11comp_targetILNS1_3genE9ELNS1_11target_archE1100ELNS1_3gpuE3ELNS1_3repE0EEENS1_52radix_sort_onesweep_histogram_config_static_selectorELNS0_4arch9wavefront6targetE1EEEvSC_
	.p2align	8
	.type	_ZN7rocprim17ROCPRIM_400000_NS6detail17trampoline_kernelINS0_14default_configENS1_35radix_sort_onesweep_config_selectorIaNS0_10empty_typeEEEZNS1_34radix_sort_onesweep_global_offsetsIS3_Lb1EPaPS5_mNS0_19identity_decomposerEEE10hipError_tT1_T2_PT3_SE_jT4_jjP12ihipStream_tbEUlT_E_NS1_11comp_targetILNS1_3genE9ELNS1_11target_archE1100ELNS1_3gpuE3ELNS1_3repE0EEENS1_52radix_sort_onesweep_histogram_config_static_selectorELNS0_4arch9wavefront6targetE1EEEvSC_,@function
_ZN7rocprim17ROCPRIM_400000_NS6detail17trampoline_kernelINS0_14default_configENS1_35radix_sort_onesweep_config_selectorIaNS0_10empty_typeEEEZNS1_34radix_sort_onesweep_global_offsetsIS3_Lb1EPaPS5_mNS0_19identity_decomposerEEE10hipError_tT1_T2_PT3_SE_jT4_jjP12ihipStream_tbEUlT_E_NS1_11comp_targetILNS1_3genE9ELNS1_11target_archE1100ELNS1_3gpuE3ELNS1_3repE0EEENS1_52radix_sort_onesweep_histogram_config_static_selectorELNS0_4arch9wavefront6targetE1EEEvSC_: ; @_ZN7rocprim17ROCPRIM_400000_NS6detail17trampoline_kernelINS0_14default_configENS1_35radix_sort_onesweep_config_selectorIaNS0_10empty_typeEEEZNS1_34radix_sort_onesweep_global_offsetsIS3_Lb1EPaPS5_mNS0_19identity_decomposerEEE10hipError_tT1_T2_PT3_SE_jT4_jjP12ihipStream_tbEUlT_E_NS1_11comp_targetILNS1_3genE9ELNS1_11target_archE1100ELNS1_3gpuE3ELNS1_3repE0EEENS1_52radix_sort_onesweep_histogram_config_static_selectorELNS0_4arch9wavefront6targetE1EEEvSC_
; %bb.0:
	.section	.rodata,"a",@progbits
	.p2align	6, 0x0
	.amdhsa_kernel _ZN7rocprim17ROCPRIM_400000_NS6detail17trampoline_kernelINS0_14default_configENS1_35radix_sort_onesweep_config_selectorIaNS0_10empty_typeEEEZNS1_34radix_sort_onesweep_global_offsetsIS3_Lb1EPaPS5_mNS0_19identity_decomposerEEE10hipError_tT1_T2_PT3_SE_jT4_jjP12ihipStream_tbEUlT_E_NS1_11comp_targetILNS1_3genE9ELNS1_11target_archE1100ELNS1_3gpuE3ELNS1_3repE0EEENS1_52radix_sort_onesweep_histogram_config_static_selectorELNS0_4arch9wavefront6targetE1EEEvSC_
		.amdhsa_group_segment_fixed_size 0
		.amdhsa_private_segment_fixed_size 0
		.amdhsa_kernarg_size 48
		.amdhsa_user_sgpr_count 6
		.amdhsa_user_sgpr_private_segment_buffer 1
		.amdhsa_user_sgpr_dispatch_ptr 0
		.amdhsa_user_sgpr_queue_ptr 0
		.amdhsa_user_sgpr_kernarg_segment_ptr 1
		.amdhsa_user_sgpr_dispatch_id 0
		.amdhsa_user_sgpr_flat_scratch_init 0
		.amdhsa_user_sgpr_kernarg_preload_length 0
		.amdhsa_user_sgpr_kernarg_preload_offset 0
		.amdhsa_user_sgpr_private_segment_size 0
		.amdhsa_uses_dynamic_stack 0
		.amdhsa_system_sgpr_private_segment_wavefront_offset 0
		.amdhsa_system_sgpr_workgroup_id_x 1
		.amdhsa_system_sgpr_workgroup_id_y 0
		.amdhsa_system_sgpr_workgroup_id_z 0
		.amdhsa_system_sgpr_workgroup_info 0
		.amdhsa_system_vgpr_workitem_id 0
		.amdhsa_next_free_vgpr 1
		.amdhsa_next_free_sgpr 0
		.amdhsa_accum_offset 4
		.amdhsa_reserve_vcc 0
		.amdhsa_reserve_flat_scratch 0
		.amdhsa_float_round_mode_32 0
		.amdhsa_float_round_mode_16_64 0
		.amdhsa_float_denorm_mode_32 3
		.amdhsa_float_denorm_mode_16_64 3
		.amdhsa_dx10_clamp 1
		.amdhsa_ieee_mode 1
		.amdhsa_fp16_overflow 0
		.amdhsa_tg_split 0
		.amdhsa_exception_fp_ieee_invalid_op 0
		.amdhsa_exception_fp_denorm_src 0
		.amdhsa_exception_fp_ieee_div_zero 0
		.amdhsa_exception_fp_ieee_overflow 0
		.amdhsa_exception_fp_ieee_underflow 0
		.amdhsa_exception_fp_ieee_inexact 0
		.amdhsa_exception_int_div_zero 0
	.end_amdhsa_kernel
	.section	.text._ZN7rocprim17ROCPRIM_400000_NS6detail17trampoline_kernelINS0_14default_configENS1_35radix_sort_onesweep_config_selectorIaNS0_10empty_typeEEEZNS1_34radix_sort_onesweep_global_offsetsIS3_Lb1EPaPS5_mNS0_19identity_decomposerEEE10hipError_tT1_T2_PT3_SE_jT4_jjP12ihipStream_tbEUlT_E_NS1_11comp_targetILNS1_3genE9ELNS1_11target_archE1100ELNS1_3gpuE3ELNS1_3repE0EEENS1_52radix_sort_onesweep_histogram_config_static_selectorELNS0_4arch9wavefront6targetE1EEEvSC_,"axG",@progbits,_ZN7rocprim17ROCPRIM_400000_NS6detail17trampoline_kernelINS0_14default_configENS1_35radix_sort_onesweep_config_selectorIaNS0_10empty_typeEEEZNS1_34radix_sort_onesweep_global_offsetsIS3_Lb1EPaPS5_mNS0_19identity_decomposerEEE10hipError_tT1_T2_PT3_SE_jT4_jjP12ihipStream_tbEUlT_E_NS1_11comp_targetILNS1_3genE9ELNS1_11target_archE1100ELNS1_3gpuE3ELNS1_3repE0EEENS1_52radix_sort_onesweep_histogram_config_static_selectorELNS0_4arch9wavefront6targetE1EEEvSC_,comdat
.Lfunc_end1629:
	.size	_ZN7rocprim17ROCPRIM_400000_NS6detail17trampoline_kernelINS0_14default_configENS1_35radix_sort_onesweep_config_selectorIaNS0_10empty_typeEEEZNS1_34radix_sort_onesweep_global_offsetsIS3_Lb1EPaPS5_mNS0_19identity_decomposerEEE10hipError_tT1_T2_PT3_SE_jT4_jjP12ihipStream_tbEUlT_E_NS1_11comp_targetILNS1_3genE9ELNS1_11target_archE1100ELNS1_3gpuE3ELNS1_3repE0EEENS1_52radix_sort_onesweep_histogram_config_static_selectorELNS0_4arch9wavefront6targetE1EEEvSC_, .Lfunc_end1629-_ZN7rocprim17ROCPRIM_400000_NS6detail17trampoline_kernelINS0_14default_configENS1_35radix_sort_onesweep_config_selectorIaNS0_10empty_typeEEEZNS1_34radix_sort_onesweep_global_offsetsIS3_Lb1EPaPS5_mNS0_19identity_decomposerEEE10hipError_tT1_T2_PT3_SE_jT4_jjP12ihipStream_tbEUlT_E_NS1_11comp_targetILNS1_3genE9ELNS1_11target_archE1100ELNS1_3gpuE3ELNS1_3repE0EEENS1_52radix_sort_onesweep_histogram_config_static_selectorELNS0_4arch9wavefront6targetE1EEEvSC_
                                        ; -- End function
	.section	.AMDGPU.csdata,"",@progbits
; Kernel info:
; codeLenInByte = 0
; NumSgprs: 4
; NumVgprs: 0
; NumAgprs: 0
; TotalNumVgprs: 0
; ScratchSize: 0
; MemoryBound: 0
; FloatMode: 240
; IeeeMode: 1
; LDSByteSize: 0 bytes/workgroup (compile time only)
; SGPRBlocks: 0
; VGPRBlocks: 0
; NumSGPRsForWavesPerEU: 4
; NumVGPRsForWavesPerEU: 1
; AccumOffset: 4
; Occupancy: 8
; WaveLimiterHint : 0
; COMPUTE_PGM_RSRC2:SCRATCH_EN: 0
; COMPUTE_PGM_RSRC2:USER_SGPR: 6
; COMPUTE_PGM_RSRC2:TRAP_HANDLER: 0
; COMPUTE_PGM_RSRC2:TGID_X_EN: 1
; COMPUTE_PGM_RSRC2:TGID_Y_EN: 0
; COMPUTE_PGM_RSRC2:TGID_Z_EN: 0
; COMPUTE_PGM_RSRC2:TIDIG_COMP_CNT: 0
; COMPUTE_PGM_RSRC3_GFX90A:ACCUM_OFFSET: 0
; COMPUTE_PGM_RSRC3_GFX90A:TG_SPLIT: 0
	.section	.text._ZN7rocprim17ROCPRIM_400000_NS6detail17trampoline_kernelINS0_14default_configENS1_35radix_sort_onesweep_config_selectorIaNS0_10empty_typeEEEZNS1_34radix_sort_onesweep_global_offsetsIS3_Lb1EPaPS5_mNS0_19identity_decomposerEEE10hipError_tT1_T2_PT3_SE_jT4_jjP12ihipStream_tbEUlT_E_NS1_11comp_targetILNS1_3genE8ELNS1_11target_archE1030ELNS1_3gpuE2ELNS1_3repE0EEENS1_52radix_sort_onesweep_histogram_config_static_selectorELNS0_4arch9wavefront6targetE1EEEvSC_,"axG",@progbits,_ZN7rocprim17ROCPRIM_400000_NS6detail17trampoline_kernelINS0_14default_configENS1_35radix_sort_onesweep_config_selectorIaNS0_10empty_typeEEEZNS1_34radix_sort_onesweep_global_offsetsIS3_Lb1EPaPS5_mNS0_19identity_decomposerEEE10hipError_tT1_T2_PT3_SE_jT4_jjP12ihipStream_tbEUlT_E_NS1_11comp_targetILNS1_3genE8ELNS1_11target_archE1030ELNS1_3gpuE2ELNS1_3repE0EEENS1_52radix_sort_onesweep_histogram_config_static_selectorELNS0_4arch9wavefront6targetE1EEEvSC_,comdat
	.protected	_ZN7rocprim17ROCPRIM_400000_NS6detail17trampoline_kernelINS0_14default_configENS1_35radix_sort_onesweep_config_selectorIaNS0_10empty_typeEEEZNS1_34radix_sort_onesweep_global_offsetsIS3_Lb1EPaPS5_mNS0_19identity_decomposerEEE10hipError_tT1_T2_PT3_SE_jT4_jjP12ihipStream_tbEUlT_E_NS1_11comp_targetILNS1_3genE8ELNS1_11target_archE1030ELNS1_3gpuE2ELNS1_3repE0EEENS1_52radix_sort_onesweep_histogram_config_static_selectorELNS0_4arch9wavefront6targetE1EEEvSC_ ; -- Begin function _ZN7rocprim17ROCPRIM_400000_NS6detail17trampoline_kernelINS0_14default_configENS1_35radix_sort_onesweep_config_selectorIaNS0_10empty_typeEEEZNS1_34radix_sort_onesweep_global_offsetsIS3_Lb1EPaPS5_mNS0_19identity_decomposerEEE10hipError_tT1_T2_PT3_SE_jT4_jjP12ihipStream_tbEUlT_E_NS1_11comp_targetILNS1_3genE8ELNS1_11target_archE1030ELNS1_3gpuE2ELNS1_3repE0EEENS1_52radix_sort_onesweep_histogram_config_static_selectorELNS0_4arch9wavefront6targetE1EEEvSC_
	.globl	_ZN7rocprim17ROCPRIM_400000_NS6detail17trampoline_kernelINS0_14default_configENS1_35radix_sort_onesweep_config_selectorIaNS0_10empty_typeEEEZNS1_34radix_sort_onesweep_global_offsetsIS3_Lb1EPaPS5_mNS0_19identity_decomposerEEE10hipError_tT1_T2_PT3_SE_jT4_jjP12ihipStream_tbEUlT_E_NS1_11comp_targetILNS1_3genE8ELNS1_11target_archE1030ELNS1_3gpuE2ELNS1_3repE0EEENS1_52radix_sort_onesweep_histogram_config_static_selectorELNS0_4arch9wavefront6targetE1EEEvSC_
	.p2align	8
	.type	_ZN7rocprim17ROCPRIM_400000_NS6detail17trampoline_kernelINS0_14default_configENS1_35radix_sort_onesweep_config_selectorIaNS0_10empty_typeEEEZNS1_34radix_sort_onesweep_global_offsetsIS3_Lb1EPaPS5_mNS0_19identity_decomposerEEE10hipError_tT1_T2_PT3_SE_jT4_jjP12ihipStream_tbEUlT_E_NS1_11comp_targetILNS1_3genE8ELNS1_11target_archE1030ELNS1_3gpuE2ELNS1_3repE0EEENS1_52radix_sort_onesweep_histogram_config_static_selectorELNS0_4arch9wavefront6targetE1EEEvSC_,@function
_ZN7rocprim17ROCPRIM_400000_NS6detail17trampoline_kernelINS0_14default_configENS1_35radix_sort_onesweep_config_selectorIaNS0_10empty_typeEEEZNS1_34radix_sort_onesweep_global_offsetsIS3_Lb1EPaPS5_mNS0_19identity_decomposerEEE10hipError_tT1_T2_PT3_SE_jT4_jjP12ihipStream_tbEUlT_E_NS1_11comp_targetILNS1_3genE8ELNS1_11target_archE1030ELNS1_3gpuE2ELNS1_3repE0EEENS1_52radix_sort_onesweep_histogram_config_static_selectorELNS0_4arch9wavefront6targetE1EEEvSC_: ; @_ZN7rocprim17ROCPRIM_400000_NS6detail17trampoline_kernelINS0_14default_configENS1_35radix_sort_onesweep_config_selectorIaNS0_10empty_typeEEEZNS1_34radix_sort_onesweep_global_offsetsIS3_Lb1EPaPS5_mNS0_19identity_decomposerEEE10hipError_tT1_T2_PT3_SE_jT4_jjP12ihipStream_tbEUlT_E_NS1_11comp_targetILNS1_3genE8ELNS1_11target_archE1030ELNS1_3gpuE2ELNS1_3repE0EEENS1_52radix_sort_onesweep_histogram_config_static_selectorELNS0_4arch9wavefront6targetE1EEEvSC_
; %bb.0:
	.section	.rodata,"a",@progbits
	.p2align	6, 0x0
	.amdhsa_kernel _ZN7rocprim17ROCPRIM_400000_NS6detail17trampoline_kernelINS0_14default_configENS1_35radix_sort_onesweep_config_selectorIaNS0_10empty_typeEEEZNS1_34radix_sort_onesweep_global_offsetsIS3_Lb1EPaPS5_mNS0_19identity_decomposerEEE10hipError_tT1_T2_PT3_SE_jT4_jjP12ihipStream_tbEUlT_E_NS1_11comp_targetILNS1_3genE8ELNS1_11target_archE1030ELNS1_3gpuE2ELNS1_3repE0EEENS1_52radix_sort_onesweep_histogram_config_static_selectorELNS0_4arch9wavefront6targetE1EEEvSC_
		.amdhsa_group_segment_fixed_size 0
		.amdhsa_private_segment_fixed_size 0
		.amdhsa_kernarg_size 48
		.amdhsa_user_sgpr_count 6
		.amdhsa_user_sgpr_private_segment_buffer 1
		.amdhsa_user_sgpr_dispatch_ptr 0
		.amdhsa_user_sgpr_queue_ptr 0
		.amdhsa_user_sgpr_kernarg_segment_ptr 1
		.amdhsa_user_sgpr_dispatch_id 0
		.amdhsa_user_sgpr_flat_scratch_init 0
		.amdhsa_user_sgpr_kernarg_preload_length 0
		.amdhsa_user_sgpr_kernarg_preload_offset 0
		.amdhsa_user_sgpr_private_segment_size 0
		.amdhsa_uses_dynamic_stack 0
		.amdhsa_system_sgpr_private_segment_wavefront_offset 0
		.amdhsa_system_sgpr_workgroup_id_x 1
		.amdhsa_system_sgpr_workgroup_id_y 0
		.amdhsa_system_sgpr_workgroup_id_z 0
		.amdhsa_system_sgpr_workgroup_info 0
		.amdhsa_system_vgpr_workitem_id 0
		.amdhsa_next_free_vgpr 1
		.amdhsa_next_free_sgpr 0
		.amdhsa_accum_offset 4
		.amdhsa_reserve_vcc 0
		.amdhsa_reserve_flat_scratch 0
		.amdhsa_float_round_mode_32 0
		.amdhsa_float_round_mode_16_64 0
		.amdhsa_float_denorm_mode_32 3
		.amdhsa_float_denorm_mode_16_64 3
		.amdhsa_dx10_clamp 1
		.amdhsa_ieee_mode 1
		.amdhsa_fp16_overflow 0
		.amdhsa_tg_split 0
		.amdhsa_exception_fp_ieee_invalid_op 0
		.amdhsa_exception_fp_denorm_src 0
		.amdhsa_exception_fp_ieee_div_zero 0
		.amdhsa_exception_fp_ieee_overflow 0
		.amdhsa_exception_fp_ieee_underflow 0
		.amdhsa_exception_fp_ieee_inexact 0
		.amdhsa_exception_int_div_zero 0
	.end_amdhsa_kernel
	.section	.text._ZN7rocprim17ROCPRIM_400000_NS6detail17trampoline_kernelINS0_14default_configENS1_35radix_sort_onesweep_config_selectorIaNS0_10empty_typeEEEZNS1_34radix_sort_onesweep_global_offsetsIS3_Lb1EPaPS5_mNS0_19identity_decomposerEEE10hipError_tT1_T2_PT3_SE_jT4_jjP12ihipStream_tbEUlT_E_NS1_11comp_targetILNS1_3genE8ELNS1_11target_archE1030ELNS1_3gpuE2ELNS1_3repE0EEENS1_52radix_sort_onesweep_histogram_config_static_selectorELNS0_4arch9wavefront6targetE1EEEvSC_,"axG",@progbits,_ZN7rocprim17ROCPRIM_400000_NS6detail17trampoline_kernelINS0_14default_configENS1_35radix_sort_onesweep_config_selectorIaNS0_10empty_typeEEEZNS1_34radix_sort_onesweep_global_offsetsIS3_Lb1EPaPS5_mNS0_19identity_decomposerEEE10hipError_tT1_T2_PT3_SE_jT4_jjP12ihipStream_tbEUlT_E_NS1_11comp_targetILNS1_3genE8ELNS1_11target_archE1030ELNS1_3gpuE2ELNS1_3repE0EEENS1_52radix_sort_onesweep_histogram_config_static_selectorELNS0_4arch9wavefront6targetE1EEEvSC_,comdat
.Lfunc_end1630:
	.size	_ZN7rocprim17ROCPRIM_400000_NS6detail17trampoline_kernelINS0_14default_configENS1_35radix_sort_onesweep_config_selectorIaNS0_10empty_typeEEEZNS1_34radix_sort_onesweep_global_offsetsIS3_Lb1EPaPS5_mNS0_19identity_decomposerEEE10hipError_tT1_T2_PT3_SE_jT4_jjP12ihipStream_tbEUlT_E_NS1_11comp_targetILNS1_3genE8ELNS1_11target_archE1030ELNS1_3gpuE2ELNS1_3repE0EEENS1_52radix_sort_onesweep_histogram_config_static_selectorELNS0_4arch9wavefront6targetE1EEEvSC_, .Lfunc_end1630-_ZN7rocprim17ROCPRIM_400000_NS6detail17trampoline_kernelINS0_14default_configENS1_35radix_sort_onesweep_config_selectorIaNS0_10empty_typeEEEZNS1_34radix_sort_onesweep_global_offsetsIS3_Lb1EPaPS5_mNS0_19identity_decomposerEEE10hipError_tT1_T2_PT3_SE_jT4_jjP12ihipStream_tbEUlT_E_NS1_11comp_targetILNS1_3genE8ELNS1_11target_archE1030ELNS1_3gpuE2ELNS1_3repE0EEENS1_52radix_sort_onesweep_histogram_config_static_selectorELNS0_4arch9wavefront6targetE1EEEvSC_
                                        ; -- End function
	.section	.AMDGPU.csdata,"",@progbits
; Kernel info:
; codeLenInByte = 0
; NumSgprs: 4
; NumVgprs: 0
; NumAgprs: 0
; TotalNumVgprs: 0
; ScratchSize: 0
; MemoryBound: 0
; FloatMode: 240
; IeeeMode: 1
; LDSByteSize: 0 bytes/workgroup (compile time only)
; SGPRBlocks: 0
; VGPRBlocks: 0
; NumSGPRsForWavesPerEU: 4
; NumVGPRsForWavesPerEU: 1
; AccumOffset: 4
; Occupancy: 8
; WaveLimiterHint : 0
; COMPUTE_PGM_RSRC2:SCRATCH_EN: 0
; COMPUTE_PGM_RSRC2:USER_SGPR: 6
; COMPUTE_PGM_RSRC2:TRAP_HANDLER: 0
; COMPUTE_PGM_RSRC2:TGID_X_EN: 1
; COMPUTE_PGM_RSRC2:TGID_Y_EN: 0
; COMPUTE_PGM_RSRC2:TGID_Z_EN: 0
; COMPUTE_PGM_RSRC2:TIDIG_COMP_CNT: 0
; COMPUTE_PGM_RSRC3_GFX90A:ACCUM_OFFSET: 0
; COMPUTE_PGM_RSRC3_GFX90A:TG_SPLIT: 0
	.section	.text._ZN7rocprim17ROCPRIM_400000_NS6detail17trampoline_kernelINS0_14default_configENS1_35radix_sort_onesweep_config_selectorIaNS0_10empty_typeEEEZNS1_34radix_sort_onesweep_global_offsetsIS3_Lb1EPaPS5_mNS0_19identity_decomposerEEE10hipError_tT1_T2_PT3_SE_jT4_jjP12ihipStream_tbEUlT_E0_NS1_11comp_targetILNS1_3genE0ELNS1_11target_archE4294967295ELNS1_3gpuE0ELNS1_3repE0EEENS1_52radix_sort_onesweep_histogram_config_static_selectorELNS0_4arch9wavefront6targetE1EEEvSC_,"axG",@progbits,_ZN7rocprim17ROCPRIM_400000_NS6detail17trampoline_kernelINS0_14default_configENS1_35radix_sort_onesweep_config_selectorIaNS0_10empty_typeEEEZNS1_34radix_sort_onesweep_global_offsetsIS3_Lb1EPaPS5_mNS0_19identity_decomposerEEE10hipError_tT1_T2_PT3_SE_jT4_jjP12ihipStream_tbEUlT_E0_NS1_11comp_targetILNS1_3genE0ELNS1_11target_archE4294967295ELNS1_3gpuE0ELNS1_3repE0EEENS1_52radix_sort_onesweep_histogram_config_static_selectorELNS0_4arch9wavefront6targetE1EEEvSC_,comdat
	.protected	_ZN7rocprim17ROCPRIM_400000_NS6detail17trampoline_kernelINS0_14default_configENS1_35radix_sort_onesweep_config_selectorIaNS0_10empty_typeEEEZNS1_34radix_sort_onesweep_global_offsetsIS3_Lb1EPaPS5_mNS0_19identity_decomposerEEE10hipError_tT1_T2_PT3_SE_jT4_jjP12ihipStream_tbEUlT_E0_NS1_11comp_targetILNS1_3genE0ELNS1_11target_archE4294967295ELNS1_3gpuE0ELNS1_3repE0EEENS1_52radix_sort_onesweep_histogram_config_static_selectorELNS0_4arch9wavefront6targetE1EEEvSC_ ; -- Begin function _ZN7rocprim17ROCPRIM_400000_NS6detail17trampoline_kernelINS0_14default_configENS1_35radix_sort_onesweep_config_selectorIaNS0_10empty_typeEEEZNS1_34radix_sort_onesweep_global_offsetsIS3_Lb1EPaPS5_mNS0_19identity_decomposerEEE10hipError_tT1_T2_PT3_SE_jT4_jjP12ihipStream_tbEUlT_E0_NS1_11comp_targetILNS1_3genE0ELNS1_11target_archE4294967295ELNS1_3gpuE0ELNS1_3repE0EEENS1_52radix_sort_onesweep_histogram_config_static_selectorELNS0_4arch9wavefront6targetE1EEEvSC_
	.globl	_ZN7rocprim17ROCPRIM_400000_NS6detail17trampoline_kernelINS0_14default_configENS1_35radix_sort_onesweep_config_selectorIaNS0_10empty_typeEEEZNS1_34radix_sort_onesweep_global_offsetsIS3_Lb1EPaPS5_mNS0_19identity_decomposerEEE10hipError_tT1_T2_PT3_SE_jT4_jjP12ihipStream_tbEUlT_E0_NS1_11comp_targetILNS1_3genE0ELNS1_11target_archE4294967295ELNS1_3gpuE0ELNS1_3repE0EEENS1_52radix_sort_onesweep_histogram_config_static_selectorELNS0_4arch9wavefront6targetE1EEEvSC_
	.p2align	8
	.type	_ZN7rocprim17ROCPRIM_400000_NS6detail17trampoline_kernelINS0_14default_configENS1_35radix_sort_onesweep_config_selectorIaNS0_10empty_typeEEEZNS1_34radix_sort_onesweep_global_offsetsIS3_Lb1EPaPS5_mNS0_19identity_decomposerEEE10hipError_tT1_T2_PT3_SE_jT4_jjP12ihipStream_tbEUlT_E0_NS1_11comp_targetILNS1_3genE0ELNS1_11target_archE4294967295ELNS1_3gpuE0ELNS1_3repE0EEENS1_52radix_sort_onesweep_histogram_config_static_selectorELNS0_4arch9wavefront6targetE1EEEvSC_,@function
_ZN7rocprim17ROCPRIM_400000_NS6detail17trampoline_kernelINS0_14default_configENS1_35radix_sort_onesweep_config_selectorIaNS0_10empty_typeEEEZNS1_34radix_sort_onesweep_global_offsetsIS3_Lb1EPaPS5_mNS0_19identity_decomposerEEE10hipError_tT1_T2_PT3_SE_jT4_jjP12ihipStream_tbEUlT_E0_NS1_11comp_targetILNS1_3genE0ELNS1_11target_archE4294967295ELNS1_3gpuE0ELNS1_3repE0EEENS1_52radix_sort_onesweep_histogram_config_static_selectorELNS0_4arch9wavefront6targetE1EEEvSC_: ; @_ZN7rocprim17ROCPRIM_400000_NS6detail17trampoline_kernelINS0_14default_configENS1_35radix_sort_onesweep_config_selectorIaNS0_10empty_typeEEEZNS1_34radix_sort_onesweep_global_offsetsIS3_Lb1EPaPS5_mNS0_19identity_decomposerEEE10hipError_tT1_T2_PT3_SE_jT4_jjP12ihipStream_tbEUlT_E0_NS1_11comp_targetILNS1_3genE0ELNS1_11target_archE4294967295ELNS1_3gpuE0ELNS1_3repE0EEENS1_52radix_sort_onesweep_histogram_config_static_selectorELNS0_4arch9wavefront6targetE1EEEvSC_
; %bb.0:
	.section	.rodata,"a",@progbits
	.p2align	6, 0x0
	.amdhsa_kernel _ZN7rocprim17ROCPRIM_400000_NS6detail17trampoline_kernelINS0_14default_configENS1_35radix_sort_onesweep_config_selectorIaNS0_10empty_typeEEEZNS1_34radix_sort_onesweep_global_offsetsIS3_Lb1EPaPS5_mNS0_19identity_decomposerEEE10hipError_tT1_T2_PT3_SE_jT4_jjP12ihipStream_tbEUlT_E0_NS1_11comp_targetILNS1_3genE0ELNS1_11target_archE4294967295ELNS1_3gpuE0ELNS1_3repE0EEENS1_52radix_sort_onesweep_histogram_config_static_selectorELNS0_4arch9wavefront6targetE1EEEvSC_
		.amdhsa_group_segment_fixed_size 0
		.amdhsa_private_segment_fixed_size 0
		.amdhsa_kernarg_size 8
		.amdhsa_user_sgpr_count 6
		.amdhsa_user_sgpr_private_segment_buffer 1
		.amdhsa_user_sgpr_dispatch_ptr 0
		.amdhsa_user_sgpr_queue_ptr 0
		.amdhsa_user_sgpr_kernarg_segment_ptr 1
		.amdhsa_user_sgpr_dispatch_id 0
		.amdhsa_user_sgpr_flat_scratch_init 0
		.amdhsa_user_sgpr_kernarg_preload_length 0
		.amdhsa_user_sgpr_kernarg_preload_offset 0
		.amdhsa_user_sgpr_private_segment_size 0
		.amdhsa_uses_dynamic_stack 0
		.amdhsa_system_sgpr_private_segment_wavefront_offset 0
		.amdhsa_system_sgpr_workgroup_id_x 1
		.amdhsa_system_sgpr_workgroup_id_y 0
		.amdhsa_system_sgpr_workgroup_id_z 0
		.amdhsa_system_sgpr_workgroup_info 0
		.amdhsa_system_vgpr_workitem_id 0
		.amdhsa_next_free_vgpr 1
		.amdhsa_next_free_sgpr 0
		.amdhsa_accum_offset 4
		.amdhsa_reserve_vcc 0
		.amdhsa_reserve_flat_scratch 0
		.amdhsa_float_round_mode_32 0
		.amdhsa_float_round_mode_16_64 0
		.amdhsa_float_denorm_mode_32 3
		.amdhsa_float_denorm_mode_16_64 3
		.amdhsa_dx10_clamp 1
		.amdhsa_ieee_mode 1
		.amdhsa_fp16_overflow 0
		.amdhsa_tg_split 0
		.amdhsa_exception_fp_ieee_invalid_op 0
		.amdhsa_exception_fp_denorm_src 0
		.amdhsa_exception_fp_ieee_div_zero 0
		.amdhsa_exception_fp_ieee_overflow 0
		.amdhsa_exception_fp_ieee_underflow 0
		.amdhsa_exception_fp_ieee_inexact 0
		.amdhsa_exception_int_div_zero 0
	.end_amdhsa_kernel
	.section	.text._ZN7rocprim17ROCPRIM_400000_NS6detail17trampoline_kernelINS0_14default_configENS1_35radix_sort_onesweep_config_selectorIaNS0_10empty_typeEEEZNS1_34radix_sort_onesweep_global_offsetsIS3_Lb1EPaPS5_mNS0_19identity_decomposerEEE10hipError_tT1_T2_PT3_SE_jT4_jjP12ihipStream_tbEUlT_E0_NS1_11comp_targetILNS1_3genE0ELNS1_11target_archE4294967295ELNS1_3gpuE0ELNS1_3repE0EEENS1_52radix_sort_onesweep_histogram_config_static_selectorELNS0_4arch9wavefront6targetE1EEEvSC_,"axG",@progbits,_ZN7rocprim17ROCPRIM_400000_NS6detail17trampoline_kernelINS0_14default_configENS1_35radix_sort_onesweep_config_selectorIaNS0_10empty_typeEEEZNS1_34radix_sort_onesweep_global_offsetsIS3_Lb1EPaPS5_mNS0_19identity_decomposerEEE10hipError_tT1_T2_PT3_SE_jT4_jjP12ihipStream_tbEUlT_E0_NS1_11comp_targetILNS1_3genE0ELNS1_11target_archE4294967295ELNS1_3gpuE0ELNS1_3repE0EEENS1_52radix_sort_onesweep_histogram_config_static_selectorELNS0_4arch9wavefront6targetE1EEEvSC_,comdat
.Lfunc_end1631:
	.size	_ZN7rocprim17ROCPRIM_400000_NS6detail17trampoline_kernelINS0_14default_configENS1_35radix_sort_onesweep_config_selectorIaNS0_10empty_typeEEEZNS1_34radix_sort_onesweep_global_offsetsIS3_Lb1EPaPS5_mNS0_19identity_decomposerEEE10hipError_tT1_T2_PT3_SE_jT4_jjP12ihipStream_tbEUlT_E0_NS1_11comp_targetILNS1_3genE0ELNS1_11target_archE4294967295ELNS1_3gpuE0ELNS1_3repE0EEENS1_52radix_sort_onesweep_histogram_config_static_selectorELNS0_4arch9wavefront6targetE1EEEvSC_, .Lfunc_end1631-_ZN7rocprim17ROCPRIM_400000_NS6detail17trampoline_kernelINS0_14default_configENS1_35radix_sort_onesweep_config_selectorIaNS0_10empty_typeEEEZNS1_34radix_sort_onesweep_global_offsetsIS3_Lb1EPaPS5_mNS0_19identity_decomposerEEE10hipError_tT1_T2_PT3_SE_jT4_jjP12ihipStream_tbEUlT_E0_NS1_11comp_targetILNS1_3genE0ELNS1_11target_archE4294967295ELNS1_3gpuE0ELNS1_3repE0EEENS1_52radix_sort_onesweep_histogram_config_static_selectorELNS0_4arch9wavefront6targetE1EEEvSC_
                                        ; -- End function
	.section	.AMDGPU.csdata,"",@progbits
; Kernel info:
; codeLenInByte = 0
; NumSgprs: 4
; NumVgprs: 0
; NumAgprs: 0
; TotalNumVgprs: 0
; ScratchSize: 0
; MemoryBound: 0
; FloatMode: 240
; IeeeMode: 1
; LDSByteSize: 0 bytes/workgroup (compile time only)
; SGPRBlocks: 0
; VGPRBlocks: 0
; NumSGPRsForWavesPerEU: 4
; NumVGPRsForWavesPerEU: 1
; AccumOffset: 4
; Occupancy: 8
; WaveLimiterHint : 0
; COMPUTE_PGM_RSRC2:SCRATCH_EN: 0
; COMPUTE_PGM_RSRC2:USER_SGPR: 6
; COMPUTE_PGM_RSRC2:TRAP_HANDLER: 0
; COMPUTE_PGM_RSRC2:TGID_X_EN: 1
; COMPUTE_PGM_RSRC2:TGID_Y_EN: 0
; COMPUTE_PGM_RSRC2:TGID_Z_EN: 0
; COMPUTE_PGM_RSRC2:TIDIG_COMP_CNT: 0
; COMPUTE_PGM_RSRC3_GFX90A:ACCUM_OFFSET: 0
; COMPUTE_PGM_RSRC3_GFX90A:TG_SPLIT: 0
	.section	.text._ZN7rocprim17ROCPRIM_400000_NS6detail17trampoline_kernelINS0_14default_configENS1_35radix_sort_onesweep_config_selectorIaNS0_10empty_typeEEEZNS1_34radix_sort_onesweep_global_offsetsIS3_Lb1EPaPS5_mNS0_19identity_decomposerEEE10hipError_tT1_T2_PT3_SE_jT4_jjP12ihipStream_tbEUlT_E0_NS1_11comp_targetILNS1_3genE6ELNS1_11target_archE950ELNS1_3gpuE13ELNS1_3repE0EEENS1_52radix_sort_onesweep_histogram_config_static_selectorELNS0_4arch9wavefront6targetE1EEEvSC_,"axG",@progbits,_ZN7rocprim17ROCPRIM_400000_NS6detail17trampoline_kernelINS0_14default_configENS1_35radix_sort_onesweep_config_selectorIaNS0_10empty_typeEEEZNS1_34radix_sort_onesweep_global_offsetsIS3_Lb1EPaPS5_mNS0_19identity_decomposerEEE10hipError_tT1_T2_PT3_SE_jT4_jjP12ihipStream_tbEUlT_E0_NS1_11comp_targetILNS1_3genE6ELNS1_11target_archE950ELNS1_3gpuE13ELNS1_3repE0EEENS1_52radix_sort_onesweep_histogram_config_static_selectorELNS0_4arch9wavefront6targetE1EEEvSC_,comdat
	.protected	_ZN7rocprim17ROCPRIM_400000_NS6detail17trampoline_kernelINS0_14default_configENS1_35radix_sort_onesweep_config_selectorIaNS0_10empty_typeEEEZNS1_34radix_sort_onesweep_global_offsetsIS3_Lb1EPaPS5_mNS0_19identity_decomposerEEE10hipError_tT1_T2_PT3_SE_jT4_jjP12ihipStream_tbEUlT_E0_NS1_11comp_targetILNS1_3genE6ELNS1_11target_archE950ELNS1_3gpuE13ELNS1_3repE0EEENS1_52radix_sort_onesweep_histogram_config_static_selectorELNS0_4arch9wavefront6targetE1EEEvSC_ ; -- Begin function _ZN7rocprim17ROCPRIM_400000_NS6detail17trampoline_kernelINS0_14default_configENS1_35radix_sort_onesweep_config_selectorIaNS0_10empty_typeEEEZNS1_34radix_sort_onesweep_global_offsetsIS3_Lb1EPaPS5_mNS0_19identity_decomposerEEE10hipError_tT1_T2_PT3_SE_jT4_jjP12ihipStream_tbEUlT_E0_NS1_11comp_targetILNS1_3genE6ELNS1_11target_archE950ELNS1_3gpuE13ELNS1_3repE0EEENS1_52radix_sort_onesweep_histogram_config_static_selectorELNS0_4arch9wavefront6targetE1EEEvSC_
	.globl	_ZN7rocprim17ROCPRIM_400000_NS6detail17trampoline_kernelINS0_14default_configENS1_35radix_sort_onesweep_config_selectorIaNS0_10empty_typeEEEZNS1_34radix_sort_onesweep_global_offsetsIS3_Lb1EPaPS5_mNS0_19identity_decomposerEEE10hipError_tT1_T2_PT3_SE_jT4_jjP12ihipStream_tbEUlT_E0_NS1_11comp_targetILNS1_3genE6ELNS1_11target_archE950ELNS1_3gpuE13ELNS1_3repE0EEENS1_52radix_sort_onesweep_histogram_config_static_selectorELNS0_4arch9wavefront6targetE1EEEvSC_
	.p2align	8
	.type	_ZN7rocprim17ROCPRIM_400000_NS6detail17trampoline_kernelINS0_14default_configENS1_35radix_sort_onesweep_config_selectorIaNS0_10empty_typeEEEZNS1_34radix_sort_onesweep_global_offsetsIS3_Lb1EPaPS5_mNS0_19identity_decomposerEEE10hipError_tT1_T2_PT3_SE_jT4_jjP12ihipStream_tbEUlT_E0_NS1_11comp_targetILNS1_3genE6ELNS1_11target_archE950ELNS1_3gpuE13ELNS1_3repE0EEENS1_52radix_sort_onesweep_histogram_config_static_selectorELNS0_4arch9wavefront6targetE1EEEvSC_,@function
_ZN7rocprim17ROCPRIM_400000_NS6detail17trampoline_kernelINS0_14default_configENS1_35radix_sort_onesweep_config_selectorIaNS0_10empty_typeEEEZNS1_34radix_sort_onesweep_global_offsetsIS3_Lb1EPaPS5_mNS0_19identity_decomposerEEE10hipError_tT1_T2_PT3_SE_jT4_jjP12ihipStream_tbEUlT_E0_NS1_11comp_targetILNS1_3genE6ELNS1_11target_archE950ELNS1_3gpuE13ELNS1_3repE0EEENS1_52radix_sort_onesweep_histogram_config_static_selectorELNS0_4arch9wavefront6targetE1EEEvSC_: ; @_ZN7rocprim17ROCPRIM_400000_NS6detail17trampoline_kernelINS0_14default_configENS1_35radix_sort_onesweep_config_selectorIaNS0_10empty_typeEEEZNS1_34radix_sort_onesweep_global_offsetsIS3_Lb1EPaPS5_mNS0_19identity_decomposerEEE10hipError_tT1_T2_PT3_SE_jT4_jjP12ihipStream_tbEUlT_E0_NS1_11comp_targetILNS1_3genE6ELNS1_11target_archE950ELNS1_3gpuE13ELNS1_3repE0EEENS1_52radix_sort_onesweep_histogram_config_static_selectorELNS0_4arch9wavefront6targetE1EEEvSC_
; %bb.0:
	.section	.rodata,"a",@progbits
	.p2align	6, 0x0
	.amdhsa_kernel _ZN7rocprim17ROCPRIM_400000_NS6detail17trampoline_kernelINS0_14default_configENS1_35radix_sort_onesweep_config_selectorIaNS0_10empty_typeEEEZNS1_34radix_sort_onesweep_global_offsetsIS3_Lb1EPaPS5_mNS0_19identity_decomposerEEE10hipError_tT1_T2_PT3_SE_jT4_jjP12ihipStream_tbEUlT_E0_NS1_11comp_targetILNS1_3genE6ELNS1_11target_archE950ELNS1_3gpuE13ELNS1_3repE0EEENS1_52radix_sort_onesweep_histogram_config_static_selectorELNS0_4arch9wavefront6targetE1EEEvSC_
		.amdhsa_group_segment_fixed_size 0
		.amdhsa_private_segment_fixed_size 0
		.amdhsa_kernarg_size 8
		.amdhsa_user_sgpr_count 6
		.amdhsa_user_sgpr_private_segment_buffer 1
		.amdhsa_user_sgpr_dispatch_ptr 0
		.amdhsa_user_sgpr_queue_ptr 0
		.amdhsa_user_sgpr_kernarg_segment_ptr 1
		.amdhsa_user_sgpr_dispatch_id 0
		.amdhsa_user_sgpr_flat_scratch_init 0
		.amdhsa_user_sgpr_kernarg_preload_length 0
		.amdhsa_user_sgpr_kernarg_preload_offset 0
		.amdhsa_user_sgpr_private_segment_size 0
		.amdhsa_uses_dynamic_stack 0
		.amdhsa_system_sgpr_private_segment_wavefront_offset 0
		.amdhsa_system_sgpr_workgroup_id_x 1
		.amdhsa_system_sgpr_workgroup_id_y 0
		.amdhsa_system_sgpr_workgroup_id_z 0
		.amdhsa_system_sgpr_workgroup_info 0
		.amdhsa_system_vgpr_workitem_id 0
		.amdhsa_next_free_vgpr 1
		.amdhsa_next_free_sgpr 0
		.amdhsa_accum_offset 4
		.amdhsa_reserve_vcc 0
		.amdhsa_reserve_flat_scratch 0
		.amdhsa_float_round_mode_32 0
		.amdhsa_float_round_mode_16_64 0
		.amdhsa_float_denorm_mode_32 3
		.amdhsa_float_denorm_mode_16_64 3
		.amdhsa_dx10_clamp 1
		.amdhsa_ieee_mode 1
		.amdhsa_fp16_overflow 0
		.amdhsa_tg_split 0
		.amdhsa_exception_fp_ieee_invalid_op 0
		.amdhsa_exception_fp_denorm_src 0
		.amdhsa_exception_fp_ieee_div_zero 0
		.amdhsa_exception_fp_ieee_overflow 0
		.amdhsa_exception_fp_ieee_underflow 0
		.amdhsa_exception_fp_ieee_inexact 0
		.amdhsa_exception_int_div_zero 0
	.end_amdhsa_kernel
	.section	.text._ZN7rocprim17ROCPRIM_400000_NS6detail17trampoline_kernelINS0_14default_configENS1_35radix_sort_onesweep_config_selectorIaNS0_10empty_typeEEEZNS1_34radix_sort_onesweep_global_offsetsIS3_Lb1EPaPS5_mNS0_19identity_decomposerEEE10hipError_tT1_T2_PT3_SE_jT4_jjP12ihipStream_tbEUlT_E0_NS1_11comp_targetILNS1_3genE6ELNS1_11target_archE950ELNS1_3gpuE13ELNS1_3repE0EEENS1_52radix_sort_onesweep_histogram_config_static_selectorELNS0_4arch9wavefront6targetE1EEEvSC_,"axG",@progbits,_ZN7rocprim17ROCPRIM_400000_NS6detail17trampoline_kernelINS0_14default_configENS1_35radix_sort_onesweep_config_selectorIaNS0_10empty_typeEEEZNS1_34radix_sort_onesweep_global_offsetsIS3_Lb1EPaPS5_mNS0_19identity_decomposerEEE10hipError_tT1_T2_PT3_SE_jT4_jjP12ihipStream_tbEUlT_E0_NS1_11comp_targetILNS1_3genE6ELNS1_11target_archE950ELNS1_3gpuE13ELNS1_3repE0EEENS1_52radix_sort_onesweep_histogram_config_static_selectorELNS0_4arch9wavefront6targetE1EEEvSC_,comdat
.Lfunc_end1632:
	.size	_ZN7rocprim17ROCPRIM_400000_NS6detail17trampoline_kernelINS0_14default_configENS1_35radix_sort_onesweep_config_selectorIaNS0_10empty_typeEEEZNS1_34radix_sort_onesweep_global_offsetsIS3_Lb1EPaPS5_mNS0_19identity_decomposerEEE10hipError_tT1_T2_PT3_SE_jT4_jjP12ihipStream_tbEUlT_E0_NS1_11comp_targetILNS1_3genE6ELNS1_11target_archE950ELNS1_3gpuE13ELNS1_3repE0EEENS1_52radix_sort_onesweep_histogram_config_static_selectorELNS0_4arch9wavefront6targetE1EEEvSC_, .Lfunc_end1632-_ZN7rocprim17ROCPRIM_400000_NS6detail17trampoline_kernelINS0_14default_configENS1_35radix_sort_onesweep_config_selectorIaNS0_10empty_typeEEEZNS1_34radix_sort_onesweep_global_offsetsIS3_Lb1EPaPS5_mNS0_19identity_decomposerEEE10hipError_tT1_T2_PT3_SE_jT4_jjP12ihipStream_tbEUlT_E0_NS1_11comp_targetILNS1_3genE6ELNS1_11target_archE950ELNS1_3gpuE13ELNS1_3repE0EEENS1_52radix_sort_onesweep_histogram_config_static_selectorELNS0_4arch9wavefront6targetE1EEEvSC_
                                        ; -- End function
	.section	.AMDGPU.csdata,"",@progbits
; Kernel info:
; codeLenInByte = 0
; NumSgprs: 4
; NumVgprs: 0
; NumAgprs: 0
; TotalNumVgprs: 0
; ScratchSize: 0
; MemoryBound: 0
; FloatMode: 240
; IeeeMode: 1
; LDSByteSize: 0 bytes/workgroup (compile time only)
; SGPRBlocks: 0
; VGPRBlocks: 0
; NumSGPRsForWavesPerEU: 4
; NumVGPRsForWavesPerEU: 1
; AccumOffset: 4
; Occupancy: 8
; WaveLimiterHint : 0
; COMPUTE_PGM_RSRC2:SCRATCH_EN: 0
; COMPUTE_PGM_RSRC2:USER_SGPR: 6
; COMPUTE_PGM_RSRC2:TRAP_HANDLER: 0
; COMPUTE_PGM_RSRC2:TGID_X_EN: 1
; COMPUTE_PGM_RSRC2:TGID_Y_EN: 0
; COMPUTE_PGM_RSRC2:TGID_Z_EN: 0
; COMPUTE_PGM_RSRC2:TIDIG_COMP_CNT: 0
; COMPUTE_PGM_RSRC3_GFX90A:ACCUM_OFFSET: 0
; COMPUTE_PGM_RSRC3_GFX90A:TG_SPLIT: 0
	.section	.text._ZN7rocprim17ROCPRIM_400000_NS6detail17trampoline_kernelINS0_14default_configENS1_35radix_sort_onesweep_config_selectorIaNS0_10empty_typeEEEZNS1_34radix_sort_onesweep_global_offsetsIS3_Lb1EPaPS5_mNS0_19identity_decomposerEEE10hipError_tT1_T2_PT3_SE_jT4_jjP12ihipStream_tbEUlT_E0_NS1_11comp_targetILNS1_3genE5ELNS1_11target_archE942ELNS1_3gpuE9ELNS1_3repE0EEENS1_52radix_sort_onesweep_histogram_config_static_selectorELNS0_4arch9wavefront6targetE1EEEvSC_,"axG",@progbits,_ZN7rocprim17ROCPRIM_400000_NS6detail17trampoline_kernelINS0_14default_configENS1_35radix_sort_onesweep_config_selectorIaNS0_10empty_typeEEEZNS1_34radix_sort_onesweep_global_offsetsIS3_Lb1EPaPS5_mNS0_19identity_decomposerEEE10hipError_tT1_T2_PT3_SE_jT4_jjP12ihipStream_tbEUlT_E0_NS1_11comp_targetILNS1_3genE5ELNS1_11target_archE942ELNS1_3gpuE9ELNS1_3repE0EEENS1_52radix_sort_onesweep_histogram_config_static_selectorELNS0_4arch9wavefront6targetE1EEEvSC_,comdat
	.protected	_ZN7rocprim17ROCPRIM_400000_NS6detail17trampoline_kernelINS0_14default_configENS1_35radix_sort_onesweep_config_selectorIaNS0_10empty_typeEEEZNS1_34radix_sort_onesweep_global_offsetsIS3_Lb1EPaPS5_mNS0_19identity_decomposerEEE10hipError_tT1_T2_PT3_SE_jT4_jjP12ihipStream_tbEUlT_E0_NS1_11comp_targetILNS1_3genE5ELNS1_11target_archE942ELNS1_3gpuE9ELNS1_3repE0EEENS1_52radix_sort_onesweep_histogram_config_static_selectorELNS0_4arch9wavefront6targetE1EEEvSC_ ; -- Begin function _ZN7rocprim17ROCPRIM_400000_NS6detail17trampoline_kernelINS0_14default_configENS1_35radix_sort_onesweep_config_selectorIaNS0_10empty_typeEEEZNS1_34radix_sort_onesweep_global_offsetsIS3_Lb1EPaPS5_mNS0_19identity_decomposerEEE10hipError_tT1_T2_PT3_SE_jT4_jjP12ihipStream_tbEUlT_E0_NS1_11comp_targetILNS1_3genE5ELNS1_11target_archE942ELNS1_3gpuE9ELNS1_3repE0EEENS1_52radix_sort_onesweep_histogram_config_static_selectorELNS0_4arch9wavefront6targetE1EEEvSC_
	.globl	_ZN7rocprim17ROCPRIM_400000_NS6detail17trampoline_kernelINS0_14default_configENS1_35radix_sort_onesweep_config_selectorIaNS0_10empty_typeEEEZNS1_34radix_sort_onesweep_global_offsetsIS3_Lb1EPaPS5_mNS0_19identity_decomposerEEE10hipError_tT1_T2_PT3_SE_jT4_jjP12ihipStream_tbEUlT_E0_NS1_11comp_targetILNS1_3genE5ELNS1_11target_archE942ELNS1_3gpuE9ELNS1_3repE0EEENS1_52radix_sort_onesweep_histogram_config_static_selectorELNS0_4arch9wavefront6targetE1EEEvSC_
	.p2align	8
	.type	_ZN7rocprim17ROCPRIM_400000_NS6detail17trampoline_kernelINS0_14default_configENS1_35radix_sort_onesweep_config_selectorIaNS0_10empty_typeEEEZNS1_34radix_sort_onesweep_global_offsetsIS3_Lb1EPaPS5_mNS0_19identity_decomposerEEE10hipError_tT1_T2_PT3_SE_jT4_jjP12ihipStream_tbEUlT_E0_NS1_11comp_targetILNS1_3genE5ELNS1_11target_archE942ELNS1_3gpuE9ELNS1_3repE0EEENS1_52radix_sort_onesweep_histogram_config_static_selectorELNS0_4arch9wavefront6targetE1EEEvSC_,@function
_ZN7rocprim17ROCPRIM_400000_NS6detail17trampoline_kernelINS0_14default_configENS1_35radix_sort_onesweep_config_selectorIaNS0_10empty_typeEEEZNS1_34radix_sort_onesweep_global_offsetsIS3_Lb1EPaPS5_mNS0_19identity_decomposerEEE10hipError_tT1_T2_PT3_SE_jT4_jjP12ihipStream_tbEUlT_E0_NS1_11comp_targetILNS1_3genE5ELNS1_11target_archE942ELNS1_3gpuE9ELNS1_3repE0EEENS1_52radix_sort_onesweep_histogram_config_static_selectorELNS0_4arch9wavefront6targetE1EEEvSC_: ; @_ZN7rocprim17ROCPRIM_400000_NS6detail17trampoline_kernelINS0_14default_configENS1_35radix_sort_onesweep_config_selectorIaNS0_10empty_typeEEEZNS1_34radix_sort_onesweep_global_offsetsIS3_Lb1EPaPS5_mNS0_19identity_decomposerEEE10hipError_tT1_T2_PT3_SE_jT4_jjP12ihipStream_tbEUlT_E0_NS1_11comp_targetILNS1_3genE5ELNS1_11target_archE942ELNS1_3gpuE9ELNS1_3repE0EEENS1_52radix_sort_onesweep_histogram_config_static_selectorELNS0_4arch9wavefront6targetE1EEEvSC_
; %bb.0:
	.section	.rodata,"a",@progbits
	.p2align	6, 0x0
	.amdhsa_kernel _ZN7rocprim17ROCPRIM_400000_NS6detail17trampoline_kernelINS0_14default_configENS1_35radix_sort_onesweep_config_selectorIaNS0_10empty_typeEEEZNS1_34radix_sort_onesweep_global_offsetsIS3_Lb1EPaPS5_mNS0_19identity_decomposerEEE10hipError_tT1_T2_PT3_SE_jT4_jjP12ihipStream_tbEUlT_E0_NS1_11comp_targetILNS1_3genE5ELNS1_11target_archE942ELNS1_3gpuE9ELNS1_3repE0EEENS1_52radix_sort_onesweep_histogram_config_static_selectorELNS0_4arch9wavefront6targetE1EEEvSC_
		.amdhsa_group_segment_fixed_size 0
		.amdhsa_private_segment_fixed_size 0
		.amdhsa_kernarg_size 8
		.amdhsa_user_sgpr_count 6
		.amdhsa_user_sgpr_private_segment_buffer 1
		.amdhsa_user_sgpr_dispatch_ptr 0
		.amdhsa_user_sgpr_queue_ptr 0
		.amdhsa_user_sgpr_kernarg_segment_ptr 1
		.amdhsa_user_sgpr_dispatch_id 0
		.amdhsa_user_sgpr_flat_scratch_init 0
		.amdhsa_user_sgpr_kernarg_preload_length 0
		.amdhsa_user_sgpr_kernarg_preload_offset 0
		.amdhsa_user_sgpr_private_segment_size 0
		.amdhsa_uses_dynamic_stack 0
		.amdhsa_system_sgpr_private_segment_wavefront_offset 0
		.amdhsa_system_sgpr_workgroup_id_x 1
		.amdhsa_system_sgpr_workgroup_id_y 0
		.amdhsa_system_sgpr_workgroup_id_z 0
		.amdhsa_system_sgpr_workgroup_info 0
		.amdhsa_system_vgpr_workitem_id 0
		.amdhsa_next_free_vgpr 1
		.amdhsa_next_free_sgpr 0
		.amdhsa_accum_offset 4
		.amdhsa_reserve_vcc 0
		.amdhsa_reserve_flat_scratch 0
		.amdhsa_float_round_mode_32 0
		.amdhsa_float_round_mode_16_64 0
		.amdhsa_float_denorm_mode_32 3
		.amdhsa_float_denorm_mode_16_64 3
		.amdhsa_dx10_clamp 1
		.amdhsa_ieee_mode 1
		.amdhsa_fp16_overflow 0
		.amdhsa_tg_split 0
		.amdhsa_exception_fp_ieee_invalid_op 0
		.amdhsa_exception_fp_denorm_src 0
		.amdhsa_exception_fp_ieee_div_zero 0
		.amdhsa_exception_fp_ieee_overflow 0
		.amdhsa_exception_fp_ieee_underflow 0
		.amdhsa_exception_fp_ieee_inexact 0
		.amdhsa_exception_int_div_zero 0
	.end_amdhsa_kernel
	.section	.text._ZN7rocprim17ROCPRIM_400000_NS6detail17trampoline_kernelINS0_14default_configENS1_35radix_sort_onesweep_config_selectorIaNS0_10empty_typeEEEZNS1_34radix_sort_onesweep_global_offsetsIS3_Lb1EPaPS5_mNS0_19identity_decomposerEEE10hipError_tT1_T2_PT3_SE_jT4_jjP12ihipStream_tbEUlT_E0_NS1_11comp_targetILNS1_3genE5ELNS1_11target_archE942ELNS1_3gpuE9ELNS1_3repE0EEENS1_52radix_sort_onesweep_histogram_config_static_selectorELNS0_4arch9wavefront6targetE1EEEvSC_,"axG",@progbits,_ZN7rocprim17ROCPRIM_400000_NS6detail17trampoline_kernelINS0_14default_configENS1_35radix_sort_onesweep_config_selectorIaNS0_10empty_typeEEEZNS1_34radix_sort_onesweep_global_offsetsIS3_Lb1EPaPS5_mNS0_19identity_decomposerEEE10hipError_tT1_T2_PT3_SE_jT4_jjP12ihipStream_tbEUlT_E0_NS1_11comp_targetILNS1_3genE5ELNS1_11target_archE942ELNS1_3gpuE9ELNS1_3repE0EEENS1_52radix_sort_onesweep_histogram_config_static_selectorELNS0_4arch9wavefront6targetE1EEEvSC_,comdat
.Lfunc_end1633:
	.size	_ZN7rocprim17ROCPRIM_400000_NS6detail17trampoline_kernelINS0_14default_configENS1_35radix_sort_onesweep_config_selectorIaNS0_10empty_typeEEEZNS1_34radix_sort_onesweep_global_offsetsIS3_Lb1EPaPS5_mNS0_19identity_decomposerEEE10hipError_tT1_T2_PT3_SE_jT4_jjP12ihipStream_tbEUlT_E0_NS1_11comp_targetILNS1_3genE5ELNS1_11target_archE942ELNS1_3gpuE9ELNS1_3repE0EEENS1_52radix_sort_onesweep_histogram_config_static_selectorELNS0_4arch9wavefront6targetE1EEEvSC_, .Lfunc_end1633-_ZN7rocprim17ROCPRIM_400000_NS6detail17trampoline_kernelINS0_14default_configENS1_35radix_sort_onesweep_config_selectorIaNS0_10empty_typeEEEZNS1_34radix_sort_onesweep_global_offsetsIS3_Lb1EPaPS5_mNS0_19identity_decomposerEEE10hipError_tT1_T2_PT3_SE_jT4_jjP12ihipStream_tbEUlT_E0_NS1_11comp_targetILNS1_3genE5ELNS1_11target_archE942ELNS1_3gpuE9ELNS1_3repE0EEENS1_52radix_sort_onesweep_histogram_config_static_selectorELNS0_4arch9wavefront6targetE1EEEvSC_
                                        ; -- End function
	.section	.AMDGPU.csdata,"",@progbits
; Kernel info:
; codeLenInByte = 0
; NumSgprs: 4
; NumVgprs: 0
; NumAgprs: 0
; TotalNumVgprs: 0
; ScratchSize: 0
; MemoryBound: 0
; FloatMode: 240
; IeeeMode: 1
; LDSByteSize: 0 bytes/workgroup (compile time only)
; SGPRBlocks: 0
; VGPRBlocks: 0
; NumSGPRsForWavesPerEU: 4
; NumVGPRsForWavesPerEU: 1
; AccumOffset: 4
; Occupancy: 8
; WaveLimiterHint : 0
; COMPUTE_PGM_RSRC2:SCRATCH_EN: 0
; COMPUTE_PGM_RSRC2:USER_SGPR: 6
; COMPUTE_PGM_RSRC2:TRAP_HANDLER: 0
; COMPUTE_PGM_RSRC2:TGID_X_EN: 1
; COMPUTE_PGM_RSRC2:TGID_Y_EN: 0
; COMPUTE_PGM_RSRC2:TGID_Z_EN: 0
; COMPUTE_PGM_RSRC2:TIDIG_COMP_CNT: 0
; COMPUTE_PGM_RSRC3_GFX90A:ACCUM_OFFSET: 0
; COMPUTE_PGM_RSRC3_GFX90A:TG_SPLIT: 0
	.section	.text._ZN7rocprim17ROCPRIM_400000_NS6detail17trampoline_kernelINS0_14default_configENS1_35radix_sort_onesweep_config_selectorIaNS0_10empty_typeEEEZNS1_34radix_sort_onesweep_global_offsetsIS3_Lb1EPaPS5_mNS0_19identity_decomposerEEE10hipError_tT1_T2_PT3_SE_jT4_jjP12ihipStream_tbEUlT_E0_NS1_11comp_targetILNS1_3genE2ELNS1_11target_archE906ELNS1_3gpuE6ELNS1_3repE0EEENS1_52radix_sort_onesweep_histogram_config_static_selectorELNS0_4arch9wavefront6targetE1EEEvSC_,"axG",@progbits,_ZN7rocprim17ROCPRIM_400000_NS6detail17trampoline_kernelINS0_14default_configENS1_35radix_sort_onesweep_config_selectorIaNS0_10empty_typeEEEZNS1_34radix_sort_onesweep_global_offsetsIS3_Lb1EPaPS5_mNS0_19identity_decomposerEEE10hipError_tT1_T2_PT3_SE_jT4_jjP12ihipStream_tbEUlT_E0_NS1_11comp_targetILNS1_3genE2ELNS1_11target_archE906ELNS1_3gpuE6ELNS1_3repE0EEENS1_52radix_sort_onesweep_histogram_config_static_selectorELNS0_4arch9wavefront6targetE1EEEvSC_,comdat
	.protected	_ZN7rocprim17ROCPRIM_400000_NS6detail17trampoline_kernelINS0_14default_configENS1_35radix_sort_onesweep_config_selectorIaNS0_10empty_typeEEEZNS1_34radix_sort_onesweep_global_offsetsIS3_Lb1EPaPS5_mNS0_19identity_decomposerEEE10hipError_tT1_T2_PT3_SE_jT4_jjP12ihipStream_tbEUlT_E0_NS1_11comp_targetILNS1_3genE2ELNS1_11target_archE906ELNS1_3gpuE6ELNS1_3repE0EEENS1_52radix_sort_onesweep_histogram_config_static_selectorELNS0_4arch9wavefront6targetE1EEEvSC_ ; -- Begin function _ZN7rocprim17ROCPRIM_400000_NS6detail17trampoline_kernelINS0_14default_configENS1_35radix_sort_onesweep_config_selectorIaNS0_10empty_typeEEEZNS1_34radix_sort_onesweep_global_offsetsIS3_Lb1EPaPS5_mNS0_19identity_decomposerEEE10hipError_tT1_T2_PT3_SE_jT4_jjP12ihipStream_tbEUlT_E0_NS1_11comp_targetILNS1_3genE2ELNS1_11target_archE906ELNS1_3gpuE6ELNS1_3repE0EEENS1_52radix_sort_onesweep_histogram_config_static_selectorELNS0_4arch9wavefront6targetE1EEEvSC_
	.globl	_ZN7rocprim17ROCPRIM_400000_NS6detail17trampoline_kernelINS0_14default_configENS1_35radix_sort_onesweep_config_selectorIaNS0_10empty_typeEEEZNS1_34radix_sort_onesweep_global_offsetsIS3_Lb1EPaPS5_mNS0_19identity_decomposerEEE10hipError_tT1_T2_PT3_SE_jT4_jjP12ihipStream_tbEUlT_E0_NS1_11comp_targetILNS1_3genE2ELNS1_11target_archE906ELNS1_3gpuE6ELNS1_3repE0EEENS1_52radix_sort_onesweep_histogram_config_static_selectorELNS0_4arch9wavefront6targetE1EEEvSC_
	.p2align	8
	.type	_ZN7rocprim17ROCPRIM_400000_NS6detail17trampoline_kernelINS0_14default_configENS1_35radix_sort_onesweep_config_selectorIaNS0_10empty_typeEEEZNS1_34radix_sort_onesweep_global_offsetsIS3_Lb1EPaPS5_mNS0_19identity_decomposerEEE10hipError_tT1_T2_PT3_SE_jT4_jjP12ihipStream_tbEUlT_E0_NS1_11comp_targetILNS1_3genE2ELNS1_11target_archE906ELNS1_3gpuE6ELNS1_3repE0EEENS1_52radix_sort_onesweep_histogram_config_static_selectorELNS0_4arch9wavefront6targetE1EEEvSC_,@function
_ZN7rocprim17ROCPRIM_400000_NS6detail17trampoline_kernelINS0_14default_configENS1_35radix_sort_onesweep_config_selectorIaNS0_10empty_typeEEEZNS1_34radix_sort_onesweep_global_offsetsIS3_Lb1EPaPS5_mNS0_19identity_decomposerEEE10hipError_tT1_T2_PT3_SE_jT4_jjP12ihipStream_tbEUlT_E0_NS1_11comp_targetILNS1_3genE2ELNS1_11target_archE906ELNS1_3gpuE6ELNS1_3repE0EEENS1_52radix_sort_onesweep_histogram_config_static_selectorELNS0_4arch9wavefront6targetE1EEEvSC_: ; @_ZN7rocprim17ROCPRIM_400000_NS6detail17trampoline_kernelINS0_14default_configENS1_35radix_sort_onesweep_config_selectorIaNS0_10empty_typeEEEZNS1_34radix_sort_onesweep_global_offsetsIS3_Lb1EPaPS5_mNS0_19identity_decomposerEEE10hipError_tT1_T2_PT3_SE_jT4_jjP12ihipStream_tbEUlT_E0_NS1_11comp_targetILNS1_3genE2ELNS1_11target_archE906ELNS1_3gpuE6ELNS1_3repE0EEENS1_52radix_sort_onesweep_histogram_config_static_selectorELNS0_4arch9wavefront6targetE1EEEvSC_
; %bb.0:
	.section	.rodata,"a",@progbits
	.p2align	6, 0x0
	.amdhsa_kernel _ZN7rocprim17ROCPRIM_400000_NS6detail17trampoline_kernelINS0_14default_configENS1_35radix_sort_onesweep_config_selectorIaNS0_10empty_typeEEEZNS1_34radix_sort_onesweep_global_offsetsIS3_Lb1EPaPS5_mNS0_19identity_decomposerEEE10hipError_tT1_T2_PT3_SE_jT4_jjP12ihipStream_tbEUlT_E0_NS1_11comp_targetILNS1_3genE2ELNS1_11target_archE906ELNS1_3gpuE6ELNS1_3repE0EEENS1_52radix_sort_onesweep_histogram_config_static_selectorELNS0_4arch9wavefront6targetE1EEEvSC_
		.amdhsa_group_segment_fixed_size 0
		.amdhsa_private_segment_fixed_size 0
		.amdhsa_kernarg_size 8
		.amdhsa_user_sgpr_count 6
		.amdhsa_user_sgpr_private_segment_buffer 1
		.amdhsa_user_sgpr_dispatch_ptr 0
		.amdhsa_user_sgpr_queue_ptr 0
		.amdhsa_user_sgpr_kernarg_segment_ptr 1
		.amdhsa_user_sgpr_dispatch_id 0
		.amdhsa_user_sgpr_flat_scratch_init 0
		.amdhsa_user_sgpr_kernarg_preload_length 0
		.amdhsa_user_sgpr_kernarg_preload_offset 0
		.amdhsa_user_sgpr_private_segment_size 0
		.amdhsa_uses_dynamic_stack 0
		.amdhsa_system_sgpr_private_segment_wavefront_offset 0
		.amdhsa_system_sgpr_workgroup_id_x 1
		.amdhsa_system_sgpr_workgroup_id_y 0
		.amdhsa_system_sgpr_workgroup_id_z 0
		.amdhsa_system_sgpr_workgroup_info 0
		.amdhsa_system_vgpr_workitem_id 0
		.amdhsa_next_free_vgpr 1
		.amdhsa_next_free_sgpr 0
		.amdhsa_accum_offset 4
		.amdhsa_reserve_vcc 0
		.amdhsa_reserve_flat_scratch 0
		.amdhsa_float_round_mode_32 0
		.amdhsa_float_round_mode_16_64 0
		.amdhsa_float_denorm_mode_32 3
		.amdhsa_float_denorm_mode_16_64 3
		.amdhsa_dx10_clamp 1
		.amdhsa_ieee_mode 1
		.amdhsa_fp16_overflow 0
		.amdhsa_tg_split 0
		.amdhsa_exception_fp_ieee_invalid_op 0
		.amdhsa_exception_fp_denorm_src 0
		.amdhsa_exception_fp_ieee_div_zero 0
		.amdhsa_exception_fp_ieee_overflow 0
		.amdhsa_exception_fp_ieee_underflow 0
		.amdhsa_exception_fp_ieee_inexact 0
		.amdhsa_exception_int_div_zero 0
	.end_amdhsa_kernel
	.section	.text._ZN7rocprim17ROCPRIM_400000_NS6detail17trampoline_kernelINS0_14default_configENS1_35radix_sort_onesweep_config_selectorIaNS0_10empty_typeEEEZNS1_34radix_sort_onesweep_global_offsetsIS3_Lb1EPaPS5_mNS0_19identity_decomposerEEE10hipError_tT1_T2_PT3_SE_jT4_jjP12ihipStream_tbEUlT_E0_NS1_11comp_targetILNS1_3genE2ELNS1_11target_archE906ELNS1_3gpuE6ELNS1_3repE0EEENS1_52radix_sort_onesweep_histogram_config_static_selectorELNS0_4arch9wavefront6targetE1EEEvSC_,"axG",@progbits,_ZN7rocprim17ROCPRIM_400000_NS6detail17trampoline_kernelINS0_14default_configENS1_35radix_sort_onesweep_config_selectorIaNS0_10empty_typeEEEZNS1_34radix_sort_onesweep_global_offsetsIS3_Lb1EPaPS5_mNS0_19identity_decomposerEEE10hipError_tT1_T2_PT3_SE_jT4_jjP12ihipStream_tbEUlT_E0_NS1_11comp_targetILNS1_3genE2ELNS1_11target_archE906ELNS1_3gpuE6ELNS1_3repE0EEENS1_52radix_sort_onesweep_histogram_config_static_selectorELNS0_4arch9wavefront6targetE1EEEvSC_,comdat
.Lfunc_end1634:
	.size	_ZN7rocprim17ROCPRIM_400000_NS6detail17trampoline_kernelINS0_14default_configENS1_35radix_sort_onesweep_config_selectorIaNS0_10empty_typeEEEZNS1_34radix_sort_onesweep_global_offsetsIS3_Lb1EPaPS5_mNS0_19identity_decomposerEEE10hipError_tT1_T2_PT3_SE_jT4_jjP12ihipStream_tbEUlT_E0_NS1_11comp_targetILNS1_3genE2ELNS1_11target_archE906ELNS1_3gpuE6ELNS1_3repE0EEENS1_52radix_sort_onesweep_histogram_config_static_selectorELNS0_4arch9wavefront6targetE1EEEvSC_, .Lfunc_end1634-_ZN7rocprim17ROCPRIM_400000_NS6detail17trampoline_kernelINS0_14default_configENS1_35radix_sort_onesweep_config_selectorIaNS0_10empty_typeEEEZNS1_34radix_sort_onesweep_global_offsetsIS3_Lb1EPaPS5_mNS0_19identity_decomposerEEE10hipError_tT1_T2_PT3_SE_jT4_jjP12ihipStream_tbEUlT_E0_NS1_11comp_targetILNS1_3genE2ELNS1_11target_archE906ELNS1_3gpuE6ELNS1_3repE0EEENS1_52radix_sort_onesweep_histogram_config_static_selectorELNS0_4arch9wavefront6targetE1EEEvSC_
                                        ; -- End function
	.section	.AMDGPU.csdata,"",@progbits
; Kernel info:
; codeLenInByte = 0
; NumSgprs: 4
; NumVgprs: 0
; NumAgprs: 0
; TotalNumVgprs: 0
; ScratchSize: 0
; MemoryBound: 0
; FloatMode: 240
; IeeeMode: 1
; LDSByteSize: 0 bytes/workgroup (compile time only)
; SGPRBlocks: 0
; VGPRBlocks: 0
; NumSGPRsForWavesPerEU: 4
; NumVGPRsForWavesPerEU: 1
; AccumOffset: 4
; Occupancy: 8
; WaveLimiterHint : 0
; COMPUTE_PGM_RSRC2:SCRATCH_EN: 0
; COMPUTE_PGM_RSRC2:USER_SGPR: 6
; COMPUTE_PGM_RSRC2:TRAP_HANDLER: 0
; COMPUTE_PGM_RSRC2:TGID_X_EN: 1
; COMPUTE_PGM_RSRC2:TGID_Y_EN: 0
; COMPUTE_PGM_RSRC2:TGID_Z_EN: 0
; COMPUTE_PGM_RSRC2:TIDIG_COMP_CNT: 0
; COMPUTE_PGM_RSRC3_GFX90A:ACCUM_OFFSET: 0
; COMPUTE_PGM_RSRC3_GFX90A:TG_SPLIT: 0
	.section	.text._ZN7rocprim17ROCPRIM_400000_NS6detail17trampoline_kernelINS0_14default_configENS1_35radix_sort_onesweep_config_selectorIaNS0_10empty_typeEEEZNS1_34radix_sort_onesweep_global_offsetsIS3_Lb1EPaPS5_mNS0_19identity_decomposerEEE10hipError_tT1_T2_PT3_SE_jT4_jjP12ihipStream_tbEUlT_E0_NS1_11comp_targetILNS1_3genE4ELNS1_11target_archE910ELNS1_3gpuE8ELNS1_3repE0EEENS1_52radix_sort_onesweep_histogram_config_static_selectorELNS0_4arch9wavefront6targetE1EEEvSC_,"axG",@progbits,_ZN7rocprim17ROCPRIM_400000_NS6detail17trampoline_kernelINS0_14default_configENS1_35radix_sort_onesweep_config_selectorIaNS0_10empty_typeEEEZNS1_34radix_sort_onesweep_global_offsetsIS3_Lb1EPaPS5_mNS0_19identity_decomposerEEE10hipError_tT1_T2_PT3_SE_jT4_jjP12ihipStream_tbEUlT_E0_NS1_11comp_targetILNS1_3genE4ELNS1_11target_archE910ELNS1_3gpuE8ELNS1_3repE0EEENS1_52radix_sort_onesweep_histogram_config_static_selectorELNS0_4arch9wavefront6targetE1EEEvSC_,comdat
	.protected	_ZN7rocprim17ROCPRIM_400000_NS6detail17trampoline_kernelINS0_14default_configENS1_35radix_sort_onesweep_config_selectorIaNS0_10empty_typeEEEZNS1_34radix_sort_onesweep_global_offsetsIS3_Lb1EPaPS5_mNS0_19identity_decomposerEEE10hipError_tT1_T2_PT3_SE_jT4_jjP12ihipStream_tbEUlT_E0_NS1_11comp_targetILNS1_3genE4ELNS1_11target_archE910ELNS1_3gpuE8ELNS1_3repE0EEENS1_52radix_sort_onesweep_histogram_config_static_selectorELNS0_4arch9wavefront6targetE1EEEvSC_ ; -- Begin function _ZN7rocprim17ROCPRIM_400000_NS6detail17trampoline_kernelINS0_14default_configENS1_35radix_sort_onesweep_config_selectorIaNS0_10empty_typeEEEZNS1_34radix_sort_onesweep_global_offsetsIS3_Lb1EPaPS5_mNS0_19identity_decomposerEEE10hipError_tT1_T2_PT3_SE_jT4_jjP12ihipStream_tbEUlT_E0_NS1_11comp_targetILNS1_3genE4ELNS1_11target_archE910ELNS1_3gpuE8ELNS1_3repE0EEENS1_52radix_sort_onesweep_histogram_config_static_selectorELNS0_4arch9wavefront6targetE1EEEvSC_
	.globl	_ZN7rocprim17ROCPRIM_400000_NS6detail17trampoline_kernelINS0_14default_configENS1_35radix_sort_onesweep_config_selectorIaNS0_10empty_typeEEEZNS1_34radix_sort_onesweep_global_offsetsIS3_Lb1EPaPS5_mNS0_19identity_decomposerEEE10hipError_tT1_T2_PT3_SE_jT4_jjP12ihipStream_tbEUlT_E0_NS1_11comp_targetILNS1_3genE4ELNS1_11target_archE910ELNS1_3gpuE8ELNS1_3repE0EEENS1_52radix_sort_onesweep_histogram_config_static_selectorELNS0_4arch9wavefront6targetE1EEEvSC_
	.p2align	8
	.type	_ZN7rocprim17ROCPRIM_400000_NS6detail17trampoline_kernelINS0_14default_configENS1_35radix_sort_onesweep_config_selectorIaNS0_10empty_typeEEEZNS1_34radix_sort_onesweep_global_offsetsIS3_Lb1EPaPS5_mNS0_19identity_decomposerEEE10hipError_tT1_T2_PT3_SE_jT4_jjP12ihipStream_tbEUlT_E0_NS1_11comp_targetILNS1_3genE4ELNS1_11target_archE910ELNS1_3gpuE8ELNS1_3repE0EEENS1_52radix_sort_onesweep_histogram_config_static_selectorELNS0_4arch9wavefront6targetE1EEEvSC_,@function
_ZN7rocprim17ROCPRIM_400000_NS6detail17trampoline_kernelINS0_14default_configENS1_35radix_sort_onesweep_config_selectorIaNS0_10empty_typeEEEZNS1_34radix_sort_onesweep_global_offsetsIS3_Lb1EPaPS5_mNS0_19identity_decomposerEEE10hipError_tT1_T2_PT3_SE_jT4_jjP12ihipStream_tbEUlT_E0_NS1_11comp_targetILNS1_3genE4ELNS1_11target_archE910ELNS1_3gpuE8ELNS1_3repE0EEENS1_52radix_sort_onesweep_histogram_config_static_selectorELNS0_4arch9wavefront6targetE1EEEvSC_: ; @_ZN7rocprim17ROCPRIM_400000_NS6detail17trampoline_kernelINS0_14default_configENS1_35radix_sort_onesweep_config_selectorIaNS0_10empty_typeEEEZNS1_34radix_sort_onesweep_global_offsetsIS3_Lb1EPaPS5_mNS0_19identity_decomposerEEE10hipError_tT1_T2_PT3_SE_jT4_jjP12ihipStream_tbEUlT_E0_NS1_11comp_targetILNS1_3genE4ELNS1_11target_archE910ELNS1_3gpuE8ELNS1_3repE0EEENS1_52radix_sort_onesweep_histogram_config_static_selectorELNS0_4arch9wavefront6targetE1EEEvSC_
; %bb.0:
	s_load_dwordx2 s[0:1], s[4:5], 0x0
	s_lshl_b32 s2, s6, 4
	s_mov_b32 s3, 0
	s_lshl_b64 s[2:3], s[2:3], 3
	v_cmp_gt_u32_e32 vcc, 16, v0
	s_waitcnt lgkmcnt(0)
	s_add_u32 s6, s0, s2
	s_addc_u32 s7, s1, s3
	v_lshlrev_b32_e32 v6, 3, v0
                                        ; implicit-def: $vgpr2_vgpr3
	s_and_saveexec_b64 s[0:1], vcc
	s_cbranch_execz .LBB1635_2
; %bb.1:
	global_load_dwordx2 v[2:3], v6, s[6:7]
.LBB1635_2:
	s_or_b64 exec, exec, s[0:1]
	s_waitcnt vmcnt(0)
	v_mov_b32_dpp v4, v2 row_shr:1 row_mask:0xf bank_mask:0xf
	v_add_co_u32_e64 v4, s[0:1], v2, v4
	v_mbcnt_lo_u32_b32 v1, -1, 0
	v_addc_co_u32_e64 v8, s[0:1], 0, v3, s[0:1]
	v_mbcnt_hi_u32_b32 v7, -1, v1
	v_mov_b32_dpp v5, v3 row_shr:1 row_mask:0xf bank_mask:0xf
	v_add_co_u32_e64 v9, s[0:1], 0, v4
	v_and_b32_e32 v1, 15, v7
	v_addc_co_u32_e64 v5, s[0:1], v5, v8, s[0:1]
	v_cmp_eq_u32_e64 s[0:1], 0, v1
	v_cndmask_b32_e64 v4, v4, v2, s[0:1]
	v_cndmask_b32_e64 v5, v5, v3, s[0:1]
	v_cndmask_b32_e64 v8, v9, v2, s[0:1]
	v_mov_b32_dpp v9, v4 row_shr:2 row_mask:0xf bank_mask:0xf
	v_mov_b32_dpp v10, v5 row_shr:2 row_mask:0xf bank_mask:0xf
	v_add_co_u32_e64 v9, s[0:1], v9, v8
	v_addc_co_u32_e64 v10, s[0:1], v10, v5, s[0:1]
	v_cmp_lt_u32_e64 s[0:1], 1, v1
	v_cndmask_b32_e64 v4, v4, v9, s[0:1]
	v_cndmask_b32_e64 v5, v5, v10, s[0:1]
	v_cndmask_b32_e64 v8, v8, v9, s[0:1]
	v_mov_b32_dpp v9, v4 row_shr:4 row_mask:0xf bank_mask:0xf
	v_mov_b32_dpp v10, v5 row_shr:4 row_mask:0xf bank_mask:0xf
	v_add_co_u32_e64 v9, s[0:1], v9, v8
	v_addc_co_u32_e64 v10, s[0:1], v10, v5, s[0:1]
	v_cmp_lt_u32_e64 s[0:1], 3, v1
	;; [unrolled: 8-line block ×3, first 2 shown]
	v_cndmask_b32_e64 v11, v4, v9, s[0:1]
	v_cndmask_b32_e64 v1, v5, v10, s[0:1]
	;; [unrolled: 1-line block ×3, first 2 shown]
	v_mov_b32_dpp v5, v11 row_bcast:15 row_mask:0xf bank_mask:0xf
	v_mov_b32_dpp v8, v1 row_bcast:15 row_mask:0xf bank_mask:0xf
	v_and_b32_e32 v10, 16, v7
	v_add_co_u32_e64 v5, s[0:1], v5, v4
	v_addc_co_u32_e64 v9, s[0:1], v8, v1, s[0:1]
	v_cmp_eq_u32_e64 s[2:3], 0, v10
	v_cndmask_b32_e64 v10, v9, v1, s[2:3]
	v_cndmask_b32_e64 v8, v5, v11, s[2:3]
	v_cmp_eq_u32_e64 s[0:1], 0, v7
	v_mov_b32_dpp v10, v10 row_bcast:31 row_mask:0xf bank_mask:0xf
	v_mov_b32_dpp v8, v8 row_bcast:31 row_mask:0xf bank_mask:0xf
	v_cmp_ne_u32_e64 s[4:5], 0, v7
	s_and_saveexec_b64 s[8:9], s[4:5]
; %bb.3:
	v_cndmask_b32_e64 v1, v9, v1, s[2:3]
	v_cndmask_b32_e64 v2, v5, v4, s[2:3]
	v_cmp_lt_u32_e64 s[2:3], 31, v7
	v_cndmask_b32_e64 v4, 0, v8, s[2:3]
	v_cndmask_b32_e64 v3, 0, v10, s[2:3]
	v_add_co_u32_e64 v2, s[2:3], v4, v2
	v_addc_co_u32_e64 v3, s[2:3], v3, v1, s[2:3]
; %bb.4:
	s_or_b64 exec, exec, s[8:9]
	v_or_b32_e32 v1, 63, v0
	v_lshrrev_b32_e32 v8, 6, v0
	v_cmp_eq_u32_e64 s[2:3], v1, v0
	s_and_saveexec_b64 s[4:5], s[2:3]
	s_cbranch_execz .LBB1635_6
; %bb.5:
	v_lshlrev_b32_e32 v1, 3, v8
	ds_write_b64 v1, v[2:3]
.LBB1635_6:
	s_or_b64 exec, exec, s[4:5]
	v_cmp_gt_u32_e64 s[2:3], 8, v0
	s_waitcnt lgkmcnt(0)
	s_barrier
	s_and_saveexec_b64 s[8:9], s[2:3]
	s_cbranch_execz .LBB1635_10
; %bb.7:
	ds_read_b64 v[4:5], v6
	v_and_b32_e32 v1, 7, v7
	v_cmp_ne_u32_e64 s[4:5], 0, v1
	s_waitcnt lgkmcnt(0)
	v_mov_b32_dpp v9, v4 row_shr:1 row_mask:0xf bank_mask:0xf
	v_add_co_u32_e64 v11, s[2:3], v4, v9
	v_addc_co_u32_e64 v12, s[2:3], 0, v5, s[2:3]
	v_mov_b32_dpp v10, v5 row_shr:1 row_mask:0xf bank_mask:0xf
	v_add_co_u32_e64 v9, s[2:3], 0, v11
	v_addc_co_u32_e64 v10, s[2:3], v10, v12, s[2:3]
	v_cmp_eq_u32_e64 s[2:3], 0, v1
	v_cndmask_b32_e64 v12, v11, v4, s[2:3]
	v_cndmask_b32_e64 v14, v10, v5, s[2:3]
	;; [unrolled: 1-line block ×3, first 2 shown]
	v_mov_b32_dpp v13, v12 row_shr:2 row_mask:0xf bank_mask:0xf
	v_mov_b32_dpp v15, v14 row_shr:2 row_mask:0xf bank_mask:0xf
	v_add_co_u32_e64 v11, s[2:3], v13, v11
	v_addc_co_u32_e64 v13, s[2:3], v15, v14, s[2:3]
	v_cmp_lt_u32_e64 s[2:3], 1, v1
	v_cndmask_b32_e64 v14, v14, v13, s[2:3]
	v_cndmask_b32_e64 v12, v12, v11, s[2:3]
	s_nop 0
	v_mov_b32_dpp v14, v14 row_shr:4 row_mask:0xf bank_mask:0xf
	v_mov_b32_dpp v12, v12 row_shr:4 row_mask:0xf bank_mask:0xf
	s_and_saveexec_b64 s[10:11], s[4:5]
; %bb.8:
	v_cndmask_b32_e64 v5, v10, v13, s[2:3]
	v_cndmask_b32_e64 v4, v9, v11, s[2:3]
	v_cmp_lt_u32_e64 s[2:3], 3, v1
	v_cndmask_b32_e64 v9, 0, v12, s[2:3]
	v_cndmask_b32_e64 v1, 0, v14, s[2:3]
	v_add_co_u32_e64 v4, s[2:3], v9, v4
	v_addc_co_u32_e64 v5, s[2:3], v1, v5, s[2:3]
; %bb.9:
	s_or_b64 exec, exec, s[10:11]
	ds_write_b64 v6, v[4:5]
.LBB1635_10:
	s_or_b64 exec, exec, s[8:9]
	v_cmp_lt_u32_e64 s[2:3], 63, v0
	v_pk_mov_b32 v[0:1], 0, 0
	s_waitcnt lgkmcnt(0)
	s_barrier
	s_and_saveexec_b64 s[4:5], s[2:3]
	s_cbranch_execz .LBB1635_12
; %bb.11:
	v_lshl_add_u32 v0, v8, 3, -8
	ds_read_b64 v[0:1], v0
.LBB1635_12:
	s_or_b64 exec, exec, s[4:5]
	s_waitcnt lgkmcnt(0)
	v_add_co_u32_e64 v2, s[2:3], v0, v2
	v_addc_co_u32_e64 v3, s[2:3], v1, v3, s[2:3]
	v_add_u32_e32 v4, -1, v7
	v_and_b32_e32 v5, 64, v7
	v_cmp_lt_i32_e64 s[2:3], v4, v5
	v_cndmask_b32_e64 v4, v4, v7, s[2:3]
	v_lshlrev_b32_e32 v4, 2, v4
	ds_bpermute_b32 v2, v4, v2
	ds_bpermute_b32 v3, v4, v3
	s_and_saveexec_b64 s[2:3], vcc
	s_cbranch_execz .LBB1635_14
; %bb.13:
	s_waitcnt lgkmcnt(0)
	v_cndmask_b32_e64 v1, v3, v1, s[0:1]
	v_cndmask_b32_e64 v0, v2, v0, s[0:1]
	global_store_dwordx2 v6, v[0:1], s[6:7]
.LBB1635_14:
	s_endpgm
	.section	.rodata,"a",@progbits
	.p2align	6, 0x0
	.amdhsa_kernel _ZN7rocprim17ROCPRIM_400000_NS6detail17trampoline_kernelINS0_14default_configENS1_35radix_sort_onesweep_config_selectorIaNS0_10empty_typeEEEZNS1_34radix_sort_onesweep_global_offsetsIS3_Lb1EPaPS5_mNS0_19identity_decomposerEEE10hipError_tT1_T2_PT3_SE_jT4_jjP12ihipStream_tbEUlT_E0_NS1_11comp_targetILNS1_3genE4ELNS1_11target_archE910ELNS1_3gpuE8ELNS1_3repE0EEENS1_52radix_sort_onesweep_histogram_config_static_selectorELNS0_4arch9wavefront6targetE1EEEvSC_
		.amdhsa_group_segment_fixed_size 64
		.amdhsa_private_segment_fixed_size 0
		.amdhsa_kernarg_size 8
		.amdhsa_user_sgpr_count 6
		.amdhsa_user_sgpr_private_segment_buffer 1
		.amdhsa_user_sgpr_dispatch_ptr 0
		.amdhsa_user_sgpr_queue_ptr 0
		.amdhsa_user_sgpr_kernarg_segment_ptr 1
		.amdhsa_user_sgpr_dispatch_id 0
		.amdhsa_user_sgpr_flat_scratch_init 0
		.amdhsa_user_sgpr_kernarg_preload_length 0
		.amdhsa_user_sgpr_kernarg_preload_offset 0
		.amdhsa_user_sgpr_private_segment_size 0
		.amdhsa_uses_dynamic_stack 0
		.amdhsa_system_sgpr_private_segment_wavefront_offset 0
		.amdhsa_system_sgpr_workgroup_id_x 1
		.amdhsa_system_sgpr_workgroup_id_y 0
		.amdhsa_system_sgpr_workgroup_id_z 0
		.amdhsa_system_sgpr_workgroup_info 0
		.amdhsa_system_vgpr_workitem_id 0
		.amdhsa_next_free_vgpr 16
		.amdhsa_next_free_sgpr 12
		.amdhsa_accum_offset 16
		.amdhsa_reserve_vcc 1
		.amdhsa_reserve_flat_scratch 0
		.amdhsa_float_round_mode_32 0
		.amdhsa_float_round_mode_16_64 0
		.amdhsa_float_denorm_mode_32 3
		.amdhsa_float_denorm_mode_16_64 3
		.amdhsa_dx10_clamp 1
		.amdhsa_ieee_mode 1
		.amdhsa_fp16_overflow 0
		.amdhsa_tg_split 0
		.amdhsa_exception_fp_ieee_invalid_op 0
		.amdhsa_exception_fp_denorm_src 0
		.amdhsa_exception_fp_ieee_div_zero 0
		.amdhsa_exception_fp_ieee_overflow 0
		.amdhsa_exception_fp_ieee_underflow 0
		.amdhsa_exception_fp_ieee_inexact 0
		.amdhsa_exception_int_div_zero 0
	.end_amdhsa_kernel
	.section	.text._ZN7rocprim17ROCPRIM_400000_NS6detail17trampoline_kernelINS0_14default_configENS1_35radix_sort_onesweep_config_selectorIaNS0_10empty_typeEEEZNS1_34radix_sort_onesweep_global_offsetsIS3_Lb1EPaPS5_mNS0_19identity_decomposerEEE10hipError_tT1_T2_PT3_SE_jT4_jjP12ihipStream_tbEUlT_E0_NS1_11comp_targetILNS1_3genE4ELNS1_11target_archE910ELNS1_3gpuE8ELNS1_3repE0EEENS1_52radix_sort_onesweep_histogram_config_static_selectorELNS0_4arch9wavefront6targetE1EEEvSC_,"axG",@progbits,_ZN7rocprim17ROCPRIM_400000_NS6detail17trampoline_kernelINS0_14default_configENS1_35radix_sort_onesweep_config_selectorIaNS0_10empty_typeEEEZNS1_34radix_sort_onesweep_global_offsetsIS3_Lb1EPaPS5_mNS0_19identity_decomposerEEE10hipError_tT1_T2_PT3_SE_jT4_jjP12ihipStream_tbEUlT_E0_NS1_11comp_targetILNS1_3genE4ELNS1_11target_archE910ELNS1_3gpuE8ELNS1_3repE0EEENS1_52radix_sort_onesweep_histogram_config_static_selectorELNS0_4arch9wavefront6targetE1EEEvSC_,comdat
.Lfunc_end1635:
	.size	_ZN7rocprim17ROCPRIM_400000_NS6detail17trampoline_kernelINS0_14default_configENS1_35radix_sort_onesweep_config_selectorIaNS0_10empty_typeEEEZNS1_34radix_sort_onesweep_global_offsetsIS3_Lb1EPaPS5_mNS0_19identity_decomposerEEE10hipError_tT1_T2_PT3_SE_jT4_jjP12ihipStream_tbEUlT_E0_NS1_11comp_targetILNS1_3genE4ELNS1_11target_archE910ELNS1_3gpuE8ELNS1_3repE0EEENS1_52radix_sort_onesweep_histogram_config_static_selectorELNS0_4arch9wavefront6targetE1EEEvSC_, .Lfunc_end1635-_ZN7rocprim17ROCPRIM_400000_NS6detail17trampoline_kernelINS0_14default_configENS1_35radix_sort_onesweep_config_selectorIaNS0_10empty_typeEEEZNS1_34radix_sort_onesweep_global_offsetsIS3_Lb1EPaPS5_mNS0_19identity_decomposerEEE10hipError_tT1_T2_PT3_SE_jT4_jjP12ihipStream_tbEUlT_E0_NS1_11comp_targetILNS1_3genE4ELNS1_11target_archE910ELNS1_3gpuE8ELNS1_3repE0EEENS1_52radix_sort_onesweep_histogram_config_static_selectorELNS0_4arch9wavefront6targetE1EEEvSC_
                                        ; -- End function
	.section	.AMDGPU.csdata,"",@progbits
; Kernel info:
; codeLenInByte = 988
; NumSgprs: 16
; NumVgprs: 16
; NumAgprs: 0
; TotalNumVgprs: 16
; ScratchSize: 0
; MemoryBound: 0
; FloatMode: 240
; IeeeMode: 1
; LDSByteSize: 64 bytes/workgroup (compile time only)
; SGPRBlocks: 1
; VGPRBlocks: 1
; NumSGPRsForWavesPerEU: 16
; NumVGPRsForWavesPerEU: 16
; AccumOffset: 16
; Occupancy: 8
; WaveLimiterHint : 0
; COMPUTE_PGM_RSRC2:SCRATCH_EN: 0
; COMPUTE_PGM_RSRC2:USER_SGPR: 6
; COMPUTE_PGM_RSRC2:TRAP_HANDLER: 0
; COMPUTE_PGM_RSRC2:TGID_X_EN: 1
; COMPUTE_PGM_RSRC2:TGID_Y_EN: 0
; COMPUTE_PGM_RSRC2:TGID_Z_EN: 0
; COMPUTE_PGM_RSRC2:TIDIG_COMP_CNT: 0
; COMPUTE_PGM_RSRC3_GFX90A:ACCUM_OFFSET: 3
; COMPUTE_PGM_RSRC3_GFX90A:TG_SPLIT: 0
	.section	.text._ZN7rocprim17ROCPRIM_400000_NS6detail17trampoline_kernelINS0_14default_configENS1_35radix_sort_onesweep_config_selectorIaNS0_10empty_typeEEEZNS1_34radix_sort_onesweep_global_offsetsIS3_Lb1EPaPS5_mNS0_19identity_decomposerEEE10hipError_tT1_T2_PT3_SE_jT4_jjP12ihipStream_tbEUlT_E0_NS1_11comp_targetILNS1_3genE3ELNS1_11target_archE908ELNS1_3gpuE7ELNS1_3repE0EEENS1_52radix_sort_onesweep_histogram_config_static_selectorELNS0_4arch9wavefront6targetE1EEEvSC_,"axG",@progbits,_ZN7rocprim17ROCPRIM_400000_NS6detail17trampoline_kernelINS0_14default_configENS1_35radix_sort_onesweep_config_selectorIaNS0_10empty_typeEEEZNS1_34radix_sort_onesweep_global_offsetsIS3_Lb1EPaPS5_mNS0_19identity_decomposerEEE10hipError_tT1_T2_PT3_SE_jT4_jjP12ihipStream_tbEUlT_E0_NS1_11comp_targetILNS1_3genE3ELNS1_11target_archE908ELNS1_3gpuE7ELNS1_3repE0EEENS1_52radix_sort_onesweep_histogram_config_static_selectorELNS0_4arch9wavefront6targetE1EEEvSC_,comdat
	.protected	_ZN7rocprim17ROCPRIM_400000_NS6detail17trampoline_kernelINS0_14default_configENS1_35radix_sort_onesweep_config_selectorIaNS0_10empty_typeEEEZNS1_34radix_sort_onesweep_global_offsetsIS3_Lb1EPaPS5_mNS0_19identity_decomposerEEE10hipError_tT1_T2_PT3_SE_jT4_jjP12ihipStream_tbEUlT_E0_NS1_11comp_targetILNS1_3genE3ELNS1_11target_archE908ELNS1_3gpuE7ELNS1_3repE0EEENS1_52radix_sort_onesweep_histogram_config_static_selectorELNS0_4arch9wavefront6targetE1EEEvSC_ ; -- Begin function _ZN7rocprim17ROCPRIM_400000_NS6detail17trampoline_kernelINS0_14default_configENS1_35radix_sort_onesweep_config_selectorIaNS0_10empty_typeEEEZNS1_34radix_sort_onesweep_global_offsetsIS3_Lb1EPaPS5_mNS0_19identity_decomposerEEE10hipError_tT1_T2_PT3_SE_jT4_jjP12ihipStream_tbEUlT_E0_NS1_11comp_targetILNS1_3genE3ELNS1_11target_archE908ELNS1_3gpuE7ELNS1_3repE0EEENS1_52radix_sort_onesweep_histogram_config_static_selectorELNS0_4arch9wavefront6targetE1EEEvSC_
	.globl	_ZN7rocprim17ROCPRIM_400000_NS6detail17trampoline_kernelINS0_14default_configENS1_35radix_sort_onesweep_config_selectorIaNS0_10empty_typeEEEZNS1_34radix_sort_onesweep_global_offsetsIS3_Lb1EPaPS5_mNS0_19identity_decomposerEEE10hipError_tT1_T2_PT3_SE_jT4_jjP12ihipStream_tbEUlT_E0_NS1_11comp_targetILNS1_3genE3ELNS1_11target_archE908ELNS1_3gpuE7ELNS1_3repE0EEENS1_52radix_sort_onesweep_histogram_config_static_selectorELNS0_4arch9wavefront6targetE1EEEvSC_
	.p2align	8
	.type	_ZN7rocprim17ROCPRIM_400000_NS6detail17trampoline_kernelINS0_14default_configENS1_35radix_sort_onesweep_config_selectorIaNS0_10empty_typeEEEZNS1_34radix_sort_onesweep_global_offsetsIS3_Lb1EPaPS5_mNS0_19identity_decomposerEEE10hipError_tT1_T2_PT3_SE_jT4_jjP12ihipStream_tbEUlT_E0_NS1_11comp_targetILNS1_3genE3ELNS1_11target_archE908ELNS1_3gpuE7ELNS1_3repE0EEENS1_52radix_sort_onesweep_histogram_config_static_selectorELNS0_4arch9wavefront6targetE1EEEvSC_,@function
_ZN7rocprim17ROCPRIM_400000_NS6detail17trampoline_kernelINS0_14default_configENS1_35radix_sort_onesweep_config_selectorIaNS0_10empty_typeEEEZNS1_34radix_sort_onesweep_global_offsetsIS3_Lb1EPaPS5_mNS0_19identity_decomposerEEE10hipError_tT1_T2_PT3_SE_jT4_jjP12ihipStream_tbEUlT_E0_NS1_11comp_targetILNS1_3genE3ELNS1_11target_archE908ELNS1_3gpuE7ELNS1_3repE0EEENS1_52radix_sort_onesweep_histogram_config_static_selectorELNS0_4arch9wavefront6targetE1EEEvSC_: ; @_ZN7rocprim17ROCPRIM_400000_NS6detail17trampoline_kernelINS0_14default_configENS1_35radix_sort_onesweep_config_selectorIaNS0_10empty_typeEEEZNS1_34radix_sort_onesweep_global_offsetsIS3_Lb1EPaPS5_mNS0_19identity_decomposerEEE10hipError_tT1_T2_PT3_SE_jT4_jjP12ihipStream_tbEUlT_E0_NS1_11comp_targetILNS1_3genE3ELNS1_11target_archE908ELNS1_3gpuE7ELNS1_3repE0EEENS1_52radix_sort_onesweep_histogram_config_static_selectorELNS0_4arch9wavefront6targetE1EEEvSC_
; %bb.0:
	.section	.rodata,"a",@progbits
	.p2align	6, 0x0
	.amdhsa_kernel _ZN7rocprim17ROCPRIM_400000_NS6detail17trampoline_kernelINS0_14default_configENS1_35radix_sort_onesweep_config_selectorIaNS0_10empty_typeEEEZNS1_34radix_sort_onesweep_global_offsetsIS3_Lb1EPaPS5_mNS0_19identity_decomposerEEE10hipError_tT1_T2_PT3_SE_jT4_jjP12ihipStream_tbEUlT_E0_NS1_11comp_targetILNS1_3genE3ELNS1_11target_archE908ELNS1_3gpuE7ELNS1_3repE0EEENS1_52radix_sort_onesweep_histogram_config_static_selectorELNS0_4arch9wavefront6targetE1EEEvSC_
		.amdhsa_group_segment_fixed_size 0
		.amdhsa_private_segment_fixed_size 0
		.amdhsa_kernarg_size 8
		.amdhsa_user_sgpr_count 6
		.amdhsa_user_sgpr_private_segment_buffer 1
		.amdhsa_user_sgpr_dispatch_ptr 0
		.amdhsa_user_sgpr_queue_ptr 0
		.amdhsa_user_sgpr_kernarg_segment_ptr 1
		.amdhsa_user_sgpr_dispatch_id 0
		.amdhsa_user_sgpr_flat_scratch_init 0
		.amdhsa_user_sgpr_kernarg_preload_length 0
		.amdhsa_user_sgpr_kernarg_preload_offset 0
		.amdhsa_user_sgpr_private_segment_size 0
		.amdhsa_uses_dynamic_stack 0
		.amdhsa_system_sgpr_private_segment_wavefront_offset 0
		.amdhsa_system_sgpr_workgroup_id_x 1
		.amdhsa_system_sgpr_workgroup_id_y 0
		.amdhsa_system_sgpr_workgroup_id_z 0
		.amdhsa_system_sgpr_workgroup_info 0
		.amdhsa_system_vgpr_workitem_id 0
		.amdhsa_next_free_vgpr 1
		.amdhsa_next_free_sgpr 0
		.amdhsa_accum_offset 4
		.amdhsa_reserve_vcc 0
		.amdhsa_reserve_flat_scratch 0
		.amdhsa_float_round_mode_32 0
		.amdhsa_float_round_mode_16_64 0
		.amdhsa_float_denorm_mode_32 3
		.amdhsa_float_denorm_mode_16_64 3
		.amdhsa_dx10_clamp 1
		.amdhsa_ieee_mode 1
		.amdhsa_fp16_overflow 0
		.amdhsa_tg_split 0
		.amdhsa_exception_fp_ieee_invalid_op 0
		.amdhsa_exception_fp_denorm_src 0
		.amdhsa_exception_fp_ieee_div_zero 0
		.amdhsa_exception_fp_ieee_overflow 0
		.amdhsa_exception_fp_ieee_underflow 0
		.amdhsa_exception_fp_ieee_inexact 0
		.amdhsa_exception_int_div_zero 0
	.end_amdhsa_kernel
	.section	.text._ZN7rocprim17ROCPRIM_400000_NS6detail17trampoline_kernelINS0_14default_configENS1_35radix_sort_onesweep_config_selectorIaNS0_10empty_typeEEEZNS1_34radix_sort_onesweep_global_offsetsIS3_Lb1EPaPS5_mNS0_19identity_decomposerEEE10hipError_tT1_T2_PT3_SE_jT4_jjP12ihipStream_tbEUlT_E0_NS1_11comp_targetILNS1_3genE3ELNS1_11target_archE908ELNS1_3gpuE7ELNS1_3repE0EEENS1_52radix_sort_onesweep_histogram_config_static_selectorELNS0_4arch9wavefront6targetE1EEEvSC_,"axG",@progbits,_ZN7rocprim17ROCPRIM_400000_NS6detail17trampoline_kernelINS0_14default_configENS1_35radix_sort_onesweep_config_selectorIaNS0_10empty_typeEEEZNS1_34radix_sort_onesweep_global_offsetsIS3_Lb1EPaPS5_mNS0_19identity_decomposerEEE10hipError_tT1_T2_PT3_SE_jT4_jjP12ihipStream_tbEUlT_E0_NS1_11comp_targetILNS1_3genE3ELNS1_11target_archE908ELNS1_3gpuE7ELNS1_3repE0EEENS1_52radix_sort_onesweep_histogram_config_static_selectorELNS0_4arch9wavefront6targetE1EEEvSC_,comdat
.Lfunc_end1636:
	.size	_ZN7rocprim17ROCPRIM_400000_NS6detail17trampoline_kernelINS0_14default_configENS1_35radix_sort_onesweep_config_selectorIaNS0_10empty_typeEEEZNS1_34radix_sort_onesweep_global_offsetsIS3_Lb1EPaPS5_mNS0_19identity_decomposerEEE10hipError_tT1_T2_PT3_SE_jT4_jjP12ihipStream_tbEUlT_E0_NS1_11comp_targetILNS1_3genE3ELNS1_11target_archE908ELNS1_3gpuE7ELNS1_3repE0EEENS1_52radix_sort_onesweep_histogram_config_static_selectorELNS0_4arch9wavefront6targetE1EEEvSC_, .Lfunc_end1636-_ZN7rocprim17ROCPRIM_400000_NS6detail17trampoline_kernelINS0_14default_configENS1_35radix_sort_onesweep_config_selectorIaNS0_10empty_typeEEEZNS1_34radix_sort_onesweep_global_offsetsIS3_Lb1EPaPS5_mNS0_19identity_decomposerEEE10hipError_tT1_T2_PT3_SE_jT4_jjP12ihipStream_tbEUlT_E0_NS1_11comp_targetILNS1_3genE3ELNS1_11target_archE908ELNS1_3gpuE7ELNS1_3repE0EEENS1_52radix_sort_onesweep_histogram_config_static_selectorELNS0_4arch9wavefront6targetE1EEEvSC_
                                        ; -- End function
	.section	.AMDGPU.csdata,"",@progbits
; Kernel info:
; codeLenInByte = 0
; NumSgprs: 4
; NumVgprs: 0
; NumAgprs: 0
; TotalNumVgprs: 0
; ScratchSize: 0
; MemoryBound: 0
; FloatMode: 240
; IeeeMode: 1
; LDSByteSize: 0 bytes/workgroup (compile time only)
; SGPRBlocks: 0
; VGPRBlocks: 0
; NumSGPRsForWavesPerEU: 4
; NumVGPRsForWavesPerEU: 1
; AccumOffset: 4
; Occupancy: 8
; WaveLimiterHint : 0
; COMPUTE_PGM_RSRC2:SCRATCH_EN: 0
; COMPUTE_PGM_RSRC2:USER_SGPR: 6
; COMPUTE_PGM_RSRC2:TRAP_HANDLER: 0
; COMPUTE_PGM_RSRC2:TGID_X_EN: 1
; COMPUTE_PGM_RSRC2:TGID_Y_EN: 0
; COMPUTE_PGM_RSRC2:TGID_Z_EN: 0
; COMPUTE_PGM_RSRC2:TIDIG_COMP_CNT: 0
; COMPUTE_PGM_RSRC3_GFX90A:ACCUM_OFFSET: 0
; COMPUTE_PGM_RSRC3_GFX90A:TG_SPLIT: 0
	.section	.text._ZN7rocprim17ROCPRIM_400000_NS6detail17trampoline_kernelINS0_14default_configENS1_35radix_sort_onesweep_config_selectorIaNS0_10empty_typeEEEZNS1_34radix_sort_onesweep_global_offsetsIS3_Lb1EPaPS5_mNS0_19identity_decomposerEEE10hipError_tT1_T2_PT3_SE_jT4_jjP12ihipStream_tbEUlT_E0_NS1_11comp_targetILNS1_3genE10ELNS1_11target_archE1201ELNS1_3gpuE5ELNS1_3repE0EEENS1_52radix_sort_onesweep_histogram_config_static_selectorELNS0_4arch9wavefront6targetE1EEEvSC_,"axG",@progbits,_ZN7rocprim17ROCPRIM_400000_NS6detail17trampoline_kernelINS0_14default_configENS1_35radix_sort_onesweep_config_selectorIaNS0_10empty_typeEEEZNS1_34radix_sort_onesweep_global_offsetsIS3_Lb1EPaPS5_mNS0_19identity_decomposerEEE10hipError_tT1_T2_PT3_SE_jT4_jjP12ihipStream_tbEUlT_E0_NS1_11comp_targetILNS1_3genE10ELNS1_11target_archE1201ELNS1_3gpuE5ELNS1_3repE0EEENS1_52radix_sort_onesweep_histogram_config_static_selectorELNS0_4arch9wavefront6targetE1EEEvSC_,comdat
	.protected	_ZN7rocprim17ROCPRIM_400000_NS6detail17trampoline_kernelINS0_14default_configENS1_35radix_sort_onesweep_config_selectorIaNS0_10empty_typeEEEZNS1_34radix_sort_onesweep_global_offsetsIS3_Lb1EPaPS5_mNS0_19identity_decomposerEEE10hipError_tT1_T2_PT3_SE_jT4_jjP12ihipStream_tbEUlT_E0_NS1_11comp_targetILNS1_3genE10ELNS1_11target_archE1201ELNS1_3gpuE5ELNS1_3repE0EEENS1_52radix_sort_onesweep_histogram_config_static_selectorELNS0_4arch9wavefront6targetE1EEEvSC_ ; -- Begin function _ZN7rocprim17ROCPRIM_400000_NS6detail17trampoline_kernelINS0_14default_configENS1_35radix_sort_onesweep_config_selectorIaNS0_10empty_typeEEEZNS1_34radix_sort_onesweep_global_offsetsIS3_Lb1EPaPS5_mNS0_19identity_decomposerEEE10hipError_tT1_T2_PT3_SE_jT4_jjP12ihipStream_tbEUlT_E0_NS1_11comp_targetILNS1_3genE10ELNS1_11target_archE1201ELNS1_3gpuE5ELNS1_3repE0EEENS1_52radix_sort_onesweep_histogram_config_static_selectorELNS0_4arch9wavefront6targetE1EEEvSC_
	.globl	_ZN7rocprim17ROCPRIM_400000_NS6detail17trampoline_kernelINS0_14default_configENS1_35radix_sort_onesweep_config_selectorIaNS0_10empty_typeEEEZNS1_34radix_sort_onesweep_global_offsetsIS3_Lb1EPaPS5_mNS0_19identity_decomposerEEE10hipError_tT1_T2_PT3_SE_jT4_jjP12ihipStream_tbEUlT_E0_NS1_11comp_targetILNS1_3genE10ELNS1_11target_archE1201ELNS1_3gpuE5ELNS1_3repE0EEENS1_52radix_sort_onesweep_histogram_config_static_selectorELNS0_4arch9wavefront6targetE1EEEvSC_
	.p2align	8
	.type	_ZN7rocprim17ROCPRIM_400000_NS6detail17trampoline_kernelINS0_14default_configENS1_35radix_sort_onesweep_config_selectorIaNS0_10empty_typeEEEZNS1_34radix_sort_onesweep_global_offsetsIS3_Lb1EPaPS5_mNS0_19identity_decomposerEEE10hipError_tT1_T2_PT3_SE_jT4_jjP12ihipStream_tbEUlT_E0_NS1_11comp_targetILNS1_3genE10ELNS1_11target_archE1201ELNS1_3gpuE5ELNS1_3repE0EEENS1_52radix_sort_onesweep_histogram_config_static_selectorELNS0_4arch9wavefront6targetE1EEEvSC_,@function
_ZN7rocprim17ROCPRIM_400000_NS6detail17trampoline_kernelINS0_14default_configENS1_35radix_sort_onesweep_config_selectorIaNS0_10empty_typeEEEZNS1_34radix_sort_onesweep_global_offsetsIS3_Lb1EPaPS5_mNS0_19identity_decomposerEEE10hipError_tT1_T2_PT3_SE_jT4_jjP12ihipStream_tbEUlT_E0_NS1_11comp_targetILNS1_3genE10ELNS1_11target_archE1201ELNS1_3gpuE5ELNS1_3repE0EEENS1_52radix_sort_onesweep_histogram_config_static_selectorELNS0_4arch9wavefront6targetE1EEEvSC_: ; @_ZN7rocprim17ROCPRIM_400000_NS6detail17trampoline_kernelINS0_14default_configENS1_35radix_sort_onesweep_config_selectorIaNS0_10empty_typeEEEZNS1_34radix_sort_onesweep_global_offsetsIS3_Lb1EPaPS5_mNS0_19identity_decomposerEEE10hipError_tT1_T2_PT3_SE_jT4_jjP12ihipStream_tbEUlT_E0_NS1_11comp_targetILNS1_3genE10ELNS1_11target_archE1201ELNS1_3gpuE5ELNS1_3repE0EEENS1_52radix_sort_onesweep_histogram_config_static_selectorELNS0_4arch9wavefront6targetE1EEEvSC_
; %bb.0:
	.section	.rodata,"a",@progbits
	.p2align	6, 0x0
	.amdhsa_kernel _ZN7rocprim17ROCPRIM_400000_NS6detail17trampoline_kernelINS0_14default_configENS1_35radix_sort_onesweep_config_selectorIaNS0_10empty_typeEEEZNS1_34radix_sort_onesweep_global_offsetsIS3_Lb1EPaPS5_mNS0_19identity_decomposerEEE10hipError_tT1_T2_PT3_SE_jT4_jjP12ihipStream_tbEUlT_E0_NS1_11comp_targetILNS1_3genE10ELNS1_11target_archE1201ELNS1_3gpuE5ELNS1_3repE0EEENS1_52radix_sort_onesweep_histogram_config_static_selectorELNS0_4arch9wavefront6targetE1EEEvSC_
		.amdhsa_group_segment_fixed_size 0
		.amdhsa_private_segment_fixed_size 0
		.amdhsa_kernarg_size 8
		.amdhsa_user_sgpr_count 6
		.amdhsa_user_sgpr_private_segment_buffer 1
		.amdhsa_user_sgpr_dispatch_ptr 0
		.amdhsa_user_sgpr_queue_ptr 0
		.amdhsa_user_sgpr_kernarg_segment_ptr 1
		.amdhsa_user_sgpr_dispatch_id 0
		.amdhsa_user_sgpr_flat_scratch_init 0
		.amdhsa_user_sgpr_kernarg_preload_length 0
		.amdhsa_user_sgpr_kernarg_preload_offset 0
		.amdhsa_user_sgpr_private_segment_size 0
		.amdhsa_uses_dynamic_stack 0
		.amdhsa_system_sgpr_private_segment_wavefront_offset 0
		.amdhsa_system_sgpr_workgroup_id_x 1
		.amdhsa_system_sgpr_workgroup_id_y 0
		.amdhsa_system_sgpr_workgroup_id_z 0
		.amdhsa_system_sgpr_workgroup_info 0
		.amdhsa_system_vgpr_workitem_id 0
		.amdhsa_next_free_vgpr 1
		.amdhsa_next_free_sgpr 0
		.amdhsa_accum_offset 4
		.amdhsa_reserve_vcc 0
		.amdhsa_reserve_flat_scratch 0
		.amdhsa_float_round_mode_32 0
		.amdhsa_float_round_mode_16_64 0
		.amdhsa_float_denorm_mode_32 3
		.amdhsa_float_denorm_mode_16_64 3
		.amdhsa_dx10_clamp 1
		.amdhsa_ieee_mode 1
		.amdhsa_fp16_overflow 0
		.amdhsa_tg_split 0
		.amdhsa_exception_fp_ieee_invalid_op 0
		.amdhsa_exception_fp_denorm_src 0
		.amdhsa_exception_fp_ieee_div_zero 0
		.amdhsa_exception_fp_ieee_overflow 0
		.amdhsa_exception_fp_ieee_underflow 0
		.amdhsa_exception_fp_ieee_inexact 0
		.amdhsa_exception_int_div_zero 0
	.end_amdhsa_kernel
	.section	.text._ZN7rocprim17ROCPRIM_400000_NS6detail17trampoline_kernelINS0_14default_configENS1_35radix_sort_onesweep_config_selectorIaNS0_10empty_typeEEEZNS1_34radix_sort_onesweep_global_offsetsIS3_Lb1EPaPS5_mNS0_19identity_decomposerEEE10hipError_tT1_T2_PT3_SE_jT4_jjP12ihipStream_tbEUlT_E0_NS1_11comp_targetILNS1_3genE10ELNS1_11target_archE1201ELNS1_3gpuE5ELNS1_3repE0EEENS1_52radix_sort_onesweep_histogram_config_static_selectorELNS0_4arch9wavefront6targetE1EEEvSC_,"axG",@progbits,_ZN7rocprim17ROCPRIM_400000_NS6detail17trampoline_kernelINS0_14default_configENS1_35radix_sort_onesweep_config_selectorIaNS0_10empty_typeEEEZNS1_34radix_sort_onesweep_global_offsetsIS3_Lb1EPaPS5_mNS0_19identity_decomposerEEE10hipError_tT1_T2_PT3_SE_jT4_jjP12ihipStream_tbEUlT_E0_NS1_11comp_targetILNS1_3genE10ELNS1_11target_archE1201ELNS1_3gpuE5ELNS1_3repE0EEENS1_52radix_sort_onesweep_histogram_config_static_selectorELNS0_4arch9wavefront6targetE1EEEvSC_,comdat
.Lfunc_end1637:
	.size	_ZN7rocprim17ROCPRIM_400000_NS6detail17trampoline_kernelINS0_14default_configENS1_35radix_sort_onesweep_config_selectorIaNS0_10empty_typeEEEZNS1_34radix_sort_onesweep_global_offsetsIS3_Lb1EPaPS5_mNS0_19identity_decomposerEEE10hipError_tT1_T2_PT3_SE_jT4_jjP12ihipStream_tbEUlT_E0_NS1_11comp_targetILNS1_3genE10ELNS1_11target_archE1201ELNS1_3gpuE5ELNS1_3repE0EEENS1_52radix_sort_onesweep_histogram_config_static_selectorELNS0_4arch9wavefront6targetE1EEEvSC_, .Lfunc_end1637-_ZN7rocprim17ROCPRIM_400000_NS6detail17trampoline_kernelINS0_14default_configENS1_35radix_sort_onesweep_config_selectorIaNS0_10empty_typeEEEZNS1_34radix_sort_onesweep_global_offsetsIS3_Lb1EPaPS5_mNS0_19identity_decomposerEEE10hipError_tT1_T2_PT3_SE_jT4_jjP12ihipStream_tbEUlT_E0_NS1_11comp_targetILNS1_3genE10ELNS1_11target_archE1201ELNS1_3gpuE5ELNS1_3repE0EEENS1_52radix_sort_onesweep_histogram_config_static_selectorELNS0_4arch9wavefront6targetE1EEEvSC_
                                        ; -- End function
	.section	.AMDGPU.csdata,"",@progbits
; Kernel info:
; codeLenInByte = 0
; NumSgprs: 4
; NumVgprs: 0
; NumAgprs: 0
; TotalNumVgprs: 0
; ScratchSize: 0
; MemoryBound: 0
; FloatMode: 240
; IeeeMode: 1
; LDSByteSize: 0 bytes/workgroup (compile time only)
; SGPRBlocks: 0
; VGPRBlocks: 0
; NumSGPRsForWavesPerEU: 4
; NumVGPRsForWavesPerEU: 1
; AccumOffset: 4
; Occupancy: 8
; WaveLimiterHint : 0
; COMPUTE_PGM_RSRC2:SCRATCH_EN: 0
; COMPUTE_PGM_RSRC2:USER_SGPR: 6
; COMPUTE_PGM_RSRC2:TRAP_HANDLER: 0
; COMPUTE_PGM_RSRC2:TGID_X_EN: 1
; COMPUTE_PGM_RSRC2:TGID_Y_EN: 0
; COMPUTE_PGM_RSRC2:TGID_Z_EN: 0
; COMPUTE_PGM_RSRC2:TIDIG_COMP_CNT: 0
; COMPUTE_PGM_RSRC3_GFX90A:ACCUM_OFFSET: 0
; COMPUTE_PGM_RSRC3_GFX90A:TG_SPLIT: 0
	.section	.text._ZN7rocprim17ROCPRIM_400000_NS6detail17trampoline_kernelINS0_14default_configENS1_35radix_sort_onesweep_config_selectorIaNS0_10empty_typeEEEZNS1_34radix_sort_onesweep_global_offsetsIS3_Lb1EPaPS5_mNS0_19identity_decomposerEEE10hipError_tT1_T2_PT3_SE_jT4_jjP12ihipStream_tbEUlT_E0_NS1_11comp_targetILNS1_3genE9ELNS1_11target_archE1100ELNS1_3gpuE3ELNS1_3repE0EEENS1_52radix_sort_onesweep_histogram_config_static_selectorELNS0_4arch9wavefront6targetE1EEEvSC_,"axG",@progbits,_ZN7rocprim17ROCPRIM_400000_NS6detail17trampoline_kernelINS0_14default_configENS1_35radix_sort_onesweep_config_selectorIaNS0_10empty_typeEEEZNS1_34radix_sort_onesweep_global_offsetsIS3_Lb1EPaPS5_mNS0_19identity_decomposerEEE10hipError_tT1_T2_PT3_SE_jT4_jjP12ihipStream_tbEUlT_E0_NS1_11comp_targetILNS1_3genE9ELNS1_11target_archE1100ELNS1_3gpuE3ELNS1_3repE0EEENS1_52radix_sort_onesweep_histogram_config_static_selectorELNS0_4arch9wavefront6targetE1EEEvSC_,comdat
	.protected	_ZN7rocprim17ROCPRIM_400000_NS6detail17trampoline_kernelINS0_14default_configENS1_35radix_sort_onesweep_config_selectorIaNS0_10empty_typeEEEZNS1_34radix_sort_onesweep_global_offsetsIS3_Lb1EPaPS5_mNS0_19identity_decomposerEEE10hipError_tT1_T2_PT3_SE_jT4_jjP12ihipStream_tbEUlT_E0_NS1_11comp_targetILNS1_3genE9ELNS1_11target_archE1100ELNS1_3gpuE3ELNS1_3repE0EEENS1_52radix_sort_onesweep_histogram_config_static_selectorELNS0_4arch9wavefront6targetE1EEEvSC_ ; -- Begin function _ZN7rocprim17ROCPRIM_400000_NS6detail17trampoline_kernelINS0_14default_configENS1_35radix_sort_onesweep_config_selectorIaNS0_10empty_typeEEEZNS1_34radix_sort_onesweep_global_offsetsIS3_Lb1EPaPS5_mNS0_19identity_decomposerEEE10hipError_tT1_T2_PT3_SE_jT4_jjP12ihipStream_tbEUlT_E0_NS1_11comp_targetILNS1_3genE9ELNS1_11target_archE1100ELNS1_3gpuE3ELNS1_3repE0EEENS1_52radix_sort_onesweep_histogram_config_static_selectorELNS0_4arch9wavefront6targetE1EEEvSC_
	.globl	_ZN7rocprim17ROCPRIM_400000_NS6detail17trampoline_kernelINS0_14default_configENS1_35radix_sort_onesweep_config_selectorIaNS0_10empty_typeEEEZNS1_34radix_sort_onesweep_global_offsetsIS3_Lb1EPaPS5_mNS0_19identity_decomposerEEE10hipError_tT1_T2_PT3_SE_jT4_jjP12ihipStream_tbEUlT_E0_NS1_11comp_targetILNS1_3genE9ELNS1_11target_archE1100ELNS1_3gpuE3ELNS1_3repE0EEENS1_52radix_sort_onesweep_histogram_config_static_selectorELNS0_4arch9wavefront6targetE1EEEvSC_
	.p2align	8
	.type	_ZN7rocprim17ROCPRIM_400000_NS6detail17trampoline_kernelINS0_14default_configENS1_35radix_sort_onesweep_config_selectorIaNS0_10empty_typeEEEZNS1_34radix_sort_onesweep_global_offsetsIS3_Lb1EPaPS5_mNS0_19identity_decomposerEEE10hipError_tT1_T2_PT3_SE_jT4_jjP12ihipStream_tbEUlT_E0_NS1_11comp_targetILNS1_3genE9ELNS1_11target_archE1100ELNS1_3gpuE3ELNS1_3repE0EEENS1_52radix_sort_onesweep_histogram_config_static_selectorELNS0_4arch9wavefront6targetE1EEEvSC_,@function
_ZN7rocprim17ROCPRIM_400000_NS6detail17trampoline_kernelINS0_14default_configENS1_35radix_sort_onesweep_config_selectorIaNS0_10empty_typeEEEZNS1_34radix_sort_onesweep_global_offsetsIS3_Lb1EPaPS5_mNS0_19identity_decomposerEEE10hipError_tT1_T2_PT3_SE_jT4_jjP12ihipStream_tbEUlT_E0_NS1_11comp_targetILNS1_3genE9ELNS1_11target_archE1100ELNS1_3gpuE3ELNS1_3repE0EEENS1_52radix_sort_onesweep_histogram_config_static_selectorELNS0_4arch9wavefront6targetE1EEEvSC_: ; @_ZN7rocprim17ROCPRIM_400000_NS6detail17trampoline_kernelINS0_14default_configENS1_35radix_sort_onesweep_config_selectorIaNS0_10empty_typeEEEZNS1_34radix_sort_onesweep_global_offsetsIS3_Lb1EPaPS5_mNS0_19identity_decomposerEEE10hipError_tT1_T2_PT3_SE_jT4_jjP12ihipStream_tbEUlT_E0_NS1_11comp_targetILNS1_3genE9ELNS1_11target_archE1100ELNS1_3gpuE3ELNS1_3repE0EEENS1_52radix_sort_onesweep_histogram_config_static_selectorELNS0_4arch9wavefront6targetE1EEEvSC_
; %bb.0:
	.section	.rodata,"a",@progbits
	.p2align	6, 0x0
	.amdhsa_kernel _ZN7rocprim17ROCPRIM_400000_NS6detail17trampoline_kernelINS0_14default_configENS1_35radix_sort_onesweep_config_selectorIaNS0_10empty_typeEEEZNS1_34radix_sort_onesweep_global_offsetsIS3_Lb1EPaPS5_mNS0_19identity_decomposerEEE10hipError_tT1_T2_PT3_SE_jT4_jjP12ihipStream_tbEUlT_E0_NS1_11comp_targetILNS1_3genE9ELNS1_11target_archE1100ELNS1_3gpuE3ELNS1_3repE0EEENS1_52radix_sort_onesweep_histogram_config_static_selectorELNS0_4arch9wavefront6targetE1EEEvSC_
		.amdhsa_group_segment_fixed_size 0
		.amdhsa_private_segment_fixed_size 0
		.amdhsa_kernarg_size 8
		.amdhsa_user_sgpr_count 6
		.amdhsa_user_sgpr_private_segment_buffer 1
		.amdhsa_user_sgpr_dispatch_ptr 0
		.amdhsa_user_sgpr_queue_ptr 0
		.amdhsa_user_sgpr_kernarg_segment_ptr 1
		.amdhsa_user_sgpr_dispatch_id 0
		.amdhsa_user_sgpr_flat_scratch_init 0
		.amdhsa_user_sgpr_kernarg_preload_length 0
		.amdhsa_user_sgpr_kernarg_preload_offset 0
		.amdhsa_user_sgpr_private_segment_size 0
		.amdhsa_uses_dynamic_stack 0
		.amdhsa_system_sgpr_private_segment_wavefront_offset 0
		.amdhsa_system_sgpr_workgroup_id_x 1
		.amdhsa_system_sgpr_workgroup_id_y 0
		.amdhsa_system_sgpr_workgroup_id_z 0
		.amdhsa_system_sgpr_workgroup_info 0
		.amdhsa_system_vgpr_workitem_id 0
		.amdhsa_next_free_vgpr 1
		.amdhsa_next_free_sgpr 0
		.amdhsa_accum_offset 4
		.amdhsa_reserve_vcc 0
		.amdhsa_reserve_flat_scratch 0
		.amdhsa_float_round_mode_32 0
		.amdhsa_float_round_mode_16_64 0
		.amdhsa_float_denorm_mode_32 3
		.amdhsa_float_denorm_mode_16_64 3
		.amdhsa_dx10_clamp 1
		.amdhsa_ieee_mode 1
		.amdhsa_fp16_overflow 0
		.amdhsa_tg_split 0
		.amdhsa_exception_fp_ieee_invalid_op 0
		.amdhsa_exception_fp_denorm_src 0
		.amdhsa_exception_fp_ieee_div_zero 0
		.amdhsa_exception_fp_ieee_overflow 0
		.amdhsa_exception_fp_ieee_underflow 0
		.amdhsa_exception_fp_ieee_inexact 0
		.amdhsa_exception_int_div_zero 0
	.end_amdhsa_kernel
	.section	.text._ZN7rocprim17ROCPRIM_400000_NS6detail17trampoline_kernelINS0_14default_configENS1_35radix_sort_onesweep_config_selectorIaNS0_10empty_typeEEEZNS1_34radix_sort_onesweep_global_offsetsIS3_Lb1EPaPS5_mNS0_19identity_decomposerEEE10hipError_tT1_T2_PT3_SE_jT4_jjP12ihipStream_tbEUlT_E0_NS1_11comp_targetILNS1_3genE9ELNS1_11target_archE1100ELNS1_3gpuE3ELNS1_3repE0EEENS1_52radix_sort_onesweep_histogram_config_static_selectorELNS0_4arch9wavefront6targetE1EEEvSC_,"axG",@progbits,_ZN7rocprim17ROCPRIM_400000_NS6detail17trampoline_kernelINS0_14default_configENS1_35radix_sort_onesweep_config_selectorIaNS0_10empty_typeEEEZNS1_34radix_sort_onesweep_global_offsetsIS3_Lb1EPaPS5_mNS0_19identity_decomposerEEE10hipError_tT1_T2_PT3_SE_jT4_jjP12ihipStream_tbEUlT_E0_NS1_11comp_targetILNS1_3genE9ELNS1_11target_archE1100ELNS1_3gpuE3ELNS1_3repE0EEENS1_52radix_sort_onesweep_histogram_config_static_selectorELNS0_4arch9wavefront6targetE1EEEvSC_,comdat
.Lfunc_end1638:
	.size	_ZN7rocprim17ROCPRIM_400000_NS6detail17trampoline_kernelINS0_14default_configENS1_35radix_sort_onesweep_config_selectorIaNS0_10empty_typeEEEZNS1_34radix_sort_onesweep_global_offsetsIS3_Lb1EPaPS5_mNS0_19identity_decomposerEEE10hipError_tT1_T2_PT3_SE_jT4_jjP12ihipStream_tbEUlT_E0_NS1_11comp_targetILNS1_3genE9ELNS1_11target_archE1100ELNS1_3gpuE3ELNS1_3repE0EEENS1_52radix_sort_onesweep_histogram_config_static_selectorELNS0_4arch9wavefront6targetE1EEEvSC_, .Lfunc_end1638-_ZN7rocprim17ROCPRIM_400000_NS6detail17trampoline_kernelINS0_14default_configENS1_35radix_sort_onesweep_config_selectorIaNS0_10empty_typeEEEZNS1_34radix_sort_onesweep_global_offsetsIS3_Lb1EPaPS5_mNS0_19identity_decomposerEEE10hipError_tT1_T2_PT3_SE_jT4_jjP12ihipStream_tbEUlT_E0_NS1_11comp_targetILNS1_3genE9ELNS1_11target_archE1100ELNS1_3gpuE3ELNS1_3repE0EEENS1_52radix_sort_onesweep_histogram_config_static_selectorELNS0_4arch9wavefront6targetE1EEEvSC_
                                        ; -- End function
	.section	.AMDGPU.csdata,"",@progbits
; Kernel info:
; codeLenInByte = 0
; NumSgprs: 4
; NumVgprs: 0
; NumAgprs: 0
; TotalNumVgprs: 0
; ScratchSize: 0
; MemoryBound: 0
; FloatMode: 240
; IeeeMode: 1
; LDSByteSize: 0 bytes/workgroup (compile time only)
; SGPRBlocks: 0
; VGPRBlocks: 0
; NumSGPRsForWavesPerEU: 4
; NumVGPRsForWavesPerEU: 1
; AccumOffset: 4
; Occupancy: 8
; WaveLimiterHint : 0
; COMPUTE_PGM_RSRC2:SCRATCH_EN: 0
; COMPUTE_PGM_RSRC2:USER_SGPR: 6
; COMPUTE_PGM_RSRC2:TRAP_HANDLER: 0
; COMPUTE_PGM_RSRC2:TGID_X_EN: 1
; COMPUTE_PGM_RSRC2:TGID_Y_EN: 0
; COMPUTE_PGM_RSRC2:TGID_Z_EN: 0
; COMPUTE_PGM_RSRC2:TIDIG_COMP_CNT: 0
; COMPUTE_PGM_RSRC3_GFX90A:ACCUM_OFFSET: 0
; COMPUTE_PGM_RSRC3_GFX90A:TG_SPLIT: 0
	.section	.text._ZN7rocprim17ROCPRIM_400000_NS6detail17trampoline_kernelINS0_14default_configENS1_35radix_sort_onesweep_config_selectorIaNS0_10empty_typeEEEZNS1_34radix_sort_onesweep_global_offsetsIS3_Lb1EPaPS5_mNS0_19identity_decomposerEEE10hipError_tT1_T2_PT3_SE_jT4_jjP12ihipStream_tbEUlT_E0_NS1_11comp_targetILNS1_3genE8ELNS1_11target_archE1030ELNS1_3gpuE2ELNS1_3repE0EEENS1_52radix_sort_onesweep_histogram_config_static_selectorELNS0_4arch9wavefront6targetE1EEEvSC_,"axG",@progbits,_ZN7rocprim17ROCPRIM_400000_NS6detail17trampoline_kernelINS0_14default_configENS1_35radix_sort_onesweep_config_selectorIaNS0_10empty_typeEEEZNS1_34radix_sort_onesweep_global_offsetsIS3_Lb1EPaPS5_mNS0_19identity_decomposerEEE10hipError_tT1_T2_PT3_SE_jT4_jjP12ihipStream_tbEUlT_E0_NS1_11comp_targetILNS1_3genE8ELNS1_11target_archE1030ELNS1_3gpuE2ELNS1_3repE0EEENS1_52radix_sort_onesweep_histogram_config_static_selectorELNS0_4arch9wavefront6targetE1EEEvSC_,comdat
	.protected	_ZN7rocprim17ROCPRIM_400000_NS6detail17trampoline_kernelINS0_14default_configENS1_35radix_sort_onesweep_config_selectorIaNS0_10empty_typeEEEZNS1_34radix_sort_onesweep_global_offsetsIS3_Lb1EPaPS5_mNS0_19identity_decomposerEEE10hipError_tT1_T2_PT3_SE_jT4_jjP12ihipStream_tbEUlT_E0_NS1_11comp_targetILNS1_3genE8ELNS1_11target_archE1030ELNS1_3gpuE2ELNS1_3repE0EEENS1_52radix_sort_onesweep_histogram_config_static_selectorELNS0_4arch9wavefront6targetE1EEEvSC_ ; -- Begin function _ZN7rocprim17ROCPRIM_400000_NS6detail17trampoline_kernelINS0_14default_configENS1_35radix_sort_onesweep_config_selectorIaNS0_10empty_typeEEEZNS1_34radix_sort_onesweep_global_offsetsIS3_Lb1EPaPS5_mNS0_19identity_decomposerEEE10hipError_tT1_T2_PT3_SE_jT4_jjP12ihipStream_tbEUlT_E0_NS1_11comp_targetILNS1_3genE8ELNS1_11target_archE1030ELNS1_3gpuE2ELNS1_3repE0EEENS1_52radix_sort_onesweep_histogram_config_static_selectorELNS0_4arch9wavefront6targetE1EEEvSC_
	.globl	_ZN7rocprim17ROCPRIM_400000_NS6detail17trampoline_kernelINS0_14default_configENS1_35radix_sort_onesweep_config_selectorIaNS0_10empty_typeEEEZNS1_34radix_sort_onesweep_global_offsetsIS3_Lb1EPaPS5_mNS0_19identity_decomposerEEE10hipError_tT1_T2_PT3_SE_jT4_jjP12ihipStream_tbEUlT_E0_NS1_11comp_targetILNS1_3genE8ELNS1_11target_archE1030ELNS1_3gpuE2ELNS1_3repE0EEENS1_52radix_sort_onesweep_histogram_config_static_selectorELNS0_4arch9wavefront6targetE1EEEvSC_
	.p2align	8
	.type	_ZN7rocprim17ROCPRIM_400000_NS6detail17trampoline_kernelINS0_14default_configENS1_35radix_sort_onesweep_config_selectorIaNS0_10empty_typeEEEZNS1_34radix_sort_onesweep_global_offsetsIS3_Lb1EPaPS5_mNS0_19identity_decomposerEEE10hipError_tT1_T2_PT3_SE_jT4_jjP12ihipStream_tbEUlT_E0_NS1_11comp_targetILNS1_3genE8ELNS1_11target_archE1030ELNS1_3gpuE2ELNS1_3repE0EEENS1_52radix_sort_onesweep_histogram_config_static_selectorELNS0_4arch9wavefront6targetE1EEEvSC_,@function
_ZN7rocprim17ROCPRIM_400000_NS6detail17trampoline_kernelINS0_14default_configENS1_35radix_sort_onesweep_config_selectorIaNS0_10empty_typeEEEZNS1_34radix_sort_onesweep_global_offsetsIS3_Lb1EPaPS5_mNS0_19identity_decomposerEEE10hipError_tT1_T2_PT3_SE_jT4_jjP12ihipStream_tbEUlT_E0_NS1_11comp_targetILNS1_3genE8ELNS1_11target_archE1030ELNS1_3gpuE2ELNS1_3repE0EEENS1_52radix_sort_onesweep_histogram_config_static_selectorELNS0_4arch9wavefront6targetE1EEEvSC_: ; @_ZN7rocprim17ROCPRIM_400000_NS6detail17trampoline_kernelINS0_14default_configENS1_35radix_sort_onesweep_config_selectorIaNS0_10empty_typeEEEZNS1_34radix_sort_onesweep_global_offsetsIS3_Lb1EPaPS5_mNS0_19identity_decomposerEEE10hipError_tT1_T2_PT3_SE_jT4_jjP12ihipStream_tbEUlT_E0_NS1_11comp_targetILNS1_3genE8ELNS1_11target_archE1030ELNS1_3gpuE2ELNS1_3repE0EEENS1_52radix_sort_onesweep_histogram_config_static_selectorELNS0_4arch9wavefront6targetE1EEEvSC_
; %bb.0:
	.section	.rodata,"a",@progbits
	.p2align	6, 0x0
	.amdhsa_kernel _ZN7rocprim17ROCPRIM_400000_NS6detail17trampoline_kernelINS0_14default_configENS1_35radix_sort_onesweep_config_selectorIaNS0_10empty_typeEEEZNS1_34radix_sort_onesweep_global_offsetsIS3_Lb1EPaPS5_mNS0_19identity_decomposerEEE10hipError_tT1_T2_PT3_SE_jT4_jjP12ihipStream_tbEUlT_E0_NS1_11comp_targetILNS1_3genE8ELNS1_11target_archE1030ELNS1_3gpuE2ELNS1_3repE0EEENS1_52radix_sort_onesweep_histogram_config_static_selectorELNS0_4arch9wavefront6targetE1EEEvSC_
		.amdhsa_group_segment_fixed_size 0
		.amdhsa_private_segment_fixed_size 0
		.amdhsa_kernarg_size 8
		.amdhsa_user_sgpr_count 6
		.amdhsa_user_sgpr_private_segment_buffer 1
		.amdhsa_user_sgpr_dispatch_ptr 0
		.amdhsa_user_sgpr_queue_ptr 0
		.amdhsa_user_sgpr_kernarg_segment_ptr 1
		.amdhsa_user_sgpr_dispatch_id 0
		.amdhsa_user_sgpr_flat_scratch_init 0
		.amdhsa_user_sgpr_kernarg_preload_length 0
		.amdhsa_user_sgpr_kernarg_preload_offset 0
		.amdhsa_user_sgpr_private_segment_size 0
		.amdhsa_uses_dynamic_stack 0
		.amdhsa_system_sgpr_private_segment_wavefront_offset 0
		.amdhsa_system_sgpr_workgroup_id_x 1
		.amdhsa_system_sgpr_workgroup_id_y 0
		.amdhsa_system_sgpr_workgroup_id_z 0
		.amdhsa_system_sgpr_workgroup_info 0
		.amdhsa_system_vgpr_workitem_id 0
		.amdhsa_next_free_vgpr 1
		.amdhsa_next_free_sgpr 0
		.amdhsa_accum_offset 4
		.amdhsa_reserve_vcc 0
		.amdhsa_reserve_flat_scratch 0
		.amdhsa_float_round_mode_32 0
		.amdhsa_float_round_mode_16_64 0
		.amdhsa_float_denorm_mode_32 3
		.amdhsa_float_denorm_mode_16_64 3
		.amdhsa_dx10_clamp 1
		.amdhsa_ieee_mode 1
		.amdhsa_fp16_overflow 0
		.amdhsa_tg_split 0
		.amdhsa_exception_fp_ieee_invalid_op 0
		.amdhsa_exception_fp_denorm_src 0
		.amdhsa_exception_fp_ieee_div_zero 0
		.amdhsa_exception_fp_ieee_overflow 0
		.amdhsa_exception_fp_ieee_underflow 0
		.amdhsa_exception_fp_ieee_inexact 0
		.amdhsa_exception_int_div_zero 0
	.end_amdhsa_kernel
	.section	.text._ZN7rocprim17ROCPRIM_400000_NS6detail17trampoline_kernelINS0_14default_configENS1_35radix_sort_onesweep_config_selectorIaNS0_10empty_typeEEEZNS1_34radix_sort_onesweep_global_offsetsIS3_Lb1EPaPS5_mNS0_19identity_decomposerEEE10hipError_tT1_T2_PT3_SE_jT4_jjP12ihipStream_tbEUlT_E0_NS1_11comp_targetILNS1_3genE8ELNS1_11target_archE1030ELNS1_3gpuE2ELNS1_3repE0EEENS1_52radix_sort_onesweep_histogram_config_static_selectorELNS0_4arch9wavefront6targetE1EEEvSC_,"axG",@progbits,_ZN7rocprim17ROCPRIM_400000_NS6detail17trampoline_kernelINS0_14default_configENS1_35radix_sort_onesweep_config_selectorIaNS0_10empty_typeEEEZNS1_34radix_sort_onesweep_global_offsetsIS3_Lb1EPaPS5_mNS0_19identity_decomposerEEE10hipError_tT1_T2_PT3_SE_jT4_jjP12ihipStream_tbEUlT_E0_NS1_11comp_targetILNS1_3genE8ELNS1_11target_archE1030ELNS1_3gpuE2ELNS1_3repE0EEENS1_52radix_sort_onesweep_histogram_config_static_selectorELNS0_4arch9wavefront6targetE1EEEvSC_,comdat
.Lfunc_end1639:
	.size	_ZN7rocprim17ROCPRIM_400000_NS6detail17trampoline_kernelINS0_14default_configENS1_35radix_sort_onesweep_config_selectorIaNS0_10empty_typeEEEZNS1_34radix_sort_onesweep_global_offsetsIS3_Lb1EPaPS5_mNS0_19identity_decomposerEEE10hipError_tT1_T2_PT3_SE_jT4_jjP12ihipStream_tbEUlT_E0_NS1_11comp_targetILNS1_3genE8ELNS1_11target_archE1030ELNS1_3gpuE2ELNS1_3repE0EEENS1_52radix_sort_onesweep_histogram_config_static_selectorELNS0_4arch9wavefront6targetE1EEEvSC_, .Lfunc_end1639-_ZN7rocprim17ROCPRIM_400000_NS6detail17trampoline_kernelINS0_14default_configENS1_35radix_sort_onesweep_config_selectorIaNS0_10empty_typeEEEZNS1_34radix_sort_onesweep_global_offsetsIS3_Lb1EPaPS5_mNS0_19identity_decomposerEEE10hipError_tT1_T2_PT3_SE_jT4_jjP12ihipStream_tbEUlT_E0_NS1_11comp_targetILNS1_3genE8ELNS1_11target_archE1030ELNS1_3gpuE2ELNS1_3repE0EEENS1_52radix_sort_onesweep_histogram_config_static_selectorELNS0_4arch9wavefront6targetE1EEEvSC_
                                        ; -- End function
	.section	.AMDGPU.csdata,"",@progbits
; Kernel info:
; codeLenInByte = 0
; NumSgprs: 4
; NumVgprs: 0
; NumAgprs: 0
; TotalNumVgprs: 0
; ScratchSize: 0
; MemoryBound: 0
; FloatMode: 240
; IeeeMode: 1
; LDSByteSize: 0 bytes/workgroup (compile time only)
; SGPRBlocks: 0
; VGPRBlocks: 0
; NumSGPRsForWavesPerEU: 4
; NumVGPRsForWavesPerEU: 1
; AccumOffset: 4
; Occupancy: 8
; WaveLimiterHint : 0
; COMPUTE_PGM_RSRC2:SCRATCH_EN: 0
; COMPUTE_PGM_RSRC2:USER_SGPR: 6
; COMPUTE_PGM_RSRC2:TRAP_HANDLER: 0
; COMPUTE_PGM_RSRC2:TGID_X_EN: 1
; COMPUTE_PGM_RSRC2:TGID_Y_EN: 0
; COMPUTE_PGM_RSRC2:TGID_Z_EN: 0
; COMPUTE_PGM_RSRC2:TIDIG_COMP_CNT: 0
; COMPUTE_PGM_RSRC3_GFX90A:ACCUM_OFFSET: 0
; COMPUTE_PGM_RSRC3_GFX90A:TG_SPLIT: 0
	.section	.text._ZN7rocprim17ROCPRIM_400000_NS6detail17trampoline_kernelINS0_14default_configENS1_35radix_sort_onesweep_config_selectorIaNS0_10empty_typeEEEZZNS1_29radix_sort_onesweep_iterationIS3_Lb1EPaS8_PS5_S9_mNS0_19identity_decomposerENS1_16block_id_wrapperIjLb1EEEEE10hipError_tT1_PNSt15iterator_traitsISE_E10value_typeET2_T3_PNSF_ISK_E10value_typeET4_T5_PSP_SQ_PNS1_23onesweep_lookback_stateEbbT6_jjT7_P12ihipStream_tbENKUlT_T0_SE_SJ_E_clIS8_S8_S9_S9_EEDaSX_SY_SE_SJ_EUlSX_E_NS1_11comp_targetILNS1_3genE0ELNS1_11target_archE4294967295ELNS1_3gpuE0ELNS1_3repE0EEENS1_47radix_sort_onesweep_sort_config_static_selectorELNS0_4arch9wavefront6targetE1EEEvSE_,"axG",@progbits,_ZN7rocprim17ROCPRIM_400000_NS6detail17trampoline_kernelINS0_14default_configENS1_35radix_sort_onesweep_config_selectorIaNS0_10empty_typeEEEZZNS1_29radix_sort_onesweep_iterationIS3_Lb1EPaS8_PS5_S9_mNS0_19identity_decomposerENS1_16block_id_wrapperIjLb1EEEEE10hipError_tT1_PNSt15iterator_traitsISE_E10value_typeET2_T3_PNSF_ISK_E10value_typeET4_T5_PSP_SQ_PNS1_23onesweep_lookback_stateEbbT6_jjT7_P12ihipStream_tbENKUlT_T0_SE_SJ_E_clIS8_S8_S9_S9_EEDaSX_SY_SE_SJ_EUlSX_E_NS1_11comp_targetILNS1_3genE0ELNS1_11target_archE4294967295ELNS1_3gpuE0ELNS1_3repE0EEENS1_47radix_sort_onesweep_sort_config_static_selectorELNS0_4arch9wavefront6targetE1EEEvSE_,comdat
	.protected	_ZN7rocprim17ROCPRIM_400000_NS6detail17trampoline_kernelINS0_14default_configENS1_35radix_sort_onesweep_config_selectorIaNS0_10empty_typeEEEZZNS1_29radix_sort_onesweep_iterationIS3_Lb1EPaS8_PS5_S9_mNS0_19identity_decomposerENS1_16block_id_wrapperIjLb1EEEEE10hipError_tT1_PNSt15iterator_traitsISE_E10value_typeET2_T3_PNSF_ISK_E10value_typeET4_T5_PSP_SQ_PNS1_23onesweep_lookback_stateEbbT6_jjT7_P12ihipStream_tbENKUlT_T0_SE_SJ_E_clIS8_S8_S9_S9_EEDaSX_SY_SE_SJ_EUlSX_E_NS1_11comp_targetILNS1_3genE0ELNS1_11target_archE4294967295ELNS1_3gpuE0ELNS1_3repE0EEENS1_47radix_sort_onesweep_sort_config_static_selectorELNS0_4arch9wavefront6targetE1EEEvSE_ ; -- Begin function _ZN7rocprim17ROCPRIM_400000_NS6detail17trampoline_kernelINS0_14default_configENS1_35radix_sort_onesweep_config_selectorIaNS0_10empty_typeEEEZZNS1_29radix_sort_onesweep_iterationIS3_Lb1EPaS8_PS5_S9_mNS0_19identity_decomposerENS1_16block_id_wrapperIjLb1EEEEE10hipError_tT1_PNSt15iterator_traitsISE_E10value_typeET2_T3_PNSF_ISK_E10value_typeET4_T5_PSP_SQ_PNS1_23onesweep_lookback_stateEbbT6_jjT7_P12ihipStream_tbENKUlT_T0_SE_SJ_E_clIS8_S8_S9_S9_EEDaSX_SY_SE_SJ_EUlSX_E_NS1_11comp_targetILNS1_3genE0ELNS1_11target_archE4294967295ELNS1_3gpuE0ELNS1_3repE0EEENS1_47radix_sort_onesweep_sort_config_static_selectorELNS0_4arch9wavefront6targetE1EEEvSE_
	.globl	_ZN7rocprim17ROCPRIM_400000_NS6detail17trampoline_kernelINS0_14default_configENS1_35radix_sort_onesweep_config_selectorIaNS0_10empty_typeEEEZZNS1_29radix_sort_onesweep_iterationIS3_Lb1EPaS8_PS5_S9_mNS0_19identity_decomposerENS1_16block_id_wrapperIjLb1EEEEE10hipError_tT1_PNSt15iterator_traitsISE_E10value_typeET2_T3_PNSF_ISK_E10value_typeET4_T5_PSP_SQ_PNS1_23onesweep_lookback_stateEbbT6_jjT7_P12ihipStream_tbENKUlT_T0_SE_SJ_E_clIS8_S8_S9_S9_EEDaSX_SY_SE_SJ_EUlSX_E_NS1_11comp_targetILNS1_3genE0ELNS1_11target_archE4294967295ELNS1_3gpuE0ELNS1_3repE0EEENS1_47radix_sort_onesweep_sort_config_static_selectorELNS0_4arch9wavefront6targetE1EEEvSE_
	.p2align	8
	.type	_ZN7rocprim17ROCPRIM_400000_NS6detail17trampoline_kernelINS0_14default_configENS1_35radix_sort_onesweep_config_selectorIaNS0_10empty_typeEEEZZNS1_29radix_sort_onesweep_iterationIS3_Lb1EPaS8_PS5_S9_mNS0_19identity_decomposerENS1_16block_id_wrapperIjLb1EEEEE10hipError_tT1_PNSt15iterator_traitsISE_E10value_typeET2_T3_PNSF_ISK_E10value_typeET4_T5_PSP_SQ_PNS1_23onesweep_lookback_stateEbbT6_jjT7_P12ihipStream_tbENKUlT_T0_SE_SJ_E_clIS8_S8_S9_S9_EEDaSX_SY_SE_SJ_EUlSX_E_NS1_11comp_targetILNS1_3genE0ELNS1_11target_archE4294967295ELNS1_3gpuE0ELNS1_3repE0EEENS1_47radix_sort_onesweep_sort_config_static_selectorELNS0_4arch9wavefront6targetE1EEEvSE_,@function
_ZN7rocprim17ROCPRIM_400000_NS6detail17trampoline_kernelINS0_14default_configENS1_35radix_sort_onesweep_config_selectorIaNS0_10empty_typeEEEZZNS1_29radix_sort_onesweep_iterationIS3_Lb1EPaS8_PS5_S9_mNS0_19identity_decomposerENS1_16block_id_wrapperIjLb1EEEEE10hipError_tT1_PNSt15iterator_traitsISE_E10value_typeET2_T3_PNSF_ISK_E10value_typeET4_T5_PSP_SQ_PNS1_23onesweep_lookback_stateEbbT6_jjT7_P12ihipStream_tbENKUlT_T0_SE_SJ_E_clIS8_S8_S9_S9_EEDaSX_SY_SE_SJ_EUlSX_E_NS1_11comp_targetILNS1_3genE0ELNS1_11target_archE4294967295ELNS1_3gpuE0ELNS1_3repE0EEENS1_47radix_sort_onesweep_sort_config_static_selectorELNS0_4arch9wavefront6targetE1EEEvSE_: ; @_ZN7rocprim17ROCPRIM_400000_NS6detail17trampoline_kernelINS0_14default_configENS1_35radix_sort_onesweep_config_selectorIaNS0_10empty_typeEEEZZNS1_29radix_sort_onesweep_iterationIS3_Lb1EPaS8_PS5_S9_mNS0_19identity_decomposerENS1_16block_id_wrapperIjLb1EEEEE10hipError_tT1_PNSt15iterator_traitsISE_E10value_typeET2_T3_PNSF_ISK_E10value_typeET4_T5_PSP_SQ_PNS1_23onesweep_lookback_stateEbbT6_jjT7_P12ihipStream_tbENKUlT_T0_SE_SJ_E_clIS8_S8_S9_S9_EEDaSX_SY_SE_SJ_EUlSX_E_NS1_11comp_targetILNS1_3genE0ELNS1_11target_archE4294967295ELNS1_3gpuE0ELNS1_3repE0EEENS1_47radix_sort_onesweep_sort_config_static_selectorELNS0_4arch9wavefront6targetE1EEEvSE_
; %bb.0:
	.section	.rodata,"a",@progbits
	.p2align	6, 0x0
	.amdhsa_kernel _ZN7rocprim17ROCPRIM_400000_NS6detail17trampoline_kernelINS0_14default_configENS1_35radix_sort_onesweep_config_selectorIaNS0_10empty_typeEEEZZNS1_29radix_sort_onesweep_iterationIS3_Lb1EPaS8_PS5_S9_mNS0_19identity_decomposerENS1_16block_id_wrapperIjLb1EEEEE10hipError_tT1_PNSt15iterator_traitsISE_E10value_typeET2_T3_PNSF_ISK_E10value_typeET4_T5_PSP_SQ_PNS1_23onesweep_lookback_stateEbbT6_jjT7_P12ihipStream_tbENKUlT_T0_SE_SJ_E_clIS8_S8_S9_S9_EEDaSX_SY_SE_SJ_EUlSX_E_NS1_11comp_targetILNS1_3genE0ELNS1_11target_archE4294967295ELNS1_3gpuE0ELNS1_3repE0EEENS1_47radix_sort_onesweep_sort_config_static_selectorELNS0_4arch9wavefront6targetE1EEEvSE_
		.amdhsa_group_segment_fixed_size 0
		.amdhsa_private_segment_fixed_size 0
		.amdhsa_kernarg_size 88
		.amdhsa_user_sgpr_count 6
		.amdhsa_user_sgpr_private_segment_buffer 1
		.amdhsa_user_sgpr_dispatch_ptr 0
		.amdhsa_user_sgpr_queue_ptr 0
		.amdhsa_user_sgpr_kernarg_segment_ptr 1
		.amdhsa_user_sgpr_dispatch_id 0
		.amdhsa_user_sgpr_flat_scratch_init 0
		.amdhsa_user_sgpr_kernarg_preload_length 0
		.amdhsa_user_sgpr_kernarg_preload_offset 0
		.amdhsa_user_sgpr_private_segment_size 0
		.amdhsa_uses_dynamic_stack 0
		.amdhsa_system_sgpr_private_segment_wavefront_offset 0
		.amdhsa_system_sgpr_workgroup_id_x 1
		.amdhsa_system_sgpr_workgroup_id_y 0
		.amdhsa_system_sgpr_workgroup_id_z 0
		.amdhsa_system_sgpr_workgroup_info 0
		.amdhsa_system_vgpr_workitem_id 0
		.amdhsa_next_free_vgpr 1
		.amdhsa_next_free_sgpr 0
		.amdhsa_accum_offset 4
		.amdhsa_reserve_vcc 0
		.amdhsa_reserve_flat_scratch 0
		.amdhsa_float_round_mode_32 0
		.amdhsa_float_round_mode_16_64 0
		.amdhsa_float_denorm_mode_32 3
		.amdhsa_float_denorm_mode_16_64 3
		.amdhsa_dx10_clamp 1
		.amdhsa_ieee_mode 1
		.amdhsa_fp16_overflow 0
		.amdhsa_tg_split 0
		.amdhsa_exception_fp_ieee_invalid_op 0
		.amdhsa_exception_fp_denorm_src 0
		.amdhsa_exception_fp_ieee_div_zero 0
		.amdhsa_exception_fp_ieee_overflow 0
		.amdhsa_exception_fp_ieee_underflow 0
		.amdhsa_exception_fp_ieee_inexact 0
		.amdhsa_exception_int_div_zero 0
	.end_amdhsa_kernel
	.section	.text._ZN7rocprim17ROCPRIM_400000_NS6detail17trampoline_kernelINS0_14default_configENS1_35radix_sort_onesweep_config_selectorIaNS0_10empty_typeEEEZZNS1_29radix_sort_onesweep_iterationIS3_Lb1EPaS8_PS5_S9_mNS0_19identity_decomposerENS1_16block_id_wrapperIjLb1EEEEE10hipError_tT1_PNSt15iterator_traitsISE_E10value_typeET2_T3_PNSF_ISK_E10value_typeET4_T5_PSP_SQ_PNS1_23onesweep_lookback_stateEbbT6_jjT7_P12ihipStream_tbENKUlT_T0_SE_SJ_E_clIS8_S8_S9_S9_EEDaSX_SY_SE_SJ_EUlSX_E_NS1_11comp_targetILNS1_3genE0ELNS1_11target_archE4294967295ELNS1_3gpuE0ELNS1_3repE0EEENS1_47radix_sort_onesweep_sort_config_static_selectorELNS0_4arch9wavefront6targetE1EEEvSE_,"axG",@progbits,_ZN7rocprim17ROCPRIM_400000_NS6detail17trampoline_kernelINS0_14default_configENS1_35radix_sort_onesweep_config_selectorIaNS0_10empty_typeEEEZZNS1_29radix_sort_onesweep_iterationIS3_Lb1EPaS8_PS5_S9_mNS0_19identity_decomposerENS1_16block_id_wrapperIjLb1EEEEE10hipError_tT1_PNSt15iterator_traitsISE_E10value_typeET2_T3_PNSF_ISK_E10value_typeET4_T5_PSP_SQ_PNS1_23onesweep_lookback_stateEbbT6_jjT7_P12ihipStream_tbENKUlT_T0_SE_SJ_E_clIS8_S8_S9_S9_EEDaSX_SY_SE_SJ_EUlSX_E_NS1_11comp_targetILNS1_3genE0ELNS1_11target_archE4294967295ELNS1_3gpuE0ELNS1_3repE0EEENS1_47radix_sort_onesweep_sort_config_static_selectorELNS0_4arch9wavefront6targetE1EEEvSE_,comdat
.Lfunc_end1640:
	.size	_ZN7rocprim17ROCPRIM_400000_NS6detail17trampoline_kernelINS0_14default_configENS1_35radix_sort_onesweep_config_selectorIaNS0_10empty_typeEEEZZNS1_29radix_sort_onesweep_iterationIS3_Lb1EPaS8_PS5_S9_mNS0_19identity_decomposerENS1_16block_id_wrapperIjLb1EEEEE10hipError_tT1_PNSt15iterator_traitsISE_E10value_typeET2_T3_PNSF_ISK_E10value_typeET4_T5_PSP_SQ_PNS1_23onesweep_lookback_stateEbbT6_jjT7_P12ihipStream_tbENKUlT_T0_SE_SJ_E_clIS8_S8_S9_S9_EEDaSX_SY_SE_SJ_EUlSX_E_NS1_11comp_targetILNS1_3genE0ELNS1_11target_archE4294967295ELNS1_3gpuE0ELNS1_3repE0EEENS1_47radix_sort_onesweep_sort_config_static_selectorELNS0_4arch9wavefront6targetE1EEEvSE_, .Lfunc_end1640-_ZN7rocprim17ROCPRIM_400000_NS6detail17trampoline_kernelINS0_14default_configENS1_35radix_sort_onesweep_config_selectorIaNS0_10empty_typeEEEZZNS1_29radix_sort_onesweep_iterationIS3_Lb1EPaS8_PS5_S9_mNS0_19identity_decomposerENS1_16block_id_wrapperIjLb1EEEEE10hipError_tT1_PNSt15iterator_traitsISE_E10value_typeET2_T3_PNSF_ISK_E10value_typeET4_T5_PSP_SQ_PNS1_23onesweep_lookback_stateEbbT6_jjT7_P12ihipStream_tbENKUlT_T0_SE_SJ_E_clIS8_S8_S9_S9_EEDaSX_SY_SE_SJ_EUlSX_E_NS1_11comp_targetILNS1_3genE0ELNS1_11target_archE4294967295ELNS1_3gpuE0ELNS1_3repE0EEENS1_47radix_sort_onesweep_sort_config_static_selectorELNS0_4arch9wavefront6targetE1EEEvSE_
                                        ; -- End function
	.section	.AMDGPU.csdata,"",@progbits
; Kernel info:
; codeLenInByte = 0
; NumSgprs: 4
; NumVgprs: 0
; NumAgprs: 0
; TotalNumVgprs: 0
; ScratchSize: 0
; MemoryBound: 0
; FloatMode: 240
; IeeeMode: 1
; LDSByteSize: 0 bytes/workgroup (compile time only)
; SGPRBlocks: 0
; VGPRBlocks: 0
; NumSGPRsForWavesPerEU: 4
; NumVGPRsForWavesPerEU: 1
; AccumOffset: 4
; Occupancy: 8
; WaveLimiterHint : 0
; COMPUTE_PGM_RSRC2:SCRATCH_EN: 0
; COMPUTE_PGM_RSRC2:USER_SGPR: 6
; COMPUTE_PGM_RSRC2:TRAP_HANDLER: 0
; COMPUTE_PGM_RSRC2:TGID_X_EN: 1
; COMPUTE_PGM_RSRC2:TGID_Y_EN: 0
; COMPUTE_PGM_RSRC2:TGID_Z_EN: 0
; COMPUTE_PGM_RSRC2:TIDIG_COMP_CNT: 0
; COMPUTE_PGM_RSRC3_GFX90A:ACCUM_OFFSET: 0
; COMPUTE_PGM_RSRC3_GFX90A:TG_SPLIT: 0
	.section	.text._ZN7rocprim17ROCPRIM_400000_NS6detail17trampoline_kernelINS0_14default_configENS1_35radix_sort_onesweep_config_selectorIaNS0_10empty_typeEEEZZNS1_29radix_sort_onesweep_iterationIS3_Lb1EPaS8_PS5_S9_mNS0_19identity_decomposerENS1_16block_id_wrapperIjLb1EEEEE10hipError_tT1_PNSt15iterator_traitsISE_E10value_typeET2_T3_PNSF_ISK_E10value_typeET4_T5_PSP_SQ_PNS1_23onesweep_lookback_stateEbbT6_jjT7_P12ihipStream_tbENKUlT_T0_SE_SJ_E_clIS8_S8_S9_S9_EEDaSX_SY_SE_SJ_EUlSX_E_NS1_11comp_targetILNS1_3genE6ELNS1_11target_archE950ELNS1_3gpuE13ELNS1_3repE0EEENS1_47radix_sort_onesweep_sort_config_static_selectorELNS0_4arch9wavefront6targetE1EEEvSE_,"axG",@progbits,_ZN7rocprim17ROCPRIM_400000_NS6detail17trampoline_kernelINS0_14default_configENS1_35radix_sort_onesweep_config_selectorIaNS0_10empty_typeEEEZZNS1_29radix_sort_onesweep_iterationIS3_Lb1EPaS8_PS5_S9_mNS0_19identity_decomposerENS1_16block_id_wrapperIjLb1EEEEE10hipError_tT1_PNSt15iterator_traitsISE_E10value_typeET2_T3_PNSF_ISK_E10value_typeET4_T5_PSP_SQ_PNS1_23onesweep_lookback_stateEbbT6_jjT7_P12ihipStream_tbENKUlT_T0_SE_SJ_E_clIS8_S8_S9_S9_EEDaSX_SY_SE_SJ_EUlSX_E_NS1_11comp_targetILNS1_3genE6ELNS1_11target_archE950ELNS1_3gpuE13ELNS1_3repE0EEENS1_47radix_sort_onesweep_sort_config_static_selectorELNS0_4arch9wavefront6targetE1EEEvSE_,comdat
	.protected	_ZN7rocprim17ROCPRIM_400000_NS6detail17trampoline_kernelINS0_14default_configENS1_35radix_sort_onesweep_config_selectorIaNS0_10empty_typeEEEZZNS1_29radix_sort_onesweep_iterationIS3_Lb1EPaS8_PS5_S9_mNS0_19identity_decomposerENS1_16block_id_wrapperIjLb1EEEEE10hipError_tT1_PNSt15iterator_traitsISE_E10value_typeET2_T3_PNSF_ISK_E10value_typeET4_T5_PSP_SQ_PNS1_23onesweep_lookback_stateEbbT6_jjT7_P12ihipStream_tbENKUlT_T0_SE_SJ_E_clIS8_S8_S9_S9_EEDaSX_SY_SE_SJ_EUlSX_E_NS1_11comp_targetILNS1_3genE6ELNS1_11target_archE950ELNS1_3gpuE13ELNS1_3repE0EEENS1_47radix_sort_onesweep_sort_config_static_selectorELNS0_4arch9wavefront6targetE1EEEvSE_ ; -- Begin function _ZN7rocprim17ROCPRIM_400000_NS6detail17trampoline_kernelINS0_14default_configENS1_35radix_sort_onesweep_config_selectorIaNS0_10empty_typeEEEZZNS1_29radix_sort_onesweep_iterationIS3_Lb1EPaS8_PS5_S9_mNS0_19identity_decomposerENS1_16block_id_wrapperIjLb1EEEEE10hipError_tT1_PNSt15iterator_traitsISE_E10value_typeET2_T3_PNSF_ISK_E10value_typeET4_T5_PSP_SQ_PNS1_23onesweep_lookback_stateEbbT6_jjT7_P12ihipStream_tbENKUlT_T0_SE_SJ_E_clIS8_S8_S9_S9_EEDaSX_SY_SE_SJ_EUlSX_E_NS1_11comp_targetILNS1_3genE6ELNS1_11target_archE950ELNS1_3gpuE13ELNS1_3repE0EEENS1_47radix_sort_onesweep_sort_config_static_selectorELNS0_4arch9wavefront6targetE1EEEvSE_
	.globl	_ZN7rocprim17ROCPRIM_400000_NS6detail17trampoline_kernelINS0_14default_configENS1_35radix_sort_onesweep_config_selectorIaNS0_10empty_typeEEEZZNS1_29radix_sort_onesweep_iterationIS3_Lb1EPaS8_PS5_S9_mNS0_19identity_decomposerENS1_16block_id_wrapperIjLb1EEEEE10hipError_tT1_PNSt15iterator_traitsISE_E10value_typeET2_T3_PNSF_ISK_E10value_typeET4_T5_PSP_SQ_PNS1_23onesweep_lookback_stateEbbT6_jjT7_P12ihipStream_tbENKUlT_T0_SE_SJ_E_clIS8_S8_S9_S9_EEDaSX_SY_SE_SJ_EUlSX_E_NS1_11comp_targetILNS1_3genE6ELNS1_11target_archE950ELNS1_3gpuE13ELNS1_3repE0EEENS1_47radix_sort_onesweep_sort_config_static_selectorELNS0_4arch9wavefront6targetE1EEEvSE_
	.p2align	8
	.type	_ZN7rocprim17ROCPRIM_400000_NS6detail17trampoline_kernelINS0_14default_configENS1_35radix_sort_onesweep_config_selectorIaNS0_10empty_typeEEEZZNS1_29radix_sort_onesweep_iterationIS3_Lb1EPaS8_PS5_S9_mNS0_19identity_decomposerENS1_16block_id_wrapperIjLb1EEEEE10hipError_tT1_PNSt15iterator_traitsISE_E10value_typeET2_T3_PNSF_ISK_E10value_typeET4_T5_PSP_SQ_PNS1_23onesweep_lookback_stateEbbT6_jjT7_P12ihipStream_tbENKUlT_T0_SE_SJ_E_clIS8_S8_S9_S9_EEDaSX_SY_SE_SJ_EUlSX_E_NS1_11comp_targetILNS1_3genE6ELNS1_11target_archE950ELNS1_3gpuE13ELNS1_3repE0EEENS1_47radix_sort_onesweep_sort_config_static_selectorELNS0_4arch9wavefront6targetE1EEEvSE_,@function
_ZN7rocprim17ROCPRIM_400000_NS6detail17trampoline_kernelINS0_14default_configENS1_35radix_sort_onesweep_config_selectorIaNS0_10empty_typeEEEZZNS1_29radix_sort_onesweep_iterationIS3_Lb1EPaS8_PS5_S9_mNS0_19identity_decomposerENS1_16block_id_wrapperIjLb1EEEEE10hipError_tT1_PNSt15iterator_traitsISE_E10value_typeET2_T3_PNSF_ISK_E10value_typeET4_T5_PSP_SQ_PNS1_23onesweep_lookback_stateEbbT6_jjT7_P12ihipStream_tbENKUlT_T0_SE_SJ_E_clIS8_S8_S9_S9_EEDaSX_SY_SE_SJ_EUlSX_E_NS1_11comp_targetILNS1_3genE6ELNS1_11target_archE950ELNS1_3gpuE13ELNS1_3repE0EEENS1_47radix_sort_onesweep_sort_config_static_selectorELNS0_4arch9wavefront6targetE1EEEvSE_: ; @_ZN7rocprim17ROCPRIM_400000_NS6detail17trampoline_kernelINS0_14default_configENS1_35radix_sort_onesweep_config_selectorIaNS0_10empty_typeEEEZZNS1_29radix_sort_onesweep_iterationIS3_Lb1EPaS8_PS5_S9_mNS0_19identity_decomposerENS1_16block_id_wrapperIjLb1EEEEE10hipError_tT1_PNSt15iterator_traitsISE_E10value_typeET2_T3_PNSF_ISK_E10value_typeET4_T5_PSP_SQ_PNS1_23onesweep_lookback_stateEbbT6_jjT7_P12ihipStream_tbENKUlT_T0_SE_SJ_E_clIS8_S8_S9_S9_EEDaSX_SY_SE_SJ_EUlSX_E_NS1_11comp_targetILNS1_3genE6ELNS1_11target_archE950ELNS1_3gpuE13ELNS1_3repE0EEENS1_47radix_sort_onesweep_sort_config_static_selectorELNS0_4arch9wavefront6targetE1EEEvSE_
; %bb.0:
	.section	.rodata,"a",@progbits
	.p2align	6, 0x0
	.amdhsa_kernel _ZN7rocprim17ROCPRIM_400000_NS6detail17trampoline_kernelINS0_14default_configENS1_35radix_sort_onesweep_config_selectorIaNS0_10empty_typeEEEZZNS1_29radix_sort_onesweep_iterationIS3_Lb1EPaS8_PS5_S9_mNS0_19identity_decomposerENS1_16block_id_wrapperIjLb1EEEEE10hipError_tT1_PNSt15iterator_traitsISE_E10value_typeET2_T3_PNSF_ISK_E10value_typeET4_T5_PSP_SQ_PNS1_23onesweep_lookback_stateEbbT6_jjT7_P12ihipStream_tbENKUlT_T0_SE_SJ_E_clIS8_S8_S9_S9_EEDaSX_SY_SE_SJ_EUlSX_E_NS1_11comp_targetILNS1_3genE6ELNS1_11target_archE950ELNS1_3gpuE13ELNS1_3repE0EEENS1_47radix_sort_onesweep_sort_config_static_selectorELNS0_4arch9wavefront6targetE1EEEvSE_
		.amdhsa_group_segment_fixed_size 0
		.amdhsa_private_segment_fixed_size 0
		.amdhsa_kernarg_size 88
		.amdhsa_user_sgpr_count 6
		.amdhsa_user_sgpr_private_segment_buffer 1
		.amdhsa_user_sgpr_dispatch_ptr 0
		.amdhsa_user_sgpr_queue_ptr 0
		.amdhsa_user_sgpr_kernarg_segment_ptr 1
		.amdhsa_user_sgpr_dispatch_id 0
		.amdhsa_user_sgpr_flat_scratch_init 0
		.amdhsa_user_sgpr_kernarg_preload_length 0
		.amdhsa_user_sgpr_kernarg_preload_offset 0
		.amdhsa_user_sgpr_private_segment_size 0
		.amdhsa_uses_dynamic_stack 0
		.amdhsa_system_sgpr_private_segment_wavefront_offset 0
		.amdhsa_system_sgpr_workgroup_id_x 1
		.amdhsa_system_sgpr_workgroup_id_y 0
		.amdhsa_system_sgpr_workgroup_id_z 0
		.amdhsa_system_sgpr_workgroup_info 0
		.amdhsa_system_vgpr_workitem_id 0
		.amdhsa_next_free_vgpr 1
		.amdhsa_next_free_sgpr 0
		.amdhsa_accum_offset 4
		.amdhsa_reserve_vcc 0
		.amdhsa_reserve_flat_scratch 0
		.amdhsa_float_round_mode_32 0
		.amdhsa_float_round_mode_16_64 0
		.amdhsa_float_denorm_mode_32 3
		.amdhsa_float_denorm_mode_16_64 3
		.amdhsa_dx10_clamp 1
		.amdhsa_ieee_mode 1
		.amdhsa_fp16_overflow 0
		.amdhsa_tg_split 0
		.amdhsa_exception_fp_ieee_invalid_op 0
		.amdhsa_exception_fp_denorm_src 0
		.amdhsa_exception_fp_ieee_div_zero 0
		.amdhsa_exception_fp_ieee_overflow 0
		.amdhsa_exception_fp_ieee_underflow 0
		.amdhsa_exception_fp_ieee_inexact 0
		.amdhsa_exception_int_div_zero 0
	.end_amdhsa_kernel
	.section	.text._ZN7rocprim17ROCPRIM_400000_NS6detail17trampoline_kernelINS0_14default_configENS1_35radix_sort_onesweep_config_selectorIaNS0_10empty_typeEEEZZNS1_29radix_sort_onesweep_iterationIS3_Lb1EPaS8_PS5_S9_mNS0_19identity_decomposerENS1_16block_id_wrapperIjLb1EEEEE10hipError_tT1_PNSt15iterator_traitsISE_E10value_typeET2_T3_PNSF_ISK_E10value_typeET4_T5_PSP_SQ_PNS1_23onesweep_lookback_stateEbbT6_jjT7_P12ihipStream_tbENKUlT_T0_SE_SJ_E_clIS8_S8_S9_S9_EEDaSX_SY_SE_SJ_EUlSX_E_NS1_11comp_targetILNS1_3genE6ELNS1_11target_archE950ELNS1_3gpuE13ELNS1_3repE0EEENS1_47radix_sort_onesweep_sort_config_static_selectorELNS0_4arch9wavefront6targetE1EEEvSE_,"axG",@progbits,_ZN7rocprim17ROCPRIM_400000_NS6detail17trampoline_kernelINS0_14default_configENS1_35radix_sort_onesweep_config_selectorIaNS0_10empty_typeEEEZZNS1_29radix_sort_onesweep_iterationIS3_Lb1EPaS8_PS5_S9_mNS0_19identity_decomposerENS1_16block_id_wrapperIjLb1EEEEE10hipError_tT1_PNSt15iterator_traitsISE_E10value_typeET2_T3_PNSF_ISK_E10value_typeET4_T5_PSP_SQ_PNS1_23onesweep_lookback_stateEbbT6_jjT7_P12ihipStream_tbENKUlT_T0_SE_SJ_E_clIS8_S8_S9_S9_EEDaSX_SY_SE_SJ_EUlSX_E_NS1_11comp_targetILNS1_3genE6ELNS1_11target_archE950ELNS1_3gpuE13ELNS1_3repE0EEENS1_47radix_sort_onesweep_sort_config_static_selectorELNS0_4arch9wavefront6targetE1EEEvSE_,comdat
.Lfunc_end1641:
	.size	_ZN7rocprim17ROCPRIM_400000_NS6detail17trampoline_kernelINS0_14default_configENS1_35radix_sort_onesweep_config_selectorIaNS0_10empty_typeEEEZZNS1_29radix_sort_onesweep_iterationIS3_Lb1EPaS8_PS5_S9_mNS0_19identity_decomposerENS1_16block_id_wrapperIjLb1EEEEE10hipError_tT1_PNSt15iterator_traitsISE_E10value_typeET2_T3_PNSF_ISK_E10value_typeET4_T5_PSP_SQ_PNS1_23onesweep_lookback_stateEbbT6_jjT7_P12ihipStream_tbENKUlT_T0_SE_SJ_E_clIS8_S8_S9_S9_EEDaSX_SY_SE_SJ_EUlSX_E_NS1_11comp_targetILNS1_3genE6ELNS1_11target_archE950ELNS1_3gpuE13ELNS1_3repE0EEENS1_47radix_sort_onesweep_sort_config_static_selectorELNS0_4arch9wavefront6targetE1EEEvSE_, .Lfunc_end1641-_ZN7rocprim17ROCPRIM_400000_NS6detail17trampoline_kernelINS0_14default_configENS1_35radix_sort_onesweep_config_selectorIaNS0_10empty_typeEEEZZNS1_29radix_sort_onesweep_iterationIS3_Lb1EPaS8_PS5_S9_mNS0_19identity_decomposerENS1_16block_id_wrapperIjLb1EEEEE10hipError_tT1_PNSt15iterator_traitsISE_E10value_typeET2_T3_PNSF_ISK_E10value_typeET4_T5_PSP_SQ_PNS1_23onesweep_lookback_stateEbbT6_jjT7_P12ihipStream_tbENKUlT_T0_SE_SJ_E_clIS8_S8_S9_S9_EEDaSX_SY_SE_SJ_EUlSX_E_NS1_11comp_targetILNS1_3genE6ELNS1_11target_archE950ELNS1_3gpuE13ELNS1_3repE0EEENS1_47radix_sort_onesweep_sort_config_static_selectorELNS0_4arch9wavefront6targetE1EEEvSE_
                                        ; -- End function
	.section	.AMDGPU.csdata,"",@progbits
; Kernel info:
; codeLenInByte = 0
; NumSgprs: 4
; NumVgprs: 0
; NumAgprs: 0
; TotalNumVgprs: 0
; ScratchSize: 0
; MemoryBound: 0
; FloatMode: 240
; IeeeMode: 1
; LDSByteSize: 0 bytes/workgroup (compile time only)
; SGPRBlocks: 0
; VGPRBlocks: 0
; NumSGPRsForWavesPerEU: 4
; NumVGPRsForWavesPerEU: 1
; AccumOffset: 4
; Occupancy: 8
; WaveLimiterHint : 0
; COMPUTE_PGM_RSRC2:SCRATCH_EN: 0
; COMPUTE_PGM_RSRC2:USER_SGPR: 6
; COMPUTE_PGM_RSRC2:TRAP_HANDLER: 0
; COMPUTE_PGM_RSRC2:TGID_X_EN: 1
; COMPUTE_PGM_RSRC2:TGID_Y_EN: 0
; COMPUTE_PGM_RSRC2:TGID_Z_EN: 0
; COMPUTE_PGM_RSRC2:TIDIG_COMP_CNT: 0
; COMPUTE_PGM_RSRC3_GFX90A:ACCUM_OFFSET: 0
; COMPUTE_PGM_RSRC3_GFX90A:TG_SPLIT: 0
	.section	.text._ZN7rocprim17ROCPRIM_400000_NS6detail17trampoline_kernelINS0_14default_configENS1_35radix_sort_onesweep_config_selectorIaNS0_10empty_typeEEEZZNS1_29radix_sort_onesweep_iterationIS3_Lb1EPaS8_PS5_S9_mNS0_19identity_decomposerENS1_16block_id_wrapperIjLb1EEEEE10hipError_tT1_PNSt15iterator_traitsISE_E10value_typeET2_T3_PNSF_ISK_E10value_typeET4_T5_PSP_SQ_PNS1_23onesweep_lookback_stateEbbT6_jjT7_P12ihipStream_tbENKUlT_T0_SE_SJ_E_clIS8_S8_S9_S9_EEDaSX_SY_SE_SJ_EUlSX_E_NS1_11comp_targetILNS1_3genE5ELNS1_11target_archE942ELNS1_3gpuE9ELNS1_3repE0EEENS1_47radix_sort_onesweep_sort_config_static_selectorELNS0_4arch9wavefront6targetE1EEEvSE_,"axG",@progbits,_ZN7rocprim17ROCPRIM_400000_NS6detail17trampoline_kernelINS0_14default_configENS1_35radix_sort_onesweep_config_selectorIaNS0_10empty_typeEEEZZNS1_29radix_sort_onesweep_iterationIS3_Lb1EPaS8_PS5_S9_mNS0_19identity_decomposerENS1_16block_id_wrapperIjLb1EEEEE10hipError_tT1_PNSt15iterator_traitsISE_E10value_typeET2_T3_PNSF_ISK_E10value_typeET4_T5_PSP_SQ_PNS1_23onesweep_lookback_stateEbbT6_jjT7_P12ihipStream_tbENKUlT_T0_SE_SJ_E_clIS8_S8_S9_S9_EEDaSX_SY_SE_SJ_EUlSX_E_NS1_11comp_targetILNS1_3genE5ELNS1_11target_archE942ELNS1_3gpuE9ELNS1_3repE0EEENS1_47radix_sort_onesweep_sort_config_static_selectorELNS0_4arch9wavefront6targetE1EEEvSE_,comdat
	.protected	_ZN7rocprim17ROCPRIM_400000_NS6detail17trampoline_kernelINS0_14default_configENS1_35radix_sort_onesweep_config_selectorIaNS0_10empty_typeEEEZZNS1_29radix_sort_onesweep_iterationIS3_Lb1EPaS8_PS5_S9_mNS0_19identity_decomposerENS1_16block_id_wrapperIjLb1EEEEE10hipError_tT1_PNSt15iterator_traitsISE_E10value_typeET2_T3_PNSF_ISK_E10value_typeET4_T5_PSP_SQ_PNS1_23onesweep_lookback_stateEbbT6_jjT7_P12ihipStream_tbENKUlT_T0_SE_SJ_E_clIS8_S8_S9_S9_EEDaSX_SY_SE_SJ_EUlSX_E_NS1_11comp_targetILNS1_3genE5ELNS1_11target_archE942ELNS1_3gpuE9ELNS1_3repE0EEENS1_47radix_sort_onesweep_sort_config_static_selectorELNS0_4arch9wavefront6targetE1EEEvSE_ ; -- Begin function _ZN7rocprim17ROCPRIM_400000_NS6detail17trampoline_kernelINS0_14default_configENS1_35radix_sort_onesweep_config_selectorIaNS0_10empty_typeEEEZZNS1_29radix_sort_onesweep_iterationIS3_Lb1EPaS8_PS5_S9_mNS0_19identity_decomposerENS1_16block_id_wrapperIjLb1EEEEE10hipError_tT1_PNSt15iterator_traitsISE_E10value_typeET2_T3_PNSF_ISK_E10value_typeET4_T5_PSP_SQ_PNS1_23onesweep_lookback_stateEbbT6_jjT7_P12ihipStream_tbENKUlT_T0_SE_SJ_E_clIS8_S8_S9_S9_EEDaSX_SY_SE_SJ_EUlSX_E_NS1_11comp_targetILNS1_3genE5ELNS1_11target_archE942ELNS1_3gpuE9ELNS1_3repE0EEENS1_47radix_sort_onesweep_sort_config_static_selectorELNS0_4arch9wavefront6targetE1EEEvSE_
	.globl	_ZN7rocprim17ROCPRIM_400000_NS6detail17trampoline_kernelINS0_14default_configENS1_35radix_sort_onesweep_config_selectorIaNS0_10empty_typeEEEZZNS1_29radix_sort_onesweep_iterationIS3_Lb1EPaS8_PS5_S9_mNS0_19identity_decomposerENS1_16block_id_wrapperIjLb1EEEEE10hipError_tT1_PNSt15iterator_traitsISE_E10value_typeET2_T3_PNSF_ISK_E10value_typeET4_T5_PSP_SQ_PNS1_23onesweep_lookback_stateEbbT6_jjT7_P12ihipStream_tbENKUlT_T0_SE_SJ_E_clIS8_S8_S9_S9_EEDaSX_SY_SE_SJ_EUlSX_E_NS1_11comp_targetILNS1_3genE5ELNS1_11target_archE942ELNS1_3gpuE9ELNS1_3repE0EEENS1_47radix_sort_onesweep_sort_config_static_selectorELNS0_4arch9wavefront6targetE1EEEvSE_
	.p2align	8
	.type	_ZN7rocprim17ROCPRIM_400000_NS6detail17trampoline_kernelINS0_14default_configENS1_35radix_sort_onesweep_config_selectorIaNS0_10empty_typeEEEZZNS1_29radix_sort_onesweep_iterationIS3_Lb1EPaS8_PS5_S9_mNS0_19identity_decomposerENS1_16block_id_wrapperIjLb1EEEEE10hipError_tT1_PNSt15iterator_traitsISE_E10value_typeET2_T3_PNSF_ISK_E10value_typeET4_T5_PSP_SQ_PNS1_23onesweep_lookback_stateEbbT6_jjT7_P12ihipStream_tbENKUlT_T0_SE_SJ_E_clIS8_S8_S9_S9_EEDaSX_SY_SE_SJ_EUlSX_E_NS1_11comp_targetILNS1_3genE5ELNS1_11target_archE942ELNS1_3gpuE9ELNS1_3repE0EEENS1_47radix_sort_onesweep_sort_config_static_selectorELNS0_4arch9wavefront6targetE1EEEvSE_,@function
_ZN7rocprim17ROCPRIM_400000_NS6detail17trampoline_kernelINS0_14default_configENS1_35radix_sort_onesweep_config_selectorIaNS0_10empty_typeEEEZZNS1_29radix_sort_onesweep_iterationIS3_Lb1EPaS8_PS5_S9_mNS0_19identity_decomposerENS1_16block_id_wrapperIjLb1EEEEE10hipError_tT1_PNSt15iterator_traitsISE_E10value_typeET2_T3_PNSF_ISK_E10value_typeET4_T5_PSP_SQ_PNS1_23onesweep_lookback_stateEbbT6_jjT7_P12ihipStream_tbENKUlT_T0_SE_SJ_E_clIS8_S8_S9_S9_EEDaSX_SY_SE_SJ_EUlSX_E_NS1_11comp_targetILNS1_3genE5ELNS1_11target_archE942ELNS1_3gpuE9ELNS1_3repE0EEENS1_47radix_sort_onesweep_sort_config_static_selectorELNS0_4arch9wavefront6targetE1EEEvSE_: ; @_ZN7rocprim17ROCPRIM_400000_NS6detail17trampoline_kernelINS0_14default_configENS1_35radix_sort_onesweep_config_selectorIaNS0_10empty_typeEEEZZNS1_29radix_sort_onesweep_iterationIS3_Lb1EPaS8_PS5_S9_mNS0_19identity_decomposerENS1_16block_id_wrapperIjLb1EEEEE10hipError_tT1_PNSt15iterator_traitsISE_E10value_typeET2_T3_PNSF_ISK_E10value_typeET4_T5_PSP_SQ_PNS1_23onesweep_lookback_stateEbbT6_jjT7_P12ihipStream_tbENKUlT_T0_SE_SJ_E_clIS8_S8_S9_S9_EEDaSX_SY_SE_SJ_EUlSX_E_NS1_11comp_targetILNS1_3genE5ELNS1_11target_archE942ELNS1_3gpuE9ELNS1_3repE0EEENS1_47radix_sort_onesweep_sort_config_static_selectorELNS0_4arch9wavefront6targetE1EEEvSE_
; %bb.0:
	.section	.rodata,"a",@progbits
	.p2align	6, 0x0
	.amdhsa_kernel _ZN7rocprim17ROCPRIM_400000_NS6detail17trampoline_kernelINS0_14default_configENS1_35radix_sort_onesweep_config_selectorIaNS0_10empty_typeEEEZZNS1_29radix_sort_onesweep_iterationIS3_Lb1EPaS8_PS5_S9_mNS0_19identity_decomposerENS1_16block_id_wrapperIjLb1EEEEE10hipError_tT1_PNSt15iterator_traitsISE_E10value_typeET2_T3_PNSF_ISK_E10value_typeET4_T5_PSP_SQ_PNS1_23onesweep_lookback_stateEbbT6_jjT7_P12ihipStream_tbENKUlT_T0_SE_SJ_E_clIS8_S8_S9_S9_EEDaSX_SY_SE_SJ_EUlSX_E_NS1_11comp_targetILNS1_3genE5ELNS1_11target_archE942ELNS1_3gpuE9ELNS1_3repE0EEENS1_47radix_sort_onesweep_sort_config_static_selectorELNS0_4arch9wavefront6targetE1EEEvSE_
		.amdhsa_group_segment_fixed_size 0
		.amdhsa_private_segment_fixed_size 0
		.amdhsa_kernarg_size 88
		.amdhsa_user_sgpr_count 6
		.amdhsa_user_sgpr_private_segment_buffer 1
		.amdhsa_user_sgpr_dispatch_ptr 0
		.amdhsa_user_sgpr_queue_ptr 0
		.amdhsa_user_sgpr_kernarg_segment_ptr 1
		.amdhsa_user_sgpr_dispatch_id 0
		.amdhsa_user_sgpr_flat_scratch_init 0
		.amdhsa_user_sgpr_kernarg_preload_length 0
		.amdhsa_user_sgpr_kernarg_preload_offset 0
		.amdhsa_user_sgpr_private_segment_size 0
		.amdhsa_uses_dynamic_stack 0
		.amdhsa_system_sgpr_private_segment_wavefront_offset 0
		.amdhsa_system_sgpr_workgroup_id_x 1
		.amdhsa_system_sgpr_workgroup_id_y 0
		.amdhsa_system_sgpr_workgroup_id_z 0
		.amdhsa_system_sgpr_workgroup_info 0
		.amdhsa_system_vgpr_workitem_id 0
		.amdhsa_next_free_vgpr 1
		.amdhsa_next_free_sgpr 0
		.amdhsa_accum_offset 4
		.amdhsa_reserve_vcc 0
		.amdhsa_reserve_flat_scratch 0
		.amdhsa_float_round_mode_32 0
		.amdhsa_float_round_mode_16_64 0
		.amdhsa_float_denorm_mode_32 3
		.amdhsa_float_denorm_mode_16_64 3
		.amdhsa_dx10_clamp 1
		.amdhsa_ieee_mode 1
		.amdhsa_fp16_overflow 0
		.amdhsa_tg_split 0
		.amdhsa_exception_fp_ieee_invalid_op 0
		.amdhsa_exception_fp_denorm_src 0
		.amdhsa_exception_fp_ieee_div_zero 0
		.amdhsa_exception_fp_ieee_overflow 0
		.amdhsa_exception_fp_ieee_underflow 0
		.amdhsa_exception_fp_ieee_inexact 0
		.amdhsa_exception_int_div_zero 0
	.end_amdhsa_kernel
	.section	.text._ZN7rocprim17ROCPRIM_400000_NS6detail17trampoline_kernelINS0_14default_configENS1_35radix_sort_onesweep_config_selectorIaNS0_10empty_typeEEEZZNS1_29radix_sort_onesweep_iterationIS3_Lb1EPaS8_PS5_S9_mNS0_19identity_decomposerENS1_16block_id_wrapperIjLb1EEEEE10hipError_tT1_PNSt15iterator_traitsISE_E10value_typeET2_T3_PNSF_ISK_E10value_typeET4_T5_PSP_SQ_PNS1_23onesweep_lookback_stateEbbT6_jjT7_P12ihipStream_tbENKUlT_T0_SE_SJ_E_clIS8_S8_S9_S9_EEDaSX_SY_SE_SJ_EUlSX_E_NS1_11comp_targetILNS1_3genE5ELNS1_11target_archE942ELNS1_3gpuE9ELNS1_3repE0EEENS1_47radix_sort_onesweep_sort_config_static_selectorELNS0_4arch9wavefront6targetE1EEEvSE_,"axG",@progbits,_ZN7rocprim17ROCPRIM_400000_NS6detail17trampoline_kernelINS0_14default_configENS1_35radix_sort_onesweep_config_selectorIaNS0_10empty_typeEEEZZNS1_29radix_sort_onesweep_iterationIS3_Lb1EPaS8_PS5_S9_mNS0_19identity_decomposerENS1_16block_id_wrapperIjLb1EEEEE10hipError_tT1_PNSt15iterator_traitsISE_E10value_typeET2_T3_PNSF_ISK_E10value_typeET4_T5_PSP_SQ_PNS1_23onesweep_lookback_stateEbbT6_jjT7_P12ihipStream_tbENKUlT_T0_SE_SJ_E_clIS8_S8_S9_S9_EEDaSX_SY_SE_SJ_EUlSX_E_NS1_11comp_targetILNS1_3genE5ELNS1_11target_archE942ELNS1_3gpuE9ELNS1_3repE0EEENS1_47radix_sort_onesweep_sort_config_static_selectorELNS0_4arch9wavefront6targetE1EEEvSE_,comdat
.Lfunc_end1642:
	.size	_ZN7rocprim17ROCPRIM_400000_NS6detail17trampoline_kernelINS0_14default_configENS1_35radix_sort_onesweep_config_selectorIaNS0_10empty_typeEEEZZNS1_29radix_sort_onesweep_iterationIS3_Lb1EPaS8_PS5_S9_mNS0_19identity_decomposerENS1_16block_id_wrapperIjLb1EEEEE10hipError_tT1_PNSt15iterator_traitsISE_E10value_typeET2_T3_PNSF_ISK_E10value_typeET4_T5_PSP_SQ_PNS1_23onesweep_lookback_stateEbbT6_jjT7_P12ihipStream_tbENKUlT_T0_SE_SJ_E_clIS8_S8_S9_S9_EEDaSX_SY_SE_SJ_EUlSX_E_NS1_11comp_targetILNS1_3genE5ELNS1_11target_archE942ELNS1_3gpuE9ELNS1_3repE0EEENS1_47radix_sort_onesweep_sort_config_static_selectorELNS0_4arch9wavefront6targetE1EEEvSE_, .Lfunc_end1642-_ZN7rocprim17ROCPRIM_400000_NS6detail17trampoline_kernelINS0_14default_configENS1_35radix_sort_onesweep_config_selectorIaNS0_10empty_typeEEEZZNS1_29radix_sort_onesweep_iterationIS3_Lb1EPaS8_PS5_S9_mNS0_19identity_decomposerENS1_16block_id_wrapperIjLb1EEEEE10hipError_tT1_PNSt15iterator_traitsISE_E10value_typeET2_T3_PNSF_ISK_E10value_typeET4_T5_PSP_SQ_PNS1_23onesweep_lookback_stateEbbT6_jjT7_P12ihipStream_tbENKUlT_T0_SE_SJ_E_clIS8_S8_S9_S9_EEDaSX_SY_SE_SJ_EUlSX_E_NS1_11comp_targetILNS1_3genE5ELNS1_11target_archE942ELNS1_3gpuE9ELNS1_3repE0EEENS1_47radix_sort_onesweep_sort_config_static_selectorELNS0_4arch9wavefront6targetE1EEEvSE_
                                        ; -- End function
	.section	.AMDGPU.csdata,"",@progbits
; Kernel info:
; codeLenInByte = 0
; NumSgprs: 4
; NumVgprs: 0
; NumAgprs: 0
; TotalNumVgprs: 0
; ScratchSize: 0
; MemoryBound: 0
; FloatMode: 240
; IeeeMode: 1
; LDSByteSize: 0 bytes/workgroup (compile time only)
; SGPRBlocks: 0
; VGPRBlocks: 0
; NumSGPRsForWavesPerEU: 4
; NumVGPRsForWavesPerEU: 1
; AccumOffset: 4
; Occupancy: 8
; WaveLimiterHint : 0
; COMPUTE_PGM_RSRC2:SCRATCH_EN: 0
; COMPUTE_PGM_RSRC2:USER_SGPR: 6
; COMPUTE_PGM_RSRC2:TRAP_HANDLER: 0
; COMPUTE_PGM_RSRC2:TGID_X_EN: 1
; COMPUTE_PGM_RSRC2:TGID_Y_EN: 0
; COMPUTE_PGM_RSRC2:TGID_Z_EN: 0
; COMPUTE_PGM_RSRC2:TIDIG_COMP_CNT: 0
; COMPUTE_PGM_RSRC3_GFX90A:ACCUM_OFFSET: 0
; COMPUTE_PGM_RSRC3_GFX90A:TG_SPLIT: 0
	.section	.text._ZN7rocprim17ROCPRIM_400000_NS6detail17trampoline_kernelINS0_14default_configENS1_35radix_sort_onesweep_config_selectorIaNS0_10empty_typeEEEZZNS1_29radix_sort_onesweep_iterationIS3_Lb1EPaS8_PS5_S9_mNS0_19identity_decomposerENS1_16block_id_wrapperIjLb1EEEEE10hipError_tT1_PNSt15iterator_traitsISE_E10value_typeET2_T3_PNSF_ISK_E10value_typeET4_T5_PSP_SQ_PNS1_23onesweep_lookback_stateEbbT6_jjT7_P12ihipStream_tbENKUlT_T0_SE_SJ_E_clIS8_S8_S9_S9_EEDaSX_SY_SE_SJ_EUlSX_E_NS1_11comp_targetILNS1_3genE2ELNS1_11target_archE906ELNS1_3gpuE6ELNS1_3repE0EEENS1_47radix_sort_onesweep_sort_config_static_selectorELNS0_4arch9wavefront6targetE1EEEvSE_,"axG",@progbits,_ZN7rocprim17ROCPRIM_400000_NS6detail17trampoline_kernelINS0_14default_configENS1_35radix_sort_onesweep_config_selectorIaNS0_10empty_typeEEEZZNS1_29radix_sort_onesweep_iterationIS3_Lb1EPaS8_PS5_S9_mNS0_19identity_decomposerENS1_16block_id_wrapperIjLb1EEEEE10hipError_tT1_PNSt15iterator_traitsISE_E10value_typeET2_T3_PNSF_ISK_E10value_typeET4_T5_PSP_SQ_PNS1_23onesweep_lookback_stateEbbT6_jjT7_P12ihipStream_tbENKUlT_T0_SE_SJ_E_clIS8_S8_S9_S9_EEDaSX_SY_SE_SJ_EUlSX_E_NS1_11comp_targetILNS1_3genE2ELNS1_11target_archE906ELNS1_3gpuE6ELNS1_3repE0EEENS1_47radix_sort_onesweep_sort_config_static_selectorELNS0_4arch9wavefront6targetE1EEEvSE_,comdat
	.protected	_ZN7rocprim17ROCPRIM_400000_NS6detail17trampoline_kernelINS0_14default_configENS1_35radix_sort_onesweep_config_selectorIaNS0_10empty_typeEEEZZNS1_29radix_sort_onesweep_iterationIS3_Lb1EPaS8_PS5_S9_mNS0_19identity_decomposerENS1_16block_id_wrapperIjLb1EEEEE10hipError_tT1_PNSt15iterator_traitsISE_E10value_typeET2_T3_PNSF_ISK_E10value_typeET4_T5_PSP_SQ_PNS1_23onesweep_lookback_stateEbbT6_jjT7_P12ihipStream_tbENKUlT_T0_SE_SJ_E_clIS8_S8_S9_S9_EEDaSX_SY_SE_SJ_EUlSX_E_NS1_11comp_targetILNS1_3genE2ELNS1_11target_archE906ELNS1_3gpuE6ELNS1_3repE0EEENS1_47radix_sort_onesweep_sort_config_static_selectorELNS0_4arch9wavefront6targetE1EEEvSE_ ; -- Begin function _ZN7rocprim17ROCPRIM_400000_NS6detail17trampoline_kernelINS0_14default_configENS1_35radix_sort_onesweep_config_selectorIaNS0_10empty_typeEEEZZNS1_29radix_sort_onesweep_iterationIS3_Lb1EPaS8_PS5_S9_mNS0_19identity_decomposerENS1_16block_id_wrapperIjLb1EEEEE10hipError_tT1_PNSt15iterator_traitsISE_E10value_typeET2_T3_PNSF_ISK_E10value_typeET4_T5_PSP_SQ_PNS1_23onesweep_lookback_stateEbbT6_jjT7_P12ihipStream_tbENKUlT_T0_SE_SJ_E_clIS8_S8_S9_S9_EEDaSX_SY_SE_SJ_EUlSX_E_NS1_11comp_targetILNS1_3genE2ELNS1_11target_archE906ELNS1_3gpuE6ELNS1_3repE0EEENS1_47radix_sort_onesweep_sort_config_static_selectorELNS0_4arch9wavefront6targetE1EEEvSE_
	.globl	_ZN7rocprim17ROCPRIM_400000_NS6detail17trampoline_kernelINS0_14default_configENS1_35radix_sort_onesweep_config_selectorIaNS0_10empty_typeEEEZZNS1_29radix_sort_onesweep_iterationIS3_Lb1EPaS8_PS5_S9_mNS0_19identity_decomposerENS1_16block_id_wrapperIjLb1EEEEE10hipError_tT1_PNSt15iterator_traitsISE_E10value_typeET2_T3_PNSF_ISK_E10value_typeET4_T5_PSP_SQ_PNS1_23onesweep_lookback_stateEbbT6_jjT7_P12ihipStream_tbENKUlT_T0_SE_SJ_E_clIS8_S8_S9_S9_EEDaSX_SY_SE_SJ_EUlSX_E_NS1_11comp_targetILNS1_3genE2ELNS1_11target_archE906ELNS1_3gpuE6ELNS1_3repE0EEENS1_47radix_sort_onesweep_sort_config_static_selectorELNS0_4arch9wavefront6targetE1EEEvSE_
	.p2align	8
	.type	_ZN7rocprim17ROCPRIM_400000_NS6detail17trampoline_kernelINS0_14default_configENS1_35radix_sort_onesweep_config_selectorIaNS0_10empty_typeEEEZZNS1_29radix_sort_onesweep_iterationIS3_Lb1EPaS8_PS5_S9_mNS0_19identity_decomposerENS1_16block_id_wrapperIjLb1EEEEE10hipError_tT1_PNSt15iterator_traitsISE_E10value_typeET2_T3_PNSF_ISK_E10value_typeET4_T5_PSP_SQ_PNS1_23onesweep_lookback_stateEbbT6_jjT7_P12ihipStream_tbENKUlT_T0_SE_SJ_E_clIS8_S8_S9_S9_EEDaSX_SY_SE_SJ_EUlSX_E_NS1_11comp_targetILNS1_3genE2ELNS1_11target_archE906ELNS1_3gpuE6ELNS1_3repE0EEENS1_47radix_sort_onesweep_sort_config_static_selectorELNS0_4arch9wavefront6targetE1EEEvSE_,@function
_ZN7rocprim17ROCPRIM_400000_NS6detail17trampoline_kernelINS0_14default_configENS1_35radix_sort_onesweep_config_selectorIaNS0_10empty_typeEEEZZNS1_29radix_sort_onesweep_iterationIS3_Lb1EPaS8_PS5_S9_mNS0_19identity_decomposerENS1_16block_id_wrapperIjLb1EEEEE10hipError_tT1_PNSt15iterator_traitsISE_E10value_typeET2_T3_PNSF_ISK_E10value_typeET4_T5_PSP_SQ_PNS1_23onesweep_lookback_stateEbbT6_jjT7_P12ihipStream_tbENKUlT_T0_SE_SJ_E_clIS8_S8_S9_S9_EEDaSX_SY_SE_SJ_EUlSX_E_NS1_11comp_targetILNS1_3genE2ELNS1_11target_archE906ELNS1_3gpuE6ELNS1_3repE0EEENS1_47radix_sort_onesweep_sort_config_static_selectorELNS0_4arch9wavefront6targetE1EEEvSE_: ; @_ZN7rocprim17ROCPRIM_400000_NS6detail17trampoline_kernelINS0_14default_configENS1_35radix_sort_onesweep_config_selectorIaNS0_10empty_typeEEEZZNS1_29radix_sort_onesweep_iterationIS3_Lb1EPaS8_PS5_S9_mNS0_19identity_decomposerENS1_16block_id_wrapperIjLb1EEEEE10hipError_tT1_PNSt15iterator_traitsISE_E10value_typeET2_T3_PNSF_ISK_E10value_typeET4_T5_PSP_SQ_PNS1_23onesweep_lookback_stateEbbT6_jjT7_P12ihipStream_tbENKUlT_T0_SE_SJ_E_clIS8_S8_S9_S9_EEDaSX_SY_SE_SJ_EUlSX_E_NS1_11comp_targetILNS1_3genE2ELNS1_11target_archE906ELNS1_3gpuE6ELNS1_3repE0EEENS1_47radix_sort_onesweep_sort_config_static_selectorELNS0_4arch9wavefront6targetE1EEEvSE_
; %bb.0:
	.section	.rodata,"a",@progbits
	.p2align	6, 0x0
	.amdhsa_kernel _ZN7rocprim17ROCPRIM_400000_NS6detail17trampoline_kernelINS0_14default_configENS1_35radix_sort_onesweep_config_selectorIaNS0_10empty_typeEEEZZNS1_29radix_sort_onesweep_iterationIS3_Lb1EPaS8_PS5_S9_mNS0_19identity_decomposerENS1_16block_id_wrapperIjLb1EEEEE10hipError_tT1_PNSt15iterator_traitsISE_E10value_typeET2_T3_PNSF_ISK_E10value_typeET4_T5_PSP_SQ_PNS1_23onesweep_lookback_stateEbbT6_jjT7_P12ihipStream_tbENKUlT_T0_SE_SJ_E_clIS8_S8_S9_S9_EEDaSX_SY_SE_SJ_EUlSX_E_NS1_11comp_targetILNS1_3genE2ELNS1_11target_archE906ELNS1_3gpuE6ELNS1_3repE0EEENS1_47radix_sort_onesweep_sort_config_static_selectorELNS0_4arch9wavefront6targetE1EEEvSE_
		.amdhsa_group_segment_fixed_size 0
		.amdhsa_private_segment_fixed_size 0
		.amdhsa_kernarg_size 88
		.amdhsa_user_sgpr_count 6
		.amdhsa_user_sgpr_private_segment_buffer 1
		.amdhsa_user_sgpr_dispatch_ptr 0
		.amdhsa_user_sgpr_queue_ptr 0
		.amdhsa_user_sgpr_kernarg_segment_ptr 1
		.amdhsa_user_sgpr_dispatch_id 0
		.amdhsa_user_sgpr_flat_scratch_init 0
		.amdhsa_user_sgpr_kernarg_preload_length 0
		.amdhsa_user_sgpr_kernarg_preload_offset 0
		.amdhsa_user_sgpr_private_segment_size 0
		.amdhsa_uses_dynamic_stack 0
		.amdhsa_system_sgpr_private_segment_wavefront_offset 0
		.amdhsa_system_sgpr_workgroup_id_x 1
		.amdhsa_system_sgpr_workgroup_id_y 0
		.amdhsa_system_sgpr_workgroup_id_z 0
		.amdhsa_system_sgpr_workgroup_info 0
		.amdhsa_system_vgpr_workitem_id 0
		.amdhsa_next_free_vgpr 1
		.amdhsa_next_free_sgpr 0
		.amdhsa_accum_offset 4
		.amdhsa_reserve_vcc 0
		.amdhsa_reserve_flat_scratch 0
		.amdhsa_float_round_mode_32 0
		.amdhsa_float_round_mode_16_64 0
		.amdhsa_float_denorm_mode_32 3
		.amdhsa_float_denorm_mode_16_64 3
		.amdhsa_dx10_clamp 1
		.amdhsa_ieee_mode 1
		.amdhsa_fp16_overflow 0
		.amdhsa_tg_split 0
		.amdhsa_exception_fp_ieee_invalid_op 0
		.amdhsa_exception_fp_denorm_src 0
		.amdhsa_exception_fp_ieee_div_zero 0
		.amdhsa_exception_fp_ieee_overflow 0
		.amdhsa_exception_fp_ieee_underflow 0
		.amdhsa_exception_fp_ieee_inexact 0
		.amdhsa_exception_int_div_zero 0
	.end_amdhsa_kernel
	.section	.text._ZN7rocprim17ROCPRIM_400000_NS6detail17trampoline_kernelINS0_14default_configENS1_35radix_sort_onesweep_config_selectorIaNS0_10empty_typeEEEZZNS1_29radix_sort_onesweep_iterationIS3_Lb1EPaS8_PS5_S9_mNS0_19identity_decomposerENS1_16block_id_wrapperIjLb1EEEEE10hipError_tT1_PNSt15iterator_traitsISE_E10value_typeET2_T3_PNSF_ISK_E10value_typeET4_T5_PSP_SQ_PNS1_23onesweep_lookback_stateEbbT6_jjT7_P12ihipStream_tbENKUlT_T0_SE_SJ_E_clIS8_S8_S9_S9_EEDaSX_SY_SE_SJ_EUlSX_E_NS1_11comp_targetILNS1_3genE2ELNS1_11target_archE906ELNS1_3gpuE6ELNS1_3repE0EEENS1_47radix_sort_onesweep_sort_config_static_selectorELNS0_4arch9wavefront6targetE1EEEvSE_,"axG",@progbits,_ZN7rocprim17ROCPRIM_400000_NS6detail17trampoline_kernelINS0_14default_configENS1_35radix_sort_onesweep_config_selectorIaNS0_10empty_typeEEEZZNS1_29radix_sort_onesweep_iterationIS3_Lb1EPaS8_PS5_S9_mNS0_19identity_decomposerENS1_16block_id_wrapperIjLb1EEEEE10hipError_tT1_PNSt15iterator_traitsISE_E10value_typeET2_T3_PNSF_ISK_E10value_typeET4_T5_PSP_SQ_PNS1_23onesweep_lookback_stateEbbT6_jjT7_P12ihipStream_tbENKUlT_T0_SE_SJ_E_clIS8_S8_S9_S9_EEDaSX_SY_SE_SJ_EUlSX_E_NS1_11comp_targetILNS1_3genE2ELNS1_11target_archE906ELNS1_3gpuE6ELNS1_3repE0EEENS1_47radix_sort_onesweep_sort_config_static_selectorELNS0_4arch9wavefront6targetE1EEEvSE_,comdat
.Lfunc_end1643:
	.size	_ZN7rocprim17ROCPRIM_400000_NS6detail17trampoline_kernelINS0_14default_configENS1_35radix_sort_onesweep_config_selectorIaNS0_10empty_typeEEEZZNS1_29radix_sort_onesweep_iterationIS3_Lb1EPaS8_PS5_S9_mNS0_19identity_decomposerENS1_16block_id_wrapperIjLb1EEEEE10hipError_tT1_PNSt15iterator_traitsISE_E10value_typeET2_T3_PNSF_ISK_E10value_typeET4_T5_PSP_SQ_PNS1_23onesweep_lookback_stateEbbT6_jjT7_P12ihipStream_tbENKUlT_T0_SE_SJ_E_clIS8_S8_S9_S9_EEDaSX_SY_SE_SJ_EUlSX_E_NS1_11comp_targetILNS1_3genE2ELNS1_11target_archE906ELNS1_3gpuE6ELNS1_3repE0EEENS1_47radix_sort_onesweep_sort_config_static_selectorELNS0_4arch9wavefront6targetE1EEEvSE_, .Lfunc_end1643-_ZN7rocprim17ROCPRIM_400000_NS6detail17trampoline_kernelINS0_14default_configENS1_35radix_sort_onesweep_config_selectorIaNS0_10empty_typeEEEZZNS1_29radix_sort_onesweep_iterationIS3_Lb1EPaS8_PS5_S9_mNS0_19identity_decomposerENS1_16block_id_wrapperIjLb1EEEEE10hipError_tT1_PNSt15iterator_traitsISE_E10value_typeET2_T3_PNSF_ISK_E10value_typeET4_T5_PSP_SQ_PNS1_23onesweep_lookback_stateEbbT6_jjT7_P12ihipStream_tbENKUlT_T0_SE_SJ_E_clIS8_S8_S9_S9_EEDaSX_SY_SE_SJ_EUlSX_E_NS1_11comp_targetILNS1_3genE2ELNS1_11target_archE906ELNS1_3gpuE6ELNS1_3repE0EEENS1_47radix_sort_onesweep_sort_config_static_selectorELNS0_4arch9wavefront6targetE1EEEvSE_
                                        ; -- End function
	.section	.AMDGPU.csdata,"",@progbits
; Kernel info:
; codeLenInByte = 0
; NumSgprs: 4
; NumVgprs: 0
; NumAgprs: 0
; TotalNumVgprs: 0
; ScratchSize: 0
; MemoryBound: 0
; FloatMode: 240
; IeeeMode: 1
; LDSByteSize: 0 bytes/workgroup (compile time only)
; SGPRBlocks: 0
; VGPRBlocks: 0
; NumSGPRsForWavesPerEU: 4
; NumVGPRsForWavesPerEU: 1
; AccumOffset: 4
; Occupancy: 8
; WaveLimiterHint : 0
; COMPUTE_PGM_RSRC2:SCRATCH_EN: 0
; COMPUTE_PGM_RSRC2:USER_SGPR: 6
; COMPUTE_PGM_RSRC2:TRAP_HANDLER: 0
; COMPUTE_PGM_RSRC2:TGID_X_EN: 1
; COMPUTE_PGM_RSRC2:TGID_Y_EN: 0
; COMPUTE_PGM_RSRC2:TGID_Z_EN: 0
; COMPUTE_PGM_RSRC2:TIDIG_COMP_CNT: 0
; COMPUTE_PGM_RSRC3_GFX90A:ACCUM_OFFSET: 0
; COMPUTE_PGM_RSRC3_GFX90A:TG_SPLIT: 0
	.section	.text._ZN7rocprim17ROCPRIM_400000_NS6detail17trampoline_kernelINS0_14default_configENS1_35radix_sort_onesweep_config_selectorIaNS0_10empty_typeEEEZZNS1_29radix_sort_onesweep_iterationIS3_Lb1EPaS8_PS5_S9_mNS0_19identity_decomposerENS1_16block_id_wrapperIjLb1EEEEE10hipError_tT1_PNSt15iterator_traitsISE_E10value_typeET2_T3_PNSF_ISK_E10value_typeET4_T5_PSP_SQ_PNS1_23onesweep_lookback_stateEbbT6_jjT7_P12ihipStream_tbENKUlT_T0_SE_SJ_E_clIS8_S8_S9_S9_EEDaSX_SY_SE_SJ_EUlSX_E_NS1_11comp_targetILNS1_3genE4ELNS1_11target_archE910ELNS1_3gpuE8ELNS1_3repE0EEENS1_47radix_sort_onesweep_sort_config_static_selectorELNS0_4arch9wavefront6targetE1EEEvSE_,"axG",@progbits,_ZN7rocprim17ROCPRIM_400000_NS6detail17trampoline_kernelINS0_14default_configENS1_35radix_sort_onesweep_config_selectorIaNS0_10empty_typeEEEZZNS1_29radix_sort_onesweep_iterationIS3_Lb1EPaS8_PS5_S9_mNS0_19identity_decomposerENS1_16block_id_wrapperIjLb1EEEEE10hipError_tT1_PNSt15iterator_traitsISE_E10value_typeET2_T3_PNSF_ISK_E10value_typeET4_T5_PSP_SQ_PNS1_23onesweep_lookback_stateEbbT6_jjT7_P12ihipStream_tbENKUlT_T0_SE_SJ_E_clIS8_S8_S9_S9_EEDaSX_SY_SE_SJ_EUlSX_E_NS1_11comp_targetILNS1_3genE4ELNS1_11target_archE910ELNS1_3gpuE8ELNS1_3repE0EEENS1_47radix_sort_onesweep_sort_config_static_selectorELNS0_4arch9wavefront6targetE1EEEvSE_,comdat
	.protected	_ZN7rocprim17ROCPRIM_400000_NS6detail17trampoline_kernelINS0_14default_configENS1_35radix_sort_onesweep_config_selectorIaNS0_10empty_typeEEEZZNS1_29radix_sort_onesweep_iterationIS3_Lb1EPaS8_PS5_S9_mNS0_19identity_decomposerENS1_16block_id_wrapperIjLb1EEEEE10hipError_tT1_PNSt15iterator_traitsISE_E10value_typeET2_T3_PNSF_ISK_E10value_typeET4_T5_PSP_SQ_PNS1_23onesweep_lookback_stateEbbT6_jjT7_P12ihipStream_tbENKUlT_T0_SE_SJ_E_clIS8_S8_S9_S9_EEDaSX_SY_SE_SJ_EUlSX_E_NS1_11comp_targetILNS1_3genE4ELNS1_11target_archE910ELNS1_3gpuE8ELNS1_3repE0EEENS1_47radix_sort_onesweep_sort_config_static_selectorELNS0_4arch9wavefront6targetE1EEEvSE_ ; -- Begin function _ZN7rocprim17ROCPRIM_400000_NS6detail17trampoline_kernelINS0_14default_configENS1_35radix_sort_onesweep_config_selectorIaNS0_10empty_typeEEEZZNS1_29radix_sort_onesweep_iterationIS3_Lb1EPaS8_PS5_S9_mNS0_19identity_decomposerENS1_16block_id_wrapperIjLb1EEEEE10hipError_tT1_PNSt15iterator_traitsISE_E10value_typeET2_T3_PNSF_ISK_E10value_typeET4_T5_PSP_SQ_PNS1_23onesweep_lookback_stateEbbT6_jjT7_P12ihipStream_tbENKUlT_T0_SE_SJ_E_clIS8_S8_S9_S9_EEDaSX_SY_SE_SJ_EUlSX_E_NS1_11comp_targetILNS1_3genE4ELNS1_11target_archE910ELNS1_3gpuE8ELNS1_3repE0EEENS1_47radix_sort_onesweep_sort_config_static_selectorELNS0_4arch9wavefront6targetE1EEEvSE_
	.globl	_ZN7rocprim17ROCPRIM_400000_NS6detail17trampoline_kernelINS0_14default_configENS1_35radix_sort_onesweep_config_selectorIaNS0_10empty_typeEEEZZNS1_29radix_sort_onesweep_iterationIS3_Lb1EPaS8_PS5_S9_mNS0_19identity_decomposerENS1_16block_id_wrapperIjLb1EEEEE10hipError_tT1_PNSt15iterator_traitsISE_E10value_typeET2_T3_PNSF_ISK_E10value_typeET4_T5_PSP_SQ_PNS1_23onesweep_lookback_stateEbbT6_jjT7_P12ihipStream_tbENKUlT_T0_SE_SJ_E_clIS8_S8_S9_S9_EEDaSX_SY_SE_SJ_EUlSX_E_NS1_11comp_targetILNS1_3genE4ELNS1_11target_archE910ELNS1_3gpuE8ELNS1_3repE0EEENS1_47radix_sort_onesweep_sort_config_static_selectorELNS0_4arch9wavefront6targetE1EEEvSE_
	.p2align	8
	.type	_ZN7rocprim17ROCPRIM_400000_NS6detail17trampoline_kernelINS0_14default_configENS1_35radix_sort_onesweep_config_selectorIaNS0_10empty_typeEEEZZNS1_29radix_sort_onesweep_iterationIS3_Lb1EPaS8_PS5_S9_mNS0_19identity_decomposerENS1_16block_id_wrapperIjLb1EEEEE10hipError_tT1_PNSt15iterator_traitsISE_E10value_typeET2_T3_PNSF_ISK_E10value_typeET4_T5_PSP_SQ_PNS1_23onesweep_lookback_stateEbbT6_jjT7_P12ihipStream_tbENKUlT_T0_SE_SJ_E_clIS8_S8_S9_S9_EEDaSX_SY_SE_SJ_EUlSX_E_NS1_11comp_targetILNS1_3genE4ELNS1_11target_archE910ELNS1_3gpuE8ELNS1_3repE0EEENS1_47radix_sort_onesweep_sort_config_static_selectorELNS0_4arch9wavefront6targetE1EEEvSE_,@function
_ZN7rocprim17ROCPRIM_400000_NS6detail17trampoline_kernelINS0_14default_configENS1_35radix_sort_onesweep_config_selectorIaNS0_10empty_typeEEEZZNS1_29radix_sort_onesweep_iterationIS3_Lb1EPaS8_PS5_S9_mNS0_19identity_decomposerENS1_16block_id_wrapperIjLb1EEEEE10hipError_tT1_PNSt15iterator_traitsISE_E10value_typeET2_T3_PNSF_ISK_E10value_typeET4_T5_PSP_SQ_PNS1_23onesweep_lookback_stateEbbT6_jjT7_P12ihipStream_tbENKUlT_T0_SE_SJ_E_clIS8_S8_S9_S9_EEDaSX_SY_SE_SJ_EUlSX_E_NS1_11comp_targetILNS1_3genE4ELNS1_11target_archE910ELNS1_3gpuE8ELNS1_3repE0EEENS1_47radix_sort_onesweep_sort_config_static_selectorELNS0_4arch9wavefront6targetE1EEEvSE_: ; @_ZN7rocprim17ROCPRIM_400000_NS6detail17trampoline_kernelINS0_14default_configENS1_35radix_sort_onesweep_config_selectorIaNS0_10empty_typeEEEZZNS1_29radix_sort_onesweep_iterationIS3_Lb1EPaS8_PS5_S9_mNS0_19identity_decomposerENS1_16block_id_wrapperIjLb1EEEEE10hipError_tT1_PNSt15iterator_traitsISE_E10value_typeET2_T3_PNSF_ISK_E10value_typeET4_T5_PSP_SQ_PNS1_23onesweep_lookback_stateEbbT6_jjT7_P12ihipStream_tbENKUlT_T0_SE_SJ_E_clIS8_S8_S9_S9_EEDaSX_SY_SE_SJ_EUlSX_E_NS1_11comp_targetILNS1_3genE4ELNS1_11target_archE910ELNS1_3gpuE8ELNS1_3repE0EEENS1_47radix_sort_onesweep_sort_config_static_selectorELNS0_4arch9wavefront6targetE1EEEvSE_
; %bb.0:
	s_load_dwordx4 s[8:11], s[4:5], 0x28
	s_load_dwordx2 s[6:7], s[4:5], 0x38
	s_load_dwordx4 s[16:19], s[4:5], 0x44
	v_cmp_eq_u32_e32 vcc, 0, v0
	s_and_saveexec_b64 s[0:1], vcc
	s_cbranch_execz .LBB1644_4
; %bb.1:
	s_mov_b64 s[12:13], exec
	v_mbcnt_lo_u32_b32 v1, s12, 0
	v_mbcnt_hi_u32_b32 v1, s13, v1
	v_cmp_eq_u32_e32 vcc, 0, v1
                                        ; implicit-def: $vgpr2
	s_and_saveexec_b64 s[2:3], vcc
	s_cbranch_execz .LBB1644_3
; %bb.2:
	s_load_dwordx2 s[14:15], s[4:5], 0x50
	s_bcnt1_i32_b64 s12, s[12:13]
	v_mov_b32_e32 v2, 0
	v_mov_b32_e32 v3, s12
	s_waitcnt lgkmcnt(0)
	global_atomic_add v2, v2, v3, s[14:15] glc
.LBB1644_3:
	s_or_b64 exec, exec, s[2:3]
	s_waitcnt vmcnt(0)
	v_readfirstlane_b32 s2, v2
	v_add_u32_e32 v1, s2, v1
	v_mov_b32_e32 v2, 0
	ds_write_b32 v2, v1 offset:16416
.LBB1644_4:
	s_or_b64 exec, exec, s[0:1]
	v_mov_b32_e32 v1, 0
	s_load_dwordx4 s[12:15], s[4:5], 0x0
	s_load_dword s0, s[4:5], 0x20
	s_waitcnt lgkmcnt(0)
	s_barrier
	ds_read_b32 v1, v1 offset:16416
	v_mul_u32_u24_e32 v10, 22, v0
	s_waitcnt lgkmcnt(0)
	s_barrier
	v_readfirstlane_b32 s24, v1
	v_cmp_le_u32_e32 vcc, s18, v1
	s_mul_i32 s25, s24, 0x2c00
	s_cbranch_vccz .LBB1644_124
; %bb.5:
	s_mul_i32 s26, s18, 0xffffd400
	s_add_i32 s26, s26, s0
	s_add_u32 s0, s12, s25
	s_addc_u32 s1, s13, 0
	v_mov_b32_e32 v1, s1
	v_add_co_u32_e32 v2, vcc, s0, v10
	v_addc_co_u32_e32 v3, vcc, 0, v1, vcc
	v_cmp_gt_u32_e32 vcc, s26, v10
	v_mov_b32_e32 v4, 0x80
	v_mov_b32_e32 v1, 0x80
	s_and_saveexec_b64 s[0:1], vcc
	s_cbranch_execz .LBB1644_7
; %bb.6:
	global_load_ubyte v1, v[2:3], off
.LBB1644_7:
	s_or_b64 exec, exec, s[0:1]
	v_or_b32_e32 v5, 1, v10
	v_cmp_gt_u32_e32 vcc, s26, v5
	s_and_saveexec_b64 s[0:1], vcc
	s_cbranch_execz .LBB1644_9
; %bb.8:
	global_load_ubyte v4, v[2:3], off offset:1
.LBB1644_9:
	s_or_b64 exec, exec, s[0:1]
	v_add_u32_e32 v5, 2, v10
	v_cmp_gt_u32_e32 vcc, s26, v5
	v_mov_b32_e32 v6, 0x80
	v_mov_b32_e32 v5, 0x80
	s_and_saveexec_b64 s[0:1], vcc
	s_cbranch_execz .LBB1644_11
; %bb.10:
	global_load_ubyte v5, v[2:3], off offset:2
.LBB1644_11:
	s_or_b64 exec, exec, s[0:1]
	v_add_u32_e32 v7, 3, v10
	v_cmp_gt_u32_e32 vcc, s26, v7
	s_and_saveexec_b64 s[0:1], vcc
	s_cbranch_execz .LBB1644_13
; %bb.12:
	global_load_ubyte v6, v[2:3], off offset:3
.LBB1644_13:
	s_or_b64 exec, exec, s[0:1]
	v_add_u32_e32 v7, 4, v10
	v_cmp_gt_u32_e32 vcc, s26, v7
	v_mov_b32_e32 v11, 0x80
	v_mov_b32_e32 v8, 0x80
	s_and_saveexec_b64 s[0:1], vcc
	s_cbranch_execz .LBB1644_15
; %bb.14:
	global_load_ubyte v8, v[2:3], off offset:4
.LBB1644_15:
	s_or_b64 exec, exec, s[0:1]
	v_add_u32_e32 v7, 5, v10
	v_cmp_gt_u32_e32 vcc, s26, v7
	s_and_saveexec_b64 s[0:1], vcc
	s_cbranch_execz .LBB1644_17
; %bb.16:
	global_load_ubyte v11, v[2:3], off offset:5
.LBB1644_17:
	s_or_b64 exec, exec, s[0:1]
	v_add_u32_e32 v7, 6, v10
	v_cmp_gt_u32_e32 vcc, s26, v7
	v_mov_b32_e32 v16, 0x80
	v_mov_b32_e32 v14, 0x80
	s_and_saveexec_b64 s[0:1], vcc
	s_cbranch_execz .LBB1644_19
; %bb.18:
	global_load_ubyte v14, v[2:3], off offset:6
.LBB1644_19:
	s_or_b64 exec, exec, s[0:1]
	v_add_u32_e32 v7, 7, v10
	v_cmp_gt_u32_e32 vcc, s26, v7
	s_and_saveexec_b64 s[0:1], vcc
	s_cbranch_execz .LBB1644_21
; %bb.20:
	global_load_ubyte v16, v[2:3], off offset:7
.LBB1644_21:
	s_or_b64 exec, exec, s[0:1]
	v_add_u32_e32 v7, 8, v10
	v_cmp_gt_u32_e32 vcc, s26, v7
	v_mov_b32_e32 v20, 0x80
	v_mov_b32_e32 v18, 0x80
	s_and_saveexec_b64 s[0:1], vcc
	s_cbranch_execz .LBB1644_23
; %bb.22:
	global_load_ubyte v18, v[2:3], off offset:8
.LBB1644_23:
	s_or_b64 exec, exec, s[0:1]
	v_add_u32_e32 v7, 9, v10
	v_cmp_gt_u32_e32 vcc, s26, v7
	s_and_saveexec_b64 s[0:1], vcc
	s_cbranch_execz .LBB1644_25
; %bb.24:
	global_load_ubyte v20, v[2:3], off offset:9
.LBB1644_25:
	s_or_b64 exec, exec, s[0:1]
	v_add_u32_e32 v7, 10, v10
	v_cmp_gt_u32_e32 vcc, s26, v7
	v_mov_b32_e32 v24, 0x80
	v_mov_b32_e32 v22, 0x80
	s_and_saveexec_b64 s[0:1], vcc
	s_cbranch_execz .LBB1644_27
; %bb.26:
	global_load_ubyte v22, v[2:3], off offset:10
.LBB1644_27:
	s_or_b64 exec, exec, s[0:1]
	v_add_u32_e32 v7, 11, v10
	v_cmp_gt_u32_e32 vcc, s26, v7
	s_and_saveexec_b64 s[0:1], vcc
	s_cbranch_execz .LBB1644_29
; %bb.28:
	global_load_ubyte v24, v[2:3], off offset:11
.LBB1644_29:
	s_or_b64 exec, exec, s[0:1]
	v_add_u32_e32 v7, 12, v10
	v_cmp_gt_u32_e32 vcc, s26, v7
	v_mov_b32_e32 v29, 0x80
	v_mov_b32_e32 v26, 0x80
	s_and_saveexec_b64 s[0:1], vcc
	s_cbranch_execz .LBB1644_31
; %bb.30:
	global_load_ubyte v26, v[2:3], off offset:12
.LBB1644_31:
	s_or_b64 exec, exec, s[0:1]
	v_add_u32_e32 v7, 13, v10
	v_cmp_gt_u32_e32 vcc, s26, v7
	s_and_saveexec_b64 s[0:1], vcc
	s_cbranch_execz .LBB1644_33
; %bb.32:
	global_load_ubyte v29, v[2:3], off offset:13
.LBB1644_33:
	s_or_b64 exec, exec, s[0:1]
	v_add_u32_e32 v7, 14, v10
	v_cmp_gt_u32_e32 vcc, s26, v7
	v_mov_b32_e32 v32, 0x80
	v_mov_b32_e32 v33, 0x80
	s_and_saveexec_b64 s[0:1], vcc
	s_cbranch_execz .LBB1644_35
; %bb.34:
	global_load_ubyte v33, v[2:3], off offset:14
.LBB1644_35:
	s_or_b64 exec, exec, s[0:1]
	v_add_u32_e32 v7, 15, v10
	v_cmp_gt_u32_e32 vcc, s26, v7
	s_and_saveexec_b64 s[0:1], vcc
	s_cbranch_execz .LBB1644_37
; %bb.36:
	global_load_ubyte v32, v[2:3], off offset:15
.LBB1644_37:
	s_or_b64 exec, exec, s[0:1]
	v_add_u32_e32 v7, 16, v10
	v_cmp_gt_u32_e32 vcc, s26, v7
	v_mov_b32_e32 v34, 0x80
	v_mov_b32_e32 v39, 0x80
	s_and_saveexec_b64 s[0:1], vcc
	s_cbranch_execz .LBB1644_39
; %bb.38:
	global_load_ubyte v39, v[2:3], off offset:16
.LBB1644_39:
	s_or_b64 exec, exec, s[0:1]
	v_add_u32_e32 v7, 17, v10
	v_cmp_gt_u32_e32 vcc, s26, v7
	s_and_saveexec_b64 s[0:1], vcc
	s_cbranch_execz .LBB1644_41
; %bb.40:
	global_load_ubyte v34, v[2:3], off offset:17
.LBB1644_41:
	s_or_b64 exec, exec, s[0:1]
	v_add_u32_e32 v7, 18, v10
	v_cmp_gt_u32_e32 vcc, s26, v7
	v_mov_b32_e32 v37, 0x80
	v_mov_b32_e32 v41, 0x80
	s_and_saveexec_b64 s[0:1], vcc
	s_cbranch_execz .LBB1644_43
; %bb.42:
	global_load_ubyte v41, v[2:3], off offset:18
.LBB1644_43:
	s_or_b64 exec, exec, s[0:1]
	v_add_u32_e32 v7, 19, v10
	v_cmp_gt_u32_e32 vcc, s26, v7
	s_and_saveexec_b64 s[0:1], vcc
	s_cbranch_execz .LBB1644_45
; %bb.44:
	global_load_ubyte v37, v[2:3], off offset:19
.LBB1644_45:
	s_or_b64 exec, exec, s[0:1]
	v_add_u32_e32 v7, 20, v10
	v_cmp_gt_u32_e32 vcc, s26, v7
	v_mov_b32_e32 v40, 0x80
	v_mov_b32_e32 v44, 0x80
	s_and_saveexec_b64 s[0:1], vcc
	s_cbranch_execz .LBB1644_47
; %bb.46:
	global_load_ubyte v44, v[2:3], off offset:20
.LBB1644_47:
	s_or_b64 exec, exec, s[0:1]
	v_add_u32_e32 v7, 21, v10
	v_cmp_gt_u32_e32 vcc, s26, v7
	s_and_saveexec_b64 s[0:1], vcc
	s_cbranch_execz .LBB1644_49
; %bb.48:
	global_load_ubyte v40, v[2:3], off offset:21
.LBB1644_49:
	s_or_b64 exec, exec, s[0:1]
	v_lshlrev_b32_e32 v2, 2, v0
	v_mov_b32_e32 v3, 0
	s_mov_b64 s[0:1], -1
	ds_write2st64_b32 v2, v3, v3 offset1:8
	ds_write2st64_b32 v2, v3, v3 offset0:16 offset1:24
	s_and_saveexec_b64 s[2:3], s[0:1]
	s_cbranch_execz .LBB1644_51
; %bb.50:
	ds_write_b32 v2, v3 offset:8192
.LBB1644_51:
	s_or_b64 exec, exec, s[2:3]
	s_and_saveexec_b64 s[2:3], s[0:1]
	s_cbranch_execz .LBB1644_53
; %bb.52:
	v_mov_b32_e32 v3, 0
	ds_write_b32 v2, v3 offset:10240
.LBB1644_53:
	s_or_b64 exec, exec, s[2:3]
	v_cmp_gt_u32_e64 s[0:1], 7, 6
	v_cmp_gt_u32_e64 s[18:19], 7, 5
	s_and_saveexec_b64 s[2:3], s[18:19]
	s_cbranch_execz .LBB1644_55
; %bb.54:
	v_mov_b32_e32 v3, 0
	ds_write_b32 v2, v3 offset:12288
.LBB1644_55:
	s_or_b64 exec, exec, s[2:3]
	s_and_saveexec_b64 s[2:3], s[0:1]
	s_cbranch_execz .LBB1644_57
; %bb.56:
	v_mov_b32_e32 v3, 0
	ds_write_b32 v2, v3 offset:14336
.LBB1644_57:
	s_or_b64 exec, exec, s[2:3]
	s_waitcnt vmcnt(0)
	v_xor_b32_e32 v1, 0x7f, v1
	s_lshl_b32 s0, -1, s17
	s_not_b32 s27, s0
	v_lshrrev_b32_sdwa v2, s16, v1 dst_sel:DWORD dst_unused:UNUSED_PAD src0_sel:DWORD src1_sel:BYTE_0
	v_and_b32_e32 v2, s27, v2
	v_lshrrev_b32_e32 v3, 3, v2
	v_lshlrev_b32_e32 v2, 9, v2
	s_movk_i32 s0, 0xe00
	v_and_or_b32 v2, v2, s0, v0
	v_lshlrev_b32_e32 v2, 1, v2
	v_add_lshl_u32 v2, v2, v3, 1
	ds_read_u16 v7, v2
	v_xor_b32_e32 v4, 0x7f, v4
	v_xor_b32_e32 v5, 0x7f, v5
	v_xor_b32_e32 v6, 0x7f, v6
	v_xor_b32_e32 v8, 0x7f, v8
	s_waitcnt lgkmcnt(0)
	v_add_u16_e32 v3, 1, v7
	ds_write_b16 v2, v3
	v_lshrrev_b32_sdwa v3, s16, v4 dst_sel:DWORD dst_unused:UNUSED_PAD src0_sel:DWORD src1_sel:BYTE_0
	v_and_b32_e32 v3, s27, v3
	v_lshrrev_b32_e32 v9, 3, v3
	v_lshlrev_b32_e32 v3, 9, v3
	v_and_or_b32 v3, v3, s0, v0
	v_lshlrev_b32_e32 v3, 1, v3
	v_add_lshl_u32 v3, v3, v9, 1
	ds_read_u16 v9, v3
	v_xor_b32_e32 v14, 0x7f, v14
	v_xor_b32_e32 v16, 0x7f, v16
	v_xor_b32_e32 v18, 0x7f, v18
	v_xor_b32_e32 v20, 0x7f, v20
	s_waitcnt lgkmcnt(0)
	v_add_u16_e32 v12, 1, v9
	ds_write_b16 v3, v12
	v_lshrrev_b32_sdwa v12, s16, v5 dst_sel:DWORD dst_unused:UNUSED_PAD src0_sel:DWORD src1_sel:BYTE_0
	v_and_b32_e32 v12, s27, v12
	v_lshrrev_b32_e32 v13, 3, v12
	v_lshlrev_b32_e32 v12, 9, v12
	;; [unrolled: 15-line block ×5, first 2 shown]
	v_and_or_b32 v11, v11, s0, v0
	v_lshlrev_b32_e32 v11, 1, v11
	v_add_lshl_u32 v11, v11, v19, 1
	ds_read_u16 v19, v11
	v_xor_b32_e32 v40, 0x7f, v40
	s_waitcnt lgkmcnt(0)
	v_add_u16_e32 v21, 1, v19
	ds_write_b16 v11, v21
	v_lshrrev_b32_sdwa v21, s16, v14 dst_sel:DWORD dst_unused:UNUSED_PAD src0_sel:DWORD src1_sel:BYTE_0
	v_and_b32_e32 v21, s27, v21
	v_lshrrev_b32_e32 v23, 3, v21
	v_lshlrev_b32_e32 v21, 9, v21
	v_and_or_b32 v21, v21, s0, v0
	v_lshlrev_b32_e32 v21, 1, v21
	v_add_lshl_u32 v43, v21, v23, 1
	ds_read_u16 v21, v43
	s_waitcnt lgkmcnt(0)
	v_add_u16_e32 v23, 1, v21
	ds_write_b16 v43, v23
	v_lshrrev_b32_sdwa v23, s16, v16 dst_sel:DWORD dst_unused:UNUSED_PAD src0_sel:DWORD src1_sel:BYTE_0
	v_and_b32_e32 v23, s27, v23
	v_lshrrev_b32_e32 v25, 3, v23
	v_lshlrev_b32_e32 v23, 9, v23
	v_and_or_b32 v23, v23, s0, v0
	v_lshlrev_b32_e32 v23, 1, v23
	v_add_lshl_u32 v46, v23, v25, 1
	ds_read_u16 v23, v46
	;; [unrolled: 11-line block ×16, first 2 shown]
	s_waitcnt lgkmcnt(0)
	v_add_u16_e32 v68, 1, v59
	ds_write_b16 v67, v68
	v_lshlrev_b32_e32 v68, 5, v0
	s_waitcnt lgkmcnt(0)
	s_barrier
	ds_read2_b64 v[70:73], v68 offset1:1
	ds_read2_b64 v[74:77], v68 offset0:2 offset1:3
	s_waitcnt lgkmcnt(1)
	v_add_u32_e32 v69, v71, v70
	v_add3_u32 v69, v69, v72, v73
	s_waitcnt lgkmcnt(0)
	v_add3_u32 v69, v69, v74, v75
	v_add3_u32 v70, v69, v76, v77
	v_mbcnt_lo_u32_b32 v69, -1, 0
	v_mbcnt_hi_u32_b32 v69, -1, v69
	v_and_b32_e32 v71, 15, v69
	v_mov_b32_dpp v72, v70 row_shr:1 row_mask:0xf bank_mask:0xf
	v_cmp_ne_u32_e32 vcc, 0, v71
	v_cndmask_b32_e32 v72, 0, v72, vcc
	v_add_u32_e32 v70, v72, v70
	v_cmp_lt_u32_e32 vcc, 1, v71
	s_nop 0
	v_mov_b32_dpp v72, v70 row_shr:2 row_mask:0xf bank_mask:0xf
	v_cndmask_b32_e32 v72, 0, v72, vcc
	v_add_u32_e32 v70, v70, v72
	v_cmp_lt_u32_e32 vcc, 3, v71
	s_nop 0
	v_mov_b32_dpp v72, v70 row_shr:4 row_mask:0xf bank_mask:0xf
	;; [unrolled: 5-line block ×3, first 2 shown]
	v_cndmask_b32_e32 v71, 0, v72, vcc
	v_add_u32_e32 v70, v70, v71
	v_bfe_i32 v72, v69, 4, 1
	v_cmp_lt_u32_e32 vcc, 31, v69
	v_mov_b32_dpp v71, v70 row_bcast:15 row_mask:0xf bank_mask:0xf
	v_and_b32_e32 v71, v72, v71
	v_add_u32_e32 v70, v70, v71
	v_or_b32_e32 v72, 63, v0
	s_nop 0
	v_mov_b32_dpp v71, v70 row_bcast:31 row_mask:0xf bank_mask:0xf
	v_cndmask_b32_e32 v71, 0, v71, vcc
	v_add_u32_e32 v70, v70, v71
	v_lshrrev_b32_e32 v71, 6, v0
	v_cmp_eq_u32_e32 vcc, v72, v0
	v_lshlrev_b32_e32 v71, 2, v71
	s_and_saveexec_b64 s[0:1], vcc
	s_cbranch_execz .LBB1644_59
; %bb.58:
	ds_write_b32 v71, v70 offset:16384
.LBB1644_59:
	s_or_b64 exec, exec, s[0:1]
	v_cmp_gt_u32_e32 vcc, 8, v0
	s_waitcnt lgkmcnt(0)
	s_barrier
	s_and_saveexec_b64 s[0:1], vcc
	s_cbranch_execz .LBB1644_61
; %bb.60:
	s_movk_i32 s2, 0xffe4
	v_mad_i32_i24 v72, v0, s2, v68
	ds_read_b32 v73, v72 offset:16384
	v_and_b32_e32 v74, 7, v69
	v_cmp_ne_u32_e32 vcc, 0, v74
	s_waitcnt lgkmcnt(0)
	v_mov_b32_dpp v75, v73 row_shr:1 row_mask:0xf bank_mask:0xf
	v_cndmask_b32_e32 v75, 0, v75, vcc
	v_add_u32_e32 v73, v75, v73
	v_cmp_lt_u32_e32 vcc, 1, v74
	s_nop 0
	v_mov_b32_dpp v75, v73 row_shr:2 row_mask:0xf bank_mask:0xf
	v_cndmask_b32_e32 v75, 0, v75, vcc
	v_add_u32_e32 v73, v73, v75
	v_cmp_lt_u32_e32 vcc, 3, v74
	s_nop 0
	v_mov_b32_dpp v75, v73 row_shr:4 row_mask:0xf bank_mask:0xf
	v_cndmask_b32_e32 v74, 0, v75, vcc
	v_add_u32_e32 v73, v73, v74
	ds_write_b32 v72, v73 offset:16384
.LBB1644_61:
	s_or_b64 exec, exec, s[0:1]
	v_cmp_lt_u32_e32 vcc, 63, v0
	v_mov_b32_e32 v73, 0
	v_mov_b32_e32 v72, 0
	s_waitcnt lgkmcnt(0)
	s_barrier
	s_and_saveexec_b64 s[0:1], vcc
	s_cbranch_execz .LBB1644_63
; %bb.62:
	ds_read_b32 v72, v71 offset:16380
.LBB1644_63:
	s_or_b64 exec, exec, s[0:1]
	v_add_u32_e32 v71, -1, v69
	v_and_b32_e32 v74, 64, v69
	v_cmp_lt_i32_e32 vcc, v71, v74
	v_cndmask_b32_e32 v71, v71, v69, vcc
	s_waitcnt lgkmcnt(0)
	v_add_u32_e32 v70, v72, v70
	v_lshlrev_b32_e32 v71, 2, v71
	ds_bpermute_b32 v70, v71, v70
	ds_read_b32 v71, v73 offset:16412
	ds_read2_b64 v[74:77], v68 offset1:1
	v_cmp_eq_u32_e32 vcc, 0, v69
	ds_read_b32 v78, v68 offset:24
	s_waitcnt lgkmcnt(3)
	v_cndmask_b32_e32 v69, v70, v72, vcc
	ds_read_b64 v[72:73], v68 offset:16
	s_waitcnt lgkmcnt(3)
	v_lshl_add_u32 v70, v71, 16, v69
	s_waitcnt lgkmcnt(2)
	v_add_u32_e32 v71, v70, v74
	v_add_u32_e32 v74, v75, v71
	;; [unrolled: 1-line block ×3, first 2 shown]
	ds_write2_b64 v68, v[70:71], v[74:75] offset1:1
	v_add_u32_e32 v70, v77, v75
	s_waitcnt lgkmcnt(1)
	v_add_u32_e32 v71, v72, v70
	v_add_u32_e32 v72, v73, v71
	;; [unrolled: 1-line block ×3, first 2 shown]
	ds_write2_b64 v68, v[70:71], v[72:73] offset0:2 offset1:3
	s_waitcnt lgkmcnt(0)
	s_barrier
	ds_read_u16 v68, v2
	ds_read_u16 v69, v3
	;; [unrolled: 1-line block ×22, first 2 shown]
	v_cmp_gt_u32_e32 vcc, 16, v0
	v_pk_mov_b32 v[2:3], 0, 0
                                        ; implicit-def: $vgpr11
	s_and_saveexec_b64 s[2:3], vcc
	s_cbranch_execz .LBB1644_67
; %bb.64:
	v_lshrrev_b32_e32 v2, 3, v0
	v_lshlrev_b32_e32 v3, 10, v0
	s_movk_i32 s20, 0x1c00
	v_and_or_b32 v2, v3, s20, v2
	v_lshlrev_b32_e32 v2, 1, v2
	ds_read_u16 v2, v2
	v_add_u32_e32 v11, 1, v0
	v_cmp_ne_u32_e64 s[0:1], 16, v11
	v_mov_b32_e32 v3, 0x2c00
	s_and_saveexec_b64 s[18:19], s[0:1]
	s_cbranch_execz .LBB1644_66
; %bb.65:
	v_lshlrev_b32_e32 v3, 10, v11
	v_lshrrev_b32_e32 v11, 3, v11
	v_and_or_b32 v3, v3, s20, v11
	v_lshlrev_b32_e32 v3, 1, v3
	ds_read_u16 v3, v3
.LBB1644_66:
	s_or_b64 exec, exec, s[18:19]
	s_waitcnt lgkmcnt(0)
	v_and_b32_e32 v2, 0xffff, v2
	s_mov_b32 s0, 0
	v_sub_u32_e32 v11, v3, v2
	v_mov_b32_e32 v3, s0
.LBB1644_67:
	s_or_b64 exec, exec, s[2:3]
	s_waitcnt lgkmcnt(14)
	v_add_u32_sdwa v7, v68, v7 dst_sel:DWORD dst_unused:UNUSED_PAD src0_sel:WORD_0 src1_sel:WORD_0
	v_add_u32_sdwa v9, v69, v9 dst_sel:DWORD dst_unused:UNUSED_PAD src0_sel:WORD_0 src1_sel:WORD_0
	;; [unrolled: 1-line block ×8, first 2 shown]
	s_waitcnt lgkmcnt(13)
	v_add_u32_sdwa v25, v48, v25 dst_sel:DWORD dst_unused:UNUSED_PAD src0_sel:WORD_0 src1_sel:WORD_0
	s_waitcnt lgkmcnt(12)
	v_add_u32_sdwa v27, v50, v27 dst_sel:DWORD dst_unused:UNUSED_PAD src0_sel:WORD_0 src1_sel:WORD_0
	;; [unrolled: 2-line block ×14, first 2 shown]
	s_barrier
	ds_write_b8 v7, v1 offset:128
	ds_write_b8 v9, v4 offset:128
	;; [unrolled: 1-line block ×22, first 2 shown]
	s_and_saveexec_b64 s[2:3], vcc
	s_cbranch_execz .LBB1644_77
; %bb.68:
	v_lshl_or_b32 v4, s24, 4, v0
	v_mov_b32_e32 v5, 0
	v_lshlrev_b64 v[6:7], 2, v[4:5]
	v_mov_b32_e32 v1, s7
	v_add_co_u32_e64 v6, s[0:1], s6, v6
	v_addc_co_u32_e64 v7, s[0:1], v1, v7, s[0:1]
	v_or_b32_e32 v4, 2.0, v11
	s_mov_b64 s[18:19], 0
	s_brev_b32 s28, 1
	s_mov_b32 s29, s24
	v_mov_b32_e32 v12, 0
	global_store_dword v[6:7], v4, off
                                        ; implicit-def: $sgpr0_sgpr1
	s_branch .LBB1644_70
.LBB1644_69:                            ;   in Loop: Header=BB1644_70 Depth=1
	s_or_b64 exec, exec, s[20:21]
	v_and_b32_e32 v8, 0x3fffffff, v13
	v_add_u32_e32 v12, v8, v12
	v_cmp_eq_u32_e64 s[0:1], s28, v4
	s_and_b64 s[20:21], exec, s[0:1]
	s_or_b64 s[18:19], s[20:21], s[18:19]
	s_andn2_b64 exec, exec, s[18:19]
	s_cbranch_execz .LBB1644_76
.LBB1644_70:                            ; =>This Loop Header: Depth=1
                                        ;     Child Loop BB1644_73 Depth 2
	s_or_b64 s[0:1], s[0:1], exec
	s_cmp_eq_u32 s29, 0
	s_cbranch_scc1 .LBB1644_75
; %bb.71:                               ;   in Loop: Header=BB1644_70 Depth=1
	s_add_i32 s29, s29, -1
	v_lshl_or_b32 v4, s29, 4, v0
	v_lshlrev_b64 v[8:9], 2, v[4:5]
	v_add_co_u32_e64 v8, s[0:1], s6, v8
	v_addc_co_u32_e64 v9, s[0:1], v1, v9, s[0:1]
	global_load_dword v13, v[8:9], off glc
	s_waitcnt vmcnt(0)
	v_and_b32_e32 v4, -2.0, v13
	v_cmp_eq_u32_e64 s[0:1], 0, v4
	s_and_saveexec_b64 s[20:21], s[0:1]
	s_cbranch_execz .LBB1644_69
; %bb.72:                               ;   in Loop: Header=BB1644_70 Depth=1
	s_mov_b64 s[22:23], 0
.LBB1644_73:                            ;   Parent Loop BB1644_70 Depth=1
                                        ; =>  This Inner Loop Header: Depth=2
	global_load_dword v13, v[8:9], off glc
	s_waitcnt vmcnt(0)
	v_and_b32_e32 v4, -2.0, v13
	v_cmp_ne_u32_e64 s[0:1], 0, v4
	s_or_b64 s[22:23], s[0:1], s[22:23]
	s_andn2_b64 exec, exec, s[22:23]
	s_cbranch_execnz .LBB1644_73
; %bb.74:                               ;   in Loop: Header=BB1644_70 Depth=1
	s_or_b64 exec, exec, s[22:23]
	s_branch .LBB1644_69
.LBB1644_75:                            ;   in Loop: Header=BB1644_70 Depth=1
                                        ; implicit-def: $sgpr29
	s_and_b64 s[20:21], exec, s[0:1]
	s_or_b64 s[18:19], s[20:21], s[18:19]
	s_andn2_b64 exec, exec, s[18:19]
	s_cbranch_execnz .LBB1644_70
.LBB1644_76:
	s_or_b64 exec, exec, s[18:19]
	v_add_u32_e32 v1, v12, v11
	v_or_b32_e32 v1, 0x80000000, v1
	global_store_dword v[6:7], v1, off
	v_lshlrev_b32_e32 v1, 3, v0
	global_load_dwordx2 v[4:5], v1, s[8:9]
	v_sub_co_u32_e64 v6, s[0:1], v12, v2
	v_subb_co_u32_e64 v7, s[0:1], 0, v3, s[0:1]
	s_waitcnt vmcnt(0)
	v_add_co_u32_e64 v4, s[0:1], v6, v4
	v_addc_co_u32_e64 v5, s[0:1], v7, v5, s[0:1]
	ds_write_b64 v1, v[4:5]
.LBB1644_77:
	s_or_b64 exec, exec, s[2:3]
	v_cmp_gt_u32_e64 s[0:1], s26, v0
	s_waitcnt lgkmcnt(0)
	s_barrier
	s_and_saveexec_b64 s[2:3], s[0:1]
	s_cbranch_execz .LBB1644_79
; %bb.78:
	ds_read_u8 v1, v0 offset:128
	v_mov_b32_e32 v6, s15
	s_waitcnt lgkmcnt(0)
	v_lshrrev_b32_sdwa v4, s16, v1 dst_sel:DWORD dst_unused:UNUSED_PAD src0_sel:DWORD src1_sel:BYTE_0
	v_and_b32_e32 v4, s27, v4
	v_lshlrev_b32_e32 v4, 3, v4
	ds_read_b64 v[4:5], v4
	v_xor_b32_e32 v1, 0x7f, v1
	s_waitcnt lgkmcnt(0)
	v_add_co_u32_e64 v4, s[0:1], s14, v4
	v_addc_co_u32_e64 v5, s[0:1], v6, v5, s[0:1]
	v_add_co_u32_e64 v4, s[0:1], v4, v0
	v_addc_co_u32_e64 v5, s[0:1], 0, v5, s[0:1]
	global_store_byte v[4:5], v1, off
.LBB1644_79:
	s_or_b64 exec, exec, s[2:3]
	v_or_b32_e32 v1, 0x200, v0
	v_cmp_gt_u32_e64 s[0:1], s26, v1
	s_and_saveexec_b64 s[2:3], s[0:1]
	s_cbranch_execz .LBB1644_81
; %bb.80:
	ds_read_u8 v1, v0 offset:640
	v_mov_b32_e32 v6, s15
	s_waitcnt lgkmcnt(0)
	v_lshrrev_b32_sdwa v4, s16, v1 dst_sel:DWORD dst_unused:UNUSED_PAD src0_sel:DWORD src1_sel:BYTE_0
	v_and_b32_e32 v4, s27, v4
	v_lshlrev_b32_e32 v4, 3, v4
	ds_read_b64 v[4:5], v4
	v_xor_b32_e32 v1, 0x7f, v1
	s_waitcnt lgkmcnt(0)
	v_add_co_u32_e64 v4, s[0:1], s14, v4
	v_addc_co_u32_e64 v5, s[0:1], v6, v5, s[0:1]
	v_add_co_u32_e64 v4, s[0:1], v4, v0
	v_addc_co_u32_e64 v5, s[0:1], 0, v5, s[0:1]
	global_store_byte v[4:5], v1, off offset:512
.LBB1644_81:
	s_or_b64 exec, exec, s[2:3]
	v_or_b32_e32 v1, 0x400, v0
	v_cmp_gt_u32_e64 s[0:1], s26, v1
	s_and_saveexec_b64 s[2:3], s[0:1]
	s_cbranch_execz .LBB1644_83
; %bb.82:
	ds_read_u8 v1, v0 offset:1152
	v_mov_b32_e32 v6, s15
	s_waitcnt lgkmcnt(0)
	v_lshrrev_b32_sdwa v4, s16, v1 dst_sel:DWORD dst_unused:UNUSED_PAD src0_sel:DWORD src1_sel:BYTE_0
	v_and_b32_e32 v4, s27, v4
	v_lshlrev_b32_e32 v4, 3, v4
	ds_read_b64 v[4:5], v4
	v_xor_b32_e32 v1, 0x7f, v1
	s_waitcnt lgkmcnt(0)
	v_add_co_u32_e64 v4, s[0:1], s14, v4
	v_addc_co_u32_e64 v5, s[0:1], v6, v5, s[0:1]
	v_add_co_u32_e64 v4, s[0:1], v4, v0
	v_addc_co_u32_e64 v5, s[0:1], 0, v5, s[0:1]
	global_store_byte v[4:5], v1, off offset:1024
.LBB1644_83:
	;; [unrolled: 21-line block ×7, first 2 shown]
	s_or_b64 exec, exec, s[2:3]
	v_or_b32_e32 v1, 0x1000, v0
	v_cmp_gt_u32_e64 s[0:1], s26, v1
	s_and_saveexec_b64 s[2:3], s[0:1]
	s_cbranch_execz .LBB1644_95
; %bb.94:
	ds_read_u8 v6, v0 offset:4224
	v_mov_b32_e32 v7, s15
	s_waitcnt lgkmcnt(0)
	v_lshrrev_b32_sdwa v4, s16, v6 dst_sel:DWORD dst_unused:UNUSED_PAD src0_sel:DWORD src1_sel:BYTE_0
	v_and_b32_e32 v4, s27, v4
	v_lshlrev_b32_e32 v4, 3, v4
	ds_read_b64 v[4:5], v4
	v_xor_b32_e32 v6, 0x7f, v6
	s_waitcnt lgkmcnt(0)
	v_add_co_u32_e64 v4, s[0:1], s14, v4
	v_addc_co_u32_e64 v5, s[0:1], v7, v5, s[0:1]
	v_add_co_u32_e64 v4, s[0:1], v4, v1
	v_addc_co_u32_e64 v5, s[0:1], 0, v5, s[0:1]
	global_store_byte v[4:5], v6, off
.LBB1644_95:
	s_or_b64 exec, exec, s[2:3]
	v_or_b32_e32 v1, 0x1200, v0
	v_cmp_gt_u32_e64 s[0:1], s26, v1
	s_and_saveexec_b64 s[2:3], s[0:1]
	s_cbranch_execz .LBB1644_97
; %bb.96:
	ds_read_u8 v6, v0 offset:4736
	v_mov_b32_e32 v7, s15
	s_waitcnt lgkmcnt(0)
	v_lshrrev_b32_sdwa v4, s16, v6 dst_sel:DWORD dst_unused:UNUSED_PAD src0_sel:DWORD src1_sel:BYTE_0
	v_and_b32_e32 v4, s27, v4
	v_lshlrev_b32_e32 v4, 3, v4
	ds_read_b64 v[4:5], v4
	v_xor_b32_e32 v6, 0x7f, v6
	s_waitcnt lgkmcnt(0)
	v_add_co_u32_e64 v4, s[0:1], s14, v4
	v_addc_co_u32_e64 v5, s[0:1], v7, v5, s[0:1]
	v_add_co_u32_e64 v4, s[0:1], v4, v1
	v_addc_co_u32_e64 v5, s[0:1], 0, v5, s[0:1]
	global_store_byte v[4:5], v6, off
.LBB1644_97:
	;; [unrolled: 21-line block ×14, first 2 shown]
	s_or_b64 exec, exec, s[2:3]
	s_load_dword s2, s[4:5], 0x58
	s_mov_b64 s[0:1], 0
	s_mov_b64 s[18:19], 0
                                        ; implicit-def: $vgpr4_vgpr5
	s_waitcnt lgkmcnt(0)
	s_add_i32 s2, s2, -1
	s_cmp_eq_u32 s2, s24
	s_cselect_b64 s[2:3], -1, 0
	s_and_b64 s[2:3], vcc, s[2:3]
	s_and_saveexec_b64 s[20:21], s[2:3]
	s_xor_b64 s[2:3], exec, s[20:21]
; %bb.122:
	v_add_co_u32_e32 v4, vcc, v2, v11
	s_mov_b64 s[18:19], exec
	v_mov_b32_e32 v1, 0
	v_addc_co_u32_e32 v5, vcc, 0, v3, vcc
; %bb.123:
	s_or_b64 exec, exec, s[2:3]
	s_and_b64 vcc, exec, s[0:1]
	s_cbranch_vccnz .LBB1644_125
	s_branch .LBB1644_158
.LBB1644_124:
	s_mov_b64 s[18:19], 0
                                        ; implicit-def: $vgpr4_vgpr5
	s_cbranch_execz .LBB1644_158
.LBB1644_125:
	s_add_u32 s0, s12, s25
	s_addc_u32 s1, s13, 0
	global_load_ushort v7, v10, s[0:1] offset:20
	global_load_dwordx4 v[2:5], v10, s[0:1]
	global_load_dword v6, v10, s[0:1] offset:16
	v_mov_b32_e32 v9, 8
	s_mov_b32 s12, 0x3020104
	v_lshlrev_b32_e32 v1, 2, v0
	v_mov_b32_e32 v8, 0
	s_mov_b64 s[0:1], -1
	ds_write2st64_b32 v1, v8, v8 offset1:8
	ds_write2st64_b32 v1, v8, v8 offset0:16 offset1:24
	s_waitcnt vmcnt(2)
	v_lshrrev_b32_sdwa v9, v9, v7 dst_sel:BYTE_1 dst_unused:UNUSED_PAD src0_sel:DWORD src1_sel:DWORD
	v_or_b32_sdwa v7, v7, v9 dst_sel:DWORD dst_unused:UNUSED_PAD src0_sel:BYTE_0 src1_sel:DWORD
	s_and_saveexec_b64 s[2:3], s[0:1]
	s_cbranch_execz .LBB1644_127
; %bb.126:
	ds_write_b32 v1, v8 offset:8192
.LBB1644_127:
	s_or_b64 exec, exec, s[2:3]
	v_and_b32_e32 v7, 0xffff, v7
	s_waitcnt vmcnt(0)
	v_perm_b32 v6, v6, v6, s12
	s_and_saveexec_b64 s[2:3], s[0:1]
	s_cbranch_execz .LBB1644_129
; %bb.128:
	v_mov_b32_e32 v8, 0
	ds_write_b32 v1, v8 offset:10240
.LBB1644_129:
	s_or_b64 exec, exec, s[2:3]
	v_cmp_gt_u32_e64 s[0:1], 7, 6
	v_cmp_gt_u32_e64 s[12:13], 7, 5
	s_and_saveexec_b64 s[2:3], s[12:13]
	s_cbranch_execz .LBB1644_131
; %bb.130:
	v_mov_b32_e32 v8, 0
	ds_write_b32 v1, v8 offset:12288
.LBB1644_131:
	s_or_b64 exec, exec, s[2:3]
	s_and_saveexec_b64 s[2:3], s[0:1]
	s_cbranch_execz .LBB1644_133
; %bb.132:
	v_mov_b32_e32 v8, 0
	ds_write_b32 v1, v8 offset:14336
.LBB1644_133:
	s_or_b64 exec, exec, s[2:3]
	v_xor_b32_e32 v1, 0x7f, v2
	s_lshl_b32 s0, -1, s17
	s_not_b32 s17, s0
	v_lshrrev_b32_sdwa v8, s16, v1 dst_sel:DWORD dst_unused:UNUSED_PAD src0_sel:DWORD src1_sel:BYTE_0
	v_and_b32_e32 v8, s17, v8
	v_lshrrev_b32_e32 v9, 3, v8
	v_lshlrev_b32_e32 v8, 9, v8
	s_movk_i32 s0, 0xe00
	v_and_or_b32 v8, v8, s0, v0
	v_lshlrev_b32_e32 v8, 1, v8
	v_add_lshl_u32 v10, v8, v9, 1
	ds_read_u16 v12, v10
	v_lshrrev_b32_e32 v8, 8, v2
	v_xor_b32_e32 v8, 0x7f, v8
	s_movk_i32 s1, 0x7f
	v_lshrrev_b64 v[18:19], 24, v[2:3]
	s_waitcnt lgkmcnt(0)
	v_add_u16_e32 v9, 1, v12
	ds_write_b16 v10, v9
	v_lshrrev_b32_sdwa v9, s16, v8 dst_sel:DWORD dst_unused:UNUSED_PAD src0_sel:DWORD src1_sel:BYTE_0
	v_and_b32_e32 v9, s17, v9
	v_lshrrev_b32_e32 v11, 3, v9
	v_lshlrev_b32_e32 v9, 9, v9
	v_and_or_b32 v9, v9, s0, v0
	v_lshlrev_b32_e32 v9, 1, v9
	v_add_lshl_u32 v27, v9, v11, 1
	ds_read_u16 v14, v27
	v_xor_b32_sdwa v9, v2, s1 dst_sel:DWORD dst_unused:UNUSED_PAD src0_sel:WORD_1 src1_sel:DWORD
	v_lshrrev_b64 v[36:37], 24, v[4:5]
	v_lshrrev_b64 v[64:65], 24, v[6:7]
	s_waitcnt lgkmcnt(0)
	v_add_u16_e32 v11, 1, v14
	ds_write_b16 v27, v11
	v_lshrrev_b32_sdwa v11, s16, v9 dst_sel:DWORD dst_unused:UNUSED_PAD src0_sel:DWORD src1_sel:BYTE_0
	v_and_b32_e32 v11, s17, v11
	v_lshrrev_b32_e32 v13, 3, v11
	v_lshlrev_b32_e32 v11, 9, v11
	v_and_or_b32 v11, v11, s0, v0
	v_lshlrev_b32_e32 v11, 1, v11
	v_add_lshl_u32 v30, v11, v13, 1
	ds_read_u16 v16, v30
	v_xor_b32_e32 v11, 0x7f, v18
	s_waitcnt lgkmcnt(0)
	v_add_u16_e32 v2, 1, v16
	ds_write_b16 v30, v2
	v_lshrrev_b32_sdwa v2, s16, v11 dst_sel:DWORD dst_unused:UNUSED_PAD src0_sel:DWORD src1_sel:BYTE_0
	v_and_b32_e32 v2, s17, v2
	v_lshrrev_b32_e32 v13, 3, v2
	v_lshlrev_b32_e32 v2, 9, v2
	v_and_or_b32 v2, v2, s0, v0
	v_lshlrev_b32_e32 v2, 1, v2
	v_add_lshl_u32 v2, v2, v13, 1
	ds_read_u16 v18, v2
	v_xor_b32_e32 v13, 0x7f, v3
	s_waitcnt lgkmcnt(0)
	v_add_u16_e32 v15, 1, v18
	ds_write_b16 v2, v15
	v_lshrrev_b32_sdwa v15, s16, v13 dst_sel:DWORD dst_unused:UNUSED_PAD src0_sel:DWORD src1_sel:BYTE_0
	v_and_b32_e32 v15, s17, v15
	v_lshrrev_b32_e32 v17, 3, v15
	v_lshlrev_b32_e32 v15, 9, v15
	v_and_or_b32 v15, v15, s0, v0
	v_lshlrev_b32_e32 v15, 1, v15
	v_add_lshl_u32 v35, v15, v17, 1
	ds_read_u16 v20, v35
	v_lshrrev_b32_e32 v15, 8, v3
	v_xor_b32_e32 v15, 0x7f, v15
	s_waitcnt lgkmcnt(0)
	v_add_u16_e32 v17, 1, v20
	ds_write_b16 v35, v17
	v_lshrrev_b32_sdwa v17, s16, v15 dst_sel:DWORD dst_unused:UNUSED_PAD src0_sel:DWORD src1_sel:BYTE_0
	v_and_b32_e32 v17, s17, v17
	v_lshrrev_b32_e32 v19, 3, v17
	v_lshlrev_b32_e32 v17, 9, v17
	v_and_or_b32 v17, v17, s0, v0
	v_lshlrev_b32_e32 v17, 1, v17
	v_add_lshl_u32 v38, v17, v19, 1
	ds_read_u16 v22, v38
	v_xor_b32_sdwa v17, v3, s1 dst_sel:DWORD dst_unused:UNUSED_PAD src0_sel:WORD_1 src1_sel:DWORD
	s_waitcnt lgkmcnt(0)
	v_add_u16_e32 v19, 1, v22
	ds_write_b16 v38, v19
	v_lshrrev_b32_sdwa v19, s16, v17 dst_sel:DWORD dst_unused:UNUSED_PAD src0_sel:DWORD src1_sel:BYTE_0
	v_and_b32_e32 v19, s17, v19
	v_lshrrev_b32_e32 v21, 3, v19
	v_lshlrev_b32_e32 v19, 9, v19
	v_and_or_b32 v19, v19, s0, v0
	v_lshlrev_b32_e32 v19, 1, v19
	v_add_lshl_u32 v40, v19, v21, 1
	ds_read_u16 v24, v40
	v_xor_b32_sdwa v19, v3, s1 dst_sel:DWORD dst_unused:UNUSED_PAD src0_sel:BYTE_3 src1_sel:DWORD
	s_waitcnt lgkmcnt(0)
	v_add_u16_e32 v3, 1, v24
	ds_write_b16 v40, v3
	v_lshrrev_b32_sdwa v3, s16, v19 dst_sel:DWORD dst_unused:UNUSED_PAD src0_sel:DWORD src1_sel:WORD_0
	v_and_b32_e32 v3, s17, v3
	v_lshrrev_b32_e32 v21, 3, v3
	v_lshlrev_b32_e32 v3, 9, v3
	v_and_or_b32 v3, v3, s0, v0
	v_lshlrev_b32_e32 v3, 1, v3
	v_add_lshl_u32 v3, v3, v21, 1
	ds_read_u16 v26, v3
	v_xor_b32_e32 v21, 0x7f, v4
	s_waitcnt lgkmcnt(0)
	v_add_u16_e32 v23, 1, v26
	ds_write_b16 v3, v23
	v_lshrrev_b32_sdwa v23, s16, v21 dst_sel:DWORD dst_unused:UNUSED_PAD src0_sel:DWORD src1_sel:BYTE_0
	v_and_b32_e32 v23, s17, v23
	v_lshrrev_b32_e32 v25, 3, v23
	v_lshlrev_b32_e32 v23, 9, v23
	v_and_or_b32 v23, v23, s0, v0
	v_lshlrev_b32_e32 v23, 1, v23
	v_add_lshl_u32 v45, v23, v25, 1
	ds_read_u16 v28, v45
	v_lshrrev_b32_e32 v23, 8, v4
	v_xor_b32_e32 v23, 0x7f, v23
	s_waitcnt lgkmcnt(0)
	v_add_u16_e32 v25, 1, v28
	ds_write_b16 v45, v25
	v_lshrrev_b32_sdwa v25, s16, v23 dst_sel:DWORD dst_unused:UNUSED_PAD src0_sel:DWORD src1_sel:BYTE_0
	v_and_b32_e32 v25, s17, v25
	v_lshrrev_b32_e32 v29, 3, v25
	v_lshlrev_b32_e32 v25, 9, v25
	v_and_or_b32 v25, v25, s0, v0
	v_lshlrev_b32_e32 v25, 1, v25
	v_add_lshl_u32 v48, v25, v29, 1
	ds_read_u16 v31, v48
	v_xor_b32_sdwa v25, v4, s1 dst_sel:DWORD dst_unused:UNUSED_PAD src0_sel:WORD_1 src1_sel:DWORD
	v_xor_b32_e32 v4, 0x7f, v36
	s_waitcnt lgkmcnt(0)
	v_add_u16_e32 v29, 1, v31
	ds_write_b16 v48, v29
	v_lshrrev_b32_sdwa v29, s16, v25 dst_sel:DWORD dst_unused:UNUSED_PAD src0_sel:DWORD src1_sel:BYTE_0
	v_and_b32_e32 v29, s17, v29
	v_lshrrev_b32_e32 v32, 3, v29
	v_lshlrev_b32_e32 v29, 9, v29
	v_and_or_b32 v29, v29, s0, v0
	v_lshlrev_b32_e32 v29, 1, v29
	v_add_lshl_u32 v50, v29, v32, 1
	ds_read_u16 v33, v50
	s_waitcnt lgkmcnt(0)
	v_add_u16_e32 v29, 1, v33
	ds_write_b16 v50, v29
	v_lshrrev_b32_sdwa v29, s16, v4 dst_sel:DWORD dst_unused:UNUSED_PAD src0_sel:DWORD src1_sel:BYTE_0
	v_and_b32_e32 v29, s17, v29
	v_lshrrev_b32_e32 v32, 3, v29
	v_lshlrev_b32_e32 v29, 9, v29
	v_and_or_b32 v29, v29, s0, v0
	v_lshlrev_b32_e32 v29, 1, v29
	v_add_lshl_u32 v53, v29, v32, 1
	ds_read_u16 v36, v53
	v_xor_b32_e32 v29, 0x7f, v5
	s_waitcnt lgkmcnt(0)
	v_add_u16_e32 v32, 1, v36
	ds_write_b16 v53, v32
	v_lshrrev_b32_sdwa v32, s16, v29 dst_sel:DWORD dst_unused:UNUSED_PAD src0_sel:DWORD src1_sel:BYTE_0
	v_and_b32_e32 v32, s17, v32
	v_lshrrev_b32_e32 v34, 3, v32
	v_lshlrev_b32_e32 v32, 9, v32
	v_and_or_b32 v32, v32, s0, v0
	v_lshlrev_b32_e32 v32, 1, v32
	v_add_lshl_u32 v54, v32, v34, 1
	ds_read_u16 v37, v54
	v_lshrrev_b32_e32 v32, 8, v5
	v_xor_b32_e32 v32, 0x7f, v32
	s_waitcnt lgkmcnt(0)
	v_add_u16_e32 v34, 1, v37
	ds_write_b16 v54, v34
	v_lshrrev_b32_sdwa v34, s16, v32 dst_sel:DWORD dst_unused:UNUSED_PAD src0_sel:DWORD src1_sel:BYTE_0
	v_and_b32_e32 v34, s17, v34
	v_lshrrev_b32_e32 v39, 3, v34
	v_lshlrev_b32_e32 v34, 9, v34
	v_and_or_b32 v34, v34, s0, v0
	v_lshlrev_b32_e32 v34, 1, v34
	v_add_lshl_u32 v57, v34, v39, 1
	ds_read_u16 v41, v57
	v_xor_b32_sdwa v34, v5, s1 dst_sel:DWORD dst_unused:UNUSED_PAD src0_sel:WORD_1 src1_sel:DWORD
	v_xor_b32_sdwa v5, v5, s1 dst_sel:DWORD dst_unused:UNUSED_PAD src0_sel:BYTE_3 src1_sel:DWORD
	s_waitcnt lgkmcnt(0)
	v_add_u16_e32 v39, 1, v41
	ds_write_b16 v57, v39
	v_lshrrev_b32_sdwa v39, s16, v34 dst_sel:DWORD dst_unused:UNUSED_PAD src0_sel:DWORD src1_sel:BYTE_0
	v_and_b32_e32 v39, s17, v39
	v_lshrrev_b32_e32 v42, 3, v39
	v_lshlrev_b32_e32 v39, 9, v39
	v_and_or_b32 v39, v39, s0, v0
	v_lshlrev_b32_e32 v39, 1, v39
	v_add_lshl_u32 v58, v39, v42, 1
	ds_read_u16 v43, v58
	s_waitcnt lgkmcnt(0)
	v_add_u16_e32 v39, 1, v43
	ds_write_b16 v58, v39
	v_lshrrev_b32_sdwa v39, s16, v5 dst_sel:DWORD dst_unused:UNUSED_PAD src0_sel:DWORD src1_sel:WORD_0
	v_and_b32_e32 v39, s17, v39
	v_lshrrev_b32_e32 v42, 3, v39
	v_lshlrev_b32_e32 v39, 9, v39
	v_and_or_b32 v39, v39, s0, v0
	v_lshlrev_b32_e32 v39, 1, v39
	v_add_lshl_u32 v60, v39, v42, 1
	ds_read_u16 v46, v60
	v_xor_b32_e32 v39, 0x7f, v6
	s_waitcnt lgkmcnt(0)
	v_add_u16_e32 v42, 1, v46
	ds_write_b16 v60, v42
	v_lshrrev_b32_sdwa v42, s16, v39 dst_sel:DWORD dst_unused:UNUSED_PAD src0_sel:DWORD src1_sel:BYTE_0
	v_and_b32_e32 v42, s17, v42
	v_lshrrev_b32_e32 v44, 3, v42
	v_lshlrev_b32_e32 v42, 9, v42
	v_and_or_b32 v42, v42, s0, v0
	v_lshlrev_b32_e32 v42, 1, v42
	v_add_lshl_u32 v61, v42, v44, 1
	ds_read_u16 v47, v61
	v_lshrrev_b32_e32 v42, 8, v6
	v_xor_b32_e32 v42, 0x7f, v42
	s_waitcnt lgkmcnt(0)
	v_add_u16_e32 v44, 1, v47
	ds_write_b16 v61, v44
	v_lshrrev_b32_sdwa v44, s16, v42 dst_sel:DWORD dst_unused:UNUSED_PAD src0_sel:DWORD src1_sel:BYTE_0
	v_and_b32_e32 v44, s17, v44
	v_lshrrev_b32_e32 v49, 3, v44
	v_lshlrev_b32_e32 v44, 9, v44
	v_and_or_b32 v44, v44, s0, v0
	v_lshlrev_b32_e32 v44, 1, v44
	v_add_lshl_u32 v62, v44, v49, 1
	ds_read_u16 v51, v62
	v_xor_b32_sdwa v44, v6, s1 dst_sel:DWORD dst_unused:UNUSED_PAD src0_sel:WORD_1 src1_sel:DWORD
	v_xor_b32_e32 v6, 0x7f, v64
	s_waitcnt lgkmcnt(0)
	v_add_u16_e32 v49, 1, v51
	ds_write_b16 v62, v49
	v_lshrrev_b32_sdwa v49, s16, v44 dst_sel:DWORD dst_unused:UNUSED_PAD src0_sel:DWORD src1_sel:BYTE_0
	v_and_b32_e32 v49, s17, v49
	v_lshrrev_b32_e32 v52, 3, v49
	v_lshlrev_b32_e32 v49, 9, v49
	v_and_or_b32 v49, v49, s0, v0
	v_lshlrev_b32_e32 v49, 1, v49
	v_add_lshl_u32 v63, v49, v52, 1
	ds_read_u16 v52, v63
	s_waitcnt lgkmcnt(0)
	v_add_u16_e32 v49, 1, v52
	ds_write_b16 v63, v49
	v_lshrrev_b32_sdwa v49, s16, v6 dst_sel:DWORD dst_unused:UNUSED_PAD src0_sel:DWORD src1_sel:BYTE_0
	v_and_b32_e32 v49, s17, v49
	v_lshrrev_b32_e32 v55, 3, v49
	v_lshlrev_b32_e32 v49, 9, v49
	v_and_or_b32 v49, v49, s0, v0
	v_lshlrev_b32_e32 v49, 1, v49
	v_add_lshl_u32 v64, v49, v55, 1
	ds_read_u16 v55, v64
	v_xor_b32_e32 v49, 0x7f, v7
	v_lshrrev_b32_e32 v7, 8, v7
	v_xor_b32_e32 v7, 0x7f, v7
	s_waitcnt lgkmcnt(0)
	v_add_u16_e32 v56, 1, v55
	ds_write_b16 v64, v56
	v_lshrrev_b32_sdwa v56, s16, v49 dst_sel:DWORD dst_unused:UNUSED_PAD src0_sel:DWORD src1_sel:BYTE_0
	v_and_b32_e32 v56, s17, v56
	v_lshrrev_b32_e32 v59, 3, v56
	v_lshlrev_b32_e32 v56, 9, v56
	v_and_or_b32 v56, v56, s0, v0
	v_lshlrev_b32_e32 v56, 1, v56
	v_add_lshl_u32 v65, v56, v59, 1
	ds_read_u16 v56, v65
	s_waitcnt lgkmcnt(0)
	v_add_u16_e32 v59, 1, v56
	ds_write_b16 v65, v59
	v_lshrrev_b32_sdwa v59, s16, v7 dst_sel:DWORD dst_unused:UNUSED_PAD src0_sel:DWORD src1_sel:BYTE_0
	v_and_b32_e32 v59, s17, v59
	v_lshrrev_b32_e32 v66, 3, v59
	v_lshlrev_b32_e32 v59, 9, v59
	v_and_or_b32 v59, v59, s0, v0
	v_lshlrev_b32_e32 v59, 1, v59
	v_add_lshl_u32 v66, v59, v66, 1
	ds_read_u16 v59, v66
	s_waitcnt lgkmcnt(0)
	v_add_u16_e32 v67, 1, v59
	ds_write_b16 v66, v67
	v_lshlrev_b32_e32 v67, 5, v0
	s_waitcnt lgkmcnt(0)
	s_barrier
	ds_read2_b64 v[68:71], v67 offset1:1
	ds_read2_b64 v[72:75], v67 offset0:2 offset1:3
	s_waitcnt lgkmcnt(1)
	v_add_u32_e32 v68, v69, v68
	v_add3_u32 v68, v68, v70, v71
	s_waitcnt lgkmcnt(0)
	v_add3_u32 v68, v68, v72, v73
	v_add3_u32 v69, v68, v74, v75
	v_mbcnt_lo_u32_b32 v68, -1, 0
	v_mbcnt_hi_u32_b32 v68, -1, v68
	v_and_b32_e32 v70, 15, v68
	v_mov_b32_dpp v71, v69 row_shr:1 row_mask:0xf bank_mask:0xf
	v_cmp_ne_u32_e32 vcc, 0, v70
	v_cndmask_b32_e32 v71, 0, v71, vcc
	v_add_u32_e32 v69, v71, v69
	v_cmp_lt_u32_e32 vcc, 1, v70
	s_nop 0
	v_mov_b32_dpp v71, v69 row_shr:2 row_mask:0xf bank_mask:0xf
	v_cndmask_b32_e32 v71, 0, v71, vcc
	v_add_u32_e32 v69, v69, v71
	v_cmp_lt_u32_e32 vcc, 3, v70
	s_nop 0
	v_mov_b32_dpp v71, v69 row_shr:4 row_mask:0xf bank_mask:0xf
	;; [unrolled: 5-line block ×3, first 2 shown]
	v_cndmask_b32_e32 v70, 0, v71, vcc
	v_add_u32_e32 v69, v69, v70
	v_bfe_i32 v71, v68, 4, 1
	v_cmp_lt_u32_e32 vcc, 31, v68
	v_mov_b32_dpp v70, v69 row_bcast:15 row_mask:0xf bank_mask:0xf
	v_and_b32_e32 v70, v71, v70
	v_add_u32_e32 v69, v69, v70
	v_or_b32_e32 v71, 63, v0
	s_nop 0
	v_mov_b32_dpp v70, v69 row_bcast:31 row_mask:0xf bank_mask:0xf
	v_cndmask_b32_e32 v70, 0, v70, vcc
	v_add_u32_e32 v69, v69, v70
	v_lshrrev_b32_e32 v70, 6, v0
	v_cmp_eq_u32_e32 vcc, v71, v0
	v_lshlrev_b32_e32 v70, 2, v70
	s_and_saveexec_b64 s[0:1], vcc
	s_cbranch_execz .LBB1644_135
; %bb.134:
	ds_write_b32 v70, v69 offset:16384
.LBB1644_135:
	s_or_b64 exec, exec, s[0:1]
	v_cmp_gt_u32_e32 vcc, 8, v0
	s_waitcnt lgkmcnt(0)
	s_barrier
	s_and_saveexec_b64 s[0:1], vcc
	s_cbranch_execz .LBB1644_137
; %bb.136:
	s_movk_i32 s2, 0xffe4
	v_mad_i32_i24 v71, v0, s2, v67
	ds_read_b32 v72, v71 offset:16384
	v_and_b32_e32 v73, 7, v68
	v_cmp_ne_u32_e32 vcc, 0, v73
	s_waitcnt lgkmcnt(0)
	v_mov_b32_dpp v74, v72 row_shr:1 row_mask:0xf bank_mask:0xf
	v_cndmask_b32_e32 v74, 0, v74, vcc
	v_add_u32_e32 v72, v74, v72
	v_cmp_lt_u32_e32 vcc, 1, v73
	s_nop 0
	v_mov_b32_dpp v74, v72 row_shr:2 row_mask:0xf bank_mask:0xf
	v_cndmask_b32_e32 v74, 0, v74, vcc
	v_add_u32_e32 v72, v72, v74
	v_cmp_lt_u32_e32 vcc, 3, v73
	s_nop 0
	v_mov_b32_dpp v74, v72 row_shr:4 row_mask:0xf bank_mask:0xf
	v_cndmask_b32_e32 v73, 0, v74, vcc
	v_add_u32_e32 v72, v72, v73
	ds_write_b32 v71, v72 offset:16384
.LBB1644_137:
	s_or_b64 exec, exec, s[0:1]
	v_cmp_lt_u32_e32 vcc, 63, v0
	v_mov_b32_e32 v72, 0
	v_mov_b32_e32 v71, 0
	s_waitcnt lgkmcnt(0)
	s_barrier
	s_and_saveexec_b64 s[0:1], vcc
	s_cbranch_execz .LBB1644_139
; %bb.138:
	ds_read_b32 v71, v70 offset:16380
.LBB1644_139:
	s_or_b64 exec, exec, s[0:1]
	v_add_u32_e32 v70, -1, v68
	v_and_b32_e32 v73, 64, v68
	v_cmp_lt_i32_e32 vcc, v70, v73
	v_cndmask_b32_e32 v70, v70, v68, vcc
	s_waitcnt lgkmcnt(0)
	v_add_u32_e32 v69, v71, v69
	v_lshlrev_b32_e32 v70, 2, v70
	ds_bpermute_b32 v69, v70, v69
	ds_read_b32 v70, v72 offset:16412
	ds_read2_b64 v[72:75], v67 offset1:1
	v_cmp_eq_u32_e32 vcc, 0, v68
	ds_read_b32 v76, v67 offset:24
	v_cmp_lt_u32_e64 s[0:1], 15, v0
	s_waitcnt lgkmcnt(3)
	v_cndmask_b32_e32 v68, v69, v71, vcc
	s_waitcnt lgkmcnt(2)
	v_lshl_add_u32 v68, v70, 16, v68
	ds_read_b64 v[70:71], v67 offset:16
	s_waitcnt lgkmcnt(2)
	v_add_u32_e32 v69, v68, v72
	v_add_u32_e32 v72, v73, v69
	;; [unrolled: 1-line block ×3, first 2 shown]
	ds_write2_b64 v67, v[68:69], v[72:73] offset1:1
	v_add_u32_e32 v68, v75, v73
	s_waitcnt lgkmcnt(1)
	v_add_u32_e32 v69, v70, v68
	v_add_u32_e32 v70, v71, v69
	;; [unrolled: 1-line block ×3, first 2 shown]
	ds_write2_b64 v67, v[68:69], v[70:71] offset0:2 offset1:3
	s_waitcnt lgkmcnt(0)
	s_barrier
	ds_read_u16 v67, v10
	ds_read_u16 v27, v27
	ds_read_u16 v30, v30
	ds_read_u16 v68, v2
	ds_read_u16 v35, v35
	ds_read_u16 v38, v38
	ds_read_u16 v40, v40
	ds_read_u16 v69, v3
	ds_read_u16 v45, v45
	ds_read_u16 v48, v48
	ds_read_u16 v50, v50
	ds_read_u16 v53, v53
	ds_read_u16 v54, v54
	ds_read_u16 v57, v57
	ds_read_u16 v58, v58
	ds_read_u16 v60, v60
	ds_read_u16 v61, v61
	ds_read_u16 v62, v62
	ds_read_u16 v63, v63
	ds_read_u16 v64, v64
	ds_read_u16 v65, v65
	ds_read_u16 v66, v66
	v_cmp_gt_u32_e32 vcc, 16, v0
	v_pk_mov_b32 v[2:3], 0, 0
                                        ; implicit-def: $vgpr10
	s_and_saveexec_b64 s[12:13], vcc
	s_cbranch_execz .LBB1644_143
; %bb.140:
	v_lshrrev_b32_e32 v2, 3, v0
	v_lshlrev_b32_e32 v3, 10, v0
	s_movk_i32 s22, 0x1c00
	v_and_or_b32 v2, v3, s22, v2
	v_lshlrev_b32_e32 v2, 1, v2
	ds_read_u16 v2, v2
	v_add_u32_e32 v10, 1, v0
	v_cmp_ne_u32_e64 s[2:3], 16, v10
	v_mov_b32_e32 v3, 0x2c00
	s_and_saveexec_b64 s[20:21], s[2:3]
	s_cbranch_execz .LBB1644_142
; %bb.141:
	v_lshlrev_b32_e32 v3, 10, v10
	v_lshrrev_b32_e32 v10, 3, v10
	v_and_or_b32 v3, v3, s22, v10
	v_lshlrev_b32_e32 v3, 1, v3
	ds_read_u16 v3, v3
.LBB1644_142:
	s_or_b64 exec, exec, s[20:21]
	s_waitcnt lgkmcnt(0)
	v_and_b32_e32 v2, 0xffff, v2
	s_mov_b32 s2, 0
	v_sub_u32_e32 v10, v3, v2
	v_mov_b32_e32 v3, s2
.LBB1644_143:
	s_or_b64 exec, exec, s[12:13]
	s_waitcnt lgkmcnt(14)
	v_add_u32_sdwa v12, v67, v12 dst_sel:DWORD dst_unused:UNUSED_PAD src0_sel:WORD_0 src1_sel:WORD_0
	v_add_u32_sdwa v14, v27, v14 dst_sel:DWORD dst_unused:UNUSED_PAD src0_sel:WORD_0 src1_sel:WORD_0
	;; [unrolled: 1-line block ×8, first 2 shown]
	s_waitcnt lgkmcnt(13)
	v_add_u32_sdwa v27, v45, v28 dst_sel:DWORD dst_unused:UNUSED_PAD src0_sel:WORD_0 src1_sel:WORD_0
	s_waitcnt lgkmcnt(12)
	v_add_u32_sdwa v28, v48, v31 dst_sel:DWORD dst_unused:UNUSED_PAD src0_sel:WORD_0 src1_sel:WORD_0
	s_waitcnt lgkmcnt(11)
	v_add_u32_sdwa v30, v50, v33 dst_sel:DWORD dst_unused:UNUSED_PAD src0_sel:WORD_0 src1_sel:WORD_0
	s_waitcnt lgkmcnt(10)
	v_add_u32_sdwa v31, v53, v36 dst_sel:DWORD dst_unused:UNUSED_PAD src0_sel:WORD_0 src1_sel:WORD_0
	s_waitcnt lgkmcnt(9)
	v_add_u32_sdwa v33, v54, v37 dst_sel:DWORD dst_unused:UNUSED_PAD src0_sel:WORD_0 src1_sel:WORD_0
	s_waitcnt lgkmcnt(8)
	v_add_u32_sdwa v35, v57, v41 dst_sel:DWORD dst_unused:UNUSED_PAD src0_sel:WORD_0 src1_sel:WORD_0
	s_waitcnt lgkmcnt(7)
	v_add_u32_sdwa v36, v58, v43 dst_sel:DWORD dst_unused:UNUSED_PAD src0_sel:WORD_0 src1_sel:WORD_0
	s_waitcnt lgkmcnt(6)
	v_add_u32_sdwa v37, v60, v46 dst_sel:DWORD dst_unused:UNUSED_PAD src0_sel:WORD_0 src1_sel:WORD_0
	s_waitcnt lgkmcnt(5)
	v_add_u32_sdwa v38, v61, v47 dst_sel:DWORD dst_unused:UNUSED_PAD src0_sel:WORD_0 src1_sel:WORD_0
	s_waitcnt lgkmcnt(4)
	v_add_u32_sdwa v40, v62, v51 dst_sel:DWORD dst_unused:UNUSED_PAD src0_sel:WORD_0 src1_sel:WORD_0
	s_waitcnt lgkmcnt(3)
	v_add_u32_sdwa v41, v63, v52 dst_sel:DWORD dst_unused:UNUSED_PAD src0_sel:WORD_0 src1_sel:WORD_0
	s_waitcnt lgkmcnt(2)
	v_add_u32_sdwa v43, v64, v55 dst_sel:DWORD dst_unused:UNUSED_PAD src0_sel:WORD_0 src1_sel:WORD_0
	s_waitcnt lgkmcnt(1)
	v_add_u32_sdwa v45, v65, v56 dst_sel:DWORD dst_unused:UNUSED_PAD src0_sel:WORD_0 src1_sel:WORD_0
	s_waitcnt lgkmcnt(0)
	v_add_u32_sdwa v46, v66, v59 dst_sel:DWORD dst_unused:UNUSED_PAD src0_sel:WORD_0 src1_sel:WORD_0
	s_barrier
	ds_write_b8 v12, v1 offset:128
	ds_write_b8 v14, v8 offset:128
	ds_write_b8 v16, v9 offset:128
	ds_write_b8 v18, v11 offset:128
	ds_write_b8 v20, v13 offset:128
	ds_write_b8 v22, v15 offset:128
	ds_write_b8 v24, v17 offset:128
	ds_write_b8 v26, v19 offset:128
	ds_write_b8 v27, v21 offset:128
	ds_write_b8 v28, v23 offset:128
	ds_write_b8 v30, v25 offset:128
	ds_write_b8 v31, v4 offset:128
	ds_write_b8 v33, v29 offset:128
	ds_write_b8 v35, v32 offset:128
	ds_write_b8 v36, v34 offset:128
	ds_write_b8 v37, v5 offset:128
	ds_write_b8 v38, v39 offset:128
	ds_write_b8 v40, v42 offset:128
	ds_write_b8 v41, v44 offset:128
	ds_write_b8 v43, v6 offset:128
	ds_write_b8 v45, v49 offset:128
	ds_write_b8 v46, v7 offset:128
	s_and_saveexec_b64 s[2:3], s[0:1]
	s_xor_b64 s[0:1], exec, s[2:3]
; %bb.144:
	v_mov_b32_e32 v1, 0
; %bb.145:
	s_andn2_saveexec_b64 s[2:3], s[0:1]
	s_cbranch_execz .LBB1644_155
; %bb.146:
	v_lshl_or_b32 v4, s24, 4, v0
	v_mov_b32_e32 v5, 0
	v_lshlrev_b64 v[6:7], 2, v[4:5]
	v_mov_b32_e32 v1, s7
	v_add_co_u32_e64 v6, s[0:1], s6, v6
	v_addc_co_u32_e64 v7, s[0:1], v1, v7, s[0:1]
	v_or_b32_e32 v4, 2.0, v10
	s_mov_b64 s[12:13], 0
	s_brev_b32 s7, 1
	s_mov_b32 s25, s24
	v_mov_b32_e32 v11, 0
	global_store_dword v[6:7], v4, off
                                        ; implicit-def: $sgpr0_sgpr1
	s_branch .LBB1644_149
.LBB1644_147:                           ;   in Loop: Header=BB1644_149 Depth=1
	s_or_b64 exec, exec, s[22:23]
.LBB1644_148:                           ;   in Loop: Header=BB1644_149 Depth=1
	s_or_b64 exec, exec, s[20:21]
	v_and_b32_e32 v8, 0x3fffffff, v12
	v_add_u32_e32 v11, v8, v11
	v_cmp_eq_u32_e64 s[0:1], s7, v4
	s_and_b64 s[20:21], exec, s[0:1]
	s_or_b64 s[12:13], s[20:21], s[12:13]
	s_andn2_b64 exec, exec, s[12:13]
	s_cbranch_execz .LBB1644_154
.LBB1644_149:                           ; =>This Loop Header: Depth=1
                                        ;     Child Loop BB1644_152 Depth 2
	s_or_b64 s[0:1], s[0:1], exec
	s_cmp_eq_u32 s25, 0
	s_cbranch_scc1 .LBB1644_153
; %bb.150:                              ;   in Loop: Header=BB1644_149 Depth=1
	s_add_i32 s25, s25, -1
	v_lshl_or_b32 v4, s25, 4, v0
	v_lshlrev_b64 v[8:9], 2, v[4:5]
	v_add_co_u32_e64 v8, s[0:1], s6, v8
	v_addc_co_u32_e64 v9, s[0:1], v1, v9, s[0:1]
	global_load_dword v12, v[8:9], off glc
	s_waitcnt vmcnt(0)
	v_and_b32_e32 v4, -2.0, v12
	v_cmp_eq_u32_e64 s[0:1], 0, v4
	s_and_saveexec_b64 s[20:21], s[0:1]
	s_cbranch_execz .LBB1644_148
; %bb.151:                              ;   in Loop: Header=BB1644_149 Depth=1
	s_mov_b64 s[22:23], 0
.LBB1644_152:                           ;   Parent Loop BB1644_149 Depth=1
                                        ; =>  This Inner Loop Header: Depth=2
	global_load_dword v12, v[8:9], off glc
	s_waitcnt vmcnt(0)
	v_and_b32_e32 v4, -2.0, v12
	v_cmp_ne_u32_e64 s[0:1], 0, v4
	s_or_b64 s[22:23], s[0:1], s[22:23]
	s_andn2_b64 exec, exec, s[22:23]
	s_cbranch_execnz .LBB1644_152
	s_branch .LBB1644_147
.LBB1644_153:                           ;   in Loop: Header=BB1644_149 Depth=1
                                        ; implicit-def: $sgpr25
	s_and_b64 s[20:21], exec, s[0:1]
	s_or_b64 s[12:13], s[20:21], s[12:13]
	s_andn2_b64 exec, exec, s[12:13]
	s_cbranch_execnz .LBB1644_149
.LBB1644_154:
	s_or_b64 exec, exec, s[12:13]
	v_add_u32_e32 v1, v11, v10
	v_or_b32_e32 v1, 0x80000000, v1
	global_store_dword v[6:7], v1, off
	v_lshlrev_b32_e32 v6, 3, v0
	global_load_dwordx2 v[4:5], v6, s[8:9]
	v_sub_co_u32_e64 v7, s[0:1], v11, v2
	v_subb_co_u32_e64 v8, s[0:1], 0, v3, s[0:1]
	v_mov_b32_e32 v1, 0
	s_waitcnt vmcnt(0)
	v_add_co_u32_e64 v4, s[0:1], v7, v4
	v_addc_co_u32_e64 v5, s[0:1], v8, v5, s[0:1]
	ds_write_b64 v6, v[4:5]
.LBB1644_155:
	s_or_b64 exec, exec, s[2:3]
	s_waitcnt lgkmcnt(0)
	s_barrier
	ds_read_u8 v11, v0 offset:10368
	ds_read_u8 v18, v0 offset:9344
	;; [unrolled: 1-line block ×5, first 2 shown]
	s_waitcnt lgkmcnt(4)
	v_lshrrev_b32_sdwa v4, s16, v11 dst_sel:DWORD dst_unused:UNUSED_PAD src0_sel:DWORD src1_sel:BYTE_0
	v_and_b32_e32 v4, s17, v4
	v_lshlrev_b32_e32 v4, 3, v4
	ds_read_b64 v[6:7], v4
	ds_read_u8 v8, v0 offset:128
	s_waitcnt lgkmcnt(2)
	v_lshrrev_b32_sdwa v4, s16, v21 dst_sel:DWORD dst_unused:UNUSED_PAD src0_sel:DWORD src1_sel:BYTE_0
	v_and_b32_e32 v4, s17, v4
	v_lshlrev_b32_e32 v4, 3, v4
	ds_read_b64 v[4:5], v4
	s_waitcnt lgkmcnt(1)
	v_lshrrev_b32_sdwa v9, s16, v8 dst_sel:DWORD dst_unused:UNUSED_PAD src0_sel:DWORD src1_sel:BYTE_0
	v_and_b32_e32 v9, s17, v9
	v_xor_b32_e32 v22, 0x7f, v8
	v_lshlrev_b32_e32 v8, 3, v9
	v_lshrrev_b32_sdwa v9, s16, v20 dst_sel:DWORD dst_unused:UNUSED_PAD src0_sel:DWORD src1_sel:BYTE_0
	v_and_b32_e32 v9, s17, v9
	v_lshlrev_b32_e32 v12, 3, v9
	ds_read_u8 v24, v0 offset:1152
	ds_read_u8 v25, v0 offset:1664
	;; [unrolled: 1-line block ×8, first 2 shown]
	s_waitcnt lgkmcnt(7)
	v_lshrrev_b32_sdwa v9, s16, v24 dst_sel:DWORD dst_unused:UNUSED_PAD src0_sel:DWORD src1_sel:BYTE_0
	v_and_b32_e32 v9, s17, v9
	v_lshlrev_b32_e32 v14, 3, v9
	s_waitcnt lgkmcnt(6)
	v_lshrrev_b32_sdwa v9, s16, v25 dst_sel:DWORD dst_unused:UNUSED_PAD src0_sel:DWORD src1_sel:BYTE_0
	v_and_b32_e32 v9, s17, v9
	v_lshlrev_b32_e32 v16, 3, v9
	ds_read_b64 v[8:9], v8
	ds_read_b64 v[12:13], v12
	;; [unrolled: 1-line block ×4, first 2 shown]
	v_mov_b32_e32 v23, s15
	s_waitcnt lgkmcnt(3)
	v_add_co_u32_e64 v8, s[0:1], s14, v8
	v_addc_co_u32_e64 v9, s[0:1], v23, v9, s[0:1]
	v_add_co_u32_e64 v8, s[0:1], v8, v0
	v_addc_co_u32_e64 v9, s[0:1], v9, v1, s[0:1]
	global_store_byte v[8:9], v22, off
	v_mov_b32_e32 v8, s15
	s_waitcnt lgkmcnt(2)
	v_add_co_u32_e64 v9, s[0:1], s14, v12
	v_addc_co_u32_e64 v12, s[0:1], v8, v13, s[0:1]
	v_add_co_u32_e64 v8, s[0:1], v9, v0
	v_xor_b32_e32 v20, 0x7f, v20
	v_addc_co_u32_e64 v9, s[0:1], v12, v1, s[0:1]
	global_store_byte v[8:9], v20, off offset:512
	v_mov_b32_e32 v8, s15
	s_waitcnt lgkmcnt(1)
	v_add_co_u32_e64 v9, s[0:1], s14, v14
	v_addc_co_u32_e64 v13, s[0:1], v8, v15, s[0:1]
	v_add_co_u32_e64 v8, s[0:1], v9, v0
	v_xor_b32_e32 v12, 0x7f, v24
	v_addc_co_u32_e64 v9, s[0:1], v13, v1, s[0:1]
	global_store_byte v[8:9], v12, off offset:1024
	;; [unrolled: 8-line block ×3, first 2 shown]
	v_lshrrev_b32_sdwa v9, s16, v27 dst_sel:DWORD dst_unused:UNUSED_PAD src0_sel:DWORD src1_sel:BYTE_0
	v_and_b32_e32 v9, s17, v9
	v_lshlrev_b32_e32 v12, 3, v9
	v_lshrrev_b32_sdwa v9, s16, v28 dst_sel:DWORD dst_unused:UNUSED_PAD src0_sel:DWORD src1_sel:BYTE_0
	v_and_b32_e32 v9, s17, v9
	v_lshrrev_b32_sdwa v8, s16, v26 dst_sel:DWORD dst_unused:UNUSED_PAD src0_sel:DWORD src1_sel:BYTE_0
	v_lshlrev_b32_e32 v14, 3, v9
	v_lshrrev_b32_sdwa v9, s16, v29 dst_sel:DWORD dst_unused:UNUSED_PAD src0_sel:DWORD src1_sel:BYTE_0
	v_and_b32_e32 v8, s17, v8
	v_and_b32_e32 v9, s17, v9
	v_lshlrev_b32_e32 v8, 3, v8
	v_lshlrev_b32_e32 v16, 3, v9
	ds_read_b64 v[8:9], v8
	ds_read_b64 v[12:13], v12
	;; [unrolled: 1-line block ×4, first 2 shown]
	v_mov_b32_e32 v22, s15
	s_waitcnt lgkmcnt(3)
	v_add_co_u32_e64 v8, s[0:1], s14, v8
	v_addc_co_u32_e64 v9, s[0:1], v22, v9, s[0:1]
	v_add_co_u32_e64 v8, s[0:1], v8, v0
	v_xor_b32_e32 v20, 0x7f, v26
	v_addc_co_u32_e64 v9, s[0:1], v9, v1, s[0:1]
	global_store_byte v[8:9], v20, off offset:2048
	v_mov_b32_e32 v8, s15
	s_waitcnt lgkmcnt(2)
	v_add_co_u32_e64 v9, s[0:1], s14, v12
	v_addc_co_u32_e64 v12, s[0:1], v8, v13, s[0:1]
	v_add_co_u32_e64 v8, s[0:1], v9, v0
	v_xor_b32_e32 v20, 0x7f, v27
	v_addc_co_u32_e64 v9, s[0:1], v12, v1, s[0:1]
	global_store_byte v[8:9], v20, off offset:2560
	;; [unrolled: 8-line block ×4, first 2 shown]
	v_lshrrev_b32_sdwa v9, s16, v31 dst_sel:DWORD dst_unused:UNUSED_PAD src0_sel:DWORD src1_sel:BYTE_0
	v_and_b32_e32 v9, s17, v9
	v_lshrrev_b32_sdwa v8, s16, v30 dst_sel:DWORD dst_unused:UNUSED_PAD src0_sel:DWORD src1_sel:BYTE_0
	v_xor_b32_e32 v22, 0x7f, v30
	v_lshlrev_b32_e32 v12, 3, v9
	ds_read_u8 v24, v0 offset:5248
	ds_read_u8 v25, v0 offset:5760
	;; [unrolled: 1-line block ×8, first 2 shown]
	s_waitcnt lgkmcnt(7)
	v_lshrrev_b32_sdwa v9, s16, v24 dst_sel:DWORD dst_unused:UNUSED_PAD src0_sel:DWORD src1_sel:BYTE_0
	v_and_b32_e32 v9, s17, v9
	v_lshlrev_b32_e32 v14, 3, v9
	s_waitcnt lgkmcnt(6)
	v_lshrrev_b32_sdwa v9, s16, v25 dst_sel:DWORD dst_unused:UNUSED_PAD src0_sel:DWORD src1_sel:BYTE_0
	v_and_b32_e32 v8, s17, v8
	v_and_b32_e32 v9, s17, v9
	v_lshlrev_b32_e32 v8, 3, v8
	v_lshlrev_b32_e32 v16, 3, v9
	ds_read_b64 v[8:9], v8
	ds_read_b64 v[12:13], v12
	;; [unrolled: 1-line block ×4, first 2 shown]
	v_or_b32_e32 v20, 0x1000, v0
	s_waitcnt lgkmcnt(3)
	v_add_co_u32_e64 v8, s[0:1], s14, v8
	v_addc_co_u32_e64 v9, s[0:1], v23, v9, s[0:1]
	v_add_co_u32_e64 v8, s[0:1], v8, v20
	v_addc_co_u32_e64 v9, s[0:1], 0, v9, s[0:1]
	global_store_byte v[8:9], v22, off
	v_mov_b32_e32 v9, s15
	s_waitcnt lgkmcnt(2)
	v_add_co_u32_e64 v12, s[0:1], s14, v12
	v_or_b32_e32 v8, 0x1200, v0
	v_addc_co_u32_e64 v9, s[0:1], v9, v13, s[0:1]
	v_add_co_u32_e64 v8, s[0:1], v12, v8
	v_xor_b32_e32 v20, 0x7f, v31
	v_addc_co_u32_e64 v9, s[0:1], 0, v9, s[0:1]
	global_store_byte v[8:9], v20, off
	v_mov_b32_e32 v9, s15
	s_waitcnt lgkmcnt(1)
	v_add_co_u32_e64 v13, s[0:1], s14, v14
	v_or_b32_e32 v8, 0x1400, v0
	v_addc_co_u32_e64 v9, s[0:1], v9, v15, s[0:1]
	v_add_co_u32_e64 v8, s[0:1], v13, v8
	v_xor_b32_e32 v12, 0x7f, v24
	;; [unrolled: 9-line block ×3, first 2 shown]
	v_addc_co_u32_e64 v9, s[0:1], 0, v9, s[0:1]
	global_store_byte v[8:9], v12, off
	v_lshrrev_b32_sdwa v9, s16, v27 dst_sel:DWORD dst_unused:UNUSED_PAD src0_sel:DWORD src1_sel:BYTE_0
	v_and_b32_e32 v9, s17, v9
	v_lshlrev_b32_e32 v12, 3, v9
	v_lshrrev_b32_sdwa v9, s16, v28 dst_sel:DWORD dst_unused:UNUSED_PAD src0_sel:DWORD src1_sel:BYTE_0
	v_and_b32_e32 v9, s17, v9
	v_lshrrev_b32_sdwa v8, s16, v26 dst_sel:DWORD dst_unused:UNUSED_PAD src0_sel:DWORD src1_sel:BYTE_0
	v_lshlrev_b32_e32 v14, 3, v9
	v_lshrrev_b32_sdwa v9, s16, v29 dst_sel:DWORD dst_unused:UNUSED_PAD src0_sel:DWORD src1_sel:BYTE_0
	v_and_b32_e32 v8, s17, v8
	v_and_b32_e32 v9, s17, v9
	v_lshlrev_b32_e32 v8, 3, v8
	v_lshlrev_b32_e32 v16, 3, v9
	ds_read_b64 v[8:9], v8
	ds_read_b64 v[12:13], v12
	ds_read_b64 v[14:15], v14
	ds_read_b64 v[16:17], v16
	v_or_b32_e32 v20, 0x1800, v0
	s_waitcnt lgkmcnt(3)
	v_add_co_u32_e64 v8, s[0:1], s14, v8
	v_addc_co_u32_e64 v9, s[0:1], v23, v9, s[0:1]
	v_add_co_u32_e64 v8, s[0:1], v8, v20
	v_xor_b32_e32 v22, 0x7f, v26
	v_addc_co_u32_e64 v9, s[0:1], 0, v9, s[0:1]
	global_store_byte v[8:9], v22, off
	v_mov_b32_e32 v9, s15
	s_waitcnt lgkmcnt(2)
	v_add_co_u32_e64 v12, s[0:1], s14, v12
	v_or_b32_e32 v8, 0x1a00, v0
	v_addc_co_u32_e64 v9, s[0:1], v9, v13, s[0:1]
	v_add_co_u32_e64 v8, s[0:1], v12, v8
	v_xor_b32_e32 v20, 0x7f, v27
	v_addc_co_u32_e64 v9, s[0:1], 0, v9, s[0:1]
	global_store_byte v[8:9], v20, off
	v_mov_b32_e32 v9, s15
	s_waitcnt lgkmcnt(1)
	v_add_co_u32_e64 v13, s[0:1], s14, v14
	v_or_b32_e32 v8, 0x1c00, v0
	;; [unrolled: 9-line block ×3, first 2 shown]
	v_addc_co_u32_e64 v9, s[0:1], v9, v17, s[0:1]
	v_add_co_u32_e64 v8, s[0:1], v13, v8
	v_xor_b32_e32 v12, 0x7f, v29
	v_addc_co_u32_e64 v9, s[0:1], 0, v9, s[0:1]
	global_store_byte v[8:9], v12, off
	v_lshrrev_b32_sdwa v9, s16, v32 dst_sel:DWORD dst_unused:UNUSED_PAD src0_sel:DWORD src1_sel:BYTE_0
	v_and_b32_e32 v9, s17, v9
	v_lshlrev_b32_e32 v12, 3, v9
	v_lshrrev_b32_sdwa v9, s16, v18 dst_sel:DWORD dst_unused:UNUSED_PAD src0_sel:DWORD src1_sel:BYTE_0
	v_and_b32_e32 v9, s17, v9
	v_lshrrev_b32_sdwa v8, s16, v30 dst_sel:DWORD dst_unused:UNUSED_PAD src0_sel:DWORD src1_sel:BYTE_0
	v_lshlrev_b32_e32 v14, 3, v9
	v_lshrrev_b32_sdwa v9, s16, v19 dst_sel:DWORD dst_unused:UNUSED_PAD src0_sel:DWORD src1_sel:BYTE_0
	v_and_b32_e32 v8, s17, v8
	v_and_b32_e32 v9, s17, v9
	v_lshlrev_b32_e32 v8, 3, v8
	v_lshlrev_b32_e32 v16, 3, v9
	ds_read_b64 v[8:9], v8
	ds_read_b64 v[12:13], v12
	;; [unrolled: 1-line block ×4, first 2 shown]
	v_or_b32_e32 v20, 0x2000, v0
	s_waitcnt lgkmcnt(3)
	v_add_co_u32_e64 v8, s[0:1], s14, v8
	v_addc_co_u32_e64 v9, s[0:1], v23, v9, s[0:1]
	v_add_co_u32_e64 v8, s[0:1], v8, v20
	v_xor_b32_e32 v22, 0x7f, v30
	v_addc_co_u32_e64 v9, s[0:1], 0, v9, s[0:1]
	global_store_byte v[8:9], v22, off
	v_mov_b32_e32 v9, s15
	s_waitcnt lgkmcnt(2)
	v_add_co_u32_e64 v12, s[0:1], s14, v12
	v_or_b32_e32 v8, 0x2200, v0
	v_addc_co_u32_e64 v9, s[0:1], v9, v13, s[0:1]
	v_add_co_u32_e64 v8, s[0:1], v12, v8
	v_xor_b32_e32 v20, 0x7f, v32
	v_addc_co_u32_e64 v9, s[0:1], 0, v9, s[0:1]
	global_store_byte v[8:9], v20, off
	v_mov_b32_e32 v9, s15
	s_waitcnt lgkmcnt(1)
	v_add_co_u32_e64 v13, s[0:1], s14, v14
	v_or_b32_e32 v8, 0x2400, v0
	;; [unrolled: 9-line block ×3, first 2 shown]
	v_addc_co_u32_e64 v9, s[0:1], v9, v17, s[0:1]
	v_add_co_u32_e64 v8, s[0:1], v13, v8
	v_xor_b32_e32 v12, 0x7f, v19
	v_addc_co_u32_e64 v9, s[0:1], 0, v9, s[0:1]
	global_store_byte v[8:9], v12, off
	v_xor_b32_e32 v9, 0x7f, v11
	v_mov_b32_e32 v11, s15
	v_add_co_u32_e64 v6, s[0:1], s14, v6
	v_or_b32_e32 v8, 0x2800, v0
	v_addc_co_u32_e64 v7, s[0:1], v11, v7, s[0:1]
	v_add_co_u32_e64 v6, s[0:1], v6, v8
	v_addc_co_u32_e64 v7, s[0:1], 0, v7, s[0:1]
	v_mov_b32_e32 v8, s15
	v_add_co_u32_e64 v4, s[0:1], s14, v4
	global_store_byte v[6:7], v9, off
	v_or_b32_e32 v6, 0x2a00, v0
	v_addc_co_u32_e64 v5, s[0:1], v8, v5, s[0:1]
	v_add_co_u32_e64 v4, s[0:1], v4, v6
	v_xor_b32_e32 v7, 0x7f, v21
	v_addc_co_u32_e64 v5, s[0:1], 0, v5, s[0:1]
	global_store_byte v[4:5], v7, off
	s_load_dword s0, s[4:5], 0x58
                                        ; implicit-def: $vgpr4_vgpr5
	s_waitcnt lgkmcnt(0)
	s_add_i32 s0, s0, -1
	s_cmp_eq_u32 s0, s24
	s_cselect_b64 s[0:1], -1, 0
	s_and_b64 s[2:3], vcc, s[0:1]
	s_and_saveexec_b64 s[0:1], s[2:3]
; %bb.156:
	v_add_co_u32_e32 v4, vcc, v2, v10
	v_addc_co_u32_e32 v5, vcc, 0, v3, vcc
	s_or_b64 s[18:19], s[18:19], exec
; %bb.157:
	s_or_b64 exec, exec, s[0:1]
.LBB1644_158:
	s_and_saveexec_b64 s[0:1], s[18:19]
	s_cbranch_execnz .LBB1644_160
; %bb.159:
	s_endpgm
.LBB1644_160:
	v_lshlrev_b32_e32 v2, 3, v0
	ds_read_b64 v[2:3], v2
	v_lshlrev_b64 v[0:1], 3, v[0:1]
	v_mov_b32_e32 v6, s11
	v_add_co_u32_e32 v0, vcc, s10, v0
	v_addc_co_u32_e32 v1, vcc, v6, v1, vcc
	s_waitcnt lgkmcnt(0)
	v_add_co_u32_e32 v2, vcc, v2, v4
	v_addc_co_u32_e32 v3, vcc, v3, v5, vcc
	global_store_dwordx2 v[0:1], v[2:3], off
	s_endpgm
	.section	.rodata,"a",@progbits
	.p2align	6, 0x0
	.amdhsa_kernel _ZN7rocprim17ROCPRIM_400000_NS6detail17trampoline_kernelINS0_14default_configENS1_35radix_sort_onesweep_config_selectorIaNS0_10empty_typeEEEZZNS1_29radix_sort_onesweep_iterationIS3_Lb1EPaS8_PS5_S9_mNS0_19identity_decomposerENS1_16block_id_wrapperIjLb1EEEEE10hipError_tT1_PNSt15iterator_traitsISE_E10value_typeET2_T3_PNSF_ISK_E10value_typeET4_T5_PSP_SQ_PNS1_23onesweep_lookback_stateEbbT6_jjT7_P12ihipStream_tbENKUlT_T0_SE_SJ_E_clIS8_S8_S9_S9_EEDaSX_SY_SE_SJ_EUlSX_E_NS1_11comp_targetILNS1_3genE4ELNS1_11target_archE910ELNS1_3gpuE8ELNS1_3repE0EEENS1_47radix_sort_onesweep_sort_config_static_selectorELNS0_4arch9wavefront6targetE1EEEvSE_
		.amdhsa_group_segment_fixed_size 16424
		.amdhsa_private_segment_fixed_size 0
		.amdhsa_kernarg_size 344
		.amdhsa_user_sgpr_count 6
		.amdhsa_user_sgpr_private_segment_buffer 1
		.amdhsa_user_sgpr_dispatch_ptr 0
		.amdhsa_user_sgpr_queue_ptr 0
		.amdhsa_user_sgpr_kernarg_segment_ptr 1
		.amdhsa_user_sgpr_dispatch_id 0
		.amdhsa_user_sgpr_flat_scratch_init 0
		.amdhsa_user_sgpr_kernarg_preload_length 0
		.amdhsa_user_sgpr_kernarg_preload_offset 0
		.amdhsa_user_sgpr_private_segment_size 0
		.amdhsa_uses_dynamic_stack 0
		.amdhsa_system_sgpr_private_segment_wavefront_offset 0
		.amdhsa_system_sgpr_workgroup_id_x 1
		.amdhsa_system_sgpr_workgroup_id_y 0
		.amdhsa_system_sgpr_workgroup_id_z 0
		.amdhsa_system_sgpr_workgroup_info 0
		.amdhsa_system_vgpr_workitem_id 0
		.amdhsa_next_free_vgpr 79
		.amdhsa_next_free_sgpr 30
		.amdhsa_accum_offset 80
		.amdhsa_reserve_vcc 1
		.amdhsa_reserve_flat_scratch 0
		.amdhsa_float_round_mode_32 0
		.amdhsa_float_round_mode_16_64 0
		.amdhsa_float_denorm_mode_32 3
		.amdhsa_float_denorm_mode_16_64 3
		.amdhsa_dx10_clamp 1
		.amdhsa_ieee_mode 1
		.amdhsa_fp16_overflow 0
		.amdhsa_tg_split 0
		.amdhsa_exception_fp_ieee_invalid_op 0
		.amdhsa_exception_fp_denorm_src 0
		.amdhsa_exception_fp_ieee_div_zero 0
		.amdhsa_exception_fp_ieee_overflow 0
		.amdhsa_exception_fp_ieee_underflow 0
		.amdhsa_exception_fp_ieee_inexact 0
		.amdhsa_exception_int_div_zero 0
	.end_amdhsa_kernel
	.section	.text._ZN7rocprim17ROCPRIM_400000_NS6detail17trampoline_kernelINS0_14default_configENS1_35radix_sort_onesweep_config_selectorIaNS0_10empty_typeEEEZZNS1_29radix_sort_onesweep_iterationIS3_Lb1EPaS8_PS5_S9_mNS0_19identity_decomposerENS1_16block_id_wrapperIjLb1EEEEE10hipError_tT1_PNSt15iterator_traitsISE_E10value_typeET2_T3_PNSF_ISK_E10value_typeET4_T5_PSP_SQ_PNS1_23onesweep_lookback_stateEbbT6_jjT7_P12ihipStream_tbENKUlT_T0_SE_SJ_E_clIS8_S8_S9_S9_EEDaSX_SY_SE_SJ_EUlSX_E_NS1_11comp_targetILNS1_3genE4ELNS1_11target_archE910ELNS1_3gpuE8ELNS1_3repE0EEENS1_47radix_sort_onesweep_sort_config_static_selectorELNS0_4arch9wavefront6targetE1EEEvSE_,"axG",@progbits,_ZN7rocprim17ROCPRIM_400000_NS6detail17trampoline_kernelINS0_14default_configENS1_35radix_sort_onesweep_config_selectorIaNS0_10empty_typeEEEZZNS1_29radix_sort_onesweep_iterationIS3_Lb1EPaS8_PS5_S9_mNS0_19identity_decomposerENS1_16block_id_wrapperIjLb1EEEEE10hipError_tT1_PNSt15iterator_traitsISE_E10value_typeET2_T3_PNSF_ISK_E10value_typeET4_T5_PSP_SQ_PNS1_23onesweep_lookback_stateEbbT6_jjT7_P12ihipStream_tbENKUlT_T0_SE_SJ_E_clIS8_S8_S9_S9_EEDaSX_SY_SE_SJ_EUlSX_E_NS1_11comp_targetILNS1_3genE4ELNS1_11target_archE910ELNS1_3gpuE8ELNS1_3repE0EEENS1_47radix_sort_onesweep_sort_config_static_selectorELNS0_4arch9wavefront6targetE1EEEvSE_,comdat
.Lfunc_end1644:
	.size	_ZN7rocprim17ROCPRIM_400000_NS6detail17trampoline_kernelINS0_14default_configENS1_35radix_sort_onesweep_config_selectorIaNS0_10empty_typeEEEZZNS1_29radix_sort_onesweep_iterationIS3_Lb1EPaS8_PS5_S9_mNS0_19identity_decomposerENS1_16block_id_wrapperIjLb1EEEEE10hipError_tT1_PNSt15iterator_traitsISE_E10value_typeET2_T3_PNSF_ISK_E10value_typeET4_T5_PSP_SQ_PNS1_23onesweep_lookback_stateEbbT6_jjT7_P12ihipStream_tbENKUlT_T0_SE_SJ_E_clIS8_S8_S9_S9_EEDaSX_SY_SE_SJ_EUlSX_E_NS1_11comp_targetILNS1_3genE4ELNS1_11target_archE910ELNS1_3gpuE8ELNS1_3repE0EEENS1_47radix_sort_onesweep_sort_config_static_selectorELNS0_4arch9wavefront6targetE1EEEvSE_, .Lfunc_end1644-_ZN7rocprim17ROCPRIM_400000_NS6detail17trampoline_kernelINS0_14default_configENS1_35radix_sort_onesweep_config_selectorIaNS0_10empty_typeEEEZZNS1_29radix_sort_onesweep_iterationIS3_Lb1EPaS8_PS5_S9_mNS0_19identity_decomposerENS1_16block_id_wrapperIjLb1EEEEE10hipError_tT1_PNSt15iterator_traitsISE_E10value_typeET2_T3_PNSF_ISK_E10value_typeET4_T5_PSP_SQ_PNS1_23onesweep_lookback_stateEbbT6_jjT7_P12ihipStream_tbENKUlT_T0_SE_SJ_E_clIS8_S8_S9_S9_EEDaSX_SY_SE_SJ_EUlSX_E_NS1_11comp_targetILNS1_3genE4ELNS1_11target_archE910ELNS1_3gpuE8ELNS1_3repE0EEENS1_47radix_sort_onesweep_sort_config_static_selectorELNS0_4arch9wavefront6targetE1EEEvSE_
                                        ; -- End function
	.section	.AMDGPU.csdata,"",@progbits
; Kernel info:
; codeLenInByte = 12872
; NumSgprs: 34
; NumVgprs: 79
; NumAgprs: 0
; TotalNumVgprs: 79
; ScratchSize: 0
; MemoryBound: 0
; FloatMode: 240
; IeeeMode: 1
; LDSByteSize: 16424 bytes/workgroup (compile time only)
; SGPRBlocks: 4
; VGPRBlocks: 9
; NumSGPRsForWavesPerEU: 34
; NumVGPRsForWavesPerEU: 79
; AccumOffset: 80
; Occupancy: 6
; WaveLimiterHint : 0
; COMPUTE_PGM_RSRC2:SCRATCH_EN: 0
; COMPUTE_PGM_RSRC2:USER_SGPR: 6
; COMPUTE_PGM_RSRC2:TRAP_HANDLER: 0
; COMPUTE_PGM_RSRC2:TGID_X_EN: 1
; COMPUTE_PGM_RSRC2:TGID_Y_EN: 0
; COMPUTE_PGM_RSRC2:TGID_Z_EN: 0
; COMPUTE_PGM_RSRC2:TIDIG_COMP_CNT: 0
; COMPUTE_PGM_RSRC3_GFX90A:ACCUM_OFFSET: 19
; COMPUTE_PGM_RSRC3_GFX90A:TG_SPLIT: 0
	.section	.text._ZN7rocprim17ROCPRIM_400000_NS6detail17trampoline_kernelINS0_14default_configENS1_35radix_sort_onesweep_config_selectorIaNS0_10empty_typeEEEZZNS1_29radix_sort_onesweep_iterationIS3_Lb1EPaS8_PS5_S9_mNS0_19identity_decomposerENS1_16block_id_wrapperIjLb1EEEEE10hipError_tT1_PNSt15iterator_traitsISE_E10value_typeET2_T3_PNSF_ISK_E10value_typeET4_T5_PSP_SQ_PNS1_23onesweep_lookback_stateEbbT6_jjT7_P12ihipStream_tbENKUlT_T0_SE_SJ_E_clIS8_S8_S9_S9_EEDaSX_SY_SE_SJ_EUlSX_E_NS1_11comp_targetILNS1_3genE3ELNS1_11target_archE908ELNS1_3gpuE7ELNS1_3repE0EEENS1_47radix_sort_onesweep_sort_config_static_selectorELNS0_4arch9wavefront6targetE1EEEvSE_,"axG",@progbits,_ZN7rocprim17ROCPRIM_400000_NS6detail17trampoline_kernelINS0_14default_configENS1_35radix_sort_onesweep_config_selectorIaNS0_10empty_typeEEEZZNS1_29radix_sort_onesweep_iterationIS3_Lb1EPaS8_PS5_S9_mNS0_19identity_decomposerENS1_16block_id_wrapperIjLb1EEEEE10hipError_tT1_PNSt15iterator_traitsISE_E10value_typeET2_T3_PNSF_ISK_E10value_typeET4_T5_PSP_SQ_PNS1_23onesweep_lookback_stateEbbT6_jjT7_P12ihipStream_tbENKUlT_T0_SE_SJ_E_clIS8_S8_S9_S9_EEDaSX_SY_SE_SJ_EUlSX_E_NS1_11comp_targetILNS1_3genE3ELNS1_11target_archE908ELNS1_3gpuE7ELNS1_3repE0EEENS1_47radix_sort_onesweep_sort_config_static_selectorELNS0_4arch9wavefront6targetE1EEEvSE_,comdat
	.protected	_ZN7rocprim17ROCPRIM_400000_NS6detail17trampoline_kernelINS0_14default_configENS1_35radix_sort_onesweep_config_selectorIaNS0_10empty_typeEEEZZNS1_29radix_sort_onesweep_iterationIS3_Lb1EPaS8_PS5_S9_mNS0_19identity_decomposerENS1_16block_id_wrapperIjLb1EEEEE10hipError_tT1_PNSt15iterator_traitsISE_E10value_typeET2_T3_PNSF_ISK_E10value_typeET4_T5_PSP_SQ_PNS1_23onesweep_lookback_stateEbbT6_jjT7_P12ihipStream_tbENKUlT_T0_SE_SJ_E_clIS8_S8_S9_S9_EEDaSX_SY_SE_SJ_EUlSX_E_NS1_11comp_targetILNS1_3genE3ELNS1_11target_archE908ELNS1_3gpuE7ELNS1_3repE0EEENS1_47radix_sort_onesweep_sort_config_static_selectorELNS0_4arch9wavefront6targetE1EEEvSE_ ; -- Begin function _ZN7rocprim17ROCPRIM_400000_NS6detail17trampoline_kernelINS0_14default_configENS1_35radix_sort_onesweep_config_selectorIaNS0_10empty_typeEEEZZNS1_29radix_sort_onesweep_iterationIS3_Lb1EPaS8_PS5_S9_mNS0_19identity_decomposerENS1_16block_id_wrapperIjLb1EEEEE10hipError_tT1_PNSt15iterator_traitsISE_E10value_typeET2_T3_PNSF_ISK_E10value_typeET4_T5_PSP_SQ_PNS1_23onesweep_lookback_stateEbbT6_jjT7_P12ihipStream_tbENKUlT_T0_SE_SJ_E_clIS8_S8_S9_S9_EEDaSX_SY_SE_SJ_EUlSX_E_NS1_11comp_targetILNS1_3genE3ELNS1_11target_archE908ELNS1_3gpuE7ELNS1_3repE0EEENS1_47radix_sort_onesweep_sort_config_static_selectorELNS0_4arch9wavefront6targetE1EEEvSE_
	.globl	_ZN7rocprim17ROCPRIM_400000_NS6detail17trampoline_kernelINS0_14default_configENS1_35radix_sort_onesweep_config_selectorIaNS0_10empty_typeEEEZZNS1_29radix_sort_onesweep_iterationIS3_Lb1EPaS8_PS5_S9_mNS0_19identity_decomposerENS1_16block_id_wrapperIjLb1EEEEE10hipError_tT1_PNSt15iterator_traitsISE_E10value_typeET2_T3_PNSF_ISK_E10value_typeET4_T5_PSP_SQ_PNS1_23onesweep_lookback_stateEbbT6_jjT7_P12ihipStream_tbENKUlT_T0_SE_SJ_E_clIS8_S8_S9_S9_EEDaSX_SY_SE_SJ_EUlSX_E_NS1_11comp_targetILNS1_3genE3ELNS1_11target_archE908ELNS1_3gpuE7ELNS1_3repE0EEENS1_47radix_sort_onesweep_sort_config_static_selectorELNS0_4arch9wavefront6targetE1EEEvSE_
	.p2align	8
	.type	_ZN7rocprim17ROCPRIM_400000_NS6detail17trampoline_kernelINS0_14default_configENS1_35radix_sort_onesweep_config_selectorIaNS0_10empty_typeEEEZZNS1_29radix_sort_onesweep_iterationIS3_Lb1EPaS8_PS5_S9_mNS0_19identity_decomposerENS1_16block_id_wrapperIjLb1EEEEE10hipError_tT1_PNSt15iterator_traitsISE_E10value_typeET2_T3_PNSF_ISK_E10value_typeET4_T5_PSP_SQ_PNS1_23onesweep_lookback_stateEbbT6_jjT7_P12ihipStream_tbENKUlT_T0_SE_SJ_E_clIS8_S8_S9_S9_EEDaSX_SY_SE_SJ_EUlSX_E_NS1_11comp_targetILNS1_3genE3ELNS1_11target_archE908ELNS1_3gpuE7ELNS1_3repE0EEENS1_47radix_sort_onesweep_sort_config_static_selectorELNS0_4arch9wavefront6targetE1EEEvSE_,@function
_ZN7rocprim17ROCPRIM_400000_NS6detail17trampoline_kernelINS0_14default_configENS1_35radix_sort_onesweep_config_selectorIaNS0_10empty_typeEEEZZNS1_29radix_sort_onesweep_iterationIS3_Lb1EPaS8_PS5_S9_mNS0_19identity_decomposerENS1_16block_id_wrapperIjLb1EEEEE10hipError_tT1_PNSt15iterator_traitsISE_E10value_typeET2_T3_PNSF_ISK_E10value_typeET4_T5_PSP_SQ_PNS1_23onesweep_lookback_stateEbbT6_jjT7_P12ihipStream_tbENKUlT_T0_SE_SJ_E_clIS8_S8_S9_S9_EEDaSX_SY_SE_SJ_EUlSX_E_NS1_11comp_targetILNS1_3genE3ELNS1_11target_archE908ELNS1_3gpuE7ELNS1_3repE0EEENS1_47radix_sort_onesweep_sort_config_static_selectorELNS0_4arch9wavefront6targetE1EEEvSE_: ; @_ZN7rocprim17ROCPRIM_400000_NS6detail17trampoline_kernelINS0_14default_configENS1_35radix_sort_onesweep_config_selectorIaNS0_10empty_typeEEEZZNS1_29radix_sort_onesweep_iterationIS3_Lb1EPaS8_PS5_S9_mNS0_19identity_decomposerENS1_16block_id_wrapperIjLb1EEEEE10hipError_tT1_PNSt15iterator_traitsISE_E10value_typeET2_T3_PNSF_ISK_E10value_typeET4_T5_PSP_SQ_PNS1_23onesweep_lookback_stateEbbT6_jjT7_P12ihipStream_tbENKUlT_T0_SE_SJ_E_clIS8_S8_S9_S9_EEDaSX_SY_SE_SJ_EUlSX_E_NS1_11comp_targetILNS1_3genE3ELNS1_11target_archE908ELNS1_3gpuE7ELNS1_3repE0EEENS1_47radix_sort_onesweep_sort_config_static_selectorELNS0_4arch9wavefront6targetE1EEEvSE_
; %bb.0:
	.section	.rodata,"a",@progbits
	.p2align	6, 0x0
	.amdhsa_kernel _ZN7rocprim17ROCPRIM_400000_NS6detail17trampoline_kernelINS0_14default_configENS1_35radix_sort_onesweep_config_selectorIaNS0_10empty_typeEEEZZNS1_29radix_sort_onesweep_iterationIS3_Lb1EPaS8_PS5_S9_mNS0_19identity_decomposerENS1_16block_id_wrapperIjLb1EEEEE10hipError_tT1_PNSt15iterator_traitsISE_E10value_typeET2_T3_PNSF_ISK_E10value_typeET4_T5_PSP_SQ_PNS1_23onesweep_lookback_stateEbbT6_jjT7_P12ihipStream_tbENKUlT_T0_SE_SJ_E_clIS8_S8_S9_S9_EEDaSX_SY_SE_SJ_EUlSX_E_NS1_11comp_targetILNS1_3genE3ELNS1_11target_archE908ELNS1_3gpuE7ELNS1_3repE0EEENS1_47radix_sort_onesweep_sort_config_static_selectorELNS0_4arch9wavefront6targetE1EEEvSE_
		.amdhsa_group_segment_fixed_size 0
		.amdhsa_private_segment_fixed_size 0
		.amdhsa_kernarg_size 88
		.amdhsa_user_sgpr_count 6
		.amdhsa_user_sgpr_private_segment_buffer 1
		.amdhsa_user_sgpr_dispatch_ptr 0
		.amdhsa_user_sgpr_queue_ptr 0
		.amdhsa_user_sgpr_kernarg_segment_ptr 1
		.amdhsa_user_sgpr_dispatch_id 0
		.amdhsa_user_sgpr_flat_scratch_init 0
		.amdhsa_user_sgpr_kernarg_preload_length 0
		.amdhsa_user_sgpr_kernarg_preload_offset 0
		.amdhsa_user_sgpr_private_segment_size 0
		.amdhsa_uses_dynamic_stack 0
		.amdhsa_system_sgpr_private_segment_wavefront_offset 0
		.amdhsa_system_sgpr_workgroup_id_x 1
		.amdhsa_system_sgpr_workgroup_id_y 0
		.amdhsa_system_sgpr_workgroup_id_z 0
		.amdhsa_system_sgpr_workgroup_info 0
		.amdhsa_system_vgpr_workitem_id 0
		.amdhsa_next_free_vgpr 1
		.amdhsa_next_free_sgpr 0
		.amdhsa_accum_offset 4
		.amdhsa_reserve_vcc 0
		.amdhsa_reserve_flat_scratch 0
		.amdhsa_float_round_mode_32 0
		.amdhsa_float_round_mode_16_64 0
		.amdhsa_float_denorm_mode_32 3
		.amdhsa_float_denorm_mode_16_64 3
		.amdhsa_dx10_clamp 1
		.amdhsa_ieee_mode 1
		.amdhsa_fp16_overflow 0
		.amdhsa_tg_split 0
		.amdhsa_exception_fp_ieee_invalid_op 0
		.amdhsa_exception_fp_denorm_src 0
		.amdhsa_exception_fp_ieee_div_zero 0
		.amdhsa_exception_fp_ieee_overflow 0
		.amdhsa_exception_fp_ieee_underflow 0
		.amdhsa_exception_fp_ieee_inexact 0
		.amdhsa_exception_int_div_zero 0
	.end_amdhsa_kernel
	.section	.text._ZN7rocprim17ROCPRIM_400000_NS6detail17trampoline_kernelINS0_14default_configENS1_35radix_sort_onesweep_config_selectorIaNS0_10empty_typeEEEZZNS1_29radix_sort_onesweep_iterationIS3_Lb1EPaS8_PS5_S9_mNS0_19identity_decomposerENS1_16block_id_wrapperIjLb1EEEEE10hipError_tT1_PNSt15iterator_traitsISE_E10value_typeET2_T3_PNSF_ISK_E10value_typeET4_T5_PSP_SQ_PNS1_23onesweep_lookback_stateEbbT6_jjT7_P12ihipStream_tbENKUlT_T0_SE_SJ_E_clIS8_S8_S9_S9_EEDaSX_SY_SE_SJ_EUlSX_E_NS1_11comp_targetILNS1_3genE3ELNS1_11target_archE908ELNS1_3gpuE7ELNS1_3repE0EEENS1_47radix_sort_onesweep_sort_config_static_selectorELNS0_4arch9wavefront6targetE1EEEvSE_,"axG",@progbits,_ZN7rocprim17ROCPRIM_400000_NS6detail17trampoline_kernelINS0_14default_configENS1_35radix_sort_onesweep_config_selectorIaNS0_10empty_typeEEEZZNS1_29radix_sort_onesweep_iterationIS3_Lb1EPaS8_PS5_S9_mNS0_19identity_decomposerENS1_16block_id_wrapperIjLb1EEEEE10hipError_tT1_PNSt15iterator_traitsISE_E10value_typeET2_T3_PNSF_ISK_E10value_typeET4_T5_PSP_SQ_PNS1_23onesweep_lookback_stateEbbT6_jjT7_P12ihipStream_tbENKUlT_T0_SE_SJ_E_clIS8_S8_S9_S9_EEDaSX_SY_SE_SJ_EUlSX_E_NS1_11comp_targetILNS1_3genE3ELNS1_11target_archE908ELNS1_3gpuE7ELNS1_3repE0EEENS1_47radix_sort_onesweep_sort_config_static_selectorELNS0_4arch9wavefront6targetE1EEEvSE_,comdat
.Lfunc_end1645:
	.size	_ZN7rocprim17ROCPRIM_400000_NS6detail17trampoline_kernelINS0_14default_configENS1_35radix_sort_onesweep_config_selectorIaNS0_10empty_typeEEEZZNS1_29radix_sort_onesweep_iterationIS3_Lb1EPaS8_PS5_S9_mNS0_19identity_decomposerENS1_16block_id_wrapperIjLb1EEEEE10hipError_tT1_PNSt15iterator_traitsISE_E10value_typeET2_T3_PNSF_ISK_E10value_typeET4_T5_PSP_SQ_PNS1_23onesweep_lookback_stateEbbT6_jjT7_P12ihipStream_tbENKUlT_T0_SE_SJ_E_clIS8_S8_S9_S9_EEDaSX_SY_SE_SJ_EUlSX_E_NS1_11comp_targetILNS1_3genE3ELNS1_11target_archE908ELNS1_3gpuE7ELNS1_3repE0EEENS1_47radix_sort_onesweep_sort_config_static_selectorELNS0_4arch9wavefront6targetE1EEEvSE_, .Lfunc_end1645-_ZN7rocprim17ROCPRIM_400000_NS6detail17trampoline_kernelINS0_14default_configENS1_35radix_sort_onesweep_config_selectorIaNS0_10empty_typeEEEZZNS1_29radix_sort_onesweep_iterationIS3_Lb1EPaS8_PS5_S9_mNS0_19identity_decomposerENS1_16block_id_wrapperIjLb1EEEEE10hipError_tT1_PNSt15iterator_traitsISE_E10value_typeET2_T3_PNSF_ISK_E10value_typeET4_T5_PSP_SQ_PNS1_23onesweep_lookback_stateEbbT6_jjT7_P12ihipStream_tbENKUlT_T0_SE_SJ_E_clIS8_S8_S9_S9_EEDaSX_SY_SE_SJ_EUlSX_E_NS1_11comp_targetILNS1_3genE3ELNS1_11target_archE908ELNS1_3gpuE7ELNS1_3repE0EEENS1_47radix_sort_onesweep_sort_config_static_selectorELNS0_4arch9wavefront6targetE1EEEvSE_
                                        ; -- End function
	.section	.AMDGPU.csdata,"",@progbits
; Kernel info:
; codeLenInByte = 0
; NumSgprs: 4
; NumVgprs: 0
; NumAgprs: 0
; TotalNumVgprs: 0
; ScratchSize: 0
; MemoryBound: 0
; FloatMode: 240
; IeeeMode: 1
; LDSByteSize: 0 bytes/workgroup (compile time only)
; SGPRBlocks: 0
; VGPRBlocks: 0
; NumSGPRsForWavesPerEU: 4
; NumVGPRsForWavesPerEU: 1
; AccumOffset: 4
; Occupancy: 8
; WaveLimiterHint : 0
; COMPUTE_PGM_RSRC2:SCRATCH_EN: 0
; COMPUTE_PGM_RSRC2:USER_SGPR: 6
; COMPUTE_PGM_RSRC2:TRAP_HANDLER: 0
; COMPUTE_PGM_RSRC2:TGID_X_EN: 1
; COMPUTE_PGM_RSRC2:TGID_Y_EN: 0
; COMPUTE_PGM_RSRC2:TGID_Z_EN: 0
; COMPUTE_PGM_RSRC2:TIDIG_COMP_CNT: 0
; COMPUTE_PGM_RSRC3_GFX90A:ACCUM_OFFSET: 0
; COMPUTE_PGM_RSRC3_GFX90A:TG_SPLIT: 0
	.section	.text._ZN7rocprim17ROCPRIM_400000_NS6detail17trampoline_kernelINS0_14default_configENS1_35radix_sort_onesweep_config_selectorIaNS0_10empty_typeEEEZZNS1_29radix_sort_onesweep_iterationIS3_Lb1EPaS8_PS5_S9_mNS0_19identity_decomposerENS1_16block_id_wrapperIjLb1EEEEE10hipError_tT1_PNSt15iterator_traitsISE_E10value_typeET2_T3_PNSF_ISK_E10value_typeET4_T5_PSP_SQ_PNS1_23onesweep_lookback_stateEbbT6_jjT7_P12ihipStream_tbENKUlT_T0_SE_SJ_E_clIS8_S8_S9_S9_EEDaSX_SY_SE_SJ_EUlSX_E_NS1_11comp_targetILNS1_3genE10ELNS1_11target_archE1201ELNS1_3gpuE5ELNS1_3repE0EEENS1_47radix_sort_onesweep_sort_config_static_selectorELNS0_4arch9wavefront6targetE1EEEvSE_,"axG",@progbits,_ZN7rocprim17ROCPRIM_400000_NS6detail17trampoline_kernelINS0_14default_configENS1_35radix_sort_onesweep_config_selectorIaNS0_10empty_typeEEEZZNS1_29radix_sort_onesweep_iterationIS3_Lb1EPaS8_PS5_S9_mNS0_19identity_decomposerENS1_16block_id_wrapperIjLb1EEEEE10hipError_tT1_PNSt15iterator_traitsISE_E10value_typeET2_T3_PNSF_ISK_E10value_typeET4_T5_PSP_SQ_PNS1_23onesweep_lookback_stateEbbT6_jjT7_P12ihipStream_tbENKUlT_T0_SE_SJ_E_clIS8_S8_S9_S9_EEDaSX_SY_SE_SJ_EUlSX_E_NS1_11comp_targetILNS1_3genE10ELNS1_11target_archE1201ELNS1_3gpuE5ELNS1_3repE0EEENS1_47radix_sort_onesweep_sort_config_static_selectorELNS0_4arch9wavefront6targetE1EEEvSE_,comdat
	.protected	_ZN7rocprim17ROCPRIM_400000_NS6detail17trampoline_kernelINS0_14default_configENS1_35radix_sort_onesweep_config_selectorIaNS0_10empty_typeEEEZZNS1_29radix_sort_onesweep_iterationIS3_Lb1EPaS8_PS5_S9_mNS0_19identity_decomposerENS1_16block_id_wrapperIjLb1EEEEE10hipError_tT1_PNSt15iterator_traitsISE_E10value_typeET2_T3_PNSF_ISK_E10value_typeET4_T5_PSP_SQ_PNS1_23onesweep_lookback_stateEbbT6_jjT7_P12ihipStream_tbENKUlT_T0_SE_SJ_E_clIS8_S8_S9_S9_EEDaSX_SY_SE_SJ_EUlSX_E_NS1_11comp_targetILNS1_3genE10ELNS1_11target_archE1201ELNS1_3gpuE5ELNS1_3repE0EEENS1_47radix_sort_onesweep_sort_config_static_selectorELNS0_4arch9wavefront6targetE1EEEvSE_ ; -- Begin function _ZN7rocprim17ROCPRIM_400000_NS6detail17trampoline_kernelINS0_14default_configENS1_35radix_sort_onesweep_config_selectorIaNS0_10empty_typeEEEZZNS1_29radix_sort_onesweep_iterationIS3_Lb1EPaS8_PS5_S9_mNS0_19identity_decomposerENS1_16block_id_wrapperIjLb1EEEEE10hipError_tT1_PNSt15iterator_traitsISE_E10value_typeET2_T3_PNSF_ISK_E10value_typeET4_T5_PSP_SQ_PNS1_23onesweep_lookback_stateEbbT6_jjT7_P12ihipStream_tbENKUlT_T0_SE_SJ_E_clIS8_S8_S9_S9_EEDaSX_SY_SE_SJ_EUlSX_E_NS1_11comp_targetILNS1_3genE10ELNS1_11target_archE1201ELNS1_3gpuE5ELNS1_3repE0EEENS1_47radix_sort_onesweep_sort_config_static_selectorELNS0_4arch9wavefront6targetE1EEEvSE_
	.globl	_ZN7rocprim17ROCPRIM_400000_NS6detail17trampoline_kernelINS0_14default_configENS1_35radix_sort_onesweep_config_selectorIaNS0_10empty_typeEEEZZNS1_29radix_sort_onesweep_iterationIS3_Lb1EPaS8_PS5_S9_mNS0_19identity_decomposerENS1_16block_id_wrapperIjLb1EEEEE10hipError_tT1_PNSt15iterator_traitsISE_E10value_typeET2_T3_PNSF_ISK_E10value_typeET4_T5_PSP_SQ_PNS1_23onesweep_lookback_stateEbbT6_jjT7_P12ihipStream_tbENKUlT_T0_SE_SJ_E_clIS8_S8_S9_S9_EEDaSX_SY_SE_SJ_EUlSX_E_NS1_11comp_targetILNS1_3genE10ELNS1_11target_archE1201ELNS1_3gpuE5ELNS1_3repE0EEENS1_47radix_sort_onesweep_sort_config_static_selectorELNS0_4arch9wavefront6targetE1EEEvSE_
	.p2align	8
	.type	_ZN7rocprim17ROCPRIM_400000_NS6detail17trampoline_kernelINS0_14default_configENS1_35radix_sort_onesweep_config_selectorIaNS0_10empty_typeEEEZZNS1_29radix_sort_onesweep_iterationIS3_Lb1EPaS8_PS5_S9_mNS0_19identity_decomposerENS1_16block_id_wrapperIjLb1EEEEE10hipError_tT1_PNSt15iterator_traitsISE_E10value_typeET2_T3_PNSF_ISK_E10value_typeET4_T5_PSP_SQ_PNS1_23onesweep_lookback_stateEbbT6_jjT7_P12ihipStream_tbENKUlT_T0_SE_SJ_E_clIS8_S8_S9_S9_EEDaSX_SY_SE_SJ_EUlSX_E_NS1_11comp_targetILNS1_3genE10ELNS1_11target_archE1201ELNS1_3gpuE5ELNS1_3repE0EEENS1_47radix_sort_onesweep_sort_config_static_selectorELNS0_4arch9wavefront6targetE1EEEvSE_,@function
_ZN7rocprim17ROCPRIM_400000_NS6detail17trampoline_kernelINS0_14default_configENS1_35radix_sort_onesweep_config_selectorIaNS0_10empty_typeEEEZZNS1_29radix_sort_onesweep_iterationIS3_Lb1EPaS8_PS5_S9_mNS0_19identity_decomposerENS1_16block_id_wrapperIjLb1EEEEE10hipError_tT1_PNSt15iterator_traitsISE_E10value_typeET2_T3_PNSF_ISK_E10value_typeET4_T5_PSP_SQ_PNS1_23onesweep_lookback_stateEbbT6_jjT7_P12ihipStream_tbENKUlT_T0_SE_SJ_E_clIS8_S8_S9_S9_EEDaSX_SY_SE_SJ_EUlSX_E_NS1_11comp_targetILNS1_3genE10ELNS1_11target_archE1201ELNS1_3gpuE5ELNS1_3repE0EEENS1_47radix_sort_onesweep_sort_config_static_selectorELNS0_4arch9wavefront6targetE1EEEvSE_: ; @_ZN7rocprim17ROCPRIM_400000_NS6detail17trampoline_kernelINS0_14default_configENS1_35radix_sort_onesweep_config_selectorIaNS0_10empty_typeEEEZZNS1_29radix_sort_onesweep_iterationIS3_Lb1EPaS8_PS5_S9_mNS0_19identity_decomposerENS1_16block_id_wrapperIjLb1EEEEE10hipError_tT1_PNSt15iterator_traitsISE_E10value_typeET2_T3_PNSF_ISK_E10value_typeET4_T5_PSP_SQ_PNS1_23onesweep_lookback_stateEbbT6_jjT7_P12ihipStream_tbENKUlT_T0_SE_SJ_E_clIS8_S8_S9_S9_EEDaSX_SY_SE_SJ_EUlSX_E_NS1_11comp_targetILNS1_3genE10ELNS1_11target_archE1201ELNS1_3gpuE5ELNS1_3repE0EEENS1_47radix_sort_onesweep_sort_config_static_selectorELNS0_4arch9wavefront6targetE1EEEvSE_
; %bb.0:
	.section	.rodata,"a",@progbits
	.p2align	6, 0x0
	.amdhsa_kernel _ZN7rocprim17ROCPRIM_400000_NS6detail17trampoline_kernelINS0_14default_configENS1_35radix_sort_onesweep_config_selectorIaNS0_10empty_typeEEEZZNS1_29radix_sort_onesweep_iterationIS3_Lb1EPaS8_PS5_S9_mNS0_19identity_decomposerENS1_16block_id_wrapperIjLb1EEEEE10hipError_tT1_PNSt15iterator_traitsISE_E10value_typeET2_T3_PNSF_ISK_E10value_typeET4_T5_PSP_SQ_PNS1_23onesweep_lookback_stateEbbT6_jjT7_P12ihipStream_tbENKUlT_T0_SE_SJ_E_clIS8_S8_S9_S9_EEDaSX_SY_SE_SJ_EUlSX_E_NS1_11comp_targetILNS1_3genE10ELNS1_11target_archE1201ELNS1_3gpuE5ELNS1_3repE0EEENS1_47radix_sort_onesweep_sort_config_static_selectorELNS0_4arch9wavefront6targetE1EEEvSE_
		.amdhsa_group_segment_fixed_size 0
		.amdhsa_private_segment_fixed_size 0
		.amdhsa_kernarg_size 88
		.amdhsa_user_sgpr_count 6
		.amdhsa_user_sgpr_private_segment_buffer 1
		.amdhsa_user_sgpr_dispatch_ptr 0
		.amdhsa_user_sgpr_queue_ptr 0
		.amdhsa_user_sgpr_kernarg_segment_ptr 1
		.amdhsa_user_sgpr_dispatch_id 0
		.amdhsa_user_sgpr_flat_scratch_init 0
		.amdhsa_user_sgpr_kernarg_preload_length 0
		.amdhsa_user_sgpr_kernarg_preload_offset 0
		.amdhsa_user_sgpr_private_segment_size 0
		.amdhsa_uses_dynamic_stack 0
		.amdhsa_system_sgpr_private_segment_wavefront_offset 0
		.amdhsa_system_sgpr_workgroup_id_x 1
		.amdhsa_system_sgpr_workgroup_id_y 0
		.amdhsa_system_sgpr_workgroup_id_z 0
		.amdhsa_system_sgpr_workgroup_info 0
		.amdhsa_system_vgpr_workitem_id 0
		.amdhsa_next_free_vgpr 1
		.amdhsa_next_free_sgpr 0
		.amdhsa_accum_offset 4
		.amdhsa_reserve_vcc 0
		.amdhsa_reserve_flat_scratch 0
		.amdhsa_float_round_mode_32 0
		.amdhsa_float_round_mode_16_64 0
		.amdhsa_float_denorm_mode_32 3
		.amdhsa_float_denorm_mode_16_64 3
		.amdhsa_dx10_clamp 1
		.amdhsa_ieee_mode 1
		.amdhsa_fp16_overflow 0
		.amdhsa_tg_split 0
		.amdhsa_exception_fp_ieee_invalid_op 0
		.amdhsa_exception_fp_denorm_src 0
		.amdhsa_exception_fp_ieee_div_zero 0
		.amdhsa_exception_fp_ieee_overflow 0
		.amdhsa_exception_fp_ieee_underflow 0
		.amdhsa_exception_fp_ieee_inexact 0
		.amdhsa_exception_int_div_zero 0
	.end_amdhsa_kernel
	.section	.text._ZN7rocprim17ROCPRIM_400000_NS6detail17trampoline_kernelINS0_14default_configENS1_35radix_sort_onesweep_config_selectorIaNS0_10empty_typeEEEZZNS1_29radix_sort_onesweep_iterationIS3_Lb1EPaS8_PS5_S9_mNS0_19identity_decomposerENS1_16block_id_wrapperIjLb1EEEEE10hipError_tT1_PNSt15iterator_traitsISE_E10value_typeET2_T3_PNSF_ISK_E10value_typeET4_T5_PSP_SQ_PNS1_23onesweep_lookback_stateEbbT6_jjT7_P12ihipStream_tbENKUlT_T0_SE_SJ_E_clIS8_S8_S9_S9_EEDaSX_SY_SE_SJ_EUlSX_E_NS1_11comp_targetILNS1_3genE10ELNS1_11target_archE1201ELNS1_3gpuE5ELNS1_3repE0EEENS1_47radix_sort_onesweep_sort_config_static_selectorELNS0_4arch9wavefront6targetE1EEEvSE_,"axG",@progbits,_ZN7rocprim17ROCPRIM_400000_NS6detail17trampoline_kernelINS0_14default_configENS1_35radix_sort_onesweep_config_selectorIaNS0_10empty_typeEEEZZNS1_29radix_sort_onesweep_iterationIS3_Lb1EPaS8_PS5_S9_mNS0_19identity_decomposerENS1_16block_id_wrapperIjLb1EEEEE10hipError_tT1_PNSt15iterator_traitsISE_E10value_typeET2_T3_PNSF_ISK_E10value_typeET4_T5_PSP_SQ_PNS1_23onesweep_lookback_stateEbbT6_jjT7_P12ihipStream_tbENKUlT_T0_SE_SJ_E_clIS8_S8_S9_S9_EEDaSX_SY_SE_SJ_EUlSX_E_NS1_11comp_targetILNS1_3genE10ELNS1_11target_archE1201ELNS1_3gpuE5ELNS1_3repE0EEENS1_47radix_sort_onesweep_sort_config_static_selectorELNS0_4arch9wavefront6targetE1EEEvSE_,comdat
.Lfunc_end1646:
	.size	_ZN7rocprim17ROCPRIM_400000_NS6detail17trampoline_kernelINS0_14default_configENS1_35radix_sort_onesweep_config_selectorIaNS0_10empty_typeEEEZZNS1_29radix_sort_onesweep_iterationIS3_Lb1EPaS8_PS5_S9_mNS0_19identity_decomposerENS1_16block_id_wrapperIjLb1EEEEE10hipError_tT1_PNSt15iterator_traitsISE_E10value_typeET2_T3_PNSF_ISK_E10value_typeET4_T5_PSP_SQ_PNS1_23onesweep_lookback_stateEbbT6_jjT7_P12ihipStream_tbENKUlT_T0_SE_SJ_E_clIS8_S8_S9_S9_EEDaSX_SY_SE_SJ_EUlSX_E_NS1_11comp_targetILNS1_3genE10ELNS1_11target_archE1201ELNS1_3gpuE5ELNS1_3repE0EEENS1_47radix_sort_onesweep_sort_config_static_selectorELNS0_4arch9wavefront6targetE1EEEvSE_, .Lfunc_end1646-_ZN7rocprim17ROCPRIM_400000_NS6detail17trampoline_kernelINS0_14default_configENS1_35radix_sort_onesweep_config_selectorIaNS0_10empty_typeEEEZZNS1_29radix_sort_onesweep_iterationIS3_Lb1EPaS8_PS5_S9_mNS0_19identity_decomposerENS1_16block_id_wrapperIjLb1EEEEE10hipError_tT1_PNSt15iterator_traitsISE_E10value_typeET2_T3_PNSF_ISK_E10value_typeET4_T5_PSP_SQ_PNS1_23onesweep_lookback_stateEbbT6_jjT7_P12ihipStream_tbENKUlT_T0_SE_SJ_E_clIS8_S8_S9_S9_EEDaSX_SY_SE_SJ_EUlSX_E_NS1_11comp_targetILNS1_3genE10ELNS1_11target_archE1201ELNS1_3gpuE5ELNS1_3repE0EEENS1_47radix_sort_onesweep_sort_config_static_selectorELNS0_4arch9wavefront6targetE1EEEvSE_
                                        ; -- End function
	.section	.AMDGPU.csdata,"",@progbits
; Kernel info:
; codeLenInByte = 0
; NumSgprs: 4
; NumVgprs: 0
; NumAgprs: 0
; TotalNumVgprs: 0
; ScratchSize: 0
; MemoryBound: 0
; FloatMode: 240
; IeeeMode: 1
; LDSByteSize: 0 bytes/workgroup (compile time only)
; SGPRBlocks: 0
; VGPRBlocks: 0
; NumSGPRsForWavesPerEU: 4
; NumVGPRsForWavesPerEU: 1
; AccumOffset: 4
; Occupancy: 8
; WaveLimiterHint : 0
; COMPUTE_PGM_RSRC2:SCRATCH_EN: 0
; COMPUTE_PGM_RSRC2:USER_SGPR: 6
; COMPUTE_PGM_RSRC2:TRAP_HANDLER: 0
; COMPUTE_PGM_RSRC2:TGID_X_EN: 1
; COMPUTE_PGM_RSRC2:TGID_Y_EN: 0
; COMPUTE_PGM_RSRC2:TGID_Z_EN: 0
; COMPUTE_PGM_RSRC2:TIDIG_COMP_CNT: 0
; COMPUTE_PGM_RSRC3_GFX90A:ACCUM_OFFSET: 0
; COMPUTE_PGM_RSRC3_GFX90A:TG_SPLIT: 0
	.section	.text._ZN7rocprim17ROCPRIM_400000_NS6detail17trampoline_kernelINS0_14default_configENS1_35radix_sort_onesweep_config_selectorIaNS0_10empty_typeEEEZZNS1_29radix_sort_onesweep_iterationIS3_Lb1EPaS8_PS5_S9_mNS0_19identity_decomposerENS1_16block_id_wrapperIjLb1EEEEE10hipError_tT1_PNSt15iterator_traitsISE_E10value_typeET2_T3_PNSF_ISK_E10value_typeET4_T5_PSP_SQ_PNS1_23onesweep_lookback_stateEbbT6_jjT7_P12ihipStream_tbENKUlT_T0_SE_SJ_E_clIS8_S8_S9_S9_EEDaSX_SY_SE_SJ_EUlSX_E_NS1_11comp_targetILNS1_3genE9ELNS1_11target_archE1100ELNS1_3gpuE3ELNS1_3repE0EEENS1_47radix_sort_onesweep_sort_config_static_selectorELNS0_4arch9wavefront6targetE1EEEvSE_,"axG",@progbits,_ZN7rocprim17ROCPRIM_400000_NS6detail17trampoline_kernelINS0_14default_configENS1_35radix_sort_onesweep_config_selectorIaNS0_10empty_typeEEEZZNS1_29radix_sort_onesweep_iterationIS3_Lb1EPaS8_PS5_S9_mNS0_19identity_decomposerENS1_16block_id_wrapperIjLb1EEEEE10hipError_tT1_PNSt15iterator_traitsISE_E10value_typeET2_T3_PNSF_ISK_E10value_typeET4_T5_PSP_SQ_PNS1_23onesweep_lookback_stateEbbT6_jjT7_P12ihipStream_tbENKUlT_T0_SE_SJ_E_clIS8_S8_S9_S9_EEDaSX_SY_SE_SJ_EUlSX_E_NS1_11comp_targetILNS1_3genE9ELNS1_11target_archE1100ELNS1_3gpuE3ELNS1_3repE0EEENS1_47radix_sort_onesweep_sort_config_static_selectorELNS0_4arch9wavefront6targetE1EEEvSE_,comdat
	.protected	_ZN7rocprim17ROCPRIM_400000_NS6detail17trampoline_kernelINS0_14default_configENS1_35radix_sort_onesweep_config_selectorIaNS0_10empty_typeEEEZZNS1_29radix_sort_onesweep_iterationIS3_Lb1EPaS8_PS5_S9_mNS0_19identity_decomposerENS1_16block_id_wrapperIjLb1EEEEE10hipError_tT1_PNSt15iterator_traitsISE_E10value_typeET2_T3_PNSF_ISK_E10value_typeET4_T5_PSP_SQ_PNS1_23onesweep_lookback_stateEbbT6_jjT7_P12ihipStream_tbENKUlT_T0_SE_SJ_E_clIS8_S8_S9_S9_EEDaSX_SY_SE_SJ_EUlSX_E_NS1_11comp_targetILNS1_3genE9ELNS1_11target_archE1100ELNS1_3gpuE3ELNS1_3repE0EEENS1_47radix_sort_onesweep_sort_config_static_selectorELNS0_4arch9wavefront6targetE1EEEvSE_ ; -- Begin function _ZN7rocprim17ROCPRIM_400000_NS6detail17trampoline_kernelINS0_14default_configENS1_35radix_sort_onesweep_config_selectorIaNS0_10empty_typeEEEZZNS1_29radix_sort_onesweep_iterationIS3_Lb1EPaS8_PS5_S9_mNS0_19identity_decomposerENS1_16block_id_wrapperIjLb1EEEEE10hipError_tT1_PNSt15iterator_traitsISE_E10value_typeET2_T3_PNSF_ISK_E10value_typeET4_T5_PSP_SQ_PNS1_23onesweep_lookback_stateEbbT6_jjT7_P12ihipStream_tbENKUlT_T0_SE_SJ_E_clIS8_S8_S9_S9_EEDaSX_SY_SE_SJ_EUlSX_E_NS1_11comp_targetILNS1_3genE9ELNS1_11target_archE1100ELNS1_3gpuE3ELNS1_3repE0EEENS1_47radix_sort_onesweep_sort_config_static_selectorELNS0_4arch9wavefront6targetE1EEEvSE_
	.globl	_ZN7rocprim17ROCPRIM_400000_NS6detail17trampoline_kernelINS0_14default_configENS1_35radix_sort_onesweep_config_selectorIaNS0_10empty_typeEEEZZNS1_29radix_sort_onesweep_iterationIS3_Lb1EPaS8_PS5_S9_mNS0_19identity_decomposerENS1_16block_id_wrapperIjLb1EEEEE10hipError_tT1_PNSt15iterator_traitsISE_E10value_typeET2_T3_PNSF_ISK_E10value_typeET4_T5_PSP_SQ_PNS1_23onesweep_lookback_stateEbbT6_jjT7_P12ihipStream_tbENKUlT_T0_SE_SJ_E_clIS8_S8_S9_S9_EEDaSX_SY_SE_SJ_EUlSX_E_NS1_11comp_targetILNS1_3genE9ELNS1_11target_archE1100ELNS1_3gpuE3ELNS1_3repE0EEENS1_47radix_sort_onesweep_sort_config_static_selectorELNS0_4arch9wavefront6targetE1EEEvSE_
	.p2align	8
	.type	_ZN7rocprim17ROCPRIM_400000_NS6detail17trampoline_kernelINS0_14default_configENS1_35radix_sort_onesweep_config_selectorIaNS0_10empty_typeEEEZZNS1_29radix_sort_onesweep_iterationIS3_Lb1EPaS8_PS5_S9_mNS0_19identity_decomposerENS1_16block_id_wrapperIjLb1EEEEE10hipError_tT1_PNSt15iterator_traitsISE_E10value_typeET2_T3_PNSF_ISK_E10value_typeET4_T5_PSP_SQ_PNS1_23onesweep_lookback_stateEbbT6_jjT7_P12ihipStream_tbENKUlT_T0_SE_SJ_E_clIS8_S8_S9_S9_EEDaSX_SY_SE_SJ_EUlSX_E_NS1_11comp_targetILNS1_3genE9ELNS1_11target_archE1100ELNS1_3gpuE3ELNS1_3repE0EEENS1_47radix_sort_onesweep_sort_config_static_selectorELNS0_4arch9wavefront6targetE1EEEvSE_,@function
_ZN7rocprim17ROCPRIM_400000_NS6detail17trampoline_kernelINS0_14default_configENS1_35radix_sort_onesweep_config_selectorIaNS0_10empty_typeEEEZZNS1_29radix_sort_onesweep_iterationIS3_Lb1EPaS8_PS5_S9_mNS0_19identity_decomposerENS1_16block_id_wrapperIjLb1EEEEE10hipError_tT1_PNSt15iterator_traitsISE_E10value_typeET2_T3_PNSF_ISK_E10value_typeET4_T5_PSP_SQ_PNS1_23onesweep_lookback_stateEbbT6_jjT7_P12ihipStream_tbENKUlT_T0_SE_SJ_E_clIS8_S8_S9_S9_EEDaSX_SY_SE_SJ_EUlSX_E_NS1_11comp_targetILNS1_3genE9ELNS1_11target_archE1100ELNS1_3gpuE3ELNS1_3repE0EEENS1_47radix_sort_onesweep_sort_config_static_selectorELNS0_4arch9wavefront6targetE1EEEvSE_: ; @_ZN7rocprim17ROCPRIM_400000_NS6detail17trampoline_kernelINS0_14default_configENS1_35radix_sort_onesweep_config_selectorIaNS0_10empty_typeEEEZZNS1_29radix_sort_onesweep_iterationIS3_Lb1EPaS8_PS5_S9_mNS0_19identity_decomposerENS1_16block_id_wrapperIjLb1EEEEE10hipError_tT1_PNSt15iterator_traitsISE_E10value_typeET2_T3_PNSF_ISK_E10value_typeET4_T5_PSP_SQ_PNS1_23onesweep_lookback_stateEbbT6_jjT7_P12ihipStream_tbENKUlT_T0_SE_SJ_E_clIS8_S8_S9_S9_EEDaSX_SY_SE_SJ_EUlSX_E_NS1_11comp_targetILNS1_3genE9ELNS1_11target_archE1100ELNS1_3gpuE3ELNS1_3repE0EEENS1_47radix_sort_onesweep_sort_config_static_selectorELNS0_4arch9wavefront6targetE1EEEvSE_
; %bb.0:
	.section	.rodata,"a",@progbits
	.p2align	6, 0x0
	.amdhsa_kernel _ZN7rocprim17ROCPRIM_400000_NS6detail17trampoline_kernelINS0_14default_configENS1_35radix_sort_onesweep_config_selectorIaNS0_10empty_typeEEEZZNS1_29radix_sort_onesweep_iterationIS3_Lb1EPaS8_PS5_S9_mNS0_19identity_decomposerENS1_16block_id_wrapperIjLb1EEEEE10hipError_tT1_PNSt15iterator_traitsISE_E10value_typeET2_T3_PNSF_ISK_E10value_typeET4_T5_PSP_SQ_PNS1_23onesweep_lookback_stateEbbT6_jjT7_P12ihipStream_tbENKUlT_T0_SE_SJ_E_clIS8_S8_S9_S9_EEDaSX_SY_SE_SJ_EUlSX_E_NS1_11comp_targetILNS1_3genE9ELNS1_11target_archE1100ELNS1_3gpuE3ELNS1_3repE0EEENS1_47radix_sort_onesweep_sort_config_static_selectorELNS0_4arch9wavefront6targetE1EEEvSE_
		.amdhsa_group_segment_fixed_size 0
		.amdhsa_private_segment_fixed_size 0
		.amdhsa_kernarg_size 88
		.amdhsa_user_sgpr_count 6
		.amdhsa_user_sgpr_private_segment_buffer 1
		.amdhsa_user_sgpr_dispatch_ptr 0
		.amdhsa_user_sgpr_queue_ptr 0
		.amdhsa_user_sgpr_kernarg_segment_ptr 1
		.amdhsa_user_sgpr_dispatch_id 0
		.amdhsa_user_sgpr_flat_scratch_init 0
		.amdhsa_user_sgpr_kernarg_preload_length 0
		.amdhsa_user_sgpr_kernarg_preload_offset 0
		.amdhsa_user_sgpr_private_segment_size 0
		.amdhsa_uses_dynamic_stack 0
		.amdhsa_system_sgpr_private_segment_wavefront_offset 0
		.amdhsa_system_sgpr_workgroup_id_x 1
		.amdhsa_system_sgpr_workgroup_id_y 0
		.amdhsa_system_sgpr_workgroup_id_z 0
		.amdhsa_system_sgpr_workgroup_info 0
		.amdhsa_system_vgpr_workitem_id 0
		.amdhsa_next_free_vgpr 1
		.amdhsa_next_free_sgpr 0
		.amdhsa_accum_offset 4
		.amdhsa_reserve_vcc 0
		.amdhsa_reserve_flat_scratch 0
		.amdhsa_float_round_mode_32 0
		.amdhsa_float_round_mode_16_64 0
		.amdhsa_float_denorm_mode_32 3
		.amdhsa_float_denorm_mode_16_64 3
		.amdhsa_dx10_clamp 1
		.amdhsa_ieee_mode 1
		.amdhsa_fp16_overflow 0
		.amdhsa_tg_split 0
		.amdhsa_exception_fp_ieee_invalid_op 0
		.amdhsa_exception_fp_denorm_src 0
		.amdhsa_exception_fp_ieee_div_zero 0
		.amdhsa_exception_fp_ieee_overflow 0
		.amdhsa_exception_fp_ieee_underflow 0
		.amdhsa_exception_fp_ieee_inexact 0
		.amdhsa_exception_int_div_zero 0
	.end_amdhsa_kernel
	.section	.text._ZN7rocprim17ROCPRIM_400000_NS6detail17trampoline_kernelINS0_14default_configENS1_35radix_sort_onesweep_config_selectorIaNS0_10empty_typeEEEZZNS1_29radix_sort_onesweep_iterationIS3_Lb1EPaS8_PS5_S9_mNS0_19identity_decomposerENS1_16block_id_wrapperIjLb1EEEEE10hipError_tT1_PNSt15iterator_traitsISE_E10value_typeET2_T3_PNSF_ISK_E10value_typeET4_T5_PSP_SQ_PNS1_23onesweep_lookback_stateEbbT6_jjT7_P12ihipStream_tbENKUlT_T0_SE_SJ_E_clIS8_S8_S9_S9_EEDaSX_SY_SE_SJ_EUlSX_E_NS1_11comp_targetILNS1_3genE9ELNS1_11target_archE1100ELNS1_3gpuE3ELNS1_3repE0EEENS1_47radix_sort_onesweep_sort_config_static_selectorELNS0_4arch9wavefront6targetE1EEEvSE_,"axG",@progbits,_ZN7rocprim17ROCPRIM_400000_NS6detail17trampoline_kernelINS0_14default_configENS1_35radix_sort_onesweep_config_selectorIaNS0_10empty_typeEEEZZNS1_29radix_sort_onesweep_iterationIS3_Lb1EPaS8_PS5_S9_mNS0_19identity_decomposerENS1_16block_id_wrapperIjLb1EEEEE10hipError_tT1_PNSt15iterator_traitsISE_E10value_typeET2_T3_PNSF_ISK_E10value_typeET4_T5_PSP_SQ_PNS1_23onesweep_lookback_stateEbbT6_jjT7_P12ihipStream_tbENKUlT_T0_SE_SJ_E_clIS8_S8_S9_S9_EEDaSX_SY_SE_SJ_EUlSX_E_NS1_11comp_targetILNS1_3genE9ELNS1_11target_archE1100ELNS1_3gpuE3ELNS1_3repE0EEENS1_47radix_sort_onesweep_sort_config_static_selectorELNS0_4arch9wavefront6targetE1EEEvSE_,comdat
.Lfunc_end1647:
	.size	_ZN7rocprim17ROCPRIM_400000_NS6detail17trampoline_kernelINS0_14default_configENS1_35radix_sort_onesweep_config_selectorIaNS0_10empty_typeEEEZZNS1_29radix_sort_onesweep_iterationIS3_Lb1EPaS8_PS5_S9_mNS0_19identity_decomposerENS1_16block_id_wrapperIjLb1EEEEE10hipError_tT1_PNSt15iterator_traitsISE_E10value_typeET2_T3_PNSF_ISK_E10value_typeET4_T5_PSP_SQ_PNS1_23onesweep_lookback_stateEbbT6_jjT7_P12ihipStream_tbENKUlT_T0_SE_SJ_E_clIS8_S8_S9_S9_EEDaSX_SY_SE_SJ_EUlSX_E_NS1_11comp_targetILNS1_3genE9ELNS1_11target_archE1100ELNS1_3gpuE3ELNS1_3repE0EEENS1_47radix_sort_onesweep_sort_config_static_selectorELNS0_4arch9wavefront6targetE1EEEvSE_, .Lfunc_end1647-_ZN7rocprim17ROCPRIM_400000_NS6detail17trampoline_kernelINS0_14default_configENS1_35radix_sort_onesweep_config_selectorIaNS0_10empty_typeEEEZZNS1_29radix_sort_onesweep_iterationIS3_Lb1EPaS8_PS5_S9_mNS0_19identity_decomposerENS1_16block_id_wrapperIjLb1EEEEE10hipError_tT1_PNSt15iterator_traitsISE_E10value_typeET2_T3_PNSF_ISK_E10value_typeET4_T5_PSP_SQ_PNS1_23onesweep_lookback_stateEbbT6_jjT7_P12ihipStream_tbENKUlT_T0_SE_SJ_E_clIS8_S8_S9_S9_EEDaSX_SY_SE_SJ_EUlSX_E_NS1_11comp_targetILNS1_3genE9ELNS1_11target_archE1100ELNS1_3gpuE3ELNS1_3repE0EEENS1_47radix_sort_onesweep_sort_config_static_selectorELNS0_4arch9wavefront6targetE1EEEvSE_
                                        ; -- End function
	.section	.AMDGPU.csdata,"",@progbits
; Kernel info:
; codeLenInByte = 0
; NumSgprs: 4
; NumVgprs: 0
; NumAgprs: 0
; TotalNumVgprs: 0
; ScratchSize: 0
; MemoryBound: 0
; FloatMode: 240
; IeeeMode: 1
; LDSByteSize: 0 bytes/workgroup (compile time only)
; SGPRBlocks: 0
; VGPRBlocks: 0
; NumSGPRsForWavesPerEU: 4
; NumVGPRsForWavesPerEU: 1
; AccumOffset: 4
; Occupancy: 8
; WaveLimiterHint : 0
; COMPUTE_PGM_RSRC2:SCRATCH_EN: 0
; COMPUTE_PGM_RSRC2:USER_SGPR: 6
; COMPUTE_PGM_RSRC2:TRAP_HANDLER: 0
; COMPUTE_PGM_RSRC2:TGID_X_EN: 1
; COMPUTE_PGM_RSRC2:TGID_Y_EN: 0
; COMPUTE_PGM_RSRC2:TGID_Z_EN: 0
; COMPUTE_PGM_RSRC2:TIDIG_COMP_CNT: 0
; COMPUTE_PGM_RSRC3_GFX90A:ACCUM_OFFSET: 0
; COMPUTE_PGM_RSRC3_GFX90A:TG_SPLIT: 0
	.section	.text._ZN7rocprim17ROCPRIM_400000_NS6detail17trampoline_kernelINS0_14default_configENS1_35radix_sort_onesweep_config_selectorIaNS0_10empty_typeEEEZZNS1_29radix_sort_onesweep_iterationIS3_Lb1EPaS8_PS5_S9_mNS0_19identity_decomposerENS1_16block_id_wrapperIjLb1EEEEE10hipError_tT1_PNSt15iterator_traitsISE_E10value_typeET2_T3_PNSF_ISK_E10value_typeET4_T5_PSP_SQ_PNS1_23onesweep_lookback_stateEbbT6_jjT7_P12ihipStream_tbENKUlT_T0_SE_SJ_E_clIS8_S8_S9_S9_EEDaSX_SY_SE_SJ_EUlSX_E_NS1_11comp_targetILNS1_3genE8ELNS1_11target_archE1030ELNS1_3gpuE2ELNS1_3repE0EEENS1_47radix_sort_onesweep_sort_config_static_selectorELNS0_4arch9wavefront6targetE1EEEvSE_,"axG",@progbits,_ZN7rocprim17ROCPRIM_400000_NS6detail17trampoline_kernelINS0_14default_configENS1_35radix_sort_onesweep_config_selectorIaNS0_10empty_typeEEEZZNS1_29radix_sort_onesweep_iterationIS3_Lb1EPaS8_PS5_S9_mNS0_19identity_decomposerENS1_16block_id_wrapperIjLb1EEEEE10hipError_tT1_PNSt15iterator_traitsISE_E10value_typeET2_T3_PNSF_ISK_E10value_typeET4_T5_PSP_SQ_PNS1_23onesweep_lookback_stateEbbT6_jjT7_P12ihipStream_tbENKUlT_T0_SE_SJ_E_clIS8_S8_S9_S9_EEDaSX_SY_SE_SJ_EUlSX_E_NS1_11comp_targetILNS1_3genE8ELNS1_11target_archE1030ELNS1_3gpuE2ELNS1_3repE0EEENS1_47radix_sort_onesweep_sort_config_static_selectorELNS0_4arch9wavefront6targetE1EEEvSE_,comdat
	.protected	_ZN7rocprim17ROCPRIM_400000_NS6detail17trampoline_kernelINS0_14default_configENS1_35radix_sort_onesweep_config_selectorIaNS0_10empty_typeEEEZZNS1_29radix_sort_onesweep_iterationIS3_Lb1EPaS8_PS5_S9_mNS0_19identity_decomposerENS1_16block_id_wrapperIjLb1EEEEE10hipError_tT1_PNSt15iterator_traitsISE_E10value_typeET2_T3_PNSF_ISK_E10value_typeET4_T5_PSP_SQ_PNS1_23onesweep_lookback_stateEbbT6_jjT7_P12ihipStream_tbENKUlT_T0_SE_SJ_E_clIS8_S8_S9_S9_EEDaSX_SY_SE_SJ_EUlSX_E_NS1_11comp_targetILNS1_3genE8ELNS1_11target_archE1030ELNS1_3gpuE2ELNS1_3repE0EEENS1_47radix_sort_onesweep_sort_config_static_selectorELNS0_4arch9wavefront6targetE1EEEvSE_ ; -- Begin function _ZN7rocprim17ROCPRIM_400000_NS6detail17trampoline_kernelINS0_14default_configENS1_35radix_sort_onesweep_config_selectorIaNS0_10empty_typeEEEZZNS1_29radix_sort_onesweep_iterationIS3_Lb1EPaS8_PS5_S9_mNS0_19identity_decomposerENS1_16block_id_wrapperIjLb1EEEEE10hipError_tT1_PNSt15iterator_traitsISE_E10value_typeET2_T3_PNSF_ISK_E10value_typeET4_T5_PSP_SQ_PNS1_23onesweep_lookback_stateEbbT6_jjT7_P12ihipStream_tbENKUlT_T0_SE_SJ_E_clIS8_S8_S9_S9_EEDaSX_SY_SE_SJ_EUlSX_E_NS1_11comp_targetILNS1_3genE8ELNS1_11target_archE1030ELNS1_3gpuE2ELNS1_3repE0EEENS1_47radix_sort_onesweep_sort_config_static_selectorELNS0_4arch9wavefront6targetE1EEEvSE_
	.globl	_ZN7rocprim17ROCPRIM_400000_NS6detail17trampoline_kernelINS0_14default_configENS1_35radix_sort_onesweep_config_selectorIaNS0_10empty_typeEEEZZNS1_29radix_sort_onesweep_iterationIS3_Lb1EPaS8_PS5_S9_mNS0_19identity_decomposerENS1_16block_id_wrapperIjLb1EEEEE10hipError_tT1_PNSt15iterator_traitsISE_E10value_typeET2_T3_PNSF_ISK_E10value_typeET4_T5_PSP_SQ_PNS1_23onesweep_lookback_stateEbbT6_jjT7_P12ihipStream_tbENKUlT_T0_SE_SJ_E_clIS8_S8_S9_S9_EEDaSX_SY_SE_SJ_EUlSX_E_NS1_11comp_targetILNS1_3genE8ELNS1_11target_archE1030ELNS1_3gpuE2ELNS1_3repE0EEENS1_47radix_sort_onesweep_sort_config_static_selectorELNS0_4arch9wavefront6targetE1EEEvSE_
	.p2align	8
	.type	_ZN7rocprim17ROCPRIM_400000_NS6detail17trampoline_kernelINS0_14default_configENS1_35radix_sort_onesweep_config_selectorIaNS0_10empty_typeEEEZZNS1_29radix_sort_onesweep_iterationIS3_Lb1EPaS8_PS5_S9_mNS0_19identity_decomposerENS1_16block_id_wrapperIjLb1EEEEE10hipError_tT1_PNSt15iterator_traitsISE_E10value_typeET2_T3_PNSF_ISK_E10value_typeET4_T5_PSP_SQ_PNS1_23onesweep_lookback_stateEbbT6_jjT7_P12ihipStream_tbENKUlT_T0_SE_SJ_E_clIS8_S8_S9_S9_EEDaSX_SY_SE_SJ_EUlSX_E_NS1_11comp_targetILNS1_3genE8ELNS1_11target_archE1030ELNS1_3gpuE2ELNS1_3repE0EEENS1_47radix_sort_onesweep_sort_config_static_selectorELNS0_4arch9wavefront6targetE1EEEvSE_,@function
_ZN7rocprim17ROCPRIM_400000_NS6detail17trampoline_kernelINS0_14default_configENS1_35radix_sort_onesweep_config_selectorIaNS0_10empty_typeEEEZZNS1_29radix_sort_onesweep_iterationIS3_Lb1EPaS8_PS5_S9_mNS0_19identity_decomposerENS1_16block_id_wrapperIjLb1EEEEE10hipError_tT1_PNSt15iterator_traitsISE_E10value_typeET2_T3_PNSF_ISK_E10value_typeET4_T5_PSP_SQ_PNS1_23onesweep_lookback_stateEbbT6_jjT7_P12ihipStream_tbENKUlT_T0_SE_SJ_E_clIS8_S8_S9_S9_EEDaSX_SY_SE_SJ_EUlSX_E_NS1_11comp_targetILNS1_3genE8ELNS1_11target_archE1030ELNS1_3gpuE2ELNS1_3repE0EEENS1_47radix_sort_onesweep_sort_config_static_selectorELNS0_4arch9wavefront6targetE1EEEvSE_: ; @_ZN7rocprim17ROCPRIM_400000_NS6detail17trampoline_kernelINS0_14default_configENS1_35radix_sort_onesweep_config_selectorIaNS0_10empty_typeEEEZZNS1_29radix_sort_onesweep_iterationIS3_Lb1EPaS8_PS5_S9_mNS0_19identity_decomposerENS1_16block_id_wrapperIjLb1EEEEE10hipError_tT1_PNSt15iterator_traitsISE_E10value_typeET2_T3_PNSF_ISK_E10value_typeET4_T5_PSP_SQ_PNS1_23onesweep_lookback_stateEbbT6_jjT7_P12ihipStream_tbENKUlT_T0_SE_SJ_E_clIS8_S8_S9_S9_EEDaSX_SY_SE_SJ_EUlSX_E_NS1_11comp_targetILNS1_3genE8ELNS1_11target_archE1030ELNS1_3gpuE2ELNS1_3repE0EEENS1_47radix_sort_onesweep_sort_config_static_selectorELNS0_4arch9wavefront6targetE1EEEvSE_
; %bb.0:
	.section	.rodata,"a",@progbits
	.p2align	6, 0x0
	.amdhsa_kernel _ZN7rocprim17ROCPRIM_400000_NS6detail17trampoline_kernelINS0_14default_configENS1_35radix_sort_onesweep_config_selectorIaNS0_10empty_typeEEEZZNS1_29radix_sort_onesweep_iterationIS3_Lb1EPaS8_PS5_S9_mNS0_19identity_decomposerENS1_16block_id_wrapperIjLb1EEEEE10hipError_tT1_PNSt15iterator_traitsISE_E10value_typeET2_T3_PNSF_ISK_E10value_typeET4_T5_PSP_SQ_PNS1_23onesweep_lookback_stateEbbT6_jjT7_P12ihipStream_tbENKUlT_T0_SE_SJ_E_clIS8_S8_S9_S9_EEDaSX_SY_SE_SJ_EUlSX_E_NS1_11comp_targetILNS1_3genE8ELNS1_11target_archE1030ELNS1_3gpuE2ELNS1_3repE0EEENS1_47radix_sort_onesweep_sort_config_static_selectorELNS0_4arch9wavefront6targetE1EEEvSE_
		.amdhsa_group_segment_fixed_size 0
		.amdhsa_private_segment_fixed_size 0
		.amdhsa_kernarg_size 88
		.amdhsa_user_sgpr_count 6
		.amdhsa_user_sgpr_private_segment_buffer 1
		.amdhsa_user_sgpr_dispatch_ptr 0
		.amdhsa_user_sgpr_queue_ptr 0
		.amdhsa_user_sgpr_kernarg_segment_ptr 1
		.amdhsa_user_sgpr_dispatch_id 0
		.amdhsa_user_sgpr_flat_scratch_init 0
		.amdhsa_user_sgpr_kernarg_preload_length 0
		.amdhsa_user_sgpr_kernarg_preload_offset 0
		.amdhsa_user_sgpr_private_segment_size 0
		.amdhsa_uses_dynamic_stack 0
		.amdhsa_system_sgpr_private_segment_wavefront_offset 0
		.amdhsa_system_sgpr_workgroup_id_x 1
		.amdhsa_system_sgpr_workgroup_id_y 0
		.amdhsa_system_sgpr_workgroup_id_z 0
		.amdhsa_system_sgpr_workgroup_info 0
		.amdhsa_system_vgpr_workitem_id 0
		.amdhsa_next_free_vgpr 1
		.amdhsa_next_free_sgpr 0
		.amdhsa_accum_offset 4
		.amdhsa_reserve_vcc 0
		.amdhsa_reserve_flat_scratch 0
		.amdhsa_float_round_mode_32 0
		.amdhsa_float_round_mode_16_64 0
		.amdhsa_float_denorm_mode_32 3
		.amdhsa_float_denorm_mode_16_64 3
		.amdhsa_dx10_clamp 1
		.amdhsa_ieee_mode 1
		.amdhsa_fp16_overflow 0
		.amdhsa_tg_split 0
		.amdhsa_exception_fp_ieee_invalid_op 0
		.amdhsa_exception_fp_denorm_src 0
		.amdhsa_exception_fp_ieee_div_zero 0
		.amdhsa_exception_fp_ieee_overflow 0
		.amdhsa_exception_fp_ieee_underflow 0
		.amdhsa_exception_fp_ieee_inexact 0
		.amdhsa_exception_int_div_zero 0
	.end_amdhsa_kernel
	.section	.text._ZN7rocprim17ROCPRIM_400000_NS6detail17trampoline_kernelINS0_14default_configENS1_35radix_sort_onesweep_config_selectorIaNS0_10empty_typeEEEZZNS1_29radix_sort_onesweep_iterationIS3_Lb1EPaS8_PS5_S9_mNS0_19identity_decomposerENS1_16block_id_wrapperIjLb1EEEEE10hipError_tT1_PNSt15iterator_traitsISE_E10value_typeET2_T3_PNSF_ISK_E10value_typeET4_T5_PSP_SQ_PNS1_23onesweep_lookback_stateEbbT6_jjT7_P12ihipStream_tbENKUlT_T0_SE_SJ_E_clIS8_S8_S9_S9_EEDaSX_SY_SE_SJ_EUlSX_E_NS1_11comp_targetILNS1_3genE8ELNS1_11target_archE1030ELNS1_3gpuE2ELNS1_3repE0EEENS1_47radix_sort_onesweep_sort_config_static_selectorELNS0_4arch9wavefront6targetE1EEEvSE_,"axG",@progbits,_ZN7rocprim17ROCPRIM_400000_NS6detail17trampoline_kernelINS0_14default_configENS1_35radix_sort_onesweep_config_selectorIaNS0_10empty_typeEEEZZNS1_29radix_sort_onesweep_iterationIS3_Lb1EPaS8_PS5_S9_mNS0_19identity_decomposerENS1_16block_id_wrapperIjLb1EEEEE10hipError_tT1_PNSt15iterator_traitsISE_E10value_typeET2_T3_PNSF_ISK_E10value_typeET4_T5_PSP_SQ_PNS1_23onesweep_lookback_stateEbbT6_jjT7_P12ihipStream_tbENKUlT_T0_SE_SJ_E_clIS8_S8_S9_S9_EEDaSX_SY_SE_SJ_EUlSX_E_NS1_11comp_targetILNS1_3genE8ELNS1_11target_archE1030ELNS1_3gpuE2ELNS1_3repE0EEENS1_47radix_sort_onesweep_sort_config_static_selectorELNS0_4arch9wavefront6targetE1EEEvSE_,comdat
.Lfunc_end1648:
	.size	_ZN7rocprim17ROCPRIM_400000_NS6detail17trampoline_kernelINS0_14default_configENS1_35radix_sort_onesweep_config_selectorIaNS0_10empty_typeEEEZZNS1_29radix_sort_onesweep_iterationIS3_Lb1EPaS8_PS5_S9_mNS0_19identity_decomposerENS1_16block_id_wrapperIjLb1EEEEE10hipError_tT1_PNSt15iterator_traitsISE_E10value_typeET2_T3_PNSF_ISK_E10value_typeET4_T5_PSP_SQ_PNS1_23onesweep_lookback_stateEbbT6_jjT7_P12ihipStream_tbENKUlT_T0_SE_SJ_E_clIS8_S8_S9_S9_EEDaSX_SY_SE_SJ_EUlSX_E_NS1_11comp_targetILNS1_3genE8ELNS1_11target_archE1030ELNS1_3gpuE2ELNS1_3repE0EEENS1_47radix_sort_onesweep_sort_config_static_selectorELNS0_4arch9wavefront6targetE1EEEvSE_, .Lfunc_end1648-_ZN7rocprim17ROCPRIM_400000_NS6detail17trampoline_kernelINS0_14default_configENS1_35radix_sort_onesweep_config_selectorIaNS0_10empty_typeEEEZZNS1_29radix_sort_onesweep_iterationIS3_Lb1EPaS8_PS5_S9_mNS0_19identity_decomposerENS1_16block_id_wrapperIjLb1EEEEE10hipError_tT1_PNSt15iterator_traitsISE_E10value_typeET2_T3_PNSF_ISK_E10value_typeET4_T5_PSP_SQ_PNS1_23onesweep_lookback_stateEbbT6_jjT7_P12ihipStream_tbENKUlT_T0_SE_SJ_E_clIS8_S8_S9_S9_EEDaSX_SY_SE_SJ_EUlSX_E_NS1_11comp_targetILNS1_3genE8ELNS1_11target_archE1030ELNS1_3gpuE2ELNS1_3repE0EEENS1_47radix_sort_onesweep_sort_config_static_selectorELNS0_4arch9wavefront6targetE1EEEvSE_
                                        ; -- End function
	.section	.AMDGPU.csdata,"",@progbits
; Kernel info:
; codeLenInByte = 0
; NumSgprs: 4
; NumVgprs: 0
; NumAgprs: 0
; TotalNumVgprs: 0
; ScratchSize: 0
; MemoryBound: 0
; FloatMode: 240
; IeeeMode: 1
; LDSByteSize: 0 bytes/workgroup (compile time only)
; SGPRBlocks: 0
; VGPRBlocks: 0
; NumSGPRsForWavesPerEU: 4
; NumVGPRsForWavesPerEU: 1
; AccumOffset: 4
; Occupancy: 8
; WaveLimiterHint : 0
; COMPUTE_PGM_RSRC2:SCRATCH_EN: 0
; COMPUTE_PGM_RSRC2:USER_SGPR: 6
; COMPUTE_PGM_RSRC2:TRAP_HANDLER: 0
; COMPUTE_PGM_RSRC2:TGID_X_EN: 1
; COMPUTE_PGM_RSRC2:TGID_Y_EN: 0
; COMPUTE_PGM_RSRC2:TGID_Z_EN: 0
; COMPUTE_PGM_RSRC2:TIDIG_COMP_CNT: 0
; COMPUTE_PGM_RSRC3_GFX90A:ACCUM_OFFSET: 0
; COMPUTE_PGM_RSRC3_GFX90A:TG_SPLIT: 0
	.section	.text._ZN7rocprim17ROCPRIM_400000_NS6detail17trampoline_kernelINS0_14default_configENS1_35radix_sort_onesweep_config_selectorIaNS0_10empty_typeEEEZZNS1_29radix_sort_onesweep_iterationIS3_Lb1EPaS8_PS5_S9_mNS0_19identity_decomposerENS1_16block_id_wrapperIjLb0EEEEE10hipError_tT1_PNSt15iterator_traitsISE_E10value_typeET2_T3_PNSF_ISK_E10value_typeET4_T5_PSP_SQ_PNS1_23onesweep_lookback_stateEbbT6_jjT7_P12ihipStream_tbENKUlT_T0_SE_SJ_E_clIS8_S8_S9_S9_EEDaSX_SY_SE_SJ_EUlSX_E_NS1_11comp_targetILNS1_3genE0ELNS1_11target_archE4294967295ELNS1_3gpuE0ELNS1_3repE0EEENS1_47radix_sort_onesweep_sort_config_static_selectorELNS0_4arch9wavefront6targetE1EEEvSE_,"axG",@progbits,_ZN7rocprim17ROCPRIM_400000_NS6detail17trampoline_kernelINS0_14default_configENS1_35radix_sort_onesweep_config_selectorIaNS0_10empty_typeEEEZZNS1_29radix_sort_onesweep_iterationIS3_Lb1EPaS8_PS5_S9_mNS0_19identity_decomposerENS1_16block_id_wrapperIjLb0EEEEE10hipError_tT1_PNSt15iterator_traitsISE_E10value_typeET2_T3_PNSF_ISK_E10value_typeET4_T5_PSP_SQ_PNS1_23onesweep_lookback_stateEbbT6_jjT7_P12ihipStream_tbENKUlT_T0_SE_SJ_E_clIS8_S8_S9_S9_EEDaSX_SY_SE_SJ_EUlSX_E_NS1_11comp_targetILNS1_3genE0ELNS1_11target_archE4294967295ELNS1_3gpuE0ELNS1_3repE0EEENS1_47radix_sort_onesweep_sort_config_static_selectorELNS0_4arch9wavefront6targetE1EEEvSE_,comdat
	.protected	_ZN7rocprim17ROCPRIM_400000_NS6detail17trampoline_kernelINS0_14default_configENS1_35radix_sort_onesweep_config_selectorIaNS0_10empty_typeEEEZZNS1_29radix_sort_onesweep_iterationIS3_Lb1EPaS8_PS5_S9_mNS0_19identity_decomposerENS1_16block_id_wrapperIjLb0EEEEE10hipError_tT1_PNSt15iterator_traitsISE_E10value_typeET2_T3_PNSF_ISK_E10value_typeET4_T5_PSP_SQ_PNS1_23onesweep_lookback_stateEbbT6_jjT7_P12ihipStream_tbENKUlT_T0_SE_SJ_E_clIS8_S8_S9_S9_EEDaSX_SY_SE_SJ_EUlSX_E_NS1_11comp_targetILNS1_3genE0ELNS1_11target_archE4294967295ELNS1_3gpuE0ELNS1_3repE0EEENS1_47radix_sort_onesweep_sort_config_static_selectorELNS0_4arch9wavefront6targetE1EEEvSE_ ; -- Begin function _ZN7rocprim17ROCPRIM_400000_NS6detail17trampoline_kernelINS0_14default_configENS1_35radix_sort_onesweep_config_selectorIaNS0_10empty_typeEEEZZNS1_29radix_sort_onesweep_iterationIS3_Lb1EPaS8_PS5_S9_mNS0_19identity_decomposerENS1_16block_id_wrapperIjLb0EEEEE10hipError_tT1_PNSt15iterator_traitsISE_E10value_typeET2_T3_PNSF_ISK_E10value_typeET4_T5_PSP_SQ_PNS1_23onesweep_lookback_stateEbbT6_jjT7_P12ihipStream_tbENKUlT_T0_SE_SJ_E_clIS8_S8_S9_S9_EEDaSX_SY_SE_SJ_EUlSX_E_NS1_11comp_targetILNS1_3genE0ELNS1_11target_archE4294967295ELNS1_3gpuE0ELNS1_3repE0EEENS1_47radix_sort_onesweep_sort_config_static_selectorELNS0_4arch9wavefront6targetE1EEEvSE_
	.globl	_ZN7rocprim17ROCPRIM_400000_NS6detail17trampoline_kernelINS0_14default_configENS1_35radix_sort_onesweep_config_selectorIaNS0_10empty_typeEEEZZNS1_29radix_sort_onesweep_iterationIS3_Lb1EPaS8_PS5_S9_mNS0_19identity_decomposerENS1_16block_id_wrapperIjLb0EEEEE10hipError_tT1_PNSt15iterator_traitsISE_E10value_typeET2_T3_PNSF_ISK_E10value_typeET4_T5_PSP_SQ_PNS1_23onesweep_lookback_stateEbbT6_jjT7_P12ihipStream_tbENKUlT_T0_SE_SJ_E_clIS8_S8_S9_S9_EEDaSX_SY_SE_SJ_EUlSX_E_NS1_11comp_targetILNS1_3genE0ELNS1_11target_archE4294967295ELNS1_3gpuE0ELNS1_3repE0EEENS1_47radix_sort_onesweep_sort_config_static_selectorELNS0_4arch9wavefront6targetE1EEEvSE_
	.p2align	8
	.type	_ZN7rocprim17ROCPRIM_400000_NS6detail17trampoline_kernelINS0_14default_configENS1_35radix_sort_onesweep_config_selectorIaNS0_10empty_typeEEEZZNS1_29radix_sort_onesweep_iterationIS3_Lb1EPaS8_PS5_S9_mNS0_19identity_decomposerENS1_16block_id_wrapperIjLb0EEEEE10hipError_tT1_PNSt15iterator_traitsISE_E10value_typeET2_T3_PNSF_ISK_E10value_typeET4_T5_PSP_SQ_PNS1_23onesweep_lookback_stateEbbT6_jjT7_P12ihipStream_tbENKUlT_T0_SE_SJ_E_clIS8_S8_S9_S9_EEDaSX_SY_SE_SJ_EUlSX_E_NS1_11comp_targetILNS1_3genE0ELNS1_11target_archE4294967295ELNS1_3gpuE0ELNS1_3repE0EEENS1_47radix_sort_onesweep_sort_config_static_selectorELNS0_4arch9wavefront6targetE1EEEvSE_,@function
_ZN7rocprim17ROCPRIM_400000_NS6detail17trampoline_kernelINS0_14default_configENS1_35radix_sort_onesweep_config_selectorIaNS0_10empty_typeEEEZZNS1_29radix_sort_onesweep_iterationIS3_Lb1EPaS8_PS5_S9_mNS0_19identity_decomposerENS1_16block_id_wrapperIjLb0EEEEE10hipError_tT1_PNSt15iterator_traitsISE_E10value_typeET2_T3_PNSF_ISK_E10value_typeET4_T5_PSP_SQ_PNS1_23onesweep_lookback_stateEbbT6_jjT7_P12ihipStream_tbENKUlT_T0_SE_SJ_E_clIS8_S8_S9_S9_EEDaSX_SY_SE_SJ_EUlSX_E_NS1_11comp_targetILNS1_3genE0ELNS1_11target_archE4294967295ELNS1_3gpuE0ELNS1_3repE0EEENS1_47radix_sort_onesweep_sort_config_static_selectorELNS0_4arch9wavefront6targetE1EEEvSE_: ; @_ZN7rocprim17ROCPRIM_400000_NS6detail17trampoline_kernelINS0_14default_configENS1_35radix_sort_onesweep_config_selectorIaNS0_10empty_typeEEEZZNS1_29radix_sort_onesweep_iterationIS3_Lb1EPaS8_PS5_S9_mNS0_19identity_decomposerENS1_16block_id_wrapperIjLb0EEEEE10hipError_tT1_PNSt15iterator_traitsISE_E10value_typeET2_T3_PNSF_ISK_E10value_typeET4_T5_PSP_SQ_PNS1_23onesweep_lookback_stateEbbT6_jjT7_P12ihipStream_tbENKUlT_T0_SE_SJ_E_clIS8_S8_S9_S9_EEDaSX_SY_SE_SJ_EUlSX_E_NS1_11comp_targetILNS1_3genE0ELNS1_11target_archE4294967295ELNS1_3gpuE0ELNS1_3repE0EEENS1_47radix_sort_onesweep_sort_config_static_selectorELNS0_4arch9wavefront6targetE1EEEvSE_
; %bb.0:
	.section	.rodata,"a",@progbits
	.p2align	6, 0x0
	.amdhsa_kernel _ZN7rocprim17ROCPRIM_400000_NS6detail17trampoline_kernelINS0_14default_configENS1_35radix_sort_onesweep_config_selectorIaNS0_10empty_typeEEEZZNS1_29radix_sort_onesweep_iterationIS3_Lb1EPaS8_PS5_S9_mNS0_19identity_decomposerENS1_16block_id_wrapperIjLb0EEEEE10hipError_tT1_PNSt15iterator_traitsISE_E10value_typeET2_T3_PNSF_ISK_E10value_typeET4_T5_PSP_SQ_PNS1_23onesweep_lookback_stateEbbT6_jjT7_P12ihipStream_tbENKUlT_T0_SE_SJ_E_clIS8_S8_S9_S9_EEDaSX_SY_SE_SJ_EUlSX_E_NS1_11comp_targetILNS1_3genE0ELNS1_11target_archE4294967295ELNS1_3gpuE0ELNS1_3repE0EEENS1_47radix_sort_onesweep_sort_config_static_selectorELNS0_4arch9wavefront6targetE1EEEvSE_
		.amdhsa_group_segment_fixed_size 0
		.amdhsa_private_segment_fixed_size 0
		.amdhsa_kernarg_size 88
		.amdhsa_user_sgpr_count 6
		.amdhsa_user_sgpr_private_segment_buffer 1
		.amdhsa_user_sgpr_dispatch_ptr 0
		.amdhsa_user_sgpr_queue_ptr 0
		.amdhsa_user_sgpr_kernarg_segment_ptr 1
		.amdhsa_user_sgpr_dispatch_id 0
		.amdhsa_user_sgpr_flat_scratch_init 0
		.amdhsa_user_sgpr_kernarg_preload_length 0
		.amdhsa_user_sgpr_kernarg_preload_offset 0
		.amdhsa_user_sgpr_private_segment_size 0
		.amdhsa_uses_dynamic_stack 0
		.amdhsa_system_sgpr_private_segment_wavefront_offset 0
		.amdhsa_system_sgpr_workgroup_id_x 1
		.amdhsa_system_sgpr_workgroup_id_y 0
		.amdhsa_system_sgpr_workgroup_id_z 0
		.amdhsa_system_sgpr_workgroup_info 0
		.amdhsa_system_vgpr_workitem_id 0
		.amdhsa_next_free_vgpr 1
		.amdhsa_next_free_sgpr 0
		.amdhsa_accum_offset 4
		.amdhsa_reserve_vcc 0
		.amdhsa_reserve_flat_scratch 0
		.amdhsa_float_round_mode_32 0
		.amdhsa_float_round_mode_16_64 0
		.amdhsa_float_denorm_mode_32 3
		.amdhsa_float_denorm_mode_16_64 3
		.amdhsa_dx10_clamp 1
		.amdhsa_ieee_mode 1
		.amdhsa_fp16_overflow 0
		.amdhsa_tg_split 0
		.amdhsa_exception_fp_ieee_invalid_op 0
		.amdhsa_exception_fp_denorm_src 0
		.amdhsa_exception_fp_ieee_div_zero 0
		.amdhsa_exception_fp_ieee_overflow 0
		.amdhsa_exception_fp_ieee_underflow 0
		.amdhsa_exception_fp_ieee_inexact 0
		.amdhsa_exception_int_div_zero 0
	.end_amdhsa_kernel
	.section	.text._ZN7rocprim17ROCPRIM_400000_NS6detail17trampoline_kernelINS0_14default_configENS1_35radix_sort_onesweep_config_selectorIaNS0_10empty_typeEEEZZNS1_29radix_sort_onesweep_iterationIS3_Lb1EPaS8_PS5_S9_mNS0_19identity_decomposerENS1_16block_id_wrapperIjLb0EEEEE10hipError_tT1_PNSt15iterator_traitsISE_E10value_typeET2_T3_PNSF_ISK_E10value_typeET4_T5_PSP_SQ_PNS1_23onesweep_lookback_stateEbbT6_jjT7_P12ihipStream_tbENKUlT_T0_SE_SJ_E_clIS8_S8_S9_S9_EEDaSX_SY_SE_SJ_EUlSX_E_NS1_11comp_targetILNS1_3genE0ELNS1_11target_archE4294967295ELNS1_3gpuE0ELNS1_3repE0EEENS1_47radix_sort_onesweep_sort_config_static_selectorELNS0_4arch9wavefront6targetE1EEEvSE_,"axG",@progbits,_ZN7rocprim17ROCPRIM_400000_NS6detail17trampoline_kernelINS0_14default_configENS1_35radix_sort_onesweep_config_selectorIaNS0_10empty_typeEEEZZNS1_29radix_sort_onesweep_iterationIS3_Lb1EPaS8_PS5_S9_mNS0_19identity_decomposerENS1_16block_id_wrapperIjLb0EEEEE10hipError_tT1_PNSt15iterator_traitsISE_E10value_typeET2_T3_PNSF_ISK_E10value_typeET4_T5_PSP_SQ_PNS1_23onesweep_lookback_stateEbbT6_jjT7_P12ihipStream_tbENKUlT_T0_SE_SJ_E_clIS8_S8_S9_S9_EEDaSX_SY_SE_SJ_EUlSX_E_NS1_11comp_targetILNS1_3genE0ELNS1_11target_archE4294967295ELNS1_3gpuE0ELNS1_3repE0EEENS1_47radix_sort_onesweep_sort_config_static_selectorELNS0_4arch9wavefront6targetE1EEEvSE_,comdat
.Lfunc_end1649:
	.size	_ZN7rocprim17ROCPRIM_400000_NS6detail17trampoline_kernelINS0_14default_configENS1_35radix_sort_onesweep_config_selectorIaNS0_10empty_typeEEEZZNS1_29radix_sort_onesweep_iterationIS3_Lb1EPaS8_PS5_S9_mNS0_19identity_decomposerENS1_16block_id_wrapperIjLb0EEEEE10hipError_tT1_PNSt15iterator_traitsISE_E10value_typeET2_T3_PNSF_ISK_E10value_typeET4_T5_PSP_SQ_PNS1_23onesweep_lookback_stateEbbT6_jjT7_P12ihipStream_tbENKUlT_T0_SE_SJ_E_clIS8_S8_S9_S9_EEDaSX_SY_SE_SJ_EUlSX_E_NS1_11comp_targetILNS1_3genE0ELNS1_11target_archE4294967295ELNS1_3gpuE0ELNS1_3repE0EEENS1_47radix_sort_onesweep_sort_config_static_selectorELNS0_4arch9wavefront6targetE1EEEvSE_, .Lfunc_end1649-_ZN7rocprim17ROCPRIM_400000_NS6detail17trampoline_kernelINS0_14default_configENS1_35radix_sort_onesweep_config_selectorIaNS0_10empty_typeEEEZZNS1_29radix_sort_onesweep_iterationIS3_Lb1EPaS8_PS5_S9_mNS0_19identity_decomposerENS1_16block_id_wrapperIjLb0EEEEE10hipError_tT1_PNSt15iterator_traitsISE_E10value_typeET2_T3_PNSF_ISK_E10value_typeET4_T5_PSP_SQ_PNS1_23onesweep_lookback_stateEbbT6_jjT7_P12ihipStream_tbENKUlT_T0_SE_SJ_E_clIS8_S8_S9_S9_EEDaSX_SY_SE_SJ_EUlSX_E_NS1_11comp_targetILNS1_3genE0ELNS1_11target_archE4294967295ELNS1_3gpuE0ELNS1_3repE0EEENS1_47radix_sort_onesweep_sort_config_static_selectorELNS0_4arch9wavefront6targetE1EEEvSE_
                                        ; -- End function
	.section	.AMDGPU.csdata,"",@progbits
; Kernel info:
; codeLenInByte = 0
; NumSgprs: 4
; NumVgprs: 0
; NumAgprs: 0
; TotalNumVgprs: 0
; ScratchSize: 0
; MemoryBound: 0
; FloatMode: 240
; IeeeMode: 1
; LDSByteSize: 0 bytes/workgroup (compile time only)
; SGPRBlocks: 0
; VGPRBlocks: 0
; NumSGPRsForWavesPerEU: 4
; NumVGPRsForWavesPerEU: 1
; AccumOffset: 4
; Occupancy: 8
; WaveLimiterHint : 0
; COMPUTE_PGM_RSRC2:SCRATCH_EN: 0
; COMPUTE_PGM_RSRC2:USER_SGPR: 6
; COMPUTE_PGM_RSRC2:TRAP_HANDLER: 0
; COMPUTE_PGM_RSRC2:TGID_X_EN: 1
; COMPUTE_PGM_RSRC2:TGID_Y_EN: 0
; COMPUTE_PGM_RSRC2:TGID_Z_EN: 0
; COMPUTE_PGM_RSRC2:TIDIG_COMP_CNT: 0
; COMPUTE_PGM_RSRC3_GFX90A:ACCUM_OFFSET: 0
; COMPUTE_PGM_RSRC3_GFX90A:TG_SPLIT: 0
	.section	.text._ZN7rocprim17ROCPRIM_400000_NS6detail17trampoline_kernelINS0_14default_configENS1_35radix_sort_onesweep_config_selectorIaNS0_10empty_typeEEEZZNS1_29radix_sort_onesweep_iterationIS3_Lb1EPaS8_PS5_S9_mNS0_19identity_decomposerENS1_16block_id_wrapperIjLb0EEEEE10hipError_tT1_PNSt15iterator_traitsISE_E10value_typeET2_T3_PNSF_ISK_E10value_typeET4_T5_PSP_SQ_PNS1_23onesweep_lookback_stateEbbT6_jjT7_P12ihipStream_tbENKUlT_T0_SE_SJ_E_clIS8_S8_S9_S9_EEDaSX_SY_SE_SJ_EUlSX_E_NS1_11comp_targetILNS1_3genE6ELNS1_11target_archE950ELNS1_3gpuE13ELNS1_3repE0EEENS1_47radix_sort_onesweep_sort_config_static_selectorELNS0_4arch9wavefront6targetE1EEEvSE_,"axG",@progbits,_ZN7rocprim17ROCPRIM_400000_NS6detail17trampoline_kernelINS0_14default_configENS1_35radix_sort_onesweep_config_selectorIaNS0_10empty_typeEEEZZNS1_29radix_sort_onesweep_iterationIS3_Lb1EPaS8_PS5_S9_mNS0_19identity_decomposerENS1_16block_id_wrapperIjLb0EEEEE10hipError_tT1_PNSt15iterator_traitsISE_E10value_typeET2_T3_PNSF_ISK_E10value_typeET4_T5_PSP_SQ_PNS1_23onesweep_lookback_stateEbbT6_jjT7_P12ihipStream_tbENKUlT_T0_SE_SJ_E_clIS8_S8_S9_S9_EEDaSX_SY_SE_SJ_EUlSX_E_NS1_11comp_targetILNS1_3genE6ELNS1_11target_archE950ELNS1_3gpuE13ELNS1_3repE0EEENS1_47radix_sort_onesweep_sort_config_static_selectorELNS0_4arch9wavefront6targetE1EEEvSE_,comdat
	.protected	_ZN7rocprim17ROCPRIM_400000_NS6detail17trampoline_kernelINS0_14default_configENS1_35radix_sort_onesweep_config_selectorIaNS0_10empty_typeEEEZZNS1_29radix_sort_onesweep_iterationIS3_Lb1EPaS8_PS5_S9_mNS0_19identity_decomposerENS1_16block_id_wrapperIjLb0EEEEE10hipError_tT1_PNSt15iterator_traitsISE_E10value_typeET2_T3_PNSF_ISK_E10value_typeET4_T5_PSP_SQ_PNS1_23onesweep_lookback_stateEbbT6_jjT7_P12ihipStream_tbENKUlT_T0_SE_SJ_E_clIS8_S8_S9_S9_EEDaSX_SY_SE_SJ_EUlSX_E_NS1_11comp_targetILNS1_3genE6ELNS1_11target_archE950ELNS1_3gpuE13ELNS1_3repE0EEENS1_47radix_sort_onesweep_sort_config_static_selectorELNS0_4arch9wavefront6targetE1EEEvSE_ ; -- Begin function _ZN7rocprim17ROCPRIM_400000_NS6detail17trampoline_kernelINS0_14default_configENS1_35radix_sort_onesweep_config_selectorIaNS0_10empty_typeEEEZZNS1_29radix_sort_onesweep_iterationIS3_Lb1EPaS8_PS5_S9_mNS0_19identity_decomposerENS1_16block_id_wrapperIjLb0EEEEE10hipError_tT1_PNSt15iterator_traitsISE_E10value_typeET2_T3_PNSF_ISK_E10value_typeET4_T5_PSP_SQ_PNS1_23onesweep_lookback_stateEbbT6_jjT7_P12ihipStream_tbENKUlT_T0_SE_SJ_E_clIS8_S8_S9_S9_EEDaSX_SY_SE_SJ_EUlSX_E_NS1_11comp_targetILNS1_3genE6ELNS1_11target_archE950ELNS1_3gpuE13ELNS1_3repE0EEENS1_47radix_sort_onesweep_sort_config_static_selectorELNS0_4arch9wavefront6targetE1EEEvSE_
	.globl	_ZN7rocprim17ROCPRIM_400000_NS6detail17trampoline_kernelINS0_14default_configENS1_35radix_sort_onesweep_config_selectorIaNS0_10empty_typeEEEZZNS1_29radix_sort_onesweep_iterationIS3_Lb1EPaS8_PS5_S9_mNS0_19identity_decomposerENS1_16block_id_wrapperIjLb0EEEEE10hipError_tT1_PNSt15iterator_traitsISE_E10value_typeET2_T3_PNSF_ISK_E10value_typeET4_T5_PSP_SQ_PNS1_23onesweep_lookback_stateEbbT6_jjT7_P12ihipStream_tbENKUlT_T0_SE_SJ_E_clIS8_S8_S9_S9_EEDaSX_SY_SE_SJ_EUlSX_E_NS1_11comp_targetILNS1_3genE6ELNS1_11target_archE950ELNS1_3gpuE13ELNS1_3repE0EEENS1_47radix_sort_onesweep_sort_config_static_selectorELNS0_4arch9wavefront6targetE1EEEvSE_
	.p2align	8
	.type	_ZN7rocprim17ROCPRIM_400000_NS6detail17trampoline_kernelINS0_14default_configENS1_35radix_sort_onesweep_config_selectorIaNS0_10empty_typeEEEZZNS1_29radix_sort_onesweep_iterationIS3_Lb1EPaS8_PS5_S9_mNS0_19identity_decomposerENS1_16block_id_wrapperIjLb0EEEEE10hipError_tT1_PNSt15iterator_traitsISE_E10value_typeET2_T3_PNSF_ISK_E10value_typeET4_T5_PSP_SQ_PNS1_23onesweep_lookback_stateEbbT6_jjT7_P12ihipStream_tbENKUlT_T0_SE_SJ_E_clIS8_S8_S9_S9_EEDaSX_SY_SE_SJ_EUlSX_E_NS1_11comp_targetILNS1_3genE6ELNS1_11target_archE950ELNS1_3gpuE13ELNS1_3repE0EEENS1_47radix_sort_onesweep_sort_config_static_selectorELNS0_4arch9wavefront6targetE1EEEvSE_,@function
_ZN7rocprim17ROCPRIM_400000_NS6detail17trampoline_kernelINS0_14default_configENS1_35radix_sort_onesweep_config_selectorIaNS0_10empty_typeEEEZZNS1_29radix_sort_onesweep_iterationIS3_Lb1EPaS8_PS5_S9_mNS0_19identity_decomposerENS1_16block_id_wrapperIjLb0EEEEE10hipError_tT1_PNSt15iterator_traitsISE_E10value_typeET2_T3_PNSF_ISK_E10value_typeET4_T5_PSP_SQ_PNS1_23onesweep_lookback_stateEbbT6_jjT7_P12ihipStream_tbENKUlT_T0_SE_SJ_E_clIS8_S8_S9_S9_EEDaSX_SY_SE_SJ_EUlSX_E_NS1_11comp_targetILNS1_3genE6ELNS1_11target_archE950ELNS1_3gpuE13ELNS1_3repE0EEENS1_47radix_sort_onesweep_sort_config_static_selectorELNS0_4arch9wavefront6targetE1EEEvSE_: ; @_ZN7rocprim17ROCPRIM_400000_NS6detail17trampoline_kernelINS0_14default_configENS1_35radix_sort_onesweep_config_selectorIaNS0_10empty_typeEEEZZNS1_29radix_sort_onesweep_iterationIS3_Lb1EPaS8_PS5_S9_mNS0_19identity_decomposerENS1_16block_id_wrapperIjLb0EEEEE10hipError_tT1_PNSt15iterator_traitsISE_E10value_typeET2_T3_PNSF_ISK_E10value_typeET4_T5_PSP_SQ_PNS1_23onesweep_lookback_stateEbbT6_jjT7_P12ihipStream_tbENKUlT_T0_SE_SJ_E_clIS8_S8_S9_S9_EEDaSX_SY_SE_SJ_EUlSX_E_NS1_11comp_targetILNS1_3genE6ELNS1_11target_archE950ELNS1_3gpuE13ELNS1_3repE0EEENS1_47radix_sort_onesweep_sort_config_static_selectorELNS0_4arch9wavefront6targetE1EEEvSE_
; %bb.0:
	.section	.rodata,"a",@progbits
	.p2align	6, 0x0
	.amdhsa_kernel _ZN7rocprim17ROCPRIM_400000_NS6detail17trampoline_kernelINS0_14default_configENS1_35radix_sort_onesweep_config_selectorIaNS0_10empty_typeEEEZZNS1_29radix_sort_onesweep_iterationIS3_Lb1EPaS8_PS5_S9_mNS0_19identity_decomposerENS1_16block_id_wrapperIjLb0EEEEE10hipError_tT1_PNSt15iterator_traitsISE_E10value_typeET2_T3_PNSF_ISK_E10value_typeET4_T5_PSP_SQ_PNS1_23onesweep_lookback_stateEbbT6_jjT7_P12ihipStream_tbENKUlT_T0_SE_SJ_E_clIS8_S8_S9_S9_EEDaSX_SY_SE_SJ_EUlSX_E_NS1_11comp_targetILNS1_3genE6ELNS1_11target_archE950ELNS1_3gpuE13ELNS1_3repE0EEENS1_47radix_sort_onesweep_sort_config_static_selectorELNS0_4arch9wavefront6targetE1EEEvSE_
		.amdhsa_group_segment_fixed_size 0
		.amdhsa_private_segment_fixed_size 0
		.amdhsa_kernarg_size 88
		.amdhsa_user_sgpr_count 6
		.amdhsa_user_sgpr_private_segment_buffer 1
		.amdhsa_user_sgpr_dispatch_ptr 0
		.amdhsa_user_sgpr_queue_ptr 0
		.amdhsa_user_sgpr_kernarg_segment_ptr 1
		.amdhsa_user_sgpr_dispatch_id 0
		.amdhsa_user_sgpr_flat_scratch_init 0
		.amdhsa_user_sgpr_kernarg_preload_length 0
		.amdhsa_user_sgpr_kernarg_preload_offset 0
		.amdhsa_user_sgpr_private_segment_size 0
		.amdhsa_uses_dynamic_stack 0
		.amdhsa_system_sgpr_private_segment_wavefront_offset 0
		.amdhsa_system_sgpr_workgroup_id_x 1
		.amdhsa_system_sgpr_workgroup_id_y 0
		.amdhsa_system_sgpr_workgroup_id_z 0
		.amdhsa_system_sgpr_workgroup_info 0
		.amdhsa_system_vgpr_workitem_id 0
		.amdhsa_next_free_vgpr 1
		.amdhsa_next_free_sgpr 0
		.amdhsa_accum_offset 4
		.amdhsa_reserve_vcc 0
		.amdhsa_reserve_flat_scratch 0
		.amdhsa_float_round_mode_32 0
		.amdhsa_float_round_mode_16_64 0
		.amdhsa_float_denorm_mode_32 3
		.amdhsa_float_denorm_mode_16_64 3
		.amdhsa_dx10_clamp 1
		.amdhsa_ieee_mode 1
		.amdhsa_fp16_overflow 0
		.amdhsa_tg_split 0
		.amdhsa_exception_fp_ieee_invalid_op 0
		.amdhsa_exception_fp_denorm_src 0
		.amdhsa_exception_fp_ieee_div_zero 0
		.amdhsa_exception_fp_ieee_overflow 0
		.amdhsa_exception_fp_ieee_underflow 0
		.amdhsa_exception_fp_ieee_inexact 0
		.amdhsa_exception_int_div_zero 0
	.end_amdhsa_kernel
	.section	.text._ZN7rocprim17ROCPRIM_400000_NS6detail17trampoline_kernelINS0_14default_configENS1_35radix_sort_onesweep_config_selectorIaNS0_10empty_typeEEEZZNS1_29radix_sort_onesweep_iterationIS3_Lb1EPaS8_PS5_S9_mNS0_19identity_decomposerENS1_16block_id_wrapperIjLb0EEEEE10hipError_tT1_PNSt15iterator_traitsISE_E10value_typeET2_T3_PNSF_ISK_E10value_typeET4_T5_PSP_SQ_PNS1_23onesweep_lookback_stateEbbT6_jjT7_P12ihipStream_tbENKUlT_T0_SE_SJ_E_clIS8_S8_S9_S9_EEDaSX_SY_SE_SJ_EUlSX_E_NS1_11comp_targetILNS1_3genE6ELNS1_11target_archE950ELNS1_3gpuE13ELNS1_3repE0EEENS1_47radix_sort_onesweep_sort_config_static_selectorELNS0_4arch9wavefront6targetE1EEEvSE_,"axG",@progbits,_ZN7rocprim17ROCPRIM_400000_NS6detail17trampoline_kernelINS0_14default_configENS1_35radix_sort_onesweep_config_selectorIaNS0_10empty_typeEEEZZNS1_29radix_sort_onesweep_iterationIS3_Lb1EPaS8_PS5_S9_mNS0_19identity_decomposerENS1_16block_id_wrapperIjLb0EEEEE10hipError_tT1_PNSt15iterator_traitsISE_E10value_typeET2_T3_PNSF_ISK_E10value_typeET4_T5_PSP_SQ_PNS1_23onesweep_lookback_stateEbbT6_jjT7_P12ihipStream_tbENKUlT_T0_SE_SJ_E_clIS8_S8_S9_S9_EEDaSX_SY_SE_SJ_EUlSX_E_NS1_11comp_targetILNS1_3genE6ELNS1_11target_archE950ELNS1_3gpuE13ELNS1_3repE0EEENS1_47radix_sort_onesweep_sort_config_static_selectorELNS0_4arch9wavefront6targetE1EEEvSE_,comdat
.Lfunc_end1650:
	.size	_ZN7rocprim17ROCPRIM_400000_NS6detail17trampoline_kernelINS0_14default_configENS1_35radix_sort_onesweep_config_selectorIaNS0_10empty_typeEEEZZNS1_29radix_sort_onesweep_iterationIS3_Lb1EPaS8_PS5_S9_mNS0_19identity_decomposerENS1_16block_id_wrapperIjLb0EEEEE10hipError_tT1_PNSt15iterator_traitsISE_E10value_typeET2_T3_PNSF_ISK_E10value_typeET4_T5_PSP_SQ_PNS1_23onesweep_lookback_stateEbbT6_jjT7_P12ihipStream_tbENKUlT_T0_SE_SJ_E_clIS8_S8_S9_S9_EEDaSX_SY_SE_SJ_EUlSX_E_NS1_11comp_targetILNS1_3genE6ELNS1_11target_archE950ELNS1_3gpuE13ELNS1_3repE0EEENS1_47radix_sort_onesweep_sort_config_static_selectorELNS0_4arch9wavefront6targetE1EEEvSE_, .Lfunc_end1650-_ZN7rocprim17ROCPRIM_400000_NS6detail17trampoline_kernelINS0_14default_configENS1_35radix_sort_onesweep_config_selectorIaNS0_10empty_typeEEEZZNS1_29radix_sort_onesweep_iterationIS3_Lb1EPaS8_PS5_S9_mNS0_19identity_decomposerENS1_16block_id_wrapperIjLb0EEEEE10hipError_tT1_PNSt15iterator_traitsISE_E10value_typeET2_T3_PNSF_ISK_E10value_typeET4_T5_PSP_SQ_PNS1_23onesweep_lookback_stateEbbT6_jjT7_P12ihipStream_tbENKUlT_T0_SE_SJ_E_clIS8_S8_S9_S9_EEDaSX_SY_SE_SJ_EUlSX_E_NS1_11comp_targetILNS1_3genE6ELNS1_11target_archE950ELNS1_3gpuE13ELNS1_3repE0EEENS1_47radix_sort_onesweep_sort_config_static_selectorELNS0_4arch9wavefront6targetE1EEEvSE_
                                        ; -- End function
	.section	.AMDGPU.csdata,"",@progbits
; Kernel info:
; codeLenInByte = 0
; NumSgprs: 4
; NumVgprs: 0
; NumAgprs: 0
; TotalNumVgprs: 0
; ScratchSize: 0
; MemoryBound: 0
; FloatMode: 240
; IeeeMode: 1
; LDSByteSize: 0 bytes/workgroup (compile time only)
; SGPRBlocks: 0
; VGPRBlocks: 0
; NumSGPRsForWavesPerEU: 4
; NumVGPRsForWavesPerEU: 1
; AccumOffset: 4
; Occupancy: 8
; WaveLimiterHint : 0
; COMPUTE_PGM_RSRC2:SCRATCH_EN: 0
; COMPUTE_PGM_RSRC2:USER_SGPR: 6
; COMPUTE_PGM_RSRC2:TRAP_HANDLER: 0
; COMPUTE_PGM_RSRC2:TGID_X_EN: 1
; COMPUTE_PGM_RSRC2:TGID_Y_EN: 0
; COMPUTE_PGM_RSRC2:TGID_Z_EN: 0
; COMPUTE_PGM_RSRC2:TIDIG_COMP_CNT: 0
; COMPUTE_PGM_RSRC3_GFX90A:ACCUM_OFFSET: 0
; COMPUTE_PGM_RSRC3_GFX90A:TG_SPLIT: 0
	.section	.text._ZN7rocprim17ROCPRIM_400000_NS6detail17trampoline_kernelINS0_14default_configENS1_35radix_sort_onesweep_config_selectorIaNS0_10empty_typeEEEZZNS1_29radix_sort_onesweep_iterationIS3_Lb1EPaS8_PS5_S9_mNS0_19identity_decomposerENS1_16block_id_wrapperIjLb0EEEEE10hipError_tT1_PNSt15iterator_traitsISE_E10value_typeET2_T3_PNSF_ISK_E10value_typeET4_T5_PSP_SQ_PNS1_23onesweep_lookback_stateEbbT6_jjT7_P12ihipStream_tbENKUlT_T0_SE_SJ_E_clIS8_S8_S9_S9_EEDaSX_SY_SE_SJ_EUlSX_E_NS1_11comp_targetILNS1_3genE5ELNS1_11target_archE942ELNS1_3gpuE9ELNS1_3repE0EEENS1_47radix_sort_onesweep_sort_config_static_selectorELNS0_4arch9wavefront6targetE1EEEvSE_,"axG",@progbits,_ZN7rocprim17ROCPRIM_400000_NS6detail17trampoline_kernelINS0_14default_configENS1_35radix_sort_onesweep_config_selectorIaNS0_10empty_typeEEEZZNS1_29radix_sort_onesweep_iterationIS3_Lb1EPaS8_PS5_S9_mNS0_19identity_decomposerENS1_16block_id_wrapperIjLb0EEEEE10hipError_tT1_PNSt15iterator_traitsISE_E10value_typeET2_T3_PNSF_ISK_E10value_typeET4_T5_PSP_SQ_PNS1_23onesweep_lookback_stateEbbT6_jjT7_P12ihipStream_tbENKUlT_T0_SE_SJ_E_clIS8_S8_S9_S9_EEDaSX_SY_SE_SJ_EUlSX_E_NS1_11comp_targetILNS1_3genE5ELNS1_11target_archE942ELNS1_3gpuE9ELNS1_3repE0EEENS1_47radix_sort_onesweep_sort_config_static_selectorELNS0_4arch9wavefront6targetE1EEEvSE_,comdat
	.protected	_ZN7rocprim17ROCPRIM_400000_NS6detail17trampoline_kernelINS0_14default_configENS1_35radix_sort_onesweep_config_selectorIaNS0_10empty_typeEEEZZNS1_29radix_sort_onesweep_iterationIS3_Lb1EPaS8_PS5_S9_mNS0_19identity_decomposerENS1_16block_id_wrapperIjLb0EEEEE10hipError_tT1_PNSt15iterator_traitsISE_E10value_typeET2_T3_PNSF_ISK_E10value_typeET4_T5_PSP_SQ_PNS1_23onesweep_lookback_stateEbbT6_jjT7_P12ihipStream_tbENKUlT_T0_SE_SJ_E_clIS8_S8_S9_S9_EEDaSX_SY_SE_SJ_EUlSX_E_NS1_11comp_targetILNS1_3genE5ELNS1_11target_archE942ELNS1_3gpuE9ELNS1_3repE0EEENS1_47radix_sort_onesweep_sort_config_static_selectorELNS0_4arch9wavefront6targetE1EEEvSE_ ; -- Begin function _ZN7rocprim17ROCPRIM_400000_NS6detail17trampoline_kernelINS0_14default_configENS1_35radix_sort_onesweep_config_selectorIaNS0_10empty_typeEEEZZNS1_29radix_sort_onesweep_iterationIS3_Lb1EPaS8_PS5_S9_mNS0_19identity_decomposerENS1_16block_id_wrapperIjLb0EEEEE10hipError_tT1_PNSt15iterator_traitsISE_E10value_typeET2_T3_PNSF_ISK_E10value_typeET4_T5_PSP_SQ_PNS1_23onesweep_lookback_stateEbbT6_jjT7_P12ihipStream_tbENKUlT_T0_SE_SJ_E_clIS8_S8_S9_S9_EEDaSX_SY_SE_SJ_EUlSX_E_NS1_11comp_targetILNS1_3genE5ELNS1_11target_archE942ELNS1_3gpuE9ELNS1_3repE0EEENS1_47radix_sort_onesweep_sort_config_static_selectorELNS0_4arch9wavefront6targetE1EEEvSE_
	.globl	_ZN7rocprim17ROCPRIM_400000_NS6detail17trampoline_kernelINS0_14default_configENS1_35radix_sort_onesweep_config_selectorIaNS0_10empty_typeEEEZZNS1_29radix_sort_onesweep_iterationIS3_Lb1EPaS8_PS5_S9_mNS0_19identity_decomposerENS1_16block_id_wrapperIjLb0EEEEE10hipError_tT1_PNSt15iterator_traitsISE_E10value_typeET2_T3_PNSF_ISK_E10value_typeET4_T5_PSP_SQ_PNS1_23onesweep_lookback_stateEbbT6_jjT7_P12ihipStream_tbENKUlT_T0_SE_SJ_E_clIS8_S8_S9_S9_EEDaSX_SY_SE_SJ_EUlSX_E_NS1_11comp_targetILNS1_3genE5ELNS1_11target_archE942ELNS1_3gpuE9ELNS1_3repE0EEENS1_47radix_sort_onesweep_sort_config_static_selectorELNS0_4arch9wavefront6targetE1EEEvSE_
	.p2align	8
	.type	_ZN7rocprim17ROCPRIM_400000_NS6detail17trampoline_kernelINS0_14default_configENS1_35radix_sort_onesweep_config_selectorIaNS0_10empty_typeEEEZZNS1_29radix_sort_onesweep_iterationIS3_Lb1EPaS8_PS5_S9_mNS0_19identity_decomposerENS1_16block_id_wrapperIjLb0EEEEE10hipError_tT1_PNSt15iterator_traitsISE_E10value_typeET2_T3_PNSF_ISK_E10value_typeET4_T5_PSP_SQ_PNS1_23onesweep_lookback_stateEbbT6_jjT7_P12ihipStream_tbENKUlT_T0_SE_SJ_E_clIS8_S8_S9_S9_EEDaSX_SY_SE_SJ_EUlSX_E_NS1_11comp_targetILNS1_3genE5ELNS1_11target_archE942ELNS1_3gpuE9ELNS1_3repE0EEENS1_47radix_sort_onesweep_sort_config_static_selectorELNS0_4arch9wavefront6targetE1EEEvSE_,@function
_ZN7rocprim17ROCPRIM_400000_NS6detail17trampoline_kernelINS0_14default_configENS1_35radix_sort_onesweep_config_selectorIaNS0_10empty_typeEEEZZNS1_29radix_sort_onesweep_iterationIS3_Lb1EPaS8_PS5_S9_mNS0_19identity_decomposerENS1_16block_id_wrapperIjLb0EEEEE10hipError_tT1_PNSt15iterator_traitsISE_E10value_typeET2_T3_PNSF_ISK_E10value_typeET4_T5_PSP_SQ_PNS1_23onesweep_lookback_stateEbbT6_jjT7_P12ihipStream_tbENKUlT_T0_SE_SJ_E_clIS8_S8_S9_S9_EEDaSX_SY_SE_SJ_EUlSX_E_NS1_11comp_targetILNS1_3genE5ELNS1_11target_archE942ELNS1_3gpuE9ELNS1_3repE0EEENS1_47radix_sort_onesweep_sort_config_static_selectorELNS0_4arch9wavefront6targetE1EEEvSE_: ; @_ZN7rocprim17ROCPRIM_400000_NS6detail17trampoline_kernelINS0_14default_configENS1_35radix_sort_onesweep_config_selectorIaNS0_10empty_typeEEEZZNS1_29radix_sort_onesweep_iterationIS3_Lb1EPaS8_PS5_S9_mNS0_19identity_decomposerENS1_16block_id_wrapperIjLb0EEEEE10hipError_tT1_PNSt15iterator_traitsISE_E10value_typeET2_T3_PNSF_ISK_E10value_typeET4_T5_PSP_SQ_PNS1_23onesweep_lookback_stateEbbT6_jjT7_P12ihipStream_tbENKUlT_T0_SE_SJ_E_clIS8_S8_S9_S9_EEDaSX_SY_SE_SJ_EUlSX_E_NS1_11comp_targetILNS1_3genE5ELNS1_11target_archE942ELNS1_3gpuE9ELNS1_3repE0EEENS1_47radix_sort_onesweep_sort_config_static_selectorELNS0_4arch9wavefront6targetE1EEEvSE_
; %bb.0:
	.section	.rodata,"a",@progbits
	.p2align	6, 0x0
	.amdhsa_kernel _ZN7rocprim17ROCPRIM_400000_NS6detail17trampoline_kernelINS0_14default_configENS1_35radix_sort_onesweep_config_selectorIaNS0_10empty_typeEEEZZNS1_29radix_sort_onesweep_iterationIS3_Lb1EPaS8_PS5_S9_mNS0_19identity_decomposerENS1_16block_id_wrapperIjLb0EEEEE10hipError_tT1_PNSt15iterator_traitsISE_E10value_typeET2_T3_PNSF_ISK_E10value_typeET4_T5_PSP_SQ_PNS1_23onesweep_lookback_stateEbbT6_jjT7_P12ihipStream_tbENKUlT_T0_SE_SJ_E_clIS8_S8_S9_S9_EEDaSX_SY_SE_SJ_EUlSX_E_NS1_11comp_targetILNS1_3genE5ELNS1_11target_archE942ELNS1_3gpuE9ELNS1_3repE0EEENS1_47radix_sort_onesweep_sort_config_static_selectorELNS0_4arch9wavefront6targetE1EEEvSE_
		.amdhsa_group_segment_fixed_size 0
		.amdhsa_private_segment_fixed_size 0
		.amdhsa_kernarg_size 88
		.amdhsa_user_sgpr_count 6
		.amdhsa_user_sgpr_private_segment_buffer 1
		.amdhsa_user_sgpr_dispatch_ptr 0
		.amdhsa_user_sgpr_queue_ptr 0
		.amdhsa_user_sgpr_kernarg_segment_ptr 1
		.amdhsa_user_sgpr_dispatch_id 0
		.amdhsa_user_sgpr_flat_scratch_init 0
		.amdhsa_user_sgpr_kernarg_preload_length 0
		.amdhsa_user_sgpr_kernarg_preload_offset 0
		.amdhsa_user_sgpr_private_segment_size 0
		.amdhsa_uses_dynamic_stack 0
		.amdhsa_system_sgpr_private_segment_wavefront_offset 0
		.amdhsa_system_sgpr_workgroup_id_x 1
		.amdhsa_system_sgpr_workgroup_id_y 0
		.amdhsa_system_sgpr_workgroup_id_z 0
		.amdhsa_system_sgpr_workgroup_info 0
		.amdhsa_system_vgpr_workitem_id 0
		.amdhsa_next_free_vgpr 1
		.amdhsa_next_free_sgpr 0
		.amdhsa_accum_offset 4
		.amdhsa_reserve_vcc 0
		.amdhsa_reserve_flat_scratch 0
		.amdhsa_float_round_mode_32 0
		.amdhsa_float_round_mode_16_64 0
		.amdhsa_float_denorm_mode_32 3
		.amdhsa_float_denorm_mode_16_64 3
		.amdhsa_dx10_clamp 1
		.amdhsa_ieee_mode 1
		.amdhsa_fp16_overflow 0
		.amdhsa_tg_split 0
		.amdhsa_exception_fp_ieee_invalid_op 0
		.amdhsa_exception_fp_denorm_src 0
		.amdhsa_exception_fp_ieee_div_zero 0
		.amdhsa_exception_fp_ieee_overflow 0
		.amdhsa_exception_fp_ieee_underflow 0
		.amdhsa_exception_fp_ieee_inexact 0
		.amdhsa_exception_int_div_zero 0
	.end_amdhsa_kernel
	.section	.text._ZN7rocprim17ROCPRIM_400000_NS6detail17trampoline_kernelINS0_14default_configENS1_35radix_sort_onesweep_config_selectorIaNS0_10empty_typeEEEZZNS1_29radix_sort_onesweep_iterationIS3_Lb1EPaS8_PS5_S9_mNS0_19identity_decomposerENS1_16block_id_wrapperIjLb0EEEEE10hipError_tT1_PNSt15iterator_traitsISE_E10value_typeET2_T3_PNSF_ISK_E10value_typeET4_T5_PSP_SQ_PNS1_23onesweep_lookback_stateEbbT6_jjT7_P12ihipStream_tbENKUlT_T0_SE_SJ_E_clIS8_S8_S9_S9_EEDaSX_SY_SE_SJ_EUlSX_E_NS1_11comp_targetILNS1_3genE5ELNS1_11target_archE942ELNS1_3gpuE9ELNS1_3repE0EEENS1_47radix_sort_onesweep_sort_config_static_selectorELNS0_4arch9wavefront6targetE1EEEvSE_,"axG",@progbits,_ZN7rocprim17ROCPRIM_400000_NS6detail17trampoline_kernelINS0_14default_configENS1_35radix_sort_onesweep_config_selectorIaNS0_10empty_typeEEEZZNS1_29radix_sort_onesweep_iterationIS3_Lb1EPaS8_PS5_S9_mNS0_19identity_decomposerENS1_16block_id_wrapperIjLb0EEEEE10hipError_tT1_PNSt15iterator_traitsISE_E10value_typeET2_T3_PNSF_ISK_E10value_typeET4_T5_PSP_SQ_PNS1_23onesweep_lookback_stateEbbT6_jjT7_P12ihipStream_tbENKUlT_T0_SE_SJ_E_clIS8_S8_S9_S9_EEDaSX_SY_SE_SJ_EUlSX_E_NS1_11comp_targetILNS1_3genE5ELNS1_11target_archE942ELNS1_3gpuE9ELNS1_3repE0EEENS1_47radix_sort_onesweep_sort_config_static_selectorELNS0_4arch9wavefront6targetE1EEEvSE_,comdat
.Lfunc_end1651:
	.size	_ZN7rocprim17ROCPRIM_400000_NS6detail17trampoline_kernelINS0_14default_configENS1_35radix_sort_onesweep_config_selectorIaNS0_10empty_typeEEEZZNS1_29radix_sort_onesweep_iterationIS3_Lb1EPaS8_PS5_S9_mNS0_19identity_decomposerENS1_16block_id_wrapperIjLb0EEEEE10hipError_tT1_PNSt15iterator_traitsISE_E10value_typeET2_T3_PNSF_ISK_E10value_typeET4_T5_PSP_SQ_PNS1_23onesweep_lookback_stateEbbT6_jjT7_P12ihipStream_tbENKUlT_T0_SE_SJ_E_clIS8_S8_S9_S9_EEDaSX_SY_SE_SJ_EUlSX_E_NS1_11comp_targetILNS1_3genE5ELNS1_11target_archE942ELNS1_3gpuE9ELNS1_3repE0EEENS1_47radix_sort_onesweep_sort_config_static_selectorELNS0_4arch9wavefront6targetE1EEEvSE_, .Lfunc_end1651-_ZN7rocprim17ROCPRIM_400000_NS6detail17trampoline_kernelINS0_14default_configENS1_35radix_sort_onesweep_config_selectorIaNS0_10empty_typeEEEZZNS1_29radix_sort_onesweep_iterationIS3_Lb1EPaS8_PS5_S9_mNS0_19identity_decomposerENS1_16block_id_wrapperIjLb0EEEEE10hipError_tT1_PNSt15iterator_traitsISE_E10value_typeET2_T3_PNSF_ISK_E10value_typeET4_T5_PSP_SQ_PNS1_23onesweep_lookback_stateEbbT6_jjT7_P12ihipStream_tbENKUlT_T0_SE_SJ_E_clIS8_S8_S9_S9_EEDaSX_SY_SE_SJ_EUlSX_E_NS1_11comp_targetILNS1_3genE5ELNS1_11target_archE942ELNS1_3gpuE9ELNS1_3repE0EEENS1_47radix_sort_onesweep_sort_config_static_selectorELNS0_4arch9wavefront6targetE1EEEvSE_
                                        ; -- End function
	.section	.AMDGPU.csdata,"",@progbits
; Kernel info:
; codeLenInByte = 0
; NumSgprs: 4
; NumVgprs: 0
; NumAgprs: 0
; TotalNumVgprs: 0
; ScratchSize: 0
; MemoryBound: 0
; FloatMode: 240
; IeeeMode: 1
; LDSByteSize: 0 bytes/workgroup (compile time only)
; SGPRBlocks: 0
; VGPRBlocks: 0
; NumSGPRsForWavesPerEU: 4
; NumVGPRsForWavesPerEU: 1
; AccumOffset: 4
; Occupancy: 8
; WaveLimiterHint : 0
; COMPUTE_PGM_RSRC2:SCRATCH_EN: 0
; COMPUTE_PGM_RSRC2:USER_SGPR: 6
; COMPUTE_PGM_RSRC2:TRAP_HANDLER: 0
; COMPUTE_PGM_RSRC2:TGID_X_EN: 1
; COMPUTE_PGM_RSRC2:TGID_Y_EN: 0
; COMPUTE_PGM_RSRC2:TGID_Z_EN: 0
; COMPUTE_PGM_RSRC2:TIDIG_COMP_CNT: 0
; COMPUTE_PGM_RSRC3_GFX90A:ACCUM_OFFSET: 0
; COMPUTE_PGM_RSRC3_GFX90A:TG_SPLIT: 0
	.section	.text._ZN7rocprim17ROCPRIM_400000_NS6detail17trampoline_kernelINS0_14default_configENS1_35radix_sort_onesweep_config_selectorIaNS0_10empty_typeEEEZZNS1_29radix_sort_onesweep_iterationIS3_Lb1EPaS8_PS5_S9_mNS0_19identity_decomposerENS1_16block_id_wrapperIjLb0EEEEE10hipError_tT1_PNSt15iterator_traitsISE_E10value_typeET2_T3_PNSF_ISK_E10value_typeET4_T5_PSP_SQ_PNS1_23onesweep_lookback_stateEbbT6_jjT7_P12ihipStream_tbENKUlT_T0_SE_SJ_E_clIS8_S8_S9_S9_EEDaSX_SY_SE_SJ_EUlSX_E_NS1_11comp_targetILNS1_3genE2ELNS1_11target_archE906ELNS1_3gpuE6ELNS1_3repE0EEENS1_47radix_sort_onesweep_sort_config_static_selectorELNS0_4arch9wavefront6targetE1EEEvSE_,"axG",@progbits,_ZN7rocprim17ROCPRIM_400000_NS6detail17trampoline_kernelINS0_14default_configENS1_35radix_sort_onesweep_config_selectorIaNS0_10empty_typeEEEZZNS1_29radix_sort_onesweep_iterationIS3_Lb1EPaS8_PS5_S9_mNS0_19identity_decomposerENS1_16block_id_wrapperIjLb0EEEEE10hipError_tT1_PNSt15iterator_traitsISE_E10value_typeET2_T3_PNSF_ISK_E10value_typeET4_T5_PSP_SQ_PNS1_23onesweep_lookback_stateEbbT6_jjT7_P12ihipStream_tbENKUlT_T0_SE_SJ_E_clIS8_S8_S9_S9_EEDaSX_SY_SE_SJ_EUlSX_E_NS1_11comp_targetILNS1_3genE2ELNS1_11target_archE906ELNS1_3gpuE6ELNS1_3repE0EEENS1_47radix_sort_onesweep_sort_config_static_selectorELNS0_4arch9wavefront6targetE1EEEvSE_,comdat
	.protected	_ZN7rocprim17ROCPRIM_400000_NS6detail17trampoline_kernelINS0_14default_configENS1_35radix_sort_onesweep_config_selectorIaNS0_10empty_typeEEEZZNS1_29radix_sort_onesweep_iterationIS3_Lb1EPaS8_PS5_S9_mNS0_19identity_decomposerENS1_16block_id_wrapperIjLb0EEEEE10hipError_tT1_PNSt15iterator_traitsISE_E10value_typeET2_T3_PNSF_ISK_E10value_typeET4_T5_PSP_SQ_PNS1_23onesweep_lookback_stateEbbT6_jjT7_P12ihipStream_tbENKUlT_T0_SE_SJ_E_clIS8_S8_S9_S9_EEDaSX_SY_SE_SJ_EUlSX_E_NS1_11comp_targetILNS1_3genE2ELNS1_11target_archE906ELNS1_3gpuE6ELNS1_3repE0EEENS1_47radix_sort_onesweep_sort_config_static_selectorELNS0_4arch9wavefront6targetE1EEEvSE_ ; -- Begin function _ZN7rocprim17ROCPRIM_400000_NS6detail17trampoline_kernelINS0_14default_configENS1_35radix_sort_onesweep_config_selectorIaNS0_10empty_typeEEEZZNS1_29radix_sort_onesweep_iterationIS3_Lb1EPaS8_PS5_S9_mNS0_19identity_decomposerENS1_16block_id_wrapperIjLb0EEEEE10hipError_tT1_PNSt15iterator_traitsISE_E10value_typeET2_T3_PNSF_ISK_E10value_typeET4_T5_PSP_SQ_PNS1_23onesweep_lookback_stateEbbT6_jjT7_P12ihipStream_tbENKUlT_T0_SE_SJ_E_clIS8_S8_S9_S9_EEDaSX_SY_SE_SJ_EUlSX_E_NS1_11comp_targetILNS1_3genE2ELNS1_11target_archE906ELNS1_3gpuE6ELNS1_3repE0EEENS1_47radix_sort_onesweep_sort_config_static_selectorELNS0_4arch9wavefront6targetE1EEEvSE_
	.globl	_ZN7rocprim17ROCPRIM_400000_NS6detail17trampoline_kernelINS0_14default_configENS1_35radix_sort_onesweep_config_selectorIaNS0_10empty_typeEEEZZNS1_29radix_sort_onesweep_iterationIS3_Lb1EPaS8_PS5_S9_mNS0_19identity_decomposerENS1_16block_id_wrapperIjLb0EEEEE10hipError_tT1_PNSt15iterator_traitsISE_E10value_typeET2_T3_PNSF_ISK_E10value_typeET4_T5_PSP_SQ_PNS1_23onesweep_lookback_stateEbbT6_jjT7_P12ihipStream_tbENKUlT_T0_SE_SJ_E_clIS8_S8_S9_S9_EEDaSX_SY_SE_SJ_EUlSX_E_NS1_11comp_targetILNS1_3genE2ELNS1_11target_archE906ELNS1_3gpuE6ELNS1_3repE0EEENS1_47radix_sort_onesweep_sort_config_static_selectorELNS0_4arch9wavefront6targetE1EEEvSE_
	.p2align	8
	.type	_ZN7rocprim17ROCPRIM_400000_NS6detail17trampoline_kernelINS0_14default_configENS1_35radix_sort_onesweep_config_selectorIaNS0_10empty_typeEEEZZNS1_29radix_sort_onesweep_iterationIS3_Lb1EPaS8_PS5_S9_mNS0_19identity_decomposerENS1_16block_id_wrapperIjLb0EEEEE10hipError_tT1_PNSt15iterator_traitsISE_E10value_typeET2_T3_PNSF_ISK_E10value_typeET4_T5_PSP_SQ_PNS1_23onesweep_lookback_stateEbbT6_jjT7_P12ihipStream_tbENKUlT_T0_SE_SJ_E_clIS8_S8_S9_S9_EEDaSX_SY_SE_SJ_EUlSX_E_NS1_11comp_targetILNS1_3genE2ELNS1_11target_archE906ELNS1_3gpuE6ELNS1_3repE0EEENS1_47radix_sort_onesweep_sort_config_static_selectorELNS0_4arch9wavefront6targetE1EEEvSE_,@function
_ZN7rocprim17ROCPRIM_400000_NS6detail17trampoline_kernelINS0_14default_configENS1_35radix_sort_onesweep_config_selectorIaNS0_10empty_typeEEEZZNS1_29radix_sort_onesweep_iterationIS3_Lb1EPaS8_PS5_S9_mNS0_19identity_decomposerENS1_16block_id_wrapperIjLb0EEEEE10hipError_tT1_PNSt15iterator_traitsISE_E10value_typeET2_T3_PNSF_ISK_E10value_typeET4_T5_PSP_SQ_PNS1_23onesweep_lookback_stateEbbT6_jjT7_P12ihipStream_tbENKUlT_T0_SE_SJ_E_clIS8_S8_S9_S9_EEDaSX_SY_SE_SJ_EUlSX_E_NS1_11comp_targetILNS1_3genE2ELNS1_11target_archE906ELNS1_3gpuE6ELNS1_3repE0EEENS1_47radix_sort_onesweep_sort_config_static_selectorELNS0_4arch9wavefront6targetE1EEEvSE_: ; @_ZN7rocprim17ROCPRIM_400000_NS6detail17trampoline_kernelINS0_14default_configENS1_35radix_sort_onesweep_config_selectorIaNS0_10empty_typeEEEZZNS1_29radix_sort_onesweep_iterationIS3_Lb1EPaS8_PS5_S9_mNS0_19identity_decomposerENS1_16block_id_wrapperIjLb0EEEEE10hipError_tT1_PNSt15iterator_traitsISE_E10value_typeET2_T3_PNSF_ISK_E10value_typeET4_T5_PSP_SQ_PNS1_23onesweep_lookback_stateEbbT6_jjT7_P12ihipStream_tbENKUlT_T0_SE_SJ_E_clIS8_S8_S9_S9_EEDaSX_SY_SE_SJ_EUlSX_E_NS1_11comp_targetILNS1_3genE2ELNS1_11target_archE906ELNS1_3gpuE6ELNS1_3repE0EEENS1_47radix_sort_onesweep_sort_config_static_selectorELNS0_4arch9wavefront6targetE1EEEvSE_
; %bb.0:
	.section	.rodata,"a",@progbits
	.p2align	6, 0x0
	.amdhsa_kernel _ZN7rocprim17ROCPRIM_400000_NS6detail17trampoline_kernelINS0_14default_configENS1_35radix_sort_onesweep_config_selectorIaNS0_10empty_typeEEEZZNS1_29radix_sort_onesweep_iterationIS3_Lb1EPaS8_PS5_S9_mNS0_19identity_decomposerENS1_16block_id_wrapperIjLb0EEEEE10hipError_tT1_PNSt15iterator_traitsISE_E10value_typeET2_T3_PNSF_ISK_E10value_typeET4_T5_PSP_SQ_PNS1_23onesweep_lookback_stateEbbT6_jjT7_P12ihipStream_tbENKUlT_T0_SE_SJ_E_clIS8_S8_S9_S9_EEDaSX_SY_SE_SJ_EUlSX_E_NS1_11comp_targetILNS1_3genE2ELNS1_11target_archE906ELNS1_3gpuE6ELNS1_3repE0EEENS1_47radix_sort_onesweep_sort_config_static_selectorELNS0_4arch9wavefront6targetE1EEEvSE_
		.amdhsa_group_segment_fixed_size 0
		.amdhsa_private_segment_fixed_size 0
		.amdhsa_kernarg_size 88
		.amdhsa_user_sgpr_count 6
		.amdhsa_user_sgpr_private_segment_buffer 1
		.amdhsa_user_sgpr_dispatch_ptr 0
		.amdhsa_user_sgpr_queue_ptr 0
		.amdhsa_user_sgpr_kernarg_segment_ptr 1
		.amdhsa_user_sgpr_dispatch_id 0
		.amdhsa_user_sgpr_flat_scratch_init 0
		.amdhsa_user_sgpr_kernarg_preload_length 0
		.amdhsa_user_sgpr_kernarg_preload_offset 0
		.amdhsa_user_sgpr_private_segment_size 0
		.amdhsa_uses_dynamic_stack 0
		.amdhsa_system_sgpr_private_segment_wavefront_offset 0
		.amdhsa_system_sgpr_workgroup_id_x 1
		.amdhsa_system_sgpr_workgroup_id_y 0
		.amdhsa_system_sgpr_workgroup_id_z 0
		.amdhsa_system_sgpr_workgroup_info 0
		.amdhsa_system_vgpr_workitem_id 0
		.amdhsa_next_free_vgpr 1
		.amdhsa_next_free_sgpr 0
		.amdhsa_accum_offset 4
		.amdhsa_reserve_vcc 0
		.amdhsa_reserve_flat_scratch 0
		.amdhsa_float_round_mode_32 0
		.amdhsa_float_round_mode_16_64 0
		.amdhsa_float_denorm_mode_32 3
		.amdhsa_float_denorm_mode_16_64 3
		.amdhsa_dx10_clamp 1
		.amdhsa_ieee_mode 1
		.amdhsa_fp16_overflow 0
		.amdhsa_tg_split 0
		.amdhsa_exception_fp_ieee_invalid_op 0
		.amdhsa_exception_fp_denorm_src 0
		.amdhsa_exception_fp_ieee_div_zero 0
		.amdhsa_exception_fp_ieee_overflow 0
		.amdhsa_exception_fp_ieee_underflow 0
		.amdhsa_exception_fp_ieee_inexact 0
		.amdhsa_exception_int_div_zero 0
	.end_amdhsa_kernel
	.section	.text._ZN7rocprim17ROCPRIM_400000_NS6detail17trampoline_kernelINS0_14default_configENS1_35radix_sort_onesweep_config_selectorIaNS0_10empty_typeEEEZZNS1_29radix_sort_onesweep_iterationIS3_Lb1EPaS8_PS5_S9_mNS0_19identity_decomposerENS1_16block_id_wrapperIjLb0EEEEE10hipError_tT1_PNSt15iterator_traitsISE_E10value_typeET2_T3_PNSF_ISK_E10value_typeET4_T5_PSP_SQ_PNS1_23onesweep_lookback_stateEbbT6_jjT7_P12ihipStream_tbENKUlT_T0_SE_SJ_E_clIS8_S8_S9_S9_EEDaSX_SY_SE_SJ_EUlSX_E_NS1_11comp_targetILNS1_3genE2ELNS1_11target_archE906ELNS1_3gpuE6ELNS1_3repE0EEENS1_47radix_sort_onesweep_sort_config_static_selectorELNS0_4arch9wavefront6targetE1EEEvSE_,"axG",@progbits,_ZN7rocprim17ROCPRIM_400000_NS6detail17trampoline_kernelINS0_14default_configENS1_35radix_sort_onesweep_config_selectorIaNS0_10empty_typeEEEZZNS1_29radix_sort_onesweep_iterationIS3_Lb1EPaS8_PS5_S9_mNS0_19identity_decomposerENS1_16block_id_wrapperIjLb0EEEEE10hipError_tT1_PNSt15iterator_traitsISE_E10value_typeET2_T3_PNSF_ISK_E10value_typeET4_T5_PSP_SQ_PNS1_23onesweep_lookback_stateEbbT6_jjT7_P12ihipStream_tbENKUlT_T0_SE_SJ_E_clIS8_S8_S9_S9_EEDaSX_SY_SE_SJ_EUlSX_E_NS1_11comp_targetILNS1_3genE2ELNS1_11target_archE906ELNS1_3gpuE6ELNS1_3repE0EEENS1_47radix_sort_onesweep_sort_config_static_selectorELNS0_4arch9wavefront6targetE1EEEvSE_,comdat
.Lfunc_end1652:
	.size	_ZN7rocprim17ROCPRIM_400000_NS6detail17trampoline_kernelINS0_14default_configENS1_35radix_sort_onesweep_config_selectorIaNS0_10empty_typeEEEZZNS1_29radix_sort_onesweep_iterationIS3_Lb1EPaS8_PS5_S9_mNS0_19identity_decomposerENS1_16block_id_wrapperIjLb0EEEEE10hipError_tT1_PNSt15iterator_traitsISE_E10value_typeET2_T3_PNSF_ISK_E10value_typeET4_T5_PSP_SQ_PNS1_23onesweep_lookback_stateEbbT6_jjT7_P12ihipStream_tbENKUlT_T0_SE_SJ_E_clIS8_S8_S9_S9_EEDaSX_SY_SE_SJ_EUlSX_E_NS1_11comp_targetILNS1_3genE2ELNS1_11target_archE906ELNS1_3gpuE6ELNS1_3repE0EEENS1_47radix_sort_onesweep_sort_config_static_selectorELNS0_4arch9wavefront6targetE1EEEvSE_, .Lfunc_end1652-_ZN7rocprim17ROCPRIM_400000_NS6detail17trampoline_kernelINS0_14default_configENS1_35radix_sort_onesweep_config_selectorIaNS0_10empty_typeEEEZZNS1_29radix_sort_onesweep_iterationIS3_Lb1EPaS8_PS5_S9_mNS0_19identity_decomposerENS1_16block_id_wrapperIjLb0EEEEE10hipError_tT1_PNSt15iterator_traitsISE_E10value_typeET2_T3_PNSF_ISK_E10value_typeET4_T5_PSP_SQ_PNS1_23onesweep_lookback_stateEbbT6_jjT7_P12ihipStream_tbENKUlT_T0_SE_SJ_E_clIS8_S8_S9_S9_EEDaSX_SY_SE_SJ_EUlSX_E_NS1_11comp_targetILNS1_3genE2ELNS1_11target_archE906ELNS1_3gpuE6ELNS1_3repE0EEENS1_47radix_sort_onesweep_sort_config_static_selectorELNS0_4arch9wavefront6targetE1EEEvSE_
                                        ; -- End function
	.section	.AMDGPU.csdata,"",@progbits
; Kernel info:
; codeLenInByte = 0
; NumSgprs: 4
; NumVgprs: 0
; NumAgprs: 0
; TotalNumVgprs: 0
; ScratchSize: 0
; MemoryBound: 0
; FloatMode: 240
; IeeeMode: 1
; LDSByteSize: 0 bytes/workgroup (compile time only)
; SGPRBlocks: 0
; VGPRBlocks: 0
; NumSGPRsForWavesPerEU: 4
; NumVGPRsForWavesPerEU: 1
; AccumOffset: 4
; Occupancy: 8
; WaveLimiterHint : 0
; COMPUTE_PGM_RSRC2:SCRATCH_EN: 0
; COMPUTE_PGM_RSRC2:USER_SGPR: 6
; COMPUTE_PGM_RSRC2:TRAP_HANDLER: 0
; COMPUTE_PGM_RSRC2:TGID_X_EN: 1
; COMPUTE_PGM_RSRC2:TGID_Y_EN: 0
; COMPUTE_PGM_RSRC2:TGID_Z_EN: 0
; COMPUTE_PGM_RSRC2:TIDIG_COMP_CNT: 0
; COMPUTE_PGM_RSRC3_GFX90A:ACCUM_OFFSET: 0
; COMPUTE_PGM_RSRC3_GFX90A:TG_SPLIT: 0
	.section	.text._ZN7rocprim17ROCPRIM_400000_NS6detail17trampoline_kernelINS0_14default_configENS1_35radix_sort_onesweep_config_selectorIaNS0_10empty_typeEEEZZNS1_29radix_sort_onesweep_iterationIS3_Lb1EPaS8_PS5_S9_mNS0_19identity_decomposerENS1_16block_id_wrapperIjLb0EEEEE10hipError_tT1_PNSt15iterator_traitsISE_E10value_typeET2_T3_PNSF_ISK_E10value_typeET4_T5_PSP_SQ_PNS1_23onesweep_lookback_stateEbbT6_jjT7_P12ihipStream_tbENKUlT_T0_SE_SJ_E_clIS8_S8_S9_S9_EEDaSX_SY_SE_SJ_EUlSX_E_NS1_11comp_targetILNS1_3genE4ELNS1_11target_archE910ELNS1_3gpuE8ELNS1_3repE0EEENS1_47radix_sort_onesweep_sort_config_static_selectorELNS0_4arch9wavefront6targetE1EEEvSE_,"axG",@progbits,_ZN7rocprim17ROCPRIM_400000_NS6detail17trampoline_kernelINS0_14default_configENS1_35radix_sort_onesweep_config_selectorIaNS0_10empty_typeEEEZZNS1_29radix_sort_onesweep_iterationIS3_Lb1EPaS8_PS5_S9_mNS0_19identity_decomposerENS1_16block_id_wrapperIjLb0EEEEE10hipError_tT1_PNSt15iterator_traitsISE_E10value_typeET2_T3_PNSF_ISK_E10value_typeET4_T5_PSP_SQ_PNS1_23onesweep_lookback_stateEbbT6_jjT7_P12ihipStream_tbENKUlT_T0_SE_SJ_E_clIS8_S8_S9_S9_EEDaSX_SY_SE_SJ_EUlSX_E_NS1_11comp_targetILNS1_3genE4ELNS1_11target_archE910ELNS1_3gpuE8ELNS1_3repE0EEENS1_47radix_sort_onesweep_sort_config_static_selectorELNS0_4arch9wavefront6targetE1EEEvSE_,comdat
	.protected	_ZN7rocprim17ROCPRIM_400000_NS6detail17trampoline_kernelINS0_14default_configENS1_35radix_sort_onesweep_config_selectorIaNS0_10empty_typeEEEZZNS1_29radix_sort_onesweep_iterationIS3_Lb1EPaS8_PS5_S9_mNS0_19identity_decomposerENS1_16block_id_wrapperIjLb0EEEEE10hipError_tT1_PNSt15iterator_traitsISE_E10value_typeET2_T3_PNSF_ISK_E10value_typeET4_T5_PSP_SQ_PNS1_23onesweep_lookback_stateEbbT6_jjT7_P12ihipStream_tbENKUlT_T0_SE_SJ_E_clIS8_S8_S9_S9_EEDaSX_SY_SE_SJ_EUlSX_E_NS1_11comp_targetILNS1_3genE4ELNS1_11target_archE910ELNS1_3gpuE8ELNS1_3repE0EEENS1_47radix_sort_onesweep_sort_config_static_selectorELNS0_4arch9wavefront6targetE1EEEvSE_ ; -- Begin function _ZN7rocprim17ROCPRIM_400000_NS6detail17trampoline_kernelINS0_14default_configENS1_35radix_sort_onesweep_config_selectorIaNS0_10empty_typeEEEZZNS1_29radix_sort_onesweep_iterationIS3_Lb1EPaS8_PS5_S9_mNS0_19identity_decomposerENS1_16block_id_wrapperIjLb0EEEEE10hipError_tT1_PNSt15iterator_traitsISE_E10value_typeET2_T3_PNSF_ISK_E10value_typeET4_T5_PSP_SQ_PNS1_23onesweep_lookback_stateEbbT6_jjT7_P12ihipStream_tbENKUlT_T0_SE_SJ_E_clIS8_S8_S9_S9_EEDaSX_SY_SE_SJ_EUlSX_E_NS1_11comp_targetILNS1_3genE4ELNS1_11target_archE910ELNS1_3gpuE8ELNS1_3repE0EEENS1_47radix_sort_onesweep_sort_config_static_selectorELNS0_4arch9wavefront6targetE1EEEvSE_
	.globl	_ZN7rocprim17ROCPRIM_400000_NS6detail17trampoline_kernelINS0_14default_configENS1_35radix_sort_onesweep_config_selectorIaNS0_10empty_typeEEEZZNS1_29radix_sort_onesweep_iterationIS3_Lb1EPaS8_PS5_S9_mNS0_19identity_decomposerENS1_16block_id_wrapperIjLb0EEEEE10hipError_tT1_PNSt15iterator_traitsISE_E10value_typeET2_T3_PNSF_ISK_E10value_typeET4_T5_PSP_SQ_PNS1_23onesweep_lookback_stateEbbT6_jjT7_P12ihipStream_tbENKUlT_T0_SE_SJ_E_clIS8_S8_S9_S9_EEDaSX_SY_SE_SJ_EUlSX_E_NS1_11comp_targetILNS1_3genE4ELNS1_11target_archE910ELNS1_3gpuE8ELNS1_3repE0EEENS1_47radix_sort_onesweep_sort_config_static_selectorELNS0_4arch9wavefront6targetE1EEEvSE_
	.p2align	8
	.type	_ZN7rocprim17ROCPRIM_400000_NS6detail17trampoline_kernelINS0_14default_configENS1_35radix_sort_onesweep_config_selectorIaNS0_10empty_typeEEEZZNS1_29radix_sort_onesweep_iterationIS3_Lb1EPaS8_PS5_S9_mNS0_19identity_decomposerENS1_16block_id_wrapperIjLb0EEEEE10hipError_tT1_PNSt15iterator_traitsISE_E10value_typeET2_T3_PNSF_ISK_E10value_typeET4_T5_PSP_SQ_PNS1_23onesweep_lookback_stateEbbT6_jjT7_P12ihipStream_tbENKUlT_T0_SE_SJ_E_clIS8_S8_S9_S9_EEDaSX_SY_SE_SJ_EUlSX_E_NS1_11comp_targetILNS1_3genE4ELNS1_11target_archE910ELNS1_3gpuE8ELNS1_3repE0EEENS1_47radix_sort_onesweep_sort_config_static_selectorELNS0_4arch9wavefront6targetE1EEEvSE_,@function
_ZN7rocprim17ROCPRIM_400000_NS6detail17trampoline_kernelINS0_14default_configENS1_35radix_sort_onesweep_config_selectorIaNS0_10empty_typeEEEZZNS1_29radix_sort_onesweep_iterationIS3_Lb1EPaS8_PS5_S9_mNS0_19identity_decomposerENS1_16block_id_wrapperIjLb0EEEEE10hipError_tT1_PNSt15iterator_traitsISE_E10value_typeET2_T3_PNSF_ISK_E10value_typeET4_T5_PSP_SQ_PNS1_23onesweep_lookback_stateEbbT6_jjT7_P12ihipStream_tbENKUlT_T0_SE_SJ_E_clIS8_S8_S9_S9_EEDaSX_SY_SE_SJ_EUlSX_E_NS1_11comp_targetILNS1_3genE4ELNS1_11target_archE910ELNS1_3gpuE8ELNS1_3repE0EEENS1_47radix_sort_onesweep_sort_config_static_selectorELNS0_4arch9wavefront6targetE1EEEvSE_: ; @_ZN7rocprim17ROCPRIM_400000_NS6detail17trampoline_kernelINS0_14default_configENS1_35radix_sort_onesweep_config_selectorIaNS0_10empty_typeEEEZZNS1_29radix_sort_onesweep_iterationIS3_Lb1EPaS8_PS5_S9_mNS0_19identity_decomposerENS1_16block_id_wrapperIjLb0EEEEE10hipError_tT1_PNSt15iterator_traitsISE_E10value_typeET2_T3_PNSF_ISK_E10value_typeET4_T5_PSP_SQ_PNS1_23onesweep_lookback_stateEbbT6_jjT7_P12ihipStream_tbENKUlT_T0_SE_SJ_E_clIS8_S8_S9_S9_EEDaSX_SY_SE_SJ_EUlSX_E_NS1_11comp_targetILNS1_3genE4ELNS1_11target_archE910ELNS1_3gpuE8ELNS1_3repE0EEENS1_47radix_sort_onesweep_sort_config_static_selectorELNS0_4arch9wavefront6targetE1EEEvSE_
; %bb.0:
	s_load_dwordx4 s[16:19], s[4:5], 0x44
	s_load_dwordx2 s[20:21], s[4:5], 0x38
	s_load_dwordx4 s[12:15], s[4:5], 0x0
	s_load_dwordx4 s[8:11], s[4:5], 0x28
	s_mul_i32 s7, s6, 0x2c00
	s_waitcnt lgkmcnt(0)
	s_cmp_ge_u32 s6, s18
	v_mul_u32_u24_e32 v10, 22, v0
	s_cbranch_scc0 .LBB1653_120
; %bb.1:
	s_load_dword s26, s[4:5], 0x20
	s_mul_i32 s0, s18, 0xffffd400
	v_mov_b32_e32 v4, 0x80
	s_waitcnt lgkmcnt(0)
	s_add_i32 s26, s26, s0
	s_add_u32 s0, s12, s7
	s_addc_u32 s1, s13, 0
	v_mov_b32_e32 v1, s1
	v_add_co_u32_e32 v2, vcc, s0, v10
	v_addc_co_u32_e32 v3, vcc, 0, v1, vcc
	v_cmp_gt_u32_e32 vcc, s26, v10
	v_mov_b32_e32 v1, 0x80
	s_and_saveexec_b64 s[0:1], vcc
	s_cbranch_execz .LBB1653_3
; %bb.2:
	global_load_ubyte v1, v[2:3], off
.LBB1653_3:
	s_or_b64 exec, exec, s[0:1]
	v_or_b32_e32 v5, 1, v10
	v_cmp_gt_u32_e32 vcc, s26, v5
	s_and_saveexec_b64 s[0:1], vcc
	s_cbranch_execz .LBB1653_5
; %bb.4:
	global_load_ubyte v4, v[2:3], off offset:1
.LBB1653_5:
	s_or_b64 exec, exec, s[0:1]
	v_add_u32_e32 v5, 2, v10
	v_cmp_gt_u32_e32 vcc, s26, v5
	v_mov_b32_e32 v6, 0x80
	v_mov_b32_e32 v5, 0x80
	s_and_saveexec_b64 s[0:1], vcc
	s_cbranch_execz .LBB1653_7
; %bb.6:
	global_load_ubyte v5, v[2:3], off offset:2
.LBB1653_7:
	s_or_b64 exec, exec, s[0:1]
	v_add_u32_e32 v7, 3, v10
	v_cmp_gt_u32_e32 vcc, s26, v7
	s_and_saveexec_b64 s[0:1], vcc
	s_cbranch_execz .LBB1653_9
; %bb.8:
	global_load_ubyte v6, v[2:3], off offset:3
.LBB1653_9:
	s_or_b64 exec, exec, s[0:1]
	v_add_u32_e32 v7, 4, v10
	v_cmp_gt_u32_e32 vcc, s26, v7
	v_mov_b32_e32 v11, 0x80
	v_mov_b32_e32 v8, 0x80
	s_and_saveexec_b64 s[0:1], vcc
	s_cbranch_execz .LBB1653_11
; %bb.10:
	global_load_ubyte v8, v[2:3], off offset:4
.LBB1653_11:
	s_or_b64 exec, exec, s[0:1]
	v_add_u32_e32 v7, 5, v10
	;; [unrolled: 18-line block ×10, first 2 shown]
	v_cmp_gt_u32_e32 vcc, s26, v7
	s_and_saveexec_b64 s[0:1], vcc
	s_cbranch_execz .LBB1653_45
; %bb.44:
	global_load_ubyte v40, v[2:3], off offset:21
.LBB1653_45:
	s_or_b64 exec, exec, s[0:1]
	v_lshlrev_b32_e32 v2, 2, v0
	v_mov_b32_e32 v3, 0
	s_mov_b64 s[0:1], -1
	ds_write2st64_b32 v2, v3, v3 offset1:8
	ds_write2st64_b32 v2, v3, v3 offset0:16 offset1:24
	s_and_saveexec_b64 s[2:3], s[0:1]
	s_cbranch_execz .LBB1653_47
; %bb.46:
	ds_write_b32 v2, v3 offset:8192
.LBB1653_47:
	s_or_b64 exec, exec, s[2:3]
	s_and_saveexec_b64 s[2:3], s[0:1]
	s_cbranch_execz .LBB1653_49
; %bb.48:
	v_mov_b32_e32 v3, 0
	ds_write_b32 v2, v3 offset:10240
.LBB1653_49:
	s_or_b64 exec, exec, s[2:3]
	v_cmp_gt_u32_e64 s[0:1], 7, 6
	v_cmp_gt_u32_e64 s[18:19], 7, 5
	s_and_saveexec_b64 s[2:3], s[18:19]
	s_cbranch_execz .LBB1653_51
; %bb.50:
	v_mov_b32_e32 v3, 0
	ds_write_b32 v2, v3 offset:12288
.LBB1653_51:
	s_or_b64 exec, exec, s[2:3]
	s_and_saveexec_b64 s[2:3], s[0:1]
	s_cbranch_execz .LBB1653_53
; %bb.52:
	v_mov_b32_e32 v3, 0
	ds_write_b32 v2, v3 offset:14336
.LBB1653_53:
	s_or_b64 exec, exec, s[2:3]
	s_waitcnt vmcnt(0)
	v_xor_b32_e32 v1, 0x7f, v1
	s_lshl_b32 s0, -1, s17
	s_not_b32 s27, s0
	v_lshrrev_b32_sdwa v2, s16, v1 dst_sel:DWORD dst_unused:UNUSED_PAD src0_sel:DWORD src1_sel:BYTE_0
	v_and_b32_e32 v2, s27, v2
	v_lshrrev_b32_e32 v3, 3, v2
	v_lshlrev_b32_e32 v2, 9, v2
	s_movk_i32 s0, 0xe00
	v_and_or_b32 v2, v2, s0, v0
	v_lshlrev_b32_e32 v2, 1, v2
	v_add_lshl_u32 v2, v2, v3, 1
	ds_read_u16 v7, v2
	v_xor_b32_e32 v4, 0x7f, v4
	v_xor_b32_e32 v5, 0x7f, v5
	v_xor_b32_e32 v6, 0x7f, v6
	v_xor_b32_e32 v8, 0x7f, v8
	s_waitcnt lgkmcnt(0)
	v_add_u16_e32 v3, 1, v7
	ds_write_b16 v2, v3
	v_lshrrev_b32_sdwa v3, s16, v4 dst_sel:DWORD dst_unused:UNUSED_PAD src0_sel:DWORD src1_sel:BYTE_0
	v_and_b32_e32 v3, s27, v3
	v_lshrrev_b32_e32 v9, 3, v3
	v_lshlrev_b32_e32 v3, 9, v3
	v_and_or_b32 v3, v3, s0, v0
	v_lshlrev_b32_e32 v3, 1, v3
	v_add_lshl_u32 v3, v3, v9, 1
	ds_read_u16 v9, v3
	v_xor_b32_e32 v14, 0x7f, v14
	v_xor_b32_e32 v16, 0x7f, v16
	v_xor_b32_e32 v18, 0x7f, v18
	v_xor_b32_e32 v20, 0x7f, v20
	s_waitcnt lgkmcnt(0)
	v_add_u16_e32 v12, 1, v9
	ds_write_b16 v3, v12
	v_lshrrev_b32_sdwa v12, s16, v5 dst_sel:DWORD dst_unused:UNUSED_PAD src0_sel:DWORD src1_sel:BYTE_0
	v_and_b32_e32 v12, s27, v12
	v_lshrrev_b32_e32 v13, 3, v12
	v_lshlrev_b32_e32 v12, 9, v12
	;; [unrolled: 15-line block ×5, first 2 shown]
	v_and_or_b32 v11, v11, s0, v0
	v_lshlrev_b32_e32 v11, 1, v11
	v_add_lshl_u32 v11, v11, v19, 1
	ds_read_u16 v19, v11
	v_xor_b32_e32 v40, 0x7f, v40
	s_waitcnt lgkmcnt(0)
	v_add_u16_e32 v21, 1, v19
	ds_write_b16 v11, v21
	v_lshrrev_b32_sdwa v21, s16, v14 dst_sel:DWORD dst_unused:UNUSED_PAD src0_sel:DWORD src1_sel:BYTE_0
	v_and_b32_e32 v21, s27, v21
	v_lshrrev_b32_e32 v23, 3, v21
	v_lshlrev_b32_e32 v21, 9, v21
	v_and_or_b32 v21, v21, s0, v0
	v_lshlrev_b32_e32 v21, 1, v21
	v_add_lshl_u32 v43, v21, v23, 1
	ds_read_u16 v21, v43
	s_waitcnt lgkmcnt(0)
	v_add_u16_e32 v23, 1, v21
	ds_write_b16 v43, v23
	v_lshrrev_b32_sdwa v23, s16, v16 dst_sel:DWORD dst_unused:UNUSED_PAD src0_sel:DWORD src1_sel:BYTE_0
	v_and_b32_e32 v23, s27, v23
	v_lshrrev_b32_e32 v25, 3, v23
	v_lshlrev_b32_e32 v23, 9, v23
	v_and_or_b32 v23, v23, s0, v0
	v_lshlrev_b32_e32 v23, 1, v23
	v_add_lshl_u32 v46, v23, v25, 1
	ds_read_u16 v23, v46
	;; [unrolled: 11-line block ×16, first 2 shown]
	s_waitcnt lgkmcnt(0)
	v_add_u16_e32 v68, 1, v59
	ds_write_b16 v67, v68
	v_lshlrev_b32_e32 v68, 5, v0
	s_waitcnt lgkmcnt(0)
	s_barrier
	ds_read2_b64 v[70:73], v68 offset1:1
	ds_read2_b64 v[74:77], v68 offset0:2 offset1:3
	s_waitcnt lgkmcnt(1)
	v_add_u32_e32 v69, v71, v70
	v_add3_u32 v69, v69, v72, v73
	s_waitcnt lgkmcnt(0)
	v_add3_u32 v69, v69, v74, v75
	v_add3_u32 v70, v69, v76, v77
	v_mbcnt_lo_u32_b32 v69, -1, 0
	v_mbcnt_hi_u32_b32 v69, -1, v69
	v_and_b32_e32 v71, 15, v69
	v_mov_b32_dpp v72, v70 row_shr:1 row_mask:0xf bank_mask:0xf
	v_cmp_ne_u32_e32 vcc, 0, v71
	v_cndmask_b32_e32 v72, 0, v72, vcc
	v_add_u32_e32 v70, v72, v70
	v_cmp_lt_u32_e32 vcc, 1, v71
	s_nop 0
	v_mov_b32_dpp v72, v70 row_shr:2 row_mask:0xf bank_mask:0xf
	v_cndmask_b32_e32 v72, 0, v72, vcc
	v_add_u32_e32 v70, v70, v72
	v_cmp_lt_u32_e32 vcc, 3, v71
	s_nop 0
	v_mov_b32_dpp v72, v70 row_shr:4 row_mask:0xf bank_mask:0xf
	;; [unrolled: 5-line block ×3, first 2 shown]
	v_cndmask_b32_e32 v71, 0, v72, vcc
	v_add_u32_e32 v70, v70, v71
	v_bfe_i32 v72, v69, 4, 1
	v_cmp_lt_u32_e32 vcc, 31, v69
	v_mov_b32_dpp v71, v70 row_bcast:15 row_mask:0xf bank_mask:0xf
	v_and_b32_e32 v71, v72, v71
	v_add_u32_e32 v70, v70, v71
	v_or_b32_e32 v72, 63, v0
	s_nop 0
	v_mov_b32_dpp v71, v70 row_bcast:31 row_mask:0xf bank_mask:0xf
	v_cndmask_b32_e32 v71, 0, v71, vcc
	v_add_u32_e32 v70, v70, v71
	v_lshrrev_b32_e32 v71, 6, v0
	v_cmp_eq_u32_e32 vcc, v72, v0
	v_lshlrev_b32_e32 v71, 2, v71
	s_and_saveexec_b64 s[0:1], vcc
	s_cbranch_execz .LBB1653_55
; %bb.54:
	ds_write_b32 v71, v70 offset:16384
.LBB1653_55:
	s_or_b64 exec, exec, s[0:1]
	v_cmp_gt_u32_e32 vcc, 8, v0
	s_waitcnt lgkmcnt(0)
	s_barrier
	s_and_saveexec_b64 s[0:1], vcc
	s_cbranch_execz .LBB1653_57
; %bb.56:
	s_movk_i32 s2, 0xffe4
	v_mad_i32_i24 v72, v0, s2, v68
	ds_read_b32 v73, v72 offset:16384
	v_and_b32_e32 v74, 7, v69
	v_cmp_ne_u32_e32 vcc, 0, v74
	s_waitcnt lgkmcnt(0)
	v_mov_b32_dpp v75, v73 row_shr:1 row_mask:0xf bank_mask:0xf
	v_cndmask_b32_e32 v75, 0, v75, vcc
	v_add_u32_e32 v73, v75, v73
	v_cmp_lt_u32_e32 vcc, 1, v74
	s_nop 0
	v_mov_b32_dpp v75, v73 row_shr:2 row_mask:0xf bank_mask:0xf
	v_cndmask_b32_e32 v75, 0, v75, vcc
	v_add_u32_e32 v73, v73, v75
	v_cmp_lt_u32_e32 vcc, 3, v74
	s_nop 0
	v_mov_b32_dpp v75, v73 row_shr:4 row_mask:0xf bank_mask:0xf
	v_cndmask_b32_e32 v74, 0, v75, vcc
	v_add_u32_e32 v73, v73, v74
	ds_write_b32 v72, v73 offset:16384
.LBB1653_57:
	s_or_b64 exec, exec, s[0:1]
	v_cmp_lt_u32_e32 vcc, 63, v0
	v_mov_b32_e32 v73, 0
	v_mov_b32_e32 v72, 0
	s_waitcnt lgkmcnt(0)
	s_barrier
	s_and_saveexec_b64 s[0:1], vcc
	s_cbranch_execz .LBB1653_59
; %bb.58:
	ds_read_b32 v72, v71 offset:16380
.LBB1653_59:
	s_or_b64 exec, exec, s[0:1]
	v_add_u32_e32 v71, -1, v69
	v_and_b32_e32 v74, 64, v69
	v_cmp_lt_i32_e32 vcc, v71, v74
	v_cndmask_b32_e32 v71, v71, v69, vcc
	s_waitcnt lgkmcnt(0)
	v_add_u32_e32 v70, v72, v70
	v_lshlrev_b32_e32 v71, 2, v71
	ds_bpermute_b32 v70, v71, v70
	ds_read_b32 v71, v73 offset:16412
	ds_read2_b64 v[74:77], v68 offset1:1
	v_cmp_eq_u32_e32 vcc, 0, v69
	ds_read_b32 v78, v68 offset:24
	s_waitcnt lgkmcnt(3)
	v_cndmask_b32_e32 v69, v70, v72, vcc
	ds_read_b64 v[72:73], v68 offset:16
	s_waitcnt lgkmcnt(3)
	v_lshl_add_u32 v70, v71, 16, v69
	s_waitcnt lgkmcnt(2)
	v_add_u32_e32 v71, v70, v74
	v_add_u32_e32 v74, v75, v71
	;; [unrolled: 1-line block ×3, first 2 shown]
	ds_write2_b64 v68, v[70:71], v[74:75] offset1:1
	v_add_u32_e32 v70, v77, v75
	s_waitcnt lgkmcnt(1)
	v_add_u32_e32 v71, v72, v70
	v_add_u32_e32 v72, v73, v71
	;; [unrolled: 1-line block ×3, first 2 shown]
	ds_write2_b64 v68, v[70:71], v[72:73] offset0:2 offset1:3
	s_waitcnt lgkmcnt(0)
	s_barrier
	ds_read_u16 v68, v2
	ds_read_u16 v69, v3
	;; [unrolled: 1-line block ×22, first 2 shown]
	v_cmp_gt_u32_e32 vcc, 16, v0
	v_pk_mov_b32 v[2:3], 0, 0
                                        ; implicit-def: $vgpr11
	s_and_saveexec_b64 s[2:3], vcc
	s_cbranch_execz .LBB1653_63
; %bb.60:
	v_lshrrev_b32_e32 v2, 3, v0
	v_lshlrev_b32_e32 v3, 10, v0
	s_movk_i32 s22, 0x1c00
	v_and_or_b32 v2, v3, s22, v2
	v_lshlrev_b32_e32 v2, 1, v2
	ds_read_u16 v2, v2
	v_add_u32_e32 v11, 1, v0
	v_cmp_ne_u32_e64 s[0:1], 16, v11
	v_mov_b32_e32 v3, 0x2c00
	s_and_saveexec_b64 s[18:19], s[0:1]
	s_cbranch_execz .LBB1653_62
; %bb.61:
	v_lshlrev_b32_e32 v3, 10, v11
	v_lshrrev_b32_e32 v11, 3, v11
	v_and_or_b32 v3, v3, s22, v11
	v_lshlrev_b32_e32 v3, 1, v3
	ds_read_u16 v3, v3
.LBB1653_62:
	s_or_b64 exec, exec, s[18:19]
	s_waitcnt lgkmcnt(0)
	v_and_b32_e32 v2, 0xffff, v2
	s_mov_b32 s0, 0
	v_sub_u32_e32 v11, v3, v2
	v_mov_b32_e32 v3, s0
.LBB1653_63:
	s_or_b64 exec, exec, s[2:3]
	s_waitcnt lgkmcnt(14)
	v_add_u32_sdwa v7, v68, v7 dst_sel:DWORD dst_unused:UNUSED_PAD src0_sel:WORD_0 src1_sel:WORD_0
	v_add_u32_sdwa v9, v69, v9 dst_sel:DWORD dst_unused:UNUSED_PAD src0_sel:WORD_0 src1_sel:WORD_0
	;; [unrolled: 1-line block ×8, first 2 shown]
	s_waitcnt lgkmcnt(13)
	v_add_u32_sdwa v25, v48, v25 dst_sel:DWORD dst_unused:UNUSED_PAD src0_sel:WORD_0 src1_sel:WORD_0
	s_waitcnt lgkmcnt(12)
	v_add_u32_sdwa v27, v50, v27 dst_sel:DWORD dst_unused:UNUSED_PAD src0_sel:WORD_0 src1_sel:WORD_0
	;; [unrolled: 2-line block ×14, first 2 shown]
	s_barrier
	ds_write_b8 v7, v1 offset:128
	ds_write_b8 v9, v4 offset:128
	;; [unrolled: 1-line block ×22, first 2 shown]
	s_and_saveexec_b64 s[2:3], vcc
	s_cbranch_execz .LBB1653_73
; %bb.64:
	v_lshl_or_b32 v4, s6, 4, v0
	v_mov_b32_e32 v5, 0
	v_lshlrev_b64 v[6:7], 2, v[4:5]
	v_mov_b32_e32 v1, s21
	v_add_co_u32_e64 v6, s[0:1], s20, v6
	v_addc_co_u32_e64 v7, s[0:1], v1, v7, s[0:1]
	v_or_b32_e32 v4, 2.0, v11
	s_mov_b64 s[18:19], 0
	s_brev_b32 s28, 1
	s_mov_b32 s29, s6
	v_mov_b32_e32 v12, 0
	global_store_dword v[6:7], v4, off
                                        ; implicit-def: $sgpr0_sgpr1
	s_branch .LBB1653_66
.LBB1653_65:                            ;   in Loop: Header=BB1653_66 Depth=1
	s_or_b64 exec, exec, s[22:23]
	v_and_b32_e32 v8, 0x3fffffff, v13
	v_add_u32_e32 v12, v8, v12
	v_cmp_eq_u32_e64 s[0:1], s28, v4
	s_and_b64 s[22:23], exec, s[0:1]
	s_or_b64 s[18:19], s[22:23], s[18:19]
	s_andn2_b64 exec, exec, s[18:19]
	s_cbranch_execz .LBB1653_72
.LBB1653_66:                            ; =>This Loop Header: Depth=1
                                        ;     Child Loop BB1653_69 Depth 2
	s_or_b64 s[0:1], s[0:1], exec
	s_cmp_eq_u32 s29, 0
	s_cbranch_scc1 .LBB1653_71
; %bb.67:                               ;   in Loop: Header=BB1653_66 Depth=1
	s_add_i32 s29, s29, -1
	v_lshl_or_b32 v4, s29, 4, v0
	v_lshlrev_b64 v[8:9], 2, v[4:5]
	v_add_co_u32_e64 v8, s[0:1], s20, v8
	v_addc_co_u32_e64 v9, s[0:1], v1, v9, s[0:1]
	global_load_dword v13, v[8:9], off glc
	s_waitcnt vmcnt(0)
	v_and_b32_e32 v4, -2.0, v13
	v_cmp_eq_u32_e64 s[0:1], 0, v4
	s_and_saveexec_b64 s[22:23], s[0:1]
	s_cbranch_execz .LBB1653_65
; %bb.68:                               ;   in Loop: Header=BB1653_66 Depth=1
	s_mov_b64 s[24:25], 0
.LBB1653_69:                            ;   Parent Loop BB1653_66 Depth=1
                                        ; =>  This Inner Loop Header: Depth=2
	global_load_dword v13, v[8:9], off glc
	s_waitcnt vmcnt(0)
	v_and_b32_e32 v4, -2.0, v13
	v_cmp_ne_u32_e64 s[0:1], 0, v4
	s_or_b64 s[24:25], s[0:1], s[24:25]
	s_andn2_b64 exec, exec, s[24:25]
	s_cbranch_execnz .LBB1653_69
; %bb.70:                               ;   in Loop: Header=BB1653_66 Depth=1
	s_or_b64 exec, exec, s[24:25]
	s_branch .LBB1653_65
.LBB1653_71:                            ;   in Loop: Header=BB1653_66 Depth=1
                                        ; implicit-def: $sgpr29
	s_and_b64 s[22:23], exec, s[0:1]
	s_or_b64 s[18:19], s[22:23], s[18:19]
	s_andn2_b64 exec, exec, s[18:19]
	s_cbranch_execnz .LBB1653_66
.LBB1653_72:
	s_or_b64 exec, exec, s[18:19]
	v_add_u32_e32 v1, v12, v11
	v_or_b32_e32 v1, 0x80000000, v1
	global_store_dword v[6:7], v1, off
	v_lshlrev_b32_e32 v1, 3, v0
	global_load_dwordx2 v[4:5], v1, s[8:9]
	v_sub_co_u32_e64 v6, s[0:1], v12, v2
	v_subb_co_u32_e64 v7, s[0:1], 0, v3, s[0:1]
	s_waitcnt vmcnt(0)
	v_add_co_u32_e64 v4, s[0:1], v6, v4
	v_addc_co_u32_e64 v5, s[0:1], v7, v5, s[0:1]
	ds_write_b64 v1, v[4:5]
.LBB1653_73:
	s_or_b64 exec, exec, s[2:3]
	v_cmp_gt_u32_e64 s[0:1], s26, v0
	s_waitcnt lgkmcnt(0)
	s_barrier
	s_and_saveexec_b64 s[2:3], s[0:1]
	s_cbranch_execz .LBB1653_75
; %bb.74:
	ds_read_u8 v1, v0 offset:128
	v_mov_b32_e32 v6, s15
	s_waitcnt lgkmcnt(0)
	v_lshrrev_b32_sdwa v4, s16, v1 dst_sel:DWORD dst_unused:UNUSED_PAD src0_sel:DWORD src1_sel:BYTE_0
	v_and_b32_e32 v4, s27, v4
	v_lshlrev_b32_e32 v4, 3, v4
	ds_read_b64 v[4:5], v4
	v_xor_b32_e32 v1, 0x7f, v1
	s_waitcnt lgkmcnt(0)
	v_add_co_u32_e64 v4, s[0:1], s14, v4
	v_addc_co_u32_e64 v5, s[0:1], v6, v5, s[0:1]
	v_add_co_u32_e64 v4, s[0:1], v4, v0
	v_addc_co_u32_e64 v5, s[0:1], 0, v5, s[0:1]
	global_store_byte v[4:5], v1, off
.LBB1653_75:
	s_or_b64 exec, exec, s[2:3]
	v_or_b32_e32 v1, 0x200, v0
	v_cmp_gt_u32_e64 s[0:1], s26, v1
	s_and_saveexec_b64 s[2:3], s[0:1]
	s_cbranch_execz .LBB1653_77
; %bb.76:
	ds_read_u8 v1, v0 offset:640
	v_mov_b32_e32 v6, s15
	s_waitcnt lgkmcnt(0)
	v_lshrrev_b32_sdwa v4, s16, v1 dst_sel:DWORD dst_unused:UNUSED_PAD src0_sel:DWORD src1_sel:BYTE_0
	v_and_b32_e32 v4, s27, v4
	v_lshlrev_b32_e32 v4, 3, v4
	ds_read_b64 v[4:5], v4
	v_xor_b32_e32 v1, 0x7f, v1
	s_waitcnt lgkmcnt(0)
	v_add_co_u32_e64 v4, s[0:1], s14, v4
	v_addc_co_u32_e64 v5, s[0:1], v6, v5, s[0:1]
	v_add_co_u32_e64 v4, s[0:1], v4, v0
	v_addc_co_u32_e64 v5, s[0:1], 0, v5, s[0:1]
	global_store_byte v[4:5], v1, off offset:512
.LBB1653_77:
	s_or_b64 exec, exec, s[2:3]
	v_or_b32_e32 v1, 0x400, v0
	v_cmp_gt_u32_e64 s[0:1], s26, v1
	s_and_saveexec_b64 s[2:3], s[0:1]
	s_cbranch_execz .LBB1653_79
; %bb.78:
	ds_read_u8 v1, v0 offset:1152
	v_mov_b32_e32 v6, s15
	s_waitcnt lgkmcnt(0)
	v_lshrrev_b32_sdwa v4, s16, v1 dst_sel:DWORD dst_unused:UNUSED_PAD src0_sel:DWORD src1_sel:BYTE_0
	v_and_b32_e32 v4, s27, v4
	v_lshlrev_b32_e32 v4, 3, v4
	ds_read_b64 v[4:5], v4
	v_xor_b32_e32 v1, 0x7f, v1
	s_waitcnt lgkmcnt(0)
	v_add_co_u32_e64 v4, s[0:1], s14, v4
	v_addc_co_u32_e64 v5, s[0:1], v6, v5, s[0:1]
	v_add_co_u32_e64 v4, s[0:1], v4, v0
	v_addc_co_u32_e64 v5, s[0:1], 0, v5, s[0:1]
	global_store_byte v[4:5], v1, off offset:1024
.LBB1653_79:
	;; [unrolled: 21-line block ×7, first 2 shown]
	s_or_b64 exec, exec, s[2:3]
	v_or_b32_e32 v1, 0x1000, v0
	v_cmp_gt_u32_e64 s[0:1], s26, v1
	s_and_saveexec_b64 s[2:3], s[0:1]
	s_cbranch_execz .LBB1653_91
; %bb.90:
	ds_read_u8 v6, v0 offset:4224
	v_mov_b32_e32 v7, s15
	s_waitcnt lgkmcnt(0)
	v_lshrrev_b32_sdwa v4, s16, v6 dst_sel:DWORD dst_unused:UNUSED_PAD src0_sel:DWORD src1_sel:BYTE_0
	v_and_b32_e32 v4, s27, v4
	v_lshlrev_b32_e32 v4, 3, v4
	ds_read_b64 v[4:5], v4
	v_xor_b32_e32 v6, 0x7f, v6
	s_waitcnt lgkmcnt(0)
	v_add_co_u32_e64 v4, s[0:1], s14, v4
	v_addc_co_u32_e64 v5, s[0:1], v7, v5, s[0:1]
	v_add_co_u32_e64 v4, s[0:1], v4, v1
	v_addc_co_u32_e64 v5, s[0:1], 0, v5, s[0:1]
	global_store_byte v[4:5], v6, off
.LBB1653_91:
	s_or_b64 exec, exec, s[2:3]
	v_or_b32_e32 v1, 0x1200, v0
	v_cmp_gt_u32_e64 s[0:1], s26, v1
	s_and_saveexec_b64 s[2:3], s[0:1]
	s_cbranch_execz .LBB1653_93
; %bb.92:
	ds_read_u8 v6, v0 offset:4736
	v_mov_b32_e32 v7, s15
	s_waitcnt lgkmcnt(0)
	v_lshrrev_b32_sdwa v4, s16, v6 dst_sel:DWORD dst_unused:UNUSED_PAD src0_sel:DWORD src1_sel:BYTE_0
	v_and_b32_e32 v4, s27, v4
	v_lshlrev_b32_e32 v4, 3, v4
	ds_read_b64 v[4:5], v4
	v_xor_b32_e32 v6, 0x7f, v6
	s_waitcnt lgkmcnt(0)
	v_add_co_u32_e64 v4, s[0:1], s14, v4
	v_addc_co_u32_e64 v5, s[0:1], v7, v5, s[0:1]
	v_add_co_u32_e64 v4, s[0:1], v4, v1
	v_addc_co_u32_e64 v5, s[0:1], 0, v5, s[0:1]
	global_store_byte v[4:5], v6, off
.LBB1653_93:
	s_or_b64 exec, exec, s[2:3]
	v_or_b32_e32 v1, 0x1400, v0
	v_cmp_gt_u32_e64 s[0:1], s26, v1
	s_and_saveexec_b64 s[2:3], s[0:1]
	s_cbranch_execz .LBB1653_95
; %bb.94:
	ds_read_u8 v6, v0 offset:5248
	v_mov_b32_e32 v7, s15
	s_waitcnt lgkmcnt(0)
	v_lshrrev_b32_sdwa v4, s16, v6 dst_sel:DWORD dst_unused:UNUSED_PAD src0_sel:DWORD src1_sel:BYTE_0
	v_and_b32_e32 v4, s27, v4
	v_lshlrev_b32_e32 v4, 3, v4
	ds_read_b64 v[4:5], v4
	v_xor_b32_e32 v6, 0x7f, v6
	s_waitcnt lgkmcnt(0)
	v_add_co_u32_e64 v4, s[0:1], s14, v4
	v_addc_co_u32_e64 v5, s[0:1], v7, v5, s[0:1]
	v_add_co_u32_e64 v4, s[0:1], v4, v1
	v_addc_co_u32_e64 v5, s[0:1], 0, v5, s[0:1]
	global_store_byte v[4:5], v6, off
.LBB1653_95:
	s_or_b64 exec, exec, s[2:3]
	v_or_b32_e32 v1, 0x1600, v0
	v_cmp_gt_u32_e64 s[0:1], s26, v1
	s_and_saveexec_b64 s[2:3], s[0:1]
	s_cbranch_execz .LBB1653_97
; %bb.96:
	ds_read_u8 v6, v0 offset:5760
	v_mov_b32_e32 v7, s15
	s_waitcnt lgkmcnt(0)
	v_lshrrev_b32_sdwa v4, s16, v6 dst_sel:DWORD dst_unused:UNUSED_PAD src0_sel:DWORD src1_sel:BYTE_0
	v_and_b32_e32 v4, s27, v4
	v_lshlrev_b32_e32 v4, 3, v4
	ds_read_b64 v[4:5], v4
	v_xor_b32_e32 v6, 0x7f, v6
	s_waitcnt lgkmcnt(0)
	v_add_co_u32_e64 v4, s[0:1], s14, v4
	v_addc_co_u32_e64 v5, s[0:1], v7, v5, s[0:1]
	v_add_co_u32_e64 v4, s[0:1], v4, v1
	v_addc_co_u32_e64 v5, s[0:1], 0, v5, s[0:1]
	global_store_byte v[4:5], v6, off
.LBB1653_97:
	s_or_b64 exec, exec, s[2:3]
	v_or_b32_e32 v1, 0x1800, v0
	v_cmp_gt_u32_e64 s[0:1], s26, v1
	s_and_saveexec_b64 s[2:3], s[0:1]
	s_cbranch_execz .LBB1653_99
; %bb.98:
	ds_read_u8 v6, v0 offset:6272
	v_mov_b32_e32 v7, s15
	s_waitcnt lgkmcnt(0)
	v_lshrrev_b32_sdwa v4, s16, v6 dst_sel:DWORD dst_unused:UNUSED_PAD src0_sel:DWORD src1_sel:BYTE_0
	v_and_b32_e32 v4, s27, v4
	v_lshlrev_b32_e32 v4, 3, v4
	ds_read_b64 v[4:5], v4
	v_xor_b32_e32 v6, 0x7f, v6
	s_waitcnt lgkmcnt(0)
	v_add_co_u32_e64 v4, s[0:1], s14, v4
	v_addc_co_u32_e64 v5, s[0:1], v7, v5, s[0:1]
	v_add_co_u32_e64 v4, s[0:1], v4, v1
	v_addc_co_u32_e64 v5, s[0:1], 0, v5, s[0:1]
	global_store_byte v[4:5], v6, off
.LBB1653_99:
	s_or_b64 exec, exec, s[2:3]
	v_or_b32_e32 v1, 0x1a00, v0
	v_cmp_gt_u32_e64 s[0:1], s26, v1
	s_and_saveexec_b64 s[2:3], s[0:1]
	s_cbranch_execz .LBB1653_101
; %bb.100:
	ds_read_u8 v6, v0 offset:6784
	v_mov_b32_e32 v7, s15
	s_waitcnt lgkmcnt(0)
	v_lshrrev_b32_sdwa v4, s16, v6 dst_sel:DWORD dst_unused:UNUSED_PAD src0_sel:DWORD src1_sel:BYTE_0
	v_and_b32_e32 v4, s27, v4
	v_lshlrev_b32_e32 v4, 3, v4
	ds_read_b64 v[4:5], v4
	v_xor_b32_e32 v6, 0x7f, v6
	s_waitcnt lgkmcnt(0)
	v_add_co_u32_e64 v4, s[0:1], s14, v4
	v_addc_co_u32_e64 v5, s[0:1], v7, v5, s[0:1]
	v_add_co_u32_e64 v4, s[0:1], v4, v1
	v_addc_co_u32_e64 v5, s[0:1], 0, v5, s[0:1]
	global_store_byte v[4:5], v6, off
.LBB1653_101:
	s_or_b64 exec, exec, s[2:3]
	v_or_b32_e32 v1, 0x1c00, v0
	v_cmp_gt_u32_e64 s[0:1], s26, v1
	s_and_saveexec_b64 s[2:3], s[0:1]
	s_cbranch_execz .LBB1653_103
; %bb.102:
	ds_read_u8 v6, v0 offset:7296
	v_mov_b32_e32 v7, s15
	s_waitcnt lgkmcnt(0)
	v_lshrrev_b32_sdwa v4, s16, v6 dst_sel:DWORD dst_unused:UNUSED_PAD src0_sel:DWORD src1_sel:BYTE_0
	v_and_b32_e32 v4, s27, v4
	v_lshlrev_b32_e32 v4, 3, v4
	ds_read_b64 v[4:5], v4
	v_xor_b32_e32 v6, 0x7f, v6
	s_waitcnt lgkmcnt(0)
	v_add_co_u32_e64 v4, s[0:1], s14, v4
	v_addc_co_u32_e64 v5, s[0:1], v7, v5, s[0:1]
	v_add_co_u32_e64 v4, s[0:1], v4, v1
	v_addc_co_u32_e64 v5, s[0:1], 0, v5, s[0:1]
	global_store_byte v[4:5], v6, off
.LBB1653_103:
	s_or_b64 exec, exec, s[2:3]
	v_or_b32_e32 v1, 0x1e00, v0
	v_cmp_gt_u32_e64 s[0:1], s26, v1
	s_and_saveexec_b64 s[2:3], s[0:1]
	s_cbranch_execz .LBB1653_105
; %bb.104:
	ds_read_u8 v6, v0 offset:7808
	v_mov_b32_e32 v7, s15
	s_waitcnt lgkmcnt(0)
	v_lshrrev_b32_sdwa v4, s16, v6 dst_sel:DWORD dst_unused:UNUSED_PAD src0_sel:DWORD src1_sel:BYTE_0
	v_and_b32_e32 v4, s27, v4
	v_lshlrev_b32_e32 v4, 3, v4
	ds_read_b64 v[4:5], v4
	v_xor_b32_e32 v6, 0x7f, v6
	s_waitcnt lgkmcnt(0)
	v_add_co_u32_e64 v4, s[0:1], s14, v4
	v_addc_co_u32_e64 v5, s[0:1], v7, v5, s[0:1]
	v_add_co_u32_e64 v4, s[0:1], v4, v1
	v_addc_co_u32_e64 v5, s[0:1], 0, v5, s[0:1]
	global_store_byte v[4:5], v6, off
.LBB1653_105:
	s_or_b64 exec, exec, s[2:3]
	v_or_b32_e32 v1, 0x2000, v0
	v_cmp_gt_u32_e64 s[0:1], s26, v1
	s_and_saveexec_b64 s[2:3], s[0:1]
	s_cbranch_execz .LBB1653_107
; %bb.106:
	ds_read_u8 v6, v0 offset:8320
	v_mov_b32_e32 v7, s15
	s_waitcnt lgkmcnt(0)
	v_lshrrev_b32_sdwa v4, s16, v6 dst_sel:DWORD dst_unused:UNUSED_PAD src0_sel:DWORD src1_sel:BYTE_0
	v_and_b32_e32 v4, s27, v4
	v_lshlrev_b32_e32 v4, 3, v4
	ds_read_b64 v[4:5], v4
	v_xor_b32_e32 v6, 0x7f, v6
	s_waitcnt lgkmcnt(0)
	v_add_co_u32_e64 v4, s[0:1], s14, v4
	v_addc_co_u32_e64 v5, s[0:1], v7, v5, s[0:1]
	v_add_co_u32_e64 v4, s[0:1], v4, v1
	v_addc_co_u32_e64 v5, s[0:1], 0, v5, s[0:1]
	global_store_byte v[4:5], v6, off
.LBB1653_107:
	s_or_b64 exec, exec, s[2:3]
	v_or_b32_e32 v1, 0x2200, v0
	v_cmp_gt_u32_e64 s[0:1], s26, v1
	s_and_saveexec_b64 s[2:3], s[0:1]
	s_cbranch_execz .LBB1653_109
; %bb.108:
	ds_read_u8 v6, v0 offset:8832
	v_mov_b32_e32 v7, s15
	s_waitcnt lgkmcnt(0)
	v_lshrrev_b32_sdwa v4, s16, v6 dst_sel:DWORD dst_unused:UNUSED_PAD src0_sel:DWORD src1_sel:BYTE_0
	v_and_b32_e32 v4, s27, v4
	v_lshlrev_b32_e32 v4, 3, v4
	ds_read_b64 v[4:5], v4
	v_xor_b32_e32 v6, 0x7f, v6
	s_waitcnt lgkmcnt(0)
	v_add_co_u32_e64 v4, s[0:1], s14, v4
	v_addc_co_u32_e64 v5, s[0:1], v7, v5, s[0:1]
	v_add_co_u32_e64 v4, s[0:1], v4, v1
	v_addc_co_u32_e64 v5, s[0:1], 0, v5, s[0:1]
	global_store_byte v[4:5], v6, off
.LBB1653_109:
	s_or_b64 exec, exec, s[2:3]
	v_or_b32_e32 v1, 0x2400, v0
	v_cmp_gt_u32_e64 s[0:1], s26, v1
	s_and_saveexec_b64 s[2:3], s[0:1]
	s_cbranch_execz .LBB1653_111
; %bb.110:
	ds_read_u8 v6, v0 offset:9344
	v_mov_b32_e32 v7, s15
	s_waitcnt lgkmcnt(0)
	v_lshrrev_b32_sdwa v4, s16, v6 dst_sel:DWORD dst_unused:UNUSED_PAD src0_sel:DWORD src1_sel:BYTE_0
	v_and_b32_e32 v4, s27, v4
	v_lshlrev_b32_e32 v4, 3, v4
	ds_read_b64 v[4:5], v4
	v_xor_b32_e32 v6, 0x7f, v6
	s_waitcnt lgkmcnt(0)
	v_add_co_u32_e64 v4, s[0:1], s14, v4
	v_addc_co_u32_e64 v5, s[0:1], v7, v5, s[0:1]
	v_add_co_u32_e64 v4, s[0:1], v4, v1
	v_addc_co_u32_e64 v5, s[0:1], 0, v5, s[0:1]
	global_store_byte v[4:5], v6, off
.LBB1653_111:
	s_or_b64 exec, exec, s[2:3]
	v_or_b32_e32 v1, 0x2600, v0
	v_cmp_gt_u32_e64 s[0:1], s26, v1
	s_and_saveexec_b64 s[2:3], s[0:1]
	s_cbranch_execz .LBB1653_113
; %bb.112:
	ds_read_u8 v6, v0 offset:9856
	v_mov_b32_e32 v7, s15
	s_waitcnt lgkmcnt(0)
	v_lshrrev_b32_sdwa v4, s16, v6 dst_sel:DWORD dst_unused:UNUSED_PAD src0_sel:DWORD src1_sel:BYTE_0
	v_and_b32_e32 v4, s27, v4
	v_lshlrev_b32_e32 v4, 3, v4
	ds_read_b64 v[4:5], v4
	v_xor_b32_e32 v6, 0x7f, v6
	s_waitcnt lgkmcnt(0)
	v_add_co_u32_e64 v4, s[0:1], s14, v4
	v_addc_co_u32_e64 v5, s[0:1], v7, v5, s[0:1]
	v_add_co_u32_e64 v4, s[0:1], v4, v1
	v_addc_co_u32_e64 v5, s[0:1], 0, v5, s[0:1]
	global_store_byte v[4:5], v6, off
.LBB1653_113:
	s_or_b64 exec, exec, s[2:3]
	v_or_b32_e32 v1, 0x2800, v0
	v_cmp_gt_u32_e64 s[0:1], s26, v1
	s_and_saveexec_b64 s[2:3], s[0:1]
	s_cbranch_execz .LBB1653_115
; %bb.114:
	ds_read_u8 v6, v0 offset:10368
	v_mov_b32_e32 v7, s15
	s_waitcnt lgkmcnt(0)
	v_lshrrev_b32_sdwa v4, s16, v6 dst_sel:DWORD dst_unused:UNUSED_PAD src0_sel:DWORD src1_sel:BYTE_0
	v_and_b32_e32 v4, s27, v4
	v_lshlrev_b32_e32 v4, 3, v4
	ds_read_b64 v[4:5], v4
	v_xor_b32_e32 v6, 0x7f, v6
	s_waitcnt lgkmcnt(0)
	v_add_co_u32_e64 v4, s[0:1], s14, v4
	v_addc_co_u32_e64 v5, s[0:1], v7, v5, s[0:1]
	v_add_co_u32_e64 v4, s[0:1], v4, v1
	v_addc_co_u32_e64 v5, s[0:1], 0, v5, s[0:1]
	global_store_byte v[4:5], v6, off
.LBB1653_115:
	s_or_b64 exec, exec, s[2:3]
	v_or_b32_e32 v1, 0x2a00, v0
	v_cmp_gt_u32_e64 s[0:1], s26, v1
	s_and_saveexec_b64 s[2:3], s[0:1]
	s_cbranch_execz .LBB1653_117
; %bb.116:
	ds_read_u8 v6, v0 offset:10880
	v_mov_b32_e32 v7, s15
	s_waitcnt lgkmcnt(0)
	v_lshrrev_b32_sdwa v4, s16, v6 dst_sel:DWORD dst_unused:UNUSED_PAD src0_sel:DWORD src1_sel:BYTE_0
	v_and_b32_e32 v4, s27, v4
	v_lshlrev_b32_e32 v4, 3, v4
	ds_read_b64 v[4:5], v4
	v_xor_b32_e32 v6, 0x7f, v6
	s_waitcnt lgkmcnt(0)
	v_add_co_u32_e64 v4, s[0:1], s14, v4
	v_addc_co_u32_e64 v5, s[0:1], v7, v5, s[0:1]
	v_add_co_u32_e64 v4, s[0:1], v4, v1
	v_addc_co_u32_e64 v5, s[0:1], 0, v5, s[0:1]
	global_store_byte v[4:5], v6, off
.LBB1653_117:
	s_or_b64 exec, exec, s[2:3]
	s_load_dword s2, s[4:5], 0x58
	s_mov_b64 s[0:1], 0
	s_mov_b64 s[18:19], 0
                                        ; implicit-def: $vgpr4_vgpr5
	s_waitcnt lgkmcnt(0)
	s_add_i32 s2, s2, -1
	s_cmp_eq_u32 s2, s6
	s_cselect_b64 s[2:3], -1, 0
	s_and_b64 s[2:3], vcc, s[2:3]
	s_and_saveexec_b64 s[22:23], s[2:3]
	s_xor_b64 s[2:3], exec, s[22:23]
; %bb.118:
	v_add_co_u32_e32 v4, vcc, v2, v11
	s_mov_b64 s[18:19], exec
	v_mov_b32_e32 v1, 0
	v_addc_co_u32_e32 v5, vcc, 0, v3, vcc
; %bb.119:
	s_or_b64 exec, exec, s[2:3]
	s_and_b64 vcc, exec, s[0:1]
	s_cbranch_vccnz .LBB1653_121
	s_branch .LBB1653_154
.LBB1653_120:
	s_mov_b64 s[18:19], 0
                                        ; implicit-def: $vgpr4_vgpr5
	s_cbranch_execz .LBB1653_154
.LBB1653_121:
	s_add_u32 s0, s12, s7
	s_addc_u32 s1, s13, 0
	global_load_ushort v7, v10, s[0:1] offset:20
	global_load_dwordx4 v[2:5], v10, s[0:1]
	global_load_dword v6, v10, s[0:1] offset:16
	v_mov_b32_e32 v9, 8
	s_mov_b32 s7, 0x3020104
	v_lshlrev_b32_e32 v1, 2, v0
	v_mov_b32_e32 v8, 0
	s_mov_b64 s[0:1], -1
	ds_write2st64_b32 v1, v8, v8 offset1:8
	ds_write2st64_b32 v1, v8, v8 offset0:16 offset1:24
	s_waitcnt vmcnt(2)
	v_lshrrev_b32_sdwa v9, v9, v7 dst_sel:BYTE_1 dst_unused:UNUSED_PAD src0_sel:DWORD src1_sel:DWORD
	v_or_b32_sdwa v7, v7, v9 dst_sel:DWORD dst_unused:UNUSED_PAD src0_sel:BYTE_0 src1_sel:DWORD
	s_and_saveexec_b64 s[2:3], s[0:1]
	s_cbranch_execz .LBB1653_123
; %bb.122:
	ds_write_b32 v1, v8 offset:8192
.LBB1653_123:
	s_or_b64 exec, exec, s[2:3]
	v_and_b32_e32 v7, 0xffff, v7
	s_waitcnt vmcnt(0)
	v_perm_b32 v6, v6, v6, s7
	s_and_saveexec_b64 s[2:3], s[0:1]
	s_cbranch_execz .LBB1653_125
; %bb.124:
	v_mov_b32_e32 v8, 0
	ds_write_b32 v1, v8 offset:10240
.LBB1653_125:
	s_or_b64 exec, exec, s[2:3]
	v_cmp_gt_u32_e64 s[0:1], 7, 6
	v_cmp_gt_u32_e64 s[12:13], 7, 5
	s_and_saveexec_b64 s[2:3], s[12:13]
	s_cbranch_execz .LBB1653_127
; %bb.126:
	v_mov_b32_e32 v8, 0
	ds_write_b32 v1, v8 offset:12288
.LBB1653_127:
	s_or_b64 exec, exec, s[2:3]
	s_and_saveexec_b64 s[2:3], s[0:1]
	s_cbranch_execz .LBB1653_129
; %bb.128:
	v_mov_b32_e32 v8, 0
	ds_write_b32 v1, v8 offset:14336
.LBB1653_129:
	s_or_b64 exec, exec, s[2:3]
	v_xor_b32_e32 v1, 0x7f, v2
	s_lshl_b32 s0, -1, s17
	s_not_b32 s7, s0
	v_lshrrev_b32_sdwa v8, s16, v1 dst_sel:DWORD dst_unused:UNUSED_PAD src0_sel:DWORD src1_sel:BYTE_0
	v_and_b32_e32 v8, s7, v8
	v_lshrrev_b32_e32 v9, 3, v8
	v_lshlrev_b32_e32 v8, 9, v8
	s_movk_i32 s0, 0xe00
	v_and_or_b32 v8, v8, s0, v0
	v_lshlrev_b32_e32 v8, 1, v8
	v_add_lshl_u32 v10, v8, v9, 1
	ds_read_u16 v12, v10
	v_lshrrev_b32_e32 v8, 8, v2
	v_xor_b32_e32 v8, 0x7f, v8
	s_movk_i32 s1, 0x7f
	v_lshrrev_b64 v[18:19], 24, v[2:3]
	s_waitcnt lgkmcnt(0)
	v_add_u16_e32 v9, 1, v12
	ds_write_b16 v10, v9
	v_lshrrev_b32_sdwa v9, s16, v8 dst_sel:DWORD dst_unused:UNUSED_PAD src0_sel:DWORD src1_sel:BYTE_0
	v_and_b32_e32 v9, s7, v9
	v_lshrrev_b32_e32 v11, 3, v9
	v_lshlrev_b32_e32 v9, 9, v9
	v_and_or_b32 v9, v9, s0, v0
	v_lshlrev_b32_e32 v9, 1, v9
	v_add_lshl_u32 v28, v9, v11, 1
	ds_read_u16 v14, v28
	v_xor_b32_sdwa v9, v2, s1 dst_sel:DWORD dst_unused:UNUSED_PAD src0_sel:WORD_1 src1_sel:DWORD
	v_lshrrev_b64 v[34:35], 24, v[4:5]
	v_lshrrev_b64 v[64:65], 24, v[6:7]
	s_waitcnt lgkmcnt(0)
	v_add_u16_e32 v11, 1, v14
	ds_write_b16 v28, v11
	v_lshrrev_b32_sdwa v11, s16, v9 dst_sel:DWORD dst_unused:UNUSED_PAD src0_sel:DWORD src1_sel:BYTE_0
	v_and_b32_e32 v11, s7, v11
	v_lshrrev_b32_e32 v13, 3, v11
	v_lshlrev_b32_e32 v11, 9, v11
	v_and_or_b32 v11, v11, s0, v0
	v_lshlrev_b32_e32 v11, 1, v11
	v_add_lshl_u32 v31, v11, v13, 1
	ds_read_u16 v16, v31
	v_xor_b32_e32 v11, 0x7f, v18
	s_waitcnt lgkmcnt(0)
	v_add_u16_e32 v2, 1, v16
	ds_write_b16 v31, v2
	v_lshrrev_b32_sdwa v2, s16, v11 dst_sel:DWORD dst_unused:UNUSED_PAD src0_sel:DWORD src1_sel:BYTE_0
	v_and_b32_e32 v2, s7, v2
	v_lshrrev_b32_e32 v13, 3, v2
	v_lshlrev_b32_e32 v2, 9, v2
	v_and_or_b32 v2, v2, s0, v0
	v_lshlrev_b32_e32 v2, 1, v2
	v_add_lshl_u32 v2, v2, v13, 1
	ds_read_u16 v18, v2
	v_xor_b32_e32 v13, 0x7f, v3
	s_waitcnt lgkmcnt(0)
	v_add_u16_e32 v15, 1, v18
	ds_write_b16 v2, v15
	v_lshrrev_b32_sdwa v15, s16, v13 dst_sel:DWORD dst_unused:UNUSED_PAD src0_sel:DWORD src1_sel:BYTE_0
	v_and_b32_e32 v15, s7, v15
	v_lshrrev_b32_e32 v17, 3, v15
	v_lshlrev_b32_e32 v15, 9, v15
	v_and_or_b32 v15, v15, s0, v0
	v_lshlrev_b32_e32 v15, 1, v15
	v_add_lshl_u32 v36, v15, v17, 1
	ds_read_u16 v20, v36
	v_lshrrev_b32_e32 v15, 8, v3
	v_xor_b32_e32 v15, 0x7f, v15
	s_waitcnt lgkmcnt(0)
	v_add_u16_e32 v17, 1, v20
	ds_write_b16 v36, v17
	v_lshrrev_b32_sdwa v17, s16, v15 dst_sel:DWORD dst_unused:UNUSED_PAD src0_sel:DWORD src1_sel:BYTE_0
	v_and_b32_e32 v17, s7, v17
	v_lshrrev_b32_e32 v19, 3, v17
	v_lshlrev_b32_e32 v17, 9, v17
	v_and_or_b32 v17, v17, s0, v0
	v_lshlrev_b32_e32 v17, 1, v17
	v_add_lshl_u32 v38, v17, v19, 1
	ds_read_u16 v22, v38
	v_xor_b32_sdwa v17, v3, s1 dst_sel:DWORD dst_unused:UNUSED_PAD src0_sel:WORD_1 src1_sel:DWORD
	s_waitcnt lgkmcnt(0)
	v_add_u16_e32 v19, 1, v22
	ds_write_b16 v38, v19
	v_lshrrev_b32_sdwa v19, s16, v17 dst_sel:DWORD dst_unused:UNUSED_PAD src0_sel:DWORD src1_sel:BYTE_0
	v_and_b32_e32 v19, s7, v19
	v_lshrrev_b32_e32 v21, 3, v19
	v_lshlrev_b32_e32 v19, 9, v19
	v_and_or_b32 v19, v19, s0, v0
	v_lshlrev_b32_e32 v19, 1, v19
	v_add_lshl_u32 v41, v19, v21, 1
	ds_read_u16 v24, v41
	v_xor_b32_sdwa v19, v3, s1 dst_sel:DWORD dst_unused:UNUSED_PAD src0_sel:BYTE_3 src1_sel:DWORD
	s_waitcnt lgkmcnt(0)
	v_add_u16_e32 v3, 1, v24
	ds_write_b16 v41, v3
	v_lshrrev_b32_sdwa v3, s16, v19 dst_sel:DWORD dst_unused:UNUSED_PAD src0_sel:DWORD src1_sel:WORD_0
	v_and_b32_e32 v3, s7, v3
	v_lshrrev_b32_e32 v21, 3, v3
	v_lshlrev_b32_e32 v3, 9, v3
	v_and_or_b32 v3, v3, s0, v0
	v_lshlrev_b32_e32 v3, 1, v3
	v_add_lshl_u32 v3, v3, v21, 1
	ds_read_u16 v26, v3
	v_xor_b32_e32 v21, 0x7f, v4
	s_waitcnt lgkmcnt(0)
	v_add_u16_e32 v23, 1, v26
	ds_write_b16 v3, v23
	v_lshrrev_b32_sdwa v23, s16, v21 dst_sel:DWORD dst_unused:UNUSED_PAD src0_sel:DWORD src1_sel:BYTE_0
	v_and_b32_e32 v23, s7, v23
	v_lshrrev_b32_e32 v25, 3, v23
	v_lshlrev_b32_e32 v23, 9, v23
	v_and_or_b32 v23, v23, s0, v0
	v_lshlrev_b32_e32 v23, 1, v23
	v_add_lshl_u32 v46, v23, v25, 1
	ds_read_u16 v27, v46
	v_lshrrev_b32_e32 v23, 8, v4
	v_xor_b32_e32 v23, 0x7f, v23
	s_waitcnt lgkmcnt(0)
	v_add_u16_e32 v25, 1, v27
	ds_write_b16 v46, v25
	v_lshrrev_b32_sdwa v25, s16, v23 dst_sel:DWORD dst_unused:UNUSED_PAD src0_sel:DWORD src1_sel:BYTE_0
	v_and_b32_e32 v25, s7, v25
	v_lshrrev_b32_e32 v29, 3, v25
	v_lshlrev_b32_e32 v25, 9, v25
	v_and_or_b32 v25, v25, s0, v0
	v_lshlrev_b32_e32 v25, 1, v25
	v_add_lshl_u32 v48, v25, v29, 1
	ds_read_u16 v30, v48
	v_xor_b32_sdwa v25, v4, s1 dst_sel:DWORD dst_unused:UNUSED_PAD src0_sel:WORD_1 src1_sel:DWORD
	v_xor_b32_e32 v4, 0x7f, v34
	s_waitcnt lgkmcnt(0)
	v_add_u16_e32 v29, 1, v30
	ds_write_b16 v48, v29
	v_lshrrev_b32_sdwa v29, s16, v25 dst_sel:DWORD dst_unused:UNUSED_PAD src0_sel:DWORD src1_sel:BYTE_0
	v_and_b32_e32 v29, s7, v29
	v_lshrrev_b32_e32 v32, 3, v29
	v_lshlrev_b32_e32 v29, 9, v29
	v_and_or_b32 v29, v29, s0, v0
	v_lshlrev_b32_e32 v29, 1, v29
	v_add_lshl_u32 v51, v29, v32, 1
	ds_read_u16 v33, v51
	s_waitcnt lgkmcnt(0)
	v_add_u16_e32 v29, 1, v33
	ds_write_b16 v51, v29
	v_lshrrev_b32_sdwa v29, s16, v4 dst_sel:DWORD dst_unused:UNUSED_PAD src0_sel:DWORD src1_sel:BYTE_0
	v_and_b32_e32 v29, s7, v29
	v_lshrrev_b32_e32 v32, 3, v29
	v_lshlrev_b32_e32 v29, 9, v29
	v_and_or_b32 v29, v29, s0, v0
	v_lshlrev_b32_e32 v29, 1, v29
	v_add_lshl_u32 v53, v29, v32, 1
	ds_read_u16 v35, v53
	v_xor_b32_e32 v29, 0x7f, v5
	s_waitcnt lgkmcnt(0)
	v_add_u16_e32 v32, 1, v35
	ds_write_b16 v53, v32
	v_lshrrev_b32_sdwa v32, s16, v29 dst_sel:DWORD dst_unused:UNUSED_PAD src0_sel:DWORD src1_sel:BYTE_0
	v_and_b32_e32 v32, s7, v32
	v_lshrrev_b32_e32 v34, 3, v32
	v_lshlrev_b32_e32 v32, 9, v32
	v_and_or_b32 v32, v32, s0, v0
	v_lshlrev_b32_e32 v32, 1, v32
	v_add_lshl_u32 v55, v32, v34, 1
	ds_read_u16 v37, v55
	v_lshrrev_b32_e32 v32, 8, v5
	v_xor_b32_e32 v32, 0x7f, v32
	s_waitcnt lgkmcnt(0)
	v_add_u16_e32 v34, 1, v37
	ds_write_b16 v55, v34
	v_lshrrev_b32_sdwa v34, s16, v32 dst_sel:DWORD dst_unused:UNUSED_PAD src0_sel:DWORD src1_sel:BYTE_0
	v_and_b32_e32 v34, s7, v34
	v_lshrrev_b32_e32 v39, 3, v34
	v_lshlrev_b32_e32 v34, 9, v34
	v_and_or_b32 v34, v34, s0, v0
	v_lshlrev_b32_e32 v34, 1, v34
	v_add_lshl_u32 v57, v34, v39, 1
	ds_read_u16 v40, v57
	v_xor_b32_sdwa v34, v5, s1 dst_sel:DWORD dst_unused:UNUSED_PAD src0_sel:WORD_1 src1_sel:DWORD
	v_xor_b32_sdwa v5, v5, s1 dst_sel:DWORD dst_unused:UNUSED_PAD src0_sel:BYTE_3 src1_sel:DWORD
	s_waitcnt lgkmcnt(0)
	v_add_u16_e32 v39, 1, v40
	ds_write_b16 v57, v39
	v_lshrrev_b32_sdwa v39, s16, v34 dst_sel:DWORD dst_unused:UNUSED_PAD src0_sel:DWORD src1_sel:BYTE_0
	v_and_b32_e32 v39, s7, v39
	v_lshrrev_b32_e32 v42, 3, v39
	v_lshlrev_b32_e32 v39, 9, v39
	v_and_or_b32 v39, v39, s0, v0
	v_lshlrev_b32_e32 v39, 1, v39
	v_add_lshl_u32 v59, v39, v42, 1
	ds_read_u16 v43, v59
	s_waitcnt lgkmcnt(0)
	v_add_u16_e32 v39, 1, v43
	ds_write_b16 v59, v39
	v_lshrrev_b32_sdwa v39, s16, v5 dst_sel:DWORD dst_unused:UNUSED_PAD src0_sel:DWORD src1_sel:WORD_0
	v_and_b32_e32 v39, s7, v39
	v_lshrrev_b32_e32 v42, 3, v39
	v_lshlrev_b32_e32 v39, 9, v39
	v_and_or_b32 v39, v39, s0, v0
	v_lshlrev_b32_e32 v39, 1, v39
	v_add_lshl_u32 v60, v39, v42, 1
	ds_read_u16 v45, v60
	v_xor_b32_e32 v39, 0x7f, v6
	s_waitcnt lgkmcnt(0)
	v_add_u16_e32 v42, 1, v45
	ds_write_b16 v60, v42
	v_lshrrev_b32_sdwa v42, s16, v39 dst_sel:DWORD dst_unused:UNUSED_PAD src0_sel:DWORD src1_sel:BYTE_0
	v_and_b32_e32 v42, s7, v42
	v_lshrrev_b32_e32 v44, 3, v42
	v_lshlrev_b32_e32 v42, 9, v42
	v_and_or_b32 v42, v42, s0, v0
	v_lshlrev_b32_e32 v42, 1, v42
	v_add_lshl_u32 v61, v42, v44, 1
	ds_read_u16 v47, v61
	v_lshrrev_b32_e32 v42, 8, v6
	v_xor_b32_e32 v42, 0x7f, v42
	s_waitcnt lgkmcnt(0)
	v_add_u16_e32 v44, 1, v47
	ds_write_b16 v61, v44
	v_lshrrev_b32_sdwa v44, s16, v42 dst_sel:DWORD dst_unused:UNUSED_PAD src0_sel:DWORD src1_sel:BYTE_0
	v_and_b32_e32 v44, s7, v44
	v_lshrrev_b32_e32 v49, 3, v44
	v_lshlrev_b32_e32 v44, 9, v44
	v_and_or_b32 v44, v44, s0, v0
	v_lshlrev_b32_e32 v44, 1, v44
	v_add_lshl_u32 v62, v44, v49, 1
	ds_read_u16 v50, v62
	v_xor_b32_sdwa v44, v6, s1 dst_sel:DWORD dst_unused:UNUSED_PAD src0_sel:WORD_1 src1_sel:DWORD
	v_xor_b32_e32 v6, 0x7f, v64
	s_waitcnt lgkmcnt(0)
	v_add_u16_e32 v49, 1, v50
	ds_write_b16 v62, v49
	v_lshrrev_b32_sdwa v49, s16, v44 dst_sel:DWORD dst_unused:UNUSED_PAD src0_sel:DWORD src1_sel:BYTE_0
	v_and_b32_e32 v49, s7, v49
	v_lshrrev_b32_e32 v52, 3, v49
	v_lshlrev_b32_e32 v49, 9, v49
	v_and_or_b32 v49, v49, s0, v0
	v_lshlrev_b32_e32 v49, 1, v49
	v_add_lshl_u32 v63, v49, v52, 1
	ds_read_u16 v52, v63
	s_waitcnt lgkmcnt(0)
	v_add_u16_e32 v49, 1, v52
	ds_write_b16 v63, v49
	v_lshrrev_b32_sdwa v49, s16, v6 dst_sel:DWORD dst_unused:UNUSED_PAD src0_sel:DWORD src1_sel:BYTE_0
	v_and_b32_e32 v49, s7, v49
	v_lshrrev_b32_e32 v54, 3, v49
	v_lshlrev_b32_e32 v49, 9, v49
	v_and_or_b32 v49, v49, s0, v0
	v_lshlrev_b32_e32 v49, 1, v49
	v_add_lshl_u32 v64, v49, v54, 1
	ds_read_u16 v54, v64
	v_xor_b32_e32 v49, 0x7f, v7
	v_lshrrev_b32_e32 v7, 8, v7
	v_xor_b32_e32 v7, 0x7f, v7
	s_waitcnt lgkmcnt(0)
	v_add_u16_e32 v56, 1, v54
	ds_write_b16 v64, v56
	v_lshrrev_b32_sdwa v56, s16, v49 dst_sel:DWORD dst_unused:UNUSED_PAD src0_sel:DWORD src1_sel:BYTE_0
	v_and_b32_e32 v56, s7, v56
	v_lshrrev_b32_e32 v58, 3, v56
	v_lshlrev_b32_e32 v56, 9, v56
	v_and_or_b32 v56, v56, s0, v0
	v_lshlrev_b32_e32 v56, 1, v56
	v_add_lshl_u32 v65, v56, v58, 1
	ds_read_u16 v56, v65
	s_waitcnt lgkmcnt(0)
	v_add_u16_e32 v58, 1, v56
	ds_write_b16 v65, v58
	v_lshrrev_b32_sdwa v58, s16, v7 dst_sel:DWORD dst_unused:UNUSED_PAD src0_sel:DWORD src1_sel:BYTE_0
	v_and_b32_e32 v58, s7, v58
	v_lshrrev_b32_e32 v66, 3, v58
	v_lshlrev_b32_e32 v58, 9, v58
	v_and_or_b32 v58, v58, s0, v0
	v_lshlrev_b32_e32 v58, 1, v58
	v_add_lshl_u32 v66, v58, v66, 1
	ds_read_u16 v58, v66
	s_waitcnt lgkmcnt(0)
	v_add_u16_e32 v67, 1, v58
	ds_write_b16 v66, v67
	v_lshlrev_b32_e32 v67, 5, v0
	s_waitcnt lgkmcnt(0)
	s_barrier
	ds_read2_b64 v[68:71], v67 offset1:1
	ds_read2_b64 v[72:75], v67 offset0:2 offset1:3
	s_waitcnt lgkmcnt(1)
	v_add_u32_e32 v68, v69, v68
	v_add3_u32 v68, v68, v70, v71
	s_waitcnt lgkmcnt(0)
	v_add3_u32 v68, v68, v72, v73
	v_add3_u32 v69, v68, v74, v75
	v_mbcnt_lo_u32_b32 v68, -1, 0
	v_mbcnt_hi_u32_b32 v68, -1, v68
	v_and_b32_e32 v70, 15, v68
	v_mov_b32_dpp v71, v69 row_shr:1 row_mask:0xf bank_mask:0xf
	v_cmp_ne_u32_e32 vcc, 0, v70
	v_cndmask_b32_e32 v71, 0, v71, vcc
	v_add_u32_e32 v69, v71, v69
	v_cmp_lt_u32_e32 vcc, 1, v70
	s_nop 0
	v_mov_b32_dpp v71, v69 row_shr:2 row_mask:0xf bank_mask:0xf
	v_cndmask_b32_e32 v71, 0, v71, vcc
	v_add_u32_e32 v69, v69, v71
	v_cmp_lt_u32_e32 vcc, 3, v70
	s_nop 0
	v_mov_b32_dpp v71, v69 row_shr:4 row_mask:0xf bank_mask:0xf
	v_cndmask_b32_e32 v71, 0, v71, vcc
	v_add_u32_e32 v69, v69, v71
	v_cmp_lt_u32_e32 vcc, 7, v70
	s_nop 0
	v_mov_b32_dpp v71, v69 row_shr:8 row_mask:0xf bank_mask:0xf
	v_cndmask_b32_e32 v70, 0, v71, vcc
	v_add_u32_e32 v69, v69, v70
	v_bfe_i32 v71, v68, 4, 1
	v_cmp_lt_u32_e32 vcc, 31, v68
	v_mov_b32_dpp v70, v69 row_bcast:15 row_mask:0xf bank_mask:0xf
	v_and_b32_e32 v70, v71, v70
	v_add_u32_e32 v69, v69, v70
	v_or_b32_e32 v71, 63, v0
	s_nop 0
	v_mov_b32_dpp v70, v69 row_bcast:31 row_mask:0xf bank_mask:0xf
	v_cndmask_b32_e32 v70, 0, v70, vcc
	v_add_u32_e32 v69, v69, v70
	v_lshrrev_b32_e32 v70, 6, v0
	v_cmp_eq_u32_e32 vcc, v71, v0
	v_lshlrev_b32_e32 v70, 2, v70
	s_and_saveexec_b64 s[0:1], vcc
	s_cbranch_execz .LBB1653_131
; %bb.130:
	ds_write_b32 v70, v69 offset:16384
.LBB1653_131:
	s_or_b64 exec, exec, s[0:1]
	v_cmp_gt_u32_e32 vcc, 8, v0
	s_waitcnt lgkmcnt(0)
	s_barrier
	s_and_saveexec_b64 s[0:1], vcc
	s_cbranch_execz .LBB1653_133
; %bb.132:
	s_movk_i32 s2, 0xffe4
	v_mad_i32_i24 v71, v0, s2, v67
	ds_read_b32 v72, v71 offset:16384
	v_and_b32_e32 v73, 7, v68
	v_cmp_ne_u32_e32 vcc, 0, v73
	s_waitcnt lgkmcnt(0)
	v_mov_b32_dpp v74, v72 row_shr:1 row_mask:0xf bank_mask:0xf
	v_cndmask_b32_e32 v74, 0, v74, vcc
	v_add_u32_e32 v72, v74, v72
	v_cmp_lt_u32_e32 vcc, 1, v73
	s_nop 0
	v_mov_b32_dpp v74, v72 row_shr:2 row_mask:0xf bank_mask:0xf
	v_cndmask_b32_e32 v74, 0, v74, vcc
	v_add_u32_e32 v72, v72, v74
	v_cmp_lt_u32_e32 vcc, 3, v73
	s_nop 0
	v_mov_b32_dpp v74, v72 row_shr:4 row_mask:0xf bank_mask:0xf
	v_cndmask_b32_e32 v73, 0, v74, vcc
	v_add_u32_e32 v72, v72, v73
	ds_write_b32 v71, v72 offset:16384
.LBB1653_133:
	s_or_b64 exec, exec, s[0:1]
	v_cmp_lt_u32_e32 vcc, 63, v0
	v_mov_b32_e32 v72, 0
	v_mov_b32_e32 v71, 0
	s_waitcnt lgkmcnt(0)
	s_barrier
	s_and_saveexec_b64 s[0:1], vcc
	s_cbranch_execz .LBB1653_135
; %bb.134:
	ds_read_b32 v71, v70 offset:16380
.LBB1653_135:
	s_or_b64 exec, exec, s[0:1]
	v_add_u32_e32 v70, -1, v68
	v_and_b32_e32 v73, 64, v68
	v_cmp_lt_i32_e32 vcc, v70, v73
	v_cndmask_b32_e32 v70, v70, v68, vcc
	s_waitcnt lgkmcnt(0)
	v_add_u32_e32 v69, v71, v69
	v_lshlrev_b32_e32 v70, 2, v70
	ds_bpermute_b32 v69, v70, v69
	ds_read_b32 v70, v72 offset:16412
	ds_read2_b64 v[72:75], v67 offset1:1
	v_cmp_eq_u32_e32 vcc, 0, v68
	ds_read_b32 v76, v67 offset:24
	v_cmp_lt_u32_e64 s[0:1], 15, v0
	s_waitcnt lgkmcnt(3)
	v_cndmask_b32_e32 v68, v69, v71, vcc
	s_waitcnt lgkmcnt(2)
	v_lshl_add_u32 v68, v70, 16, v68
	ds_read_b64 v[70:71], v67 offset:16
	s_waitcnt lgkmcnt(2)
	v_add_u32_e32 v69, v68, v72
	v_add_u32_e32 v72, v73, v69
	;; [unrolled: 1-line block ×3, first 2 shown]
	ds_write2_b64 v67, v[68:69], v[72:73] offset1:1
	v_add_u32_e32 v68, v75, v73
	s_waitcnt lgkmcnt(1)
	v_add_u32_e32 v69, v70, v68
	v_add_u32_e32 v70, v71, v69
	v_add_u32_e32 v71, v76, v70
	ds_write2_b64 v67, v[68:69], v[70:71] offset0:2 offset1:3
	s_waitcnt lgkmcnt(0)
	s_barrier
	ds_read_u16 v67, v10
	ds_read_u16 v28, v28
	;; [unrolled: 1-line block ×22, first 2 shown]
	v_cmp_gt_u32_e32 vcc, 16, v0
	v_pk_mov_b32 v[2:3], 0, 0
                                        ; implicit-def: $vgpr10
	s_and_saveexec_b64 s[12:13], vcc
	s_cbranch_execz .LBB1653_139
; %bb.136:
	v_lshrrev_b32_e32 v2, 3, v0
	v_lshlrev_b32_e32 v3, 10, v0
	s_movk_i32 s17, 0x1c00
	v_and_or_b32 v2, v3, s17, v2
	v_lshlrev_b32_e32 v2, 1, v2
	ds_read_u16 v2, v2
	v_add_u32_e32 v10, 1, v0
	v_cmp_ne_u32_e64 s[2:3], 16, v10
	v_mov_b32_e32 v3, 0x2c00
	s_and_saveexec_b64 s[22:23], s[2:3]
	s_cbranch_execz .LBB1653_138
; %bb.137:
	v_lshlrev_b32_e32 v3, 10, v10
	v_lshrrev_b32_e32 v10, 3, v10
	v_and_or_b32 v3, v3, s17, v10
	v_lshlrev_b32_e32 v3, 1, v3
	ds_read_u16 v3, v3
.LBB1653_138:
	s_or_b64 exec, exec, s[22:23]
	s_waitcnt lgkmcnt(0)
	v_and_b32_e32 v2, 0xffff, v2
	s_mov_b32 s2, 0
	v_sub_u32_e32 v10, v3, v2
	v_mov_b32_e32 v3, s2
.LBB1653_139:
	s_or_b64 exec, exec, s[12:13]
	s_waitcnt lgkmcnt(14)
	v_add_u32_sdwa v12, v67, v12 dst_sel:DWORD dst_unused:UNUSED_PAD src0_sel:WORD_0 src1_sel:WORD_0
	v_add_u32_sdwa v14, v28, v14 dst_sel:DWORD dst_unused:UNUSED_PAD src0_sel:WORD_0 src1_sel:WORD_0
	;; [unrolled: 1-line block ×8, first 2 shown]
	s_waitcnt lgkmcnt(13)
	v_add_u32_sdwa v27, v46, v27 dst_sel:DWORD dst_unused:UNUSED_PAD src0_sel:WORD_0 src1_sel:WORD_0
	s_waitcnt lgkmcnt(12)
	v_add_u32_sdwa v28, v48, v30 dst_sel:DWORD dst_unused:UNUSED_PAD src0_sel:WORD_0 src1_sel:WORD_0
	;; [unrolled: 2-line block ×14, first 2 shown]
	s_barrier
	ds_write_b8 v12, v1 offset:128
	ds_write_b8 v14, v8 offset:128
	;; [unrolled: 1-line block ×22, first 2 shown]
	s_and_saveexec_b64 s[2:3], s[0:1]
	s_xor_b64 s[0:1], exec, s[2:3]
; %bb.140:
	v_mov_b32_e32 v1, 0
; %bb.141:
	s_andn2_saveexec_b64 s[2:3], s[0:1]
	s_cbranch_execz .LBB1653_151
; %bb.142:
	v_lshl_or_b32 v4, s6, 4, v0
	v_mov_b32_e32 v5, 0
	v_lshlrev_b64 v[6:7], 2, v[4:5]
	v_mov_b32_e32 v1, s21
	v_add_co_u32_e64 v6, s[0:1], s20, v6
	v_addc_co_u32_e64 v7, s[0:1], v1, v7, s[0:1]
	v_or_b32_e32 v4, 2.0, v10
	s_mov_b64 s[12:13], 0
	s_brev_b32 s17, 1
	s_mov_b32 s21, s6
	v_mov_b32_e32 v11, 0
	global_store_dword v[6:7], v4, off
                                        ; implicit-def: $sgpr0_sgpr1
	s_branch .LBB1653_145
.LBB1653_143:                           ;   in Loop: Header=BB1653_145 Depth=1
	s_or_b64 exec, exec, s[24:25]
.LBB1653_144:                           ;   in Loop: Header=BB1653_145 Depth=1
	s_or_b64 exec, exec, s[22:23]
	v_and_b32_e32 v8, 0x3fffffff, v12
	v_add_u32_e32 v11, v8, v11
	v_cmp_eq_u32_e64 s[0:1], s17, v4
	s_and_b64 s[22:23], exec, s[0:1]
	s_or_b64 s[12:13], s[22:23], s[12:13]
	s_andn2_b64 exec, exec, s[12:13]
	s_cbranch_execz .LBB1653_150
.LBB1653_145:                           ; =>This Loop Header: Depth=1
                                        ;     Child Loop BB1653_148 Depth 2
	s_or_b64 s[0:1], s[0:1], exec
	s_cmp_eq_u32 s21, 0
	s_cbranch_scc1 .LBB1653_149
; %bb.146:                              ;   in Loop: Header=BB1653_145 Depth=1
	s_add_i32 s21, s21, -1
	v_lshl_or_b32 v4, s21, 4, v0
	v_lshlrev_b64 v[8:9], 2, v[4:5]
	v_add_co_u32_e64 v8, s[0:1], s20, v8
	v_addc_co_u32_e64 v9, s[0:1], v1, v9, s[0:1]
	global_load_dword v12, v[8:9], off glc
	s_waitcnt vmcnt(0)
	v_and_b32_e32 v4, -2.0, v12
	v_cmp_eq_u32_e64 s[0:1], 0, v4
	s_and_saveexec_b64 s[22:23], s[0:1]
	s_cbranch_execz .LBB1653_144
; %bb.147:                              ;   in Loop: Header=BB1653_145 Depth=1
	s_mov_b64 s[24:25], 0
.LBB1653_148:                           ;   Parent Loop BB1653_145 Depth=1
                                        ; =>  This Inner Loop Header: Depth=2
	global_load_dword v12, v[8:9], off glc
	s_waitcnt vmcnt(0)
	v_and_b32_e32 v4, -2.0, v12
	v_cmp_ne_u32_e64 s[0:1], 0, v4
	s_or_b64 s[24:25], s[0:1], s[24:25]
	s_andn2_b64 exec, exec, s[24:25]
	s_cbranch_execnz .LBB1653_148
	s_branch .LBB1653_143
.LBB1653_149:                           ;   in Loop: Header=BB1653_145 Depth=1
                                        ; implicit-def: $sgpr21
	s_and_b64 s[22:23], exec, s[0:1]
	s_or_b64 s[12:13], s[22:23], s[12:13]
	s_andn2_b64 exec, exec, s[12:13]
	s_cbranch_execnz .LBB1653_145
.LBB1653_150:
	s_or_b64 exec, exec, s[12:13]
	v_add_u32_e32 v1, v11, v10
	v_or_b32_e32 v1, 0x80000000, v1
	global_store_dword v[6:7], v1, off
	v_lshlrev_b32_e32 v6, 3, v0
	global_load_dwordx2 v[4:5], v6, s[8:9]
	v_sub_co_u32_e64 v7, s[0:1], v11, v2
	v_subb_co_u32_e64 v8, s[0:1], 0, v3, s[0:1]
	v_mov_b32_e32 v1, 0
	s_waitcnt vmcnt(0)
	v_add_co_u32_e64 v4, s[0:1], v7, v4
	v_addc_co_u32_e64 v5, s[0:1], v8, v5, s[0:1]
	ds_write_b64 v6, v[4:5]
.LBB1653_151:
	s_or_b64 exec, exec, s[2:3]
	s_waitcnt lgkmcnt(0)
	s_barrier
	ds_read_u8 v11, v0 offset:10368
	ds_read_u8 v18, v0 offset:9344
	;; [unrolled: 1-line block ×5, first 2 shown]
	s_waitcnt lgkmcnt(4)
	v_lshrrev_b32_sdwa v4, s16, v11 dst_sel:DWORD dst_unused:UNUSED_PAD src0_sel:DWORD src1_sel:BYTE_0
	v_and_b32_e32 v4, s7, v4
	v_lshlrev_b32_e32 v4, 3, v4
	ds_read_b64 v[6:7], v4
	ds_read_u8 v8, v0 offset:128
	s_waitcnt lgkmcnt(2)
	v_lshrrev_b32_sdwa v4, s16, v21 dst_sel:DWORD dst_unused:UNUSED_PAD src0_sel:DWORD src1_sel:BYTE_0
	v_and_b32_e32 v4, s7, v4
	v_lshlrev_b32_e32 v4, 3, v4
	ds_read_b64 v[4:5], v4
	s_waitcnt lgkmcnt(1)
	v_lshrrev_b32_sdwa v9, s16, v8 dst_sel:DWORD dst_unused:UNUSED_PAD src0_sel:DWORD src1_sel:BYTE_0
	v_and_b32_e32 v9, s7, v9
	v_xor_b32_e32 v22, 0x7f, v8
	v_lshlrev_b32_e32 v8, 3, v9
	v_lshrrev_b32_sdwa v9, s16, v20 dst_sel:DWORD dst_unused:UNUSED_PAD src0_sel:DWORD src1_sel:BYTE_0
	v_and_b32_e32 v9, s7, v9
	v_lshlrev_b32_e32 v12, 3, v9
	ds_read_u8 v24, v0 offset:1152
	ds_read_u8 v25, v0 offset:1664
	;; [unrolled: 1-line block ×8, first 2 shown]
	s_waitcnt lgkmcnt(7)
	v_lshrrev_b32_sdwa v9, s16, v24 dst_sel:DWORD dst_unused:UNUSED_PAD src0_sel:DWORD src1_sel:BYTE_0
	v_and_b32_e32 v9, s7, v9
	v_lshlrev_b32_e32 v14, 3, v9
	s_waitcnt lgkmcnt(6)
	v_lshrrev_b32_sdwa v9, s16, v25 dst_sel:DWORD dst_unused:UNUSED_PAD src0_sel:DWORD src1_sel:BYTE_0
	v_and_b32_e32 v9, s7, v9
	v_lshlrev_b32_e32 v16, 3, v9
	ds_read_b64 v[8:9], v8
	ds_read_b64 v[12:13], v12
	;; [unrolled: 1-line block ×4, first 2 shown]
	v_mov_b32_e32 v23, s15
	s_waitcnt lgkmcnt(3)
	v_add_co_u32_e64 v8, s[0:1], s14, v8
	v_addc_co_u32_e64 v9, s[0:1], v23, v9, s[0:1]
	v_add_co_u32_e64 v8, s[0:1], v8, v0
	v_addc_co_u32_e64 v9, s[0:1], v9, v1, s[0:1]
	global_store_byte v[8:9], v22, off
	v_mov_b32_e32 v8, s15
	s_waitcnt lgkmcnt(2)
	v_add_co_u32_e64 v9, s[0:1], s14, v12
	v_addc_co_u32_e64 v12, s[0:1], v8, v13, s[0:1]
	v_add_co_u32_e64 v8, s[0:1], v9, v0
	v_xor_b32_e32 v20, 0x7f, v20
	v_addc_co_u32_e64 v9, s[0:1], v12, v1, s[0:1]
	global_store_byte v[8:9], v20, off offset:512
	v_mov_b32_e32 v8, s15
	s_waitcnt lgkmcnt(1)
	v_add_co_u32_e64 v9, s[0:1], s14, v14
	v_addc_co_u32_e64 v13, s[0:1], v8, v15, s[0:1]
	v_add_co_u32_e64 v8, s[0:1], v9, v0
	v_xor_b32_e32 v12, 0x7f, v24
	v_addc_co_u32_e64 v9, s[0:1], v13, v1, s[0:1]
	global_store_byte v[8:9], v12, off offset:1024
	;; [unrolled: 8-line block ×3, first 2 shown]
	v_lshrrev_b32_sdwa v9, s16, v27 dst_sel:DWORD dst_unused:UNUSED_PAD src0_sel:DWORD src1_sel:BYTE_0
	v_and_b32_e32 v9, s7, v9
	v_lshlrev_b32_e32 v12, 3, v9
	v_lshrrev_b32_sdwa v9, s16, v28 dst_sel:DWORD dst_unused:UNUSED_PAD src0_sel:DWORD src1_sel:BYTE_0
	v_and_b32_e32 v9, s7, v9
	v_lshrrev_b32_sdwa v8, s16, v26 dst_sel:DWORD dst_unused:UNUSED_PAD src0_sel:DWORD src1_sel:BYTE_0
	v_lshlrev_b32_e32 v14, 3, v9
	v_lshrrev_b32_sdwa v9, s16, v29 dst_sel:DWORD dst_unused:UNUSED_PAD src0_sel:DWORD src1_sel:BYTE_0
	v_and_b32_e32 v8, s7, v8
	v_and_b32_e32 v9, s7, v9
	v_lshlrev_b32_e32 v8, 3, v8
	v_lshlrev_b32_e32 v16, 3, v9
	ds_read_b64 v[8:9], v8
	ds_read_b64 v[12:13], v12
	;; [unrolled: 1-line block ×4, first 2 shown]
	v_mov_b32_e32 v22, s15
	s_waitcnt lgkmcnt(3)
	v_add_co_u32_e64 v8, s[0:1], s14, v8
	v_addc_co_u32_e64 v9, s[0:1], v22, v9, s[0:1]
	v_add_co_u32_e64 v8, s[0:1], v8, v0
	v_xor_b32_e32 v20, 0x7f, v26
	v_addc_co_u32_e64 v9, s[0:1], v9, v1, s[0:1]
	global_store_byte v[8:9], v20, off offset:2048
	v_mov_b32_e32 v8, s15
	s_waitcnt lgkmcnt(2)
	v_add_co_u32_e64 v9, s[0:1], s14, v12
	v_addc_co_u32_e64 v12, s[0:1], v8, v13, s[0:1]
	v_add_co_u32_e64 v8, s[0:1], v9, v0
	v_xor_b32_e32 v20, 0x7f, v27
	v_addc_co_u32_e64 v9, s[0:1], v12, v1, s[0:1]
	global_store_byte v[8:9], v20, off offset:2560
	;; [unrolled: 8-line block ×4, first 2 shown]
	v_lshrrev_b32_sdwa v9, s16, v31 dst_sel:DWORD dst_unused:UNUSED_PAD src0_sel:DWORD src1_sel:BYTE_0
	v_and_b32_e32 v9, s7, v9
	v_lshrrev_b32_sdwa v8, s16, v30 dst_sel:DWORD dst_unused:UNUSED_PAD src0_sel:DWORD src1_sel:BYTE_0
	v_xor_b32_e32 v22, 0x7f, v30
	v_lshlrev_b32_e32 v12, 3, v9
	ds_read_u8 v24, v0 offset:5248
	ds_read_u8 v25, v0 offset:5760
	;; [unrolled: 1-line block ×8, first 2 shown]
	s_waitcnt lgkmcnt(7)
	v_lshrrev_b32_sdwa v9, s16, v24 dst_sel:DWORD dst_unused:UNUSED_PAD src0_sel:DWORD src1_sel:BYTE_0
	v_and_b32_e32 v9, s7, v9
	v_lshlrev_b32_e32 v14, 3, v9
	s_waitcnt lgkmcnt(6)
	v_lshrrev_b32_sdwa v9, s16, v25 dst_sel:DWORD dst_unused:UNUSED_PAD src0_sel:DWORD src1_sel:BYTE_0
	v_and_b32_e32 v8, s7, v8
	v_and_b32_e32 v9, s7, v9
	v_lshlrev_b32_e32 v8, 3, v8
	v_lshlrev_b32_e32 v16, 3, v9
	ds_read_b64 v[8:9], v8
	ds_read_b64 v[12:13], v12
	;; [unrolled: 1-line block ×4, first 2 shown]
	v_or_b32_e32 v20, 0x1000, v0
	s_waitcnt lgkmcnt(3)
	v_add_co_u32_e64 v8, s[0:1], s14, v8
	v_addc_co_u32_e64 v9, s[0:1], v23, v9, s[0:1]
	v_add_co_u32_e64 v8, s[0:1], v8, v20
	v_addc_co_u32_e64 v9, s[0:1], 0, v9, s[0:1]
	global_store_byte v[8:9], v22, off
	v_mov_b32_e32 v9, s15
	s_waitcnt lgkmcnt(2)
	v_add_co_u32_e64 v12, s[0:1], s14, v12
	v_or_b32_e32 v8, 0x1200, v0
	v_addc_co_u32_e64 v9, s[0:1], v9, v13, s[0:1]
	v_add_co_u32_e64 v8, s[0:1], v12, v8
	v_xor_b32_e32 v20, 0x7f, v31
	v_addc_co_u32_e64 v9, s[0:1], 0, v9, s[0:1]
	global_store_byte v[8:9], v20, off
	v_mov_b32_e32 v9, s15
	s_waitcnt lgkmcnt(1)
	v_add_co_u32_e64 v13, s[0:1], s14, v14
	v_or_b32_e32 v8, 0x1400, v0
	v_addc_co_u32_e64 v9, s[0:1], v9, v15, s[0:1]
	v_add_co_u32_e64 v8, s[0:1], v13, v8
	v_xor_b32_e32 v12, 0x7f, v24
	;; [unrolled: 9-line block ×3, first 2 shown]
	v_addc_co_u32_e64 v9, s[0:1], 0, v9, s[0:1]
	global_store_byte v[8:9], v12, off
	v_lshrrev_b32_sdwa v9, s16, v27 dst_sel:DWORD dst_unused:UNUSED_PAD src0_sel:DWORD src1_sel:BYTE_0
	v_and_b32_e32 v9, s7, v9
	v_lshlrev_b32_e32 v12, 3, v9
	v_lshrrev_b32_sdwa v9, s16, v28 dst_sel:DWORD dst_unused:UNUSED_PAD src0_sel:DWORD src1_sel:BYTE_0
	v_and_b32_e32 v9, s7, v9
	v_lshrrev_b32_sdwa v8, s16, v26 dst_sel:DWORD dst_unused:UNUSED_PAD src0_sel:DWORD src1_sel:BYTE_0
	v_lshlrev_b32_e32 v14, 3, v9
	v_lshrrev_b32_sdwa v9, s16, v29 dst_sel:DWORD dst_unused:UNUSED_PAD src0_sel:DWORD src1_sel:BYTE_0
	v_and_b32_e32 v8, s7, v8
	v_and_b32_e32 v9, s7, v9
	v_lshlrev_b32_e32 v8, 3, v8
	v_lshlrev_b32_e32 v16, 3, v9
	ds_read_b64 v[8:9], v8
	ds_read_b64 v[12:13], v12
	;; [unrolled: 1-line block ×4, first 2 shown]
	v_or_b32_e32 v20, 0x1800, v0
	s_waitcnt lgkmcnt(3)
	v_add_co_u32_e64 v8, s[0:1], s14, v8
	v_addc_co_u32_e64 v9, s[0:1], v23, v9, s[0:1]
	v_add_co_u32_e64 v8, s[0:1], v8, v20
	v_xor_b32_e32 v22, 0x7f, v26
	v_addc_co_u32_e64 v9, s[0:1], 0, v9, s[0:1]
	global_store_byte v[8:9], v22, off
	v_mov_b32_e32 v9, s15
	s_waitcnt lgkmcnt(2)
	v_add_co_u32_e64 v12, s[0:1], s14, v12
	v_or_b32_e32 v8, 0x1a00, v0
	v_addc_co_u32_e64 v9, s[0:1], v9, v13, s[0:1]
	v_add_co_u32_e64 v8, s[0:1], v12, v8
	v_xor_b32_e32 v20, 0x7f, v27
	v_addc_co_u32_e64 v9, s[0:1], 0, v9, s[0:1]
	global_store_byte v[8:9], v20, off
	v_mov_b32_e32 v9, s15
	s_waitcnt lgkmcnt(1)
	v_add_co_u32_e64 v13, s[0:1], s14, v14
	v_or_b32_e32 v8, 0x1c00, v0
	;; [unrolled: 9-line block ×3, first 2 shown]
	v_addc_co_u32_e64 v9, s[0:1], v9, v17, s[0:1]
	v_add_co_u32_e64 v8, s[0:1], v13, v8
	v_xor_b32_e32 v12, 0x7f, v29
	v_addc_co_u32_e64 v9, s[0:1], 0, v9, s[0:1]
	global_store_byte v[8:9], v12, off
	v_lshrrev_b32_sdwa v9, s16, v32 dst_sel:DWORD dst_unused:UNUSED_PAD src0_sel:DWORD src1_sel:BYTE_0
	v_and_b32_e32 v9, s7, v9
	v_lshlrev_b32_e32 v12, 3, v9
	v_lshrrev_b32_sdwa v9, s16, v18 dst_sel:DWORD dst_unused:UNUSED_PAD src0_sel:DWORD src1_sel:BYTE_0
	v_and_b32_e32 v9, s7, v9
	v_lshrrev_b32_sdwa v8, s16, v30 dst_sel:DWORD dst_unused:UNUSED_PAD src0_sel:DWORD src1_sel:BYTE_0
	v_lshlrev_b32_e32 v14, 3, v9
	v_lshrrev_b32_sdwa v9, s16, v19 dst_sel:DWORD dst_unused:UNUSED_PAD src0_sel:DWORD src1_sel:BYTE_0
	v_and_b32_e32 v8, s7, v8
	v_and_b32_e32 v9, s7, v9
	v_lshlrev_b32_e32 v8, 3, v8
	v_lshlrev_b32_e32 v16, 3, v9
	ds_read_b64 v[8:9], v8
	ds_read_b64 v[12:13], v12
	ds_read_b64 v[14:15], v14
	ds_read_b64 v[16:17], v16
	v_or_b32_e32 v20, 0x2000, v0
	s_waitcnt lgkmcnt(3)
	v_add_co_u32_e64 v8, s[0:1], s14, v8
	v_addc_co_u32_e64 v9, s[0:1], v23, v9, s[0:1]
	v_add_co_u32_e64 v8, s[0:1], v8, v20
	v_xor_b32_e32 v22, 0x7f, v30
	v_addc_co_u32_e64 v9, s[0:1], 0, v9, s[0:1]
	global_store_byte v[8:9], v22, off
	v_mov_b32_e32 v9, s15
	s_waitcnt lgkmcnt(2)
	v_add_co_u32_e64 v12, s[0:1], s14, v12
	v_or_b32_e32 v8, 0x2200, v0
	v_addc_co_u32_e64 v9, s[0:1], v9, v13, s[0:1]
	v_add_co_u32_e64 v8, s[0:1], v12, v8
	v_xor_b32_e32 v20, 0x7f, v32
	v_addc_co_u32_e64 v9, s[0:1], 0, v9, s[0:1]
	global_store_byte v[8:9], v20, off
	v_mov_b32_e32 v9, s15
	s_waitcnt lgkmcnt(1)
	v_add_co_u32_e64 v13, s[0:1], s14, v14
	v_or_b32_e32 v8, 0x2400, v0
	;; [unrolled: 9-line block ×3, first 2 shown]
	v_addc_co_u32_e64 v9, s[0:1], v9, v17, s[0:1]
	v_add_co_u32_e64 v8, s[0:1], v13, v8
	v_xor_b32_e32 v12, 0x7f, v19
	v_addc_co_u32_e64 v9, s[0:1], 0, v9, s[0:1]
	global_store_byte v[8:9], v12, off
	v_xor_b32_e32 v9, 0x7f, v11
	v_mov_b32_e32 v11, s15
	v_add_co_u32_e64 v6, s[0:1], s14, v6
	v_or_b32_e32 v8, 0x2800, v0
	v_addc_co_u32_e64 v7, s[0:1], v11, v7, s[0:1]
	v_add_co_u32_e64 v6, s[0:1], v6, v8
	v_addc_co_u32_e64 v7, s[0:1], 0, v7, s[0:1]
	v_mov_b32_e32 v8, s15
	v_add_co_u32_e64 v4, s[0:1], s14, v4
	global_store_byte v[6:7], v9, off
	v_or_b32_e32 v6, 0x2a00, v0
	v_addc_co_u32_e64 v5, s[0:1], v8, v5, s[0:1]
	v_add_co_u32_e64 v4, s[0:1], v4, v6
	v_xor_b32_e32 v7, 0x7f, v21
	v_addc_co_u32_e64 v5, s[0:1], 0, v5, s[0:1]
	global_store_byte v[4:5], v7, off
	s_load_dword s0, s[4:5], 0x58
                                        ; implicit-def: $vgpr4_vgpr5
	s_waitcnt lgkmcnt(0)
	s_add_i32 s0, s0, -1
	s_cmp_eq_u32 s0, s6
	s_cselect_b64 s[0:1], -1, 0
	s_and_b64 s[2:3], vcc, s[0:1]
	s_and_saveexec_b64 s[0:1], s[2:3]
; %bb.152:
	v_add_co_u32_e32 v4, vcc, v2, v10
	v_addc_co_u32_e32 v5, vcc, 0, v3, vcc
	s_or_b64 s[18:19], s[18:19], exec
; %bb.153:
	s_or_b64 exec, exec, s[0:1]
.LBB1653_154:
	s_and_saveexec_b64 s[0:1], s[18:19]
	s_cbranch_execnz .LBB1653_156
; %bb.155:
	s_endpgm
.LBB1653_156:
	v_lshlrev_b32_e32 v2, 3, v0
	ds_read_b64 v[2:3], v2
	v_lshlrev_b64 v[0:1], 3, v[0:1]
	v_mov_b32_e32 v6, s11
	v_add_co_u32_e32 v0, vcc, s10, v0
	v_addc_co_u32_e32 v1, vcc, v6, v1, vcc
	s_waitcnt lgkmcnt(0)
	v_add_co_u32_e32 v2, vcc, v2, v4
	v_addc_co_u32_e32 v3, vcc, v3, v5, vcc
	global_store_dwordx2 v[0:1], v[2:3], off
	s_endpgm
	.section	.rodata,"a",@progbits
	.p2align	6, 0x0
	.amdhsa_kernel _ZN7rocprim17ROCPRIM_400000_NS6detail17trampoline_kernelINS0_14default_configENS1_35radix_sort_onesweep_config_selectorIaNS0_10empty_typeEEEZZNS1_29radix_sort_onesweep_iterationIS3_Lb1EPaS8_PS5_S9_mNS0_19identity_decomposerENS1_16block_id_wrapperIjLb0EEEEE10hipError_tT1_PNSt15iterator_traitsISE_E10value_typeET2_T3_PNSF_ISK_E10value_typeET4_T5_PSP_SQ_PNS1_23onesweep_lookback_stateEbbT6_jjT7_P12ihipStream_tbENKUlT_T0_SE_SJ_E_clIS8_S8_S9_S9_EEDaSX_SY_SE_SJ_EUlSX_E_NS1_11comp_targetILNS1_3genE4ELNS1_11target_archE910ELNS1_3gpuE8ELNS1_3repE0EEENS1_47radix_sort_onesweep_sort_config_static_selectorELNS0_4arch9wavefront6targetE1EEEvSE_
		.amdhsa_group_segment_fixed_size 16424
		.amdhsa_private_segment_fixed_size 0
		.amdhsa_kernarg_size 344
		.amdhsa_user_sgpr_count 6
		.amdhsa_user_sgpr_private_segment_buffer 1
		.amdhsa_user_sgpr_dispatch_ptr 0
		.amdhsa_user_sgpr_queue_ptr 0
		.amdhsa_user_sgpr_kernarg_segment_ptr 1
		.amdhsa_user_sgpr_dispatch_id 0
		.amdhsa_user_sgpr_flat_scratch_init 0
		.amdhsa_user_sgpr_kernarg_preload_length 0
		.amdhsa_user_sgpr_kernarg_preload_offset 0
		.amdhsa_user_sgpr_private_segment_size 0
		.amdhsa_uses_dynamic_stack 0
		.amdhsa_system_sgpr_private_segment_wavefront_offset 0
		.amdhsa_system_sgpr_workgroup_id_x 1
		.amdhsa_system_sgpr_workgroup_id_y 0
		.amdhsa_system_sgpr_workgroup_id_z 0
		.amdhsa_system_sgpr_workgroup_info 0
		.amdhsa_system_vgpr_workitem_id 0
		.amdhsa_next_free_vgpr 79
		.amdhsa_next_free_sgpr 30
		.amdhsa_accum_offset 80
		.amdhsa_reserve_vcc 1
		.amdhsa_reserve_flat_scratch 0
		.amdhsa_float_round_mode_32 0
		.amdhsa_float_round_mode_16_64 0
		.amdhsa_float_denorm_mode_32 3
		.amdhsa_float_denorm_mode_16_64 3
		.amdhsa_dx10_clamp 1
		.amdhsa_ieee_mode 1
		.amdhsa_fp16_overflow 0
		.amdhsa_tg_split 0
		.amdhsa_exception_fp_ieee_invalid_op 0
		.amdhsa_exception_fp_denorm_src 0
		.amdhsa_exception_fp_ieee_div_zero 0
		.amdhsa_exception_fp_ieee_overflow 0
		.amdhsa_exception_fp_ieee_underflow 0
		.amdhsa_exception_fp_ieee_inexact 0
		.amdhsa_exception_int_div_zero 0
	.end_amdhsa_kernel
	.section	.text._ZN7rocprim17ROCPRIM_400000_NS6detail17trampoline_kernelINS0_14default_configENS1_35radix_sort_onesweep_config_selectorIaNS0_10empty_typeEEEZZNS1_29radix_sort_onesweep_iterationIS3_Lb1EPaS8_PS5_S9_mNS0_19identity_decomposerENS1_16block_id_wrapperIjLb0EEEEE10hipError_tT1_PNSt15iterator_traitsISE_E10value_typeET2_T3_PNSF_ISK_E10value_typeET4_T5_PSP_SQ_PNS1_23onesweep_lookback_stateEbbT6_jjT7_P12ihipStream_tbENKUlT_T0_SE_SJ_E_clIS8_S8_S9_S9_EEDaSX_SY_SE_SJ_EUlSX_E_NS1_11comp_targetILNS1_3genE4ELNS1_11target_archE910ELNS1_3gpuE8ELNS1_3repE0EEENS1_47radix_sort_onesweep_sort_config_static_selectorELNS0_4arch9wavefront6targetE1EEEvSE_,"axG",@progbits,_ZN7rocprim17ROCPRIM_400000_NS6detail17trampoline_kernelINS0_14default_configENS1_35radix_sort_onesweep_config_selectorIaNS0_10empty_typeEEEZZNS1_29radix_sort_onesweep_iterationIS3_Lb1EPaS8_PS5_S9_mNS0_19identity_decomposerENS1_16block_id_wrapperIjLb0EEEEE10hipError_tT1_PNSt15iterator_traitsISE_E10value_typeET2_T3_PNSF_ISK_E10value_typeET4_T5_PSP_SQ_PNS1_23onesweep_lookback_stateEbbT6_jjT7_P12ihipStream_tbENKUlT_T0_SE_SJ_E_clIS8_S8_S9_S9_EEDaSX_SY_SE_SJ_EUlSX_E_NS1_11comp_targetILNS1_3genE4ELNS1_11target_archE910ELNS1_3gpuE8ELNS1_3repE0EEENS1_47radix_sort_onesweep_sort_config_static_selectorELNS0_4arch9wavefront6targetE1EEEvSE_,comdat
.Lfunc_end1653:
	.size	_ZN7rocprim17ROCPRIM_400000_NS6detail17trampoline_kernelINS0_14default_configENS1_35radix_sort_onesweep_config_selectorIaNS0_10empty_typeEEEZZNS1_29radix_sort_onesweep_iterationIS3_Lb1EPaS8_PS5_S9_mNS0_19identity_decomposerENS1_16block_id_wrapperIjLb0EEEEE10hipError_tT1_PNSt15iterator_traitsISE_E10value_typeET2_T3_PNSF_ISK_E10value_typeET4_T5_PSP_SQ_PNS1_23onesweep_lookback_stateEbbT6_jjT7_P12ihipStream_tbENKUlT_T0_SE_SJ_E_clIS8_S8_S9_S9_EEDaSX_SY_SE_SJ_EUlSX_E_NS1_11comp_targetILNS1_3genE4ELNS1_11target_archE910ELNS1_3gpuE8ELNS1_3repE0EEENS1_47radix_sort_onesweep_sort_config_static_selectorELNS0_4arch9wavefront6targetE1EEEvSE_, .Lfunc_end1653-_ZN7rocprim17ROCPRIM_400000_NS6detail17trampoline_kernelINS0_14default_configENS1_35radix_sort_onesweep_config_selectorIaNS0_10empty_typeEEEZZNS1_29radix_sort_onesweep_iterationIS3_Lb1EPaS8_PS5_S9_mNS0_19identity_decomposerENS1_16block_id_wrapperIjLb0EEEEE10hipError_tT1_PNSt15iterator_traitsISE_E10value_typeET2_T3_PNSF_ISK_E10value_typeET4_T5_PSP_SQ_PNS1_23onesweep_lookback_stateEbbT6_jjT7_P12ihipStream_tbENKUlT_T0_SE_SJ_E_clIS8_S8_S9_S9_EEDaSX_SY_SE_SJ_EUlSX_E_NS1_11comp_targetILNS1_3genE4ELNS1_11target_archE910ELNS1_3gpuE8ELNS1_3repE0EEENS1_47radix_sort_onesweep_sort_config_static_selectorELNS0_4arch9wavefront6targetE1EEEvSE_
                                        ; -- End function
	.section	.AMDGPU.csdata,"",@progbits
; Kernel info:
; codeLenInByte = 12740
; NumSgprs: 34
; NumVgprs: 79
; NumAgprs: 0
; TotalNumVgprs: 79
; ScratchSize: 0
; MemoryBound: 0
; FloatMode: 240
; IeeeMode: 1
; LDSByteSize: 16424 bytes/workgroup (compile time only)
; SGPRBlocks: 4
; VGPRBlocks: 9
; NumSGPRsForWavesPerEU: 34
; NumVGPRsForWavesPerEU: 79
; AccumOffset: 80
; Occupancy: 6
; WaveLimiterHint : 0
; COMPUTE_PGM_RSRC2:SCRATCH_EN: 0
; COMPUTE_PGM_RSRC2:USER_SGPR: 6
; COMPUTE_PGM_RSRC2:TRAP_HANDLER: 0
; COMPUTE_PGM_RSRC2:TGID_X_EN: 1
; COMPUTE_PGM_RSRC2:TGID_Y_EN: 0
; COMPUTE_PGM_RSRC2:TGID_Z_EN: 0
; COMPUTE_PGM_RSRC2:TIDIG_COMP_CNT: 0
; COMPUTE_PGM_RSRC3_GFX90A:ACCUM_OFFSET: 19
; COMPUTE_PGM_RSRC3_GFX90A:TG_SPLIT: 0
	.section	.text._ZN7rocprim17ROCPRIM_400000_NS6detail17trampoline_kernelINS0_14default_configENS1_35radix_sort_onesweep_config_selectorIaNS0_10empty_typeEEEZZNS1_29radix_sort_onesweep_iterationIS3_Lb1EPaS8_PS5_S9_mNS0_19identity_decomposerENS1_16block_id_wrapperIjLb0EEEEE10hipError_tT1_PNSt15iterator_traitsISE_E10value_typeET2_T3_PNSF_ISK_E10value_typeET4_T5_PSP_SQ_PNS1_23onesweep_lookback_stateEbbT6_jjT7_P12ihipStream_tbENKUlT_T0_SE_SJ_E_clIS8_S8_S9_S9_EEDaSX_SY_SE_SJ_EUlSX_E_NS1_11comp_targetILNS1_3genE3ELNS1_11target_archE908ELNS1_3gpuE7ELNS1_3repE0EEENS1_47radix_sort_onesweep_sort_config_static_selectorELNS0_4arch9wavefront6targetE1EEEvSE_,"axG",@progbits,_ZN7rocprim17ROCPRIM_400000_NS6detail17trampoline_kernelINS0_14default_configENS1_35radix_sort_onesweep_config_selectorIaNS0_10empty_typeEEEZZNS1_29radix_sort_onesweep_iterationIS3_Lb1EPaS8_PS5_S9_mNS0_19identity_decomposerENS1_16block_id_wrapperIjLb0EEEEE10hipError_tT1_PNSt15iterator_traitsISE_E10value_typeET2_T3_PNSF_ISK_E10value_typeET4_T5_PSP_SQ_PNS1_23onesweep_lookback_stateEbbT6_jjT7_P12ihipStream_tbENKUlT_T0_SE_SJ_E_clIS8_S8_S9_S9_EEDaSX_SY_SE_SJ_EUlSX_E_NS1_11comp_targetILNS1_3genE3ELNS1_11target_archE908ELNS1_3gpuE7ELNS1_3repE0EEENS1_47radix_sort_onesweep_sort_config_static_selectorELNS0_4arch9wavefront6targetE1EEEvSE_,comdat
	.protected	_ZN7rocprim17ROCPRIM_400000_NS6detail17trampoline_kernelINS0_14default_configENS1_35radix_sort_onesweep_config_selectorIaNS0_10empty_typeEEEZZNS1_29radix_sort_onesweep_iterationIS3_Lb1EPaS8_PS5_S9_mNS0_19identity_decomposerENS1_16block_id_wrapperIjLb0EEEEE10hipError_tT1_PNSt15iterator_traitsISE_E10value_typeET2_T3_PNSF_ISK_E10value_typeET4_T5_PSP_SQ_PNS1_23onesweep_lookback_stateEbbT6_jjT7_P12ihipStream_tbENKUlT_T0_SE_SJ_E_clIS8_S8_S9_S9_EEDaSX_SY_SE_SJ_EUlSX_E_NS1_11comp_targetILNS1_3genE3ELNS1_11target_archE908ELNS1_3gpuE7ELNS1_3repE0EEENS1_47radix_sort_onesweep_sort_config_static_selectorELNS0_4arch9wavefront6targetE1EEEvSE_ ; -- Begin function _ZN7rocprim17ROCPRIM_400000_NS6detail17trampoline_kernelINS0_14default_configENS1_35radix_sort_onesweep_config_selectorIaNS0_10empty_typeEEEZZNS1_29radix_sort_onesweep_iterationIS3_Lb1EPaS8_PS5_S9_mNS0_19identity_decomposerENS1_16block_id_wrapperIjLb0EEEEE10hipError_tT1_PNSt15iterator_traitsISE_E10value_typeET2_T3_PNSF_ISK_E10value_typeET4_T5_PSP_SQ_PNS1_23onesweep_lookback_stateEbbT6_jjT7_P12ihipStream_tbENKUlT_T0_SE_SJ_E_clIS8_S8_S9_S9_EEDaSX_SY_SE_SJ_EUlSX_E_NS1_11comp_targetILNS1_3genE3ELNS1_11target_archE908ELNS1_3gpuE7ELNS1_3repE0EEENS1_47radix_sort_onesweep_sort_config_static_selectorELNS0_4arch9wavefront6targetE1EEEvSE_
	.globl	_ZN7rocprim17ROCPRIM_400000_NS6detail17trampoline_kernelINS0_14default_configENS1_35radix_sort_onesweep_config_selectorIaNS0_10empty_typeEEEZZNS1_29radix_sort_onesweep_iterationIS3_Lb1EPaS8_PS5_S9_mNS0_19identity_decomposerENS1_16block_id_wrapperIjLb0EEEEE10hipError_tT1_PNSt15iterator_traitsISE_E10value_typeET2_T3_PNSF_ISK_E10value_typeET4_T5_PSP_SQ_PNS1_23onesweep_lookback_stateEbbT6_jjT7_P12ihipStream_tbENKUlT_T0_SE_SJ_E_clIS8_S8_S9_S9_EEDaSX_SY_SE_SJ_EUlSX_E_NS1_11comp_targetILNS1_3genE3ELNS1_11target_archE908ELNS1_3gpuE7ELNS1_3repE0EEENS1_47radix_sort_onesweep_sort_config_static_selectorELNS0_4arch9wavefront6targetE1EEEvSE_
	.p2align	8
	.type	_ZN7rocprim17ROCPRIM_400000_NS6detail17trampoline_kernelINS0_14default_configENS1_35radix_sort_onesweep_config_selectorIaNS0_10empty_typeEEEZZNS1_29radix_sort_onesweep_iterationIS3_Lb1EPaS8_PS5_S9_mNS0_19identity_decomposerENS1_16block_id_wrapperIjLb0EEEEE10hipError_tT1_PNSt15iterator_traitsISE_E10value_typeET2_T3_PNSF_ISK_E10value_typeET4_T5_PSP_SQ_PNS1_23onesweep_lookback_stateEbbT6_jjT7_P12ihipStream_tbENKUlT_T0_SE_SJ_E_clIS8_S8_S9_S9_EEDaSX_SY_SE_SJ_EUlSX_E_NS1_11comp_targetILNS1_3genE3ELNS1_11target_archE908ELNS1_3gpuE7ELNS1_3repE0EEENS1_47radix_sort_onesweep_sort_config_static_selectorELNS0_4arch9wavefront6targetE1EEEvSE_,@function
_ZN7rocprim17ROCPRIM_400000_NS6detail17trampoline_kernelINS0_14default_configENS1_35radix_sort_onesweep_config_selectorIaNS0_10empty_typeEEEZZNS1_29radix_sort_onesweep_iterationIS3_Lb1EPaS8_PS5_S9_mNS0_19identity_decomposerENS1_16block_id_wrapperIjLb0EEEEE10hipError_tT1_PNSt15iterator_traitsISE_E10value_typeET2_T3_PNSF_ISK_E10value_typeET4_T5_PSP_SQ_PNS1_23onesweep_lookback_stateEbbT6_jjT7_P12ihipStream_tbENKUlT_T0_SE_SJ_E_clIS8_S8_S9_S9_EEDaSX_SY_SE_SJ_EUlSX_E_NS1_11comp_targetILNS1_3genE3ELNS1_11target_archE908ELNS1_3gpuE7ELNS1_3repE0EEENS1_47radix_sort_onesweep_sort_config_static_selectorELNS0_4arch9wavefront6targetE1EEEvSE_: ; @_ZN7rocprim17ROCPRIM_400000_NS6detail17trampoline_kernelINS0_14default_configENS1_35radix_sort_onesweep_config_selectorIaNS0_10empty_typeEEEZZNS1_29radix_sort_onesweep_iterationIS3_Lb1EPaS8_PS5_S9_mNS0_19identity_decomposerENS1_16block_id_wrapperIjLb0EEEEE10hipError_tT1_PNSt15iterator_traitsISE_E10value_typeET2_T3_PNSF_ISK_E10value_typeET4_T5_PSP_SQ_PNS1_23onesweep_lookback_stateEbbT6_jjT7_P12ihipStream_tbENKUlT_T0_SE_SJ_E_clIS8_S8_S9_S9_EEDaSX_SY_SE_SJ_EUlSX_E_NS1_11comp_targetILNS1_3genE3ELNS1_11target_archE908ELNS1_3gpuE7ELNS1_3repE0EEENS1_47radix_sort_onesweep_sort_config_static_selectorELNS0_4arch9wavefront6targetE1EEEvSE_
; %bb.0:
	.section	.rodata,"a",@progbits
	.p2align	6, 0x0
	.amdhsa_kernel _ZN7rocprim17ROCPRIM_400000_NS6detail17trampoline_kernelINS0_14default_configENS1_35radix_sort_onesweep_config_selectorIaNS0_10empty_typeEEEZZNS1_29radix_sort_onesweep_iterationIS3_Lb1EPaS8_PS5_S9_mNS0_19identity_decomposerENS1_16block_id_wrapperIjLb0EEEEE10hipError_tT1_PNSt15iterator_traitsISE_E10value_typeET2_T3_PNSF_ISK_E10value_typeET4_T5_PSP_SQ_PNS1_23onesweep_lookback_stateEbbT6_jjT7_P12ihipStream_tbENKUlT_T0_SE_SJ_E_clIS8_S8_S9_S9_EEDaSX_SY_SE_SJ_EUlSX_E_NS1_11comp_targetILNS1_3genE3ELNS1_11target_archE908ELNS1_3gpuE7ELNS1_3repE0EEENS1_47radix_sort_onesweep_sort_config_static_selectorELNS0_4arch9wavefront6targetE1EEEvSE_
		.amdhsa_group_segment_fixed_size 0
		.amdhsa_private_segment_fixed_size 0
		.amdhsa_kernarg_size 88
		.amdhsa_user_sgpr_count 6
		.amdhsa_user_sgpr_private_segment_buffer 1
		.amdhsa_user_sgpr_dispatch_ptr 0
		.amdhsa_user_sgpr_queue_ptr 0
		.amdhsa_user_sgpr_kernarg_segment_ptr 1
		.amdhsa_user_sgpr_dispatch_id 0
		.amdhsa_user_sgpr_flat_scratch_init 0
		.amdhsa_user_sgpr_kernarg_preload_length 0
		.amdhsa_user_sgpr_kernarg_preload_offset 0
		.amdhsa_user_sgpr_private_segment_size 0
		.amdhsa_uses_dynamic_stack 0
		.amdhsa_system_sgpr_private_segment_wavefront_offset 0
		.amdhsa_system_sgpr_workgroup_id_x 1
		.amdhsa_system_sgpr_workgroup_id_y 0
		.amdhsa_system_sgpr_workgroup_id_z 0
		.amdhsa_system_sgpr_workgroup_info 0
		.amdhsa_system_vgpr_workitem_id 0
		.amdhsa_next_free_vgpr 1
		.amdhsa_next_free_sgpr 0
		.amdhsa_accum_offset 4
		.amdhsa_reserve_vcc 0
		.amdhsa_reserve_flat_scratch 0
		.amdhsa_float_round_mode_32 0
		.amdhsa_float_round_mode_16_64 0
		.amdhsa_float_denorm_mode_32 3
		.amdhsa_float_denorm_mode_16_64 3
		.amdhsa_dx10_clamp 1
		.amdhsa_ieee_mode 1
		.amdhsa_fp16_overflow 0
		.amdhsa_tg_split 0
		.amdhsa_exception_fp_ieee_invalid_op 0
		.amdhsa_exception_fp_denorm_src 0
		.amdhsa_exception_fp_ieee_div_zero 0
		.amdhsa_exception_fp_ieee_overflow 0
		.amdhsa_exception_fp_ieee_underflow 0
		.amdhsa_exception_fp_ieee_inexact 0
		.amdhsa_exception_int_div_zero 0
	.end_amdhsa_kernel
	.section	.text._ZN7rocprim17ROCPRIM_400000_NS6detail17trampoline_kernelINS0_14default_configENS1_35radix_sort_onesweep_config_selectorIaNS0_10empty_typeEEEZZNS1_29radix_sort_onesweep_iterationIS3_Lb1EPaS8_PS5_S9_mNS0_19identity_decomposerENS1_16block_id_wrapperIjLb0EEEEE10hipError_tT1_PNSt15iterator_traitsISE_E10value_typeET2_T3_PNSF_ISK_E10value_typeET4_T5_PSP_SQ_PNS1_23onesweep_lookback_stateEbbT6_jjT7_P12ihipStream_tbENKUlT_T0_SE_SJ_E_clIS8_S8_S9_S9_EEDaSX_SY_SE_SJ_EUlSX_E_NS1_11comp_targetILNS1_3genE3ELNS1_11target_archE908ELNS1_3gpuE7ELNS1_3repE0EEENS1_47radix_sort_onesweep_sort_config_static_selectorELNS0_4arch9wavefront6targetE1EEEvSE_,"axG",@progbits,_ZN7rocprim17ROCPRIM_400000_NS6detail17trampoline_kernelINS0_14default_configENS1_35radix_sort_onesweep_config_selectorIaNS0_10empty_typeEEEZZNS1_29radix_sort_onesweep_iterationIS3_Lb1EPaS8_PS5_S9_mNS0_19identity_decomposerENS1_16block_id_wrapperIjLb0EEEEE10hipError_tT1_PNSt15iterator_traitsISE_E10value_typeET2_T3_PNSF_ISK_E10value_typeET4_T5_PSP_SQ_PNS1_23onesweep_lookback_stateEbbT6_jjT7_P12ihipStream_tbENKUlT_T0_SE_SJ_E_clIS8_S8_S9_S9_EEDaSX_SY_SE_SJ_EUlSX_E_NS1_11comp_targetILNS1_3genE3ELNS1_11target_archE908ELNS1_3gpuE7ELNS1_3repE0EEENS1_47radix_sort_onesweep_sort_config_static_selectorELNS0_4arch9wavefront6targetE1EEEvSE_,comdat
.Lfunc_end1654:
	.size	_ZN7rocprim17ROCPRIM_400000_NS6detail17trampoline_kernelINS0_14default_configENS1_35radix_sort_onesweep_config_selectorIaNS0_10empty_typeEEEZZNS1_29radix_sort_onesweep_iterationIS3_Lb1EPaS8_PS5_S9_mNS0_19identity_decomposerENS1_16block_id_wrapperIjLb0EEEEE10hipError_tT1_PNSt15iterator_traitsISE_E10value_typeET2_T3_PNSF_ISK_E10value_typeET4_T5_PSP_SQ_PNS1_23onesweep_lookback_stateEbbT6_jjT7_P12ihipStream_tbENKUlT_T0_SE_SJ_E_clIS8_S8_S9_S9_EEDaSX_SY_SE_SJ_EUlSX_E_NS1_11comp_targetILNS1_3genE3ELNS1_11target_archE908ELNS1_3gpuE7ELNS1_3repE0EEENS1_47radix_sort_onesweep_sort_config_static_selectorELNS0_4arch9wavefront6targetE1EEEvSE_, .Lfunc_end1654-_ZN7rocprim17ROCPRIM_400000_NS6detail17trampoline_kernelINS0_14default_configENS1_35radix_sort_onesweep_config_selectorIaNS0_10empty_typeEEEZZNS1_29radix_sort_onesweep_iterationIS3_Lb1EPaS8_PS5_S9_mNS0_19identity_decomposerENS1_16block_id_wrapperIjLb0EEEEE10hipError_tT1_PNSt15iterator_traitsISE_E10value_typeET2_T3_PNSF_ISK_E10value_typeET4_T5_PSP_SQ_PNS1_23onesweep_lookback_stateEbbT6_jjT7_P12ihipStream_tbENKUlT_T0_SE_SJ_E_clIS8_S8_S9_S9_EEDaSX_SY_SE_SJ_EUlSX_E_NS1_11comp_targetILNS1_3genE3ELNS1_11target_archE908ELNS1_3gpuE7ELNS1_3repE0EEENS1_47radix_sort_onesweep_sort_config_static_selectorELNS0_4arch9wavefront6targetE1EEEvSE_
                                        ; -- End function
	.section	.AMDGPU.csdata,"",@progbits
; Kernel info:
; codeLenInByte = 0
; NumSgprs: 4
; NumVgprs: 0
; NumAgprs: 0
; TotalNumVgprs: 0
; ScratchSize: 0
; MemoryBound: 0
; FloatMode: 240
; IeeeMode: 1
; LDSByteSize: 0 bytes/workgroup (compile time only)
; SGPRBlocks: 0
; VGPRBlocks: 0
; NumSGPRsForWavesPerEU: 4
; NumVGPRsForWavesPerEU: 1
; AccumOffset: 4
; Occupancy: 8
; WaveLimiterHint : 0
; COMPUTE_PGM_RSRC2:SCRATCH_EN: 0
; COMPUTE_PGM_RSRC2:USER_SGPR: 6
; COMPUTE_PGM_RSRC2:TRAP_HANDLER: 0
; COMPUTE_PGM_RSRC2:TGID_X_EN: 1
; COMPUTE_PGM_RSRC2:TGID_Y_EN: 0
; COMPUTE_PGM_RSRC2:TGID_Z_EN: 0
; COMPUTE_PGM_RSRC2:TIDIG_COMP_CNT: 0
; COMPUTE_PGM_RSRC3_GFX90A:ACCUM_OFFSET: 0
; COMPUTE_PGM_RSRC3_GFX90A:TG_SPLIT: 0
	.section	.text._ZN7rocprim17ROCPRIM_400000_NS6detail17trampoline_kernelINS0_14default_configENS1_35radix_sort_onesweep_config_selectorIaNS0_10empty_typeEEEZZNS1_29radix_sort_onesweep_iterationIS3_Lb1EPaS8_PS5_S9_mNS0_19identity_decomposerENS1_16block_id_wrapperIjLb0EEEEE10hipError_tT1_PNSt15iterator_traitsISE_E10value_typeET2_T3_PNSF_ISK_E10value_typeET4_T5_PSP_SQ_PNS1_23onesweep_lookback_stateEbbT6_jjT7_P12ihipStream_tbENKUlT_T0_SE_SJ_E_clIS8_S8_S9_S9_EEDaSX_SY_SE_SJ_EUlSX_E_NS1_11comp_targetILNS1_3genE10ELNS1_11target_archE1201ELNS1_3gpuE5ELNS1_3repE0EEENS1_47radix_sort_onesweep_sort_config_static_selectorELNS0_4arch9wavefront6targetE1EEEvSE_,"axG",@progbits,_ZN7rocprim17ROCPRIM_400000_NS6detail17trampoline_kernelINS0_14default_configENS1_35radix_sort_onesweep_config_selectorIaNS0_10empty_typeEEEZZNS1_29radix_sort_onesweep_iterationIS3_Lb1EPaS8_PS5_S9_mNS0_19identity_decomposerENS1_16block_id_wrapperIjLb0EEEEE10hipError_tT1_PNSt15iterator_traitsISE_E10value_typeET2_T3_PNSF_ISK_E10value_typeET4_T5_PSP_SQ_PNS1_23onesweep_lookback_stateEbbT6_jjT7_P12ihipStream_tbENKUlT_T0_SE_SJ_E_clIS8_S8_S9_S9_EEDaSX_SY_SE_SJ_EUlSX_E_NS1_11comp_targetILNS1_3genE10ELNS1_11target_archE1201ELNS1_3gpuE5ELNS1_3repE0EEENS1_47radix_sort_onesweep_sort_config_static_selectorELNS0_4arch9wavefront6targetE1EEEvSE_,comdat
	.protected	_ZN7rocprim17ROCPRIM_400000_NS6detail17trampoline_kernelINS0_14default_configENS1_35radix_sort_onesweep_config_selectorIaNS0_10empty_typeEEEZZNS1_29radix_sort_onesweep_iterationIS3_Lb1EPaS8_PS5_S9_mNS0_19identity_decomposerENS1_16block_id_wrapperIjLb0EEEEE10hipError_tT1_PNSt15iterator_traitsISE_E10value_typeET2_T3_PNSF_ISK_E10value_typeET4_T5_PSP_SQ_PNS1_23onesweep_lookback_stateEbbT6_jjT7_P12ihipStream_tbENKUlT_T0_SE_SJ_E_clIS8_S8_S9_S9_EEDaSX_SY_SE_SJ_EUlSX_E_NS1_11comp_targetILNS1_3genE10ELNS1_11target_archE1201ELNS1_3gpuE5ELNS1_3repE0EEENS1_47radix_sort_onesweep_sort_config_static_selectorELNS0_4arch9wavefront6targetE1EEEvSE_ ; -- Begin function _ZN7rocprim17ROCPRIM_400000_NS6detail17trampoline_kernelINS0_14default_configENS1_35radix_sort_onesweep_config_selectorIaNS0_10empty_typeEEEZZNS1_29radix_sort_onesweep_iterationIS3_Lb1EPaS8_PS5_S9_mNS0_19identity_decomposerENS1_16block_id_wrapperIjLb0EEEEE10hipError_tT1_PNSt15iterator_traitsISE_E10value_typeET2_T3_PNSF_ISK_E10value_typeET4_T5_PSP_SQ_PNS1_23onesweep_lookback_stateEbbT6_jjT7_P12ihipStream_tbENKUlT_T0_SE_SJ_E_clIS8_S8_S9_S9_EEDaSX_SY_SE_SJ_EUlSX_E_NS1_11comp_targetILNS1_3genE10ELNS1_11target_archE1201ELNS1_3gpuE5ELNS1_3repE0EEENS1_47radix_sort_onesweep_sort_config_static_selectorELNS0_4arch9wavefront6targetE1EEEvSE_
	.globl	_ZN7rocprim17ROCPRIM_400000_NS6detail17trampoline_kernelINS0_14default_configENS1_35radix_sort_onesweep_config_selectorIaNS0_10empty_typeEEEZZNS1_29radix_sort_onesweep_iterationIS3_Lb1EPaS8_PS5_S9_mNS0_19identity_decomposerENS1_16block_id_wrapperIjLb0EEEEE10hipError_tT1_PNSt15iterator_traitsISE_E10value_typeET2_T3_PNSF_ISK_E10value_typeET4_T5_PSP_SQ_PNS1_23onesweep_lookback_stateEbbT6_jjT7_P12ihipStream_tbENKUlT_T0_SE_SJ_E_clIS8_S8_S9_S9_EEDaSX_SY_SE_SJ_EUlSX_E_NS1_11comp_targetILNS1_3genE10ELNS1_11target_archE1201ELNS1_3gpuE5ELNS1_3repE0EEENS1_47radix_sort_onesweep_sort_config_static_selectorELNS0_4arch9wavefront6targetE1EEEvSE_
	.p2align	8
	.type	_ZN7rocprim17ROCPRIM_400000_NS6detail17trampoline_kernelINS0_14default_configENS1_35radix_sort_onesweep_config_selectorIaNS0_10empty_typeEEEZZNS1_29radix_sort_onesweep_iterationIS3_Lb1EPaS8_PS5_S9_mNS0_19identity_decomposerENS1_16block_id_wrapperIjLb0EEEEE10hipError_tT1_PNSt15iterator_traitsISE_E10value_typeET2_T3_PNSF_ISK_E10value_typeET4_T5_PSP_SQ_PNS1_23onesweep_lookback_stateEbbT6_jjT7_P12ihipStream_tbENKUlT_T0_SE_SJ_E_clIS8_S8_S9_S9_EEDaSX_SY_SE_SJ_EUlSX_E_NS1_11comp_targetILNS1_3genE10ELNS1_11target_archE1201ELNS1_3gpuE5ELNS1_3repE0EEENS1_47radix_sort_onesweep_sort_config_static_selectorELNS0_4arch9wavefront6targetE1EEEvSE_,@function
_ZN7rocprim17ROCPRIM_400000_NS6detail17trampoline_kernelINS0_14default_configENS1_35radix_sort_onesweep_config_selectorIaNS0_10empty_typeEEEZZNS1_29radix_sort_onesweep_iterationIS3_Lb1EPaS8_PS5_S9_mNS0_19identity_decomposerENS1_16block_id_wrapperIjLb0EEEEE10hipError_tT1_PNSt15iterator_traitsISE_E10value_typeET2_T3_PNSF_ISK_E10value_typeET4_T5_PSP_SQ_PNS1_23onesweep_lookback_stateEbbT6_jjT7_P12ihipStream_tbENKUlT_T0_SE_SJ_E_clIS8_S8_S9_S9_EEDaSX_SY_SE_SJ_EUlSX_E_NS1_11comp_targetILNS1_3genE10ELNS1_11target_archE1201ELNS1_3gpuE5ELNS1_3repE0EEENS1_47radix_sort_onesweep_sort_config_static_selectorELNS0_4arch9wavefront6targetE1EEEvSE_: ; @_ZN7rocprim17ROCPRIM_400000_NS6detail17trampoline_kernelINS0_14default_configENS1_35radix_sort_onesweep_config_selectorIaNS0_10empty_typeEEEZZNS1_29radix_sort_onesweep_iterationIS3_Lb1EPaS8_PS5_S9_mNS0_19identity_decomposerENS1_16block_id_wrapperIjLb0EEEEE10hipError_tT1_PNSt15iterator_traitsISE_E10value_typeET2_T3_PNSF_ISK_E10value_typeET4_T5_PSP_SQ_PNS1_23onesweep_lookback_stateEbbT6_jjT7_P12ihipStream_tbENKUlT_T0_SE_SJ_E_clIS8_S8_S9_S9_EEDaSX_SY_SE_SJ_EUlSX_E_NS1_11comp_targetILNS1_3genE10ELNS1_11target_archE1201ELNS1_3gpuE5ELNS1_3repE0EEENS1_47radix_sort_onesweep_sort_config_static_selectorELNS0_4arch9wavefront6targetE1EEEvSE_
; %bb.0:
	.section	.rodata,"a",@progbits
	.p2align	6, 0x0
	.amdhsa_kernel _ZN7rocprim17ROCPRIM_400000_NS6detail17trampoline_kernelINS0_14default_configENS1_35radix_sort_onesweep_config_selectorIaNS0_10empty_typeEEEZZNS1_29radix_sort_onesweep_iterationIS3_Lb1EPaS8_PS5_S9_mNS0_19identity_decomposerENS1_16block_id_wrapperIjLb0EEEEE10hipError_tT1_PNSt15iterator_traitsISE_E10value_typeET2_T3_PNSF_ISK_E10value_typeET4_T5_PSP_SQ_PNS1_23onesweep_lookback_stateEbbT6_jjT7_P12ihipStream_tbENKUlT_T0_SE_SJ_E_clIS8_S8_S9_S9_EEDaSX_SY_SE_SJ_EUlSX_E_NS1_11comp_targetILNS1_3genE10ELNS1_11target_archE1201ELNS1_3gpuE5ELNS1_3repE0EEENS1_47radix_sort_onesweep_sort_config_static_selectorELNS0_4arch9wavefront6targetE1EEEvSE_
		.amdhsa_group_segment_fixed_size 0
		.amdhsa_private_segment_fixed_size 0
		.amdhsa_kernarg_size 88
		.amdhsa_user_sgpr_count 6
		.amdhsa_user_sgpr_private_segment_buffer 1
		.amdhsa_user_sgpr_dispatch_ptr 0
		.amdhsa_user_sgpr_queue_ptr 0
		.amdhsa_user_sgpr_kernarg_segment_ptr 1
		.amdhsa_user_sgpr_dispatch_id 0
		.amdhsa_user_sgpr_flat_scratch_init 0
		.amdhsa_user_sgpr_kernarg_preload_length 0
		.amdhsa_user_sgpr_kernarg_preload_offset 0
		.amdhsa_user_sgpr_private_segment_size 0
		.amdhsa_uses_dynamic_stack 0
		.amdhsa_system_sgpr_private_segment_wavefront_offset 0
		.amdhsa_system_sgpr_workgroup_id_x 1
		.amdhsa_system_sgpr_workgroup_id_y 0
		.amdhsa_system_sgpr_workgroup_id_z 0
		.amdhsa_system_sgpr_workgroup_info 0
		.amdhsa_system_vgpr_workitem_id 0
		.amdhsa_next_free_vgpr 1
		.amdhsa_next_free_sgpr 0
		.amdhsa_accum_offset 4
		.amdhsa_reserve_vcc 0
		.amdhsa_reserve_flat_scratch 0
		.amdhsa_float_round_mode_32 0
		.amdhsa_float_round_mode_16_64 0
		.amdhsa_float_denorm_mode_32 3
		.amdhsa_float_denorm_mode_16_64 3
		.amdhsa_dx10_clamp 1
		.amdhsa_ieee_mode 1
		.amdhsa_fp16_overflow 0
		.amdhsa_tg_split 0
		.amdhsa_exception_fp_ieee_invalid_op 0
		.amdhsa_exception_fp_denorm_src 0
		.amdhsa_exception_fp_ieee_div_zero 0
		.amdhsa_exception_fp_ieee_overflow 0
		.amdhsa_exception_fp_ieee_underflow 0
		.amdhsa_exception_fp_ieee_inexact 0
		.amdhsa_exception_int_div_zero 0
	.end_amdhsa_kernel
	.section	.text._ZN7rocprim17ROCPRIM_400000_NS6detail17trampoline_kernelINS0_14default_configENS1_35radix_sort_onesweep_config_selectorIaNS0_10empty_typeEEEZZNS1_29radix_sort_onesweep_iterationIS3_Lb1EPaS8_PS5_S9_mNS0_19identity_decomposerENS1_16block_id_wrapperIjLb0EEEEE10hipError_tT1_PNSt15iterator_traitsISE_E10value_typeET2_T3_PNSF_ISK_E10value_typeET4_T5_PSP_SQ_PNS1_23onesweep_lookback_stateEbbT6_jjT7_P12ihipStream_tbENKUlT_T0_SE_SJ_E_clIS8_S8_S9_S9_EEDaSX_SY_SE_SJ_EUlSX_E_NS1_11comp_targetILNS1_3genE10ELNS1_11target_archE1201ELNS1_3gpuE5ELNS1_3repE0EEENS1_47radix_sort_onesweep_sort_config_static_selectorELNS0_4arch9wavefront6targetE1EEEvSE_,"axG",@progbits,_ZN7rocprim17ROCPRIM_400000_NS6detail17trampoline_kernelINS0_14default_configENS1_35radix_sort_onesweep_config_selectorIaNS0_10empty_typeEEEZZNS1_29radix_sort_onesweep_iterationIS3_Lb1EPaS8_PS5_S9_mNS0_19identity_decomposerENS1_16block_id_wrapperIjLb0EEEEE10hipError_tT1_PNSt15iterator_traitsISE_E10value_typeET2_T3_PNSF_ISK_E10value_typeET4_T5_PSP_SQ_PNS1_23onesweep_lookback_stateEbbT6_jjT7_P12ihipStream_tbENKUlT_T0_SE_SJ_E_clIS8_S8_S9_S9_EEDaSX_SY_SE_SJ_EUlSX_E_NS1_11comp_targetILNS1_3genE10ELNS1_11target_archE1201ELNS1_3gpuE5ELNS1_3repE0EEENS1_47radix_sort_onesweep_sort_config_static_selectorELNS0_4arch9wavefront6targetE1EEEvSE_,comdat
.Lfunc_end1655:
	.size	_ZN7rocprim17ROCPRIM_400000_NS6detail17trampoline_kernelINS0_14default_configENS1_35radix_sort_onesweep_config_selectorIaNS0_10empty_typeEEEZZNS1_29radix_sort_onesweep_iterationIS3_Lb1EPaS8_PS5_S9_mNS0_19identity_decomposerENS1_16block_id_wrapperIjLb0EEEEE10hipError_tT1_PNSt15iterator_traitsISE_E10value_typeET2_T3_PNSF_ISK_E10value_typeET4_T5_PSP_SQ_PNS1_23onesweep_lookback_stateEbbT6_jjT7_P12ihipStream_tbENKUlT_T0_SE_SJ_E_clIS8_S8_S9_S9_EEDaSX_SY_SE_SJ_EUlSX_E_NS1_11comp_targetILNS1_3genE10ELNS1_11target_archE1201ELNS1_3gpuE5ELNS1_3repE0EEENS1_47radix_sort_onesweep_sort_config_static_selectorELNS0_4arch9wavefront6targetE1EEEvSE_, .Lfunc_end1655-_ZN7rocprim17ROCPRIM_400000_NS6detail17trampoline_kernelINS0_14default_configENS1_35radix_sort_onesweep_config_selectorIaNS0_10empty_typeEEEZZNS1_29radix_sort_onesweep_iterationIS3_Lb1EPaS8_PS5_S9_mNS0_19identity_decomposerENS1_16block_id_wrapperIjLb0EEEEE10hipError_tT1_PNSt15iterator_traitsISE_E10value_typeET2_T3_PNSF_ISK_E10value_typeET4_T5_PSP_SQ_PNS1_23onesweep_lookback_stateEbbT6_jjT7_P12ihipStream_tbENKUlT_T0_SE_SJ_E_clIS8_S8_S9_S9_EEDaSX_SY_SE_SJ_EUlSX_E_NS1_11comp_targetILNS1_3genE10ELNS1_11target_archE1201ELNS1_3gpuE5ELNS1_3repE0EEENS1_47radix_sort_onesweep_sort_config_static_selectorELNS0_4arch9wavefront6targetE1EEEvSE_
                                        ; -- End function
	.section	.AMDGPU.csdata,"",@progbits
; Kernel info:
; codeLenInByte = 0
; NumSgprs: 4
; NumVgprs: 0
; NumAgprs: 0
; TotalNumVgprs: 0
; ScratchSize: 0
; MemoryBound: 0
; FloatMode: 240
; IeeeMode: 1
; LDSByteSize: 0 bytes/workgroup (compile time only)
; SGPRBlocks: 0
; VGPRBlocks: 0
; NumSGPRsForWavesPerEU: 4
; NumVGPRsForWavesPerEU: 1
; AccumOffset: 4
; Occupancy: 8
; WaveLimiterHint : 0
; COMPUTE_PGM_RSRC2:SCRATCH_EN: 0
; COMPUTE_PGM_RSRC2:USER_SGPR: 6
; COMPUTE_PGM_RSRC2:TRAP_HANDLER: 0
; COMPUTE_PGM_RSRC2:TGID_X_EN: 1
; COMPUTE_PGM_RSRC2:TGID_Y_EN: 0
; COMPUTE_PGM_RSRC2:TGID_Z_EN: 0
; COMPUTE_PGM_RSRC2:TIDIG_COMP_CNT: 0
; COMPUTE_PGM_RSRC3_GFX90A:ACCUM_OFFSET: 0
; COMPUTE_PGM_RSRC3_GFX90A:TG_SPLIT: 0
	.section	.text._ZN7rocprim17ROCPRIM_400000_NS6detail17trampoline_kernelINS0_14default_configENS1_35radix_sort_onesweep_config_selectorIaNS0_10empty_typeEEEZZNS1_29radix_sort_onesweep_iterationIS3_Lb1EPaS8_PS5_S9_mNS0_19identity_decomposerENS1_16block_id_wrapperIjLb0EEEEE10hipError_tT1_PNSt15iterator_traitsISE_E10value_typeET2_T3_PNSF_ISK_E10value_typeET4_T5_PSP_SQ_PNS1_23onesweep_lookback_stateEbbT6_jjT7_P12ihipStream_tbENKUlT_T0_SE_SJ_E_clIS8_S8_S9_S9_EEDaSX_SY_SE_SJ_EUlSX_E_NS1_11comp_targetILNS1_3genE9ELNS1_11target_archE1100ELNS1_3gpuE3ELNS1_3repE0EEENS1_47radix_sort_onesweep_sort_config_static_selectorELNS0_4arch9wavefront6targetE1EEEvSE_,"axG",@progbits,_ZN7rocprim17ROCPRIM_400000_NS6detail17trampoline_kernelINS0_14default_configENS1_35radix_sort_onesweep_config_selectorIaNS0_10empty_typeEEEZZNS1_29radix_sort_onesweep_iterationIS3_Lb1EPaS8_PS5_S9_mNS0_19identity_decomposerENS1_16block_id_wrapperIjLb0EEEEE10hipError_tT1_PNSt15iterator_traitsISE_E10value_typeET2_T3_PNSF_ISK_E10value_typeET4_T5_PSP_SQ_PNS1_23onesweep_lookback_stateEbbT6_jjT7_P12ihipStream_tbENKUlT_T0_SE_SJ_E_clIS8_S8_S9_S9_EEDaSX_SY_SE_SJ_EUlSX_E_NS1_11comp_targetILNS1_3genE9ELNS1_11target_archE1100ELNS1_3gpuE3ELNS1_3repE0EEENS1_47radix_sort_onesweep_sort_config_static_selectorELNS0_4arch9wavefront6targetE1EEEvSE_,comdat
	.protected	_ZN7rocprim17ROCPRIM_400000_NS6detail17trampoline_kernelINS0_14default_configENS1_35radix_sort_onesweep_config_selectorIaNS0_10empty_typeEEEZZNS1_29radix_sort_onesweep_iterationIS3_Lb1EPaS8_PS5_S9_mNS0_19identity_decomposerENS1_16block_id_wrapperIjLb0EEEEE10hipError_tT1_PNSt15iterator_traitsISE_E10value_typeET2_T3_PNSF_ISK_E10value_typeET4_T5_PSP_SQ_PNS1_23onesweep_lookback_stateEbbT6_jjT7_P12ihipStream_tbENKUlT_T0_SE_SJ_E_clIS8_S8_S9_S9_EEDaSX_SY_SE_SJ_EUlSX_E_NS1_11comp_targetILNS1_3genE9ELNS1_11target_archE1100ELNS1_3gpuE3ELNS1_3repE0EEENS1_47radix_sort_onesweep_sort_config_static_selectorELNS0_4arch9wavefront6targetE1EEEvSE_ ; -- Begin function _ZN7rocprim17ROCPRIM_400000_NS6detail17trampoline_kernelINS0_14default_configENS1_35radix_sort_onesweep_config_selectorIaNS0_10empty_typeEEEZZNS1_29radix_sort_onesweep_iterationIS3_Lb1EPaS8_PS5_S9_mNS0_19identity_decomposerENS1_16block_id_wrapperIjLb0EEEEE10hipError_tT1_PNSt15iterator_traitsISE_E10value_typeET2_T3_PNSF_ISK_E10value_typeET4_T5_PSP_SQ_PNS1_23onesweep_lookback_stateEbbT6_jjT7_P12ihipStream_tbENKUlT_T0_SE_SJ_E_clIS8_S8_S9_S9_EEDaSX_SY_SE_SJ_EUlSX_E_NS1_11comp_targetILNS1_3genE9ELNS1_11target_archE1100ELNS1_3gpuE3ELNS1_3repE0EEENS1_47radix_sort_onesweep_sort_config_static_selectorELNS0_4arch9wavefront6targetE1EEEvSE_
	.globl	_ZN7rocprim17ROCPRIM_400000_NS6detail17trampoline_kernelINS0_14default_configENS1_35radix_sort_onesweep_config_selectorIaNS0_10empty_typeEEEZZNS1_29radix_sort_onesweep_iterationIS3_Lb1EPaS8_PS5_S9_mNS0_19identity_decomposerENS1_16block_id_wrapperIjLb0EEEEE10hipError_tT1_PNSt15iterator_traitsISE_E10value_typeET2_T3_PNSF_ISK_E10value_typeET4_T5_PSP_SQ_PNS1_23onesweep_lookback_stateEbbT6_jjT7_P12ihipStream_tbENKUlT_T0_SE_SJ_E_clIS8_S8_S9_S9_EEDaSX_SY_SE_SJ_EUlSX_E_NS1_11comp_targetILNS1_3genE9ELNS1_11target_archE1100ELNS1_3gpuE3ELNS1_3repE0EEENS1_47radix_sort_onesweep_sort_config_static_selectorELNS0_4arch9wavefront6targetE1EEEvSE_
	.p2align	8
	.type	_ZN7rocprim17ROCPRIM_400000_NS6detail17trampoline_kernelINS0_14default_configENS1_35radix_sort_onesweep_config_selectorIaNS0_10empty_typeEEEZZNS1_29radix_sort_onesweep_iterationIS3_Lb1EPaS8_PS5_S9_mNS0_19identity_decomposerENS1_16block_id_wrapperIjLb0EEEEE10hipError_tT1_PNSt15iterator_traitsISE_E10value_typeET2_T3_PNSF_ISK_E10value_typeET4_T5_PSP_SQ_PNS1_23onesweep_lookback_stateEbbT6_jjT7_P12ihipStream_tbENKUlT_T0_SE_SJ_E_clIS8_S8_S9_S9_EEDaSX_SY_SE_SJ_EUlSX_E_NS1_11comp_targetILNS1_3genE9ELNS1_11target_archE1100ELNS1_3gpuE3ELNS1_3repE0EEENS1_47radix_sort_onesweep_sort_config_static_selectorELNS0_4arch9wavefront6targetE1EEEvSE_,@function
_ZN7rocprim17ROCPRIM_400000_NS6detail17trampoline_kernelINS0_14default_configENS1_35radix_sort_onesweep_config_selectorIaNS0_10empty_typeEEEZZNS1_29radix_sort_onesweep_iterationIS3_Lb1EPaS8_PS5_S9_mNS0_19identity_decomposerENS1_16block_id_wrapperIjLb0EEEEE10hipError_tT1_PNSt15iterator_traitsISE_E10value_typeET2_T3_PNSF_ISK_E10value_typeET4_T5_PSP_SQ_PNS1_23onesweep_lookback_stateEbbT6_jjT7_P12ihipStream_tbENKUlT_T0_SE_SJ_E_clIS8_S8_S9_S9_EEDaSX_SY_SE_SJ_EUlSX_E_NS1_11comp_targetILNS1_3genE9ELNS1_11target_archE1100ELNS1_3gpuE3ELNS1_3repE0EEENS1_47radix_sort_onesweep_sort_config_static_selectorELNS0_4arch9wavefront6targetE1EEEvSE_: ; @_ZN7rocprim17ROCPRIM_400000_NS6detail17trampoline_kernelINS0_14default_configENS1_35radix_sort_onesweep_config_selectorIaNS0_10empty_typeEEEZZNS1_29radix_sort_onesweep_iterationIS3_Lb1EPaS8_PS5_S9_mNS0_19identity_decomposerENS1_16block_id_wrapperIjLb0EEEEE10hipError_tT1_PNSt15iterator_traitsISE_E10value_typeET2_T3_PNSF_ISK_E10value_typeET4_T5_PSP_SQ_PNS1_23onesweep_lookback_stateEbbT6_jjT7_P12ihipStream_tbENKUlT_T0_SE_SJ_E_clIS8_S8_S9_S9_EEDaSX_SY_SE_SJ_EUlSX_E_NS1_11comp_targetILNS1_3genE9ELNS1_11target_archE1100ELNS1_3gpuE3ELNS1_3repE0EEENS1_47radix_sort_onesweep_sort_config_static_selectorELNS0_4arch9wavefront6targetE1EEEvSE_
; %bb.0:
	.section	.rodata,"a",@progbits
	.p2align	6, 0x0
	.amdhsa_kernel _ZN7rocprim17ROCPRIM_400000_NS6detail17trampoline_kernelINS0_14default_configENS1_35radix_sort_onesweep_config_selectorIaNS0_10empty_typeEEEZZNS1_29radix_sort_onesweep_iterationIS3_Lb1EPaS8_PS5_S9_mNS0_19identity_decomposerENS1_16block_id_wrapperIjLb0EEEEE10hipError_tT1_PNSt15iterator_traitsISE_E10value_typeET2_T3_PNSF_ISK_E10value_typeET4_T5_PSP_SQ_PNS1_23onesweep_lookback_stateEbbT6_jjT7_P12ihipStream_tbENKUlT_T0_SE_SJ_E_clIS8_S8_S9_S9_EEDaSX_SY_SE_SJ_EUlSX_E_NS1_11comp_targetILNS1_3genE9ELNS1_11target_archE1100ELNS1_3gpuE3ELNS1_3repE0EEENS1_47radix_sort_onesweep_sort_config_static_selectorELNS0_4arch9wavefront6targetE1EEEvSE_
		.amdhsa_group_segment_fixed_size 0
		.amdhsa_private_segment_fixed_size 0
		.amdhsa_kernarg_size 88
		.amdhsa_user_sgpr_count 6
		.amdhsa_user_sgpr_private_segment_buffer 1
		.amdhsa_user_sgpr_dispatch_ptr 0
		.amdhsa_user_sgpr_queue_ptr 0
		.amdhsa_user_sgpr_kernarg_segment_ptr 1
		.amdhsa_user_sgpr_dispatch_id 0
		.amdhsa_user_sgpr_flat_scratch_init 0
		.amdhsa_user_sgpr_kernarg_preload_length 0
		.amdhsa_user_sgpr_kernarg_preload_offset 0
		.amdhsa_user_sgpr_private_segment_size 0
		.amdhsa_uses_dynamic_stack 0
		.amdhsa_system_sgpr_private_segment_wavefront_offset 0
		.amdhsa_system_sgpr_workgroup_id_x 1
		.amdhsa_system_sgpr_workgroup_id_y 0
		.amdhsa_system_sgpr_workgroup_id_z 0
		.amdhsa_system_sgpr_workgroup_info 0
		.amdhsa_system_vgpr_workitem_id 0
		.amdhsa_next_free_vgpr 1
		.amdhsa_next_free_sgpr 0
		.amdhsa_accum_offset 4
		.amdhsa_reserve_vcc 0
		.amdhsa_reserve_flat_scratch 0
		.amdhsa_float_round_mode_32 0
		.amdhsa_float_round_mode_16_64 0
		.amdhsa_float_denorm_mode_32 3
		.amdhsa_float_denorm_mode_16_64 3
		.amdhsa_dx10_clamp 1
		.amdhsa_ieee_mode 1
		.amdhsa_fp16_overflow 0
		.amdhsa_tg_split 0
		.amdhsa_exception_fp_ieee_invalid_op 0
		.amdhsa_exception_fp_denorm_src 0
		.amdhsa_exception_fp_ieee_div_zero 0
		.amdhsa_exception_fp_ieee_overflow 0
		.amdhsa_exception_fp_ieee_underflow 0
		.amdhsa_exception_fp_ieee_inexact 0
		.amdhsa_exception_int_div_zero 0
	.end_amdhsa_kernel
	.section	.text._ZN7rocprim17ROCPRIM_400000_NS6detail17trampoline_kernelINS0_14default_configENS1_35radix_sort_onesweep_config_selectorIaNS0_10empty_typeEEEZZNS1_29radix_sort_onesweep_iterationIS3_Lb1EPaS8_PS5_S9_mNS0_19identity_decomposerENS1_16block_id_wrapperIjLb0EEEEE10hipError_tT1_PNSt15iterator_traitsISE_E10value_typeET2_T3_PNSF_ISK_E10value_typeET4_T5_PSP_SQ_PNS1_23onesweep_lookback_stateEbbT6_jjT7_P12ihipStream_tbENKUlT_T0_SE_SJ_E_clIS8_S8_S9_S9_EEDaSX_SY_SE_SJ_EUlSX_E_NS1_11comp_targetILNS1_3genE9ELNS1_11target_archE1100ELNS1_3gpuE3ELNS1_3repE0EEENS1_47radix_sort_onesweep_sort_config_static_selectorELNS0_4arch9wavefront6targetE1EEEvSE_,"axG",@progbits,_ZN7rocprim17ROCPRIM_400000_NS6detail17trampoline_kernelINS0_14default_configENS1_35radix_sort_onesweep_config_selectorIaNS0_10empty_typeEEEZZNS1_29radix_sort_onesweep_iterationIS3_Lb1EPaS8_PS5_S9_mNS0_19identity_decomposerENS1_16block_id_wrapperIjLb0EEEEE10hipError_tT1_PNSt15iterator_traitsISE_E10value_typeET2_T3_PNSF_ISK_E10value_typeET4_T5_PSP_SQ_PNS1_23onesweep_lookback_stateEbbT6_jjT7_P12ihipStream_tbENKUlT_T0_SE_SJ_E_clIS8_S8_S9_S9_EEDaSX_SY_SE_SJ_EUlSX_E_NS1_11comp_targetILNS1_3genE9ELNS1_11target_archE1100ELNS1_3gpuE3ELNS1_3repE0EEENS1_47radix_sort_onesweep_sort_config_static_selectorELNS0_4arch9wavefront6targetE1EEEvSE_,comdat
.Lfunc_end1656:
	.size	_ZN7rocprim17ROCPRIM_400000_NS6detail17trampoline_kernelINS0_14default_configENS1_35radix_sort_onesweep_config_selectorIaNS0_10empty_typeEEEZZNS1_29radix_sort_onesweep_iterationIS3_Lb1EPaS8_PS5_S9_mNS0_19identity_decomposerENS1_16block_id_wrapperIjLb0EEEEE10hipError_tT1_PNSt15iterator_traitsISE_E10value_typeET2_T3_PNSF_ISK_E10value_typeET4_T5_PSP_SQ_PNS1_23onesweep_lookback_stateEbbT6_jjT7_P12ihipStream_tbENKUlT_T0_SE_SJ_E_clIS8_S8_S9_S9_EEDaSX_SY_SE_SJ_EUlSX_E_NS1_11comp_targetILNS1_3genE9ELNS1_11target_archE1100ELNS1_3gpuE3ELNS1_3repE0EEENS1_47radix_sort_onesweep_sort_config_static_selectorELNS0_4arch9wavefront6targetE1EEEvSE_, .Lfunc_end1656-_ZN7rocprim17ROCPRIM_400000_NS6detail17trampoline_kernelINS0_14default_configENS1_35radix_sort_onesweep_config_selectorIaNS0_10empty_typeEEEZZNS1_29radix_sort_onesweep_iterationIS3_Lb1EPaS8_PS5_S9_mNS0_19identity_decomposerENS1_16block_id_wrapperIjLb0EEEEE10hipError_tT1_PNSt15iterator_traitsISE_E10value_typeET2_T3_PNSF_ISK_E10value_typeET4_T5_PSP_SQ_PNS1_23onesweep_lookback_stateEbbT6_jjT7_P12ihipStream_tbENKUlT_T0_SE_SJ_E_clIS8_S8_S9_S9_EEDaSX_SY_SE_SJ_EUlSX_E_NS1_11comp_targetILNS1_3genE9ELNS1_11target_archE1100ELNS1_3gpuE3ELNS1_3repE0EEENS1_47radix_sort_onesweep_sort_config_static_selectorELNS0_4arch9wavefront6targetE1EEEvSE_
                                        ; -- End function
	.section	.AMDGPU.csdata,"",@progbits
; Kernel info:
; codeLenInByte = 0
; NumSgprs: 4
; NumVgprs: 0
; NumAgprs: 0
; TotalNumVgprs: 0
; ScratchSize: 0
; MemoryBound: 0
; FloatMode: 240
; IeeeMode: 1
; LDSByteSize: 0 bytes/workgroup (compile time only)
; SGPRBlocks: 0
; VGPRBlocks: 0
; NumSGPRsForWavesPerEU: 4
; NumVGPRsForWavesPerEU: 1
; AccumOffset: 4
; Occupancy: 8
; WaveLimiterHint : 0
; COMPUTE_PGM_RSRC2:SCRATCH_EN: 0
; COMPUTE_PGM_RSRC2:USER_SGPR: 6
; COMPUTE_PGM_RSRC2:TRAP_HANDLER: 0
; COMPUTE_PGM_RSRC2:TGID_X_EN: 1
; COMPUTE_PGM_RSRC2:TGID_Y_EN: 0
; COMPUTE_PGM_RSRC2:TGID_Z_EN: 0
; COMPUTE_PGM_RSRC2:TIDIG_COMP_CNT: 0
; COMPUTE_PGM_RSRC3_GFX90A:ACCUM_OFFSET: 0
; COMPUTE_PGM_RSRC3_GFX90A:TG_SPLIT: 0
	.section	.text._ZN7rocprim17ROCPRIM_400000_NS6detail17trampoline_kernelINS0_14default_configENS1_35radix_sort_onesweep_config_selectorIaNS0_10empty_typeEEEZZNS1_29radix_sort_onesweep_iterationIS3_Lb1EPaS8_PS5_S9_mNS0_19identity_decomposerENS1_16block_id_wrapperIjLb0EEEEE10hipError_tT1_PNSt15iterator_traitsISE_E10value_typeET2_T3_PNSF_ISK_E10value_typeET4_T5_PSP_SQ_PNS1_23onesweep_lookback_stateEbbT6_jjT7_P12ihipStream_tbENKUlT_T0_SE_SJ_E_clIS8_S8_S9_S9_EEDaSX_SY_SE_SJ_EUlSX_E_NS1_11comp_targetILNS1_3genE8ELNS1_11target_archE1030ELNS1_3gpuE2ELNS1_3repE0EEENS1_47radix_sort_onesweep_sort_config_static_selectorELNS0_4arch9wavefront6targetE1EEEvSE_,"axG",@progbits,_ZN7rocprim17ROCPRIM_400000_NS6detail17trampoline_kernelINS0_14default_configENS1_35radix_sort_onesweep_config_selectorIaNS0_10empty_typeEEEZZNS1_29radix_sort_onesweep_iterationIS3_Lb1EPaS8_PS5_S9_mNS0_19identity_decomposerENS1_16block_id_wrapperIjLb0EEEEE10hipError_tT1_PNSt15iterator_traitsISE_E10value_typeET2_T3_PNSF_ISK_E10value_typeET4_T5_PSP_SQ_PNS1_23onesweep_lookback_stateEbbT6_jjT7_P12ihipStream_tbENKUlT_T0_SE_SJ_E_clIS8_S8_S9_S9_EEDaSX_SY_SE_SJ_EUlSX_E_NS1_11comp_targetILNS1_3genE8ELNS1_11target_archE1030ELNS1_3gpuE2ELNS1_3repE0EEENS1_47radix_sort_onesweep_sort_config_static_selectorELNS0_4arch9wavefront6targetE1EEEvSE_,comdat
	.protected	_ZN7rocprim17ROCPRIM_400000_NS6detail17trampoline_kernelINS0_14default_configENS1_35radix_sort_onesweep_config_selectorIaNS0_10empty_typeEEEZZNS1_29radix_sort_onesweep_iterationIS3_Lb1EPaS8_PS5_S9_mNS0_19identity_decomposerENS1_16block_id_wrapperIjLb0EEEEE10hipError_tT1_PNSt15iterator_traitsISE_E10value_typeET2_T3_PNSF_ISK_E10value_typeET4_T5_PSP_SQ_PNS1_23onesweep_lookback_stateEbbT6_jjT7_P12ihipStream_tbENKUlT_T0_SE_SJ_E_clIS8_S8_S9_S9_EEDaSX_SY_SE_SJ_EUlSX_E_NS1_11comp_targetILNS1_3genE8ELNS1_11target_archE1030ELNS1_3gpuE2ELNS1_3repE0EEENS1_47radix_sort_onesweep_sort_config_static_selectorELNS0_4arch9wavefront6targetE1EEEvSE_ ; -- Begin function _ZN7rocprim17ROCPRIM_400000_NS6detail17trampoline_kernelINS0_14default_configENS1_35radix_sort_onesweep_config_selectorIaNS0_10empty_typeEEEZZNS1_29radix_sort_onesweep_iterationIS3_Lb1EPaS8_PS5_S9_mNS0_19identity_decomposerENS1_16block_id_wrapperIjLb0EEEEE10hipError_tT1_PNSt15iterator_traitsISE_E10value_typeET2_T3_PNSF_ISK_E10value_typeET4_T5_PSP_SQ_PNS1_23onesweep_lookback_stateEbbT6_jjT7_P12ihipStream_tbENKUlT_T0_SE_SJ_E_clIS8_S8_S9_S9_EEDaSX_SY_SE_SJ_EUlSX_E_NS1_11comp_targetILNS1_3genE8ELNS1_11target_archE1030ELNS1_3gpuE2ELNS1_3repE0EEENS1_47radix_sort_onesweep_sort_config_static_selectorELNS0_4arch9wavefront6targetE1EEEvSE_
	.globl	_ZN7rocprim17ROCPRIM_400000_NS6detail17trampoline_kernelINS0_14default_configENS1_35radix_sort_onesweep_config_selectorIaNS0_10empty_typeEEEZZNS1_29radix_sort_onesweep_iterationIS3_Lb1EPaS8_PS5_S9_mNS0_19identity_decomposerENS1_16block_id_wrapperIjLb0EEEEE10hipError_tT1_PNSt15iterator_traitsISE_E10value_typeET2_T3_PNSF_ISK_E10value_typeET4_T5_PSP_SQ_PNS1_23onesweep_lookback_stateEbbT6_jjT7_P12ihipStream_tbENKUlT_T0_SE_SJ_E_clIS8_S8_S9_S9_EEDaSX_SY_SE_SJ_EUlSX_E_NS1_11comp_targetILNS1_3genE8ELNS1_11target_archE1030ELNS1_3gpuE2ELNS1_3repE0EEENS1_47radix_sort_onesweep_sort_config_static_selectorELNS0_4arch9wavefront6targetE1EEEvSE_
	.p2align	8
	.type	_ZN7rocprim17ROCPRIM_400000_NS6detail17trampoline_kernelINS0_14default_configENS1_35radix_sort_onesweep_config_selectorIaNS0_10empty_typeEEEZZNS1_29radix_sort_onesweep_iterationIS3_Lb1EPaS8_PS5_S9_mNS0_19identity_decomposerENS1_16block_id_wrapperIjLb0EEEEE10hipError_tT1_PNSt15iterator_traitsISE_E10value_typeET2_T3_PNSF_ISK_E10value_typeET4_T5_PSP_SQ_PNS1_23onesweep_lookback_stateEbbT6_jjT7_P12ihipStream_tbENKUlT_T0_SE_SJ_E_clIS8_S8_S9_S9_EEDaSX_SY_SE_SJ_EUlSX_E_NS1_11comp_targetILNS1_3genE8ELNS1_11target_archE1030ELNS1_3gpuE2ELNS1_3repE0EEENS1_47radix_sort_onesweep_sort_config_static_selectorELNS0_4arch9wavefront6targetE1EEEvSE_,@function
_ZN7rocprim17ROCPRIM_400000_NS6detail17trampoline_kernelINS0_14default_configENS1_35radix_sort_onesweep_config_selectorIaNS0_10empty_typeEEEZZNS1_29radix_sort_onesweep_iterationIS3_Lb1EPaS8_PS5_S9_mNS0_19identity_decomposerENS1_16block_id_wrapperIjLb0EEEEE10hipError_tT1_PNSt15iterator_traitsISE_E10value_typeET2_T3_PNSF_ISK_E10value_typeET4_T5_PSP_SQ_PNS1_23onesweep_lookback_stateEbbT6_jjT7_P12ihipStream_tbENKUlT_T0_SE_SJ_E_clIS8_S8_S9_S9_EEDaSX_SY_SE_SJ_EUlSX_E_NS1_11comp_targetILNS1_3genE8ELNS1_11target_archE1030ELNS1_3gpuE2ELNS1_3repE0EEENS1_47radix_sort_onesweep_sort_config_static_selectorELNS0_4arch9wavefront6targetE1EEEvSE_: ; @_ZN7rocprim17ROCPRIM_400000_NS6detail17trampoline_kernelINS0_14default_configENS1_35radix_sort_onesweep_config_selectorIaNS0_10empty_typeEEEZZNS1_29radix_sort_onesweep_iterationIS3_Lb1EPaS8_PS5_S9_mNS0_19identity_decomposerENS1_16block_id_wrapperIjLb0EEEEE10hipError_tT1_PNSt15iterator_traitsISE_E10value_typeET2_T3_PNSF_ISK_E10value_typeET4_T5_PSP_SQ_PNS1_23onesweep_lookback_stateEbbT6_jjT7_P12ihipStream_tbENKUlT_T0_SE_SJ_E_clIS8_S8_S9_S9_EEDaSX_SY_SE_SJ_EUlSX_E_NS1_11comp_targetILNS1_3genE8ELNS1_11target_archE1030ELNS1_3gpuE2ELNS1_3repE0EEENS1_47radix_sort_onesweep_sort_config_static_selectorELNS0_4arch9wavefront6targetE1EEEvSE_
; %bb.0:
	.section	.rodata,"a",@progbits
	.p2align	6, 0x0
	.amdhsa_kernel _ZN7rocprim17ROCPRIM_400000_NS6detail17trampoline_kernelINS0_14default_configENS1_35radix_sort_onesweep_config_selectorIaNS0_10empty_typeEEEZZNS1_29radix_sort_onesweep_iterationIS3_Lb1EPaS8_PS5_S9_mNS0_19identity_decomposerENS1_16block_id_wrapperIjLb0EEEEE10hipError_tT1_PNSt15iterator_traitsISE_E10value_typeET2_T3_PNSF_ISK_E10value_typeET4_T5_PSP_SQ_PNS1_23onesweep_lookback_stateEbbT6_jjT7_P12ihipStream_tbENKUlT_T0_SE_SJ_E_clIS8_S8_S9_S9_EEDaSX_SY_SE_SJ_EUlSX_E_NS1_11comp_targetILNS1_3genE8ELNS1_11target_archE1030ELNS1_3gpuE2ELNS1_3repE0EEENS1_47radix_sort_onesweep_sort_config_static_selectorELNS0_4arch9wavefront6targetE1EEEvSE_
		.amdhsa_group_segment_fixed_size 0
		.amdhsa_private_segment_fixed_size 0
		.amdhsa_kernarg_size 88
		.amdhsa_user_sgpr_count 6
		.amdhsa_user_sgpr_private_segment_buffer 1
		.amdhsa_user_sgpr_dispatch_ptr 0
		.amdhsa_user_sgpr_queue_ptr 0
		.amdhsa_user_sgpr_kernarg_segment_ptr 1
		.amdhsa_user_sgpr_dispatch_id 0
		.amdhsa_user_sgpr_flat_scratch_init 0
		.amdhsa_user_sgpr_kernarg_preload_length 0
		.amdhsa_user_sgpr_kernarg_preload_offset 0
		.amdhsa_user_sgpr_private_segment_size 0
		.amdhsa_uses_dynamic_stack 0
		.amdhsa_system_sgpr_private_segment_wavefront_offset 0
		.amdhsa_system_sgpr_workgroup_id_x 1
		.amdhsa_system_sgpr_workgroup_id_y 0
		.amdhsa_system_sgpr_workgroup_id_z 0
		.amdhsa_system_sgpr_workgroup_info 0
		.amdhsa_system_vgpr_workitem_id 0
		.amdhsa_next_free_vgpr 1
		.amdhsa_next_free_sgpr 0
		.amdhsa_accum_offset 4
		.amdhsa_reserve_vcc 0
		.amdhsa_reserve_flat_scratch 0
		.amdhsa_float_round_mode_32 0
		.amdhsa_float_round_mode_16_64 0
		.amdhsa_float_denorm_mode_32 3
		.amdhsa_float_denorm_mode_16_64 3
		.amdhsa_dx10_clamp 1
		.amdhsa_ieee_mode 1
		.amdhsa_fp16_overflow 0
		.amdhsa_tg_split 0
		.amdhsa_exception_fp_ieee_invalid_op 0
		.amdhsa_exception_fp_denorm_src 0
		.amdhsa_exception_fp_ieee_div_zero 0
		.amdhsa_exception_fp_ieee_overflow 0
		.amdhsa_exception_fp_ieee_underflow 0
		.amdhsa_exception_fp_ieee_inexact 0
		.amdhsa_exception_int_div_zero 0
	.end_amdhsa_kernel
	.section	.text._ZN7rocprim17ROCPRIM_400000_NS6detail17trampoline_kernelINS0_14default_configENS1_35radix_sort_onesweep_config_selectorIaNS0_10empty_typeEEEZZNS1_29radix_sort_onesweep_iterationIS3_Lb1EPaS8_PS5_S9_mNS0_19identity_decomposerENS1_16block_id_wrapperIjLb0EEEEE10hipError_tT1_PNSt15iterator_traitsISE_E10value_typeET2_T3_PNSF_ISK_E10value_typeET4_T5_PSP_SQ_PNS1_23onesweep_lookback_stateEbbT6_jjT7_P12ihipStream_tbENKUlT_T0_SE_SJ_E_clIS8_S8_S9_S9_EEDaSX_SY_SE_SJ_EUlSX_E_NS1_11comp_targetILNS1_3genE8ELNS1_11target_archE1030ELNS1_3gpuE2ELNS1_3repE0EEENS1_47radix_sort_onesweep_sort_config_static_selectorELNS0_4arch9wavefront6targetE1EEEvSE_,"axG",@progbits,_ZN7rocprim17ROCPRIM_400000_NS6detail17trampoline_kernelINS0_14default_configENS1_35radix_sort_onesweep_config_selectorIaNS0_10empty_typeEEEZZNS1_29radix_sort_onesweep_iterationIS3_Lb1EPaS8_PS5_S9_mNS0_19identity_decomposerENS1_16block_id_wrapperIjLb0EEEEE10hipError_tT1_PNSt15iterator_traitsISE_E10value_typeET2_T3_PNSF_ISK_E10value_typeET4_T5_PSP_SQ_PNS1_23onesweep_lookback_stateEbbT6_jjT7_P12ihipStream_tbENKUlT_T0_SE_SJ_E_clIS8_S8_S9_S9_EEDaSX_SY_SE_SJ_EUlSX_E_NS1_11comp_targetILNS1_3genE8ELNS1_11target_archE1030ELNS1_3gpuE2ELNS1_3repE0EEENS1_47radix_sort_onesweep_sort_config_static_selectorELNS0_4arch9wavefront6targetE1EEEvSE_,comdat
.Lfunc_end1657:
	.size	_ZN7rocprim17ROCPRIM_400000_NS6detail17trampoline_kernelINS0_14default_configENS1_35radix_sort_onesweep_config_selectorIaNS0_10empty_typeEEEZZNS1_29radix_sort_onesweep_iterationIS3_Lb1EPaS8_PS5_S9_mNS0_19identity_decomposerENS1_16block_id_wrapperIjLb0EEEEE10hipError_tT1_PNSt15iterator_traitsISE_E10value_typeET2_T3_PNSF_ISK_E10value_typeET4_T5_PSP_SQ_PNS1_23onesweep_lookback_stateEbbT6_jjT7_P12ihipStream_tbENKUlT_T0_SE_SJ_E_clIS8_S8_S9_S9_EEDaSX_SY_SE_SJ_EUlSX_E_NS1_11comp_targetILNS1_3genE8ELNS1_11target_archE1030ELNS1_3gpuE2ELNS1_3repE0EEENS1_47radix_sort_onesweep_sort_config_static_selectorELNS0_4arch9wavefront6targetE1EEEvSE_, .Lfunc_end1657-_ZN7rocprim17ROCPRIM_400000_NS6detail17trampoline_kernelINS0_14default_configENS1_35radix_sort_onesweep_config_selectorIaNS0_10empty_typeEEEZZNS1_29radix_sort_onesweep_iterationIS3_Lb1EPaS8_PS5_S9_mNS0_19identity_decomposerENS1_16block_id_wrapperIjLb0EEEEE10hipError_tT1_PNSt15iterator_traitsISE_E10value_typeET2_T3_PNSF_ISK_E10value_typeET4_T5_PSP_SQ_PNS1_23onesweep_lookback_stateEbbT6_jjT7_P12ihipStream_tbENKUlT_T0_SE_SJ_E_clIS8_S8_S9_S9_EEDaSX_SY_SE_SJ_EUlSX_E_NS1_11comp_targetILNS1_3genE8ELNS1_11target_archE1030ELNS1_3gpuE2ELNS1_3repE0EEENS1_47radix_sort_onesweep_sort_config_static_selectorELNS0_4arch9wavefront6targetE1EEEvSE_
                                        ; -- End function
	.section	.AMDGPU.csdata,"",@progbits
; Kernel info:
; codeLenInByte = 0
; NumSgprs: 4
; NumVgprs: 0
; NumAgprs: 0
; TotalNumVgprs: 0
; ScratchSize: 0
; MemoryBound: 0
; FloatMode: 240
; IeeeMode: 1
; LDSByteSize: 0 bytes/workgroup (compile time only)
; SGPRBlocks: 0
; VGPRBlocks: 0
; NumSGPRsForWavesPerEU: 4
; NumVGPRsForWavesPerEU: 1
; AccumOffset: 4
; Occupancy: 8
; WaveLimiterHint : 0
; COMPUTE_PGM_RSRC2:SCRATCH_EN: 0
; COMPUTE_PGM_RSRC2:USER_SGPR: 6
; COMPUTE_PGM_RSRC2:TRAP_HANDLER: 0
; COMPUTE_PGM_RSRC2:TGID_X_EN: 1
; COMPUTE_PGM_RSRC2:TGID_Y_EN: 0
; COMPUTE_PGM_RSRC2:TGID_Z_EN: 0
; COMPUTE_PGM_RSRC2:TIDIG_COMP_CNT: 0
; COMPUTE_PGM_RSRC3_GFX90A:ACCUM_OFFSET: 0
; COMPUTE_PGM_RSRC3_GFX90A:TG_SPLIT: 0
	.section	.text._ZN7rocprim17ROCPRIM_400000_NS6detail17trampoline_kernelINS0_13kernel_configILj256ELj4ELj4294967295EEENS1_37radix_sort_block_sort_config_selectorIhNS0_10empty_typeEEEZNS1_21radix_sort_block_sortIS4_Lb1EPhS9_PS6_SA_NS0_19identity_decomposerEEE10hipError_tT1_T2_T3_T4_jRjT5_jjP12ihipStream_tbEUlT_E_NS1_11comp_targetILNS1_3genE0ELNS1_11target_archE4294967295ELNS1_3gpuE0ELNS1_3repE0EEENS1_44radix_sort_block_sort_config_static_selectorELNS0_4arch9wavefront6targetE1EEEvSD_,"axG",@progbits,_ZN7rocprim17ROCPRIM_400000_NS6detail17trampoline_kernelINS0_13kernel_configILj256ELj4ELj4294967295EEENS1_37radix_sort_block_sort_config_selectorIhNS0_10empty_typeEEEZNS1_21radix_sort_block_sortIS4_Lb1EPhS9_PS6_SA_NS0_19identity_decomposerEEE10hipError_tT1_T2_T3_T4_jRjT5_jjP12ihipStream_tbEUlT_E_NS1_11comp_targetILNS1_3genE0ELNS1_11target_archE4294967295ELNS1_3gpuE0ELNS1_3repE0EEENS1_44radix_sort_block_sort_config_static_selectorELNS0_4arch9wavefront6targetE1EEEvSD_,comdat
	.protected	_ZN7rocprim17ROCPRIM_400000_NS6detail17trampoline_kernelINS0_13kernel_configILj256ELj4ELj4294967295EEENS1_37radix_sort_block_sort_config_selectorIhNS0_10empty_typeEEEZNS1_21radix_sort_block_sortIS4_Lb1EPhS9_PS6_SA_NS0_19identity_decomposerEEE10hipError_tT1_T2_T3_T4_jRjT5_jjP12ihipStream_tbEUlT_E_NS1_11comp_targetILNS1_3genE0ELNS1_11target_archE4294967295ELNS1_3gpuE0ELNS1_3repE0EEENS1_44radix_sort_block_sort_config_static_selectorELNS0_4arch9wavefront6targetE1EEEvSD_ ; -- Begin function _ZN7rocprim17ROCPRIM_400000_NS6detail17trampoline_kernelINS0_13kernel_configILj256ELj4ELj4294967295EEENS1_37radix_sort_block_sort_config_selectorIhNS0_10empty_typeEEEZNS1_21radix_sort_block_sortIS4_Lb1EPhS9_PS6_SA_NS0_19identity_decomposerEEE10hipError_tT1_T2_T3_T4_jRjT5_jjP12ihipStream_tbEUlT_E_NS1_11comp_targetILNS1_3genE0ELNS1_11target_archE4294967295ELNS1_3gpuE0ELNS1_3repE0EEENS1_44radix_sort_block_sort_config_static_selectorELNS0_4arch9wavefront6targetE1EEEvSD_
	.globl	_ZN7rocprim17ROCPRIM_400000_NS6detail17trampoline_kernelINS0_13kernel_configILj256ELj4ELj4294967295EEENS1_37radix_sort_block_sort_config_selectorIhNS0_10empty_typeEEEZNS1_21radix_sort_block_sortIS4_Lb1EPhS9_PS6_SA_NS0_19identity_decomposerEEE10hipError_tT1_T2_T3_T4_jRjT5_jjP12ihipStream_tbEUlT_E_NS1_11comp_targetILNS1_3genE0ELNS1_11target_archE4294967295ELNS1_3gpuE0ELNS1_3repE0EEENS1_44radix_sort_block_sort_config_static_selectorELNS0_4arch9wavefront6targetE1EEEvSD_
	.p2align	8
	.type	_ZN7rocprim17ROCPRIM_400000_NS6detail17trampoline_kernelINS0_13kernel_configILj256ELj4ELj4294967295EEENS1_37radix_sort_block_sort_config_selectorIhNS0_10empty_typeEEEZNS1_21radix_sort_block_sortIS4_Lb1EPhS9_PS6_SA_NS0_19identity_decomposerEEE10hipError_tT1_T2_T3_T4_jRjT5_jjP12ihipStream_tbEUlT_E_NS1_11comp_targetILNS1_3genE0ELNS1_11target_archE4294967295ELNS1_3gpuE0ELNS1_3repE0EEENS1_44radix_sort_block_sort_config_static_selectorELNS0_4arch9wavefront6targetE1EEEvSD_,@function
_ZN7rocprim17ROCPRIM_400000_NS6detail17trampoline_kernelINS0_13kernel_configILj256ELj4ELj4294967295EEENS1_37radix_sort_block_sort_config_selectorIhNS0_10empty_typeEEEZNS1_21radix_sort_block_sortIS4_Lb1EPhS9_PS6_SA_NS0_19identity_decomposerEEE10hipError_tT1_T2_T3_T4_jRjT5_jjP12ihipStream_tbEUlT_E_NS1_11comp_targetILNS1_3genE0ELNS1_11target_archE4294967295ELNS1_3gpuE0ELNS1_3repE0EEENS1_44radix_sort_block_sort_config_static_selectorELNS0_4arch9wavefront6targetE1EEEvSD_: ; @_ZN7rocprim17ROCPRIM_400000_NS6detail17trampoline_kernelINS0_13kernel_configILj256ELj4ELj4294967295EEENS1_37radix_sort_block_sort_config_selectorIhNS0_10empty_typeEEEZNS1_21radix_sort_block_sortIS4_Lb1EPhS9_PS6_SA_NS0_19identity_decomposerEEE10hipError_tT1_T2_T3_T4_jRjT5_jjP12ihipStream_tbEUlT_E_NS1_11comp_targetILNS1_3genE0ELNS1_11target_archE4294967295ELNS1_3gpuE0ELNS1_3repE0EEENS1_44radix_sort_block_sort_config_static_selectorELNS0_4arch9wavefront6targetE1EEEvSD_
; %bb.0:
	.section	.rodata,"a",@progbits
	.p2align	6, 0x0
	.amdhsa_kernel _ZN7rocprim17ROCPRIM_400000_NS6detail17trampoline_kernelINS0_13kernel_configILj256ELj4ELj4294967295EEENS1_37radix_sort_block_sort_config_selectorIhNS0_10empty_typeEEEZNS1_21radix_sort_block_sortIS4_Lb1EPhS9_PS6_SA_NS0_19identity_decomposerEEE10hipError_tT1_T2_T3_T4_jRjT5_jjP12ihipStream_tbEUlT_E_NS1_11comp_targetILNS1_3genE0ELNS1_11target_archE4294967295ELNS1_3gpuE0ELNS1_3repE0EEENS1_44radix_sort_block_sort_config_static_selectorELNS0_4arch9wavefront6targetE1EEEvSD_
		.amdhsa_group_segment_fixed_size 0
		.amdhsa_private_segment_fixed_size 0
		.amdhsa_kernarg_size 48
		.amdhsa_user_sgpr_count 6
		.amdhsa_user_sgpr_private_segment_buffer 1
		.amdhsa_user_sgpr_dispatch_ptr 0
		.amdhsa_user_sgpr_queue_ptr 0
		.amdhsa_user_sgpr_kernarg_segment_ptr 1
		.amdhsa_user_sgpr_dispatch_id 0
		.amdhsa_user_sgpr_flat_scratch_init 0
		.amdhsa_user_sgpr_kernarg_preload_length 0
		.amdhsa_user_sgpr_kernarg_preload_offset 0
		.amdhsa_user_sgpr_private_segment_size 0
		.amdhsa_uses_dynamic_stack 0
		.amdhsa_system_sgpr_private_segment_wavefront_offset 0
		.amdhsa_system_sgpr_workgroup_id_x 1
		.amdhsa_system_sgpr_workgroup_id_y 0
		.amdhsa_system_sgpr_workgroup_id_z 0
		.amdhsa_system_sgpr_workgroup_info 0
		.amdhsa_system_vgpr_workitem_id 0
		.amdhsa_next_free_vgpr 1
		.amdhsa_next_free_sgpr 0
		.amdhsa_accum_offset 4
		.amdhsa_reserve_vcc 0
		.amdhsa_reserve_flat_scratch 0
		.amdhsa_float_round_mode_32 0
		.amdhsa_float_round_mode_16_64 0
		.amdhsa_float_denorm_mode_32 3
		.amdhsa_float_denorm_mode_16_64 3
		.amdhsa_dx10_clamp 1
		.amdhsa_ieee_mode 1
		.amdhsa_fp16_overflow 0
		.amdhsa_tg_split 0
		.amdhsa_exception_fp_ieee_invalid_op 0
		.amdhsa_exception_fp_denorm_src 0
		.amdhsa_exception_fp_ieee_div_zero 0
		.amdhsa_exception_fp_ieee_overflow 0
		.amdhsa_exception_fp_ieee_underflow 0
		.amdhsa_exception_fp_ieee_inexact 0
		.amdhsa_exception_int_div_zero 0
	.end_amdhsa_kernel
	.section	.text._ZN7rocprim17ROCPRIM_400000_NS6detail17trampoline_kernelINS0_13kernel_configILj256ELj4ELj4294967295EEENS1_37radix_sort_block_sort_config_selectorIhNS0_10empty_typeEEEZNS1_21radix_sort_block_sortIS4_Lb1EPhS9_PS6_SA_NS0_19identity_decomposerEEE10hipError_tT1_T2_T3_T4_jRjT5_jjP12ihipStream_tbEUlT_E_NS1_11comp_targetILNS1_3genE0ELNS1_11target_archE4294967295ELNS1_3gpuE0ELNS1_3repE0EEENS1_44radix_sort_block_sort_config_static_selectorELNS0_4arch9wavefront6targetE1EEEvSD_,"axG",@progbits,_ZN7rocprim17ROCPRIM_400000_NS6detail17trampoline_kernelINS0_13kernel_configILj256ELj4ELj4294967295EEENS1_37radix_sort_block_sort_config_selectorIhNS0_10empty_typeEEEZNS1_21radix_sort_block_sortIS4_Lb1EPhS9_PS6_SA_NS0_19identity_decomposerEEE10hipError_tT1_T2_T3_T4_jRjT5_jjP12ihipStream_tbEUlT_E_NS1_11comp_targetILNS1_3genE0ELNS1_11target_archE4294967295ELNS1_3gpuE0ELNS1_3repE0EEENS1_44radix_sort_block_sort_config_static_selectorELNS0_4arch9wavefront6targetE1EEEvSD_,comdat
.Lfunc_end1658:
	.size	_ZN7rocprim17ROCPRIM_400000_NS6detail17trampoline_kernelINS0_13kernel_configILj256ELj4ELj4294967295EEENS1_37radix_sort_block_sort_config_selectorIhNS0_10empty_typeEEEZNS1_21radix_sort_block_sortIS4_Lb1EPhS9_PS6_SA_NS0_19identity_decomposerEEE10hipError_tT1_T2_T3_T4_jRjT5_jjP12ihipStream_tbEUlT_E_NS1_11comp_targetILNS1_3genE0ELNS1_11target_archE4294967295ELNS1_3gpuE0ELNS1_3repE0EEENS1_44radix_sort_block_sort_config_static_selectorELNS0_4arch9wavefront6targetE1EEEvSD_, .Lfunc_end1658-_ZN7rocprim17ROCPRIM_400000_NS6detail17trampoline_kernelINS0_13kernel_configILj256ELj4ELj4294967295EEENS1_37radix_sort_block_sort_config_selectorIhNS0_10empty_typeEEEZNS1_21radix_sort_block_sortIS4_Lb1EPhS9_PS6_SA_NS0_19identity_decomposerEEE10hipError_tT1_T2_T3_T4_jRjT5_jjP12ihipStream_tbEUlT_E_NS1_11comp_targetILNS1_3genE0ELNS1_11target_archE4294967295ELNS1_3gpuE0ELNS1_3repE0EEENS1_44radix_sort_block_sort_config_static_selectorELNS0_4arch9wavefront6targetE1EEEvSD_
                                        ; -- End function
	.section	.AMDGPU.csdata,"",@progbits
; Kernel info:
; codeLenInByte = 0
; NumSgprs: 4
; NumVgprs: 0
; NumAgprs: 0
; TotalNumVgprs: 0
; ScratchSize: 0
; MemoryBound: 0
; FloatMode: 240
; IeeeMode: 1
; LDSByteSize: 0 bytes/workgroup (compile time only)
; SGPRBlocks: 0
; VGPRBlocks: 0
; NumSGPRsForWavesPerEU: 4
; NumVGPRsForWavesPerEU: 1
; AccumOffset: 4
; Occupancy: 8
; WaveLimiterHint : 0
; COMPUTE_PGM_RSRC2:SCRATCH_EN: 0
; COMPUTE_PGM_RSRC2:USER_SGPR: 6
; COMPUTE_PGM_RSRC2:TRAP_HANDLER: 0
; COMPUTE_PGM_RSRC2:TGID_X_EN: 1
; COMPUTE_PGM_RSRC2:TGID_Y_EN: 0
; COMPUTE_PGM_RSRC2:TGID_Z_EN: 0
; COMPUTE_PGM_RSRC2:TIDIG_COMP_CNT: 0
; COMPUTE_PGM_RSRC3_GFX90A:ACCUM_OFFSET: 0
; COMPUTE_PGM_RSRC3_GFX90A:TG_SPLIT: 0
	.section	.text._ZN7rocprim17ROCPRIM_400000_NS6detail17trampoline_kernelINS0_13kernel_configILj256ELj4ELj4294967295EEENS1_37radix_sort_block_sort_config_selectorIhNS0_10empty_typeEEEZNS1_21radix_sort_block_sortIS4_Lb1EPhS9_PS6_SA_NS0_19identity_decomposerEEE10hipError_tT1_T2_T3_T4_jRjT5_jjP12ihipStream_tbEUlT_E_NS1_11comp_targetILNS1_3genE5ELNS1_11target_archE942ELNS1_3gpuE9ELNS1_3repE0EEENS1_44radix_sort_block_sort_config_static_selectorELNS0_4arch9wavefront6targetE1EEEvSD_,"axG",@progbits,_ZN7rocprim17ROCPRIM_400000_NS6detail17trampoline_kernelINS0_13kernel_configILj256ELj4ELj4294967295EEENS1_37radix_sort_block_sort_config_selectorIhNS0_10empty_typeEEEZNS1_21radix_sort_block_sortIS4_Lb1EPhS9_PS6_SA_NS0_19identity_decomposerEEE10hipError_tT1_T2_T3_T4_jRjT5_jjP12ihipStream_tbEUlT_E_NS1_11comp_targetILNS1_3genE5ELNS1_11target_archE942ELNS1_3gpuE9ELNS1_3repE0EEENS1_44radix_sort_block_sort_config_static_selectorELNS0_4arch9wavefront6targetE1EEEvSD_,comdat
	.protected	_ZN7rocprim17ROCPRIM_400000_NS6detail17trampoline_kernelINS0_13kernel_configILj256ELj4ELj4294967295EEENS1_37radix_sort_block_sort_config_selectorIhNS0_10empty_typeEEEZNS1_21radix_sort_block_sortIS4_Lb1EPhS9_PS6_SA_NS0_19identity_decomposerEEE10hipError_tT1_T2_T3_T4_jRjT5_jjP12ihipStream_tbEUlT_E_NS1_11comp_targetILNS1_3genE5ELNS1_11target_archE942ELNS1_3gpuE9ELNS1_3repE0EEENS1_44radix_sort_block_sort_config_static_selectorELNS0_4arch9wavefront6targetE1EEEvSD_ ; -- Begin function _ZN7rocprim17ROCPRIM_400000_NS6detail17trampoline_kernelINS0_13kernel_configILj256ELj4ELj4294967295EEENS1_37radix_sort_block_sort_config_selectorIhNS0_10empty_typeEEEZNS1_21radix_sort_block_sortIS4_Lb1EPhS9_PS6_SA_NS0_19identity_decomposerEEE10hipError_tT1_T2_T3_T4_jRjT5_jjP12ihipStream_tbEUlT_E_NS1_11comp_targetILNS1_3genE5ELNS1_11target_archE942ELNS1_3gpuE9ELNS1_3repE0EEENS1_44radix_sort_block_sort_config_static_selectorELNS0_4arch9wavefront6targetE1EEEvSD_
	.globl	_ZN7rocprim17ROCPRIM_400000_NS6detail17trampoline_kernelINS0_13kernel_configILj256ELj4ELj4294967295EEENS1_37radix_sort_block_sort_config_selectorIhNS0_10empty_typeEEEZNS1_21radix_sort_block_sortIS4_Lb1EPhS9_PS6_SA_NS0_19identity_decomposerEEE10hipError_tT1_T2_T3_T4_jRjT5_jjP12ihipStream_tbEUlT_E_NS1_11comp_targetILNS1_3genE5ELNS1_11target_archE942ELNS1_3gpuE9ELNS1_3repE0EEENS1_44radix_sort_block_sort_config_static_selectorELNS0_4arch9wavefront6targetE1EEEvSD_
	.p2align	8
	.type	_ZN7rocprim17ROCPRIM_400000_NS6detail17trampoline_kernelINS0_13kernel_configILj256ELj4ELj4294967295EEENS1_37radix_sort_block_sort_config_selectorIhNS0_10empty_typeEEEZNS1_21radix_sort_block_sortIS4_Lb1EPhS9_PS6_SA_NS0_19identity_decomposerEEE10hipError_tT1_T2_T3_T4_jRjT5_jjP12ihipStream_tbEUlT_E_NS1_11comp_targetILNS1_3genE5ELNS1_11target_archE942ELNS1_3gpuE9ELNS1_3repE0EEENS1_44radix_sort_block_sort_config_static_selectorELNS0_4arch9wavefront6targetE1EEEvSD_,@function
_ZN7rocprim17ROCPRIM_400000_NS6detail17trampoline_kernelINS0_13kernel_configILj256ELj4ELj4294967295EEENS1_37radix_sort_block_sort_config_selectorIhNS0_10empty_typeEEEZNS1_21radix_sort_block_sortIS4_Lb1EPhS9_PS6_SA_NS0_19identity_decomposerEEE10hipError_tT1_T2_T3_T4_jRjT5_jjP12ihipStream_tbEUlT_E_NS1_11comp_targetILNS1_3genE5ELNS1_11target_archE942ELNS1_3gpuE9ELNS1_3repE0EEENS1_44radix_sort_block_sort_config_static_selectorELNS0_4arch9wavefront6targetE1EEEvSD_: ; @_ZN7rocprim17ROCPRIM_400000_NS6detail17trampoline_kernelINS0_13kernel_configILj256ELj4ELj4294967295EEENS1_37radix_sort_block_sort_config_selectorIhNS0_10empty_typeEEEZNS1_21radix_sort_block_sortIS4_Lb1EPhS9_PS6_SA_NS0_19identity_decomposerEEE10hipError_tT1_T2_T3_T4_jRjT5_jjP12ihipStream_tbEUlT_E_NS1_11comp_targetILNS1_3genE5ELNS1_11target_archE942ELNS1_3gpuE9ELNS1_3repE0EEENS1_44radix_sort_block_sort_config_static_selectorELNS0_4arch9wavefront6targetE1EEEvSD_
; %bb.0:
	.section	.rodata,"a",@progbits
	.p2align	6, 0x0
	.amdhsa_kernel _ZN7rocprim17ROCPRIM_400000_NS6detail17trampoline_kernelINS0_13kernel_configILj256ELj4ELj4294967295EEENS1_37radix_sort_block_sort_config_selectorIhNS0_10empty_typeEEEZNS1_21radix_sort_block_sortIS4_Lb1EPhS9_PS6_SA_NS0_19identity_decomposerEEE10hipError_tT1_T2_T3_T4_jRjT5_jjP12ihipStream_tbEUlT_E_NS1_11comp_targetILNS1_3genE5ELNS1_11target_archE942ELNS1_3gpuE9ELNS1_3repE0EEENS1_44radix_sort_block_sort_config_static_selectorELNS0_4arch9wavefront6targetE1EEEvSD_
		.amdhsa_group_segment_fixed_size 0
		.amdhsa_private_segment_fixed_size 0
		.amdhsa_kernarg_size 48
		.amdhsa_user_sgpr_count 6
		.amdhsa_user_sgpr_private_segment_buffer 1
		.amdhsa_user_sgpr_dispatch_ptr 0
		.amdhsa_user_sgpr_queue_ptr 0
		.amdhsa_user_sgpr_kernarg_segment_ptr 1
		.amdhsa_user_sgpr_dispatch_id 0
		.amdhsa_user_sgpr_flat_scratch_init 0
		.amdhsa_user_sgpr_kernarg_preload_length 0
		.amdhsa_user_sgpr_kernarg_preload_offset 0
		.amdhsa_user_sgpr_private_segment_size 0
		.amdhsa_uses_dynamic_stack 0
		.amdhsa_system_sgpr_private_segment_wavefront_offset 0
		.amdhsa_system_sgpr_workgroup_id_x 1
		.amdhsa_system_sgpr_workgroup_id_y 0
		.amdhsa_system_sgpr_workgroup_id_z 0
		.amdhsa_system_sgpr_workgroup_info 0
		.amdhsa_system_vgpr_workitem_id 0
		.amdhsa_next_free_vgpr 1
		.amdhsa_next_free_sgpr 0
		.amdhsa_accum_offset 4
		.amdhsa_reserve_vcc 0
		.amdhsa_reserve_flat_scratch 0
		.amdhsa_float_round_mode_32 0
		.amdhsa_float_round_mode_16_64 0
		.amdhsa_float_denorm_mode_32 3
		.amdhsa_float_denorm_mode_16_64 3
		.amdhsa_dx10_clamp 1
		.amdhsa_ieee_mode 1
		.amdhsa_fp16_overflow 0
		.amdhsa_tg_split 0
		.amdhsa_exception_fp_ieee_invalid_op 0
		.amdhsa_exception_fp_denorm_src 0
		.amdhsa_exception_fp_ieee_div_zero 0
		.amdhsa_exception_fp_ieee_overflow 0
		.amdhsa_exception_fp_ieee_underflow 0
		.amdhsa_exception_fp_ieee_inexact 0
		.amdhsa_exception_int_div_zero 0
	.end_amdhsa_kernel
	.section	.text._ZN7rocprim17ROCPRIM_400000_NS6detail17trampoline_kernelINS0_13kernel_configILj256ELj4ELj4294967295EEENS1_37radix_sort_block_sort_config_selectorIhNS0_10empty_typeEEEZNS1_21radix_sort_block_sortIS4_Lb1EPhS9_PS6_SA_NS0_19identity_decomposerEEE10hipError_tT1_T2_T3_T4_jRjT5_jjP12ihipStream_tbEUlT_E_NS1_11comp_targetILNS1_3genE5ELNS1_11target_archE942ELNS1_3gpuE9ELNS1_3repE0EEENS1_44radix_sort_block_sort_config_static_selectorELNS0_4arch9wavefront6targetE1EEEvSD_,"axG",@progbits,_ZN7rocprim17ROCPRIM_400000_NS6detail17trampoline_kernelINS0_13kernel_configILj256ELj4ELj4294967295EEENS1_37radix_sort_block_sort_config_selectorIhNS0_10empty_typeEEEZNS1_21radix_sort_block_sortIS4_Lb1EPhS9_PS6_SA_NS0_19identity_decomposerEEE10hipError_tT1_T2_T3_T4_jRjT5_jjP12ihipStream_tbEUlT_E_NS1_11comp_targetILNS1_3genE5ELNS1_11target_archE942ELNS1_3gpuE9ELNS1_3repE0EEENS1_44radix_sort_block_sort_config_static_selectorELNS0_4arch9wavefront6targetE1EEEvSD_,comdat
.Lfunc_end1659:
	.size	_ZN7rocprim17ROCPRIM_400000_NS6detail17trampoline_kernelINS0_13kernel_configILj256ELj4ELj4294967295EEENS1_37radix_sort_block_sort_config_selectorIhNS0_10empty_typeEEEZNS1_21radix_sort_block_sortIS4_Lb1EPhS9_PS6_SA_NS0_19identity_decomposerEEE10hipError_tT1_T2_T3_T4_jRjT5_jjP12ihipStream_tbEUlT_E_NS1_11comp_targetILNS1_3genE5ELNS1_11target_archE942ELNS1_3gpuE9ELNS1_3repE0EEENS1_44radix_sort_block_sort_config_static_selectorELNS0_4arch9wavefront6targetE1EEEvSD_, .Lfunc_end1659-_ZN7rocprim17ROCPRIM_400000_NS6detail17trampoline_kernelINS0_13kernel_configILj256ELj4ELj4294967295EEENS1_37radix_sort_block_sort_config_selectorIhNS0_10empty_typeEEEZNS1_21radix_sort_block_sortIS4_Lb1EPhS9_PS6_SA_NS0_19identity_decomposerEEE10hipError_tT1_T2_T3_T4_jRjT5_jjP12ihipStream_tbEUlT_E_NS1_11comp_targetILNS1_3genE5ELNS1_11target_archE942ELNS1_3gpuE9ELNS1_3repE0EEENS1_44radix_sort_block_sort_config_static_selectorELNS0_4arch9wavefront6targetE1EEEvSD_
                                        ; -- End function
	.section	.AMDGPU.csdata,"",@progbits
; Kernel info:
; codeLenInByte = 0
; NumSgprs: 4
; NumVgprs: 0
; NumAgprs: 0
; TotalNumVgprs: 0
; ScratchSize: 0
; MemoryBound: 0
; FloatMode: 240
; IeeeMode: 1
; LDSByteSize: 0 bytes/workgroup (compile time only)
; SGPRBlocks: 0
; VGPRBlocks: 0
; NumSGPRsForWavesPerEU: 4
; NumVGPRsForWavesPerEU: 1
; AccumOffset: 4
; Occupancy: 8
; WaveLimiterHint : 0
; COMPUTE_PGM_RSRC2:SCRATCH_EN: 0
; COMPUTE_PGM_RSRC2:USER_SGPR: 6
; COMPUTE_PGM_RSRC2:TRAP_HANDLER: 0
; COMPUTE_PGM_RSRC2:TGID_X_EN: 1
; COMPUTE_PGM_RSRC2:TGID_Y_EN: 0
; COMPUTE_PGM_RSRC2:TGID_Z_EN: 0
; COMPUTE_PGM_RSRC2:TIDIG_COMP_CNT: 0
; COMPUTE_PGM_RSRC3_GFX90A:ACCUM_OFFSET: 0
; COMPUTE_PGM_RSRC3_GFX90A:TG_SPLIT: 0
	.section	.text._ZN7rocprim17ROCPRIM_400000_NS6detail17trampoline_kernelINS0_13kernel_configILj256ELj4ELj4294967295EEENS1_37radix_sort_block_sort_config_selectorIhNS0_10empty_typeEEEZNS1_21radix_sort_block_sortIS4_Lb1EPhS9_PS6_SA_NS0_19identity_decomposerEEE10hipError_tT1_T2_T3_T4_jRjT5_jjP12ihipStream_tbEUlT_E_NS1_11comp_targetILNS1_3genE4ELNS1_11target_archE910ELNS1_3gpuE8ELNS1_3repE0EEENS1_44radix_sort_block_sort_config_static_selectorELNS0_4arch9wavefront6targetE1EEEvSD_,"axG",@progbits,_ZN7rocprim17ROCPRIM_400000_NS6detail17trampoline_kernelINS0_13kernel_configILj256ELj4ELj4294967295EEENS1_37radix_sort_block_sort_config_selectorIhNS0_10empty_typeEEEZNS1_21radix_sort_block_sortIS4_Lb1EPhS9_PS6_SA_NS0_19identity_decomposerEEE10hipError_tT1_T2_T3_T4_jRjT5_jjP12ihipStream_tbEUlT_E_NS1_11comp_targetILNS1_3genE4ELNS1_11target_archE910ELNS1_3gpuE8ELNS1_3repE0EEENS1_44radix_sort_block_sort_config_static_selectorELNS0_4arch9wavefront6targetE1EEEvSD_,comdat
	.protected	_ZN7rocprim17ROCPRIM_400000_NS6detail17trampoline_kernelINS0_13kernel_configILj256ELj4ELj4294967295EEENS1_37radix_sort_block_sort_config_selectorIhNS0_10empty_typeEEEZNS1_21radix_sort_block_sortIS4_Lb1EPhS9_PS6_SA_NS0_19identity_decomposerEEE10hipError_tT1_T2_T3_T4_jRjT5_jjP12ihipStream_tbEUlT_E_NS1_11comp_targetILNS1_3genE4ELNS1_11target_archE910ELNS1_3gpuE8ELNS1_3repE0EEENS1_44radix_sort_block_sort_config_static_selectorELNS0_4arch9wavefront6targetE1EEEvSD_ ; -- Begin function _ZN7rocprim17ROCPRIM_400000_NS6detail17trampoline_kernelINS0_13kernel_configILj256ELj4ELj4294967295EEENS1_37radix_sort_block_sort_config_selectorIhNS0_10empty_typeEEEZNS1_21radix_sort_block_sortIS4_Lb1EPhS9_PS6_SA_NS0_19identity_decomposerEEE10hipError_tT1_T2_T3_T4_jRjT5_jjP12ihipStream_tbEUlT_E_NS1_11comp_targetILNS1_3genE4ELNS1_11target_archE910ELNS1_3gpuE8ELNS1_3repE0EEENS1_44radix_sort_block_sort_config_static_selectorELNS0_4arch9wavefront6targetE1EEEvSD_
	.globl	_ZN7rocprim17ROCPRIM_400000_NS6detail17trampoline_kernelINS0_13kernel_configILj256ELj4ELj4294967295EEENS1_37radix_sort_block_sort_config_selectorIhNS0_10empty_typeEEEZNS1_21radix_sort_block_sortIS4_Lb1EPhS9_PS6_SA_NS0_19identity_decomposerEEE10hipError_tT1_T2_T3_T4_jRjT5_jjP12ihipStream_tbEUlT_E_NS1_11comp_targetILNS1_3genE4ELNS1_11target_archE910ELNS1_3gpuE8ELNS1_3repE0EEENS1_44radix_sort_block_sort_config_static_selectorELNS0_4arch9wavefront6targetE1EEEvSD_
	.p2align	8
	.type	_ZN7rocprim17ROCPRIM_400000_NS6detail17trampoline_kernelINS0_13kernel_configILj256ELj4ELj4294967295EEENS1_37radix_sort_block_sort_config_selectorIhNS0_10empty_typeEEEZNS1_21radix_sort_block_sortIS4_Lb1EPhS9_PS6_SA_NS0_19identity_decomposerEEE10hipError_tT1_T2_T3_T4_jRjT5_jjP12ihipStream_tbEUlT_E_NS1_11comp_targetILNS1_3genE4ELNS1_11target_archE910ELNS1_3gpuE8ELNS1_3repE0EEENS1_44radix_sort_block_sort_config_static_selectorELNS0_4arch9wavefront6targetE1EEEvSD_,@function
_ZN7rocprim17ROCPRIM_400000_NS6detail17trampoline_kernelINS0_13kernel_configILj256ELj4ELj4294967295EEENS1_37radix_sort_block_sort_config_selectorIhNS0_10empty_typeEEEZNS1_21radix_sort_block_sortIS4_Lb1EPhS9_PS6_SA_NS0_19identity_decomposerEEE10hipError_tT1_T2_T3_T4_jRjT5_jjP12ihipStream_tbEUlT_E_NS1_11comp_targetILNS1_3genE4ELNS1_11target_archE910ELNS1_3gpuE8ELNS1_3repE0EEENS1_44radix_sort_block_sort_config_static_selectorELNS0_4arch9wavefront6targetE1EEEvSD_: ; @_ZN7rocprim17ROCPRIM_400000_NS6detail17trampoline_kernelINS0_13kernel_configILj256ELj4ELj4294967295EEENS1_37radix_sort_block_sort_config_selectorIhNS0_10empty_typeEEEZNS1_21radix_sort_block_sortIS4_Lb1EPhS9_PS6_SA_NS0_19identity_decomposerEEE10hipError_tT1_T2_T3_T4_jRjT5_jjP12ihipStream_tbEUlT_E_NS1_11comp_targetILNS1_3genE4ELNS1_11target_archE910ELNS1_3gpuE8ELNS1_3repE0EEENS1_44radix_sort_block_sort_config_static_selectorELNS0_4arch9wavefront6targetE1EEEvSD_
; %bb.0:
	s_load_dword s2, s[4:5], 0x20
	s_load_dwordx4 s[28:31], s[4:5], 0x0
	s_lshl_b32 s33, s6, 10
	v_mbcnt_lo_u32_b32 v1, -1, 0
	v_mbcnt_hi_u32_b32 v1, -1, v1
	s_waitcnt lgkmcnt(0)
	s_lshr_b32 s0, s2, 10
	s_cmp_lg_u32 s6, s0
	s_cselect_b64 s[34:35], -1, 0
	s_add_u32 s1, s28, s33
	v_and_b32_e32 v4, 0x3ff, v0
	s_addc_u32 s3, s29, 0
	v_and_b32_e32 v5, 63, v1
	v_lshlrev_b32_e32 v6, 2, v4
	v_mov_b32_e32 v2, s3
	v_add_co_u32_e32 v3, vcc, s1, v5
	v_and_b32_e32 v8, 0x300, v6
	v_addc_co_u32_e32 v7, vcc, 0, v2, vcc
	v_add_co_u32_e32 v2, vcc, v3, v8
	s_cmp_eq_u32 s6, s0
	v_addc_co_u32_e32 v3, vcc, 0, v7, vcc
	v_or_b32_e32 v7, v5, v8
	s_cbranch_scc1 .LBB1660_2
; %bb.1:
	global_load_ubyte v9, v[2:3], off offset:64
	global_load_ubyte v10, v[2:3], off offset:192
	global_load_ubyte v11, v[2:3], off
	global_load_ubyte v15, v[2:3], off offset:128
	v_or_b32_e32 v14, v5, v8
	v_or_b32_e32 v5, 64, v14
	;; [unrolled: 1-line block ×4, first 2 shown]
	s_waitcnt vmcnt(3)
	v_lshlrev_b16_e32 v8, 8, v9
	s_waitcnt vmcnt(2)
	v_lshlrev_b16_e32 v9, 8, v10
	s_waitcnt vmcnt(1)
	v_or_b32_e32 v8, v11, v8
	s_waitcnt vmcnt(0)
	v_or_b32_sdwa v9, v15, v9 dst_sel:WORD_1 dst_unused:UNUSED_PAD src0_sel:DWORD src1_sel:DWORD
	v_or_b32_sdwa v8, v8, v9 dst_sel:DWORD dst_unused:UNUSED_PAD src0_sel:WORD_0 src1_sel:DWORD
	s_load_dwordx2 s[28:29], s[4:5], 0x28
	s_sub_i32 s36, s2, s33
	s_cbranch_execz .LBB1660_3
	s_branch .LBB1660_12
.LBB1660_2:
                                        ; implicit-def: $vgpr8
                                        ; implicit-def: $vgpr14
                                        ; implicit-def: $vgpr5
                                        ; implicit-def: $vgpr12
                                        ; implicit-def: $vgpr13
	s_load_dwordx2 s[28:29], s[4:5], 0x28
	s_sub_i32 s36, s2, s33
.LBB1660_3:
	v_cmp_gt_u32_e32 vcc, s36, v7
	v_mov_b32_e32 v8, 0
	s_and_saveexec_b64 s[0:1], vcc
	s_cbranch_execz .LBB1660_5
; %bb.4:
	global_load_ubyte v8, v[2:3], off
.LBB1660_5:
	s_or_b64 exec, exec, s[0:1]
	v_or_b32_e32 v5, 64, v7
	v_cmp_gt_u32_e32 vcc, s36, v5
	s_and_saveexec_b64 s[0:1], vcc
	s_cbranch_execz .LBB1660_7
; %bb.6:
	global_load_ubyte v9, v[2:3], off offset:64
	s_waitcnt vmcnt(0)
	v_lshlrev_b16_e32 v9, 8, v9
	v_or_b32_e32 v8, v8, v9
	v_and_b32_e32 v8, 0xffff, v8
.LBB1660_7:
	s_or_b64 exec, exec, s[0:1]
	v_or_b32_e32 v12, 0x80, v7
	v_cmp_gt_u32_e32 vcc, s36, v12
	s_and_saveexec_b64 s[0:1], vcc
	s_cbranch_execz .LBB1660_9
; %bb.8:
	global_load_ubyte v9, v[2:3], off offset:128
	s_waitcnt vmcnt(0)
	v_lshl_or_b32 v8, v9, 16, v8
.LBB1660_9:
	s_or_b64 exec, exec, s[0:1]
	v_or_b32_e32 v13, 0xc0, v7
	v_cmp_gt_u32_e32 vcc, s36, v13
	s_and_saveexec_b64 s[0:1], vcc
	s_cbranch_execz .LBB1660_11
; %bb.10:
	global_load_ubyte v2, v[2:3], off offset:192
	s_mov_b32 s2, 0xffff
	s_waitcnt vmcnt(0)
	v_lshlrev_b16_e32 v2, 8, v2
	v_or_b32_sdwa v2, v8, v2 dst_sel:WORD_1 dst_unused:UNUSED_PAD src0_sel:WORD_1 src1_sel:DWORD
	v_and_or_b32 v8, v8, s2, v2
.LBB1660_11:
	s_or_b64 exec, exec, s[0:1]
	v_mov_b32_e32 v14, v7
.LBB1660_12:
	s_load_dword s2, s[4:5], 0x3c
	s_waitcnt vmcnt(0)
	v_lshrrev_b32_e32 v3, 8, v8
	v_mov_b32_e32 v7, -1
	s_waitcnt lgkmcnt(0)
	s_add_i32 s37, s29, s28
	v_xor_b32_e32 v2, -1, v8
	v_xor_b32_sdwa v3, v3, v7 dst_sel:BYTE_1 dst_unused:UNUSED_PAD src0_sel:DWORD src1_sel:DWORD
	v_xor_b32_sdwa v9, v8, v7 dst_sel:DWORD dst_unused:UNUSED_PAD src0_sel:WORD_1 src1_sel:DWORD
	v_xor_b32_sdwa v7, v8, v7 dst_sel:BYTE_1 dst_unused:UNUSED_PAD src0_sel:BYTE_3 src1_sel:DWORD
	v_or_b32_sdwa v2, v2, v3 dst_sel:DWORD dst_unused:UNUSED_PAD src0_sel:BYTE_0 src1_sel:DWORD
	v_or_b32_sdwa v3, v9, v7 dst_sel:WORD_1 dst_unused:UNUSED_PAD src0_sel:BYTE_0 src1_sel:DWORD
	s_getpc_b64 s[0:1]
	s_add_u32 s0, s0, _ZN7rocprim17ROCPRIM_400000_NS16block_radix_sortIhLj256ELj4ENS0_10empty_typeELj1ELj1ELj0ELNS0_26block_radix_rank_algorithmE1ELNS0_18block_padding_hintE2ELNS0_4arch9wavefront6targetE1EE19radix_bits_per_passE@rel32@lo+4
	s_addc_u32 s1, s1, _ZN7rocprim17ROCPRIM_400000_NS16block_radix_sortIhLj256ELj4ENS0_10empty_typeELj1ELj1ELj0ELNS0_26block_radix_rank_algorithmE1ELNS0_18block_padding_hintE2ELNS0_4arch9wavefront6targetE1EE19radix_bits_per_passE@rel32@hi+12
	v_or_b32_sdwa v17, v2, v3 dst_sel:DWORD dst_unused:UNUSED_PAD src0_sel:WORD_0 src1_sel:DWORD
	s_load_dword s38, s[0:1], 0x0
	s_lshr_b32 s0, s2, 16
	v_bfe_u32 v2, v0, 10, 10
	v_bfe_u32 v0, v0, 20, 10
	s_and_b32 s1, s2, 0xffff
	v_mad_u32_u24 v0, v0, s0, v2
	v_mad_u64_u32 v[2:3], s[0:1], v0, s1, v[4:5]
	v_and_b32_e32 v0, 15, v1
	v_cmp_eq_u32_e64 s[0:1], 0, v0
	v_cmp_lt_u32_e64 s[2:3], 1, v0
	v_cmp_lt_u32_e64 s[4:5], 3, v0
	;; [unrolled: 1-line block ×3, first 2 shown]
	v_and_b32_e32 v0, 16, v1
	v_cmp_eq_u32_e64 s[8:9], 0, v0
	v_and_b32_e32 v0, 0x3c0, v4
	v_min_u32_e32 v0, 0xc0, v0
	v_or_b32_e32 v0, 63, v0
	v_lshrrev_b32_e32 v16, 6, v2
	v_cmp_eq_u32_e64 s[12:13], v0, v4
	v_add_u32_e32 v0, -1, v1
	v_and_b32_e32 v2, 64, v1
	v_cmp_lt_i32_e32 vcc, v0, v2
	v_cndmask_b32_e32 v0, v0, v1, vcc
	s_mov_b32 s26, 0
	v_lshlrev_b32_e32 v18, 2, v0
	v_lshrrev_b32_e32 v0, 4, v4
	v_lshlrev_b32_e32 v15, 2, v6
	v_cmp_lt_u32_e64 s[10:11], 31, v1
	v_cmp_eq_u32_e64 s[18:19], 0, v1
	v_and_b32_e32 v19, 60, v0
	v_mul_i32_i24_e32 v0, -12, v4
	v_and_b32_e32 v1, 3, v1
	s_mov_b32 s27, s26
	s_mov_b32 s40, s26
	;; [unrolled: 1-line block ×3, first 2 shown]
	v_cmp_gt_u32_e64 s[14:15], 4, v4
	v_cmp_lt_u32_e64 s[16:17], 63, v4
	v_cmp_eq_u32_e64 s[20:21], 0, v4
	v_cmp_eq_u32_e64 s[22:23], 0, v1
	v_cmp_lt_u32_e64 s[24:25], 1, v1
	v_add_u32_e32 v20, -4, v19
	v_pk_mov_b32 v[6:7], s[26:27], s[26:27] op_sel:[0,1]
	v_pk_mov_b32 v[8:9], s[40:41], s[40:41] op_sel:[0,1]
	v_add_u32_e32 v21, v15, v0
	v_mov_b32_e32 v10, 0
	s_branch .LBB1660_14
.LBB1660_13:                            ;   in Loop: Header=BB1660_14 Depth=1
	v_add_u32_e32 v26, v22, v23
	s_barrier
	ds_write_b8 v26, v17
	v_add_u32_e32 v17, v25, v2
	ds_write_b8 v17, v33
	v_add_u32_e32 v17, v24, v1
	;; [unrolled: 2-line block ×3, first 2 shown]
	ds_write_b8 v17, v29
	s_waitcnt lgkmcnt(0)
	s_barrier
	ds_read_u8 v17, v5
	ds_read_u8 v26, v14
	;; [unrolled: 1-line block ×4, first 2 shown]
	s_add_i32 s29, s29, -8
	s_waitcnt lgkmcnt(3)
	v_lshlrev_b16_e32 v17, 8, v17
	s_waitcnt lgkmcnt(2)
	v_or_b32_e32 v17, v26, v17
	s_waitcnt lgkmcnt(1)
	v_lshlrev_b16_e32 v26, 8, v27
	s_waitcnt lgkmcnt(0)
	v_or_b32_sdwa v26, v28, v26 dst_sel:WORD_1 dst_unused:UNUSED_PAD src0_sel:DWORD src1_sel:DWORD
	v_or_b32_sdwa v17, v17, v26 dst_sel:DWORD dst_unused:UNUSED_PAD src0_sel:WORD_0 src1_sel:DWORD
	s_barrier
	s_cbranch_execz .LBB1660_30
.LBB1660_14:                            ; =>This Inner Loop Header: Depth=1
	s_waitcnt lgkmcnt(0)
	s_min_u32 s26, s38, s29
	s_lshl_b32 s26, -1, s26
	s_not_b32 s39, s26
	v_lshrrev_b32_sdwa v0, s28, v17 dst_sel:DWORD dst_unused:UNUSED_PAD src0_sel:DWORD src1_sel:BYTE_0
	v_and_b32_e32 v0, s39, v0
	v_lshl_add_u32 v1, v0, 2, v16
	v_lshl_add_u32 v22, v1, 2, 16
	v_and_b32_e32 v1, 1, v0
	v_add_co_u32_e32 v2, vcc, -1, v1
	v_addc_co_u32_e64 v3, s[26:27], 0, -1, vcc
	v_cmp_ne_u32_e32 vcc, 0, v1
	v_lshlrev_b32_e32 v11, 30, v0
	v_xor_b32_e32 v1, vcc_hi, v3
	v_not_b32_e32 v3, v11
	v_xor_b32_e32 v2, vcc_lo, v2
	v_cmp_gt_i64_e32 vcc, 0, v[10:11]
	v_ashrrev_i32_e32 v3, 31, v3
	v_and_b32_e32 v1, exec_hi, v1
	v_xor_b32_e32 v11, vcc_hi, v3
	v_and_b32_e32 v2, exec_lo, v2
	v_xor_b32_e32 v3, vcc_lo, v3
	v_and_b32_e32 v1, v1, v11
	v_lshlrev_b32_e32 v11, 29, v0
	v_and_b32_e32 v2, v2, v3
	v_not_b32_e32 v3, v11
	v_cmp_gt_i64_e32 vcc, 0, v[10:11]
	v_ashrrev_i32_e32 v3, 31, v3
	v_xor_b32_e32 v11, vcc_hi, v3
	v_xor_b32_e32 v3, vcc_lo, v3
	v_and_b32_e32 v1, v1, v11
	v_lshlrev_b32_e32 v11, 28, v0
	v_and_b32_e32 v2, v2, v3
	v_not_b32_e32 v3, v11
	v_cmp_gt_i64_e32 vcc, 0, v[10:11]
	v_ashrrev_i32_e32 v3, 31, v3
	v_xor_b32_e32 v11, vcc_hi, v3
	;; [unrolled: 8-line block ×5, first 2 shown]
	v_and_b32_e32 v1, v1, v11
	v_lshlrev_b32_e32 v11, 24, v0
	v_not_b32_e32 v0, v11
	v_xor_b32_e32 v3, vcc_lo, v3
	v_cmp_gt_i64_e32 vcc, 0, v[10:11]
	v_ashrrev_i32_e32 v0, 31, v0
	v_and_b32_e32 v2, v2, v3
	v_xor_b32_e32 v3, vcc_hi, v0
	v_xor_b32_e32 v0, vcc_lo, v0
	v_and_b32_e32 v0, v2, v0
	v_and_b32_e32 v1, v1, v3
	v_mbcnt_lo_u32_b32 v2, v0, 0
	v_mbcnt_hi_u32_b32 v23, v1, v2
	v_cmp_eq_u32_e32 vcc, 0, v23
	v_cmp_ne_u64_e64 s[26:27], 0, v[0:1]
	s_and_b64 s[40:41], s[26:27], vcc
	ds_write2_b64 v15, v[6:7], v[8:9] offset0:2 offset1:3
	s_waitcnt lgkmcnt(0)
	s_barrier
	s_waitcnt lgkmcnt(0)
	; wave barrier
	s_and_saveexec_b64 s[26:27], s[40:41]
	s_cbranch_execz .LBB1660_16
; %bb.15:                               ;   in Loop: Header=BB1660_14 Depth=1
	v_bcnt_u32_b32 v0, v0, 0
	v_bcnt_u32_b32 v0, v1, v0
	ds_write_b32 v22, v0
.LBB1660_16:                            ;   in Loop: Header=BB1660_14 Depth=1
	s_or_b64 exec, exec, s[26:27]
	v_lshrrev_b32_sdwa v0, s28, v17 dst_sel:DWORD dst_unused:UNUSED_PAD src0_sel:DWORD src1_sel:BYTE_1
	v_and_b32_e32 v0, s39, v0
	v_lshlrev_b32_e32 v1, 2, v0
	v_add_lshl_u32 v1, v1, v16, 2
	; wave barrier
	v_add_u32_e32 v25, 16, v1
	ds_read_b32 v24, v1 offset:16
	v_and_b32_e32 v1, 1, v0
	v_add_co_u32_e32 v2, vcc, -1, v1
	v_addc_co_u32_e64 v3, s[26:27], 0, -1, vcc
	v_cmp_ne_u32_e32 vcc, 0, v1
	v_lshlrev_b32_e32 v11, 30, v0
	v_xor_b32_e32 v1, vcc_hi, v3
	v_not_b32_e32 v3, v11
	v_xor_b32_e32 v2, vcc_lo, v2
	v_cmp_gt_i64_e32 vcc, 0, v[10:11]
	v_ashrrev_i32_e32 v3, 31, v3
	v_and_b32_e32 v1, exec_hi, v1
	v_xor_b32_e32 v11, vcc_hi, v3
	v_and_b32_e32 v2, exec_lo, v2
	v_xor_b32_e32 v3, vcc_lo, v3
	v_and_b32_e32 v1, v1, v11
	v_lshlrev_b32_e32 v11, 29, v0
	v_and_b32_e32 v2, v2, v3
	v_not_b32_e32 v3, v11
	v_cmp_gt_i64_e32 vcc, 0, v[10:11]
	v_ashrrev_i32_e32 v3, 31, v3
	v_xor_b32_e32 v11, vcc_hi, v3
	v_xor_b32_e32 v3, vcc_lo, v3
	v_and_b32_e32 v1, v1, v11
	v_lshlrev_b32_e32 v11, 28, v0
	v_and_b32_e32 v2, v2, v3
	v_not_b32_e32 v3, v11
	v_cmp_gt_i64_e32 vcc, 0, v[10:11]
	v_ashrrev_i32_e32 v3, 31, v3
	v_xor_b32_e32 v11, vcc_hi, v3
	;; [unrolled: 8-line block ×5, first 2 shown]
	v_and_b32_e32 v1, v1, v11
	v_lshlrev_b32_e32 v11, 24, v0
	v_not_b32_e32 v0, v11
	v_xor_b32_e32 v3, vcc_lo, v3
	v_cmp_gt_i64_e32 vcc, 0, v[10:11]
	v_ashrrev_i32_e32 v0, 31, v0
	v_and_b32_e32 v2, v2, v3
	v_xor_b32_e32 v3, vcc_hi, v0
	v_xor_b32_e32 v0, vcc_lo, v0
	v_and_b32_e32 v0, v2, v0
	v_and_b32_e32 v1, v1, v3
	v_mbcnt_lo_u32_b32 v2, v0, 0
	v_mbcnt_hi_u32_b32 v26, v1, v2
	v_cmp_eq_u32_e32 vcc, 0, v26
	v_cmp_ne_u64_e64 s[26:27], 0, v[0:1]
	s_and_b64 s[40:41], s[26:27], vcc
	; wave barrier
	s_and_saveexec_b64 s[26:27], s[40:41]
	s_cbranch_execz .LBB1660_18
; %bb.17:                               ;   in Loop: Header=BB1660_14 Depth=1
	v_bcnt_u32_b32 v0, v0, 0
	v_bcnt_u32_b32 v0, v1, v0
	s_waitcnt lgkmcnt(0)
	v_add_u32_e32 v0, v24, v0
	ds_write_b32 v25, v0
.LBB1660_18:                            ;   in Loop: Header=BB1660_14 Depth=1
	s_or_b64 exec, exec, s[26:27]
	v_lshrrev_b32_sdwa v0, s28, v17 dst_sel:DWORD dst_unused:UNUSED_PAD src0_sel:DWORD src1_sel:BYTE_2
	v_and_b32_e32 v0, s39, v0
	v_lshlrev_b32_e32 v1, 2, v0
	v_add_lshl_u32 v1, v1, v16, 2
	; wave barrier
	v_add_u32_e32 v28, 16, v1
	ds_read_b32 v27, v1 offset:16
	v_and_b32_e32 v1, 1, v0
	v_add_co_u32_e32 v2, vcc, -1, v1
	v_addc_co_u32_e64 v3, s[26:27], 0, -1, vcc
	v_cmp_ne_u32_e32 vcc, 0, v1
	v_lshlrev_b32_e32 v11, 30, v0
	v_xor_b32_e32 v1, vcc_hi, v3
	v_not_b32_e32 v3, v11
	v_xor_b32_e32 v2, vcc_lo, v2
	v_cmp_gt_i64_e32 vcc, 0, v[10:11]
	v_ashrrev_i32_e32 v3, 31, v3
	v_and_b32_e32 v1, exec_hi, v1
	v_xor_b32_e32 v11, vcc_hi, v3
	v_and_b32_e32 v2, exec_lo, v2
	v_xor_b32_e32 v3, vcc_lo, v3
	v_and_b32_e32 v1, v1, v11
	v_lshlrev_b32_e32 v11, 29, v0
	v_and_b32_e32 v2, v2, v3
	v_not_b32_e32 v3, v11
	v_cmp_gt_i64_e32 vcc, 0, v[10:11]
	v_ashrrev_i32_e32 v3, 31, v3
	v_xor_b32_e32 v11, vcc_hi, v3
	v_xor_b32_e32 v3, vcc_lo, v3
	v_and_b32_e32 v1, v1, v11
	v_lshlrev_b32_e32 v11, 28, v0
	v_and_b32_e32 v2, v2, v3
	v_not_b32_e32 v3, v11
	v_cmp_gt_i64_e32 vcc, 0, v[10:11]
	v_ashrrev_i32_e32 v3, 31, v3
	v_xor_b32_e32 v11, vcc_hi, v3
	;; [unrolled: 8-line block ×5, first 2 shown]
	v_and_b32_e32 v1, v1, v11
	v_lshlrev_b32_e32 v11, 24, v0
	v_not_b32_e32 v0, v11
	v_xor_b32_e32 v3, vcc_lo, v3
	v_cmp_gt_i64_e32 vcc, 0, v[10:11]
	v_ashrrev_i32_e32 v0, 31, v0
	v_and_b32_e32 v2, v2, v3
	v_xor_b32_e32 v3, vcc_hi, v0
	v_xor_b32_e32 v0, vcc_lo, v0
	v_and_b32_e32 v0, v2, v0
	v_and_b32_e32 v1, v1, v3
	v_mbcnt_lo_u32_b32 v2, v0, 0
	v_mbcnt_hi_u32_b32 v30, v1, v2
	v_cmp_eq_u32_e32 vcc, 0, v30
	v_cmp_ne_u64_e64 s[26:27], 0, v[0:1]
	s_and_b64 s[40:41], s[26:27], vcc
	; wave barrier
	s_and_saveexec_b64 s[26:27], s[40:41]
	s_cbranch_execz .LBB1660_20
; %bb.19:                               ;   in Loop: Header=BB1660_14 Depth=1
	v_bcnt_u32_b32 v0, v0, 0
	v_bcnt_u32_b32 v0, v1, v0
	s_waitcnt lgkmcnt(0)
	v_add_u32_e32 v0, v27, v0
	ds_write_b32 v28, v0
.LBB1660_20:                            ;   in Loop: Header=BB1660_14 Depth=1
	s_or_b64 exec, exec, s[26:27]
	v_lshrrev_b32_e32 v29, 24, v17
	v_lshrrev_b32_e32 v0, s28, v29
	v_and_b32_e32 v0, s39, v0
	v_lshlrev_b32_e32 v1, 2, v0
	v_add_lshl_u32 v1, v1, v16, 2
	; wave barrier
	v_add_u32_e32 v32, 16, v1
	ds_read_b32 v31, v1 offset:16
	v_and_b32_e32 v1, 1, v0
	v_add_co_u32_e32 v2, vcc, -1, v1
	v_addc_co_u32_e64 v3, s[26:27], 0, -1, vcc
	v_cmp_ne_u32_e32 vcc, 0, v1
	v_lshlrev_b32_e32 v11, 30, v0
	v_xor_b32_e32 v1, vcc_hi, v3
	v_not_b32_e32 v3, v11
	v_xor_b32_e32 v2, vcc_lo, v2
	v_cmp_gt_i64_e32 vcc, 0, v[10:11]
	v_ashrrev_i32_e32 v3, 31, v3
	v_and_b32_e32 v1, exec_hi, v1
	v_xor_b32_e32 v11, vcc_hi, v3
	v_and_b32_e32 v2, exec_lo, v2
	v_xor_b32_e32 v3, vcc_lo, v3
	v_and_b32_e32 v1, v1, v11
	v_lshlrev_b32_e32 v11, 29, v0
	v_and_b32_e32 v2, v2, v3
	v_not_b32_e32 v3, v11
	v_cmp_gt_i64_e32 vcc, 0, v[10:11]
	v_ashrrev_i32_e32 v3, 31, v3
	v_xor_b32_e32 v11, vcc_hi, v3
	v_xor_b32_e32 v3, vcc_lo, v3
	v_and_b32_e32 v1, v1, v11
	v_lshlrev_b32_e32 v11, 28, v0
	v_and_b32_e32 v2, v2, v3
	v_not_b32_e32 v3, v11
	v_cmp_gt_i64_e32 vcc, 0, v[10:11]
	v_ashrrev_i32_e32 v3, 31, v3
	v_xor_b32_e32 v11, vcc_hi, v3
	v_xor_b32_e32 v3, vcc_lo, v3
	v_and_b32_e32 v1, v1, v11
	v_lshlrev_b32_e32 v11, 27, v0
	v_and_b32_e32 v2, v2, v3
	v_not_b32_e32 v3, v11
	v_cmp_gt_i64_e32 vcc, 0, v[10:11]
	v_ashrrev_i32_e32 v3, 31, v3
	v_xor_b32_e32 v11, vcc_hi, v3
	v_xor_b32_e32 v3, vcc_lo, v3
	v_and_b32_e32 v1, v1, v11
	v_lshlrev_b32_e32 v11, 26, v0
	v_and_b32_e32 v2, v2, v3
	v_not_b32_e32 v3, v11
	v_cmp_gt_i64_e32 vcc, 0, v[10:11]
	v_ashrrev_i32_e32 v3, 31, v3
	v_xor_b32_e32 v11, vcc_hi, v3
	v_xor_b32_e32 v3, vcc_lo, v3
	v_and_b32_e32 v1, v1, v11
	v_lshlrev_b32_e32 v11, 25, v0
	v_and_b32_e32 v2, v2, v3
	v_not_b32_e32 v3, v11
	v_cmp_gt_i64_e32 vcc, 0, v[10:11]
	v_ashrrev_i32_e32 v3, 31, v3
	v_xor_b32_e32 v11, vcc_hi, v3
	v_and_b32_e32 v1, v1, v11
	v_lshlrev_b32_e32 v11, 24, v0
	v_not_b32_e32 v0, v11
	v_xor_b32_e32 v3, vcc_lo, v3
	v_cmp_gt_i64_e32 vcc, 0, v[10:11]
	v_ashrrev_i32_e32 v0, 31, v0
	v_and_b32_e32 v2, v2, v3
	v_xor_b32_e32 v3, vcc_hi, v0
	v_xor_b32_e32 v0, vcc_lo, v0
	v_and_b32_e32 v0, v2, v0
	v_and_b32_e32 v1, v1, v3
	v_mbcnt_lo_u32_b32 v2, v0, 0
	v_mbcnt_hi_u32_b32 v11, v1, v2
	v_cmp_eq_u32_e32 vcc, 0, v11
	v_cmp_ne_u64_e64 s[26:27], 0, v[0:1]
	s_and_b64 s[40:41], s[26:27], vcc
	; wave barrier
	s_and_saveexec_b64 s[26:27], s[40:41]
	s_cbranch_execz .LBB1660_22
; %bb.21:                               ;   in Loop: Header=BB1660_14 Depth=1
	v_bcnt_u32_b32 v0, v0, 0
	v_bcnt_u32_b32 v0, v1, v0
	s_waitcnt lgkmcnt(0)
	v_add_u32_e32 v0, v31, v0
	ds_write_b32 v32, v0
.LBB1660_22:                            ;   in Loop: Header=BB1660_14 Depth=1
	s_or_b64 exec, exec, s[26:27]
	; wave barrier
	s_waitcnt lgkmcnt(0)
	s_barrier
	ds_read2_b64 v[0:3], v15 offset0:2 offset1:3
	s_waitcnt lgkmcnt(0)
	v_add_u32_e32 v33, v1, v0
	v_add3_u32 v3, v33, v2, v3
	s_nop 1
	v_mov_b32_dpp v33, v3 row_shr:1 row_mask:0xf bank_mask:0xf
	v_cndmask_b32_e64 v33, v33, 0, s[0:1]
	v_add_u32_e32 v3, v33, v3
	s_nop 1
	v_mov_b32_dpp v33, v3 row_shr:2 row_mask:0xf bank_mask:0xf
	v_cndmask_b32_e64 v33, 0, v33, s[2:3]
	v_add_u32_e32 v3, v3, v33
	;; [unrolled: 4-line block ×4, first 2 shown]
	s_nop 1
	v_mov_b32_dpp v33, v3 row_bcast:15 row_mask:0xf bank_mask:0xf
	v_cndmask_b32_e64 v33, v33, 0, s[8:9]
	v_add_u32_e32 v3, v3, v33
	s_nop 1
	v_mov_b32_dpp v33, v3 row_bcast:31 row_mask:0xf bank_mask:0xf
	v_cndmask_b32_e64 v33, 0, v33, s[10:11]
	v_add_u32_e32 v3, v3, v33
	s_and_saveexec_b64 s[26:27], s[12:13]
	s_cbranch_execz .LBB1660_24
; %bb.23:                               ;   in Loop: Header=BB1660_14 Depth=1
	ds_write_b32 v19, v3
.LBB1660_24:                            ;   in Loop: Header=BB1660_14 Depth=1
	s_or_b64 exec, exec, s[26:27]
	s_waitcnt lgkmcnt(0)
	s_barrier
	s_and_saveexec_b64 s[26:27], s[14:15]
	s_cbranch_execz .LBB1660_26
; %bb.25:                               ;   in Loop: Header=BB1660_14 Depth=1
	ds_read_b32 v33, v21
	s_waitcnt lgkmcnt(0)
	s_nop 0
	v_mov_b32_dpp v34, v33 row_shr:1 row_mask:0xf bank_mask:0xf
	v_cndmask_b32_e64 v34, v34, 0, s[22:23]
	v_add_u32_e32 v33, v34, v33
	s_nop 1
	v_mov_b32_dpp v34, v33 row_shr:2 row_mask:0xf bank_mask:0xf
	v_cndmask_b32_e64 v34, 0, v34, s[24:25]
	v_add_u32_e32 v33, v33, v34
	ds_write_b32 v21, v33
.LBB1660_26:                            ;   in Loop: Header=BB1660_14 Depth=1
	s_or_b64 exec, exec, s[26:27]
	v_mov_b32_e32 v35, 0
	s_waitcnt lgkmcnt(0)
	s_barrier
	s_and_saveexec_b64 s[26:27], s[16:17]
	s_cbranch_execz .LBB1660_28
; %bb.27:                               ;   in Loop: Header=BB1660_14 Depth=1
	ds_read_b32 v35, v20
.LBB1660_28:                            ;   in Loop: Header=BB1660_14 Depth=1
	s_or_b64 exec, exec, s[26:27]
	s_waitcnt lgkmcnt(0)
	v_add_u32_e32 v3, v35, v3
	ds_bpermute_b32 v36, v18, v3
	s_add_i32 s28, s28, 8
	v_mov_b32_e32 v34, v17
	v_lshrrev_b32_e32 v33, 8, v17
	v_lshrrev_b32_e32 v3, 16, v17
	s_waitcnt lgkmcnt(0)
	v_cndmask_b32_e64 v35, v36, v35, s[18:19]
	v_cndmask_b32_e64 v36, v35, 0, s[20:21]
	v_add_u32_e32 v37, v36, v0
	v_add_u32_e32 v0, v37, v1
	;; [unrolled: 1-line block ×3, first 2 shown]
	ds_write2_b64 v15, v[36:37], v[0:1] offset0:2 offset1:3
	s_waitcnt lgkmcnt(0)
	s_barrier
	ds_read_b32 v22, v22
	ds_read_b32 v2, v25
	;; [unrolled: 1-line block ×4, first 2 shown]
	s_cmp_ge_u32 s28, s37
	v_add_u32_e32 v25, v26, v24
	v_add_u32_e32 v24, v30, v27
	;; [unrolled: 1-line block ×3, first 2 shown]
	s_waitcnt lgkmcnt(0)
	s_cbranch_scc0 .LBB1660_13
; %bb.29:
                                        ; implicit-def: $sgpr28
                                        ; implicit-def: $vgpr17
.LBB1660_30:
	v_add_u32_e32 v5, v22, v23
	v_add_u32_e32 v2, v25, v2
	;; [unrolled: 1-line block ×4, first 2 shown]
	s_barrier
	ds_write_b8 v5, v34
	ds_write_b8 v2, v33
	;; [unrolled: 1-line block ×4, first 2 shown]
	s_waitcnt lgkmcnt(0)
	s_barrier
	ds_read_u8 v0, v4
	ds_read_u8 v1, v4 offset:256
	ds_read_u8 v3, v4 offset:512
	;; [unrolled: 1-line block ×3, first 2 shown]
	s_add_u32 s0, s30, s33
	s_addc_u32 s1, s31, 0
	s_waitcnt lgkmcnt(3)
	v_xor_b32_e32 v6, -1, v0
	s_waitcnt lgkmcnt(2)
	v_xor_b32_e32 v5, -1, v1
	v_mov_b32_e32 v1, s1
	v_add_co_u32_e64 v0, s[0:1], s0, v4
	s_waitcnt lgkmcnt(1)
	v_xor_b32_e32 v3, -1, v3
	s_andn2_b64 vcc, exec, s[34:35]
	v_addc_co_u32_e64 v1, s[0:1], 0, v1, s[0:1]
	s_cbranch_vccnz .LBB1660_32
; %bb.31:
	s_mov_b64 s[0:1], -1
	global_store_byte v[0:1], v6, off
	global_store_byte v[0:1], v5, off offset:256
	global_store_byte v[0:1], v3, off offset:512
	s_cbranch_execz .LBB1660_33
	s_branch .LBB1660_40
.LBB1660_32:
	s_mov_b64 s[0:1], 0
.LBB1660_33:
	v_cmp_gt_u32_e32 vcc, s36, v4
	s_and_saveexec_b64 s[0:1], vcc
	s_cbranch_execz .LBB1660_35
; %bb.34:
	global_store_byte v[0:1], v6, off
.LBB1660_35:
	s_or_b64 exec, exec, s[0:1]
	v_add_u32_e32 v6, 0x100, v4
	v_cmp_gt_u32_e32 vcc, s36, v6
	s_and_saveexec_b64 s[0:1], vcc
	s_cbranch_execz .LBB1660_37
; %bb.36:
	global_store_byte v[0:1], v5, off offset:256
.LBB1660_37:
	s_or_b64 exec, exec, s[0:1]
	v_add_u32_e32 v5, 0x200, v4
	v_cmp_gt_u32_e32 vcc, s36, v5
	s_and_saveexec_b64 s[0:1], vcc
	s_cbranch_execz .LBB1660_39
; %bb.38:
	global_store_byte v[0:1], v3, off offset:512
.LBB1660_39:
	s_or_b64 exec, exec, s[0:1]
	v_add_u32_e32 v3, 0x300, v4
	v_cmp_gt_u32_e64 s[0:1], s36, v3
.LBB1660_40:
	s_and_saveexec_b64 s[2:3], s[0:1]
	s_cbranch_execnz .LBB1660_42
; %bb.41:
	s_endpgm
.LBB1660_42:
	s_waitcnt lgkmcnt(0)
	v_xor_b32_e32 v2, -1, v2
	global_store_byte v[0:1], v2, off offset:768
	s_endpgm
	.section	.rodata,"a",@progbits
	.p2align	6, 0x0
	.amdhsa_kernel _ZN7rocprim17ROCPRIM_400000_NS6detail17trampoline_kernelINS0_13kernel_configILj256ELj4ELj4294967295EEENS1_37radix_sort_block_sort_config_selectorIhNS0_10empty_typeEEEZNS1_21radix_sort_block_sortIS4_Lb1EPhS9_PS6_SA_NS0_19identity_decomposerEEE10hipError_tT1_T2_T3_T4_jRjT5_jjP12ihipStream_tbEUlT_E_NS1_11comp_targetILNS1_3genE4ELNS1_11target_archE910ELNS1_3gpuE8ELNS1_3repE0EEENS1_44radix_sort_block_sort_config_static_selectorELNS0_4arch9wavefront6targetE1EEEvSD_
		.amdhsa_group_segment_fixed_size 4112
		.amdhsa_private_segment_fixed_size 0
		.amdhsa_kernarg_size 304
		.amdhsa_user_sgpr_count 6
		.amdhsa_user_sgpr_private_segment_buffer 1
		.amdhsa_user_sgpr_dispatch_ptr 0
		.amdhsa_user_sgpr_queue_ptr 0
		.amdhsa_user_sgpr_kernarg_segment_ptr 1
		.amdhsa_user_sgpr_dispatch_id 0
		.amdhsa_user_sgpr_flat_scratch_init 0
		.amdhsa_user_sgpr_kernarg_preload_length 0
		.amdhsa_user_sgpr_kernarg_preload_offset 0
		.amdhsa_user_sgpr_private_segment_size 0
		.amdhsa_uses_dynamic_stack 0
		.amdhsa_system_sgpr_private_segment_wavefront_offset 0
		.amdhsa_system_sgpr_workgroup_id_x 1
		.amdhsa_system_sgpr_workgroup_id_y 0
		.amdhsa_system_sgpr_workgroup_id_z 0
		.amdhsa_system_sgpr_workgroup_info 0
		.amdhsa_system_vgpr_workitem_id 2
		.amdhsa_next_free_vgpr 38
		.amdhsa_next_free_sgpr 42
		.amdhsa_accum_offset 40
		.amdhsa_reserve_vcc 1
		.amdhsa_reserve_flat_scratch 0
		.amdhsa_float_round_mode_32 0
		.amdhsa_float_round_mode_16_64 0
		.amdhsa_float_denorm_mode_32 3
		.amdhsa_float_denorm_mode_16_64 3
		.amdhsa_dx10_clamp 1
		.amdhsa_ieee_mode 1
		.amdhsa_fp16_overflow 0
		.amdhsa_tg_split 0
		.amdhsa_exception_fp_ieee_invalid_op 0
		.amdhsa_exception_fp_denorm_src 0
		.amdhsa_exception_fp_ieee_div_zero 0
		.amdhsa_exception_fp_ieee_overflow 0
		.amdhsa_exception_fp_ieee_underflow 0
		.amdhsa_exception_fp_ieee_inexact 0
		.amdhsa_exception_int_div_zero 0
	.end_amdhsa_kernel
	.section	.text._ZN7rocprim17ROCPRIM_400000_NS6detail17trampoline_kernelINS0_13kernel_configILj256ELj4ELj4294967295EEENS1_37radix_sort_block_sort_config_selectorIhNS0_10empty_typeEEEZNS1_21radix_sort_block_sortIS4_Lb1EPhS9_PS6_SA_NS0_19identity_decomposerEEE10hipError_tT1_T2_T3_T4_jRjT5_jjP12ihipStream_tbEUlT_E_NS1_11comp_targetILNS1_3genE4ELNS1_11target_archE910ELNS1_3gpuE8ELNS1_3repE0EEENS1_44radix_sort_block_sort_config_static_selectorELNS0_4arch9wavefront6targetE1EEEvSD_,"axG",@progbits,_ZN7rocprim17ROCPRIM_400000_NS6detail17trampoline_kernelINS0_13kernel_configILj256ELj4ELj4294967295EEENS1_37radix_sort_block_sort_config_selectorIhNS0_10empty_typeEEEZNS1_21radix_sort_block_sortIS4_Lb1EPhS9_PS6_SA_NS0_19identity_decomposerEEE10hipError_tT1_T2_T3_T4_jRjT5_jjP12ihipStream_tbEUlT_E_NS1_11comp_targetILNS1_3genE4ELNS1_11target_archE910ELNS1_3gpuE8ELNS1_3repE0EEENS1_44radix_sort_block_sort_config_static_selectorELNS0_4arch9wavefront6targetE1EEEvSD_,comdat
.Lfunc_end1660:
	.size	_ZN7rocprim17ROCPRIM_400000_NS6detail17trampoline_kernelINS0_13kernel_configILj256ELj4ELj4294967295EEENS1_37radix_sort_block_sort_config_selectorIhNS0_10empty_typeEEEZNS1_21radix_sort_block_sortIS4_Lb1EPhS9_PS6_SA_NS0_19identity_decomposerEEE10hipError_tT1_T2_T3_T4_jRjT5_jjP12ihipStream_tbEUlT_E_NS1_11comp_targetILNS1_3genE4ELNS1_11target_archE910ELNS1_3gpuE8ELNS1_3repE0EEENS1_44radix_sort_block_sort_config_static_selectorELNS0_4arch9wavefront6targetE1EEEvSD_, .Lfunc_end1660-_ZN7rocprim17ROCPRIM_400000_NS6detail17trampoline_kernelINS0_13kernel_configILj256ELj4ELj4294967295EEENS1_37radix_sort_block_sort_config_selectorIhNS0_10empty_typeEEEZNS1_21radix_sort_block_sortIS4_Lb1EPhS9_PS6_SA_NS0_19identity_decomposerEEE10hipError_tT1_T2_T3_T4_jRjT5_jjP12ihipStream_tbEUlT_E_NS1_11comp_targetILNS1_3genE4ELNS1_11target_archE910ELNS1_3gpuE8ELNS1_3repE0EEENS1_44radix_sort_block_sort_config_static_selectorELNS0_4arch9wavefront6targetE1EEEvSD_
                                        ; -- End function
	.section	.AMDGPU.csdata,"",@progbits
; Kernel info:
; codeLenInByte = 3248
; NumSgprs: 46
; NumVgprs: 38
; NumAgprs: 0
; TotalNumVgprs: 38
; ScratchSize: 0
; MemoryBound: 0
; FloatMode: 240
; IeeeMode: 1
; LDSByteSize: 4112 bytes/workgroup (compile time only)
; SGPRBlocks: 5
; VGPRBlocks: 4
; NumSGPRsForWavesPerEU: 46
; NumVGPRsForWavesPerEU: 38
; AccumOffset: 40
; Occupancy: 8
; WaveLimiterHint : 1
; COMPUTE_PGM_RSRC2:SCRATCH_EN: 0
; COMPUTE_PGM_RSRC2:USER_SGPR: 6
; COMPUTE_PGM_RSRC2:TRAP_HANDLER: 0
; COMPUTE_PGM_RSRC2:TGID_X_EN: 1
; COMPUTE_PGM_RSRC2:TGID_Y_EN: 0
; COMPUTE_PGM_RSRC2:TGID_Z_EN: 0
; COMPUTE_PGM_RSRC2:TIDIG_COMP_CNT: 2
; COMPUTE_PGM_RSRC3_GFX90A:ACCUM_OFFSET: 9
; COMPUTE_PGM_RSRC3_GFX90A:TG_SPLIT: 0
	.section	.text._ZN7rocprim17ROCPRIM_400000_NS6detail17trampoline_kernelINS0_13kernel_configILj256ELj4ELj4294967295EEENS1_37radix_sort_block_sort_config_selectorIhNS0_10empty_typeEEEZNS1_21radix_sort_block_sortIS4_Lb1EPhS9_PS6_SA_NS0_19identity_decomposerEEE10hipError_tT1_T2_T3_T4_jRjT5_jjP12ihipStream_tbEUlT_E_NS1_11comp_targetILNS1_3genE3ELNS1_11target_archE908ELNS1_3gpuE7ELNS1_3repE0EEENS1_44radix_sort_block_sort_config_static_selectorELNS0_4arch9wavefront6targetE1EEEvSD_,"axG",@progbits,_ZN7rocprim17ROCPRIM_400000_NS6detail17trampoline_kernelINS0_13kernel_configILj256ELj4ELj4294967295EEENS1_37radix_sort_block_sort_config_selectorIhNS0_10empty_typeEEEZNS1_21radix_sort_block_sortIS4_Lb1EPhS9_PS6_SA_NS0_19identity_decomposerEEE10hipError_tT1_T2_T3_T4_jRjT5_jjP12ihipStream_tbEUlT_E_NS1_11comp_targetILNS1_3genE3ELNS1_11target_archE908ELNS1_3gpuE7ELNS1_3repE0EEENS1_44radix_sort_block_sort_config_static_selectorELNS0_4arch9wavefront6targetE1EEEvSD_,comdat
	.protected	_ZN7rocprim17ROCPRIM_400000_NS6detail17trampoline_kernelINS0_13kernel_configILj256ELj4ELj4294967295EEENS1_37radix_sort_block_sort_config_selectorIhNS0_10empty_typeEEEZNS1_21radix_sort_block_sortIS4_Lb1EPhS9_PS6_SA_NS0_19identity_decomposerEEE10hipError_tT1_T2_T3_T4_jRjT5_jjP12ihipStream_tbEUlT_E_NS1_11comp_targetILNS1_3genE3ELNS1_11target_archE908ELNS1_3gpuE7ELNS1_3repE0EEENS1_44radix_sort_block_sort_config_static_selectorELNS0_4arch9wavefront6targetE1EEEvSD_ ; -- Begin function _ZN7rocprim17ROCPRIM_400000_NS6detail17trampoline_kernelINS0_13kernel_configILj256ELj4ELj4294967295EEENS1_37radix_sort_block_sort_config_selectorIhNS0_10empty_typeEEEZNS1_21radix_sort_block_sortIS4_Lb1EPhS9_PS6_SA_NS0_19identity_decomposerEEE10hipError_tT1_T2_T3_T4_jRjT5_jjP12ihipStream_tbEUlT_E_NS1_11comp_targetILNS1_3genE3ELNS1_11target_archE908ELNS1_3gpuE7ELNS1_3repE0EEENS1_44radix_sort_block_sort_config_static_selectorELNS0_4arch9wavefront6targetE1EEEvSD_
	.globl	_ZN7rocprim17ROCPRIM_400000_NS6detail17trampoline_kernelINS0_13kernel_configILj256ELj4ELj4294967295EEENS1_37radix_sort_block_sort_config_selectorIhNS0_10empty_typeEEEZNS1_21radix_sort_block_sortIS4_Lb1EPhS9_PS6_SA_NS0_19identity_decomposerEEE10hipError_tT1_T2_T3_T4_jRjT5_jjP12ihipStream_tbEUlT_E_NS1_11comp_targetILNS1_3genE3ELNS1_11target_archE908ELNS1_3gpuE7ELNS1_3repE0EEENS1_44radix_sort_block_sort_config_static_selectorELNS0_4arch9wavefront6targetE1EEEvSD_
	.p2align	8
	.type	_ZN7rocprim17ROCPRIM_400000_NS6detail17trampoline_kernelINS0_13kernel_configILj256ELj4ELj4294967295EEENS1_37radix_sort_block_sort_config_selectorIhNS0_10empty_typeEEEZNS1_21radix_sort_block_sortIS4_Lb1EPhS9_PS6_SA_NS0_19identity_decomposerEEE10hipError_tT1_T2_T3_T4_jRjT5_jjP12ihipStream_tbEUlT_E_NS1_11comp_targetILNS1_3genE3ELNS1_11target_archE908ELNS1_3gpuE7ELNS1_3repE0EEENS1_44radix_sort_block_sort_config_static_selectorELNS0_4arch9wavefront6targetE1EEEvSD_,@function
_ZN7rocprim17ROCPRIM_400000_NS6detail17trampoline_kernelINS0_13kernel_configILj256ELj4ELj4294967295EEENS1_37radix_sort_block_sort_config_selectorIhNS0_10empty_typeEEEZNS1_21radix_sort_block_sortIS4_Lb1EPhS9_PS6_SA_NS0_19identity_decomposerEEE10hipError_tT1_T2_T3_T4_jRjT5_jjP12ihipStream_tbEUlT_E_NS1_11comp_targetILNS1_3genE3ELNS1_11target_archE908ELNS1_3gpuE7ELNS1_3repE0EEENS1_44radix_sort_block_sort_config_static_selectorELNS0_4arch9wavefront6targetE1EEEvSD_: ; @_ZN7rocprim17ROCPRIM_400000_NS6detail17trampoline_kernelINS0_13kernel_configILj256ELj4ELj4294967295EEENS1_37radix_sort_block_sort_config_selectorIhNS0_10empty_typeEEEZNS1_21radix_sort_block_sortIS4_Lb1EPhS9_PS6_SA_NS0_19identity_decomposerEEE10hipError_tT1_T2_T3_T4_jRjT5_jjP12ihipStream_tbEUlT_E_NS1_11comp_targetILNS1_3genE3ELNS1_11target_archE908ELNS1_3gpuE7ELNS1_3repE0EEENS1_44radix_sort_block_sort_config_static_selectorELNS0_4arch9wavefront6targetE1EEEvSD_
; %bb.0:
	.section	.rodata,"a",@progbits
	.p2align	6, 0x0
	.amdhsa_kernel _ZN7rocprim17ROCPRIM_400000_NS6detail17trampoline_kernelINS0_13kernel_configILj256ELj4ELj4294967295EEENS1_37radix_sort_block_sort_config_selectorIhNS0_10empty_typeEEEZNS1_21radix_sort_block_sortIS4_Lb1EPhS9_PS6_SA_NS0_19identity_decomposerEEE10hipError_tT1_T2_T3_T4_jRjT5_jjP12ihipStream_tbEUlT_E_NS1_11comp_targetILNS1_3genE3ELNS1_11target_archE908ELNS1_3gpuE7ELNS1_3repE0EEENS1_44radix_sort_block_sort_config_static_selectorELNS0_4arch9wavefront6targetE1EEEvSD_
		.amdhsa_group_segment_fixed_size 0
		.amdhsa_private_segment_fixed_size 0
		.amdhsa_kernarg_size 48
		.amdhsa_user_sgpr_count 6
		.amdhsa_user_sgpr_private_segment_buffer 1
		.amdhsa_user_sgpr_dispatch_ptr 0
		.amdhsa_user_sgpr_queue_ptr 0
		.amdhsa_user_sgpr_kernarg_segment_ptr 1
		.amdhsa_user_sgpr_dispatch_id 0
		.amdhsa_user_sgpr_flat_scratch_init 0
		.amdhsa_user_sgpr_kernarg_preload_length 0
		.amdhsa_user_sgpr_kernarg_preload_offset 0
		.amdhsa_user_sgpr_private_segment_size 0
		.amdhsa_uses_dynamic_stack 0
		.amdhsa_system_sgpr_private_segment_wavefront_offset 0
		.amdhsa_system_sgpr_workgroup_id_x 1
		.amdhsa_system_sgpr_workgroup_id_y 0
		.amdhsa_system_sgpr_workgroup_id_z 0
		.amdhsa_system_sgpr_workgroup_info 0
		.amdhsa_system_vgpr_workitem_id 0
		.amdhsa_next_free_vgpr 1
		.amdhsa_next_free_sgpr 0
		.amdhsa_accum_offset 4
		.amdhsa_reserve_vcc 0
		.amdhsa_reserve_flat_scratch 0
		.amdhsa_float_round_mode_32 0
		.amdhsa_float_round_mode_16_64 0
		.amdhsa_float_denorm_mode_32 3
		.amdhsa_float_denorm_mode_16_64 3
		.amdhsa_dx10_clamp 1
		.amdhsa_ieee_mode 1
		.amdhsa_fp16_overflow 0
		.amdhsa_tg_split 0
		.amdhsa_exception_fp_ieee_invalid_op 0
		.amdhsa_exception_fp_denorm_src 0
		.amdhsa_exception_fp_ieee_div_zero 0
		.amdhsa_exception_fp_ieee_overflow 0
		.amdhsa_exception_fp_ieee_underflow 0
		.amdhsa_exception_fp_ieee_inexact 0
		.amdhsa_exception_int_div_zero 0
	.end_amdhsa_kernel
	.section	.text._ZN7rocprim17ROCPRIM_400000_NS6detail17trampoline_kernelINS0_13kernel_configILj256ELj4ELj4294967295EEENS1_37radix_sort_block_sort_config_selectorIhNS0_10empty_typeEEEZNS1_21radix_sort_block_sortIS4_Lb1EPhS9_PS6_SA_NS0_19identity_decomposerEEE10hipError_tT1_T2_T3_T4_jRjT5_jjP12ihipStream_tbEUlT_E_NS1_11comp_targetILNS1_3genE3ELNS1_11target_archE908ELNS1_3gpuE7ELNS1_3repE0EEENS1_44radix_sort_block_sort_config_static_selectorELNS0_4arch9wavefront6targetE1EEEvSD_,"axG",@progbits,_ZN7rocprim17ROCPRIM_400000_NS6detail17trampoline_kernelINS0_13kernel_configILj256ELj4ELj4294967295EEENS1_37radix_sort_block_sort_config_selectorIhNS0_10empty_typeEEEZNS1_21radix_sort_block_sortIS4_Lb1EPhS9_PS6_SA_NS0_19identity_decomposerEEE10hipError_tT1_T2_T3_T4_jRjT5_jjP12ihipStream_tbEUlT_E_NS1_11comp_targetILNS1_3genE3ELNS1_11target_archE908ELNS1_3gpuE7ELNS1_3repE0EEENS1_44radix_sort_block_sort_config_static_selectorELNS0_4arch9wavefront6targetE1EEEvSD_,comdat
.Lfunc_end1661:
	.size	_ZN7rocprim17ROCPRIM_400000_NS6detail17trampoline_kernelINS0_13kernel_configILj256ELj4ELj4294967295EEENS1_37radix_sort_block_sort_config_selectorIhNS0_10empty_typeEEEZNS1_21radix_sort_block_sortIS4_Lb1EPhS9_PS6_SA_NS0_19identity_decomposerEEE10hipError_tT1_T2_T3_T4_jRjT5_jjP12ihipStream_tbEUlT_E_NS1_11comp_targetILNS1_3genE3ELNS1_11target_archE908ELNS1_3gpuE7ELNS1_3repE0EEENS1_44radix_sort_block_sort_config_static_selectorELNS0_4arch9wavefront6targetE1EEEvSD_, .Lfunc_end1661-_ZN7rocprim17ROCPRIM_400000_NS6detail17trampoline_kernelINS0_13kernel_configILj256ELj4ELj4294967295EEENS1_37radix_sort_block_sort_config_selectorIhNS0_10empty_typeEEEZNS1_21radix_sort_block_sortIS4_Lb1EPhS9_PS6_SA_NS0_19identity_decomposerEEE10hipError_tT1_T2_T3_T4_jRjT5_jjP12ihipStream_tbEUlT_E_NS1_11comp_targetILNS1_3genE3ELNS1_11target_archE908ELNS1_3gpuE7ELNS1_3repE0EEENS1_44radix_sort_block_sort_config_static_selectorELNS0_4arch9wavefront6targetE1EEEvSD_
                                        ; -- End function
	.section	.AMDGPU.csdata,"",@progbits
; Kernel info:
; codeLenInByte = 0
; NumSgprs: 4
; NumVgprs: 0
; NumAgprs: 0
; TotalNumVgprs: 0
; ScratchSize: 0
; MemoryBound: 0
; FloatMode: 240
; IeeeMode: 1
; LDSByteSize: 0 bytes/workgroup (compile time only)
; SGPRBlocks: 0
; VGPRBlocks: 0
; NumSGPRsForWavesPerEU: 4
; NumVGPRsForWavesPerEU: 1
; AccumOffset: 4
; Occupancy: 8
; WaveLimiterHint : 0
; COMPUTE_PGM_RSRC2:SCRATCH_EN: 0
; COMPUTE_PGM_RSRC2:USER_SGPR: 6
; COMPUTE_PGM_RSRC2:TRAP_HANDLER: 0
; COMPUTE_PGM_RSRC2:TGID_X_EN: 1
; COMPUTE_PGM_RSRC2:TGID_Y_EN: 0
; COMPUTE_PGM_RSRC2:TGID_Z_EN: 0
; COMPUTE_PGM_RSRC2:TIDIG_COMP_CNT: 0
; COMPUTE_PGM_RSRC3_GFX90A:ACCUM_OFFSET: 0
; COMPUTE_PGM_RSRC3_GFX90A:TG_SPLIT: 0
	.section	.text._ZN7rocprim17ROCPRIM_400000_NS6detail17trampoline_kernelINS0_13kernel_configILj256ELj4ELj4294967295EEENS1_37radix_sort_block_sort_config_selectorIhNS0_10empty_typeEEEZNS1_21radix_sort_block_sortIS4_Lb1EPhS9_PS6_SA_NS0_19identity_decomposerEEE10hipError_tT1_T2_T3_T4_jRjT5_jjP12ihipStream_tbEUlT_E_NS1_11comp_targetILNS1_3genE2ELNS1_11target_archE906ELNS1_3gpuE6ELNS1_3repE0EEENS1_44radix_sort_block_sort_config_static_selectorELNS0_4arch9wavefront6targetE1EEEvSD_,"axG",@progbits,_ZN7rocprim17ROCPRIM_400000_NS6detail17trampoline_kernelINS0_13kernel_configILj256ELj4ELj4294967295EEENS1_37radix_sort_block_sort_config_selectorIhNS0_10empty_typeEEEZNS1_21radix_sort_block_sortIS4_Lb1EPhS9_PS6_SA_NS0_19identity_decomposerEEE10hipError_tT1_T2_T3_T4_jRjT5_jjP12ihipStream_tbEUlT_E_NS1_11comp_targetILNS1_3genE2ELNS1_11target_archE906ELNS1_3gpuE6ELNS1_3repE0EEENS1_44radix_sort_block_sort_config_static_selectorELNS0_4arch9wavefront6targetE1EEEvSD_,comdat
	.protected	_ZN7rocprim17ROCPRIM_400000_NS6detail17trampoline_kernelINS0_13kernel_configILj256ELj4ELj4294967295EEENS1_37radix_sort_block_sort_config_selectorIhNS0_10empty_typeEEEZNS1_21radix_sort_block_sortIS4_Lb1EPhS9_PS6_SA_NS0_19identity_decomposerEEE10hipError_tT1_T2_T3_T4_jRjT5_jjP12ihipStream_tbEUlT_E_NS1_11comp_targetILNS1_3genE2ELNS1_11target_archE906ELNS1_3gpuE6ELNS1_3repE0EEENS1_44radix_sort_block_sort_config_static_selectorELNS0_4arch9wavefront6targetE1EEEvSD_ ; -- Begin function _ZN7rocprim17ROCPRIM_400000_NS6detail17trampoline_kernelINS0_13kernel_configILj256ELj4ELj4294967295EEENS1_37radix_sort_block_sort_config_selectorIhNS0_10empty_typeEEEZNS1_21radix_sort_block_sortIS4_Lb1EPhS9_PS6_SA_NS0_19identity_decomposerEEE10hipError_tT1_T2_T3_T4_jRjT5_jjP12ihipStream_tbEUlT_E_NS1_11comp_targetILNS1_3genE2ELNS1_11target_archE906ELNS1_3gpuE6ELNS1_3repE0EEENS1_44radix_sort_block_sort_config_static_selectorELNS0_4arch9wavefront6targetE1EEEvSD_
	.globl	_ZN7rocprim17ROCPRIM_400000_NS6detail17trampoline_kernelINS0_13kernel_configILj256ELj4ELj4294967295EEENS1_37radix_sort_block_sort_config_selectorIhNS0_10empty_typeEEEZNS1_21radix_sort_block_sortIS4_Lb1EPhS9_PS6_SA_NS0_19identity_decomposerEEE10hipError_tT1_T2_T3_T4_jRjT5_jjP12ihipStream_tbEUlT_E_NS1_11comp_targetILNS1_3genE2ELNS1_11target_archE906ELNS1_3gpuE6ELNS1_3repE0EEENS1_44radix_sort_block_sort_config_static_selectorELNS0_4arch9wavefront6targetE1EEEvSD_
	.p2align	8
	.type	_ZN7rocprim17ROCPRIM_400000_NS6detail17trampoline_kernelINS0_13kernel_configILj256ELj4ELj4294967295EEENS1_37radix_sort_block_sort_config_selectorIhNS0_10empty_typeEEEZNS1_21radix_sort_block_sortIS4_Lb1EPhS9_PS6_SA_NS0_19identity_decomposerEEE10hipError_tT1_T2_T3_T4_jRjT5_jjP12ihipStream_tbEUlT_E_NS1_11comp_targetILNS1_3genE2ELNS1_11target_archE906ELNS1_3gpuE6ELNS1_3repE0EEENS1_44radix_sort_block_sort_config_static_selectorELNS0_4arch9wavefront6targetE1EEEvSD_,@function
_ZN7rocprim17ROCPRIM_400000_NS6detail17trampoline_kernelINS0_13kernel_configILj256ELj4ELj4294967295EEENS1_37radix_sort_block_sort_config_selectorIhNS0_10empty_typeEEEZNS1_21radix_sort_block_sortIS4_Lb1EPhS9_PS6_SA_NS0_19identity_decomposerEEE10hipError_tT1_T2_T3_T4_jRjT5_jjP12ihipStream_tbEUlT_E_NS1_11comp_targetILNS1_3genE2ELNS1_11target_archE906ELNS1_3gpuE6ELNS1_3repE0EEENS1_44radix_sort_block_sort_config_static_selectorELNS0_4arch9wavefront6targetE1EEEvSD_: ; @_ZN7rocprim17ROCPRIM_400000_NS6detail17trampoline_kernelINS0_13kernel_configILj256ELj4ELj4294967295EEENS1_37radix_sort_block_sort_config_selectorIhNS0_10empty_typeEEEZNS1_21radix_sort_block_sortIS4_Lb1EPhS9_PS6_SA_NS0_19identity_decomposerEEE10hipError_tT1_T2_T3_T4_jRjT5_jjP12ihipStream_tbEUlT_E_NS1_11comp_targetILNS1_3genE2ELNS1_11target_archE906ELNS1_3gpuE6ELNS1_3repE0EEENS1_44radix_sort_block_sort_config_static_selectorELNS0_4arch9wavefront6targetE1EEEvSD_
; %bb.0:
	.section	.rodata,"a",@progbits
	.p2align	6, 0x0
	.amdhsa_kernel _ZN7rocprim17ROCPRIM_400000_NS6detail17trampoline_kernelINS0_13kernel_configILj256ELj4ELj4294967295EEENS1_37radix_sort_block_sort_config_selectorIhNS0_10empty_typeEEEZNS1_21radix_sort_block_sortIS4_Lb1EPhS9_PS6_SA_NS0_19identity_decomposerEEE10hipError_tT1_T2_T3_T4_jRjT5_jjP12ihipStream_tbEUlT_E_NS1_11comp_targetILNS1_3genE2ELNS1_11target_archE906ELNS1_3gpuE6ELNS1_3repE0EEENS1_44radix_sort_block_sort_config_static_selectorELNS0_4arch9wavefront6targetE1EEEvSD_
		.amdhsa_group_segment_fixed_size 0
		.amdhsa_private_segment_fixed_size 0
		.amdhsa_kernarg_size 48
		.amdhsa_user_sgpr_count 6
		.amdhsa_user_sgpr_private_segment_buffer 1
		.amdhsa_user_sgpr_dispatch_ptr 0
		.amdhsa_user_sgpr_queue_ptr 0
		.amdhsa_user_sgpr_kernarg_segment_ptr 1
		.amdhsa_user_sgpr_dispatch_id 0
		.amdhsa_user_sgpr_flat_scratch_init 0
		.amdhsa_user_sgpr_kernarg_preload_length 0
		.amdhsa_user_sgpr_kernarg_preload_offset 0
		.amdhsa_user_sgpr_private_segment_size 0
		.amdhsa_uses_dynamic_stack 0
		.amdhsa_system_sgpr_private_segment_wavefront_offset 0
		.amdhsa_system_sgpr_workgroup_id_x 1
		.amdhsa_system_sgpr_workgroup_id_y 0
		.amdhsa_system_sgpr_workgroup_id_z 0
		.amdhsa_system_sgpr_workgroup_info 0
		.amdhsa_system_vgpr_workitem_id 0
		.amdhsa_next_free_vgpr 1
		.amdhsa_next_free_sgpr 0
		.amdhsa_accum_offset 4
		.amdhsa_reserve_vcc 0
		.amdhsa_reserve_flat_scratch 0
		.amdhsa_float_round_mode_32 0
		.amdhsa_float_round_mode_16_64 0
		.amdhsa_float_denorm_mode_32 3
		.amdhsa_float_denorm_mode_16_64 3
		.amdhsa_dx10_clamp 1
		.amdhsa_ieee_mode 1
		.amdhsa_fp16_overflow 0
		.amdhsa_tg_split 0
		.amdhsa_exception_fp_ieee_invalid_op 0
		.amdhsa_exception_fp_denorm_src 0
		.amdhsa_exception_fp_ieee_div_zero 0
		.amdhsa_exception_fp_ieee_overflow 0
		.amdhsa_exception_fp_ieee_underflow 0
		.amdhsa_exception_fp_ieee_inexact 0
		.amdhsa_exception_int_div_zero 0
	.end_amdhsa_kernel
	.section	.text._ZN7rocprim17ROCPRIM_400000_NS6detail17trampoline_kernelINS0_13kernel_configILj256ELj4ELj4294967295EEENS1_37radix_sort_block_sort_config_selectorIhNS0_10empty_typeEEEZNS1_21radix_sort_block_sortIS4_Lb1EPhS9_PS6_SA_NS0_19identity_decomposerEEE10hipError_tT1_T2_T3_T4_jRjT5_jjP12ihipStream_tbEUlT_E_NS1_11comp_targetILNS1_3genE2ELNS1_11target_archE906ELNS1_3gpuE6ELNS1_3repE0EEENS1_44radix_sort_block_sort_config_static_selectorELNS0_4arch9wavefront6targetE1EEEvSD_,"axG",@progbits,_ZN7rocprim17ROCPRIM_400000_NS6detail17trampoline_kernelINS0_13kernel_configILj256ELj4ELj4294967295EEENS1_37radix_sort_block_sort_config_selectorIhNS0_10empty_typeEEEZNS1_21radix_sort_block_sortIS4_Lb1EPhS9_PS6_SA_NS0_19identity_decomposerEEE10hipError_tT1_T2_T3_T4_jRjT5_jjP12ihipStream_tbEUlT_E_NS1_11comp_targetILNS1_3genE2ELNS1_11target_archE906ELNS1_3gpuE6ELNS1_3repE0EEENS1_44radix_sort_block_sort_config_static_selectorELNS0_4arch9wavefront6targetE1EEEvSD_,comdat
.Lfunc_end1662:
	.size	_ZN7rocprim17ROCPRIM_400000_NS6detail17trampoline_kernelINS0_13kernel_configILj256ELj4ELj4294967295EEENS1_37radix_sort_block_sort_config_selectorIhNS0_10empty_typeEEEZNS1_21radix_sort_block_sortIS4_Lb1EPhS9_PS6_SA_NS0_19identity_decomposerEEE10hipError_tT1_T2_T3_T4_jRjT5_jjP12ihipStream_tbEUlT_E_NS1_11comp_targetILNS1_3genE2ELNS1_11target_archE906ELNS1_3gpuE6ELNS1_3repE0EEENS1_44radix_sort_block_sort_config_static_selectorELNS0_4arch9wavefront6targetE1EEEvSD_, .Lfunc_end1662-_ZN7rocprim17ROCPRIM_400000_NS6detail17trampoline_kernelINS0_13kernel_configILj256ELj4ELj4294967295EEENS1_37radix_sort_block_sort_config_selectorIhNS0_10empty_typeEEEZNS1_21radix_sort_block_sortIS4_Lb1EPhS9_PS6_SA_NS0_19identity_decomposerEEE10hipError_tT1_T2_T3_T4_jRjT5_jjP12ihipStream_tbEUlT_E_NS1_11comp_targetILNS1_3genE2ELNS1_11target_archE906ELNS1_3gpuE6ELNS1_3repE0EEENS1_44radix_sort_block_sort_config_static_selectorELNS0_4arch9wavefront6targetE1EEEvSD_
                                        ; -- End function
	.section	.AMDGPU.csdata,"",@progbits
; Kernel info:
; codeLenInByte = 0
; NumSgprs: 4
; NumVgprs: 0
; NumAgprs: 0
; TotalNumVgprs: 0
; ScratchSize: 0
; MemoryBound: 0
; FloatMode: 240
; IeeeMode: 1
; LDSByteSize: 0 bytes/workgroup (compile time only)
; SGPRBlocks: 0
; VGPRBlocks: 0
; NumSGPRsForWavesPerEU: 4
; NumVGPRsForWavesPerEU: 1
; AccumOffset: 4
; Occupancy: 8
; WaveLimiterHint : 0
; COMPUTE_PGM_RSRC2:SCRATCH_EN: 0
; COMPUTE_PGM_RSRC2:USER_SGPR: 6
; COMPUTE_PGM_RSRC2:TRAP_HANDLER: 0
; COMPUTE_PGM_RSRC2:TGID_X_EN: 1
; COMPUTE_PGM_RSRC2:TGID_Y_EN: 0
; COMPUTE_PGM_RSRC2:TGID_Z_EN: 0
; COMPUTE_PGM_RSRC2:TIDIG_COMP_CNT: 0
; COMPUTE_PGM_RSRC3_GFX90A:ACCUM_OFFSET: 0
; COMPUTE_PGM_RSRC3_GFX90A:TG_SPLIT: 0
	.section	.text._ZN7rocprim17ROCPRIM_400000_NS6detail17trampoline_kernelINS0_13kernel_configILj256ELj4ELj4294967295EEENS1_37radix_sort_block_sort_config_selectorIhNS0_10empty_typeEEEZNS1_21radix_sort_block_sortIS4_Lb1EPhS9_PS6_SA_NS0_19identity_decomposerEEE10hipError_tT1_T2_T3_T4_jRjT5_jjP12ihipStream_tbEUlT_E_NS1_11comp_targetILNS1_3genE10ELNS1_11target_archE1201ELNS1_3gpuE5ELNS1_3repE0EEENS1_44radix_sort_block_sort_config_static_selectorELNS0_4arch9wavefront6targetE1EEEvSD_,"axG",@progbits,_ZN7rocprim17ROCPRIM_400000_NS6detail17trampoline_kernelINS0_13kernel_configILj256ELj4ELj4294967295EEENS1_37radix_sort_block_sort_config_selectorIhNS0_10empty_typeEEEZNS1_21radix_sort_block_sortIS4_Lb1EPhS9_PS6_SA_NS0_19identity_decomposerEEE10hipError_tT1_T2_T3_T4_jRjT5_jjP12ihipStream_tbEUlT_E_NS1_11comp_targetILNS1_3genE10ELNS1_11target_archE1201ELNS1_3gpuE5ELNS1_3repE0EEENS1_44radix_sort_block_sort_config_static_selectorELNS0_4arch9wavefront6targetE1EEEvSD_,comdat
	.protected	_ZN7rocprim17ROCPRIM_400000_NS6detail17trampoline_kernelINS0_13kernel_configILj256ELj4ELj4294967295EEENS1_37radix_sort_block_sort_config_selectorIhNS0_10empty_typeEEEZNS1_21radix_sort_block_sortIS4_Lb1EPhS9_PS6_SA_NS0_19identity_decomposerEEE10hipError_tT1_T2_T3_T4_jRjT5_jjP12ihipStream_tbEUlT_E_NS1_11comp_targetILNS1_3genE10ELNS1_11target_archE1201ELNS1_3gpuE5ELNS1_3repE0EEENS1_44radix_sort_block_sort_config_static_selectorELNS0_4arch9wavefront6targetE1EEEvSD_ ; -- Begin function _ZN7rocprim17ROCPRIM_400000_NS6detail17trampoline_kernelINS0_13kernel_configILj256ELj4ELj4294967295EEENS1_37radix_sort_block_sort_config_selectorIhNS0_10empty_typeEEEZNS1_21radix_sort_block_sortIS4_Lb1EPhS9_PS6_SA_NS0_19identity_decomposerEEE10hipError_tT1_T2_T3_T4_jRjT5_jjP12ihipStream_tbEUlT_E_NS1_11comp_targetILNS1_3genE10ELNS1_11target_archE1201ELNS1_3gpuE5ELNS1_3repE0EEENS1_44radix_sort_block_sort_config_static_selectorELNS0_4arch9wavefront6targetE1EEEvSD_
	.globl	_ZN7rocprim17ROCPRIM_400000_NS6detail17trampoline_kernelINS0_13kernel_configILj256ELj4ELj4294967295EEENS1_37radix_sort_block_sort_config_selectorIhNS0_10empty_typeEEEZNS1_21radix_sort_block_sortIS4_Lb1EPhS9_PS6_SA_NS0_19identity_decomposerEEE10hipError_tT1_T2_T3_T4_jRjT5_jjP12ihipStream_tbEUlT_E_NS1_11comp_targetILNS1_3genE10ELNS1_11target_archE1201ELNS1_3gpuE5ELNS1_3repE0EEENS1_44radix_sort_block_sort_config_static_selectorELNS0_4arch9wavefront6targetE1EEEvSD_
	.p2align	8
	.type	_ZN7rocprim17ROCPRIM_400000_NS6detail17trampoline_kernelINS0_13kernel_configILj256ELj4ELj4294967295EEENS1_37radix_sort_block_sort_config_selectorIhNS0_10empty_typeEEEZNS1_21radix_sort_block_sortIS4_Lb1EPhS9_PS6_SA_NS0_19identity_decomposerEEE10hipError_tT1_T2_T3_T4_jRjT5_jjP12ihipStream_tbEUlT_E_NS1_11comp_targetILNS1_3genE10ELNS1_11target_archE1201ELNS1_3gpuE5ELNS1_3repE0EEENS1_44radix_sort_block_sort_config_static_selectorELNS0_4arch9wavefront6targetE1EEEvSD_,@function
_ZN7rocprim17ROCPRIM_400000_NS6detail17trampoline_kernelINS0_13kernel_configILj256ELj4ELj4294967295EEENS1_37radix_sort_block_sort_config_selectorIhNS0_10empty_typeEEEZNS1_21radix_sort_block_sortIS4_Lb1EPhS9_PS6_SA_NS0_19identity_decomposerEEE10hipError_tT1_T2_T3_T4_jRjT5_jjP12ihipStream_tbEUlT_E_NS1_11comp_targetILNS1_3genE10ELNS1_11target_archE1201ELNS1_3gpuE5ELNS1_3repE0EEENS1_44radix_sort_block_sort_config_static_selectorELNS0_4arch9wavefront6targetE1EEEvSD_: ; @_ZN7rocprim17ROCPRIM_400000_NS6detail17trampoline_kernelINS0_13kernel_configILj256ELj4ELj4294967295EEENS1_37radix_sort_block_sort_config_selectorIhNS0_10empty_typeEEEZNS1_21radix_sort_block_sortIS4_Lb1EPhS9_PS6_SA_NS0_19identity_decomposerEEE10hipError_tT1_T2_T3_T4_jRjT5_jjP12ihipStream_tbEUlT_E_NS1_11comp_targetILNS1_3genE10ELNS1_11target_archE1201ELNS1_3gpuE5ELNS1_3repE0EEENS1_44radix_sort_block_sort_config_static_selectorELNS0_4arch9wavefront6targetE1EEEvSD_
; %bb.0:
	.section	.rodata,"a",@progbits
	.p2align	6, 0x0
	.amdhsa_kernel _ZN7rocprim17ROCPRIM_400000_NS6detail17trampoline_kernelINS0_13kernel_configILj256ELj4ELj4294967295EEENS1_37radix_sort_block_sort_config_selectorIhNS0_10empty_typeEEEZNS1_21radix_sort_block_sortIS4_Lb1EPhS9_PS6_SA_NS0_19identity_decomposerEEE10hipError_tT1_T2_T3_T4_jRjT5_jjP12ihipStream_tbEUlT_E_NS1_11comp_targetILNS1_3genE10ELNS1_11target_archE1201ELNS1_3gpuE5ELNS1_3repE0EEENS1_44radix_sort_block_sort_config_static_selectorELNS0_4arch9wavefront6targetE1EEEvSD_
		.amdhsa_group_segment_fixed_size 0
		.amdhsa_private_segment_fixed_size 0
		.amdhsa_kernarg_size 48
		.amdhsa_user_sgpr_count 6
		.amdhsa_user_sgpr_private_segment_buffer 1
		.amdhsa_user_sgpr_dispatch_ptr 0
		.amdhsa_user_sgpr_queue_ptr 0
		.amdhsa_user_sgpr_kernarg_segment_ptr 1
		.amdhsa_user_sgpr_dispatch_id 0
		.amdhsa_user_sgpr_flat_scratch_init 0
		.amdhsa_user_sgpr_kernarg_preload_length 0
		.amdhsa_user_sgpr_kernarg_preload_offset 0
		.amdhsa_user_sgpr_private_segment_size 0
		.amdhsa_uses_dynamic_stack 0
		.amdhsa_system_sgpr_private_segment_wavefront_offset 0
		.amdhsa_system_sgpr_workgroup_id_x 1
		.amdhsa_system_sgpr_workgroup_id_y 0
		.amdhsa_system_sgpr_workgroup_id_z 0
		.amdhsa_system_sgpr_workgroup_info 0
		.amdhsa_system_vgpr_workitem_id 0
		.amdhsa_next_free_vgpr 1
		.amdhsa_next_free_sgpr 0
		.amdhsa_accum_offset 4
		.amdhsa_reserve_vcc 0
		.amdhsa_reserve_flat_scratch 0
		.amdhsa_float_round_mode_32 0
		.amdhsa_float_round_mode_16_64 0
		.amdhsa_float_denorm_mode_32 3
		.amdhsa_float_denorm_mode_16_64 3
		.amdhsa_dx10_clamp 1
		.amdhsa_ieee_mode 1
		.amdhsa_fp16_overflow 0
		.amdhsa_tg_split 0
		.amdhsa_exception_fp_ieee_invalid_op 0
		.amdhsa_exception_fp_denorm_src 0
		.amdhsa_exception_fp_ieee_div_zero 0
		.amdhsa_exception_fp_ieee_overflow 0
		.amdhsa_exception_fp_ieee_underflow 0
		.amdhsa_exception_fp_ieee_inexact 0
		.amdhsa_exception_int_div_zero 0
	.end_amdhsa_kernel
	.section	.text._ZN7rocprim17ROCPRIM_400000_NS6detail17trampoline_kernelINS0_13kernel_configILj256ELj4ELj4294967295EEENS1_37radix_sort_block_sort_config_selectorIhNS0_10empty_typeEEEZNS1_21radix_sort_block_sortIS4_Lb1EPhS9_PS6_SA_NS0_19identity_decomposerEEE10hipError_tT1_T2_T3_T4_jRjT5_jjP12ihipStream_tbEUlT_E_NS1_11comp_targetILNS1_3genE10ELNS1_11target_archE1201ELNS1_3gpuE5ELNS1_3repE0EEENS1_44radix_sort_block_sort_config_static_selectorELNS0_4arch9wavefront6targetE1EEEvSD_,"axG",@progbits,_ZN7rocprim17ROCPRIM_400000_NS6detail17trampoline_kernelINS0_13kernel_configILj256ELj4ELj4294967295EEENS1_37radix_sort_block_sort_config_selectorIhNS0_10empty_typeEEEZNS1_21radix_sort_block_sortIS4_Lb1EPhS9_PS6_SA_NS0_19identity_decomposerEEE10hipError_tT1_T2_T3_T4_jRjT5_jjP12ihipStream_tbEUlT_E_NS1_11comp_targetILNS1_3genE10ELNS1_11target_archE1201ELNS1_3gpuE5ELNS1_3repE0EEENS1_44radix_sort_block_sort_config_static_selectorELNS0_4arch9wavefront6targetE1EEEvSD_,comdat
.Lfunc_end1663:
	.size	_ZN7rocprim17ROCPRIM_400000_NS6detail17trampoline_kernelINS0_13kernel_configILj256ELj4ELj4294967295EEENS1_37radix_sort_block_sort_config_selectorIhNS0_10empty_typeEEEZNS1_21radix_sort_block_sortIS4_Lb1EPhS9_PS6_SA_NS0_19identity_decomposerEEE10hipError_tT1_T2_T3_T4_jRjT5_jjP12ihipStream_tbEUlT_E_NS1_11comp_targetILNS1_3genE10ELNS1_11target_archE1201ELNS1_3gpuE5ELNS1_3repE0EEENS1_44radix_sort_block_sort_config_static_selectorELNS0_4arch9wavefront6targetE1EEEvSD_, .Lfunc_end1663-_ZN7rocprim17ROCPRIM_400000_NS6detail17trampoline_kernelINS0_13kernel_configILj256ELj4ELj4294967295EEENS1_37radix_sort_block_sort_config_selectorIhNS0_10empty_typeEEEZNS1_21radix_sort_block_sortIS4_Lb1EPhS9_PS6_SA_NS0_19identity_decomposerEEE10hipError_tT1_T2_T3_T4_jRjT5_jjP12ihipStream_tbEUlT_E_NS1_11comp_targetILNS1_3genE10ELNS1_11target_archE1201ELNS1_3gpuE5ELNS1_3repE0EEENS1_44radix_sort_block_sort_config_static_selectorELNS0_4arch9wavefront6targetE1EEEvSD_
                                        ; -- End function
	.section	.AMDGPU.csdata,"",@progbits
; Kernel info:
; codeLenInByte = 0
; NumSgprs: 4
; NumVgprs: 0
; NumAgprs: 0
; TotalNumVgprs: 0
; ScratchSize: 0
; MemoryBound: 0
; FloatMode: 240
; IeeeMode: 1
; LDSByteSize: 0 bytes/workgroup (compile time only)
; SGPRBlocks: 0
; VGPRBlocks: 0
; NumSGPRsForWavesPerEU: 4
; NumVGPRsForWavesPerEU: 1
; AccumOffset: 4
; Occupancy: 8
; WaveLimiterHint : 0
; COMPUTE_PGM_RSRC2:SCRATCH_EN: 0
; COMPUTE_PGM_RSRC2:USER_SGPR: 6
; COMPUTE_PGM_RSRC2:TRAP_HANDLER: 0
; COMPUTE_PGM_RSRC2:TGID_X_EN: 1
; COMPUTE_PGM_RSRC2:TGID_Y_EN: 0
; COMPUTE_PGM_RSRC2:TGID_Z_EN: 0
; COMPUTE_PGM_RSRC2:TIDIG_COMP_CNT: 0
; COMPUTE_PGM_RSRC3_GFX90A:ACCUM_OFFSET: 0
; COMPUTE_PGM_RSRC3_GFX90A:TG_SPLIT: 0
	.section	.text._ZN7rocprim17ROCPRIM_400000_NS6detail17trampoline_kernelINS0_13kernel_configILj256ELj4ELj4294967295EEENS1_37radix_sort_block_sort_config_selectorIhNS0_10empty_typeEEEZNS1_21radix_sort_block_sortIS4_Lb1EPhS9_PS6_SA_NS0_19identity_decomposerEEE10hipError_tT1_T2_T3_T4_jRjT5_jjP12ihipStream_tbEUlT_E_NS1_11comp_targetILNS1_3genE10ELNS1_11target_archE1200ELNS1_3gpuE4ELNS1_3repE0EEENS1_44radix_sort_block_sort_config_static_selectorELNS0_4arch9wavefront6targetE1EEEvSD_,"axG",@progbits,_ZN7rocprim17ROCPRIM_400000_NS6detail17trampoline_kernelINS0_13kernel_configILj256ELj4ELj4294967295EEENS1_37radix_sort_block_sort_config_selectorIhNS0_10empty_typeEEEZNS1_21radix_sort_block_sortIS4_Lb1EPhS9_PS6_SA_NS0_19identity_decomposerEEE10hipError_tT1_T2_T3_T4_jRjT5_jjP12ihipStream_tbEUlT_E_NS1_11comp_targetILNS1_3genE10ELNS1_11target_archE1200ELNS1_3gpuE4ELNS1_3repE0EEENS1_44radix_sort_block_sort_config_static_selectorELNS0_4arch9wavefront6targetE1EEEvSD_,comdat
	.protected	_ZN7rocprim17ROCPRIM_400000_NS6detail17trampoline_kernelINS0_13kernel_configILj256ELj4ELj4294967295EEENS1_37radix_sort_block_sort_config_selectorIhNS0_10empty_typeEEEZNS1_21radix_sort_block_sortIS4_Lb1EPhS9_PS6_SA_NS0_19identity_decomposerEEE10hipError_tT1_T2_T3_T4_jRjT5_jjP12ihipStream_tbEUlT_E_NS1_11comp_targetILNS1_3genE10ELNS1_11target_archE1200ELNS1_3gpuE4ELNS1_3repE0EEENS1_44radix_sort_block_sort_config_static_selectorELNS0_4arch9wavefront6targetE1EEEvSD_ ; -- Begin function _ZN7rocprim17ROCPRIM_400000_NS6detail17trampoline_kernelINS0_13kernel_configILj256ELj4ELj4294967295EEENS1_37radix_sort_block_sort_config_selectorIhNS0_10empty_typeEEEZNS1_21radix_sort_block_sortIS4_Lb1EPhS9_PS6_SA_NS0_19identity_decomposerEEE10hipError_tT1_T2_T3_T4_jRjT5_jjP12ihipStream_tbEUlT_E_NS1_11comp_targetILNS1_3genE10ELNS1_11target_archE1200ELNS1_3gpuE4ELNS1_3repE0EEENS1_44radix_sort_block_sort_config_static_selectorELNS0_4arch9wavefront6targetE1EEEvSD_
	.globl	_ZN7rocprim17ROCPRIM_400000_NS6detail17trampoline_kernelINS0_13kernel_configILj256ELj4ELj4294967295EEENS1_37radix_sort_block_sort_config_selectorIhNS0_10empty_typeEEEZNS1_21radix_sort_block_sortIS4_Lb1EPhS9_PS6_SA_NS0_19identity_decomposerEEE10hipError_tT1_T2_T3_T4_jRjT5_jjP12ihipStream_tbEUlT_E_NS1_11comp_targetILNS1_3genE10ELNS1_11target_archE1200ELNS1_3gpuE4ELNS1_3repE0EEENS1_44radix_sort_block_sort_config_static_selectorELNS0_4arch9wavefront6targetE1EEEvSD_
	.p2align	8
	.type	_ZN7rocprim17ROCPRIM_400000_NS6detail17trampoline_kernelINS0_13kernel_configILj256ELj4ELj4294967295EEENS1_37radix_sort_block_sort_config_selectorIhNS0_10empty_typeEEEZNS1_21radix_sort_block_sortIS4_Lb1EPhS9_PS6_SA_NS0_19identity_decomposerEEE10hipError_tT1_T2_T3_T4_jRjT5_jjP12ihipStream_tbEUlT_E_NS1_11comp_targetILNS1_3genE10ELNS1_11target_archE1200ELNS1_3gpuE4ELNS1_3repE0EEENS1_44radix_sort_block_sort_config_static_selectorELNS0_4arch9wavefront6targetE1EEEvSD_,@function
_ZN7rocprim17ROCPRIM_400000_NS6detail17trampoline_kernelINS0_13kernel_configILj256ELj4ELj4294967295EEENS1_37radix_sort_block_sort_config_selectorIhNS0_10empty_typeEEEZNS1_21radix_sort_block_sortIS4_Lb1EPhS9_PS6_SA_NS0_19identity_decomposerEEE10hipError_tT1_T2_T3_T4_jRjT5_jjP12ihipStream_tbEUlT_E_NS1_11comp_targetILNS1_3genE10ELNS1_11target_archE1200ELNS1_3gpuE4ELNS1_3repE0EEENS1_44radix_sort_block_sort_config_static_selectorELNS0_4arch9wavefront6targetE1EEEvSD_: ; @_ZN7rocprim17ROCPRIM_400000_NS6detail17trampoline_kernelINS0_13kernel_configILj256ELj4ELj4294967295EEENS1_37radix_sort_block_sort_config_selectorIhNS0_10empty_typeEEEZNS1_21radix_sort_block_sortIS4_Lb1EPhS9_PS6_SA_NS0_19identity_decomposerEEE10hipError_tT1_T2_T3_T4_jRjT5_jjP12ihipStream_tbEUlT_E_NS1_11comp_targetILNS1_3genE10ELNS1_11target_archE1200ELNS1_3gpuE4ELNS1_3repE0EEENS1_44radix_sort_block_sort_config_static_selectorELNS0_4arch9wavefront6targetE1EEEvSD_
; %bb.0:
	.section	.rodata,"a",@progbits
	.p2align	6, 0x0
	.amdhsa_kernel _ZN7rocprim17ROCPRIM_400000_NS6detail17trampoline_kernelINS0_13kernel_configILj256ELj4ELj4294967295EEENS1_37radix_sort_block_sort_config_selectorIhNS0_10empty_typeEEEZNS1_21radix_sort_block_sortIS4_Lb1EPhS9_PS6_SA_NS0_19identity_decomposerEEE10hipError_tT1_T2_T3_T4_jRjT5_jjP12ihipStream_tbEUlT_E_NS1_11comp_targetILNS1_3genE10ELNS1_11target_archE1200ELNS1_3gpuE4ELNS1_3repE0EEENS1_44radix_sort_block_sort_config_static_selectorELNS0_4arch9wavefront6targetE1EEEvSD_
		.amdhsa_group_segment_fixed_size 0
		.amdhsa_private_segment_fixed_size 0
		.amdhsa_kernarg_size 48
		.amdhsa_user_sgpr_count 6
		.amdhsa_user_sgpr_private_segment_buffer 1
		.amdhsa_user_sgpr_dispatch_ptr 0
		.amdhsa_user_sgpr_queue_ptr 0
		.amdhsa_user_sgpr_kernarg_segment_ptr 1
		.amdhsa_user_sgpr_dispatch_id 0
		.amdhsa_user_sgpr_flat_scratch_init 0
		.amdhsa_user_sgpr_kernarg_preload_length 0
		.amdhsa_user_sgpr_kernarg_preload_offset 0
		.amdhsa_user_sgpr_private_segment_size 0
		.amdhsa_uses_dynamic_stack 0
		.amdhsa_system_sgpr_private_segment_wavefront_offset 0
		.amdhsa_system_sgpr_workgroup_id_x 1
		.amdhsa_system_sgpr_workgroup_id_y 0
		.amdhsa_system_sgpr_workgroup_id_z 0
		.amdhsa_system_sgpr_workgroup_info 0
		.amdhsa_system_vgpr_workitem_id 0
		.amdhsa_next_free_vgpr 1
		.amdhsa_next_free_sgpr 0
		.amdhsa_accum_offset 4
		.amdhsa_reserve_vcc 0
		.amdhsa_reserve_flat_scratch 0
		.amdhsa_float_round_mode_32 0
		.amdhsa_float_round_mode_16_64 0
		.amdhsa_float_denorm_mode_32 3
		.amdhsa_float_denorm_mode_16_64 3
		.amdhsa_dx10_clamp 1
		.amdhsa_ieee_mode 1
		.amdhsa_fp16_overflow 0
		.amdhsa_tg_split 0
		.amdhsa_exception_fp_ieee_invalid_op 0
		.amdhsa_exception_fp_denorm_src 0
		.amdhsa_exception_fp_ieee_div_zero 0
		.amdhsa_exception_fp_ieee_overflow 0
		.amdhsa_exception_fp_ieee_underflow 0
		.amdhsa_exception_fp_ieee_inexact 0
		.amdhsa_exception_int_div_zero 0
	.end_amdhsa_kernel
	.section	.text._ZN7rocprim17ROCPRIM_400000_NS6detail17trampoline_kernelINS0_13kernel_configILj256ELj4ELj4294967295EEENS1_37radix_sort_block_sort_config_selectorIhNS0_10empty_typeEEEZNS1_21radix_sort_block_sortIS4_Lb1EPhS9_PS6_SA_NS0_19identity_decomposerEEE10hipError_tT1_T2_T3_T4_jRjT5_jjP12ihipStream_tbEUlT_E_NS1_11comp_targetILNS1_3genE10ELNS1_11target_archE1200ELNS1_3gpuE4ELNS1_3repE0EEENS1_44radix_sort_block_sort_config_static_selectorELNS0_4arch9wavefront6targetE1EEEvSD_,"axG",@progbits,_ZN7rocprim17ROCPRIM_400000_NS6detail17trampoline_kernelINS0_13kernel_configILj256ELj4ELj4294967295EEENS1_37radix_sort_block_sort_config_selectorIhNS0_10empty_typeEEEZNS1_21radix_sort_block_sortIS4_Lb1EPhS9_PS6_SA_NS0_19identity_decomposerEEE10hipError_tT1_T2_T3_T4_jRjT5_jjP12ihipStream_tbEUlT_E_NS1_11comp_targetILNS1_3genE10ELNS1_11target_archE1200ELNS1_3gpuE4ELNS1_3repE0EEENS1_44radix_sort_block_sort_config_static_selectorELNS0_4arch9wavefront6targetE1EEEvSD_,comdat
.Lfunc_end1664:
	.size	_ZN7rocprim17ROCPRIM_400000_NS6detail17trampoline_kernelINS0_13kernel_configILj256ELj4ELj4294967295EEENS1_37radix_sort_block_sort_config_selectorIhNS0_10empty_typeEEEZNS1_21radix_sort_block_sortIS4_Lb1EPhS9_PS6_SA_NS0_19identity_decomposerEEE10hipError_tT1_T2_T3_T4_jRjT5_jjP12ihipStream_tbEUlT_E_NS1_11comp_targetILNS1_3genE10ELNS1_11target_archE1200ELNS1_3gpuE4ELNS1_3repE0EEENS1_44radix_sort_block_sort_config_static_selectorELNS0_4arch9wavefront6targetE1EEEvSD_, .Lfunc_end1664-_ZN7rocprim17ROCPRIM_400000_NS6detail17trampoline_kernelINS0_13kernel_configILj256ELj4ELj4294967295EEENS1_37radix_sort_block_sort_config_selectorIhNS0_10empty_typeEEEZNS1_21radix_sort_block_sortIS4_Lb1EPhS9_PS6_SA_NS0_19identity_decomposerEEE10hipError_tT1_T2_T3_T4_jRjT5_jjP12ihipStream_tbEUlT_E_NS1_11comp_targetILNS1_3genE10ELNS1_11target_archE1200ELNS1_3gpuE4ELNS1_3repE0EEENS1_44radix_sort_block_sort_config_static_selectorELNS0_4arch9wavefront6targetE1EEEvSD_
                                        ; -- End function
	.section	.AMDGPU.csdata,"",@progbits
; Kernel info:
; codeLenInByte = 0
; NumSgprs: 4
; NumVgprs: 0
; NumAgprs: 0
; TotalNumVgprs: 0
; ScratchSize: 0
; MemoryBound: 0
; FloatMode: 240
; IeeeMode: 1
; LDSByteSize: 0 bytes/workgroup (compile time only)
; SGPRBlocks: 0
; VGPRBlocks: 0
; NumSGPRsForWavesPerEU: 4
; NumVGPRsForWavesPerEU: 1
; AccumOffset: 4
; Occupancy: 8
; WaveLimiterHint : 0
; COMPUTE_PGM_RSRC2:SCRATCH_EN: 0
; COMPUTE_PGM_RSRC2:USER_SGPR: 6
; COMPUTE_PGM_RSRC2:TRAP_HANDLER: 0
; COMPUTE_PGM_RSRC2:TGID_X_EN: 1
; COMPUTE_PGM_RSRC2:TGID_Y_EN: 0
; COMPUTE_PGM_RSRC2:TGID_Z_EN: 0
; COMPUTE_PGM_RSRC2:TIDIG_COMP_CNT: 0
; COMPUTE_PGM_RSRC3_GFX90A:ACCUM_OFFSET: 0
; COMPUTE_PGM_RSRC3_GFX90A:TG_SPLIT: 0
	.section	.text._ZN7rocprim17ROCPRIM_400000_NS6detail17trampoline_kernelINS0_13kernel_configILj256ELj4ELj4294967295EEENS1_37radix_sort_block_sort_config_selectorIhNS0_10empty_typeEEEZNS1_21radix_sort_block_sortIS4_Lb1EPhS9_PS6_SA_NS0_19identity_decomposerEEE10hipError_tT1_T2_T3_T4_jRjT5_jjP12ihipStream_tbEUlT_E_NS1_11comp_targetILNS1_3genE9ELNS1_11target_archE1100ELNS1_3gpuE3ELNS1_3repE0EEENS1_44radix_sort_block_sort_config_static_selectorELNS0_4arch9wavefront6targetE1EEEvSD_,"axG",@progbits,_ZN7rocprim17ROCPRIM_400000_NS6detail17trampoline_kernelINS0_13kernel_configILj256ELj4ELj4294967295EEENS1_37radix_sort_block_sort_config_selectorIhNS0_10empty_typeEEEZNS1_21radix_sort_block_sortIS4_Lb1EPhS9_PS6_SA_NS0_19identity_decomposerEEE10hipError_tT1_T2_T3_T4_jRjT5_jjP12ihipStream_tbEUlT_E_NS1_11comp_targetILNS1_3genE9ELNS1_11target_archE1100ELNS1_3gpuE3ELNS1_3repE0EEENS1_44radix_sort_block_sort_config_static_selectorELNS0_4arch9wavefront6targetE1EEEvSD_,comdat
	.protected	_ZN7rocprim17ROCPRIM_400000_NS6detail17trampoline_kernelINS0_13kernel_configILj256ELj4ELj4294967295EEENS1_37radix_sort_block_sort_config_selectorIhNS0_10empty_typeEEEZNS1_21radix_sort_block_sortIS4_Lb1EPhS9_PS6_SA_NS0_19identity_decomposerEEE10hipError_tT1_T2_T3_T4_jRjT5_jjP12ihipStream_tbEUlT_E_NS1_11comp_targetILNS1_3genE9ELNS1_11target_archE1100ELNS1_3gpuE3ELNS1_3repE0EEENS1_44radix_sort_block_sort_config_static_selectorELNS0_4arch9wavefront6targetE1EEEvSD_ ; -- Begin function _ZN7rocprim17ROCPRIM_400000_NS6detail17trampoline_kernelINS0_13kernel_configILj256ELj4ELj4294967295EEENS1_37radix_sort_block_sort_config_selectorIhNS0_10empty_typeEEEZNS1_21radix_sort_block_sortIS4_Lb1EPhS9_PS6_SA_NS0_19identity_decomposerEEE10hipError_tT1_T2_T3_T4_jRjT5_jjP12ihipStream_tbEUlT_E_NS1_11comp_targetILNS1_3genE9ELNS1_11target_archE1100ELNS1_3gpuE3ELNS1_3repE0EEENS1_44radix_sort_block_sort_config_static_selectorELNS0_4arch9wavefront6targetE1EEEvSD_
	.globl	_ZN7rocprim17ROCPRIM_400000_NS6detail17trampoline_kernelINS0_13kernel_configILj256ELj4ELj4294967295EEENS1_37radix_sort_block_sort_config_selectorIhNS0_10empty_typeEEEZNS1_21radix_sort_block_sortIS4_Lb1EPhS9_PS6_SA_NS0_19identity_decomposerEEE10hipError_tT1_T2_T3_T4_jRjT5_jjP12ihipStream_tbEUlT_E_NS1_11comp_targetILNS1_3genE9ELNS1_11target_archE1100ELNS1_3gpuE3ELNS1_3repE0EEENS1_44radix_sort_block_sort_config_static_selectorELNS0_4arch9wavefront6targetE1EEEvSD_
	.p2align	8
	.type	_ZN7rocprim17ROCPRIM_400000_NS6detail17trampoline_kernelINS0_13kernel_configILj256ELj4ELj4294967295EEENS1_37radix_sort_block_sort_config_selectorIhNS0_10empty_typeEEEZNS1_21radix_sort_block_sortIS4_Lb1EPhS9_PS6_SA_NS0_19identity_decomposerEEE10hipError_tT1_T2_T3_T4_jRjT5_jjP12ihipStream_tbEUlT_E_NS1_11comp_targetILNS1_3genE9ELNS1_11target_archE1100ELNS1_3gpuE3ELNS1_3repE0EEENS1_44radix_sort_block_sort_config_static_selectorELNS0_4arch9wavefront6targetE1EEEvSD_,@function
_ZN7rocprim17ROCPRIM_400000_NS6detail17trampoline_kernelINS0_13kernel_configILj256ELj4ELj4294967295EEENS1_37radix_sort_block_sort_config_selectorIhNS0_10empty_typeEEEZNS1_21radix_sort_block_sortIS4_Lb1EPhS9_PS6_SA_NS0_19identity_decomposerEEE10hipError_tT1_T2_T3_T4_jRjT5_jjP12ihipStream_tbEUlT_E_NS1_11comp_targetILNS1_3genE9ELNS1_11target_archE1100ELNS1_3gpuE3ELNS1_3repE0EEENS1_44radix_sort_block_sort_config_static_selectorELNS0_4arch9wavefront6targetE1EEEvSD_: ; @_ZN7rocprim17ROCPRIM_400000_NS6detail17trampoline_kernelINS0_13kernel_configILj256ELj4ELj4294967295EEENS1_37radix_sort_block_sort_config_selectorIhNS0_10empty_typeEEEZNS1_21radix_sort_block_sortIS4_Lb1EPhS9_PS6_SA_NS0_19identity_decomposerEEE10hipError_tT1_T2_T3_T4_jRjT5_jjP12ihipStream_tbEUlT_E_NS1_11comp_targetILNS1_3genE9ELNS1_11target_archE1100ELNS1_3gpuE3ELNS1_3repE0EEENS1_44radix_sort_block_sort_config_static_selectorELNS0_4arch9wavefront6targetE1EEEvSD_
; %bb.0:
	.section	.rodata,"a",@progbits
	.p2align	6, 0x0
	.amdhsa_kernel _ZN7rocprim17ROCPRIM_400000_NS6detail17trampoline_kernelINS0_13kernel_configILj256ELj4ELj4294967295EEENS1_37radix_sort_block_sort_config_selectorIhNS0_10empty_typeEEEZNS1_21radix_sort_block_sortIS4_Lb1EPhS9_PS6_SA_NS0_19identity_decomposerEEE10hipError_tT1_T2_T3_T4_jRjT5_jjP12ihipStream_tbEUlT_E_NS1_11comp_targetILNS1_3genE9ELNS1_11target_archE1100ELNS1_3gpuE3ELNS1_3repE0EEENS1_44radix_sort_block_sort_config_static_selectorELNS0_4arch9wavefront6targetE1EEEvSD_
		.amdhsa_group_segment_fixed_size 0
		.amdhsa_private_segment_fixed_size 0
		.amdhsa_kernarg_size 48
		.amdhsa_user_sgpr_count 6
		.amdhsa_user_sgpr_private_segment_buffer 1
		.amdhsa_user_sgpr_dispatch_ptr 0
		.amdhsa_user_sgpr_queue_ptr 0
		.amdhsa_user_sgpr_kernarg_segment_ptr 1
		.amdhsa_user_sgpr_dispatch_id 0
		.amdhsa_user_sgpr_flat_scratch_init 0
		.amdhsa_user_sgpr_kernarg_preload_length 0
		.amdhsa_user_sgpr_kernarg_preload_offset 0
		.amdhsa_user_sgpr_private_segment_size 0
		.amdhsa_uses_dynamic_stack 0
		.amdhsa_system_sgpr_private_segment_wavefront_offset 0
		.amdhsa_system_sgpr_workgroup_id_x 1
		.amdhsa_system_sgpr_workgroup_id_y 0
		.amdhsa_system_sgpr_workgroup_id_z 0
		.amdhsa_system_sgpr_workgroup_info 0
		.amdhsa_system_vgpr_workitem_id 0
		.amdhsa_next_free_vgpr 1
		.amdhsa_next_free_sgpr 0
		.amdhsa_accum_offset 4
		.amdhsa_reserve_vcc 0
		.amdhsa_reserve_flat_scratch 0
		.amdhsa_float_round_mode_32 0
		.amdhsa_float_round_mode_16_64 0
		.amdhsa_float_denorm_mode_32 3
		.amdhsa_float_denorm_mode_16_64 3
		.amdhsa_dx10_clamp 1
		.amdhsa_ieee_mode 1
		.amdhsa_fp16_overflow 0
		.amdhsa_tg_split 0
		.amdhsa_exception_fp_ieee_invalid_op 0
		.amdhsa_exception_fp_denorm_src 0
		.amdhsa_exception_fp_ieee_div_zero 0
		.amdhsa_exception_fp_ieee_overflow 0
		.amdhsa_exception_fp_ieee_underflow 0
		.amdhsa_exception_fp_ieee_inexact 0
		.amdhsa_exception_int_div_zero 0
	.end_amdhsa_kernel
	.section	.text._ZN7rocprim17ROCPRIM_400000_NS6detail17trampoline_kernelINS0_13kernel_configILj256ELj4ELj4294967295EEENS1_37radix_sort_block_sort_config_selectorIhNS0_10empty_typeEEEZNS1_21radix_sort_block_sortIS4_Lb1EPhS9_PS6_SA_NS0_19identity_decomposerEEE10hipError_tT1_T2_T3_T4_jRjT5_jjP12ihipStream_tbEUlT_E_NS1_11comp_targetILNS1_3genE9ELNS1_11target_archE1100ELNS1_3gpuE3ELNS1_3repE0EEENS1_44radix_sort_block_sort_config_static_selectorELNS0_4arch9wavefront6targetE1EEEvSD_,"axG",@progbits,_ZN7rocprim17ROCPRIM_400000_NS6detail17trampoline_kernelINS0_13kernel_configILj256ELj4ELj4294967295EEENS1_37radix_sort_block_sort_config_selectorIhNS0_10empty_typeEEEZNS1_21radix_sort_block_sortIS4_Lb1EPhS9_PS6_SA_NS0_19identity_decomposerEEE10hipError_tT1_T2_T3_T4_jRjT5_jjP12ihipStream_tbEUlT_E_NS1_11comp_targetILNS1_3genE9ELNS1_11target_archE1100ELNS1_3gpuE3ELNS1_3repE0EEENS1_44radix_sort_block_sort_config_static_selectorELNS0_4arch9wavefront6targetE1EEEvSD_,comdat
.Lfunc_end1665:
	.size	_ZN7rocprim17ROCPRIM_400000_NS6detail17trampoline_kernelINS0_13kernel_configILj256ELj4ELj4294967295EEENS1_37radix_sort_block_sort_config_selectorIhNS0_10empty_typeEEEZNS1_21radix_sort_block_sortIS4_Lb1EPhS9_PS6_SA_NS0_19identity_decomposerEEE10hipError_tT1_T2_T3_T4_jRjT5_jjP12ihipStream_tbEUlT_E_NS1_11comp_targetILNS1_3genE9ELNS1_11target_archE1100ELNS1_3gpuE3ELNS1_3repE0EEENS1_44radix_sort_block_sort_config_static_selectorELNS0_4arch9wavefront6targetE1EEEvSD_, .Lfunc_end1665-_ZN7rocprim17ROCPRIM_400000_NS6detail17trampoline_kernelINS0_13kernel_configILj256ELj4ELj4294967295EEENS1_37radix_sort_block_sort_config_selectorIhNS0_10empty_typeEEEZNS1_21radix_sort_block_sortIS4_Lb1EPhS9_PS6_SA_NS0_19identity_decomposerEEE10hipError_tT1_T2_T3_T4_jRjT5_jjP12ihipStream_tbEUlT_E_NS1_11comp_targetILNS1_3genE9ELNS1_11target_archE1100ELNS1_3gpuE3ELNS1_3repE0EEENS1_44radix_sort_block_sort_config_static_selectorELNS0_4arch9wavefront6targetE1EEEvSD_
                                        ; -- End function
	.section	.AMDGPU.csdata,"",@progbits
; Kernel info:
; codeLenInByte = 0
; NumSgprs: 4
; NumVgprs: 0
; NumAgprs: 0
; TotalNumVgprs: 0
; ScratchSize: 0
; MemoryBound: 0
; FloatMode: 240
; IeeeMode: 1
; LDSByteSize: 0 bytes/workgroup (compile time only)
; SGPRBlocks: 0
; VGPRBlocks: 0
; NumSGPRsForWavesPerEU: 4
; NumVGPRsForWavesPerEU: 1
; AccumOffset: 4
; Occupancy: 8
; WaveLimiterHint : 0
; COMPUTE_PGM_RSRC2:SCRATCH_EN: 0
; COMPUTE_PGM_RSRC2:USER_SGPR: 6
; COMPUTE_PGM_RSRC2:TRAP_HANDLER: 0
; COMPUTE_PGM_RSRC2:TGID_X_EN: 1
; COMPUTE_PGM_RSRC2:TGID_Y_EN: 0
; COMPUTE_PGM_RSRC2:TGID_Z_EN: 0
; COMPUTE_PGM_RSRC2:TIDIG_COMP_CNT: 0
; COMPUTE_PGM_RSRC3_GFX90A:ACCUM_OFFSET: 0
; COMPUTE_PGM_RSRC3_GFX90A:TG_SPLIT: 0
	.section	.text._ZN7rocprim17ROCPRIM_400000_NS6detail17trampoline_kernelINS0_13kernel_configILj256ELj4ELj4294967295EEENS1_37radix_sort_block_sort_config_selectorIhNS0_10empty_typeEEEZNS1_21radix_sort_block_sortIS4_Lb1EPhS9_PS6_SA_NS0_19identity_decomposerEEE10hipError_tT1_T2_T3_T4_jRjT5_jjP12ihipStream_tbEUlT_E_NS1_11comp_targetILNS1_3genE8ELNS1_11target_archE1030ELNS1_3gpuE2ELNS1_3repE0EEENS1_44radix_sort_block_sort_config_static_selectorELNS0_4arch9wavefront6targetE1EEEvSD_,"axG",@progbits,_ZN7rocprim17ROCPRIM_400000_NS6detail17trampoline_kernelINS0_13kernel_configILj256ELj4ELj4294967295EEENS1_37radix_sort_block_sort_config_selectorIhNS0_10empty_typeEEEZNS1_21radix_sort_block_sortIS4_Lb1EPhS9_PS6_SA_NS0_19identity_decomposerEEE10hipError_tT1_T2_T3_T4_jRjT5_jjP12ihipStream_tbEUlT_E_NS1_11comp_targetILNS1_3genE8ELNS1_11target_archE1030ELNS1_3gpuE2ELNS1_3repE0EEENS1_44radix_sort_block_sort_config_static_selectorELNS0_4arch9wavefront6targetE1EEEvSD_,comdat
	.protected	_ZN7rocprim17ROCPRIM_400000_NS6detail17trampoline_kernelINS0_13kernel_configILj256ELj4ELj4294967295EEENS1_37radix_sort_block_sort_config_selectorIhNS0_10empty_typeEEEZNS1_21radix_sort_block_sortIS4_Lb1EPhS9_PS6_SA_NS0_19identity_decomposerEEE10hipError_tT1_T2_T3_T4_jRjT5_jjP12ihipStream_tbEUlT_E_NS1_11comp_targetILNS1_3genE8ELNS1_11target_archE1030ELNS1_3gpuE2ELNS1_3repE0EEENS1_44radix_sort_block_sort_config_static_selectorELNS0_4arch9wavefront6targetE1EEEvSD_ ; -- Begin function _ZN7rocprim17ROCPRIM_400000_NS6detail17trampoline_kernelINS0_13kernel_configILj256ELj4ELj4294967295EEENS1_37radix_sort_block_sort_config_selectorIhNS0_10empty_typeEEEZNS1_21radix_sort_block_sortIS4_Lb1EPhS9_PS6_SA_NS0_19identity_decomposerEEE10hipError_tT1_T2_T3_T4_jRjT5_jjP12ihipStream_tbEUlT_E_NS1_11comp_targetILNS1_3genE8ELNS1_11target_archE1030ELNS1_3gpuE2ELNS1_3repE0EEENS1_44radix_sort_block_sort_config_static_selectorELNS0_4arch9wavefront6targetE1EEEvSD_
	.globl	_ZN7rocprim17ROCPRIM_400000_NS6detail17trampoline_kernelINS0_13kernel_configILj256ELj4ELj4294967295EEENS1_37radix_sort_block_sort_config_selectorIhNS0_10empty_typeEEEZNS1_21radix_sort_block_sortIS4_Lb1EPhS9_PS6_SA_NS0_19identity_decomposerEEE10hipError_tT1_T2_T3_T4_jRjT5_jjP12ihipStream_tbEUlT_E_NS1_11comp_targetILNS1_3genE8ELNS1_11target_archE1030ELNS1_3gpuE2ELNS1_3repE0EEENS1_44radix_sort_block_sort_config_static_selectorELNS0_4arch9wavefront6targetE1EEEvSD_
	.p2align	8
	.type	_ZN7rocprim17ROCPRIM_400000_NS6detail17trampoline_kernelINS0_13kernel_configILj256ELj4ELj4294967295EEENS1_37radix_sort_block_sort_config_selectorIhNS0_10empty_typeEEEZNS1_21radix_sort_block_sortIS4_Lb1EPhS9_PS6_SA_NS0_19identity_decomposerEEE10hipError_tT1_T2_T3_T4_jRjT5_jjP12ihipStream_tbEUlT_E_NS1_11comp_targetILNS1_3genE8ELNS1_11target_archE1030ELNS1_3gpuE2ELNS1_3repE0EEENS1_44radix_sort_block_sort_config_static_selectorELNS0_4arch9wavefront6targetE1EEEvSD_,@function
_ZN7rocprim17ROCPRIM_400000_NS6detail17trampoline_kernelINS0_13kernel_configILj256ELj4ELj4294967295EEENS1_37radix_sort_block_sort_config_selectorIhNS0_10empty_typeEEEZNS1_21radix_sort_block_sortIS4_Lb1EPhS9_PS6_SA_NS0_19identity_decomposerEEE10hipError_tT1_T2_T3_T4_jRjT5_jjP12ihipStream_tbEUlT_E_NS1_11comp_targetILNS1_3genE8ELNS1_11target_archE1030ELNS1_3gpuE2ELNS1_3repE0EEENS1_44radix_sort_block_sort_config_static_selectorELNS0_4arch9wavefront6targetE1EEEvSD_: ; @_ZN7rocprim17ROCPRIM_400000_NS6detail17trampoline_kernelINS0_13kernel_configILj256ELj4ELj4294967295EEENS1_37radix_sort_block_sort_config_selectorIhNS0_10empty_typeEEEZNS1_21radix_sort_block_sortIS4_Lb1EPhS9_PS6_SA_NS0_19identity_decomposerEEE10hipError_tT1_T2_T3_T4_jRjT5_jjP12ihipStream_tbEUlT_E_NS1_11comp_targetILNS1_3genE8ELNS1_11target_archE1030ELNS1_3gpuE2ELNS1_3repE0EEENS1_44radix_sort_block_sort_config_static_selectorELNS0_4arch9wavefront6targetE1EEEvSD_
; %bb.0:
	.section	.rodata,"a",@progbits
	.p2align	6, 0x0
	.amdhsa_kernel _ZN7rocprim17ROCPRIM_400000_NS6detail17trampoline_kernelINS0_13kernel_configILj256ELj4ELj4294967295EEENS1_37radix_sort_block_sort_config_selectorIhNS0_10empty_typeEEEZNS1_21radix_sort_block_sortIS4_Lb1EPhS9_PS6_SA_NS0_19identity_decomposerEEE10hipError_tT1_T2_T3_T4_jRjT5_jjP12ihipStream_tbEUlT_E_NS1_11comp_targetILNS1_3genE8ELNS1_11target_archE1030ELNS1_3gpuE2ELNS1_3repE0EEENS1_44radix_sort_block_sort_config_static_selectorELNS0_4arch9wavefront6targetE1EEEvSD_
		.amdhsa_group_segment_fixed_size 0
		.amdhsa_private_segment_fixed_size 0
		.amdhsa_kernarg_size 48
		.amdhsa_user_sgpr_count 6
		.amdhsa_user_sgpr_private_segment_buffer 1
		.amdhsa_user_sgpr_dispatch_ptr 0
		.amdhsa_user_sgpr_queue_ptr 0
		.amdhsa_user_sgpr_kernarg_segment_ptr 1
		.amdhsa_user_sgpr_dispatch_id 0
		.amdhsa_user_sgpr_flat_scratch_init 0
		.amdhsa_user_sgpr_kernarg_preload_length 0
		.amdhsa_user_sgpr_kernarg_preload_offset 0
		.amdhsa_user_sgpr_private_segment_size 0
		.amdhsa_uses_dynamic_stack 0
		.amdhsa_system_sgpr_private_segment_wavefront_offset 0
		.amdhsa_system_sgpr_workgroup_id_x 1
		.amdhsa_system_sgpr_workgroup_id_y 0
		.amdhsa_system_sgpr_workgroup_id_z 0
		.amdhsa_system_sgpr_workgroup_info 0
		.amdhsa_system_vgpr_workitem_id 0
		.amdhsa_next_free_vgpr 1
		.amdhsa_next_free_sgpr 0
		.amdhsa_accum_offset 4
		.amdhsa_reserve_vcc 0
		.amdhsa_reserve_flat_scratch 0
		.amdhsa_float_round_mode_32 0
		.amdhsa_float_round_mode_16_64 0
		.amdhsa_float_denorm_mode_32 3
		.amdhsa_float_denorm_mode_16_64 3
		.amdhsa_dx10_clamp 1
		.amdhsa_ieee_mode 1
		.amdhsa_fp16_overflow 0
		.amdhsa_tg_split 0
		.amdhsa_exception_fp_ieee_invalid_op 0
		.amdhsa_exception_fp_denorm_src 0
		.amdhsa_exception_fp_ieee_div_zero 0
		.amdhsa_exception_fp_ieee_overflow 0
		.amdhsa_exception_fp_ieee_underflow 0
		.amdhsa_exception_fp_ieee_inexact 0
		.amdhsa_exception_int_div_zero 0
	.end_amdhsa_kernel
	.section	.text._ZN7rocprim17ROCPRIM_400000_NS6detail17trampoline_kernelINS0_13kernel_configILj256ELj4ELj4294967295EEENS1_37radix_sort_block_sort_config_selectorIhNS0_10empty_typeEEEZNS1_21radix_sort_block_sortIS4_Lb1EPhS9_PS6_SA_NS0_19identity_decomposerEEE10hipError_tT1_T2_T3_T4_jRjT5_jjP12ihipStream_tbEUlT_E_NS1_11comp_targetILNS1_3genE8ELNS1_11target_archE1030ELNS1_3gpuE2ELNS1_3repE0EEENS1_44radix_sort_block_sort_config_static_selectorELNS0_4arch9wavefront6targetE1EEEvSD_,"axG",@progbits,_ZN7rocprim17ROCPRIM_400000_NS6detail17trampoline_kernelINS0_13kernel_configILj256ELj4ELj4294967295EEENS1_37radix_sort_block_sort_config_selectorIhNS0_10empty_typeEEEZNS1_21radix_sort_block_sortIS4_Lb1EPhS9_PS6_SA_NS0_19identity_decomposerEEE10hipError_tT1_T2_T3_T4_jRjT5_jjP12ihipStream_tbEUlT_E_NS1_11comp_targetILNS1_3genE8ELNS1_11target_archE1030ELNS1_3gpuE2ELNS1_3repE0EEENS1_44radix_sort_block_sort_config_static_selectorELNS0_4arch9wavefront6targetE1EEEvSD_,comdat
.Lfunc_end1666:
	.size	_ZN7rocprim17ROCPRIM_400000_NS6detail17trampoline_kernelINS0_13kernel_configILj256ELj4ELj4294967295EEENS1_37radix_sort_block_sort_config_selectorIhNS0_10empty_typeEEEZNS1_21radix_sort_block_sortIS4_Lb1EPhS9_PS6_SA_NS0_19identity_decomposerEEE10hipError_tT1_T2_T3_T4_jRjT5_jjP12ihipStream_tbEUlT_E_NS1_11comp_targetILNS1_3genE8ELNS1_11target_archE1030ELNS1_3gpuE2ELNS1_3repE0EEENS1_44radix_sort_block_sort_config_static_selectorELNS0_4arch9wavefront6targetE1EEEvSD_, .Lfunc_end1666-_ZN7rocprim17ROCPRIM_400000_NS6detail17trampoline_kernelINS0_13kernel_configILj256ELj4ELj4294967295EEENS1_37radix_sort_block_sort_config_selectorIhNS0_10empty_typeEEEZNS1_21radix_sort_block_sortIS4_Lb1EPhS9_PS6_SA_NS0_19identity_decomposerEEE10hipError_tT1_T2_T3_T4_jRjT5_jjP12ihipStream_tbEUlT_E_NS1_11comp_targetILNS1_3genE8ELNS1_11target_archE1030ELNS1_3gpuE2ELNS1_3repE0EEENS1_44radix_sort_block_sort_config_static_selectorELNS0_4arch9wavefront6targetE1EEEvSD_
                                        ; -- End function
	.section	.AMDGPU.csdata,"",@progbits
; Kernel info:
; codeLenInByte = 0
; NumSgprs: 4
; NumVgprs: 0
; NumAgprs: 0
; TotalNumVgprs: 0
; ScratchSize: 0
; MemoryBound: 0
; FloatMode: 240
; IeeeMode: 1
; LDSByteSize: 0 bytes/workgroup (compile time only)
; SGPRBlocks: 0
; VGPRBlocks: 0
; NumSGPRsForWavesPerEU: 4
; NumVGPRsForWavesPerEU: 1
; AccumOffset: 4
; Occupancy: 8
; WaveLimiterHint : 0
; COMPUTE_PGM_RSRC2:SCRATCH_EN: 0
; COMPUTE_PGM_RSRC2:USER_SGPR: 6
; COMPUTE_PGM_RSRC2:TRAP_HANDLER: 0
; COMPUTE_PGM_RSRC2:TGID_X_EN: 1
; COMPUTE_PGM_RSRC2:TGID_Y_EN: 0
; COMPUTE_PGM_RSRC2:TGID_Z_EN: 0
; COMPUTE_PGM_RSRC2:TIDIG_COMP_CNT: 0
; COMPUTE_PGM_RSRC3_GFX90A:ACCUM_OFFSET: 0
; COMPUTE_PGM_RSRC3_GFX90A:TG_SPLIT: 0
	.section	.text._ZN7rocprim17ROCPRIM_400000_NS6detail17trampoline_kernelINS0_14default_configENS1_38merge_sort_block_merge_config_selectorIhNS0_10empty_typeEEEZZNS1_27merge_sort_block_merge_implIS3_PhPS5_jNS1_19radix_merge_compareILb1ELb0EhNS0_19identity_decomposerEEEEE10hipError_tT0_T1_T2_jT3_P12ihipStream_tbPNSt15iterator_traitsISE_E10value_typeEPNSK_ISF_E10value_typeEPSG_NS1_7vsmem_tEENKUlT_SE_SF_SG_E_clIS8_S8_S9_S9_EESD_ST_SE_SF_SG_EUlST_E_NS1_11comp_targetILNS1_3genE0ELNS1_11target_archE4294967295ELNS1_3gpuE0ELNS1_3repE0EEENS1_48merge_mergepath_partition_config_static_selectorELNS0_4arch9wavefront6targetE1EEEvSF_,"axG",@progbits,_ZN7rocprim17ROCPRIM_400000_NS6detail17trampoline_kernelINS0_14default_configENS1_38merge_sort_block_merge_config_selectorIhNS0_10empty_typeEEEZZNS1_27merge_sort_block_merge_implIS3_PhPS5_jNS1_19radix_merge_compareILb1ELb0EhNS0_19identity_decomposerEEEEE10hipError_tT0_T1_T2_jT3_P12ihipStream_tbPNSt15iterator_traitsISE_E10value_typeEPNSK_ISF_E10value_typeEPSG_NS1_7vsmem_tEENKUlT_SE_SF_SG_E_clIS8_S8_S9_S9_EESD_ST_SE_SF_SG_EUlST_E_NS1_11comp_targetILNS1_3genE0ELNS1_11target_archE4294967295ELNS1_3gpuE0ELNS1_3repE0EEENS1_48merge_mergepath_partition_config_static_selectorELNS0_4arch9wavefront6targetE1EEEvSF_,comdat
	.protected	_ZN7rocprim17ROCPRIM_400000_NS6detail17trampoline_kernelINS0_14default_configENS1_38merge_sort_block_merge_config_selectorIhNS0_10empty_typeEEEZZNS1_27merge_sort_block_merge_implIS3_PhPS5_jNS1_19radix_merge_compareILb1ELb0EhNS0_19identity_decomposerEEEEE10hipError_tT0_T1_T2_jT3_P12ihipStream_tbPNSt15iterator_traitsISE_E10value_typeEPNSK_ISF_E10value_typeEPSG_NS1_7vsmem_tEENKUlT_SE_SF_SG_E_clIS8_S8_S9_S9_EESD_ST_SE_SF_SG_EUlST_E_NS1_11comp_targetILNS1_3genE0ELNS1_11target_archE4294967295ELNS1_3gpuE0ELNS1_3repE0EEENS1_48merge_mergepath_partition_config_static_selectorELNS0_4arch9wavefront6targetE1EEEvSF_ ; -- Begin function _ZN7rocprim17ROCPRIM_400000_NS6detail17trampoline_kernelINS0_14default_configENS1_38merge_sort_block_merge_config_selectorIhNS0_10empty_typeEEEZZNS1_27merge_sort_block_merge_implIS3_PhPS5_jNS1_19radix_merge_compareILb1ELb0EhNS0_19identity_decomposerEEEEE10hipError_tT0_T1_T2_jT3_P12ihipStream_tbPNSt15iterator_traitsISE_E10value_typeEPNSK_ISF_E10value_typeEPSG_NS1_7vsmem_tEENKUlT_SE_SF_SG_E_clIS8_S8_S9_S9_EESD_ST_SE_SF_SG_EUlST_E_NS1_11comp_targetILNS1_3genE0ELNS1_11target_archE4294967295ELNS1_3gpuE0ELNS1_3repE0EEENS1_48merge_mergepath_partition_config_static_selectorELNS0_4arch9wavefront6targetE1EEEvSF_
	.globl	_ZN7rocprim17ROCPRIM_400000_NS6detail17trampoline_kernelINS0_14default_configENS1_38merge_sort_block_merge_config_selectorIhNS0_10empty_typeEEEZZNS1_27merge_sort_block_merge_implIS3_PhPS5_jNS1_19radix_merge_compareILb1ELb0EhNS0_19identity_decomposerEEEEE10hipError_tT0_T1_T2_jT3_P12ihipStream_tbPNSt15iterator_traitsISE_E10value_typeEPNSK_ISF_E10value_typeEPSG_NS1_7vsmem_tEENKUlT_SE_SF_SG_E_clIS8_S8_S9_S9_EESD_ST_SE_SF_SG_EUlST_E_NS1_11comp_targetILNS1_3genE0ELNS1_11target_archE4294967295ELNS1_3gpuE0ELNS1_3repE0EEENS1_48merge_mergepath_partition_config_static_selectorELNS0_4arch9wavefront6targetE1EEEvSF_
	.p2align	8
	.type	_ZN7rocprim17ROCPRIM_400000_NS6detail17trampoline_kernelINS0_14default_configENS1_38merge_sort_block_merge_config_selectorIhNS0_10empty_typeEEEZZNS1_27merge_sort_block_merge_implIS3_PhPS5_jNS1_19radix_merge_compareILb1ELb0EhNS0_19identity_decomposerEEEEE10hipError_tT0_T1_T2_jT3_P12ihipStream_tbPNSt15iterator_traitsISE_E10value_typeEPNSK_ISF_E10value_typeEPSG_NS1_7vsmem_tEENKUlT_SE_SF_SG_E_clIS8_S8_S9_S9_EESD_ST_SE_SF_SG_EUlST_E_NS1_11comp_targetILNS1_3genE0ELNS1_11target_archE4294967295ELNS1_3gpuE0ELNS1_3repE0EEENS1_48merge_mergepath_partition_config_static_selectorELNS0_4arch9wavefront6targetE1EEEvSF_,@function
_ZN7rocprim17ROCPRIM_400000_NS6detail17trampoline_kernelINS0_14default_configENS1_38merge_sort_block_merge_config_selectorIhNS0_10empty_typeEEEZZNS1_27merge_sort_block_merge_implIS3_PhPS5_jNS1_19radix_merge_compareILb1ELb0EhNS0_19identity_decomposerEEEEE10hipError_tT0_T1_T2_jT3_P12ihipStream_tbPNSt15iterator_traitsISE_E10value_typeEPNSK_ISF_E10value_typeEPSG_NS1_7vsmem_tEENKUlT_SE_SF_SG_E_clIS8_S8_S9_S9_EESD_ST_SE_SF_SG_EUlST_E_NS1_11comp_targetILNS1_3genE0ELNS1_11target_archE4294967295ELNS1_3gpuE0ELNS1_3repE0EEENS1_48merge_mergepath_partition_config_static_selectorELNS0_4arch9wavefront6targetE1EEEvSF_: ; @_ZN7rocprim17ROCPRIM_400000_NS6detail17trampoline_kernelINS0_14default_configENS1_38merge_sort_block_merge_config_selectorIhNS0_10empty_typeEEEZZNS1_27merge_sort_block_merge_implIS3_PhPS5_jNS1_19radix_merge_compareILb1ELb0EhNS0_19identity_decomposerEEEEE10hipError_tT0_T1_T2_jT3_P12ihipStream_tbPNSt15iterator_traitsISE_E10value_typeEPNSK_ISF_E10value_typeEPSG_NS1_7vsmem_tEENKUlT_SE_SF_SG_E_clIS8_S8_S9_S9_EESD_ST_SE_SF_SG_EUlST_E_NS1_11comp_targetILNS1_3genE0ELNS1_11target_archE4294967295ELNS1_3gpuE0ELNS1_3repE0EEENS1_48merge_mergepath_partition_config_static_selectorELNS0_4arch9wavefront6targetE1EEEvSF_
; %bb.0:
	.section	.rodata,"a",@progbits
	.p2align	6, 0x0
	.amdhsa_kernel _ZN7rocprim17ROCPRIM_400000_NS6detail17trampoline_kernelINS0_14default_configENS1_38merge_sort_block_merge_config_selectorIhNS0_10empty_typeEEEZZNS1_27merge_sort_block_merge_implIS3_PhPS5_jNS1_19radix_merge_compareILb1ELb0EhNS0_19identity_decomposerEEEEE10hipError_tT0_T1_T2_jT3_P12ihipStream_tbPNSt15iterator_traitsISE_E10value_typeEPNSK_ISF_E10value_typeEPSG_NS1_7vsmem_tEENKUlT_SE_SF_SG_E_clIS8_S8_S9_S9_EESD_ST_SE_SF_SG_EUlST_E_NS1_11comp_targetILNS1_3genE0ELNS1_11target_archE4294967295ELNS1_3gpuE0ELNS1_3repE0EEENS1_48merge_mergepath_partition_config_static_selectorELNS0_4arch9wavefront6targetE1EEEvSF_
		.amdhsa_group_segment_fixed_size 0
		.amdhsa_private_segment_fixed_size 0
		.amdhsa_kernarg_size 40
		.amdhsa_user_sgpr_count 6
		.amdhsa_user_sgpr_private_segment_buffer 1
		.amdhsa_user_sgpr_dispatch_ptr 0
		.amdhsa_user_sgpr_queue_ptr 0
		.amdhsa_user_sgpr_kernarg_segment_ptr 1
		.amdhsa_user_sgpr_dispatch_id 0
		.amdhsa_user_sgpr_flat_scratch_init 0
		.amdhsa_user_sgpr_kernarg_preload_length 0
		.amdhsa_user_sgpr_kernarg_preload_offset 0
		.amdhsa_user_sgpr_private_segment_size 0
		.amdhsa_uses_dynamic_stack 0
		.amdhsa_system_sgpr_private_segment_wavefront_offset 0
		.amdhsa_system_sgpr_workgroup_id_x 1
		.amdhsa_system_sgpr_workgroup_id_y 0
		.amdhsa_system_sgpr_workgroup_id_z 0
		.amdhsa_system_sgpr_workgroup_info 0
		.amdhsa_system_vgpr_workitem_id 0
		.amdhsa_next_free_vgpr 1
		.amdhsa_next_free_sgpr 0
		.amdhsa_accum_offset 4
		.amdhsa_reserve_vcc 0
		.amdhsa_reserve_flat_scratch 0
		.amdhsa_float_round_mode_32 0
		.amdhsa_float_round_mode_16_64 0
		.amdhsa_float_denorm_mode_32 3
		.amdhsa_float_denorm_mode_16_64 3
		.amdhsa_dx10_clamp 1
		.amdhsa_ieee_mode 1
		.amdhsa_fp16_overflow 0
		.amdhsa_tg_split 0
		.amdhsa_exception_fp_ieee_invalid_op 0
		.amdhsa_exception_fp_denorm_src 0
		.amdhsa_exception_fp_ieee_div_zero 0
		.amdhsa_exception_fp_ieee_overflow 0
		.amdhsa_exception_fp_ieee_underflow 0
		.amdhsa_exception_fp_ieee_inexact 0
		.amdhsa_exception_int_div_zero 0
	.end_amdhsa_kernel
	.section	.text._ZN7rocprim17ROCPRIM_400000_NS6detail17trampoline_kernelINS0_14default_configENS1_38merge_sort_block_merge_config_selectorIhNS0_10empty_typeEEEZZNS1_27merge_sort_block_merge_implIS3_PhPS5_jNS1_19radix_merge_compareILb1ELb0EhNS0_19identity_decomposerEEEEE10hipError_tT0_T1_T2_jT3_P12ihipStream_tbPNSt15iterator_traitsISE_E10value_typeEPNSK_ISF_E10value_typeEPSG_NS1_7vsmem_tEENKUlT_SE_SF_SG_E_clIS8_S8_S9_S9_EESD_ST_SE_SF_SG_EUlST_E_NS1_11comp_targetILNS1_3genE0ELNS1_11target_archE4294967295ELNS1_3gpuE0ELNS1_3repE0EEENS1_48merge_mergepath_partition_config_static_selectorELNS0_4arch9wavefront6targetE1EEEvSF_,"axG",@progbits,_ZN7rocprim17ROCPRIM_400000_NS6detail17trampoline_kernelINS0_14default_configENS1_38merge_sort_block_merge_config_selectorIhNS0_10empty_typeEEEZZNS1_27merge_sort_block_merge_implIS3_PhPS5_jNS1_19radix_merge_compareILb1ELb0EhNS0_19identity_decomposerEEEEE10hipError_tT0_T1_T2_jT3_P12ihipStream_tbPNSt15iterator_traitsISE_E10value_typeEPNSK_ISF_E10value_typeEPSG_NS1_7vsmem_tEENKUlT_SE_SF_SG_E_clIS8_S8_S9_S9_EESD_ST_SE_SF_SG_EUlST_E_NS1_11comp_targetILNS1_3genE0ELNS1_11target_archE4294967295ELNS1_3gpuE0ELNS1_3repE0EEENS1_48merge_mergepath_partition_config_static_selectorELNS0_4arch9wavefront6targetE1EEEvSF_,comdat
.Lfunc_end1667:
	.size	_ZN7rocprim17ROCPRIM_400000_NS6detail17trampoline_kernelINS0_14default_configENS1_38merge_sort_block_merge_config_selectorIhNS0_10empty_typeEEEZZNS1_27merge_sort_block_merge_implIS3_PhPS5_jNS1_19radix_merge_compareILb1ELb0EhNS0_19identity_decomposerEEEEE10hipError_tT0_T1_T2_jT3_P12ihipStream_tbPNSt15iterator_traitsISE_E10value_typeEPNSK_ISF_E10value_typeEPSG_NS1_7vsmem_tEENKUlT_SE_SF_SG_E_clIS8_S8_S9_S9_EESD_ST_SE_SF_SG_EUlST_E_NS1_11comp_targetILNS1_3genE0ELNS1_11target_archE4294967295ELNS1_3gpuE0ELNS1_3repE0EEENS1_48merge_mergepath_partition_config_static_selectorELNS0_4arch9wavefront6targetE1EEEvSF_, .Lfunc_end1667-_ZN7rocprim17ROCPRIM_400000_NS6detail17trampoline_kernelINS0_14default_configENS1_38merge_sort_block_merge_config_selectorIhNS0_10empty_typeEEEZZNS1_27merge_sort_block_merge_implIS3_PhPS5_jNS1_19radix_merge_compareILb1ELb0EhNS0_19identity_decomposerEEEEE10hipError_tT0_T1_T2_jT3_P12ihipStream_tbPNSt15iterator_traitsISE_E10value_typeEPNSK_ISF_E10value_typeEPSG_NS1_7vsmem_tEENKUlT_SE_SF_SG_E_clIS8_S8_S9_S9_EESD_ST_SE_SF_SG_EUlST_E_NS1_11comp_targetILNS1_3genE0ELNS1_11target_archE4294967295ELNS1_3gpuE0ELNS1_3repE0EEENS1_48merge_mergepath_partition_config_static_selectorELNS0_4arch9wavefront6targetE1EEEvSF_
                                        ; -- End function
	.section	.AMDGPU.csdata,"",@progbits
; Kernel info:
; codeLenInByte = 0
; NumSgprs: 4
; NumVgprs: 0
; NumAgprs: 0
; TotalNumVgprs: 0
; ScratchSize: 0
; MemoryBound: 0
; FloatMode: 240
; IeeeMode: 1
; LDSByteSize: 0 bytes/workgroup (compile time only)
; SGPRBlocks: 0
; VGPRBlocks: 0
; NumSGPRsForWavesPerEU: 4
; NumVGPRsForWavesPerEU: 1
; AccumOffset: 4
; Occupancy: 8
; WaveLimiterHint : 0
; COMPUTE_PGM_RSRC2:SCRATCH_EN: 0
; COMPUTE_PGM_RSRC2:USER_SGPR: 6
; COMPUTE_PGM_RSRC2:TRAP_HANDLER: 0
; COMPUTE_PGM_RSRC2:TGID_X_EN: 1
; COMPUTE_PGM_RSRC2:TGID_Y_EN: 0
; COMPUTE_PGM_RSRC2:TGID_Z_EN: 0
; COMPUTE_PGM_RSRC2:TIDIG_COMP_CNT: 0
; COMPUTE_PGM_RSRC3_GFX90A:ACCUM_OFFSET: 0
; COMPUTE_PGM_RSRC3_GFX90A:TG_SPLIT: 0
	.section	.text._ZN7rocprim17ROCPRIM_400000_NS6detail17trampoline_kernelINS0_14default_configENS1_38merge_sort_block_merge_config_selectorIhNS0_10empty_typeEEEZZNS1_27merge_sort_block_merge_implIS3_PhPS5_jNS1_19radix_merge_compareILb1ELb0EhNS0_19identity_decomposerEEEEE10hipError_tT0_T1_T2_jT3_P12ihipStream_tbPNSt15iterator_traitsISE_E10value_typeEPNSK_ISF_E10value_typeEPSG_NS1_7vsmem_tEENKUlT_SE_SF_SG_E_clIS8_S8_S9_S9_EESD_ST_SE_SF_SG_EUlST_E_NS1_11comp_targetILNS1_3genE10ELNS1_11target_archE1201ELNS1_3gpuE5ELNS1_3repE0EEENS1_48merge_mergepath_partition_config_static_selectorELNS0_4arch9wavefront6targetE1EEEvSF_,"axG",@progbits,_ZN7rocprim17ROCPRIM_400000_NS6detail17trampoline_kernelINS0_14default_configENS1_38merge_sort_block_merge_config_selectorIhNS0_10empty_typeEEEZZNS1_27merge_sort_block_merge_implIS3_PhPS5_jNS1_19radix_merge_compareILb1ELb0EhNS0_19identity_decomposerEEEEE10hipError_tT0_T1_T2_jT3_P12ihipStream_tbPNSt15iterator_traitsISE_E10value_typeEPNSK_ISF_E10value_typeEPSG_NS1_7vsmem_tEENKUlT_SE_SF_SG_E_clIS8_S8_S9_S9_EESD_ST_SE_SF_SG_EUlST_E_NS1_11comp_targetILNS1_3genE10ELNS1_11target_archE1201ELNS1_3gpuE5ELNS1_3repE0EEENS1_48merge_mergepath_partition_config_static_selectorELNS0_4arch9wavefront6targetE1EEEvSF_,comdat
	.protected	_ZN7rocprim17ROCPRIM_400000_NS6detail17trampoline_kernelINS0_14default_configENS1_38merge_sort_block_merge_config_selectorIhNS0_10empty_typeEEEZZNS1_27merge_sort_block_merge_implIS3_PhPS5_jNS1_19radix_merge_compareILb1ELb0EhNS0_19identity_decomposerEEEEE10hipError_tT0_T1_T2_jT3_P12ihipStream_tbPNSt15iterator_traitsISE_E10value_typeEPNSK_ISF_E10value_typeEPSG_NS1_7vsmem_tEENKUlT_SE_SF_SG_E_clIS8_S8_S9_S9_EESD_ST_SE_SF_SG_EUlST_E_NS1_11comp_targetILNS1_3genE10ELNS1_11target_archE1201ELNS1_3gpuE5ELNS1_3repE0EEENS1_48merge_mergepath_partition_config_static_selectorELNS0_4arch9wavefront6targetE1EEEvSF_ ; -- Begin function _ZN7rocprim17ROCPRIM_400000_NS6detail17trampoline_kernelINS0_14default_configENS1_38merge_sort_block_merge_config_selectorIhNS0_10empty_typeEEEZZNS1_27merge_sort_block_merge_implIS3_PhPS5_jNS1_19radix_merge_compareILb1ELb0EhNS0_19identity_decomposerEEEEE10hipError_tT0_T1_T2_jT3_P12ihipStream_tbPNSt15iterator_traitsISE_E10value_typeEPNSK_ISF_E10value_typeEPSG_NS1_7vsmem_tEENKUlT_SE_SF_SG_E_clIS8_S8_S9_S9_EESD_ST_SE_SF_SG_EUlST_E_NS1_11comp_targetILNS1_3genE10ELNS1_11target_archE1201ELNS1_3gpuE5ELNS1_3repE0EEENS1_48merge_mergepath_partition_config_static_selectorELNS0_4arch9wavefront6targetE1EEEvSF_
	.globl	_ZN7rocprim17ROCPRIM_400000_NS6detail17trampoline_kernelINS0_14default_configENS1_38merge_sort_block_merge_config_selectorIhNS0_10empty_typeEEEZZNS1_27merge_sort_block_merge_implIS3_PhPS5_jNS1_19radix_merge_compareILb1ELb0EhNS0_19identity_decomposerEEEEE10hipError_tT0_T1_T2_jT3_P12ihipStream_tbPNSt15iterator_traitsISE_E10value_typeEPNSK_ISF_E10value_typeEPSG_NS1_7vsmem_tEENKUlT_SE_SF_SG_E_clIS8_S8_S9_S9_EESD_ST_SE_SF_SG_EUlST_E_NS1_11comp_targetILNS1_3genE10ELNS1_11target_archE1201ELNS1_3gpuE5ELNS1_3repE0EEENS1_48merge_mergepath_partition_config_static_selectorELNS0_4arch9wavefront6targetE1EEEvSF_
	.p2align	8
	.type	_ZN7rocprim17ROCPRIM_400000_NS6detail17trampoline_kernelINS0_14default_configENS1_38merge_sort_block_merge_config_selectorIhNS0_10empty_typeEEEZZNS1_27merge_sort_block_merge_implIS3_PhPS5_jNS1_19radix_merge_compareILb1ELb0EhNS0_19identity_decomposerEEEEE10hipError_tT0_T1_T2_jT3_P12ihipStream_tbPNSt15iterator_traitsISE_E10value_typeEPNSK_ISF_E10value_typeEPSG_NS1_7vsmem_tEENKUlT_SE_SF_SG_E_clIS8_S8_S9_S9_EESD_ST_SE_SF_SG_EUlST_E_NS1_11comp_targetILNS1_3genE10ELNS1_11target_archE1201ELNS1_3gpuE5ELNS1_3repE0EEENS1_48merge_mergepath_partition_config_static_selectorELNS0_4arch9wavefront6targetE1EEEvSF_,@function
_ZN7rocprim17ROCPRIM_400000_NS6detail17trampoline_kernelINS0_14default_configENS1_38merge_sort_block_merge_config_selectorIhNS0_10empty_typeEEEZZNS1_27merge_sort_block_merge_implIS3_PhPS5_jNS1_19radix_merge_compareILb1ELb0EhNS0_19identity_decomposerEEEEE10hipError_tT0_T1_T2_jT3_P12ihipStream_tbPNSt15iterator_traitsISE_E10value_typeEPNSK_ISF_E10value_typeEPSG_NS1_7vsmem_tEENKUlT_SE_SF_SG_E_clIS8_S8_S9_S9_EESD_ST_SE_SF_SG_EUlST_E_NS1_11comp_targetILNS1_3genE10ELNS1_11target_archE1201ELNS1_3gpuE5ELNS1_3repE0EEENS1_48merge_mergepath_partition_config_static_selectorELNS0_4arch9wavefront6targetE1EEEvSF_: ; @_ZN7rocprim17ROCPRIM_400000_NS6detail17trampoline_kernelINS0_14default_configENS1_38merge_sort_block_merge_config_selectorIhNS0_10empty_typeEEEZZNS1_27merge_sort_block_merge_implIS3_PhPS5_jNS1_19radix_merge_compareILb1ELb0EhNS0_19identity_decomposerEEEEE10hipError_tT0_T1_T2_jT3_P12ihipStream_tbPNSt15iterator_traitsISE_E10value_typeEPNSK_ISF_E10value_typeEPSG_NS1_7vsmem_tEENKUlT_SE_SF_SG_E_clIS8_S8_S9_S9_EESD_ST_SE_SF_SG_EUlST_E_NS1_11comp_targetILNS1_3genE10ELNS1_11target_archE1201ELNS1_3gpuE5ELNS1_3repE0EEENS1_48merge_mergepath_partition_config_static_selectorELNS0_4arch9wavefront6targetE1EEEvSF_
; %bb.0:
	.section	.rodata,"a",@progbits
	.p2align	6, 0x0
	.amdhsa_kernel _ZN7rocprim17ROCPRIM_400000_NS6detail17trampoline_kernelINS0_14default_configENS1_38merge_sort_block_merge_config_selectorIhNS0_10empty_typeEEEZZNS1_27merge_sort_block_merge_implIS3_PhPS5_jNS1_19radix_merge_compareILb1ELb0EhNS0_19identity_decomposerEEEEE10hipError_tT0_T1_T2_jT3_P12ihipStream_tbPNSt15iterator_traitsISE_E10value_typeEPNSK_ISF_E10value_typeEPSG_NS1_7vsmem_tEENKUlT_SE_SF_SG_E_clIS8_S8_S9_S9_EESD_ST_SE_SF_SG_EUlST_E_NS1_11comp_targetILNS1_3genE10ELNS1_11target_archE1201ELNS1_3gpuE5ELNS1_3repE0EEENS1_48merge_mergepath_partition_config_static_selectorELNS0_4arch9wavefront6targetE1EEEvSF_
		.amdhsa_group_segment_fixed_size 0
		.amdhsa_private_segment_fixed_size 0
		.amdhsa_kernarg_size 40
		.amdhsa_user_sgpr_count 6
		.amdhsa_user_sgpr_private_segment_buffer 1
		.amdhsa_user_sgpr_dispatch_ptr 0
		.amdhsa_user_sgpr_queue_ptr 0
		.amdhsa_user_sgpr_kernarg_segment_ptr 1
		.amdhsa_user_sgpr_dispatch_id 0
		.amdhsa_user_sgpr_flat_scratch_init 0
		.amdhsa_user_sgpr_kernarg_preload_length 0
		.amdhsa_user_sgpr_kernarg_preload_offset 0
		.amdhsa_user_sgpr_private_segment_size 0
		.amdhsa_uses_dynamic_stack 0
		.amdhsa_system_sgpr_private_segment_wavefront_offset 0
		.amdhsa_system_sgpr_workgroup_id_x 1
		.amdhsa_system_sgpr_workgroup_id_y 0
		.amdhsa_system_sgpr_workgroup_id_z 0
		.amdhsa_system_sgpr_workgroup_info 0
		.amdhsa_system_vgpr_workitem_id 0
		.amdhsa_next_free_vgpr 1
		.amdhsa_next_free_sgpr 0
		.amdhsa_accum_offset 4
		.amdhsa_reserve_vcc 0
		.amdhsa_reserve_flat_scratch 0
		.amdhsa_float_round_mode_32 0
		.amdhsa_float_round_mode_16_64 0
		.amdhsa_float_denorm_mode_32 3
		.amdhsa_float_denorm_mode_16_64 3
		.amdhsa_dx10_clamp 1
		.amdhsa_ieee_mode 1
		.amdhsa_fp16_overflow 0
		.amdhsa_tg_split 0
		.amdhsa_exception_fp_ieee_invalid_op 0
		.amdhsa_exception_fp_denorm_src 0
		.amdhsa_exception_fp_ieee_div_zero 0
		.amdhsa_exception_fp_ieee_overflow 0
		.amdhsa_exception_fp_ieee_underflow 0
		.amdhsa_exception_fp_ieee_inexact 0
		.amdhsa_exception_int_div_zero 0
	.end_amdhsa_kernel
	.section	.text._ZN7rocprim17ROCPRIM_400000_NS6detail17trampoline_kernelINS0_14default_configENS1_38merge_sort_block_merge_config_selectorIhNS0_10empty_typeEEEZZNS1_27merge_sort_block_merge_implIS3_PhPS5_jNS1_19radix_merge_compareILb1ELb0EhNS0_19identity_decomposerEEEEE10hipError_tT0_T1_T2_jT3_P12ihipStream_tbPNSt15iterator_traitsISE_E10value_typeEPNSK_ISF_E10value_typeEPSG_NS1_7vsmem_tEENKUlT_SE_SF_SG_E_clIS8_S8_S9_S9_EESD_ST_SE_SF_SG_EUlST_E_NS1_11comp_targetILNS1_3genE10ELNS1_11target_archE1201ELNS1_3gpuE5ELNS1_3repE0EEENS1_48merge_mergepath_partition_config_static_selectorELNS0_4arch9wavefront6targetE1EEEvSF_,"axG",@progbits,_ZN7rocprim17ROCPRIM_400000_NS6detail17trampoline_kernelINS0_14default_configENS1_38merge_sort_block_merge_config_selectorIhNS0_10empty_typeEEEZZNS1_27merge_sort_block_merge_implIS3_PhPS5_jNS1_19radix_merge_compareILb1ELb0EhNS0_19identity_decomposerEEEEE10hipError_tT0_T1_T2_jT3_P12ihipStream_tbPNSt15iterator_traitsISE_E10value_typeEPNSK_ISF_E10value_typeEPSG_NS1_7vsmem_tEENKUlT_SE_SF_SG_E_clIS8_S8_S9_S9_EESD_ST_SE_SF_SG_EUlST_E_NS1_11comp_targetILNS1_3genE10ELNS1_11target_archE1201ELNS1_3gpuE5ELNS1_3repE0EEENS1_48merge_mergepath_partition_config_static_selectorELNS0_4arch9wavefront6targetE1EEEvSF_,comdat
.Lfunc_end1668:
	.size	_ZN7rocprim17ROCPRIM_400000_NS6detail17trampoline_kernelINS0_14default_configENS1_38merge_sort_block_merge_config_selectorIhNS0_10empty_typeEEEZZNS1_27merge_sort_block_merge_implIS3_PhPS5_jNS1_19radix_merge_compareILb1ELb0EhNS0_19identity_decomposerEEEEE10hipError_tT0_T1_T2_jT3_P12ihipStream_tbPNSt15iterator_traitsISE_E10value_typeEPNSK_ISF_E10value_typeEPSG_NS1_7vsmem_tEENKUlT_SE_SF_SG_E_clIS8_S8_S9_S9_EESD_ST_SE_SF_SG_EUlST_E_NS1_11comp_targetILNS1_3genE10ELNS1_11target_archE1201ELNS1_3gpuE5ELNS1_3repE0EEENS1_48merge_mergepath_partition_config_static_selectorELNS0_4arch9wavefront6targetE1EEEvSF_, .Lfunc_end1668-_ZN7rocprim17ROCPRIM_400000_NS6detail17trampoline_kernelINS0_14default_configENS1_38merge_sort_block_merge_config_selectorIhNS0_10empty_typeEEEZZNS1_27merge_sort_block_merge_implIS3_PhPS5_jNS1_19radix_merge_compareILb1ELb0EhNS0_19identity_decomposerEEEEE10hipError_tT0_T1_T2_jT3_P12ihipStream_tbPNSt15iterator_traitsISE_E10value_typeEPNSK_ISF_E10value_typeEPSG_NS1_7vsmem_tEENKUlT_SE_SF_SG_E_clIS8_S8_S9_S9_EESD_ST_SE_SF_SG_EUlST_E_NS1_11comp_targetILNS1_3genE10ELNS1_11target_archE1201ELNS1_3gpuE5ELNS1_3repE0EEENS1_48merge_mergepath_partition_config_static_selectorELNS0_4arch9wavefront6targetE1EEEvSF_
                                        ; -- End function
	.section	.AMDGPU.csdata,"",@progbits
; Kernel info:
; codeLenInByte = 0
; NumSgprs: 4
; NumVgprs: 0
; NumAgprs: 0
; TotalNumVgprs: 0
; ScratchSize: 0
; MemoryBound: 0
; FloatMode: 240
; IeeeMode: 1
; LDSByteSize: 0 bytes/workgroup (compile time only)
; SGPRBlocks: 0
; VGPRBlocks: 0
; NumSGPRsForWavesPerEU: 4
; NumVGPRsForWavesPerEU: 1
; AccumOffset: 4
; Occupancy: 8
; WaveLimiterHint : 0
; COMPUTE_PGM_RSRC2:SCRATCH_EN: 0
; COMPUTE_PGM_RSRC2:USER_SGPR: 6
; COMPUTE_PGM_RSRC2:TRAP_HANDLER: 0
; COMPUTE_PGM_RSRC2:TGID_X_EN: 1
; COMPUTE_PGM_RSRC2:TGID_Y_EN: 0
; COMPUTE_PGM_RSRC2:TGID_Z_EN: 0
; COMPUTE_PGM_RSRC2:TIDIG_COMP_CNT: 0
; COMPUTE_PGM_RSRC3_GFX90A:ACCUM_OFFSET: 0
; COMPUTE_PGM_RSRC3_GFX90A:TG_SPLIT: 0
	.section	.text._ZN7rocprim17ROCPRIM_400000_NS6detail17trampoline_kernelINS0_14default_configENS1_38merge_sort_block_merge_config_selectorIhNS0_10empty_typeEEEZZNS1_27merge_sort_block_merge_implIS3_PhPS5_jNS1_19radix_merge_compareILb1ELb0EhNS0_19identity_decomposerEEEEE10hipError_tT0_T1_T2_jT3_P12ihipStream_tbPNSt15iterator_traitsISE_E10value_typeEPNSK_ISF_E10value_typeEPSG_NS1_7vsmem_tEENKUlT_SE_SF_SG_E_clIS8_S8_S9_S9_EESD_ST_SE_SF_SG_EUlST_E_NS1_11comp_targetILNS1_3genE5ELNS1_11target_archE942ELNS1_3gpuE9ELNS1_3repE0EEENS1_48merge_mergepath_partition_config_static_selectorELNS0_4arch9wavefront6targetE1EEEvSF_,"axG",@progbits,_ZN7rocprim17ROCPRIM_400000_NS6detail17trampoline_kernelINS0_14default_configENS1_38merge_sort_block_merge_config_selectorIhNS0_10empty_typeEEEZZNS1_27merge_sort_block_merge_implIS3_PhPS5_jNS1_19radix_merge_compareILb1ELb0EhNS0_19identity_decomposerEEEEE10hipError_tT0_T1_T2_jT3_P12ihipStream_tbPNSt15iterator_traitsISE_E10value_typeEPNSK_ISF_E10value_typeEPSG_NS1_7vsmem_tEENKUlT_SE_SF_SG_E_clIS8_S8_S9_S9_EESD_ST_SE_SF_SG_EUlST_E_NS1_11comp_targetILNS1_3genE5ELNS1_11target_archE942ELNS1_3gpuE9ELNS1_3repE0EEENS1_48merge_mergepath_partition_config_static_selectorELNS0_4arch9wavefront6targetE1EEEvSF_,comdat
	.protected	_ZN7rocprim17ROCPRIM_400000_NS6detail17trampoline_kernelINS0_14default_configENS1_38merge_sort_block_merge_config_selectorIhNS0_10empty_typeEEEZZNS1_27merge_sort_block_merge_implIS3_PhPS5_jNS1_19radix_merge_compareILb1ELb0EhNS0_19identity_decomposerEEEEE10hipError_tT0_T1_T2_jT3_P12ihipStream_tbPNSt15iterator_traitsISE_E10value_typeEPNSK_ISF_E10value_typeEPSG_NS1_7vsmem_tEENKUlT_SE_SF_SG_E_clIS8_S8_S9_S9_EESD_ST_SE_SF_SG_EUlST_E_NS1_11comp_targetILNS1_3genE5ELNS1_11target_archE942ELNS1_3gpuE9ELNS1_3repE0EEENS1_48merge_mergepath_partition_config_static_selectorELNS0_4arch9wavefront6targetE1EEEvSF_ ; -- Begin function _ZN7rocprim17ROCPRIM_400000_NS6detail17trampoline_kernelINS0_14default_configENS1_38merge_sort_block_merge_config_selectorIhNS0_10empty_typeEEEZZNS1_27merge_sort_block_merge_implIS3_PhPS5_jNS1_19radix_merge_compareILb1ELb0EhNS0_19identity_decomposerEEEEE10hipError_tT0_T1_T2_jT3_P12ihipStream_tbPNSt15iterator_traitsISE_E10value_typeEPNSK_ISF_E10value_typeEPSG_NS1_7vsmem_tEENKUlT_SE_SF_SG_E_clIS8_S8_S9_S9_EESD_ST_SE_SF_SG_EUlST_E_NS1_11comp_targetILNS1_3genE5ELNS1_11target_archE942ELNS1_3gpuE9ELNS1_3repE0EEENS1_48merge_mergepath_partition_config_static_selectorELNS0_4arch9wavefront6targetE1EEEvSF_
	.globl	_ZN7rocprim17ROCPRIM_400000_NS6detail17trampoline_kernelINS0_14default_configENS1_38merge_sort_block_merge_config_selectorIhNS0_10empty_typeEEEZZNS1_27merge_sort_block_merge_implIS3_PhPS5_jNS1_19radix_merge_compareILb1ELb0EhNS0_19identity_decomposerEEEEE10hipError_tT0_T1_T2_jT3_P12ihipStream_tbPNSt15iterator_traitsISE_E10value_typeEPNSK_ISF_E10value_typeEPSG_NS1_7vsmem_tEENKUlT_SE_SF_SG_E_clIS8_S8_S9_S9_EESD_ST_SE_SF_SG_EUlST_E_NS1_11comp_targetILNS1_3genE5ELNS1_11target_archE942ELNS1_3gpuE9ELNS1_3repE0EEENS1_48merge_mergepath_partition_config_static_selectorELNS0_4arch9wavefront6targetE1EEEvSF_
	.p2align	8
	.type	_ZN7rocprim17ROCPRIM_400000_NS6detail17trampoline_kernelINS0_14default_configENS1_38merge_sort_block_merge_config_selectorIhNS0_10empty_typeEEEZZNS1_27merge_sort_block_merge_implIS3_PhPS5_jNS1_19radix_merge_compareILb1ELb0EhNS0_19identity_decomposerEEEEE10hipError_tT0_T1_T2_jT3_P12ihipStream_tbPNSt15iterator_traitsISE_E10value_typeEPNSK_ISF_E10value_typeEPSG_NS1_7vsmem_tEENKUlT_SE_SF_SG_E_clIS8_S8_S9_S9_EESD_ST_SE_SF_SG_EUlST_E_NS1_11comp_targetILNS1_3genE5ELNS1_11target_archE942ELNS1_3gpuE9ELNS1_3repE0EEENS1_48merge_mergepath_partition_config_static_selectorELNS0_4arch9wavefront6targetE1EEEvSF_,@function
_ZN7rocprim17ROCPRIM_400000_NS6detail17trampoline_kernelINS0_14default_configENS1_38merge_sort_block_merge_config_selectorIhNS0_10empty_typeEEEZZNS1_27merge_sort_block_merge_implIS3_PhPS5_jNS1_19radix_merge_compareILb1ELb0EhNS0_19identity_decomposerEEEEE10hipError_tT0_T1_T2_jT3_P12ihipStream_tbPNSt15iterator_traitsISE_E10value_typeEPNSK_ISF_E10value_typeEPSG_NS1_7vsmem_tEENKUlT_SE_SF_SG_E_clIS8_S8_S9_S9_EESD_ST_SE_SF_SG_EUlST_E_NS1_11comp_targetILNS1_3genE5ELNS1_11target_archE942ELNS1_3gpuE9ELNS1_3repE0EEENS1_48merge_mergepath_partition_config_static_selectorELNS0_4arch9wavefront6targetE1EEEvSF_: ; @_ZN7rocprim17ROCPRIM_400000_NS6detail17trampoline_kernelINS0_14default_configENS1_38merge_sort_block_merge_config_selectorIhNS0_10empty_typeEEEZZNS1_27merge_sort_block_merge_implIS3_PhPS5_jNS1_19radix_merge_compareILb1ELb0EhNS0_19identity_decomposerEEEEE10hipError_tT0_T1_T2_jT3_P12ihipStream_tbPNSt15iterator_traitsISE_E10value_typeEPNSK_ISF_E10value_typeEPSG_NS1_7vsmem_tEENKUlT_SE_SF_SG_E_clIS8_S8_S9_S9_EESD_ST_SE_SF_SG_EUlST_E_NS1_11comp_targetILNS1_3genE5ELNS1_11target_archE942ELNS1_3gpuE9ELNS1_3repE0EEENS1_48merge_mergepath_partition_config_static_selectorELNS0_4arch9wavefront6targetE1EEEvSF_
; %bb.0:
	.section	.rodata,"a",@progbits
	.p2align	6, 0x0
	.amdhsa_kernel _ZN7rocprim17ROCPRIM_400000_NS6detail17trampoline_kernelINS0_14default_configENS1_38merge_sort_block_merge_config_selectorIhNS0_10empty_typeEEEZZNS1_27merge_sort_block_merge_implIS3_PhPS5_jNS1_19radix_merge_compareILb1ELb0EhNS0_19identity_decomposerEEEEE10hipError_tT0_T1_T2_jT3_P12ihipStream_tbPNSt15iterator_traitsISE_E10value_typeEPNSK_ISF_E10value_typeEPSG_NS1_7vsmem_tEENKUlT_SE_SF_SG_E_clIS8_S8_S9_S9_EESD_ST_SE_SF_SG_EUlST_E_NS1_11comp_targetILNS1_3genE5ELNS1_11target_archE942ELNS1_3gpuE9ELNS1_3repE0EEENS1_48merge_mergepath_partition_config_static_selectorELNS0_4arch9wavefront6targetE1EEEvSF_
		.amdhsa_group_segment_fixed_size 0
		.amdhsa_private_segment_fixed_size 0
		.amdhsa_kernarg_size 40
		.amdhsa_user_sgpr_count 6
		.amdhsa_user_sgpr_private_segment_buffer 1
		.amdhsa_user_sgpr_dispatch_ptr 0
		.amdhsa_user_sgpr_queue_ptr 0
		.amdhsa_user_sgpr_kernarg_segment_ptr 1
		.amdhsa_user_sgpr_dispatch_id 0
		.amdhsa_user_sgpr_flat_scratch_init 0
		.amdhsa_user_sgpr_kernarg_preload_length 0
		.amdhsa_user_sgpr_kernarg_preload_offset 0
		.amdhsa_user_sgpr_private_segment_size 0
		.amdhsa_uses_dynamic_stack 0
		.amdhsa_system_sgpr_private_segment_wavefront_offset 0
		.amdhsa_system_sgpr_workgroup_id_x 1
		.amdhsa_system_sgpr_workgroup_id_y 0
		.amdhsa_system_sgpr_workgroup_id_z 0
		.amdhsa_system_sgpr_workgroup_info 0
		.amdhsa_system_vgpr_workitem_id 0
		.amdhsa_next_free_vgpr 1
		.amdhsa_next_free_sgpr 0
		.amdhsa_accum_offset 4
		.amdhsa_reserve_vcc 0
		.amdhsa_reserve_flat_scratch 0
		.amdhsa_float_round_mode_32 0
		.amdhsa_float_round_mode_16_64 0
		.amdhsa_float_denorm_mode_32 3
		.amdhsa_float_denorm_mode_16_64 3
		.amdhsa_dx10_clamp 1
		.amdhsa_ieee_mode 1
		.amdhsa_fp16_overflow 0
		.amdhsa_tg_split 0
		.amdhsa_exception_fp_ieee_invalid_op 0
		.amdhsa_exception_fp_denorm_src 0
		.amdhsa_exception_fp_ieee_div_zero 0
		.amdhsa_exception_fp_ieee_overflow 0
		.amdhsa_exception_fp_ieee_underflow 0
		.amdhsa_exception_fp_ieee_inexact 0
		.amdhsa_exception_int_div_zero 0
	.end_amdhsa_kernel
	.section	.text._ZN7rocprim17ROCPRIM_400000_NS6detail17trampoline_kernelINS0_14default_configENS1_38merge_sort_block_merge_config_selectorIhNS0_10empty_typeEEEZZNS1_27merge_sort_block_merge_implIS3_PhPS5_jNS1_19radix_merge_compareILb1ELb0EhNS0_19identity_decomposerEEEEE10hipError_tT0_T1_T2_jT3_P12ihipStream_tbPNSt15iterator_traitsISE_E10value_typeEPNSK_ISF_E10value_typeEPSG_NS1_7vsmem_tEENKUlT_SE_SF_SG_E_clIS8_S8_S9_S9_EESD_ST_SE_SF_SG_EUlST_E_NS1_11comp_targetILNS1_3genE5ELNS1_11target_archE942ELNS1_3gpuE9ELNS1_3repE0EEENS1_48merge_mergepath_partition_config_static_selectorELNS0_4arch9wavefront6targetE1EEEvSF_,"axG",@progbits,_ZN7rocprim17ROCPRIM_400000_NS6detail17trampoline_kernelINS0_14default_configENS1_38merge_sort_block_merge_config_selectorIhNS0_10empty_typeEEEZZNS1_27merge_sort_block_merge_implIS3_PhPS5_jNS1_19radix_merge_compareILb1ELb0EhNS0_19identity_decomposerEEEEE10hipError_tT0_T1_T2_jT3_P12ihipStream_tbPNSt15iterator_traitsISE_E10value_typeEPNSK_ISF_E10value_typeEPSG_NS1_7vsmem_tEENKUlT_SE_SF_SG_E_clIS8_S8_S9_S9_EESD_ST_SE_SF_SG_EUlST_E_NS1_11comp_targetILNS1_3genE5ELNS1_11target_archE942ELNS1_3gpuE9ELNS1_3repE0EEENS1_48merge_mergepath_partition_config_static_selectorELNS0_4arch9wavefront6targetE1EEEvSF_,comdat
.Lfunc_end1669:
	.size	_ZN7rocprim17ROCPRIM_400000_NS6detail17trampoline_kernelINS0_14default_configENS1_38merge_sort_block_merge_config_selectorIhNS0_10empty_typeEEEZZNS1_27merge_sort_block_merge_implIS3_PhPS5_jNS1_19radix_merge_compareILb1ELb0EhNS0_19identity_decomposerEEEEE10hipError_tT0_T1_T2_jT3_P12ihipStream_tbPNSt15iterator_traitsISE_E10value_typeEPNSK_ISF_E10value_typeEPSG_NS1_7vsmem_tEENKUlT_SE_SF_SG_E_clIS8_S8_S9_S9_EESD_ST_SE_SF_SG_EUlST_E_NS1_11comp_targetILNS1_3genE5ELNS1_11target_archE942ELNS1_3gpuE9ELNS1_3repE0EEENS1_48merge_mergepath_partition_config_static_selectorELNS0_4arch9wavefront6targetE1EEEvSF_, .Lfunc_end1669-_ZN7rocprim17ROCPRIM_400000_NS6detail17trampoline_kernelINS0_14default_configENS1_38merge_sort_block_merge_config_selectorIhNS0_10empty_typeEEEZZNS1_27merge_sort_block_merge_implIS3_PhPS5_jNS1_19radix_merge_compareILb1ELb0EhNS0_19identity_decomposerEEEEE10hipError_tT0_T1_T2_jT3_P12ihipStream_tbPNSt15iterator_traitsISE_E10value_typeEPNSK_ISF_E10value_typeEPSG_NS1_7vsmem_tEENKUlT_SE_SF_SG_E_clIS8_S8_S9_S9_EESD_ST_SE_SF_SG_EUlST_E_NS1_11comp_targetILNS1_3genE5ELNS1_11target_archE942ELNS1_3gpuE9ELNS1_3repE0EEENS1_48merge_mergepath_partition_config_static_selectorELNS0_4arch9wavefront6targetE1EEEvSF_
                                        ; -- End function
	.section	.AMDGPU.csdata,"",@progbits
; Kernel info:
; codeLenInByte = 0
; NumSgprs: 4
; NumVgprs: 0
; NumAgprs: 0
; TotalNumVgprs: 0
; ScratchSize: 0
; MemoryBound: 0
; FloatMode: 240
; IeeeMode: 1
; LDSByteSize: 0 bytes/workgroup (compile time only)
; SGPRBlocks: 0
; VGPRBlocks: 0
; NumSGPRsForWavesPerEU: 4
; NumVGPRsForWavesPerEU: 1
; AccumOffset: 4
; Occupancy: 8
; WaveLimiterHint : 0
; COMPUTE_PGM_RSRC2:SCRATCH_EN: 0
; COMPUTE_PGM_RSRC2:USER_SGPR: 6
; COMPUTE_PGM_RSRC2:TRAP_HANDLER: 0
; COMPUTE_PGM_RSRC2:TGID_X_EN: 1
; COMPUTE_PGM_RSRC2:TGID_Y_EN: 0
; COMPUTE_PGM_RSRC2:TGID_Z_EN: 0
; COMPUTE_PGM_RSRC2:TIDIG_COMP_CNT: 0
; COMPUTE_PGM_RSRC3_GFX90A:ACCUM_OFFSET: 0
; COMPUTE_PGM_RSRC3_GFX90A:TG_SPLIT: 0
	.section	.text._ZN7rocprim17ROCPRIM_400000_NS6detail17trampoline_kernelINS0_14default_configENS1_38merge_sort_block_merge_config_selectorIhNS0_10empty_typeEEEZZNS1_27merge_sort_block_merge_implIS3_PhPS5_jNS1_19radix_merge_compareILb1ELb0EhNS0_19identity_decomposerEEEEE10hipError_tT0_T1_T2_jT3_P12ihipStream_tbPNSt15iterator_traitsISE_E10value_typeEPNSK_ISF_E10value_typeEPSG_NS1_7vsmem_tEENKUlT_SE_SF_SG_E_clIS8_S8_S9_S9_EESD_ST_SE_SF_SG_EUlST_E_NS1_11comp_targetILNS1_3genE4ELNS1_11target_archE910ELNS1_3gpuE8ELNS1_3repE0EEENS1_48merge_mergepath_partition_config_static_selectorELNS0_4arch9wavefront6targetE1EEEvSF_,"axG",@progbits,_ZN7rocprim17ROCPRIM_400000_NS6detail17trampoline_kernelINS0_14default_configENS1_38merge_sort_block_merge_config_selectorIhNS0_10empty_typeEEEZZNS1_27merge_sort_block_merge_implIS3_PhPS5_jNS1_19radix_merge_compareILb1ELb0EhNS0_19identity_decomposerEEEEE10hipError_tT0_T1_T2_jT3_P12ihipStream_tbPNSt15iterator_traitsISE_E10value_typeEPNSK_ISF_E10value_typeEPSG_NS1_7vsmem_tEENKUlT_SE_SF_SG_E_clIS8_S8_S9_S9_EESD_ST_SE_SF_SG_EUlST_E_NS1_11comp_targetILNS1_3genE4ELNS1_11target_archE910ELNS1_3gpuE8ELNS1_3repE0EEENS1_48merge_mergepath_partition_config_static_selectorELNS0_4arch9wavefront6targetE1EEEvSF_,comdat
	.protected	_ZN7rocprim17ROCPRIM_400000_NS6detail17trampoline_kernelINS0_14default_configENS1_38merge_sort_block_merge_config_selectorIhNS0_10empty_typeEEEZZNS1_27merge_sort_block_merge_implIS3_PhPS5_jNS1_19radix_merge_compareILb1ELb0EhNS0_19identity_decomposerEEEEE10hipError_tT0_T1_T2_jT3_P12ihipStream_tbPNSt15iterator_traitsISE_E10value_typeEPNSK_ISF_E10value_typeEPSG_NS1_7vsmem_tEENKUlT_SE_SF_SG_E_clIS8_S8_S9_S9_EESD_ST_SE_SF_SG_EUlST_E_NS1_11comp_targetILNS1_3genE4ELNS1_11target_archE910ELNS1_3gpuE8ELNS1_3repE0EEENS1_48merge_mergepath_partition_config_static_selectorELNS0_4arch9wavefront6targetE1EEEvSF_ ; -- Begin function _ZN7rocprim17ROCPRIM_400000_NS6detail17trampoline_kernelINS0_14default_configENS1_38merge_sort_block_merge_config_selectorIhNS0_10empty_typeEEEZZNS1_27merge_sort_block_merge_implIS3_PhPS5_jNS1_19radix_merge_compareILb1ELb0EhNS0_19identity_decomposerEEEEE10hipError_tT0_T1_T2_jT3_P12ihipStream_tbPNSt15iterator_traitsISE_E10value_typeEPNSK_ISF_E10value_typeEPSG_NS1_7vsmem_tEENKUlT_SE_SF_SG_E_clIS8_S8_S9_S9_EESD_ST_SE_SF_SG_EUlST_E_NS1_11comp_targetILNS1_3genE4ELNS1_11target_archE910ELNS1_3gpuE8ELNS1_3repE0EEENS1_48merge_mergepath_partition_config_static_selectorELNS0_4arch9wavefront6targetE1EEEvSF_
	.globl	_ZN7rocprim17ROCPRIM_400000_NS6detail17trampoline_kernelINS0_14default_configENS1_38merge_sort_block_merge_config_selectorIhNS0_10empty_typeEEEZZNS1_27merge_sort_block_merge_implIS3_PhPS5_jNS1_19radix_merge_compareILb1ELb0EhNS0_19identity_decomposerEEEEE10hipError_tT0_T1_T2_jT3_P12ihipStream_tbPNSt15iterator_traitsISE_E10value_typeEPNSK_ISF_E10value_typeEPSG_NS1_7vsmem_tEENKUlT_SE_SF_SG_E_clIS8_S8_S9_S9_EESD_ST_SE_SF_SG_EUlST_E_NS1_11comp_targetILNS1_3genE4ELNS1_11target_archE910ELNS1_3gpuE8ELNS1_3repE0EEENS1_48merge_mergepath_partition_config_static_selectorELNS0_4arch9wavefront6targetE1EEEvSF_
	.p2align	8
	.type	_ZN7rocprim17ROCPRIM_400000_NS6detail17trampoline_kernelINS0_14default_configENS1_38merge_sort_block_merge_config_selectorIhNS0_10empty_typeEEEZZNS1_27merge_sort_block_merge_implIS3_PhPS5_jNS1_19radix_merge_compareILb1ELb0EhNS0_19identity_decomposerEEEEE10hipError_tT0_T1_T2_jT3_P12ihipStream_tbPNSt15iterator_traitsISE_E10value_typeEPNSK_ISF_E10value_typeEPSG_NS1_7vsmem_tEENKUlT_SE_SF_SG_E_clIS8_S8_S9_S9_EESD_ST_SE_SF_SG_EUlST_E_NS1_11comp_targetILNS1_3genE4ELNS1_11target_archE910ELNS1_3gpuE8ELNS1_3repE0EEENS1_48merge_mergepath_partition_config_static_selectorELNS0_4arch9wavefront6targetE1EEEvSF_,@function
_ZN7rocprim17ROCPRIM_400000_NS6detail17trampoline_kernelINS0_14default_configENS1_38merge_sort_block_merge_config_selectorIhNS0_10empty_typeEEEZZNS1_27merge_sort_block_merge_implIS3_PhPS5_jNS1_19radix_merge_compareILb1ELb0EhNS0_19identity_decomposerEEEEE10hipError_tT0_T1_T2_jT3_P12ihipStream_tbPNSt15iterator_traitsISE_E10value_typeEPNSK_ISF_E10value_typeEPSG_NS1_7vsmem_tEENKUlT_SE_SF_SG_E_clIS8_S8_S9_S9_EESD_ST_SE_SF_SG_EUlST_E_NS1_11comp_targetILNS1_3genE4ELNS1_11target_archE910ELNS1_3gpuE8ELNS1_3repE0EEENS1_48merge_mergepath_partition_config_static_selectorELNS0_4arch9wavefront6targetE1EEEvSF_: ; @_ZN7rocprim17ROCPRIM_400000_NS6detail17trampoline_kernelINS0_14default_configENS1_38merge_sort_block_merge_config_selectorIhNS0_10empty_typeEEEZZNS1_27merge_sort_block_merge_implIS3_PhPS5_jNS1_19radix_merge_compareILb1ELb0EhNS0_19identity_decomposerEEEEE10hipError_tT0_T1_T2_jT3_P12ihipStream_tbPNSt15iterator_traitsISE_E10value_typeEPNSK_ISF_E10value_typeEPSG_NS1_7vsmem_tEENKUlT_SE_SF_SG_E_clIS8_S8_S9_S9_EESD_ST_SE_SF_SG_EUlST_E_NS1_11comp_targetILNS1_3genE4ELNS1_11target_archE910ELNS1_3gpuE8ELNS1_3repE0EEENS1_48merge_mergepath_partition_config_static_selectorELNS0_4arch9wavefront6targetE1EEEvSF_
; %bb.0:
	s_load_dword s0, s[4:5], 0x0
	v_lshl_or_b32 v0, s6, 7, v0
	s_waitcnt lgkmcnt(0)
	v_cmp_gt_u32_e32 vcc, s0, v0
	s_and_saveexec_b64 s[0:1], vcc
	s_cbranch_execz .LBB1670_6
; %bb.1:
	s_load_dwordx2 s[2:3], s[4:5], 0x4
	s_load_dwordx2 s[0:1], s[4:5], 0x20
	s_waitcnt lgkmcnt(0)
	s_lshr_b32 s6, s2, 9
	s_and_b32 s6, s6, 0x7ffffe
	s_add_i32 s7, s6, -1
	s_sub_i32 s6, 0, s6
	v_and_b32_e32 v1, s6, v0
	v_lshlrev_b32_e32 v3, 10, v1
	v_min_u32_e32 v1, s3, v3
	v_add_u32_e32 v3, s2, v3
	v_min_u32_e32 v7, s3, v3
	v_add_u32_e32 v3, s2, v7
	v_and_b32_e32 v2, s7, v0
	v_min_u32_e32 v4, s3, v3
	v_sub_u32_e32 v3, v4, v1
	v_lshlrev_b32_e32 v2, 10, v2
	v_min_u32_e32 v3, v3, v2
	v_sub_u32_e32 v5, v7, v1
	v_sub_u32_e32 v2, v4, v7
	v_sub_u32_e64 v2, v3, v2 clamp
	v_min_u32_e32 v4, v3, v5
	v_cmp_lt_u32_e32 vcc, v2, v4
	s_and_saveexec_b64 s[2:3], vcc
	s_cbranch_execz .LBB1670_5
; %bb.2:
	s_load_dwordx2 s[4:5], s[4:5], 0x10
	s_waitcnt lgkmcnt(0)
	v_mov_b32_e32 v8, s5
	v_add_co_u32_e32 v5, vcc, s4, v1
	v_addc_co_u32_e32 v6, vcc, 0, v8, vcc
	v_add_co_u32_e32 v7, vcc, s4, v7
	v_addc_co_u32_e32 v8, vcc, 0, v8, vcc
	s_mov_b64 s[4:5], 0
.LBB1670_3:                             ; =>This Inner Loop Header: Depth=1
	v_add_u32_e32 v9, v4, v2
	v_lshrrev_b32_e32 v9, 1, v9
	v_add_co_u32_e32 v10, vcc, v5, v9
	v_xad_u32 v12, v9, -1, v3
	v_addc_co_u32_e32 v11, vcc, 0, v6, vcc
	v_add_co_u32_e32 v12, vcc, v7, v12
	v_addc_co_u32_e32 v13, vcc, 0, v8, vcc
	global_load_ubyte v14, v[10:11], off
	global_load_ubyte v15, v[12:13], off
	v_add_u32_e32 v10, 1, v9
	s_waitcnt vmcnt(0)
	v_cmp_gt_u16_e32 vcc, v15, v14
	v_cndmask_b32_e32 v4, v4, v9, vcc
	v_cndmask_b32_e32 v2, v10, v2, vcc
	v_cmp_ge_u32_e32 vcc, v2, v4
	s_or_b64 s[4:5], vcc, s[4:5]
	s_andn2_b64 exec, exec, s[4:5]
	s_cbranch_execnz .LBB1670_3
; %bb.4:
	s_or_b64 exec, exec, s[4:5]
.LBB1670_5:
	s_or_b64 exec, exec, s[2:3]
	v_add_u32_e32 v2, v2, v1
	v_mov_b32_e32 v1, 0
	v_lshlrev_b64 v[0:1], 2, v[0:1]
	v_mov_b32_e32 v3, s1
	v_add_co_u32_e32 v0, vcc, s0, v0
	v_addc_co_u32_e32 v1, vcc, v3, v1, vcc
	global_store_dword v[0:1], v2, off
.LBB1670_6:
	s_endpgm
	.section	.rodata,"a",@progbits
	.p2align	6, 0x0
	.amdhsa_kernel _ZN7rocprim17ROCPRIM_400000_NS6detail17trampoline_kernelINS0_14default_configENS1_38merge_sort_block_merge_config_selectorIhNS0_10empty_typeEEEZZNS1_27merge_sort_block_merge_implIS3_PhPS5_jNS1_19radix_merge_compareILb1ELb0EhNS0_19identity_decomposerEEEEE10hipError_tT0_T1_T2_jT3_P12ihipStream_tbPNSt15iterator_traitsISE_E10value_typeEPNSK_ISF_E10value_typeEPSG_NS1_7vsmem_tEENKUlT_SE_SF_SG_E_clIS8_S8_S9_S9_EESD_ST_SE_SF_SG_EUlST_E_NS1_11comp_targetILNS1_3genE4ELNS1_11target_archE910ELNS1_3gpuE8ELNS1_3repE0EEENS1_48merge_mergepath_partition_config_static_selectorELNS0_4arch9wavefront6targetE1EEEvSF_
		.amdhsa_group_segment_fixed_size 0
		.amdhsa_private_segment_fixed_size 0
		.amdhsa_kernarg_size 40
		.amdhsa_user_sgpr_count 6
		.amdhsa_user_sgpr_private_segment_buffer 1
		.amdhsa_user_sgpr_dispatch_ptr 0
		.amdhsa_user_sgpr_queue_ptr 0
		.amdhsa_user_sgpr_kernarg_segment_ptr 1
		.amdhsa_user_sgpr_dispatch_id 0
		.amdhsa_user_sgpr_flat_scratch_init 0
		.amdhsa_user_sgpr_kernarg_preload_length 0
		.amdhsa_user_sgpr_kernarg_preload_offset 0
		.amdhsa_user_sgpr_private_segment_size 0
		.amdhsa_uses_dynamic_stack 0
		.amdhsa_system_sgpr_private_segment_wavefront_offset 0
		.amdhsa_system_sgpr_workgroup_id_x 1
		.amdhsa_system_sgpr_workgroup_id_y 0
		.amdhsa_system_sgpr_workgroup_id_z 0
		.amdhsa_system_sgpr_workgroup_info 0
		.amdhsa_system_vgpr_workitem_id 0
		.amdhsa_next_free_vgpr 16
		.amdhsa_next_free_sgpr 8
		.amdhsa_accum_offset 16
		.amdhsa_reserve_vcc 1
		.amdhsa_reserve_flat_scratch 0
		.amdhsa_float_round_mode_32 0
		.amdhsa_float_round_mode_16_64 0
		.amdhsa_float_denorm_mode_32 3
		.amdhsa_float_denorm_mode_16_64 3
		.amdhsa_dx10_clamp 1
		.amdhsa_ieee_mode 1
		.amdhsa_fp16_overflow 0
		.amdhsa_tg_split 0
		.amdhsa_exception_fp_ieee_invalid_op 0
		.amdhsa_exception_fp_denorm_src 0
		.amdhsa_exception_fp_ieee_div_zero 0
		.amdhsa_exception_fp_ieee_overflow 0
		.amdhsa_exception_fp_ieee_underflow 0
		.amdhsa_exception_fp_ieee_inexact 0
		.amdhsa_exception_int_div_zero 0
	.end_amdhsa_kernel
	.section	.text._ZN7rocprim17ROCPRIM_400000_NS6detail17trampoline_kernelINS0_14default_configENS1_38merge_sort_block_merge_config_selectorIhNS0_10empty_typeEEEZZNS1_27merge_sort_block_merge_implIS3_PhPS5_jNS1_19radix_merge_compareILb1ELb0EhNS0_19identity_decomposerEEEEE10hipError_tT0_T1_T2_jT3_P12ihipStream_tbPNSt15iterator_traitsISE_E10value_typeEPNSK_ISF_E10value_typeEPSG_NS1_7vsmem_tEENKUlT_SE_SF_SG_E_clIS8_S8_S9_S9_EESD_ST_SE_SF_SG_EUlST_E_NS1_11comp_targetILNS1_3genE4ELNS1_11target_archE910ELNS1_3gpuE8ELNS1_3repE0EEENS1_48merge_mergepath_partition_config_static_selectorELNS0_4arch9wavefront6targetE1EEEvSF_,"axG",@progbits,_ZN7rocprim17ROCPRIM_400000_NS6detail17trampoline_kernelINS0_14default_configENS1_38merge_sort_block_merge_config_selectorIhNS0_10empty_typeEEEZZNS1_27merge_sort_block_merge_implIS3_PhPS5_jNS1_19radix_merge_compareILb1ELb0EhNS0_19identity_decomposerEEEEE10hipError_tT0_T1_T2_jT3_P12ihipStream_tbPNSt15iterator_traitsISE_E10value_typeEPNSK_ISF_E10value_typeEPSG_NS1_7vsmem_tEENKUlT_SE_SF_SG_E_clIS8_S8_S9_S9_EESD_ST_SE_SF_SG_EUlST_E_NS1_11comp_targetILNS1_3genE4ELNS1_11target_archE910ELNS1_3gpuE8ELNS1_3repE0EEENS1_48merge_mergepath_partition_config_static_selectorELNS0_4arch9wavefront6targetE1EEEvSF_,comdat
.Lfunc_end1670:
	.size	_ZN7rocprim17ROCPRIM_400000_NS6detail17trampoline_kernelINS0_14default_configENS1_38merge_sort_block_merge_config_selectorIhNS0_10empty_typeEEEZZNS1_27merge_sort_block_merge_implIS3_PhPS5_jNS1_19radix_merge_compareILb1ELb0EhNS0_19identity_decomposerEEEEE10hipError_tT0_T1_T2_jT3_P12ihipStream_tbPNSt15iterator_traitsISE_E10value_typeEPNSK_ISF_E10value_typeEPSG_NS1_7vsmem_tEENKUlT_SE_SF_SG_E_clIS8_S8_S9_S9_EESD_ST_SE_SF_SG_EUlST_E_NS1_11comp_targetILNS1_3genE4ELNS1_11target_archE910ELNS1_3gpuE8ELNS1_3repE0EEENS1_48merge_mergepath_partition_config_static_selectorELNS0_4arch9wavefront6targetE1EEEvSF_, .Lfunc_end1670-_ZN7rocprim17ROCPRIM_400000_NS6detail17trampoline_kernelINS0_14default_configENS1_38merge_sort_block_merge_config_selectorIhNS0_10empty_typeEEEZZNS1_27merge_sort_block_merge_implIS3_PhPS5_jNS1_19radix_merge_compareILb1ELb0EhNS0_19identity_decomposerEEEEE10hipError_tT0_T1_T2_jT3_P12ihipStream_tbPNSt15iterator_traitsISE_E10value_typeEPNSK_ISF_E10value_typeEPSG_NS1_7vsmem_tEENKUlT_SE_SF_SG_E_clIS8_S8_S9_S9_EESD_ST_SE_SF_SG_EUlST_E_NS1_11comp_targetILNS1_3genE4ELNS1_11target_archE910ELNS1_3gpuE8ELNS1_3repE0EEENS1_48merge_mergepath_partition_config_static_selectorELNS0_4arch9wavefront6targetE1EEEvSF_
                                        ; -- End function
	.section	.AMDGPU.csdata,"",@progbits
; Kernel info:
; codeLenInByte = 316
; NumSgprs: 12
; NumVgprs: 16
; NumAgprs: 0
; TotalNumVgprs: 16
; ScratchSize: 0
; MemoryBound: 0
; FloatMode: 240
; IeeeMode: 1
; LDSByteSize: 0 bytes/workgroup (compile time only)
; SGPRBlocks: 1
; VGPRBlocks: 1
; NumSGPRsForWavesPerEU: 12
; NumVGPRsForWavesPerEU: 16
; AccumOffset: 16
; Occupancy: 8
; WaveLimiterHint : 0
; COMPUTE_PGM_RSRC2:SCRATCH_EN: 0
; COMPUTE_PGM_RSRC2:USER_SGPR: 6
; COMPUTE_PGM_RSRC2:TRAP_HANDLER: 0
; COMPUTE_PGM_RSRC2:TGID_X_EN: 1
; COMPUTE_PGM_RSRC2:TGID_Y_EN: 0
; COMPUTE_PGM_RSRC2:TGID_Z_EN: 0
; COMPUTE_PGM_RSRC2:TIDIG_COMP_CNT: 0
; COMPUTE_PGM_RSRC3_GFX90A:ACCUM_OFFSET: 3
; COMPUTE_PGM_RSRC3_GFX90A:TG_SPLIT: 0
	.section	.text._ZN7rocprim17ROCPRIM_400000_NS6detail17trampoline_kernelINS0_14default_configENS1_38merge_sort_block_merge_config_selectorIhNS0_10empty_typeEEEZZNS1_27merge_sort_block_merge_implIS3_PhPS5_jNS1_19radix_merge_compareILb1ELb0EhNS0_19identity_decomposerEEEEE10hipError_tT0_T1_T2_jT3_P12ihipStream_tbPNSt15iterator_traitsISE_E10value_typeEPNSK_ISF_E10value_typeEPSG_NS1_7vsmem_tEENKUlT_SE_SF_SG_E_clIS8_S8_S9_S9_EESD_ST_SE_SF_SG_EUlST_E_NS1_11comp_targetILNS1_3genE3ELNS1_11target_archE908ELNS1_3gpuE7ELNS1_3repE0EEENS1_48merge_mergepath_partition_config_static_selectorELNS0_4arch9wavefront6targetE1EEEvSF_,"axG",@progbits,_ZN7rocprim17ROCPRIM_400000_NS6detail17trampoline_kernelINS0_14default_configENS1_38merge_sort_block_merge_config_selectorIhNS0_10empty_typeEEEZZNS1_27merge_sort_block_merge_implIS3_PhPS5_jNS1_19radix_merge_compareILb1ELb0EhNS0_19identity_decomposerEEEEE10hipError_tT0_T1_T2_jT3_P12ihipStream_tbPNSt15iterator_traitsISE_E10value_typeEPNSK_ISF_E10value_typeEPSG_NS1_7vsmem_tEENKUlT_SE_SF_SG_E_clIS8_S8_S9_S9_EESD_ST_SE_SF_SG_EUlST_E_NS1_11comp_targetILNS1_3genE3ELNS1_11target_archE908ELNS1_3gpuE7ELNS1_3repE0EEENS1_48merge_mergepath_partition_config_static_selectorELNS0_4arch9wavefront6targetE1EEEvSF_,comdat
	.protected	_ZN7rocprim17ROCPRIM_400000_NS6detail17trampoline_kernelINS0_14default_configENS1_38merge_sort_block_merge_config_selectorIhNS0_10empty_typeEEEZZNS1_27merge_sort_block_merge_implIS3_PhPS5_jNS1_19radix_merge_compareILb1ELb0EhNS0_19identity_decomposerEEEEE10hipError_tT0_T1_T2_jT3_P12ihipStream_tbPNSt15iterator_traitsISE_E10value_typeEPNSK_ISF_E10value_typeEPSG_NS1_7vsmem_tEENKUlT_SE_SF_SG_E_clIS8_S8_S9_S9_EESD_ST_SE_SF_SG_EUlST_E_NS1_11comp_targetILNS1_3genE3ELNS1_11target_archE908ELNS1_3gpuE7ELNS1_3repE0EEENS1_48merge_mergepath_partition_config_static_selectorELNS0_4arch9wavefront6targetE1EEEvSF_ ; -- Begin function _ZN7rocprim17ROCPRIM_400000_NS6detail17trampoline_kernelINS0_14default_configENS1_38merge_sort_block_merge_config_selectorIhNS0_10empty_typeEEEZZNS1_27merge_sort_block_merge_implIS3_PhPS5_jNS1_19radix_merge_compareILb1ELb0EhNS0_19identity_decomposerEEEEE10hipError_tT0_T1_T2_jT3_P12ihipStream_tbPNSt15iterator_traitsISE_E10value_typeEPNSK_ISF_E10value_typeEPSG_NS1_7vsmem_tEENKUlT_SE_SF_SG_E_clIS8_S8_S9_S9_EESD_ST_SE_SF_SG_EUlST_E_NS1_11comp_targetILNS1_3genE3ELNS1_11target_archE908ELNS1_3gpuE7ELNS1_3repE0EEENS1_48merge_mergepath_partition_config_static_selectorELNS0_4arch9wavefront6targetE1EEEvSF_
	.globl	_ZN7rocprim17ROCPRIM_400000_NS6detail17trampoline_kernelINS0_14default_configENS1_38merge_sort_block_merge_config_selectorIhNS0_10empty_typeEEEZZNS1_27merge_sort_block_merge_implIS3_PhPS5_jNS1_19radix_merge_compareILb1ELb0EhNS0_19identity_decomposerEEEEE10hipError_tT0_T1_T2_jT3_P12ihipStream_tbPNSt15iterator_traitsISE_E10value_typeEPNSK_ISF_E10value_typeEPSG_NS1_7vsmem_tEENKUlT_SE_SF_SG_E_clIS8_S8_S9_S9_EESD_ST_SE_SF_SG_EUlST_E_NS1_11comp_targetILNS1_3genE3ELNS1_11target_archE908ELNS1_3gpuE7ELNS1_3repE0EEENS1_48merge_mergepath_partition_config_static_selectorELNS0_4arch9wavefront6targetE1EEEvSF_
	.p2align	8
	.type	_ZN7rocprim17ROCPRIM_400000_NS6detail17trampoline_kernelINS0_14default_configENS1_38merge_sort_block_merge_config_selectorIhNS0_10empty_typeEEEZZNS1_27merge_sort_block_merge_implIS3_PhPS5_jNS1_19radix_merge_compareILb1ELb0EhNS0_19identity_decomposerEEEEE10hipError_tT0_T1_T2_jT3_P12ihipStream_tbPNSt15iterator_traitsISE_E10value_typeEPNSK_ISF_E10value_typeEPSG_NS1_7vsmem_tEENKUlT_SE_SF_SG_E_clIS8_S8_S9_S9_EESD_ST_SE_SF_SG_EUlST_E_NS1_11comp_targetILNS1_3genE3ELNS1_11target_archE908ELNS1_3gpuE7ELNS1_3repE0EEENS1_48merge_mergepath_partition_config_static_selectorELNS0_4arch9wavefront6targetE1EEEvSF_,@function
_ZN7rocprim17ROCPRIM_400000_NS6detail17trampoline_kernelINS0_14default_configENS1_38merge_sort_block_merge_config_selectorIhNS0_10empty_typeEEEZZNS1_27merge_sort_block_merge_implIS3_PhPS5_jNS1_19radix_merge_compareILb1ELb0EhNS0_19identity_decomposerEEEEE10hipError_tT0_T1_T2_jT3_P12ihipStream_tbPNSt15iterator_traitsISE_E10value_typeEPNSK_ISF_E10value_typeEPSG_NS1_7vsmem_tEENKUlT_SE_SF_SG_E_clIS8_S8_S9_S9_EESD_ST_SE_SF_SG_EUlST_E_NS1_11comp_targetILNS1_3genE3ELNS1_11target_archE908ELNS1_3gpuE7ELNS1_3repE0EEENS1_48merge_mergepath_partition_config_static_selectorELNS0_4arch9wavefront6targetE1EEEvSF_: ; @_ZN7rocprim17ROCPRIM_400000_NS6detail17trampoline_kernelINS0_14default_configENS1_38merge_sort_block_merge_config_selectorIhNS0_10empty_typeEEEZZNS1_27merge_sort_block_merge_implIS3_PhPS5_jNS1_19radix_merge_compareILb1ELb0EhNS0_19identity_decomposerEEEEE10hipError_tT0_T1_T2_jT3_P12ihipStream_tbPNSt15iterator_traitsISE_E10value_typeEPNSK_ISF_E10value_typeEPSG_NS1_7vsmem_tEENKUlT_SE_SF_SG_E_clIS8_S8_S9_S9_EESD_ST_SE_SF_SG_EUlST_E_NS1_11comp_targetILNS1_3genE3ELNS1_11target_archE908ELNS1_3gpuE7ELNS1_3repE0EEENS1_48merge_mergepath_partition_config_static_selectorELNS0_4arch9wavefront6targetE1EEEvSF_
; %bb.0:
	.section	.rodata,"a",@progbits
	.p2align	6, 0x0
	.amdhsa_kernel _ZN7rocprim17ROCPRIM_400000_NS6detail17trampoline_kernelINS0_14default_configENS1_38merge_sort_block_merge_config_selectorIhNS0_10empty_typeEEEZZNS1_27merge_sort_block_merge_implIS3_PhPS5_jNS1_19radix_merge_compareILb1ELb0EhNS0_19identity_decomposerEEEEE10hipError_tT0_T1_T2_jT3_P12ihipStream_tbPNSt15iterator_traitsISE_E10value_typeEPNSK_ISF_E10value_typeEPSG_NS1_7vsmem_tEENKUlT_SE_SF_SG_E_clIS8_S8_S9_S9_EESD_ST_SE_SF_SG_EUlST_E_NS1_11comp_targetILNS1_3genE3ELNS1_11target_archE908ELNS1_3gpuE7ELNS1_3repE0EEENS1_48merge_mergepath_partition_config_static_selectorELNS0_4arch9wavefront6targetE1EEEvSF_
		.amdhsa_group_segment_fixed_size 0
		.amdhsa_private_segment_fixed_size 0
		.amdhsa_kernarg_size 40
		.amdhsa_user_sgpr_count 6
		.amdhsa_user_sgpr_private_segment_buffer 1
		.amdhsa_user_sgpr_dispatch_ptr 0
		.amdhsa_user_sgpr_queue_ptr 0
		.amdhsa_user_sgpr_kernarg_segment_ptr 1
		.amdhsa_user_sgpr_dispatch_id 0
		.amdhsa_user_sgpr_flat_scratch_init 0
		.amdhsa_user_sgpr_kernarg_preload_length 0
		.amdhsa_user_sgpr_kernarg_preload_offset 0
		.amdhsa_user_sgpr_private_segment_size 0
		.amdhsa_uses_dynamic_stack 0
		.amdhsa_system_sgpr_private_segment_wavefront_offset 0
		.amdhsa_system_sgpr_workgroup_id_x 1
		.amdhsa_system_sgpr_workgroup_id_y 0
		.amdhsa_system_sgpr_workgroup_id_z 0
		.amdhsa_system_sgpr_workgroup_info 0
		.amdhsa_system_vgpr_workitem_id 0
		.amdhsa_next_free_vgpr 1
		.amdhsa_next_free_sgpr 0
		.amdhsa_accum_offset 4
		.amdhsa_reserve_vcc 0
		.amdhsa_reserve_flat_scratch 0
		.amdhsa_float_round_mode_32 0
		.amdhsa_float_round_mode_16_64 0
		.amdhsa_float_denorm_mode_32 3
		.amdhsa_float_denorm_mode_16_64 3
		.amdhsa_dx10_clamp 1
		.amdhsa_ieee_mode 1
		.amdhsa_fp16_overflow 0
		.amdhsa_tg_split 0
		.amdhsa_exception_fp_ieee_invalid_op 0
		.amdhsa_exception_fp_denorm_src 0
		.amdhsa_exception_fp_ieee_div_zero 0
		.amdhsa_exception_fp_ieee_overflow 0
		.amdhsa_exception_fp_ieee_underflow 0
		.amdhsa_exception_fp_ieee_inexact 0
		.amdhsa_exception_int_div_zero 0
	.end_amdhsa_kernel
	.section	.text._ZN7rocprim17ROCPRIM_400000_NS6detail17trampoline_kernelINS0_14default_configENS1_38merge_sort_block_merge_config_selectorIhNS0_10empty_typeEEEZZNS1_27merge_sort_block_merge_implIS3_PhPS5_jNS1_19radix_merge_compareILb1ELb0EhNS0_19identity_decomposerEEEEE10hipError_tT0_T1_T2_jT3_P12ihipStream_tbPNSt15iterator_traitsISE_E10value_typeEPNSK_ISF_E10value_typeEPSG_NS1_7vsmem_tEENKUlT_SE_SF_SG_E_clIS8_S8_S9_S9_EESD_ST_SE_SF_SG_EUlST_E_NS1_11comp_targetILNS1_3genE3ELNS1_11target_archE908ELNS1_3gpuE7ELNS1_3repE0EEENS1_48merge_mergepath_partition_config_static_selectorELNS0_4arch9wavefront6targetE1EEEvSF_,"axG",@progbits,_ZN7rocprim17ROCPRIM_400000_NS6detail17trampoline_kernelINS0_14default_configENS1_38merge_sort_block_merge_config_selectorIhNS0_10empty_typeEEEZZNS1_27merge_sort_block_merge_implIS3_PhPS5_jNS1_19radix_merge_compareILb1ELb0EhNS0_19identity_decomposerEEEEE10hipError_tT0_T1_T2_jT3_P12ihipStream_tbPNSt15iterator_traitsISE_E10value_typeEPNSK_ISF_E10value_typeEPSG_NS1_7vsmem_tEENKUlT_SE_SF_SG_E_clIS8_S8_S9_S9_EESD_ST_SE_SF_SG_EUlST_E_NS1_11comp_targetILNS1_3genE3ELNS1_11target_archE908ELNS1_3gpuE7ELNS1_3repE0EEENS1_48merge_mergepath_partition_config_static_selectorELNS0_4arch9wavefront6targetE1EEEvSF_,comdat
.Lfunc_end1671:
	.size	_ZN7rocprim17ROCPRIM_400000_NS6detail17trampoline_kernelINS0_14default_configENS1_38merge_sort_block_merge_config_selectorIhNS0_10empty_typeEEEZZNS1_27merge_sort_block_merge_implIS3_PhPS5_jNS1_19radix_merge_compareILb1ELb0EhNS0_19identity_decomposerEEEEE10hipError_tT0_T1_T2_jT3_P12ihipStream_tbPNSt15iterator_traitsISE_E10value_typeEPNSK_ISF_E10value_typeEPSG_NS1_7vsmem_tEENKUlT_SE_SF_SG_E_clIS8_S8_S9_S9_EESD_ST_SE_SF_SG_EUlST_E_NS1_11comp_targetILNS1_3genE3ELNS1_11target_archE908ELNS1_3gpuE7ELNS1_3repE0EEENS1_48merge_mergepath_partition_config_static_selectorELNS0_4arch9wavefront6targetE1EEEvSF_, .Lfunc_end1671-_ZN7rocprim17ROCPRIM_400000_NS6detail17trampoline_kernelINS0_14default_configENS1_38merge_sort_block_merge_config_selectorIhNS0_10empty_typeEEEZZNS1_27merge_sort_block_merge_implIS3_PhPS5_jNS1_19radix_merge_compareILb1ELb0EhNS0_19identity_decomposerEEEEE10hipError_tT0_T1_T2_jT3_P12ihipStream_tbPNSt15iterator_traitsISE_E10value_typeEPNSK_ISF_E10value_typeEPSG_NS1_7vsmem_tEENKUlT_SE_SF_SG_E_clIS8_S8_S9_S9_EESD_ST_SE_SF_SG_EUlST_E_NS1_11comp_targetILNS1_3genE3ELNS1_11target_archE908ELNS1_3gpuE7ELNS1_3repE0EEENS1_48merge_mergepath_partition_config_static_selectorELNS0_4arch9wavefront6targetE1EEEvSF_
                                        ; -- End function
	.section	.AMDGPU.csdata,"",@progbits
; Kernel info:
; codeLenInByte = 0
; NumSgprs: 4
; NumVgprs: 0
; NumAgprs: 0
; TotalNumVgprs: 0
; ScratchSize: 0
; MemoryBound: 0
; FloatMode: 240
; IeeeMode: 1
; LDSByteSize: 0 bytes/workgroup (compile time only)
; SGPRBlocks: 0
; VGPRBlocks: 0
; NumSGPRsForWavesPerEU: 4
; NumVGPRsForWavesPerEU: 1
; AccumOffset: 4
; Occupancy: 8
; WaveLimiterHint : 0
; COMPUTE_PGM_RSRC2:SCRATCH_EN: 0
; COMPUTE_PGM_RSRC2:USER_SGPR: 6
; COMPUTE_PGM_RSRC2:TRAP_HANDLER: 0
; COMPUTE_PGM_RSRC2:TGID_X_EN: 1
; COMPUTE_PGM_RSRC2:TGID_Y_EN: 0
; COMPUTE_PGM_RSRC2:TGID_Z_EN: 0
; COMPUTE_PGM_RSRC2:TIDIG_COMP_CNT: 0
; COMPUTE_PGM_RSRC3_GFX90A:ACCUM_OFFSET: 0
; COMPUTE_PGM_RSRC3_GFX90A:TG_SPLIT: 0
	.section	.text._ZN7rocprim17ROCPRIM_400000_NS6detail17trampoline_kernelINS0_14default_configENS1_38merge_sort_block_merge_config_selectorIhNS0_10empty_typeEEEZZNS1_27merge_sort_block_merge_implIS3_PhPS5_jNS1_19radix_merge_compareILb1ELb0EhNS0_19identity_decomposerEEEEE10hipError_tT0_T1_T2_jT3_P12ihipStream_tbPNSt15iterator_traitsISE_E10value_typeEPNSK_ISF_E10value_typeEPSG_NS1_7vsmem_tEENKUlT_SE_SF_SG_E_clIS8_S8_S9_S9_EESD_ST_SE_SF_SG_EUlST_E_NS1_11comp_targetILNS1_3genE2ELNS1_11target_archE906ELNS1_3gpuE6ELNS1_3repE0EEENS1_48merge_mergepath_partition_config_static_selectorELNS0_4arch9wavefront6targetE1EEEvSF_,"axG",@progbits,_ZN7rocprim17ROCPRIM_400000_NS6detail17trampoline_kernelINS0_14default_configENS1_38merge_sort_block_merge_config_selectorIhNS0_10empty_typeEEEZZNS1_27merge_sort_block_merge_implIS3_PhPS5_jNS1_19radix_merge_compareILb1ELb0EhNS0_19identity_decomposerEEEEE10hipError_tT0_T1_T2_jT3_P12ihipStream_tbPNSt15iterator_traitsISE_E10value_typeEPNSK_ISF_E10value_typeEPSG_NS1_7vsmem_tEENKUlT_SE_SF_SG_E_clIS8_S8_S9_S9_EESD_ST_SE_SF_SG_EUlST_E_NS1_11comp_targetILNS1_3genE2ELNS1_11target_archE906ELNS1_3gpuE6ELNS1_3repE0EEENS1_48merge_mergepath_partition_config_static_selectorELNS0_4arch9wavefront6targetE1EEEvSF_,comdat
	.protected	_ZN7rocprim17ROCPRIM_400000_NS6detail17trampoline_kernelINS0_14default_configENS1_38merge_sort_block_merge_config_selectorIhNS0_10empty_typeEEEZZNS1_27merge_sort_block_merge_implIS3_PhPS5_jNS1_19radix_merge_compareILb1ELb0EhNS0_19identity_decomposerEEEEE10hipError_tT0_T1_T2_jT3_P12ihipStream_tbPNSt15iterator_traitsISE_E10value_typeEPNSK_ISF_E10value_typeEPSG_NS1_7vsmem_tEENKUlT_SE_SF_SG_E_clIS8_S8_S9_S9_EESD_ST_SE_SF_SG_EUlST_E_NS1_11comp_targetILNS1_3genE2ELNS1_11target_archE906ELNS1_3gpuE6ELNS1_3repE0EEENS1_48merge_mergepath_partition_config_static_selectorELNS0_4arch9wavefront6targetE1EEEvSF_ ; -- Begin function _ZN7rocprim17ROCPRIM_400000_NS6detail17trampoline_kernelINS0_14default_configENS1_38merge_sort_block_merge_config_selectorIhNS0_10empty_typeEEEZZNS1_27merge_sort_block_merge_implIS3_PhPS5_jNS1_19radix_merge_compareILb1ELb0EhNS0_19identity_decomposerEEEEE10hipError_tT0_T1_T2_jT3_P12ihipStream_tbPNSt15iterator_traitsISE_E10value_typeEPNSK_ISF_E10value_typeEPSG_NS1_7vsmem_tEENKUlT_SE_SF_SG_E_clIS8_S8_S9_S9_EESD_ST_SE_SF_SG_EUlST_E_NS1_11comp_targetILNS1_3genE2ELNS1_11target_archE906ELNS1_3gpuE6ELNS1_3repE0EEENS1_48merge_mergepath_partition_config_static_selectorELNS0_4arch9wavefront6targetE1EEEvSF_
	.globl	_ZN7rocprim17ROCPRIM_400000_NS6detail17trampoline_kernelINS0_14default_configENS1_38merge_sort_block_merge_config_selectorIhNS0_10empty_typeEEEZZNS1_27merge_sort_block_merge_implIS3_PhPS5_jNS1_19radix_merge_compareILb1ELb0EhNS0_19identity_decomposerEEEEE10hipError_tT0_T1_T2_jT3_P12ihipStream_tbPNSt15iterator_traitsISE_E10value_typeEPNSK_ISF_E10value_typeEPSG_NS1_7vsmem_tEENKUlT_SE_SF_SG_E_clIS8_S8_S9_S9_EESD_ST_SE_SF_SG_EUlST_E_NS1_11comp_targetILNS1_3genE2ELNS1_11target_archE906ELNS1_3gpuE6ELNS1_3repE0EEENS1_48merge_mergepath_partition_config_static_selectorELNS0_4arch9wavefront6targetE1EEEvSF_
	.p2align	8
	.type	_ZN7rocprim17ROCPRIM_400000_NS6detail17trampoline_kernelINS0_14default_configENS1_38merge_sort_block_merge_config_selectorIhNS0_10empty_typeEEEZZNS1_27merge_sort_block_merge_implIS3_PhPS5_jNS1_19radix_merge_compareILb1ELb0EhNS0_19identity_decomposerEEEEE10hipError_tT0_T1_T2_jT3_P12ihipStream_tbPNSt15iterator_traitsISE_E10value_typeEPNSK_ISF_E10value_typeEPSG_NS1_7vsmem_tEENKUlT_SE_SF_SG_E_clIS8_S8_S9_S9_EESD_ST_SE_SF_SG_EUlST_E_NS1_11comp_targetILNS1_3genE2ELNS1_11target_archE906ELNS1_3gpuE6ELNS1_3repE0EEENS1_48merge_mergepath_partition_config_static_selectorELNS0_4arch9wavefront6targetE1EEEvSF_,@function
_ZN7rocprim17ROCPRIM_400000_NS6detail17trampoline_kernelINS0_14default_configENS1_38merge_sort_block_merge_config_selectorIhNS0_10empty_typeEEEZZNS1_27merge_sort_block_merge_implIS3_PhPS5_jNS1_19radix_merge_compareILb1ELb0EhNS0_19identity_decomposerEEEEE10hipError_tT0_T1_T2_jT3_P12ihipStream_tbPNSt15iterator_traitsISE_E10value_typeEPNSK_ISF_E10value_typeEPSG_NS1_7vsmem_tEENKUlT_SE_SF_SG_E_clIS8_S8_S9_S9_EESD_ST_SE_SF_SG_EUlST_E_NS1_11comp_targetILNS1_3genE2ELNS1_11target_archE906ELNS1_3gpuE6ELNS1_3repE0EEENS1_48merge_mergepath_partition_config_static_selectorELNS0_4arch9wavefront6targetE1EEEvSF_: ; @_ZN7rocprim17ROCPRIM_400000_NS6detail17trampoline_kernelINS0_14default_configENS1_38merge_sort_block_merge_config_selectorIhNS0_10empty_typeEEEZZNS1_27merge_sort_block_merge_implIS3_PhPS5_jNS1_19radix_merge_compareILb1ELb0EhNS0_19identity_decomposerEEEEE10hipError_tT0_T1_T2_jT3_P12ihipStream_tbPNSt15iterator_traitsISE_E10value_typeEPNSK_ISF_E10value_typeEPSG_NS1_7vsmem_tEENKUlT_SE_SF_SG_E_clIS8_S8_S9_S9_EESD_ST_SE_SF_SG_EUlST_E_NS1_11comp_targetILNS1_3genE2ELNS1_11target_archE906ELNS1_3gpuE6ELNS1_3repE0EEENS1_48merge_mergepath_partition_config_static_selectorELNS0_4arch9wavefront6targetE1EEEvSF_
; %bb.0:
	.section	.rodata,"a",@progbits
	.p2align	6, 0x0
	.amdhsa_kernel _ZN7rocprim17ROCPRIM_400000_NS6detail17trampoline_kernelINS0_14default_configENS1_38merge_sort_block_merge_config_selectorIhNS0_10empty_typeEEEZZNS1_27merge_sort_block_merge_implIS3_PhPS5_jNS1_19radix_merge_compareILb1ELb0EhNS0_19identity_decomposerEEEEE10hipError_tT0_T1_T2_jT3_P12ihipStream_tbPNSt15iterator_traitsISE_E10value_typeEPNSK_ISF_E10value_typeEPSG_NS1_7vsmem_tEENKUlT_SE_SF_SG_E_clIS8_S8_S9_S9_EESD_ST_SE_SF_SG_EUlST_E_NS1_11comp_targetILNS1_3genE2ELNS1_11target_archE906ELNS1_3gpuE6ELNS1_3repE0EEENS1_48merge_mergepath_partition_config_static_selectorELNS0_4arch9wavefront6targetE1EEEvSF_
		.amdhsa_group_segment_fixed_size 0
		.amdhsa_private_segment_fixed_size 0
		.amdhsa_kernarg_size 40
		.amdhsa_user_sgpr_count 6
		.amdhsa_user_sgpr_private_segment_buffer 1
		.amdhsa_user_sgpr_dispatch_ptr 0
		.amdhsa_user_sgpr_queue_ptr 0
		.amdhsa_user_sgpr_kernarg_segment_ptr 1
		.amdhsa_user_sgpr_dispatch_id 0
		.amdhsa_user_sgpr_flat_scratch_init 0
		.amdhsa_user_sgpr_kernarg_preload_length 0
		.amdhsa_user_sgpr_kernarg_preload_offset 0
		.amdhsa_user_sgpr_private_segment_size 0
		.amdhsa_uses_dynamic_stack 0
		.amdhsa_system_sgpr_private_segment_wavefront_offset 0
		.amdhsa_system_sgpr_workgroup_id_x 1
		.amdhsa_system_sgpr_workgroup_id_y 0
		.amdhsa_system_sgpr_workgroup_id_z 0
		.amdhsa_system_sgpr_workgroup_info 0
		.amdhsa_system_vgpr_workitem_id 0
		.amdhsa_next_free_vgpr 1
		.amdhsa_next_free_sgpr 0
		.amdhsa_accum_offset 4
		.amdhsa_reserve_vcc 0
		.amdhsa_reserve_flat_scratch 0
		.amdhsa_float_round_mode_32 0
		.amdhsa_float_round_mode_16_64 0
		.amdhsa_float_denorm_mode_32 3
		.amdhsa_float_denorm_mode_16_64 3
		.amdhsa_dx10_clamp 1
		.amdhsa_ieee_mode 1
		.amdhsa_fp16_overflow 0
		.amdhsa_tg_split 0
		.amdhsa_exception_fp_ieee_invalid_op 0
		.amdhsa_exception_fp_denorm_src 0
		.amdhsa_exception_fp_ieee_div_zero 0
		.amdhsa_exception_fp_ieee_overflow 0
		.amdhsa_exception_fp_ieee_underflow 0
		.amdhsa_exception_fp_ieee_inexact 0
		.amdhsa_exception_int_div_zero 0
	.end_amdhsa_kernel
	.section	.text._ZN7rocprim17ROCPRIM_400000_NS6detail17trampoline_kernelINS0_14default_configENS1_38merge_sort_block_merge_config_selectorIhNS0_10empty_typeEEEZZNS1_27merge_sort_block_merge_implIS3_PhPS5_jNS1_19radix_merge_compareILb1ELb0EhNS0_19identity_decomposerEEEEE10hipError_tT0_T1_T2_jT3_P12ihipStream_tbPNSt15iterator_traitsISE_E10value_typeEPNSK_ISF_E10value_typeEPSG_NS1_7vsmem_tEENKUlT_SE_SF_SG_E_clIS8_S8_S9_S9_EESD_ST_SE_SF_SG_EUlST_E_NS1_11comp_targetILNS1_3genE2ELNS1_11target_archE906ELNS1_3gpuE6ELNS1_3repE0EEENS1_48merge_mergepath_partition_config_static_selectorELNS0_4arch9wavefront6targetE1EEEvSF_,"axG",@progbits,_ZN7rocprim17ROCPRIM_400000_NS6detail17trampoline_kernelINS0_14default_configENS1_38merge_sort_block_merge_config_selectorIhNS0_10empty_typeEEEZZNS1_27merge_sort_block_merge_implIS3_PhPS5_jNS1_19radix_merge_compareILb1ELb0EhNS0_19identity_decomposerEEEEE10hipError_tT0_T1_T2_jT3_P12ihipStream_tbPNSt15iterator_traitsISE_E10value_typeEPNSK_ISF_E10value_typeEPSG_NS1_7vsmem_tEENKUlT_SE_SF_SG_E_clIS8_S8_S9_S9_EESD_ST_SE_SF_SG_EUlST_E_NS1_11comp_targetILNS1_3genE2ELNS1_11target_archE906ELNS1_3gpuE6ELNS1_3repE0EEENS1_48merge_mergepath_partition_config_static_selectorELNS0_4arch9wavefront6targetE1EEEvSF_,comdat
.Lfunc_end1672:
	.size	_ZN7rocprim17ROCPRIM_400000_NS6detail17trampoline_kernelINS0_14default_configENS1_38merge_sort_block_merge_config_selectorIhNS0_10empty_typeEEEZZNS1_27merge_sort_block_merge_implIS3_PhPS5_jNS1_19radix_merge_compareILb1ELb0EhNS0_19identity_decomposerEEEEE10hipError_tT0_T1_T2_jT3_P12ihipStream_tbPNSt15iterator_traitsISE_E10value_typeEPNSK_ISF_E10value_typeEPSG_NS1_7vsmem_tEENKUlT_SE_SF_SG_E_clIS8_S8_S9_S9_EESD_ST_SE_SF_SG_EUlST_E_NS1_11comp_targetILNS1_3genE2ELNS1_11target_archE906ELNS1_3gpuE6ELNS1_3repE0EEENS1_48merge_mergepath_partition_config_static_selectorELNS0_4arch9wavefront6targetE1EEEvSF_, .Lfunc_end1672-_ZN7rocprim17ROCPRIM_400000_NS6detail17trampoline_kernelINS0_14default_configENS1_38merge_sort_block_merge_config_selectorIhNS0_10empty_typeEEEZZNS1_27merge_sort_block_merge_implIS3_PhPS5_jNS1_19radix_merge_compareILb1ELb0EhNS0_19identity_decomposerEEEEE10hipError_tT0_T1_T2_jT3_P12ihipStream_tbPNSt15iterator_traitsISE_E10value_typeEPNSK_ISF_E10value_typeEPSG_NS1_7vsmem_tEENKUlT_SE_SF_SG_E_clIS8_S8_S9_S9_EESD_ST_SE_SF_SG_EUlST_E_NS1_11comp_targetILNS1_3genE2ELNS1_11target_archE906ELNS1_3gpuE6ELNS1_3repE0EEENS1_48merge_mergepath_partition_config_static_selectorELNS0_4arch9wavefront6targetE1EEEvSF_
                                        ; -- End function
	.section	.AMDGPU.csdata,"",@progbits
; Kernel info:
; codeLenInByte = 0
; NumSgprs: 4
; NumVgprs: 0
; NumAgprs: 0
; TotalNumVgprs: 0
; ScratchSize: 0
; MemoryBound: 0
; FloatMode: 240
; IeeeMode: 1
; LDSByteSize: 0 bytes/workgroup (compile time only)
; SGPRBlocks: 0
; VGPRBlocks: 0
; NumSGPRsForWavesPerEU: 4
; NumVGPRsForWavesPerEU: 1
; AccumOffset: 4
; Occupancy: 8
; WaveLimiterHint : 0
; COMPUTE_PGM_RSRC2:SCRATCH_EN: 0
; COMPUTE_PGM_RSRC2:USER_SGPR: 6
; COMPUTE_PGM_RSRC2:TRAP_HANDLER: 0
; COMPUTE_PGM_RSRC2:TGID_X_EN: 1
; COMPUTE_PGM_RSRC2:TGID_Y_EN: 0
; COMPUTE_PGM_RSRC2:TGID_Z_EN: 0
; COMPUTE_PGM_RSRC2:TIDIG_COMP_CNT: 0
; COMPUTE_PGM_RSRC3_GFX90A:ACCUM_OFFSET: 0
; COMPUTE_PGM_RSRC3_GFX90A:TG_SPLIT: 0
	.section	.text._ZN7rocprim17ROCPRIM_400000_NS6detail17trampoline_kernelINS0_14default_configENS1_38merge_sort_block_merge_config_selectorIhNS0_10empty_typeEEEZZNS1_27merge_sort_block_merge_implIS3_PhPS5_jNS1_19radix_merge_compareILb1ELb0EhNS0_19identity_decomposerEEEEE10hipError_tT0_T1_T2_jT3_P12ihipStream_tbPNSt15iterator_traitsISE_E10value_typeEPNSK_ISF_E10value_typeEPSG_NS1_7vsmem_tEENKUlT_SE_SF_SG_E_clIS8_S8_S9_S9_EESD_ST_SE_SF_SG_EUlST_E_NS1_11comp_targetILNS1_3genE9ELNS1_11target_archE1100ELNS1_3gpuE3ELNS1_3repE0EEENS1_48merge_mergepath_partition_config_static_selectorELNS0_4arch9wavefront6targetE1EEEvSF_,"axG",@progbits,_ZN7rocprim17ROCPRIM_400000_NS6detail17trampoline_kernelINS0_14default_configENS1_38merge_sort_block_merge_config_selectorIhNS0_10empty_typeEEEZZNS1_27merge_sort_block_merge_implIS3_PhPS5_jNS1_19radix_merge_compareILb1ELb0EhNS0_19identity_decomposerEEEEE10hipError_tT0_T1_T2_jT3_P12ihipStream_tbPNSt15iterator_traitsISE_E10value_typeEPNSK_ISF_E10value_typeEPSG_NS1_7vsmem_tEENKUlT_SE_SF_SG_E_clIS8_S8_S9_S9_EESD_ST_SE_SF_SG_EUlST_E_NS1_11comp_targetILNS1_3genE9ELNS1_11target_archE1100ELNS1_3gpuE3ELNS1_3repE0EEENS1_48merge_mergepath_partition_config_static_selectorELNS0_4arch9wavefront6targetE1EEEvSF_,comdat
	.protected	_ZN7rocprim17ROCPRIM_400000_NS6detail17trampoline_kernelINS0_14default_configENS1_38merge_sort_block_merge_config_selectorIhNS0_10empty_typeEEEZZNS1_27merge_sort_block_merge_implIS3_PhPS5_jNS1_19radix_merge_compareILb1ELb0EhNS0_19identity_decomposerEEEEE10hipError_tT0_T1_T2_jT3_P12ihipStream_tbPNSt15iterator_traitsISE_E10value_typeEPNSK_ISF_E10value_typeEPSG_NS1_7vsmem_tEENKUlT_SE_SF_SG_E_clIS8_S8_S9_S9_EESD_ST_SE_SF_SG_EUlST_E_NS1_11comp_targetILNS1_3genE9ELNS1_11target_archE1100ELNS1_3gpuE3ELNS1_3repE0EEENS1_48merge_mergepath_partition_config_static_selectorELNS0_4arch9wavefront6targetE1EEEvSF_ ; -- Begin function _ZN7rocprim17ROCPRIM_400000_NS6detail17trampoline_kernelINS0_14default_configENS1_38merge_sort_block_merge_config_selectorIhNS0_10empty_typeEEEZZNS1_27merge_sort_block_merge_implIS3_PhPS5_jNS1_19radix_merge_compareILb1ELb0EhNS0_19identity_decomposerEEEEE10hipError_tT0_T1_T2_jT3_P12ihipStream_tbPNSt15iterator_traitsISE_E10value_typeEPNSK_ISF_E10value_typeEPSG_NS1_7vsmem_tEENKUlT_SE_SF_SG_E_clIS8_S8_S9_S9_EESD_ST_SE_SF_SG_EUlST_E_NS1_11comp_targetILNS1_3genE9ELNS1_11target_archE1100ELNS1_3gpuE3ELNS1_3repE0EEENS1_48merge_mergepath_partition_config_static_selectorELNS0_4arch9wavefront6targetE1EEEvSF_
	.globl	_ZN7rocprim17ROCPRIM_400000_NS6detail17trampoline_kernelINS0_14default_configENS1_38merge_sort_block_merge_config_selectorIhNS0_10empty_typeEEEZZNS1_27merge_sort_block_merge_implIS3_PhPS5_jNS1_19radix_merge_compareILb1ELb0EhNS0_19identity_decomposerEEEEE10hipError_tT0_T1_T2_jT3_P12ihipStream_tbPNSt15iterator_traitsISE_E10value_typeEPNSK_ISF_E10value_typeEPSG_NS1_7vsmem_tEENKUlT_SE_SF_SG_E_clIS8_S8_S9_S9_EESD_ST_SE_SF_SG_EUlST_E_NS1_11comp_targetILNS1_3genE9ELNS1_11target_archE1100ELNS1_3gpuE3ELNS1_3repE0EEENS1_48merge_mergepath_partition_config_static_selectorELNS0_4arch9wavefront6targetE1EEEvSF_
	.p2align	8
	.type	_ZN7rocprim17ROCPRIM_400000_NS6detail17trampoline_kernelINS0_14default_configENS1_38merge_sort_block_merge_config_selectorIhNS0_10empty_typeEEEZZNS1_27merge_sort_block_merge_implIS3_PhPS5_jNS1_19radix_merge_compareILb1ELb0EhNS0_19identity_decomposerEEEEE10hipError_tT0_T1_T2_jT3_P12ihipStream_tbPNSt15iterator_traitsISE_E10value_typeEPNSK_ISF_E10value_typeEPSG_NS1_7vsmem_tEENKUlT_SE_SF_SG_E_clIS8_S8_S9_S9_EESD_ST_SE_SF_SG_EUlST_E_NS1_11comp_targetILNS1_3genE9ELNS1_11target_archE1100ELNS1_3gpuE3ELNS1_3repE0EEENS1_48merge_mergepath_partition_config_static_selectorELNS0_4arch9wavefront6targetE1EEEvSF_,@function
_ZN7rocprim17ROCPRIM_400000_NS6detail17trampoline_kernelINS0_14default_configENS1_38merge_sort_block_merge_config_selectorIhNS0_10empty_typeEEEZZNS1_27merge_sort_block_merge_implIS3_PhPS5_jNS1_19radix_merge_compareILb1ELb0EhNS0_19identity_decomposerEEEEE10hipError_tT0_T1_T2_jT3_P12ihipStream_tbPNSt15iterator_traitsISE_E10value_typeEPNSK_ISF_E10value_typeEPSG_NS1_7vsmem_tEENKUlT_SE_SF_SG_E_clIS8_S8_S9_S9_EESD_ST_SE_SF_SG_EUlST_E_NS1_11comp_targetILNS1_3genE9ELNS1_11target_archE1100ELNS1_3gpuE3ELNS1_3repE0EEENS1_48merge_mergepath_partition_config_static_selectorELNS0_4arch9wavefront6targetE1EEEvSF_: ; @_ZN7rocprim17ROCPRIM_400000_NS6detail17trampoline_kernelINS0_14default_configENS1_38merge_sort_block_merge_config_selectorIhNS0_10empty_typeEEEZZNS1_27merge_sort_block_merge_implIS3_PhPS5_jNS1_19radix_merge_compareILb1ELb0EhNS0_19identity_decomposerEEEEE10hipError_tT0_T1_T2_jT3_P12ihipStream_tbPNSt15iterator_traitsISE_E10value_typeEPNSK_ISF_E10value_typeEPSG_NS1_7vsmem_tEENKUlT_SE_SF_SG_E_clIS8_S8_S9_S9_EESD_ST_SE_SF_SG_EUlST_E_NS1_11comp_targetILNS1_3genE9ELNS1_11target_archE1100ELNS1_3gpuE3ELNS1_3repE0EEENS1_48merge_mergepath_partition_config_static_selectorELNS0_4arch9wavefront6targetE1EEEvSF_
; %bb.0:
	.section	.rodata,"a",@progbits
	.p2align	6, 0x0
	.amdhsa_kernel _ZN7rocprim17ROCPRIM_400000_NS6detail17trampoline_kernelINS0_14default_configENS1_38merge_sort_block_merge_config_selectorIhNS0_10empty_typeEEEZZNS1_27merge_sort_block_merge_implIS3_PhPS5_jNS1_19radix_merge_compareILb1ELb0EhNS0_19identity_decomposerEEEEE10hipError_tT0_T1_T2_jT3_P12ihipStream_tbPNSt15iterator_traitsISE_E10value_typeEPNSK_ISF_E10value_typeEPSG_NS1_7vsmem_tEENKUlT_SE_SF_SG_E_clIS8_S8_S9_S9_EESD_ST_SE_SF_SG_EUlST_E_NS1_11comp_targetILNS1_3genE9ELNS1_11target_archE1100ELNS1_3gpuE3ELNS1_3repE0EEENS1_48merge_mergepath_partition_config_static_selectorELNS0_4arch9wavefront6targetE1EEEvSF_
		.amdhsa_group_segment_fixed_size 0
		.amdhsa_private_segment_fixed_size 0
		.amdhsa_kernarg_size 40
		.amdhsa_user_sgpr_count 6
		.amdhsa_user_sgpr_private_segment_buffer 1
		.amdhsa_user_sgpr_dispatch_ptr 0
		.amdhsa_user_sgpr_queue_ptr 0
		.amdhsa_user_sgpr_kernarg_segment_ptr 1
		.amdhsa_user_sgpr_dispatch_id 0
		.amdhsa_user_sgpr_flat_scratch_init 0
		.amdhsa_user_sgpr_kernarg_preload_length 0
		.amdhsa_user_sgpr_kernarg_preload_offset 0
		.amdhsa_user_sgpr_private_segment_size 0
		.amdhsa_uses_dynamic_stack 0
		.amdhsa_system_sgpr_private_segment_wavefront_offset 0
		.amdhsa_system_sgpr_workgroup_id_x 1
		.amdhsa_system_sgpr_workgroup_id_y 0
		.amdhsa_system_sgpr_workgroup_id_z 0
		.amdhsa_system_sgpr_workgroup_info 0
		.amdhsa_system_vgpr_workitem_id 0
		.amdhsa_next_free_vgpr 1
		.amdhsa_next_free_sgpr 0
		.amdhsa_accum_offset 4
		.amdhsa_reserve_vcc 0
		.amdhsa_reserve_flat_scratch 0
		.amdhsa_float_round_mode_32 0
		.amdhsa_float_round_mode_16_64 0
		.amdhsa_float_denorm_mode_32 3
		.amdhsa_float_denorm_mode_16_64 3
		.amdhsa_dx10_clamp 1
		.amdhsa_ieee_mode 1
		.amdhsa_fp16_overflow 0
		.amdhsa_tg_split 0
		.amdhsa_exception_fp_ieee_invalid_op 0
		.amdhsa_exception_fp_denorm_src 0
		.amdhsa_exception_fp_ieee_div_zero 0
		.amdhsa_exception_fp_ieee_overflow 0
		.amdhsa_exception_fp_ieee_underflow 0
		.amdhsa_exception_fp_ieee_inexact 0
		.amdhsa_exception_int_div_zero 0
	.end_amdhsa_kernel
	.section	.text._ZN7rocprim17ROCPRIM_400000_NS6detail17trampoline_kernelINS0_14default_configENS1_38merge_sort_block_merge_config_selectorIhNS0_10empty_typeEEEZZNS1_27merge_sort_block_merge_implIS3_PhPS5_jNS1_19radix_merge_compareILb1ELb0EhNS0_19identity_decomposerEEEEE10hipError_tT0_T1_T2_jT3_P12ihipStream_tbPNSt15iterator_traitsISE_E10value_typeEPNSK_ISF_E10value_typeEPSG_NS1_7vsmem_tEENKUlT_SE_SF_SG_E_clIS8_S8_S9_S9_EESD_ST_SE_SF_SG_EUlST_E_NS1_11comp_targetILNS1_3genE9ELNS1_11target_archE1100ELNS1_3gpuE3ELNS1_3repE0EEENS1_48merge_mergepath_partition_config_static_selectorELNS0_4arch9wavefront6targetE1EEEvSF_,"axG",@progbits,_ZN7rocprim17ROCPRIM_400000_NS6detail17trampoline_kernelINS0_14default_configENS1_38merge_sort_block_merge_config_selectorIhNS0_10empty_typeEEEZZNS1_27merge_sort_block_merge_implIS3_PhPS5_jNS1_19radix_merge_compareILb1ELb0EhNS0_19identity_decomposerEEEEE10hipError_tT0_T1_T2_jT3_P12ihipStream_tbPNSt15iterator_traitsISE_E10value_typeEPNSK_ISF_E10value_typeEPSG_NS1_7vsmem_tEENKUlT_SE_SF_SG_E_clIS8_S8_S9_S9_EESD_ST_SE_SF_SG_EUlST_E_NS1_11comp_targetILNS1_3genE9ELNS1_11target_archE1100ELNS1_3gpuE3ELNS1_3repE0EEENS1_48merge_mergepath_partition_config_static_selectorELNS0_4arch9wavefront6targetE1EEEvSF_,comdat
.Lfunc_end1673:
	.size	_ZN7rocprim17ROCPRIM_400000_NS6detail17trampoline_kernelINS0_14default_configENS1_38merge_sort_block_merge_config_selectorIhNS0_10empty_typeEEEZZNS1_27merge_sort_block_merge_implIS3_PhPS5_jNS1_19radix_merge_compareILb1ELb0EhNS0_19identity_decomposerEEEEE10hipError_tT0_T1_T2_jT3_P12ihipStream_tbPNSt15iterator_traitsISE_E10value_typeEPNSK_ISF_E10value_typeEPSG_NS1_7vsmem_tEENKUlT_SE_SF_SG_E_clIS8_S8_S9_S9_EESD_ST_SE_SF_SG_EUlST_E_NS1_11comp_targetILNS1_3genE9ELNS1_11target_archE1100ELNS1_3gpuE3ELNS1_3repE0EEENS1_48merge_mergepath_partition_config_static_selectorELNS0_4arch9wavefront6targetE1EEEvSF_, .Lfunc_end1673-_ZN7rocprim17ROCPRIM_400000_NS6detail17trampoline_kernelINS0_14default_configENS1_38merge_sort_block_merge_config_selectorIhNS0_10empty_typeEEEZZNS1_27merge_sort_block_merge_implIS3_PhPS5_jNS1_19radix_merge_compareILb1ELb0EhNS0_19identity_decomposerEEEEE10hipError_tT0_T1_T2_jT3_P12ihipStream_tbPNSt15iterator_traitsISE_E10value_typeEPNSK_ISF_E10value_typeEPSG_NS1_7vsmem_tEENKUlT_SE_SF_SG_E_clIS8_S8_S9_S9_EESD_ST_SE_SF_SG_EUlST_E_NS1_11comp_targetILNS1_3genE9ELNS1_11target_archE1100ELNS1_3gpuE3ELNS1_3repE0EEENS1_48merge_mergepath_partition_config_static_selectorELNS0_4arch9wavefront6targetE1EEEvSF_
                                        ; -- End function
	.section	.AMDGPU.csdata,"",@progbits
; Kernel info:
; codeLenInByte = 0
; NumSgprs: 4
; NumVgprs: 0
; NumAgprs: 0
; TotalNumVgprs: 0
; ScratchSize: 0
; MemoryBound: 0
; FloatMode: 240
; IeeeMode: 1
; LDSByteSize: 0 bytes/workgroup (compile time only)
; SGPRBlocks: 0
; VGPRBlocks: 0
; NumSGPRsForWavesPerEU: 4
; NumVGPRsForWavesPerEU: 1
; AccumOffset: 4
; Occupancy: 8
; WaveLimiterHint : 0
; COMPUTE_PGM_RSRC2:SCRATCH_EN: 0
; COMPUTE_PGM_RSRC2:USER_SGPR: 6
; COMPUTE_PGM_RSRC2:TRAP_HANDLER: 0
; COMPUTE_PGM_RSRC2:TGID_X_EN: 1
; COMPUTE_PGM_RSRC2:TGID_Y_EN: 0
; COMPUTE_PGM_RSRC2:TGID_Z_EN: 0
; COMPUTE_PGM_RSRC2:TIDIG_COMP_CNT: 0
; COMPUTE_PGM_RSRC3_GFX90A:ACCUM_OFFSET: 0
; COMPUTE_PGM_RSRC3_GFX90A:TG_SPLIT: 0
	.section	.text._ZN7rocprim17ROCPRIM_400000_NS6detail17trampoline_kernelINS0_14default_configENS1_38merge_sort_block_merge_config_selectorIhNS0_10empty_typeEEEZZNS1_27merge_sort_block_merge_implIS3_PhPS5_jNS1_19radix_merge_compareILb1ELb0EhNS0_19identity_decomposerEEEEE10hipError_tT0_T1_T2_jT3_P12ihipStream_tbPNSt15iterator_traitsISE_E10value_typeEPNSK_ISF_E10value_typeEPSG_NS1_7vsmem_tEENKUlT_SE_SF_SG_E_clIS8_S8_S9_S9_EESD_ST_SE_SF_SG_EUlST_E_NS1_11comp_targetILNS1_3genE8ELNS1_11target_archE1030ELNS1_3gpuE2ELNS1_3repE0EEENS1_48merge_mergepath_partition_config_static_selectorELNS0_4arch9wavefront6targetE1EEEvSF_,"axG",@progbits,_ZN7rocprim17ROCPRIM_400000_NS6detail17trampoline_kernelINS0_14default_configENS1_38merge_sort_block_merge_config_selectorIhNS0_10empty_typeEEEZZNS1_27merge_sort_block_merge_implIS3_PhPS5_jNS1_19radix_merge_compareILb1ELb0EhNS0_19identity_decomposerEEEEE10hipError_tT0_T1_T2_jT3_P12ihipStream_tbPNSt15iterator_traitsISE_E10value_typeEPNSK_ISF_E10value_typeEPSG_NS1_7vsmem_tEENKUlT_SE_SF_SG_E_clIS8_S8_S9_S9_EESD_ST_SE_SF_SG_EUlST_E_NS1_11comp_targetILNS1_3genE8ELNS1_11target_archE1030ELNS1_3gpuE2ELNS1_3repE0EEENS1_48merge_mergepath_partition_config_static_selectorELNS0_4arch9wavefront6targetE1EEEvSF_,comdat
	.protected	_ZN7rocprim17ROCPRIM_400000_NS6detail17trampoline_kernelINS0_14default_configENS1_38merge_sort_block_merge_config_selectorIhNS0_10empty_typeEEEZZNS1_27merge_sort_block_merge_implIS3_PhPS5_jNS1_19radix_merge_compareILb1ELb0EhNS0_19identity_decomposerEEEEE10hipError_tT0_T1_T2_jT3_P12ihipStream_tbPNSt15iterator_traitsISE_E10value_typeEPNSK_ISF_E10value_typeEPSG_NS1_7vsmem_tEENKUlT_SE_SF_SG_E_clIS8_S8_S9_S9_EESD_ST_SE_SF_SG_EUlST_E_NS1_11comp_targetILNS1_3genE8ELNS1_11target_archE1030ELNS1_3gpuE2ELNS1_3repE0EEENS1_48merge_mergepath_partition_config_static_selectorELNS0_4arch9wavefront6targetE1EEEvSF_ ; -- Begin function _ZN7rocprim17ROCPRIM_400000_NS6detail17trampoline_kernelINS0_14default_configENS1_38merge_sort_block_merge_config_selectorIhNS0_10empty_typeEEEZZNS1_27merge_sort_block_merge_implIS3_PhPS5_jNS1_19radix_merge_compareILb1ELb0EhNS0_19identity_decomposerEEEEE10hipError_tT0_T1_T2_jT3_P12ihipStream_tbPNSt15iterator_traitsISE_E10value_typeEPNSK_ISF_E10value_typeEPSG_NS1_7vsmem_tEENKUlT_SE_SF_SG_E_clIS8_S8_S9_S9_EESD_ST_SE_SF_SG_EUlST_E_NS1_11comp_targetILNS1_3genE8ELNS1_11target_archE1030ELNS1_3gpuE2ELNS1_3repE0EEENS1_48merge_mergepath_partition_config_static_selectorELNS0_4arch9wavefront6targetE1EEEvSF_
	.globl	_ZN7rocprim17ROCPRIM_400000_NS6detail17trampoline_kernelINS0_14default_configENS1_38merge_sort_block_merge_config_selectorIhNS0_10empty_typeEEEZZNS1_27merge_sort_block_merge_implIS3_PhPS5_jNS1_19radix_merge_compareILb1ELb0EhNS0_19identity_decomposerEEEEE10hipError_tT0_T1_T2_jT3_P12ihipStream_tbPNSt15iterator_traitsISE_E10value_typeEPNSK_ISF_E10value_typeEPSG_NS1_7vsmem_tEENKUlT_SE_SF_SG_E_clIS8_S8_S9_S9_EESD_ST_SE_SF_SG_EUlST_E_NS1_11comp_targetILNS1_3genE8ELNS1_11target_archE1030ELNS1_3gpuE2ELNS1_3repE0EEENS1_48merge_mergepath_partition_config_static_selectorELNS0_4arch9wavefront6targetE1EEEvSF_
	.p2align	8
	.type	_ZN7rocprim17ROCPRIM_400000_NS6detail17trampoline_kernelINS0_14default_configENS1_38merge_sort_block_merge_config_selectorIhNS0_10empty_typeEEEZZNS1_27merge_sort_block_merge_implIS3_PhPS5_jNS1_19radix_merge_compareILb1ELb0EhNS0_19identity_decomposerEEEEE10hipError_tT0_T1_T2_jT3_P12ihipStream_tbPNSt15iterator_traitsISE_E10value_typeEPNSK_ISF_E10value_typeEPSG_NS1_7vsmem_tEENKUlT_SE_SF_SG_E_clIS8_S8_S9_S9_EESD_ST_SE_SF_SG_EUlST_E_NS1_11comp_targetILNS1_3genE8ELNS1_11target_archE1030ELNS1_3gpuE2ELNS1_3repE0EEENS1_48merge_mergepath_partition_config_static_selectorELNS0_4arch9wavefront6targetE1EEEvSF_,@function
_ZN7rocprim17ROCPRIM_400000_NS6detail17trampoline_kernelINS0_14default_configENS1_38merge_sort_block_merge_config_selectorIhNS0_10empty_typeEEEZZNS1_27merge_sort_block_merge_implIS3_PhPS5_jNS1_19radix_merge_compareILb1ELb0EhNS0_19identity_decomposerEEEEE10hipError_tT0_T1_T2_jT3_P12ihipStream_tbPNSt15iterator_traitsISE_E10value_typeEPNSK_ISF_E10value_typeEPSG_NS1_7vsmem_tEENKUlT_SE_SF_SG_E_clIS8_S8_S9_S9_EESD_ST_SE_SF_SG_EUlST_E_NS1_11comp_targetILNS1_3genE8ELNS1_11target_archE1030ELNS1_3gpuE2ELNS1_3repE0EEENS1_48merge_mergepath_partition_config_static_selectorELNS0_4arch9wavefront6targetE1EEEvSF_: ; @_ZN7rocprim17ROCPRIM_400000_NS6detail17trampoline_kernelINS0_14default_configENS1_38merge_sort_block_merge_config_selectorIhNS0_10empty_typeEEEZZNS1_27merge_sort_block_merge_implIS3_PhPS5_jNS1_19radix_merge_compareILb1ELb0EhNS0_19identity_decomposerEEEEE10hipError_tT0_T1_T2_jT3_P12ihipStream_tbPNSt15iterator_traitsISE_E10value_typeEPNSK_ISF_E10value_typeEPSG_NS1_7vsmem_tEENKUlT_SE_SF_SG_E_clIS8_S8_S9_S9_EESD_ST_SE_SF_SG_EUlST_E_NS1_11comp_targetILNS1_3genE8ELNS1_11target_archE1030ELNS1_3gpuE2ELNS1_3repE0EEENS1_48merge_mergepath_partition_config_static_selectorELNS0_4arch9wavefront6targetE1EEEvSF_
; %bb.0:
	.section	.rodata,"a",@progbits
	.p2align	6, 0x0
	.amdhsa_kernel _ZN7rocprim17ROCPRIM_400000_NS6detail17trampoline_kernelINS0_14default_configENS1_38merge_sort_block_merge_config_selectorIhNS0_10empty_typeEEEZZNS1_27merge_sort_block_merge_implIS3_PhPS5_jNS1_19radix_merge_compareILb1ELb0EhNS0_19identity_decomposerEEEEE10hipError_tT0_T1_T2_jT3_P12ihipStream_tbPNSt15iterator_traitsISE_E10value_typeEPNSK_ISF_E10value_typeEPSG_NS1_7vsmem_tEENKUlT_SE_SF_SG_E_clIS8_S8_S9_S9_EESD_ST_SE_SF_SG_EUlST_E_NS1_11comp_targetILNS1_3genE8ELNS1_11target_archE1030ELNS1_3gpuE2ELNS1_3repE0EEENS1_48merge_mergepath_partition_config_static_selectorELNS0_4arch9wavefront6targetE1EEEvSF_
		.amdhsa_group_segment_fixed_size 0
		.amdhsa_private_segment_fixed_size 0
		.amdhsa_kernarg_size 40
		.amdhsa_user_sgpr_count 6
		.amdhsa_user_sgpr_private_segment_buffer 1
		.amdhsa_user_sgpr_dispatch_ptr 0
		.amdhsa_user_sgpr_queue_ptr 0
		.amdhsa_user_sgpr_kernarg_segment_ptr 1
		.amdhsa_user_sgpr_dispatch_id 0
		.amdhsa_user_sgpr_flat_scratch_init 0
		.amdhsa_user_sgpr_kernarg_preload_length 0
		.amdhsa_user_sgpr_kernarg_preload_offset 0
		.amdhsa_user_sgpr_private_segment_size 0
		.amdhsa_uses_dynamic_stack 0
		.amdhsa_system_sgpr_private_segment_wavefront_offset 0
		.amdhsa_system_sgpr_workgroup_id_x 1
		.amdhsa_system_sgpr_workgroup_id_y 0
		.amdhsa_system_sgpr_workgroup_id_z 0
		.amdhsa_system_sgpr_workgroup_info 0
		.amdhsa_system_vgpr_workitem_id 0
		.amdhsa_next_free_vgpr 1
		.amdhsa_next_free_sgpr 0
		.amdhsa_accum_offset 4
		.amdhsa_reserve_vcc 0
		.amdhsa_reserve_flat_scratch 0
		.amdhsa_float_round_mode_32 0
		.amdhsa_float_round_mode_16_64 0
		.amdhsa_float_denorm_mode_32 3
		.amdhsa_float_denorm_mode_16_64 3
		.amdhsa_dx10_clamp 1
		.amdhsa_ieee_mode 1
		.amdhsa_fp16_overflow 0
		.amdhsa_tg_split 0
		.amdhsa_exception_fp_ieee_invalid_op 0
		.amdhsa_exception_fp_denorm_src 0
		.amdhsa_exception_fp_ieee_div_zero 0
		.amdhsa_exception_fp_ieee_overflow 0
		.amdhsa_exception_fp_ieee_underflow 0
		.amdhsa_exception_fp_ieee_inexact 0
		.amdhsa_exception_int_div_zero 0
	.end_amdhsa_kernel
	.section	.text._ZN7rocprim17ROCPRIM_400000_NS6detail17trampoline_kernelINS0_14default_configENS1_38merge_sort_block_merge_config_selectorIhNS0_10empty_typeEEEZZNS1_27merge_sort_block_merge_implIS3_PhPS5_jNS1_19radix_merge_compareILb1ELb0EhNS0_19identity_decomposerEEEEE10hipError_tT0_T1_T2_jT3_P12ihipStream_tbPNSt15iterator_traitsISE_E10value_typeEPNSK_ISF_E10value_typeEPSG_NS1_7vsmem_tEENKUlT_SE_SF_SG_E_clIS8_S8_S9_S9_EESD_ST_SE_SF_SG_EUlST_E_NS1_11comp_targetILNS1_3genE8ELNS1_11target_archE1030ELNS1_3gpuE2ELNS1_3repE0EEENS1_48merge_mergepath_partition_config_static_selectorELNS0_4arch9wavefront6targetE1EEEvSF_,"axG",@progbits,_ZN7rocprim17ROCPRIM_400000_NS6detail17trampoline_kernelINS0_14default_configENS1_38merge_sort_block_merge_config_selectorIhNS0_10empty_typeEEEZZNS1_27merge_sort_block_merge_implIS3_PhPS5_jNS1_19radix_merge_compareILb1ELb0EhNS0_19identity_decomposerEEEEE10hipError_tT0_T1_T2_jT3_P12ihipStream_tbPNSt15iterator_traitsISE_E10value_typeEPNSK_ISF_E10value_typeEPSG_NS1_7vsmem_tEENKUlT_SE_SF_SG_E_clIS8_S8_S9_S9_EESD_ST_SE_SF_SG_EUlST_E_NS1_11comp_targetILNS1_3genE8ELNS1_11target_archE1030ELNS1_3gpuE2ELNS1_3repE0EEENS1_48merge_mergepath_partition_config_static_selectorELNS0_4arch9wavefront6targetE1EEEvSF_,comdat
.Lfunc_end1674:
	.size	_ZN7rocprim17ROCPRIM_400000_NS6detail17trampoline_kernelINS0_14default_configENS1_38merge_sort_block_merge_config_selectorIhNS0_10empty_typeEEEZZNS1_27merge_sort_block_merge_implIS3_PhPS5_jNS1_19radix_merge_compareILb1ELb0EhNS0_19identity_decomposerEEEEE10hipError_tT0_T1_T2_jT3_P12ihipStream_tbPNSt15iterator_traitsISE_E10value_typeEPNSK_ISF_E10value_typeEPSG_NS1_7vsmem_tEENKUlT_SE_SF_SG_E_clIS8_S8_S9_S9_EESD_ST_SE_SF_SG_EUlST_E_NS1_11comp_targetILNS1_3genE8ELNS1_11target_archE1030ELNS1_3gpuE2ELNS1_3repE0EEENS1_48merge_mergepath_partition_config_static_selectorELNS0_4arch9wavefront6targetE1EEEvSF_, .Lfunc_end1674-_ZN7rocprim17ROCPRIM_400000_NS6detail17trampoline_kernelINS0_14default_configENS1_38merge_sort_block_merge_config_selectorIhNS0_10empty_typeEEEZZNS1_27merge_sort_block_merge_implIS3_PhPS5_jNS1_19radix_merge_compareILb1ELb0EhNS0_19identity_decomposerEEEEE10hipError_tT0_T1_T2_jT3_P12ihipStream_tbPNSt15iterator_traitsISE_E10value_typeEPNSK_ISF_E10value_typeEPSG_NS1_7vsmem_tEENKUlT_SE_SF_SG_E_clIS8_S8_S9_S9_EESD_ST_SE_SF_SG_EUlST_E_NS1_11comp_targetILNS1_3genE8ELNS1_11target_archE1030ELNS1_3gpuE2ELNS1_3repE0EEENS1_48merge_mergepath_partition_config_static_selectorELNS0_4arch9wavefront6targetE1EEEvSF_
                                        ; -- End function
	.section	.AMDGPU.csdata,"",@progbits
; Kernel info:
; codeLenInByte = 0
; NumSgprs: 4
; NumVgprs: 0
; NumAgprs: 0
; TotalNumVgprs: 0
; ScratchSize: 0
; MemoryBound: 0
; FloatMode: 240
; IeeeMode: 1
; LDSByteSize: 0 bytes/workgroup (compile time only)
; SGPRBlocks: 0
; VGPRBlocks: 0
; NumSGPRsForWavesPerEU: 4
; NumVGPRsForWavesPerEU: 1
; AccumOffset: 4
; Occupancy: 8
; WaveLimiterHint : 0
; COMPUTE_PGM_RSRC2:SCRATCH_EN: 0
; COMPUTE_PGM_RSRC2:USER_SGPR: 6
; COMPUTE_PGM_RSRC2:TRAP_HANDLER: 0
; COMPUTE_PGM_RSRC2:TGID_X_EN: 1
; COMPUTE_PGM_RSRC2:TGID_Y_EN: 0
; COMPUTE_PGM_RSRC2:TGID_Z_EN: 0
; COMPUTE_PGM_RSRC2:TIDIG_COMP_CNT: 0
; COMPUTE_PGM_RSRC3_GFX90A:ACCUM_OFFSET: 0
; COMPUTE_PGM_RSRC3_GFX90A:TG_SPLIT: 0
	.section	.text._ZN7rocprim17ROCPRIM_400000_NS6detail17trampoline_kernelINS0_14default_configENS1_38merge_sort_block_merge_config_selectorIhNS0_10empty_typeEEEZZNS1_27merge_sort_block_merge_implIS3_PhPS5_jNS1_19radix_merge_compareILb1ELb0EhNS0_19identity_decomposerEEEEE10hipError_tT0_T1_T2_jT3_P12ihipStream_tbPNSt15iterator_traitsISE_E10value_typeEPNSK_ISF_E10value_typeEPSG_NS1_7vsmem_tEENKUlT_SE_SF_SG_E_clIS8_S8_S9_S9_EESD_ST_SE_SF_SG_EUlST_E0_NS1_11comp_targetILNS1_3genE0ELNS1_11target_archE4294967295ELNS1_3gpuE0ELNS1_3repE0EEENS1_38merge_mergepath_config_static_selectorELNS0_4arch9wavefront6targetE1EEEvSF_,"axG",@progbits,_ZN7rocprim17ROCPRIM_400000_NS6detail17trampoline_kernelINS0_14default_configENS1_38merge_sort_block_merge_config_selectorIhNS0_10empty_typeEEEZZNS1_27merge_sort_block_merge_implIS3_PhPS5_jNS1_19radix_merge_compareILb1ELb0EhNS0_19identity_decomposerEEEEE10hipError_tT0_T1_T2_jT3_P12ihipStream_tbPNSt15iterator_traitsISE_E10value_typeEPNSK_ISF_E10value_typeEPSG_NS1_7vsmem_tEENKUlT_SE_SF_SG_E_clIS8_S8_S9_S9_EESD_ST_SE_SF_SG_EUlST_E0_NS1_11comp_targetILNS1_3genE0ELNS1_11target_archE4294967295ELNS1_3gpuE0ELNS1_3repE0EEENS1_38merge_mergepath_config_static_selectorELNS0_4arch9wavefront6targetE1EEEvSF_,comdat
	.protected	_ZN7rocprim17ROCPRIM_400000_NS6detail17trampoline_kernelINS0_14default_configENS1_38merge_sort_block_merge_config_selectorIhNS0_10empty_typeEEEZZNS1_27merge_sort_block_merge_implIS3_PhPS5_jNS1_19radix_merge_compareILb1ELb0EhNS0_19identity_decomposerEEEEE10hipError_tT0_T1_T2_jT3_P12ihipStream_tbPNSt15iterator_traitsISE_E10value_typeEPNSK_ISF_E10value_typeEPSG_NS1_7vsmem_tEENKUlT_SE_SF_SG_E_clIS8_S8_S9_S9_EESD_ST_SE_SF_SG_EUlST_E0_NS1_11comp_targetILNS1_3genE0ELNS1_11target_archE4294967295ELNS1_3gpuE0ELNS1_3repE0EEENS1_38merge_mergepath_config_static_selectorELNS0_4arch9wavefront6targetE1EEEvSF_ ; -- Begin function _ZN7rocprim17ROCPRIM_400000_NS6detail17trampoline_kernelINS0_14default_configENS1_38merge_sort_block_merge_config_selectorIhNS0_10empty_typeEEEZZNS1_27merge_sort_block_merge_implIS3_PhPS5_jNS1_19radix_merge_compareILb1ELb0EhNS0_19identity_decomposerEEEEE10hipError_tT0_T1_T2_jT3_P12ihipStream_tbPNSt15iterator_traitsISE_E10value_typeEPNSK_ISF_E10value_typeEPSG_NS1_7vsmem_tEENKUlT_SE_SF_SG_E_clIS8_S8_S9_S9_EESD_ST_SE_SF_SG_EUlST_E0_NS1_11comp_targetILNS1_3genE0ELNS1_11target_archE4294967295ELNS1_3gpuE0ELNS1_3repE0EEENS1_38merge_mergepath_config_static_selectorELNS0_4arch9wavefront6targetE1EEEvSF_
	.globl	_ZN7rocprim17ROCPRIM_400000_NS6detail17trampoline_kernelINS0_14default_configENS1_38merge_sort_block_merge_config_selectorIhNS0_10empty_typeEEEZZNS1_27merge_sort_block_merge_implIS3_PhPS5_jNS1_19radix_merge_compareILb1ELb0EhNS0_19identity_decomposerEEEEE10hipError_tT0_T1_T2_jT3_P12ihipStream_tbPNSt15iterator_traitsISE_E10value_typeEPNSK_ISF_E10value_typeEPSG_NS1_7vsmem_tEENKUlT_SE_SF_SG_E_clIS8_S8_S9_S9_EESD_ST_SE_SF_SG_EUlST_E0_NS1_11comp_targetILNS1_3genE0ELNS1_11target_archE4294967295ELNS1_3gpuE0ELNS1_3repE0EEENS1_38merge_mergepath_config_static_selectorELNS0_4arch9wavefront6targetE1EEEvSF_
	.p2align	8
	.type	_ZN7rocprim17ROCPRIM_400000_NS6detail17trampoline_kernelINS0_14default_configENS1_38merge_sort_block_merge_config_selectorIhNS0_10empty_typeEEEZZNS1_27merge_sort_block_merge_implIS3_PhPS5_jNS1_19radix_merge_compareILb1ELb0EhNS0_19identity_decomposerEEEEE10hipError_tT0_T1_T2_jT3_P12ihipStream_tbPNSt15iterator_traitsISE_E10value_typeEPNSK_ISF_E10value_typeEPSG_NS1_7vsmem_tEENKUlT_SE_SF_SG_E_clIS8_S8_S9_S9_EESD_ST_SE_SF_SG_EUlST_E0_NS1_11comp_targetILNS1_3genE0ELNS1_11target_archE4294967295ELNS1_3gpuE0ELNS1_3repE0EEENS1_38merge_mergepath_config_static_selectorELNS0_4arch9wavefront6targetE1EEEvSF_,@function
_ZN7rocprim17ROCPRIM_400000_NS6detail17trampoline_kernelINS0_14default_configENS1_38merge_sort_block_merge_config_selectorIhNS0_10empty_typeEEEZZNS1_27merge_sort_block_merge_implIS3_PhPS5_jNS1_19radix_merge_compareILb1ELb0EhNS0_19identity_decomposerEEEEE10hipError_tT0_T1_T2_jT3_P12ihipStream_tbPNSt15iterator_traitsISE_E10value_typeEPNSK_ISF_E10value_typeEPSG_NS1_7vsmem_tEENKUlT_SE_SF_SG_E_clIS8_S8_S9_S9_EESD_ST_SE_SF_SG_EUlST_E0_NS1_11comp_targetILNS1_3genE0ELNS1_11target_archE4294967295ELNS1_3gpuE0ELNS1_3repE0EEENS1_38merge_mergepath_config_static_selectorELNS0_4arch9wavefront6targetE1EEEvSF_: ; @_ZN7rocprim17ROCPRIM_400000_NS6detail17trampoline_kernelINS0_14default_configENS1_38merge_sort_block_merge_config_selectorIhNS0_10empty_typeEEEZZNS1_27merge_sort_block_merge_implIS3_PhPS5_jNS1_19radix_merge_compareILb1ELb0EhNS0_19identity_decomposerEEEEE10hipError_tT0_T1_T2_jT3_P12ihipStream_tbPNSt15iterator_traitsISE_E10value_typeEPNSK_ISF_E10value_typeEPSG_NS1_7vsmem_tEENKUlT_SE_SF_SG_E_clIS8_S8_S9_S9_EESD_ST_SE_SF_SG_EUlST_E0_NS1_11comp_targetILNS1_3genE0ELNS1_11target_archE4294967295ELNS1_3gpuE0ELNS1_3repE0EEENS1_38merge_mergepath_config_static_selectorELNS0_4arch9wavefront6targetE1EEEvSF_
; %bb.0:
	.section	.rodata,"a",@progbits
	.p2align	6, 0x0
	.amdhsa_kernel _ZN7rocprim17ROCPRIM_400000_NS6detail17trampoline_kernelINS0_14default_configENS1_38merge_sort_block_merge_config_selectorIhNS0_10empty_typeEEEZZNS1_27merge_sort_block_merge_implIS3_PhPS5_jNS1_19radix_merge_compareILb1ELb0EhNS0_19identity_decomposerEEEEE10hipError_tT0_T1_T2_jT3_P12ihipStream_tbPNSt15iterator_traitsISE_E10value_typeEPNSK_ISF_E10value_typeEPSG_NS1_7vsmem_tEENKUlT_SE_SF_SG_E_clIS8_S8_S9_S9_EESD_ST_SE_SF_SG_EUlST_E0_NS1_11comp_targetILNS1_3genE0ELNS1_11target_archE4294967295ELNS1_3gpuE0ELNS1_3repE0EEENS1_38merge_mergepath_config_static_selectorELNS0_4arch9wavefront6targetE1EEEvSF_
		.amdhsa_group_segment_fixed_size 0
		.amdhsa_private_segment_fixed_size 0
		.amdhsa_kernarg_size 64
		.amdhsa_user_sgpr_count 6
		.amdhsa_user_sgpr_private_segment_buffer 1
		.amdhsa_user_sgpr_dispatch_ptr 0
		.amdhsa_user_sgpr_queue_ptr 0
		.amdhsa_user_sgpr_kernarg_segment_ptr 1
		.amdhsa_user_sgpr_dispatch_id 0
		.amdhsa_user_sgpr_flat_scratch_init 0
		.amdhsa_user_sgpr_kernarg_preload_length 0
		.amdhsa_user_sgpr_kernarg_preload_offset 0
		.amdhsa_user_sgpr_private_segment_size 0
		.amdhsa_uses_dynamic_stack 0
		.amdhsa_system_sgpr_private_segment_wavefront_offset 0
		.amdhsa_system_sgpr_workgroup_id_x 1
		.amdhsa_system_sgpr_workgroup_id_y 0
		.amdhsa_system_sgpr_workgroup_id_z 0
		.amdhsa_system_sgpr_workgroup_info 0
		.amdhsa_system_vgpr_workitem_id 0
		.amdhsa_next_free_vgpr 1
		.amdhsa_next_free_sgpr 0
		.amdhsa_accum_offset 4
		.amdhsa_reserve_vcc 0
		.amdhsa_reserve_flat_scratch 0
		.amdhsa_float_round_mode_32 0
		.amdhsa_float_round_mode_16_64 0
		.amdhsa_float_denorm_mode_32 3
		.amdhsa_float_denorm_mode_16_64 3
		.amdhsa_dx10_clamp 1
		.amdhsa_ieee_mode 1
		.amdhsa_fp16_overflow 0
		.amdhsa_tg_split 0
		.amdhsa_exception_fp_ieee_invalid_op 0
		.amdhsa_exception_fp_denorm_src 0
		.amdhsa_exception_fp_ieee_div_zero 0
		.amdhsa_exception_fp_ieee_overflow 0
		.amdhsa_exception_fp_ieee_underflow 0
		.amdhsa_exception_fp_ieee_inexact 0
		.amdhsa_exception_int_div_zero 0
	.end_amdhsa_kernel
	.section	.text._ZN7rocprim17ROCPRIM_400000_NS6detail17trampoline_kernelINS0_14default_configENS1_38merge_sort_block_merge_config_selectorIhNS0_10empty_typeEEEZZNS1_27merge_sort_block_merge_implIS3_PhPS5_jNS1_19radix_merge_compareILb1ELb0EhNS0_19identity_decomposerEEEEE10hipError_tT0_T1_T2_jT3_P12ihipStream_tbPNSt15iterator_traitsISE_E10value_typeEPNSK_ISF_E10value_typeEPSG_NS1_7vsmem_tEENKUlT_SE_SF_SG_E_clIS8_S8_S9_S9_EESD_ST_SE_SF_SG_EUlST_E0_NS1_11comp_targetILNS1_3genE0ELNS1_11target_archE4294967295ELNS1_3gpuE0ELNS1_3repE0EEENS1_38merge_mergepath_config_static_selectorELNS0_4arch9wavefront6targetE1EEEvSF_,"axG",@progbits,_ZN7rocprim17ROCPRIM_400000_NS6detail17trampoline_kernelINS0_14default_configENS1_38merge_sort_block_merge_config_selectorIhNS0_10empty_typeEEEZZNS1_27merge_sort_block_merge_implIS3_PhPS5_jNS1_19radix_merge_compareILb1ELb0EhNS0_19identity_decomposerEEEEE10hipError_tT0_T1_T2_jT3_P12ihipStream_tbPNSt15iterator_traitsISE_E10value_typeEPNSK_ISF_E10value_typeEPSG_NS1_7vsmem_tEENKUlT_SE_SF_SG_E_clIS8_S8_S9_S9_EESD_ST_SE_SF_SG_EUlST_E0_NS1_11comp_targetILNS1_3genE0ELNS1_11target_archE4294967295ELNS1_3gpuE0ELNS1_3repE0EEENS1_38merge_mergepath_config_static_selectorELNS0_4arch9wavefront6targetE1EEEvSF_,comdat
.Lfunc_end1675:
	.size	_ZN7rocprim17ROCPRIM_400000_NS6detail17trampoline_kernelINS0_14default_configENS1_38merge_sort_block_merge_config_selectorIhNS0_10empty_typeEEEZZNS1_27merge_sort_block_merge_implIS3_PhPS5_jNS1_19radix_merge_compareILb1ELb0EhNS0_19identity_decomposerEEEEE10hipError_tT0_T1_T2_jT3_P12ihipStream_tbPNSt15iterator_traitsISE_E10value_typeEPNSK_ISF_E10value_typeEPSG_NS1_7vsmem_tEENKUlT_SE_SF_SG_E_clIS8_S8_S9_S9_EESD_ST_SE_SF_SG_EUlST_E0_NS1_11comp_targetILNS1_3genE0ELNS1_11target_archE4294967295ELNS1_3gpuE0ELNS1_3repE0EEENS1_38merge_mergepath_config_static_selectorELNS0_4arch9wavefront6targetE1EEEvSF_, .Lfunc_end1675-_ZN7rocprim17ROCPRIM_400000_NS6detail17trampoline_kernelINS0_14default_configENS1_38merge_sort_block_merge_config_selectorIhNS0_10empty_typeEEEZZNS1_27merge_sort_block_merge_implIS3_PhPS5_jNS1_19radix_merge_compareILb1ELb0EhNS0_19identity_decomposerEEEEE10hipError_tT0_T1_T2_jT3_P12ihipStream_tbPNSt15iterator_traitsISE_E10value_typeEPNSK_ISF_E10value_typeEPSG_NS1_7vsmem_tEENKUlT_SE_SF_SG_E_clIS8_S8_S9_S9_EESD_ST_SE_SF_SG_EUlST_E0_NS1_11comp_targetILNS1_3genE0ELNS1_11target_archE4294967295ELNS1_3gpuE0ELNS1_3repE0EEENS1_38merge_mergepath_config_static_selectorELNS0_4arch9wavefront6targetE1EEEvSF_
                                        ; -- End function
	.section	.AMDGPU.csdata,"",@progbits
; Kernel info:
; codeLenInByte = 0
; NumSgprs: 4
; NumVgprs: 0
; NumAgprs: 0
; TotalNumVgprs: 0
; ScratchSize: 0
; MemoryBound: 0
; FloatMode: 240
; IeeeMode: 1
; LDSByteSize: 0 bytes/workgroup (compile time only)
; SGPRBlocks: 0
; VGPRBlocks: 0
; NumSGPRsForWavesPerEU: 4
; NumVGPRsForWavesPerEU: 1
; AccumOffset: 4
; Occupancy: 8
; WaveLimiterHint : 0
; COMPUTE_PGM_RSRC2:SCRATCH_EN: 0
; COMPUTE_PGM_RSRC2:USER_SGPR: 6
; COMPUTE_PGM_RSRC2:TRAP_HANDLER: 0
; COMPUTE_PGM_RSRC2:TGID_X_EN: 1
; COMPUTE_PGM_RSRC2:TGID_Y_EN: 0
; COMPUTE_PGM_RSRC2:TGID_Z_EN: 0
; COMPUTE_PGM_RSRC2:TIDIG_COMP_CNT: 0
; COMPUTE_PGM_RSRC3_GFX90A:ACCUM_OFFSET: 0
; COMPUTE_PGM_RSRC3_GFX90A:TG_SPLIT: 0
	.section	.text._ZN7rocprim17ROCPRIM_400000_NS6detail17trampoline_kernelINS0_14default_configENS1_38merge_sort_block_merge_config_selectorIhNS0_10empty_typeEEEZZNS1_27merge_sort_block_merge_implIS3_PhPS5_jNS1_19radix_merge_compareILb1ELb0EhNS0_19identity_decomposerEEEEE10hipError_tT0_T1_T2_jT3_P12ihipStream_tbPNSt15iterator_traitsISE_E10value_typeEPNSK_ISF_E10value_typeEPSG_NS1_7vsmem_tEENKUlT_SE_SF_SG_E_clIS8_S8_S9_S9_EESD_ST_SE_SF_SG_EUlST_E0_NS1_11comp_targetILNS1_3genE10ELNS1_11target_archE1201ELNS1_3gpuE5ELNS1_3repE0EEENS1_38merge_mergepath_config_static_selectorELNS0_4arch9wavefront6targetE1EEEvSF_,"axG",@progbits,_ZN7rocprim17ROCPRIM_400000_NS6detail17trampoline_kernelINS0_14default_configENS1_38merge_sort_block_merge_config_selectorIhNS0_10empty_typeEEEZZNS1_27merge_sort_block_merge_implIS3_PhPS5_jNS1_19radix_merge_compareILb1ELb0EhNS0_19identity_decomposerEEEEE10hipError_tT0_T1_T2_jT3_P12ihipStream_tbPNSt15iterator_traitsISE_E10value_typeEPNSK_ISF_E10value_typeEPSG_NS1_7vsmem_tEENKUlT_SE_SF_SG_E_clIS8_S8_S9_S9_EESD_ST_SE_SF_SG_EUlST_E0_NS1_11comp_targetILNS1_3genE10ELNS1_11target_archE1201ELNS1_3gpuE5ELNS1_3repE0EEENS1_38merge_mergepath_config_static_selectorELNS0_4arch9wavefront6targetE1EEEvSF_,comdat
	.protected	_ZN7rocprim17ROCPRIM_400000_NS6detail17trampoline_kernelINS0_14default_configENS1_38merge_sort_block_merge_config_selectorIhNS0_10empty_typeEEEZZNS1_27merge_sort_block_merge_implIS3_PhPS5_jNS1_19radix_merge_compareILb1ELb0EhNS0_19identity_decomposerEEEEE10hipError_tT0_T1_T2_jT3_P12ihipStream_tbPNSt15iterator_traitsISE_E10value_typeEPNSK_ISF_E10value_typeEPSG_NS1_7vsmem_tEENKUlT_SE_SF_SG_E_clIS8_S8_S9_S9_EESD_ST_SE_SF_SG_EUlST_E0_NS1_11comp_targetILNS1_3genE10ELNS1_11target_archE1201ELNS1_3gpuE5ELNS1_3repE0EEENS1_38merge_mergepath_config_static_selectorELNS0_4arch9wavefront6targetE1EEEvSF_ ; -- Begin function _ZN7rocprim17ROCPRIM_400000_NS6detail17trampoline_kernelINS0_14default_configENS1_38merge_sort_block_merge_config_selectorIhNS0_10empty_typeEEEZZNS1_27merge_sort_block_merge_implIS3_PhPS5_jNS1_19radix_merge_compareILb1ELb0EhNS0_19identity_decomposerEEEEE10hipError_tT0_T1_T2_jT3_P12ihipStream_tbPNSt15iterator_traitsISE_E10value_typeEPNSK_ISF_E10value_typeEPSG_NS1_7vsmem_tEENKUlT_SE_SF_SG_E_clIS8_S8_S9_S9_EESD_ST_SE_SF_SG_EUlST_E0_NS1_11comp_targetILNS1_3genE10ELNS1_11target_archE1201ELNS1_3gpuE5ELNS1_3repE0EEENS1_38merge_mergepath_config_static_selectorELNS0_4arch9wavefront6targetE1EEEvSF_
	.globl	_ZN7rocprim17ROCPRIM_400000_NS6detail17trampoline_kernelINS0_14default_configENS1_38merge_sort_block_merge_config_selectorIhNS0_10empty_typeEEEZZNS1_27merge_sort_block_merge_implIS3_PhPS5_jNS1_19radix_merge_compareILb1ELb0EhNS0_19identity_decomposerEEEEE10hipError_tT0_T1_T2_jT3_P12ihipStream_tbPNSt15iterator_traitsISE_E10value_typeEPNSK_ISF_E10value_typeEPSG_NS1_7vsmem_tEENKUlT_SE_SF_SG_E_clIS8_S8_S9_S9_EESD_ST_SE_SF_SG_EUlST_E0_NS1_11comp_targetILNS1_3genE10ELNS1_11target_archE1201ELNS1_3gpuE5ELNS1_3repE0EEENS1_38merge_mergepath_config_static_selectorELNS0_4arch9wavefront6targetE1EEEvSF_
	.p2align	8
	.type	_ZN7rocprim17ROCPRIM_400000_NS6detail17trampoline_kernelINS0_14default_configENS1_38merge_sort_block_merge_config_selectorIhNS0_10empty_typeEEEZZNS1_27merge_sort_block_merge_implIS3_PhPS5_jNS1_19radix_merge_compareILb1ELb0EhNS0_19identity_decomposerEEEEE10hipError_tT0_T1_T2_jT3_P12ihipStream_tbPNSt15iterator_traitsISE_E10value_typeEPNSK_ISF_E10value_typeEPSG_NS1_7vsmem_tEENKUlT_SE_SF_SG_E_clIS8_S8_S9_S9_EESD_ST_SE_SF_SG_EUlST_E0_NS1_11comp_targetILNS1_3genE10ELNS1_11target_archE1201ELNS1_3gpuE5ELNS1_3repE0EEENS1_38merge_mergepath_config_static_selectorELNS0_4arch9wavefront6targetE1EEEvSF_,@function
_ZN7rocprim17ROCPRIM_400000_NS6detail17trampoline_kernelINS0_14default_configENS1_38merge_sort_block_merge_config_selectorIhNS0_10empty_typeEEEZZNS1_27merge_sort_block_merge_implIS3_PhPS5_jNS1_19radix_merge_compareILb1ELb0EhNS0_19identity_decomposerEEEEE10hipError_tT0_T1_T2_jT3_P12ihipStream_tbPNSt15iterator_traitsISE_E10value_typeEPNSK_ISF_E10value_typeEPSG_NS1_7vsmem_tEENKUlT_SE_SF_SG_E_clIS8_S8_S9_S9_EESD_ST_SE_SF_SG_EUlST_E0_NS1_11comp_targetILNS1_3genE10ELNS1_11target_archE1201ELNS1_3gpuE5ELNS1_3repE0EEENS1_38merge_mergepath_config_static_selectorELNS0_4arch9wavefront6targetE1EEEvSF_: ; @_ZN7rocprim17ROCPRIM_400000_NS6detail17trampoline_kernelINS0_14default_configENS1_38merge_sort_block_merge_config_selectorIhNS0_10empty_typeEEEZZNS1_27merge_sort_block_merge_implIS3_PhPS5_jNS1_19radix_merge_compareILb1ELb0EhNS0_19identity_decomposerEEEEE10hipError_tT0_T1_T2_jT3_P12ihipStream_tbPNSt15iterator_traitsISE_E10value_typeEPNSK_ISF_E10value_typeEPSG_NS1_7vsmem_tEENKUlT_SE_SF_SG_E_clIS8_S8_S9_S9_EESD_ST_SE_SF_SG_EUlST_E0_NS1_11comp_targetILNS1_3genE10ELNS1_11target_archE1201ELNS1_3gpuE5ELNS1_3repE0EEENS1_38merge_mergepath_config_static_selectorELNS0_4arch9wavefront6targetE1EEEvSF_
; %bb.0:
	.section	.rodata,"a",@progbits
	.p2align	6, 0x0
	.amdhsa_kernel _ZN7rocprim17ROCPRIM_400000_NS6detail17trampoline_kernelINS0_14default_configENS1_38merge_sort_block_merge_config_selectorIhNS0_10empty_typeEEEZZNS1_27merge_sort_block_merge_implIS3_PhPS5_jNS1_19radix_merge_compareILb1ELb0EhNS0_19identity_decomposerEEEEE10hipError_tT0_T1_T2_jT3_P12ihipStream_tbPNSt15iterator_traitsISE_E10value_typeEPNSK_ISF_E10value_typeEPSG_NS1_7vsmem_tEENKUlT_SE_SF_SG_E_clIS8_S8_S9_S9_EESD_ST_SE_SF_SG_EUlST_E0_NS1_11comp_targetILNS1_3genE10ELNS1_11target_archE1201ELNS1_3gpuE5ELNS1_3repE0EEENS1_38merge_mergepath_config_static_selectorELNS0_4arch9wavefront6targetE1EEEvSF_
		.amdhsa_group_segment_fixed_size 0
		.amdhsa_private_segment_fixed_size 0
		.amdhsa_kernarg_size 64
		.amdhsa_user_sgpr_count 6
		.amdhsa_user_sgpr_private_segment_buffer 1
		.amdhsa_user_sgpr_dispatch_ptr 0
		.amdhsa_user_sgpr_queue_ptr 0
		.amdhsa_user_sgpr_kernarg_segment_ptr 1
		.amdhsa_user_sgpr_dispatch_id 0
		.amdhsa_user_sgpr_flat_scratch_init 0
		.amdhsa_user_sgpr_kernarg_preload_length 0
		.amdhsa_user_sgpr_kernarg_preload_offset 0
		.amdhsa_user_sgpr_private_segment_size 0
		.amdhsa_uses_dynamic_stack 0
		.amdhsa_system_sgpr_private_segment_wavefront_offset 0
		.amdhsa_system_sgpr_workgroup_id_x 1
		.amdhsa_system_sgpr_workgroup_id_y 0
		.amdhsa_system_sgpr_workgroup_id_z 0
		.amdhsa_system_sgpr_workgroup_info 0
		.amdhsa_system_vgpr_workitem_id 0
		.amdhsa_next_free_vgpr 1
		.amdhsa_next_free_sgpr 0
		.amdhsa_accum_offset 4
		.amdhsa_reserve_vcc 0
		.amdhsa_reserve_flat_scratch 0
		.amdhsa_float_round_mode_32 0
		.amdhsa_float_round_mode_16_64 0
		.amdhsa_float_denorm_mode_32 3
		.amdhsa_float_denorm_mode_16_64 3
		.amdhsa_dx10_clamp 1
		.amdhsa_ieee_mode 1
		.amdhsa_fp16_overflow 0
		.amdhsa_tg_split 0
		.amdhsa_exception_fp_ieee_invalid_op 0
		.amdhsa_exception_fp_denorm_src 0
		.amdhsa_exception_fp_ieee_div_zero 0
		.amdhsa_exception_fp_ieee_overflow 0
		.amdhsa_exception_fp_ieee_underflow 0
		.amdhsa_exception_fp_ieee_inexact 0
		.amdhsa_exception_int_div_zero 0
	.end_amdhsa_kernel
	.section	.text._ZN7rocprim17ROCPRIM_400000_NS6detail17trampoline_kernelINS0_14default_configENS1_38merge_sort_block_merge_config_selectorIhNS0_10empty_typeEEEZZNS1_27merge_sort_block_merge_implIS3_PhPS5_jNS1_19radix_merge_compareILb1ELb0EhNS0_19identity_decomposerEEEEE10hipError_tT0_T1_T2_jT3_P12ihipStream_tbPNSt15iterator_traitsISE_E10value_typeEPNSK_ISF_E10value_typeEPSG_NS1_7vsmem_tEENKUlT_SE_SF_SG_E_clIS8_S8_S9_S9_EESD_ST_SE_SF_SG_EUlST_E0_NS1_11comp_targetILNS1_3genE10ELNS1_11target_archE1201ELNS1_3gpuE5ELNS1_3repE0EEENS1_38merge_mergepath_config_static_selectorELNS0_4arch9wavefront6targetE1EEEvSF_,"axG",@progbits,_ZN7rocprim17ROCPRIM_400000_NS6detail17trampoline_kernelINS0_14default_configENS1_38merge_sort_block_merge_config_selectorIhNS0_10empty_typeEEEZZNS1_27merge_sort_block_merge_implIS3_PhPS5_jNS1_19radix_merge_compareILb1ELb0EhNS0_19identity_decomposerEEEEE10hipError_tT0_T1_T2_jT3_P12ihipStream_tbPNSt15iterator_traitsISE_E10value_typeEPNSK_ISF_E10value_typeEPSG_NS1_7vsmem_tEENKUlT_SE_SF_SG_E_clIS8_S8_S9_S9_EESD_ST_SE_SF_SG_EUlST_E0_NS1_11comp_targetILNS1_3genE10ELNS1_11target_archE1201ELNS1_3gpuE5ELNS1_3repE0EEENS1_38merge_mergepath_config_static_selectorELNS0_4arch9wavefront6targetE1EEEvSF_,comdat
.Lfunc_end1676:
	.size	_ZN7rocprim17ROCPRIM_400000_NS6detail17trampoline_kernelINS0_14default_configENS1_38merge_sort_block_merge_config_selectorIhNS0_10empty_typeEEEZZNS1_27merge_sort_block_merge_implIS3_PhPS5_jNS1_19radix_merge_compareILb1ELb0EhNS0_19identity_decomposerEEEEE10hipError_tT0_T1_T2_jT3_P12ihipStream_tbPNSt15iterator_traitsISE_E10value_typeEPNSK_ISF_E10value_typeEPSG_NS1_7vsmem_tEENKUlT_SE_SF_SG_E_clIS8_S8_S9_S9_EESD_ST_SE_SF_SG_EUlST_E0_NS1_11comp_targetILNS1_3genE10ELNS1_11target_archE1201ELNS1_3gpuE5ELNS1_3repE0EEENS1_38merge_mergepath_config_static_selectorELNS0_4arch9wavefront6targetE1EEEvSF_, .Lfunc_end1676-_ZN7rocprim17ROCPRIM_400000_NS6detail17trampoline_kernelINS0_14default_configENS1_38merge_sort_block_merge_config_selectorIhNS0_10empty_typeEEEZZNS1_27merge_sort_block_merge_implIS3_PhPS5_jNS1_19radix_merge_compareILb1ELb0EhNS0_19identity_decomposerEEEEE10hipError_tT0_T1_T2_jT3_P12ihipStream_tbPNSt15iterator_traitsISE_E10value_typeEPNSK_ISF_E10value_typeEPSG_NS1_7vsmem_tEENKUlT_SE_SF_SG_E_clIS8_S8_S9_S9_EESD_ST_SE_SF_SG_EUlST_E0_NS1_11comp_targetILNS1_3genE10ELNS1_11target_archE1201ELNS1_3gpuE5ELNS1_3repE0EEENS1_38merge_mergepath_config_static_selectorELNS0_4arch9wavefront6targetE1EEEvSF_
                                        ; -- End function
	.section	.AMDGPU.csdata,"",@progbits
; Kernel info:
; codeLenInByte = 0
; NumSgprs: 4
; NumVgprs: 0
; NumAgprs: 0
; TotalNumVgprs: 0
; ScratchSize: 0
; MemoryBound: 0
; FloatMode: 240
; IeeeMode: 1
; LDSByteSize: 0 bytes/workgroup (compile time only)
; SGPRBlocks: 0
; VGPRBlocks: 0
; NumSGPRsForWavesPerEU: 4
; NumVGPRsForWavesPerEU: 1
; AccumOffset: 4
; Occupancy: 8
; WaveLimiterHint : 0
; COMPUTE_PGM_RSRC2:SCRATCH_EN: 0
; COMPUTE_PGM_RSRC2:USER_SGPR: 6
; COMPUTE_PGM_RSRC2:TRAP_HANDLER: 0
; COMPUTE_PGM_RSRC2:TGID_X_EN: 1
; COMPUTE_PGM_RSRC2:TGID_Y_EN: 0
; COMPUTE_PGM_RSRC2:TGID_Z_EN: 0
; COMPUTE_PGM_RSRC2:TIDIG_COMP_CNT: 0
; COMPUTE_PGM_RSRC3_GFX90A:ACCUM_OFFSET: 0
; COMPUTE_PGM_RSRC3_GFX90A:TG_SPLIT: 0
	.section	.text._ZN7rocprim17ROCPRIM_400000_NS6detail17trampoline_kernelINS0_14default_configENS1_38merge_sort_block_merge_config_selectorIhNS0_10empty_typeEEEZZNS1_27merge_sort_block_merge_implIS3_PhPS5_jNS1_19radix_merge_compareILb1ELb0EhNS0_19identity_decomposerEEEEE10hipError_tT0_T1_T2_jT3_P12ihipStream_tbPNSt15iterator_traitsISE_E10value_typeEPNSK_ISF_E10value_typeEPSG_NS1_7vsmem_tEENKUlT_SE_SF_SG_E_clIS8_S8_S9_S9_EESD_ST_SE_SF_SG_EUlST_E0_NS1_11comp_targetILNS1_3genE5ELNS1_11target_archE942ELNS1_3gpuE9ELNS1_3repE0EEENS1_38merge_mergepath_config_static_selectorELNS0_4arch9wavefront6targetE1EEEvSF_,"axG",@progbits,_ZN7rocprim17ROCPRIM_400000_NS6detail17trampoline_kernelINS0_14default_configENS1_38merge_sort_block_merge_config_selectorIhNS0_10empty_typeEEEZZNS1_27merge_sort_block_merge_implIS3_PhPS5_jNS1_19radix_merge_compareILb1ELb0EhNS0_19identity_decomposerEEEEE10hipError_tT0_T1_T2_jT3_P12ihipStream_tbPNSt15iterator_traitsISE_E10value_typeEPNSK_ISF_E10value_typeEPSG_NS1_7vsmem_tEENKUlT_SE_SF_SG_E_clIS8_S8_S9_S9_EESD_ST_SE_SF_SG_EUlST_E0_NS1_11comp_targetILNS1_3genE5ELNS1_11target_archE942ELNS1_3gpuE9ELNS1_3repE0EEENS1_38merge_mergepath_config_static_selectorELNS0_4arch9wavefront6targetE1EEEvSF_,comdat
	.protected	_ZN7rocprim17ROCPRIM_400000_NS6detail17trampoline_kernelINS0_14default_configENS1_38merge_sort_block_merge_config_selectorIhNS0_10empty_typeEEEZZNS1_27merge_sort_block_merge_implIS3_PhPS5_jNS1_19radix_merge_compareILb1ELb0EhNS0_19identity_decomposerEEEEE10hipError_tT0_T1_T2_jT3_P12ihipStream_tbPNSt15iterator_traitsISE_E10value_typeEPNSK_ISF_E10value_typeEPSG_NS1_7vsmem_tEENKUlT_SE_SF_SG_E_clIS8_S8_S9_S9_EESD_ST_SE_SF_SG_EUlST_E0_NS1_11comp_targetILNS1_3genE5ELNS1_11target_archE942ELNS1_3gpuE9ELNS1_3repE0EEENS1_38merge_mergepath_config_static_selectorELNS0_4arch9wavefront6targetE1EEEvSF_ ; -- Begin function _ZN7rocprim17ROCPRIM_400000_NS6detail17trampoline_kernelINS0_14default_configENS1_38merge_sort_block_merge_config_selectorIhNS0_10empty_typeEEEZZNS1_27merge_sort_block_merge_implIS3_PhPS5_jNS1_19radix_merge_compareILb1ELb0EhNS0_19identity_decomposerEEEEE10hipError_tT0_T1_T2_jT3_P12ihipStream_tbPNSt15iterator_traitsISE_E10value_typeEPNSK_ISF_E10value_typeEPSG_NS1_7vsmem_tEENKUlT_SE_SF_SG_E_clIS8_S8_S9_S9_EESD_ST_SE_SF_SG_EUlST_E0_NS1_11comp_targetILNS1_3genE5ELNS1_11target_archE942ELNS1_3gpuE9ELNS1_3repE0EEENS1_38merge_mergepath_config_static_selectorELNS0_4arch9wavefront6targetE1EEEvSF_
	.globl	_ZN7rocprim17ROCPRIM_400000_NS6detail17trampoline_kernelINS0_14default_configENS1_38merge_sort_block_merge_config_selectorIhNS0_10empty_typeEEEZZNS1_27merge_sort_block_merge_implIS3_PhPS5_jNS1_19radix_merge_compareILb1ELb0EhNS0_19identity_decomposerEEEEE10hipError_tT0_T1_T2_jT3_P12ihipStream_tbPNSt15iterator_traitsISE_E10value_typeEPNSK_ISF_E10value_typeEPSG_NS1_7vsmem_tEENKUlT_SE_SF_SG_E_clIS8_S8_S9_S9_EESD_ST_SE_SF_SG_EUlST_E0_NS1_11comp_targetILNS1_3genE5ELNS1_11target_archE942ELNS1_3gpuE9ELNS1_3repE0EEENS1_38merge_mergepath_config_static_selectorELNS0_4arch9wavefront6targetE1EEEvSF_
	.p2align	8
	.type	_ZN7rocprim17ROCPRIM_400000_NS6detail17trampoline_kernelINS0_14default_configENS1_38merge_sort_block_merge_config_selectorIhNS0_10empty_typeEEEZZNS1_27merge_sort_block_merge_implIS3_PhPS5_jNS1_19radix_merge_compareILb1ELb0EhNS0_19identity_decomposerEEEEE10hipError_tT0_T1_T2_jT3_P12ihipStream_tbPNSt15iterator_traitsISE_E10value_typeEPNSK_ISF_E10value_typeEPSG_NS1_7vsmem_tEENKUlT_SE_SF_SG_E_clIS8_S8_S9_S9_EESD_ST_SE_SF_SG_EUlST_E0_NS1_11comp_targetILNS1_3genE5ELNS1_11target_archE942ELNS1_3gpuE9ELNS1_3repE0EEENS1_38merge_mergepath_config_static_selectorELNS0_4arch9wavefront6targetE1EEEvSF_,@function
_ZN7rocprim17ROCPRIM_400000_NS6detail17trampoline_kernelINS0_14default_configENS1_38merge_sort_block_merge_config_selectorIhNS0_10empty_typeEEEZZNS1_27merge_sort_block_merge_implIS3_PhPS5_jNS1_19radix_merge_compareILb1ELb0EhNS0_19identity_decomposerEEEEE10hipError_tT0_T1_T2_jT3_P12ihipStream_tbPNSt15iterator_traitsISE_E10value_typeEPNSK_ISF_E10value_typeEPSG_NS1_7vsmem_tEENKUlT_SE_SF_SG_E_clIS8_S8_S9_S9_EESD_ST_SE_SF_SG_EUlST_E0_NS1_11comp_targetILNS1_3genE5ELNS1_11target_archE942ELNS1_3gpuE9ELNS1_3repE0EEENS1_38merge_mergepath_config_static_selectorELNS0_4arch9wavefront6targetE1EEEvSF_: ; @_ZN7rocprim17ROCPRIM_400000_NS6detail17trampoline_kernelINS0_14default_configENS1_38merge_sort_block_merge_config_selectorIhNS0_10empty_typeEEEZZNS1_27merge_sort_block_merge_implIS3_PhPS5_jNS1_19radix_merge_compareILb1ELb0EhNS0_19identity_decomposerEEEEE10hipError_tT0_T1_T2_jT3_P12ihipStream_tbPNSt15iterator_traitsISE_E10value_typeEPNSK_ISF_E10value_typeEPSG_NS1_7vsmem_tEENKUlT_SE_SF_SG_E_clIS8_S8_S9_S9_EESD_ST_SE_SF_SG_EUlST_E0_NS1_11comp_targetILNS1_3genE5ELNS1_11target_archE942ELNS1_3gpuE9ELNS1_3repE0EEENS1_38merge_mergepath_config_static_selectorELNS0_4arch9wavefront6targetE1EEEvSF_
; %bb.0:
	.section	.rodata,"a",@progbits
	.p2align	6, 0x0
	.amdhsa_kernel _ZN7rocprim17ROCPRIM_400000_NS6detail17trampoline_kernelINS0_14default_configENS1_38merge_sort_block_merge_config_selectorIhNS0_10empty_typeEEEZZNS1_27merge_sort_block_merge_implIS3_PhPS5_jNS1_19radix_merge_compareILb1ELb0EhNS0_19identity_decomposerEEEEE10hipError_tT0_T1_T2_jT3_P12ihipStream_tbPNSt15iterator_traitsISE_E10value_typeEPNSK_ISF_E10value_typeEPSG_NS1_7vsmem_tEENKUlT_SE_SF_SG_E_clIS8_S8_S9_S9_EESD_ST_SE_SF_SG_EUlST_E0_NS1_11comp_targetILNS1_3genE5ELNS1_11target_archE942ELNS1_3gpuE9ELNS1_3repE0EEENS1_38merge_mergepath_config_static_selectorELNS0_4arch9wavefront6targetE1EEEvSF_
		.amdhsa_group_segment_fixed_size 0
		.amdhsa_private_segment_fixed_size 0
		.amdhsa_kernarg_size 64
		.amdhsa_user_sgpr_count 6
		.amdhsa_user_sgpr_private_segment_buffer 1
		.amdhsa_user_sgpr_dispatch_ptr 0
		.amdhsa_user_sgpr_queue_ptr 0
		.amdhsa_user_sgpr_kernarg_segment_ptr 1
		.amdhsa_user_sgpr_dispatch_id 0
		.amdhsa_user_sgpr_flat_scratch_init 0
		.amdhsa_user_sgpr_kernarg_preload_length 0
		.amdhsa_user_sgpr_kernarg_preload_offset 0
		.amdhsa_user_sgpr_private_segment_size 0
		.amdhsa_uses_dynamic_stack 0
		.amdhsa_system_sgpr_private_segment_wavefront_offset 0
		.amdhsa_system_sgpr_workgroup_id_x 1
		.amdhsa_system_sgpr_workgroup_id_y 0
		.amdhsa_system_sgpr_workgroup_id_z 0
		.amdhsa_system_sgpr_workgroup_info 0
		.amdhsa_system_vgpr_workitem_id 0
		.amdhsa_next_free_vgpr 1
		.amdhsa_next_free_sgpr 0
		.amdhsa_accum_offset 4
		.amdhsa_reserve_vcc 0
		.amdhsa_reserve_flat_scratch 0
		.amdhsa_float_round_mode_32 0
		.amdhsa_float_round_mode_16_64 0
		.amdhsa_float_denorm_mode_32 3
		.amdhsa_float_denorm_mode_16_64 3
		.amdhsa_dx10_clamp 1
		.amdhsa_ieee_mode 1
		.amdhsa_fp16_overflow 0
		.amdhsa_tg_split 0
		.amdhsa_exception_fp_ieee_invalid_op 0
		.amdhsa_exception_fp_denorm_src 0
		.amdhsa_exception_fp_ieee_div_zero 0
		.amdhsa_exception_fp_ieee_overflow 0
		.amdhsa_exception_fp_ieee_underflow 0
		.amdhsa_exception_fp_ieee_inexact 0
		.amdhsa_exception_int_div_zero 0
	.end_amdhsa_kernel
	.section	.text._ZN7rocprim17ROCPRIM_400000_NS6detail17trampoline_kernelINS0_14default_configENS1_38merge_sort_block_merge_config_selectorIhNS0_10empty_typeEEEZZNS1_27merge_sort_block_merge_implIS3_PhPS5_jNS1_19radix_merge_compareILb1ELb0EhNS0_19identity_decomposerEEEEE10hipError_tT0_T1_T2_jT3_P12ihipStream_tbPNSt15iterator_traitsISE_E10value_typeEPNSK_ISF_E10value_typeEPSG_NS1_7vsmem_tEENKUlT_SE_SF_SG_E_clIS8_S8_S9_S9_EESD_ST_SE_SF_SG_EUlST_E0_NS1_11comp_targetILNS1_3genE5ELNS1_11target_archE942ELNS1_3gpuE9ELNS1_3repE0EEENS1_38merge_mergepath_config_static_selectorELNS0_4arch9wavefront6targetE1EEEvSF_,"axG",@progbits,_ZN7rocprim17ROCPRIM_400000_NS6detail17trampoline_kernelINS0_14default_configENS1_38merge_sort_block_merge_config_selectorIhNS0_10empty_typeEEEZZNS1_27merge_sort_block_merge_implIS3_PhPS5_jNS1_19radix_merge_compareILb1ELb0EhNS0_19identity_decomposerEEEEE10hipError_tT0_T1_T2_jT3_P12ihipStream_tbPNSt15iterator_traitsISE_E10value_typeEPNSK_ISF_E10value_typeEPSG_NS1_7vsmem_tEENKUlT_SE_SF_SG_E_clIS8_S8_S9_S9_EESD_ST_SE_SF_SG_EUlST_E0_NS1_11comp_targetILNS1_3genE5ELNS1_11target_archE942ELNS1_3gpuE9ELNS1_3repE0EEENS1_38merge_mergepath_config_static_selectorELNS0_4arch9wavefront6targetE1EEEvSF_,comdat
.Lfunc_end1677:
	.size	_ZN7rocprim17ROCPRIM_400000_NS6detail17trampoline_kernelINS0_14default_configENS1_38merge_sort_block_merge_config_selectorIhNS0_10empty_typeEEEZZNS1_27merge_sort_block_merge_implIS3_PhPS5_jNS1_19radix_merge_compareILb1ELb0EhNS0_19identity_decomposerEEEEE10hipError_tT0_T1_T2_jT3_P12ihipStream_tbPNSt15iterator_traitsISE_E10value_typeEPNSK_ISF_E10value_typeEPSG_NS1_7vsmem_tEENKUlT_SE_SF_SG_E_clIS8_S8_S9_S9_EESD_ST_SE_SF_SG_EUlST_E0_NS1_11comp_targetILNS1_3genE5ELNS1_11target_archE942ELNS1_3gpuE9ELNS1_3repE0EEENS1_38merge_mergepath_config_static_selectorELNS0_4arch9wavefront6targetE1EEEvSF_, .Lfunc_end1677-_ZN7rocprim17ROCPRIM_400000_NS6detail17trampoline_kernelINS0_14default_configENS1_38merge_sort_block_merge_config_selectorIhNS0_10empty_typeEEEZZNS1_27merge_sort_block_merge_implIS3_PhPS5_jNS1_19radix_merge_compareILb1ELb0EhNS0_19identity_decomposerEEEEE10hipError_tT0_T1_T2_jT3_P12ihipStream_tbPNSt15iterator_traitsISE_E10value_typeEPNSK_ISF_E10value_typeEPSG_NS1_7vsmem_tEENKUlT_SE_SF_SG_E_clIS8_S8_S9_S9_EESD_ST_SE_SF_SG_EUlST_E0_NS1_11comp_targetILNS1_3genE5ELNS1_11target_archE942ELNS1_3gpuE9ELNS1_3repE0EEENS1_38merge_mergepath_config_static_selectorELNS0_4arch9wavefront6targetE1EEEvSF_
                                        ; -- End function
	.section	.AMDGPU.csdata,"",@progbits
; Kernel info:
; codeLenInByte = 0
; NumSgprs: 4
; NumVgprs: 0
; NumAgprs: 0
; TotalNumVgprs: 0
; ScratchSize: 0
; MemoryBound: 0
; FloatMode: 240
; IeeeMode: 1
; LDSByteSize: 0 bytes/workgroup (compile time only)
; SGPRBlocks: 0
; VGPRBlocks: 0
; NumSGPRsForWavesPerEU: 4
; NumVGPRsForWavesPerEU: 1
; AccumOffset: 4
; Occupancy: 8
; WaveLimiterHint : 0
; COMPUTE_PGM_RSRC2:SCRATCH_EN: 0
; COMPUTE_PGM_RSRC2:USER_SGPR: 6
; COMPUTE_PGM_RSRC2:TRAP_HANDLER: 0
; COMPUTE_PGM_RSRC2:TGID_X_EN: 1
; COMPUTE_PGM_RSRC2:TGID_Y_EN: 0
; COMPUTE_PGM_RSRC2:TGID_Z_EN: 0
; COMPUTE_PGM_RSRC2:TIDIG_COMP_CNT: 0
; COMPUTE_PGM_RSRC3_GFX90A:ACCUM_OFFSET: 0
; COMPUTE_PGM_RSRC3_GFX90A:TG_SPLIT: 0
	.section	.text._ZN7rocprim17ROCPRIM_400000_NS6detail17trampoline_kernelINS0_14default_configENS1_38merge_sort_block_merge_config_selectorIhNS0_10empty_typeEEEZZNS1_27merge_sort_block_merge_implIS3_PhPS5_jNS1_19radix_merge_compareILb1ELb0EhNS0_19identity_decomposerEEEEE10hipError_tT0_T1_T2_jT3_P12ihipStream_tbPNSt15iterator_traitsISE_E10value_typeEPNSK_ISF_E10value_typeEPSG_NS1_7vsmem_tEENKUlT_SE_SF_SG_E_clIS8_S8_S9_S9_EESD_ST_SE_SF_SG_EUlST_E0_NS1_11comp_targetILNS1_3genE4ELNS1_11target_archE910ELNS1_3gpuE8ELNS1_3repE0EEENS1_38merge_mergepath_config_static_selectorELNS0_4arch9wavefront6targetE1EEEvSF_,"axG",@progbits,_ZN7rocprim17ROCPRIM_400000_NS6detail17trampoline_kernelINS0_14default_configENS1_38merge_sort_block_merge_config_selectorIhNS0_10empty_typeEEEZZNS1_27merge_sort_block_merge_implIS3_PhPS5_jNS1_19radix_merge_compareILb1ELb0EhNS0_19identity_decomposerEEEEE10hipError_tT0_T1_T2_jT3_P12ihipStream_tbPNSt15iterator_traitsISE_E10value_typeEPNSK_ISF_E10value_typeEPSG_NS1_7vsmem_tEENKUlT_SE_SF_SG_E_clIS8_S8_S9_S9_EESD_ST_SE_SF_SG_EUlST_E0_NS1_11comp_targetILNS1_3genE4ELNS1_11target_archE910ELNS1_3gpuE8ELNS1_3repE0EEENS1_38merge_mergepath_config_static_selectorELNS0_4arch9wavefront6targetE1EEEvSF_,comdat
	.protected	_ZN7rocprim17ROCPRIM_400000_NS6detail17trampoline_kernelINS0_14default_configENS1_38merge_sort_block_merge_config_selectorIhNS0_10empty_typeEEEZZNS1_27merge_sort_block_merge_implIS3_PhPS5_jNS1_19radix_merge_compareILb1ELb0EhNS0_19identity_decomposerEEEEE10hipError_tT0_T1_T2_jT3_P12ihipStream_tbPNSt15iterator_traitsISE_E10value_typeEPNSK_ISF_E10value_typeEPSG_NS1_7vsmem_tEENKUlT_SE_SF_SG_E_clIS8_S8_S9_S9_EESD_ST_SE_SF_SG_EUlST_E0_NS1_11comp_targetILNS1_3genE4ELNS1_11target_archE910ELNS1_3gpuE8ELNS1_3repE0EEENS1_38merge_mergepath_config_static_selectorELNS0_4arch9wavefront6targetE1EEEvSF_ ; -- Begin function _ZN7rocprim17ROCPRIM_400000_NS6detail17trampoline_kernelINS0_14default_configENS1_38merge_sort_block_merge_config_selectorIhNS0_10empty_typeEEEZZNS1_27merge_sort_block_merge_implIS3_PhPS5_jNS1_19radix_merge_compareILb1ELb0EhNS0_19identity_decomposerEEEEE10hipError_tT0_T1_T2_jT3_P12ihipStream_tbPNSt15iterator_traitsISE_E10value_typeEPNSK_ISF_E10value_typeEPSG_NS1_7vsmem_tEENKUlT_SE_SF_SG_E_clIS8_S8_S9_S9_EESD_ST_SE_SF_SG_EUlST_E0_NS1_11comp_targetILNS1_3genE4ELNS1_11target_archE910ELNS1_3gpuE8ELNS1_3repE0EEENS1_38merge_mergepath_config_static_selectorELNS0_4arch9wavefront6targetE1EEEvSF_
	.globl	_ZN7rocprim17ROCPRIM_400000_NS6detail17trampoline_kernelINS0_14default_configENS1_38merge_sort_block_merge_config_selectorIhNS0_10empty_typeEEEZZNS1_27merge_sort_block_merge_implIS3_PhPS5_jNS1_19radix_merge_compareILb1ELb0EhNS0_19identity_decomposerEEEEE10hipError_tT0_T1_T2_jT3_P12ihipStream_tbPNSt15iterator_traitsISE_E10value_typeEPNSK_ISF_E10value_typeEPSG_NS1_7vsmem_tEENKUlT_SE_SF_SG_E_clIS8_S8_S9_S9_EESD_ST_SE_SF_SG_EUlST_E0_NS1_11comp_targetILNS1_3genE4ELNS1_11target_archE910ELNS1_3gpuE8ELNS1_3repE0EEENS1_38merge_mergepath_config_static_selectorELNS0_4arch9wavefront6targetE1EEEvSF_
	.p2align	8
	.type	_ZN7rocprim17ROCPRIM_400000_NS6detail17trampoline_kernelINS0_14default_configENS1_38merge_sort_block_merge_config_selectorIhNS0_10empty_typeEEEZZNS1_27merge_sort_block_merge_implIS3_PhPS5_jNS1_19radix_merge_compareILb1ELb0EhNS0_19identity_decomposerEEEEE10hipError_tT0_T1_T2_jT3_P12ihipStream_tbPNSt15iterator_traitsISE_E10value_typeEPNSK_ISF_E10value_typeEPSG_NS1_7vsmem_tEENKUlT_SE_SF_SG_E_clIS8_S8_S9_S9_EESD_ST_SE_SF_SG_EUlST_E0_NS1_11comp_targetILNS1_3genE4ELNS1_11target_archE910ELNS1_3gpuE8ELNS1_3repE0EEENS1_38merge_mergepath_config_static_selectorELNS0_4arch9wavefront6targetE1EEEvSF_,@function
_ZN7rocprim17ROCPRIM_400000_NS6detail17trampoline_kernelINS0_14default_configENS1_38merge_sort_block_merge_config_selectorIhNS0_10empty_typeEEEZZNS1_27merge_sort_block_merge_implIS3_PhPS5_jNS1_19radix_merge_compareILb1ELb0EhNS0_19identity_decomposerEEEEE10hipError_tT0_T1_T2_jT3_P12ihipStream_tbPNSt15iterator_traitsISE_E10value_typeEPNSK_ISF_E10value_typeEPSG_NS1_7vsmem_tEENKUlT_SE_SF_SG_E_clIS8_S8_S9_S9_EESD_ST_SE_SF_SG_EUlST_E0_NS1_11comp_targetILNS1_3genE4ELNS1_11target_archE910ELNS1_3gpuE8ELNS1_3repE0EEENS1_38merge_mergepath_config_static_selectorELNS0_4arch9wavefront6targetE1EEEvSF_: ; @_ZN7rocprim17ROCPRIM_400000_NS6detail17trampoline_kernelINS0_14default_configENS1_38merge_sort_block_merge_config_selectorIhNS0_10empty_typeEEEZZNS1_27merge_sort_block_merge_implIS3_PhPS5_jNS1_19radix_merge_compareILb1ELb0EhNS0_19identity_decomposerEEEEE10hipError_tT0_T1_T2_jT3_P12ihipStream_tbPNSt15iterator_traitsISE_E10value_typeEPNSK_ISF_E10value_typeEPSG_NS1_7vsmem_tEENKUlT_SE_SF_SG_E_clIS8_S8_S9_S9_EESD_ST_SE_SF_SG_EUlST_E0_NS1_11comp_targetILNS1_3genE4ELNS1_11target_archE910ELNS1_3gpuE8ELNS1_3repE0EEENS1_38merge_mergepath_config_static_selectorELNS0_4arch9wavefront6targetE1EEEvSF_
; %bb.0:
	s_load_dwordx2 s[10:11], s[4:5], 0x40
	s_load_dword s1, s[4:5], 0x30
	s_add_u32 s2, s4, 64
	s_addc_u32 s3, s5, 0
	s_waitcnt lgkmcnt(0)
	s_mul_i32 s0, s11, s8
	s_add_i32 s0, s0, s7
	s_mul_i32 s0, s0, s10
	s_add_i32 s0, s0, s6
	s_cmp_ge_u32 s0, s1
	s_cbranch_scc1 .LBB1678_51
; %bb.1:
	s_load_dwordx2 s[12:13], s[4:5], 0x28
	s_load_dwordx2 s[8:9], s[4:5], 0x38
	;; [unrolled: 1-line block ×3, first 2 shown]
	s_mov_b32 s1, 0
	v_mov_b32_e32 v1, 0
	s_waitcnt lgkmcnt(0)
	s_lshr_b32 s21, s12, 10
	s_cmp_lg_u32 s0, s21
	s_cselect_b64 s[14:15], -1, 0
	s_lshl_b64 s[18:19], s[0:1], 2
	s_add_u32 s8, s8, s18
	s_addc_u32 s9, s9, s19
	s_lshr_b32 s1, s13, 9
	s_and_b32 s1, s1, 0x7ffffe
	s_load_dwordx2 s[8:9], s[8:9], 0x0
	s_sub_i32 s1, 0, s1
	s_and_b32 s7, s0, s1
	s_lshl_b32 s11, s7, 10
	s_lshl_b32 s20, s0, 10
	;; [unrolled: 1-line block ×3, first 2 shown]
	s_sub_i32 s18, s20, s11
	s_add_i32 s7, s7, s13
	s_add_i32 s18, s7, s18
	s_waitcnt lgkmcnt(0)
	s_sub_i32 s19, s18, s8
	s_sub_i32 s18, s18, s9
	;; [unrolled: 1-line block ×3, first 2 shown]
	s_min_u32 s19, s12, s19
	s_addk_i32 s18, 0x400
	s_or_b32 s1, s0, s1
	s_min_u32 s11, s12, s7
	s_add_i32 s7, s7, s13
	s_cmp_eq_u32 s1, -1
	s_cselect_b32 s1, s7, s18
	s_cselect_b32 s7, s11, s9
	s_min_u32 s1, s1, s12
	s_sub_i32 s13, s7, s8
	s_sub_i32 s7, s1, s19
	s_add_u32 s11, s16, s8
	s_addc_u32 s18, s17, 0
	s_add_u32 s8, s16, s19
	s_addc_u32 s9, s17, 0
	s_cmp_lt_u32 s6, s10
	s_cselect_b32 s1, 12, 18
	global_load_dword v2, v1, s[2:3] offset:14
	s_add_u32 s2, s2, s1
	s_addc_u32 s3, s3, 0
	global_load_ushort v1, v1, s[2:3]
	s_cmp_eq_u32 s0, s21
	s_waitcnt vmcnt(1)
	v_lshrrev_b32_e32 v3, 16, v2
	v_and_b32_e32 v2, 0xffff, v2
	v_mul_lo_u32 v2, v2, v3
	s_waitcnt vmcnt(0)
	v_mul_lo_u32 v4, v2, v1
	v_add_u32_e32 v10, v4, v0
	v_add_u32_e32 v8, v10, v4
	s_cbranch_scc1 .LBB1678_3
; %bb.2:
	v_mov_b32_e32 v1, s18
	v_add_co_u32_e32 v2, vcc, s11, v0
	v_addc_co_u32_e32 v1, vcc, 0, v1, vcc
	v_subrev_u32_e32 v3, s13, v0
	v_mov_b32_e32 v5, s9
	v_add_co_u32_e32 v3, vcc, s8, v3
	v_addc_co_u32_e32 v5, vcc, 0, v5, vcc
	v_cmp_gt_u32_e32 vcc, s13, v0
	v_cndmask_b32_e32 v13, v5, v1, vcc
	v_cndmask_b32_e32 v12, v3, v2, vcc
	v_mov_b32_e32 v1, s18
	v_add_co_u32_e32 v2, vcc, s11, v10
	v_addc_co_u32_e32 v1, vcc, 0, v1, vcc
	v_subrev_u32_e32 v3, s13, v10
	v_mov_b32_e32 v5, s9
	v_add_co_u32_e32 v3, vcc, s8, v3
	v_addc_co_u32_e32 v5, vcc, 0, v5, vcc
	v_cmp_gt_u32_e32 vcc, s13, v10
	v_cndmask_b32_e32 v15, v5, v1, vcc
	v_cndmask_b32_e32 v14, v3, v2, vcc
	v_mov_b32_e32 v1, s18
	v_add_co_u32_e32 v2, vcc, s11, v8
	v_addc_co_u32_e32 v1, vcc, 0, v1, vcc
	v_subrev_u32_e32 v3, s13, v8
	v_mov_b32_e32 v5, s9
	v_add_co_u32_e32 v3, vcc, s8, v3
	v_addc_co_u32_e32 v5, vcc, 0, v5, vcc
	v_cmp_gt_u32_e32 vcc, s13, v8
	v_cndmask_b32_e32 v17, v5, v1, vcc
	v_add_u32_e32 v1, v8, v4
	v_cndmask_b32_e32 v16, v3, v2, vcc
	v_mov_b32_e32 v2, s18
	v_add_co_u32_e32 v3, vcc, s11, v1
	v_addc_co_u32_e32 v2, vcc, 0, v2, vcc
	v_subrev_u32_e32 v5, s13, v1
	v_mov_b32_e32 v6, s9
	v_add_co_u32_e32 v5, vcc, s8, v5
	v_addc_co_u32_e32 v6, vcc, 0, v6, vcc
	v_cmp_gt_u32_e32 vcc, s13, v1
	v_add_u32_e32 v1, v1, v4
	v_cndmask_b32_e32 v19, v6, v2, vcc
	v_cndmask_b32_e32 v18, v5, v3, vcc
	v_mov_b32_e32 v2, s18
	v_add_co_u32_e32 v3, vcc, s11, v1
	v_addc_co_u32_e32 v2, vcc, 0, v2, vcc
	v_subrev_u32_e32 v5, s13, v1
	v_mov_b32_e32 v6, s9
	v_add_co_u32_e32 v5, vcc, s8, v5
	v_addc_co_u32_e32 v6, vcc, 0, v6, vcc
	v_cmp_gt_u32_e32 vcc, s13, v1
	v_add_u32_e32 v1, v1, v4
	v_cndmask_b32_e32 v21, v6, v2, vcc
	;; [unrolled: 11-line block ×4, first 2 shown]
	v_cndmask_b32_e32 v24, v5, v3, vcc
	v_mov_b32_e32 v2, s18
	v_add_co_u32_e32 v3, vcc, s11, v1
	v_addc_co_u32_e32 v2, vcc, 0, v2, vcc
	v_subrev_u32_e32 v5, s13, v1
	v_mov_b32_e32 v6, s9
	v_add_co_u32_e32 v5, vcc, s8, v5
	v_addc_co_u32_e32 v6, vcc, 0, v6, vcc
	v_cmp_gt_u32_e32 vcc, s13, v1
	v_cndmask_b32_e32 v27, v6, v2, vcc
	v_cndmask_b32_e32 v26, v5, v3, vcc
	global_load_ubyte v1, v[12:13], off
	global_load_ubyte v2, v[14:15], off
	;; [unrolled: 1-line block ×8, first 2 shown]
	s_add_i32 s21, s7, s13
	s_load_dwordx2 s[16:17], s[4:5], 0x10
	s_cbranch_execz .LBB1678_4
	s_branch .LBB1678_21
.LBB1678_3:
                                        ; implicit-def: $vgpr1
                                        ; implicit-def: $vgpr2
                                        ; implicit-def: $vgpr3
                                        ; implicit-def: $vgpr5
                                        ; implicit-def: $vgpr6
                                        ; implicit-def: $vgpr7
                                        ; implicit-def: $vgpr9
                                        ; implicit-def: $vgpr11
                                        ; implicit-def: $sgpr21
	s_load_dwordx2 s[16:17], s[4:5], 0x10
.LBB1678_4:
	s_add_i32 s21, s7, s13
	v_cmp_gt_u32_e32 vcc, s21, v0
                                        ; implicit-def: $vgpr1
	s_and_saveexec_b64 s[0:1], vcc
	s_cbranch_execz .LBB1678_6
; %bb.5:
	s_waitcnt vmcnt(7)
	v_mov_b32_e32 v1, s18
	s_waitcnt vmcnt(6)
	v_add_co_u32_e32 v2, vcc, s11, v0
	v_addc_co_u32_e32 v1, vcc, 0, v1, vcc
	s_waitcnt vmcnt(5)
	v_subrev_u32_e32 v3, s13, v0
	s_waitcnt vmcnt(4)
	v_mov_b32_e32 v5, s9
	s_waitcnt vmcnt(3)
	v_add_co_u32_e32 v6, vcc, s8, v3
	v_addc_co_u32_e32 v3, vcc, 0, v5, vcc
	v_cmp_gt_u32_e32 vcc, s13, v0
	v_cndmask_b32_e32 v3, v3, v1, vcc
	v_cndmask_b32_e32 v2, v6, v2, vcc
	global_load_ubyte v1, v[2:3], off
.LBB1678_6:
	s_or_b64 exec, exec, s[0:1]
	v_cmp_gt_u32_e32 vcc, s21, v10
                                        ; implicit-def: $vgpr2
	s_and_saveexec_b64 s[0:1], vcc
	s_cbranch_execz .LBB1678_8
; %bb.7:
	s_waitcnt vmcnt(6)
	v_mov_b32_e32 v2, s18
	s_waitcnt vmcnt(4)
	v_add_co_u32_e32 v5, vcc, s11, v10
	v_addc_co_u32_e32 v2, vcc, 0, v2, vcc
	v_subrev_u32_e32 v3, s13, v10
	s_waitcnt vmcnt(3)
	v_mov_b32_e32 v6, s9
	s_waitcnt vmcnt(2)
	v_add_co_u32_e32 v7, vcc, s8, v3
	v_addc_co_u32_e32 v3, vcc, 0, v6, vcc
	v_cmp_gt_u32_e32 vcc, s13, v10
	v_cndmask_b32_e32 v3, v3, v2, vcc
	v_cndmask_b32_e32 v2, v7, v5, vcc
	global_load_ubyte v2, v[2:3], off
.LBB1678_8:
	s_or_b64 exec, exec, s[0:1]
	v_cmp_gt_u32_e32 vcc, s21, v8
                                        ; implicit-def: $vgpr3
	s_and_saveexec_b64 s[0:1], vcc
	s_cbranch_execz .LBB1678_10
; %bb.9:
	s_waitcnt vmcnt(5)
	v_mov_b32_e32 v3, s18
	s_waitcnt vmcnt(4)
	v_add_co_u32_e32 v5, vcc, s11, v8
	v_addc_co_u32_e32 v3, vcc, 0, v3, vcc
	s_waitcnt vmcnt(3)
	v_subrev_u32_e32 v6, s13, v8
	s_waitcnt vmcnt(2)
	v_mov_b32_e32 v7, s9
	v_add_co_u32_e32 v6, vcc, s8, v6
	v_addc_co_u32_e32 v7, vcc, 0, v7, vcc
	v_cmp_gt_u32_e32 vcc, s13, v8
	v_cndmask_b32_e32 v7, v7, v3, vcc
	v_cndmask_b32_e32 v6, v6, v5, vcc
	global_load_ubyte v3, v[6:7], off
.LBB1678_10:
	s_or_b64 exec, exec, s[0:1]
	s_waitcnt vmcnt(3)
	v_add_u32_e32 v6, v8, v4
	v_cmp_gt_u32_e32 vcc, s21, v6
                                        ; implicit-def: $vgpr5
	s_and_saveexec_b64 s[0:1], vcc
	s_cbranch_execz .LBB1678_12
; %bb.11:
	v_mov_b32_e32 v5, s18
	s_waitcnt vmcnt(2)
	v_add_co_u32_e32 v7, vcc, s11, v6
	v_addc_co_u32_e32 v5, vcc, 0, v5, vcc
	v_subrev_u32_e32 v8, s13, v6
	s_waitcnt vmcnt(1)
	v_mov_b32_e32 v9, s9
	v_add_co_u32_e32 v8, vcc, s8, v8
	v_addc_co_u32_e32 v9, vcc, 0, v9, vcc
	v_cmp_gt_u32_e32 vcc, s13, v6
	v_cndmask_b32_e32 v9, v9, v5, vcc
	v_cndmask_b32_e32 v8, v8, v7, vcc
	global_load_ubyte v5, v[8:9], off
.LBB1678_12:
	s_or_b64 exec, exec, s[0:1]
	s_waitcnt vmcnt(2)
	v_add_u32_e32 v7, v6, v4
	v_cmp_gt_u32_e32 vcc, s21, v7
                                        ; implicit-def: $vgpr6
	s_and_saveexec_b64 s[0:1], vcc
	s_cbranch_execz .LBB1678_14
; %bb.13:
	v_mov_b32_e32 v6, s18
	v_add_co_u32_e32 v8, vcc, s11, v7
	v_addc_co_u32_e32 v6, vcc, 0, v6, vcc
	s_waitcnt vmcnt(1)
	v_subrev_u32_e32 v9, s13, v7
	v_mov_b32_e32 v10, s9
	s_waitcnt vmcnt(0)
	v_add_co_u32_e32 v11, vcc, s8, v9
	v_addc_co_u32_e32 v9, vcc, 0, v10, vcc
	v_cmp_gt_u32_e32 vcc, s13, v7
	v_cndmask_b32_e32 v9, v9, v6, vcc
	v_cndmask_b32_e32 v8, v11, v8, vcc
	global_load_ubyte v6, v[8:9], off
.LBB1678_14:
	s_or_b64 exec, exec, s[0:1]
	v_add_u32_e32 v8, v7, v4
	v_cmp_gt_u32_e32 vcc, s21, v8
                                        ; implicit-def: $vgpr7
	s_and_saveexec_b64 s[0:1], vcc
	s_cbranch_execz .LBB1678_16
; %bb.15:
	v_mov_b32_e32 v7, s18
	s_waitcnt vmcnt(1)
	v_add_co_u32_e32 v9, vcc, s11, v8
	v_addc_co_u32_e32 v7, vcc, 0, v7, vcc
	v_subrev_u32_e32 v10, s13, v8
	s_waitcnt vmcnt(0)
	v_mov_b32_e32 v11, s9
	v_add_co_u32_e32 v10, vcc, s8, v10
	v_addc_co_u32_e32 v11, vcc, 0, v11, vcc
	v_cmp_gt_u32_e32 vcc, s13, v8
	v_cndmask_b32_e32 v11, v11, v7, vcc
	v_cndmask_b32_e32 v10, v10, v9, vcc
	global_load_ubyte v7, v[10:11], off
.LBB1678_16:
	s_or_b64 exec, exec, s[0:1]
	v_add_u32_e32 v8, v8, v4
	v_cmp_gt_u32_e32 vcc, s21, v8
                                        ; implicit-def: $vgpr9
	s_and_saveexec_b64 s[0:1], vcc
	s_cbranch_execz .LBB1678_18
; %bb.17:
	s_waitcnt vmcnt(1)
	v_mov_b32_e32 v9, s18
	v_add_co_u32_e32 v10, vcc, s11, v8
	v_addc_co_u32_e32 v9, vcc, 0, v9, vcc
	s_waitcnt vmcnt(0)
	v_subrev_u32_e32 v11, s13, v8
	v_mov_b32_e32 v12, s9
	v_add_co_u32_e32 v13, vcc, s8, v11
	v_addc_co_u32_e32 v11, vcc, 0, v12, vcc
	v_cmp_gt_u32_e32 vcc, s13, v8
	v_cndmask_b32_e32 v11, v11, v9, vcc
	v_cndmask_b32_e32 v10, v13, v10, vcc
	global_load_ubyte v9, v[10:11], off
.LBB1678_18:
	s_or_b64 exec, exec, s[0:1]
	v_add_u32_e32 v4, v8, v4
	v_cmp_gt_u32_e32 vcc, s21, v4
                                        ; implicit-def: $vgpr11
	s_and_saveexec_b64 s[0:1], vcc
	s_cbranch_execz .LBB1678_20
; %bb.19:
	v_mov_b32_e32 v8, s18
	v_add_co_u32_e32 v10, vcc, s11, v4
	v_addc_co_u32_e32 v8, vcc, 0, v8, vcc
	s_waitcnt vmcnt(0)
	v_subrev_u32_e32 v11, s13, v4
	v_mov_b32_e32 v12, s9
	v_add_co_u32_e32 v13, vcc, s8, v11
	v_addc_co_u32_e32 v11, vcc, 0, v12, vcc
	v_cmp_gt_u32_e32 vcc, s13, v4
	v_cndmask_b32_e32 v11, v11, v8, vcc
	v_cndmask_b32_e32 v10, v13, v10, vcc
	global_load_ubyte v11, v[10:11], off
.LBB1678_20:
	s_or_b64 exec, exec, s[0:1]
.LBB1678_21:
	v_lshlrev_b32_e32 v4, 3, v0
	v_min_u32_e32 v10, s21, v4
	v_sub_u32_e64 v8, v10, s7 clamp
	v_min_u32_e32 v12, s13, v10
	v_cmp_lt_u32_e32 vcc, v8, v12
	s_waitcnt vmcnt(0)
	ds_write_b8 v0, v1
	ds_write_b8 v0, v2 offset:128
	ds_write_b8 v0, v3 offset:256
	;; [unrolled: 1-line block ×7, first 2 shown]
	s_waitcnt lgkmcnt(0)
	s_barrier
	s_and_saveexec_b64 s[0:1], vcc
	s_cbranch_execz .LBB1678_25
; %bb.22:
	v_add_u32_e32 v13, s13, v10
	s_mov_b64 s[2:3], 0
.LBB1678_23:                            ; =>This Inner Loop Header: Depth=1
	v_add_u32_e32 v14, v12, v8
	v_lshrrev_b32_e32 v14, 1, v14
	v_xad_u32 v15, v14, -1, v13
	ds_read_u8 v16, v14
	ds_read_u8 v15, v15
	v_add_u32_e32 v17, 1, v14
	s_waitcnt lgkmcnt(0)
	v_cmp_gt_u16_e32 vcc, v15, v16
	v_cndmask_b32_e32 v12, v12, v14, vcc
	v_cndmask_b32_e32 v8, v17, v8, vcc
	v_cmp_ge_u32_e32 vcc, v8, v12
	s_or_b64 s[2:3], vcc, s[2:3]
	s_andn2_b64 exec, exec, s[2:3]
	s_cbranch_execnz .LBB1678_23
; %bb.24:
	s_or_b64 exec, exec, s[2:3]
.LBB1678_25:
	s_or_b64 exec, exec, s[0:1]
	v_sub_u32_e32 v10, v10, v8
	v_add_u32_e32 v10, s13, v10
	v_cmp_ge_u32_e32 vcc, s13, v8
	v_cmp_ge_u32_e64 s[0:1], s21, v10
	s_or_b64 s[0:1], vcc, s[0:1]
	s_and_saveexec_b64 s[18:19], s[0:1]
	s_cbranch_execz .LBB1678_31
; %bb.26:
	v_cmp_gt_u32_e32 vcc, s13, v8
                                        ; implicit-def: $vgpr1
	s_and_saveexec_b64 s[0:1], vcc
	s_cbranch_execz .LBB1678_28
; %bb.27:
	ds_read_u8 v1, v8
.LBB1678_28:
	s_or_b64 exec, exec, s[0:1]
	v_cmp_le_u32_e64 s[0:1], s21, v10
	v_cmp_gt_u32_e64 s[2:3], s21, v10
                                        ; implicit-def: $vgpr2
	s_and_saveexec_b64 s[4:5], s[2:3]
	s_cbranch_execz .LBB1678_30
; %bb.29:
	ds_read_u8 v2, v10
.LBB1678_30:
	s_or_b64 exec, exec, s[4:5]
	s_waitcnt lgkmcnt(0)
	v_cmp_le_u16_sdwa s[2:3], v2, v1 src0_sel:BYTE_0 src1_sel:BYTE_0
	s_and_b64 s[2:3], vcc, s[2:3]
	s_or_b64 vcc, s[0:1], s[2:3]
	v_mov_b32_e32 v5, s21
	v_mov_b32_e32 v6, s13
	v_cndmask_b32_e32 v3, v10, v8, vcc
	v_cndmask_b32_e32 v7, v5, v6, vcc
	v_add_u32_e32 v3, 1, v3
	v_add_u32_e32 v7, -1, v7
	v_min_u32_e32 v7, v3, v7
	ds_read_u8 v7, v7
	v_cndmask_b32_e32 v10, v3, v10, vcc
	v_cndmask_b32_e32 v3, v8, v3, vcc
	v_cmp_gt_u32_e64 s[2:3], s13, v3
	v_cmp_le_u32_e64 s[0:1], s21, v10
	s_waitcnt lgkmcnt(0)
	v_cndmask_b32_e32 v9, v7, v2, vcc
	v_cndmask_b32_e32 v7, v1, v7, vcc
	v_cmp_le_u16_sdwa s[4:5], v9, v7 src0_sel:BYTE_0 src1_sel:BYTE_0
	s_and_b64 s[2:3], s[2:3], s[4:5]
	s_or_b64 s[0:1], s[0:1], s[2:3]
	v_cndmask_b32_e64 v8, v10, v3, s[0:1]
	v_cndmask_b32_e64 v11, v5, v6, s[0:1]
	v_add_u32_e32 v8, 1, v8
	v_add_u32_e32 v11, -1, v11
	v_min_u32_e32 v11, v8, v11
	ds_read_u8 v11, v11
	v_cndmask_b32_e64 v3, v3, v8, s[0:1]
	v_cndmask_b32_e64 v10, v8, v10, s[0:1]
	v_cmp_gt_u32_e64 s[4:5], s13, v3
	v_cmp_le_u32_e64 s[2:3], s21, v10
	s_waitcnt lgkmcnt(0)
	v_cndmask_b32_e64 v12, v11, v9, s[0:1]
	v_cndmask_b32_e64 v11, v7, v11, s[0:1]
	v_cmp_le_u16_sdwa s[6:7], v12, v11 src0_sel:BYTE_0 src1_sel:BYTE_0
	s_and_b64 s[4:5], s[4:5], s[6:7]
	s_or_b64 s[2:3], s[2:3], s[4:5]
	v_cndmask_b32_e64 v8, v10, v3, s[2:3]
	v_cndmask_b32_e64 v13, v5, v6, s[2:3]
	v_add_u32_e32 v8, 1, v8
	v_add_u32_e32 v13, -1, v13
	v_min_u32_e32 v13, v8, v13
	ds_read_u8 v13, v13
	v_cndmask_b32_e64 v3, v3, v8, s[2:3]
	v_cndmask_b32_e64 v10, v8, v10, s[2:3]
	v_cmp_gt_u32_e64 s[6:7], s13, v3
	v_cmp_le_u32_e64 s[4:5], s21, v10
	s_waitcnt lgkmcnt(0)
	v_cndmask_b32_e64 v14, v13, v12, s[2:3]
	v_cndmask_b32_e64 v13, v11, v13, s[2:3]
	;; [unrolled: 16-line block ×4, first 2 shown]
	v_cmp_le_u16_sdwa s[22:23], v18, v17 src0_sel:BYTE_0 src1_sel:BYTE_0
	s_and_b64 s[10:11], s[10:11], s[22:23]
	s_or_b64 s[8:9], s[8:9], s[10:11]
	v_cndmask_b32_e64 v3, v10, v8, s[8:9]
	v_cndmask_b32_e64 v19, v5, v6, s[8:9]
	v_add_u32_e32 v20, 1, v3
	v_add_u32_e32 v3, -1, v19
	v_min_u32_e32 v3, v20, v3
	ds_read_u8 v19, v3
	v_cndmask_b32_e64 v3, v12, v11, s[2:3]
	v_cndmask_b32_e64 v8, v8, v20, s[8:9]
	v_cndmask_b32_e32 v1, v2, v1, vcc
	v_cndmask_b32_e64 v2, v9, v7, s[0:1]
	s_waitcnt lgkmcnt(0)
	v_cndmask_b32_e64 v11, v19, v18, s[8:9]
	v_cndmask_b32_e64 v12, v17, v19, s[8:9]
	;; [unrolled: 1-line block ×3, first 2 shown]
	v_cmp_gt_u32_e64 s[0:1], s13, v8
	v_cmp_le_u16_sdwa s[2:3], v11, v12 src0_sel:BYTE_0 src1_sel:BYTE_0
	v_cmp_le_u32_e32 vcc, s21, v10
	s_and_b64 s[0:1], s[0:1], s[2:3]
	s_or_b64 vcc, vcc, s[0:1]
	v_cndmask_b32_e32 v7, v10, v8, vcc
	v_cndmask_b32_e32 v5, v5, v6, vcc
	v_add_u32_e32 v19, 1, v7
	v_add_u32_e32 v5, -1, v5
	v_min_u32_e32 v5, v19, v5
	ds_read_u8 v20, v5
	v_cndmask_b32_e32 v9, v11, v12, vcc
	v_cndmask_b32_e32 v8, v8, v19, vcc
	;; [unrolled: 1-line block ×3, first 2 shown]
	v_cmp_gt_u32_e64 s[0:1], s13, v8
	s_waitcnt lgkmcnt(0)
	v_cndmask_b32_e32 v11, v20, v11, vcc
	v_cndmask_b32_e32 v12, v12, v20, vcc
	v_cmp_le_u16_sdwa s[2:3], v11, v12 src0_sel:BYTE_0 src1_sel:BYTE_0
	v_cmp_le_u32_e32 vcc, s21, v10
	s_and_b64 s[0:1], s[0:1], s[2:3]
	s_or_b64 vcc, vcc, s[0:1]
	v_cndmask_b32_e64 v5, v14, v13, s[4:5]
	v_cndmask_b32_e64 v6, v16, v15, s[6:7]
	;; [unrolled: 1-line block ×3, first 2 shown]
	v_cndmask_b32_e32 v11, v11, v12, vcc
.LBB1678_31:
	s_or_b64 exec, exec, s[18:19]
	v_lshlrev_b16_e32 v7, 8, v7
	v_lshlrev_b16_e32 v2, 8, v2
	v_lshrrev_b32_e32 v8, 2, v0
	v_or_b32_sdwa v6, v6, v7 dst_sel:DWORD dst_unused:UNUSED_PAD src0_sel:BYTE_0 src1_sel:DWORD
	v_lshlrev_b16_e32 v7, 8, v11
	v_or_b32_sdwa v1, v1, v2 dst_sel:DWORD dst_unused:UNUSED_PAD src0_sel:BYTE_0 src1_sel:DWORD
	v_lshlrev_b16_e32 v2, 8, v5
	s_add_u32 s0, s16, s20
	v_and_b32_e32 v8, 28, v8
	v_or_b32_sdwa v7, v9, v7 dst_sel:WORD_1 dst_unused:UNUSED_PAD src0_sel:BYTE_0 src1_sel:DWORD
	v_or_b32_sdwa v2, v3, v2 dst_sel:WORD_1 dst_unused:UNUSED_PAD src0_sel:BYTE_0 src1_sel:DWORD
	s_addc_u32 s1, s17, 0
	v_add_u32_e32 v4, v8, v4
	v_or_b32_sdwa v6, v6, v7 dst_sel:DWORD dst_unused:UNUSED_PAD src0_sel:WORD_0 src1_sel:DWORD
	v_or_b32_sdwa v1, v1, v2 dst_sel:DWORD dst_unused:UNUSED_PAD src0_sel:WORD_0 src1_sel:DWORD
	s_barrier
	s_barrier
	ds_write2_b32 v4, v1, v6 offset1:1
	v_mov_b32_e32 v1, s1
	v_add_co_u32_e32 v2, vcc, s0, v0
	v_addc_co_u32_e32 v3, vcc, 0, v1, vcc
	s_and_b64 vcc, exec, s[14:15]
	v_add_u32_e32 v4, 4, v0
	v_add_u32_e32 v5, 8, v0
	;; [unrolled: 1-line block ×7, first 2 shown]
	s_waitcnt lgkmcnt(0)
	s_cbranch_vccz .LBB1678_33
; %bb.32:
	s_barrier
	ds_read_u8 v11, v0
	ds_read_u8 v12, v4 offset:128
	ds_read_u8 v13, v5 offset:256
	ds_read_u8 v14, v6 offset:384
	ds_read_u8 v15, v7 offset:512
	ds_read_u8 v16, v8 offset:640
	ds_read_u8 v17, v9 offset:768
	ds_read_u8 v1, v10 offset:896
	s_waitcnt lgkmcnt(7)
	global_store_byte v[2:3], v11, off
	s_waitcnt lgkmcnt(6)
	global_store_byte v[2:3], v12, off offset:128
	s_waitcnt lgkmcnt(5)
	global_store_byte v[2:3], v13, off offset:256
	;; [unrolled: 2-line block ×6, first 2 shown]
	s_mov_b64 s[0:1], -1
	s_cbranch_execz .LBB1678_34
	s_branch .LBB1678_49
.LBB1678_33:
	s_mov_b64 s[0:1], 0
                                        ; implicit-def: $vgpr1
.LBB1678_34:
	s_barrier
	s_waitcnt lgkmcnt(0)
	ds_read_u8 v13, v4 offset:128
	ds_read_u8 v12, v5 offset:256
	;; [unrolled: 1-line block ×7, first 2 shown]
	s_sub_i32 s2, s12, s20
	v_or_b32_e32 v7, 0x80, v0
	v_cmp_gt_u32_e32 vcc, s2, v0
	s_and_saveexec_b64 s[0:1], vcc
	s_cbranch_execz .LBB1678_36
; %bb.35:
	ds_read_u8 v8, v0
	s_waitcnt lgkmcnt(0)
	global_store_byte v[2:3], v8, off
.LBB1678_36:
	s_or_b64 exec, exec, s[0:1]
	v_or_b32_e32 v8, 0x100, v0
	v_cmp_gt_u32_e32 vcc, s2, v7
	s_and_saveexec_b64 s[0:1], vcc
	s_cbranch_execz .LBB1678_38
; %bb.37:
	s_waitcnt lgkmcnt(6)
	global_store_byte v[2:3], v13, off offset:128
.LBB1678_38:
	s_or_b64 exec, exec, s[0:1]
	v_or_b32_e32 v7, 0x180, v0
	v_cmp_gt_u32_e32 vcc, s2, v8
	s_and_saveexec_b64 s[0:1], vcc
	s_cbranch_execz .LBB1678_40
; %bb.39:
	s_waitcnt lgkmcnt(5)
	global_store_byte v[2:3], v12, off offset:256
.LBB1678_40:
	s_or_b64 exec, exec, s[0:1]
	v_or_b32_e32 v8, 0x200, v0
	v_cmp_gt_u32_e32 vcc, s2, v7
	s_and_saveexec_b64 s[0:1], vcc
	s_cbranch_execz .LBB1678_42
; %bb.41:
	s_waitcnt lgkmcnt(4)
	global_store_byte v[2:3], v11, off offset:384
.LBB1678_42:
	s_or_b64 exec, exec, s[0:1]
	v_or_b32_e32 v7, 0x280, v0
	v_cmp_gt_u32_e32 vcc, s2, v8
	s_and_saveexec_b64 s[0:1], vcc
	s_cbranch_execz .LBB1678_44
; %bb.43:
	s_waitcnt lgkmcnt(3)
	global_store_byte v[2:3], v6, off offset:512
.LBB1678_44:
	s_or_b64 exec, exec, s[0:1]
	s_waitcnt lgkmcnt(3)
	v_or_b32_e32 v6, 0x300, v0
	v_cmp_gt_u32_e32 vcc, s2, v7
	s_and_saveexec_b64 s[0:1], vcc
	s_cbranch_execz .LBB1678_46
; %bb.45:
	s_waitcnt lgkmcnt(2)
	global_store_byte v[2:3], v5, off offset:640
.LBB1678_46:
	s_or_b64 exec, exec, s[0:1]
	v_or_b32_e32 v0, 0x380, v0
	v_cmp_gt_u32_e32 vcc, s2, v6
	s_and_saveexec_b64 s[0:1], vcc
	s_cbranch_execz .LBB1678_48
; %bb.47:
	s_waitcnt lgkmcnt(1)
	global_store_byte v[2:3], v4, off offset:768
.LBB1678_48:
	s_or_b64 exec, exec, s[0:1]
	v_cmp_gt_u32_e64 s[0:1], s2, v0
.LBB1678_49:
	s_and_saveexec_b64 s[2:3], s[0:1]
	s_cbranch_execz .LBB1678_51
; %bb.50:
	s_waitcnt lgkmcnt(0)
	global_store_byte v[2:3], v1, off offset:896
.LBB1678_51:
	s_endpgm
	.section	.rodata,"a",@progbits
	.p2align	6, 0x0
	.amdhsa_kernel _ZN7rocprim17ROCPRIM_400000_NS6detail17trampoline_kernelINS0_14default_configENS1_38merge_sort_block_merge_config_selectorIhNS0_10empty_typeEEEZZNS1_27merge_sort_block_merge_implIS3_PhPS5_jNS1_19radix_merge_compareILb1ELb0EhNS0_19identity_decomposerEEEEE10hipError_tT0_T1_T2_jT3_P12ihipStream_tbPNSt15iterator_traitsISE_E10value_typeEPNSK_ISF_E10value_typeEPSG_NS1_7vsmem_tEENKUlT_SE_SF_SG_E_clIS8_S8_S9_S9_EESD_ST_SE_SF_SG_EUlST_E0_NS1_11comp_targetILNS1_3genE4ELNS1_11target_archE910ELNS1_3gpuE8ELNS1_3repE0EEENS1_38merge_mergepath_config_static_selectorELNS0_4arch9wavefront6targetE1EEEvSF_
		.amdhsa_group_segment_fixed_size 1056
		.amdhsa_private_segment_fixed_size 0
		.amdhsa_kernarg_size 320
		.amdhsa_user_sgpr_count 6
		.amdhsa_user_sgpr_private_segment_buffer 1
		.amdhsa_user_sgpr_dispatch_ptr 0
		.amdhsa_user_sgpr_queue_ptr 0
		.amdhsa_user_sgpr_kernarg_segment_ptr 1
		.amdhsa_user_sgpr_dispatch_id 0
		.amdhsa_user_sgpr_flat_scratch_init 0
		.amdhsa_user_sgpr_kernarg_preload_length 0
		.amdhsa_user_sgpr_kernarg_preload_offset 0
		.amdhsa_user_sgpr_private_segment_size 0
		.amdhsa_uses_dynamic_stack 0
		.amdhsa_system_sgpr_private_segment_wavefront_offset 0
		.amdhsa_system_sgpr_workgroup_id_x 1
		.amdhsa_system_sgpr_workgroup_id_y 1
		.amdhsa_system_sgpr_workgroup_id_z 1
		.amdhsa_system_sgpr_workgroup_info 0
		.amdhsa_system_vgpr_workitem_id 0
		.amdhsa_next_free_vgpr 28
		.amdhsa_next_free_sgpr 24
		.amdhsa_accum_offset 28
		.amdhsa_reserve_vcc 1
		.amdhsa_reserve_flat_scratch 0
		.amdhsa_float_round_mode_32 0
		.amdhsa_float_round_mode_16_64 0
		.amdhsa_float_denorm_mode_32 3
		.amdhsa_float_denorm_mode_16_64 3
		.amdhsa_dx10_clamp 1
		.amdhsa_ieee_mode 1
		.amdhsa_fp16_overflow 0
		.amdhsa_tg_split 0
		.amdhsa_exception_fp_ieee_invalid_op 0
		.amdhsa_exception_fp_denorm_src 0
		.amdhsa_exception_fp_ieee_div_zero 0
		.amdhsa_exception_fp_ieee_overflow 0
		.amdhsa_exception_fp_ieee_underflow 0
		.amdhsa_exception_fp_ieee_inexact 0
		.amdhsa_exception_int_div_zero 0
	.end_amdhsa_kernel
	.section	.text._ZN7rocprim17ROCPRIM_400000_NS6detail17trampoline_kernelINS0_14default_configENS1_38merge_sort_block_merge_config_selectorIhNS0_10empty_typeEEEZZNS1_27merge_sort_block_merge_implIS3_PhPS5_jNS1_19radix_merge_compareILb1ELb0EhNS0_19identity_decomposerEEEEE10hipError_tT0_T1_T2_jT3_P12ihipStream_tbPNSt15iterator_traitsISE_E10value_typeEPNSK_ISF_E10value_typeEPSG_NS1_7vsmem_tEENKUlT_SE_SF_SG_E_clIS8_S8_S9_S9_EESD_ST_SE_SF_SG_EUlST_E0_NS1_11comp_targetILNS1_3genE4ELNS1_11target_archE910ELNS1_3gpuE8ELNS1_3repE0EEENS1_38merge_mergepath_config_static_selectorELNS0_4arch9wavefront6targetE1EEEvSF_,"axG",@progbits,_ZN7rocprim17ROCPRIM_400000_NS6detail17trampoline_kernelINS0_14default_configENS1_38merge_sort_block_merge_config_selectorIhNS0_10empty_typeEEEZZNS1_27merge_sort_block_merge_implIS3_PhPS5_jNS1_19radix_merge_compareILb1ELb0EhNS0_19identity_decomposerEEEEE10hipError_tT0_T1_T2_jT3_P12ihipStream_tbPNSt15iterator_traitsISE_E10value_typeEPNSK_ISF_E10value_typeEPSG_NS1_7vsmem_tEENKUlT_SE_SF_SG_E_clIS8_S8_S9_S9_EESD_ST_SE_SF_SG_EUlST_E0_NS1_11comp_targetILNS1_3genE4ELNS1_11target_archE910ELNS1_3gpuE8ELNS1_3repE0EEENS1_38merge_mergepath_config_static_selectorELNS0_4arch9wavefront6targetE1EEEvSF_,comdat
.Lfunc_end1678:
	.size	_ZN7rocprim17ROCPRIM_400000_NS6detail17trampoline_kernelINS0_14default_configENS1_38merge_sort_block_merge_config_selectorIhNS0_10empty_typeEEEZZNS1_27merge_sort_block_merge_implIS3_PhPS5_jNS1_19radix_merge_compareILb1ELb0EhNS0_19identity_decomposerEEEEE10hipError_tT0_T1_T2_jT3_P12ihipStream_tbPNSt15iterator_traitsISE_E10value_typeEPNSK_ISF_E10value_typeEPSG_NS1_7vsmem_tEENKUlT_SE_SF_SG_E_clIS8_S8_S9_S9_EESD_ST_SE_SF_SG_EUlST_E0_NS1_11comp_targetILNS1_3genE4ELNS1_11target_archE910ELNS1_3gpuE8ELNS1_3repE0EEENS1_38merge_mergepath_config_static_selectorELNS0_4arch9wavefront6targetE1EEEvSF_, .Lfunc_end1678-_ZN7rocprim17ROCPRIM_400000_NS6detail17trampoline_kernelINS0_14default_configENS1_38merge_sort_block_merge_config_selectorIhNS0_10empty_typeEEEZZNS1_27merge_sort_block_merge_implIS3_PhPS5_jNS1_19radix_merge_compareILb1ELb0EhNS0_19identity_decomposerEEEEE10hipError_tT0_T1_T2_jT3_P12ihipStream_tbPNSt15iterator_traitsISE_E10value_typeEPNSK_ISF_E10value_typeEPSG_NS1_7vsmem_tEENKUlT_SE_SF_SG_E_clIS8_S8_S9_S9_EESD_ST_SE_SF_SG_EUlST_E0_NS1_11comp_targetILNS1_3genE4ELNS1_11target_archE910ELNS1_3gpuE8ELNS1_3repE0EEENS1_38merge_mergepath_config_static_selectorELNS0_4arch9wavefront6targetE1EEEvSF_
                                        ; -- End function
	.section	.AMDGPU.csdata,"",@progbits
; Kernel info:
; codeLenInByte = 3112
; NumSgprs: 28
; NumVgprs: 28
; NumAgprs: 0
; TotalNumVgprs: 28
; ScratchSize: 0
; MemoryBound: 0
; FloatMode: 240
; IeeeMode: 1
; LDSByteSize: 1056 bytes/workgroup (compile time only)
; SGPRBlocks: 3
; VGPRBlocks: 3
; NumSGPRsForWavesPerEU: 28
; NumVGPRsForWavesPerEU: 28
; AccumOffset: 28
; Occupancy: 8
; WaveLimiterHint : 1
; COMPUTE_PGM_RSRC2:SCRATCH_EN: 0
; COMPUTE_PGM_RSRC2:USER_SGPR: 6
; COMPUTE_PGM_RSRC2:TRAP_HANDLER: 0
; COMPUTE_PGM_RSRC2:TGID_X_EN: 1
; COMPUTE_PGM_RSRC2:TGID_Y_EN: 1
; COMPUTE_PGM_RSRC2:TGID_Z_EN: 1
; COMPUTE_PGM_RSRC2:TIDIG_COMP_CNT: 0
; COMPUTE_PGM_RSRC3_GFX90A:ACCUM_OFFSET: 6
; COMPUTE_PGM_RSRC3_GFX90A:TG_SPLIT: 0
	.section	.text._ZN7rocprim17ROCPRIM_400000_NS6detail17trampoline_kernelINS0_14default_configENS1_38merge_sort_block_merge_config_selectorIhNS0_10empty_typeEEEZZNS1_27merge_sort_block_merge_implIS3_PhPS5_jNS1_19radix_merge_compareILb1ELb0EhNS0_19identity_decomposerEEEEE10hipError_tT0_T1_T2_jT3_P12ihipStream_tbPNSt15iterator_traitsISE_E10value_typeEPNSK_ISF_E10value_typeEPSG_NS1_7vsmem_tEENKUlT_SE_SF_SG_E_clIS8_S8_S9_S9_EESD_ST_SE_SF_SG_EUlST_E0_NS1_11comp_targetILNS1_3genE3ELNS1_11target_archE908ELNS1_3gpuE7ELNS1_3repE0EEENS1_38merge_mergepath_config_static_selectorELNS0_4arch9wavefront6targetE1EEEvSF_,"axG",@progbits,_ZN7rocprim17ROCPRIM_400000_NS6detail17trampoline_kernelINS0_14default_configENS1_38merge_sort_block_merge_config_selectorIhNS0_10empty_typeEEEZZNS1_27merge_sort_block_merge_implIS3_PhPS5_jNS1_19radix_merge_compareILb1ELb0EhNS0_19identity_decomposerEEEEE10hipError_tT0_T1_T2_jT3_P12ihipStream_tbPNSt15iterator_traitsISE_E10value_typeEPNSK_ISF_E10value_typeEPSG_NS1_7vsmem_tEENKUlT_SE_SF_SG_E_clIS8_S8_S9_S9_EESD_ST_SE_SF_SG_EUlST_E0_NS1_11comp_targetILNS1_3genE3ELNS1_11target_archE908ELNS1_3gpuE7ELNS1_3repE0EEENS1_38merge_mergepath_config_static_selectorELNS0_4arch9wavefront6targetE1EEEvSF_,comdat
	.protected	_ZN7rocprim17ROCPRIM_400000_NS6detail17trampoline_kernelINS0_14default_configENS1_38merge_sort_block_merge_config_selectorIhNS0_10empty_typeEEEZZNS1_27merge_sort_block_merge_implIS3_PhPS5_jNS1_19radix_merge_compareILb1ELb0EhNS0_19identity_decomposerEEEEE10hipError_tT0_T1_T2_jT3_P12ihipStream_tbPNSt15iterator_traitsISE_E10value_typeEPNSK_ISF_E10value_typeEPSG_NS1_7vsmem_tEENKUlT_SE_SF_SG_E_clIS8_S8_S9_S9_EESD_ST_SE_SF_SG_EUlST_E0_NS1_11comp_targetILNS1_3genE3ELNS1_11target_archE908ELNS1_3gpuE7ELNS1_3repE0EEENS1_38merge_mergepath_config_static_selectorELNS0_4arch9wavefront6targetE1EEEvSF_ ; -- Begin function _ZN7rocprim17ROCPRIM_400000_NS6detail17trampoline_kernelINS0_14default_configENS1_38merge_sort_block_merge_config_selectorIhNS0_10empty_typeEEEZZNS1_27merge_sort_block_merge_implIS3_PhPS5_jNS1_19radix_merge_compareILb1ELb0EhNS0_19identity_decomposerEEEEE10hipError_tT0_T1_T2_jT3_P12ihipStream_tbPNSt15iterator_traitsISE_E10value_typeEPNSK_ISF_E10value_typeEPSG_NS1_7vsmem_tEENKUlT_SE_SF_SG_E_clIS8_S8_S9_S9_EESD_ST_SE_SF_SG_EUlST_E0_NS1_11comp_targetILNS1_3genE3ELNS1_11target_archE908ELNS1_3gpuE7ELNS1_3repE0EEENS1_38merge_mergepath_config_static_selectorELNS0_4arch9wavefront6targetE1EEEvSF_
	.globl	_ZN7rocprim17ROCPRIM_400000_NS6detail17trampoline_kernelINS0_14default_configENS1_38merge_sort_block_merge_config_selectorIhNS0_10empty_typeEEEZZNS1_27merge_sort_block_merge_implIS3_PhPS5_jNS1_19radix_merge_compareILb1ELb0EhNS0_19identity_decomposerEEEEE10hipError_tT0_T1_T2_jT3_P12ihipStream_tbPNSt15iterator_traitsISE_E10value_typeEPNSK_ISF_E10value_typeEPSG_NS1_7vsmem_tEENKUlT_SE_SF_SG_E_clIS8_S8_S9_S9_EESD_ST_SE_SF_SG_EUlST_E0_NS1_11comp_targetILNS1_3genE3ELNS1_11target_archE908ELNS1_3gpuE7ELNS1_3repE0EEENS1_38merge_mergepath_config_static_selectorELNS0_4arch9wavefront6targetE1EEEvSF_
	.p2align	8
	.type	_ZN7rocprim17ROCPRIM_400000_NS6detail17trampoline_kernelINS0_14default_configENS1_38merge_sort_block_merge_config_selectorIhNS0_10empty_typeEEEZZNS1_27merge_sort_block_merge_implIS3_PhPS5_jNS1_19radix_merge_compareILb1ELb0EhNS0_19identity_decomposerEEEEE10hipError_tT0_T1_T2_jT3_P12ihipStream_tbPNSt15iterator_traitsISE_E10value_typeEPNSK_ISF_E10value_typeEPSG_NS1_7vsmem_tEENKUlT_SE_SF_SG_E_clIS8_S8_S9_S9_EESD_ST_SE_SF_SG_EUlST_E0_NS1_11comp_targetILNS1_3genE3ELNS1_11target_archE908ELNS1_3gpuE7ELNS1_3repE0EEENS1_38merge_mergepath_config_static_selectorELNS0_4arch9wavefront6targetE1EEEvSF_,@function
_ZN7rocprim17ROCPRIM_400000_NS6detail17trampoline_kernelINS0_14default_configENS1_38merge_sort_block_merge_config_selectorIhNS0_10empty_typeEEEZZNS1_27merge_sort_block_merge_implIS3_PhPS5_jNS1_19radix_merge_compareILb1ELb0EhNS0_19identity_decomposerEEEEE10hipError_tT0_T1_T2_jT3_P12ihipStream_tbPNSt15iterator_traitsISE_E10value_typeEPNSK_ISF_E10value_typeEPSG_NS1_7vsmem_tEENKUlT_SE_SF_SG_E_clIS8_S8_S9_S9_EESD_ST_SE_SF_SG_EUlST_E0_NS1_11comp_targetILNS1_3genE3ELNS1_11target_archE908ELNS1_3gpuE7ELNS1_3repE0EEENS1_38merge_mergepath_config_static_selectorELNS0_4arch9wavefront6targetE1EEEvSF_: ; @_ZN7rocprim17ROCPRIM_400000_NS6detail17trampoline_kernelINS0_14default_configENS1_38merge_sort_block_merge_config_selectorIhNS0_10empty_typeEEEZZNS1_27merge_sort_block_merge_implIS3_PhPS5_jNS1_19radix_merge_compareILb1ELb0EhNS0_19identity_decomposerEEEEE10hipError_tT0_T1_T2_jT3_P12ihipStream_tbPNSt15iterator_traitsISE_E10value_typeEPNSK_ISF_E10value_typeEPSG_NS1_7vsmem_tEENKUlT_SE_SF_SG_E_clIS8_S8_S9_S9_EESD_ST_SE_SF_SG_EUlST_E0_NS1_11comp_targetILNS1_3genE3ELNS1_11target_archE908ELNS1_3gpuE7ELNS1_3repE0EEENS1_38merge_mergepath_config_static_selectorELNS0_4arch9wavefront6targetE1EEEvSF_
; %bb.0:
	.section	.rodata,"a",@progbits
	.p2align	6, 0x0
	.amdhsa_kernel _ZN7rocprim17ROCPRIM_400000_NS6detail17trampoline_kernelINS0_14default_configENS1_38merge_sort_block_merge_config_selectorIhNS0_10empty_typeEEEZZNS1_27merge_sort_block_merge_implIS3_PhPS5_jNS1_19radix_merge_compareILb1ELb0EhNS0_19identity_decomposerEEEEE10hipError_tT0_T1_T2_jT3_P12ihipStream_tbPNSt15iterator_traitsISE_E10value_typeEPNSK_ISF_E10value_typeEPSG_NS1_7vsmem_tEENKUlT_SE_SF_SG_E_clIS8_S8_S9_S9_EESD_ST_SE_SF_SG_EUlST_E0_NS1_11comp_targetILNS1_3genE3ELNS1_11target_archE908ELNS1_3gpuE7ELNS1_3repE0EEENS1_38merge_mergepath_config_static_selectorELNS0_4arch9wavefront6targetE1EEEvSF_
		.amdhsa_group_segment_fixed_size 0
		.amdhsa_private_segment_fixed_size 0
		.amdhsa_kernarg_size 64
		.amdhsa_user_sgpr_count 6
		.amdhsa_user_sgpr_private_segment_buffer 1
		.amdhsa_user_sgpr_dispatch_ptr 0
		.amdhsa_user_sgpr_queue_ptr 0
		.amdhsa_user_sgpr_kernarg_segment_ptr 1
		.amdhsa_user_sgpr_dispatch_id 0
		.amdhsa_user_sgpr_flat_scratch_init 0
		.amdhsa_user_sgpr_kernarg_preload_length 0
		.amdhsa_user_sgpr_kernarg_preload_offset 0
		.amdhsa_user_sgpr_private_segment_size 0
		.amdhsa_uses_dynamic_stack 0
		.amdhsa_system_sgpr_private_segment_wavefront_offset 0
		.amdhsa_system_sgpr_workgroup_id_x 1
		.amdhsa_system_sgpr_workgroup_id_y 0
		.amdhsa_system_sgpr_workgroup_id_z 0
		.amdhsa_system_sgpr_workgroup_info 0
		.amdhsa_system_vgpr_workitem_id 0
		.amdhsa_next_free_vgpr 1
		.amdhsa_next_free_sgpr 0
		.amdhsa_accum_offset 4
		.amdhsa_reserve_vcc 0
		.amdhsa_reserve_flat_scratch 0
		.amdhsa_float_round_mode_32 0
		.amdhsa_float_round_mode_16_64 0
		.amdhsa_float_denorm_mode_32 3
		.amdhsa_float_denorm_mode_16_64 3
		.amdhsa_dx10_clamp 1
		.amdhsa_ieee_mode 1
		.amdhsa_fp16_overflow 0
		.amdhsa_tg_split 0
		.amdhsa_exception_fp_ieee_invalid_op 0
		.amdhsa_exception_fp_denorm_src 0
		.amdhsa_exception_fp_ieee_div_zero 0
		.amdhsa_exception_fp_ieee_overflow 0
		.amdhsa_exception_fp_ieee_underflow 0
		.amdhsa_exception_fp_ieee_inexact 0
		.amdhsa_exception_int_div_zero 0
	.end_amdhsa_kernel
	.section	.text._ZN7rocprim17ROCPRIM_400000_NS6detail17trampoline_kernelINS0_14default_configENS1_38merge_sort_block_merge_config_selectorIhNS0_10empty_typeEEEZZNS1_27merge_sort_block_merge_implIS3_PhPS5_jNS1_19radix_merge_compareILb1ELb0EhNS0_19identity_decomposerEEEEE10hipError_tT0_T1_T2_jT3_P12ihipStream_tbPNSt15iterator_traitsISE_E10value_typeEPNSK_ISF_E10value_typeEPSG_NS1_7vsmem_tEENKUlT_SE_SF_SG_E_clIS8_S8_S9_S9_EESD_ST_SE_SF_SG_EUlST_E0_NS1_11comp_targetILNS1_3genE3ELNS1_11target_archE908ELNS1_3gpuE7ELNS1_3repE0EEENS1_38merge_mergepath_config_static_selectorELNS0_4arch9wavefront6targetE1EEEvSF_,"axG",@progbits,_ZN7rocprim17ROCPRIM_400000_NS6detail17trampoline_kernelINS0_14default_configENS1_38merge_sort_block_merge_config_selectorIhNS0_10empty_typeEEEZZNS1_27merge_sort_block_merge_implIS3_PhPS5_jNS1_19radix_merge_compareILb1ELb0EhNS0_19identity_decomposerEEEEE10hipError_tT0_T1_T2_jT3_P12ihipStream_tbPNSt15iterator_traitsISE_E10value_typeEPNSK_ISF_E10value_typeEPSG_NS1_7vsmem_tEENKUlT_SE_SF_SG_E_clIS8_S8_S9_S9_EESD_ST_SE_SF_SG_EUlST_E0_NS1_11comp_targetILNS1_3genE3ELNS1_11target_archE908ELNS1_3gpuE7ELNS1_3repE0EEENS1_38merge_mergepath_config_static_selectorELNS0_4arch9wavefront6targetE1EEEvSF_,comdat
.Lfunc_end1679:
	.size	_ZN7rocprim17ROCPRIM_400000_NS6detail17trampoline_kernelINS0_14default_configENS1_38merge_sort_block_merge_config_selectorIhNS0_10empty_typeEEEZZNS1_27merge_sort_block_merge_implIS3_PhPS5_jNS1_19radix_merge_compareILb1ELb0EhNS0_19identity_decomposerEEEEE10hipError_tT0_T1_T2_jT3_P12ihipStream_tbPNSt15iterator_traitsISE_E10value_typeEPNSK_ISF_E10value_typeEPSG_NS1_7vsmem_tEENKUlT_SE_SF_SG_E_clIS8_S8_S9_S9_EESD_ST_SE_SF_SG_EUlST_E0_NS1_11comp_targetILNS1_3genE3ELNS1_11target_archE908ELNS1_3gpuE7ELNS1_3repE0EEENS1_38merge_mergepath_config_static_selectorELNS0_4arch9wavefront6targetE1EEEvSF_, .Lfunc_end1679-_ZN7rocprim17ROCPRIM_400000_NS6detail17trampoline_kernelINS0_14default_configENS1_38merge_sort_block_merge_config_selectorIhNS0_10empty_typeEEEZZNS1_27merge_sort_block_merge_implIS3_PhPS5_jNS1_19radix_merge_compareILb1ELb0EhNS0_19identity_decomposerEEEEE10hipError_tT0_T1_T2_jT3_P12ihipStream_tbPNSt15iterator_traitsISE_E10value_typeEPNSK_ISF_E10value_typeEPSG_NS1_7vsmem_tEENKUlT_SE_SF_SG_E_clIS8_S8_S9_S9_EESD_ST_SE_SF_SG_EUlST_E0_NS1_11comp_targetILNS1_3genE3ELNS1_11target_archE908ELNS1_3gpuE7ELNS1_3repE0EEENS1_38merge_mergepath_config_static_selectorELNS0_4arch9wavefront6targetE1EEEvSF_
                                        ; -- End function
	.section	.AMDGPU.csdata,"",@progbits
; Kernel info:
; codeLenInByte = 0
; NumSgprs: 4
; NumVgprs: 0
; NumAgprs: 0
; TotalNumVgprs: 0
; ScratchSize: 0
; MemoryBound: 0
; FloatMode: 240
; IeeeMode: 1
; LDSByteSize: 0 bytes/workgroup (compile time only)
; SGPRBlocks: 0
; VGPRBlocks: 0
; NumSGPRsForWavesPerEU: 4
; NumVGPRsForWavesPerEU: 1
; AccumOffset: 4
; Occupancy: 8
; WaveLimiterHint : 0
; COMPUTE_PGM_RSRC2:SCRATCH_EN: 0
; COMPUTE_PGM_RSRC2:USER_SGPR: 6
; COMPUTE_PGM_RSRC2:TRAP_HANDLER: 0
; COMPUTE_PGM_RSRC2:TGID_X_EN: 1
; COMPUTE_PGM_RSRC2:TGID_Y_EN: 0
; COMPUTE_PGM_RSRC2:TGID_Z_EN: 0
; COMPUTE_PGM_RSRC2:TIDIG_COMP_CNT: 0
; COMPUTE_PGM_RSRC3_GFX90A:ACCUM_OFFSET: 0
; COMPUTE_PGM_RSRC3_GFX90A:TG_SPLIT: 0
	.section	.text._ZN7rocprim17ROCPRIM_400000_NS6detail17trampoline_kernelINS0_14default_configENS1_38merge_sort_block_merge_config_selectorIhNS0_10empty_typeEEEZZNS1_27merge_sort_block_merge_implIS3_PhPS5_jNS1_19radix_merge_compareILb1ELb0EhNS0_19identity_decomposerEEEEE10hipError_tT0_T1_T2_jT3_P12ihipStream_tbPNSt15iterator_traitsISE_E10value_typeEPNSK_ISF_E10value_typeEPSG_NS1_7vsmem_tEENKUlT_SE_SF_SG_E_clIS8_S8_S9_S9_EESD_ST_SE_SF_SG_EUlST_E0_NS1_11comp_targetILNS1_3genE2ELNS1_11target_archE906ELNS1_3gpuE6ELNS1_3repE0EEENS1_38merge_mergepath_config_static_selectorELNS0_4arch9wavefront6targetE1EEEvSF_,"axG",@progbits,_ZN7rocprim17ROCPRIM_400000_NS6detail17trampoline_kernelINS0_14default_configENS1_38merge_sort_block_merge_config_selectorIhNS0_10empty_typeEEEZZNS1_27merge_sort_block_merge_implIS3_PhPS5_jNS1_19radix_merge_compareILb1ELb0EhNS0_19identity_decomposerEEEEE10hipError_tT0_T1_T2_jT3_P12ihipStream_tbPNSt15iterator_traitsISE_E10value_typeEPNSK_ISF_E10value_typeEPSG_NS1_7vsmem_tEENKUlT_SE_SF_SG_E_clIS8_S8_S9_S9_EESD_ST_SE_SF_SG_EUlST_E0_NS1_11comp_targetILNS1_3genE2ELNS1_11target_archE906ELNS1_3gpuE6ELNS1_3repE0EEENS1_38merge_mergepath_config_static_selectorELNS0_4arch9wavefront6targetE1EEEvSF_,comdat
	.protected	_ZN7rocprim17ROCPRIM_400000_NS6detail17trampoline_kernelINS0_14default_configENS1_38merge_sort_block_merge_config_selectorIhNS0_10empty_typeEEEZZNS1_27merge_sort_block_merge_implIS3_PhPS5_jNS1_19radix_merge_compareILb1ELb0EhNS0_19identity_decomposerEEEEE10hipError_tT0_T1_T2_jT3_P12ihipStream_tbPNSt15iterator_traitsISE_E10value_typeEPNSK_ISF_E10value_typeEPSG_NS1_7vsmem_tEENKUlT_SE_SF_SG_E_clIS8_S8_S9_S9_EESD_ST_SE_SF_SG_EUlST_E0_NS1_11comp_targetILNS1_3genE2ELNS1_11target_archE906ELNS1_3gpuE6ELNS1_3repE0EEENS1_38merge_mergepath_config_static_selectorELNS0_4arch9wavefront6targetE1EEEvSF_ ; -- Begin function _ZN7rocprim17ROCPRIM_400000_NS6detail17trampoline_kernelINS0_14default_configENS1_38merge_sort_block_merge_config_selectorIhNS0_10empty_typeEEEZZNS1_27merge_sort_block_merge_implIS3_PhPS5_jNS1_19radix_merge_compareILb1ELb0EhNS0_19identity_decomposerEEEEE10hipError_tT0_T1_T2_jT3_P12ihipStream_tbPNSt15iterator_traitsISE_E10value_typeEPNSK_ISF_E10value_typeEPSG_NS1_7vsmem_tEENKUlT_SE_SF_SG_E_clIS8_S8_S9_S9_EESD_ST_SE_SF_SG_EUlST_E0_NS1_11comp_targetILNS1_3genE2ELNS1_11target_archE906ELNS1_3gpuE6ELNS1_3repE0EEENS1_38merge_mergepath_config_static_selectorELNS0_4arch9wavefront6targetE1EEEvSF_
	.globl	_ZN7rocprim17ROCPRIM_400000_NS6detail17trampoline_kernelINS0_14default_configENS1_38merge_sort_block_merge_config_selectorIhNS0_10empty_typeEEEZZNS1_27merge_sort_block_merge_implIS3_PhPS5_jNS1_19radix_merge_compareILb1ELb0EhNS0_19identity_decomposerEEEEE10hipError_tT0_T1_T2_jT3_P12ihipStream_tbPNSt15iterator_traitsISE_E10value_typeEPNSK_ISF_E10value_typeEPSG_NS1_7vsmem_tEENKUlT_SE_SF_SG_E_clIS8_S8_S9_S9_EESD_ST_SE_SF_SG_EUlST_E0_NS1_11comp_targetILNS1_3genE2ELNS1_11target_archE906ELNS1_3gpuE6ELNS1_3repE0EEENS1_38merge_mergepath_config_static_selectorELNS0_4arch9wavefront6targetE1EEEvSF_
	.p2align	8
	.type	_ZN7rocprim17ROCPRIM_400000_NS6detail17trampoline_kernelINS0_14default_configENS1_38merge_sort_block_merge_config_selectorIhNS0_10empty_typeEEEZZNS1_27merge_sort_block_merge_implIS3_PhPS5_jNS1_19radix_merge_compareILb1ELb0EhNS0_19identity_decomposerEEEEE10hipError_tT0_T1_T2_jT3_P12ihipStream_tbPNSt15iterator_traitsISE_E10value_typeEPNSK_ISF_E10value_typeEPSG_NS1_7vsmem_tEENKUlT_SE_SF_SG_E_clIS8_S8_S9_S9_EESD_ST_SE_SF_SG_EUlST_E0_NS1_11comp_targetILNS1_3genE2ELNS1_11target_archE906ELNS1_3gpuE6ELNS1_3repE0EEENS1_38merge_mergepath_config_static_selectorELNS0_4arch9wavefront6targetE1EEEvSF_,@function
_ZN7rocprim17ROCPRIM_400000_NS6detail17trampoline_kernelINS0_14default_configENS1_38merge_sort_block_merge_config_selectorIhNS0_10empty_typeEEEZZNS1_27merge_sort_block_merge_implIS3_PhPS5_jNS1_19radix_merge_compareILb1ELb0EhNS0_19identity_decomposerEEEEE10hipError_tT0_T1_T2_jT3_P12ihipStream_tbPNSt15iterator_traitsISE_E10value_typeEPNSK_ISF_E10value_typeEPSG_NS1_7vsmem_tEENKUlT_SE_SF_SG_E_clIS8_S8_S9_S9_EESD_ST_SE_SF_SG_EUlST_E0_NS1_11comp_targetILNS1_3genE2ELNS1_11target_archE906ELNS1_3gpuE6ELNS1_3repE0EEENS1_38merge_mergepath_config_static_selectorELNS0_4arch9wavefront6targetE1EEEvSF_: ; @_ZN7rocprim17ROCPRIM_400000_NS6detail17trampoline_kernelINS0_14default_configENS1_38merge_sort_block_merge_config_selectorIhNS0_10empty_typeEEEZZNS1_27merge_sort_block_merge_implIS3_PhPS5_jNS1_19radix_merge_compareILb1ELb0EhNS0_19identity_decomposerEEEEE10hipError_tT0_T1_T2_jT3_P12ihipStream_tbPNSt15iterator_traitsISE_E10value_typeEPNSK_ISF_E10value_typeEPSG_NS1_7vsmem_tEENKUlT_SE_SF_SG_E_clIS8_S8_S9_S9_EESD_ST_SE_SF_SG_EUlST_E0_NS1_11comp_targetILNS1_3genE2ELNS1_11target_archE906ELNS1_3gpuE6ELNS1_3repE0EEENS1_38merge_mergepath_config_static_selectorELNS0_4arch9wavefront6targetE1EEEvSF_
; %bb.0:
	.section	.rodata,"a",@progbits
	.p2align	6, 0x0
	.amdhsa_kernel _ZN7rocprim17ROCPRIM_400000_NS6detail17trampoline_kernelINS0_14default_configENS1_38merge_sort_block_merge_config_selectorIhNS0_10empty_typeEEEZZNS1_27merge_sort_block_merge_implIS3_PhPS5_jNS1_19radix_merge_compareILb1ELb0EhNS0_19identity_decomposerEEEEE10hipError_tT0_T1_T2_jT3_P12ihipStream_tbPNSt15iterator_traitsISE_E10value_typeEPNSK_ISF_E10value_typeEPSG_NS1_7vsmem_tEENKUlT_SE_SF_SG_E_clIS8_S8_S9_S9_EESD_ST_SE_SF_SG_EUlST_E0_NS1_11comp_targetILNS1_3genE2ELNS1_11target_archE906ELNS1_3gpuE6ELNS1_3repE0EEENS1_38merge_mergepath_config_static_selectorELNS0_4arch9wavefront6targetE1EEEvSF_
		.amdhsa_group_segment_fixed_size 0
		.amdhsa_private_segment_fixed_size 0
		.amdhsa_kernarg_size 64
		.amdhsa_user_sgpr_count 6
		.amdhsa_user_sgpr_private_segment_buffer 1
		.amdhsa_user_sgpr_dispatch_ptr 0
		.amdhsa_user_sgpr_queue_ptr 0
		.amdhsa_user_sgpr_kernarg_segment_ptr 1
		.amdhsa_user_sgpr_dispatch_id 0
		.amdhsa_user_sgpr_flat_scratch_init 0
		.amdhsa_user_sgpr_kernarg_preload_length 0
		.amdhsa_user_sgpr_kernarg_preload_offset 0
		.amdhsa_user_sgpr_private_segment_size 0
		.amdhsa_uses_dynamic_stack 0
		.amdhsa_system_sgpr_private_segment_wavefront_offset 0
		.amdhsa_system_sgpr_workgroup_id_x 1
		.amdhsa_system_sgpr_workgroup_id_y 0
		.amdhsa_system_sgpr_workgroup_id_z 0
		.amdhsa_system_sgpr_workgroup_info 0
		.amdhsa_system_vgpr_workitem_id 0
		.amdhsa_next_free_vgpr 1
		.amdhsa_next_free_sgpr 0
		.amdhsa_accum_offset 4
		.amdhsa_reserve_vcc 0
		.amdhsa_reserve_flat_scratch 0
		.amdhsa_float_round_mode_32 0
		.amdhsa_float_round_mode_16_64 0
		.amdhsa_float_denorm_mode_32 3
		.amdhsa_float_denorm_mode_16_64 3
		.amdhsa_dx10_clamp 1
		.amdhsa_ieee_mode 1
		.amdhsa_fp16_overflow 0
		.amdhsa_tg_split 0
		.amdhsa_exception_fp_ieee_invalid_op 0
		.amdhsa_exception_fp_denorm_src 0
		.amdhsa_exception_fp_ieee_div_zero 0
		.amdhsa_exception_fp_ieee_overflow 0
		.amdhsa_exception_fp_ieee_underflow 0
		.amdhsa_exception_fp_ieee_inexact 0
		.amdhsa_exception_int_div_zero 0
	.end_amdhsa_kernel
	.section	.text._ZN7rocprim17ROCPRIM_400000_NS6detail17trampoline_kernelINS0_14default_configENS1_38merge_sort_block_merge_config_selectorIhNS0_10empty_typeEEEZZNS1_27merge_sort_block_merge_implIS3_PhPS5_jNS1_19radix_merge_compareILb1ELb0EhNS0_19identity_decomposerEEEEE10hipError_tT0_T1_T2_jT3_P12ihipStream_tbPNSt15iterator_traitsISE_E10value_typeEPNSK_ISF_E10value_typeEPSG_NS1_7vsmem_tEENKUlT_SE_SF_SG_E_clIS8_S8_S9_S9_EESD_ST_SE_SF_SG_EUlST_E0_NS1_11comp_targetILNS1_3genE2ELNS1_11target_archE906ELNS1_3gpuE6ELNS1_3repE0EEENS1_38merge_mergepath_config_static_selectorELNS0_4arch9wavefront6targetE1EEEvSF_,"axG",@progbits,_ZN7rocprim17ROCPRIM_400000_NS6detail17trampoline_kernelINS0_14default_configENS1_38merge_sort_block_merge_config_selectorIhNS0_10empty_typeEEEZZNS1_27merge_sort_block_merge_implIS3_PhPS5_jNS1_19radix_merge_compareILb1ELb0EhNS0_19identity_decomposerEEEEE10hipError_tT0_T1_T2_jT3_P12ihipStream_tbPNSt15iterator_traitsISE_E10value_typeEPNSK_ISF_E10value_typeEPSG_NS1_7vsmem_tEENKUlT_SE_SF_SG_E_clIS8_S8_S9_S9_EESD_ST_SE_SF_SG_EUlST_E0_NS1_11comp_targetILNS1_3genE2ELNS1_11target_archE906ELNS1_3gpuE6ELNS1_3repE0EEENS1_38merge_mergepath_config_static_selectorELNS0_4arch9wavefront6targetE1EEEvSF_,comdat
.Lfunc_end1680:
	.size	_ZN7rocprim17ROCPRIM_400000_NS6detail17trampoline_kernelINS0_14default_configENS1_38merge_sort_block_merge_config_selectorIhNS0_10empty_typeEEEZZNS1_27merge_sort_block_merge_implIS3_PhPS5_jNS1_19radix_merge_compareILb1ELb0EhNS0_19identity_decomposerEEEEE10hipError_tT0_T1_T2_jT3_P12ihipStream_tbPNSt15iterator_traitsISE_E10value_typeEPNSK_ISF_E10value_typeEPSG_NS1_7vsmem_tEENKUlT_SE_SF_SG_E_clIS8_S8_S9_S9_EESD_ST_SE_SF_SG_EUlST_E0_NS1_11comp_targetILNS1_3genE2ELNS1_11target_archE906ELNS1_3gpuE6ELNS1_3repE0EEENS1_38merge_mergepath_config_static_selectorELNS0_4arch9wavefront6targetE1EEEvSF_, .Lfunc_end1680-_ZN7rocprim17ROCPRIM_400000_NS6detail17trampoline_kernelINS0_14default_configENS1_38merge_sort_block_merge_config_selectorIhNS0_10empty_typeEEEZZNS1_27merge_sort_block_merge_implIS3_PhPS5_jNS1_19radix_merge_compareILb1ELb0EhNS0_19identity_decomposerEEEEE10hipError_tT0_T1_T2_jT3_P12ihipStream_tbPNSt15iterator_traitsISE_E10value_typeEPNSK_ISF_E10value_typeEPSG_NS1_7vsmem_tEENKUlT_SE_SF_SG_E_clIS8_S8_S9_S9_EESD_ST_SE_SF_SG_EUlST_E0_NS1_11comp_targetILNS1_3genE2ELNS1_11target_archE906ELNS1_3gpuE6ELNS1_3repE0EEENS1_38merge_mergepath_config_static_selectorELNS0_4arch9wavefront6targetE1EEEvSF_
                                        ; -- End function
	.section	.AMDGPU.csdata,"",@progbits
; Kernel info:
; codeLenInByte = 0
; NumSgprs: 4
; NumVgprs: 0
; NumAgprs: 0
; TotalNumVgprs: 0
; ScratchSize: 0
; MemoryBound: 0
; FloatMode: 240
; IeeeMode: 1
; LDSByteSize: 0 bytes/workgroup (compile time only)
; SGPRBlocks: 0
; VGPRBlocks: 0
; NumSGPRsForWavesPerEU: 4
; NumVGPRsForWavesPerEU: 1
; AccumOffset: 4
; Occupancy: 8
; WaveLimiterHint : 0
; COMPUTE_PGM_RSRC2:SCRATCH_EN: 0
; COMPUTE_PGM_RSRC2:USER_SGPR: 6
; COMPUTE_PGM_RSRC2:TRAP_HANDLER: 0
; COMPUTE_PGM_RSRC2:TGID_X_EN: 1
; COMPUTE_PGM_RSRC2:TGID_Y_EN: 0
; COMPUTE_PGM_RSRC2:TGID_Z_EN: 0
; COMPUTE_PGM_RSRC2:TIDIG_COMP_CNT: 0
; COMPUTE_PGM_RSRC3_GFX90A:ACCUM_OFFSET: 0
; COMPUTE_PGM_RSRC3_GFX90A:TG_SPLIT: 0
	.section	.text._ZN7rocprim17ROCPRIM_400000_NS6detail17trampoline_kernelINS0_14default_configENS1_38merge_sort_block_merge_config_selectorIhNS0_10empty_typeEEEZZNS1_27merge_sort_block_merge_implIS3_PhPS5_jNS1_19radix_merge_compareILb1ELb0EhNS0_19identity_decomposerEEEEE10hipError_tT0_T1_T2_jT3_P12ihipStream_tbPNSt15iterator_traitsISE_E10value_typeEPNSK_ISF_E10value_typeEPSG_NS1_7vsmem_tEENKUlT_SE_SF_SG_E_clIS8_S8_S9_S9_EESD_ST_SE_SF_SG_EUlST_E0_NS1_11comp_targetILNS1_3genE9ELNS1_11target_archE1100ELNS1_3gpuE3ELNS1_3repE0EEENS1_38merge_mergepath_config_static_selectorELNS0_4arch9wavefront6targetE1EEEvSF_,"axG",@progbits,_ZN7rocprim17ROCPRIM_400000_NS6detail17trampoline_kernelINS0_14default_configENS1_38merge_sort_block_merge_config_selectorIhNS0_10empty_typeEEEZZNS1_27merge_sort_block_merge_implIS3_PhPS5_jNS1_19radix_merge_compareILb1ELb0EhNS0_19identity_decomposerEEEEE10hipError_tT0_T1_T2_jT3_P12ihipStream_tbPNSt15iterator_traitsISE_E10value_typeEPNSK_ISF_E10value_typeEPSG_NS1_7vsmem_tEENKUlT_SE_SF_SG_E_clIS8_S8_S9_S9_EESD_ST_SE_SF_SG_EUlST_E0_NS1_11comp_targetILNS1_3genE9ELNS1_11target_archE1100ELNS1_3gpuE3ELNS1_3repE0EEENS1_38merge_mergepath_config_static_selectorELNS0_4arch9wavefront6targetE1EEEvSF_,comdat
	.protected	_ZN7rocprim17ROCPRIM_400000_NS6detail17trampoline_kernelINS0_14default_configENS1_38merge_sort_block_merge_config_selectorIhNS0_10empty_typeEEEZZNS1_27merge_sort_block_merge_implIS3_PhPS5_jNS1_19radix_merge_compareILb1ELb0EhNS0_19identity_decomposerEEEEE10hipError_tT0_T1_T2_jT3_P12ihipStream_tbPNSt15iterator_traitsISE_E10value_typeEPNSK_ISF_E10value_typeEPSG_NS1_7vsmem_tEENKUlT_SE_SF_SG_E_clIS8_S8_S9_S9_EESD_ST_SE_SF_SG_EUlST_E0_NS1_11comp_targetILNS1_3genE9ELNS1_11target_archE1100ELNS1_3gpuE3ELNS1_3repE0EEENS1_38merge_mergepath_config_static_selectorELNS0_4arch9wavefront6targetE1EEEvSF_ ; -- Begin function _ZN7rocprim17ROCPRIM_400000_NS6detail17trampoline_kernelINS0_14default_configENS1_38merge_sort_block_merge_config_selectorIhNS0_10empty_typeEEEZZNS1_27merge_sort_block_merge_implIS3_PhPS5_jNS1_19radix_merge_compareILb1ELb0EhNS0_19identity_decomposerEEEEE10hipError_tT0_T1_T2_jT3_P12ihipStream_tbPNSt15iterator_traitsISE_E10value_typeEPNSK_ISF_E10value_typeEPSG_NS1_7vsmem_tEENKUlT_SE_SF_SG_E_clIS8_S8_S9_S9_EESD_ST_SE_SF_SG_EUlST_E0_NS1_11comp_targetILNS1_3genE9ELNS1_11target_archE1100ELNS1_3gpuE3ELNS1_3repE0EEENS1_38merge_mergepath_config_static_selectorELNS0_4arch9wavefront6targetE1EEEvSF_
	.globl	_ZN7rocprim17ROCPRIM_400000_NS6detail17trampoline_kernelINS0_14default_configENS1_38merge_sort_block_merge_config_selectorIhNS0_10empty_typeEEEZZNS1_27merge_sort_block_merge_implIS3_PhPS5_jNS1_19radix_merge_compareILb1ELb0EhNS0_19identity_decomposerEEEEE10hipError_tT0_T1_T2_jT3_P12ihipStream_tbPNSt15iterator_traitsISE_E10value_typeEPNSK_ISF_E10value_typeEPSG_NS1_7vsmem_tEENKUlT_SE_SF_SG_E_clIS8_S8_S9_S9_EESD_ST_SE_SF_SG_EUlST_E0_NS1_11comp_targetILNS1_3genE9ELNS1_11target_archE1100ELNS1_3gpuE3ELNS1_3repE0EEENS1_38merge_mergepath_config_static_selectorELNS0_4arch9wavefront6targetE1EEEvSF_
	.p2align	8
	.type	_ZN7rocprim17ROCPRIM_400000_NS6detail17trampoline_kernelINS0_14default_configENS1_38merge_sort_block_merge_config_selectorIhNS0_10empty_typeEEEZZNS1_27merge_sort_block_merge_implIS3_PhPS5_jNS1_19radix_merge_compareILb1ELb0EhNS0_19identity_decomposerEEEEE10hipError_tT0_T1_T2_jT3_P12ihipStream_tbPNSt15iterator_traitsISE_E10value_typeEPNSK_ISF_E10value_typeEPSG_NS1_7vsmem_tEENKUlT_SE_SF_SG_E_clIS8_S8_S9_S9_EESD_ST_SE_SF_SG_EUlST_E0_NS1_11comp_targetILNS1_3genE9ELNS1_11target_archE1100ELNS1_3gpuE3ELNS1_3repE0EEENS1_38merge_mergepath_config_static_selectorELNS0_4arch9wavefront6targetE1EEEvSF_,@function
_ZN7rocprim17ROCPRIM_400000_NS6detail17trampoline_kernelINS0_14default_configENS1_38merge_sort_block_merge_config_selectorIhNS0_10empty_typeEEEZZNS1_27merge_sort_block_merge_implIS3_PhPS5_jNS1_19radix_merge_compareILb1ELb0EhNS0_19identity_decomposerEEEEE10hipError_tT0_T1_T2_jT3_P12ihipStream_tbPNSt15iterator_traitsISE_E10value_typeEPNSK_ISF_E10value_typeEPSG_NS1_7vsmem_tEENKUlT_SE_SF_SG_E_clIS8_S8_S9_S9_EESD_ST_SE_SF_SG_EUlST_E0_NS1_11comp_targetILNS1_3genE9ELNS1_11target_archE1100ELNS1_3gpuE3ELNS1_3repE0EEENS1_38merge_mergepath_config_static_selectorELNS0_4arch9wavefront6targetE1EEEvSF_: ; @_ZN7rocprim17ROCPRIM_400000_NS6detail17trampoline_kernelINS0_14default_configENS1_38merge_sort_block_merge_config_selectorIhNS0_10empty_typeEEEZZNS1_27merge_sort_block_merge_implIS3_PhPS5_jNS1_19radix_merge_compareILb1ELb0EhNS0_19identity_decomposerEEEEE10hipError_tT0_T1_T2_jT3_P12ihipStream_tbPNSt15iterator_traitsISE_E10value_typeEPNSK_ISF_E10value_typeEPSG_NS1_7vsmem_tEENKUlT_SE_SF_SG_E_clIS8_S8_S9_S9_EESD_ST_SE_SF_SG_EUlST_E0_NS1_11comp_targetILNS1_3genE9ELNS1_11target_archE1100ELNS1_3gpuE3ELNS1_3repE0EEENS1_38merge_mergepath_config_static_selectorELNS0_4arch9wavefront6targetE1EEEvSF_
; %bb.0:
	.section	.rodata,"a",@progbits
	.p2align	6, 0x0
	.amdhsa_kernel _ZN7rocprim17ROCPRIM_400000_NS6detail17trampoline_kernelINS0_14default_configENS1_38merge_sort_block_merge_config_selectorIhNS0_10empty_typeEEEZZNS1_27merge_sort_block_merge_implIS3_PhPS5_jNS1_19radix_merge_compareILb1ELb0EhNS0_19identity_decomposerEEEEE10hipError_tT0_T1_T2_jT3_P12ihipStream_tbPNSt15iterator_traitsISE_E10value_typeEPNSK_ISF_E10value_typeEPSG_NS1_7vsmem_tEENKUlT_SE_SF_SG_E_clIS8_S8_S9_S9_EESD_ST_SE_SF_SG_EUlST_E0_NS1_11comp_targetILNS1_3genE9ELNS1_11target_archE1100ELNS1_3gpuE3ELNS1_3repE0EEENS1_38merge_mergepath_config_static_selectorELNS0_4arch9wavefront6targetE1EEEvSF_
		.amdhsa_group_segment_fixed_size 0
		.amdhsa_private_segment_fixed_size 0
		.amdhsa_kernarg_size 64
		.amdhsa_user_sgpr_count 6
		.amdhsa_user_sgpr_private_segment_buffer 1
		.amdhsa_user_sgpr_dispatch_ptr 0
		.amdhsa_user_sgpr_queue_ptr 0
		.amdhsa_user_sgpr_kernarg_segment_ptr 1
		.amdhsa_user_sgpr_dispatch_id 0
		.amdhsa_user_sgpr_flat_scratch_init 0
		.amdhsa_user_sgpr_kernarg_preload_length 0
		.amdhsa_user_sgpr_kernarg_preload_offset 0
		.amdhsa_user_sgpr_private_segment_size 0
		.amdhsa_uses_dynamic_stack 0
		.amdhsa_system_sgpr_private_segment_wavefront_offset 0
		.amdhsa_system_sgpr_workgroup_id_x 1
		.amdhsa_system_sgpr_workgroup_id_y 0
		.amdhsa_system_sgpr_workgroup_id_z 0
		.amdhsa_system_sgpr_workgroup_info 0
		.amdhsa_system_vgpr_workitem_id 0
		.amdhsa_next_free_vgpr 1
		.amdhsa_next_free_sgpr 0
		.amdhsa_accum_offset 4
		.amdhsa_reserve_vcc 0
		.amdhsa_reserve_flat_scratch 0
		.amdhsa_float_round_mode_32 0
		.amdhsa_float_round_mode_16_64 0
		.amdhsa_float_denorm_mode_32 3
		.amdhsa_float_denorm_mode_16_64 3
		.amdhsa_dx10_clamp 1
		.amdhsa_ieee_mode 1
		.amdhsa_fp16_overflow 0
		.amdhsa_tg_split 0
		.amdhsa_exception_fp_ieee_invalid_op 0
		.amdhsa_exception_fp_denorm_src 0
		.amdhsa_exception_fp_ieee_div_zero 0
		.amdhsa_exception_fp_ieee_overflow 0
		.amdhsa_exception_fp_ieee_underflow 0
		.amdhsa_exception_fp_ieee_inexact 0
		.amdhsa_exception_int_div_zero 0
	.end_amdhsa_kernel
	.section	.text._ZN7rocprim17ROCPRIM_400000_NS6detail17trampoline_kernelINS0_14default_configENS1_38merge_sort_block_merge_config_selectorIhNS0_10empty_typeEEEZZNS1_27merge_sort_block_merge_implIS3_PhPS5_jNS1_19radix_merge_compareILb1ELb0EhNS0_19identity_decomposerEEEEE10hipError_tT0_T1_T2_jT3_P12ihipStream_tbPNSt15iterator_traitsISE_E10value_typeEPNSK_ISF_E10value_typeEPSG_NS1_7vsmem_tEENKUlT_SE_SF_SG_E_clIS8_S8_S9_S9_EESD_ST_SE_SF_SG_EUlST_E0_NS1_11comp_targetILNS1_3genE9ELNS1_11target_archE1100ELNS1_3gpuE3ELNS1_3repE0EEENS1_38merge_mergepath_config_static_selectorELNS0_4arch9wavefront6targetE1EEEvSF_,"axG",@progbits,_ZN7rocprim17ROCPRIM_400000_NS6detail17trampoline_kernelINS0_14default_configENS1_38merge_sort_block_merge_config_selectorIhNS0_10empty_typeEEEZZNS1_27merge_sort_block_merge_implIS3_PhPS5_jNS1_19radix_merge_compareILb1ELb0EhNS0_19identity_decomposerEEEEE10hipError_tT0_T1_T2_jT3_P12ihipStream_tbPNSt15iterator_traitsISE_E10value_typeEPNSK_ISF_E10value_typeEPSG_NS1_7vsmem_tEENKUlT_SE_SF_SG_E_clIS8_S8_S9_S9_EESD_ST_SE_SF_SG_EUlST_E0_NS1_11comp_targetILNS1_3genE9ELNS1_11target_archE1100ELNS1_3gpuE3ELNS1_3repE0EEENS1_38merge_mergepath_config_static_selectorELNS0_4arch9wavefront6targetE1EEEvSF_,comdat
.Lfunc_end1681:
	.size	_ZN7rocprim17ROCPRIM_400000_NS6detail17trampoline_kernelINS0_14default_configENS1_38merge_sort_block_merge_config_selectorIhNS0_10empty_typeEEEZZNS1_27merge_sort_block_merge_implIS3_PhPS5_jNS1_19radix_merge_compareILb1ELb0EhNS0_19identity_decomposerEEEEE10hipError_tT0_T1_T2_jT3_P12ihipStream_tbPNSt15iterator_traitsISE_E10value_typeEPNSK_ISF_E10value_typeEPSG_NS1_7vsmem_tEENKUlT_SE_SF_SG_E_clIS8_S8_S9_S9_EESD_ST_SE_SF_SG_EUlST_E0_NS1_11comp_targetILNS1_3genE9ELNS1_11target_archE1100ELNS1_3gpuE3ELNS1_3repE0EEENS1_38merge_mergepath_config_static_selectorELNS0_4arch9wavefront6targetE1EEEvSF_, .Lfunc_end1681-_ZN7rocprim17ROCPRIM_400000_NS6detail17trampoline_kernelINS0_14default_configENS1_38merge_sort_block_merge_config_selectorIhNS0_10empty_typeEEEZZNS1_27merge_sort_block_merge_implIS3_PhPS5_jNS1_19radix_merge_compareILb1ELb0EhNS0_19identity_decomposerEEEEE10hipError_tT0_T1_T2_jT3_P12ihipStream_tbPNSt15iterator_traitsISE_E10value_typeEPNSK_ISF_E10value_typeEPSG_NS1_7vsmem_tEENKUlT_SE_SF_SG_E_clIS8_S8_S9_S9_EESD_ST_SE_SF_SG_EUlST_E0_NS1_11comp_targetILNS1_3genE9ELNS1_11target_archE1100ELNS1_3gpuE3ELNS1_3repE0EEENS1_38merge_mergepath_config_static_selectorELNS0_4arch9wavefront6targetE1EEEvSF_
                                        ; -- End function
	.section	.AMDGPU.csdata,"",@progbits
; Kernel info:
; codeLenInByte = 0
; NumSgprs: 4
; NumVgprs: 0
; NumAgprs: 0
; TotalNumVgprs: 0
; ScratchSize: 0
; MemoryBound: 0
; FloatMode: 240
; IeeeMode: 1
; LDSByteSize: 0 bytes/workgroup (compile time only)
; SGPRBlocks: 0
; VGPRBlocks: 0
; NumSGPRsForWavesPerEU: 4
; NumVGPRsForWavesPerEU: 1
; AccumOffset: 4
; Occupancy: 8
; WaveLimiterHint : 0
; COMPUTE_PGM_RSRC2:SCRATCH_EN: 0
; COMPUTE_PGM_RSRC2:USER_SGPR: 6
; COMPUTE_PGM_RSRC2:TRAP_HANDLER: 0
; COMPUTE_PGM_RSRC2:TGID_X_EN: 1
; COMPUTE_PGM_RSRC2:TGID_Y_EN: 0
; COMPUTE_PGM_RSRC2:TGID_Z_EN: 0
; COMPUTE_PGM_RSRC2:TIDIG_COMP_CNT: 0
; COMPUTE_PGM_RSRC3_GFX90A:ACCUM_OFFSET: 0
; COMPUTE_PGM_RSRC3_GFX90A:TG_SPLIT: 0
	.section	.text._ZN7rocprim17ROCPRIM_400000_NS6detail17trampoline_kernelINS0_14default_configENS1_38merge_sort_block_merge_config_selectorIhNS0_10empty_typeEEEZZNS1_27merge_sort_block_merge_implIS3_PhPS5_jNS1_19radix_merge_compareILb1ELb0EhNS0_19identity_decomposerEEEEE10hipError_tT0_T1_T2_jT3_P12ihipStream_tbPNSt15iterator_traitsISE_E10value_typeEPNSK_ISF_E10value_typeEPSG_NS1_7vsmem_tEENKUlT_SE_SF_SG_E_clIS8_S8_S9_S9_EESD_ST_SE_SF_SG_EUlST_E0_NS1_11comp_targetILNS1_3genE8ELNS1_11target_archE1030ELNS1_3gpuE2ELNS1_3repE0EEENS1_38merge_mergepath_config_static_selectorELNS0_4arch9wavefront6targetE1EEEvSF_,"axG",@progbits,_ZN7rocprim17ROCPRIM_400000_NS6detail17trampoline_kernelINS0_14default_configENS1_38merge_sort_block_merge_config_selectorIhNS0_10empty_typeEEEZZNS1_27merge_sort_block_merge_implIS3_PhPS5_jNS1_19radix_merge_compareILb1ELb0EhNS0_19identity_decomposerEEEEE10hipError_tT0_T1_T2_jT3_P12ihipStream_tbPNSt15iterator_traitsISE_E10value_typeEPNSK_ISF_E10value_typeEPSG_NS1_7vsmem_tEENKUlT_SE_SF_SG_E_clIS8_S8_S9_S9_EESD_ST_SE_SF_SG_EUlST_E0_NS1_11comp_targetILNS1_3genE8ELNS1_11target_archE1030ELNS1_3gpuE2ELNS1_3repE0EEENS1_38merge_mergepath_config_static_selectorELNS0_4arch9wavefront6targetE1EEEvSF_,comdat
	.protected	_ZN7rocprim17ROCPRIM_400000_NS6detail17trampoline_kernelINS0_14default_configENS1_38merge_sort_block_merge_config_selectorIhNS0_10empty_typeEEEZZNS1_27merge_sort_block_merge_implIS3_PhPS5_jNS1_19radix_merge_compareILb1ELb0EhNS0_19identity_decomposerEEEEE10hipError_tT0_T1_T2_jT3_P12ihipStream_tbPNSt15iterator_traitsISE_E10value_typeEPNSK_ISF_E10value_typeEPSG_NS1_7vsmem_tEENKUlT_SE_SF_SG_E_clIS8_S8_S9_S9_EESD_ST_SE_SF_SG_EUlST_E0_NS1_11comp_targetILNS1_3genE8ELNS1_11target_archE1030ELNS1_3gpuE2ELNS1_3repE0EEENS1_38merge_mergepath_config_static_selectorELNS0_4arch9wavefront6targetE1EEEvSF_ ; -- Begin function _ZN7rocprim17ROCPRIM_400000_NS6detail17trampoline_kernelINS0_14default_configENS1_38merge_sort_block_merge_config_selectorIhNS0_10empty_typeEEEZZNS1_27merge_sort_block_merge_implIS3_PhPS5_jNS1_19radix_merge_compareILb1ELb0EhNS0_19identity_decomposerEEEEE10hipError_tT0_T1_T2_jT3_P12ihipStream_tbPNSt15iterator_traitsISE_E10value_typeEPNSK_ISF_E10value_typeEPSG_NS1_7vsmem_tEENKUlT_SE_SF_SG_E_clIS8_S8_S9_S9_EESD_ST_SE_SF_SG_EUlST_E0_NS1_11comp_targetILNS1_3genE8ELNS1_11target_archE1030ELNS1_3gpuE2ELNS1_3repE0EEENS1_38merge_mergepath_config_static_selectorELNS0_4arch9wavefront6targetE1EEEvSF_
	.globl	_ZN7rocprim17ROCPRIM_400000_NS6detail17trampoline_kernelINS0_14default_configENS1_38merge_sort_block_merge_config_selectorIhNS0_10empty_typeEEEZZNS1_27merge_sort_block_merge_implIS3_PhPS5_jNS1_19radix_merge_compareILb1ELb0EhNS0_19identity_decomposerEEEEE10hipError_tT0_T1_T2_jT3_P12ihipStream_tbPNSt15iterator_traitsISE_E10value_typeEPNSK_ISF_E10value_typeEPSG_NS1_7vsmem_tEENKUlT_SE_SF_SG_E_clIS8_S8_S9_S9_EESD_ST_SE_SF_SG_EUlST_E0_NS1_11comp_targetILNS1_3genE8ELNS1_11target_archE1030ELNS1_3gpuE2ELNS1_3repE0EEENS1_38merge_mergepath_config_static_selectorELNS0_4arch9wavefront6targetE1EEEvSF_
	.p2align	8
	.type	_ZN7rocprim17ROCPRIM_400000_NS6detail17trampoline_kernelINS0_14default_configENS1_38merge_sort_block_merge_config_selectorIhNS0_10empty_typeEEEZZNS1_27merge_sort_block_merge_implIS3_PhPS5_jNS1_19radix_merge_compareILb1ELb0EhNS0_19identity_decomposerEEEEE10hipError_tT0_T1_T2_jT3_P12ihipStream_tbPNSt15iterator_traitsISE_E10value_typeEPNSK_ISF_E10value_typeEPSG_NS1_7vsmem_tEENKUlT_SE_SF_SG_E_clIS8_S8_S9_S9_EESD_ST_SE_SF_SG_EUlST_E0_NS1_11comp_targetILNS1_3genE8ELNS1_11target_archE1030ELNS1_3gpuE2ELNS1_3repE0EEENS1_38merge_mergepath_config_static_selectorELNS0_4arch9wavefront6targetE1EEEvSF_,@function
_ZN7rocprim17ROCPRIM_400000_NS6detail17trampoline_kernelINS0_14default_configENS1_38merge_sort_block_merge_config_selectorIhNS0_10empty_typeEEEZZNS1_27merge_sort_block_merge_implIS3_PhPS5_jNS1_19radix_merge_compareILb1ELb0EhNS0_19identity_decomposerEEEEE10hipError_tT0_T1_T2_jT3_P12ihipStream_tbPNSt15iterator_traitsISE_E10value_typeEPNSK_ISF_E10value_typeEPSG_NS1_7vsmem_tEENKUlT_SE_SF_SG_E_clIS8_S8_S9_S9_EESD_ST_SE_SF_SG_EUlST_E0_NS1_11comp_targetILNS1_3genE8ELNS1_11target_archE1030ELNS1_3gpuE2ELNS1_3repE0EEENS1_38merge_mergepath_config_static_selectorELNS0_4arch9wavefront6targetE1EEEvSF_: ; @_ZN7rocprim17ROCPRIM_400000_NS6detail17trampoline_kernelINS0_14default_configENS1_38merge_sort_block_merge_config_selectorIhNS0_10empty_typeEEEZZNS1_27merge_sort_block_merge_implIS3_PhPS5_jNS1_19radix_merge_compareILb1ELb0EhNS0_19identity_decomposerEEEEE10hipError_tT0_T1_T2_jT3_P12ihipStream_tbPNSt15iterator_traitsISE_E10value_typeEPNSK_ISF_E10value_typeEPSG_NS1_7vsmem_tEENKUlT_SE_SF_SG_E_clIS8_S8_S9_S9_EESD_ST_SE_SF_SG_EUlST_E0_NS1_11comp_targetILNS1_3genE8ELNS1_11target_archE1030ELNS1_3gpuE2ELNS1_3repE0EEENS1_38merge_mergepath_config_static_selectorELNS0_4arch9wavefront6targetE1EEEvSF_
; %bb.0:
	.section	.rodata,"a",@progbits
	.p2align	6, 0x0
	.amdhsa_kernel _ZN7rocprim17ROCPRIM_400000_NS6detail17trampoline_kernelINS0_14default_configENS1_38merge_sort_block_merge_config_selectorIhNS0_10empty_typeEEEZZNS1_27merge_sort_block_merge_implIS3_PhPS5_jNS1_19radix_merge_compareILb1ELb0EhNS0_19identity_decomposerEEEEE10hipError_tT0_T1_T2_jT3_P12ihipStream_tbPNSt15iterator_traitsISE_E10value_typeEPNSK_ISF_E10value_typeEPSG_NS1_7vsmem_tEENKUlT_SE_SF_SG_E_clIS8_S8_S9_S9_EESD_ST_SE_SF_SG_EUlST_E0_NS1_11comp_targetILNS1_3genE8ELNS1_11target_archE1030ELNS1_3gpuE2ELNS1_3repE0EEENS1_38merge_mergepath_config_static_selectorELNS0_4arch9wavefront6targetE1EEEvSF_
		.amdhsa_group_segment_fixed_size 0
		.amdhsa_private_segment_fixed_size 0
		.amdhsa_kernarg_size 64
		.amdhsa_user_sgpr_count 6
		.amdhsa_user_sgpr_private_segment_buffer 1
		.amdhsa_user_sgpr_dispatch_ptr 0
		.amdhsa_user_sgpr_queue_ptr 0
		.amdhsa_user_sgpr_kernarg_segment_ptr 1
		.amdhsa_user_sgpr_dispatch_id 0
		.amdhsa_user_sgpr_flat_scratch_init 0
		.amdhsa_user_sgpr_kernarg_preload_length 0
		.amdhsa_user_sgpr_kernarg_preload_offset 0
		.amdhsa_user_sgpr_private_segment_size 0
		.amdhsa_uses_dynamic_stack 0
		.amdhsa_system_sgpr_private_segment_wavefront_offset 0
		.amdhsa_system_sgpr_workgroup_id_x 1
		.amdhsa_system_sgpr_workgroup_id_y 0
		.amdhsa_system_sgpr_workgroup_id_z 0
		.amdhsa_system_sgpr_workgroup_info 0
		.amdhsa_system_vgpr_workitem_id 0
		.amdhsa_next_free_vgpr 1
		.amdhsa_next_free_sgpr 0
		.amdhsa_accum_offset 4
		.amdhsa_reserve_vcc 0
		.amdhsa_reserve_flat_scratch 0
		.amdhsa_float_round_mode_32 0
		.amdhsa_float_round_mode_16_64 0
		.amdhsa_float_denorm_mode_32 3
		.amdhsa_float_denorm_mode_16_64 3
		.amdhsa_dx10_clamp 1
		.amdhsa_ieee_mode 1
		.amdhsa_fp16_overflow 0
		.amdhsa_tg_split 0
		.amdhsa_exception_fp_ieee_invalid_op 0
		.amdhsa_exception_fp_denorm_src 0
		.amdhsa_exception_fp_ieee_div_zero 0
		.amdhsa_exception_fp_ieee_overflow 0
		.amdhsa_exception_fp_ieee_underflow 0
		.amdhsa_exception_fp_ieee_inexact 0
		.amdhsa_exception_int_div_zero 0
	.end_amdhsa_kernel
	.section	.text._ZN7rocprim17ROCPRIM_400000_NS6detail17trampoline_kernelINS0_14default_configENS1_38merge_sort_block_merge_config_selectorIhNS0_10empty_typeEEEZZNS1_27merge_sort_block_merge_implIS3_PhPS5_jNS1_19radix_merge_compareILb1ELb0EhNS0_19identity_decomposerEEEEE10hipError_tT0_T1_T2_jT3_P12ihipStream_tbPNSt15iterator_traitsISE_E10value_typeEPNSK_ISF_E10value_typeEPSG_NS1_7vsmem_tEENKUlT_SE_SF_SG_E_clIS8_S8_S9_S9_EESD_ST_SE_SF_SG_EUlST_E0_NS1_11comp_targetILNS1_3genE8ELNS1_11target_archE1030ELNS1_3gpuE2ELNS1_3repE0EEENS1_38merge_mergepath_config_static_selectorELNS0_4arch9wavefront6targetE1EEEvSF_,"axG",@progbits,_ZN7rocprim17ROCPRIM_400000_NS6detail17trampoline_kernelINS0_14default_configENS1_38merge_sort_block_merge_config_selectorIhNS0_10empty_typeEEEZZNS1_27merge_sort_block_merge_implIS3_PhPS5_jNS1_19radix_merge_compareILb1ELb0EhNS0_19identity_decomposerEEEEE10hipError_tT0_T1_T2_jT3_P12ihipStream_tbPNSt15iterator_traitsISE_E10value_typeEPNSK_ISF_E10value_typeEPSG_NS1_7vsmem_tEENKUlT_SE_SF_SG_E_clIS8_S8_S9_S9_EESD_ST_SE_SF_SG_EUlST_E0_NS1_11comp_targetILNS1_3genE8ELNS1_11target_archE1030ELNS1_3gpuE2ELNS1_3repE0EEENS1_38merge_mergepath_config_static_selectorELNS0_4arch9wavefront6targetE1EEEvSF_,comdat
.Lfunc_end1682:
	.size	_ZN7rocprim17ROCPRIM_400000_NS6detail17trampoline_kernelINS0_14default_configENS1_38merge_sort_block_merge_config_selectorIhNS0_10empty_typeEEEZZNS1_27merge_sort_block_merge_implIS3_PhPS5_jNS1_19radix_merge_compareILb1ELb0EhNS0_19identity_decomposerEEEEE10hipError_tT0_T1_T2_jT3_P12ihipStream_tbPNSt15iterator_traitsISE_E10value_typeEPNSK_ISF_E10value_typeEPSG_NS1_7vsmem_tEENKUlT_SE_SF_SG_E_clIS8_S8_S9_S9_EESD_ST_SE_SF_SG_EUlST_E0_NS1_11comp_targetILNS1_3genE8ELNS1_11target_archE1030ELNS1_3gpuE2ELNS1_3repE0EEENS1_38merge_mergepath_config_static_selectorELNS0_4arch9wavefront6targetE1EEEvSF_, .Lfunc_end1682-_ZN7rocprim17ROCPRIM_400000_NS6detail17trampoline_kernelINS0_14default_configENS1_38merge_sort_block_merge_config_selectorIhNS0_10empty_typeEEEZZNS1_27merge_sort_block_merge_implIS3_PhPS5_jNS1_19radix_merge_compareILb1ELb0EhNS0_19identity_decomposerEEEEE10hipError_tT0_T1_T2_jT3_P12ihipStream_tbPNSt15iterator_traitsISE_E10value_typeEPNSK_ISF_E10value_typeEPSG_NS1_7vsmem_tEENKUlT_SE_SF_SG_E_clIS8_S8_S9_S9_EESD_ST_SE_SF_SG_EUlST_E0_NS1_11comp_targetILNS1_3genE8ELNS1_11target_archE1030ELNS1_3gpuE2ELNS1_3repE0EEENS1_38merge_mergepath_config_static_selectorELNS0_4arch9wavefront6targetE1EEEvSF_
                                        ; -- End function
	.section	.AMDGPU.csdata,"",@progbits
; Kernel info:
; codeLenInByte = 0
; NumSgprs: 4
; NumVgprs: 0
; NumAgprs: 0
; TotalNumVgprs: 0
; ScratchSize: 0
; MemoryBound: 0
; FloatMode: 240
; IeeeMode: 1
; LDSByteSize: 0 bytes/workgroup (compile time only)
; SGPRBlocks: 0
; VGPRBlocks: 0
; NumSGPRsForWavesPerEU: 4
; NumVGPRsForWavesPerEU: 1
; AccumOffset: 4
; Occupancy: 8
; WaveLimiterHint : 0
; COMPUTE_PGM_RSRC2:SCRATCH_EN: 0
; COMPUTE_PGM_RSRC2:USER_SGPR: 6
; COMPUTE_PGM_RSRC2:TRAP_HANDLER: 0
; COMPUTE_PGM_RSRC2:TGID_X_EN: 1
; COMPUTE_PGM_RSRC2:TGID_Y_EN: 0
; COMPUTE_PGM_RSRC2:TGID_Z_EN: 0
; COMPUTE_PGM_RSRC2:TIDIG_COMP_CNT: 0
; COMPUTE_PGM_RSRC3_GFX90A:ACCUM_OFFSET: 0
; COMPUTE_PGM_RSRC3_GFX90A:TG_SPLIT: 0
	.section	.text._ZN7rocprim17ROCPRIM_400000_NS6detail17trampoline_kernelINS0_14default_configENS1_38merge_sort_block_merge_config_selectorIhNS0_10empty_typeEEEZZNS1_27merge_sort_block_merge_implIS3_PhPS5_jNS1_19radix_merge_compareILb1ELb0EhNS0_19identity_decomposerEEEEE10hipError_tT0_T1_T2_jT3_P12ihipStream_tbPNSt15iterator_traitsISE_E10value_typeEPNSK_ISF_E10value_typeEPSG_NS1_7vsmem_tEENKUlT_SE_SF_SG_E_clIS8_S8_S9_S9_EESD_ST_SE_SF_SG_EUlST_E1_NS1_11comp_targetILNS1_3genE0ELNS1_11target_archE4294967295ELNS1_3gpuE0ELNS1_3repE0EEENS1_36merge_oddeven_config_static_selectorELNS0_4arch9wavefront6targetE1EEEvSF_,"axG",@progbits,_ZN7rocprim17ROCPRIM_400000_NS6detail17trampoline_kernelINS0_14default_configENS1_38merge_sort_block_merge_config_selectorIhNS0_10empty_typeEEEZZNS1_27merge_sort_block_merge_implIS3_PhPS5_jNS1_19radix_merge_compareILb1ELb0EhNS0_19identity_decomposerEEEEE10hipError_tT0_T1_T2_jT3_P12ihipStream_tbPNSt15iterator_traitsISE_E10value_typeEPNSK_ISF_E10value_typeEPSG_NS1_7vsmem_tEENKUlT_SE_SF_SG_E_clIS8_S8_S9_S9_EESD_ST_SE_SF_SG_EUlST_E1_NS1_11comp_targetILNS1_3genE0ELNS1_11target_archE4294967295ELNS1_3gpuE0ELNS1_3repE0EEENS1_36merge_oddeven_config_static_selectorELNS0_4arch9wavefront6targetE1EEEvSF_,comdat
	.protected	_ZN7rocprim17ROCPRIM_400000_NS6detail17trampoline_kernelINS0_14default_configENS1_38merge_sort_block_merge_config_selectorIhNS0_10empty_typeEEEZZNS1_27merge_sort_block_merge_implIS3_PhPS5_jNS1_19radix_merge_compareILb1ELb0EhNS0_19identity_decomposerEEEEE10hipError_tT0_T1_T2_jT3_P12ihipStream_tbPNSt15iterator_traitsISE_E10value_typeEPNSK_ISF_E10value_typeEPSG_NS1_7vsmem_tEENKUlT_SE_SF_SG_E_clIS8_S8_S9_S9_EESD_ST_SE_SF_SG_EUlST_E1_NS1_11comp_targetILNS1_3genE0ELNS1_11target_archE4294967295ELNS1_3gpuE0ELNS1_3repE0EEENS1_36merge_oddeven_config_static_selectorELNS0_4arch9wavefront6targetE1EEEvSF_ ; -- Begin function _ZN7rocprim17ROCPRIM_400000_NS6detail17trampoline_kernelINS0_14default_configENS1_38merge_sort_block_merge_config_selectorIhNS0_10empty_typeEEEZZNS1_27merge_sort_block_merge_implIS3_PhPS5_jNS1_19radix_merge_compareILb1ELb0EhNS0_19identity_decomposerEEEEE10hipError_tT0_T1_T2_jT3_P12ihipStream_tbPNSt15iterator_traitsISE_E10value_typeEPNSK_ISF_E10value_typeEPSG_NS1_7vsmem_tEENKUlT_SE_SF_SG_E_clIS8_S8_S9_S9_EESD_ST_SE_SF_SG_EUlST_E1_NS1_11comp_targetILNS1_3genE0ELNS1_11target_archE4294967295ELNS1_3gpuE0ELNS1_3repE0EEENS1_36merge_oddeven_config_static_selectorELNS0_4arch9wavefront6targetE1EEEvSF_
	.globl	_ZN7rocprim17ROCPRIM_400000_NS6detail17trampoline_kernelINS0_14default_configENS1_38merge_sort_block_merge_config_selectorIhNS0_10empty_typeEEEZZNS1_27merge_sort_block_merge_implIS3_PhPS5_jNS1_19radix_merge_compareILb1ELb0EhNS0_19identity_decomposerEEEEE10hipError_tT0_T1_T2_jT3_P12ihipStream_tbPNSt15iterator_traitsISE_E10value_typeEPNSK_ISF_E10value_typeEPSG_NS1_7vsmem_tEENKUlT_SE_SF_SG_E_clIS8_S8_S9_S9_EESD_ST_SE_SF_SG_EUlST_E1_NS1_11comp_targetILNS1_3genE0ELNS1_11target_archE4294967295ELNS1_3gpuE0ELNS1_3repE0EEENS1_36merge_oddeven_config_static_selectorELNS0_4arch9wavefront6targetE1EEEvSF_
	.p2align	8
	.type	_ZN7rocprim17ROCPRIM_400000_NS6detail17trampoline_kernelINS0_14default_configENS1_38merge_sort_block_merge_config_selectorIhNS0_10empty_typeEEEZZNS1_27merge_sort_block_merge_implIS3_PhPS5_jNS1_19radix_merge_compareILb1ELb0EhNS0_19identity_decomposerEEEEE10hipError_tT0_T1_T2_jT3_P12ihipStream_tbPNSt15iterator_traitsISE_E10value_typeEPNSK_ISF_E10value_typeEPSG_NS1_7vsmem_tEENKUlT_SE_SF_SG_E_clIS8_S8_S9_S9_EESD_ST_SE_SF_SG_EUlST_E1_NS1_11comp_targetILNS1_3genE0ELNS1_11target_archE4294967295ELNS1_3gpuE0ELNS1_3repE0EEENS1_36merge_oddeven_config_static_selectorELNS0_4arch9wavefront6targetE1EEEvSF_,@function
_ZN7rocprim17ROCPRIM_400000_NS6detail17trampoline_kernelINS0_14default_configENS1_38merge_sort_block_merge_config_selectorIhNS0_10empty_typeEEEZZNS1_27merge_sort_block_merge_implIS3_PhPS5_jNS1_19radix_merge_compareILb1ELb0EhNS0_19identity_decomposerEEEEE10hipError_tT0_T1_T2_jT3_P12ihipStream_tbPNSt15iterator_traitsISE_E10value_typeEPNSK_ISF_E10value_typeEPSG_NS1_7vsmem_tEENKUlT_SE_SF_SG_E_clIS8_S8_S9_S9_EESD_ST_SE_SF_SG_EUlST_E1_NS1_11comp_targetILNS1_3genE0ELNS1_11target_archE4294967295ELNS1_3gpuE0ELNS1_3repE0EEENS1_36merge_oddeven_config_static_selectorELNS0_4arch9wavefront6targetE1EEEvSF_: ; @_ZN7rocprim17ROCPRIM_400000_NS6detail17trampoline_kernelINS0_14default_configENS1_38merge_sort_block_merge_config_selectorIhNS0_10empty_typeEEEZZNS1_27merge_sort_block_merge_implIS3_PhPS5_jNS1_19radix_merge_compareILb1ELb0EhNS0_19identity_decomposerEEEEE10hipError_tT0_T1_T2_jT3_P12ihipStream_tbPNSt15iterator_traitsISE_E10value_typeEPNSK_ISF_E10value_typeEPSG_NS1_7vsmem_tEENKUlT_SE_SF_SG_E_clIS8_S8_S9_S9_EESD_ST_SE_SF_SG_EUlST_E1_NS1_11comp_targetILNS1_3genE0ELNS1_11target_archE4294967295ELNS1_3gpuE0ELNS1_3repE0EEENS1_36merge_oddeven_config_static_selectorELNS0_4arch9wavefront6targetE1EEEvSF_
; %bb.0:
	.section	.rodata,"a",@progbits
	.p2align	6, 0x0
	.amdhsa_kernel _ZN7rocprim17ROCPRIM_400000_NS6detail17trampoline_kernelINS0_14default_configENS1_38merge_sort_block_merge_config_selectorIhNS0_10empty_typeEEEZZNS1_27merge_sort_block_merge_implIS3_PhPS5_jNS1_19radix_merge_compareILb1ELb0EhNS0_19identity_decomposerEEEEE10hipError_tT0_T1_T2_jT3_P12ihipStream_tbPNSt15iterator_traitsISE_E10value_typeEPNSK_ISF_E10value_typeEPSG_NS1_7vsmem_tEENKUlT_SE_SF_SG_E_clIS8_S8_S9_S9_EESD_ST_SE_SF_SG_EUlST_E1_NS1_11comp_targetILNS1_3genE0ELNS1_11target_archE4294967295ELNS1_3gpuE0ELNS1_3repE0EEENS1_36merge_oddeven_config_static_selectorELNS0_4arch9wavefront6targetE1EEEvSF_
		.amdhsa_group_segment_fixed_size 0
		.amdhsa_private_segment_fixed_size 0
		.amdhsa_kernarg_size 48
		.amdhsa_user_sgpr_count 6
		.amdhsa_user_sgpr_private_segment_buffer 1
		.amdhsa_user_sgpr_dispatch_ptr 0
		.amdhsa_user_sgpr_queue_ptr 0
		.amdhsa_user_sgpr_kernarg_segment_ptr 1
		.amdhsa_user_sgpr_dispatch_id 0
		.amdhsa_user_sgpr_flat_scratch_init 0
		.amdhsa_user_sgpr_kernarg_preload_length 0
		.amdhsa_user_sgpr_kernarg_preload_offset 0
		.amdhsa_user_sgpr_private_segment_size 0
		.amdhsa_uses_dynamic_stack 0
		.amdhsa_system_sgpr_private_segment_wavefront_offset 0
		.amdhsa_system_sgpr_workgroup_id_x 1
		.amdhsa_system_sgpr_workgroup_id_y 0
		.amdhsa_system_sgpr_workgroup_id_z 0
		.amdhsa_system_sgpr_workgroup_info 0
		.amdhsa_system_vgpr_workitem_id 0
		.amdhsa_next_free_vgpr 1
		.amdhsa_next_free_sgpr 0
		.amdhsa_accum_offset 4
		.amdhsa_reserve_vcc 0
		.amdhsa_reserve_flat_scratch 0
		.amdhsa_float_round_mode_32 0
		.amdhsa_float_round_mode_16_64 0
		.amdhsa_float_denorm_mode_32 3
		.amdhsa_float_denorm_mode_16_64 3
		.amdhsa_dx10_clamp 1
		.amdhsa_ieee_mode 1
		.amdhsa_fp16_overflow 0
		.amdhsa_tg_split 0
		.amdhsa_exception_fp_ieee_invalid_op 0
		.amdhsa_exception_fp_denorm_src 0
		.amdhsa_exception_fp_ieee_div_zero 0
		.amdhsa_exception_fp_ieee_overflow 0
		.amdhsa_exception_fp_ieee_underflow 0
		.amdhsa_exception_fp_ieee_inexact 0
		.amdhsa_exception_int_div_zero 0
	.end_amdhsa_kernel
	.section	.text._ZN7rocprim17ROCPRIM_400000_NS6detail17trampoline_kernelINS0_14default_configENS1_38merge_sort_block_merge_config_selectorIhNS0_10empty_typeEEEZZNS1_27merge_sort_block_merge_implIS3_PhPS5_jNS1_19radix_merge_compareILb1ELb0EhNS0_19identity_decomposerEEEEE10hipError_tT0_T1_T2_jT3_P12ihipStream_tbPNSt15iterator_traitsISE_E10value_typeEPNSK_ISF_E10value_typeEPSG_NS1_7vsmem_tEENKUlT_SE_SF_SG_E_clIS8_S8_S9_S9_EESD_ST_SE_SF_SG_EUlST_E1_NS1_11comp_targetILNS1_3genE0ELNS1_11target_archE4294967295ELNS1_3gpuE0ELNS1_3repE0EEENS1_36merge_oddeven_config_static_selectorELNS0_4arch9wavefront6targetE1EEEvSF_,"axG",@progbits,_ZN7rocprim17ROCPRIM_400000_NS6detail17trampoline_kernelINS0_14default_configENS1_38merge_sort_block_merge_config_selectorIhNS0_10empty_typeEEEZZNS1_27merge_sort_block_merge_implIS3_PhPS5_jNS1_19radix_merge_compareILb1ELb0EhNS0_19identity_decomposerEEEEE10hipError_tT0_T1_T2_jT3_P12ihipStream_tbPNSt15iterator_traitsISE_E10value_typeEPNSK_ISF_E10value_typeEPSG_NS1_7vsmem_tEENKUlT_SE_SF_SG_E_clIS8_S8_S9_S9_EESD_ST_SE_SF_SG_EUlST_E1_NS1_11comp_targetILNS1_3genE0ELNS1_11target_archE4294967295ELNS1_3gpuE0ELNS1_3repE0EEENS1_36merge_oddeven_config_static_selectorELNS0_4arch9wavefront6targetE1EEEvSF_,comdat
.Lfunc_end1683:
	.size	_ZN7rocprim17ROCPRIM_400000_NS6detail17trampoline_kernelINS0_14default_configENS1_38merge_sort_block_merge_config_selectorIhNS0_10empty_typeEEEZZNS1_27merge_sort_block_merge_implIS3_PhPS5_jNS1_19radix_merge_compareILb1ELb0EhNS0_19identity_decomposerEEEEE10hipError_tT0_T1_T2_jT3_P12ihipStream_tbPNSt15iterator_traitsISE_E10value_typeEPNSK_ISF_E10value_typeEPSG_NS1_7vsmem_tEENKUlT_SE_SF_SG_E_clIS8_S8_S9_S9_EESD_ST_SE_SF_SG_EUlST_E1_NS1_11comp_targetILNS1_3genE0ELNS1_11target_archE4294967295ELNS1_3gpuE0ELNS1_3repE0EEENS1_36merge_oddeven_config_static_selectorELNS0_4arch9wavefront6targetE1EEEvSF_, .Lfunc_end1683-_ZN7rocprim17ROCPRIM_400000_NS6detail17trampoline_kernelINS0_14default_configENS1_38merge_sort_block_merge_config_selectorIhNS0_10empty_typeEEEZZNS1_27merge_sort_block_merge_implIS3_PhPS5_jNS1_19radix_merge_compareILb1ELb0EhNS0_19identity_decomposerEEEEE10hipError_tT0_T1_T2_jT3_P12ihipStream_tbPNSt15iterator_traitsISE_E10value_typeEPNSK_ISF_E10value_typeEPSG_NS1_7vsmem_tEENKUlT_SE_SF_SG_E_clIS8_S8_S9_S9_EESD_ST_SE_SF_SG_EUlST_E1_NS1_11comp_targetILNS1_3genE0ELNS1_11target_archE4294967295ELNS1_3gpuE0ELNS1_3repE0EEENS1_36merge_oddeven_config_static_selectorELNS0_4arch9wavefront6targetE1EEEvSF_
                                        ; -- End function
	.section	.AMDGPU.csdata,"",@progbits
; Kernel info:
; codeLenInByte = 0
; NumSgprs: 4
; NumVgprs: 0
; NumAgprs: 0
; TotalNumVgprs: 0
; ScratchSize: 0
; MemoryBound: 0
; FloatMode: 240
; IeeeMode: 1
; LDSByteSize: 0 bytes/workgroup (compile time only)
; SGPRBlocks: 0
; VGPRBlocks: 0
; NumSGPRsForWavesPerEU: 4
; NumVGPRsForWavesPerEU: 1
; AccumOffset: 4
; Occupancy: 8
; WaveLimiterHint : 0
; COMPUTE_PGM_RSRC2:SCRATCH_EN: 0
; COMPUTE_PGM_RSRC2:USER_SGPR: 6
; COMPUTE_PGM_RSRC2:TRAP_HANDLER: 0
; COMPUTE_PGM_RSRC2:TGID_X_EN: 1
; COMPUTE_PGM_RSRC2:TGID_Y_EN: 0
; COMPUTE_PGM_RSRC2:TGID_Z_EN: 0
; COMPUTE_PGM_RSRC2:TIDIG_COMP_CNT: 0
; COMPUTE_PGM_RSRC3_GFX90A:ACCUM_OFFSET: 0
; COMPUTE_PGM_RSRC3_GFX90A:TG_SPLIT: 0
	.section	.text._ZN7rocprim17ROCPRIM_400000_NS6detail17trampoline_kernelINS0_14default_configENS1_38merge_sort_block_merge_config_selectorIhNS0_10empty_typeEEEZZNS1_27merge_sort_block_merge_implIS3_PhPS5_jNS1_19radix_merge_compareILb1ELb0EhNS0_19identity_decomposerEEEEE10hipError_tT0_T1_T2_jT3_P12ihipStream_tbPNSt15iterator_traitsISE_E10value_typeEPNSK_ISF_E10value_typeEPSG_NS1_7vsmem_tEENKUlT_SE_SF_SG_E_clIS8_S8_S9_S9_EESD_ST_SE_SF_SG_EUlST_E1_NS1_11comp_targetILNS1_3genE10ELNS1_11target_archE1201ELNS1_3gpuE5ELNS1_3repE0EEENS1_36merge_oddeven_config_static_selectorELNS0_4arch9wavefront6targetE1EEEvSF_,"axG",@progbits,_ZN7rocprim17ROCPRIM_400000_NS6detail17trampoline_kernelINS0_14default_configENS1_38merge_sort_block_merge_config_selectorIhNS0_10empty_typeEEEZZNS1_27merge_sort_block_merge_implIS3_PhPS5_jNS1_19radix_merge_compareILb1ELb0EhNS0_19identity_decomposerEEEEE10hipError_tT0_T1_T2_jT3_P12ihipStream_tbPNSt15iterator_traitsISE_E10value_typeEPNSK_ISF_E10value_typeEPSG_NS1_7vsmem_tEENKUlT_SE_SF_SG_E_clIS8_S8_S9_S9_EESD_ST_SE_SF_SG_EUlST_E1_NS1_11comp_targetILNS1_3genE10ELNS1_11target_archE1201ELNS1_3gpuE5ELNS1_3repE0EEENS1_36merge_oddeven_config_static_selectorELNS0_4arch9wavefront6targetE1EEEvSF_,comdat
	.protected	_ZN7rocprim17ROCPRIM_400000_NS6detail17trampoline_kernelINS0_14default_configENS1_38merge_sort_block_merge_config_selectorIhNS0_10empty_typeEEEZZNS1_27merge_sort_block_merge_implIS3_PhPS5_jNS1_19radix_merge_compareILb1ELb0EhNS0_19identity_decomposerEEEEE10hipError_tT0_T1_T2_jT3_P12ihipStream_tbPNSt15iterator_traitsISE_E10value_typeEPNSK_ISF_E10value_typeEPSG_NS1_7vsmem_tEENKUlT_SE_SF_SG_E_clIS8_S8_S9_S9_EESD_ST_SE_SF_SG_EUlST_E1_NS1_11comp_targetILNS1_3genE10ELNS1_11target_archE1201ELNS1_3gpuE5ELNS1_3repE0EEENS1_36merge_oddeven_config_static_selectorELNS0_4arch9wavefront6targetE1EEEvSF_ ; -- Begin function _ZN7rocprim17ROCPRIM_400000_NS6detail17trampoline_kernelINS0_14default_configENS1_38merge_sort_block_merge_config_selectorIhNS0_10empty_typeEEEZZNS1_27merge_sort_block_merge_implIS3_PhPS5_jNS1_19radix_merge_compareILb1ELb0EhNS0_19identity_decomposerEEEEE10hipError_tT0_T1_T2_jT3_P12ihipStream_tbPNSt15iterator_traitsISE_E10value_typeEPNSK_ISF_E10value_typeEPSG_NS1_7vsmem_tEENKUlT_SE_SF_SG_E_clIS8_S8_S9_S9_EESD_ST_SE_SF_SG_EUlST_E1_NS1_11comp_targetILNS1_3genE10ELNS1_11target_archE1201ELNS1_3gpuE5ELNS1_3repE0EEENS1_36merge_oddeven_config_static_selectorELNS0_4arch9wavefront6targetE1EEEvSF_
	.globl	_ZN7rocprim17ROCPRIM_400000_NS6detail17trampoline_kernelINS0_14default_configENS1_38merge_sort_block_merge_config_selectorIhNS0_10empty_typeEEEZZNS1_27merge_sort_block_merge_implIS3_PhPS5_jNS1_19radix_merge_compareILb1ELb0EhNS0_19identity_decomposerEEEEE10hipError_tT0_T1_T2_jT3_P12ihipStream_tbPNSt15iterator_traitsISE_E10value_typeEPNSK_ISF_E10value_typeEPSG_NS1_7vsmem_tEENKUlT_SE_SF_SG_E_clIS8_S8_S9_S9_EESD_ST_SE_SF_SG_EUlST_E1_NS1_11comp_targetILNS1_3genE10ELNS1_11target_archE1201ELNS1_3gpuE5ELNS1_3repE0EEENS1_36merge_oddeven_config_static_selectorELNS0_4arch9wavefront6targetE1EEEvSF_
	.p2align	8
	.type	_ZN7rocprim17ROCPRIM_400000_NS6detail17trampoline_kernelINS0_14default_configENS1_38merge_sort_block_merge_config_selectorIhNS0_10empty_typeEEEZZNS1_27merge_sort_block_merge_implIS3_PhPS5_jNS1_19radix_merge_compareILb1ELb0EhNS0_19identity_decomposerEEEEE10hipError_tT0_T1_T2_jT3_P12ihipStream_tbPNSt15iterator_traitsISE_E10value_typeEPNSK_ISF_E10value_typeEPSG_NS1_7vsmem_tEENKUlT_SE_SF_SG_E_clIS8_S8_S9_S9_EESD_ST_SE_SF_SG_EUlST_E1_NS1_11comp_targetILNS1_3genE10ELNS1_11target_archE1201ELNS1_3gpuE5ELNS1_3repE0EEENS1_36merge_oddeven_config_static_selectorELNS0_4arch9wavefront6targetE1EEEvSF_,@function
_ZN7rocprim17ROCPRIM_400000_NS6detail17trampoline_kernelINS0_14default_configENS1_38merge_sort_block_merge_config_selectorIhNS0_10empty_typeEEEZZNS1_27merge_sort_block_merge_implIS3_PhPS5_jNS1_19radix_merge_compareILb1ELb0EhNS0_19identity_decomposerEEEEE10hipError_tT0_T1_T2_jT3_P12ihipStream_tbPNSt15iterator_traitsISE_E10value_typeEPNSK_ISF_E10value_typeEPSG_NS1_7vsmem_tEENKUlT_SE_SF_SG_E_clIS8_S8_S9_S9_EESD_ST_SE_SF_SG_EUlST_E1_NS1_11comp_targetILNS1_3genE10ELNS1_11target_archE1201ELNS1_3gpuE5ELNS1_3repE0EEENS1_36merge_oddeven_config_static_selectorELNS0_4arch9wavefront6targetE1EEEvSF_: ; @_ZN7rocprim17ROCPRIM_400000_NS6detail17trampoline_kernelINS0_14default_configENS1_38merge_sort_block_merge_config_selectorIhNS0_10empty_typeEEEZZNS1_27merge_sort_block_merge_implIS3_PhPS5_jNS1_19radix_merge_compareILb1ELb0EhNS0_19identity_decomposerEEEEE10hipError_tT0_T1_T2_jT3_P12ihipStream_tbPNSt15iterator_traitsISE_E10value_typeEPNSK_ISF_E10value_typeEPSG_NS1_7vsmem_tEENKUlT_SE_SF_SG_E_clIS8_S8_S9_S9_EESD_ST_SE_SF_SG_EUlST_E1_NS1_11comp_targetILNS1_3genE10ELNS1_11target_archE1201ELNS1_3gpuE5ELNS1_3repE0EEENS1_36merge_oddeven_config_static_selectorELNS0_4arch9wavefront6targetE1EEEvSF_
; %bb.0:
	.section	.rodata,"a",@progbits
	.p2align	6, 0x0
	.amdhsa_kernel _ZN7rocprim17ROCPRIM_400000_NS6detail17trampoline_kernelINS0_14default_configENS1_38merge_sort_block_merge_config_selectorIhNS0_10empty_typeEEEZZNS1_27merge_sort_block_merge_implIS3_PhPS5_jNS1_19radix_merge_compareILb1ELb0EhNS0_19identity_decomposerEEEEE10hipError_tT0_T1_T2_jT3_P12ihipStream_tbPNSt15iterator_traitsISE_E10value_typeEPNSK_ISF_E10value_typeEPSG_NS1_7vsmem_tEENKUlT_SE_SF_SG_E_clIS8_S8_S9_S9_EESD_ST_SE_SF_SG_EUlST_E1_NS1_11comp_targetILNS1_3genE10ELNS1_11target_archE1201ELNS1_3gpuE5ELNS1_3repE0EEENS1_36merge_oddeven_config_static_selectorELNS0_4arch9wavefront6targetE1EEEvSF_
		.amdhsa_group_segment_fixed_size 0
		.amdhsa_private_segment_fixed_size 0
		.amdhsa_kernarg_size 48
		.amdhsa_user_sgpr_count 6
		.amdhsa_user_sgpr_private_segment_buffer 1
		.amdhsa_user_sgpr_dispatch_ptr 0
		.amdhsa_user_sgpr_queue_ptr 0
		.amdhsa_user_sgpr_kernarg_segment_ptr 1
		.amdhsa_user_sgpr_dispatch_id 0
		.amdhsa_user_sgpr_flat_scratch_init 0
		.amdhsa_user_sgpr_kernarg_preload_length 0
		.amdhsa_user_sgpr_kernarg_preload_offset 0
		.amdhsa_user_sgpr_private_segment_size 0
		.amdhsa_uses_dynamic_stack 0
		.amdhsa_system_sgpr_private_segment_wavefront_offset 0
		.amdhsa_system_sgpr_workgroup_id_x 1
		.amdhsa_system_sgpr_workgroup_id_y 0
		.amdhsa_system_sgpr_workgroup_id_z 0
		.amdhsa_system_sgpr_workgroup_info 0
		.amdhsa_system_vgpr_workitem_id 0
		.amdhsa_next_free_vgpr 1
		.amdhsa_next_free_sgpr 0
		.amdhsa_accum_offset 4
		.amdhsa_reserve_vcc 0
		.amdhsa_reserve_flat_scratch 0
		.amdhsa_float_round_mode_32 0
		.amdhsa_float_round_mode_16_64 0
		.amdhsa_float_denorm_mode_32 3
		.amdhsa_float_denorm_mode_16_64 3
		.amdhsa_dx10_clamp 1
		.amdhsa_ieee_mode 1
		.amdhsa_fp16_overflow 0
		.amdhsa_tg_split 0
		.amdhsa_exception_fp_ieee_invalid_op 0
		.amdhsa_exception_fp_denorm_src 0
		.amdhsa_exception_fp_ieee_div_zero 0
		.amdhsa_exception_fp_ieee_overflow 0
		.amdhsa_exception_fp_ieee_underflow 0
		.amdhsa_exception_fp_ieee_inexact 0
		.amdhsa_exception_int_div_zero 0
	.end_amdhsa_kernel
	.section	.text._ZN7rocprim17ROCPRIM_400000_NS6detail17trampoline_kernelINS0_14default_configENS1_38merge_sort_block_merge_config_selectorIhNS0_10empty_typeEEEZZNS1_27merge_sort_block_merge_implIS3_PhPS5_jNS1_19radix_merge_compareILb1ELb0EhNS0_19identity_decomposerEEEEE10hipError_tT0_T1_T2_jT3_P12ihipStream_tbPNSt15iterator_traitsISE_E10value_typeEPNSK_ISF_E10value_typeEPSG_NS1_7vsmem_tEENKUlT_SE_SF_SG_E_clIS8_S8_S9_S9_EESD_ST_SE_SF_SG_EUlST_E1_NS1_11comp_targetILNS1_3genE10ELNS1_11target_archE1201ELNS1_3gpuE5ELNS1_3repE0EEENS1_36merge_oddeven_config_static_selectorELNS0_4arch9wavefront6targetE1EEEvSF_,"axG",@progbits,_ZN7rocprim17ROCPRIM_400000_NS6detail17trampoline_kernelINS0_14default_configENS1_38merge_sort_block_merge_config_selectorIhNS0_10empty_typeEEEZZNS1_27merge_sort_block_merge_implIS3_PhPS5_jNS1_19radix_merge_compareILb1ELb0EhNS0_19identity_decomposerEEEEE10hipError_tT0_T1_T2_jT3_P12ihipStream_tbPNSt15iterator_traitsISE_E10value_typeEPNSK_ISF_E10value_typeEPSG_NS1_7vsmem_tEENKUlT_SE_SF_SG_E_clIS8_S8_S9_S9_EESD_ST_SE_SF_SG_EUlST_E1_NS1_11comp_targetILNS1_3genE10ELNS1_11target_archE1201ELNS1_3gpuE5ELNS1_3repE0EEENS1_36merge_oddeven_config_static_selectorELNS0_4arch9wavefront6targetE1EEEvSF_,comdat
.Lfunc_end1684:
	.size	_ZN7rocprim17ROCPRIM_400000_NS6detail17trampoline_kernelINS0_14default_configENS1_38merge_sort_block_merge_config_selectorIhNS0_10empty_typeEEEZZNS1_27merge_sort_block_merge_implIS3_PhPS5_jNS1_19radix_merge_compareILb1ELb0EhNS0_19identity_decomposerEEEEE10hipError_tT0_T1_T2_jT3_P12ihipStream_tbPNSt15iterator_traitsISE_E10value_typeEPNSK_ISF_E10value_typeEPSG_NS1_7vsmem_tEENKUlT_SE_SF_SG_E_clIS8_S8_S9_S9_EESD_ST_SE_SF_SG_EUlST_E1_NS1_11comp_targetILNS1_3genE10ELNS1_11target_archE1201ELNS1_3gpuE5ELNS1_3repE0EEENS1_36merge_oddeven_config_static_selectorELNS0_4arch9wavefront6targetE1EEEvSF_, .Lfunc_end1684-_ZN7rocprim17ROCPRIM_400000_NS6detail17trampoline_kernelINS0_14default_configENS1_38merge_sort_block_merge_config_selectorIhNS0_10empty_typeEEEZZNS1_27merge_sort_block_merge_implIS3_PhPS5_jNS1_19radix_merge_compareILb1ELb0EhNS0_19identity_decomposerEEEEE10hipError_tT0_T1_T2_jT3_P12ihipStream_tbPNSt15iterator_traitsISE_E10value_typeEPNSK_ISF_E10value_typeEPSG_NS1_7vsmem_tEENKUlT_SE_SF_SG_E_clIS8_S8_S9_S9_EESD_ST_SE_SF_SG_EUlST_E1_NS1_11comp_targetILNS1_3genE10ELNS1_11target_archE1201ELNS1_3gpuE5ELNS1_3repE0EEENS1_36merge_oddeven_config_static_selectorELNS0_4arch9wavefront6targetE1EEEvSF_
                                        ; -- End function
	.section	.AMDGPU.csdata,"",@progbits
; Kernel info:
; codeLenInByte = 0
; NumSgprs: 4
; NumVgprs: 0
; NumAgprs: 0
; TotalNumVgprs: 0
; ScratchSize: 0
; MemoryBound: 0
; FloatMode: 240
; IeeeMode: 1
; LDSByteSize: 0 bytes/workgroup (compile time only)
; SGPRBlocks: 0
; VGPRBlocks: 0
; NumSGPRsForWavesPerEU: 4
; NumVGPRsForWavesPerEU: 1
; AccumOffset: 4
; Occupancy: 8
; WaveLimiterHint : 0
; COMPUTE_PGM_RSRC2:SCRATCH_EN: 0
; COMPUTE_PGM_RSRC2:USER_SGPR: 6
; COMPUTE_PGM_RSRC2:TRAP_HANDLER: 0
; COMPUTE_PGM_RSRC2:TGID_X_EN: 1
; COMPUTE_PGM_RSRC2:TGID_Y_EN: 0
; COMPUTE_PGM_RSRC2:TGID_Z_EN: 0
; COMPUTE_PGM_RSRC2:TIDIG_COMP_CNT: 0
; COMPUTE_PGM_RSRC3_GFX90A:ACCUM_OFFSET: 0
; COMPUTE_PGM_RSRC3_GFX90A:TG_SPLIT: 0
	.section	.text._ZN7rocprim17ROCPRIM_400000_NS6detail17trampoline_kernelINS0_14default_configENS1_38merge_sort_block_merge_config_selectorIhNS0_10empty_typeEEEZZNS1_27merge_sort_block_merge_implIS3_PhPS5_jNS1_19radix_merge_compareILb1ELb0EhNS0_19identity_decomposerEEEEE10hipError_tT0_T1_T2_jT3_P12ihipStream_tbPNSt15iterator_traitsISE_E10value_typeEPNSK_ISF_E10value_typeEPSG_NS1_7vsmem_tEENKUlT_SE_SF_SG_E_clIS8_S8_S9_S9_EESD_ST_SE_SF_SG_EUlST_E1_NS1_11comp_targetILNS1_3genE5ELNS1_11target_archE942ELNS1_3gpuE9ELNS1_3repE0EEENS1_36merge_oddeven_config_static_selectorELNS0_4arch9wavefront6targetE1EEEvSF_,"axG",@progbits,_ZN7rocprim17ROCPRIM_400000_NS6detail17trampoline_kernelINS0_14default_configENS1_38merge_sort_block_merge_config_selectorIhNS0_10empty_typeEEEZZNS1_27merge_sort_block_merge_implIS3_PhPS5_jNS1_19radix_merge_compareILb1ELb0EhNS0_19identity_decomposerEEEEE10hipError_tT0_T1_T2_jT3_P12ihipStream_tbPNSt15iterator_traitsISE_E10value_typeEPNSK_ISF_E10value_typeEPSG_NS1_7vsmem_tEENKUlT_SE_SF_SG_E_clIS8_S8_S9_S9_EESD_ST_SE_SF_SG_EUlST_E1_NS1_11comp_targetILNS1_3genE5ELNS1_11target_archE942ELNS1_3gpuE9ELNS1_3repE0EEENS1_36merge_oddeven_config_static_selectorELNS0_4arch9wavefront6targetE1EEEvSF_,comdat
	.protected	_ZN7rocprim17ROCPRIM_400000_NS6detail17trampoline_kernelINS0_14default_configENS1_38merge_sort_block_merge_config_selectorIhNS0_10empty_typeEEEZZNS1_27merge_sort_block_merge_implIS3_PhPS5_jNS1_19radix_merge_compareILb1ELb0EhNS0_19identity_decomposerEEEEE10hipError_tT0_T1_T2_jT3_P12ihipStream_tbPNSt15iterator_traitsISE_E10value_typeEPNSK_ISF_E10value_typeEPSG_NS1_7vsmem_tEENKUlT_SE_SF_SG_E_clIS8_S8_S9_S9_EESD_ST_SE_SF_SG_EUlST_E1_NS1_11comp_targetILNS1_3genE5ELNS1_11target_archE942ELNS1_3gpuE9ELNS1_3repE0EEENS1_36merge_oddeven_config_static_selectorELNS0_4arch9wavefront6targetE1EEEvSF_ ; -- Begin function _ZN7rocprim17ROCPRIM_400000_NS6detail17trampoline_kernelINS0_14default_configENS1_38merge_sort_block_merge_config_selectorIhNS0_10empty_typeEEEZZNS1_27merge_sort_block_merge_implIS3_PhPS5_jNS1_19radix_merge_compareILb1ELb0EhNS0_19identity_decomposerEEEEE10hipError_tT0_T1_T2_jT3_P12ihipStream_tbPNSt15iterator_traitsISE_E10value_typeEPNSK_ISF_E10value_typeEPSG_NS1_7vsmem_tEENKUlT_SE_SF_SG_E_clIS8_S8_S9_S9_EESD_ST_SE_SF_SG_EUlST_E1_NS1_11comp_targetILNS1_3genE5ELNS1_11target_archE942ELNS1_3gpuE9ELNS1_3repE0EEENS1_36merge_oddeven_config_static_selectorELNS0_4arch9wavefront6targetE1EEEvSF_
	.globl	_ZN7rocprim17ROCPRIM_400000_NS6detail17trampoline_kernelINS0_14default_configENS1_38merge_sort_block_merge_config_selectorIhNS0_10empty_typeEEEZZNS1_27merge_sort_block_merge_implIS3_PhPS5_jNS1_19radix_merge_compareILb1ELb0EhNS0_19identity_decomposerEEEEE10hipError_tT0_T1_T2_jT3_P12ihipStream_tbPNSt15iterator_traitsISE_E10value_typeEPNSK_ISF_E10value_typeEPSG_NS1_7vsmem_tEENKUlT_SE_SF_SG_E_clIS8_S8_S9_S9_EESD_ST_SE_SF_SG_EUlST_E1_NS1_11comp_targetILNS1_3genE5ELNS1_11target_archE942ELNS1_3gpuE9ELNS1_3repE0EEENS1_36merge_oddeven_config_static_selectorELNS0_4arch9wavefront6targetE1EEEvSF_
	.p2align	8
	.type	_ZN7rocprim17ROCPRIM_400000_NS6detail17trampoline_kernelINS0_14default_configENS1_38merge_sort_block_merge_config_selectorIhNS0_10empty_typeEEEZZNS1_27merge_sort_block_merge_implIS3_PhPS5_jNS1_19radix_merge_compareILb1ELb0EhNS0_19identity_decomposerEEEEE10hipError_tT0_T1_T2_jT3_P12ihipStream_tbPNSt15iterator_traitsISE_E10value_typeEPNSK_ISF_E10value_typeEPSG_NS1_7vsmem_tEENKUlT_SE_SF_SG_E_clIS8_S8_S9_S9_EESD_ST_SE_SF_SG_EUlST_E1_NS1_11comp_targetILNS1_3genE5ELNS1_11target_archE942ELNS1_3gpuE9ELNS1_3repE0EEENS1_36merge_oddeven_config_static_selectorELNS0_4arch9wavefront6targetE1EEEvSF_,@function
_ZN7rocprim17ROCPRIM_400000_NS6detail17trampoline_kernelINS0_14default_configENS1_38merge_sort_block_merge_config_selectorIhNS0_10empty_typeEEEZZNS1_27merge_sort_block_merge_implIS3_PhPS5_jNS1_19radix_merge_compareILb1ELb0EhNS0_19identity_decomposerEEEEE10hipError_tT0_T1_T2_jT3_P12ihipStream_tbPNSt15iterator_traitsISE_E10value_typeEPNSK_ISF_E10value_typeEPSG_NS1_7vsmem_tEENKUlT_SE_SF_SG_E_clIS8_S8_S9_S9_EESD_ST_SE_SF_SG_EUlST_E1_NS1_11comp_targetILNS1_3genE5ELNS1_11target_archE942ELNS1_3gpuE9ELNS1_3repE0EEENS1_36merge_oddeven_config_static_selectorELNS0_4arch9wavefront6targetE1EEEvSF_: ; @_ZN7rocprim17ROCPRIM_400000_NS6detail17trampoline_kernelINS0_14default_configENS1_38merge_sort_block_merge_config_selectorIhNS0_10empty_typeEEEZZNS1_27merge_sort_block_merge_implIS3_PhPS5_jNS1_19radix_merge_compareILb1ELb0EhNS0_19identity_decomposerEEEEE10hipError_tT0_T1_T2_jT3_P12ihipStream_tbPNSt15iterator_traitsISE_E10value_typeEPNSK_ISF_E10value_typeEPSG_NS1_7vsmem_tEENKUlT_SE_SF_SG_E_clIS8_S8_S9_S9_EESD_ST_SE_SF_SG_EUlST_E1_NS1_11comp_targetILNS1_3genE5ELNS1_11target_archE942ELNS1_3gpuE9ELNS1_3repE0EEENS1_36merge_oddeven_config_static_selectorELNS0_4arch9wavefront6targetE1EEEvSF_
; %bb.0:
	.section	.rodata,"a",@progbits
	.p2align	6, 0x0
	.amdhsa_kernel _ZN7rocprim17ROCPRIM_400000_NS6detail17trampoline_kernelINS0_14default_configENS1_38merge_sort_block_merge_config_selectorIhNS0_10empty_typeEEEZZNS1_27merge_sort_block_merge_implIS3_PhPS5_jNS1_19radix_merge_compareILb1ELb0EhNS0_19identity_decomposerEEEEE10hipError_tT0_T1_T2_jT3_P12ihipStream_tbPNSt15iterator_traitsISE_E10value_typeEPNSK_ISF_E10value_typeEPSG_NS1_7vsmem_tEENKUlT_SE_SF_SG_E_clIS8_S8_S9_S9_EESD_ST_SE_SF_SG_EUlST_E1_NS1_11comp_targetILNS1_3genE5ELNS1_11target_archE942ELNS1_3gpuE9ELNS1_3repE0EEENS1_36merge_oddeven_config_static_selectorELNS0_4arch9wavefront6targetE1EEEvSF_
		.amdhsa_group_segment_fixed_size 0
		.amdhsa_private_segment_fixed_size 0
		.amdhsa_kernarg_size 48
		.amdhsa_user_sgpr_count 6
		.amdhsa_user_sgpr_private_segment_buffer 1
		.amdhsa_user_sgpr_dispatch_ptr 0
		.amdhsa_user_sgpr_queue_ptr 0
		.amdhsa_user_sgpr_kernarg_segment_ptr 1
		.amdhsa_user_sgpr_dispatch_id 0
		.amdhsa_user_sgpr_flat_scratch_init 0
		.amdhsa_user_sgpr_kernarg_preload_length 0
		.amdhsa_user_sgpr_kernarg_preload_offset 0
		.amdhsa_user_sgpr_private_segment_size 0
		.amdhsa_uses_dynamic_stack 0
		.amdhsa_system_sgpr_private_segment_wavefront_offset 0
		.amdhsa_system_sgpr_workgroup_id_x 1
		.amdhsa_system_sgpr_workgroup_id_y 0
		.amdhsa_system_sgpr_workgroup_id_z 0
		.amdhsa_system_sgpr_workgroup_info 0
		.amdhsa_system_vgpr_workitem_id 0
		.amdhsa_next_free_vgpr 1
		.amdhsa_next_free_sgpr 0
		.amdhsa_accum_offset 4
		.amdhsa_reserve_vcc 0
		.amdhsa_reserve_flat_scratch 0
		.amdhsa_float_round_mode_32 0
		.amdhsa_float_round_mode_16_64 0
		.amdhsa_float_denorm_mode_32 3
		.amdhsa_float_denorm_mode_16_64 3
		.amdhsa_dx10_clamp 1
		.amdhsa_ieee_mode 1
		.amdhsa_fp16_overflow 0
		.amdhsa_tg_split 0
		.amdhsa_exception_fp_ieee_invalid_op 0
		.amdhsa_exception_fp_denorm_src 0
		.amdhsa_exception_fp_ieee_div_zero 0
		.amdhsa_exception_fp_ieee_overflow 0
		.amdhsa_exception_fp_ieee_underflow 0
		.amdhsa_exception_fp_ieee_inexact 0
		.amdhsa_exception_int_div_zero 0
	.end_amdhsa_kernel
	.section	.text._ZN7rocprim17ROCPRIM_400000_NS6detail17trampoline_kernelINS0_14default_configENS1_38merge_sort_block_merge_config_selectorIhNS0_10empty_typeEEEZZNS1_27merge_sort_block_merge_implIS3_PhPS5_jNS1_19radix_merge_compareILb1ELb0EhNS0_19identity_decomposerEEEEE10hipError_tT0_T1_T2_jT3_P12ihipStream_tbPNSt15iterator_traitsISE_E10value_typeEPNSK_ISF_E10value_typeEPSG_NS1_7vsmem_tEENKUlT_SE_SF_SG_E_clIS8_S8_S9_S9_EESD_ST_SE_SF_SG_EUlST_E1_NS1_11comp_targetILNS1_3genE5ELNS1_11target_archE942ELNS1_3gpuE9ELNS1_3repE0EEENS1_36merge_oddeven_config_static_selectorELNS0_4arch9wavefront6targetE1EEEvSF_,"axG",@progbits,_ZN7rocprim17ROCPRIM_400000_NS6detail17trampoline_kernelINS0_14default_configENS1_38merge_sort_block_merge_config_selectorIhNS0_10empty_typeEEEZZNS1_27merge_sort_block_merge_implIS3_PhPS5_jNS1_19radix_merge_compareILb1ELb0EhNS0_19identity_decomposerEEEEE10hipError_tT0_T1_T2_jT3_P12ihipStream_tbPNSt15iterator_traitsISE_E10value_typeEPNSK_ISF_E10value_typeEPSG_NS1_7vsmem_tEENKUlT_SE_SF_SG_E_clIS8_S8_S9_S9_EESD_ST_SE_SF_SG_EUlST_E1_NS1_11comp_targetILNS1_3genE5ELNS1_11target_archE942ELNS1_3gpuE9ELNS1_3repE0EEENS1_36merge_oddeven_config_static_selectorELNS0_4arch9wavefront6targetE1EEEvSF_,comdat
.Lfunc_end1685:
	.size	_ZN7rocprim17ROCPRIM_400000_NS6detail17trampoline_kernelINS0_14default_configENS1_38merge_sort_block_merge_config_selectorIhNS0_10empty_typeEEEZZNS1_27merge_sort_block_merge_implIS3_PhPS5_jNS1_19radix_merge_compareILb1ELb0EhNS0_19identity_decomposerEEEEE10hipError_tT0_T1_T2_jT3_P12ihipStream_tbPNSt15iterator_traitsISE_E10value_typeEPNSK_ISF_E10value_typeEPSG_NS1_7vsmem_tEENKUlT_SE_SF_SG_E_clIS8_S8_S9_S9_EESD_ST_SE_SF_SG_EUlST_E1_NS1_11comp_targetILNS1_3genE5ELNS1_11target_archE942ELNS1_3gpuE9ELNS1_3repE0EEENS1_36merge_oddeven_config_static_selectorELNS0_4arch9wavefront6targetE1EEEvSF_, .Lfunc_end1685-_ZN7rocprim17ROCPRIM_400000_NS6detail17trampoline_kernelINS0_14default_configENS1_38merge_sort_block_merge_config_selectorIhNS0_10empty_typeEEEZZNS1_27merge_sort_block_merge_implIS3_PhPS5_jNS1_19radix_merge_compareILb1ELb0EhNS0_19identity_decomposerEEEEE10hipError_tT0_T1_T2_jT3_P12ihipStream_tbPNSt15iterator_traitsISE_E10value_typeEPNSK_ISF_E10value_typeEPSG_NS1_7vsmem_tEENKUlT_SE_SF_SG_E_clIS8_S8_S9_S9_EESD_ST_SE_SF_SG_EUlST_E1_NS1_11comp_targetILNS1_3genE5ELNS1_11target_archE942ELNS1_3gpuE9ELNS1_3repE0EEENS1_36merge_oddeven_config_static_selectorELNS0_4arch9wavefront6targetE1EEEvSF_
                                        ; -- End function
	.section	.AMDGPU.csdata,"",@progbits
; Kernel info:
; codeLenInByte = 0
; NumSgprs: 4
; NumVgprs: 0
; NumAgprs: 0
; TotalNumVgprs: 0
; ScratchSize: 0
; MemoryBound: 0
; FloatMode: 240
; IeeeMode: 1
; LDSByteSize: 0 bytes/workgroup (compile time only)
; SGPRBlocks: 0
; VGPRBlocks: 0
; NumSGPRsForWavesPerEU: 4
; NumVGPRsForWavesPerEU: 1
; AccumOffset: 4
; Occupancy: 8
; WaveLimiterHint : 0
; COMPUTE_PGM_RSRC2:SCRATCH_EN: 0
; COMPUTE_PGM_RSRC2:USER_SGPR: 6
; COMPUTE_PGM_RSRC2:TRAP_HANDLER: 0
; COMPUTE_PGM_RSRC2:TGID_X_EN: 1
; COMPUTE_PGM_RSRC2:TGID_Y_EN: 0
; COMPUTE_PGM_RSRC2:TGID_Z_EN: 0
; COMPUTE_PGM_RSRC2:TIDIG_COMP_CNT: 0
; COMPUTE_PGM_RSRC3_GFX90A:ACCUM_OFFSET: 0
; COMPUTE_PGM_RSRC3_GFX90A:TG_SPLIT: 0
	.section	.text._ZN7rocprim17ROCPRIM_400000_NS6detail17trampoline_kernelINS0_14default_configENS1_38merge_sort_block_merge_config_selectorIhNS0_10empty_typeEEEZZNS1_27merge_sort_block_merge_implIS3_PhPS5_jNS1_19radix_merge_compareILb1ELb0EhNS0_19identity_decomposerEEEEE10hipError_tT0_T1_T2_jT3_P12ihipStream_tbPNSt15iterator_traitsISE_E10value_typeEPNSK_ISF_E10value_typeEPSG_NS1_7vsmem_tEENKUlT_SE_SF_SG_E_clIS8_S8_S9_S9_EESD_ST_SE_SF_SG_EUlST_E1_NS1_11comp_targetILNS1_3genE4ELNS1_11target_archE910ELNS1_3gpuE8ELNS1_3repE0EEENS1_36merge_oddeven_config_static_selectorELNS0_4arch9wavefront6targetE1EEEvSF_,"axG",@progbits,_ZN7rocprim17ROCPRIM_400000_NS6detail17trampoline_kernelINS0_14default_configENS1_38merge_sort_block_merge_config_selectorIhNS0_10empty_typeEEEZZNS1_27merge_sort_block_merge_implIS3_PhPS5_jNS1_19radix_merge_compareILb1ELb0EhNS0_19identity_decomposerEEEEE10hipError_tT0_T1_T2_jT3_P12ihipStream_tbPNSt15iterator_traitsISE_E10value_typeEPNSK_ISF_E10value_typeEPSG_NS1_7vsmem_tEENKUlT_SE_SF_SG_E_clIS8_S8_S9_S9_EESD_ST_SE_SF_SG_EUlST_E1_NS1_11comp_targetILNS1_3genE4ELNS1_11target_archE910ELNS1_3gpuE8ELNS1_3repE0EEENS1_36merge_oddeven_config_static_selectorELNS0_4arch9wavefront6targetE1EEEvSF_,comdat
	.protected	_ZN7rocprim17ROCPRIM_400000_NS6detail17trampoline_kernelINS0_14default_configENS1_38merge_sort_block_merge_config_selectorIhNS0_10empty_typeEEEZZNS1_27merge_sort_block_merge_implIS3_PhPS5_jNS1_19radix_merge_compareILb1ELb0EhNS0_19identity_decomposerEEEEE10hipError_tT0_T1_T2_jT3_P12ihipStream_tbPNSt15iterator_traitsISE_E10value_typeEPNSK_ISF_E10value_typeEPSG_NS1_7vsmem_tEENKUlT_SE_SF_SG_E_clIS8_S8_S9_S9_EESD_ST_SE_SF_SG_EUlST_E1_NS1_11comp_targetILNS1_3genE4ELNS1_11target_archE910ELNS1_3gpuE8ELNS1_3repE0EEENS1_36merge_oddeven_config_static_selectorELNS0_4arch9wavefront6targetE1EEEvSF_ ; -- Begin function _ZN7rocprim17ROCPRIM_400000_NS6detail17trampoline_kernelINS0_14default_configENS1_38merge_sort_block_merge_config_selectorIhNS0_10empty_typeEEEZZNS1_27merge_sort_block_merge_implIS3_PhPS5_jNS1_19radix_merge_compareILb1ELb0EhNS0_19identity_decomposerEEEEE10hipError_tT0_T1_T2_jT3_P12ihipStream_tbPNSt15iterator_traitsISE_E10value_typeEPNSK_ISF_E10value_typeEPSG_NS1_7vsmem_tEENKUlT_SE_SF_SG_E_clIS8_S8_S9_S9_EESD_ST_SE_SF_SG_EUlST_E1_NS1_11comp_targetILNS1_3genE4ELNS1_11target_archE910ELNS1_3gpuE8ELNS1_3repE0EEENS1_36merge_oddeven_config_static_selectorELNS0_4arch9wavefront6targetE1EEEvSF_
	.globl	_ZN7rocprim17ROCPRIM_400000_NS6detail17trampoline_kernelINS0_14default_configENS1_38merge_sort_block_merge_config_selectorIhNS0_10empty_typeEEEZZNS1_27merge_sort_block_merge_implIS3_PhPS5_jNS1_19radix_merge_compareILb1ELb0EhNS0_19identity_decomposerEEEEE10hipError_tT0_T1_T2_jT3_P12ihipStream_tbPNSt15iterator_traitsISE_E10value_typeEPNSK_ISF_E10value_typeEPSG_NS1_7vsmem_tEENKUlT_SE_SF_SG_E_clIS8_S8_S9_S9_EESD_ST_SE_SF_SG_EUlST_E1_NS1_11comp_targetILNS1_3genE4ELNS1_11target_archE910ELNS1_3gpuE8ELNS1_3repE0EEENS1_36merge_oddeven_config_static_selectorELNS0_4arch9wavefront6targetE1EEEvSF_
	.p2align	8
	.type	_ZN7rocprim17ROCPRIM_400000_NS6detail17trampoline_kernelINS0_14default_configENS1_38merge_sort_block_merge_config_selectorIhNS0_10empty_typeEEEZZNS1_27merge_sort_block_merge_implIS3_PhPS5_jNS1_19radix_merge_compareILb1ELb0EhNS0_19identity_decomposerEEEEE10hipError_tT0_T1_T2_jT3_P12ihipStream_tbPNSt15iterator_traitsISE_E10value_typeEPNSK_ISF_E10value_typeEPSG_NS1_7vsmem_tEENKUlT_SE_SF_SG_E_clIS8_S8_S9_S9_EESD_ST_SE_SF_SG_EUlST_E1_NS1_11comp_targetILNS1_3genE4ELNS1_11target_archE910ELNS1_3gpuE8ELNS1_3repE0EEENS1_36merge_oddeven_config_static_selectorELNS0_4arch9wavefront6targetE1EEEvSF_,@function
_ZN7rocprim17ROCPRIM_400000_NS6detail17trampoline_kernelINS0_14default_configENS1_38merge_sort_block_merge_config_selectorIhNS0_10empty_typeEEEZZNS1_27merge_sort_block_merge_implIS3_PhPS5_jNS1_19radix_merge_compareILb1ELb0EhNS0_19identity_decomposerEEEEE10hipError_tT0_T1_T2_jT3_P12ihipStream_tbPNSt15iterator_traitsISE_E10value_typeEPNSK_ISF_E10value_typeEPSG_NS1_7vsmem_tEENKUlT_SE_SF_SG_E_clIS8_S8_S9_S9_EESD_ST_SE_SF_SG_EUlST_E1_NS1_11comp_targetILNS1_3genE4ELNS1_11target_archE910ELNS1_3gpuE8ELNS1_3repE0EEENS1_36merge_oddeven_config_static_selectorELNS0_4arch9wavefront6targetE1EEEvSF_: ; @_ZN7rocprim17ROCPRIM_400000_NS6detail17trampoline_kernelINS0_14default_configENS1_38merge_sort_block_merge_config_selectorIhNS0_10empty_typeEEEZZNS1_27merge_sort_block_merge_implIS3_PhPS5_jNS1_19radix_merge_compareILb1ELb0EhNS0_19identity_decomposerEEEEE10hipError_tT0_T1_T2_jT3_P12ihipStream_tbPNSt15iterator_traitsISE_E10value_typeEPNSK_ISF_E10value_typeEPSG_NS1_7vsmem_tEENKUlT_SE_SF_SG_E_clIS8_S8_S9_S9_EESD_ST_SE_SF_SG_EUlST_E1_NS1_11comp_targetILNS1_3genE4ELNS1_11target_archE910ELNS1_3gpuE8ELNS1_3repE0EEENS1_36merge_oddeven_config_static_selectorELNS0_4arch9wavefront6targetE1EEEvSF_
; %bb.0:
	s_load_dword s17, s[4:5], 0x20
	s_waitcnt lgkmcnt(0)
	s_lshr_b32 s0, s17, 8
	s_cmp_lg_u32 s6, s0
	s_cselect_b64 s[14:15], -1, 0
	s_cmp_eq_u32 s6, s0
	s_cselect_b64 s[12:13], -1, 0
	s_lshl_b32 s7, s6, 8
	s_sub_i32 s0, s17, s7
	v_cmp_gt_u32_e64 s[2:3], s0, v0
	s_or_b64 s[0:1], s[14:15], s[2:3]
	s_and_saveexec_b64 s[8:9], s[0:1]
	s_cbranch_execz .LBB1686_20
; %bb.1:
	s_load_dwordx4 s[8:11], s[4:5], 0x0
	s_load_dword s18, s[4:5], 0x24
	v_add_u32_e32 v2, s7, v0
	s_waitcnt lgkmcnt(0)
	s_add_u32 s0, s8, s7
	s_addc_u32 s1, s9, 0
	global_load_ubyte v1, v0, s[0:1]
	s_lshr_b32 s0, s18, 8
	s_sub_i32 s1, 0, s0
	s_and_b32 s1, s6, s1
	s_and_b32 s0, s1, s0
	s_lshl_b32 s19, s1, 8
	s_sub_i32 s6, 0, s18
	s_cmp_eq_u32 s0, 0
	s_cselect_b64 s[0:1], -1, 0
	s_and_b64 s[4:5], s[0:1], exec
	s_cselect_b32 s16, s18, s6
	s_add_i32 s16, s16, s19
	s_cmp_lt_u32 s16, s17
	s_cbranch_scc1 .LBB1686_3
; %bb.2:
	v_cmp_gt_u32_e32 vcc, s17, v2
	s_or_b64 s[4:5], vcc, s[14:15]
	s_and_b64 s[4:5], s[4:5], exec
	s_cbranch_execz .LBB1686_4
	s_branch .LBB1686_18
.LBB1686_3:
	s_mov_b64 s[4:5], 0
.LBB1686_4:
	s_min_u32 s14, s16, s17
	s_add_i32 s6, s14, s18
	s_min_u32 s15, s6, s17
	s_min_u32 s6, s19, s14
	s_add_i32 s19, s19, s14
	v_subrev_u32_e32 v0, s19, v2
	v_add_u32_e32 v0, s6, v0
	s_and_b64 vcc, exec, s[12:13]
	s_cbranch_vccz .LBB1686_12
; %bb.5:
                                        ; implicit-def: $vgpr2
	s_and_saveexec_b64 s[6:7], s[2:3]
	s_cbranch_execz .LBB1686_11
; %bb.6:
	s_cmp_ge_u32 s16, s15
	v_mov_b32_e32 v2, s14
	s_cbranch_scc1 .LBB1686_10
; %bb.7:
	s_mov_b64 s[2:3], 0
	v_mov_b32_e32 v3, s15
	v_mov_b32_e32 v2, s14
.LBB1686_8:                             ; =>This Inner Loop Header: Depth=1
	v_add_u32_e32 v4, v2, v3
	v_lshrrev_b32_e32 v4, 1, v4
	global_load_ubyte v5, v4, s[8:9]
	v_add_u32_e32 v6, 1, v4
	s_waitcnt vmcnt(0)
	v_cmp_gt_u16_sdwa s[12:13], v5, v1 src0_sel:DWORD src1_sel:BYTE_0
	v_cndmask_b32_e64 v7, 0, 1, s[12:13]
	v_cmp_le_u16_sdwa s[12:13], v1, v5 src0_sel:BYTE_0 src1_sel:DWORD
	v_cndmask_b32_e64 v5, 0, 1, s[12:13]
	v_cndmask_b32_e64 v5, v5, v7, s[0:1]
	v_and_b32_e32 v5, 1, v5
	v_cmp_eq_u32_e32 vcc, 1, v5
	v_cndmask_b32_e32 v3, v4, v3, vcc
	v_cndmask_b32_e32 v2, v2, v6, vcc
	v_cmp_ge_u32_e32 vcc, v2, v3
	s_or_b64 s[2:3], vcc, s[2:3]
	s_andn2_b64 exec, exec, s[2:3]
	s_cbranch_execnz .LBB1686_8
; %bb.9:
	s_or_b64 exec, exec, s[2:3]
.LBB1686_10:
	v_add_u32_e32 v2, v2, v0
	s_or_b64 s[4:5], s[4:5], exec
.LBB1686_11:
	s_or_b64 exec, exec, s[6:7]
	s_branch .LBB1686_18
.LBB1686_12:
                                        ; implicit-def: $vgpr2
	s_cbranch_execz .LBB1686_18
; %bb.13:
	s_cmp_ge_u32 s16, s15
	v_mov_b32_e32 v2, s14
	s_cbranch_scc1 .LBB1686_17
; %bb.14:
	s_mov_b64 s[2:3], 0
	v_mov_b32_e32 v3, s15
	v_mov_b32_e32 v2, s14
.LBB1686_15:                            ; =>This Inner Loop Header: Depth=1
	v_add_u32_e32 v4, v2, v3
	v_lshrrev_b32_e32 v4, 1, v4
	global_load_ubyte v5, v4, s[8:9]
	v_add_u32_e32 v6, 1, v4
	s_waitcnt vmcnt(0)
	v_cmp_gt_u16_sdwa s[4:5], v5, v1 src0_sel:DWORD src1_sel:BYTE_0
	v_cndmask_b32_e64 v7, 0, 1, s[4:5]
	v_cmp_le_u16_sdwa s[4:5], v1, v5 src0_sel:BYTE_0 src1_sel:DWORD
	v_cndmask_b32_e64 v5, 0, 1, s[4:5]
	v_cndmask_b32_e64 v5, v5, v7, s[0:1]
	v_and_b32_e32 v5, 1, v5
	v_cmp_eq_u32_e32 vcc, 1, v5
	v_cndmask_b32_e32 v3, v4, v3, vcc
	v_cndmask_b32_e32 v2, v2, v6, vcc
	v_cmp_ge_u32_e32 vcc, v2, v3
	s_or_b64 s[2:3], vcc, s[2:3]
	s_andn2_b64 exec, exec, s[2:3]
	s_cbranch_execnz .LBB1686_15
; %bb.16:
	s_or_b64 exec, exec, s[2:3]
.LBB1686_17:
	v_add_u32_e32 v2, v2, v0
	s_mov_b64 s[4:5], -1
.LBB1686_18:
	s_and_b64 exec, exec, s[4:5]
	s_cbranch_execz .LBB1686_20
; %bb.19:
	s_waitcnt vmcnt(0)
	global_store_byte v2, v1, s[10:11]
.LBB1686_20:
	s_endpgm
	.section	.rodata,"a",@progbits
	.p2align	6, 0x0
	.amdhsa_kernel _ZN7rocprim17ROCPRIM_400000_NS6detail17trampoline_kernelINS0_14default_configENS1_38merge_sort_block_merge_config_selectorIhNS0_10empty_typeEEEZZNS1_27merge_sort_block_merge_implIS3_PhPS5_jNS1_19radix_merge_compareILb1ELb0EhNS0_19identity_decomposerEEEEE10hipError_tT0_T1_T2_jT3_P12ihipStream_tbPNSt15iterator_traitsISE_E10value_typeEPNSK_ISF_E10value_typeEPSG_NS1_7vsmem_tEENKUlT_SE_SF_SG_E_clIS8_S8_S9_S9_EESD_ST_SE_SF_SG_EUlST_E1_NS1_11comp_targetILNS1_3genE4ELNS1_11target_archE910ELNS1_3gpuE8ELNS1_3repE0EEENS1_36merge_oddeven_config_static_selectorELNS0_4arch9wavefront6targetE1EEEvSF_
		.amdhsa_group_segment_fixed_size 0
		.amdhsa_private_segment_fixed_size 0
		.amdhsa_kernarg_size 48
		.amdhsa_user_sgpr_count 6
		.amdhsa_user_sgpr_private_segment_buffer 1
		.amdhsa_user_sgpr_dispatch_ptr 0
		.amdhsa_user_sgpr_queue_ptr 0
		.amdhsa_user_sgpr_kernarg_segment_ptr 1
		.amdhsa_user_sgpr_dispatch_id 0
		.amdhsa_user_sgpr_flat_scratch_init 0
		.amdhsa_user_sgpr_kernarg_preload_length 0
		.amdhsa_user_sgpr_kernarg_preload_offset 0
		.amdhsa_user_sgpr_private_segment_size 0
		.amdhsa_uses_dynamic_stack 0
		.amdhsa_system_sgpr_private_segment_wavefront_offset 0
		.amdhsa_system_sgpr_workgroup_id_x 1
		.amdhsa_system_sgpr_workgroup_id_y 0
		.amdhsa_system_sgpr_workgroup_id_z 0
		.amdhsa_system_sgpr_workgroup_info 0
		.amdhsa_system_vgpr_workitem_id 0
		.amdhsa_next_free_vgpr 8
		.amdhsa_next_free_sgpr 20
		.amdhsa_accum_offset 8
		.amdhsa_reserve_vcc 1
		.amdhsa_reserve_flat_scratch 0
		.amdhsa_float_round_mode_32 0
		.amdhsa_float_round_mode_16_64 0
		.amdhsa_float_denorm_mode_32 3
		.amdhsa_float_denorm_mode_16_64 3
		.amdhsa_dx10_clamp 1
		.amdhsa_ieee_mode 1
		.amdhsa_fp16_overflow 0
		.amdhsa_tg_split 0
		.amdhsa_exception_fp_ieee_invalid_op 0
		.amdhsa_exception_fp_denorm_src 0
		.amdhsa_exception_fp_ieee_div_zero 0
		.amdhsa_exception_fp_ieee_overflow 0
		.amdhsa_exception_fp_ieee_underflow 0
		.amdhsa_exception_fp_ieee_inexact 0
		.amdhsa_exception_int_div_zero 0
	.end_amdhsa_kernel
	.section	.text._ZN7rocprim17ROCPRIM_400000_NS6detail17trampoline_kernelINS0_14default_configENS1_38merge_sort_block_merge_config_selectorIhNS0_10empty_typeEEEZZNS1_27merge_sort_block_merge_implIS3_PhPS5_jNS1_19radix_merge_compareILb1ELb0EhNS0_19identity_decomposerEEEEE10hipError_tT0_T1_T2_jT3_P12ihipStream_tbPNSt15iterator_traitsISE_E10value_typeEPNSK_ISF_E10value_typeEPSG_NS1_7vsmem_tEENKUlT_SE_SF_SG_E_clIS8_S8_S9_S9_EESD_ST_SE_SF_SG_EUlST_E1_NS1_11comp_targetILNS1_3genE4ELNS1_11target_archE910ELNS1_3gpuE8ELNS1_3repE0EEENS1_36merge_oddeven_config_static_selectorELNS0_4arch9wavefront6targetE1EEEvSF_,"axG",@progbits,_ZN7rocprim17ROCPRIM_400000_NS6detail17trampoline_kernelINS0_14default_configENS1_38merge_sort_block_merge_config_selectorIhNS0_10empty_typeEEEZZNS1_27merge_sort_block_merge_implIS3_PhPS5_jNS1_19radix_merge_compareILb1ELb0EhNS0_19identity_decomposerEEEEE10hipError_tT0_T1_T2_jT3_P12ihipStream_tbPNSt15iterator_traitsISE_E10value_typeEPNSK_ISF_E10value_typeEPSG_NS1_7vsmem_tEENKUlT_SE_SF_SG_E_clIS8_S8_S9_S9_EESD_ST_SE_SF_SG_EUlST_E1_NS1_11comp_targetILNS1_3genE4ELNS1_11target_archE910ELNS1_3gpuE8ELNS1_3repE0EEENS1_36merge_oddeven_config_static_selectorELNS0_4arch9wavefront6targetE1EEEvSF_,comdat
.Lfunc_end1686:
	.size	_ZN7rocprim17ROCPRIM_400000_NS6detail17trampoline_kernelINS0_14default_configENS1_38merge_sort_block_merge_config_selectorIhNS0_10empty_typeEEEZZNS1_27merge_sort_block_merge_implIS3_PhPS5_jNS1_19radix_merge_compareILb1ELb0EhNS0_19identity_decomposerEEEEE10hipError_tT0_T1_T2_jT3_P12ihipStream_tbPNSt15iterator_traitsISE_E10value_typeEPNSK_ISF_E10value_typeEPSG_NS1_7vsmem_tEENKUlT_SE_SF_SG_E_clIS8_S8_S9_S9_EESD_ST_SE_SF_SG_EUlST_E1_NS1_11comp_targetILNS1_3genE4ELNS1_11target_archE910ELNS1_3gpuE8ELNS1_3repE0EEENS1_36merge_oddeven_config_static_selectorELNS0_4arch9wavefront6targetE1EEEvSF_, .Lfunc_end1686-_ZN7rocprim17ROCPRIM_400000_NS6detail17trampoline_kernelINS0_14default_configENS1_38merge_sort_block_merge_config_selectorIhNS0_10empty_typeEEEZZNS1_27merge_sort_block_merge_implIS3_PhPS5_jNS1_19radix_merge_compareILb1ELb0EhNS0_19identity_decomposerEEEEE10hipError_tT0_T1_T2_jT3_P12ihipStream_tbPNSt15iterator_traitsISE_E10value_typeEPNSK_ISF_E10value_typeEPSG_NS1_7vsmem_tEENKUlT_SE_SF_SG_E_clIS8_S8_S9_S9_EESD_ST_SE_SF_SG_EUlST_E1_NS1_11comp_targetILNS1_3genE4ELNS1_11target_archE910ELNS1_3gpuE8ELNS1_3repE0EEENS1_36merge_oddeven_config_static_selectorELNS0_4arch9wavefront6targetE1EEEvSF_
                                        ; -- End function
	.section	.AMDGPU.csdata,"",@progbits
; Kernel info:
; codeLenInByte = 520
; NumSgprs: 24
; NumVgprs: 8
; NumAgprs: 0
; TotalNumVgprs: 8
; ScratchSize: 0
; MemoryBound: 0
; FloatMode: 240
; IeeeMode: 1
; LDSByteSize: 0 bytes/workgroup (compile time only)
; SGPRBlocks: 2
; VGPRBlocks: 0
; NumSGPRsForWavesPerEU: 24
; NumVGPRsForWavesPerEU: 8
; AccumOffset: 8
; Occupancy: 8
; WaveLimiterHint : 0
; COMPUTE_PGM_RSRC2:SCRATCH_EN: 0
; COMPUTE_PGM_RSRC2:USER_SGPR: 6
; COMPUTE_PGM_RSRC2:TRAP_HANDLER: 0
; COMPUTE_PGM_RSRC2:TGID_X_EN: 1
; COMPUTE_PGM_RSRC2:TGID_Y_EN: 0
; COMPUTE_PGM_RSRC2:TGID_Z_EN: 0
; COMPUTE_PGM_RSRC2:TIDIG_COMP_CNT: 0
; COMPUTE_PGM_RSRC3_GFX90A:ACCUM_OFFSET: 1
; COMPUTE_PGM_RSRC3_GFX90A:TG_SPLIT: 0
	.section	.text._ZN7rocprim17ROCPRIM_400000_NS6detail17trampoline_kernelINS0_14default_configENS1_38merge_sort_block_merge_config_selectorIhNS0_10empty_typeEEEZZNS1_27merge_sort_block_merge_implIS3_PhPS5_jNS1_19radix_merge_compareILb1ELb0EhNS0_19identity_decomposerEEEEE10hipError_tT0_T1_T2_jT3_P12ihipStream_tbPNSt15iterator_traitsISE_E10value_typeEPNSK_ISF_E10value_typeEPSG_NS1_7vsmem_tEENKUlT_SE_SF_SG_E_clIS8_S8_S9_S9_EESD_ST_SE_SF_SG_EUlST_E1_NS1_11comp_targetILNS1_3genE3ELNS1_11target_archE908ELNS1_3gpuE7ELNS1_3repE0EEENS1_36merge_oddeven_config_static_selectorELNS0_4arch9wavefront6targetE1EEEvSF_,"axG",@progbits,_ZN7rocprim17ROCPRIM_400000_NS6detail17trampoline_kernelINS0_14default_configENS1_38merge_sort_block_merge_config_selectorIhNS0_10empty_typeEEEZZNS1_27merge_sort_block_merge_implIS3_PhPS5_jNS1_19radix_merge_compareILb1ELb0EhNS0_19identity_decomposerEEEEE10hipError_tT0_T1_T2_jT3_P12ihipStream_tbPNSt15iterator_traitsISE_E10value_typeEPNSK_ISF_E10value_typeEPSG_NS1_7vsmem_tEENKUlT_SE_SF_SG_E_clIS8_S8_S9_S9_EESD_ST_SE_SF_SG_EUlST_E1_NS1_11comp_targetILNS1_3genE3ELNS1_11target_archE908ELNS1_3gpuE7ELNS1_3repE0EEENS1_36merge_oddeven_config_static_selectorELNS0_4arch9wavefront6targetE1EEEvSF_,comdat
	.protected	_ZN7rocprim17ROCPRIM_400000_NS6detail17trampoline_kernelINS0_14default_configENS1_38merge_sort_block_merge_config_selectorIhNS0_10empty_typeEEEZZNS1_27merge_sort_block_merge_implIS3_PhPS5_jNS1_19radix_merge_compareILb1ELb0EhNS0_19identity_decomposerEEEEE10hipError_tT0_T1_T2_jT3_P12ihipStream_tbPNSt15iterator_traitsISE_E10value_typeEPNSK_ISF_E10value_typeEPSG_NS1_7vsmem_tEENKUlT_SE_SF_SG_E_clIS8_S8_S9_S9_EESD_ST_SE_SF_SG_EUlST_E1_NS1_11comp_targetILNS1_3genE3ELNS1_11target_archE908ELNS1_3gpuE7ELNS1_3repE0EEENS1_36merge_oddeven_config_static_selectorELNS0_4arch9wavefront6targetE1EEEvSF_ ; -- Begin function _ZN7rocprim17ROCPRIM_400000_NS6detail17trampoline_kernelINS0_14default_configENS1_38merge_sort_block_merge_config_selectorIhNS0_10empty_typeEEEZZNS1_27merge_sort_block_merge_implIS3_PhPS5_jNS1_19radix_merge_compareILb1ELb0EhNS0_19identity_decomposerEEEEE10hipError_tT0_T1_T2_jT3_P12ihipStream_tbPNSt15iterator_traitsISE_E10value_typeEPNSK_ISF_E10value_typeEPSG_NS1_7vsmem_tEENKUlT_SE_SF_SG_E_clIS8_S8_S9_S9_EESD_ST_SE_SF_SG_EUlST_E1_NS1_11comp_targetILNS1_3genE3ELNS1_11target_archE908ELNS1_3gpuE7ELNS1_3repE0EEENS1_36merge_oddeven_config_static_selectorELNS0_4arch9wavefront6targetE1EEEvSF_
	.globl	_ZN7rocprim17ROCPRIM_400000_NS6detail17trampoline_kernelINS0_14default_configENS1_38merge_sort_block_merge_config_selectorIhNS0_10empty_typeEEEZZNS1_27merge_sort_block_merge_implIS3_PhPS5_jNS1_19radix_merge_compareILb1ELb0EhNS0_19identity_decomposerEEEEE10hipError_tT0_T1_T2_jT3_P12ihipStream_tbPNSt15iterator_traitsISE_E10value_typeEPNSK_ISF_E10value_typeEPSG_NS1_7vsmem_tEENKUlT_SE_SF_SG_E_clIS8_S8_S9_S9_EESD_ST_SE_SF_SG_EUlST_E1_NS1_11comp_targetILNS1_3genE3ELNS1_11target_archE908ELNS1_3gpuE7ELNS1_3repE0EEENS1_36merge_oddeven_config_static_selectorELNS0_4arch9wavefront6targetE1EEEvSF_
	.p2align	8
	.type	_ZN7rocprim17ROCPRIM_400000_NS6detail17trampoline_kernelINS0_14default_configENS1_38merge_sort_block_merge_config_selectorIhNS0_10empty_typeEEEZZNS1_27merge_sort_block_merge_implIS3_PhPS5_jNS1_19radix_merge_compareILb1ELb0EhNS0_19identity_decomposerEEEEE10hipError_tT0_T1_T2_jT3_P12ihipStream_tbPNSt15iterator_traitsISE_E10value_typeEPNSK_ISF_E10value_typeEPSG_NS1_7vsmem_tEENKUlT_SE_SF_SG_E_clIS8_S8_S9_S9_EESD_ST_SE_SF_SG_EUlST_E1_NS1_11comp_targetILNS1_3genE3ELNS1_11target_archE908ELNS1_3gpuE7ELNS1_3repE0EEENS1_36merge_oddeven_config_static_selectorELNS0_4arch9wavefront6targetE1EEEvSF_,@function
_ZN7rocprim17ROCPRIM_400000_NS6detail17trampoline_kernelINS0_14default_configENS1_38merge_sort_block_merge_config_selectorIhNS0_10empty_typeEEEZZNS1_27merge_sort_block_merge_implIS3_PhPS5_jNS1_19radix_merge_compareILb1ELb0EhNS0_19identity_decomposerEEEEE10hipError_tT0_T1_T2_jT3_P12ihipStream_tbPNSt15iterator_traitsISE_E10value_typeEPNSK_ISF_E10value_typeEPSG_NS1_7vsmem_tEENKUlT_SE_SF_SG_E_clIS8_S8_S9_S9_EESD_ST_SE_SF_SG_EUlST_E1_NS1_11comp_targetILNS1_3genE3ELNS1_11target_archE908ELNS1_3gpuE7ELNS1_3repE0EEENS1_36merge_oddeven_config_static_selectorELNS0_4arch9wavefront6targetE1EEEvSF_: ; @_ZN7rocprim17ROCPRIM_400000_NS6detail17trampoline_kernelINS0_14default_configENS1_38merge_sort_block_merge_config_selectorIhNS0_10empty_typeEEEZZNS1_27merge_sort_block_merge_implIS3_PhPS5_jNS1_19radix_merge_compareILb1ELb0EhNS0_19identity_decomposerEEEEE10hipError_tT0_T1_T2_jT3_P12ihipStream_tbPNSt15iterator_traitsISE_E10value_typeEPNSK_ISF_E10value_typeEPSG_NS1_7vsmem_tEENKUlT_SE_SF_SG_E_clIS8_S8_S9_S9_EESD_ST_SE_SF_SG_EUlST_E1_NS1_11comp_targetILNS1_3genE3ELNS1_11target_archE908ELNS1_3gpuE7ELNS1_3repE0EEENS1_36merge_oddeven_config_static_selectorELNS0_4arch9wavefront6targetE1EEEvSF_
; %bb.0:
	.section	.rodata,"a",@progbits
	.p2align	6, 0x0
	.amdhsa_kernel _ZN7rocprim17ROCPRIM_400000_NS6detail17trampoline_kernelINS0_14default_configENS1_38merge_sort_block_merge_config_selectorIhNS0_10empty_typeEEEZZNS1_27merge_sort_block_merge_implIS3_PhPS5_jNS1_19radix_merge_compareILb1ELb0EhNS0_19identity_decomposerEEEEE10hipError_tT0_T1_T2_jT3_P12ihipStream_tbPNSt15iterator_traitsISE_E10value_typeEPNSK_ISF_E10value_typeEPSG_NS1_7vsmem_tEENKUlT_SE_SF_SG_E_clIS8_S8_S9_S9_EESD_ST_SE_SF_SG_EUlST_E1_NS1_11comp_targetILNS1_3genE3ELNS1_11target_archE908ELNS1_3gpuE7ELNS1_3repE0EEENS1_36merge_oddeven_config_static_selectorELNS0_4arch9wavefront6targetE1EEEvSF_
		.amdhsa_group_segment_fixed_size 0
		.amdhsa_private_segment_fixed_size 0
		.amdhsa_kernarg_size 48
		.amdhsa_user_sgpr_count 6
		.amdhsa_user_sgpr_private_segment_buffer 1
		.amdhsa_user_sgpr_dispatch_ptr 0
		.amdhsa_user_sgpr_queue_ptr 0
		.amdhsa_user_sgpr_kernarg_segment_ptr 1
		.amdhsa_user_sgpr_dispatch_id 0
		.amdhsa_user_sgpr_flat_scratch_init 0
		.amdhsa_user_sgpr_kernarg_preload_length 0
		.amdhsa_user_sgpr_kernarg_preload_offset 0
		.amdhsa_user_sgpr_private_segment_size 0
		.amdhsa_uses_dynamic_stack 0
		.amdhsa_system_sgpr_private_segment_wavefront_offset 0
		.amdhsa_system_sgpr_workgroup_id_x 1
		.amdhsa_system_sgpr_workgroup_id_y 0
		.amdhsa_system_sgpr_workgroup_id_z 0
		.amdhsa_system_sgpr_workgroup_info 0
		.amdhsa_system_vgpr_workitem_id 0
		.amdhsa_next_free_vgpr 1
		.amdhsa_next_free_sgpr 0
		.amdhsa_accum_offset 4
		.amdhsa_reserve_vcc 0
		.amdhsa_reserve_flat_scratch 0
		.amdhsa_float_round_mode_32 0
		.amdhsa_float_round_mode_16_64 0
		.amdhsa_float_denorm_mode_32 3
		.amdhsa_float_denorm_mode_16_64 3
		.amdhsa_dx10_clamp 1
		.amdhsa_ieee_mode 1
		.amdhsa_fp16_overflow 0
		.amdhsa_tg_split 0
		.amdhsa_exception_fp_ieee_invalid_op 0
		.amdhsa_exception_fp_denorm_src 0
		.amdhsa_exception_fp_ieee_div_zero 0
		.amdhsa_exception_fp_ieee_overflow 0
		.amdhsa_exception_fp_ieee_underflow 0
		.amdhsa_exception_fp_ieee_inexact 0
		.amdhsa_exception_int_div_zero 0
	.end_amdhsa_kernel
	.section	.text._ZN7rocprim17ROCPRIM_400000_NS6detail17trampoline_kernelINS0_14default_configENS1_38merge_sort_block_merge_config_selectorIhNS0_10empty_typeEEEZZNS1_27merge_sort_block_merge_implIS3_PhPS5_jNS1_19radix_merge_compareILb1ELb0EhNS0_19identity_decomposerEEEEE10hipError_tT0_T1_T2_jT3_P12ihipStream_tbPNSt15iterator_traitsISE_E10value_typeEPNSK_ISF_E10value_typeEPSG_NS1_7vsmem_tEENKUlT_SE_SF_SG_E_clIS8_S8_S9_S9_EESD_ST_SE_SF_SG_EUlST_E1_NS1_11comp_targetILNS1_3genE3ELNS1_11target_archE908ELNS1_3gpuE7ELNS1_3repE0EEENS1_36merge_oddeven_config_static_selectorELNS0_4arch9wavefront6targetE1EEEvSF_,"axG",@progbits,_ZN7rocprim17ROCPRIM_400000_NS6detail17trampoline_kernelINS0_14default_configENS1_38merge_sort_block_merge_config_selectorIhNS0_10empty_typeEEEZZNS1_27merge_sort_block_merge_implIS3_PhPS5_jNS1_19radix_merge_compareILb1ELb0EhNS0_19identity_decomposerEEEEE10hipError_tT0_T1_T2_jT3_P12ihipStream_tbPNSt15iterator_traitsISE_E10value_typeEPNSK_ISF_E10value_typeEPSG_NS1_7vsmem_tEENKUlT_SE_SF_SG_E_clIS8_S8_S9_S9_EESD_ST_SE_SF_SG_EUlST_E1_NS1_11comp_targetILNS1_3genE3ELNS1_11target_archE908ELNS1_3gpuE7ELNS1_3repE0EEENS1_36merge_oddeven_config_static_selectorELNS0_4arch9wavefront6targetE1EEEvSF_,comdat
.Lfunc_end1687:
	.size	_ZN7rocprim17ROCPRIM_400000_NS6detail17trampoline_kernelINS0_14default_configENS1_38merge_sort_block_merge_config_selectorIhNS0_10empty_typeEEEZZNS1_27merge_sort_block_merge_implIS3_PhPS5_jNS1_19radix_merge_compareILb1ELb0EhNS0_19identity_decomposerEEEEE10hipError_tT0_T1_T2_jT3_P12ihipStream_tbPNSt15iterator_traitsISE_E10value_typeEPNSK_ISF_E10value_typeEPSG_NS1_7vsmem_tEENKUlT_SE_SF_SG_E_clIS8_S8_S9_S9_EESD_ST_SE_SF_SG_EUlST_E1_NS1_11comp_targetILNS1_3genE3ELNS1_11target_archE908ELNS1_3gpuE7ELNS1_3repE0EEENS1_36merge_oddeven_config_static_selectorELNS0_4arch9wavefront6targetE1EEEvSF_, .Lfunc_end1687-_ZN7rocprim17ROCPRIM_400000_NS6detail17trampoline_kernelINS0_14default_configENS1_38merge_sort_block_merge_config_selectorIhNS0_10empty_typeEEEZZNS1_27merge_sort_block_merge_implIS3_PhPS5_jNS1_19radix_merge_compareILb1ELb0EhNS0_19identity_decomposerEEEEE10hipError_tT0_T1_T2_jT3_P12ihipStream_tbPNSt15iterator_traitsISE_E10value_typeEPNSK_ISF_E10value_typeEPSG_NS1_7vsmem_tEENKUlT_SE_SF_SG_E_clIS8_S8_S9_S9_EESD_ST_SE_SF_SG_EUlST_E1_NS1_11comp_targetILNS1_3genE3ELNS1_11target_archE908ELNS1_3gpuE7ELNS1_3repE0EEENS1_36merge_oddeven_config_static_selectorELNS0_4arch9wavefront6targetE1EEEvSF_
                                        ; -- End function
	.section	.AMDGPU.csdata,"",@progbits
; Kernel info:
; codeLenInByte = 0
; NumSgprs: 4
; NumVgprs: 0
; NumAgprs: 0
; TotalNumVgprs: 0
; ScratchSize: 0
; MemoryBound: 0
; FloatMode: 240
; IeeeMode: 1
; LDSByteSize: 0 bytes/workgroup (compile time only)
; SGPRBlocks: 0
; VGPRBlocks: 0
; NumSGPRsForWavesPerEU: 4
; NumVGPRsForWavesPerEU: 1
; AccumOffset: 4
; Occupancy: 8
; WaveLimiterHint : 0
; COMPUTE_PGM_RSRC2:SCRATCH_EN: 0
; COMPUTE_PGM_RSRC2:USER_SGPR: 6
; COMPUTE_PGM_RSRC2:TRAP_HANDLER: 0
; COMPUTE_PGM_RSRC2:TGID_X_EN: 1
; COMPUTE_PGM_RSRC2:TGID_Y_EN: 0
; COMPUTE_PGM_RSRC2:TGID_Z_EN: 0
; COMPUTE_PGM_RSRC2:TIDIG_COMP_CNT: 0
; COMPUTE_PGM_RSRC3_GFX90A:ACCUM_OFFSET: 0
; COMPUTE_PGM_RSRC3_GFX90A:TG_SPLIT: 0
	.section	.text._ZN7rocprim17ROCPRIM_400000_NS6detail17trampoline_kernelINS0_14default_configENS1_38merge_sort_block_merge_config_selectorIhNS0_10empty_typeEEEZZNS1_27merge_sort_block_merge_implIS3_PhPS5_jNS1_19radix_merge_compareILb1ELb0EhNS0_19identity_decomposerEEEEE10hipError_tT0_T1_T2_jT3_P12ihipStream_tbPNSt15iterator_traitsISE_E10value_typeEPNSK_ISF_E10value_typeEPSG_NS1_7vsmem_tEENKUlT_SE_SF_SG_E_clIS8_S8_S9_S9_EESD_ST_SE_SF_SG_EUlST_E1_NS1_11comp_targetILNS1_3genE2ELNS1_11target_archE906ELNS1_3gpuE6ELNS1_3repE0EEENS1_36merge_oddeven_config_static_selectorELNS0_4arch9wavefront6targetE1EEEvSF_,"axG",@progbits,_ZN7rocprim17ROCPRIM_400000_NS6detail17trampoline_kernelINS0_14default_configENS1_38merge_sort_block_merge_config_selectorIhNS0_10empty_typeEEEZZNS1_27merge_sort_block_merge_implIS3_PhPS5_jNS1_19radix_merge_compareILb1ELb0EhNS0_19identity_decomposerEEEEE10hipError_tT0_T1_T2_jT3_P12ihipStream_tbPNSt15iterator_traitsISE_E10value_typeEPNSK_ISF_E10value_typeEPSG_NS1_7vsmem_tEENKUlT_SE_SF_SG_E_clIS8_S8_S9_S9_EESD_ST_SE_SF_SG_EUlST_E1_NS1_11comp_targetILNS1_3genE2ELNS1_11target_archE906ELNS1_3gpuE6ELNS1_3repE0EEENS1_36merge_oddeven_config_static_selectorELNS0_4arch9wavefront6targetE1EEEvSF_,comdat
	.protected	_ZN7rocprim17ROCPRIM_400000_NS6detail17trampoline_kernelINS0_14default_configENS1_38merge_sort_block_merge_config_selectorIhNS0_10empty_typeEEEZZNS1_27merge_sort_block_merge_implIS3_PhPS5_jNS1_19radix_merge_compareILb1ELb0EhNS0_19identity_decomposerEEEEE10hipError_tT0_T1_T2_jT3_P12ihipStream_tbPNSt15iterator_traitsISE_E10value_typeEPNSK_ISF_E10value_typeEPSG_NS1_7vsmem_tEENKUlT_SE_SF_SG_E_clIS8_S8_S9_S9_EESD_ST_SE_SF_SG_EUlST_E1_NS1_11comp_targetILNS1_3genE2ELNS1_11target_archE906ELNS1_3gpuE6ELNS1_3repE0EEENS1_36merge_oddeven_config_static_selectorELNS0_4arch9wavefront6targetE1EEEvSF_ ; -- Begin function _ZN7rocprim17ROCPRIM_400000_NS6detail17trampoline_kernelINS0_14default_configENS1_38merge_sort_block_merge_config_selectorIhNS0_10empty_typeEEEZZNS1_27merge_sort_block_merge_implIS3_PhPS5_jNS1_19radix_merge_compareILb1ELb0EhNS0_19identity_decomposerEEEEE10hipError_tT0_T1_T2_jT3_P12ihipStream_tbPNSt15iterator_traitsISE_E10value_typeEPNSK_ISF_E10value_typeEPSG_NS1_7vsmem_tEENKUlT_SE_SF_SG_E_clIS8_S8_S9_S9_EESD_ST_SE_SF_SG_EUlST_E1_NS1_11comp_targetILNS1_3genE2ELNS1_11target_archE906ELNS1_3gpuE6ELNS1_3repE0EEENS1_36merge_oddeven_config_static_selectorELNS0_4arch9wavefront6targetE1EEEvSF_
	.globl	_ZN7rocprim17ROCPRIM_400000_NS6detail17trampoline_kernelINS0_14default_configENS1_38merge_sort_block_merge_config_selectorIhNS0_10empty_typeEEEZZNS1_27merge_sort_block_merge_implIS3_PhPS5_jNS1_19radix_merge_compareILb1ELb0EhNS0_19identity_decomposerEEEEE10hipError_tT0_T1_T2_jT3_P12ihipStream_tbPNSt15iterator_traitsISE_E10value_typeEPNSK_ISF_E10value_typeEPSG_NS1_7vsmem_tEENKUlT_SE_SF_SG_E_clIS8_S8_S9_S9_EESD_ST_SE_SF_SG_EUlST_E1_NS1_11comp_targetILNS1_3genE2ELNS1_11target_archE906ELNS1_3gpuE6ELNS1_3repE0EEENS1_36merge_oddeven_config_static_selectorELNS0_4arch9wavefront6targetE1EEEvSF_
	.p2align	8
	.type	_ZN7rocprim17ROCPRIM_400000_NS6detail17trampoline_kernelINS0_14default_configENS1_38merge_sort_block_merge_config_selectorIhNS0_10empty_typeEEEZZNS1_27merge_sort_block_merge_implIS3_PhPS5_jNS1_19radix_merge_compareILb1ELb0EhNS0_19identity_decomposerEEEEE10hipError_tT0_T1_T2_jT3_P12ihipStream_tbPNSt15iterator_traitsISE_E10value_typeEPNSK_ISF_E10value_typeEPSG_NS1_7vsmem_tEENKUlT_SE_SF_SG_E_clIS8_S8_S9_S9_EESD_ST_SE_SF_SG_EUlST_E1_NS1_11comp_targetILNS1_3genE2ELNS1_11target_archE906ELNS1_3gpuE6ELNS1_3repE0EEENS1_36merge_oddeven_config_static_selectorELNS0_4arch9wavefront6targetE1EEEvSF_,@function
_ZN7rocprim17ROCPRIM_400000_NS6detail17trampoline_kernelINS0_14default_configENS1_38merge_sort_block_merge_config_selectorIhNS0_10empty_typeEEEZZNS1_27merge_sort_block_merge_implIS3_PhPS5_jNS1_19radix_merge_compareILb1ELb0EhNS0_19identity_decomposerEEEEE10hipError_tT0_T1_T2_jT3_P12ihipStream_tbPNSt15iterator_traitsISE_E10value_typeEPNSK_ISF_E10value_typeEPSG_NS1_7vsmem_tEENKUlT_SE_SF_SG_E_clIS8_S8_S9_S9_EESD_ST_SE_SF_SG_EUlST_E1_NS1_11comp_targetILNS1_3genE2ELNS1_11target_archE906ELNS1_3gpuE6ELNS1_3repE0EEENS1_36merge_oddeven_config_static_selectorELNS0_4arch9wavefront6targetE1EEEvSF_: ; @_ZN7rocprim17ROCPRIM_400000_NS6detail17trampoline_kernelINS0_14default_configENS1_38merge_sort_block_merge_config_selectorIhNS0_10empty_typeEEEZZNS1_27merge_sort_block_merge_implIS3_PhPS5_jNS1_19radix_merge_compareILb1ELb0EhNS0_19identity_decomposerEEEEE10hipError_tT0_T1_T2_jT3_P12ihipStream_tbPNSt15iterator_traitsISE_E10value_typeEPNSK_ISF_E10value_typeEPSG_NS1_7vsmem_tEENKUlT_SE_SF_SG_E_clIS8_S8_S9_S9_EESD_ST_SE_SF_SG_EUlST_E1_NS1_11comp_targetILNS1_3genE2ELNS1_11target_archE906ELNS1_3gpuE6ELNS1_3repE0EEENS1_36merge_oddeven_config_static_selectorELNS0_4arch9wavefront6targetE1EEEvSF_
; %bb.0:
	.section	.rodata,"a",@progbits
	.p2align	6, 0x0
	.amdhsa_kernel _ZN7rocprim17ROCPRIM_400000_NS6detail17trampoline_kernelINS0_14default_configENS1_38merge_sort_block_merge_config_selectorIhNS0_10empty_typeEEEZZNS1_27merge_sort_block_merge_implIS3_PhPS5_jNS1_19radix_merge_compareILb1ELb0EhNS0_19identity_decomposerEEEEE10hipError_tT0_T1_T2_jT3_P12ihipStream_tbPNSt15iterator_traitsISE_E10value_typeEPNSK_ISF_E10value_typeEPSG_NS1_7vsmem_tEENKUlT_SE_SF_SG_E_clIS8_S8_S9_S9_EESD_ST_SE_SF_SG_EUlST_E1_NS1_11comp_targetILNS1_3genE2ELNS1_11target_archE906ELNS1_3gpuE6ELNS1_3repE0EEENS1_36merge_oddeven_config_static_selectorELNS0_4arch9wavefront6targetE1EEEvSF_
		.amdhsa_group_segment_fixed_size 0
		.amdhsa_private_segment_fixed_size 0
		.amdhsa_kernarg_size 48
		.amdhsa_user_sgpr_count 6
		.amdhsa_user_sgpr_private_segment_buffer 1
		.amdhsa_user_sgpr_dispatch_ptr 0
		.amdhsa_user_sgpr_queue_ptr 0
		.amdhsa_user_sgpr_kernarg_segment_ptr 1
		.amdhsa_user_sgpr_dispatch_id 0
		.amdhsa_user_sgpr_flat_scratch_init 0
		.amdhsa_user_sgpr_kernarg_preload_length 0
		.amdhsa_user_sgpr_kernarg_preload_offset 0
		.amdhsa_user_sgpr_private_segment_size 0
		.amdhsa_uses_dynamic_stack 0
		.amdhsa_system_sgpr_private_segment_wavefront_offset 0
		.amdhsa_system_sgpr_workgroup_id_x 1
		.amdhsa_system_sgpr_workgroup_id_y 0
		.amdhsa_system_sgpr_workgroup_id_z 0
		.amdhsa_system_sgpr_workgroup_info 0
		.amdhsa_system_vgpr_workitem_id 0
		.amdhsa_next_free_vgpr 1
		.amdhsa_next_free_sgpr 0
		.amdhsa_accum_offset 4
		.amdhsa_reserve_vcc 0
		.amdhsa_reserve_flat_scratch 0
		.amdhsa_float_round_mode_32 0
		.amdhsa_float_round_mode_16_64 0
		.amdhsa_float_denorm_mode_32 3
		.amdhsa_float_denorm_mode_16_64 3
		.amdhsa_dx10_clamp 1
		.amdhsa_ieee_mode 1
		.amdhsa_fp16_overflow 0
		.amdhsa_tg_split 0
		.amdhsa_exception_fp_ieee_invalid_op 0
		.amdhsa_exception_fp_denorm_src 0
		.amdhsa_exception_fp_ieee_div_zero 0
		.amdhsa_exception_fp_ieee_overflow 0
		.amdhsa_exception_fp_ieee_underflow 0
		.amdhsa_exception_fp_ieee_inexact 0
		.amdhsa_exception_int_div_zero 0
	.end_amdhsa_kernel
	.section	.text._ZN7rocprim17ROCPRIM_400000_NS6detail17trampoline_kernelINS0_14default_configENS1_38merge_sort_block_merge_config_selectorIhNS0_10empty_typeEEEZZNS1_27merge_sort_block_merge_implIS3_PhPS5_jNS1_19radix_merge_compareILb1ELb0EhNS0_19identity_decomposerEEEEE10hipError_tT0_T1_T2_jT3_P12ihipStream_tbPNSt15iterator_traitsISE_E10value_typeEPNSK_ISF_E10value_typeEPSG_NS1_7vsmem_tEENKUlT_SE_SF_SG_E_clIS8_S8_S9_S9_EESD_ST_SE_SF_SG_EUlST_E1_NS1_11comp_targetILNS1_3genE2ELNS1_11target_archE906ELNS1_3gpuE6ELNS1_3repE0EEENS1_36merge_oddeven_config_static_selectorELNS0_4arch9wavefront6targetE1EEEvSF_,"axG",@progbits,_ZN7rocprim17ROCPRIM_400000_NS6detail17trampoline_kernelINS0_14default_configENS1_38merge_sort_block_merge_config_selectorIhNS0_10empty_typeEEEZZNS1_27merge_sort_block_merge_implIS3_PhPS5_jNS1_19radix_merge_compareILb1ELb0EhNS0_19identity_decomposerEEEEE10hipError_tT0_T1_T2_jT3_P12ihipStream_tbPNSt15iterator_traitsISE_E10value_typeEPNSK_ISF_E10value_typeEPSG_NS1_7vsmem_tEENKUlT_SE_SF_SG_E_clIS8_S8_S9_S9_EESD_ST_SE_SF_SG_EUlST_E1_NS1_11comp_targetILNS1_3genE2ELNS1_11target_archE906ELNS1_3gpuE6ELNS1_3repE0EEENS1_36merge_oddeven_config_static_selectorELNS0_4arch9wavefront6targetE1EEEvSF_,comdat
.Lfunc_end1688:
	.size	_ZN7rocprim17ROCPRIM_400000_NS6detail17trampoline_kernelINS0_14default_configENS1_38merge_sort_block_merge_config_selectorIhNS0_10empty_typeEEEZZNS1_27merge_sort_block_merge_implIS3_PhPS5_jNS1_19radix_merge_compareILb1ELb0EhNS0_19identity_decomposerEEEEE10hipError_tT0_T1_T2_jT3_P12ihipStream_tbPNSt15iterator_traitsISE_E10value_typeEPNSK_ISF_E10value_typeEPSG_NS1_7vsmem_tEENKUlT_SE_SF_SG_E_clIS8_S8_S9_S9_EESD_ST_SE_SF_SG_EUlST_E1_NS1_11comp_targetILNS1_3genE2ELNS1_11target_archE906ELNS1_3gpuE6ELNS1_3repE0EEENS1_36merge_oddeven_config_static_selectorELNS0_4arch9wavefront6targetE1EEEvSF_, .Lfunc_end1688-_ZN7rocprim17ROCPRIM_400000_NS6detail17trampoline_kernelINS0_14default_configENS1_38merge_sort_block_merge_config_selectorIhNS0_10empty_typeEEEZZNS1_27merge_sort_block_merge_implIS3_PhPS5_jNS1_19radix_merge_compareILb1ELb0EhNS0_19identity_decomposerEEEEE10hipError_tT0_T1_T2_jT3_P12ihipStream_tbPNSt15iterator_traitsISE_E10value_typeEPNSK_ISF_E10value_typeEPSG_NS1_7vsmem_tEENKUlT_SE_SF_SG_E_clIS8_S8_S9_S9_EESD_ST_SE_SF_SG_EUlST_E1_NS1_11comp_targetILNS1_3genE2ELNS1_11target_archE906ELNS1_3gpuE6ELNS1_3repE0EEENS1_36merge_oddeven_config_static_selectorELNS0_4arch9wavefront6targetE1EEEvSF_
                                        ; -- End function
	.section	.AMDGPU.csdata,"",@progbits
; Kernel info:
; codeLenInByte = 0
; NumSgprs: 4
; NumVgprs: 0
; NumAgprs: 0
; TotalNumVgprs: 0
; ScratchSize: 0
; MemoryBound: 0
; FloatMode: 240
; IeeeMode: 1
; LDSByteSize: 0 bytes/workgroup (compile time only)
; SGPRBlocks: 0
; VGPRBlocks: 0
; NumSGPRsForWavesPerEU: 4
; NumVGPRsForWavesPerEU: 1
; AccumOffset: 4
; Occupancy: 8
; WaveLimiterHint : 0
; COMPUTE_PGM_RSRC2:SCRATCH_EN: 0
; COMPUTE_PGM_RSRC2:USER_SGPR: 6
; COMPUTE_PGM_RSRC2:TRAP_HANDLER: 0
; COMPUTE_PGM_RSRC2:TGID_X_EN: 1
; COMPUTE_PGM_RSRC2:TGID_Y_EN: 0
; COMPUTE_PGM_RSRC2:TGID_Z_EN: 0
; COMPUTE_PGM_RSRC2:TIDIG_COMP_CNT: 0
; COMPUTE_PGM_RSRC3_GFX90A:ACCUM_OFFSET: 0
; COMPUTE_PGM_RSRC3_GFX90A:TG_SPLIT: 0
	.section	.text._ZN7rocprim17ROCPRIM_400000_NS6detail17trampoline_kernelINS0_14default_configENS1_38merge_sort_block_merge_config_selectorIhNS0_10empty_typeEEEZZNS1_27merge_sort_block_merge_implIS3_PhPS5_jNS1_19radix_merge_compareILb1ELb0EhNS0_19identity_decomposerEEEEE10hipError_tT0_T1_T2_jT3_P12ihipStream_tbPNSt15iterator_traitsISE_E10value_typeEPNSK_ISF_E10value_typeEPSG_NS1_7vsmem_tEENKUlT_SE_SF_SG_E_clIS8_S8_S9_S9_EESD_ST_SE_SF_SG_EUlST_E1_NS1_11comp_targetILNS1_3genE9ELNS1_11target_archE1100ELNS1_3gpuE3ELNS1_3repE0EEENS1_36merge_oddeven_config_static_selectorELNS0_4arch9wavefront6targetE1EEEvSF_,"axG",@progbits,_ZN7rocprim17ROCPRIM_400000_NS6detail17trampoline_kernelINS0_14default_configENS1_38merge_sort_block_merge_config_selectorIhNS0_10empty_typeEEEZZNS1_27merge_sort_block_merge_implIS3_PhPS5_jNS1_19radix_merge_compareILb1ELb0EhNS0_19identity_decomposerEEEEE10hipError_tT0_T1_T2_jT3_P12ihipStream_tbPNSt15iterator_traitsISE_E10value_typeEPNSK_ISF_E10value_typeEPSG_NS1_7vsmem_tEENKUlT_SE_SF_SG_E_clIS8_S8_S9_S9_EESD_ST_SE_SF_SG_EUlST_E1_NS1_11comp_targetILNS1_3genE9ELNS1_11target_archE1100ELNS1_3gpuE3ELNS1_3repE0EEENS1_36merge_oddeven_config_static_selectorELNS0_4arch9wavefront6targetE1EEEvSF_,comdat
	.protected	_ZN7rocprim17ROCPRIM_400000_NS6detail17trampoline_kernelINS0_14default_configENS1_38merge_sort_block_merge_config_selectorIhNS0_10empty_typeEEEZZNS1_27merge_sort_block_merge_implIS3_PhPS5_jNS1_19radix_merge_compareILb1ELb0EhNS0_19identity_decomposerEEEEE10hipError_tT0_T1_T2_jT3_P12ihipStream_tbPNSt15iterator_traitsISE_E10value_typeEPNSK_ISF_E10value_typeEPSG_NS1_7vsmem_tEENKUlT_SE_SF_SG_E_clIS8_S8_S9_S9_EESD_ST_SE_SF_SG_EUlST_E1_NS1_11comp_targetILNS1_3genE9ELNS1_11target_archE1100ELNS1_3gpuE3ELNS1_3repE0EEENS1_36merge_oddeven_config_static_selectorELNS0_4arch9wavefront6targetE1EEEvSF_ ; -- Begin function _ZN7rocprim17ROCPRIM_400000_NS6detail17trampoline_kernelINS0_14default_configENS1_38merge_sort_block_merge_config_selectorIhNS0_10empty_typeEEEZZNS1_27merge_sort_block_merge_implIS3_PhPS5_jNS1_19radix_merge_compareILb1ELb0EhNS0_19identity_decomposerEEEEE10hipError_tT0_T1_T2_jT3_P12ihipStream_tbPNSt15iterator_traitsISE_E10value_typeEPNSK_ISF_E10value_typeEPSG_NS1_7vsmem_tEENKUlT_SE_SF_SG_E_clIS8_S8_S9_S9_EESD_ST_SE_SF_SG_EUlST_E1_NS1_11comp_targetILNS1_3genE9ELNS1_11target_archE1100ELNS1_3gpuE3ELNS1_3repE0EEENS1_36merge_oddeven_config_static_selectorELNS0_4arch9wavefront6targetE1EEEvSF_
	.globl	_ZN7rocprim17ROCPRIM_400000_NS6detail17trampoline_kernelINS0_14default_configENS1_38merge_sort_block_merge_config_selectorIhNS0_10empty_typeEEEZZNS1_27merge_sort_block_merge_implIS3_PhPS5_jNS1_19radix_merge_compareILb1ELb0EhNS0_19identity_decomposerEEEEE10hipError_tT0_T1_T2_jT3_P12ihipStream_tbPNSt15iterator_traitsISE_E10value_typeEPNSK_ISF_E10value_typeEPSG_NS1_7vsmem_tEENKUlT_SE_SF_SG_E_clIS8_S8_S9_S9_EESD_ST_SE_SF_SG_EUlST_E1_NS1_11comp_targetILNS1_3genE9ELNS1_11target_archE1100ELNS1_3gpuE3ELNS1_3repE0EEENS1_36merge_oddeven_config_static_selectorELNS0_4arch9wavefront6targetE1EEEvSF_
	.p2align	8
	.type	_ZN7rocprim17ROCPRIM_400000_NS6detail17trampoline_kernelINS0_14default_configENS1_38merge_sort_block_merge_config_selectorIhNS0_10empty_typeEEEZZNS1_27merge_sort_block_merge_implIS3_PhPS5_jNS1_19radix_merge_compareILb1ELb0EhNS0_19identity_decomposerEEEEE10hipError_tT0_T1_T2_jT3_P12ihipStream_tbPNSt15iterator_traitsISE_E10value_typeEPNSK_ISF_E10value_typeEPSG_NS1_7vsmem_tEENKUlT_SE_SF_SG_E_clIS8_S8_S9_S9_EESD_ST_SE_SF_SG_EUlST_E1_NS1_11comp_targetILNS1_3genE9ELNS1_11target_archE1100ELNS1_3gpuE3ELNS1_3repE0EEENS1_36merge_oddeven_config_static_selectorELNS0_4arch9wavefront6targetE1EEEvSF_,@function
_ZN7rocprim17ROCPRIM_400000_NS6detail17trampoline_kernelINS0_14default_configENS1_38merge_sort_block_merge_config_selectorIhNS0_10empty_typeEEEZZNS1_27merge_sort_block_merge_implIS3_PhPS5_jNS1_19radix_merge_compareILb1ELb0EhNS0_19identity_decomposerEEEEE10hipError_tT0_T1_T2_jT3_P12ihipStream_tbPNSt15iterator_traitsISE_E10value_typeEPNSK_ISF_E10value_typeEPSG_NS1_7vsmem_tEENKUlT_SE_SF_SG_E_clIS8_S8_S9_S9_EESD_ST_SE_SF_SG_EUlST_E1_NS1_11comp_targetILNS1_3genE9ELNS1_11target_archE1100ELNS1_3gpuE3ELNS1_3repE0EEENS1_36merge_oddeven_config_static_selectorELNS0_4arch9wavefront6targetE1EEEvSF_: ; @_ZN7rocprim17ROCPRIM_400000_NS6detail17trampoline_kernelINS0_14default_configENS1_38merge_sort_block_merge_config_selectorIhNS0_10empty_typeEEEZZNS1_27merge_sort_block_merge_implIS3_PhPS5_jNS1_19radix_merge_compareILb1ELb0EhNS0_19identity_decomposerEEEEE10hipError_tT0_T1_T2_jT3_P12ihipStream_tbPNSt15iterator_traitsISE_E10value_typeEPNSK_ISF_E10value_typeEPSG_NS1_7vsmem_tEENKUlT_SE_SF_SG_E_clIS8_S8_S9_S9_EESD_ST_SE_SF_SG_EUlST_E1_NS1_11comp_targetILNS1_3genE9ELNS1_11target_archE1100ELNS1_3gpuE3ELNS1_3repE0EEENS1_36merge_oddeven_config_static_selectorELNS0_4arch9wavefront6targetE1EEEvSF_
; %bb.0:
	.section	.rodata,"a",@progbits
	.p2align	6, 0x0
	.amdhsa_kernel _ZN7rocprim17ROCPRIM_400000_NS6detail17trampoline_kernelINS0_14default_configENS1_38merge_sort_block_merge_config_selectorIhNS0_10empty_typeEEEZZNS1_27merge_sort_block_merge_implIS3_PhPS5_jNS1_19radix_merge_compareILb1ELb0EhNS0_19identity_decomposerEEEEE10hipError_tT0_T1_T2_jT3_P12ihipStream_tbPNSt15iterator_traitsISE_E10value_typeEPNSK_ISF_E10value_typeEPSG_NS1_7vsmem_tEENKUlT_SE_SF_SG_E_clIS8_S8_S9_S9_EESD_ST_SE_SF_SG_EUlST_E1_NS1_11comp_targetILNS1_3genE9ELNS1_11target_archE1100ELNS1_3gpuE3ELNS1_3repE0EEENS1_36merge_oddeven_config_static_selectorELNS0_4arch9wavefront6targetE1EEEvSF_
		.amdhsa_group_segment_fixed_size 0
		.amdhsa_private_segment_fixed_size 0
		.amdhsa_kernarg_size 48
		.amdhsa_user_sgpr_count 6
		.amdhsa_user_sgpr_private_segment_buffer 1
		.amdhsa_user_sgpr_dispatch_ptr 0
		.amdhsa_user_sgpr_queue_ptr 0
		.amdhsa_user_sgpr_kernarg_segment_ptr 1
		.amdhsa_user_sgpr_dispatch_id 0
		.amdhsa_user_sgpr_flat_scratch_init 0
		.amdhsa_user_sgpr_kernarg_preload_length 0
		.amdhsa_user_sgpr_kernarg_preload_offset 0
		.amdhsa_user_sgpr_private_segment_size 0
		.amdhsa_uses_dynamic_stack 0
		.amdhsa_system_sgpr_private_segment_wavefront_offset 0
		.amdhsa_system_sgpr_workgroup_id_x 1
		.amdhsa_system_sgpr_workgroup_id_y 0
		.amdhsa_system_sgpr_workgroup_id_z 0
		.amdhsa_system_sgpr_workgroup_info 0
		.amdhsa_system_vgpr_workitem_id 0
		.amdhsa_next_free_vgpr 1
		.amdhsa_next_free_sgpr 0
		.amdhsa_accum_offset 4
		.amdhsa_reserve_vcc 0
		.amdhsa_reserve_flat_scratch 0
		.amdhsa_float_round_mode_32 0
		.amdhsa_float_round_mode_16_64 0
		.amdhsa_float_denorm_mode_32 3
		.amdhsa_float_denorm_mode_16_64 3
		.amdhsa_dx10_clamp 1
		.amdhsa_ieee_mode 1
		.amdhsa_fp16_overflow 0
		.amdhsa_tg_split 0
		.amdhsa_exception_fp_ieee_invalid_op 0
		.amdhsa_exception_fp_denorm_src 0
		.amdhsa_exception_fp_ieee_div_zero 0
		.amdhsa_exception_fp_ieee_overflow 0
		.amdhsa_exception_fp_ieee_underflow 0
		.amdhsa_exception_fp_ieee_inexact 0
		.amdhsa_exception_int_div_zero 0
	.end_amdhsa_kernel
	.section	.text._ZN7rocprim17ROCPRIM_400000_NS6detail17trampoline_kernelINS0_14default_configENS1_38merge_sort_block_merge_config_selectorIhNS0_10empty_typeEEEZZNS1_27merge_sort_block_merge_implIS3_PhPS5_jNS1_19radix_merge_compareILb1ELb0EhNS0_19identity_decomposerEEEEE10hipError_tT0_T1_T2_jT3_P12ihipStream_tbPNSt15iterator_traitsISE_E10value_typeEPNSK_ISF_E10value_typeEPSG_NS1_7vsmem_tEENKUlT_SE_SF_SG_E_clIS8_S8_S9_S9_EESD_ST_SE_SF_SG_EUlST_E1_NS1_11comp_targetILNS1_3genE9ELNS1_11target_archE1100ELNS1_3gpuE3ELNS1_3repE0EEENS1_36merge_oddeven_config_static_selectorELNS0_4arch9wavefront6targetE1EEEvSF_,"axG",@progbits,_ZN7rocprim17ROCPRIM_400000_NS6detail17trampoline_kernelINS0_14default_configENS1_38merge_sort_block_merge_config_selectorIhNS0_10empty_typeEEEZZNS1_27merge_sort_block_merge_implIS3_PhPS5_jNS1_19radix_merge_compareILb1ELb0EhNS0_19identity_decomposerEEEEE10hipError_tT0_T1_T2_jT3_P12ihipStream_tbPNSt15iterator_traitsISE_E10value_typeEPNSK_ISF_E10value_typeEPSG_NS1_7vsmem_tEENKUlT_SE_SF_SG_E_clIS8_S8_S9_S9_EESD_ST_SE_SF_SG_EUlST_E1_NS1_11comp_targetILNS1_3genE9ELNS1_11target_archE1100ELNS1_3gpuE3ELNS1_3repE0EEENS1_36merge_oddeven_config_static_selectorELNS0_4arch9wavefront6targetE1EEEvSF_,comdat
.Lfunc_end1689:
	.size	_ZN7rocprim17ROCPRIM_400000_NS6detail17trampoline_kernelINS0_14default_configENS1_38merge_sort_block_merge_config_selectorIhNS0_10empty_typeEEEZZNS1_27merge_sort_block_merge_implIS3_PhPS5_jNS1_19radix_merge_compareILb1ELb0EhNS0_19identity_decomposerEEEEE10hipError_tT0_T1_T2_jT3_P12ihipStream_tbPNSt15iterator_traitsISE_E10value_typeEPNSK_ISF_E10value_typeEPSG_NS1_7vsmem_tEENKUlT_SE_SF_SG_E_clIS8_S8_S9_S9_EESD_ST_SE_SF_SG_EUlST_E1_NS1_11comp_targetILNS1_3genE9ELNS1_11target_archE1100ELNS1_3gpuE3ELNS1_3repE0EEENS1_36merge_oddeven_config_static_selectorELNS0_4arch9wavefront6targetE1EEEvSF_, .Lfunc_end1689-_ZN7rocprim17ROCPRIM_400000_NS6detail17trampoline_kernelINS0_14default_configENS1_38merge_sort_block_merge_config_selectorIhNS0_10empty_typeEEEZZNS1_27merge_sort_block_merge_implIS3_PhPS5_jNS1_19radix_merge_compareILb1ELb0EhNS0_19identity_decomposerEEEEE10hipError_tT0_T1_T2_jT3_P12ihipStream_tbPNSt15iterator_traitsISE_E10value_typeEPNSK_ISF_E10value_typeEPSG_NS1_7vsmem_tEENKUlT_SE_SF_SG_E_clIS8_S8_S9_S9_EESD_ST_SE_SF_SG_EUlST_E1_NS1_11comp_targetILNS1_3genE9ELNS1_11target_archE1100ELNS1_3gpuE3ELNS1_3repE0EEENS1_36merge_oddeven_config_static_selectorELNS0_4arch9wavefront6targetE1EEEvSF_
                                        ; -- End function
	.section	.AMDGPU.csdata,"",@progbits
; Kernel info:
; codeLenInByte = 0
; NumSgprs: 4
; NumVgprs: 0
; NumAgprs: 0
; TotalNumVgprs: 0
; ScratchSize: 0
; MemoryBound: 0
; FloatMode: 240
; IeeeMode: 1
; LDSByteSize: 0 bytes/workgroup (compile time only)
; SGPRBlocks: 0
; VGPRBlocks: 0
; NumSGPRsForWavesPerEU: 4
; NumVGPRsForWavesPerEU: 1
; AccumOffset: 4
; Occupancy: 8
; WaveLimiterHint : 0
; COMPUTE_PGM_RSRC2:SCRATCH_EN: 0
; COMPUTE_PGM_RSRC2:USER_SGPR: 6
; COMPUTE_PGM_RSRC2:TRAP_HANDLER: 0
; COMPUTE_PGM_RSRC2:TGID_X_EN: 1
; COMPUTE_PGM_RSRC2:TGID_Y_EN: 0
; COMPUTE_PGM_RSRC2:TGID_Z_EN: 0
; COMPUTE_PGM_RSRC2:TIDIG_COMP_CNT: 0
; COMPUTE_PGM_RSRC3_GFX90A:ACCUM_OFFSET: 0
; COMPUTE_PGM_RSRC3_GFX90A:TG_SPLIT: 0
	.section	.text._ZN7rocprim17ROCPRIM_400000_NS6detail17trampoline_kernelINS0_14default_configENS1_38merge_sort_block_merge_config_selectorIhNS0_10empty_typeEEEZZNS1_27merge_sort_block_merge_implIS3_PhPS5_jNS1_19radix_merge_compareILb1ELb0EhNS0_19identity_decomposerEEEEE10hipError_tT0_T1_T2_jT3_P12ihipStream_tbPNSt15iterator_traitsISE_E10value_typeEPNSK_ISF_E10value_typeEPSG_NS1_7vsmem_tEENKUlT_SE_SF_SG_E_clIS8_S8_S9_S9_EESD_ST_SE_SF_SG_EUlST_E1_NS1_11comp_targetILNS1_3genE8ELNS1_11target_archE1030ELNS1_3gpuE2ELNS1_3repE0EEENS1_36merge_oddeven_config_static_selectorELNS0_4arch9wavefront6targetE1EEEvSF_,"axG",@progbits,_ZN7rocprim17ROCPRIM_400000_NS6detail17trampoline_kernelINS0_14default_configENS1_38merge_sort_block_merge_config_selectorIhNS0_10empty_typeEEEZZNS1_27merge_sort_block_merge_implIS3_PhPS5_jNS1_19radix_merge_compareILb1ELb0EhNS0_19identity_decomposerEEEEE10hipError_tT0_T1_T2_jT3_P12ihipStream_tbPNSt15iterator_traitsISE_E10value_typeEPNSK_ISF_E10value_typeEPSG_NS1_7vsmem_tEENKUlT_SE_SF_SG_E_clIS8_S8_S9_S9_EESD_ST_SE_SF_SG_EUlST_E1_NS1_11comp_targetILNS1_3genE8ELNS1_11target_archE1030ELNS1_3gpuE2ELNS1_3repE0EEENS1_36merge_oddeven_config_static_selectorELNS0_4arch9wavefront6targetE1EEEvSF_,comdat
	.protected	_ZN7rocprim17ROCPRIM_400000_NS6detail17trampoline_kernelINS0_14default_configENS1_38merge_sort_block_merge_config_selectorIhNS0_10empty_typeEEEZZNS1_27merge_sort_block_merge_implIS3_PhPS5_jNS1_19radix_merge_compareILb1ELb0EhNS0_19identity_decomposerEEEEE10hipError_tT0_T1_T2_jT3_P12ihipStream_tbPNSt15iterator_traitsISE_E10value_typeEPNSK_ISF_E10value_typeEPSG_NS1_7vsmem_tEENKUlT_SE_SF_SG_E_clIS8_S8_S9_S9_EESD_ST_SE_SF_SG_EUlST_E1_NS1_11comp_targetILNS1_3genE8ELNS1_11target_archE1030ELNS1_3gpuE2ELNS1_3repE0EEENS1_36merge_oddeven_config_static_selectorELNS0_4arch9wavefront6targetE1EEEvSF_ ; -- Begin function _ZN7rocprim17ROCPRIM_400000_NS6detail17trampoline_kernelINS0_14default_configENS1_38merge_sort_block_merge_config_selectorIhNS0_10empty_typeEEEZZNS1_27merge_sort_block_merge_implIS3_PhPS5_jNS1_19radix_merge_compareILb1ELb0EhNS0_19identity_decomposerEEEEE10hipError_tT0_T1_T2_jT3_P12ihipStream_tbPNSt15iterator_traitsISE_E10value_typeEPNSK_ISF_E10value_typeEPSG_NS1_7vsmem_tEENKUlT_SE_SF_SG_E_clIS8_S8_S9_S9_EESD_ST_SE_SF_SG_EUlST_E1_NS1_11comp_targetILNS1_3genE8ELNS1_11target_archE1030ELNS1_3gpuE2ELNS1_3repE0EEENS1_36merge_oddeven_config_static_selectorELNS0_4arch9wavefront6targetE1EEEvSF_
	.globl	_ZN7rocprim17ROCPRIM_400000_NS6detail17trampoline_kernelINS0_14default_configENS1_38merge_sort_block_merge_config_selectorIhNS0_10empty_typeEEEZZNS1_27merge_sort_block_merge_implIS3_PhPS5_jNS1_19radix_merge_compareILb1ELb0EhNS0_19identity_decomposerEEEEE10hipError_tT0_T1_T2_jT3_P12ihipStream_tbPNSt15iterator_traitsISE_E10value_typeEPNSK_ISF_E10value_typeEPSG_NS1_7vsmem_tEENKUlT_SE_SF_SG_E_clIS8_S8_S9_S9_EESD_ST_SE_SF_SG_EUlST_E1_NS1_11comp_targetILNS1_3genE8ELNS1_11target_archE1030ELNS1_3gpuE2ELNS1_3repE0EEENS1_36merge_oddeven_config_static_selectorELNS0_4arch9wavefront6targetE1EEEvSF_
	.p2align	8
	.type	_ZN7rocprim17ROCPRIM_400000_NS6detail17trampoline_kernelINS0_14default_configENS1_38merge_sort_block_merge_config_selectorIhNS0_10empty_typeEEEZZNS1_27merge_sort_block_merge_implIS3_PhPS5_jNS1_19radix_merge_compareILb1ELb0EhNS0_19identity_decomposerEEEEE10hipError_tT0_T1_T2_jT3_P12ihipStream_tbPNSt15iterator_traitsISE_E10value_typeEPNSK_ISF_E10value_typeEPSG_NS1_7vsmem_tEENKUlT_SE_SF_SG_E_clIS8_S8_S9_S9_EESD_ST_SE_SF_SG_EUlST_E1_NS1_11comp_targetILNS1_3genE8ELNS1_11target_archE1030ELNS1_3gpuE2ELNS1_3repE0EEENS1_36merge_oddeven_config_static_selectorELNS0_4arch9wavefront6targetE1EEEvSF_,@function
_ZN7rocprim17ROCPRIM_400000_NS6detail17trampoline_kernelINS0_14default_configENS1_38merge_sort_block_merge_config_selectorIhNS0_10empty_typeEEEZZNS1_27merge_sort_block_merge_implIS3_PhPS5_jNS1_19radix_merge_compareILb1ELb0EhNS0_19identity_decomposerEEEEE10hipError_tT0_T1_T2_jT3_P12ihipStream_tbPNSt15iterator_traitsISE_E10value_typeEPNSK_ISF_E10value_typeEPSG_NS1_7vsmem_tEENKUlT_SE_SF_SG_E_clIS8_S8_S9_S9_EESD_ST_SE_SF_SG_EUlST_E1_NS1_11comp_targetILNS1_3genE8ELNS1_11target_archE1030ELNS1_3gpuE2ELNS1_3repE0EEENS1_36merge_oddeven_config_static_selectorELNS0_4arch9wavefront6targetE1EEEvSF_: ; @_ZN7rocprim17ROCPRIM_400000_NS6detail17trampoline_kernelINS0_14default_configENS1_38merge_sort_block_merge_config_selectorIhNS0_10empty_typeEEEZZNS1_27merge_sort_block_merge_implIS3_PhPS5_jNS1_19radix_merge_compareILb1ELb0EhNS0_19identity_decomposerEEEEE10hipError_tT0_T1_T2_jT3_P12ihipStream_tbPNSt15iterator_traitsISE_E10value_typeEPNSK_ISF_E10value_typeEPSG_NS1_7vsmem_tEENKUlT_SE_SF_SG_E_clIS8_S8_S9_S9_EESD_ST_SE_SF_SG_EUlST_E1_NS1_11comp_targetILNS1_3genE8ELNS1_11target_archE1030ELNS1_3gpuE2ELNS1_3repE0EEENS1_36merge_oddeven_config_static_selectorELNS0_4arch9wavefront6targetE1EEEvSF_
; %bb.0:
	.section	.rodata,"a",@progbits
	.p2align	6, 0x0
	.amdhsa_kernel _ZN7rocprim17ROCPRIM_400000_NS6detail17trampoline_kernelINS0_14default_configENS1_38merge_sort_block_merge_config_selectorIhNS0_10empty_typeEEEZZNS1_27merge_sort_block_merge_implIS3_PhPS5_jNS1_19radix_merge_compareILb1ELb0EhNS0_19identity_decomposerEEEEE10hipError_tT0_T1_T2_jT3_P12ihipStream_tbPNSt15iterator_traitsISE_E10value_typeEPNSK_ISF_E10value_typeEPSG_NS1_7vsmem_tEENKUlT_SE_SF_SG_E_clIS8_S8_S9_S9_EESD_ST_SE_SF_SG_EUlST_E1_NS1_11comp_targetILNS1_3genE8ELNS1_11target_archE1030ELNS1_3gpuE2ELNS1_3repE0EEENS1_36merge_oddeven_config_static_selectorELNS0_4arch9wavefront6targetE1EEEvSF_
		.amdhsa_group_segment_fixed_size 0
		.amdhsa_private_segment_fixed_size 0
		.amdhsa_kernarg_size 48
		.amdhsa_user_sgpr_count 6
		.amdhsa_user_sgpr_private_segment_buffer 1
		.amdhsa_user_sgpr_dispatch_ptr 0
		.amdhsa_user_sgpr_queue_ptr 0
		.amdhsa_user_sgpr_kernarg_segment_ptr 1
		.amdhsa_user_sgpr_dispatch_id 0
		.amdhsa_user_sgpr_flat_scratch_init 0
		.amdhsa_user_sgpr_kernarg_preload_length 0
		.amdhsa_user_sgpr_kernarg_preload_offset 0
		.amdhsa_user_sgpr_private_segment_size 0
		.amdhsa_uses_dynamic_stack 0
		.amdhsa_system_sgpr_private_segment_wavefront_offset 0
		.amdhsa_system_sgpr_workgroup_id_x 1
		.amdhsa_system_sgpr_workgroup_id_y 0
		.amdhsa_system_sgpr_workgroup_id_z 0
		.amdhsa_system_sgpr_workgroup_info 0
		.amdhsa_system_vgpr_workitem_id 0
		.amdhsa_next_free_vgpr 1
		.amdhsa_next_free_sgpr 0
		.amdhsa_accum_offset 4
		.amdhsa_reserve_vcc 0
		.amdhsa_reserve_flat_scratch 0
		.amdhsa_float_round_mode_32 0
		.amdhsa_float_round_mode_16_64 0
		.amdhsa_float_denorm_mode_32 3
		.amdhsa_float_denorm_mode_16_64 3
		.amdhsa_dx10_clamp 1
		.amdhsa_ieee_mode 1
		.amdhsa_fp16_overflow 0
		.amdhsa_tg_split 0
		.amdhsa_exception_fp_ieee_invalid_op 0
		.amdhsa_exception_fp_denorm_src 0
		.amdhsa_exception_fp_ieee_div_zero 0
		.amdhsa_exception_fp_ieee_overflow 0
		.amdhsa_exception_fp_ieee_underflow 0
		.amdhsa_exception_fp_ieee_inexact 0
		.amdhsa_exception_int_div_zero 0
	.end_amdhsa_kernel
	.section	.text._ZN7rocprim17ROCPRIM_400000_NS6detail17trampoline_kernelINS0_14default_configENS1_38merge_sort_block_merge_config_selectorIhNS0_10empty_typeEEEZZNS1_27merge_sort_block_merge_implIS3_PhPS5_jNS1_19radix_merge_compareILb1ELb0EhNS0_19identity_decomposerEEEEE10hipError_tT0_T1_T2_jT3_P12ihipStream_tbPNSt15iterator_traitsISE_E10value_typeEPNSK_ISF_E10value_typeEPSG_NS1_7vsmem_tEENKUlT_SE_SF_SG_E_clIS8_S8_S9_S9_EESD_ST_SE_SF_SG_EUlST_E1_NS1_11comp_targetILNS1_3genE8ELNS1_11target_archE1030ELNS1_3gpuE2ELNS1_3repE0EEENS1_36merge_oddeven_config_static_selectorELNS0_4arch9wavefront6targetE1EEEvSF_,"axG",@progbits,_ZN7rocprim17ROCPRIM_400000_NS6detail17trampoline_kernelINS0_14default_configENS1_38merge_sort_block_merge_config_selectorIhNS0_10empty_typeEEEZZNS1_27merge_sort_block_merge_implIS3_PhPS5_jNS1_19radix_merge_compareILb1ELb0EhNS0_19identity_decomposerEEEEE10hipError_tT0_T1_T2_jT3_P12ihipStream_tbPNSt15iterator_traitsISE_E10value_typeEPNSK_ISF_E10value_typeEPSG_NS1_7vsmem_tEENKUlT_SE_SF_SG_E_clIS8_S8_S9_S9_EESD_ST_SE_SF_SG_EUlST_E1_NS1_11comp_targetILNS1_3genE8ELNS1_11target_archE1030ELNS1_3gpuE2ELNS1_3repE0EEENS1_36merge_oddeven_config_static_selectorELNS0_4arch9wavefront6targetE1EEEvSF_,comdat
.Lfunc_end1690:
	.size	_ZN7rocprim17ROCPRIM_400000_NS6detail17trampoline_kernelINS0_14default_configENS1_38merge_sort_block_merge_config_selectorIhNS0_10empty_typeEEEZZNS1_27merge_sort_block_merge_implIS3_PhPS5_jNS1_19radix_merge_compareILb1ELb0EhNS0_19identity_decomposerEEEEE10hipError_tT0_T1_T2_jT3_P12ihipStream_tbPNSt15iterator_traitsISE_E10value_typeEPNSK_ISF_E10value_typeEPSG_NS1_7vsmem_tEENKUlT_SE_SF_SG_E_clIS8_S8_S9_S9_EESD_ST_SE_SF_SG_EUlST_E1_NS1_11comp_targetILNS1_3genE8ELNS1_11target_archE1030ELNS1_3gpuE2ELNS1_3repE0EEENS1_36merge_oddeven_config_static_selectorELNS0_4arch9wavefront6targetE1EEEvSF_, .Lfunc_end1690-_ZN7rocprim17ROCPRIM_400000_NS6detail17trampoline_kernelINS0_14default_configENS1_38merge_sort_block_merge_config_selectorIhNS0_10empty_typeEEEZZNS1_27merge_sort_block_merge_implIS3_PhPS5_jNS1_19radix_merge_compareILb1ELb0EhNS0_19identity_decomposerEEEEE10hipError_tT0_T1_T2_jT3_P12ihipStream_tbPNSt15iterator_traitsISE_E10value_typeEPNSK_ISF_E10value_typeEPSG_NS1_7vsmem_tEENKUlT_SE_SF_SG_E_clIS8_S8_S9_S9_EESD_ST_SE_SF_SG_EUlST_E1_NS1_11comp_targetILNS1_3genE8ELNS1_11target_archE1030ELNS1_3gpuE2ELNS1_3repE0EEENS1_36merge_oddeven_config_static_selectorELNS0_4arch9wavefront6targetE1EEEvSF_
                                        ; -- End function
	.section	.AMDGPU.csdata,"",@progbits
; Kernel info:
; codeLenInByte = 0
; NumSgprs: 4
; NumVgprs: 0
; NumAgprs: 0
; TotalNumVgprs: 0
; ScratchSize: 0
; MemoryBound: 0
; FloatMode: 240
; IeeeMode: 1
; LDSByteSize: 0 bytes/workgroup (compile time only)
; SGPRBlocks: 0
; VGPRBlocks: 0
; NumSGPRsForWavesPerEU: 4
; NumVGPRsForWavesPerEU: 1
; AccumOffset: 4
; Occupancy: 8
; WaveLimiterHint : 0
; COMPUTE_PGM_RSRC2:SCRATCH_EN: 0
; COMPUTE_PGM_RSRC2:USER_SGPR: 6
; COMPUTE_PGM_RSRC2:TRAP_HANDLER: 0
; COMPUTE_PGM_RSRC2:TGID_X_EN: 1
; COMPUTE_PGM_RSRC2:TGID_Y_EN: 0
; COMPUTE_PGM_RSRC2:TGID_Z_EN: 0
; COMPUTE_PGM_RSRC2:TIDIG_COMP_CNT: 0
; COMPUTE_PGM_RSRC3_GFX90A:ACCUM_OFFSET: 0
; COMPUTE_PGM_RSRC3_GFX90A:TG_SPLIT: 0
	.section	.text._ZN7rocprim17ROCPRIM_400000_NS6detail17trampoline_kernelINS0_14default_configENS1_38merge_sort_block_merge_config_selectorIhNS0_10empty_typeEEEZZNS1_27merge_sort_block_merge_implIS3_PhPS5_jNS1_19radix_merge_compareILb1ELb1EhNS0_19identity_decomposerEEEEE10hipError_tT0_T1_T2_jT3_P12ihipStream_tbPNSt15iterator_traitsISE_E10value_typeEPNSK_ISF_E10value_typeEPSG_NS1_7vsmem_tEENKUlT_SE_SF_SG_E_clIS8_S8_S9_S9_EESD_ST_SE_SF_SG_EUlST_E_NS1_11comp_targetILNS1_3genE0ELNS1_11target_archE4294967295ELNS1_3gpuE0ELNS1_3repE0EEENS1_48merge_mergepath_partition_config_static_selectorELNS0_4arch9wavefront6targetE1EEEvSF_,"axG",@progbits,_ZN7rocprim17ROCPRIM_400000_NS6detail17trampoline_kernelINS0_14default_configENS1_38merge_sort_block_merge_config_selectorIhNS0_10empty_typeEEEZZNS1_27merge_sort_block_merge_implIS3_PhPS5_jNS1_19radix_merge_compareILb1ELb1EhNS0_19identity_decomposerEEEEE10hipError_tT0_T1_T2_jT3_P12ihipStream_tbPNSt15iterator_traitsISE_E10value_typeEPNSK_ISF_E10value_typeEPSG_NS1_7vsmem_tEENKUlT_SE_SF_SG_E_clIS8_S8_S9_S9_EESD_ST_SE_SF_SG_EUlST_E_NS1_11comp_targetILNS1_3genE0ELNS1_11target_archE4294967295ELNS1_3gpuE0ELNS1_3repE0EEENS1_48merge_mergepath_partition_config_static_selectorELNS0_4arch9wavefront6targetE1EEEvSF_,comdat
	.protected	_ZN7rocprim17ROCPRIM_400000_NS6detail17trampoline_kernelINS0_14default_configENS1_38merge_sort_block_merge_config_selectorIhNS0_10empty_typeEEEZZNS1_27merge_sort_block_merge_implIS3_PhPS5_jNS1_19radix_merge_compareILb1ELb1EhNS0_19identity_decomposerEEEEE10hipError_tT0_T1_T2_jT3_P12ihipStream_tbPNSt15iterator_traitsISE_E10value_typeEPNSK_ISF_E10value_typeEPSG_NS1_7vsmem_tEENKUlT_SE_SF_SG_E_clIS8_S8_S9_S9_EESD_ST_SE_SF_SG_EUlST_E_NS1_11comp_targetILNS1_3genE0ELNS1_11target_archE4294967295ELNS1_3gpuE0ELNS1_3repE0EEENS1_48merge_mergepath_partition_config_static_selectorELNS0_4arch9wavefront6targetE1EEEvSF_ ; -- Begin function _ZN7rocprim17ROCPRIM_400000_NS6detail17trampoline_kernelINS0_14default_configENS1_38merge_sort_block_merge_config_selectorIhNS0_10empty_typeEEEZZNS1_27merge_sort_block_merge_implIS3_PhPS5_jNS1_19radix_merge_compareILb1ELb1EhNS0_19identity_decomposerEEEEE10hipError_tT0_T1_T2_jT3_P12ihipStream_tbPNSt15iterator_traitsISE_E10value_typeEPNSK_ISF_E10value_typeEPSG_NS1_7vsmem_tEENKUlT_SE_SF_SG_E_clIS8_S8_S9_S9_EESD_ST_SE_SF_SG_EUlST_E_NS1_11comp_targetILNS1_3genE0ELNS1_11target_archE4294967295ELNS1_3gpuE0ELNS1_3repE0EEENS1_48merge_mergepath_partition_config_static_selectorELNS0_4arch9wavefront6targetE1EEEvSF_
	.globl	_ZN7rocprim17ROCPRIM_400000_NS6detail17trampoline_kernelINS0_14default_configENS1_38merge_sort_block_merge_config_selectorIhNS0_10empty_typeEEEZZNS1_27merge_sort_block_merge_implIS3_PhPS5_jNS1_19radix_merge_compareILb1ELb1EhNS0_19identity_decomposerEEEEE10hipError_tT0_T1_T2_jT3_P12ihipStream_tbPNSt15iterator_traitsISE_E10value_typeEPNSK_ISF_E10value_typeEPSG_NS1_7vsmem_tEENKUlT_SE_SF_SG_E_clIS8_S8_S9_S9_EESD_ST_SE_SF_SG_EUlST_E_NS1_11comp_targetILNS1_3genE0ELNS1_11target_archE4294967295ELNS1_3gpuE0ELNS1_3repE0EEENS1_48merge_mergepath_partition_config_static_selectorELNS0_4arch9wavefront6targetE1EEEvSF_
	.p2align	8
	.type	_ZN7rocprim17ROCPRIM_400000_NS6detail17trampoline_kernelINS0_14default_configENS1_38merge_sort_block_merge_config_selectorIhNS0_10empty_typeEEEZZNS1_27merge_sort_block_merge_implIS3_PhPS5_jNS1_19radix_merge_compareILb1ELb1EhNS0_19identity_decomposerEEEEE10hipError_tT0_T1_T2_jT3_P12ihipStream_tbPNSt15iterator_traitsISE_E10value_typeEPNSK_ISF_E10value_typeEPSG_NS1_7vsmem_tEENKUlT_SE_SF_SG_E_clIS8_S8_S9_S9_EESD_ST_SE_SF_SG_EUlST_E_NS1_11comp_targetILNS1_3genE0ELNS1_11target_archE4294967295ELNS1_3gpuE0ELNS1_3repE0EEENS1_48merge_mergepath_partition_config_static_selectorELNS0_4arch9wavefront6targetE1EEEvSF_,@function
_ZN7rocprim17ROCPRIM_400000_NS6detail17trampoline_kernelINS0_14default_configENS1_38merge_sort_block_merge_config_selectorIhNS0_10empty_typeEEEZZNS1_27merge_sort_block_merge_implIS3_PhPS5_jNS1_19radix_merge_compareILb1ELb1EhNS0_19identity_decomposerEEEEE10hipError_tT0_T1_T2_jT3_P12ihipStream_tbPNSt15iterator_traitsISE_E10value_typeEPNSK_ISF_E10value_typeEPSG_NS1_7vsmem_tEENKUlT_SE_SF_SG_E_clIS8_S8_S9_S9_EESD_ST_SE_SF_SG_EUlST_E_NS1_11comp_targetILNS1_3genE0ELNS1_11target_archE4294967295ELNS1_3gpuE0ELNS1_3repE0EEENS1_48merge_mergepath_partition_config_static_selectorELNS0_4arch9wavefront6targetE1EEEvSF_: ; @_ZN7rocprim17ROCPRIM_400000_NS6detail17trampoline_kernelINS0_14default_configENS1_38merge_sort_block_merge_config_selectorIhNS0_10empty_typeEEEZZNS1_27merge_sort_block_merge_implIS3_PhPS5_jNS1_19radix_merge_compareILb1ELb1EhNS0_19identity_decomposerEEEEE10hipError_tT0_T1_T2_jT3_P12ihipStream_tbPNSt15iterator_traitsISE_E10value_typeEPNSK_ISF_E10value_typeEPSG_NS1_7vsmem_tEENKUlT_SE_SF_SG_E_clIS8_S8_S9_S9_EESD_ST_SE_SF_SG_EUlST_E_NS1_11comp_targetILNS1_3genE0ELNS1_11target_archE4294967295ELNS1_3gpuE0ELNS1_3repE0EEENS1_48merge_mergepath_partition_config_static_selectorELNS0_4arch9wavefront6targetE1EEEvSF_
; %bb.0:
	.section	.rodata,"a",@progbits
	.p2align	6, 0x0
	.amdhsa_kernel _ZN7rocprim17ROCPRIM_400000_NS6detail17trampoline_kernelINS0_14default_configENS1_38merge_sort_block_merge_config_selectorIhNS0_10empty_typeEEEZZNS1_27merge_sort_block_merge_implIS3_PhPS5_jNS1_19radix_merge_compareILb1ELb1EhNS0_19identity_decomposerEEEEE10hipError_tT0_T1_T2_jT3_P12ihipStream_tbPNSt15iterator_traitsISE_E10value_typeEPNSK_ISF_E10value_typeEPSG_NS1_7vsmem_tEENKUlT_SE_SF_SG_E_clIS8_S8_S9_S9_EESD_ST_SE_SF_SG_EUlST_E_NS1_11comp_targetILNS1_3genE0ELNS1_11target_archE4294967295ELNS1_3gpuE0ELNS1_3repE0EEENS1_48merge_mergepath_partition_config_static_selectorELNS0_4arch9wavefront6targetE1EEEvSF_
		.amdhsa_group_segment_fixed_size 0
		.amdhsa_private_segment_fixed_size 0
		.amdhsa_kernarg_size 40
		.amdhsa_user_sgpr_count 6
		.amdhsa_user_sgpr_private_segment_buffer 1
		.amdhsa_user_sgpr_dispatch_ptr 0
		.amdhsa_user_sgpr_queue_ptr 0
		.amdhsa_user_sgpr_kernarg_segment_ptr 1
		.amdhsa_user_sgpr_dispatch_id 0
		.amdhsa_user_sgpr_flat_scratch_init 0
		.amdhsa_user_sgpr_kernarg_preload_length 0
		.amdhsa_user_sgpr_kernarg_preload_offset 0
		.amdhsa_user_sgpr_private_segment_size 0
		.amdhsa_uses_dynamic_stack 0
		.amdhsa_system_sgpr_private_segment_wavefront_offset 0
		.amdhsa_system_sgpr_workgroup_id_x 1
		.amdhsa_system_sgpr_workgroup_id_y 0
		.amdhsa_system_sgpr_workgroup_id_z 0
		.amdhsa_system_sgpr_workgroup_info 0
		.amdhsa_system_vgpr_workitem_id 0
		.amdhsa_next_free_vgpr 1
		.amdhsa_next_free_sgpr 0
		.amdhsa_accum_offset 4
		.amdhsa_reserve_vcc 0
		.amdhsa_reserve_flat_scratch 0
		.amdhsa_float_round_mode_32 0
		.amdhsa_float_round_mode_16_64 0
		.amdhsa_float_denorm_mode_32 3
		.amdhsa_float_denorm_mode_16_64 3
		.amdhsa_dx10_clamp 1
		.amdhsa_ieee_mode 1
		.amdhsa_fp16_overflow 0
		.amdhsa_tg_split 0
		.amdhsa_exception_fp_ieee_invalid_op 0
		.amdhsa_exception_fp_denorm_src 0
		.amdhsa_exception_fp_ieee_div_zero 0
		.amdhsa_exception_fp_ieee_overflow 0
		.amdhsa_exception_fp_ieee_underflow 0
		.amdhsa_exception_fp_ieee_inexact 0
		.amdhsa_exception_int_div_zero 0
	.end_amdhsa_kernel
	.section	.text._ZN7rocprim17ROCPRIM_400000_NS6detail17trampoline_kernelINS0_14default_configENS1_38merge_sort_block_merge_config_selectorIhNS0_10empty_typeEEEZZNS1_27merge_sort_block_merge_implIS3_PhPS5_jNS1_19radix_merge_compareILb1ELb1EhNS0_19identity_decomposerEEEEE10hipError_tT0_T1_T2_jT3_P12ihipStream_tbPNSt15iterator_traitsISE_E10value_typeEPNSK_ISF_E10value_typeEPSG_NS1_7vsmem_tEENKUlT_SE_SF_SG_E_clIS8_S8_S9_S9_EESD_ST_SE_SF_SG_EUlST_E_NS1_11comp_targetILNS1_3genE0ELNS1_11target_archE4294967295ELNS1_3gpuE0ELNS1_3repE0EEENS1_48merge_mergepath_partition_config_static_selectorELNS0_4arch9wavefront6targetE1EEEvSF_,"axG",@progbits,_ZN7rocprim17ROCPRIM_400000_NS6detail17trampoline_kernelINS0_14default_configENS1_38merge_sort_block_merge_config_selectorIhNS0_10empty_typeEEEZZNS1_27merge_sort_block_merge_implIS3_PhPS5_jNS1_19radix_merge_compareILb1ELb1EhNS0_19identity_decomposerEEEEE10hipError_tT0_T1_T2_jT3_P12ihipStream_tbPNSt15iterator_traitsISE_E10value_typeEPNSK_ISF_E10value_typeEPSG_NS1_7vsmem_tEENKUlT_SE_SF_SG_E_clIS8_S8_S9_S9_EESD_ST_SE_SF_SG_EUlST_E_NS1_11comp_targetILNS1_3genE0ELNS1_11target_archE4294967295ELNS1_3gpuE0ELNS1_3repE0EEENS1_48merge_mergepath_partition_config_static_selectorELNS0_4arch9wavefront6targetE1EEEvSF_,comdat
.Lfunc_end1691:
	.size	_ZN7rocprim17ROCPRIM_400000_NS6detail17trampoline_kernelINS0_14default_configENS1_38merge_sort_block_merge_config_selectorIhNS0_10empty_typeEEEZZNS1_27merge_sort_block_merge_implIS3_PhPS5_jNS1_19radix_merge_compareILb1ELb1EhNS0_19identity_decomposerEEEEE10hipError_tT0_T1_T2_jT3_P12ihipStream_tbPNSt15iterator_traitsISE_E10value_typeEPNSK_ISF_E10value_typeEPSG_NS1_7vsmem_tEENKUlT_SE_SF_SG_E_clIS8_S8_S9_S9_EESD_ST_SE_SF_SG_EUlST_E_NS1_11comp_targetILNS1_3genE0ELNS1_11target_archE4294967295ELNS1_3gpuE0ELNS1_3repE0EEENS1_48merge_mergepath_partition_config_static_selectorELNS0_4arch9wavefront6targetE1EEEvSF_, .Lfunc_end1691-_ZN7rocprim17ROCPRIM_400000_NS6detail17trampoline_kernelINS0_14default_configENS1_38merge_sort_block_merge_config_selectorIhNS0_10empty_typeEEEZZNS1_27merge_sort_block_merge_implIS3_PhPS5_jNS1_19radix_merge_compareILb1ELb1EhNS0_19identity_decomposerEEEEE10hipError_tT0_T1_T2_jT3_P12ihipStream_tbPNSt15iterator_traitsISE_E10value_typeEPNSK_ISF_E10value_typeEPSG_NS1_7vsmem_tEENKUlT_SE_SF_SG_E_clIS8_S8_S9_S9_EESD_ST_SE_SF_SG_EUlST_E_NS1_11comp_targetILNS1_3genE0ELNS1_11target_archE4294967295ELNS1_3gpuE0ELNS1_3repE0EEENS1_48merge_mergepath_partition_config_static_selectorELNS0_4arch9wavefront6targetE1EEEvSF_
                                        ; -- End function
	.section	.AMDGPU.csdata,"",@progbits
; Kernel info:
; codeLenInByte = 0
; NumSgprs: 4
; NumVgprs: 0
; NumAgprs: 0
; TotalNumVgprs: 0
; ScratchSize: 0
; MemoryBound: 0
; FloatMode: 240
; IeeeMode: 1
; LDSByteSize: 0 bytes/workgroup (compile time only)
; SGPRBlocks: 0
; VGPRBlocks: 0
; NumSGPRsForWavesPerEU: 4
; NumVGPRsForWavesPerEU: 1
; AccumOffset: 4
; Occupancy: 8
; WaveLimiterHint : 0
; COMPUTE_PGM_RSRC2:SCRATCH_EN: 0
; COMPUTE_PGM_RSRC2:USER_SGPR: 6
; COMPUTE_PGM_RSRC2:TRAP_HANDLER: 0
; COMPUTE_PGM_RSRC2:TGID_X_EN: 1
; COMPUTE_PGM_RSRC2:TGID_Y_EN: 0
; COMPUTE_PGM_RSRC2:TGID_Z_EN: 0
; COMPUTE_PGM_RSRC2:TIDIG_COMP_CNT: 0
; COMPUTE_PGM_RSRC3_GFX90A:ACCUM_OFFSET: 0
; COMPUTE_PGM_RSRC3_GFX90A:TG_SPLIT: 0
	.section	.text._ZN7rocprim17ROCPRIM_400000_NS6detail17trampoline_kernelINS0_14default_configENS1_38merge_sort_block_merge_config_selectorIhNS0_10empty_typeEEEZZNS1_27merge_sort_block_merge_implIS3_PhPS5_jNS1_19radix_merge_compareILb1ELb1EhNS0_19identity_decomposerEEEEE10hipError_tT0_T1_T2_jT3_P12ihipStream_tbPNSt15iterator_traitsISE_E10value_typeEPNSK_ISF_E10value_typeEPSG_NS1_7vsmem_tEENKUlT_SE_SF_SG_E_clIS8_S8_S9_S9_EESD_ST_SE_SF_SG_EUlST_E_NS1_11comp_targetILNS1_3genE10ELNS1_11target_archE1201ELNS1_3gpuE5ELNS1_3repE0EEENS1_48merge_mergepath_partition_config_static_selectorELNS0_4arch9wavefront6targetE1EEEvSF_,"axG",@progbits,_ZN7rocprim17ROCPRIM_400000_NS6detail17trampoline_kernelINS0_14default_configENS1_38merge_sort_block_merge_config_selectorIhNS0_10empty_typeEEEZZNS1_27merge_sort_block_merge_implIS3_PhPS5_jNS1_19radix_merge_compareILb1ELb1EhNS0_19identity_decomposerEEEEE10hipError_tT0_T1_T2_jT3_P12ihipStream_tbPNSt15iterator_traitsISE_E10value_typeEPNSK_ISF_E10value_typeEPSG_NS1_7vsmem_tEENKUlT_SE_SF_SG_E_clIS8_S8_S9_S9_EESD_ST_SE_SF_SG_EUlST_E_NS1_11comp_targetILNS1_3genE10ELNS1_11target_archE1201ELNS1_3gpuE5ELNS1_3repE0EEENS1_48merge_mergepath_partition_config_static_selectorELNS0_4arch9wavefront6targetE1EEEvSF_,comdat
	.protected	_ZN7rocprim17ROCPRIM_400000_NS6detail17trampoline_kernelINS0_14default_configENS1_38merge_sort_block_merge_config_selectorIhNS0_10empty_typeEEEZZNS1_27merge_sort_block_merge_implIS3_PhPS5_jNS1_19radix_merge_compareILb1ELb1EhNS0_19identity_decomposerEEEEE10hipError_tT0_T1_T2_jT3_P12ihipStream_tbPNSt15iterator_traitsISE_E10value_typeEPNSK_ISF_E10value_typeEPSG_NS1_7vsmem_tEENKUlT_SE_SF_SG_E_clIS8_S8_S9_S9_EESD_ST_SE_SF_SG_EUlST_E_NS1_11comp_targetILNS1_3genE10ELNS1_11target_archE1201ELNS1_3gpuE5ELNS1_3repE0EEENS1_48merge_mergepath_partition_config_static_selectorELNS0_4arch9wavefront6targetE1EEEvSF_ ; -- Begin function _ZN7rocprim17ROCPRIM_400000_NS6detail17trampoline_kernelINS0_14default_configENS1_38merge_sort_block_merge_config_selectorIhNS0_10empty_typeEEEZZNS1_27merge_sort_block_merge_implIS3_PhPS5_jNS1_19radix_merge_compareILb1ELb1EhNS0_19identity_decomposerEEEEE10hipError_tT0_T1_T2_jT3_P12ihipStream_tbPNSt15iterator_traitsISE_E10value_typeEPNSK_ISF_E10value_typeEPSG_NS1_7vsmem_tEENKUlT_SE_SF_SG_E_clIS8_S8_S9_S9_EESD_ST_SE_SF_SG_EUlST_E_NS1_11comp_targetILNS1_3genE10ELNS1_11target_archE1201ELNS1_3gpuE5ELNS1_3repE0EEENS1_48merge_mergepath_partition_config_static_selectorELNS0_4arch9wavefront6targetE1EEEvSF_
	.globl	_ZN7rocprim17ROCPRIM_400000_NS6detail17trampoline_kernelINS0_14default_configENS1_38merge_sort_block_merge_config_selectorIhNS0_10empty_typeEEEZZNS1_27merge_sort_block_merge_implIS3_PhPS5_jNS1_19radix_merge_compareILb1ELb1EhNS0_19identity_decomposerEEEEE10hipError_tT0_T1_T2_jT3_P12ihipStream_tbPNSt15iterator_traitsISE_E10value_typeEPNSK_ISF_E10value_typeEPSG_NS1_7vsmem_tEENKUlT_SE_SF_SG_E_clIS8_S8_S9_S9_EESD_ST_SE_SF_SG_EUlST_E_NS1_11comp_targetILNS1_3genE10ELNS1_11target_archE1201ELNS1_3gpuE5ELNS1_3repE0EEENS1_48merge_mergepath_partition_config_static_selectorELNS0_4arch9wavefront6targetE1EEEvSF_
	.p2align	8
	.type	_ZN7rocprim17ROCPRIM_400000_NS6detail17trampoline_kernelINS0_14default_configENS1_38merge_sort_block_merge_config_selectorIhNS0_10empty_typeEEEZZNS1_27merge_sort_block_merge_implIS3_PhPS5_jNS1_19radix_merge_compareILb1ELb1EhNS0_19identity_decomposerEEEEE10hipError_tT0_T1_T2_jT3_P12ihipStream_tbPNSt15iterator_traitsISE_E10value_typeEPNSK_ISF_E10value_typeEPSG_NS1_7vsmem_tEENKUlT_SE_SF_SG_E_clIS8_S8_S9_S9_EESD_ST_SE_SF_SG_EUlST_E_NS1_11comp_targetILNS1_3genE10ELNS1_11target_archE1201ELNS1_3gpuE5ELNS1_3repE0EEENS1_48merge_mergepath_partition_config_static_selectorELNS0_4arch9wavefront6targetE1EEEvSF_,@function
_ZN7rocprim17ROCPRIM_400000_NS6detail17trampoline_kernelINS0_14default_configENS1_38merge_sort_block_merge_config_selectorIhNS0_10empty_typeEEEZZNS1_27merge_sort_block_merge_implIS3_PhPS5_jNS1_19radix_merge_compareILb1ELb1EhNS0_19identity_decomposerEEEEE10hipError_tT0_T1_T2_jT3_P12ihipStream_tbPNSt15iterator_traitsISE_E10value_typeEPNSK_ISF_E10value_typeEPSG_NS1_7vsmem_tEENKUlT_SE_SF_SG_E_clIS8_S8_S9_S9_EESD_ST_SE_SF_SG_EUlST_E_NS1_11comp_targetILNS1_3genE10ELNS1_11target_archE1201ELNS1_3gpuE5ELNS1_3repE0EEENS1_48merge_mergepath_partition_config_static_selectorELNS0_4arch9wavefront6targetE1EEEvSF_: ; @_ZN7rocprim17ROCPRIM_400000_NS6detail17trampoline_kernelINS0_14default_configENS1_38merge_sort_block_merge_config_selectorIhNS0_10empty_typeEEEZZNS1_27merge_sort_block_merge_implIS3_PhPS5_jNS1_19radix_merge_compareILb1ELb1EhNS0_19identity_decomposerEEEEE10hipError_tT0_T1_T2_jT3_P12ihipStream_tbPNSt15iterator_traitsISE_E10value_typeEPNSK_ISF_E10value_typeEPSG_NS1_7vsmem_tEENKUlT_SE_SF_SG_E_clIS8_S8_S9_S9_EESD_ST_SE_SF_SG_EUlST_E_NS1_11comp_targetILNS1_3genE10ELNS1_11target_archE1201ELNS1_3gpuE5ELNS1_3repE0EEENS1_48merge_mergepath_partition_config_static_selectorELNS0_4arch9wavefront6targetE1EEEvSF_
; %bb.0:
	.section	.rodata,"a",@progbits
	.p2align	6, 0x0
	.amdhsa_kernel _ZN7rocprim17ROCPRIM_400000_NS6detail17trampoline_kernelINS0_14default_configENS1_38merge_sort_block_merge_config_selectorIhNS0_10empty_typeEEEZZNS1_27merge_sort_block_merge_implIS3_PhPS5_jNS1_19radix_merge_compareILb1ELb1EhNS0_19identity_decomposerEEEEE10hipError_tT0_T1_T2_jT3_P12ihipStream_tbPNSt15iterator_traitsISE_E10value_typeEPNSK_ISF_E10value_typeEPSG_NS1_7vsmem_tEENKUlT_SE_SF_SG_E_clIS8_S8_S9_S9_EESD_ST_SE_SF_SG_EUlST_E_NS1_11comp_targetILNS1_3genE10ELNS1_11target_archE1201ELNS1_3gpuE5ELNS1_3repE0EEENS1_48merge_mergepath_partition_config_static_selectorELNS0_4arch9wavefront6targetE1EEEvSF_
		.amdhsa_group_segment_fixed_size 0
		.amdhsa_private_segment_fixed_size 0
		.amdhsa_kernarg_size 40
		.amdhsa_user_sgpr_count 6
		.amdhsa_user_sgpr_private_segment_buffer 1
		.amdhsa_user_sgpr_dispatch_ptr 0
		.amdhsa_user_sgpr_queue_ptr 0
		.amdhsa_user_sgpr_kernarg_segment_ptr 1
		.amdhsa_user_sgpr_dispatch_id 0
		.amdhsa_user_sgpr_flat_scratch_init 0
		.amdhsa_user_sgpr_kernarg_preload_length 0
		.amdhsa_user_sgpr_kernarg_preload_offset 0
		.amdhsa_user_sgpr_private_segment_size 0
		.amdhsa_uses_dynamic_stack 0
		.amdhsa_system_sgpr_private_segment_wavefront_offset 0
		.amdhsa_system_sgpr_workgroup_id_x 1
		.amdhsa_system_sgpr_workgroup_id_y 0
		.amdhsa_system_sgpr_workgroup_id_z 0
		.amdhsa_system_sgpr_workgroup_info 0
		.amdhsa_system_vgpr_workitem_id 0
		.amdhsa_next_free_vgpr 1
		.amdhsa_next_free_sgpr 0
		.amdhsa_accum_offset 4
		.amdhsa_reserve_vcc 0
		.amdhsa_reserve_flat_scratch 0
		.amdhsa_float_round_mode_32 0
		.amdhsa_float_round_mode_16_64 0
		.amdhsa_float_denorm_mode_32 3
		.amdhsa_float_denorm_mode_16_64 3
		.amdhsa_dx10_clamp 1
		.amdhsa_ieee_mode 1
		.amdhsa_fp16_overflow 0
		.amdhsa_tg_split 0
		.amdhsa_exception_fp_ieee_invalid_op 0
		.amdhsa_exception_fp_denorm_src 0
		.amdhsa_exception_fp_ieee_div_zero 0
		.amdhsa_exception_fp_ieee_overflow 0
		.amdhsa_exception_fp_ieee_underflow 0
		.amdhsa_exception_fp_ieee_inexact 0
		.amdhsa_exception_int_div_zero 0
	.end_amdhsa_kernel
	.section	.text._ZN7rocprim17ROCPRIM_400000_NS6detail17trampoline_kernelINS0_14default_configENS1_38merge_sort_block_merge_config_selectorIhNS0_10empty_typeEEEZZNS1_27merge_sort_block_merge_implIS3_PhPS5_jNS1_19radix_merge_compareILb1ELb1EhNS0_19identity_decomposerEEEEE10hipError_tT0_T1_T2_jT3_P12ihipStream_tbPNSt15iterator_traitsISE_E10value_typeEPNSK_ISF_E10value_typeEPSG_NS1_7vsmem_tEENKUlT_SE_SF_SG_E_clIS8_S8_S9_S9_EESD_ST_SE_SF_SG_EUlST_E_NS1_11comp_targetILNS1_3genE10ELNS1_11target_archE1201ELNS1_3gpuE5ELNS1_3repE0EEENS1_48merge_mergepath_partition_config_static_selectorELNS0_4arch9wavefront6targetE1EEEvSF_,"axG",@progbits,_ZN7rocprim17ROCPRIM_400000_NS6detail17trampoline_kernelINS0_14default_configENS1_38merge_sort_block_merge_config_selectorIhNS0_10empty_typeEEEZZNS1_27merge_sort_block_merge_implIS3_PhPS5_jNS1_19radix_merge_compareILb1ELb1EhNS0_19identity_decomposerEEEEE10hipError_tT0_T1_T2_jT3_P12ihipStream_tbPNSt15iterator_traitsISE_E10value_typeEPNSK_ISF_E10value_typeEPSG_NS1_7vsmem_tEENKUlT_SE_SF_SG_E_clIS8_S8_S9_S9_EESD_ST_SE_SF_SG_EUlST_E_NS1_11comp_targetILNS1_3genE10ELNS1_11target_archE1201ELNS1_3gpuE5ELNS1_3repE0EEENS1_48merge_mergepath_partition_config_static_selectorELNS0_4arch9wavefront6targetE1EEEvSF_,comdat
.Lfunc_end1692:
	.size	_ZN7rocprim17ROCPRIM_400000_NS6detail17trampoline_kernelINS0_14default_configENS1_38merge_sort_block_merge_config_selectorIhNS0_10empty_typeEEEZZNS1_27merge_sort_block_merge_implIS3_PhPS5_jNS1_19radix_merge_compareILb1ELb1EhNS0_19identity_decomposerEEEEE10hipError_tT0_T1_T2_jT3_P12ihipStream_tbPNSt15iterator_traitsISE_E10value_typeEPNSK_ISF_E10value_typeEPSG_NS1_7vsmem_tEENKUlT_SE_SF_SG_E_clIS8_S8_S9_S9_EESD_ST_SE_SF_SG_EUlST_E_NS1_11comp_targetILNS1_3genE10ELNS1_11target_archE1201ELNS1_3gpuE5ELNS1_3repE0EEENS1_48merge_mergepath_partition_config_static_selectorELNS0_4arch9wavefront6targetE1EEEvSF_, .Lfunc_end1692-_ZN7rocprim17ROCPRIM_400000_NS6detail17trampoline_kernelINS0_14default_configENS1_38merge_sort_block_merge_config_selectorIhNS0_10empty_typeEEEZZNS1_27merge_sort_block_merge_implIS3_PhPS5_jNS1_19radix_merge_compareILb1ELb1EhNS0_19identity_decomposerEEEEE10hipError_tT0_T1_T2_jT3_P12ihipStream_tbPNSt15iterator_traitsISE_E10value_typeEPNSK_ISF_E10value_typeEPSG_NS1_7vsmem_tEENKUlT_SE_SF_SG_E_clIS8_S8_S9_S9_EESD_ST_SE_SF_SG_EUlST_E_NS1_11comp_targetILNS1_3genE10ELNS1_11target_archE1201ELNS1_3gpuE5ELNS1_3repE0EEENS1_48merge_mergepath_partition_config_static_selectorELNS0_4arch9wavefront6targetE1EEEvSF_
                                        ; -- End function
	.section	.AMDGPU.csdata,"",@progbits
; Kernel info:
; codeLenInByte = 0
; NumSgprs: 4
; NumVgprs: 0
; NumAgprs: 0
; TotalNumVgprs: 0
; ScratchSize: 0
; MemoryBound: 0
; FloatMode: 240
; IeeeMode: 1
; LDSByteSize: 0 bytes/workgroup (compile time only)
; SGPRBlocks: 0
; VGPRBlocks: 0
; NumSGPRsForWavesPerEU: 4
; NumVGPRsForWavesPerEU: 1
; AccumOffset: 4
; Occupancy: 8
; WaveLimiterHint : 0
; COMPUTE_PGM_RSRC2:SCRATCH_EN: 0
; COMPUTE_PGM_RSRC2:USER_SGPR: 6
; COMPUTE_PGM_RSRC2:TRAP_HANDLER: 0
; COMPUTE_PGM_RSRC2:TGID_X_EN: 1
; COMPUTE_PGM_RSRC2:TGID_Y_EN: 0
; COMPUTE_PGM_RSRC2:TGID_Z_EN: 0
; COMPUTE_PGM_RSRC2:TIDIG_COMP_CNT: 0
; COMPUTE_PGM_RSRC3_GFX90A:ACCUM_OFFSET: 0
; COMPUTE_PGM_RSRC3_GFX90A:TG_SPLIT: 0
	.section	.text._ZN7rocprim17ROCPRIM_400000_NS6detail17trampoline_kernelINS0_14default_configENS1_38merge_sort_block_merge_config_selectorIhNS0_10empty_typeEEEZZNS1_27merge_sort_block_merge_implIS3_PhPS5_jNS1_19radix_merge_compareILb1ELb1EhNS0_19identity_decomposerEEEEE10hipError_tT0_T1_T2_jT3_P12ihipStream_tbPNSt15iterator_traitsISE_E10value_typeEPNSK_ISF_E10value_typeEPSG_NS1_7vsmem_tEENKUlT_SE_SF_SG_E_clIS8_S8_S9_S9_EESD_ST_SE_SF_SG_EUlST_E_NS1_11comp_targetILNS1_3genE5ELNS1_11target_archE942ELNS1_3gpuE9ELNS1_3repE0EEENS1_48merge_mergepath_partition_config_static_selectorELNS0_4arch9wavefront6targetE1EEEvSF_,"axG",@progbits,_ZN7rocprim17ROCPRIM_400000_NS6detail17trampoline_kernelINS0_14default_configENS1_38merge_sort_block_merge_config_selectorIhNS0_10empty_typeEEEZZNS1_27merge_sort_block_merge_implIS3_PhPS5_jNS1_19radix_merge_compareILb1ELb1EhNS0_19identity_decomposerEEEEE10hipError_tT0_T1_T2_jT3_P12ihipStream_tbPNSt15iterator_traitsISE_E10value_typeEPNSK_ISF_E10value_typeEPSG_NS1_7vsmem_tEENKUlT_SE_SF_SG_E_clIS8_S8_S9_S9_EESD_ST_SE_SF_SG_EUlST_E_NS1_11comp_targetILNS1_3genE5ELNS1_11target_archE942ELNS1_3gpuE9ELNS1_3repE0EEENS1_48merge_mergepath_partition_config_static_selectorELNS0_4arch9wavefront6targetE1EEEvSF_,comdat
	.protected	_ZN7rocprim17ROCPRIM_400000_NS6detail17trampoline_kernelINS0_14default_configENS1_38merge_sort_block_merge_config_selectorIhNS0_10empty_typeEEEZZNS1_27merge_sort_block_merge_implIS3_PhPS5_jNS1_19radix_merge_compareILb1ELb1EhNS0_19identity_decomposerEEEEE10hipError_tT0_T1_T2_jT3_P12ihipStream_tbPNSt15iterator_traitsISE_E10value_typeEPNSK_ISF_E10value_typeEPSG_NS1_7vsmem_tEENKUlT_SE_SF_SG_E_clIS8_S8_S9_S9_EESD_ST_SE_SF_SG_EUlST_E_NS1_11comp_targetILNS1_3genE5ELNS1_11target_archE942ELNS1_3gpuE9ELNS1_3repE0EEENS1_48merge_mergepath_partition_config_static_selectorELNS0_4arch9wavefront6targetE1EEEvSF_ ; -- Begin function _ZN7rocprim17ROCPRIM_400000_NS6detail17trampoline_kernelINS0_14default_configENS1_38merge_sort_block_merge_config_selectorIhNS0_10empty_typeEEEZZNS1_27merge_sort_block_merge_implIS3_PhPS5_jNS1_19radix_merge_compareILb1ELb1EhNS0_19identity_decomposerEEEEE10hipError_tT0_T1_T2_jT3_P12ihipStream_tbPNSt15iterator_traitsISE_E10value_typeEPNSK_ISF_E10value_typeEPSG_NS1_7vsmem_tEENKUlT_SE_SF_SG_E_clIS8_S8_S9_S9_EESD_ST_SE_SF_SG_EUlST_E_NS1_11comp_targetILNS1_3genE5ELNS1_11target_archE942ELNS1_3gpuE9ELNS1_3repE0EEENS1_48merge_mergepath_partition_config_static_selectorELNS0_4arch9wavefront6targetE1EEEvSF_
	.globl	_ZN7rocprim17ROCPRIM_400000_NS6detail17trampoline_kernelINS0_14default_configENS1_38merge_sort_block_merge_config_selectorIhNS0_10empty_typeEEEZZNS1_27merge_sort_block_merge_implIS3_PhPS5_jNS1_19radix_merge_compareILb1ELb1EhNS0_19identity_decomposerEEEEE10hipError_tT0_T1_T2_jT3_P12ihipStream_tbPNSt15iterator_traitsISE_E10value_typeEPNSK_ISF_E10value_typeEPSG_NS1_7vsmem_tEENKUlT_SE_SF_SG_E_clIS8_S8_S9_S9_EESD_ST_SE_SF_SG_EUlST_E_NS1_11comp_targetILNS1_3genE5ELNS1_11target_archE942ELNS1_3gpuE9ELNS1_3repE0EEENS1_48merge_mergepath_partition_config_static_selectorELNS0_4arch9wavefront6targetE1EEEvSF_
	.p2align	8
	.type	_ZN7rocprim17ROCPRIM_400000_NS6detail17trampoline_kernelINS0_14default_configENS1_38merge_sort_block_merge_config_selectorIhNS0_10empty_typeEEEZZNS1_27merge_sort_block_merge_implIS3_PhPS5_jNS1_19radix_merge_compareILb1ELb1EhNS0_19identity_decomposerEEEEE10hipError_tT0_T1_T2_jT3_P12ihipStream_tbPNSt15iterator_traitsISE_E10value_typeEPNSK_ISF_E10value_typeEPSG_NS1_7vsmem_tEENKUlT_SE_SF_SG_E_clIS8_S8_S9_S9_EESD_ST_SE_SF_SG_EUlST_E_NS1_11comp_targetILNS1_3genE5ELNS1_11target_archE942ELNS1_3gpuE9ELNS1_3repE0EEENS1_48merge_mergepath_partition_config_static_selectorELNS0_4arch9wavefront6targetE1EEEvSF_,@function
_ZN7rocprim17ROCPRIM_400000_NS6detail17trampoline_kernelINS0_14default_configENS1_38merge_sort_block_merge_config_selectorIhNS0_10empty_typeEEEZZNS1_27merge_sort_block_merge_implIS3_PhPS5_jNS1_19radix_merge_compareILb1ELb1EhNS0_19identity_decomposerEEEEE10hipError_tT0_T1_T2_jT3_P12ihipStream_tbPNSt15iterator_traitsISE_E10value_typeEPNSK_ISF_E10value_typeEPSG_NS1_7vsmem_tEENKUlT_SE_SF_SG_E_clIS8_S8_S9_S9_EESD_ST_SE_SF_SG_EUlST_E_NS1_11comp_targetILNS1_3genE5ELNS1_11target_archE942ELNS1_3gpuE9ELNS1_3repE0EEENS1_48merge_mergepath_partition_config_static_selectorELNS0_4arch9wavefront6targetE1EEEvSF_: ; @_ZN7rocprim17ROCPRIM_400000_NS6detail17trampoline_kernelINS0_14default_configENS1_38merge_sort_block_merge_config_selectorIhNS0_10empty_typeEEEZZNS1_27merge_sort_block_merge_implIS3_PhPS5_jNS1_19radix_merge_compareILb1ELb1EhNS0_19identity_decomposerEEEEE10hipError_tT0_T1_T2_jT3_P12ihipStream_tbPNSt15iterator_traitsISE_E10value_typeEPNSK_ISF_E10value_typeEPSG_NS1_7vsmem_tEENKUlT_SE_SF_SG_E_clIS8_S8_S9_S9_EESD_ST_SE_SF_SG_EUlST_E_NS1_11comp_targetILNS1_3genE5ELNS1_11target_archE942ELNS1_3gpuE9ELNS1_3repE0EEENS1_48merge_mergepath_partition_config_static_selectorELNS0_4arch9wavefront6targetE1EEEvSF_
; %bb.0:
	.section	.rodata,"a",@progbits
	.p2align	6, 0x0
	.amdhsa_kernel _ZN7rocprim17ROCPRIM_400000_NS6detail17trampoline_kernelINS0_14default_configENS1_38merge_sort_block_merge_config_selectorIhNS0_10empty_typeEEEZZNS1_27merge_sort_block_merge_implIS3_PhPS5_jNS1_19radix_merge_compareILb1ELb1EhNS0_19identity_decomposerEEEEE10hipError_tT0_T1_T2_jT3_P12ihipStream_tbPNSt15iterator_traitsISE_E10value_typeEPNSK_ISF_E10value_typeEPSG_NS1_7vsmem_tEENKUlT_SE_SF_SG_E_clIS8_S8_S9_S9_EESD_ST_SE_SF_SG_EUlST_E_NS1_11comp_targetILNS1_3genE5ELNS1_11target_archE942ELNS1_3gpuE9ELNS1_3repE0EEENS1_48merge_mergepath_partition_config_static_selectorELNS0_4arch9wavefront6targetE1EEEvSF_
		.amdhsa_group_segment_fixed_size 0
		.amdhsa_private_segment_fixed_size 0
		.amdhsa_kernarg_size 40
		.amdhsa_user_sgpr_count 6
		.amdhsa_user_sgpr_private_segment_buffer 1
		.amdhsa_user_sgpr_dispatch_ptr 0
		.amdhsa_user_sgpr_queue_ptr 0
		.amdhsa_user_sgpr_kernarg_segment_ptr 1
		.amdhsa_user_sgpr_dispatch_id 0
		.amdhsa_user_sgpr_flat_scratch_init 0
		.amdhsa_user_sgpr_kernarg_preload_length 0
		.amdhsa_user_sgpr_kernarg_preload_offset 0
		.amdhsa_user_sgpr_private_segment_size 0
		.amdhsa_uses_dynamic_stack 0
		.amdhsa_system_sgpr_private_segment_wavefront_offset 0
		.amdhsa_system_sgpr_workgroup_id_x 1
		.amdhsa_system_sgpr_workgroup_id_y 0
		.amdhsa_system_sgpr_workgroup_id_z 0
		.amdhsa_system_sgpr_workgroup_info 0
		.amdhsa_system_vgpr_workitem_id 0
		.amdhsa_next_free_vgpr 1
		.amdhsa_next_free_sgpr 0
		.amdhsa_accum_offset 4
		.amdhsa_reserve_vcc 0
		.amdhsa_reserve_flat_scratch 0
		.amdhsa_float_round_mode_32 0
		.amdhsa_float_round_mode_16_64 0
		.amdhsa_float_denorm_mode_32 3
		.amdhsa_float_denorm_mode_16_64 3
		.amdhsa_dx10_clamp 1
		.amdhsa_ieee_mode 1
		.amdhsa_fp16_overflow 0
		.amdhsa_tg_split 0
		.amdhsa_exception_fp_ieee_invalid_op 0
		.amdhsa_exception_fp_denorm_src 0
		.amdhsa_exception_fp_ieee_div_zero 0
		.amdhsa_exception_fp_ieee_overflow 0
		.amdhsa_exception_fp_ieee_underflow 0
		.amdhsa_exception_fp_ieee_inexact 0
		.amdhsa_exception_int_div_zero 0
	.end_amdhsa_kernel
	.section	.text._ZN7rocprim17ROCPRIM_400000_NS6detail17trampoline_kernelINS0_14default_configENS1_38merge_sort_block_merge_config_selectorIhNS0_10empty_typeEEEZZNS1_27merge_sort_block_merge_implIS3_PhPS5_jNS1_19radix_merge_compareILb1ELb1EhNS0_19identity_decomposerEEEEE10hipError_tT0_T1_T2_jT3_P12ihipStream_tbPNSt15iterator_traitsISE_E10value_typeEPNSK_ISF_E10value_typeEPSG_NS1_7vsmem_tEENKUlT_SE_SF_SG_E_clIS8_S8_S9_S9_EESD_ST_SE_SF_SG_EUlST_E_NS1_11comp_targetILNS1_3genE5ELNS1_11target_archE942ELNS1_3gpuE9ELNS1_3repE0EEENS1_48merge_mergepath_partition_config_static_selectorELNS0_4arch9wavefront6targetE1EEEvSF_,"axG",@progbits,_ZN7rocprim17ROCPRIM_400000_NS6detail17trampoline_kernelINS0_14default_configENS1_38merge_sort_block_merge_config_selectorIhNS0_10empty_typeEEEZZNS1_27merge_sort_block_merge_implIS3_PhPS5_jNS1_19radix_merge_compareILb1ELb1EhNS0_19identity_decomposerEEEEE10hipError_tT0_T1_T2_jT3_P12ihipStream_tbPNSt15iterator_traitsISE_E10value_typeEPNSK_ISF_E10value_typeEPSG_NS1_7vsmem_tEENKUlT_SE_SF_SG_E_clIS8_S8_S9_S9_EESD_ST_SE_SF_SG_EUlST_E_NS1_11comp_targetILNS1_3genE5ELNS1_11target_archE942ELNS1_3gpuE9ELNS1_3repE0EEENS1_48merge_mergepath_partition_config_static_selectorELNS0_4arch9wavefront6targetE1EEEvSF_,comdat
.Lfunc_end1693:
	.size	_ZN7rocprim17ROCPRIM_400000_NS6detail17trampoline_kernelINS0_14default_configENS1_38merge_sort_block_merge_config_selectorIhNS0_10empty_typeEEEZZNS1_27merge_sort_block_merge_implIS3_PhPS5_jNS1_19radix_merge_compareILb1ELb1EhNS0_19identity_decomposerEEEEE10hipError_tT0_T1_T2_jT3_P12ihipStream_tbPNSt15iterator_traitsISE_E10value_typeEPNSK_ISF_E10value_typeEPSG_NS1_7vsmem_tEENKUlT_SE_SF_SG_E_clIS8_S8_S9_S9_EESD_ST_SE_SF_SG_EUlST_E_NS1_11comp_targetILNS1_3genE5ELNS1_11target_archE942ELNS1_3gpuE9ELNS1_3repE0EEENS1_48merge_mergepath_partition_config_static_selectorELNS0_4arch9wavefront6targetE1EEEvSF_, .Lfunc_end1693-_ZN7rocprim17ROCPRIM_400000_NS6detail17trampoline_kernelINS0_14default_configENS1_38merge_sort_block_merge_config_selectorIhNS0_10empty_typeEEEZZNS1_27merge_sort_block_merge_implIS3_PhPS5_jNS1_19radix_merge_compareILb1ELb1EhNS0_19identity_decomposerEEEEE10hipError_tT0_T1_T2_jT3_P12ihipStream_tbPNSt15iterator_traitsISE_E10value_typeEPNSK_ISF_E10value_typeEPSG_NS1_7vsmem_tEENKUlT_SE_SF_SG_E_clIS8_S8_S9_S9_EESD_ST_SE_SF_SG_EUlST_E_NS1_11comp_targetILNS1_3genE5ELNS1_11target_archE942ELNS1_3gpuE9ELNS1_3repE0EEENS1_48merge_mergepath_partition_config_static_selectorELNS0_4arch9wavefront6targetE1EEEvSF_
                                        ; -- End function
	.section	.AMDGPU.csdata,"",@progbits
; Kernel info:
; codeLenInByte = 0
; NumSgprs: 4
; NumVgprs: 0
; NumAgprs: 0
; TotalNumVgprs: 0
; ScratchSize: 0
; MemoryBound: 0
; FloatMode: 240
; IeeeMode: 1
; LDSByteSize: 0 bytes/workgroup (compile time only)
; SGPRBlocks: 0
; VGPRBlocks: 0
; NumSGPRsForWavesPerEU: 4
; NumVGPRsForWavesPerEU: 1
; AccumOffset: 4
; Occupancy: 8
; WaveLimiterHint : 0
; COMPUTE_PGM_RSRC2:SCRATCH_EN: 0
; COMPUTE_PGM_RSRC2:USER_SGPR: 6
; COMPUTE_PGM_RSRC2:TRAP_HANDLER: 0
; COMPUTE_PGM_RSRC2:TGID_X_EN: 1
; COMPUTE_PGM_RSRC2:TGID_Y_EN: 0
; COMPUTE_PGM_RSRC2:TGID_Z_EN: 0
; COMPUTE_PGM_RSRC2:TIDIG_COMP_CNT: 0
; COMPUTE_PGM_RSRC3_GFX90A:ACCUM_OFFSET: 0
; COMPUTE_PGM_RSRC3_GFX90A:TG_SPLIT: 0
	.section	.text._ZN7rocprim17ROCPRIM_400000_NS6detail17trampoline_kernelINS0_14default_configENS1_38merge_sort_block_merge_config_selectorIhNS0_10empty_typeEEEZZNS1_27merge_sort_block_merge_implIS3_PhPS5_jNS1_19radix_merge_compareILb1ELb1EhNS0_19identity_decomposerEEEEE10hipError_tT0_T1_T2_jT3_P12ihipStream_tbPNSt15iterator_traitsISE_E10value_typeEPNSK_ISF_E10value_typeEPSG_NS1_7vsmem_tEENKUlT_SE_SF_SG_E_clIS8_S8_S9_S9_EESD_ST_SE_SF_SG_EUlST_E_NS1_11comp_targetILNS1_3genE4ELNS1_11target_archE910ELNS1_3gpuE8ELNS1_3repE0EEENS1_48merge_mergepath_partition_config_static_selectorELNS0_4arch9wavefront6targetE1EEEvSF_,"axG",@progbits,_ZN7rocprim17ROCPRIM_400000_NS6detail17trampoline_kernelINS0_14default_configENS1_38merge_sort_block_merge_config_selectorIhNS0_10empty_typeEEEZZNS1_27merge_sort_block_merge_implIS3_PhPS5_jNS1_19radix_merge_compareILb1ELb1EhNS0_19identity_decomposerEEEEE10hipError_tT0_T1_T2_jT3_P12ihipStream_tbPNSt15iterator_traitsISE_E10value_typeEPNSK_ISF_E10value_typeEPSG_NS1_7vsmem_tEENKUlT_SE_SF_SG_E_clIS8_S8_S9_S9_EESD_ST_SE_SF_SG_EUlST_E_NS1_11comp_targetILNS1_3genE4ELNS1_11target_archE910ELNS1_3gpuE8ELNS1_3repE0EEENS1_48merge_mergepath_partition_config_static_selectorELNS0_4arch9wavefront6targetE1EEEvSF_,comdat
	.protected	_ZN7rocprim17ROCPRIM_400000_NS6detail17trampoline_kernelINS0_14default_configENS1_38merge_sort_block_merge_config_selectorIhNS0_10empty_typeEEEZZNS1_27merge_sort_block_merge_implIS3_PhPS5_jNS1_19radix_merge_compareILb1ELb1EhNS0_19identity_decomposerEEEEE10hipError_tT0_T1_T2_jT3_P12ihipStream_tbPNSt15iterator_traitsISE_E10value_typeEPNSK_ISF_E10value_typeEPSG_NS1_7vsmem_tEENKUlT_SE_SF_SG_E_clIS8_S8_S9_S9_EESD_ST_SE_SF_SG_EUlST_E_NS1_11comp_targetILNS1_3genE4ELNS1_11target_archE910ELNS1_3gpuE8ELNS1_3repE0EEENS1_48merge_mergepath_partition_config_static_selectorELNS0_4arch9wavefront6targetE1EEEvSF_ ; -- Begin function _ZN7rocprim17ROCPRIM_400000_NS6detail17trampoline_kernelINS0_14default_configENS1_38merge_sort_block_merge_config_selectorIhNS0_10empty_typeEEEZZNS1_27merge_sort_block_merge_implIS3_PhPS5_jNS1_19radix_merge_compareILb1ELb1EhNS0_19identity_decomposerEEEEE10hipError_tT0_T1_T2_jT3_P12ihipStream_tbPNSt15iterator_traitsISE_E10value_typeEPNSK_ISF_E10value_typeEPSG_NS1_7vsmem_tEENKUlT_SE_SF_SG_E_clIS8_S8_S9_S9_EESD_ST_SE_SF_SG_EUlST_E_NS1_11comp_targetILNS1_3genE4ELNS1_11target_archE910ELNS1_3gpuE8ELNS1_3repE0EEENS1_48merge_mergepath_partition_config_static_selectorELNS0_4arch9wavefront6targetE1EEEvSF_
	.globl	_ZN7rocprim17ROCPRIM_400000_NS6detail17trampoline_kernelINS0_14default_configENS1_38merge_sort_block_merge_config_selectorIhNS0_10empty_typeEEEZZNS1_27merge_sort_block_merge_implIS3_PhPS5_jNS1_19radix_merge_compareILb1ELb1EhNS0_19identity_decomposerEEEEE10hipError_tT0_T1_T2_jT3_P12ihipStream_tbPNSt15iterator_traitsISE_E10value_typeEPNSK_ISF_E10value_typeEPSG_NS1_7vsmem_tEENKUlT_SE_SF_SG_E_clIS8_S8_S9_S9_EESD_ST_SE_SF_SG_EUlST_E_NS1_11comp_targetILNS1_3genE4ELNS1_11target_archE910ELNS1_3gpuE8ELNS1_3repE0EEENS1_48merge_mergepath_partition_config_static_selectorELNS0_4arch9wavefront6targetE1EEEvSF_
	.p2align	8
	.type	_ZN7rocprim17ROCPRIM_400000_NS6detail17trampoline_kernelINS0_14default_configENS1_38merge_sort_block_merge_config_selectorIhNS0_10empty_typeEEEZZNS1_27merge_sort_block_merge_implIS3_PhPS5_jNS1_19radix_merge_compareILb1ELb1EhNS0_19identity_decomposerEEEEE10hipError_tT0_T1_T2_jT3_P12ihipStream_tbPNSt15iterator_traitsISE_E10value_typeEPNSK_ISF_E10value_typeEPSG_NS1_7vsmem_tEENKUlT_SE_SF_SG_E_clIS8_S8_S9_S9_EESD_ST_SE_SF_SG_EUlST_E_NS1_11comp_targetILNS1_3genE4ELNS1_11target_archE910ELNS1_3gpuE8ELNS1_3repE0EEENS1_48merge_mergepath_partition_config_static_selectorELNS0_4arch9wavefront6targetE1EEEvSF_,@function
_ZN7rocprim17ROCPRIM_400000_NS6detail17trampoline_kernelINS0_14default_configENS1_38merge_sort_block_merge_config_selectorIhNS0_10empty_typeEEEZZNS1_27merge_sort_block_merge_implIS3_PhPS5_jNS1_19radix_merge_compareILb1ELb1EhNS0_19identity_decomposerEEEEE10hipError_tT0_T1_T2_jT3_P12ihipStream_tbPNSt15iterator_traitsISE_E10value_typeEPNSK_ISF_E10value_typeEPSG_NS1_7vsmem_tEENKUlT_SE_SF_SG_E_clIS8_S8_S9_S9_EESD_ST_SE_SF_SG_EUlST_E_NS1_11comp_targetILNS1_3genE4ELNS1_11target_archE910ELNS1_3gpuE8ELNS1_3repE0EEENS1_48merge_mergepath_partition_config_static_selectorELNS0_4arch9wavefront6targetE1EEEvSF_: ; @_ZN7rocprim17ROCPRIM_400000_NS6detail17trampoline_kernelINS0_14default_configENS1_38merge_sort_block_merge_config_selectorIhNS0_10empty_typeEEEZZNS1_27merge_sort_block_merge_implIS3_PhPS5_jNS1_19radix_merge_compareILb1ELb1EhNS0_19identity_decomposerEEEEE10hipError_tT0_T1_T2_jT3_P12ihipStream_tbPNSt15iterator_traitsISE_E10value_typeEPNSK_ISF_E10value_typeEPSG_NS1_7vsmem_tEENKUlT_SE_SF_SG_E_clIS8_S8_S9_S9_EESD_ST_SE_SF_SG_EUlST_E_NS1_11comp_targetILNS1_3genE4ELNS1_11target_archE910ELNS1_3gpuE8ELNS1_3repE0EEENS1_48merge_mergepath_partition_config_static_selectorELNS0_4arch9wavefront6targetE1EEEvSF_
; %bb.0:
	s_load_dword s0, s[4:5], 0x0
	v_lshl_or_b32 v0, s6, 7, v0
	s_waitcnt lgkmcnt(0)
	v_cmp_gt_u32_e32 vcc, s0, v0
	s_and_saveexec_b64 s[0:1], vcc
	s_cbranch_execz .LBB1694_6
; %bb.1:
	s_load_dwordx2 s[2:3], s[4:5], 0x4
	s_load_dwordx2 s[0:1], s[4:5], 0x20
	s_waitcnt lgkmcnt(0)
	s_lshr_b32 s6, s2, 9
	s_and_b32 s6, s6, 0x7ffffe
	s_add_i32 s7, s6, -1
	s_sub_i32 s6, 0, s6
	v_and_b32_e32 v1, s6, v0
	v_lshlrev_b32_e32 v3, 10, v1
	v_min_u32_e32 v1, s3, v3
	v_add_u32_e32 v3, s2, v3
	v_min_u32_e32 v7, s3, v3
	v_add_u32_e32 v3, s2, v7
	v_and_b32_e32 v2, s7, v0
	v_min_u32_e32 v4, s3, v3
	v_sub_u32_e32 v3, v4, v1
	v_lshlrev_b32_e32 v2, 10, v2
	v_min_u32_e32 v3, v3, v2
	v_sub_u32_e32 v5, v7, v1
	v_sub_u32_e32 v2, v4, v7
	v_sub_u32_e64 v2, v3, v2 clamp
	v_min_u32_e32 v4, v3, v5
	v_cmp_lt_u32_e32 vcc, v2, v4
	s_and_saveexec_b64 s[2:3], vcc
	s_cbranch_execz .LBB1694_5
; %bb.2:
	s_load_dwordx2 s[8:9], s[4:5], 0x10
	s_load_dword s6, s[4:5], 0x18
	s_mov_b64 s[4:5], 0
	s_waitcnt lgkmcnt(0)
	v_mov_b32_e32 v8, s9
	v_add_co_u32_e32 v5, vcc, s8, v1
	v_addc_co_u32_e32 v6, vcc, 0, v8, vcc
	v_add_co_u32_e32 v7, vcc, s8, v7
	v_addc_co_u32_e32 v8, vcc, 0, v8, vcc
.LBB1694_3:                             ; =>This Inner Loop Header: Depth=1
	v_add_u32_e32 v9, v4, v2
	v_lshrrev_b32_e32 v9, 1, v9
	v_add_co_u32_e32 v10, vcc, v5, v9
	v_xad_u32 v12, v9, -1, v3
	v_addc_co_u32_e32 v11, vcc, 0, v6, vcc
	v_add_co_u32_e32 v12, vcc, v7, v12
	v_addc_co_u32_e32 v13, vcc, 0, v8, vcc
	global_load_ubyte v14, v[10:11], off
	global_load_ubyte v15, v[12:13], off
	v_add_u32_e32 v10, 1, v9
	s_waitcnt vmcnt(1)
	v_and_b32_e32 v11, s6, v14
	s_waitcnt vmcnt(0)
	v_and_b32_e32 v12, s6, v15
	v_cmp_gt_u16_sdwa vcc, v12, v11 src0_sel:BYTE_0 src1_sel:BYTE_0
	v_cndmask_b32_e32 v4, v4, v9, vcc
	v_cndmask_b32_e32 v2, v10, v2, vcc
	v_cmp_ge_u32_e32 vcc, v2, v4
	s_or_b64 s[4:5], vcc, s[4:5]
	s_andn2_b64 exec, exec, s[4:5]
	s_cbranch_execnz .LBB1694_3
; %bb.4:
	s_or_b64 exec, exec, s[4:5]
.LBB1694_5:
	s_or_b64 exec, exec, s[2:3]
	v_add_u32_e32 v2, v2, v1
	v_mov_b32_e32 v1, 0
	v_lshlrev_b64 v[0:1], 2, v[0:1]
	v_mov_b32_e32 v3, s1
	v_add_co_u32_e32 v0, vcc, s0, v0
	v_addc_co_u32_e32 v1, vcc, v3, v1, vcc
	global_store_dword v[0:1], v2, off
.LBB1694_6:
	s_endpgm
	.section	.rodata,"a",@progbits
	.p2align	6, 0x0
	.amdhsa_kernel _ZN7rocprim17ROCPRIM_400000_NS6detail17trampoline_kernelINS0_14default_configENS1_38merge_sort_block_merge_config_selectorIhNS0_10empty_typeEEEZZNS1_27merge_sort_block_merge_implIS3_PhPS5_jNS1_19radix_merge_compareILb1ELb1EhNS0_19identity_decomposerEEEEE10hipError_tT0_T1_T2_jT3_P12ihipStream_tbPNSt15iterator_traitsISE_E10value_typeEPNSK_ISF_E10value_typeEPSG_NS1_7vsmem_tEENKUlT_SE_SF_SG_E_clIS8_S8_S9_S9_EESD_ST_SE_SF_SG_EUlST_E_NS1_11comp_targetILNS1_3genE4ELNS1_11target_archE910ELNS1_3gpuE8ELNS1_3repE0EEENS1_48merge_mergepath_partition_config_static_selectorELNS0_4arch9wavefront6targetE1EEEvSF_
		.amdhsa_group_segment_fixed_size 0
		.amdhsa_private_segment_fixed_size 0
		.amdhsa_kernarg_size 40
		.amdhsa_user_sgpr_count 6
		.amdhsa_user_sgpr_private_segment_buffer 1
		.amdhsa_user_sgpr_dispatch_ptr 0
		.amdhsa_user_sgpr_queue_ptr 0
		.amdhsa_user_sgpr_kernarg_segment_ptr 1
		.amdhsa_user_sgpr_dispatch_id 0
		.amdhsa_user_sgpr_flat_scratch_init 0
		.amdhsa_user_sgpr_kernarg_preload_length 0
		.amdhsa_user_sgpr_kernarg_preload_offset 0
		.amdhsa_user_sgpr_private_segment_size 0
		.amdhsa_uses_dynamic_stack 0
		.amdhsa_system_sgpr_private_segment_wavefront_offset 0
		.amdhsa_system_sgpr_workgroup_id_x 1
		.amdhsa_system_sgpr_workgroup_id_y 0
		.amdhsa_system_sgpr_workgroup_id_z 0
		.amdhsa_system_sgpr_workgroup_info 0
		.amdhsa_system_vgpr_workitem_id 0
		.amdhsa_next_free_vgpr 16
		.amdhsa_next_free_sgpr 10
		.amdhsa_accum_offset 16
		.amdhsa_reserve_vcc 1
		.amdhsa_reserve_flat_scratch 0
		.amdhsa_float_round_mode_32 0
		.amdhsa_float_round_mode_16_64 0
		.amdhsa_float_denorm_mode_32 3
		.amdhsa_float_denorm_mode_16_64 3
		.amdhsa_dx10_clamp 1
		.amdhsa_ieee_mode 1
		.amdhsa_fp16_overflow 0
		.amdhsa_tg_split 0
		.amdhsa_exception_fp_ieee_invalid_op 0
		.amdhsa_exception_fp_denorm_src 0
		.amdhsa_exception_fp_ieee_div_zero 0
		.amdhsa_exception_fp_ieee_overflow 0
		.amdhsa_exception_fp_ieee_underflow 0
		.amdhsa_exception_fp_ieee_inexact 0
		.amdhsa_exception_int_div_zero 0
	.end_amdhsa_kernel
	.section	.text._ZN7rocprim17ROCPRIM_400000_NS6detail17trampoline_kernelINS0_14default_configENS1_38merge_sort_block_merge_config_selectorIhNS0_10empty_typeEEEZZNS1_27merge_sort_block_merge_implIS3_PhPS5_jNS1_19radix_merge_compareILb1ELb1EhNS0_19identity_decomposerEEEEE10hipError_tT0_T1_T2_jT3_P12ihipStream_tbPNSt15iterator_traitsISE_E10value_typeEPNSK_ISF_E10value_typeEPSG_NS1_7vsmem_tEENKUlT_SE_SF_SG_E_clIS8_S8_S9_S9_EESD_ST_SE_SF_SG_EUlST_E_NS1_11comp_targetILNS1_3genE4ELNS1_11target_archE910ELNS1_3gpuE8ELNS1_3repE0EEENS1_48merge_mergepath_partition_config_static_selectorELNS0_4arch9wavefront6targetE1EEEvSF_,"axG",@progbits,_ZN7rocprim17ROCPRIM_400000_NS6detail17trampoline_kernelINS0_14default_configENS1_38merge_sort_block_merge_config_selectorIhNS0_10empty_typeEEEZZNS1_27merge_sort_block_merge_implIS3_PhPS5_jNS1_19radix_merge_compareILb1ELb1EhNS0_19identity_decomposerEEEEE10hipError_tT0_T1_T2_jT3_P12ihipStream_tbPNSt15iterator_traitsISE_E10value_typeEPNSK_ISF_E10value_typeEPSG_NS1_7vsmem_tEENKUlT_SE_SF_SG_E_clIS8_S8_S9_S9_EESD_ST_SE_SF_SG_EUlST_E_NS1_11comp_targetILNS1_3genE4ELNS1_11target_archE910ELNS1_3gpuE8ELNS1_3repE0EEENS1_48merge_mergepath_partition_config_static_selectorELNS0_4arch9wavefront6targetE1EEEvSF_,comdat
.Lfunc_end1694:
	.size	_ZN7rocprim17ROCPRIM_400000_NS6detail17trampoline_kernelINS0_14default_configENS1_38merge_sort_block_merge_config_selectorIhNS0_10empty_typeEEEZZNS1_27merge_sort_block_merge_implIS3_PhPS5_jNS1_19radix_merge_compareILb1ELb1EhNS0_19identity_decomposerEEEEE10hipError_tT0_T1_T2_jT3_P12ihipStream_tbPNSt15iterator_traitsISE_E10value_typeEPNSK_ISF_E10value_typeEPSG_NS1_7vsmem_tEENKUlT_SE_SF_SG_E_clIS8_S8_S9_S9_EESD_ST_SE_SF_SG_EUlST_E_NS1_11comp_targetILNS1_3genE4ELNS1_11target_archE910ELNS1_3gpuE8ELNS1_3repE0EEENS1_48merge_mergepath_partition_config_static_selectorELNS0_4arch9wavefront6targetE1EEEvSF_, .Lfunc_end1694-_ZN7rocprim17ROCPRIM_400000_NS6detail17trampoline_kernelINS0_14default_configENS1_38merge_sort_block_merge_config_selectorIhNS0_10empty_typeEEEZZNS1_27merge_sort_block_merge_implIS3_PhPS5_jNS1_19radix_merge_compareILb1ELb1EhNS0_19identity_decomposerEEEEE10hipError_tT0_T1_T2_jT3_P12ihipStream_tbPNSt15iterator_traitsISE_E10value_typeEPNSK_ISF_E10value_typeEPSG_NS1_7vsmem_tEENKUlT_SE_SF_SG_E_clIS8_S8_S9_S9_EESD_ST_SE_SF_SG_EUlST_E_NS1_11comp_targetILNS1_3genE4ELNS1_11target_archE910ELNS1_3gpuE8ELNS1_3repE0EEENS1_48merge_mergepath_partition_config_static_selectorELNS0_4arch9wavefront6targetE1EEEvSF_
                                        ; -- End function
	.section	.AMDGPU.csdata,"",@progbits
; Kernel info:
; codeLenInByte = 340
; NumSgprs: 14
; NumVgprs: 16
; NumAgprs: 0
; TotalNumVgprs: 16
; ScratchSize: 0
; MemoryBound: 0
; FloatMode: 240
; IeeeMode: 1
; LDSByteSize: 0 bytes/workgroup (compile time only)
; SGPRBlocks: 1
; VGPRBlocks: 1
; NumSGPRsForWavesPerEU: 14
; NumVGPRsForWavesPerEU: 16
; AccumOffset: 16
; Occupancy: 8
; WaveLimiterHint : 0
; COMPUTE_PGM_RSRC2:SCRATCH_EN: 0
; COMPUTE_PGM_RSRC2:USER_SGPR: 6
; COMPUTE_PGM_RSRC2:TRAP_HANDLER: 0
; COMPUTE_PGM_RSRC2:TGID_X_EN: 1
; COMPUTE_PGM_RSRC2:TGID_Y_EN: 0
; COMPUTE_PGM_RSRC2:TGID_Z_EN: 0
; COMPUTE_PGM_RSRC2:TIDIG_COMP_CNT: 0
; COMPUTE_PGM_RSRC3_GFX90A:ACCUM_OFFSET: 3
; COMPUTE_PGM_RSRC3_GFX90A:TG_SPLIT: 0
	.section	.text._ZN7rocprim17ROCPRIM_400000_NS6detail17trampoline_kernelINS0_14default_configENS1_38merge_sort_block_merge_config_selectorIhNS0_10empty_typeEEEZZNS1_27merge_sort_block_merge_implIS3_PhPS5_jNS1_19radix_merge_compareILb1ELb1EhNS0_19identity_decomposerEEEEE10hipError_tT0_T1_T2_jT3_P12ihipStream_tbPNSt15iterator_traitsISE_E10value_typeEPNSK_ISF_E10value_typeEPSG_NS1_7vsmem_tEENKUlT_SE_SF_SG_E_clIS8_S8_S9_S9_EESD_ST_SE_SF_SG_EUlST_E_NS1_11comp_targetILNS1_3genE3ELNS1_11target_archE908ELNS1_3gpuE7ELNS1_3repE0EEENS1_48merge_mergepath_partition_config_static_selectorELNS0_4arch9wavefront6targetE1EEEvSF_,"axG",@progbits,_ZN7rocprim17ROCPRIM_400000_NS6detail17trampoline_kernelINS0_14default_configENS1_38merge_sort_block_merge_config_selectorIhNS0_10empty_typeEEEZZNS1_27merge_sort_block_merge_implIS3_PhPS5_jNS1_19radix_merge_compareILb1ELb1EhNS0_19identity_decomposerEEEEE10hipError_tT0_T1_T2_jT3_P12ihipStream_tbPNSt15iterator_traitsISE_E10value_typeEPNSK_ISF_E10value_typeEPSG_NS1_7vsmem_tEENKUlT_SE_SF_SG_E_clIS8_S8_S9_S9_EESD_ST_SE_SF_SG_EUlST_E_NS1_11comp_targetILNS1_3genE3ELNS1_11target_archE908ELNS1_3gpuE7ELNS1_3repE0EEENS1_48merge_mergepath_partition_config_static_selectorELNS0_4arch9wavefront6targetE1EEEvSF_,comdat
	.protected	_ZN7rocprim17ROCPRIM_400000_NS6detail17trampoline_kernelINS0_14default_configENS1_38merge_sort_block_merge_config_selectorIhNS0_10empty_typeEEEZZNS1_27merge_sort_block_merge_implIS3_PhPS5_jNS1_19radix_merge_compareILb1ELb1EhNS0_19identity_decomposerEEEEE10hipError_tT0_T1_T2_jT3_P12ihipStream_tbPNSt15iterator_traitsISE_E10value_typeEPNSK_ISF_E10value_typeEPSG_NS1_7vsmem_tEENKUlT_SE_SF_SG_E_clIS8_S8_S9_S9_EESD_ST_SE_SF_SG_EUlST_E_NS1_11comp_targetILNS1_3genE3ELNS1_11target_archE908ELNS1_3gpuE7ELNS1_3repE0EEENS1_48merge_mergepath_partition_config_static_selectorELNS0_4arch9wavefront6targetE1EEEvSF_ ; -- Begin function _ZN7rocprim17ROCPRIM_400000_NS6detail17trampoline_kernelINS0_14default_configENS1_38merge_sort_block_merge_config_selectorIhNS0_10empty_typeEEEZZNS1_27merge_sort_block_merge_implIS3_PhPS5_jNS1_19radix_merge_compareILb1ELb1EhNS0_19identity_decomposerEEEEE10hipError_tT0_T1_T2_jT3_P12ihipStream_tbPNSt15iterator_traitsISE_E10value_typeEPNSK_ISF_E10value_typeEPSG_NS1_7vsmem_tEENKUlT_SE_SF_SG_E_clIS8_S8_S9_S9_EESD_ST_SE_SF_SG_EUlST_E_NS1_11comp_targetILNS1_3genE3ELNS1_11target_archE908ELNS1_3gpuE7ELNS1_3repE0EEENS1_48merge_mergepath_partition_config_static_selectorELNS0_4arch9wavefront6targetE1EEEvSF_
	.globl	_ZN7rocprim17ROCPRIM_400000_NS6detail17trampoline_kernelINS0_14default_configENS1_38merge_sort_block_merge_config_selectorIhNS0_10empty_typeEEEZZNS1_27merge_sort_block_merge_implIS3_PhPS5_jNS1_19radix_merge_compareILb1ELb1EhNS0_19identity_decomposerEEEEE10hipError_tT0_T1_T2_jT3_P12ihipStream_tbPNSt15iterator_traitsISE_E10value_typeEPNSK_ISF_E10value_typeEPSG_NS1_7vsmem_tEENKUlT_SE_SF_SG_E_clIS8_S8_S9_S9_EESD_ST_SE_SF_SG_EUlST_E_NS1_11comp_targetILNS1_3genE3ELNS1_11target_archE908ELNS1_3gpuE7ELNS1_3repE0EEENS1_48merge_mergepath_partition_config_static_selectorELNS0_4arch9wavefront6targetE1EEEvSF_
	.p2align	8
	.type	_ZN7rocprim17ROCPRIM_400000_NS6detail17trampoline_kernelINS0_14default_configENS1_38merge_sort_block_merge_config_selectorIhNS0_10empty_typeEEEZZNS1_27merge_sort_block_merge_implIS3_PhPS5_jNS1_19radix_merge_compareILb1ELb1EhNS0_19identity_decomposerEEEEE10hipError_tT0_T1_T2_jT3_P12ihipStream_tbPNSt15iterator_traitsISE_E10value_typeEPNSK_ISF_E10value_typeEPSG_NS1_7vsmem_tEENKUlT_SE_SF_SG_E_clIS8_S8_S9_S9_EESD_ST_SE_SF_SG_EUlST_E_NS1_11comp_targetILNS1_3genE3ELNS1_11target_archE908ELNS1_3gpuE7ELNS1_3repE0EEENS1_48merge_mergepath_partition_config_static_selectorELNS0_4arch9wavefront6targetE1EEEvSF_,@function
_ZN7rocprim17ROCPRIM_400000_NS6detail17trampoline_kernelINS0_14default_configENS1_38merge_sort_block_merge_config_selectorIhNS0_10empty_typeEEEZZNS1_27merge_sort_block_merge_implIS3_PhPS5_jNS1_19radix_merge_compareILb1ELb1EhNS0_19identity_decomposerEEEEE10hipError_tT0_T1_T2_jT3_P12ihipStream_tbPNSt15iterator_traitsISE_E10value_typeEPNSK_ISF_E10value_typeEPSG_NS1_7vsmem_tEENKUlT_SE_SF_SG_E_clIS8_S8_S9_S9_EESD_ST_SE_SF_SG_EUlST_E_NS1_11comp_targetILNS1_3genE3ELNS1_11target_archE908ELNS1_3gpuE7ELNS1_3repE0EEENS1_48merge_mergepath_partition_config_static_selectorELNS0_4arch9wavefront6targetE1EEEvSF_: ; @_ZN7rocprim17ROCPRIM_400000_NS6detail17trampoline_kernelINS0_14default_configENS1_38merge_sort_block_merge_config_selectorIhNS0_10empty_typeEEEZZNS1_27merge_sort_block_merge_implIS3_PhPS5_jNS1_19radix_merge_compareILb1ELb1EhNS0_19identity_decomposerEEEEE10hipError_tT0_T1_T2_jT3_P12ihipStream_tbPNSt15iterator_traitsISE_E10value_typeEPNSK_ISF_E10value_typeEPSG_NS1_7vsmem_tEENKUlT_SE_SF_SG_E_clIS8_S8_S9_S9_EESD_ST_SE_SF_SG_EUlST_E_NS1_11comp_targetILNS1_3genE3ELNS1_11target_archE908ELNS1_3gpuE7ELNS1_3repE0EEENS1_48merge_mergepath_partition_config_static_selectorELNS0_4arch9wavefront6targetE1EEEvSF_
; %bb.0:
	.section	.rodata,"a",@progbits
	.p2align	6, 0x0
	.amdhsa_kernel _ZN7rocprim17ROCPRIM_400000_NS6detail17trampoline_kernelINS0_14default_configENS1_38merge_sort_block_merge_config_selectorIhNS0_10empty_typeEEEZZNS1_27merge_sort_block_merge_implIS3_PhPS5_jNS1_19radix_merge_compareILb1ELb1EhNS0_19identity_decomposerEEEEE10hipError_tT0_T1_T2_jT3_P12ihipStream_tbPNSt15iterator_traitsISE_E10value_typeEPNSK_ISF_E10value_typeEPSG_NS1_7vsmem_tEENKUlT_SE_SF_SG_E_clIS8_S8_S9_S9_EESD_ST_SE_SF_SG_EUlST_E_NS1_11comp_targetILNS1_3genE3ELNS1_11target_archE908ELNS1_3gpuE7ELNS1_3repE0EEENS1_48merge_mergepath_partition_config_static_selectorELNS0_4arch9wavefront6targetE1EEEvSF_
		.amdhsa_group_segment_fixed_size 0
		.amdhsa_private_segment_fixed_size 0
		.amdhsa_kernarg_size 40
		.amdhsa_user_sgpr_count 6
		.amdhsa_user_sgpr_private_segment_buffer 1
		.amdhsa_user_sgpr_dispatch_ptr 0
		.amdhsa_user_sgpr_queue_ptr 0
		.amdhsa_user_sgpr_kernarg_segment_ptr 1
		.amdhsa_user_sgpr_dispatch_id 0
		.amdhsa_user_sgpr_flat_scratch_init 0
		.amdhsa_user_sgpr_kernarg_preload_length 0
		.amdhsa_user_sgpr_kernarg_preload_offset 0
		.amdhsa_user_sgpr_private_segment_size 0
		.amdhsa_uses_dynamic_stack 0
		.amdhsa_system_sgpr_private_segment_wavefront_offset 0
		.amdhsa_system_sgpr_workgroup_id_x 1
		.amdhsa_system_sgpr_workgroup_id_y 0
		.amdhsa_system_sgpr_workgroup_id_z 0
		.amdhsa_system_sgpr_workgroup_info 0
		.amdhsa_system_vgpr_workitem_id 0
		.amdhsa_next_free_vgpr 1
		.amdhsa_next_free_sgpr 0
		.amdhsa_accum_offset 4
		.amdhsa_reserve_vcc 0
		.amdhsa_reserve_flat_scratch 0
		.amdhsa_float_round_mode_32 0
		.amdhsa_float_round_mode_16_64 0
		.amdhsa_float_denorm_mode_32 3
		.amdhsa_float_denorm_mode_16_64 3
		.amdhsa_dx10_clamp 1
		.amdhsa_ieee_mode 1
		.amdhsa_fp16_overflow 0
		.amdhsa_tg_split 0
		.amdhsa_exception_fp_ieee_invalid_op 0
		.amdhsa_exception_fp_denorm_src 0
		.amdhsa_exception_fp_ieee_div_zero 0
		.amdhsa_exception_fp_ieee_overflow 0
		.amdhsa_exception_fp_ieee_underflow 0
		.amdhsa_exception_fp_ieee_inexact 0
		.amdhsa_exception_int_div_zero 0
	.end_amdhsa_kernel
	.section	.text._ZN7rocprim17ROCPRIM_400000_NS6detail17trampoline_kernelINS0_14default_configENS1_38merge_sort_block_merge_config_selectorIhNS0_10empty_typeEEEZZNS1_27merge_sort_block_merge_implIS3_PhPS5_jNS1_19radix_merge_compareILb1ELb1EhNS0_19identity_decomposerEEEEE10hipError_tT0_T1_T2_jT3_P12ihipStream_tbPNSt15iterator_traitsISE_E10value_typeEPNSK_ISF_E10value_typeEPSG_NS1_7vsmem_tEENKUlT_SE_SF_SG_E_clIS8_S8_S9_S9_EESD_ST_SE_SF_SG_EUlST_E_NS1_11comp_targetILNS1_3genE3ELNS1_11target_archE908ELNS1_3gpuE7ELNS1_3repE0EEENS1_48merge_mergepath_partition_config_static_selectorELNS0_4arch9wavefront6targetE1EEEvSF_,"axG",@progbits,_ZN7rocprim17ROCPRIM_400000_NS6detail17trampoline_kernelINS0_14default_configENS1_38merge_sort_block_merge_config_selectorIhNS0_10empty_typeEEEZZNS1_27merge_sort_block_merge_implIS3_PhPS5_jNS1_19radix_merge_compareILb1ELb1EhNS0_19identity_decomposerEEEEE10hipError_tT0_T1_T2_jT3_P12ihipStream_tbPNSt15iterator_traitsISE_E10value_typeEPNSK_ISF_E10value_typeEPSG_NS1_7vsmem_tEENKUlT_SE_SF_SG_E_clIS8_S8_S9_S9_EESD_ST_SE_SF_SG_EUlST_E_NS1_11comp_targetILNS1_3genE3ELNS1_11target_archE908ELNS1_3gpuE7ELNS1_3repE0EEENS1_48merge_mergepath_partition_config_static_selectorELNS0_4arch9wavefront6targetE1EEEvSF_,comdat
.Lfunc_end1695:
	.size	_ZN7rocprim17ROCPRIM_400000_NS6detail17trampoline_kernelINS0_14default_configENS1_38merge_sort_block_merge_config_selectorIhNS0_10empty_typeEEEZZNS1_27merge_sort_block_merge_implIS3_PhPS5_jNS1_19radix_merge_compareILb1ELb1EhNS0_19identity_decomposerEEEEE10hipError_tT0_T1_T2_jT3_P12ihipStream_tbPNSt15iterator_traitsISE_E10value_typeEPNSK_ISF_E10value_typeEPSG_NS1_7vsmem_tEENKUlT_SE_SF_SG_E_clIS8_S8_S9_S9_EESD_ST_SE_SF_SG_EUlST_E_NS1_11comp_targetILNS1_3genE3ELNS1_11target_archE908ELNS1_3gpuE7ELNS1_3repE0EEENS1_48merge_mergepath_partition_config_static_selectorELNS0_4arch9wavefront6targetE1EEEvSF_, .Lfunc_end1695-_ZN7rocprim17ROCPRIM_400000_NS6detail17trampoline_kernelINS0_14default_configENS1_38merge_sort_block_merge_config_selectorIhNS0_10empty_typeEEEZZNS1_27merge_sort_block_merge_implIS3_PhPS5_jNS1_19radix_merge_compareILb1ELb1EhNS0_19identity_decomposerEEEEE10hipError_tT0_T1_T2_jT3_P12ihipStream_tbPNSt15iterator_traitsISE_E10value_typeEPNSK_ISF_E10value_typeEPSG_NS1_7vsmem_tEENKUlT_SE_SF_SG_E_clIS8_S8_S9_S9_EESD_ST_SE_SF_SG_EUlST_E_NS1_11comp_targetILNS1_3genE3ELNS1_11target_archE908ELNS1_3gpuE7ELNS1_3repE0EEENS1_48merge_mergepath_partition_config_static_selectorELNS0_4arch9wavefront6targetE1EEEvSF_
                                        ; -- End function
	.section	.AMDGPU.csdata,"",@progbits
; Kernel info:
; codeLenInByte = 0
; NumSgprs: 4
; NumVgprs: 0
; NumAgprs: 0
; TotalNumVgprs: 0
; ScratchSize: 0
; MemoryBound: 0
; FloatMode: 240
; IeeeMode: 1
; LDSByteSize: 0 bytes/workgroup (compile time only)
; SGPRBlocks: 0
; VGPRBlocks: 0
; NumSGPRsForWavesPerEU: 4
; NumVGPRsForWavesPerEU: 1
; AccumOffset: 4
; Occupancy: 8
; WaveLimiterHint : 0
; COMPUTE_PGM_RSRC2:SCRATCH_EN: 0
; COMPUTE_PGM_RSRC2:USER_SGPR: 6
; COMPUTE_PGM_RSRC2:TRAP_HANDLER: 0
; COMPUTE_PGM_RSRC2:TGID_X_EN: 1
; COMPUTE_PGM_RSRC2:TGID_Y_EN: 0
; COMPUTE_PGM_RSRC2:TGID_Z_EN: 0
; COMPUTE_PGM_RSRC2:TIDIG_COMP_CNT: 0
; COMPUTE_PGM_RSRC3_GFX90A:ACCUM_OFFSET: 0
; COMPUTE_PGM_RSRC3_GFX90A:TG_SPLIT: 0
	.section	.text._ZN7rocprim17ROCPRIM_400000_NS6detail17trampoline_kernelINS0_14default_configENS1_38merge_sort_block_merge_config_selectorIhNS0_10empty_typeEEEZZNS1_27merge_sort_block_merge_implIS3_PhPS5_jNS1_19radix_merge_compareILb1ELb1EhNS0_19identity_decomposerEEEEE10hipError_tT0_T1_T2_jT3_P12ihipStream_tbPNSt15iterator_traitsISE_E10value_typeEPNSK_ISF_E10value_typeEPSG_NS1_7vsmem_tEENKUlT_SE_SF_SG_E_clIS8_S8_S9_S9_EESD_ST_SE_SF_SG_EUlST_E_NS1_11comp_targetILNS1_3genE2ELNS1_11target_archE906ELNS1_3gpuE6ELNS1_3repE0EEENS1_48merge_mergepath_partition_config_static_selectorELNS0_4arch9wavefront6targetE1EEEvSF_,"axG",@progbits,_ZN7rocprim17ROCPRIM_400000_NS6detail17trampoline_kernelINS0_14default_configENS1_38merge_sort_block_merge_config_selectorIhNS0_10empty_typeEEEZZNS1_27merge_sort_block_merge_implIS3_PhPS5_jNS1_19radix_merge_compareILb1ELb1EhNS0_19identity_decomposerEEEEE10hipError_tT0_T1_T2_jT3_P12ihipStream_tbPNSt15iterator_traitsISE_E10value_typeEPNSK_ISF_E10value_typeEPSG_NS1_7vsmem_tEENKUlT_SE_SF_SG_E_clIS8_S8_S9_S9_EESD_ST_SE_SF_SG_EUlST_E_NS1_11comp_targetILNS1_3genE2ELNS1_11target_archE906ELNS1_3gpuE6ELNS1_3repE0EEENS1_48merge_mergepath_partition_config_static_selectorELNS0_4arch9wavefront6targetE1EEEvSF_,comdat
	.protected	_ZN7rocprim17ROCPRIM_400000_NS6detail17trampoline_kernelINS0_14default_configENS1_38merge_sort_block_merge_config_selectorIhNS0_10empty_typeEEEZZNS1_27merge_sort_block_merge_implIS3_PhPS5_jNS1_19radix_merge_compareILb1ELb1EhNS0_19identity_decomposerEEEEE10hipError_tT0_T1_T2_jT3_P12ihipStream_tbPNSt15iterator_traitsISE_E10value_typeEPNSK_ISF_E10value_typeEPSG_NS1_7vsmem_tEENKUlT_SE_SF_SG_E_clIS8_S8_S9_S9_EESD_ST_SE_SF_SG_EUlST_E_NS1_11comp_targetILNS1_3genE2ELNS1_11target_archE906ELNS1_3gpuE6ELNS1_3repE0EEENS1_48merge_mergepath_partition_config_static_selectorELNS0_4arch9wavefront6targetE1EEEvSF_ ; -- Begin function _ZN7rocprim17ROCPRIM_400000_NS6detail17trampoline_kernelINS0_14default_configENS1_38merge_sort_block_merge_config_selectorIhNS0_10empty_typeEEEZZNS1_27merge_sort_block_merge_implIS3_PhPS5_jNS1_19radix_merge_compareILb1ELb1EhNS0_19identity_decomposerEEEEE10hipError_tT0_T1_T2_jT3_P12ihipStream_tbPNSt15iterator_traitsISE_E10value_typeEPNSK_ISF_E10value_typeEPSG_NS1_7vsmem_tEENKUlT_SE_SF_SG_E_clIS8_S8_S9_S9_EESD_ST_SE_SF_SG_EUlST_E_NS1_11comp_targetILNS1_3genE2ELNS1_11target_archE906ELNS1_3gpuE6ELNS1_3repE0EEENS1_48merge_mergepath_partition_config_static_selectorELNS0_4arch9wavefront6targetE1EEEvSF_
	.globl	_ZN7rocprim17ROCPRIM_400000_NS6detail17trampoline_kernelINS0_14default_configENS1_38merge_sort_block_merge_config_selectorIhNS0_10empty_typeEEEZZNS1_27merge_sort_block_merge_implIS3_PhPS5_jNS1_19radix_merge_compareILb1ELb1EhNS0_19identity_decomposerEEEEE10hipError_tT0_T1_T2_jT3_P12ihipStream_tbPNSt15iterator_traitsISE_E10value_typeEPNSK_ISF_E10value_typeEPSG_NS1_7vsmem_tEENKUlT_SE_SF_SG_E_clIS8_S8_S9_S9_EESD_ST_SE_SF_SG_EUlST_E_NS1_11comp_targetILNS1_3genE2ELNS1_11target_archE906ELNS1_3gpuE6ELNS1_3repE0EEENS1_48merge_mergepath_partition_config_static_selectorELNS0_4arch9wavefront6targetE1EEEvSF_
	.p2align	8
	.type	_ZN7rocprim17ROCPRIM_400000_NS6detail17trampoline_kernelINS0_14default_configENS1_38merge_sort_block_merge_config_selectorIhNS0_10empty_typeEEEZZNS1_27merge_sort_block_merge_implIS3_PhPS5_jNS1_19radix_merge_compareILb1ELb1EhNS0_19identity_decomposerEEEEE10hipError_tT0_T1_T2_jT3_P12ihipStream_tbPNSt15iterator_traitsISE_E10value_typeEPNSK_ISF_E10value_typeEPSG_NS1_7vsmem_tEENKUlT_SE_SF_SG_E_clIS8_S8_S9_S9_EESD_ST_SE_SF_SG_EUlST_E_NS1_11comp_targetILNS1_3genE2ELNS1_11target_archE906ELNS1_3gpuE6ELNS1_3repE0EEENS1_48merge_mergepath_partition_config_static_selectorELNS0_4arch9wavefront6targetE1EEEvSF_,@function
_ZN7rocprim17ROCPRIM_400000_NS6detail17trampoline_kernelINS0_14default_configENS1_38merge_sort_block_merge_config_selectorIhNS0_10empty_typeEEEZZNS1_27merge_sort_block_merge_implIS3_PhPS5_jNS1_19radix_merge_compareILb1ELb1EhNS0_19identity_decomposerEEEEE10hipError_tT0_T1_T2_jT3_P12ihipStream_tbPNSt15iterator_traitsISE_E10value_typeEPNSK_ISF_E10value_typeEPSG_NS1_7vsmem_tEENKUlT_SE_SF_SG_E_clIS8_S8_S9_S9_EESD_ST_SE_SF_SG_EUlST_E_NS1_11comp_targetILNS1_3genE2ELNS1_11target_archE906ELNS1_3gpuE6ELNS1_3repE0EEENS1_48merge_mergepath_partition_config_static_selectorELNS0_4arch9wavefront6targetE1EEEvSF_: ; @_ZN7rocprim17ROCPRIM_400000_NS6detail17trampoline_kernelINS0_14default_configENS1_38merge_sort_block_merge_config_selectorIhNS0_10empty_typeEEEZZNS1_27merge_sort_block_merge_implIS3_PhPS5_jNS1_19radix_merge_compareILb1ELb1EhNS0_19identity_decomposerEEEEE10hipError_tT0_T1_T2_jT3_P12ihipStream_tbPNSt15iterator_traitsISE_E10value_typeEPNSK_ISF_E10value_typeEPSG_NS1_7vsmem_tEENKUlT_SE_SF_SG_E_clIS8_S8_S9_S9_EESD_ST_SE_SF_SG_EUlST_E_NS1_11comp_targetILNS1_3genE2ELNS1_11target_archE906ELNS1_3gpuE6ELNS1_3repE0EEENS1_48merge_mergepath_partition_config_static_selectorELNS0_4arch9wavefront6targetE1EEEvSF_
; %bb.0:
	.section	.rodata,"a",@progbits
	.p2align	6, 0x0
	.amdhsa_kernel _ZN7rocprim17ROCPRIM_400000_NS6detail17trampoline_kernelINS0_14default_configENS1_38merge_sort_block_merge_config_selectorIhNS0_10empty_typeEEEZZNS1_27merge_sort_block_merge_implIS3_PhPS5_jNS1_19radix_merge_compareILb1ELb1EhNS0_19identity_decomposerEEEEE10hipError_tT0_T1_T2_jT3_P12ihipStream_tbPNSt15iterator_traitsISE_E10value_typeEPNSK_ISF_E10value_typeEPSG_NS1_7vsmem_tEENKUlT_SE_SF_SG_E_clIS8_S8_S9_S9_EESD_ST_SE_SF_SG_EUlST_E_NS1_11comp_targetILNS1_3genE2ELNS1_11target_archE906ELNS1_3gpuE6ELNS1_3repE0EEENS1_48merge_mergepath_partition_config_static_selectorELNS0_4arch9wavefront6targetE1EEEvSF_
		.amdhsa_group_segment_fixed_size 0
		.amdhsa_private_segment_fixed_size 0
		.amdhsa_kernarg_size 40
		.amdhsa_user_sgpr_count 6
		.amdhsa_user_sgpr_private_segment_buffer 1
		.amdhsa_user_sgpr_dispatch_ptr 0
		.amdhsa_user_sgpr_queue_ptr 0
		.amdhsa_user_sgpr_kernarg_segment_ptr 1
		.amdhsa_user_sgpr_dispatch_id 0
		.amdhsa_user_sgpr_flat_scratch_init 0
		.amdhsa_user_sgpr_kernarg_preload_length 0
		.amdhsa_user_sgpr_kernarg_preload_offset 0
		.amdhsa_user_sgpr_private_segment_size 0
		.amdhsa_uses_dynamic_stack 0
		.amdhsa_system_sgpr_private_segment_wavefront_offset 0
		.amdhsa_system_sgpr_workgroup_id_x 1
		.amdhsa_system_sgpr_workgroup_id_y 0
		.amdhsa_system_sgpr_workgroup_id_z 0
		.amdhsa_system_sgpr_workgroup_info 0
		.amdhsa_system_vgpr_workitem_id 0
		.amdhsa_next_free_vgpr 1
		.amdhsa_next_free_sgpr 0
		.amdhsa_accum_offset 4
		.amdhsa_reserve_vcc 0
		.amdhsa_reserve_flat_scratch 0
		.amdhsa_float_round_mode_32 0
		.amdhsa_float_round_mode_16_64 0
		.amdhsa_float_denorm_mode_32 3
		.amdhsa_float_denorm_mode_16_64 3
		.amdhsa_dx10_clamp 1
		.amdhsa_ieee_mode 1
		.amdhsa_fp16_overflow 0
		.amdhsa_tg_split 0
		.amdhsa_exception_fp_ieee_invalid_op 0
		.amdhsa_exception_fp_denorm_src 0
		.amdhsa_exception_fp_ieee_div_zero 0
		.amdhsa_exception_fp_ieee_overflow 0
		.amdhsa_exception_fp_ieee_underflow 0
		.amdhsa_exception_fp_ieee_inexact 0
		.amdhsa_exception_int_div_zero 0
	.end_amdhsa_kernel
	.section	.text._ZN7rocprim17ROCPRIM_400000_NS6detail17trampoline_kernelINS0_14default_configENS1_38merge_sort_block_merge_config_selectorIhNS0_10empty_typeEEEZZNS1_27merge_sort_block_merge_implIS3_PhPS5_jNS1_19radix_merge_compareILb1ELb1EhNS0_19identity_decomposerEEEEE10hipError_tT0_T1_T2_jT3_P12ihipStream_tbPNSt15iterator_traitsISE_E10value_typeEPNSK_ISF_E10value_typeEPSG_NS1_7vsmem_tEENKUlT_SE_SF_SG_E_clIS8_S8_S9_S9_EESD_ST_SE_SF_SG_EUlST_E_NS1_11comp_targetILNS1_3genE2ELNS1_11target_archE906ELNS1_3gpuE6ELNS1_3repE0EEENS1_48merge_mergepath_partition_config_static_selectorELNS0_4arch9wavefront6targetE1EEEvSF_,"axG",@progbits,_ZN7rocprim17ROCPRIM_400000_NS6detail17trampoline_kernelINS0_14default_configENS1_38merge_sort_block_merge_config_selectorIhNS0_10empty_typeEEEZZNS1_27merge_sort_block_merge_implIS3_PhPS5_jNS1_19radix_merge_compareILb1ELb1EhNS0_19identity_decomposerEEEEE10hipError_tT0_T1_T2_jT3_P12ihipStream_tbPNSt15iterator_traitsISE_E10value_typeEPNSK_ISF_E10value_typeEPSG_NS1_7vsmem_tEENKUlT_SE_SF_SG_E_clIS8_S8_S9_S9_EESD_ST_SE_SF_SG_EUlST_E_NS1_11comp_targetILNS1_3genE2ELNS1_11target_archE906ELNS1_3gpuE6ELNS1_3repE0EEENS1_48merge_mergepath_partition_config_static_selectorELNS0_4arch9wavefront6targetE1EEEvSF_,comdat
.Lfunc_end1696:
	.size	_ZN7rocprim17ROCPRIM_400000_NS6detail17trampoline_kernelINS0_14default_configENS1_38merge_sort_block_merge_config_selectorIhNS0_10empty_typeEEEZZNS1_27merge_sort_block_merge_implIS3_PhPS5_jNS1_19radix_merge_compareILb1ELb1EhNS0_19identity_decomposerEEEEE10hipError_tT0_T1_T2_jT3_P12ihipStream_tbPNSt15iterator_traitsISE_E10value_typeEPNSK_ISF_E10value_typeEPSG_NS1_7vsmem_tEENKUlT_SE_SF_SG_E_clIS8_S8_S9_S9_EESD_ST_SE_SF_SG_EUlST_E_NS1_11comp_targetILNS1_3genE2ELNS1_11target_archE906ELNS1_3gpuE6ELNS1_3repE0EEENS1_48merge_mergepath_partition_config_static_selectorELNS0_4arch9wavefront6targetE1EEEvSF_, .Lfunc_end1696-_ZN7rocprim17ROCPRIM_400000_NS6detail17trampoline_kernelINS0_14default_configENS1_38merge_sort_block_merge_config_selectorIhNS0_10empty_typeEEEZZNS1_27merge_sort_block_merge_implIS3_PhPS5_jNS1_19radix_merge_compareILb1ELb1EhNS0_19identity_decomposerEEEEE10hipError_tT0_T1_T2_jT3_P12ihipStream_tbPNSt15iterator_traitsISE_E10value_typeEPNSK_ISF_E10value_typeEPSG_NS1_7vsmem_tEENKUlT_SE_SF_SG_E_clIS8_S8_S9_S9_EESD_ST_SE_SF_SG_EUlST_E_NS1_11comp_targetILNS1_3genE2ELNS1_11target_archE906ELNS1_3gpuE6ELNS1_3repE0EEENS1_48merge_mergepath_partition_config_static_selectorELNS0_4arch9wavefront6targetE1EEEvSF_
                                        ; -- End function
	.section	.AMDGPU.csdata,"",@progbits
; Kernel info:
; codeLenInByte = 0
; NumSgprs: 4
; NumVgprs: 0
; NumAgprs: 0
; TotalNumVgprs: 0
; ScratchSize: 0
; MemoryBound: 0
; FloatMode: 240
; IeeeMode: 1
; LDSByteSize: 0 bytes/workgroup (compile time only)
; SGPRBlocks: 0
; VGPRBlocks: 0
; NumSGPRsForWavesPerEU: 4
; NumVGPRsForWavesPerEU: 1
; AccumOffset: 4
; Occupancy: 8
; WaveLimiterHint : 0
; COMPUTE_PGM_RSRC2:SCRATCH_EN: 0
; COMPUTE_PGM_RSRC2:USER_SGPR: 6
; COMPUTE_PGM_RSRC2:TRAP_HANDLER: 0
; COMPUTE_PGM_RSRC2:TGID_X_EN: 1
; COMPUTE_PGM_RSRC2:TGID_Y_EN: 0
; COMPUTE_PGM_RSRC2:TGID_Z_EN: 0
; COMPUTE_PGM_RSRC2:TIDIG_COMP_CNT: 0
; COMPUTE_PGM_RSRC3_GFX90A:ACCUM_OFFSET: 0
; COMPUTE_PGM_RSRC3_GFX90A:TG_SPLIT: 0
	.section	.text._ZN7rocprim17ROCPRIM_400000_NS6detail17trampoline_kernelINS0_14default_configENS1_38merge_sort_block_merge_config_selectorIhNS0_10empty_typeEEEZZNS1_27merge_sort_block_merge_implIS3_PhPS5_jNS1_19radix_merge_compareILb1ELb1EhNS0_19identity_decomposerEEEEE10hipError_tT0_T1_T2_jT3_P12ihipStream_tbPNSt15iterator_traitsISE_E10value_typeEPNSK_ISF_E10value_typeEPSG_NS1_7vsmem_tEENKUlT_SE_SF_SG_E_clIS8_S8_S9_S9_EESD_ST_SE_SF_SG_EUlST_E_NS1_11comp_targetILNS1_3genE9ELNS1_11target_archE1100ELNS1_3gpuE3ELNS1_3repE0EEENS1_48merge_mergepath_partition_config_static_selectorELNS0_4arch9wavefront6targetE1EEEvSF_,"axG",@progbits,_ZN7rocprim17ROCPRIM_400000_NS6detail17trampoline_kernelINS0_14default_configENS1_38merge_sort_block_merge_config_selectorIhNS0_10empty_typeEEEZZNS1_27merge_sort_block_merge_implIS3_PhPS5_jNS1_19radix_merge_compareILb1ELb1EhNS0_19identity_decomposerEEEEE10hipError_tT0_T1_T2_jT3_P12ihipStream_tbPNSt15iterator_traitsISE_E10value_typeEPNSK_ISF_E10value_typeEPSG_NS1_7vsmem_tEENKUlT_SE_SF_SG_E_clIS8_S8_S9_S9_EESD_ST_SE_SF_SG_EUlST_E_NS1_11comp_targetILNS1_3genE9ELNS1_11target_archE1100ELNS1_3gpuE3ELNS1_3repE0EEENS1_48merge_mergepath_partition_config_static_selectorELNS0_4arch9wavefront6targetE1EEEvSF_,comdat
	.protected	_ZN7rocprim17ROCPRIM_400000_NS6detail17trampoline_kernelINS0_14default_configENS1_38merge_sort_block_merge_config_selectorIhNS0_10empty_typeEEEZZNS1_27merge_sort_block_merge_implIS3_PhPS5_jNS1_19radix_merge_compareILb1ELb1EhNS0_19identity_decomposerEEEEE10hipError_tT0_T1_T2_jT3_P12ihipStream_tbPNSt15iterator_traitsISE_E10value_typeEPNSK_ISF_E10value_typeEPSG_NS1_7vsmem_tEENKUlT_SE_SF_SG_E_clIS8_S8_S9_S9_EESD_ST_SE_SF_SG_EUlST_E_NS1_11comp_targetILNS1_3genE9ELNS1_11target_archE1100ELNS1_3gpuE3ELNS1_3repE0EEENS1_48merge_mergepath_partition_config_static_selectorELNS0_4arch9wavefront6targetE1EEEvSF_ ; -- Begin function _ZN7rocprim17ROCPRIM_400000_NS6detail17trampoline_kernelINS0_14default_configENS1_38merge_sort_block_merge_config_selectorIhNS0_10empty_typeEEEZZNS1_27merge_sort_block_merge_implIS3_PhPS5_jNS1_19radix_merge_compareILb1ELb1EhNS0_19identity_decomposerEEEEE10hipError_tT0_T1_T2_jT3_P12ihipStream_tbPNSt15iterator_traitsISE_E10value_typeEPNSK_ISF_E10value_typeEPSG_NS1_7vsmem_tEENKUlT_SE_SF_SG_E_clIS8_S8_S9_S9_EESD_ST_SE_SF_SG_EUlST_E_NS1_11comp_targetILNS1_3genE9ELNS1_11target_archE1100ELNS1_3gpuE3ELNS1_3repE0EEENS1_48merge_mergepath_partition_config_static_selectorELNS0_4arch9wavefront6targetE1EEEvSF_
	.globl	_ZN7rocprim17ROCPRIM_400000_NS6detail17trampoline_kernelINS0_14default_configENS1_38merge_sort_block_merge_config_selectorIhNS0_10empty_typeEEEZZNS1_27merge_sort_block_merge_implIS3_PhPS5_jNS1_19radix_merge_compareILb1ELb1EhNS0_19identity_decomposerEEEEE10hipError_tT0_T1_T2_jT3_P12ihipStream_tbPNSt15iterator_traitsISE_E10value_typeEPNSK_ISF_E10value_typeEPSG_NS1_7vsmem_tEENKUlT_SE_SF_SG_E_clIS8_S8_S9_S9_EESD_ST_SE_SF_SG_EUlST_E_NS1_11comp_targetILNS1_3genE9ELNS1_11target_archE1100ELNS1_3gpuE3ELNS1_3repE0EEENS1_48merge_mergepath_partition_config_static_selectorELNS0_4arch9wavefront6targetE1EEEvSF_
	.p2align	8
	.type	_ZN7rocprim17ROCPRIM_400000_NS6detail17trampoline_kernelINS0_14default_configENS1_38merge_sort_block_merge_config_selectorIhNS0_10empty_typeEEEZZNS1_27merge_sort_block_merge_implIS3_PhPS5_jNS1_19radix_merge_compareILb1ELb1EhNS0_19identity_decomposerEEEEE10hipError_tT0_T1_T2_jT3_P12ihipStream_tbPNSt15iterator_traitsISE_E10value_typeEPNSK_ISF_E10value_typeEPSG_NS1_7vsmem_tEENKUlT_SE_SF_SG_E_clIS8_S8_S9_S9_EESD_ST_SE_SF_SG_EUlST_E_NS1_11comp_targetILNS1_3genE9ELNS1_11target_archE1100ELNS1_3gpuE3ELNS1_3repE0EEENS1_48merge_mergepath_partition_config_static_selectorELNS0_4arch9wavefront6targetE1EEEvSF_,@function
_ZN7rocprim17ROCPRIM_400000_NS6detail17trampoline_kernelINS0_14default_configENS1_38merge_sort_block_merge_config_selectorIhNS0_10empty_typeEEEZZNS1_27merge_sort_block_merge_implIS3_PhPS5_jNS1_19radix_merge_compareILb1ELb1EhNS0_19identity_decomposerEEEEE10hipError_tT0_T1_T2_jT3_P12ihipStream_tbPNSt15iterator_traitsISE_E10value_typeEPNSK_ISF_E10value_typeEPSG_NS1_7vsmem_tEENKUlT_SE_SF_SG_E_clIS8_S8_S9_S9_EESD_ST_SE_SF_SG_EUlST_E_NS1_11comp_targetILNS1_3genE9ELNS1_11target_archE1100ELNS1_3gpuE3ELNS1_3repE0EEENS1_48merge_mergepath_partition_config_static_selectorELNS0_4arch9wavefront6targetE1EEEvSF_: ; @_ZN7rocprim17ROCPRIM_400000_NS6detail17trampoline_kernelINS0_14default_configENS1_38merge_sort_block_merge_config_selectorIhNS0_10empty_typeEEEZZNS1_27merge_sort_block_merge_implIS3_PhPS5_jNS1_19radix_merge_compareILb1ELb1EhNS0_19identity_decomposerEEEEE10hipError_tT0_T1_T2_jT3_P12ihipStream_tbPNSt15iterator_traitsISE_E10value_typeEPNSK_ISF_E10value_typeEPSG_NS1_7vsmem_tEENKUlT_SE_SF_SG_E_clIS8_S8_S9_S9_EESD_ST_SE_SF_SG_EUlST_E_NS1_11comp_targetILNS1_3genE9ELNS1_11target_archE1100ELNS1_3gpuE3ELNS1_3repE0EEENS1_48merge_mergepath_partition_config_static_selectorELNS0_4arch9wavefront6targetE1EEEvSF_
; %bb.0:
	.section	.rodata,"a",@progbits
	.p2align	6, 0x0
	.amdhsa_kernel _ZN7rocprim17ROCPRIM_400000_NS6detail17trampoline_kernelINS0_14default_configENS1_38merge_sort_block_merge_config_selectorIhNS0_10empty_typeEEEZZNS1_27merge_sort_block_merge_implIS3_PhPS5_jNS1_19radix_merge_compareILb1ELb1EhNS0_19identity_decomposerEEEEE10hipError_tT0_T1_T2_jT3_P12ihipStream_tbPNSt15iterator_traitsISE_E10value_typeEPNSK_ISF_E10value_typeEPSG_NS1_7vsmem_tEENKUlT_SE_SF_SG_E_clIS8_S8_S9_S9_EESD_ST_SE_SF_SG_EUlST_E_NS1_11comp_targetILNS1_3genE9ELNS1_11target_archE1100ELNS1_3gpuE3ELNS1_3repE0EEENS1_48merge_mergepath_partition_config_static_selectorELNS0_4arch9wavefront6targetE1EEEvSF_
		.amdhsa_group_segment_fixed_size 0
		.amdhsa_private_segment_fixed_size 0
		.amdhsa_kernarg_size 40
		.amdhsa_user_sgpr_count 6
		.amdhsa_user_sgpr_private_segment_buffer 1
		.amdhsa_user_sgpr_dispatch_ptr 0
		.amdhsa_user_sgpr_queue_ptr 0
		.amdhsa_user_sgpr_kernarg_segment_ptr 1
		.amdhsa_user_sgpr_dispatch_id 0
		.amdhsa_user_sgpr_flat_scratch_init 0
		.amdhsa_user_sgpr_kernarg_preload_length 0
		.amdhsa_user_sgpr_kernarg_preload_offset 0
		.amdhsa_user_sgpr_private_segment_size 0
		.amdhsa_uses_dynamic_stack 0
		.amdhsa_system_sgpr_private_segment_wavefront_offset 0
		.amdhsa_system_sgpr_workgroup_id_x 1
		.amdhsa_system_sgpr_workgroup_id_y 0
		.amdhsa_system_sgpr_workgroup_id_z 0
		.amdhsa_system_sgpr_workgroup_info 0
		.amdhsa_system_vgpr_workitem_id 0
		.amdhsa_next_free_vgpr 1
		.amdhsa_next_free_sgpr 0
		.amdhsa_accum_offset 4
		.amdhsa_reserve_vcc 0
		.amdhsa_reserve_flat_scratch 0
		.amdhsa_float_round_mode_32 0
		.amdhsa_float_round_mode_16_64 0
		.amdhsa_float_denorm_mode_32 3
		.amdhsa_float_denorm_mode_16_64 3
		.amdhsa_dx10_clamp 1
		.amdhsa_ieee_mode 1
		.amdhsa_fp16_overflow 0
		.amdhsa_tg_split 0
		.amdhsa_exception_fp_ieee_invalid_op 0
		.amdhsa_exception_fp_denorm_src 0
		.amdhsa_exception_fp_ieee_div_zero 0
		.amdhsa_exception_fp_ieee_overflow 0
		.amdhsa_exception_fp_ieee_underflow 0
		.amdhsa_exception_fp_ieee_inexact 0
		.amdhsa_exception_int_div_zero 0
	.end_amdhsa_kernel
	.section	.text._ZN7rocprim17ROCPRIM_400000_NS6detail17trampoline_kernelINS0_14default_configENS1_38merge_sort_block_merge_config_selectorIhNS0_10empty_typeEEEZZNS1_27merge_sort_block_merge_implIS3_PhPS5_jNS1_19radix_merge_compareILb1ELb1EhNS0_19identity_decomposerEEEEE10hipError_tT0_T1_T2_jT3_P12ihipStream_tbPNSt15iterator_traitsISE_E10value_typeEPNSK_ISF_E10value_typeEPSG_NS1_7vsmem_tEENKUlT_SE_SF_SG_E_clIS8_S8_S9_S9_EESD_ST_SE_SF_SG_EUlST_E_NS1_11comp_targetILNS1_3genE9ELNS1_11target_archE1100ELNS1_3gpuE3ELNS1_3repE0EEENS1_48merge_mergepath_partition_config_static_selectorELNS0_4arch9wavefront6targetE1EEEvSF_,"axG",@progbits,_ZN7rocprim17ROCPRIM_400000_NS6detail17trampoline_kernelINS0_14default_configENS1_38merge_sort_block_merge_config_selectorIhNS0_10empty_typeEEEZZNS1_27merge_sort_block_merge_implIS3_PhPS5_jNS1_19radix_merge_compareILb1ELb1EhNS0_19identity_decomposerEEEEE10hipError_tT0_T1_T2_jT3_P12ihipStream_tbPNSt15iterator_traitsISE_E10value_typeEPNSK_ISF_E10value_typeEPSG_NS1_7vsmem_tEENKUlT_SE_SF_SG_E_clIS8_S8_S9_S9_EESD_ST_SE_SF_SG_EUlST_E_NS1_11comp_targetILNS1_3genE9ELNS1_11target_archE1100ELNS1_3gpuE3ELNS1_3repE0EEENS1_48merge_mergepath_partition_config_static_selectorELNS0_4arch9wavefront6targetE1EEEvSF_,comdat
.Lfunc_end1697:
	.size	_ZN7rocprim17ROCPRIM_400000_NS6detail17trampoline_kernelINS0_14default_configENS1_38merge_sort_block_merge_config_selectorIhNS0_10empty_typeEEEZZNS1_27merge_sort_block_merge_implIS3_PhPS5_jNS1_19radix_merge_compareILb1ELb1EhNS0_19identity_decomposerEEEEE10hipError_tT0_T1_T2_jT3_P12ihipStream_tbPNSt15iterator_traitsISE_E10value_typeEPNSK_ISF_E10value_typeEPSG_NS1_7vsmem_tEENKUlT_SE_SF_SG_E_clIS8_S8_S9_S9_EESD_ST_SE_SF_SG_EUlST_E_NS1_11comp_targetILNS1_3genE9ELNS1_11target_archE1100ELNS1_3gpuE3ELNS1_3repE0EEENS1_48merge_mergepath_partition_config_static_selectorELNS0_4arch9wavefront6targetE1EEEvSF_, .Lfunc_end1697-_ZN7rocprim17ROCPRIM_400000_NS6detail17trampoline_kernelINS0_14default_configENS1_38merge_sort_block_merge_config_selectorIhNS0_10empty_typeEEEZZNS1_27merge_sort_block_merge_implIS3_PhPS5_jNS1_19radix_merge_compareILb1ELb1EhNS0_19identity_decomposerEEEEE10hipError_tT0_T1_T2_jT3_P12ihipStream_tbPNSt15iterator_traitsISE_E10value_typeEPNSK_ISF_E10value_typeEPSG_NS1_7vsmem_tEENKUlT_SE_SF_SG_E_clIS8_S8_S9_S9_EESD_ST_SE_SF_SG_EUlST_E_NS1_11comp_targetILNS1_3genE9ELNS1_11target_archE1100ELNS1_3gpuE3ELNS1_3repE0EEENS1_48merge_mergepath_partition_config_static_selectorELNS0_4arch9wavefront6targetE1EEEvSF_
                                        ; -- End function
	.section	.AMDGPU.csdata,"",@progbits
; Kernel info:
; codeLenInByte = 0
; NumSgprs: 4
; NumVgprs: 0
; NumAgprs: 0
; TotalNumVgprs: 0
; ScratchSize: 0
; MemoryBound: 0
; FloatMode: 240
; IeeeMode: 1
; LDSByteSize: 0 bytes/workgroup (compile time only)
; SGPRBlocks: 0
; VGPRBlocks: 0
; NumSGPRsForWavesPerEU: 4
; NumVGPRsForWavesPerEU: 1
; AccumOffset: 4
; Occupancy: 8
; WaveLimiterHint : 0
; COMPUTE_PGM_RSRC2:SCRATCH_EN: 0
; COMPUTE_PGM_RSRC2:USER_SGPR: 6
; COMPUTE_PGM_RSRC2:TRAP_HANDLER: 0
; COMPUTE_PGM_RSRC2:TGID_X_EN: 1
; COMPUTE_PGM_RSRC2:TGID_Y_EN: 0
; COMPUTE_PGM_RSRC2:TGID_Z_EN: 0
; COMPUTE_PGM_RSRC2:TIDIG_COMP_CNT: 0
; COMPUTE_PGM_RSRC3_GFX90A:ACCUM_OFFSET: 0
; COMPUTE_PGM_RSRC3_GFX90A:TG_SPLIT: 0
	.section	.text._ZN7rocprim17ROCPRIM_400000_NS6detail17trampoline_kernelINS0_14default_configENS1_38merge_sort_block_merge_config_selectorIhNS0_10empty_typeEEEZZNS1_27merge_sort_block_merge_implIS3_PhPS5_jNS1_19radix_merge_compareILb1ELb1EhNS0_19identity_decomposerEEEEE10hipError_tT0_T1_T2_jT3_P12ihipStream_tbPNSt15iterator_traitsISE_E10value_typeEPNSK_ISF_E10value_typeEPSG_NS1_7vsmem_tEENKUlT_SE_SF_SG_E_clIS8_S8_S9_S9_EESD_ST_SE_SF_SG_EUlST_E_NS1_11comp_targetILNS1_3genE8ELNS1_11target_archE1030ELNS1_3gpuE2ELNS1_3repE0EEENS1_48merge_mergepath_partition_config_static_selectorELNS0_4arch9wavefront6targetE1EEEvSF_,"axG",@progbits,_ZN7rocprim17ROCPRIM_400000_NS6detail17trampoline_kernelINS0_14default_configENS1_38merge_sort_block_merge_config_selectorIhNS0_10empty_typeEEEZZNS1_27merge_sort_block_merge_implIS3_PhPS5_jNS1_19radix_merge_compareILb1ELb1EhNS0_19identity_decomposerEEEEE10hipError_tT0_T1_T2_jT3_P12ihipStream_tbPNSt15iterator_traitsISE_E10value_typeEPNSK_ISF_E10value_typeEPSG_NS1_7vsmem_tEENKUlT_SE_SF_SG_E_clIS8_S8_S9_S9_EESD_ST_SE_SF_SG_EUlST_E_NS1_11comp_targetILNS1_3genE8ELNS1_11target_archE1030ELNS1_3gpuE2ELNS1_3repE0EEENS1_48merge_mergepath_partition_config_static_selectorELNS0_4arch9wavefront6targetE1EEEvSF_,comdat
	.protected	_ZN7rocprim17ROCPRIM_400000_NS6detail17trampoline_kernelINS0_14default_configENS1_38merge_sort_block_merge_config_selectorIhNS0_10empty_typeEEEZZNS1_27merge_sort_block_merge_implIS3_PhPS5_jNS1_19radix_merge_compareILb1ELb1EhNS0_19identity_decomposerEEEEE10hipError_tT0_T1_T2_jT3_P12ihipStream_tbPNSt15iterator_traitsISE_E10value_typeEPNSK_ISF_E10value_typeEPSG_NS1_7vsmem_tEENKUlT_SE_SF_SG_E_clIS8_S8_S9_S9_EESD_ST_SE_SF_SG_EUlST_E_NS1_11comp_targetILNS1_3genE8ELNS1_11target_archE1030ELNS1_3gpuE2ELNS1_3repE0EEENS1_48merge_mergepath_partition_config_static_selectorELNS0_4arch9wavefront6targetE1EEEvSF_ ; -- Begin function _ZN7rocprim17ROCPRIM_400000_NS6detail17trampoline_kernelINS0_14default_configENS1_38merge_sort_block_merge_config_selectorIhNS0_10empty_typeEEEZZNS1_27merge_sort_block_merge_implIS3_PhPS5_jNS1_19radix_merge_compareILb1ELb1EhNS0_19identity_decomposerEEEEE10hipError_tT0_T1_T2_jT3_P12ihipStream_tbPNSt15iterator_traitsISE_E10value_typeEPNSK_ISF_E10value_typeEPSG_NS1_7vsmem_tEENKUlT_SE_SF_SG_E_clIS8_S8_S9_S9_EESD_ST_SE_SF_SG_EUlST_E_NS1_11comp_targetILNS1_3genE8ELNS1_11target_archE1030ELNS1_3gpuE2ELNS1_3repE0EEENS1_48merge_mergepath_partition_config_static_selectorELNS0_4arch9wavefront6targetE1EEEvSF_
	.globl	_ZN7rocprim17ROCPRIM_400000_NS6detail17trampoline_kernelINS0_14default_configENS1_38merge_sort_block_merge_config_selectorIhNS0_10empty_typeEEEZZNS1_27merge_sort_block_merge_implIS3_PhPS5_jNS1_19radix_merge_compareILb1ELb1EhNS0_19identity_decomposerEEEEE10hipError_tT0_T1_T2_jT3_P12ihipStream_tbPNSt15iterator_traitsISE_E10value_typeEPNSK_ISF_E10value_typeEPSG_NS1_7vsmem_tEENKUlT_SE_SF_SG_E_clIS8_S8_S9_S9_EESD_ST_SE_SF_SG_EUlST_E_NS1_11comp_targetILNS1_3genE8ELNS1_11target_archE1030ELNS1_3gpuE2ELNS1_3repE0EEENS1_48merge_mergepath_partition_config_static_selectorELNS0_4arch9wavefront6targetE1EEEvSF_
	.p2align	8
	.type	_ZN7rocprim17ROCPRIM_400000_NS6detail17trampoline_kernelINS0_14default_configENS1_38merge_sort_block_merge_config_selectorIhNS0_10empty_typeEEEZZNS1_27merge_sort_block_merge_implIS3_PhPS5_jNS1_19radix_merge_compareILb1ELb1EhNS0_19identity_decomposerEEEEE10hipError_tT0_T1_T2_jT3_P12ihipStream_tbPNSt15iterator_traitsISE_E10value_typeEPNSK_ISF_E10value_typeEPSG_NS1_7vsmem_tEENKUlT_SE_SF_SG_E_clIS8_S8_S9_S9_EESD_ST_SE_SF_SG_EUlST_E_NS1_11comp_targetILNS1_3genE8ELNS1_11target_archE1030ELNS1_3gpuE2ELNS1_3repE0EEENS1_48merge_mergepath_partition_config_static_selectorELNS0_4arch9wavefront6targetE1EEEvSF_,@function
_ZN7rocprim17ROCPRIM_400000_NS6detail17trampoline_kernelINS0_14default_configENS1_38merge_sort_block_merge_config_selectorIhNS0_10empty_typeEEEZZNS1_27merge_sort_block_merge_implIS3_PhPS5_jNS1_19radix_merge_compareILb1ELb1EhNS0_19identity_decomposerEEEEE10hipError_tT0_T1_T2_jT3_P12ihipStream_tbPNSt15iterator_traitsISE_E10value_typeEPNSK_ISF_E10value_typeEPSG_NS1_7vsmem_tEENKUlT_SE_SF_SG_E_clIS8_S8_S9_S9_EESD_ST_SE_SF_SG_EUlST_E_NS1_11comp_targetILNS1_3genE8ELNS1_11target_archE1030ELNS1_3gpuE2ELNS1_3repE0EEENS1_48merge_mergepath_partition_config_static_selectorELNS0_4arch9wavefront6targetE1EEEvSF_: ; @_ZN7rocprim17ROCPRIM_400000_NS6detail17trampoline_kernelINS0_14default_configENS1_38merge_sort_block_merge_config_selectorIhNS0_10empty_typeEEEZZNS1_27merge_sort_block_merge_implIS3_PhPS5_jNS1_19radix_merge_compareILb1ELb1EhNS0_19identity_decomposerEEEEE10hipError_tT0_T1_T2_jT3_P12ihipStream_tbPNSt15iterator_traitsISE_E10value_typeEPNSK_ISF_E10value_typeEPSG_NS1_7vsmem_tEENKUlT_SE_SF_SG_E_clIS8_S8_S9_S9_EESD_ST_SE_SF_SG_EUlST_E_NS1_11comp_targetILNS1_3genE8ELNS1_11target_archE1030ELNS1_3gpuE2ELNS1_3repE0EEENS1_48merge_mergepath_partition_config_static_selectorELNS0_4arch9wavefront6targetE1EEEvSF_
; %bb.0:
	.section	.rodata,"a",@progbits
	.p2align	6, 0x0
	.amdhsa_kernel _ZN7rocprim17ROCPRIM_400000_NS6detail17trampoline_kernelINS0_14default_configENS1_38merge_sort_block_merge_config_selectorIhNS0_10empty_typeEEEZZNS1_27merge_sort_block_merge_implIS3_PhPS5_jNS1_19radix_merge_compareILb1ELb1EhNS0_19identity_decomposerEEEEE10hipError_tT0_T1_T2_jT3_P12ihipStream_tbPNSt15iterator_traitsISE_E10value_typeEPNSK_ISF_E10value_typeEPSG_NS1_7vsmem_tEENKUlT_SE_SF_SG_E_clIS8_S8_S9_S9_EESD_ST_SE_SF_SG_EUlST_E_NS1_11comp_targetILNS1_3genE8ELNS1_11target_archE1030ELNS1_3gpuE2ELNS1_3repE0EEENS1_48merge_mergepath_partition_config_static_selectorELNS0_4arch9wavefront6targetE1EEEvSF_
		.amdhsa_group_segment_fixed_size 0
		.amdhsa_private_segment_fixed_size 0
		.amdhsa_kernarg_size 40
		.amdhsa_user_sgpr_count 6
		.amdhsa_user_sgpr_private_segment_buffer 1
		.amdhsa_user_sgpr_dispatch_ptr 0
		.amdhsa_user_sgpr_queue_ptr 0
		.amdhsa_user_sgpr_kernarg_segment_ptr 1
		.amdhsa_user_sgpr_dispatch_id 0
		.amdhsa_user_sgpr_flat_scratch_init 0
		.amdhsa_user_sgpr_kernarg_preload_length 0
		.amdhsa_user_sgpr_kernarg_preload_offset 0
		.amdhsa_user_sgpr_private_segment_size 0
		.amdhsa_uses_dynamic_stack 0
		.amdhsa_system_sgpr_private_segment_wavefront_offset 0
		.amdhsa_system_sgpr_workgroup_id_x 1
		.amdhsa_system_sgpr_workgroup_id_y 0
		.amdhsa_system_sgpr_workgroup_id_z 0
		.amdhsa_system_sgpr_workgroup_info 0
		.amdhsa_system_vgpr_workitem_id 0
		.amdhsa_next_free_vgpr 1
		.amdhsa_next_free_sgpr 0
		.amdhsa_accum_offset 4
		.amdhsa_reserve_vcc 0
		.amdhsa_reserve_flat_scratch 0
		.amdhsa_float_round_mode_32 0
		.amdhsa_float_round_mode_16_64 0
		.amdhsa_float_denorm_mode_32 3
		.amdhsa_float_denorm_mode_16_64 3
		.amdhsa_dx10_clamp 1
		.amdhsa_ieee_mode 1
		.amdhsa_fp16_overflow 0
		.amdhsa_tg_split 0
		.amdhsa_exception_fp_ieee_invalid_op 0
		.amdhsa_exception_fp_denorm_src 0
		.amdhsa_exception_fp_ieee_div_zero 0
		.amdhsa_exception_fp_ieee_overflow 0
		.amdhsa_exception_fp_ieee_underflow 0
		.amdhsa_exception_fp_ieee_inexact 0
		.amdhsa_exception_int_div_zero 0
	.end_amdhsa_kernel
	.section	.text._ZN7rocprim17ROCPRIM_400000_NS6detail17trampoline_kernelINS0_14default_configENS1_38merge_sort_block_merge_config_selectorIhNS0_10empty_typeEEEZZNS1_27merge_sort_block_merge_implIS3_PhPS5_jNS1_19radix_merge_compareILb1ELb1EhNS0_19identity_decomposerEEEEE10hipError_tT0_T1_T2_jT3_P12ihipStream_tbPNSt15iterator_traitsISE_E10value_typeEPNSK_ISF_E10value_typeEPSG_NS1_7vsmem_tEENKUlT_SE_SF_SG_E_clIS8_S8_S9_S9_EESD_ST_SE_SF_SG_EUlST_E_NS1_11comp_targetILNS1_3genE8ELNS1_11target_archE1030ELNS1_3gpuE2ELNS1_3repE0EEENS1_48merge_mergepath_partition_config_static_selectorELNS0_4arch9wavefront6targetE1EEEvSF_,"axG",@progbits,_ZN7rocprim17ROCPRIM_400000_NS6detail17trampoline_kernelINS0_14default_configENS1_38merge_sort_block_merge_config_selectorIhNS0_10empty_typeEEEZZNS1_27merge_sort_block_merge_implIS3_PhPS5_jNS1_19radix_merge_compareILb1ELb1EhNS0_19identity_decomposerEEEEE10hipError_tT0_T1_T2_jT3_P12ihipStream_tbPNSt15iterator_traitsISE_E10value_typeEPNSK_ISF_E10value_typeEPSG_NS1_7vsmem_tEENKUlT_SE_SF_SG_E_clIS8_S8_S9_S9_EESD_ST_SE_SF_SG_EUlST_E_NS1_11comp_targetILNS1_3genE8ELNS1_11target_archE1030ELNS1_3gpuE2ELNS1_3repE0EEENS1_48merge_mergepath_partition_config_static_selectorELNS0_4arch9wavefront6targetE1EEEvSF_,comdat
.Lfunc_end1698:
	.size	_ZN7rocprim17ROCPRIM_400000_NS6detail17trampoline_kernelINS0_14default_configENS1_38merge_sort_block_merge_config_selectorIhNS0_10empty_typeEEEZZNS1_27merge_sort_block_merge_implIS3_PhPS5_jNS1_19radix_merge_compareILb1ELb1EhNS0_19identity_decomposerEEEEE10hipError_tT0_T1_T2_jT3_P12ihipStream_tbPNSt15iterator_traitsISE_E10value_typeEPNSK_ISF_E10value_typeEPSG_NS1_7vsmem_tEENKUlT_SE_SF_SG_E_clIS8_S8_S9_S9_EESD_ST_SE_SF_SG_EUlST_E_NS1_11comp_targetILNS1_3genE8ELNS1_11target_archE1030ELNS1_3gpuE2ELNS1_3repE0EEENS1_48merge_mergepath_partition_config_static_selectorELNS0_4arch9wavefront6targetE1EEEvSF_, .Lfunc_end1698-_ZN7rocprim17ROCPRIM_400000_NS6detail17trampoline_kernelINS0_14default_configENS1_38merge_sort_block_merge_config_selectorIhNS0_10empty_typeEEEZZNS1_27merge_sort_block_merge_implIS3_PhPS5_jNS1_19radix_merge_compareILb1ELb1EhNS0_19identity_decomposerEEEEE10hipError_tT0_T1_T2_jT3_P12ihipStream_tbPNSt15iterator_traitsISE_E10value_typeEPNSK_ISF_E10value_typeEPSG_NS1_7vsmem_tEENKUlT_SE_SF_SG_E_clIS8_S8_S9_S9_EESD_ST_SE_SF_SG_EUlST_E_NS1_11comp_targetILNS1_3genE8ELNS1_11target_archE1030ELNS1_3gpuE2ELNS1_3repE0EEENS1_48merge_mergepath_partition_config_static_selectorELNS0_4arch9wavefront6targetE1EEEvSF_
                                        ; -- End function
	.section	.AMDGPU.csdata,"",@progbits
; Kernel info:
; codeLenInByte = 0
; NumSgprs: 4
; NumVgprs: 0
; NumAgprs: 0
; TotalNumVgprs: 0
; ScratchSize: 0
; MemoryBound: 0
; FloatMode: 240
; IeeeMode: 1
; LDSByteSize: 0 bytes/workgroup (compile time only)
; SGPRBlocks: 0
; VGPRBlocks: 0
; NumSGPRsForWavesPerEU: 4
; NumVGPRsForWavesPerEU: 1
; AccumOffset: 4
; Occupancy: 8
; WaveLimiterHint : 0
; COMPUTE_PGM_RSRC2:SCRATCH_EN: 0
; COMPUTE_PGM_RSRC2:USER_SGPR: 6
; COMPUTE_PGM_RSRC2:TRAP_HANDLER: 0
; COMPUTE_PGM_RSRC2:TGID_X_EN: 1
; COMPUTE_PGM_RSRC2:TGID_Y_EN: 0
; COMPUTE_PGM_RSRC2:TGID_Z_EN: 0
; COMPUTE_PGM_RSRC2:TIDIG_COMP_CNT: 0
; COMPUTE_PGM_RSRC3_GFX90A:ACCUM_OFFSET: 0
; COMPUTE_PGM_RSRC3_GFX90A:TG_SPLIT: 0
	.section	.text._ZN7rocprim17ROCPRIM_400000_NS6detail17trampoline_kernelINS0_14default_configENS1_38merge_sort_block_merge_config_selectorIhNS0_10empty_typeEEEZZNS1_27merge_sort_block_merge_implIS3_PhPS5_jNS1_19radix_merge_compareILb1ELb1EhNS0_19identity_decomposerEEEEE10hipError_tT0_T1_T2_jT3_P12ihipStream_tbPNSt15iterator_traitsISE_E10value_typeEPNSK_ISF_E10value_typeEPSG_NS1_7vsmem_tEENKUlT_SE_SF_SG_E_clIS8_S8_S9_S9_EESD_ST_SE_SF_SG_EUlST_E0_NS1_11comp_targetILNS1_3genE0ELNS1_11target_archE4294967295ELNS1_3gpuE0ELNS1_3repE0EEENS1_38merge_mergepath_config_static_selectorELNS0_4arch9wavefront6targetE1EEEvSF_,"axG",@progbits,_ZN7rocprim17ROCPRIM_400000_NS6detail17trampoline_kernelINS0_14default_configENS1_38merge_sort_block_merge_config_selectorIhNS0_10empty_typeEEEZZNS1_27merge_sort_block_merge_implIS3_PhPS5_jNS1_19radix_merge_compareILb1ELb1EhNS0_19identity_decomposerEEEEE10hipError_tT0_T1_T2_jT3_P12ihipStream_tbPNSt15iterator_traitsISE_E10value_typeEPNSK_ISF_E10value_typeEPSG_NS1_7vsmem_tEENKUlT_SE_SF_SG_E_clIS8_S8_S9_S9_EESD_ST_SE_SF_SG_EUlST_E0_NS1_11comp_targetILNS1_3genE0ELNS1_11target_archE4294967295ELNS1_3gpuE0ELNS1_3repE0EEENS1_38merge_mergepath_config_static_selectorELNS0_4arch9wavefront6targetE1EEEvSF_,comdat
	.protected	_ZN7rocprim17ROCPRIM_400000_NS6detail17trampoline_kernelINS0_14default_configENS1_38merge_sort_block_merge_config_selectorIhNS0_10empty_typeEEEZZNS1_27merge_sort_block_merge_implIS3_PhPS5_jNS1_19radix_merge_compareILb1ELb1EhNS0_19identity_decomposerEEEEE10hipError_tT0_T1_T2_jT3_P12ihipStream_tbPNSt15iterator_traitsISE_E10value_typeEPNSK_ISF_E10value_typeEPSG_NS1_7vsmem_tEENKUlT_SE_SF_SG_E_clIS8_S8_S9_S9_EESD_ST_SE_SF_SG_EUlST_E0_NS1_11comp_targetILNS1_3genE0ELNS1_11target_archE4294967295ELNS1_3gpuE0ELNS1_3repE0EEENS1_38merge_mergepath_config_static_selectorELNS0_4arch9wavefront6targetE1EEEvSF_ ; -- Begin function _ZN7rocprim17ROCPRIM_400000_NS6detail17trampoline_kernelINS0_14default_configENS1_38merge_sort_block_merge_config_selectorIhNS0_10empty_typeEEEZZNS1_27merge_sort_block_merge_implIS3_PhPS5_jNS1_19radix_merge_compareILb1ELb1EhNS0_19identity_decomposerEEEEE10hipError_tT0_T1_T2_jT3_P12ihipStream_tbPNSt15iterator_traitsISE_E10value_typeEPNSK_ISF_E10value_typeEPSG_NS1_7vsmem_tEENKUlT_SE_SF_SG_E_clIS8_S8_S9_S9_EESD_ST_SE_SF_SG_EUlST_E0_NS1_11comp_targetILNS1_3genE0ELNS1_11target_archE4294967295ELNS1_3gpuE0ELNS1_3repE0EEENS1_38merge_mergepath_config_static_selectorELNS0_4arch9wavefront6targetE1EEEvSF_
	.globl	_ZN7rocprim17ROCPRIM_400000_NS6detail17trampoline_kernelINS0_14default_configENS1_38merge_sort_block_merge_config_selectorIhNS0_10empty_typeEEEZZNS1_27merge_sort_block_merge_implIS3_PhPS5_jNS1_19radix_merge_compareILb1ELb1EhNS0_19identity_decomposerEEEEE10hipError_tT0_T1_T2_jT3_P12ihipStream_tbPNSt15iterator_traitsISE_E10value_typeEPNSK_ISF_E10value_typeEPSG_NS1_7vsmem_tEENKUlT_SE_SF_SG_E_clIS8_S8_S9_S9_EESD_ST_SE_SF_SG_EUlST_E0_NS1_11comp_targetILNS1_3genE0ELNS1_11target_archE4294967295ELNS1_3gpuE0ELNS1_3repE0EEENS1_38merge_mergepath_config_static_selectorELNS0_4arch9wavefront6targetE1EEEvSF_
	.p2align	8
	.type	_ZN7rocprim17ROCPRIM_400000_NS6detail17trampoline_kernelINS0_14default_configENS1_38merge_sort_block_merge_config_selectorIhNS0_10empty_typeEEEZZNS1_27merge_sort_block_merge_implIS3_PhPS5_jNS1_19radix_merge_compareILb1ELb1EhNS0_19identity_decomposerEEEEE10hipError_tT0_T1_T2_jT3_P12ihipStream_tbPNSt15iterator_traitsISE_E10value_typeEPNSK_ISF_E10value_typeEPSG_NS1_7vsmem_tEENKUlT_SE_SF_SG_E_clIS8_S8_S9_S9_EESD_ST_SE_SF_SG_EUlST_E0_NS1_11comp_targetILNS1_3genE0ELNS1_11target_archE4294967295ELNS1_3gpuE0ELNS1_3repE0EEENS1_38merge_mergepath_config_static_selectorELNS0_4arch9wavefront6targetE1EEEvSF_,@function
_ZN7rocprim17ROCPRIM_400000_NS6detail17trampoline_kernelINS0_14default_configENS1_38merge_sort_block_merge_config_selectorIhNS0_10empty_typeEEEZZNS1_27merge_sort_block_merge_implIS3_PhPS5_jNS1_19radix_merge_compareILb1ELb1EhNS0_19identity_decomposerEEEEE10hipError_tT0_T1_T2_jT3_P12ihipStream_tbPNSt15iterator_traitsISE_E10value_typeEPNSK_ISF_E10value_typeEPSG_NS1_7vsmem_tEENKUlT_SE_SF_SG_E_clIS8_S8_S9_S9_EESD_ST_SE_SF_SG_EUlST_E0_NS1_11comp_targetILNS1_3genE0ELNS1_11target_archE4294967295ELNS1_3gpuE0ELNS1_3repE0EEENS1_38merge_mergepath_config_static_selectorELNS0_4arch9wavefront6targetE1EEEvSF_: ; @_ZN7rocprim17ROCPRIM_400000_NS6detail17trampoline_kernelINS0_14default_configENS1_38merge_sort_block_merge_config_selectorIhNS0_10empty_typeEEEZZNS1_27merge_sort_block_merge_implIS3_PhPS5_jNS1_19radix_merge_compareILb1ELb1EhNS0_19identity_decomposerEEEEE10hipError_tT0_T1_T2_jT3_P12ihipStream_tbPNSt15iterator_traitsISE_E10value_typeEPNSK_ISF_E10value_typeEPSG_NS1_7vsmem_tEENKUlT_SE_SF_SG_E_clIS8_S8_S9_S9_EESD_ST_SE_SF_SG_EUlST_E0_NS1_11comp_targetILNS1_3genE0ELNS1_11target_archE4294967295ELNS1_3gpuE0ELNS1_3repE0EEENS1_38merge_mergepath_config_static_selectorELNS0_4arch9wavefront6targetE1EEEvSF_
; %bb.0:
	.section	.rodata,"a",@progbits
	.p2align	6, 0x0
	.amdhsa_kernel _ZN7rocprim17ROCPRIM_400000_NS6detail17trampoline_kernelINS0_14default_configENS1_38merge_sort_block_merge_config_selectorIhNS0_10empty_typeEEEZZNS1_27merge_sort_block_merge_implIS3_PhPS5_jNS1_19radix_merge_compareILb1ELb1EhNS0_19identity_decomposerEEEEE10hipError_tT0_T1_T2_jT3_P12ihipStream_tbPNSt15iterator_traitsISE_E10value_typeEPNSK_ISF_E10value_typeEPSG_NS1_7vsmem_tEENKUlT_SE_SF_SG_E_clIS8_S8_S9_S9_EESD_ST_SE_SF_SG_EUlST_E0_NS1_11comp_targetILNS1_3genE0ELNS1_11target_archE4294967295ELNS1_3gpuE0ELNS1_3repE0EEENS1_38merge_mergepath_config_static_selectorELNS0_4arch9wavefront6targetE1EEEvSF_
		.amdhsa_group_segment_fixed_size 0
		.amdhsa_private_segment_fixed_size 0
		.amdhsa_kernarg_size 64
		.amdhsa_user_sgpr_count 6
		.amdhsa_user_sgpr_private_segment_buffer 1
		.amdhsa_user_sgpr_dispatch_ptr 0
		.amdhsa_user_sgpr_queue_ptr 0
		.amdhsa_user_sgpr_kernarg_segment_ptr 1
		.amdhsa_user_sgpr_dispatch_id 0
		.amdhsa_user_sgpr_flat_scratch_init 0
		.amdhsa_user_sgpr_kernarg_preload_length 0
		.amdhsa_user_sgpr_kernarg_preload_offset 0
		.amdhsa_user_sgpr_private_segment_size 0
		.amdhsa_uses_dynamic_stack 0
		.amdhsa_system_sgpr_private_segment_wavefront_offset 0
		.amdhsa_system_sgpr_workgroup_id_x 1
		.amdhsa_system_sgpr_workgroup_id_y 0
		.amdhsa_system_sgpr_workgroup_id_z 0
		.amdhsa_system_sgpr_workgroup_info 0
		.amdhsa_system_vgpr_workitem_id 0
		.amdhsa_next_free_vgpr 1
		.amdhsa_next_free_sgpr 0
		.amdhsa_accum_offset 4
		.amdhsa_reserve_vcc 0
		.amdhsa_reserve_flat_scratch 0
		.amdhsa_float_round_mode_32 0
		.amdhsa_float_round_mode_16_64 0
		.amdhsa_float_denorm_mode_32 3
		.amdhsa_float_denorm_mode_16_64 3
		.amdhsa_dx10_clamp 1
		.amdhsa_ieee_mode 1
		.amdhsa_fp16_overflow 0
		.amdhsa_tg_split 0
		.amdhsa_exception_fp_ieee_invalid_op 0
		.amdhsa_exception_fp_denorm_src 0
		.amdhsa_exception_fp_ieee_div_zero 0
		.amdhsa_exception_fp_ieee_overflow 0
		.amdhsa_exception_fp_ieee_underflow 0
		.amdhsa_exception_fp_ieee_inexact 0
		.amdhsa_exception_int_div_zero 0
	.end_amdhsa_kernel
	.section	.text._ZN7rocprim17ROCPRIM_400000_NS6detail17trampoline_kernelINS0_14default_configENS1_38merge_sort_block_merge_config_selectorIhNS0_10empty_typeEEEZZNS1_27merge_sort_block_merge_implIS3_PhPS5_jNS1_19radix_merge_compareILb1ELb1EhNS0_19identity_decomposerEEEEE10hipError_tT0_T1_T2_jT3_P12ihipStream_tbPNSt15iterator_traitsISE_E10value_typeEPNSK_ISF_E10value_typeEPSG_NS1_7vsmem_tEENKUlT_SE_SF_SG_E_clIS8_S8_S9_S9_EESD_ST_SE_SF_SG_EUlST_E0_NS1_11comp_targetILNS1_3genE0ELNS1_11target_archE4294967295ELNS1_3gpuE0ELNS1_3repE0EEENS1_38merge_mergepath_config_static_selectorELNS0_4arch9wavefront6targetE1EEEvSF_,"axG",@progbits,_ZN7rocprim17ROCPRIM_400000_NS6detail17trampoline_kernelINS0_14default_configENS1_38merge_sort_block_merge_config_selectorIhNS0_10empty_typeEEEZZNS1_27merge_sort_block_merge_implIS3_PhPS5_jNS1_19radix_merge_compareILb1ELb1EhNS0_19identity_decomposerEEEEE10hipError_tT0_T1_T2_jT3_P12ihipStream_tbPNSt15iterator_traitsISE_E10value_typeEPNSK_ISF_E10value_typeEPSG_NS1_7vsmem_tEENKUlT_SE_SF_SG_E_clIS8_S8_S9_S9_EESD_ST_SE_SF_SG_EUlST_E0_NS1_11comp_targetILNS1_3genE0ELNS1_11target_archE4294967295ELNS1_3gpuE0ELNS1_3repE0EEENS1_38merge_mergepath_config_static_selectorELNS0_4arch9wavefront6targetE1EEEvSF_,comdat
.Lfunc_end1699:
	.size	_ZN7rocprim17ROCPRIM_400000_NS6detail17trampoline_kernelINS0_14default_configENS1_38merge_sort_block_merge_config_selectorIhNS0_10empty_typeEEEZZNS1_27merge_sort_block_merge_implIS3_PhPS5_jNS1_19radix_merge_compareILb1ELb1EhNS0_19identity_decomposerEEEEE10hipError_tT0_T1_T2_jT3_P12ihipStream_tbPNSt15iterator_traitsISE_E10value_typeEPNSK_ISF_E10value_typeEPSG_NS1_7vsmem_tEENKUlT_SE_SF_SG_E_clIS8_S8_S9_S9_EESD_ST_SE_SF_SG_EUlST_E0_NS1_11comp_targetILNS1_3genE0ELNS1_11target_archE4294967295ELNS1_3gpuE0ELNS1_3repE0EEENS1_38merge_mergepath_config_static_selectorELNS0_4arch9wavefront6targetE1EEEvSF_, .Lfunc_end1699-_ZN7rocprim17ROCPRIM_400000_NS6detail17trampoline_kernelINS0_14default_configENS1_38merge_sort_block_merge_config_selectorIhNS0_10empty_typeEEEZZNS1_27merge_sort_block_merge_implIS3_PhPS5_jNS1_19radix_merge_compareILb1ELb1EhNS0_19identity_decomposerEEEEE10hipError_tT0_T1_T2_jT3_P12ihipStream_tbPNSt15iterator_traitsISE_E10value_typeEPNSK_ISF_E10value_typeEPSG_NS1_7vsmem_tEENKUlT_SE_SF_SG_E_clIS8_S8_S9_S9_EESD_ST_SE_SF_SG_EUlST_E0_NS1_11comp_targetILNS1_3genE0ELNS1_11target_archE4294967295ELNS1_3gpuE0ELNS1_3repE0EEENS1_38merge_mergepath_config_static_selectorELNS0_4arch9wavefront6targetE1EEEvSF_
                                        ; -- End function
	.section	.AMDGPU.csdata,"",@progbits
; Kernel info:
; codeLenInByte = 0
; NumSgprs: 4
; NumVgprs: 0
; NumAgprs: 0
; TotalNumVgprs: 0
; ScratchSize: 0
; MemoryBound: 0
; FloatMode: 240
; IeeeMode: 1
; LDSByteSize: 0 bytes/workgroup (compile time only)
; SGPRBlocks: 0
; VGPRBlocks: 0
; NumSGPRsForWavesPerEU: 4
; NumVGPRsForWavesPerEU: 1
; AccumOffset: 4
; Occupancy: 8
; WaveLimiterHint : 0
; COMPUTE_PGM_RSRC2:SCRATCH_EN: 0
; COMPUTE_PGM_RSRC2:USER_SGPR: 6
; COMPUTE_PGM_RSRC2:TRAP_HANDLER: 0
; COMPUTE_PGM_RSRC2:TGID_X_EN: 1
; COMPUTE_PGM_RSRC2:TGID_Y_EN: 0
; COMPUTE_PGM_RSRC2:TGID_Z_EN: 0
; COMPUTE_PGM_RSRC2:TIDIG_COMP_CNT: 0
; COMPUTE_PGM_RSRC3_GFX90A:ACCUM_OFFSET: 0
; COMPUTE_PGM_RSRC3_GFX90A:TG_SPLIT: 0
	.section	.text._ZN7rocprim17ROCPRIM_400000_NS6detail17trampoline_kernelINS0_14default_configENS1_38merge_sort_block_merge_config_selectorIhNS0_10empty_typeEEEZZNS1_27merge_sort_block_merge_implIS3_PhPS5_jNS1_19radix_merge_compareILb1ELb1EhNS0_19identity_decomposerEEEEE10hipError_tT0_T1_T2_jT3_P12ihipStream_tbPNSt15iterator_traitsISE_E10value_typeEPNSK_ISF_E10value_typeEPSG_NS1_7vsmem_tEENKUlT_SE_SF_SG_E_clIS8_S8_S9_S9_EESD_ST_SE_SF_SG_EUlST_E0_NS1_11comp_targetILNS1_3genE10ELNS1_11target_archE1201ELNS1_3gpuE5ELNS1_3repE0EEENS1_38merge_mergepath_config_static_selectorELNS0_4arch9wavefront6targetE1EEEvSF_,"axG",@progbits,_ZN7rocprim17ROCPRIM_400000_NS6detail17trampoline_kernelINS0_14default_configENS1_38merge_sort_block_merge_config_selectorIhNS0_10empty_typeEEEZZNS1_27merge_sort_block_merge_implIS3_PhPS5_jNS1_19radix_merge_compareILb1ELb1EhNS0_19identity_decomposerEEEEE10hipError_tT0_T1_T2_jT3_P12ihipStream_tbPNSt15iterator_traitsISE_E10value_typeEPNSK_ISF_E10value_typeEPSG_NS1_7vsmem_tEENKUlT_SE_SF_SG_E_clIS8_S8_S9_S9_EESD_ST_SE_SF_SG_EUlST_E0_NS1_11comp_targetILNS1_3genE10ELNS1_11target_archE1201ELNS1_3gpuE5ELNS1_3repE0EEENS1_38merge_mergepath_config_static_selectorELNS0_4arch9wavefront6targetE1EEEvSF_,comdat
	.protected	_ZN7rocprim17ROCPRIM_400000_NS6detail17trampoline_kernelINS0_14default_configENS1_38merge_sort_block_merge_config_selectorIhNS0_10empty_typeEEEZZNS1_27merge_sort_block_merge_implIS3_PhPS5_jNS1_19radix_merge_compareILb1ELb1EhNS0_19identity_decomposerEEEEE10hipError_tT0_T1_T2_jT3_P12ihipStream_tbPNSt15iterator_traitsISE_E10value_typeEPNSK_ISF_E10value_typeEPSG_NS1_7vsmem_tEENKUlT_SE_SF_SG_E_clIS8_S8_S9_S9_EESD_ST_SE_SF_SG_EUlST_E0_NS1_11comp_targetILNS1_3genE10ELNS1_11target_archE1201ELNS1_3gpuE5ELNS1_3repE0EEENS1_38merge_mergepath_config_static_selectorELNS0_4arch9wavefront6targetE1EEEvSF_ ; -- Begin function _ZN7rocprim17ROCPRIM_400000_NS6detail17trampoline_kernelINS0_14default_configENS1_38merge_sort_block_merge_config_selectorIhNS0_10empty_typeEEEZZNS1_27merge_sort_block_merge_implIS3_PhPS5_jNS1_19radix_merge_compareILb1ELb1EhNS0_19identity_decomposerEEEEE10hipError_tT0_T1_T2_jT3_P12ihipStream_tbPNSt15iterator_traitsISE_E10value_typeEPNSK_ISF_E10value_typeEPSG_NS1_7vsmem_tEENKUlT_SE_SF_SG_E_clIS8_S8_S9_S9_EESD_ST_SE_SF_SG_EUlST_E0_NS1_11comp_targetILNS1_3genE10ELNS1_11target_archE1201ELNS1_3gpuE5ELNS1_3repE0EEENS1_38merge_mergepath_config_static_selectorELNS0_4arch9wavefront6targetE1EEEvSF_
	.globl	_ZN7rocprim17ROCPRIM_400000_NS6detail17trampoline_kernelINS0_14default_configENS1_38merge_sort_block_merge_config_selectorIhNS0_10empty_typeEEEZZNS1_27merge_sort_block_merge_implIS3_PhPS5_jNS1_19radix_merge_compareILb1ELb1EhNS0_19identity_decomposerEEEEE10hipError_tT0_T1_T2_jT3_P12ihipStream_tbPNSt15iterator_traitsISE_E10value_typeEPNSK_ISF_E10value_typeEPSG_NS1_7vsmem_tEENKUlT_SE_SF_SG_E_clIS8_S8_S9_S9_EESD_ST_SE_SF_SG_EUlST_E0_NS1_11comp_targetILNS1_3genE10ELNS1_11target_archE1201ELNS1_3gpuE5ELNS1_3repE0EEENS1_38merge_mergepath_config_static_selectorELNS0_4arch9wavefront6targetE1EEEvSF_
	.p2align	8
	.type	_ZN7rocprim17ROCPRIM_400000_NS6detail17trampoline_kernelINS0_14default_configENS1_38merge_sort_block_merge_config_selectorIhNS0_10empty_typeEEEZZNS1_27merge_sort_block_merge_implIS3_PhPS5_jNS1_19radix_merge_compareILb1ELb1EhNS0_19identity_decomposerEEEEE10hipError_tT0_T1_T2_jT3_P12ihipStream_tbPNSt15iterator_traitsISE_E10value_typeEPNSK_ISF_E10value_typeEPSG_NS1_7vsmem_tEENKUlT_SE_SF_SG_E_clIS8_S8_S9_S9_EESD_ST_SE_SF_SG_EUlST_E0_NS1_11comp_targetILNS1_3genE10ELNS1_11target_archE1201ELNS1_3gpuE5ELNS1_3repE0EEENS1_38merge_mergepath_config_static_selectorELNS0_4arch9wavefront6targetE1EEEvSF_,@function
_ZN7rocprim17ROCPRIM_400000_NS6detail17trampoline_kernelINS0_14default_configENS1_38merge_sort_block_merge_config_selectorIhNS0_10empty_typeEEEZZNS1_27merge_sort_block_merge_implIS3_PhPS5_jNS1_19radix_merge_compareILb1ELb1EhNS0_19identity_decomposerEEEEE10hipError_tT0_T1_T2_jT3_P12ihipStream_tbPNSt15iterator_traitsISE_E10value_typeEPNSK_ISF_E10value_typeEPSG_NS1_7vsmem_tEENKUlT_SE_SF_SG_E_clIS8_S8_S9_S9_EESD_ST_SE_SF_SG_EUlST_E0_NS1_11comp_targetILNS1_3genE10ELNS1_11target_archE1201ELNS1_3gpuE5ELNS1_3repE0EEENS1_38merge_mergepath_config_static_selectorELNS0_4arch9wavefront6targetE1EEEvSF_: ; @_ZN7rocprim17ROCPRIM_400000_NS6detail17trampoline_kernelINS0_14default_configENS1_38merge_sort_block_merge_config_selectorIhNS0_10empty_typeEEEZZNS1_27merge_sort_block_merge_implIS3_PhPS5_jNS1_19radix_merge_compareILb1ELb1EhNS0_19identity_decomposerEEEEE10hipError_tT0_T1_T2_jT3_P12ihipStream_tbPNSt15iterator_traitsISE_E10value_typeEPNSK_ISF_E10value_typeEPSG_NS1_7vsmem_tEENKUlT_SE_SF_SG_E_clIS8_S8_S9_S9_EESD_ST_SE_SF_SG_EUlST_E0_NS1_11comp_targetILNS1_3genE10ELNS1_11target_archE1201ELNS1_3gpuE5ELNS1_3repE0EEENS1_38merge_mergepath_config_static_selectorELNS0_4arch9wavefront6targetE1EEEvSF_
; %bb.0:
	.section	.rodata,"a",@progbits
	.p2align	6, 0x0
	.amdhsa_kernel _ZN7rocprim17ROCPRIM_400000_NS6detail17trampoline_kernelINS0_14default_configENS1_38merge_sort_block_merge_config_selectorIhNS0_10empty_typeEEEZZNS1_27merge_sort_block_merge_implIS3_PhPS5_jNS1_19radix_merge_compareILb1ELb1EhNS0_19identity_decomposerEEEEE10hipError_tT0_T1_T2_jT3_P12ihipStream_tbPNSt15iterator_traitsISE_E10value_typeEPNSK_ISF_E10value_typeEPSG_NS1_7vsmem_tEENKUlT_SE_SF_SG_E_clIS8_S8_S9_S9_EESD_ST_SE_SF_SG_EUlST_E0_NS1_11comp_targetILNS1_3genE10ELNS1_11target_archE1201ELNS1_3gpuE5ELNS1_3repE0EEENS1_38merge_mergepath_config_static_selectorELNS0_4arch9wavefront6targetE1EEEvSF_
		.amdhsa_group_segment_fixed_size 0
		.amdhsa_private_segment_fixed_size 0
		.amdhsa_kernarg_size 64
		.amdhsa_user_sgpr_count 6
		.amdhsa_user_sgpr_private_segment_buffer 1
		.amdhsa_user_sgpr_dispatch_ptr 0
		.amdhsa_user_sgpr_queue_ptr 0
		.amdhsa_user_sgpr_kernarg_segment_ptr 1
		.amdhsa_user_sgpr_dispatch_id 0
		.amdhsa_user_sgpr_flat_scratch_init 0
		.amdhsa_user_sgpr_kernarg_preload_length 0
		.amdhsa_user_sgpr_kernarg_preload_offset 0
		.amdhsa_user_sgpr_private_segment_size 0
		.amdhsa_uses_dynamic_stack 0
		.amdhsa_system_sgpr_private_segment_wavefront_offset 0
		.amdhsa_system_sgpr_workgroup_id_x 1
		.amdhsa_system_sgpr_workgroup_id_y 0
		.amdhsa_system_sgpr_workgroup_id_z 0
		.amdhsa_system_sgpr_workgroup_info 0
		.amdhsa_system_vgpr_workitem_id 0
		.amdhsa_next_free_vgpr 1
		.amdhsa_next_free_sgpr 0
		.amdhsa_accum_offset 4
		.amdhsa_reserve_vcc 0
		.amdhsa_reserve_flat_scratch 0
		.amdhsa_float_round_mode_32 0
		.amdhsa_float_round_mode_16_64 0
		.amdhsa_float_denorm_mode_32 3
		.amdhsa_float_denorm_mode_16_64 3
		.amdhsa_dx10_clamp 1
		.amdhsa_ieee_mode 1
		.amdhsa_fp16_overflow 0
		.amdhsa_tg_split 0
		.amdhsa_exception_fp_ieee_invalid_op 0
		.amdhsa_exception_fp_denorm_src 0
		.amdhsa_exception_fp_ieee_div_zero 0
		.amdhsa_exception_fp_ieee_overflow 0
		.amdhsa_exception_fp_ieee_underflow 0
		.amdhsa_exception_fp_ieee_inexact 0
		.amdhsa_exception_int_div_zero 0
	.end_amdhsa_kernel
	.section	.text._ZN7rocprim17ROCPRIM_400000_NS6detail17trampoline_kernelINS0_14default_configENS1_38merge_sort_block_merge_config_selectorIhNS0_10empty_typeEEEZZNS1_27merge_sort_block_merge_implIS3_PhPS5_jNS1_19radix_merge_compareILb1ELb1EhNS0_19identity_decomposerEEEEE10hipError_tT0_T1_T2_jT3_P12ihipStream_tbPNSt15iterator_traitsISE_E10value_typeEPNSK_ISF_E10value_typeEPSG_NS1_7vsmem_tEENKUlT_SE_SF_SG_E_clIS8_S8_S9_S9_EESD_ST_SE_SF_SG_EUlST_E0_NS1_11comp_targetILNS1_3genE10ELNS1_11target_archE1201ELNS1_3gpuE5ELNS1_3repE0EEENS1_38merge_mergepath_config_static_selectorELNS0_4arch9wavefront6targetE1EEEvSF_,"axG",@progbits,_ZN7rocprim17ROCPRIM_400000_NS6detail17trampoline_kernelINS0_14default_configENS1_38merge_sort_block_merge_config_selectorIhNS0_10empty_typeEEEZZNS1_27merge_sort_block_merge_implIS3_PhPS5_jNS1_19radix_merge_compareILb1ELb1EhNS0_19identity_decomposerEEEEE10hipError_tT0_T1_T2_jT3_P12ihipStream_tbPNSt15iterator_traitsISE_E10value_typeEPNSK_ISF_E10value_typeEPSG_NS1_7vsmem_tEENKUlT_SE_SF_SG_E_clIS8_S8_S9_S9_EESD_ST_SE_SF_SG_EUlST_E0_NS1_11comp_targetILNS1_3genE10ELNS1_11target_archE1201ELNS1_3gpuE5ELNS1_3repE0EEENS1_38merge_mergepath_config_static_selectorELNS0_4arch9wavefront6targetE1EEEvSF_,comdat
.Lfunc_end1700:
	.size	_ZN7rocprim17ROCPRIM_400000_NS6detail17trampoline_kernelINS0_14default_configENS1_38merge_sort_block_merge_config_selectorIhNS0_10empty_typeEEEZZNS1_27merge_sort_block_merge_implIS3_PhPS5_jNS1_19radix_merge_compareILb1ELb1EhNS0_19identity_decomposerEEEEE10hipError_tT0_T1_T2_jT3_P12ihipStream_tbPNSt15iterator_traitsISE_E10value_typeEPNSK_ISF_E10value_typeEPSG_NS1_7vsmem_tEENKUlT_SE_SF_SG_E_clIS8_S8_S9_S9_EESD_ST_SE_SF_SG_EUlST_E0_NS1_11comp_targetILNS1_3genE10ELNS1_11target_archE1201ELNS1_3gpuE5ELNS1_3repE0EEENS1_38merge_mergepath_config_static_selectorELNS0_4arch9wavefront6targetE1EEEvSF_, .Lfunc_end1700-_ZN7rocprim17ROCPRIM_400000_NS6detail17trampoline_kernelINS0_14default_configENS1_38merge_sort_block_merge_config_selectorIhNS0_10empty_typeEEEZZNS1_27merge_sort_block_merge_implIS3_PhPS5_jNS1_19radix_merge_compareILb1ELb1EhNS0_19identity_decomposerEEEEE10hipError_tT0_T1_T2_jT3_P12ihipStream_tbPNSt15iterator_traitsISE_E10value_typeEPNSK_ISF_E10value_typeEPSG_NS1_7vsmem_tEENKUlT_SE_SF_SG_E_clIS8_S8_S9_S9_EESD_ST_SE_SF_SG_EUlST_E0_NS1_11comp_targetILNS1_3genE10ELNS1_11target_archE1201ELNS1_3gpuE5ELNS1_3repE0EEENS1_38merge_mergepath_config_static_selectorELNS0_4arch9wavefront6targetE1EEEvSF_
                                        ; -- End function
	.section	.AMDGPU.csdata,"",@progbits
; Kernel info:
; codeLenInByte = 0
; NumSgprs: 4
; NumVgprs: 0
; NumAgprs: 0
; TotalNumVgprs: 0
; ScratchSize: 0
; MemoryBound: 0
; FloatMode: 240
; IeeeMode: 1
; LDSByteSize: 0 bytes/workgroup (compile time only)
; SGPRBlocks: 0
; VGPRBlocks: 0
; NumSGPRsForWavesPerEU: 4
; NumVGPRsForWavesPerEU: 1
; AccumOffset: 4
; Occupancy: 8
; WaveLimiterHint : 0
; COMPUTE_PGM_RSRC2:SCRATCH_EN: 0
; COMPUTE_PGM_RSRC2:USER_SGPR: 6
; COMPUTE_PGM_RSRC2:TRAP_HANDLER: 0
; COMPUTE_PGM_RSRC2:TGID_X_EN: 1
; COMPUTE_PGM_RSRC2:TGID_Y_EN: 0
; COMPUTE_PGM_RSRC2:TGID_Z_EN: 0
; COMPUTE_PGM_RSRC2:TIDIG_COMP_CNT: 0
; COMPUTE_PGM_RSRC3_GFX90A:ACCUM_OFFSET: 0
; COMPUTE_PGM_RSRC3_GFX90A:TG_SPLIT: 0
	.section	.text._ZN7rocprim17ROCPRIM_400000_NS6detail17trampoline_kernelINS0_14default_configENS1_38merge_sort_block_merge_config_selectorIhNS0_10empty_typeEEEZZNS1_27merge_sort_block_merge_implIS3_PhPS5_jNS1_19radix_merge_compareILb1ELb1EhNS0_19identity_decomposerEEEEE10hipError_tT0_T1_T2_jT3_P12ihipStream_tbPNSt15iterator_traitsISE_E10value_typeEPNSK_ISF_E10value_typeEPSG_NS1_7vsmem_tEENKUlT_SE_SF_SG_E_clIS8_S8_S9_S9_EESD_ST_SE_SF_SG_EUlST_E0_NS1_11comp_targetILNS1_3genE5ELNS1_11target_archE942ELNS1_3gpuE9ELNS1_3repE0EEENS1_38merge_mergepath_config_static_selectorELNS0_4arch9wavefront6targetE1EEEvSF_,"axG",@progbits,_ZN7rocprim17ROCPRIM_400000_NS6detail17trampoline_kernelINS0_14default_configENS1_38merge_sort_block_merge_config_selectorIhNS0_10empty_typeEEEZZNS1_27merge_sort_block_merge_implIS3_PhPS5_jNS1_19radix_merge_compareILb1ELb1EhNS0_19identity_decomposerEEEEE10hipError_tT0_T1_T2_jT3_P12ihipStream_tbPNSt15iterator_traitsISE_E10value_typeEPNSK_ISF_E10value_typeEPSG_NS1_7vsmem_tEENKUlT_SE_SF_SG_E_clIS8_S8_S9_S9_EESD_ST_SE_SF_SG_EUlST_E0_NS1_11comp_targetILNS1_3genE5ELNS1_11target_archE942ELNS1_3gpuE9ELNS1_3repE0EEENS1_38merge_mergepath_config_static_selectorELNS0_4arch9wavefront6targetE1EEEvSF_,comdat
	.protected	_ZN7rocprim17ROCPRIM_400000_NS6detail17trampoline_kernelINS0_14default_configENS1_38merge_sort_block_merge_config_selectorIhNS0_10empty_typeEEEZZNS1_27merge_sort_block_merge_implIS3_PhPS5_jNS1_19radix_merge_compareILb1ELb1EhNS0_19identity_decomposerEEEEE10hipError_tT0_T1_T2_jT3_P12ihipStream_tbPNSt15iterator_traitsISE_E10value_typeEPNSK_ISF_E10value_typeEPSG_NS1_7vsmem_tEENKUlT_SE_SF_SG_E_clIS8_S8_S9_S9_EESD_ST_SE_SF_SG_EUlST_E0_NS1_11comp_targetILNS1_3genE5ELNS1_11target_archE942ELNS1_3gpuE9ELNS1_3repE0EEENS1_38merge_mergepath_config_static_selectorELNS0_4arch9wavefront6targetE1EEEvSF_ ; -- Begin function _ZN7rocprim17ROCPRIM_400000_NS6detail17trampoline_kernelINS0_14default_configENS1_38merge_sort_block_merge_config_selectorIhNS0_10empty_typeEEEZZNS1_27merge_sort_block_merge_implIS3_PhPS5_jNS1_19radix_merge_compareILb1ELb1EhNS0_19identity_decomposerEEEEE10hipError_tT0_T1_T2_jT3_P12ihipStream_tbPNSt15iterator_traitsISE_E10value_typeEPNSK_ISF_E10value_typeEPSG_NS1_7vsmem_tEENKUlT_SE_SF_SG_E_clIS8_S8_S9_S9_EESD_ST_SE_SF_SG_EUlST_E0_NS1_11comp_targetILNS1_3genE5ELNS1_11target_archE942ELNS1_3gpuE9ELNS1_3repE0EEENS1_38merge_mergepath_config_static_selectorELNS0_4arch9wavefront6targetE1EEEvSF_
	.globl	_ZN7rocprim17ROCPRIM_400000_NS6detail17trampoline_kernelINS0_14default_configENS1_38merge_sort_block_merge_config_selectorIhNS0_10empty_typeEEEZZNS1_27merge_sort_block_merge_implIS3_PhPS5_jNS1_19radix_merge_compareILb1ELb1EhNS0_19identity_decomposerEEEEE10hipError_tT0_T1_T2_jT3_P12ihipStream_tbPNSt15iterator_traitsISE_E10value_typeEPNSK_ISF_E10value_typeEPSG_NS1_7vsmem_tEENKUlT_SE_SF_SG_E_clIS8_S8_S9_S9_EESD_ST_SE_SF_SG_EUlST_E0_NS1_11comp_targetILNS1_3genE5ELNS1_11target_archE942ELNS1_3gpuE9ELNS1_3repE0EEENS1_38merge_mergepath_config_static_selectorELNS0_4arch9wavefront6targetE1EEEvSF_
	.p2align	8
	.type	_ZN7rocprim17ROCPRIM_400000_NS6detail17trampoline_kernelINS0_14default_configENS1_38merge_sort_block_merge_config_selectorIhNS0_10empty_typeEEEZZNS1_27merge_sort_block_merge_implIS3_PhPS5_jNS1_19radix_merge_compareILb1ELb1EhNS0_19identity_decomposerEEEEE10hipError_tT0_T1_T2_jT3_P12ihipStream_tbPNSt15iterator_traitsISE_E10value_typeEPNSK_ISF_E10value_typeEPSG_NS1_7vsmem_tEENKUlT_SE_SF_SG_E_clIS8_S8_S9_S9_EESD_ST_SE_SF_SG_EUlST_E0_NS1_11comp_targetILNS1_3genE5ELNS1_11target_archE942ELNS1_3gpuE9ELNS1_3repE0EEENS1_38merge_mergepath_config_static_selectorELNS0_4arch9wavefront6targetE1EEEvSF_,@function
_ZN7rocprim17ROCPRIM_400000_NS6detail17trampoline_kernelINS0_14default_configENS1_38merge_sort_block_merge_config_selectorIhNS0_10empty_typeEEEZZNS1_27merge_sort_block_merge_implIS3_PhPS5_jNS1_19radix_merge_compareILb1ELb1EhNS0_19identity_decomposerEEEEE10hipError_tT0_T1_T2_jT3_P12ihipStream_tbPNSt15iterator_traitsISE_E10value_typeEPNSK_ISF_E10value_typeEPSG_NS1_7vsmem_tEENKUlT_SE_SF_SG_E_clIS8_S8_S9_S9_EESD_ST_SE_SF_SG_EUlST_E0_NS1_11comp_targetILNS1_3genE5ELNS1_11target_archE942ELNS1_3gpuE9ELNS1_3repE0EEENS1_38merge_mergepath_config_static_selectorELNS0_4arch9wavefront6targetE1EEEvSF_: ; @_ZN7rocprim17ROCPRIM_400000_NS6detail17trampoline_kernelINS0_14default_configENS1_38merge_sort_block_merge_config_selectorIhNS0_10empty_typeEEEZZNS1_27merge_sort_block_merge_implIS3_PhPS5_jNS1_19radix_merge_compareILb1ELb1EhNS0_19identity_decomposerEEEEE10hipError_tT0_T1_T2_jT3_P12ihipStream_tbPNSt15iterator_traitsISE_E10value_typeEPNSK_ISF_E10value_typeEPSG_NS1_7vsmem_tEENKUlT_SE_SF_SG_E_clIS8_S8_S9_S9_EESD_ST_SE_SF_SG_EUlST_E0_NS1_11comp_targetILNS1_3genE5ELNS1_11target_archE942ELNS1_3gpuE9ELNS1_3repE0EEENS1_38merge_mergepath_config_static_selectorELNS0_4arch9wavefront6targetE1EEEvSF_
; %bb.0:
	.section	.rodata,"a",@progbits
	.p2align	6, 0x0
	.amdhsa_kernel _ZN7rocprim17ROCPRIM_400000_NS6detail17trampoline_kernelINS0_14default_configENS1_38merge_sort_block_merge_config_selectorIhNS0_10empty_typeEEEZZNS1_27merge_sort_block_merge_implIS3_PhPS5_jNS1_19radix_merge_compareILb1ELb1EhNS0_19identity_decomposerEEEEE10hipError_tT0_T1_T2_jT3_P12ihipStream_tbPNSt15iterator_traitsISE_E10value_typeEPNSK_ISF_E10value_typeEPSG_NS1_7vsmem_tEENKUlT_SE_SF_SG_E_clIS8_S8_S9_S9_EESD_ST_SE_SF_SG_EUlST_E0_NS1_11comp_targetILNS1_3genE5ELNS1_11target_archE942ELNS1_3gpuE9ELNS1_3repE0EEENS1_38merge_mergepath_config_static_selectorELNS0_4arch9wavefront6targetE1EEEvSF_
		.amdhsa_group_segment_fixed_size 0
		.amdhsa_private_segment_fixed_size 0
		.amdhsa_kernarg_size 64
		.amdhsa_user_sgpr_count 6
		.amdhsa_user_sgpr_private_segment_buffer 1
		.amdhsa_user_sgpr_dispatch_ptr 0
		.amdhsa_user_sgpr_queue_ptr 0
		.amdhsa_user_sgpr_kernarg_segment_ptr 1
		.amdhsa_user_sgpr_dispatch_id 0
		.amdhsa_user_sgpr_flat_scratch_init 0
		.amdhsa_user_sgpr_kernarg_preload_length 0
		.amdhsa_user_sgpr_kernarg_preload_offset 0
		.amdhsa_user_sgpr_private_segment_size 0
		.amdhsa_uses_dynamic_stack 0
		.amdhsa_system_sgpr_private_segment_wavefront_offset 0
		.amdhsa_system_sgpr_workgroup_id_x 1
		.amdhsa_system_sgpr_workgroup_id_y 0
		.amdhsa_system_sgpr_workgroup_id_z 0
		.amdhsa_system_sgpr_workgroup_info 0
		.amdhsa_system_vgpr_workitem_id 0
		.amdhsa_next_free_vgpr 1
		.amdhsa_next_free_sgpr 0
		.amdhsa_accum_offset 4
		.amdhsa_reserve_vcc 0
		.amdhsa_reserve_flat_scratch 0
		.amdhsa_float_round_mode_32 0
		.amdhsa_float_round_mode_16_64 0
		.amdhsa_float_denorm_mode_32 3
		.amdhsa_float_denorm_mode_16_64 3
		.amdhsa_dx10_clamp 1
		.amdhsa_ieee_mode 1
		.amdhsa_fp16_overflow 0
		.amdhsa_tg_split 0
		.amdhsa_exception_fp_ieee_invalid_op 0
		.amdhsa_exception_fp_denorm_src 0
		.amdhsa_exception_fp_ieee_div_zero 0
		.amdhsa_exception_fp_ieee_overflow 0
		.amdhsa_exception_fp_ieee_underflow 0
		.amdhsa_exception_fp_ieee_inexact 0
		.amdhsa_exception_int_div_zero 0
	.end_amdhsa_kernel
	.section	.text._ZN7rocprim17ROCPRIM_400000_NS6detail17trampoline_kernelINS0_14default_configENS1_38merge_sort_block_merge_config_selectorIhNS0_10empty_typeEEEZZNS1_27merge_sort_block_merge_implIS3_PhPS5_jNS1_19radix_merge_compareILb1ELb1EhNS0_19identity_decomposerEEEEE10hipError_tT0_T1_T2_jT3_P12ihipStream_tbPNSt15iterator_traitsISE_E10value_typeEPNSK_ISF_E10value_typeEPSG_NS1_7vsmem_tEENKUlT_SE_SF_SG_E_clIS8_S8_S9_S9_EESD_ST_SE_SF_SG_EUlST_E0_NS1_11comp_targetILNS1_3genE5ELNS1_11target_archE942ELNS1_3gpuE9ELNS1_3repE0EEENS1_38merge_mergepath_config_static_selectorELNS0_4arch9wavefront6targetE1EEEvSF_,"axG",@progbits,_ZN7rocprim17ROCPRIM_400000_NS6detail17trampoline_kernelINS0_14default_configENS1_38merge_sort_block_merge_config_selectorIhNS0_10empty_typeEEEZZNS1_27merge_sort_block_merge_implIS3_PhPS5_jNS1_19radix_merge_compareILb1ELb1EhNS0_19identity_decomposerEEEEE10hipError_tT0_T1_T2_jT3_P12ihipStream_tbPNSt15iterator_traitsISE_E10value_typeEPNSK_ISF_E10value_typeEPSG_NS1_7vsmem_tEENKUlT_SE_SF_SG_E_clIS8_S8_S9_S9_EESD_ST_SE_SF_SG_EUlST_E0_NS1_11comp_targetILNS1_3genE5ELNS1_11target_archE942ELNS1_3gpuE9ELNS1_3repE0EEENS1_38merge_mergepath_config_static_selectorELNS0_4arch9wavefront6targetE1EEEvSF_,comdat
.Lfunc_end1701:
	.size	_ZN7rocprim17ROCPRIM_400000_NS6detail17trampoline_kernelINS0_14default_configENS1_38merge_sort_block_merge_config_selectorIhNS0_10empty_typeEEEZZNS1_27merge_sort_block_merge_implIS3_PhPS5_jNS1_19radix_merge_compareILb1ELb1EhNS0_19identity_decomposerEEEEE10hipError_tT0_T1_T2_jT3_P12ihipStream_tbPNSt15iterator_traitsISE_E10value_typeEPNSK_ISF_E10value_typeEPSG_NS1_7vsmem_tEENKUlT_SE_SF_SG_E_clIS8_S8_S9_S9_EESD_ST_SE_SF_SG_EUlST_E0_NS1_11comp_targetILNS1_3genE5ELNS1_11target_archE942ELNS1_3gpuE9ELNS1_3repE0EEENS1_38merge_mergepath_config_static_selectorELNS0_4arch9wavefront6targetE1EEEvSF_, .Lfunc_end1701-_ZN7rocprim17ROCPRIM_400000_NS6detail17trampoline_kernelINS0_14default_configENS1_38merge_sort_block_merge_config_selectorIhNS0_10empty_typeEEEZZNS1_27merge_sort_block_merge_implIS3_PhPS5_jNS1_19radix_merge_compareILb1ELb1EhNS0_19identity_decomposerEEEEE10hipError_tT0_T1_T2_jT3_P12ihipStream_tbPNSt15iterator_traitsISE_E10value_typeEPNSK_ISF_E10value_typeEPSG_NS1_7vsmem_tEENKUlT_SE_SF_SG_E_clIS8_S8_S9_S9_EESD_ST_SE_SF_SG_EUlST_E0_NS1_11comp_targetILNS1_3genE5ELNS1_11target_archE942ELNS1_3gpuE9ELNS1_3repE0EEENS1_38merge_mergepath_config_static_selectorELNS0_4arch9wavefront6targetE1EEEvSF_
                                        ; -- End function
	.section	.AMDGPU.csdata,"",@progbits
; Kernel info:
; codeLenInByte = 0
; NumSgprs: 4
; NumVgprs: 0
; NumAgprs: 0
; TotalNumVgprs: 0
; ScratchSize: 0
; MemoryBound: 0
; FloatMode: 240
; IeeeMode: 1
; LDSByteSize: 0 bytes/workgroup (compile time only)
; SGPRBlocks: 0
; VGPRBlocks: 0
; NumSGPRsForWavesPerEU: 4
; NumVGPRsForWavesPerEU: 1
; AccumOffset: 4
; Occupancy: 8
; WaveLimiterHint : 0
; COMPUTE_PGM_RSRC2:SCRATCH_EN: 0
; COMPUTE_PGM_RSRC2:USER_SGPR: 6
; COMPUTE_PGM_RSRC2:TRAP_HANDLER: 0
; COMPUTE_PGM_RSRC2:TGID_X_EN: 1
; COMPUTE_PGM_RSRC2:TGID_Y_EN: 0
; COMPUTE_PGM_RSRC2:TGID_Z_EN: 0
; COMPUTE_PGM_RSRC2:TIDIG_COMP_CNT: 0
; COMPUTE_PGM_RSRC3_GFX90A:ACCUM_OFFSET: 0
; COMPUTE_PGM_RSRC3_GFX90A:TG_SPLIT: 0
	.section	.text._ZN7rocprim17ROCPRIM_400000_NS6detail17trampoline_kernelINS0_14default_configENS1_38merge_sort_block_merge_config_selectorIhNS0_10empty_typeEEEZZNS1_27merge_sort_block_merge_implIS3_PhPS5_jNS1_19radix_merge_compareILb1ELb1EhNS0_19identity_decomposerEEEEE10hipError_tT0_T1_T2_jT3_P12ihipStream_tbPNSt15iterator_traitsISE_E10value_typeEPNSK_ISF_E10value_typeEPSG_NS1_7vsmem_tEENKUlT_SE_SF_SG_E_clIS8_S8_S9_S9_EESD_ST_SE_SF_SG_EUlST_E0_NS1_11comp_targetILNS1_3genE4ELNS1_11target_archE910ELNS1_3gpuE8ELNS1_3repE0EEENS1_38merge_mergepath_config_static_selectorELNS0_4arch9wavefront6targetE1EEEvSF_,"axG",@progbits,_ZN7rocprim17ROCPRIM_400000_NS6detail17trampoline_kernelINS0_14default_configENS1_38merge_sort_block_merge_config_selectorIhNS0_10empty_typeEEEZZNS1_27merge_sort_block_merge_implIS3_PhPS5_jNS1_19radix_merge_compareILb1ELb1EhNS0_19identity_decomposerEEEEE10hipError_tT0_T1_T2_jT3_P12ihipStream_tbPNSt15iterator_traitsISE_E10value_typeEPNSK_ISF_E10value_typeEPSG_NS1_7vsmem_tEENKUlT_SE_SF_SG_E_clIS8_S8_S9_S9_EESD_ST_SE_SF_SG_EUlST_E0_NS1_11comp_targetILNS1_3genE4ELNS1_11target_archE910ELNS1_3gpuE8ELNS1_3repE0EEENS1_38merge_mergepath_config_static_selectorELNS0_4arch9wavefront6targetE1EEEvSF_,comdat
	.protected	_ZN7rocprim17ROCPRIM_400000_NS6detail17trampoline_kernelINS0_14default_configENS1_38merge_sort_block_merge_config_selectorIhNS0_10empty_typeEEEZZNS1_27merge_sort_block_merge_implIS3_PhPS5_jNS1_19radix_merge_compareILb1ELb1EhNS0_19identity_decomposerEEEEE10hipError_tT0_T1_T2_jT3_P12ihipStream_tbPNSt15iterator_traitsISE_E10value_typeEPNSK_ISF_E10value_typeEPSG_NS1_7vsmem_tEENKUlT_SE_SF_SG_E_clIS8_S8_S9_S9_EESD_ST_SE_SF_SG_EUlST_E0_NS1_11comp_targetILNS1_3genE4ELNS1_11target_archE910ELNS1_3gpuE8ELNS1_3repE0EEENS1_38merge_mergepath_config_static_selectorELNS0_4arch9wavefront6targetE1EEEvSF_ ; -- Begin function _ZN7rocprim17ROCPRIM_400000_NS6detail17trampoline_kernelINS0_14default_configENS1_38merge_sort_block_merge_config_selectorIhNS0_10empty_typeEEEZZNS1_27merge_sort_block_merge_implIS3_PhPS5_jNS1_19radix_merge_compareILb1ELb1EhNS0_19identity_decomposerEEEEE10hipError_tT0_T1_T2_jT3_P12ihipStream_tbPNSt15iterator_traitsISE_E10value_typeEPNSK_ISF_E10value_typeEPSG_NS1_7vsmem_tEENKUlT_SE_SF_SG_E_clIS8_S8_S9_S9_EESD_ST_SE_SF_SG_EUlST_E0_NS1_11comp_targetILNS1_3genE4ELNS1_11target_archE910ELNS1_3gpuE8ELNS1_3repE0EEENS1_38merge_mergepath_config_static_selectorELNS0_4arch9wavefront6targetE1EEEvSF_
	.globl	_ZN7rocprim17ROCPRIM_400000_NS6detail17trampoline_kernelINS0_14default_configENS1_38merge_sort_block_merge_config_selectorIhNS0_10empty_typeEEEZZNS1_27merge_sort_block_merge_implIS3_PhPS5_jNS1_19radix_merge_compareILb1ELb1EhNS0_19identity_decomposerEEEEE10hipError_tT0_T1_T2_jT3_P12ihipStream_tbPNSt15iterator_traitsISE_E10value_typeEPNSK_ISF_E10value_typeEPSG_NS1_7vsmem_tEENKUlT_SE_SF_SG_E_clIS8_S8_S9_S9_EESD_ST_SE_SF_SG_EUlST_E0_NS1_11comp_targetILNS1_3genE4ELNS1_11target_archE910ELNS1_3gpuE8ELNS1_3repE0EEENS1_38merge_mergepath_config_static_selectorELNS0_4arch9wavefront6targetE1EEEvSF_
	.p2align	8
	.type	_ZN7rocprim17ROCPRIM_400000_NS6detail17trampoline_kernelINS0_14default_configENS1_38merge_sort_block_merge_config_selectorIhNS0_10empty_typeEEEZZNS1_27merge_sort_block_merge_implIS3_PhPS5_jNS1_19radix_merge_compareILb1ELb1EhNS0_19identity_decomposerEEEEE10hipError_tT0_T1_T2_jT3_P12ihipStream_tbPNSt15iterator_traitsISE_E10value_typeEPNSK_ISF_E10value_typeEPSG_NS1_7vsmem_tEENKUlT_SE_SF_SG_E_clIS8_S8_S9_S9_EESD_ST_SE_SF_SG_EUlST_E0_NS1_11comp_targetILNS1_3genE4ELNS1_11target_archE910ELNS1_3gpuE8ELNS1_3repE0EEENS1_38merge_mergepath_config_static_selectorELNS0_4arch9wavefront6targetE1EEEvSF_,@function
_ZN7rocprim17ROCPRIM_400000_NS6detail17trampoline_kernelINS0_14default_configENS1_38merge_sort_block_merge_config_selectorIhNS0_10empty_typeEEEZZNS1_27merge_sort_block_merge_implIS3_PhPS5_jNS1_19radix_merge_compareILb1ELb1EhNS0_19identity_decomposerEEEEE10hipError_tT0_T1_T2_jT3_P12ihipStream_tbPNSt15iterator_traitsISE_E10value_typeEPNSK_ISF_E10value_typeEPSG_NS1_7vsmem_tEENKUlT_SE_SF_SG_E_clIS8_S8_S9_S9_EESD_ST_SE_SF_SG_EUlST_E0_NS1_11comp_targetILNS1_3genE4ELNS1_11target_archE910ELNS1_3gpuE8ELNS1_3repE0EEENS1_38merge_mergepath_config_static_selectorELNS0_4arch9wavefront6targetE1EEEvSF_: ; @_ZN7rocprim17ROCPRIM_400000_NS6detail17trampoline_kernelINS0_14default_configENS1_38merge_sort_block_merge_config_selectorIhNS0_10empty_typeEEEZZNS1_27merge_sort_block_merge_implIS3_PhPS5_jNS1_19radix_merge_compareILb1ELb1EhNS0_19identity_decomposerEEEEE10hipError_tT0_T1_T2_jT3_P12ihipStream_tbPNSt15iterator_traitsISE_E10value_typeEPNSK_ISF_E10value_typeEPSG_NS1_7vsmem_tEENKUlT_SE_SF_SG_E_clIS8_S8_S9_S9_EESD_ST_SE_SF_SG_EUlST_E0_NS1_11comp_targetILNS1_3genE4ELNS1_11target_archE910ELNS1_3gpuE8ELNS1_3repE0EEENS1_38merge_mergepath_config_static_selectorELNS0_4arch9wavefront6targetE1EEEvSF_
; %bb.0:
	s_load_dwordx2 s[10:11], s[4:5], 0x40
	s_load_dword s1, s[4:5], 0x30
	s_add_u32 s2, s4, 64
	s_addc_u32 s3, s5, 0
	s_waitcnt lgkmcnt(0)
	s_mul_i32 s0, s11, s8
	s_add_i32 s0, s0, s7
	s_mul_i32 s0, s0, s10
	s_add_i32 s0, s0, s6
	s_cmp_ge_u32 s0, s1
	s_cbranch_scc1 .LBB1702_51
; %bb.1:
	s_load_dwordx2 s[12:13], s[4:5], 0x28
	s_load_dwordx2 s[8:9], s[4:5], 0x38
	;; [unrolled: 1-line block ×3, first 2 shown]
	s_mov_b32 s1, 0
	v_mov_b32_e32 v1, 0
	s_waitcnt lgkmcnt(0)
	s_lshr_b32 s21, s12, 10
	s_cmp_lg_u32 s0, s21
	s_cselect_b64 s[14:15], -1, 0
	s_lshl_b64 s[18:19], s[0:1], 2
	s_add_u32 s8, s8, s18
	s_addc_u32 s9, s9, s19
	s_lshr_b32 s1, s13, 9
	s_and_b32 s1, s1, 0x7ffffe
	s_load_dwordx2 s[8:9], s[8:9], 0x0
	s_sub_i32 s1, 0, s1
	s_and_b32 s7, s0, s1
	s_lshl_b32 s11, s7, 10
	s_lshl_b32 s20, s0, 10
	;; [unrolled: 1-line block ×3, first 2 shown]
	s_sub_i32 s18, s20, s11
	s_add_i32 s7, s7, s13
	s_add_i32 s18, s7, s18
	s_waitcnt lgkmcnt(0)
	s_sub_i32 s19, s18, s8
	s_sub_i32 s18, s18, s9
	;; [unrolled: 1-line block ×3, first 2 shown]
	s_min_u32 s19, s12, s19
	s_addk_i32 s18, 0x400
	s_or_b32 s1, s0, s1
	s_min_u32 s11, s12, s7
	s_add_i32 s7, s7, s13
	s_cmp_eq_u32 s1, -1
	s_cselect_b32 s1, s7, s18
	s_cselect_b32 s7, s11, s9
	s_min_u32 s1, s1, s12
	s_sub_i32 s13, s7, s8
	s_sub_i32 s7, s1, s19
	s_add_u32 s11, s16, s8
	s_addc_u32 s18, s17, 0
	s_add_u32 s8, s16, s19
	s_addc_u32 s9, s17, 0
	s_cmp_lt_u32 s6, s10
	s_cselect_b32 s1, 12, 18
	global_load_dword v2, v1, s[2:3] offset:14
	s_add_u32 s2, s2, s1
	s_addc_u32 s3, s3, 0
	global_load_ushort v1, v1, s[2:3]
	s_cmp_eq_u32 s0, s21
	s_waitcnt vmcnt(1)
	v_lshrrev_b32_e32 v3, 16, v2
	v_and_b32_e32 v2, 0xffff, v2
	v_mul_lo_u32 v2, v2, v3
	s_waitcnt vmcnt(0)
	v_mul_lo_u32 v4, v2, v1
	v_add_u32_e32 v10, v4, v0
	v_add_u32_e32 v9, v10, v4
	s_cbranch_scc1 .LBB1702_3
; %bb.2:
	v_mov_b32_e32 v1, s18
	v_add_co_u32_e32 v2, vcc, s11, v0
	v_addc_co_u32_e32 v1, vcc, 0, v1, vcc
	v_subrev_u32_e32 v3, s13, v0
	v_mov_b32_e32 v5, s9
	v_add_co_u32_e32 v3, vcc, s8, v3
	v_addc_co_u32_e32 v5, vcc, 0, v5, vcc
	v_cmp_gt_u32_e32 vcc, s13, v0
	v_cndmask_b32_e32 v13, v5, v1, vcc
	v_cndmask_b32_e32 v12, v3, v2, vcc
	v_mov_b32_e32 v1, s18
	v_add_co_u32_e32 v2, vcc, s11, v10
	v_addc_co_u32_e32 v1, vcc, 0, v1, vcc
	v_subrev_u32_e32 v3, s13, v10
	v_mov_b32_e32 v5, s9
	v_add_co_u32_e32 v3, vcc, s8, v3
	v_addc_co_u32_e32 v5, vcc, 0, v5, vcc
	v_cmp_gt_u32_e32 vcc, s13, v10
	v_cndmask_b32_e32 v15, v5, v1, vcc
	v_cndmask_b32_e32 v14, v3, v2, vcc
	v_mov_b32_e32 v1, s18
	v_add_co_u32_e32 v2, vcc, s11, v9
	v_addc_co_u32_e32 v1, vcc, 0, v1, vcc
	v_subrev_u32_e32 v3, s13, v9
	v_mov_b32_e32 v5, s9
	v_add_co_u32_e32 v3, vcc, s8, v3
	v_addc_co_u32_e32 v5, vcc, 0, v5, vcc
	v_cmp_gt_u32_e32 vcc, s13, v9
	v_cndmask_b32_e32 v17, v5, v1, vcc
	v_add_u32_e32 v1, v9, v4
	v_cndmask_b32_e32 v16, v3, v2, vcc
	v_mov_b32_e32 v2, s18
	v_add_co_u32_e32 v3, vcc, s11, v1
	v_addc_co_u32_e32 v2, vcc, 0, v2, vcc
	v_subrev_u32_e32 v5, s13, v1
	v_mov_b32_e32 v6, s9
	v_add_co_u32_e32 v5, vcc, s8, v5
	v_addc_co_u32_e32 v6, vcc, 0, v6, vcc
	v_cmp_gt_u32_e32 vcc, s13, v1
	v_add_u32_e32 v1, v1, v4
	v_cndmask_b32_e32 v19, v6, v2, vcc
	v_cndmask_b32_e32 v18, v5, v3, vcc
	v_mov_b32_e32 v2, s18
	v_add_co_u32_e32 v3, vcc, s11, v1
	v_addc_co_u32_e32 v2, vcc, 0, v2, vcc
	v_subrev_u32_e32 v5, s13, v1
	v_mov_b32_e32 v6, s9
	v_add_co_u32_e32 v5, vcc, s8, v5
	v_addc_co_u32_e32 v6, vcc, 0, v6, vcc
	v_cmp_gt_u32_e32 vcc, s13, v1
	v_add_u32_e32 v1, v1, v4
	v_cndmask_b32_e32 v21, v6, v2, vcc
	;; [unrolled: 11-line block ×4, first 2 shown]
	v_cndmask_b32_e32 v24, v5, v3, vcc
	v_mov_b32_e32 v2, s18
	v_add_co_u32_e32 v3, vcc, s11, v1
	v_addc_co_u32_e32 v2, vcc, 0, v2, vcc
	v_subrev_u32_e32 v5, s13, v1
	v_mov_b32_e32 v6, s9
	v_add_co_u32_e32 v5, vcc, s8, v5
	v_addc_co_u32_e32 v6, vcc, 0, v6, vcc
	v_cmp_gt_u32_e32 vcc, s13, v1
	v_cndmask_b32_e32 v27, v6, v2, vcc
	v_cndmask_b32_e32 v26, v5, v3, vcc
	global_load_ubyte v1, v[12:13], off
	global_load_ubyte v2, v[14:15], off
	;; [unrolled: 1-line block ×8, first 2 shown]
	s_add_i32 s21, s7, s13
	s_load_dwordx2 s[16:17], s[4:5], 0x10
	s_cbranch_execz .LBB1702_4
	s_branch .LBB1702_21
.LBB1702_3:
                                        ; implicit-def: $vgpr1
                                        ; implicit-def: $vgpr2
                                        ; implicit-def: $vgpr3
                                        ; implicit-def: $vgpr5
                                        ; implicit-def: $vgpr6
                                        ; implicit-def: $vgpr7
                                        ; implicit-def: $vgpr8
                                        ; implicit-def: $vgpr11
                                        ; implicit-def: $sgpr21
	s_load_dwordx2 s[16:17], s[4:5], 0x10
.LBB1702_4:
	s_add_i32 s21, s7, s13
	v_cmp_gt_u32_e32 vcc, s21, v0
                                        ; implicit-def: $vgpr1
	s_and_saveexec_b64 s[0:1], vcc
	s_cbranch_execz .LBB1702_6
; %bb.5:
	s_waitcnt vmcnt(7)
	v_mov_b32_e32 v1, s18
	s_waitcnt vmcnt(6)
	v_add_co_u32_e32 v2, vcc, s11, v0
	v_addc_co_u32_e32 v1, vcc, 0, v1, vcc
	s_waitcnt vmcnt(5)
	v_subrev_u32_e32 v3, s13, v0
	s_waitcnt vmcnt(4)
	v_mov_b32_e32 v5, s9
	s_waitcnt vmcnt(3)
	v_add_co_u32_e32 v6, vcc, s8, v3
	v_addc_co_u32_e32 v3, vcc, 0, v5, vcc
	v_cmp_gt_u32_e32 vcc, s13, v0
	v_cndmask_b32_e32 v3, v3, v1, vcc
	v_cndmask_b32_e32 v2, v6, v2, vcc
	global_load_ubyte v1, v[2:3], off
.LBB1702_6:
	s_or_b64 exec, exec, s[0:1]
	v_cmp_gt_u32_e32 vcc, s21, v10
                                        ; implicit-def: $vgpr2
	s_and_saveexec_b64 s[0:1], vcc
	s_cbranch_execz .LBB1702_8
; %bb.7:
	s_waitcnt vmcnt(6)
	v_mov_b32_e32 v2, s18
	s_waitcnt vmcnt(4)
	v_add_co_u32_e32 v5, vcc, s11, v10
	v_addc_co_u32_e32 v2, vcc, 0, v2, vcc
	v_subrev_u32_e32 v3, s13, v10
	s_waitcnt vmcnt(3)
	v_mov_b32_e32 v6, s9
	s_waitcnt vmcnt(2)
	v_add_co_u32_e32 v7, vcc, s8, v3
	v_addc_co_u32_e32 v3, vcc, 0, v6, vcc
	v_cmp_gt_u32_e32 vcc, s13, v10
	v_cndmask_b32_e32 v3, v3, v2, vcc
	v_cndmask_b32_e32 v2, v7, v5, vcc
	global_load_ubyte v2, v[2:3], off
.LBB1702_8:
	s_or_b64 exec, exec, s[0:1]
	v_cmp_gt_u32_e32 vcc, s21, v9
                                        ; implicit-def: $vgpr3
	s_and_saveexec_b64 s[0:1], vcc
	s_cbranch_execz .LBB1702_10
; %bb.9:
	s_waitcnt vmcnt(5)
	v_mov_b32_e32 v3, s18
	s_waitcnt vmcnt(4)
	v_add_co_u32_e32 v5, vcc, s11, v9
	v_addc_co_u32_e32 v3, vcc, 0, v3, vcc
	s_waitcnt vmcnt(3)
	v_subrev_u32_e32 v6, s13, v9
	s_waitcnt vmcnt(2)
	v_mov_b32_e32 v7, s9
	v_add_co_u32_e32 v6, vcc, s8, v6
	v_addc_co_u32_e32 v7, vcc, 0, v7, vcc
	v_cmp_gt_u32_e32 vcc, s13, v9
	v_cndmask_b32_e32 v7, v7, v3, vcc
	v_cndmask_b32_e32 v6, v6, v5, vcc
	global_load_ubyte v3, v[6:7], off
.LBB1702_10:
	s_or_b64 exec, exec, s[0:1]
	s_waitcnt vmcnt(3)
	v_add_u32_e32 v6, v9, v4
	v_cmp_gt_u32_e32 vcc, s21, v6
                                        ; implicit-def: $vgpr5
	s_and_saveexec_b64 s[0:1], vcc
	s_cbranch_execz .LBB1702_12
; %bb.11:
	v_mov_b32_e32 v5, s18
	s_waitcnt vmcnt(2)
	v_add_co_u32_e32 v7, vcc, s11, v6
	v_addc_co_u32_e32 v5, vcc, 0, v5, vcc
	s_waitcnt vmcnt(1)
	v_subrev_u32_e32 v8, s13, v6
	v_mov_b32_e32 v9, s9
	v_add_co_u32_e32 v8, vcc, s8, v8
	v_addc_co_u32_e32 v9, vcc, 0, v9, vcc
	v_cmp_gt_u32_e32 vcc, s13, v6
	v_cndmask_b32_e32 v9, v9, v5, vcc
	v_cndmask_b32_e32 v8, v8, v7, vcc
	global_load_ubyte v5, v[8:9], off
.LBB1702_12:
	s_or_b64 exec, exec, s[0:1]
	s_waitcnt vmcnt(2)
	v_add_u32_e32 v7, v6, v4
	v_cmp_gt_u32_e32 vcc, s21, v7
                                        ; implicit-def: $vgpr6
	s_and_saveexec_b64 s[0:1], vcc
	s_cbranch_execz .LBB1702_14
; %bb.13:
	v_mov_b32_e32 v6, s18
	s_waitcnt vmcnt(1)
	v_add_co_u32_e32 v8, vcc, s11, v7
	v_addc_co_u32_e32 v6, vcc, 0, v6, vcc
	v_subrev_u32_e32 v9, s13, v7
	v_mov_b32_e32 v10, s9
	s_waitcnt vmcnt(0)
	v_add_co_u32_e32 v11, vcc, s8, v9
	v_addc_co_u32_e32 v9, vcc, 0, v10, vcc
	v_cmp_gt_u32_e32 vcc, s13, v7
	v_cndmask_b32_e32 v9, v9, v6, vcc
	v_cndmask_b32_e32 v8, v11, v8, vcc
	global_load_ubyte v6, v[8:9], off
.LBB1702_14:
	s_or_b64 exec, exec, s[0:1]
	s_waitcnt vmcnt(1)
	v_add_u32_e32 v8, v7, v4
	v_cmp_gt_u32_e32 vcc, s21, v8
                                        ; implicit-def: $vgpr7
	s_and_saveexec_b64 s[0:1], vcc
	s_cbranch_execz .LBB1702_16
; %bb.15:
	v_mov_b32_e32 v7, s18
	v_add_co_u32_e32 v9, vcc, s11, v8
	v_addc_co_u32_e32 v7, vcc, 0, v7, vcc
	v_subrev_u32_e32 v10, s13, v8
	s_waitcnt vmcnt(0)
	v_mov_b32_e32 v11, s9
	v_add_co_u32_e32 v10, vcc, s8, v10
	v_addc_co_u32_e32 v11, vcc, 0, v11, vcc
	v_cmp_gt_u32_e32 vcc, s13, v8
	v_cndmask_b32_e32 v11, v11, v7, vcc
	v_cndmask_b32_e32 v10, v10, v9, vcc
	global_load_ubyte v7, v[10:11], off
.LBB1702_16:
	s_or_b64 exec, exec, s[0:1]
	v_add_u32_e32 v9, v8, v4
	v_cmp_gt_u32_e32 vcc, s21, v9
                                        ; implicit-def: $vgpr8
	s_and_saveexec_b64 s[0:1], vcc
	s_cbranch_execz .LBB1702_18
; %bb.17:
	v_mov_b32_e32 v8, s18
	v_add_co_u32_e32 v10, vcc, s11, v9
	v_addc_co_u32_e32 v8, vcc, 0, v8, vcc
	s_waitcnt vmcnt(0)
	v_subrev_u32_e32 v11, s13, v9
	v_mov_b32_e32 v12, s9
	v_add_co_u32_e32 v13, vcc, s8, v11
	v_addc_co_u32_e32 v11, vcc, 0, v12, vcc
	v_cmp_gt_u32_e32 vcc, s13, v9
	v_cndmask_b32_e32 v11, v11, v8, vcc
	v_cndmask_b32_e32 v10, v13, v10, vcc
	global_load_ubyte v8, v[10:11], off
.LBB1702_18:
	s_or_b64 exec, exec, s[0:1]
	v_add_u32_e32 v4, v9, v4
	v_cmp_gt_u32_e32 vcc, s21, v4
                                        ; implicit-def: $vgpr11
	s_and_saveexec_b64 s[0:1], vcc
	s_cbranch_execz .LBB1702_20
; %bb.19:
	v_mov_b32_e32 v9, s18
	v_add_co_u32_e32 v10, vcc, s11, v4
	v_addc_co_u32_e32 v9, vcc, 0, v9, vcc
	s_waitcnt vmcnt(0)
	v_subrev_u32_e32 v11, s13, v4
	v_mov_b32_e32 v12, s9
	v_add_co_u32_e32 v13, vcc, s8, v11
	v_addc_co_u32_e32 v11, vcc, 0, v12, vcc
	v_cmp_gt_u32_e32 vcc, s13, v4
	v_cndmask_b32_e32 v11, v11, v9, vcc
	v_cndmask_b32_e32 v10, v13, v10, vcc
	global_load_ubyte v11, v[10:11], off
.LBB1702_20:
	s_or_b64 exec, exec, s[0:1]
.LBB1702_21:
	s_load_dword s22, s[4:5], 0x34
	v_lshlrev_b32_e32 v4, 3, v0
	v_min_u32_e32 v10, s21, v4
	v_sub_u32_e64 v9, v10, s7 clamp
	v_min_u32_e32 v12, s13, v10
	v_cmp_lt_u32_e32 vcc, v9, v12
	s_waitcnt vmcnt(0)
	ds_write_b8 v0, v1
	ds_write_b8 v0, v2 offset:128
	ds_write_b8 v0, v3 offset:256
	;; [unrolled: 1-line block ×7, first 2 shown]
	s_waitcnt lgkmcnt(0)
	s_barrier
	s_and_saveexec_b64 s[0:1], vcc
	s_cbranch_execz .LBB1702_25
; %bb.22:
	v_add_u32_e32 v13, s13, v10
	s_mov_b64 s[2:3], 0
.LBB1702_23:                            ; =>This Inner Loop Header: Depth=1
	v_add_u32_e32 v14, v12, v9
	v_lshrrev_b32_e32 v14, 1, v14
	v_xad_u32 v15, v14, -1, v13
	ds_read_u8 v16, v14
	ds_read_u8 v15, v15
	v_add_u32_e32 v17, 1, v14
	s_waitcnt lgkmcnt(1)
	v_and_b32_e32 v16, s22, v16
	s_waitcnt lgkmcnt(0)
	v_and_b32_e32 v15, s22, v15
	v_cmp_gt_u16_sdwa vcc, v15, v16 src0_sel:BYTE_0 src1_sel:BYTE_0
	v_cndmask_b32_e32 v12, v12, v14, vcc
	v_cndmask_b32_e32 v9, v17, v9, vcc
	v_cmp_ge_u32_e32 vcc, v9, v12
	s_or_b64 s[2:3], vcc, s[2:3]
	s_andn2_b64 exec, exec, s[2:3]
	s_cbranch_execnz .LBB1702_23
; %bb.24:
	s_or_b64 exec, exec, s[2:3]
.LBB1702_25:
	s_or_b64 exec, exec, s[0:1]
	v_sub_u32_e32 v10, v10, v9
	v_add_u32_e32 v10, s13, v10
	v_cmp_ge_u32_e32 vcc, s13, v9
	v_cmp_ge_u32_e64 s[0:1], s21, v10
	s_or_b64 s[0:1], vcc, s[0:1]
	s_and_saveexec_b64 s[18:19], s[0:1]
	s_cbranch_execz .LBB1702_31
; %bb.26:
	v_cmp_gt_u32_e32 vcc, s13, v9
                                        ; implicit-def: $vgpr1
	s_and_saveexec_b64 s[0:1], vcc
	s_cbranch_execz .LBB1702_28
; %bb.27:
	ds_read_u8 v1, v9
.LBB1702_28:
	s_or_b64 exec, exec, s[0:1]
	v_cmp_le_u32_e64 s[0:1], s21, v10
	v_cmp_gt_u32_e64 s[2:3], s21, v10
                                        ; implicit-def: $vgpr2
	s_and_saveexec_b64 s[4:5], s[2:3]
	s_cbranch_execz .LBB1702_30
; %bb.29:
	ds_read_u8 v2, v10
.LBB1702_30:
	s_or_b64 exec, exec, s[4:5]
	s_waitcnt lgkmcnt(0)
	v_and_b32_e32 v3, s22, v2
	v_and_b32_e32 v5, s22, v1
	v_cmp_le_u16_sdwa s[2:3], v3, v5 src0_sel:BYTE_0 src1_sel:BYTE_0
	s_and_b64 s[2:3], vcc, s[2:3]
	s_or_b64 vcc, s[0:1], s[2:3]
	v_mov_b32_e32 v5, s21
	v_mov_b32_e32 v6, s13
	v_cndmask_b32_e32 v3, v10, v9, vcc
	v_cndmask_b32_e32 v7, v5, v6, vcc
	v_add_u32_e32 v3, 1, v3
	v_add_u32_e32 v7, -1, v7
	v_min_u32_e32 v7, v3, v7
	ds_read_u8 v7, v7
	v_cndmask_b32_e32 v10, v3, v10, vcc
	v_cndmask_b32_e32 v3, v9, v3, vcc
	v_cmp_gt_u32_e64 s[2:3], s13, v3
	v_cmp_le_u32_e64 s[0:1], s21, v10
	s_waitcnt lgkmcnt(0)
	v_cndmask_b32_e32 v8, v7, v2, vcc
	v_cndmask_b32_e32 v7, v1, v7, vcc
	v_and_b32_e32 v9, s22, v8
	v_and_b32_e32 v11, s22, v7
	v_cmp_le_u16_sdwa s[4:5], v9, v11 src0_sel:BYTE_0 src1_sel:BYTE_0
	s_and_b64 s[2:3], s[2:3], s[4:5]
	s_or_b64 s[0:1], s[0:1], s[2:3]
	v_cndmask_b32_e64 v9, v10, v3, s[0:1]
	v_cndmask_b32_e64 v11, v5, v6, s[0:1]
	v_add_u32_e32 v9, 1, v9
	v_add_u32_e32 v11, -1, v11
	v_min_u32_e32 v11, v9, v11
	ds_read_u8 v11, v11
	v_cndmask_b32_e64 v10, v9, v10, s[0:1]
	v_cndmask_b32_e64 v3, v3, v9, s[0:1]
	v_cmp_gt_u32_e64 s[4:5], s13, v3
	v_cmp_le_u32_e64 s[2:3], s21, v10
	s_waitcnt lgkmcnt(0)
	v_cndmask_b32_e64 v12, v11, v8, s[0:1]
	v_cndmask_b32_e64 v11, v7, v11, s[0:1]
	v_and_b32_e32 v9, s22, v12
	v_and_b32_e32 v13, s22, v11
	v_cmp_le_u16_sdwa s[6:7], v9, v13 src0_sel:BYTE_0 src1_sel:BYTE_0
	s_and_b64 s[4:5], s[4:5], s[6:7]
	s_or_b64 s[2:3], s[2:3], s[4:5]
	v_cndmask_b32_e64 v9, v10, v3, s[2:3]
	v_cndmask_b32_e64 v13, v5, v6, s[2:3]
	v_add_u32_e32 v9, 1, v9
	v_add_u32_e32 v13, -1, v13
	v_min_u32_e32 v13, v9, v13
	ds_read_u8 v13, v13
	v_cndmask_b32_e64 v10, v9, v10, s[2:3]
	v_cndmask_b32_e64 v3, v3, v9, s[2:3]
	v_cmp_gt_u32_e64 s[6:7], s13, v3
	v_cmp_le_u32_e64 s[4:5], s21, v10
	s_waitcnt lgkmcnt(0)
	v_cndmask_b32_e64 v14, v13, v12, s[2:3]
	v_cndmask_b32_e64 v13, v11, v13, s[2:3]
	;; [unrolled: 18-line block ×4, first 2 shown]
	v_and_b32_e32 v3, s22, v18
	v_and_b32_e32 v19, s22, v17
	v_cmp_le_u16_sdwa s[24:25], v3, v19 src0_sel:BYTE_0 src1_sel:BYTE_0
	s_and_b64 s[10:11], s[10:11], s[24:25]
	s_or_b64 s[8:9], s[8:9], s[10:11]
	v_cndmask_b32_e64 v3, v10, v9, s[8:9]
	v_cndmask_b32_e64 v19, v5, v6, s[8:9]
	v_add_u32_e32 v20, 1, v3
	v_add_u32_e32 v3, -1, v19
	v_min_u32_e32 v3, v20, v3
	ds_read_u8 v19, v3
	v_cndmask_b32_e64 v3, v12, v11, s[2:3]
	v_cndmask_b32_e32 v1, v2, v1, vcc
	v_cndmask_b32_e64 v2, v8, v7, s[0:1]
	v_cndmask_b32_e64 v9, v9, v20, s[8:9]
	s_waitcnt lgkmcnt(0)
	v_cndmask_b32_e64 v11, v19, v18, s[8:9]
	v_cndmask_b32_e64 v12, v17, v19, s[8:9]
	v_and_b32_e32 v7, s22, v11
	v_and_b32_e32 v8, s22, v12
	v_cndmask_b32_e64 v10, v20, v10, s[8:9]
	v_cmp_gt_u32_e64 s[0:1], s13, v9
	v_cmp_le_u16_sdwa s[2:3], v7, v8 src0_sel:BYTE_0 src1_sel:BYTE_0
	v_cmp_le_u32_e32 vcc, s21, v10
	s_and_b64 s[0:1], s[0:1], s[2:3]
	s_or_b64 vcc, vcc, s[0:1]
	v_cndmask_b32_e32 v7, v10, v9, vcc
	v_cndmask_b32_e32 v5, v5, v6, vcc
	v_add_u32_e32 v19, 1, v7
	v_add_u32_e32 v5, -1, v5
	v_min_u32_e32 v5, v19, v5
	ds_read_u8 v20, v5
	v_cndmask_b32_e32 v8, v11, v12, vcc
	v_cndmask_b32_e32 v10, v19, v10, vcc
	;; [unrolled: 1-line block ×3, first 2 shown]
	v_cmp_gt_u32_e64 s[0:1], s13, v9
	s_waitcnt lgkmcnt(0)
	v_cndmask_b32_e32 v11, v20, v11, vcc
	v_cndmask_b32_e32 v12, v12, v20, vcc
	v_cmp_le_u32_e32 vcc, s21, v10
	v_and_b32_e32 v9, s22, v11
	v_and_b32_e32 v10, s22, v12
	v_cmp_le_u16_sdwa s[2:3], v9, v10 src0_sel:BYTE_0 src1_sel:BYTE_0
	s_and_b64 s[0:1], s[0:1], s[2:3]
	s_or_b64 vcc, vcc, s[0:1]
	v_cndmask_b32_e64 v5, v14, v13, s[4:5]
	v_cndmask_b32_e64 v6, v16, v15, s[6:7]
	;; [unrolled: 1-line block ×3, first 2 shown]
	v_cndmask_b32_e32 v11, v11, v12, vcc
.LBB1702_31:
	s_or_b64 exec, exec, s[18:19]
	v_lshlrev_b16_e32 v7, 8, v7
	v_lshlrev_b16_e32 v2, 8, v2
	v_lshrrev_b32_e32 v9, 2, v0
	v_or_b32_sdwa v6, v6, v7 dst_sel:DWORD dst_unused:UNUSED_PAD src0_sel:BYTE_0 src1_sel:DWORD
	v_lshlrev_b16_e32 v7, 8, v11
	v_or_b32_sdwa v1, v1, v2 dst_sel:DWORD dst_unused:UNUSED_PAD src0_sel:BYTE_0 src1_sel:DWORD
	v_lshlrev_b16_e32 v2, 8, v5
	s_add_u32 s0, s16, s20
	v_and_b32_e32 v9, 28, v9
	v_or_b32_sdwa v7, v8, v7 dst_sel:WORD_1 dst_unused:UNUSED_PAD src0_sel:BYTE_0 src1_sel:DWORD
	v_or_b32_sdwa v2, v3, v2 dst_sel:WORD_1 dst_unused:UNUSED_PAD src0_sel:BYTE_0 src1_sel:DWORD
	s_addc_u32 s1, s17, 0
	v_add_u32_e32 v4, v9, v4
	v_or_b32_sdwa v6, v6, v7 dst_sel:DWORD dst_unused:UNUSED_PAD src0_sel:WORD_0 src1_sel:DWORD
	v_or_b32_sdwa v1, v1, v2 dst_sel:DWORD dst_unused:UNUSED_PAD src0_sel:WORD_0 src1_sel:DWORD
	s_barrier
	s_barrier
	ds_write2_b32 v4, v1, v6 offset1:1
	v_mov_b32_e32 v1, s1
	v_add_co_u32_e32 v2, vcc, s0, v0
	v_addc_co_u32_e32 v3, vcc, 0, v1, vcc
	s_and_b64 vcc, exec, s[14:15]
	v_add_u32_e32 v4, 4, v0
	v_add_u32_e32 v5, 8, v0
	;; [unrolled: 1-line block ×7, first 2 shown]
	s_waitcnt lgkmcnt(0)
	s_cbranch_vccz .LBB1702_33
; %bb.32:
	s_barrier
	ds_read_u8 v11, v0
	ds_read_u8 v12, v4 offset:128
	ds_read_u8 v13, v5 offset:256
	;; [unrolled: 1-line block ×7, first 2 shown]
	s_waitcnt lgkmcnt(7)
	global_store_byte v[2:3], v11, off
	s_waitcnt lgkmcnt(6)
	global_store_byte v[2:3], v12, off offset:128
	s_waitcnt lgkmcnt(5)
	global_store_byte v[2:3], v13, off offset:256
	;; [unrolled: 2-line block ×6, first 2 shown]
	s_mov_b64 s[0:1], -1
	s_cbranch_execz .LBB1702_34
	s_branch .LBB1702_49
.LBB1702_33:
	s_mov_b64 s[0:1], 0
                                        ; implicit-def: $vgpr1
.LBB1702_34:
	s_barrier
	s_waitcnt lgkmcnt(0)
	ds_read_u8 v13, v4 offset:128
	ds_read_u8 v12, v5 offset:256
	;; [unrolled: 1-line block ×7, first 2 shown]
	s_sub_i32 s2, s12, s20
	v_or_b32_e32 v7, 0x80, v0
	v_cmp_gt_u32_e32 vcc, s2, v0
	s_and_saveexec_b64 s[0:1], vcc
	s_cbranch_execz .LBB1702_36
; %bb.35:
	ds_read_u8 v8, v0
	s_waitcnt lgkmcnt(0)
	global_store_byte v[2:3], v8, off
.LBB1702_36:
	s_or_b64 exec, exec, s[0:1]
	v_or_b32_e32 v8, 0x100, v0
	v_cmp_gt_u32_e32 vcc, s2, v7
	s_and_saveexec_b64 s[0:1], vcc
	s_cbranch_execz .LBB1702_38
; %bb.37:
	s_waitcnt lgkmcnt(6)
	global_store_byte v[2:3], v13, off offset:128
.LBB1702_38:
	s_or_b64 exec, exec, s[0:1]
	v_or_b32_e32 v7, 0x180, v0
	v_cmp_gt_u32_e32 vcc, s2, v8
	s_and_saveexec_b64 s[0:1], vcc
	s_cbranch_execz .LBB1702_40
; %bb.39:
	s_waitcnt lgkmcnt(5)
	global_store_byte v[2:3], v12, off offset:256
.LBB1702_40:
	;; [unrolled: 9-line block ×4, first 2 shown]
	s_or_b64 exec, exec, s[0:1]
	s_waitcnt lgkmcnt(3)
	v_or_b32_e32 v6, 0x300, v0
	v_cmp_gt_u32_e32 vcc, s2, v7
	s_and_saveexec_b64 s[0:1], vcc
	s_cbranch_execz .LBB1702_46
; %bb.45:
	s_waitcnt lgkmcnt(2)
	global_store_byte v[2:3], v5, off offset:640
.LBB1702_46:
	s_or_b64 exec, exec, s[0:1]
	v_or_b32_e32 v0, 0x380, v0
	v_cmp_gt_u32_e32 vcc, s2, v6
	s_and_saveexec_b64 s[0:1], vcc
	s_cbranch_execz .LBB1702_48
; %bb.47:
	s_waitcnt lgkmcnt(1)
	global_store_byte v[2:3], v4, off offset:768
.LBB1702_48:
	s_or_b64 exec, exec, s[0:1]
	v_cmp_gt_u32_e64 s[0:1], s2, v0
.LBB1702_49:
	s_and_saveexec_b64 s[2:3], s[0:1]
	s_cbranch_execz .LBB1702_51
; %bb.50:
	s_waitcnt lgkmcnt(0)
	global_store_byte v[2:3], v1, off offset:896
.LBB1702_51:
	s_endpgm
	.section	.rodata,"a",@progbits
	.p2align	6, 0x0
	.amdhsa_kernel _ZN7rocprim17ROCPRIM_400000_NS6detail17trampoline_kernelINS0_14default_configENS1_38merge_sort_block_merge_config_selectorIhNS0_10empty_typeEEEZZNS1_27merge_sort_block_merge_implIS3_PhPS5_jNS1_19radix_merge_compareILb1ELb1EhNS0_19identity_decomposerEEEEE10hipError_tT0_T1_T2_jT3_P12ihipStream_tbPNSt15iterator_traitsISE_E10value_typeEPNSK_ISF_E10value_typeEPSG_NS1_7vsmem_tEENKUlT_SE_SF_SG_E_clIS8_S8_S9_S9_EESD_ST_SE_SF_SG_EUlST_E0_NS1_11comp_targetILNS1_3genE4ELNS1_11target_archE910ELNS1_3gpuE8ELNS1_3repE0EEENS1_38merge_mergepath_config_static_selectorELNS0_4arch9wavefront6targetE1EEEvSF_
		.amdhsa_group_segment_fixed_size 1056
		.amdhsa_private_segment_fixed_size 0
		.amdhsa_kernarg_size 320
		.amdhsa_user_sgpr_count 6
		.amdhsa_user_sgpr_private_segment_buffer 1
		.amdhsa_user_sgpr_dispatch_ptr 0
		.amdhsa_user_sgpr_queue_ptr 0
		.amdhsa_user_sgpr_kernarg_segment_ptr 1
		.amdhsa_user_sgpr_dispatch_id 0
		.amdhsa_user_sgpr_flat_scratch_init 0
		.amdhsa_user_sgpr_kernarg_preload_length 0
		.amdhsa_user_sgpr_kernarg_preload_offset 0
		.amdhsa_user_sgpr_private_segment_size 0
		.amdhsa_uses_dynamic_stack 0
		.amdhsa_system_sgpr_private_segment_wavefront_offset 0
		.amdhsa_system_sgpr_workgroup_id_x 1
		.amdhsa_system_sgpr_workgroup_id_y 1
		.amdhsa_system_sgpr_workgroup_id_z 1
		.amdhsa_system_sgpr_workgroup_info 0
		.amdhsa_system_vgpr_workitem_id 0
		.amdhsa_next_free_vgpr 28
		.amdhsa_next_free_sgpr 26
		.amdhsa_accum_offset 28
		.amdhsa_reserve_vcc 1
		.amdhsa_reserve_flat_scratch 0
		.amdhsa_float_round_mode_32 0
		.amdhsa_float_round_mode_16_64 0
		.amdhsa_float_denorm_mode_32 3
		.amdhsa_float_denorm_mode_16_64 3
		.amdhsa_dx10_clamp 1
		.amdhsa_ieee_mode 1
		.amdhsa_fp16_overflow 0
		.amdhsa_tg_split 0
		.amdhsa_exception_fp_ieee_invalid_op 0
		.amdhsa_exception_fp_denorm_src 0
		.amdhsa_exception_fp_ieee_div_zero 0
		.amdhsa_exception_fp_ieee_overflow 0
		.amdhsa_exception_fp_ieee_underflow 0
		.amdhsa_exception_fp_ieee_inexact 0
		.amdhsa_exception_int_div_zero 0
	.end_amdhsa_kernel
	.section	.text._ZN7rocprim17ROCPRIM_400000_NS6detail17trampoline_kernelINS0_14default_configENS1_38merge_sort_block_merge_config_selectorIhNS0_10empty_typeEEEZZNS1_27merge_sort_block_merge_implIS3_PhPS5_jNS1_19radix_merge_compareILb1ELb1EhNS0_19identity_decomposerEEEEE10hipError_tT0_T1_T2_jT3_P12ihipStream_tbPNSt15iterator_traitsISE_E10value_typeEPNSK_ISF_E10value_typeEPSG_NS1_7vsmem_tEENKUlT_SE_SF_SG_E_clIS8_S8_S9_S9_EESD_ST_SE_SF_SG_EUlST_E0_NS1_11comp_targetILNS1_3genE4ELNS1_11target_archE910ELNS1_3gpuE8ELNS1_3repE0EEENS1_38merge_mergepath_config_static_selectorELNS0_4arch9wavefront6targetE1EEEvSF_,"axG",@progbits,_ZN7rocprim17ROCPRIM_400000_NS6detail17trampoline_kernelINS0_14default_configENS1_38merge_sort_block_merge_config_selectorIhNS0_10empty_typeEEEZZNS1_27merge_sort_block_merge_implIS3_PhPS5_jNS1_19radix_merge_compareILb1ELb1EhNS0_19identity_decomposerEEEEE10hipError_tT0_T1_T2_jT3_P12ihipStream_tbPNSt15iterator_traitsISE_E10value_typeEPNSK_ISF_E10value_typeEPSG_NS1_7vsmem_tEENKUlT_SE_SF_SG_E_clIS8_S8_S9_S9_EESD_ST_SE_SF_SG_EUlST_E0_NS1_11comp_targetILNS1_3genE4ELNS1_11target_archE910ELNS1_3gpuE8ELNS1_3repE0EEENS1_38merge_mergepath_config_static_selectorELNS0_4arch9wavefront6targetE1EEEvSF_,comdat
.Lfunc_end1702:
	.size	_ZN7rocprim17ROCPRIM_400000_NS6detail17trampoline_kernelINS0_14default_configENS1_38merge_sort_block_merge_config_selectorIhNS0_10empty_typeEEEZZNS1_27merge_sort_block_merge_implIS3_PhPS5_jNS1_19radix_merge_compareILb1ELb1EhNS0_19identity_decomposerEEEEE10hipError_tT0_T1_T2_jT3_P12ihipStream_tbPNSt15iterator_traitsISE_E10value_typeEPNSK_ISF_E10value_typeEPSG_NS1_7vsmem_tEENKUlT_SE_SF_SG_E_clIS8_S8_S9_S9_EESD_ST_SE_SF_SG_EUlST_E0_NS1_11comp_targetILNS1_3genE4ELNS1_11target_archE910ELNS1_3gpuE8ELNS1_3repE0EEENS1_38merge_mergepath_config_static_selectorELNS0_4arch9wavefront6targetE1EEEvSF_, .Lfunc_end1702-_ZN7rocprim17ROCPRIM_400000_NS6detail17trampoline_kernelINS0_14default_configENS1_38merge_sort_block_merge_config_selectorIhNS0_10empty_typeEEEZZNS1_27merge_sort_block_merge_implIS3_PhPS5_jNS1_19radix_merge_compareILb1ELb1EhNS0_19identity_decomposerEEEEE10hipError_tT0_T1_T2_jT3_P12ihipStream_tbPNSt15iterator_traitsISE_E10value_typeEPNSK_ISF_E10value_typeEPSG_NS1_7vsmem_tEENKUlT_SE_SF_SG_E_clIS8_S8_S9_S9_EESD_ST_SE_SF_SG_EUlST_E0_NS1_11comp_targetILNS1_3genE4ELNS1_11target_archE910ELNS1_3gpuE8ELNS1_3repE0EEENS1_38merge_mergepath_config_static_selectorELNS0_4arch9wavefront6targetE1EEEvSF_
                                        ; -- End function
	.section	.AMDGPU.csdata,"",@progbits
; Kernel info:
; codeLenInByte = 3196
; NumSgprs: 30
; NumVgprs: 28
; NumAgprs: 0
; TotalNumVgprs: 28
; ScratchSize: 0
; MemoryBound: 0
; FloatMode: 240
; IeeeMode: 1
; LDSByteSize: 1056 bytes/workgroup (compile time only)
; SGPRBlocks: 3
; VGPRBlocks: 3
; NumSGPRsForWavesPerEU: 30
; NumVGPRsForWavesPerEU: 28
; AccumOffset: 28
; Occupancy: 8
; WaveLimiterHint : 1
; COMPUTE_PGM_RSRC2:SCRATCH_EN: 0
; COMPUTE_PGM_RSRC2:USER_SGPR: 6
; COMPUTE_PGM_RSRC2:TRAP_HANDLER: 0
; COMPUTE_PGM_RSRC2:TGID_X_EN: 1
; COMPUTE_PGM_RSRC2:TGID_Y_EN: 1
; COMPUTE_PGM_RSRC2:TGID_Z_EN: 1
; COMPUTE_PGM_RSRC2:TIDIG_COMP_CNT: 0
; COMPUTE_PGM_RSRC3_GFX90A:ACCUM_OFFSET: 6
; COMPUTE_PGM_RSRC3_GFX90A:TG_SPLIT: 0
	.section	.text._ZN7rocprim17ROCPRIM_400000_NS6detail17trampoline_kernelINS0_14default_configENS1_38merge_sort_block_merge_config_selectorIhNS0_10empty_typeEEEZZNS1_27merge_sort_block_merge_implIS3_PhPS5_jNS1_19radix_merge_compareILb1ELb1EhNS0_19identity_decomposerEEEEE10hipError_tT0_T1_T2_jT3_P12ihipStream_tbPNSt15iterator_traitsISE_E10value_typeEPNSK_ISF_E10value_typeEPSG_NS1_7vsmem_tEENKUlT_SE_SF_SG_E_clIS8_S8_S9_S9_EESD_ST_SE_SF_SG_EUlST_E0_NS1_11comp_targetILNS1_3genE3ELNS1_11target_archE908ELNS1_3gpuE7ELNS1_3repE0EEENS1_38merge_mergepath_config_static_selectorELNS0_4arch9wavefront6targetE1EEEvSF_,"axG",@progbits,_ZN7rocprim17ROCPRIM_400000_NS6detail17trampoline_kernelINS0_14default_configENS1_38merge_sort_block_merge_config_selectorIhNS0_10empty_typeEEEZZNS1_27merge_sort_block_merge_implIS3_PhPS5_jNS1_19radix_merge_compareILb1ELb1EhNS0_19identity_decomposerEEEEE10hipError_tT0_T1_T2_jT3_P12ihipStream_tbPNSt15iterator_traitsISE_E10value_typeEPNSK_ISF_E10value_typeEPSG_NS1_7vsmem_tEENKUlT_SE_SF_SG_E_clIS8_S8_S9_S9_EESD_ST_SE_SF_SG_EUlST_E0_NS1_11comp_targetILNS1_3genE3ELNS1_11target_archE908ELNS1_3gpuE7ELNS1_3repE0EEENS1_38merge_mergepath_config_static_selectorELNS0_4arch9wavefront6targetE1EEEvSF_,comdat
	.protected	_ZN7rocprim17ROCPRIM_400000_NS6detail17trampoline_kernelINS0_14default_configENS1_38merge_sort_block_merge_config_selectorIhNS0_10empty_typeEEEZZNS1_27merge_sort_block_merge_implIS3_PhPS5_jNS1_19radix_merge_compareILb1ELb1EhNS0_19identity_decomposerEEEEE10hipError_tT0_T1_T2_jT3_P12ihipStream_tbPNSt15iterator_traitsISE_E10value_typeEPNSK_ISF_E10value_typeEPSG_NS1_7vsmem_tEENKUlT_SE_SF_SG_E_clIS8_S8_S9_S9_EESD_ST_SE_SF_SG_EUlST_E0_NS1_11comp_targetILNS1_3genE3ELNS1_11target_archE908ELNS1_3gpuE7ELNS1_3repE0EEENS1_38merge_mergepath_config_static_selectorELNS0_4arch9wavefront6targetE1EEEvSF_ ; -- Begin function _ZN7rocprim17ROCPRIM_400000_NS6detail17trampoline_kernelINS0_14default_configENS1_38merge_sort_block_merge_config_selectorIhNS0_10empty_typeEEEZZNS1_27merge_sort_block_merge_implIS3_PhPS5_jNS1_19radix_merge_compareILb1ELb1EhNS0_19identity_decomposerEEEEE10hipError_tT0_T1_T2_jT3_P12ihipStream_tbPNSt15iterator_traitsISE_E10value_typeEPNSK_ISF_E10value_typeEPSG_NS1_7vsmem_tEENKUlT_SE_SF_SG_E_clIS8_S8_S9_S9_EESD_ST_SE_SF_SG_EUlST_E0_NS1_11comp_targetILNS1_3genE3ELNS1_11target_archE908ELNS1_3gpuE7ELNS1_3repE0EEENS1_38merge_mergepath_config_static_selectorELNS0_4arch9wavefront6targetE1EEEvSF_
	.globl	_ZN7rocprim17ROCPRIM_400000_NS6detail17trampoline_kernelINS0_14default_configENS1_38merge_sort_block_merge_config_selectorIhNS0_10empty_typeEEEZZNS1_27merge_sort_block_merge_implIS3_PhPS5_jNS1_19radix_merge_compareILb1ELb1EhNS0_19identity_decomposerEEEEE10hipError_tT0_T1_T2_jT3_P12ihipStream_tbPNSt15iterator_traitsISE_E10value_typeEPNSK_ISF_E10value_typeEPSG_NS1_7vsmem_tEENKUlT_SE_SF_SG_E_clIS8_S8_S9_S9_EESD_ST_SE_SF_SG_EUlST_E0_NS1_11comp_targetILNS1_3genE3ELNS1_11target_archE908ELNS1_3gpuE7ELNS1_3repE0EEENS1_38merge_mergepath_config_static_selectorELNS0_4arch9wavefront6targetE1EEEvSF_
	.p2align	8
	.type	_ZN7rocprim17ROCPRIM_400000_NS6detail17trampoline_kernelINS0_14default_configENS1_38merge_sort_block_merge_config_selectorIhNS0_10empty_typeEEEZZNS1_27merge_sort_block_merge_implIS3_PhPS5_jNS1_19radix_merge_compareILb1ELb1EhNS0_19identity_decomposerEEEEE10hipError_tT0_T1_T2_jT3_P12ihipStream_tbPNSt15iterator_traitsISE_E10value_typeEPNSK_ISF_E10value_typeEPSG_NS1_7vsmem_tEENKUlT_SE_SF_SG_E_clIS8_S8_S9_S9_EESD_ST_SE_SF_SG_EUlST_E0_NS1_11comp_targetILNS1_3genE3ELNS1_11target_archE908ELNS1_3gpuE7ELNS1_3repE0EEENS1_38merge_mergepath_config_static_selectorELNS0_4arch9wavefront6targetE1EEEvSF_,@function
_ZN7rocprim17ROCPRIM_400000_NS6detail17trampoline_kernelINS0_14default_configENS1_38merge_sort_block_merge_config_selectorIhNS0_10empty_typeEEEZZNS1_27merge_sort_block_merge_implIS3_PhPS5_jNS1_19radix_merge_compareILb1ELb1EhNS0_19identity_decomposerEEEEE10hipError_tT0_T1_T2_jT3_P12ihipStream_tbPNSt15iterator_traitsISE_E10value_typeEPNSK_ISF_E10value_typeEPSG_NS1_7vsmem_tEENKUlT_SE_SF_SG_E_clIS8_S8_S9_S9_EESD_ST_SE_SF_SG_EUlST_E0_NS1_11comp_targetILNS1_3genE3ELNS1_11target_archE908ELNS1_3gpuE7ELNS1_3repE0EEENS1_38merge_mergepath_config_static_selectorELNS0_4arch9wavefront6targetE1EEEvSF_: ; @_ZN7rocprim17ROCPRIM_400000_NS6detail17trampoline_kernelINS0_14default_configENS1_38merge_sort_block_merge_config_selectorIhNS0_10empty_typeEEEZZNS1_27merge_sort_block_merge_implIS3_PhPS5_jNS1_19radix_merge_compareILb1ELb1EhNS0_19identity_decomposerEEEEE10hipError_tT0_T1_T2_jT3_P12ihipStream_tbPNSt15iterator_traitsISE_E10value_typeEPNSK_ISF_E10value_typeEPSG_NS1_7vsmem_tEENKUlT_SE_SF_SG_E_clIS8_S8_S9_S9_EESD_ST_SE_SF_SG_EUlST_E0_NS1_11comp_targetILNS1_3genE3ELNS1_11target_archE908ELNS1_3gpuE7ELNS1_3repE0EEENS1_38merge_mergepath_config_static_selectorELNS0_4arch9wavefront6targetE1EEEvSF_
; %bb.0:
	.section	.rodata,"a",@progbits
	.p2align	6, 0x0
	.amdhsa_kernel _ZN7rocprim17ROCPRIM_400000_NS6detail17trampoline_kernelINS0_14default_configENS1_38merge_sort_block_merge_config_selectorIhNS0_10empty_typeEEEZZNS1_27merge_sort_block_merge_implIS3_PhPS5_jNS1_19radix_merge_compareILb1ELb1EhNS0_19identity_decomposerEEEEE10hipError_tT0_T1_T2_jT3_P12ihipStream_tbPNSt15iterator_traitsISE_E10value_typeEPNSK_ISF_E10value_typeEPSG_NS1_7vsmem_tEENKUlT_SE_SF_SG_E_clIS8_S8_S9_S9_EESD_ST_SE_SF_SG_EUlST_E0_NS1_11comp_targetILNS1_3genE3ELNS1_11target_archE908ELNS1_3gpuE7ELNS1_3repE0EEENS1_38merge_mergepath_config_static_selectorELNS0_4arch9wavefront6targetE1EEEvSF_
		.amdhsa_group_segment_fixed_size 0
		.amdhsa_private_segment_fixed_size 0
		.amdhsa_kernarg_size 64
		.amdhsa_user_sgpr_count 6
		.amdhsa_user_sgpr_private_segment_buffer 1
		.amdhsa_user_sgpr_dispatch_ptr 0
		.amdhsa_user_sgpr_queue_ptr 0
		.amdhsa_user_sgpr_kernarg_segment_ptr 1
		.amdhsa_user_sgpr_dispatch_id 0
		.amdhsa_user_sgpr_flat_scratch_init 0
		.amdhsa_user_sgpr_kernarg_preload_length 0
		.amdhsa_user_sgpr_kernarg_preload_offset 0
		.amdhsa_user_sgpr_private_segment_size 0
		.amdhsa_uses_dynamic_stack 0
		.amdhsa_system_sgpr_private_segment_wavefront_offset 0
		.amdhsa_system_sgpr_workgroup_id_x 1
		.amdhsa_system_sgpr_workgroup_id_y 0
		.amdhsa_system_sgpr_workgroup_id_z 0
		.amdhsa_system_sgpr_workgroup_info 0
		.amdhsa_system_vgpr_workitem_id 0
		.amdhsa_next_free_vgpr 1
		.amdhsa_next_free_sgpr 0
		.amdhsa_accum_offset 4
		.amdhsa_reserve_vcc 0
		.amdhsa_reserve_flat_scratch 0
		.amdhsa_float_round_mode_32 0
		.amdhsa_float_round_mode_16_64 0
		.amdhsa_float_denorm_mode_32 3
		.amdhsa_float_denorm_mode_16_64 3
		.amdhsa_dx10_clamp 1
		.amdhsa_ieee_mode 1
		.amdhsa_fp16_overflow 0
		.amdhsa_tg_split 0
		.amdhsa_exception_fp_ieee_invalid_op 0
		.amdhsa_exception_fp_denorm_src 0
		.amdhsa_exception_fp_ieee_div_zero 0
		.amdhsa_exception_fp_ieee_overflow 0
		.amdhsa_exception_fp_ieee_underflow 0
		.amdhsa_exception_fp_ieee_inexact 0
		.amdhsa_exception_int_div_zero 0
	.end_amdhsa_kernel
	.section	.text._ZN7rocprim17ROCPRIM_400000_NS6detail17trampoline_kernelINS0_14default_configENS1_38merge_sort_block_merge_config_selectorIhNS0_10empty_typeEEEZZNS1_27merge_sort_block_merge_implIS3_PhPS5_jNS1_19radix_merge_compareILb1ELb1EhNS0_19identity_decomposerEEEEE10hipError_tT0_T1_T2_jT3_P12ihipStream_tbPNSt15iterator_traitsISE_E10value_typeEPNSK_ISF_E10value_typeEPSG_NS1_7vsmem_tEENKUlT_SE_SF_SG_E_clIS8_S8_S9_S9_EESD_ST_SE_SF_SG_EUlST_E0_NS1_11comp_targetILNS1_3genE3ELNS1_11target_archE908ELNS1_3gpuE7ELNS1_3repE0EEENS1_38merge_mergepath_config_static_selectorELNS0_4arch9wavefront6targetE1EEEvSF_,"axG",@progbits,_ZN7rocprim17ROCPRIM_400000_NS6detail17trampoline_kernelINS0_14default_configENS1_38merge_sort_block_merge_config_selectorIhNS0_10empty_typeEEEZZNS1_27merge_sort_block_merge_implIS3_PhPS5_jNS1_19radix_merge_compareILb1ELb1EhNS0_19identity_decomposerEEEEE10hipError_tT0_T1_T2_jT3_P12ihipStream_tbPNSt15iterator_traitsISE_E10value_typeEPNSK_ISF_E10value_typeEPSG_NS1_7vsmem_tEENKUlT_SE_SF_SG_E_clIS8_S8_S9_S9_EESD_ST_SE_SF_SG_EUlST_E0_NS1_11comp_targetILNS1_3genE3ELNS1_11target_archE908ELNS1_3gpuE7ELNS1_3repE0EEENS1_38merge_mergepath_config_static_selectorELNS0_4arch9wavefront6targetE1EEEvSF_,comdat
.Lfunc_end1703:
	.size	_ZN7rocprim17ROCPRIM_400000_NS6detail17trampoline_kernelINS0_14default_configENS1_38merge_sort_block_merge_config_selectorIhNS0_10empty_typeEEEZZNS1_27merge_sort_block_merge_implIS3_PhPS5_jNS1_19radix_merge_compareILb1ELb1EhNS0_19identity_decomposerEEEEE10hipError_tT0_T1_T2_jT3_P12ihipStream_tbPNSt15iterator_traitsISE_E10value_typeEPNSK_ISF_E10value_typeEPSG_NS1_7vsmem_tEENKUlT_SE_SF_SG_E_clIS8_S8_S9_S9_EESD_ST_SE_SF_SG_EUlST_E0_NS1_11comp_targetILNS1_3genE3ELNS1_11target_archE908ELNS1_3gpuE7ELNS1_3repE0EEENS1_38merge_mergepath_config_static_selectorELNS0_4arch9wavefront6targetE1EEEvSF_, .Lfunc_end1703-_ZN7rocprim17ROCPRIM_400000_NS6detail17trampoline_kernelINS0_14default_configENS1_38merge_sort_block_merge_config_selectorIhNS0_10empty_typeEEEZZNS1_27merge_sort_block_merge_implIS3_PhPS5_jNS1_19radix_merge_compareILb1ELb1EhNS0_19identity_decomposerEEEEE10hipError_tT0_T1_T2_jT3_P12ihipStream_tbPNSt15iterator_traitsISE_E10value_typeEPNSK_ISF_E10value_typeEPSG_NS1_7vsmem_tEENKUlT_SE_SF_SG_E_clIS8_S8_S9_S9_EESD_ST_SE_SF_SG_EUlST_E0_NS1_11comp_targetILNS1_3genE3ELNS1_11target_archE908ELNS1_3gpuE7ELNS1_3repE0EEENS1_38merge_mergepath_config_static_selectorELNS0_4arch9wavefront6targetE1EEEvSF_
                                        ; -- End function
	.section	.AMDGPU.csdata,"",@progbits
; Kernel info:
; codeLenInByte = 0
; NumSgprs: 4
; NumVgprs: 0
; NumAgprs: 0
; TotalNumVgprs: 0
; ScratchSize: 0
; MemoryBound: 0
; FloatMode: 240
; IeeeMode: 1
; LDSByteSize: 0 bytes/workgroup (compile time only)
; SGPRBlocks: 0
; VGPRBlocks: 0
; NumSGPRsForWavesPerEU: 4
; NumVGPRsForWavesPerEU: 1
; AccumOffset: 4
; Occupancy: 8
; WaveLimiterHint : 0
; COMPUTE_PGM_RSRC2:SCRATCH_EN: 0
; COMPUTE_PGM_RSRC2:USER_SGPR: 6
; COMPUTE_PGM_RSRC2:TRAP_HANDLER: 0
; COMPUTE_PGM_RSRC2:TGID_X_EN: 1
; COMPUTE_PGM_RSRC2:TGID_Y_EN: 0
; COMPUTE_PGM_RSRC2:TGID_Z_EN: 0
; COMPUTE_PGM_RSRC2:TIDIG_COMP_CNT: 0
; COMPUTE_PGM_RSRC3_GFX90A:ACCUM_OFFSET: 0
; COMPUTE_PGM_RSRC3_GFX90A:TG_SPLIT: 0
	.section	.text._ZN7rocprim17ROCPRIM_400000_NS6detail17trampoline_kernelINS0_14default_configENS1_38merge_sort_block_merge_config_selectorIhNS0_10empty_typeEEEZZNS1_27merge_sort_block_merge_implIS3_PhPS5_jNS1_19radix_merge_compareILb1ELb1EhNS0_19identity_decomposerEEEEE10hipError_tT0_T1_T2_jT3_P12ihipStream_tbPNSt15iterator_traitsISE_E10value_typeEPNSK_ISF_E10value_typeEPSG_NS1_7vsmem_tEENKUlT_SE_SF_SG_E_clIS8_S8_S9_S9_EESD_ST_SE_SF_SG_EUlST_E0_NS1_11comp_targetILNS1_3genE2ELNS1_11target_archE906ELNS1_3gpuE6ELNS1_3repE0EEENS1_38merge_mergepath_config_static_selectorELNS0_4arch9wavefront6targetE1EEEvSF_,"axG",@progbits,_ZN7rocprim17ROCPRIM_400000_NS6detail17trampoline_kernelINS0_14default_configENS1_38merge_sort_block_merge_config_selectorIhNS0_10empty_typeEEEZZNS1_27merge_sort_block_merge_implIS3_PhPS5_jNS1_19radix_merge_compareILb1ELb1EhNS0_19identity_decomposerEEEEE10hipError_tT0_T1_T2_jT3_P12ihipStream_tbPNSt15iterator_traitsISE_E10value_typeEPNSK_ISF_E10value_typeEPSG_NS1_7vsmem_tEENKUlT_SE_SF_SG_E_clIS8_S8_S9_S9_EESD_ST_SE_SF_SG_EUlST_E0_NS1_11comp_targetILNS1_3genE2ELNS1_11target_archE906ELNS1_3gpuE6ELNS1_3repE0EEENS1_38merge_mergepath_config_static_selectorELNS0_4arch9wavefront6targetE1EEEvSF_,comdat
	.protected	_ZN7rocprim17ROCPRIM_400000_NS6detail17trampoline_kernelINS0_14default_configENS1_38merge_sort_block_merge_config_selectorIhNS0_10empty_typeEEEZZNS1_27merge_sort_block_merge_implIS3_PhPS5_jNS1_19radix_merge_compareILb1ELb1EhNS0_19identity_decomposerEEEEE10hipError_tT0_T1_T2_jT3_P12ihipStream_tbPNSt15iterator_traitsISE_E10value_typeEPNSK_ISF_E10value_typeEPSG_NS1_7vsmem_tEENKUlT_SE_SF_SG_E_clIS8_S8_S9_S9_EESD_ST_SE_SF_SG_EUlST_E0_NS1_11comp_targetILNS1_3genE2ELNS1_11target_archE906ELNS1_3gpuE6ELNS1_3repE0EEENS1_38merge_mergepath_config_static_selectorELNS0_4arch9wavefront6targetE1EEEvSF_ ; -- Begin function _ZN7rocprim17ROCPRIM_400000_NS6detail17trampoline_kernelINS0_14default_configENS1_38merge_sort_block_merge_config_selectorIhNS0_10empty_typeEEEZZNS1_27merge_sort_block_merge_implIS3_PhPS5_jNS1_19radix_merge_compareILb1ELb1EhNS0_19identity_decomposerEEEEE10hipError_tT0_T1_T2_jT3_P12ihipStream_tbPNSt15iterator_traitsISE_E10value_typeEPNSK_ISF_E10value_typeEPSG_NS1_7vsmem_tEENKUlT_SE_SF_SG_E_clIS8_S8_S9_S9_EESD_ST_SE_SF_SG_EUlST_E0_NS1_11comp_targetILNS1_3genE2ELNS1_11target_archE906ELNS1_3gpuE6ELNS1_3repE0EEENS1_38merge_mergepath_config_static_selectorELNS0_4arch9wavefront6targetE1EEEvSF_
	.globl	_ZN7rocprim17ROCPRIM_400000_NS6detail17trampoline_kernelINS0_14default_configENS1_38merge_sort_block_merge_config_selectorIhNS0_10empty_typeEEEZZNS1_27merge_sort_block_merge_implIS3_PhPS5_jNS1_19radix_merge_compareILb1ELb1EhNS0_19identity_decomposerEEEEE10hipError_tT0_T1_T2_jT3_P12ihipStream_tbPNSt15iterator_traitsISE_E10value_typeEPNSK_ISF_E10value_typeEPSG_NS1_7vsmem_tEENKUlT_SE_SF_SG_E_clIS8_S8_S9_S9_EESD_ST_SE_SF_SG_EUlST_E0_NS1_11comp_targetILNS1_3genE2ELNS1_11target_archE906ELNS1_3gpuE6ELNS1_3repE0EEENS1_38merge_mergepath_config_static_selectorELNS0_4arch9wavefront6targetE1EEEvSF_
	.p2align	8
	.type	_ZN7rocprim17ROCPRIM_400000_NS6detail17trampoline_kernelINS0_14default_configENS1_38merge_sort_block_merge_config_selectorIhNS0_10empty_typeEEEZZNS1_27merge_sort_block_merge_implIS3_PhPS5_jNS1_19radix_merge_compareILb1ELb1EhNS0_19identity_decomposerEEEEE10hipError_tT0_T1_T2_jT3_P12ihipStream_tbPNSt15iterator_traitsISE_E10value_typeEPNSK_ISF_E10value_typeEPSG_NS1_7vsmem_tEENKUlT_SE_SF_SG_E_clIS8_S8_S9_S9_EESD_ST_SE_SF_SG_EUlST_E0_NS1_11comp_targetILNS1_3genE2ELNS1_11target_archE906ELNS1_3gpuE6ELNS1_3repE0EEENS1_38merge_mergepath_config_static_selectorELNS0_4arch9wavefront6targetE1EEEvSF_,@function
_ZN7rocprim17ROCPRIM_400000_NS6detail17trampoline_kernelINS0_14default_configENS1_38merge_sort_block_merge_config_selectorIhNS0_10empty_typeEEEZZNS1_27merge_sort_block_merge_implIS3_PhPS5_jNS1_19radix_merge_compareILb1ELb1EhNS0_19identity_decomposerEEEEE10hipError_tT0_T1_T2_jT3_P12ihipStream_tbPNSt15iterator_traitsISE_E10value_typeEPNSK_ISF_E10value_typeEPSG_NS1_7vsmem_tEENKUlT_SE_SF_SG_E_clIS8_S8_S9_S9_EESD_ST_SE_SF_SG_EUlST_E0_NS1_11comp_targetILNS1_3genE2ELNS1_11target_archE906ELNS1_3gpuE6ELNS1_3repE0EEENS1_38merge_mergepath_config_static_selectorELNS0_4arch9wavefront6targetE1EEEvSF_: ; @_ZN7rocprim17ROCPRIM_400000_NS6detail17trampoline_kernelINS0_14default_configENS1_38merge_sort_block_merge_config_selectorIhNS0_10empty_typeEEEZZNS1_27merge_sort_block_merge_implIS3_PhPS5_jNS1_19radix_merge_compareILb1ELb1EhNS0_19identity_decomposerEEEEE10hipError_tT0_T1_T2_jT3_P12ihipStream_tbPNSt15iterator_traitsISE_E10value_typeEPNSK_ISF_E10value_typeEPSG_NS1_7vsmem_tEENKUlT_SE_SF_SG_E_clIS8_S8_S9_S9_EESD_ST_SE_SF_SG_EUlST_E0_NS1_11comp_targetILNS1_3genE2ELNS1_11target_archE906ELNS1_3gpuE6ELNS1_3repE0EEENS1_38merge_mergepath_config_static_selectorELNS0_4arch9wavefront6targetE1EEEvSF_
; %bb.0:
	.section	.rodata,"a",@progbits
	.p2align	6, 0x0
	.amdhsa_kernel _ZN7rocprim17ROCPRIM_400000_NS6detail17trampoline_kernelINS0_14default_configENS1_38merge_sort_block_merge_config_selectorIhNS0_10empty_typeEEEZZNS1_27merge_sort_block_merge_implIS3_PhPS5_jNS1_19radix_merge_compareILb1ELb1EhNS0_19identity_decomposerEEEEE10hipError_tT0_T1_T2_jT3_P12ihipStream_tbPNSt15iterator_traitsISE_E10value_typeEPNSK_ISF_E10value_typeEPSG_NS1_7vsmem_tEENKUlT_SE_SF_SG_E_clIS8_S8_S9_S9_EESD_ST_SE_SF_SG_EUlST_E0_NS1_11comp_targetILNS1_3genE2ELNS1_11target_archE906ELNS1_3gpuE6ELNS1_3repE0EEENS1_38merge_mergepath_config_static_selectorELNS0_4arch9wavefront6targetE1EEEvSF_
		.amdhsa_group_segment_fixed_size 0
		.amdhsa_private_segment_fixed_size 0
		.amdhsa_kernarg_size 64
		.amdhsa_user_sgpr_count 6
		.amdhsa_user_sgpr_private_segment_buffer 1
		.amdhsa_user_sgpr_dispatch_ptr 0
		.amdhsa_user_sgpr_queue_ptr 0
		.amdhsa_user_sgpr_kernarg_segment_ptr 1
		.amdhsa_user_sgpr_dispatch_id 0
		.amdhsa_user_sgpr_flat_scratch_init 0
		.amdhsa_user_sgpr_kernarg_preload_length 0
		.amdhsa_user_sgpr_kernarg_preload_offset 0
		.amdhsa_user_sgpr_private_segment_size 0
		.amdhsa_uses_dynamic_stack 0
		.amdhsa_system_sgpr_private_segment_wavefront_offset 0
		.amdhsa_system_sgpr_workgroup_id_x 1
		.amdhsa_system_sgpr_workgroup_id_y 0
		.amdhsa_system_sgpr_workgroup_id_z 0
		.amdhsa_system_sgpr_workgroup_info 0
		.amdhsa_system_vgpr_workitem_id 0
		.amdhsa_next_free_vgpr 1
		.amdhsa_next_free_sgpr 0
		.amdhsa_accum_offset 4
		.amdhsa_reserve_vcc 0
		.amdhsa_reserve_flat_scratch 0
		.amdhsa_float_round_mode_32 0
		.amdhsa_float_round_mode_16_64 0
		.amdhsa_float_denorm_mode_32 3
		.amdhsa_float_denorm_mode_16_64 3
		.amdhsa_dx10_clamp 1
		.amdhsa_ieee_mode 1
		.amdhsa_fp16_overflow 0
		.amdhsa_tg_split 0
		.amdhsa_exception_fp_ieee_invalid_op 0
		.amdhsa_exception_fp_denorm_src 0
		.amdhsa_exception_fp_ieee_div_zero 0
		.amdhsa_exception_fp_ieee_overflow 0
		.amdhsa_exception_fp_ieee_underflow 0
		.amdhsa_exception_fp_ieee_inexact 0
		.amdhsa_exception_int_div_zero 0
	.end_amdhsa_kernel
	.section	.text._ZN7rocprim17ROCPRIM_400000_NS6detail17trampoline_kernelINS0_14default_configENS1_38merge_sort_block_merge_config_selectorIhNS0_10empty_typeEEEZZNS1_27merge_sort_block_merge_implIS3_PhPS5_jNS1_19radix_merge_compareILb1ELb1EhNS0_19identity_decomposerEEEEE10hipError_tT0_T1_T2_jT3_P12ihipStream_tbPNSt15iterator_traitsISE_E10value_typeEPNSK_ISF_E10value_typeEPSG_NS1_7vsmem_tEENKUlT_SE_SF_SG_E_clIS8_S8_S9_S9_EESD_ST_SE_SF_SG_EUlST_E0_NS1_11comp_targetILNS1_3genE2ELNS1_11target_archE906ELNS1_3gpuE6ELNS1_3repE0EEENS1_38merge_mergepath_config_static_selectorELNS0_4arch9wavefront6targetE1EEEvSF_,"axG",@progbits,_ZN7rocprim17ROCPRIM_400000_NS6detail17trampoline_kernelINS0_14default_configENS1_38merge_sort_block_merge_config_selectorIhNS0_10empty_typeEEEZZNS1_27merge_sort_block_merge_implIS3_PhPS5_jNS1_19radix_merge_compareILb1ELb1EhNS0_19identity_decomposerEEEEE10hipError_tT0_T1_T2_jT3_P12ihipStream_tbPNSt15iterator_traitsISE_E10value_typeEPNSK_ISF_E10value_typeEPSG_NS1_7vsmem_tEENKUlT_SE_SF_SG_E_clIS8_S8_S9_S9_EESD_ST_SE_SF_SG_EUlST_E0_NS1_11comp_targetILNS1_3genE2ELNS1_11target_archE906ELNS1_3gpuE6ELNS1_3repE0EEENS1_38merge_mergepath_config_static_selectorELNS0_4arch9wavefront6targetE1EEEvSF_,comdat
.Lfunc_end1704:
	.size	_ZN7rocprim17ROCPRIM_400000_NS6detail17trampoline_kernelINS0_14default_configENS1_38merge_sort_block_merge_config_selectorIhNS0_10empty_typeEEEZZNS1_27merge_sort_block_merge_implIS3_PhPS5_jNS1_19radix_merge_compareILb1ELb1EhNS0_19identity_decomposerEEEEE10hipError_tT0_T1_T2_jT3_P12ihipStream_tbPNSt15iterator_traitsISE_E10value_typeEPNSK_ISF_E10value_typeEPSG_NS1_7vsmem_tEENKUlT_SE_SF_SG_E_clIS8_S8_S9_S9_EESD_ST_SE_SF_SG_EUlST_E0_NS1_11comp_targetILNS1_3genE2ELNS1_11target_archE906ELNS1_3gpuE6ELNS1_3repE0EEENS1_38merge_mergepath_config_static_selectorELNS0_4arch9wavefront6targetE1EEEvSF_, .Lfunc_end1704-_ZN7rocprim17ROCPRIM_400000_NS6detail17trampoline_kernelINS0_14default_configENS1_38merge_sort_block_merge_config_selectorIhNS0_10empty_typeEEEZZNS1_27merge_sort_block_merge_implIS3_PhPS5_jNS1_19radix_merge_compareILb1ELb1EhNS0_19identity_decomposerEEEEE10hipError_tT0_T1_T2_jT3_P12ihipStream_tbPNSt15iterator_traitsISE_E10value_typeEPNSK_ISF_E10value_typeEPSG_NS1_7vsmem_tEENKUlT_SE_SF_SG_E_clIS8_S8_S9_S9_EESD_ST_SE_SF_SG_EUlST_E0_NS1_11comp_targetILNS1_3genE2ELNS1_11target_archE906ELNS1_3gpuE6ELNS1_3repE0EEENS1_38merge_mergepath_config_static_selectorELNS0_4arch9wavefront6targetE1EEEvSF_
                                        ; -- End function
	.section	.AMDGPU.csdata,"",@progbits
; Kernel info:
; codeLenInByte = 0
; NumSgprs: 4
; NumVgprs: 0
; NumAgprs: 0
; TotalNumVgprs: 0
; ScratchSize: 0
; MemoryBound: 0
; FloatMode: 240
; IeeeMode: 1
; LDSByteSize: 0 bytes/workgroup (compile time only)
; SGPRBlocks: 0
; VGPRBlocks: 0
; NumSGPRsForWavesPerEU: 4
; NumVGPRsForWavesPerEU: 1
; AccumOffset: 4
; Occupancy: 8
; WaveLimiterHint : 0
; COMPUTE_PGM_RSRC2:SCRATCH_EN: 0
; COMPUTE_PGM_RSRC2:USER_SGPR: 6
; COMPUTE_PGM_RSRC2:TRAP_HANDLER: 0
; COMPUTE_PGM_RSRC2:TGID_X_EN: 1
; COMPUTE_PGM_RSRC2:TGID_Y_EN: 0
; COMPUTE_PGM_RSRC2:TGID_Z_EN: 0
; COMPUTE_PGM_RSRC2:TIDIG_COMP_CNT: 0
; COMPUTE_PGM_RSRC3_GFX90A:ACCUM_OFFSET: 0
; COMPUTE_PGM_RSRC3_GFX90A:TG_SPLIT: 0
	.section	.text._ZN7rocprim17ROCPRIM_400000_NS6detail17trampoline_kernelINS0_14default_configENS1_38merge_sort_block_merge_config_selectorIhNS0_10empty_typeEEEZZNS1_27merge_sort_block_merge_implIS3_PhPS5_jNS1_19radix_merge_compareILb1ELb1EhNS0_19identity_decomposerEEEEE10hipError_tT0_T1_T2_jT3_P12ihipStream_tbPNSt15iterator_traitsISE_E10value_typeEPNSK_ISF_E10value_typeEPSG_NS1_7vsmem_tEENKUlT_SE_SF_SG_E_clIS8_S8_S9_S9_EESD_ST_SE_SF_SG_EUlST_E0_NS1_11comp_targetILNS1_3genE9ELNS1_11target_archE1100ELNS1_3gpuE3ELNS1_3repE0EEENS1_38merge_mergepath_config_static_selectorELNS0_4arch9wavefront6targetE1EEEvSF_,"axG",@progbits,_ZN7rocprim17ROCPRIM_400000_NS6detail17trampoline_kernelINS0_14default_configENS1_38merge_sort_block_merge_config_selectorIhNS0_10empty_typeEEEZZNS1_27merge_sort_block_merge_implIS3_PhPS5_jNS1_19radix_merge_compareILb1ELb1EhNS0_19identity_decomposerEEEEE10hipError_tT0_T1_T2_jT3_P12ihipStream_tbPNSt15iterator_traitsISE_E10value_typeEPNSK_ISF_E10value_typeEPSG_NS1_7vsmem_tEENKUlT_SE_SF_SG_E_clIS8_S8_S9_S9_EESD_ST_SE_SF_SG_EUlST_E0_NS1_11comp_targetILNS1_3genE9ELNS1_11target_archE1100ELNS1_3gpuE3ELNS1_3repE0EEENS1_38merge_mergepath_config_static_selectorELNS0_4arch9wavefront6targetE1EEEvSF_,comdat
	.protected	_ZN7rocprim17ROCPRIM_400000_NS6detail17trampoline_kernelINS0_14default_configENS1_38merge_sort_block_merge_config_selectorIhNS0_10empty_typeEEEZZNS1_27merge_sort_block_merge_implIS3_PhPS5_jNS1_19radix_merge_compareILb1ELb1EhNS0_19identity_decomposerEEEEE10hipError_tT0_T1_T2_jT3_P12ihipStream_tbPNSt15iterator_traitsISE_E10value_typeEPNSK_ISF_E10value_typeEPSG_NS1_7vsmem_tEENKUlT_SE_SF_SG_E_clIS8_S8_S9_S9_EESD_ST_SE_SF_SG_EUlST_E0_NS1_11comp_targetILNS1_3genE9ELNS1_11target_archE1100ELNS1_3gpuE3ELNS1_3repE0EEENS1_38merge_mergepath_config_static_selectorELNS0_4arch9wavefront6targetE1EEEvSF_ ; -- Begin function _ZN7rocprim17ROCPRIM_400000_NS6detail17trampoline_kernelINS0_14default_configENS1_38merge_sort_block_merge_config_selectorIhNS0_10empty_typeEEEZZNS1_27merge_sort_block_merge_implIS3_PhPS5_jNS1_19radix_merge_compareILb1ELb1EhNS0_19identity_decomposerEEEEE10hipError_tT0_T1_T2_jT3_P12ihipStream_tbPNSt15iterator_traitsISE_E10value_typeEPNSK_ISF_E10value_typeEPSG_NS1_7vsmem_tEENKUlT_SE_SF_SG_E_clIS8_S8_S9_S9_EESD_ST_SE_SF_SG_EUlST_E0_NS1_11comp_targetILNS1_3genE9ELNS1_11target_archE1100ELNS1_3gpuE3ELNS1_3repE0EEENS1_38merge_mergepath_config_static_selectorELNS0_4arch9wavefront6targetE1EEEvSF_
	.globl	_ZN7rocprim17ROCPRIM_400000_NS6detail17trampoline_kernelINS0_14default_configENS1_38merge_sort_block_merge_config_selectorIhNS0_10empty_typeEEEZZNS1_27merge_sort_block_merge_implIS3_PhPS5_jNS1_19radix_merge_compareILb1ELb1EhNS0_19identity_decomposerEEEEE10hipError_tT0_T1_T2_jT3_P12ihipStream_tbPNSt15iterator_traitsISE_E10value_typeEPNSK_ISF_E10value_typeEPSG_NS1_7vsmem_tEENKUlT_SE_SF_SG_E_clIS8_S8_S9_S9_EESD_ST_SE_SF_SG_EUlST_E0_NS1_11comp_targetILNS1_3genE9ELNS1_11target_archE1100ELNS1_3gpuE3ELNS1_3repE0EEENS1_38merge_mergepath_config_static_selectorELNS0_4arch9wavefront6targetE1EEEvSF_
	.p2align	8
	.type	_ZN7rocprim17ROCPRIM_400000_NS6detail17trampoline_kernelINS0_14default_configENS1_38merge_sort_block_merge_config_selectorIhNS0_10empty_typeEEEZZNS1_27merge_sort_block_merge_implIS3_PhPS5_jNS1_19radix_merge_compareILb1ELb1EhNS0_19identity_decomposerEEEEE10hipError_tT0_T1_T2_jT3_P12ihipStream_tbPNSt15iterator_traitsISE_E10value_typeEPNSK_ISF_E10value_typeEPSG_NS1_7vsmem_tEENKUlT_SE_SF_SG_E_clIS8_S8_S9_S9_EESD_ST_SE_SF_SG_EUlST_E0_NS1_11comp_targetILNS1_3genE9ELNS1_11target_archE1100ELNS1_3gpuE3ELNS1_3repE0EEENS1_38merge_mergepath_config_static_selectorELNS0_4arch9wavefront6targetE1EEEvSF_,@function
_ZN7rocprim17ROCPRIM_400000_NS6detail17trampoline_kernelINS0_14default_configENS1_38merge_sort_block_merge_config_selectorIhNS0_10empty_typeEEEZZNS1_27merge_sort_block_merge_implIS3_PhPS5_jNS1_19radix_merge_compareILb1ELb1EhNS0_19identity_decomposerEEEEE10hipError_tT0_T1_T2_jT3_P12ihipStream_tbPNSt15iterator_traitsISE_E10value_typeEPNSK_ISF_E10value_typeEPSG_NS1_7vsmem_tEENKUlT_SE_SF_SG_E_clIS8_S8_S9_S9_EESD_ST_SE_SF_SG_EUlST_E0_NS1_11comp_targetILNS1_3genE9ELNS1_11target_archE1100ELNS1_3gpuE3ELNS1_3repE0EEENS1_38merge_mergepath_config_static_selectorELNS0_4arch9wavefront6targetE1EEEvSF_: ; @_ZN7rocprim17ROCPRIM_400000_NS6detail17trampoline_kernelINS0_14default_configENS1_38merge_sort_block_merge_config_selectorIhNS0_10empty_typeEEEZZNS1_27merge_sort_block_merge_implIS3_PhPS5_jNS1_19radix_merge_compareILb1ELb1EhNS0_19identity_decomposerEEEEE10hipError_tT0_T1_T2_jT3_P12ihipStream_tbPNSt15iterator_traitsISE_E10value_typeEPNSK_ISF_E10value_typeEPSG_NS1_7vsmem_tEENKUlT_SE_SF_SG_E_clIS8_S8_S9_S9_EESD_ST_SE_SF_SG_EUlST_E0_NS1_11comp_targetILNS1_3genE9ELNS1_11target_archE1100ELNS1_3gpuE3ELNS1_3repE0EEENS1_38merge_mergepath_config_static_selectorELNS0_4arch9wavefront6targetE1EEEvSF_
; %bb.0:
	.section	.rodata,"a",@progbits
	.p2align	6, 0x0
	.amdhsa_kernel _ZN7rocprim17ROCPRIM_400000_NS6detail17trampoline_kernelINS0_14default_configENS1_38merge_sort_block_merge_config_selectorIhNS0_10empty_typeEEEZZNS1_27merge_sort_block_merge_implIS3_PhPS5_jNS1_19radix_merge_compareILb1ELb1EhNS0_19identity_decomposerEEEEE10hipError_tT0_T1_T2_jT3_P12ihipStream_tbPNSt15iterator_traitsISE_E10value_typeEPNSK_ISF_E10value_typeEPSG_NS1_7vsmem_tEENKUlT_SE_SF_SG_E_clIS8_S8_S9_S9_EESD_ST_SE_SF_SG_EUlST_E0_NS1_11comp_targetILNS1_3genE9ELNS1_11target_archE1100ELNS1_3gpuE3ELNS1_3repE0EEENS1_38merge_mergepath_config_static_selectorELNS0_4arch9wavefront6targetE1EEEvSF_
		.amdhsa_group_segment_fixed_size 0
		.amdhsa_private_segment_fixed_size 0
		.amdhsa_kernarg_size 64
		.amdhsa_user_sgpr_count 6
		.amdhsa_user_sgpr_private_segment_buffer 1
		.amdhsa_user_sgpr_dispatch_ptr 0
		.amdhsa_user_sgpr_queue_ptr 0
		.amdhsa_user_sgpr_kernarg_segment_ptr 1
		.amdhsa_user_sgpr_dispatch_id 0
		.amdhsa_user_sgpr_flat_scratch_init 0
		.amdhsa_user_sgpr_kernarg_preload_length 0
		.amdhsa_user_sgpr_kernarg_preload_offset 0
		.amdhsa_user_sgpr_private_segment_size 0
		.amdhsa_uses_dynamic_stack 0
		.amdhsa_system_sgpr_private_segment_wavefront_offset 0
		.amdhsa_system_sgpr_workgroup_id_x 1
		.amdhsa_system_sgpr_workgroup_id_y 0
		.amdhsa_system_sgpr_workgroup_id_z 0
		.amdhsa_system_sgpr_workgroup_info 0
		.amdhsa_system_vgpr_workitem_id 0
		.amdhsa_next_free_vgpr 1
		.amdhsa_next_free_sgpr 0
		.amdhsa_accum_offset 4
		.amdhsa_reserve_vcc 0
		.amdhsa_reserve_flat_scratch 0
		.amdhsa_float_round_mode_32 0
		.amdhsa_float_round_mode_16_64 0
		.amdhsa_float_denorm_mode_32 3
		.amdhsa_float_denorm_mode_16_64 3
		.amdhsa_dx10_clamp 1
		.amdhsa_ieee_mode 1
		.amdhsa_fp16_overflow 0
		.amdhsa_tg_split 0
		.amdhsa_exception_fp_ieee_invalid_op 0
		.amdhsa_exception_fp_denorm_src 0
		.amdhsa_exception_fp_ieee_div_zero 0
		.amdhsa_exception_fp_ieee_overflow 0
		.amdhsa_exception_fp_ieee_underflow 0
		.amdhsa_exception_fp_ieee_inexact 0
		.amdhsa_exception_int_div_zero 0
	.end_amdhsa_kernel
	.section	.text._ZN7rocprim17ROCPRIM_400000_NS6detail17trampoline_kernelINS0_14default_configENS1_38merge_sort_block_merge_config_selectorIhNS0_10empty_typeEEEZZNS1_27merge_sort_block_merge_implIS3_PhPS5_jNS1_19radix_merge_compareILb1ELb1EhNS0_19identity_decomposerEEEEE10hipError_tT0_T1_T2_jT3_P12ihipStream_tbPNSt15iterator_traitsISE_E10value_typeEPNSK_ISF_E10value_typeEPSG_NS1_7vsmem_tEENKUlT_SE_SF_SG_E_clIS8_S8_S9_S9_EESD_ST_SE_SF_SG_EUlST_E0_NS1_11comp_targetILNS1_3genE9ELNS1_11target_archE1100ELNS1_3gpuE3ELNS1_3repE0EEENS1_38merge_mergepath_config_static_selectorELNS0_4arch9wavefront6targetE1EEEvSF_,"axG",@progbits,_ZN7rocprim17ROCPRIM_400000_NS6detail17trampoline_kernelINS0_14default_configENS1_38merge_sort_block_merge_config_selectorIhNS0_10empty_typeEEEZZNS1_27merge_sort_block_merge_implIS3_PhPS5_jNS1_19radix_merge_compareILb1ELb1EhNS0_19identity_decomposerEEEEE10hipError_tT0_T1_T2_jT3_P12ihipStream_tbPNSt15iterator_traitsISE_E10value_typeEPNSK_ISF_E10value_typeEPSG_NS1_7vsmem_tEENKUlT_SE_SF_SG_E_clIS8_S8_S9_S9_EESD_ST_SE_SF_SG_EUlST_E0_NS1_11comp_targetILNS1_3genE9ELNS1_11target_archE1100ELNS1_3gpuE3ELNS1_3repE0EEENS1_38merge_mergepath_config_static_selectorELNS0_4arch9wavefront6targetE1EEEvSF_,comdat
.Lfunc_end1705:
	.size	_ZN7rocprim17ROCPRIM_400000_NS6detail17trampoline_kernelINS0_14default_configENS1_38merge_sort_block_merge_config_selectorIhNS0_10empty_typeEEEZZNS1_27merge_sort_block_merge_implIS3_PhPS5_jNS1_19radix_merge_compareILb1ELb1EhNS0_19identity_decomposerEEEEE10hipError_tT0_T1_T2_jT3_P12ihipStream_tbPNSt15iterator_traitsISE_E10value_typeEPNSK_ISF_E10value_typeEPSG_NS1_7vsmem_tEENKUlT_SE_SF_SG_E_clIS8_S8_S9_S9_EESD_ST_SE_SF_SG_EUlST_E0_NS1_11comp_targetILNS1_3genE9ELNS1_11target_archE1100ELNS1_3gpuE3ELNS1_3repE0EEENS1_38merge_mergepath_config_static_selectorELNS0_4arch9wavefront6targetE1EEEvSF_, .Lfunc_end1705-_ZN7rocprim17ROCPRIM_400000_NS6detail17trampoline_kernelINS0_14default_configENS1_38merge_sort_block_merge_config_selectorIhNS0_10empty_typeEEEZZNS1_27merge_sort_block_merge_implIS3_PhPS5_jNS1_19radix_merge_compareILb1ELb1EhNS0_19identity_decomposerEEEEE10hipError_tT0_T1_T2_jT3_P12ihipStream_tbPNSt15iterator_traitsISE_E10value_typeEPNSK_ISF_E10value_typeEPSG_NS1_7vsmem_tEENKUlT_SE_SF_SG_E_clIS8_S8_S9_S9_EESD_ST_SE_SF_SG_EUlST_E0_NS1_11comp_targetILNS1_3genE9ELNS1_11target_archE1100ELNS1_3gpuE3ELNS1_3repE0EEENS1_38merge_mergepath_config_static_selectorELNS0_4arch9wavefront6targetE1EEEvSF_
                                        ; -- End function
	.section	.AMDGPU.csdata,"",@progbits
; Kernel info:
; codeLenInByte = 0
; NumSgprs: 4
; NumVgprs: 0
; NumAgprs: 0
; TotalNumVgprs: 0
; ScratchSize: 0
; MemoryBound: 0
; FloatMode: 240
; IeeeMode: 1
; LDSByteSize: 0 bytes/workgroup (compile time only)
; SGPRBlocks: 0
; VGPRBlocks: 0
; NumSGPRsForWavesPerEU: 4
; NumVGPRsForWavesPerEU: 1
; AccumOffset: 4
; Occupancy: 8
; WaveLimiterHint : 0
; COMPUTE_PGM_RSRC2:SCRATCH_EN: 0
; COMPUTE_PGM_RSRC2:USER_SGPR: 6
; COMPUTE_PGM_RSRC2:TRAP_HANDLER: 0
; COMPUTE_PGM_RSRC2:TGID_X_EN: 1
; COMPUTE_PGM_RSRC2:TGID_Y_EN: 0
; COMPUTE_PGM_RSRC2:TGID_Z_EN: 0
; COMPUTE_PGM_RSRC2:TIDIG_COMP_CNT: 0
; COMPUTE_PGM_RSRC3_GFX90A:ACCUM_OFFSET: 0
; COMPUTE_PGM_RSRC3_GFX90A:TG_SPLIT: 0
	.section	.text._ZN7rocprim17ROCPRIM_400000_NS6detail17trampoline_kernelINS0_14default_configENS1_38merge_sort_block_merge_config_selectorIhNS0_10empty_typeEEEZZNS1_27merge_sort_block_merge_implIS3_PhPS5_jNS1_19radix_merge_compareILb1ELb1EhNS0_19identity_decomposerEEEEE10hipError_tT0_T1_T2_jT3_P12ihipStream_tbPNSt15iterator_traitsISE_E10value_typeEPNSK_ISF_E10value_typeEPSG_NS1_7vsmem_tEENKUlT_SE_SF_SG_E_clIS8_S8_S9_S9_EESD_ST_SE_SF_SG_EUlST_E0_NS1_11comp_targetILNS1_3genE8ELNS1_11target_archE1030ELNS1_3gpuE2ELNS1_3repE0EEENS1_38merge_mergepath_config_static_selectorELNS0_4arch9wavefront6targetE1EEEvSF_,"axG",@progbits,_ZN7rocprim17ROCPRIM_400000_NS6detail17trampoline_kernelINS0_14default_configENS1_38merge_sort_block_merge_config_selectorIhNS0_10empty_typeEEEZZNS1_27merge_sort_block_merge_implIS3_PhPS5_jNS1_19radix_merge_compareILb1ELb1EhNS0_19identity_decomposerEEEEE10hipError_tT0_T1_T2_jT3_P12ihipStream_tbPNSt15iterator_traitsISE_E10value_typeEPNSK_ISF_E10value_typeEPSG_NS1_7vsmem_tEENKUlT_SE_SF_SG_E_clIS8_S8_S9_S9_EESD_ST_SE_SF_SG_EUlST_E0_NS1_11comp_targetILNS1_3genE8ELNS1_11target_archE1030ELNS1_3gpuE2ELNS1_3repE0EEENS1_38merge_mergepath_config_static_selectorELNS0_4arch9wavefront6targetE1EEEvSF_,comdat
	.protected	_ZN7rocprim17ROCPRIM_400000_NS6detail17trampoline_kernelINS0_14default_configENS1_38merge_sort_block_merge_config_selectorIhNS0_10empty_typeEEEZZNS1_27merge_sort_block_merge_implIS3_PhPS5_jNS1_19radix_merge_compareILb1ELb1EhNS0_19identity_decomposerEEEEE10hipError_tT0_T1_T2_jT3_P12ihipStream_tbPNSt15iterator_traitsISE_E10value_typeEPNSK_ISF_E10value_typeEPSG_NS1_7vsmem_tEENKUlT_SE_SF_SG_E_clIS8_S8_S9_S9_EESD_ST_SE_SF_SG_EUlST_E0_NS1_11comp_targetILNS1_3genE8ELNS1_11target_archE1030ELNS1_3gpuE2ELNS1_3repE0EEENS1_38merge_mergepath_config_static_selectorELNS0_4arch9wavefront6targetE1EEEvSF_ ; -- Begin function _ZN7rocprim17ROCPRIM_400000_NS6detail17trampoline_kernelINS0_14default_configENS1_38merge_sort_block_merge_config_selectorIhNS0_10empty_typeEEEZZNS1_27merge_sort_block_merge_implIS3_PhPS5_jNS1_19radix_merge_compareILb1ELb1EhNS0_19identity_decomposerEEEEE10hipError_tT0_T1_T2_jT3_P12ihipStream_tbPNSt15iterator_traitsISE_E10value_typeEPNSK_ISF_E10value_typeEPSG_NS1_7vsmem_tEENKUlT_SE_SF_SG_E_clIS8_S8_S9_S9_EESD_ST_SE_SF_SG_EUlST_E0_NS1_11comp_targetILNS1_3genE8ELNS1_11target_archE1030ELNS1_3gpuE2ELNS1_3repE0EEENS1_38merge_mergepath_config_static_selectorELNS0_4arch9wavefront6targetE1EEEvSF_
	.globl	_ZN7rocprim17ROCPRIM_400000_NS6detail17trampoline_kernelINS0_14default_configENS1_38merge_sort_block_merge_config_selectorIhNS0_10empty_typeEEEZZNS1_27merge_sort_block_merge_implIS3_PhPS5_jNS1_19radix_merge_compareILb1ELb1EhNS0_19identity_decomposerEEEEE10hipError_tT0_T1_T2_jT3_P12ihipStream_tbPNSt15iterator_traitsISE_E10value_typeEPNSK_ISF_E10value_typeEPSG_NS1_7vsmem_tEENKUlT_SE_SF_SG_E_clIS8_S8_S9_S9_EESD_ST_SE_SF_SG_EUlST_E0_NS1_11comp_targetILNS1_3genE8ELNS1_11target_archE1030ELNS1_3gpuE2ELNS1_3repE0EEENS1_38merge_mergepath_config_static_selectorELNS0_4arch9wavefront6targetE1EEEvSF_
	.p2align	8
	.type	_ZN7rocprim17ROCPRIM_400000_NS6detail17trampoline_kernelINS0_14default_configENS1_38merge_sort_block_merge_config_selectorIhNS0_10empty_typeEEEZZNS1_27merge_sort_block_merge_implIS3_PhPS5_jNS1_19radix_merge_compareILb1ELb1EhNS0_19identity_decomposerEEEEE10hipError_tT0_T1_T2_jT3_P12ihipStream_tbPNSt15iterator_traitsISE_E10value_typeEPNSK_ISF_E10value_typeEPSG_NS1_7vsmem_tEENKUlT_SE_SF_SG_E_clIS8_S8_S9_S9_EESD_ST_SE_SF_SG_EUlST_E0_NS1_11comp_targetILNS1_3genE8ELNS1_11target_archE1030ELNS1_3gpuE2ELNS1_3repE0EEENS1_38merge_mergepath_config_static_selectorELNS0_4arch9wavefront6targetE1EEEvSF_,@function
_ZN7rocprim17ROCPRIM_400000_NS6detail17trampoline_kernelINS0_14default_configENS1_38merge_sort_block_merge_config_selectorIhNS0_10empty_typeEEEZZNS1_27merge_sort_block_merge_implIS3_PhPS5_jNS1_19radix_merge_compareILb1ELb1EhNS0_19identity_decomposerEEEEE10hipError_tT0_T1_T2_jT3_P12ihipStream_tbPNSt15iterator_traitsISE_E10value_typeEPNSK_ISF_E10value_typeEPSG_NS1_7vsmem_tEENKUlT_SE_SF_SG_E_clIS8_S8_S9_S9_EESD_ST_SE_SF_SG_EUlST_E0_NS1_11comp_targetILNS1_3genE8ELNS1_11target_archE1030ELNS1_3gpuE2ELNS1_3repE0EEENS1_38merge_mergepath_config_static_selectorELNS0_4arch9wavefront6targetE1EEEvSF_: ; @_ZN7rocprim17ROCPRIM_400000_NS6detail17trampoline_kernelINS0_14default_configENS1_38merge_sort_block_merge_config_selectorIhNS0_10empty_typeEEEZZNS1_27merge_sort_block_merge_implIS3_PhPS5_jNS1_19radix_merge_compareILb1ELb1EhNS0_19identity_decomposerEEEEE10hipError_tT0_T1_T2_jT3_P12ihipStream_tbPNSt15iterator_traitsISE_E10value_typeEPNSK_ISF_E10value_typeEPSG_NS1_7vsmem_tEENKUlT_SE_SF_SG_E_clIS8_S8_S9_S9_EESD_ST_SE_SF_SG_EUlST_E0_NS1_11comp_targetILNS1_3genE8ELNS1_11target_archE1030ELNS1_3gpuE2ELNS1_3repE0EEENS1_38merge_mergepath_config_static_selectorELNS0_4arch9wavefront6targetE1EEEvSF_
; %bb.0:
	.section	.rodata,"a",@progbits
	.p2align	6, 0x0
	.amdhsa_kernel _ZN7rocprim17ROCPRIM_400000_NS6detail17trampoline_kernelINS0_14default_configENS1_38merge_sort_block_merge_config_selectorIhNS0_10empty_typeEEEZZNS1_27merge_sort_block_merge_implIS3_PhPS5_jNS1_19radix_merge_compareILb1ELb1EhNS0_19identity_decomposerEEEEE10hipError_tT0_T1_T2_jT3_P12ihipStream_tbPNSt15iterator_traitsISE_E10value_typeEPNSK_ISF_E10value_typeEPSG_NS1_7vsmem_tEENKUlT_SE_SF_SG_E_clIS8_S8_S9_S9_EESD_ST_SE_SF_SG_EUlST_E0_NS1_11comp_targetILNS1_3genE8ELNS1_11target_archE1030ELNS1_3gpuE2ELNS1_3repE0EEENS1_38merge_mergepath_config_static_selectorELNS0_4arch9wavefront6targetE1EEEvSF_
		.amdhsa_group_segment_fixed_size 0
		.amdhsa_private_segment_fixed_size 0
		.amdhsa_kernarg_size 64
		.amdhsa_user_sgpr_count 6
		.amdhsa_user_sgpr_private_segment_buffer 1
		.amdhsa_user_sgpr_dispatch_ptr 0
		.amdhsa_user_sgpr_queue_ptr 0
		.amdhsa_user_sgpr_kernarg_segment_ptr 1
		.amdhsa_user_sgpr_dispatch_id 0
		.amdhsa_user_sgpr_flat_scratch_init 0
		.amdhsa_user_sgpr_kernarg_preload_length 0
		.amdhsa_user_sgpr_kernarg_preload_offset 0
		.amdhsa_user_sgpr_private_segment_size 0
		.amdhsa_uses_dynamic_stack 0
		.amdhsa_system_sgpr_private_segment_wavefront_offset 0
		.amdhsa_system_sgpr_workgroup_id_x 1
		.amdhsa_system_sgpr_workgroup_id_y 0
		.amdhsa_system_sgpr_workgroup_id_z 0
		.amdhsa_system_sgpr_workgroup_info 0
		.amdhsa_system_vgpr_workitem_id 0
		.amdhsa_next_free_vgpr 1
		.amdhsa_next_free_sgpr 0
		.amdhsa_accum_offset 4
		.amdhsa_reserve_vcc 0
		.amdhsa_reserve_flat_scratch 0
		.amdhsa_float_round_mode_32 0
		.amdhsa_float_round_mode_16_64 0
		.amdhsa_float_denorm_mode_32 3
		.amdhsa_float_denorm_mode_16_64 3
		.amdhsa_dx10_clamp 1
		.amdhsa_ieee_mode 1
		.amdhsa_fp16_overflow 0
		.amdhsa_tg_split 0
		.amdhsa_exception_fp_ieee_invalid_op 0
		.amdhsa_exception_fp_denorm_src 0
		.amdhsa_exception_fp_ieee_div_zero 0
		.amdhsa_exception_fp_ieee_overflow 0
		.amdhsa_exception_fp_ieee_underflow 0
		.amdhsa_exception_fp_ieee_inexact 0
		.amdhsa_exception_int_div_zero 0
	.end_amdhsa_kernel
	.section	.text._ZN7rocprim17ROCPRIM_400000_NS6detail17trampoline_kernelINS0_14default_configENS1_38merge_sort_block_merge_config_selectorIhNS0_10empty_typeEEEZZNS1_27merge_sort_block_merge_implIS3_PhPS5_jNS1_19radix_merge_compareILb1ELb1EhNS0_19identity_decomposerEEEEE10hipError_tT0_T1_T2_jT3_P12ihipStream_tbPNSt15iterator_traitsISE_E10value_typeEPNSK_ISF_E10value_typeEPSG_NS1_7vsmem_tEENKUlT_SE_SF_SG_E_clIS8_S8_S9_S9_EESD_ST_SE_SF_SG_EUlST_E0_NS1_11comp_targetILNS1_3genE8ELNS1_11target_archE1030ELNS1_3gpuE2ELNS1_3repE0EEENS1_38merge_mergepath_config_static_selectorELNS0_4arch9wavefront6targetE1EEEvSF_,"axG",@progbits,_ZN7rocprim17ROCPRIM_400000_NS6detail17trampoline_kernelINS0_14default_configENS1_38merge_sort_block_merge_config_selectorIhNS0_10empty_typeEEEZZNS1_27merge_sort_block_merge_implIS3_PhPS5_jNS1_19radix_merge_compareILb1ELb1EhNS0_19identity_decomposerEEEEE10hipError_tT0_T1_T2_jT3_P12ihipStream_tbPNSt15iterator_traitsISE_E10value_typeEPNSK_ISF_E10value_typeEPSG_NS1_7vsmem_tEENKUlT_SE_SF_SG_E_clIS8_S8_S9_S9_EESD_ST_SE_SF_SG_EUlST_E0_NS1_11comp_targetILNS1_3genE8ELNS1_11target_archE1030ELNS1_3gpuE2ELNS1_3repE0EEENS1_38merge_mergepath_config_static_selectorELNS0_4arch9wavefront6targetE1EEEvSF_,comdat
.Lfunc_end1706:
	.size	_ZN7rocprim17ROCPRIM_400000_NS6detail17trampoline_kernelINS0_14default_configENS1_38merge_sort_block_merge_config_selectorIhNS0_10empty_typeEEEZZNS1_27merge_sort_block_merge_implIS3_PhPS5_jNS1_19radix_merge_compareILb1ELb1EhNS0_19identity_decomposerEEEEE10hipError_tT0_T1_T2_jT3_P12ihipStream_tbPNSt15iterator_traitsISE_E10value_typeEPNSK_ISF_E10value_typeEPSG_NS1_7vsmem_tEENKUlT_SE_SF_SG_E_clIS8_S8_S9_S9_EESD_ST_SE_SF_SG_EUlST_E0_NS1_11comp_targetILNS1_3genE8ELNS1_11target_archE1030ELNS1_3gpuE2ELNS1_3repE0EEENS1_38merge_mergepath_config_static_selectorELNS0_4arch9wavefront6targetE1EEEvSF_, .Lfunc_end1706-_ZN7rocprim17ROCPRIM_400000_NS6detail17trampoline_kernelINS0_14default_configENS1_38merge_sort_block_merge_config_selectorIhNS0_10empty_typeEEEZZNS1_27merge_sort_block_merge_implIS3_PhPS5_jNS1_19radix_merge_compareILb1ELb1EhNS0_19identity_decomposerEEEEE10hipError_tT0_T1_T2_jT3_P12ihipStream_tbPNSt15iterator_traitsISE_E10value_typeEPNSK_ISF_E10value_typeEPSG_NS1_7vsmem_tEENKUlT_SE_SF_SG_E_clIS8_S8_S9_S9_EESD_ST_SE_SF_SG_EUlST_E0_NS1_11comp_targetILNS1_3genE8ELNS1_11target_archE1030ELNS1_3gpuE2ELNS1_3repE0EEENS1_38merge_mergepath_config_static_selectorELNS0_4arch9wavefront6targetE1EEEvSF_
                                        ; -- End function
	.section	.AMDGPU.csdata,"",@progbits
; Kernel info:
; codeLenInByte = 0
; NumSgprs: 4
; NumVgprs: 0
; NumAgprs: 0
; TotalNumVgprs: 0
; ScratchSize: 0
; MemoryBound: 0
; FloatMode: 240
; IeeeMode: 1
; LDSByteSize: 0 bytes/workgroup (compile time only)
; SGPRBlocks: 0
; VGPRBlocks: 0
; NumSGPRsForWavesPerEU: 4
; NumVGPRsForWavesPerEU: 1
; AccumOffset: 4
; Occupancy: 8
; WaveLimiterHint : 0
; COMPUTE_PGM_RSRC2:SCRATCH_EN: 0
; COMPUTE_PGM_RSRC2:USER_SGPR: 6
; COMPUTE_PGM_RSRC2:TRAP_HANDLER: 0
; COMPUTE_PGM_RSRC2:TGID_X_EN: 1
; COMPUTE_PGM_RSRC2:TGID_Y_EN: 0
; COMPUTE_PGM_RSRC2:TGID_Z_EN: 0
; COMPUTE_PGM_RSRC2:TIDIG_COMP_CNT: 0
; COMPUTE_PGM_RSRC3_GFX90A:ACCUM_OFFSET: 0
; COMPUTE_PGM_RSRC3_GFX90A:TG_SPLIT: 0
	.section	.text._ZN7rocprim17ROCPRIM_400000_NS6detail17trampoline_kernelINS0_14default_configENS1_38merge_sort_block_merge_config_selectorIhNS0_10empty_typeEEEZZNS1_27merge_sort_block_merge_implIS3_PhPS5_jNS1_19radix_merge_compareILb1ELb1EhNS0_19identity_decomposerEEEEE10hipError_tT0_T1_T2_jT3_P12ihipStream_tbPNSt15iterator_traitsISE_E10value_typeEPNSK_ISF_E10value_typeEPSG_NS1_7vsmem_tEENKUlT_SE_SF_SG_E_clIS8_S8_S9_S9_EESD_ST_SE_SF_SG_EUlST_E1_NS1_11comp_targetILNS1_3genE0ELNS1_11target_archE4294967295ELNS1_3gpuE0ELNS1_3repE0EEENS1_36merge_oddeven_config_static_selectorELNS0_4arch9wavefront6targetE1EEEvSF_,"axG",@progbits,_ZN7rocprim17ROCPRIM_400000_NS6detail17trampoline_kernelINS0_14default_configENS1_38merge_sort_block_merge_config_selectorIhNS0_10empty_typeEEEZZNS1_27merge_sort_block_merge_implIS3_PhPS5_jNS1_19radix_merge_compareILb1ELb1EhNS0_19identity_decomposerEEEEE10hipError_tT0_T1_T2_jT3_P12ihipStream_tbPNSt15iterator_traitsISE_E10value_typeEPNSK_ISF_E10value_typeEPSG_NS1_7vsmem_tEENKUlT_SE_SF_SG_E_clIS8_S8_S9_S9_EESD_ST_SE_SF_SG_EUlST_E1_NS1_11comp_targetILNS1_3genE0ELNS1_11target_archE4294967295ELNS1_3gpuE0ELNS1_3repE0EEENS1_36merge_oddeven_config_static_selectorELNS0_4arch9wavefront6targetE1EEEvSF_,comdat
	.protected	_ZN7rocprim17ROCPRIM_400000_NS6detail17trampoline_kernelINS0_14default_configENS1_38merge_sort_block_merge_config_selectorIhNS0_10empty_typeEEEZZNS1_27merge_sort_block_merge_implIS3_PhPS5_jNS1_19radix_merge_compareILb1ELb1EhNS0_19identity_decomposerEEEEE10hipError_tT0_T1_T2_jT3_P12ihipStream_tbPNSt15iterator_traitsISE_E10value_typeEPNSK_ISF_E10value_typeEPSG_NS1_7vsmem_tEENKUlT_SE_SF_SG_E_clIS8_S8_S9_S9_EESD_ST_SE_SF_SG_EUlST_E1_NS1_11comp_targetILNS1_3genE0ELNS1_11target_archE4294967295ELNS1_3gpuE0ELNS1_3repE0EEENS1_36merge_oddeven_config_static_selectorELNS0_4arch9wavefront6targetE1EEEvSF_ ; -- Begin function _ZN7rocprim17ROCPRIM_400000_NS6detail17trampoline_kernelINS0_14default_configENS1_38merge_sort_block_merge_config_selectorIhNS0_10empty_typeEEEZZNS1_27merge_sort_block_merge_implIS3_PhPS5_jNS1_19radix_merge_compareILb1ELb1EhNS0_19identity_decomposerEEEEE10hipError_tT0_T1_T2_jT3_P12ihipStream_tbPNSt15iterator_traitsISE_E10value_typeEPNSK_ISF_E10value_typeEPSG_NS1_7vsmem_tEENKUlT_SE_SF_SG_E_clIS8_S8_S9_S9_EESD_ST_SE_SF_SG_EUlST_E1_NS1_11comp_targetILNS1_3genE0ELNS1_11target_archE4294967295ELNS1_3gpuE0ELNS1_3repE0EEENS1_36merge_oddeven_config_static_selectorELNS0_4arch9wavefront6targetE1EEEvSF_
	.globl	_ZN7rocprim17ROCPRIM_400000_NS6detail17trampoline_kernelINS0_14default_configENS1_38merge_sort_block_merge_config_selectorIhNS0_10empty_typeEEEZZNS1_27merge_sort_block_merge_implIS3_PhPS5_jNS1_19radix_merge_compareILb1ELb1EhNS0_19identity_decomposerEEEEE10hipError_tT0_T1_T2_jT3_P12ihipStream_tbPNSt15iterator_traitsISE_E10value_typeEPNSK_ISF_E10value_typeEPSG_NS1_7vsmem_tEENKUlT_SE_SF_SG_E_clIS8_S8_S9_S9_EESD_ST_SE_SF_SG_EUlST_E1_NS1_11comp_targetILNS1_3genE0ELNS1_11target_archE4294967295ELNS1_3gpuE0ELNS1_3repE0EEENS1_36merge_oddeven_config_static_selectorELNS0_4arch9wavefront6targetE1EEEvSF_
	.p2align	8
	.type	_ZN7rocprim17ROCPRIM_400000_NS6detail17trampoline_kernelINS0_14default_configENS1_38merge_sort_block_merge_config_selectorIhNS0_10empty_typeEEEZZNS1_27merge_sort_block_merge_implIS3_PhPS5_jNS1_19radix_merge_compareILb1ELb1EhNS0_19identity_decomposerEEEEE10hipError_tT0_T1_T2_jT3_P12ihipStream_tbPNSt15iterator_traitsISE_E10value_typeEPNSK_ISF_E10value_typeEPSG_NS1_7vsmem_tEENKUlT_SE_SF_SG_E_clIS8_S8_S9_S9_EESD_ST_SE_SF_SG_EUlST_E1_NS1_11comp_targetILNS1_3genE0ELNS1_11target_archE4294967295ELNS1_3gpuE0ELNS1_3repE0EEENS1_36merge_oddeven_config_static_selectorELNS0_4arch9wavefront6targetE1EEEvSF_,@function
_ZN7rocprim17ROCPRIM_400000_NS6detail17trampoline_kernelINS0_14default_configENS1_38merge_sort_block_merge_config_selectorIhNS0_10empty_typeEEEZZNS1_27merge_sort_block_merge_implIS3_PhPS5_jNS1_19radix_merge_compareILb1ELb1EhNS0_19identity_decomposerEEEEE10hipError_tT0_T1_T2_jT3_P12ihipStream_tbPNSt15iterator_traitsISE_E10value_typeEPNSK_ISF_E10value_typeEPSG_NS1_7vsmem_tEENKUlT_SE_SF_SG_E_clIS8_S8_S9_S9_EESD_ST_SE_SF_SG_EUlST_E1_NS1_11comp_targetILNS1_3genE0ELNS1_11target_archE4294967295ELNS1_3gpuE0ELNS1_3repE0EEENS1_36merge_oddeven_config_static_selectorELNS0_4arch9wavefront6targetE1EEEvSF_: ; @_ZN7rocprim17ROCPRIM_400000_NS6detail17trampoline_kernelINS0_14default_configENS1_38merge_sort_block_merge_config_selectorIhNS0_10empty_typeEEEZZNS1_27merge_sort_block_merge_implIS3_PhPS5_jNS1_19radix_merge_compareILb1ELb1EhNS0_19identity_decomposerEEEEE10hipError_tT0_T1_T2_jT3_P12ihipStream_tbPNSt15iterator_traitsISE_E10value_typeEPNSK_ISF_E10value_typeEPSG_NS1_7vsmem_tEENKUlT_SE_SF_SG_E_clIS8_S8_S9_S9_EESD_ST_SE_SF_SG_EUlST_E1_NS1_11comp_targetILNS1_3genE0ELNS1_11target_archE4294967295ELNS1_3gpuE0ELNS1_3repE0EEENS1_36merge_oddeven_config_static_selectorELNS0_4arch9wavefront6targetE1EEEvSF_
; %bb.0:
	.section	.rodata,"a",@progbits
	.p2align	6, 0x0
	.amdhsa_kernel _ZN7rocprim17ROCPRIM_400000_NS6detail17trampoline_kernelINS0_14default_configENS1_38merge_sort_block_merge_config_selectorIhNS0_10empty_typeEEEZZNS1_27merge_sort_block_merge_implIS3_PhPS5_jNS1_19radix_merge_compareILb1ELb1EhNS0_19identity_decomposerEEEEE10hipError_tT0_T1_T2_jT3_P12ihipStream_tbPNSt15iterator_traitsISE_E10value_typeEPNSK_ISF_E10value_typeEPSG_NS1_7vsmem_tEENKUlT_SE_SF_SG_E_clIS8_S8_S9_S9_EESD_ST_SE_SF_SG_EUlST_E1_NS1_11comp_targetILNS1_3genE0ELNS1_11target_archE4294967295ELNS1_3gpuE0ELNS1_3repE0EEENS1_36merge_oddeven_config_static_selectorELNS0_4arch9wavefront6targetE1EEEvSF_
		.amdhsa_group_segment_fixed_size 0
		.amdhsa_private_segment_fixed_size 0
		.amdhsa_kernarg_size 48
		.amdhsa_user_sgpr_count 6
		.amdhsa_user_sgpr_private_segment_buffer 1
		.amdhsa_user_sgpr_dispatch_ptr 0
		.amdhsa_user_sgpr_queue_ptr 0
		.amdhsa_user_sgpr_kernarg_segment_ptr 1
		.amdhsa_user_sgpr_dispatch_id 0
		.amdhsa_user_sgpr_flat_scratch_init 0
		.amdhsa_user_sgpr_kernarg_preload_length 0
		.amdhsa_user_sgpr_kernarg_preload_offset 0
		.amdhsa_user_sgpr_private_segment_size 0
		.amdhsa_uses_dynamic_stack 0
		.amdhsa_system_sgpr_private_segment_wavefront_offset 0
		.amdhsa_system_sgpr_workgroup_id_x 1
		.amdhsa_system_sgpr_workgroup_id_y 0
		.amdhsa_system_sgpr_workgroup_id_z 0
		.amdhsa_system_sgpr_workgroup_info 0
		.amdhsa_system_vgpr_workitem_id 0
		.amdhsa_next_free_vgpr 1
		.amdhsa_next_free_sgpr 0
		.amdhsa_accum_offset 4
		.amdhsa_reserve_vcc 0
		.amdhsa_reserve_flat_scratch 0
		.amdhsa_float_round_mode_32 0
		.amdhsa_float_round_mode_16_64 0
		.amdhsa_float_denorm_mode_32 3
		.amdhsa_float_denorm_mode_16_64 3
		.amdhsa_dx10_clamp 1
		.amdhsa_ieee_mode 1
		.amdhsa_fp16_overflow 0
		.amdhsa_tg_split 0
		.amdhsa_exception_fp_ieee_invalid_op 0
		.amdhsa_exception_fp_denorm_src 0
		.amdhsa_exception_fp_ieee_div_zero 0
		.amdhsa_exception_fp_ieee_overflow 0
		.amdhsa_exception_fp_ieee_underflow 0
		.amdhsa_exception_fp_ieee_inexact 0
		.amdhsa_exception_int_div_zero 0
	.end_amdhsa_kernel
	.section	.text._ZN7rocprim17ROCPRIM_400000_NS6detail17trampoline_kernelINS0_14default_configENS1_38merge_sort_block_merge_config_selectorIhNS0_10empty_typeEEEZZNS1_27merge_sort_block_merge_implIS3_PhPS5_jNS1_19radix_merge_compareILb1ELb1EhNS0_19identity_decomposerEEEEE10hipError_tT0_T1_T2_jT3_P12ihipStream_tbPNSt15iterator_traitsISE_E10value_typeEPNSK_ISF_E10value_typeEPSG_NS1_7vsmem_tEENKUlT_SE_SF_SG_E_clIS8_S8_S9_S9_EESD_ST_SE_SF_SG_EUlST_E1_NS1_11comp_targetILNS1_3genE0ELNS1_11target_archE4294967295ELNS1_3gpuE0ELNS1_3repE0EEENS1_36merge_oddeven_config_static_selectorELNS0_4arch9wavefront6targetE1EEEvSF_,"axG",@progbits,_ZN7rocprim17ROCPRIM_400000_NS6detail17trampoline_kernelINS0_14default_configENS1_38merge_sort_block_merge_config_selectorIhNS0_10empty_typeEEEZZNS1_27merge_sort_block_merge_implIS3_PhPS5_jNS1_19radix_merge_compareILb1ELb1EhNS0_19identity_decomposerEEEEE10hipError_tT0_T1_T2_jT3_P12ihipStream_tbPNSt15iterator_traitsISE_E10value_typeEPNSK_ISF_E10value_typeEPSG_NS1_7vsmem_tEENKUlT_SE_SF_SG_E_clIS8_S8_S9_S9_EESD_ST_SE_SF_SG_EUlST_E1_NS1_11comp_targetILNS1_3genE0ELNS1_11target_archE4294967295ELNS1_3gpuE0ELNS1_3repE0EEENS1_36merge_oddeven_config_static_selectorELNS0_4arch9wavefront6targetE1EEEvSF_,comdat
.Lfunc_end1707:
	.size	_ZN7rocprim17ROCPRIM_400000_NS6detail17trampoline_kernelINS0_14default_configENS1_38merge_sort_block_merge_config_selectorIhNS0_10empty_typeEEEZZNS1_27merge_sort_block_merge_implIS3_PhPS5_jNS1_19radix_merge_compareILb1ELb1EhNS0_19identity_decomposerEEEEE10hipError_tT0_T1_T2_jT3_P12ihipStream_tbPNSt15iterator_traitsISE_E10value_typeEPNSK_ISF_E10value_typeEPSG_NS1_7vsmem_tEENKUlT_SE_SF_SG_E_clIS8_S8_S9_S9_EESD_ST_SE_SF_SG_EUlST_E1_NS1_11comp_targetILNS1_3genE0ELNS1_11target_archE4294967295ELNS1_3gpuE0ELNS1_3repE0EEENS1_36merge_oddeven_config_static_selectorELNS0_4arch9wavefront6targetE1EEEvSF_, .Lfunc_end1707-_ZN7rocprim17ROCPRIM_400000_NS6detail17trampoline_kernelINS0_14default_configENS1_38merge_sort_block_merge_config_selectorIhNS0_10empty_typeEEEZZNS1_27merge_sort_block_merge_implIS3_PhPS5_jNS1_19radix_merge_compareILb1ELb1EhNS0_19identity_decomposerEEEEE10hipError_tT0_T1_T2_jT3_P12ihipStream_tbPNSt15iterator_traitsISE_E10value_typeEPNSK_ISF_E10value_typeEPSG_NS1_7vsmem_tEENKUlT_SE_SF_SG_E_clIS8_S8_S9_S9_EESD_ST_SE_SF_SG_EUlST_E1_NS1_11comp_targetILNS1_3genE0ELNS1_11target_archE4294967295ELNS1_3gpuE0ELNS1_3repE0EEENS1_36merge_oddeven_config_static_selectorELNS0_4arch9wavefront6targetE1EEEvSF_
                                        ; -- End function
	.section	.AMDGPU.csdata,"",@progbits
; Kernel info:
; codeLenInByte = 0
; NumSgprs: 4
; NumVgprs: 0
; NumAgprs: 0
; TotalNumVgprs: 0
; ScratchSize: 0
; MemoryBound: 0
; FloatMode: 240
; IeeeMode: 1
; LDSByteSize: 0 bytes/workgroup (compile time only)
; SGPRBlocks: 0
; VGPRBlocks: 0
; NumSGPRsForWavesPerEU: 4
; NumVGPRsForWavesPerEU: 1
; AccumOffset: 4
; Occupancy: 8
; WaveLimiterHint : 0
; COMPUTE_PGM_RSRC2:SCRATCH_EN: 0
; COMPUTE_PGM_RSRC2:USER_SGPR: 6
; COMPUTE_PGM_RSRC2:TRAP_HANDLER: 0
; COMPUTE_PGM_RSRC2:TGID_X_EN: 1
; COMPUTE_PGM_RSRC2:TGID_Y_EN: 0
; COMPUTE_PGM_RSRC2:TGID_Z_EN: 0
; COMPUTE_PGM_RSRC2:TIDIG_COMP_CNT: 0
; COMPUTE_PGM_RSRC3_GFX90A:ACCUM_OFFSET: 0
; COMPUTE_PGM_RSRC3_GFX90A:TG_SPLIT: 0
	.section	.text._ZN7rocprim17ROCPRIM_400000_NS6detail17trampoline_kernelINS0_14default_configENS1_38merge_sort_block_merge_config_selectorIhNS0_10empty_typeEEEZZNS1_27merge_sort_block_merge_implIS3_PhPS5_jNS1_19radix_merge_compareILb1ELb1EhNS0_19identity_decomposerEEEEE10hipError_tT0_T1_T2_jT3_P12ihipStream_tbPNSt15iterator_traitsISE_E10value_typeEPNSK_ISF_E10value_typeEPSG_NS1_7vsmem_tEENKUlT_SE_SF_SG_E_clIS8_S8_S9_S9_EESD_ST_SE_SF_SG_EUlST_E1_NS1_11comp_targetILNS1_3genE10ELNS1_11target_archE1201ELNS1_3gpuE5ELNS1_3repE0EEENS1_36merge_oddeven_config_static_selectorELNS0_4arch9wavefront6targetE1EEEvSF_,"axG",@progbits,_ZN7rocprim17ROCPRIM_400000_NS6detail17trampoline_kernelINS0_14default_configENS1_38merge_sort_block_merge_config_selectorIhNS0_10empty_typeEEEZZNS1_27merge_sort_block_merge_implIS3_PhPS5_jNS1_19radix_merge_compareILb1ELb1EhNS0_19identity_decomposerEEEEE10hipError_tT0_T1_T2_jT3_P12ihipStream_tbPNSt15iterator_traitsISE_E10value_typeEPNSK_ISF_E10value_typeEPSG_NS1_7vsmem_tEENKUlT_SE_SF_SG_E_clIS8_S8_S9_S9_EESD_ST_SE_SF_SG_EUlST_E1_NS1_11comp_targetILNS1_3genE10ELNS1_11target_archE1201ELNS1_3gpuE5ELNS1_3repE0EEENS1_36merge_oddeven_config_static_selectorELNS0_4arch9wavefront6targetE1EEEvSF_,comdat
	.protected	_ZN7rocprim17ROCPRIM_400000_NS6detail17trampoline_kernelINS0_14default_configENS1_38merge_sort_block_merge_config_selectorIhNS0_10empty_typeEEEZZNS1_27merge_sort_block_merge_implIS3_PhPS5_jNS1_19radix_merge_compareILb1ELb1EhNS0_19identity_decomposerEEEEE10hipError_tT0_T1_T2_jT3_P12ihipStream_tbPNSt15iterator_traitsISE_E10value_typeEPNSK_ISF_E10value_typeEPSG_NS1_7vsmem_tEENKUlT_SE_SF_SG_E_clIS8_S8_S9_S9_EESD_ST_SE_SF_SG_EUlST_E1_NS1_11comp_targetILNS1_3genE10ELNS1_11target_archE1201ELNS1_3gpuE5ELNS1_3repE0EEENS1_36merge_oddeven_config_static_selectorELNS0_4arch9wavefront6targetE1EEEvSF_ ; -- Begin function _ZN7rocprim17ROCPRIM_400000_NS6detail17trampoline_kernelINS0_14default_configENS1_38merge_sort_block_merge_config_selectorIhNS0_10empty_typeEEEZZNS1_27merge_sort_block_merge_implIS3_PhPS5_jNS1_19radix_merge_compareILb1ELb1EhNS0_19identity_decomposerEEEEE10hipError_tT0_T1_T2_jT3_P12ihipStream_tbPNSt15iterator_traitsISE_E10value_typeEPNSK_ISF_E10value_typeEPSG_NS1_7vsmem_tEENKUlT_SE_SF_SG_E_clIS8_S8_S9_S9_EESD_ST_SE_SF_SG_EUlST_E1_NS1_11comp_targetILNS1_3genE10ELNS1_11target_archE1201ELNS1_3gpuE5ELNS1_3repE0EEENS1_36merge_oddeven_config_static_selectorELNS0_4arch9wavefront6targetE1EEEvSF_
	.globl	_ZN7rocprim17ROCPRIM_400000_NS6detail17trampoline_kernelINS0_14default_configENS1_38merge_sort_block_merge_config_selectorIhNS0_10empty_typeEEEZZNS1_27merge_sort_block_merge_implIS3_PhPS5_jNS1_19radix_merge_compareILb1ELb1EhNS0_19identity_decomposerEEEEE10hipError_tT0_T1_T2_jT3_P12ihipStream_tbPNSt15iterator_traitsISE_E10value_typeEPNSK_ISF_E10value_typeEPSG_NS1_7vsmem_tEENKUlT_SE_SF_SG_E_clIS8_S8_S9_S9_EESD_ST_SE_SF_SG_EUlST_E1_NS1_11comp_targetILNS1_3genE10ELNS1_11target_archE1201ELNS1_3gpuE5ELNS1_3repE0EEENS1_36merge_oddeven_config_static_selectorELNS0_4arch9wavefront6targetE1EEEvSF_
	.p2align	8
	.type	_ZN7rocprim17ROCPRIM_400000_NS6detail17trampoline_kernelINS0_14default_configENS1_38merge_sort_block_merge_config_selectorIhNS0_10empty_typeEEEZZNS1_27merge_sort_block_merge_implIS3_PhPS5_jNS1_19radix_merge_compareILb1ELb1EhNS0_19identity_decomposerEEEEE10hipError_tT0_T1_T2_jT3_P12ihipStream_tbPNSt15iterator_traitsISE_E10value_typeEPNSK_ISF_E10value_typeEPSG_NS1_7vsmem_tEENKUlT_SE_SF_SG_E_clIS8_S8_S9_S9_EESD_ST_SE_SF_SG_EUlST_E1_NS1_11comp_targetILNS1_3genE10ELNS1_11target_archE1201ELNS1_3gpuE5ELNS1_3repE0EEENS1_36merge_oddeven_config_static_selectorELNS0_4arch9wavefront6targetE1EEEvSF_,@function
_ZN7rocprim17ROCPRIM_400000_NS6detail17trampoline_kernelINS0_14default_configENS1_38merge_sort_block_merge_config_selectorIhNS0_10empty_typeEEEZZNS1_27merge_sort_block_merge_implIS3_PhPS5_jNS1_19radix_merge_compareILb1ELb1EhNS0_19identity_decomposerEEEEE10hipError_tT0_T1_T2_jT3_P12ihipStream_tbPNSt15iterator_traitsISE_E10value_typeEPNSK_ISF_E10value_typeEPSG_NS1_7vsmem_tEENKUlT_SE_SF_SG_E_clIS8_S8_S9_S9_EESD_ST_SE_SF_SG_EUlST_E1_NS1_11comp_targetILNS1_3genE10ELNS1_11target_archE1201ELNS1_3gpuE5ELNS1_3repE0EEENS1_36merge_oddeven_config_static_selectorELNS0_4arch9wavefront6targetE1EEEvSF_: ; @_ZN7rocprim17ROCPRIM_400000_NS6detail17trampoline_kernelINS0_14default_configENS1_38merge_sort_block_merge_config_selectorIhNS0_10empty_typeEEEZZNS1_27merge_sort_block_merge_implIS3_PhPS5_jNS1_19radix_merge_compareILb1ELb1EhNS0_19identity_decomposerEEEEE10hipError_tT0_T1_T2_jT3_P12ihipStream_tbPNSt15iterator_traitsISE_E10value_typeEPNSK_ISF_E10value_typeEPSG_NS1_7vsmem_tEENKUlT_SE_SF_SG_E_clIS8_S8_S9_S9_EESD_ST_SE_SF_SG_EUlST_E1_NS1_11comp_targetILNS1_3genE10ELNS1_11target_archE1201ELNS1_3gpuE5ELNS1_3repE0EEENS1_36merge_oddeven_config_static_selectorELNS0_4arch9wavefront6targetE1EEEvSF_
; %bb.0:
	.section	.rodata,"a",@progbits
	.p2align	6, 0x0
	.amdhsa_kernel _ZN7rocprim17ROCPRIM_400000_NS6detail17trampoline_kernelINS0_14default_configENS1_38merge_sort_block_merge_config_selectorIhNS0_10empty_typeEEEZZNS1_27merge_sort_block_merge_implIS3_PhPS5_jNS1_19radix_merge_compareILb1ELb1EhNS0_19identity_decomposerEEEEE10hipError_tT0_T1_T2_jT3_P12ihipStream_tbPNSt15iterator_traitsISE_E10value_typeEPNSK_ISF_E10value_typeEPSG_NS1_7vsmem_tEENKUlT_SE_SF_SG_E_clIS8_S8_S9_S9_EESD_ST_SE_SF_SG_EUlST_E1_NS1_11comp_targetILNS1_3genE10ELNS1_11target_archE1201ELNS1_3gpuE5ELNS1_3repE0EEENS1_36merge_oddeven_config_static_selectorELNS0_4arch9wavefront6targetE1EEEvSF_
		.amdhsa_group_segment_fixed_size 0
		.amdhsa_private_segment_fixed_size 0
		.amdhsa_kernarg_size 48
		.amdhsa_user_sgpr_count 6
		.amdhsa_user_sgpr_private_segment_buffer 1
		.amdhsa_user_sgpr_dispatch_ptr 0
		.amdhsa_user_sgpr_queue_ptr 0
		.amdhsa_user_sgpr_kernarg_segment_ptr 1
		.amdhsa_user_sgpr_dispatch_id 0
		.amdhsa_user_sgpr_flat_scratch_init 0
		.amdhsa_user_sgpr_kernarg_preload_length 0
		.amdhsa_user_sgpr_kernarg_preload_offset 0
		.amdhsa_user_sgpr_private_segment_size 0
		.amdhsa_uses_dynamic_stack 0
		.amdhsa_system_sgpr_private_segment_wavefront_offset 0
		.amdhsa_system_sgpr_workgroup_id_x 1
		.amdhsa_system_sgpr_workgroup_id_y 0
		.amdhsa_system_sgpr_workgroup_id_z 0
		.amdhsa_system_sgpr_workgroup_info 0
		.amdhsa_system_vgpr_workitem_id 0
		.amdhsa_next_free_vgpr 1
		.amdhsa_next_free_sgpr 0
		.amdhsa_accum_offset 4
		.amdhsa_reserve_vcc 0
		.amdhsa_reserve_flat_scratch 0
		.amdhsa_float_round_mode_32 0
		.amdhsa_float_round_mode_16_64 0
		.amdhsa_float_denorm_mode_32 3
		.amdhsa_float_denorm_mode_16_64 3
		.amdhsa_dx10_clamp 1
		.amdhsa_ieee_mode 1
		.amdhsa_fp16_overflow 0
		.amdhsa_tg_split 0
		.amdhsa_exception_fp_ieee_invalid_op 0
		.amdhsa_exception_fp_denorm_src 0
		.amdhsa_exception_fp_ieee_div_zero 0
		.amdhsa_exception_fp_ieee_overflow 0
		.amdhsa_exception_fp_ieee_underflow 0
		.amdhsa_exception_fp_ieee_inexact 0
		.amdhsa_exception_int_div_zero 0
	.end_amdhsa_kernel
	.section	.text._ZN7rocprim17ROCPRIM_400000_NS6detail17trampoline_kernelINS0_14default_configENS1_38merge_sort_block_merge_config_selectorIhNS0_10empty_typeEEEZZNS1_27merge_sort_block_merge_implIS3_PhPS5_jNS1_19radix_merge_compareILb1ELb1EhNS0_19identity_decomposerEEEEE10hipError_tT0_T1_T2_jT3_P12ihipStream_tbPNSt15iterator_traitsISE_E10value_typeEPNSK_ISF_E10value_typeEPSG_NS1_7vsmem_tEENKUlT_SE_SF_SG_E_clIS8_S8_S9_S9_EESD_ST_SE_SF_SG_EUlST_E1_NS1_11comp_targetILNS1_3genE10ELNS1_11target_archE1201ELNS1_3gpuE5ELNS1_3repE0EEENS1_36merge_oddeven_config_static_selectorELNS0_4arch9wavefront6targetE1EEEvSF_,"axG",@progbits,_ZN7rocprim17ROCPRIM_400000_NS6detail17trampoline_kernelINS0_14default_configENS1_38merge_sort_block_merge_config_selectorIhNS0_10empty_typeEEEZZNS1_27merge_sort_block_merge_implIS3_PhPS5_jNS1_19radix_merge_compareILb1ELb1EhNS0_19identity_decomposerEEEEE10hipError_tT0_T1_T2_jT3_P12ihipStream_tbPNSt15iterator_traitsISE_E10value_typeEPNSK_ISF_E10value_typeEPSG_NS1_7vsmem_tEENKUlT_SE_SF_SG_E_clIS8_S8_S9_S9_EESD_ST_SE_SF_SG_EUlST_E1_NS1_11comp_targetILNS1_3genE10ELNS1_11target_archE1201ELNS1_3gpuE5ELNS1_3repE0EEENS1_36merge_oddeven_config_static_selectorELNS0_4arch9wavefront6targetE1EEEvSF_,comdat
.Lfunc_end1708:
	.size	_ZN7rocprim17ROCPRIM_400000_NS6detail17trampoline_kernelINS0_14default_configENS1_38merge_sort_block_merge_config_selectorIhNS0_10empty_typeEEEZZNS1_27merge_sort_block_merge_implIS3_PhPS5_jNS1_19radix_merge_compareILb1ELb1EhNS0_19identity_decomposerEEEEE10hipError_tT0_T1_T2_jT3_P12ihipStream_tbPNSt15iterator_traitsISE_E10value_typeEPNSK_ISF_E10value_typeEPSG_NS1_7vsmem_tEENKUlT_SE_SF_SG_E_clIS8_S8_S9_S9_EESD_ST_SE_SF_SG_EUlST_E1_NS1_11comp_targetILNS1_3genE10ELNS1_11target_archE1201ELNS1_3gpuE5ELNS1_3repE0EEENS1_36merge_oddeven_config_static_selectorELNS0_4arch9wavefront6targetE1EEEvSF_, .Lfunc_end1708-_ZN7rocprim17ROCPRIM_400000_NS6detail17trampoline_kernelINS0_14default_configENS1_38merge_sort_block_merge_config_selectorIhNS0_10empty_typeEEEZZNS1_27merge_sort_block_merge_implIS3_PhPS5_jNS1_19radix_merge_compareILb1ELb1EhNS0_19identity_decomposerEEEEE10hipError_tT0_T1_T2_jT3_P12ihipStream_tbPNSt15iterator_traitsISE_E10value_typeEPNSK_ISF_E10value_typeEPSG_NS1_7vsmem_tEENKUlT_SE_SF_SG_E_clIS8_S8_S9_S9_EESD_ST_SE_SF_SG_EUlST_E1_NS1_11comp_targetILNS1_3genE10ELNS1_11target_archE1201ELNS1_3gpuE5ELNS1_3repE0EEENS1_36merge_oddeven_config_static_selectorELNS0_4arch9wavefront6targetE1EEEvSF_
                                        ; -- End function
	.section	.AMDGPU.csdata,"",@progbits
; Kernel info:
; codeLenInByte = 0
; NumSgprs: 4
; NumVgprs: 0
; NumAgprs: 0
; TotalNumVgprs: 0
; ScratchSize: 0
; MemoryBound: 0
; FloatMode: 240
; IeeeMode: 1
; LDSByteSize: 0 bytes/workgroup (compile time only)
; SGPRBlocks: 0
; VGPRBlocks: 0
; NumSGPRsForWavesPerEU: 4
; NumVGPRsForWavesPerEU: 1
; AccumOffset: 4
; Occupancy: 8
; WaveLimiterHint : 0
; COMPUTE_PGM_RSRC2:SCRATCH_EN: 0
; COMPUTE_PGM_RSRC2:USER_SGPR: 6
; COMPUTE_PGM_RSRC2:TRAP_HANDLER: 0
; COMPUTE_PGM_RSRC2:TGID_X_EN: 1
; COMPUTE_PGM_RSRC2:TGID_Y_EN: 0
; COMPUTE_PGM_RSRC2:TGID_Z_EN: 0
; COMPUTE_PGM_RSRC2:TIDIG_COMP_CNT: 0
; COMPUTE_PGM_RSRC3_GFX90A:ACCUM_OFFSET: 0
; COMPUTE_PGM_RSRC3_GFX90A:TG_SPLIT: 0
	.section	.text._ZN7rocprim17ROCPRIM_400000_NS6detail17trampoline_kernelINS0_14default_configENS1_38merge_sort_block_merge_config_selectorIhNS0_10empty_typeEEEZZNS1_27merge_sort_block_merge_implIS3_PhPS5_jNS1_19radix_merge_compareILb1ELb1EhNS0_19identity_decomposerEEEEE10hipError_tT0_T1_T2_jT3_P12ihipStream_tbPNSt15iterator_traitsISE_E10value_typeEPNSK_ISF_E10value_typeEPSG_NS1_7vsmem_tEENKUlT_SE_SF_SG_E_clIS8_S8_S9_S9_EESD_ST_SE_SF_SG_EUlST_E1_NS1_11comp_targetILNS1_3genE5ELNS1_11target_archE942ELNS1_3gpuE9ELNS1_3repE0EEENS1_36merge_oddeven_config_static_selectorELNS0_4arch9wavefront6targetE1EEEvSF_,"axG",@progbits,_ZN7rocprim17ROCPRIM_400000_NS6detail17trampoline_kernelINS0_14default_configENS1_38merge_sort_block_merge_config_selectorIhNS0_10empty_typeEEEZZNS1_27merge_sort_block_merge_implIS3_PhPS5_jNS1_19radix_merge_compareILb1ELb1EhNS0_19identity_decomposerEEEEE10hipError_tT0_T1_T2_jT3_P12ihipStream_tbPNSt15iterator_traitsISE_E10value_typeEPNSK_ISF_E10value_typeEPSG_NS1_7vsmem_tEENKUlT_SE_SF_SG_E_clIS8_S8_S9_S9_EESD_ST_SE_SF_SG_EUlST_E1_NS1_11comp_targetILNS1_3genE5ELNS1_11target_archE942ELNS1_3gpuE9ELNS1_3repE0EEENS1_36merge_oddeven_config_static_selectorELNS0_4arch9wavefront6targetE1EEEvSF_,comdat
	.protected	_ZN7rocprim17ROCPRIM_400000_NS6detail17trampoline_kernelINS0_14default_configENS1_38merge_sort_block_merge_config_selectorIhNS0_10empty_typeEEEZZNS1_27merge_sort_block_merge_implIS3_PhPS5_jNS1_19radix_merge_compareILb1ELb1EhNS0_19identity_decomposerEEEEE10hipError_tT0_T1_T2_jT3_P12ihipStream_tbPNSt15iterator_traitsISE_E10value_typeEPNSK_ISF_E10value_typeEPSG_NS1_7vsmem_tEENKUlT_SE_SF_SG_E_clIS8_S8_S9_S9_EESD_ST_SE_SF_SG_EUlST_E1_NS1_11comp_targetILNS1_3genE5ELNS1_11target_archE942ELNS1_3gpuE9ELNS1_3repE0EEENS1_36merge_oddeven_config_static_selectorELNS0_4arch9wavefront6targetE1EEEvSF_ ; -- Begin function _ZN7rocprim17ROCPRIM_400000_NS6detail17trampoline_kernelINS0_14default_configENS1_38merge_sort_block_merge_config_selectorIhNS0_10empty_typeEEEZZNS1_27merge_sort_block_merge_implIS3_PhPS5_jNS1_19radix_merge_compareILb1ELb1EhNS0_19identity_decomposerEEEEE10hipError_tT0_T1_T2_jT3_P12ihipStream_tbPNSt15iterator_traitsISE_E10value_typeEPNSK_ISF_E10value_typeEPSG_NS1_7vsmem_tEENKUlT_SE_SF_SG_E_clIS8_S8_S9_S9_EESD_ST_SE_SF_SG_EUlST_E1_NS1_11comp_targetILNS1_3genE5ELNS1_11target_archE942ELNS1_3gpuE9ELNS1_3repE0EEENS1_36merge_oddeven_config_static_selectorELNS0_4arch9wavefront6targetE1EEEvSF_
	.globl	_ZN7rocprim17ROCPRIM_400000_NS6detail17trampoline_kernelINS0_14default_configENS1_38merge_sort_block_merge_config_selectorIhNS0_10empty_typeEEEZZNS1_27merge_sort_block_merge_implIS3_PhPS5_jNS1_19radix_merge_compareILb1ELb1EhNS0_19identity_decomposerEEEEE10hipError_tT0_T1_T2_jT3_P12ihipStream_tbPNSt15iterator_traitsISE_E10value_typeEPNSK_ISF_E10value_typeEPSG_NS1_7vsmem_tEENKUlT_SE_SF_SG_E_clIS8_S8_S9_S9_EESD_ST_SE_SF_SG_EUlST_E1_NS1_11comp_targetILNS1_3genE5ELNS1_11target_archE942ELNS1_3gpuE9ELNS1_3repE0EEENS1_36merge_oddeven_config_static_selectorELNS0_4arch9wavefront6targetE1EEEvSF_
	.p2align	8
	.type	_ZN7rocprim17ROCPRIM_400000_NS6detail17trampoline_kernelINS0_14default_configENS1_38merge_sort_block_merge_config_selectorIhNS0_10empty_typeEEEZZNS1_27merge_sort_block_merge_implIS3_PhPS5_jNS1_19radix_merge_compareILb1ELb1EhNS0_19identity_decomposerEEEEE10hipError_tT0_T1_T2_jT3_P12ihipStream_tbPNSt15iterator_traitsISE_E10value_typeEPNSK_ISF_E10value_typeEPSG_NS1_7vsmem_tEENKUlT_SE_SF_SG_E_clIS8_S8_S9_S9_EESD_ST_SE_SF_SG_EUlST_E1_NS1_11comp_targetILNS1_3genE5ELNS1_11target_archE942ELNS1_3gpuE9ELNS1_3repE0EEENS1_36merge_oddeven_config_static_selectorELNS0_4arch9wavefront6targetE1EEEvSF_,@function
_ZN7rocprim17ROCPRIM_400000_NS6detail17trampoline_kernelINS0_14default_configENS1_38merge_sort_block_merge_config_selectorIhNS0_10empty_typeEEEZZNS1_27merge_sort_block_merge_implIS3_PhPS5_jNS1_19radix_merge_compareILb1ELb1EhNS0_19identity_decomposerEEEEE10hipError_tT0_T1_T2_jT3_P12ihipStream_tbPNSt15iterator_traitsISE_E10value_typeEPNSK_ISF_E10value_typeEPSG_NS1_7vsmem_tEENKUlT_SE_SF_SG_E_clIS8_S8_S9_S9_EESD_ST_SE_SF_SG_EUlST_E1_NS1_11comp_targetILNS1_3genE5ELNS1_11target_archE942ELNS1_3gpuE9ELNS1_3repE0EEENS1_36merge_oddeven_config_static_selectorELNS0_4arch9wavefront6targetE1EEEvSF_: ; @_ZN7rocprim17ROCPRIM_400000_NS6detail17trampoline_kernelINS0_14default_configENS1_38merge_sort_block_merge_config_selectorIhNS0_10empty_typeEEEZZNS1_27merge_sort_block_merge_implIS3_PhPS5_jNS1_19radix_merge_compareILb1ELb1EhNS0_19identity_decomposerEEEEE10hipError_tT0_T1_T2_jT3_P12ihipStream_tbPNSt15iterator_traitsISE_E10value_typeEPNSK_ISF_E10value_typeEPSG_NS1_7vsmem_tEENKUlT_SE_SF_SG_E_clIS8_S8_S9_S9_EESD_ST_SE_SF_SG_EUlST_E1_NS1_11comp_targetILNS1_3genE5ELNS1_11target_archE942ELNS1_3gpuE9ELNS1_3repE0EEENS1_36merge_oddeven_config_static_selectorELNS0_4arch9wavefront6targetE1EEEvSF_
; %bb.0:
	.section	.rodata,"a",@progbits
	.p2align	6, 0x0
	.amdhsa_kernel _ZN7rocprim17ROCPRIM_400000_NS6detail17trampoline_kernelINS0_14default_configENS1_38merge_sort_block_merge_config_selectorIhNS0_10empty_typeEEEZZNS1_27merge_sort_block_merge_implIS3_PhPS5_jNS1_19radix_merge_compareILb1ELb1EhNS0_19identity_decomposerEEEEE10hipError_tT0_T1_T2_jT3_P12ihipStream_tbPNSt15iterator_traitsISE_E10value_typeEPNSK_ISF_E10value_typeEPSG_NS1_7vsmem_tEENKUlT_SE_SF_SG_E_clIS8_S8_S9_S9_EESD_ST_SE_SF_SG_EUlST_E1_NS1_11comp_targetILNS1_3genE5ELNS1_11target_archE942ELNS1_3gpuE9ELNS1_3repE0EEENS1_36merge_oddeven_config_static_selectorELNS0_4arch9wavefront6targetE1EEEvSF_
		.amdhsa_group_segment_fixed_size 0
		.amdhsa_private_segment_fixed_size 0
		.amdhsa_kernarg_size 48
		.amdhsa_user_sgpr_count 6
		.amdhsa_user_sgpr_private_segment_buffer 1
		.amdhsa_user_sgpr_dispatch_ptr 0
		.amdhsa_user_sgpr_queue_ptr 0
		.amdhsa_user_sgpr_kernarg_segment_ptr 1
		.amdhsa_user_sgpr_dispatch_id 0
		.amdhsa_user_sgpr_flat_scratch_init 0
		.amdhsa_user_sgpr_kernarg_preload_length 0
		.amdhsa_user_sgpr_kernarg_preload_offset 0
		.amdhsa_user_sgpr_private_segment_size 0
		.amdhsa_uses_dynamic_stack 0
		.amdhsa_system_sgpr_private_segment_wavefront_offset 0
		.amdhsa_system_sgpr_workgroup_id_x 1
		.amdhsa_system_sgpr_workgroup_id_y 0
		.amdhsa_system_sgpr_workgroup_id_z 0
		.amdhsa_system_sgpr_workgroup_info 0
		.amdhsa_system_vgpr_workitem_id 0
		.amdhsa_next_free_vgpr 1
		.amdhsa_next_free_sgpr 0
		.amdhsa_accum_offset 4
		.amdhsa_reserve_vcc 0
		.amdhsa_reserve_flat_scratch 0
		.amdhsa_float_round_mode_32 0
		.amdhsa_float_round_mode_16_64 0
		.amdhsa_float_denorm_mode_32 3
		.amdhsa_float_denorm_mode_16_64 3
		.amdhsa_dx10_clamp 1
		.amdhsa_ieee_mode 1
		.amdhsa_fp16_overflow 0
		.amdhsa_tg_split 0
		.amdhsa_exception_fp_ieee_invalid_op 0
		.amdhsa_exception_fp_denorm_src 0
		.amdhsa_exception_fp_ieee_div_zero 0
		.amdhsa_exception_fp_ieee_overflow 0
		.amdhsa_exception_fp_ieee_underflow 0
		.amdhsa_exception_fp_ieee_inexact 0
		.amdhsa_exception_int_div_zero 0
	.end_amdhsa_kernel
	.section	.text._ZN7rocprim17ROCPRIM_400000_NS6detail17trampoline_kernelINS0_14default_configENS1_38merge_sort_block_merge_config_selectorIhNS0_10empty_typeEEEZZNS1_27merge_sort_block_merge_implIS3_PhPS5_jNS1_19radix_merge_compareILb1ELb1EhNS0_19identity_decomposerEEEEE10hipError_tT0_T1_T2_jT3_P12ihipStream_tbPNSt15iterator_traitsISE_E10value_typeEPNSK_ISF_E10value_typeEPSG_NS1_7vsmem_tEENKUlT_SE_SF_SG_E_clIS8_S8_S9_S9_EESD_ST_SE_SF_SG_EUlST_E1_NS1_11comp_targetILNS1_3genE5ELNS1_11target_archE942ELNS1_3gpuE9ELNS1_3repE0EEENS1_36merge_oddeven_config_static_selectorELNS0_4arch9wavefront6targetE1EEEvSF_,"axG",@progbits,_ZN7rocprim17ROCPRIM_400000_NS6detail17trampoline_kernelINS0_14default_configENS1_38merge_sort_block_merge_config_selectorIhNS0_10empty_typeEEEZZNS1_27merge_sort_block_merge_implIS3_PhPS5_jNS1_19radix_merge_compareILb1ELb1EhNS0_19identity_decomposerEEEEE10hipError_tT0_T1_T2_jT3_P12ihipStream_tbPNSt15iterator_traitsISE_E10value_typeEPNSK_ISF_E10value_typeEPSG_NS1_7vsmem_tEENKUlT_SE_SF_SG_E_clIS8_S8_S9_S9_EESD_ST_SE_SF_SG_EUlST_E1_NS1_11comp_targetILNS1_3genE5ELNS1_11target_archE942ELNS1_3gpuE9ELNS1_3repE0EEENS1_36merge_oddeven_config_static_selectorELNS0_4arch9wavefront6targetE1EEEvSF_,comdat
.Lfunc_end1709:
	.size	_ZN7rocprim17ROCPRIM_400000_NS6detail17trampoline_kernelINS0_14default_configENS1_38merge_sort_block_merge_config_selectorIhNS0_10empty_typeEEEZZNS1_27merge_sort_block_merge_implIS3_PhPS5_jNS1_19radix_merge_compareILb1ELb1EhNS0_19identity_decomposerEEEEE10hipError_tT0_T1_T2_jT3_P12ihipStream_tbPNSt15iterator_traitsISE_E10value_typeEPNSK_ISF_E10value_typeEPSG_NS1_7vsmem_tEENKUlT_SE_SF_SG_E_clIS8_S8_S9_S9_EESD_ST_SE_SF_SG_EUlST_E1_NS1_11comp_targetILNS1_3genE5ELNS1_11target_archE942ELNS1_3gpuE9ELNS1_3repE0EEENS1_36merge_oddeven_config_static_selectorELNS0_4arch9wavefront6targetE1EEEvSF_, .Lfunc_end1709-_ZN7rocprim17ROCPRIM_400000_NS6detail17trampoline_kernelINS0_14default_configENS1_38merge_sort_block_merge_config_selectorIhNS0_10empty_typeEEEZZNS1_27merge_sort_block_merge_implIS3_PhPS5_jNS1_19radix_merge_compareILb1ELb1EhNS0_19identity_decomposerEEEEE10hipError_tT0_T1_T2_jT3_P12ihipStream_tbPNSt15iterator_traitsISE_E10value_typeEPNSK_ISF_E10value_typeEPSG_NS1_7vsmem_tEENKUlT_SE_SF_SG_E_clIS8_S8_S9_S9_EESD_ST_SE_SF_SG_EUlST_E1_NS1_11comp_targetILNS1_3genE5ELNS1_11target_archE942ELNS1_3gpuE9ELNS1_3repE0EEENS1_36merge_oddeven_config_static_selectorELNS0_4arch9wavefront6targetE1EEEvSF_
                                        ; -- End function
	.section	.AMDGPU.csdata,"",@progbits
; Kernel info:
; codeLenInByte = 0
; NumSgprs: 4
; NumVgprs: 0
; NumAgprs: 0
; TotalNumVgprs: 0
; ScratchSize: 0
; MemoryBound: 0
; FloatMode: 240
; IeeeMode: 1
; LDSByteSize: 0 bytes/workgroup (compile time only)
; SGPRBlocks: 0
; VGPRBlocks: 0
; NumSGPRsForWavesPerEU: 4
; NumVGPRsForWavesPerEU: 1
; AccumOffset: 4
; Occupancy: 8
; WaveLimiterHint : 0
; COMPUTE_PGM_RSRC2:SCRATCH_EN: 0
; COMPUTE_PGM_RSRC2:USER_SGPR: 6
; COMPUTE_PGM_RSRC2:TRAP_HANDLER: 0
; COMPUTE_PGM_RSRC2:TGID_X_EN: 1
; COMPUTE_PGM_RSRC2:TGID_Y_EN: 0
; COMPUTE_PGM_RSRC2:TGID_Z_EN: 0
; COMPUTE_PGM_RSRC2:TIDIG_COMP_CNT: 0
; COMPUTE_PGM_RSRC3_GFX90A:ACCUM_OFFSET: 0
; COMPUTE_PGM_RSRC3_GFX90A:TG_SPLIT: 0
	.section	.text._ZN7rocprim17ROCPRIM_400000_NS6detail17trampoline_kernelINS0_14default_configENS1_38merge_sort_block_merge_config_selectorIhNS0_10empty_typeEEEZZNS1_27merge_sort_block_merge_implIS3_PhPS5_jNS1_19radix_merge_compareILb1ELb1EhNS0_19identity_decomposerEEEEE10hipError_tT0_T1_T2_jT3_P12ihipStream_tbPNSt15iterator_traitsISE_E10value_typeEPNSK_ISF_E10value_typeEPSG_NS1_7vsmem_tEENKUlT_SE_SF_SG_E_clIS8_S8_S9_S9_EESD_ST_SE_SF_SG_EUlST_E1_NS1_11comp_targetILNS1_3genE4ELNS1_11target_archE910ELNS1_3gpuE8ELNS1_3repE0EEENS1_36merge_oddeven_config_static_selectorELNS0_4arch9wavefront6targetE1EEEvSF_,"axG",@progbits,_ZN7rocprim17ROCPRIM_400000_NS6detail17trampoline_kernelINS0_14default_configENS1_38merge_sort_block_merge_config_selectorIhNS0_10empty_typeEEEZZNS1_27merge_sort_block_merge_implIS3_PhPS5_jNS1_19radix_merge_compareILb1ELb1EhNS0_19identity_decomposerEEEEE10hipError_tT0_T1_T2_jT3_P12ihipStream_tbPNSt15iterator_traitsISE_E10value_typeEPNSK_ISF_E10value_typeEPSG_NS1_7vsmem_tEENKUlT_SE_SF_SG_E_clIS8_S8_S9_S9_EESD_ST_SE_SF_SG_EUlST_E1_NS1_11comp_targetILNS1_3genE4ELNS1_11target_archE910ELNS1_3gpuE8ELNS1_3repE0EEENS1_36merge_oddeven_config_static_selectorELNS0_4arch9wavefront6targetE1EEEvSF_,comdat
	.protected	_ZN7rocprim17ROCPRIM_400000_NS6detail17trampoline_kernelINS0_14default_configENS1_38merge_sort_block_merge_config_selectorIhNS0_10empty_typeEEEZZNS1_27merge_sort_block_merge_implIS3_PhPS5_jNS1_19radix_merge_compareILb1ELb1EhNS0_19identity_decomposerEEEEE10hipError_tT0_T1_T2_jT3_P12ihipStream_tbPNSt15iterator_traitsISE_E10value_typeEPNSK_ISF_E10value_typeEPSG_NS1_7vsmem_tEENKUlT_SE_SF_SG_E_clIS8_S8_S9_S9_EESD_ST_SE_SF_SG_EUlST_E1_NS1_11comp_targetILNS1_3genE4ELNS1_11target_archE910ELNS1_3gpuE8ELNS1_3repE0EEENS1_36merge_oddeven_config_static_selectorELNS0_4arch9wavefront6targetE1EEEvSF_ ; -- Begin function _ZN7rocprim17ROCPRIM_400000_NS6detail17trampoline_kernelINS0_14default_configENS1_38merge_sort_block_merge_config_selectorIhNS0_10empty_typeEEEZZNS1_27merge_sort_block_merge_implIS3_PhPS5_jNS1_19radix_merge_compareILb1ELb1EhNS0_19identity_decomposerEEEEE10hipError_tT0_T1_T2_jT3_P12ihipStream_tbPNSt15iterator_traitsISE_E10value_typeEPNSK_ISF_E10value_typeEPSG_NS1_7vsmem_tEENKUlT_SE_SF_SG_E_clIS8_S8_S9_S9_EESD_ST_SE_SF_SG_EUlST_E1_NS1_11comp_targetILNS1_3genE4ELNS1_11target_archE910ELNS1_3gpuE8ELNS1_3repE0EEENS1_36merge_oddeven_config_static_selectorELNS0_4arch9wavefront6targetE1EEEvSF_
	.globl	_ZN7rocprim17ROCPRIM_400000_NS6detail17trampoline_kernelINS0_14default_configENS1_38merge_sort_block_merge_config_selectorIhNS0_10empty_typeEEEZZNS1_27merge_sort_block_merge_implIS3_PhPS5_jNS1_19radix_merge_compareILb1ELb1EhNS0_19identity_decomposerEEEEE10hipError_tT0_T1_T2_jT3_P12ihipStream_tbPNSt15iterator_traitsISE_E10value_typeEPNSK_ISF_E10value_typeEPSG_NS1_7vsmem_tEENKUlT_SE_SF_SG_E_clIS8_S8_S9_S9_EESD_ST_SE_SF_SG_EUlST_E1_NS1_11comp_targetILNS1_3genE4ELNS1_11target_archE910ELNS1_3gpuE8ELNS1_3repE0EEENS1_36merge_oddeven_config_static_selectorELNS0_4arch9wavefront6targetE1EEEvSF_
	.p2align	8
	.type	_ZN7rocprim17ROCPRIM_400000_NS6detail17trampoline_kernelINS0_14default_configENS1_38merge_sort_block_merge_config_selectorIhNS0_10empty_typeEEEZZNS1_27merge_sort_block_merge_implIS3_PhPS5_jNS1_19radix_merge_compareILb1ELb1EhNS0_19identity_decomposerEEEEE10hipError_tT0_T1_T2_jT3_P12ihipStream_tbPNSt15iterator_traitsISE_E10value_typeEPNSK_ISF_E10value_typeEPSG_NS1_7vsmem_tEENKUlT_SE_SF_SG_E_clIS8_S8_S9_S9_EESD_ST_SE_SF_SG_EUlST_E1_NS1_11comp_targetILNS1_3genE4ELNS1_11target_archE910ELNS1_3gpuE8ELNS1_3repE0EEENS1_36merge_oddeven_config_static_selectorELNS0_4arch9wavefront6targetE1EEEvSF_,@function
_ZN7rocprim17ROCPRIM_400000_NS6detail17trampoline_kernelINS0_14default_configENS1_38merge_sort_block_merge_config_selectorIhNS0_10empty_typeEEEZZNS1_27merge_sort_block_merge_implIS3_PhPS5_jNS1_19radix_merge_compareILb1ELb1EhNS0_19identity_decomposerEEEEE10hipError_tT0_T1_T2_jT3_P12ihipStream_tbPNSt15iterator_traitsISE_E10value_typeEPNSK_ISF_E10value_typeEPSG_NS1_7vsmem_tEENKUlT_SE_SF_SG_E_clIS8_S8_S9_S9_EESD_ST_SE_SF_SG_EUlST_E1_NS1_11comp_targetILNS1_3genE4ELNS1_11target_archE910ELNS1_3gpuE8ELNS1_3repE0EEENS1_36merge_oddeven_config_static_selectorELNS0_4arch9wavefront6targetE1EEEvSF_: ; @_ZN7rocprim17ROCPRIM_400000_NS6detail17trampoline_kernelINS0_14default_configENS1_38merge_sort_block_merge_config_selectorIhNS0_10empty_typeEEEZZNS1_27merge_sort_block_merge_implIS3_PhPS5_jNS1_19radix_merge_compareILb1ELb1EhNS0_19identity_decomposerEEEEE10hipError_tT0_T1_T2_jT3_P12ihipStream_tbPNSt15iterator_traitsISE_E10value_typeEPNSK_ISF_E10value_typeEPSG_NS1_7vsmem_tEENKUlT_SE_SF_SG_E_clIS8_S8_S9_S9_EESD_ST_SE_SF_SG_EUlST_E1_NS1_11comp_targetILNS1_3genE4ELNS1_11target_archE910ELNS1_3gpuE8ELNS1_3repE0EEENS1_36merge_oddeven_config_static_selectorELNS0_4arch9wavefront6targetE1EEEvSF_
; %bb.0:
	s_load_dword s17, s[4:5], 0x20
	s_waitcnt lgkmcnt(0)
	s_lshr_b32 s0, s17, 8
	s_cmp_lg_u32 s6, s0
	s_cselect_b64 s[14:15], -1, 0
	s_cmp_eq_u32 s6, s0
	s_cselect_b64 s[12:13], -1, 0
	s_lshl_b32 s7, s6, 8
	s_sub_i32 s0, s17, s7
	v_cmp_gt_u32_e64 s[2:3], s0, v0
	s_or_b64 s[0:1], s[14:15], s[2:3]
	s_and_saveexec_b64 s[8:9], s[0:1]
	s_cbranch_execz .LBB1710_20
; %bb.1:
	s_load_dwordx4 s[8:11], s[4:5], 0x0
	s_load_dword s18, s[4:5], 0x24
	v_add_u32_e32 v2, s7, v0
	s_waitcnt lgkmcnt(0)
	s_add_u32 s0, s8, s7
	s_addc_u32 s1, s9, 0
	global_load_ubyte v1, v0, s[0:1]
	s_lshr_b32 s0, s18, 8
	s_sub_i32 s1, 0, s0
	s_and_b32 s1, s6, s1
	s_and_b32 s0, s1, s0
	s_lshl_b32 s19, s1, 8
	s_sub_i32 s6, 0, s18
	s_cmp_eq_u32 s0, 0
	s_cselect_b64 s[0:1], -1, 0
	s_and_b64 s[20:21], s[0:1], exec
	s_cselect_b32 s16, s18, s6
	s_add_i32 s16, s16, s19
	s_cmp_lt_u32 s16, s17
	s_cbranch_scc1 .LBB1710_3
; %bb.2:
	v_cmp_gt_u32_e32 vcc, s17, v2
	s_or_b64 s[6:7], vcc, s[14:15]
	s_and_b64 s[6:7], s[6:7], exec
	s_cbranch_execz .LBB1710_4
	s_branch .LBB1710_18
.LBB1710_3:
	s_mov_b64 s[6:7], 0
.LBB1710_4:
	s_load_dword s14, s[4:5], 0x28
	s_min_u32 s15, s16, s17
	s_add_i32 s4, s15, s18
	s_min_u32 s17, s4, s17
	s_min_u32 s4, s19, s15
	s_add_i32 s19, s19, s15
	v_subrev_u32_e32 v0, s19, v2
	v_add_u32_e32 v0, s4, v0
	s_and_b64 vcc, exec, s[12:13]
	s_cbranch_vccz .LBB1710_12
; %bb.5:
                                        ; implicit-def: $vgpr2
	s_and_saveexec_b64 s[4:5], s[2:3]
	s_cbranch_execz .LBB1710_11
; %bb.6:
	s_cmp_ge_u32 s16, s17
	v_mov_b32_e32 v2, s15
	s_cbranch_scc1 .LBB1710_10
; %bb.7:
	s_waitcnt vmcnt(0) lgkmcnt(0)
	v_and_b32_e32 v3, s14, v1
	s_mov_b64 s[2:3], 0
	v_mov_b32_e32 v4, s17
	v_mov_b32_e32 v2, s15
.LBB1710_8:                             ; =>This Inner Loop Header: Depth=1
	v_add_u32_e32 v5, v2, v4
	v_lshrrev_b32_e32 v5, 1, v5
	global_load_ubyte v6, v5, s[8:9]
	v_add_u32_e32 v7, 1, v5
	s_waitcnt vmcnt(0)
	v_and_b32_sdwa v6, v6, s14 dst_sel:DWORD dst_unused:UNUSED_PAD src0_sel:DWORD src1_sel:BYTE_0
	v_cmp_gt_u16_sdwa s[12:13], v6, v3 src0_sel:DWORD src1_sel:BYTE_0
	v_cndmask_b32_e64 v8, 0, 1, s[12:13]
	v_cmp_le_u16_sdwa s[12:13], v3, v6 src0_sel:BYTE_0 src1_sel:DWORD
	v_cndmask_b32_e64 v6, 0, 1, s[12:13]
	v_cndmask_b32_e64 v6, v6, v8, s[0:1]
	v_and_b32_e32 v6, 1, v6
	v_cmp_eq_u32_e32 vcc, 1, v6
	v_cndmask_b32_e32 v4, v5, v4, vcc
	v_cndmask_b32_e32 v2, v2, v7, vcc
	v_cmp_ge_u32_e32 vcc, v2, v4
	s_or_b64 s[2:3], vcc, s[2:3]
	s_andn2_b64 exec, exec, s[2:3]
	s_cbranch_execnz .LBB1710_8
; %bb.9:
	s_or_b64 exec, exec, s[2:3]
.LBB1710_10:
	v_add_u32_e32 v2, v2, v0
	s_or_b64 s[6:7], s[6:7], exec
.LBB1710_11:
	s_or_b64 exec, exec, s[4:5]
	s_branch .LBB1710_18
.LBB1710_12:
                                        ; implicit-def: $vgpr2
	s_cbranch_execz .LBB1710_18
; %bb.13:
	s_cmp_ge_u32 s16, s17
	v_mov_b32_e32 v2, s15
	s_cbranch_scc1 .LBB1710_17
; %bb.14:
	s_waitcnt vmcnt(0) lgkmcnt(0)
	v_and_b32_e32 v3, s14, v1
	s_mov_b64 s[2:3], 0
	v_mov_b32_e32 v4, s17
	v_mov_b32_e32 v2, s15
.LBB1710_15:                            ; =>This Inner Loop Header: Depth=1
	v_add_u32_e32 v5, v2, v4
	v_lshrrev_b32_e32 v5, 1, v5
	global_load_ubyte v6, v5, s[8:9]
	v_add_u32_e32 v7, 1, v5
	s_waitcnt vmcnt(0)
	v_and_b32_sdwa v6, v6, s14 dst_sel:DWORD dst_unused:UNUSED_PAD src0_sel:DWORD src1_sel:BYTE_0
	v_cmp_gt_u16_sdwa s[4:5], v6, v3 src0_sel:DWORD src1_sel:BYTE_0
	v_cndmask_b32_e64 v8, 0, 1, s[4:5]
	v_cmp_le_u16_sdwa s[4:5], v3, v6 src0_sel:BYTE_0 src1_sel:DWORD
	v_cndmask_b32_e64 v6, 0, 1, s[4:5]
	v_cndmask_b32_e64 v6, v6, v8, s[0:1]
	v_and_b32_e32 v6, 1, v6
	v_cmp_eq_u32_e32 vcc, 1, v6
	v_cndmask_b32_e32 v4, v5, v4, vcc
	v_cndmask_b32_e32 v2, v2, v7, vcc
	v_cmp_ge_u32_e32 vcc, v2, v4
	s_or_b64 s[2:3], vcc, s[2:3]
	s_andn2_b64 exec, exec, s[2:3]
	s_cbranch_execnz .LBB1710_15
; %bb.16:
	s_or_b64 exec, exec, s[2:3]
.LBB1710_17:
	v_add_u32_e32 v2, v2, v0
	s_mov_b64 s[6:7], -1
.LBB1710_18:
	s_and_b64 exec, exec, s[6:7]
	s_cbranch_execz .LBB1710_20
; %bb.19:
	s_waitcnt vmcnt(0)
	global_store_byte v2, v1, s[10:11]
.LBB1710_20:
	s_endpgm
	.section	.rodata,"a",@progbits
	.p2align	6, 0x0
	.amdhsa_kernel _ZN7rocprim17ROCPRIM_400000_NS6detail17trampoline_kernelINS0_14default_configENS1_38merge_sort_block_merge_config_selectorIhNS0_10empty_typeEEEZZNS1_27merge_sort_block_merge_implIS3_PhPS5_jNS1_19radix_merge_compareILb1ELb1EhNS0_19identity_decomposerEEEEE10hipError_tT0_T1_T2_jT3_P12ihipStream_tbPNSt15iterator_traitsISE_E10value_typeEPNSK_ISF_E10value_typeEPSG_NS1_7vsmem_tEENKUlT_SE_SF_SG_E_clIS8_S8_S9_S9_EESD_ST_SE_SF_SG_EUlST_E1_NS1_11comp_targetILNS1_3genE4ELNS1_11target_archE910ELNS1_3gpuE8ELNS1_3repE0EEENS1_36merge_oddeven_config_static_selectorELNS0_4arch9wavefront6targetE1EEEvSF_
		.amdhsa_group_segment_fixed_size 0
		.amdhsa_private_segment_fixed_size 0
		.amdhsa_kernarg_size 48
		.amdhsa_user_sgpr_count 6
		.amdhsa_user_sgpr_private_segment_buffer 1
		.amdhsa_user_sgpr_dispatch_ptr 0
		.amdhsa_user_sgpr_queue_ptr 0
		.amdhsa_user_sgpr_kernarg_segment_ptr 1
		.amdhsa_user_sgpr_dispatch_id 0
		.amdhsa_user_sgpr_flat_scratch_init 0
		.amdhsa_user_sgpr_kernarg_preload_length 0
		.amdhsa_user_sgpr_kernarg_preload_offset 0
		.amdhsa_user_sgpr_private_segment_size 0
		.amdhsa_uses_dynamic_stack 0
		.amdhsa_system_sgpr_private_segment_wavefront_offset 0
		.amdhsa_system_sgpr_workgroup_id_x 1
		.amdhsa_system_sgpr_workgroup_id_y 0
		.amdhsa_system_sgpr_workgroup_id_z 0
		.amdhsa_system_sgpr_workgroup_info 0
		.amdhsa_system_vgpr_workitem_id 0
		.amdhsa_next_free_vgpr 9
		.amdhsa_next_free_sgpr 22
		.amdhsa_accum_offset 12
		.amdhsa_reserve_vcc 1
		.amdhsa_reserve_flat_scratch 0
		.amdhsa_float_round_mode_32 0
		.amdhsa_float_round_mode_16_64 0
		.amdhsa_float_denorm_mode_32 3
		.amdhsa_float_denorm_mode_16_64 3
		.amdhsa_dx10_clamp 1
		.amdhsa_ieee_mode 1
		.amdhsa_fp16_overflow 0
		.amdhsa_tg_split 0
		.amdhsa_exception_fp_ieee_invalid_op 0
		.amdhsa_exception_fp_denorm_src 0
		.amdhsa_exception_fp_ieee_div_zero 0
		.amdhsa_exception_fp_ieee_overflow 0
		.amdhsa_exception_fp_ieee_underflow 0
		.amdhsa_exception_fp_ieee_inexact 0
		.amdhsa_exception_int_div_zero 0
	.end_amdhsa_kernel
	.section	.text._ZN7rocprim17ROCPRIM_400000_NS6detail17trampoline_kernelINS0_14default_configENS1_38merge_sort_block_merge_config_selectorIhNS0_10empty_typeEEEZZNS1_27merge_sort_block_merge_implIS3_PhPS5_jNS1_19radix_merge_compareILb1ELb1EhNS0_19identity_decomposerEEEEE10hipError_tT0_T1_T2_jT3_P12ihipStream_tbPNSt15iterator_traitsISE_E10value_typeEPNSK_ISF_E10value_typeEPSG_NS1_7vsmem_tEENKUlT_SE_SF_SG_E_clIS8_S8_S9_S9_EESD_ST_SE_SF_SG_EUlST_E1_NS1_11comp_targetILNS1_3genE4ELNS1_11target_archE910ELNS1_3gpuE8ELNS1_3repE0EEENS1_36merge_oddeven_config_static_selectorELNS0_4arch9wavefront6targetE1EEEvSF_,"axG",@progbits,_ZN7rocprim17ROCPRIM_400000_NS6detail17trampoline_kernelINS0_14default_configENS1_38merge_sort_block_merge_config_selectorIhNS0_10empty_typeEEEZZNS1_27merge_sort_block_merge_implIS3_PhPS5_jNS1_19radix_merge_compareILb1ELb1EhNS0_19identity_decomposerEEEEE10hipError_tT0_T1_T2_jT3_P12ihipStream_tbPNSt15iterator_traitsISE_E10value_typeEPNSK_ISF_E10value_typeEPSG_NS1_7vsmem_tEENKUlT_SE_SF_SG_E_clIS8_S8_S9_S9_EESD_ST_SE_SF_SG_EUlST_E1_NS1_11comp_targetILNS1_3genE4ELNS1_11target_archE910ELNS1_3gpuE8ELNS1_3repE0EEENS1_36merge_oddeven_config_static_selectorELNS0_4arch9wavefront6targetE1EEEvSF_,comdat
.Lfunc_end1710:
	.size	_ZN7rocprim17ROCPRIM_400000_NS6detail17trampoline_kernelINS0_14default_configENS1_38merge_sort_block_merge_config_selectorIhNS0_10empty_typeEEEZZNS1_27merge_sort_block_merge_implIS3_PhPS5_jNS1_19radix_merge_compareILb1ELb1EhNS0_19identity_decomposerEEEEE10hipError_tT0_T1_T2_jT3_P12ihipStream_tbPNSt15iterator_traitsISE_E10value_typeEPNSK_ISF_E10value_typeEPSG_NS1_7vsmem_tEENKUlT_SE_SF_SG_E_clIS8_S8_S9_S9_EESD_ST_SE_SF_SG_EUlST_E1_NS1_11comp_targetILNS1_3genE4ELNS1_11target_archE910ELNS1_3gpuE8ELNS1_3repE0EEENS1_36merge_oddeven_config_static_selectorELNS0_4arch9wavefront6targetE1EEEvSF_, .Lfunc_end1710-_ZN7rocprim17ROCPRIM_400000_NS6detail17trampoline_kernelINS0_14default_configENS1_38merge_sort_block_merge_config_selectorIhNS0_10empty_typeEEEZZNS1_27merge_sort_block_merge_implIS3_PhPS5_jNS1_19radix_merge_compareILb1ELb1EhNS0_19identity_decomposerEEEEE10hipError_tT0_T1_T2_jT3_P12ihipStream_tbPNSt15iterator_traitsISE_E10value_typeEPNSK_ISF_E10value_typeEPSG_NS1_7vsmem_tEENKUlT_SE_SF_SG_E_clIS8_S8_S9_S9_EESD_ST_SE_SF_SG_EUlST_E1_NS1_11comp_targetILNS1_3genE4ELNS1_11target_archE910ELNS1_3gpuE8ELNS1_3repE0EEENS1_36merge_oddeven_config_static_selectorELNS0_4arch9wavefront6targetE1EEEvSF_
                                        ; -- End function
	.section	.AMDGPU.csdata,"",@progbits
; Kernel info:
; codeLenInByte = 560
; NumSgprs: 26
; NumVgprs: 9
; NumAgprs: 0
; TotalNumVgprs: 9
; ScratchSize: 0
; MemoryBound: 0
; FloatMode: 240
; IeeeMode: 1
; LDSByteSize: 0 bytes/workgroup (compile time only)
; SGPRBlocks: 3
; VGPRBlocks: 1
; NumSGPRsForWavesPerEU: 26
; NumVGPRsForWavesPerEU: 9
; AccumOffset: 12
; Occupancy: 8
; WaveLimiterHint : 0
; COMPUTE_PGM_RSRC2:SCRATCH_EN: 0
; COMPUTE_PGM_RSRC2:USER_SGPR: 6
; COMPUTE_PGM_RSRC2:TRAP_HANDLER: 0
; COMPUTE_PGM_RSRC2:TGID_X_EN: 1
; COMPUTE_PGM_RSRC2:TGID_Y_EN: 0
; COMPUTE_PGM_RSRC2:TGID_Z_EN: 0
; COMPUTE_PGM_RSRC2:TIDIG_COMP_CNT: 0
; COMPUTE_PGM_RSRC3_GFX90A:ACCUM_OFFSET: 2
; COMPUTE_PGM_RSRC3_GFX90A:TG_SPLIT: 0
	.section	.text._ZN7rocprim17ROCPRIM_400000_NS6detail17trampoline_kernelINS0_14default_configENS1_38merge_sort_block_merge_config_selectorIhNS0_10empty_typeEEEZZNS1_27merge_sort_block_merge_implIS3_PhPS5_jNS1_19radix_merge_compareILb1ELb1EhNS0_19identity_decomposerEEEEE10hipError_tT0_T1_T2_jT3_P12ihipStream_tbPNSt15iterator_traitsISE_E10value_typeEPNSK_ISF_E10value_typeEPSG_NS1_7vsmem_tEENKUlT_SE_SF_SG_E_clIS8_S8_S9_S9_EESD_ST_SE_SF_SG_EUlST_E1_NS1_11comp_targetILNS1_3genE3ELNS1_11target_archE908ELNS1_3gpuE7ELNS1_3repE0EEENS1_36merge_oddeven_config_static_selectorELNS0_4arch9wavefront6targetE1EEEvSF_,"axG",@progbits,_ZN7rocprim17ROCPRIM_400000_NS6detail17trampoline_kernelINS0_14default_configENS1_38merge_sort_block_merge_config_selectorIhNS0_10empty_typeEEEZZNS1_27merge_sort_block_merge_implIS3_PhPS5_jNS1_19radix_merge_compareILb1ELb1EhNS0_19identity_decomposerEEEEE10hipError_tT0_T1_T2_jT3_P12ihipStream_tbPNSt15iterator_traitsISE_E10value_typeEPNSK_ISF_E10value_typeEPSG_NS1_7vsmem_tEENKUlT_SE_SF_SG_E_clIS8_S8_S9_S9_EESD_ST_SE_SF_SG_EUlST_E1_NS1_11comp_targetILNS1_3genE3ELNS1_11target_archE908ELNS1_3gpuE7ELNS1_3repE0EEENS1_36merge_oddeven_config_static_selectorELNS0_4arch9wavefront6targetE1EEEvSF_,comdat
	.protected	_ZN7rocprim17ROCPRIM_400000_NS6detail17trampoline_kernelINS0_14default_configENS1_38merge_sort_block_merge_config_selectorIhNS0_10empty_typeEEEZZNS1_27merge_sort_block_merge_implIS3_PhPS5_jNS1_19radix_merge_compareILb1ELb1EhNS0_19identity_decomposerEEEEE10hipError_tT0_T1_T2_jT3_P12ihipStream_tbPNSt15iterator_traitsISE_E10value_typeEPNSK_ISF_E10value_typeEPSG_NS1_7vsmem_tEENKUlT_SE_SF_SG_E_clIS8_S8_S9_S9_EESD_ST_SE_SF_SG_EUlST_E1_NS1_11comp_targetILNS1_3genE3ELNS1_11target_archE908ELNS1_3gpuE7ELNS1_3repE0EEENS1_36merge_oddeven_config_static_selectorELNS0_4arch9wavefront6targetE1EEEvSF_ ; -- Begin function _ZN7rocprim17ROCPRIM_400000_NS6detail17trampoline_kernelINS0_14default_configENS1_38merge_sort_block_merge_config_selectorIhNS0_10empty_typeEEEZZNS1_27merge_sort_block_merge_implIS3_PhPS5_jNS1_19radix_merge_compareILb1ELb1EhNS0_19identity_decomposerEEEEE10hipError_tT0_T1_T2_jT3_P12ihipStream_tbPNSt15iterator_traitsISE_E10value_typeEPNSK_ISF_E10value_typeEPSG_NS1_7vsmem_tEENKUlT_SE_SF_SG_E_clIS8_S8_S9_S9_EESD_ST_SE_SF_SG_EUlST_E1_NS1_11comp_targetILNS1_3genE3ELNS1_11target_archE908ELNS1_3gpuE7ELNS1_3repE0EEENS1_36merge_oddeven_config_static_selectorELNS0_4arch9wavefront6targetE1EEEvSF_
	.globl	_ZN7rocprim17ROCPRIM_400000_NS6detail17trampoline_kernelINS0_14default_configENS1_38merge_sort_block_merge_config_selectorIhNS0_10empty_typeEEEZZNS1_27merge_sort_block_merge_implIS3_PhPS5_jNS1_19radix_merge_compareILb1ELb1EhNS0_19identity_decomposerEEEEE10hipError_tT0_T1_T2_jT3_P12ihipStream_tbPNSt15iterator_traitsISE_E10value_typeEPNSK_ISF_E10value_typeEPSG_NS1_7vsmem_tEENKUlT_SE_SF_SG_E_clIS8_S8_S9_S9_EESD_ST_SE_SF_SG_EUlST_E1_NS1_11comp_targetILNS1_3genE3ELNS1_11target_archE908ELNS1_3gpuE7ELNS1_3repE0EEENS1_36merge_oddeven_config_static_selectorELNS0_4arch9wavefront6targetE1EEEvSF_
	.p2align	8
	.type	_ZN7rocprim17ROCPRIM_400000_NS6detail17trampoline_kernelINS0_14default_configENS1_38merge_sort_block_merge_config_selectorIhNS0_10empty_typeEEEZZNS1_27merge_sort_block_merge_implIS3_PhPS5_jNS1_19radix_merge_compareILb1ELb1EhNS0_19identity_decomposerEEEEE10hipError_tT0_T1_T2_jT3_P12ihipStream_tbPNSt15iterator_traitsISE_E10value_typeEPNSK_ISF_E10value_typeEPSG_NS1_7vsmem_tEENKUlT_SE_SF_SG_E_clIS8_S8_S9_S9_EESD_ST_SE_SF_SG_EUlST_E1_NS1_11comp_targetILNS1_3genE3ELNS1_11target_archE908ELNS1_3gpuE7ELNS1_3repE0EEENS1_36merge_oddeven_config_static_selectorELNS0_4arch9wavefront6targetE1EEEvSF_,@function
_ZN7rocprim17ROCPRIM_400000_NS6detail17trampoline_kernelINS0_14default_configENS1_38merge_sort_block_merge_config_selectorIhNS0_10empty_typeEEEZZNS1_27merge_sort_block_merge_implIS3_PhPS5_jNS1_19radix_merge_compareILb1ELb1EhNS0_19identity_decomposerEEEEE10hipError_tT0_T1_T2_jT3_P12ihipStream_tbPNSt15iterator_traitsISE_E10value_typeEPNSK_ISF_E10value_typeEPSG_NS1_7vsmem_tEENKUlT_SE_SF_SG_E_clIS8_S8_S9_S9_EESD_ST_SE_SF_SG_EUlST_E1_NS1_11comp_targetILNS1_3genE3ELNS1_11target_archE908ELNS1_3gpuE7ELNS1_3repE0EEENS1_36merge_oddeven_config_static_selectorELNS0_4arch9wavefront6targetE1EEEvSF_: ; @_ZN7rocprim17ROCPRIM_400000_NS6detail17trampoline_kernelINS0_14default_configENS1_38merge_sort_block_merge_config_selectorIhNS0_10empty_typeEEEZZNS1_27merge_sort_block_merge_implIS3_PhPS5_jNS1_19radix_merge_compareILb1ELb1EhNS0_19identity_decomposerEEEEE10hipError_tT0_T1_T2_jT3_P12ihipStream_tbPNSt15iterator_traitsISE_E10value_typeEPNSK_ISF_E10value_typeEPSG_NS1_7vsmem_tEENKUlT_SE_SF_SG_E_clIS8_S8_S9_S9_EESD_ST_SE_SF_SG_EUlST_E1_NS1_11comp_targetILNS1_3genE3ELNS1_11target_archE908ELNS1_3gpuE7ELNS1_3repE0EEENS1_36merge_oddeven_config_static_selectorELNS0_4arch9wavefront6targetE1EEEvSF_
; %bb.0:
	.section	.rodata,"a",@progbits
	.p2align	6, 0x0
	.amdhsa_kernel _ZN7rocprim17ROCPRIM_400000_NS6detail17trampoline_kernelINS0_14default_configENS1_38merge_sort_block_merge_config_selectorIhNS0_10empty_typeEEEZZNS1_27merge_sort_block_merge_implIS3_PhPS5_jNS1_19radix_merge_compareILb1ELb1EhNS0_19identity_decomposerEEEEE10hipError_tT0_T1_T2_jT3_P12ihipStream_tbPNSt15iterator_traitsISE_E10value_typeEPNSK_ISF_E10value_typeEPSG_NS1_7vsmem_tEENKUlT_SE_SF_SG_E_clIS8_S8_S9_S9_EESD_ST_SE_SF_SG_EUlST_E1_NS1_11comp_targetILNS1_3genE3ELNS1_11target_archE908ELNS1_3gpuE7ELNS1_3repE0EEENS1_36merge_oddeven_config_static_selectorELNS0_4arch9wavefront6targetE1EEEvSF_
		.amdhsa_group_segment_fixed_size 0
		.amdhsa_private_segment_fixed_size 0
		.amdhsa_kernarg_size 48
		.amdhsa_user_sgpr_count 6
		.amdhsa_user_sgpr_private_segment_buffer 1
		.amdhsa_user_sgpr_dispatch_ptr 0
		.amdhsa_user_sgpr_queue_ptr 0
		.amdhsa_user_sgpr_kernarg_segment_ptr 1
		.amdhsa_user_sgpr_dispatch_id 0
		.amdhsa_user_sgpr_flat_scratch_init 0
		.amdhsa_user_sgpr_kernarg_preload_length 0
		.amdhsa_user_sgpr_kernarg_preload_offset 0
		.amdhsa_user_sgpr_private_segment_size 0
		.amdhsa_uses_dynamic_stack 0
		.amdhsa_system_sgpr_private_segment_wavefront_offset 0
		.amdhsa_system_sgpr_workgroup_id_x 1
		.amdhsa_system_sgpr_workgroup_id_y 0
		.amdhsa_system_sgpr_workgroup_id_z 0
		.amdhsa_system_sgpr_workgroup_info 0
		.amdhsa_system_vgpr_workitem_id 0
		.amdhsa_next_free_vgpr 1
		.amdhsa_next_free_sgpr 0
		.amdhsa_accum_offset 4
		.amdhsa_reserve_vcc 0
		.amdhsa_reserve_flat_scratch 0
		.amdhsa_float_round_mode_32 0
		.amdhsa_float_round_mode_16_64 0
		.amdhsa_float_denorm_mode_32 3
		.amdhsa_float_denorm_mode_16_64 3
		.amdhsa_dx10_clamp 1
		.amdhsa_ieee_mode 1
		.amdhsa_fp16_overflow 0
		.amdhsa_tg_split 0
		.amdhsa_exception_fp_ieee_invalid_op 0
		.amdhsa_exception_fp_denorm_src 0
		.amdhsa_exception_fp_ieee_div_zero 0
		.amdhsa_exception_fp_ieee_overflow 0
		.amdhsa_exception_fp_ieee_underflow 0
		.amdhsa_exception_fp_ieee_inexact 0
		.amdhsa_exception_int_div_zero 0
	.end_amdhsa_kernel
	.section	.text._ZN7rocprim17ROCPRIM_400000_NS6detail17trampoline_kernelINS0_14default_configENS1_38merge_sort_block_merge_config_selectorIhNS0_10empty_typeEEEZZNS1_27merge_sort_block_merge_implIS3_PhPS5_jNS1_19radix_merge_compareILb1ELb1EhNS0_19identity_decomposerEEEEE10hipError_tT0_T1_T2_jT3_P12ihipStream_tbPNSt15iterator_traitsISE_E10value_typeEPNSK_ISF_E10value_typeEPSG_NS1_7vsmem_tEENKUlT_SE_SF_SG_E_clIS8_S8_S9_S9_EESD_ST_SE_SF_SG_EUlST_E1_NS1_11comp_targetILNS1_3genE3ELNS1_11target_archE908ELNS1_3gpuE7ELNS1_3repE0EEENS1_36merge_oddeven_config_static_selectorELNS0_4arch9wavefront6targetE1EEEvSF_,"axG",@progbits,_ZN7rocprim17ROCPRIM_400000_NS6detail17trampoline_kernelINS0_14default_configENS1_38merge_sort_block_merge_config_selectorIhNS0_10empty_typeEEEZZNS1_27merge_sort_block_merge_implIS3_PhPS5_jNS1_19radix_merge_compareILb1ELb1EhNS0_19identity_decomposerEEEEE10hipError_tT0_T1_T2_jT3_P12ihipStream_tbPNSt15iterator_traitsISE_E10value_typeEPNSK_ISF_E10value_typeEPSG_NS1_7vsmem_tEENKUlT_SE_SF_SG_E_clIS8_S8_S9_S9_EESD_ST_SE_SF_SG_EUlST_E1_NS1_11comp_targetILNS1_3genE3ELNS1_11target_archE908ELNS1_3gpuE7ELNS1_3repE0EEENS1_36merge_oddeven_config_static_selectorELNS0_4arch9wavefront6targetE1EEEvSF_,comdat
.Lfunc_end1711:
	.size	_ZN7rocprim17ROCPRIM_400000_NS6detail17trampoline_kernelINS0_14default_configENS1_38merge_sort_block_merge_config_selectorIhNS0_10empty_typeEEEZZNS1_27merge_sort_block_merge_implIS3_PhPS5_jNS1_19radix_merge_compareILb1ELb1EhNS0_19identity_decomposerEEEEE10hipError_tT0_T1_T2_jT3_P12ihipStream_tbPNSt15iterator_traitsISE_E10value_typeEPNSK_ISF_E10value_typeEPSG_NS1_7vsmem_tEENKUlT_SE_SF_SG_E_clIS8_S8_S9_S9_EESD_ST_SE_SF_SG_EUlST_E1_NS1_11comp_targetILNS1_3genE3ELNS1_11target_archE908ELNS1_3gpuE7ELNS1_3repE0EEENS1_36merge_oddeven_config_static_selectorELNS0_4arch9wavefront6targetE1EEEvSF_, .Lfunc_end1711-_ZN7rocprim17ROCPRIM_400000_NS6detail17trampoline_kernelINS0_14default_configENS1_38merge_sort_block_merge_config_selectorIhNS0_10empty_typeEEEZZNS1_27merge_sort_block_merge_implIS3_PhPS5_jNS1_19radix_merge_compareILb1ELb1EhNS0_19identity_decomposerEEEEE10hipError_tT0_T1_T2_jT3_P12ihipStream_tbPNSt15iterator_traitsISE_E10value_typeEPNSK_ISF_E10value_typeEPSG_NS1_7vsmem_tEENKUlT_SE_SF_SG_E_clIS8_S8_S9_S9_EESD_ST_SE_SF_SG_EUlST_E1_NS1_11comp_targetILNS1_3genE3ELNS1_11target_archE908ELNS1_3gpuE7ELNS1_3repE0EEENS1_36merge_oddeven_config_static_selectorELNS0_4arch9wavefront6targetE1EEEvSF_
                                        ; -- End function
	.section	.AMDGPU.csdata,"",@progbits
; Kernel info:
; codeLenInByte = 0
; NumSgprs: 4
; NumVgprs: 0
; NumAgprs: 0
; TotalNumVgprs: 0
; ScratchSize: 0
; MemoryBound: 0
; FloatMode: 240
; IeeeMode: 1
; LDSByteSize: 0 bytes/workgroup (compile time only)
; SGPRBlocks: 0
; VGPRBlocks: 0
; NumSGPRsForWavesPerEU: 4
; NumVGPRsForWavesPerEU: 1
; AccumOffset: 4
; Occupancy: 8
; WaveLimiterHint : 0
; COMPUTE_PGM_RSRC2:SCRATCH_EN: 0
; COMPUTE_PGM_RSRC2:USER_SGPR: 6
; COMPUTE_PGM_RSRC2:TRAP_HANDLER: 0
; COMPUTE_PGM_RSRC2:TGID_X_EN: 1
; COMPUTE_PGM_RSRC2:TGID_Y_EN: 0
; COMPUTE_PGM_RSRC2:TGID_Z_EN: 0
; COMPUTE_PGM_RSRC2:TIDIG_COMP_CNT: 0
; COMPUTE_PGM_RSRC3_GFX90A:ACCUM_OFFSET: 0
; COMPUTE_PGM_RSRC3_GFX90A:TG_SPLIT: 0
	.section	.text._ZN7rocprim17ROCPRIM_400000_NS6detail17trampoline_kernelINS0_14default_configENS1_38merge_sort_block_merge_config_selectorIhNS0_10empty_typeEEEZZNS1_27merge_sort_block_merge_implIS3_PhPS5_jNS1_19radix_merge_compareILb1ELb1EhNS0_19identity_decomposerEEEEE10hipError_tT0_T1_T2_jT3_P12ihipStream_tbPNSt15iterator_traitsISE_E10value_typeEPNSK_ISF_E10value_typeEPSG_NS1_7vsmem_tEENKUlT_SE_SF_SG_E_clIS8_S8_S9_S9_EESD_ST_SE_SF_SG_EUlST_E1_NS1_11comp_targetILNS1_3genE2ELNS1_11target_archE906ELNS1_3gpuE6ELNS1_3repE0EEENS1_36merge_oddeven_config_static_selectorELNS0_4arch9wavefront6targetE1EEEvSF_,"axG",@progbits,_ZN7rocprim17ROCPRIM_400000_NS6detail17trampoline_kernelINS0_14default_configENS1_38merge_sort_block_merge_config_selectorIhNS0_10empty_typeEEEZZNS1_27merge_sort_block_merge_implIS3_PhPS5_jNS1_19radix_merge_compareILb1ELb1EhNS0_19identity_decomposerEEEEE10hipError_tT0_T1_T2_jT3_P12ihipStream_tbPNSt15iterator_traitsISE_E10value_typeEPNSK_ISF_E10value_typeEPSG_NS1_7vsmem_tEENKUlT_SE_SF_SG_E_clIS8_S8_S9_S9_EESD_ST_SE_SF_SG_EUlST_E1_NS1_11comp_targetILNS1_3genE2ELNS1_11target_archE906ELNS1_3gpuE6ELNS1_3repE0EEENS1_36merge_oddeven_config_static_selectorELNS0_4arch9wavefront6targetE1EEEvSF_,comdat
	.protected	_ZN7rocprim17ROCPRIM_400000_NS6detail17trampoline_kernelINS0_14default_configENS1_38merge_sort_block_merge_config_selectorIhNS0_10empty_typeEEEZZNS1_27merge_sort_block_merge_implIS3_PhPS5_jNS1_19radix_merge_compareILb1ELb1EhNS0_19identity_decomposerEEEEE10hipError_tT0_T1_T2_jT3_P12ihipStream_tbPNSt15iterator_traitsISE_E10value_typeEPNSK_ISF_E10value_typeEPSG_NS1_7vsmem_tEENKUlT_SE_SF_SG_E_clIS8_S8_S9_S9_EESD_ST_SE_SF_SG_EUlST_E1_NS1_11comp_targetILNS1_3genE2ELNS1_11target_archE906ELNS1_3gpuE6ELNS1_3repE0EEENS1_36merge_oddeven_config_static_selectorELNS0_4arch9wavefront6targetE1EEEvSF_ ; -- Begin function _ZN7rocprim17ROCPRIM_400000_NS6detail17trampoline_kernelINS0_14default_configENS1_38merge_sort_block_merge_config_selectorIhNS0_10empty_typeEEEZZNS1_27merge_sort_block_merge_implIS3_PhPS5_jNS1_19radix_merge_compareILb1ELb1EhNS0_19identity_decomposerEEEEE10hipError_tT0_T1_T2_jT3_P12ihipStream_tbPNSt15iterator_traitsISE_E10value_typeEPNSK_ISF_E10value_typeEPSG_NS1_7vsmem_tEENKUlT_SE_SF_SG_E_clIS8_S8_S9_S9_EESD_ST_SE_SF_SG_EUlST_E1_NS1_11comp_targetILNS1_3genE2ELNS1_11target_archE906ELNS1_3gpuE6ELNS1_3repE0EEENS1_36merge_oddeven_config_static_selectorELNS0_4arch9wavefront6targetE1EEEvSF_
	.globl	_ZN7rocprim17ROCPRIM_400000_NS6detail17trampoline_kernelINS0_14default_configENS1_38merge_sort_block_merge_config_selectorIhNS0_10empty_typeEEEZZNS1_27merge_sort_block_merge_implIS3_PhPS5_jNS1_19radix_merge_compareILb1ELb1EhNS0_19identity_decomposerEEEEE10hipError_tT0_T1_T2_jT3_P12ihipStream_tbPNSt15iterator_traitsISE_E10value_typeEPNSK_ISF_E10value_typeEPSG_NS1_7vsmem_tEENKUlT_SE_SF_SG_E_clIS8_S8_S9_S9_EESD_ST_SE_SF_SG_EUlST_E1_NS1_11comp_targetILNS1_3genE2ELNS1_11target_archE906ELNS1_3gpuE6ELNS1_3repE0EEENS1_36merge_oddeven_config_static_selectorELNS0_4arch9wavefront6targetE1EEEvSF_
	.p2align	8
	.type	_ZN7rocprim17ROCPRIM_400000_NS6detail17trampoline_kernelINS0_14default_configENS1_38merge_sort_block_merge_config_selectorIhNS0_10empty_typeEEEZZNS1_27merge_sort_block_merge_implIS3_PhPS5_jNS1_19radix_merge_compareILb1ELb1EhNS0_19identity_decomposerEEEEE10hipError_tT0_T1_T2_jT3_P12ihipStream_tbPNSt15iterator_traitsISE_E10value_typeEPNSK_ISF_E10value_typeEPSG_NS1_7vsmem_tEENKUlT_SE_SF_SG_E_clIS8_S8_S9_S9_EESD_ST_SE_SF_SG_EUlST_E1_NS1_11comp_targetILNS1_3genE2ELNS1_11target_archE906ELNS1_3gpuE6ELNS1_3repE0EEENS1_36merge_oddeven_config_static_selectorELNS0_4arch9wavefront6targetE1EEEvSF_,@function
_ZN7rocprim17ROCPRIM_400000_NS6detail17trampoline_kernelINS0_14default_configENS1_38merge_sort_block_merge_config_selectorIhNS0_10empty_typeEEEZZNS1_27merge_sort_block_merge_implIS3_PhPS5_jNS1_19radix_merge_compareILb1ELb1EhNS0_19identity_decomposerEEEEE10hipError_tT0_T1_T2_jT3_P12ihipStream_tbPNSt15iterator_traitsISE_E10value_typeEPNSK_ISF_E10value_typeEPSG_NS1_7vsmem_tEENKUlT_SE_SF_SG_E_clIS8_S8_S9_S9_EESD_ST_SE_SF_SG_EUlST_E1_NS1_11comp_targetILNS1_3genE2ELNS1_11target_archE906ELNS1_3gpuE6ELNS1_3repE0EEENS1_36merge_oddeven_config_static_selectorELNS0_4arch9wavefront6targetE1EEEvSF_: ; @_ZN7rocprim17ROCPRIM_400000_NS6detail17trampoline_kernelINS0_14default_configENS1_38merge_sort_block_merge_config_selectorIhNS0_10empty_typeEEEZZNS1_27merge_sort_block_merge_implIS3_PhPS5_jNS1_19radix_merge_compareILb1ELb1EhNS0_19identity_decomposerEEEEE10hipError_tT0_T1_T2_jT3_P12ihipStream_tbPNSt15iterator_traitsISE_E10value_typeEPNSK_ISF_E10value_typeEPSG_NS1_7vsmem_tEENKUlT_SE_SF_SG_E_clIS8_S8_S9_S9_EESD_ST_SE_SF_SG_EUlST_E1_NS1_11comp_targetILNS1_3genE2ELNS1_11target_archE906ELNS1_3gpuE6ELNS1_3repE0EEENS1_36merge_oddeven_config_static_selectorELNS0_4arch9wavefront6targetE1EEEvSF_
; %bb.0:
	.section	.rodata,"a",@progbits
	.p2align	6, 0x0
	.amdhsa_kernel _ZN7rocprim17ROCPRIM_400000_NS6detail17trampoline_kernelINS0_14default_configENS1_38merge_sort_block_merge_config_selectorIhNS0_10empty_typeEEEZZNS1_27merge_sort_block_merge_implIS3_PhPS5_jNS1_19radix_merge_compareILb1ELb1EhNS0_19identity_decomposerEEEEE10hipError_tT0_T1_T2_jT3_P12ihipStream_tbPNSt15iterator_traitsISE_E10value_typeEPNSK_ISF_E10value_typeEPSG_NS1_7vsmem_tEENKUlT_SE_SF_SG_E_clIS8_S8_S9_S9_EESD_ST_SE_SF_SG_EUlST_E1_NS1_11comp_targetILNS1_3genE2ELNS1_11target_archE906ELNS1_3gpuE6ELNS1_3repE0EEENS1_36merge_oddeven_config_static_selectorELNS0_4arch9wavefront6targetE1EEEvSF_
		.amdhsa_group_segment_fixed_size 0
		.amdhsa_private_segment_fixed_size 0
		.amdhsa_kernarg_size 48
		.amdhsa_user_sgpr_count 6
		.amdhsa_user_sgpr_private_segment_buffer 1
		.amdhsa_user_sgpr_dispatch_ptr 0
		.amdhsa_user_sgpr_queue_ptr 0
		.amdhsa_user_sgpr_kernarg_segment_ptr 1
		.amdhsa_user_sgpr_dispatch_id 0
		.amdhsa_user_sgpr_flat_scratch_init 0
		.amdhsa_user_sgpr_kernarg_preload_length 0
		.amdhsa_user_sgpr_kernarg_preload_offset 0
		.amdhsa_user_sgpr_private_segment_size 0
		.amdhsa_uses_dynamic_stack 0
		.amdhsa_system_sgpr_private_segment_wavefront_offset 0
		.amdhsa_system_sgpr_workgroup_id_x 1
		.amdhsa_system_sgpr_workgroup_id_y 0
		.amdhsa_system_sgpr_workgroup_id_z 0
		.amdhsa_system_sgpr_workgroup_info 0
		.amdhsa_system_vgpr_workitem_id 0
		.amdhsa_next_free_vgpr 1
		.amdhsa_next_free_sgpr 0
		.amdhsa_accum_offset 4
		.amdhsa_reserve_vcc 0
		.amdhsa_reserve_flat_scratch 0
		.amdhsa_float_round_mode_32 0
		.amdhsa_float_round_mode_16_64 0
		.amdhsa_float_denorm_mode_32 3
		.amdhsa_float_denorm_mode_16_64 3
		.amdhsa_dx10_clamp 1
		.amdhsa_ieee_mode 1
		.amdhsa_fp16_overflow 0
		.amdhsa_tg_split 0
		.amdhsa_exception_fp_ieee_invalid_op 0
		.amdhsa_exception_fp_denorm_src 0
		.amdhsa_exception_fp_ieee_div_zero 0
		.amdhsa_exception_fp_ieee_overflow 0
		.amdhsa_exception_fp_ieee_underflow 0
		.amdhsa_exception_fp_ieee_inexact 0
		.amdhsa_exception_int_div_zero 0
	.end_amdhsa_kernel
	.section	.text._ZN7rocprim17ROCPRIM_400000_NS6detail17trampoline_kernelINS0_14default_configENS1_38merge_sort_block_merge_config_selectorIhNS0_10empty_typeEEEZZNS1_27merge_sort_block_merge_implIS3_PhPS5_jNS1_19radix_merge_compareILb1ELb1EhNS0_19identity_decomposerEEEEE10hipError_tT0_T1_T2_jT3_P12ihipStream_tbPNSt15iterator_traitsISE_E10value_typeEPNSK_ISF_E10value_typeEPSG_NS1_7vsmem_tEENKUlT_SE_SF_SG_E_clIS8_S8_S9_S9_EESD_ST_SE_SF_SG_EUlST_E1_NS1_11comp_targetILNS1_3genE2ELNS1_11target_archE906ELNS1_3gpuE6ELNS1_3repE0EEENS1_36merge_oddeven_config_static_selectorELNS0_4arch9wavefront6targetE1EEEvSF_,"axG",@progbits,_ZN7rocprim17ROCPRIM_400000_NS6detail17trampoline_kernelINS0_14default_configENS1_38merge_sort_block_merge_config_selectorIhNS0_10empty_typeEEEZZNS1_27merge_sort_block_merge_implIS3_PhPS5_jNS1_19radix_merge_compareILb1ELb1EhNS0_19identity_decomposerEEEEE10hipError_tT0_T1_T2_jT3_P12ihipStream_tbPNSt15iterator_traitsISE_E10value_typeEPNSK_ISF_E10value_typeEPSG_NS1_7vsmem_tEENKUlT_SE_SF_SG_E_clIS8_S8_S9_S9_EESD_ST_SE_SF_SG_EUlST_E1_NS1_11comp_targetILNS1_3genE2ELNS1_11target_archE906ELNS1_3gpuE6ELNS1_3repE0EEENS1_36merge_oddeven_config_static_selectorELNS0_4arch9wavefront6targetE1EEEvSF_,comdat
.Lfunc_end1712:
	.size	_ZN7rocprim17ROCPRIM_400000_NS6detail17trampoline_kernelINS0_14default_configENS1_38merge_sort_block_merge_config_selectorIhNS0_10empty_typeEEEZZNS1_27merge_sort_block_merge_implIS3_PhPS5_jNS1_19radix_merge_compareILb1ELb1EhNS0_19identity_decomposerEEEEE10hipError_tT0_T1_T2_jT3_P12ihipStream_tbPNSt15iterator_traitsISE_E10value_typeEPNSK_ISF_E10value_typeEPSG_NS1_7vsmem_tEENKUlT_SE_SF_SG_E_clIS8_S8_S9_S9_EESD_ST_SE_SF_SG_EUlST_E1_NS1_11comp_targetILNS1_3genE2ELNS1_11target_archE906ELNS1_3gpuE6ELNS1_3repE0EEENS1_36merge_oddeven_config_static_selectorELNS0_4arch9wavefront6targetE1EEEvSF_, .Lfunc_end1712-_ZN7rocprim17ROCPRIM_400000_NS6detail17trampoline_kernelINS0_14default_configENS1_38merge_sort_block_merge_config_selectorIhNS0_10empty_typeEEEZZNS1_27merge_sort_block_merge_implIS3_PhPS5_jNS1_19radix_merge_compareILb1ELb1EhNS0_19identity_decomposerEEEEE10hipError_tT0_T1_T2_jT3_P12ihipStream_tbPNSt15iterator_traitsISE_E10value_typeEPNSK_ISF_E10value_typeEPSG_NS1_7vsmem_tEENKUlT_SE_SF_SG_E_clIS8_S8_S9_S9_EESD_ST_SE_SF_SG_EUlST_E1_NS1_11comp_targetILNS1_3genE2ELNS1_11target_archE906ELNS1_3gpuE6ELNS1_3repE0EEENS1_36merge_oddeven_config_static_selectorELNS0_4arch9wavefront6targetE1EEEvSF_
                                        ; -- End function
	.section	.AMDGPU.csdata,"",@progbits
; Kernel info:
; codeLenInByte = 0
; NumSgprs: 4
; NumVgprs: 0
; NumAgprs: 0
; TotalNumVgprs: 0
; ScratchSize: 0
; MemoryBound: 0
; FloatMode: 240
; IeeeMode: 1
; LDSByteSize: 0 bytes/workgroup (compile time only)
; SGPRBlocks: 0
; VGPRBlocks: 0
; NumSGPRsForWavesPerEU: 4
; NumVGPRsForWavesPerEU: 1
; AccumOffset: 4
; Occupancy: 8
; WaveLimiterHint : 0
; COMPUTE_PGM_RSRC2:SCRATCH_EN: 0
; COMPUTE_PGM_RSRC2:USER_SGPR: 6
; COMPUTE_PGM_RSRC2:TRAP_HANDLER: 0
; COMPUTE_PGM_RSRC2:TGID_X_EN: 1
; COMPUTE_PGM_RSRC2:TGID_Y_EN: 0
; COMPUTE_PGM_RSRC2:TGID_Z_EN: 0
; COMPUTE_PGM_RSRC2:TIDIG_COMP_CNT: 0
; COMPUTE_PGM_RSRC3_GFX90A:ACCUM_OFFSET: 0
; COMPUTE_PGM_RSRC3_GFX90A:TG_SPLIT: 0
	.section	.text._ZN7rocprim17ROCPRIM_400000_NS6detail17trampoline_kernelINS0_14default_configENS1_38merge_sort_block_merge_config_selectorIhNS0_10empty_typeEEEZZNS1_27merge_sort_block_merge_implIS3_PhPS5_jNS1_19radix_merge_compareILb1ELb1EhNS0_19identity_decomposerEEEEE10hipError_tT0_T1_T2_jT3_P12ihipStream_tbPNSt15iterator_traitsISE_E10value_typeEPNSK_ISF_E10value_typeEPSG_NS1_7vsmem_tEENKUlT_SE_SF_SG_E_clIS8_S8_S9_S9_EESD_ST_SE_SF_SG_EUlST_E1_NS1_11comp_targetILNS1_3genE9ELNS1_11target_archE1100ELNS1_3gpuE3ELNS1_3repE0EEENS1_36merge_oddeven_config_static_selectorELNS0_4arch9wavefront6targetE1EEEvSF_,"axG",@progbits,_ZN7rocprim17ROCPRIM_400000_NS6detail17trampoline_kernelINS0_14default_configENS1_38merge_sort_block_merge_config_selectorIhNS0_10empty_typeEEEZZNS1_27merge_sort_block_merge_implIS3_PhPS5_jNS1_19radix_merge_compareILb1ELb1EhNS0_19identity_decomposerEEEEE10hipError_tT0_T1_T2_jT3_P12ihipStream_tbPNSt15iterator_traitsISE_E10value_typeEPNSK_ISF_E10value_typeEPSG_NS1_7vsmem_tEENKUlT_SE_SF_SG_E_clIS8_S8_S9_S9_EESD_ST_SE_SF_SG_EUlST_E1_NS1_11comp_targetILNS1_3genE9ELNS1_11target_archE1100ELNS1_3gpuE3ELNS1_3repE0EEENS1_36merge_oddeven_config_static_selectorELNS0_4arch9wavefront6targetE1EEEvSF_,comdat
	.protected	_ZN7rocprim17ROCPRIM_400000_NS6detail17trampoline_kernelINS0_14default_configENS1_38merge_sort_block_merge_config_selectorIhNS0_10empty_typeEEEZZNS1_27merge_sort_block_merge_implIS3_PhPS5_jNS1_19radix_merge_compareILb1ELb1EhNS0_19identity_decomposerEEEEE10hipError_tT0_T1_T2_jT3_P12ihipStream_tbPNSt15iterator_traitsISE_E10value_typeEPNSK_ISF_E10value_typeEPSG_NS1_7vsmem_tEENKUlT_SE_SF_SG_E_clIS8_S8_S9_S9_EESD_ST_SE_SF_SG_EUlST_E1_NS1_11comp_targetILNS1_3genE9ELNS1_11target_archE1100ELNS1_3gpuE3ELNS1_3repE0EEENS1_36merge_oddeven_config_static_selectorELNS0_4arch9wavefront6targetE1EEEvSF_ ; -- Begin function _ZN7rocprim17ROCPRIM_400000_NS6detail17trampoline_kernelINS0_14default_configENS1_38merge_sort_block_merge_config_selectorIhNS0_10empty_typeEEEZZNS1_27merge_sort_block_merge_implIS3_PhPS5_jNS1_19radix_merge_compareILb1ELb1EhNS0_19identity_decomposerEEEEE10hipError_tT0_T1_T2_jT3_P12ihipStream_tbPNSt15iterator_traitsISE_E10value_typeEPNSK_ISF_E10value_typeEPSG_NS1_7vsmem_tEENKUlT_SE_SF_SG_E_clIS8_S8_S9_S9_EESD_ST_SE_SF_SG_EUlST_E1_NS1_11comp_targetILNS1_3genE9ELNS1_11target_archE1100ELNS1_3gpuE3ELNS1_3repE0EEENS1_36merge_oddeven_config_static_selectorELNS0_4arch9wavefront6targetE1EEEvSF_
	.globl	_ZN7rocprim17ROCPRIM_400000_NS6detail17trampoline_kernelINS0_14default_configENS1_38merge_sort_block_merge_config_selectorIhNS0_10empty_typeEEEZZNS1_27merge_sort_block_merge_implIS3_PhPS5_jNS1_19radix_merge_compareILb1ELb1EhNS0_19identity_decomposerEEEEE10hipError_tT0_T1_T2_jT3_P12ihipStream_tbPNSt15iterator_traitsISE_E10value_typeEPNSK_ISF_E10value_typeEPSG_NS1_7vsmem_tEENKUlT_SE_SF_SG_E_clIS8_S8_S9_S9_EESD_ST_SE_SF_SG_EUlST_E1_NS1_11comp_targetILNS1_3genE9ELNS1_11target_archE1100ELNS1_3gpuE3ELNS1_3repE0EEENS1_36merge_oddeven_config_static_selectorELNS0_4arch9wavefront6targetE1EEEvSF_
	.p2align	8
	.type	_ZN7rocprim17ROCPRIM_400000_NS6detail17trampoline_kernelINS0_14default_configENS1_38merge_sort_block_merge_config_selectorIhNS0_10empty_typeEEEZZNS1_27merge_sort_block_merge_implIS3_PhPS5_jNS1_19radix_merge_compareILb1ELb1EhNS0_19identity_decomposerEEEEE10hipError_tT0_T1_T2_jT3_P12ihipStream_tbPNSt15iterator_traitsISE_E10value_typeEPNSK_ISF_E10value_typeEPSG_NS1_7vsmem_tEENKUlT_SE_SF_SG_E_clIS8_S8_S9_S9_EESD_ST_SE_SF_SG_EUlST_E1_NS1_11comp_targetILNS1_3genE9ELNS1_11target_archE1100ELNS1_3gpuE3ELNS1_3repE0EEENS1_36merge_oddeven_config_static_selectorELNS0_4arch9wavefront6targetE1EEEvSF_,@function
_ZN7rocprim17ROCPRIM_400000_NS6detail17trampoline_kernelINS0_14default_configENS1_38merge_sort_block_merge_config_selectorIhNS0_10empty_typeEEEZZNS1_27merge_sort_block_merge_implIS3_PhPS5_jNS1_19radix_merge_compareILb1ELb1EhNS0_19identity_decomposerEEEEE10hipError_tT0_T1_T2_jT3_P12ihipStream_tbPNSt15iterator_traitsISE_E10value_typeEPNSK_ISF_E10value_typeEPSG_NS1_7vsmem_tEENKUlT_SE_SF_SG_E_clIS8_S8_S9_S9_EESD_ST_SE_SF_SG_EUlST_E1_NS1_11comp_targetILNS1_3genE9ELNS1_11target_archE1100ELNS1_3gpuE3ELNS1_3repE0EEENS1_36merge_oddeven_config_static_selectorELNS0_4arch9wavefront6targetE1EEEvSF_: ; @_ZN7rocprim17ROCPRIM_400000_NS6detail17trampoline_kernelINS0_14default_configENS1_38merge_sort_block_merge_config_selectorIhNS0_10empty_typeEEEZZNS1_27merge_sort_block_merge_implIS3_PhPS5_jNS1_19radix_merge_compareILb1ELb1EhNS0_19identity_decomposerEEEEE10hipError_tT0_T1_T2_jT3_P12ihipStream_tbPNSt15iterator_traitsISE_E10value_typeEPNSK_ISF_E10value_typeEPSG_NS1_7vsmem_tEENKUlT_SE_SF_SG_E_clIS8_S8_S9_S9_EESD_ST_SE_SF_SG_EUlST_E1_NS1_11comp_targetILNS1_3genE9ELNS1_11target_archE1100ELNS1_3gpuE3ELNS1_3repE0EEENS1_36merge_oddeven_config_static_selectorELNS0_4arch9wavefront6targetE1EEEvSF_
; %bb.0:
	.section	.rodata,"a",@progbits
	.p2align	6, 0x0
	.amdhsa_kernel _ZN7rocprim17ROCPRIM_400000_NS6detail17trampoline_kernelINS0_14default_configENS1_38merge_sort_block_merge_config_selectorIhNS0_10empty_typeEEEZZNS1_27merge_sort_block_merge_implIS3_PhPS5_jNS1_19radix_merge_compareILb1ELb1EhNS0_19identity_decomposerEEEEE10hipError_tT0_T1_T2_jT3_P12ihipStream_tbPNSt15iterator_traitsISE_E10value_typeEPNSK_ISF_E10value_typeEPSG_NS1_7vsmem_tEENKUlT_SE_SF_SG_E_clIS8_S8_S9_S9_EESD_ST_SE_SF_SG_EUlST_E1_NS1_11comp_targetILNS1_3genE9ELNS1_11target_archE1100ELNS1_3gpuE3ELNS1_3repE0EEENS1_36merge_oddeven_config_static_selectorELNS0_4arch9wavefront6targetE1EEEvSF_
		.amdhsa_group_segment_fixed_size 0
		.amdhsa_private_segment_fixed_size 0
		.amdhsa_kernarg_size 48
		.amdhsa_user_sgpr_count 6
		.amdhsa_user_sgpr_private_segment_buffer 1
		.amdhsa_user_sgpr_dispatch_ptr 0
		.amdhsa_user_sgpr_queue_ptr 0
		.amdhsa_user_sgpr_kernarg_segment_ptr 1
		.amdhsa_user_sgpr_dispatch_id 0
		.amdhsa_user_sgpr_flat_scratch_init 0
		.amdhsa_user_sgpr_kernarg_preload_length 0
		.amdhsa_user_sgpr_kernarg_preload_offset 0
		.amdhsa_user_sgpr_private_segment_size 0
		.amdhsa_uses_dynamic_stack 0
		.amdhsa_system_sgpr_private_segment_wavefront_offset 0
		.amdhsa_system_sgpr_workgroup_id_x 1
		.amdhsa_system_sgpr_workgroup_id_y 0
		.amdhsa_system_sgpr_workgroup_id_z 0
		.amdhsa_system_sgpr_workgroup_info 0
		.amdhsa_system_vgpr_workitem_id 0
		.amdhsa_next_free_vgpr 1
		.amdhsa_next_free_sgpr 0
		.amdhsa_accum_offset 4
		.amdhsa_reserve_vcc 0
		.amdhsa_reserve_flat_scratch 0
		.amdhsa_float_round_mode_32 0
		.amdhsa_float_round_mode_16_64 0
		.amdhsa_float_denorm_mode_32 3
		.amdhsa_float_denorm_mode_16_64 3
		.amdhsa_dx10_clamp 1
		.amdhsa_ieee_mode 1
		.amdhsa_fp16_overflow 0
		.amdhsa_tg_split 0
		.amdhsa_exception_fp_ieee_invalid_op 0
		.amdhsa_exception_fp_denorm_src 0
		.amdhsa_exception_fp_ieee_div_zero 0
		.amdhsa_exception_fp_ieee_overflow 0
		.amdhsa_exception_fp_ieee_underflow 0
		.amdhsa_exception_fp_ieee_inexact 0
		.amdhsa_exception_int_div_zero 0
	.end_amdhsa_kernel
	.section	.text._ZN7rocprim17ROCPRIM_400000_NS6detail17trampoline_kernelINS0_14default_configENS1_38merge_sort_block_merge_config_selectorIhNS0_10empty_typeEEEZZNS1_27merge_sort_block_merge_implIS3_PhPS5_jNS1_19radix_merge_compareILb1ELb1EhNS0_19identity_decomposerEEEEE10hipError_tT0_T1_T2_jT3_P12ihipStream_tbPNSt15iterator_traitsISE_E10value_typeEPNSK_ISF_E10value_typeEPSG_NS1_7vsmem_tEENKUlT_SE_SF_SG_E_clIS8_S8_S9_S9_EESD_ST_SE_SF_SG_EUlST_E1_NS1_11comp_targetILNS1_3genE9ELNS1_11target_archE1100ELNS1_3gpuE3ELNS1_3repE0EEENS1_36merge_oddeven_config_static_selectorELNS0_4arch9wavefront6targetE1EEEvSF_,"axG",@progbits,_ZN7rocprim17ROCPRIM_400000_NS6detail17trampoline_kernelINS0_14default_configENS1_38merge_sort_block_merge_config_selectorIhNS0_10empty_typeEEEZZNS1_27merge_sort_block_merge_implIS3_PhPS5_jNS1_19radix_merge_compareILb1ELb1EhNS0_19identity_decomposerEEEEE10hipError_tT0_T1_T2_jT3_P12ihipStream_tbPNSt15iterator_traitsISE_E10value_typeEPNSK_ISF_E10value_typeEPSG_NS1_7vsmem_tEENKUlT_SE_SF_SG_E_clIS8_S8_S9_S9_EESD_ST_SE_SF_SG_EUlST_E1_NS1_11comp_targetILNS1_3genE9ELNS1_11target_archE1100ELNS1_3gpuE3ELNS1_3repE0EEENS1_36merge_oddeven_config_static_selectorELNS0_4arch9wavefront6targetE1EEEvSF_,comdat
.Lfunc_end1713:
	.size	_ZN7rocprim17ROCPRIM_400000_NS6detail17trampoline_kernelINS0_14default_configENS1_38merge_sort_block_merge_config_selectorIhNS0_10empty_typeEEEZZNS1_27merge_sort_block_merge_implIS3_PhPS5_jNS1_19radix_merge_compareILb1ELb1EhNS0_19identity_decomposerEEEEE10hipError_tT0_T1_T2_jT3_P12ihipStream_tbPNSt15iterator_traitsISE_E10value_typeEPNSK_ISF_E10value_typeEPSG_NS1_7vsmem_tEENKUlT_SE_SF_SG_E_clIS8_S8_S9_S9_EESD_ST_SE_SF_SG_EUlST_E1_NS1_11comp_targetILNS1_3genE9ELNS1_11target_archE1100ELNS1_3gpuE3ELNS1_3repE0EEENS1_36merge_oddeven_config_static_selectorELNS0_4arch9wavefront6targetE1EEEvSF_, .Lfunc_end1713-_ZN7rocprim17ROCPRIM_400000_NS6detail17trampoline_kernelINS0_14default_configENS1_38merge_sort_block_merge_config_selectorIhNS0_10empty_typeEEEZZNS1_27merge_sort_block_merge_implIS3_PhPS5_jNS1_19radix_merge_compareILb1ELb1EhNS0_19identity_decomposerEEEEE10hipError_tT0_T1_T2_jT3_P12ihipStream_tbPNSt15iterator_traitsISE_E10value_typeEPNSK_ISF_E10value_typeEPSG_NS1_7vsmem_tEENKUlT_SE_SF_SG_E_clIS8_S8_S9_S9_EESD_ST_SE_SF_SG_EUlST_E1_NS1_11comp_targetILNS1_3genE9ELNS1_11target_archE1100ELNS1_3gpuE3ELNS1_3repE0EEENS1_36merge_oddeven_config_static_selectorELNS0_4arch9wavefront6targetE1EEEvSF_
                                        ; -- End function
	.section	.AMDGPU.csdata,"",@progbits
; Kernel info:
; codeLenInByte = 0
; NumSgprs: 4
; NumVgprs: 0
; NumAgprs: 0
; TotalNumVgprs: 0
; ScratchSize: 0
; MemoryBound: 0
; FloatMode: 240
; IeeeMode: 1
; LDSByteSize: 0 bytes/workgroup (compile time only)
; SGPRBlocks: 0
; VGPRBlocks: 0
; NumSGPRsForWavesPerEU: 4
; NumVGPRsForWavesPerEU: 1
; AccumOffset: 4
; Occupancy: 8
; WaveLimiterHint : 0
; COMPUTE_PGM_RSRC2:SCRATCH_EN: 0
; COMPUTE_PGM_RSRC2:USER_SGPR: 6
; COMPUTE_PGM_RSRC2:TRAP_HANDLER: 0
; COMPUTE_PGM_RSRC2:TGID_X_EN: 1
; COMPUTE_PGM_RSRC2:TGID_Y_EN: 0
; COMPUTE_PGM_RSRC2:TGID_Z_EN: 0
; COMPUTE_PGM_RSRC2:TIDIG_COMP_CNT: 0
; COMPUTE_PGM_RSRC3_GFX90A:ACCUM_OFFSET: 0
; COMPUTE_PGM_RSRC3_GFX90A:TG_SPLIT: 0
	.section	.text._ZN7rocprim17ROCPRIM_400000_NS6detail17trampoline_kernelINS0_14default_configENS1_38merge_sort_block_merge_config_selectorIhNS0_10empty_typeEEEZZNS1_27merge_sort_block_merge_implIS3_PhPS5_jNS1_19radix_merge_compareILb1ELb1EhNS0_19identity_decomposerEEEEE10hipError_tT0_T1_T2_jT3_P12ihipStream_tbPNSt15iterator_traitsISE_E10value_typeEPNSK_ISF_E10value_typeEPSG_NS1_7vsmem_tEENKUlT_SE_SF_SG_E_clIS8_S8_S9_S9_EESD_ST_SE_SF_SG_EUlST_E1_NS1_11comp_targetILNS1_3genE8ELNS1_11target_archE1030ELNS1_3gpuE2ELNS1_3repE0EEENS1_36merge_oddeven_config_static_selectorELNS0_4arch9wavefront6targetE1EEEvSF_,"axG",@progbits,_ZN7rocprim17ROCPRIM_400000_NS6detail17trampoline_kernelINS0_14default_configENS1_38merge_sort_block_merge_config_selectorIhNS0_10empty_typeEEEZZNS1_27merge_sort_block_merge_implIS3_PhPS5_jNS1_19radix_merge_compareILb1ELb1EhNS0_19identity_decomposerEEEEE10hipError_tT0_T1_T2_jT3_P12ihipStream_tbPNSt15iterator_traitsISE_E10value_typeEPNSK_ISF_E10value_typeEPSG_NS1_7vsmem_tEENKUlT_SE_SF_SG_E_clIS8_S8_S9_S9_EESD_ST_SE_SF_SG_EUlST_E1_NS1_11comp_targetILNS1_3genE8ELNS1_11target_archE1030ELNS1_3gpuE2ELNS1_3repE0EEENS1_36merge_oddeven_config_static_selectorELNS0_4arch9wavefront6targetE1EEEvSF_,comdat
	.protected	_ZN7rocprim17ROCPRIM_400000_NS6detail17trampoline_kernelINS0_14default_configENS1_38merge_sort_block_merge_config_selectorIhNS0_10empty_typeEEEZZNS1_27merge_sort_block_merge_implIS3_PhPS5_jNS1_19radix_merge_compareILb1ELb1EhNS0_19identity_decomposerEEEEE10hipError_tT0_T1_T2_jT3_P12ihipStream_tbPNSt15iterator_traitsISE_E10value_typeEPNSK_ISF_E10value_typeEPSG_NS1_7vsmem_tEENKUlT_SE_SF_SG_E_clIS8_S8_S9_S9_EESD_ST_SE_SF_SG_EUlST_E1_NS1_11comp_targetILNS1_3genE8ELNS1_11target_archE1030ELNS1_3gpuE2ELNS1_3repE0EEENS1_36merge_oddeven_config_static_selectorELNS0_4arch9wavefront6targetE1EEEvSF_ ; -- Begin function _ZN7rocprim17ROCPRIM_400000_NS6detail17trampoline_kernelINS0_14default_configENS1_38merge_sort_block_merge_config_selectorIhNS0_10empty_typeEEEZZNS1_27merge_sort_block_merge_implIS3_PhPS5_jNS1_19radix_merge_compareILb1ELb1EhNS0_19identity_decomposerEEEEE10hipError_tT0_T1_T2_jT3_P12ihipStream_tbPNSt15iterator_traitsISE_E10value_typeEPNSK_ISF_E10value_typeEPSG_NS1_7vsmem_tEENKUlT_SE_SF_SG_E_clIS8_S8_S9_S9_EESD_ST_SE_SF_SG_EUlST_E1_NS1_11comp_targetILNS1_3genE8ELNS1_11target_archE1030ELNS1_3gpuE2ELNS1_3repE0EEENS1_36merge_oddeven_config_static_selectorELNS0_4arch9wavefront6targetE1EEEvSF_
	.globl	_ZN7rocprim17ROCPRIM_400000_NS6detail17trampoline_kernelINS0_14default_configENS1_38merge_sort_block_merge_config_selectorIhNS0_10empty_typeEEEZZNS1_27merge_sort_block_merge_implIS3_PhPS5_jNS1_19radix_merge_compareILb1ELb1EhNS0_19identity_decomposerEEEEE10hipError_tT0_T1_T2_jT3_P12ihipStream_tbPNSt15iterator_traitsISE_E10value_typeEPNSK_ISF_E10value_typeEPSG_NS1_7vsmem_tEENKUlT_SE_SF_SG_E_clIS8_S8_S9_S9_EESD_ST_SE_SF_SG_EUlST_E1_NS1_11comp_targetILNS1_3genE8ELNS1_11target_archE1030ELNS1_3gpuE2ELNS1_3repE0EEENS1_36merge_oddeven_config_static_selectorELNS0_4arch9wavefront6targetE1EEEvSF_
	.p2align	8
	.type	_ZN7rocprim17ROCPRIM_400000_NS6detail17trampoline_kernelINS0_14default_configENS1_38merge_sort_block_merge_config_selectorIhNS0_10empty_typeEEEZZNS1_27merge_sort_block_merge_implIS3_PhPS5_jNS1_19radix_merge_compareILb1ELb1EhNS0_19identity_decomposerEEEEE10hipError_tT0_T1_T2_jT3_P12ihipStream_tbPNSt15iterator_traitsISE_E10value_typeEPNSK_ISF_E10value_typeEPSG_NS1_7vsmem_tEENKUlT_SE_SF_SG_E_clIS8_S8_S9_S9_EESD_ST_SE_SF_SG_EUlST_E1_NS1_11comp_targetILNS1_3genE8ELNS1_11target_archE1030ELNS1_3gpuE2ELNS1_3repE0EEENS1_36merge_oddeven_config_static_selectorELNS0_4arch9wavefront6targetE1EEEvSF_,@function
_ZN7rocprim17ROCPRIM_400000_NS6detail17trampoline_kernelINS0_14default_configENS1_38merge_sort_block_merge_config_selectorIhNS0_10empty_typeEEEZZNS1_27merge_sort_block_merge_implIS3_PhPS5_jNS1_19radix_merge_compareILb1ELb1EhNS0_19identity_decomposerEEEEE10hipError_tT0_T1_T2_jT3_P12ihipStream_tbPNSt15iterator_traitsISE_E10value_typeEPNSK_ISF_E10value_typeEPSG_NS1_7vsmem_tEENKUlT_SE_SF_SG_E_clIS8_S8_S9_S9_EESD_ST_SE_SF_SG_EUlST_E1_NS1_11comp_targetILNS1_3genE8ELNS1_11target_archE1030ELNS1_3gpuE2ELNS1_3repE0EEENS1_36merge_oddeven_config_static_selectorELNS0_4arch9wavefront6targetE1EEEvSF_: ; @_ZN7rocprim17ROCPRIM_400000_NS6detail17trampoline_kernelINS0_14default_configENS1_38merge_sort_block_merge_config_selectorIhNS0_10empty_typeEEEZZNS1_27merge_sort_block_merge_implIS3_PhPS5_jNS1_19radix_merge_compareILb1ELb1EhNS0_19identity_decomposerEEEEE10hipError_tT0_T1_T2_jT3_P12ihipStream_tbPNSt15iterator_traitsISE_E10value_typeEPNSK_ISF_E10value_typeEPSG_NS1_7vsmem_tEENKUlT_SE_SF_SG_E_clIS8_S8_S9_S9_EESD_ST_SE_SF_SG_EUlST_E1_NS1_11comp_targetILNS1_3genE8ELNS1_11target_archE1030ELNS1_3gpuE2ELNS1_3repE0EEENS1_36merge_oddeven_config_static_selectorELNS0_4arch9wavefront6targetE1EEEvSF_
; %bb.0:
	.section	.rodata,"a",@progbits
	.p2align	6, 0x0
	.amdhsa_kernel _ZN7rocprim17ROCPRIM_400000_NS6detail17trampoline_kernelINS0_14default_configENS1_38merge_sort_block_merge_config_selectorIhNS0_10empty_typeEEEZZNS1_27merge_sort_block_merge_implIS3_PhPS5_jNS1_19radix_merge_compareILb1ELb1EhNS0_19identity_decomposerEEEEE10hipError_tT0_T1_T2_jT3_P12ihipStream_tbPNSt15iterator_traitsISE_E10value_typeEPNSK_ISF_E10value_typeEPSG_NS1_7vsmem_tEENKUlT_SE_SF_SG_E_clIS8_S8_S9_S9_EESD_ST_SE_SF_SG_EUlST_E1_NS1_11comp_targetILNS1_3genE8ELNS1_11target_archE1030ELNS1_3gpuE2ELNS1_3repE0EEENS1_36merge_oddeven_config_static_selectorELNS0_4arch9wavefront6targetE1EEEvSF_
		.amdhsa_group_segment_fixed_size 0
		.amdhsa_private_segment_fixed_size 0
		.amdhsa_kernarg_size 48
		.amdhsa_user_sgpr_count 6
		.amdhsa_user_sgpr_private_segment_buffer 1
		.amdhsa_user_sgpr_dispatch_ptr 0
		.amdhsa_user_sgpr_queue_ptr 0
		.amdhsa_user_sgpr_kernarg_segment_ptr 1
		.amdhsa_user_sgpr_dispatch_id 0
		.amdhsa_user_sgpr_flat_scratch_init 0
		.amdhsa_user_sgpr_kernarg_preload_length 0
		.amdhsa_user_sgpr_kernarg_preload_offset 0
		.amdhsa_user_sgpr_private_segment_size 0
		.amdhsa_uses_dynamic_stack 0
		.amdhsa_system_sgpr_private_segment_wavefront_offset 0
		.amdhsa_system_sgpr_workgroup_id_x 1
		.amdhsa_system_sgpr_workgroup_id_y 0
		.amdhsa_system_sgpr_workgroup_id_z 0
		.amdhsa_system_sgpr_workgroup_info 0
		.amdhsa_system_vgpr_workitem_id 0
		.amdhsa_next_free_vgpr 1
		.amdhsa_next_free_sgpr 0
		.amdhsa_accum_offset 4
		.amdhsa_reserve_vcc 0
		.amdhsa_reserve_flat_scratch 0
		.amdhsa_float_round_mode_32 0
		.amdhsa_float_round_mode_16_64 0
		.amdhsa_float_denorm_mode_32 3
		.amdhsa_float_denorm_mode_16_64 3
		.amdhsa_dx10_clamp 1
		.amdhsa_ieee_mode 1
		.amdhsa_fp16_overflow 0
		.amdhsa_tg_split 0
		.amdhsa_exception_fp_ieee_invalid_op 0
		.amdhsa_exception_fp_denorm_src 0
		.amdhsa_exception_fp_ieee_div_zero 0
		.amdhsa_exception_fp_ieee_overflow 0
		.amdhsa_exception_fp_ieee_underflow 0
		.amdhsa_exception_fp_ieee_inexact 0
		.amdhsa_exception_int_div_zero 0
	.end_amdhsa_kernel
	.section	.text._ZN7rocprim17ROCPRIM_400000_NS6detail17trampoline_kernelINS0_14default_configENS1_38merge_sort_block_merge_config_selectorIhNS0_10empty_typeEEEZZNS1_27merge_sort_block_merge_implIS3_PhPS5_jNS1_19radix_merge_compareILb1ELb1EhNS0_19identity_decomposerEEEEE10hipError_tT0_T1_T2_jT3_P12ihipStream_tbPNSt15iterator_traitsISE_E10value_typeEPNSK_ISF_E10value_typeEPSG_NS1_7vsmem_tEENKUlT_SE_SF_SG_E_clIS8_S8_S9_S9_EESD_ST_SE_SF_SG_EUlST_E1_NS1_11comp_targetILNS1_3genE8ELNS1_11target_archE1030ELNS1_3gpuE2ELNS1_3repE0EEENS1_36merge_oddeven_config_static_selectorELNS0_4arch9wavefront6targetE1EEEvSF_,"axG",@progbits,_ZN7rocprim17ROCPRIM_400000_NS6detail17trampoline_kernelINS0_14default_configENS1_38merge_sort_block_merge_config_selectorIhNS0_10empty_typeEEEZZNS1_27merge_sort_block_merge_implIS3_PhPS5_jNS1_19radix_merge_compareILb1ELb1EhNS0_19identity_decomposerEEEEE10hipError_tT0_T1_T2_jT3_P12ihipStream_tbPNSt15iterator_traitsISE_E10value_typeEPNSK_ISF_E10value_typeEPSG_NS1_7vsmem_tEENKUlT_SE_SF_SG_E_clIS8_S8_S9_S9_EESD_ST_SE_SF_SG_EUlST_E1_NS1_11comp_targetILNS1_3genE8ELNS1_11target_archE1030ELNS1_3gpuE2ELNS1_3repE0EEENS1_36merge_oddeven_config_static_selectorELNS0_4arch9wavefront6targetE1EEEvSF_,comdat
.Lfunc_end1714:
	.size	_ZN7rocprim17ROCPRIM_400000_NS6detail17trampoline_kernelINS0_14default_configENS1_38merge_sort_block_merge_config_selectorIhNS0_10empty_typeEEEZZNS1_27merge_sort_block_merge_implIS3_PhPS5_jNS1_19radix_merge_compareILb1ELb1EhNS0_19identity_decomposerEEEEE10hipError_tT0_T1_T2_jT3_P12ihipStream_tbPNSt15iterator_traitsISE_E10value_typeEPNSK_ISF_E10value_typeEPSG_NS1_7vsmem_tEENKUlT_SE_SF_SG_E_clIS8_S8_S9_S9_EESD_ST_SE_SF_SG_EUlST_E1_NS1_11comp_targetILNS1_3genE8ELNS1_11target_archE1030ELNS1_3gpuE2ELNS1_3repE0EEENS1_36merge_oddeven_config_static_selectorELNS0_4arch9wavefront6targetE1EEEvSF_, .Lfunc_end1714-_ZN7rocprim17ROCPRIM_400000_NS6detail17trampoline_kernelINS0_14default_configENS1_38merge_sort_block_merge_config_selectorIhNS0_10empty_typeEEEZZNS1_27merge_sort_block_merge_implIS3_PhPS5_jNS1_19radix_merge_compareILb1ELb1EhNS0_19identity_decomposerEEEEE10hipError_tT0_T1_T2_jT3_P12ihipStream_tbPNSt15iterator_traitsISE_E10value_typeEPNSK_ISF_E10value_typeEPSG_NS1_7vsmem_tEENKUlT_SE_SF_SG_E_clIS8_S8_S9_S9_EESD_ST_SE_SF_SG_EUlST_E1_NS1_11comp_targetILNS1_3genE8ELNS1_11target_archE1030ELNS1_3gpuE2ELNS1_3repE0EEENS1_36merge_oddeven_config_static_selectorELNS0_4arch9wavefront6targetE1EEEvSF_
                                        ; -- End function
	.section	.AMDGPU.csdata,"",@progbits
; Kernel info:
; codeLenInByte = 0
; NumSgprs: 4
; NumVgprs: 0
; NumAgprs: 0
; TotalNumVgprs: 0
; ScratchSize: 0
; MemoryBound: 0
; FloatMode: 240
; IeeeMode: 1
; LDSByteSize: 0 bytes/workgroup (compile time only)
; SGPRBlocks: 0
; VGPRBlocks: 0
; NumSGPRsForWavesPerEU: 4
; NumVGPRsForWavesPerEU: 1
; AccumOffset: 4
; Occupancy: 8
; WaveLimiterHint : 0
; COMPUTE_PGM_RSRC2:SCRATCH_EN: 0
; COMPUTE_PGM_RSRC2:USER_SGPR: 6
; COMPUTE_PGM_RSRC2:TRAP_HANDLER: 0
; COMPUTE_PGM_RSRC2:TGID_X_EN: 1
; COMPUTE_PGM_RSRC2:TGID_Y_EN: 0
; COMPUTE_PGM_RSRC2:TGID_Z_EN: 0
; COMPUTE_PGM_RSRC2:TIDIG_COMP_CNT: 0
; COMPUTE_PGM_RSRC3_GFX90A:ACCUM_OFFSET: 0
; COMPUTE_PGM_RSRC3_GFX90A:TG_SPLIT: 0
	.section	.text._ZN7rocprim17ROCPRIM_400000_NS6detail17trampoline_kernelINS0_14default_configENS1_35radix_sort_onesweep_config_selectorIhNS0_10empty_typeEEEZNS1_34radix_sort_onesweep_global_offsetsIS3_Lb1EPhPS5_mNS0_19identity_decomposerEEE10hipError_tT1_T2_PT3_SE_jT4_jjP12ihipStream_tbEUlT_E_NS1_11comp_targetILNS1_3genE0ELNS1_11target_archE4294967295ELNS1_3gpuE0ELNS1_3repE0EEENS1_52radix_sort_onesweep_histogram_config_static_selectorELNS0_4arch9wavefront6targetE1EEEvSC_,"axG",@progbits,_ZN7rocprim17ROCPRIM_400000_NS6detail17trampoline_kernelINS0_14default_configENS1_35radix_sort_onesweep_config_selectorIhNS0_10empty_typeEEEZNS1_34radix_sort_onesweep_global_offsetsIS3_Lb1EPhPS5_mNS0_19identity_decomposerEEE10hipError_tT1_T2_PT3_SE_jT4_jjP12ihipStream_tbEUlT_E_NS1_11comp_targetILNS1_3genE0ELNS1_11target_archE4294967295ELNS1_3gpuE0ELNS1_3repE0EEENS1_52radix_sort_onesweep_histogram_config_static_selectorELNS0_4arch9wavefront6targetE1EEEvSC_,comdat
	.protected	_ZN7rocprim17ROCPRIM_400000_NS6detail17trampoline_kernelINS0_14default_configENS1_35radix_sort_onesweep_config_selectorIhNS0_10empty_typeEEEZNS1_34radix_sort_onesweep_global_offsetsIS3_Lb1EPhPS5_mNS0_19identity_decomposerEEE10hipError_tT1_T2_PT3_SE_jT4_jjP12ihipStream_tbEUlT_E_NS1_11comp_targetILNS1_3genE0ELNS1_11target_archE4294967295ELNS1_3gpuE0ELNS1_3repE0EEENS1_52radix_sort_onesweep_histogram_config_static_selectorELNS0_4arch9wavefront6targetE1EEEvSC_ ; -- Begin function _ZN7rocprim17ROCPRIM_400000_NS6detail17trampoline_kernelINS0_14default_configENS1_35radix_sort_onesweep_config_selectorIhNS0_10empty_typeEEEZNS1_34radix_sort_onesweep_global_offsetsIS3_Lb1EPhPS5_mNS0_19identity_decomposerEEE10hipError_tT1_T2_PT3_SE_jT4_jjP12ihipStream_tbEUlT_E_NS1_11comp_targetILNS1_3genE0ELNS1_11target_archE4294967295ELNS1_3gpuE0ELNS1_3repE0EEENS1_52radix_sort_onesweep_histogram_config_static_selectorELNS0_4arch9wavefront6targetE1EEEvSC_
	.globl	_ZN7rocprim17ROCPRIM_400000_NS6detail17trampoline_kernelINS0_14default_configENS1_35radix_sort_onesweep_config_selectorIhNS0_10empty_typeEEEZNS1_34radix_sort_onesweep_global_offsetsIS3_Lb1EPhPS5_mNS0_19identity_decomposerEEE10hipError_tT1_T2_PT3_SE_jT4_jjP12ihipStream_tbEUlT_E_NS1_11comp_targetILNS1_3genE0ELNS1_11target_archE4294967295ELNS1_3gpuE0ELNS1_3repE0EEENS1_52radix_sort_onesweep_histogram_config_static_selectorELNS0_4arch9wavefront6targetE1EEEvSC_
	.p2align	8
	.type	_ZN7rocprim17ROCPRIM_400000_NS6detail17trampoline_kernelINS0_14default_configENS1_35radix_sort_onesweep_config_selectorIhNS0_10empty_typeEEEZNS1_34radix_sort_onesweep_global_offsetsIS3_Lb1EPhPS5_mNS0_19identity_decomposerEEE10hipError_tT1_T2_PT3_SE_jT4_jjP12ihipStream_tbEUlT_E_NS1_11comp_targetILNS1_3genE0ELNS1_11target_archE4294967295ELNS1_3gpuE0ELNS1_3repE0EEENS1_52radix_sort_onesweep_histogram_config_static_selectorELNS0_4arch9wavefront6targetE1EEEvSC_,@function
_ZN7rocprim17ROCPRIM_400000_NS6detail17trampoline_kernelINS0_14default_configENS1_35radix_sort_onesweep_config_selectorIhNS0_10empty_typeEEEZNS1_34radix_sort_onesweep_global_offsetsIS3_Lb1EPhPS5_mNS0_19identity_decomposerEEE10hipError_tT1_T2_PT3_SE_jT4_jjP12ihipStream_tbEUlT_E_NS1_11comp_targetILNS1_3genE0ELNS1_11target_archE4294967295ELNS1_3gpuE0ELNS1_3repE0EEENS1_52radix_sort_onesweep_histogram_config_static_selectorELNS0_4arch9wavefront6targetE1EEEvSC_: ; @_ZN7rocprim17ROCPRIM_400000_NS6detail17trampoline_kernelINS0_14default_configENS1_35radix_sort_onesweep_config_selectorIhNS0_10empty_typeEEEZNS1_34radix_sort_onesweep_global_offsetsIS3_Lb1EPhPS5_mNS0_19identity_decomposerEEE10hipError_tT1_T2_PT3_SE_jT4_jjP12ihipStream_tbEUlT_E_NS1_11comp_targetILNS1_3genE0ELNS1_11target_archE4294967295ELNS1_3gpuE0ELNS1_3repE0EEENS1_52radix_sort_onesweep_histogram_config_static_selectorELNS0_4arch9wavefront6targetE1EEEvSC_
; %bb.0:
	.section	.rodata,"a",@progbits
	.p2align	6, 0x0
	.amdhsa_kernel _ZN7rocprim17ROCPRIM_400000_NS6detail17trampoline_kernelINS0_14default_configENS1_35radix_sort_onesweep_config_selectorIhNS0_10empty_typeEEEZNS1_34radix_sort_onesweep_global_offsetsIS3_Lb1EPhPS5_mNS0_19identity_decomposerEEE10hipError_tT1_T2_PT3_SE_jT4_jjP12ihipStream_tbEUlT_E_NS1_11comp_targetILNS1_3genE0ELNS1_11target_archE4294967295ELNS1_3gpuE0ELNS1_3repE0EEENS1_52radix_sort_onesweep_histogram_config_static_selectorELNS0_4arch9wavefront6targetE1EEEvSC_
		.amdhsa_group_segment_fixed_size 0
		.amdhsa_private_segment_fixed_size 0
		.amdhsa_kernarg_size 48
		.amdhsa_user_sgpr_count 6
		.amdhsa_user_sgpr_private_segment_buffer 1
		.amdhsa_user_sgpr_dispatch_ptr 0
		.amdhsa_user_sgpr_queue_ptr 0
		.amdhsa_user_sgpr_kernarg_segment_ptr 1
		.amdhsa_user_sgpr_dispatch_id 0
		.amdhsa_user_sgpr_flat_scratch_init 0
		.amdhsa_user_sgpr_kernarg_preload_length 0
		.amdhsa_user_sgpr_kernarg_preload_offset 0
		.amdhsa_user_sgpr_private_segment_size 0
		.amdhsa_uses_dynamic_stack 0
		.amdhsa_system_sgpr_private_segment_wavefront_offset 0
		.amdhsa_system_sgpr_workgroup_id_x 1
		.amdhsa_system_sgpr_workgroup_id_y 0
		.amdhsa_system_sgpr_workgroup_id_z 0
		.amdhsa_system_sgpr_workgroup_info 0
		.amdhsa_system_vgpr_workitem_id 0
		.amdhsa_next_free_vgpr 1
		.amdhsa_next_free_sgpr 0
		.amdhsa_accum_offset 4
		.amdhsa_reserve_vcc 0
		.amdhsa_reserve_flat_scratch 0
		.amdhsa_float_round_mode_32 0
		.amdhsa_float_round_mode_16_64 0
		.amdhsa_float_denorm_mode_32 3
		.amdhsa_float_denorm_mode_16_64 3
		.amdhsa_dx10_clamp 1
		.amdhsa_ieee_mode 1
		.amdhsa_fp16_overflow 0
		.amdhsa_tg_split 0
		.amdhsa_exception_fp_ieee_invalid_op 0
		.amdhsa_exception_fp_denorm_src 0
		.amdhsa_exception_fp_ieee_div_zero 0
		.amdhsa_exception_fp_ieee_overflow 0
		.amdhsa_exception_fp_ieee_underflow 0
		.amdhsa_exception_fp_ieee_inexact 0
		.amdhsa_exception_int_div_zero 0
	.end_amdhsa_kernel
	.section	.text._ZN7rocprim17ROCPRIM_400000_NS6detail17trampoline_kernelINS0_14default_configENS1_35radix_sort_onesweep_config_selectorIhNS0_10empty_typeEEEZNS1_34radix_sort_onesweep_global_offsetsIS3_Lb1EPhPS5_mNS0_19identity_decomposerEEE10hipError_tT1_T2_PT3_SE_jT4_jjP12ihipStream_tbEUlT_E_NS1_11comp_targetILNS1_3genE0ELNS1_11target_archE4294967295ELNS1_3gpuE0ELNS1_3repE0EEENS1_52radix_sort_onesweep_histogram_config_static_selectorELNS0_4arch9wavefront6targetE1EEEvSC_,"axG",@progbits,_ZN7rocprim17ROCPRIM_400000_NS6detail17trampoline_kernelINS0_14default_configENS1_35radix_sort_onesweep_config_selectorIhNS0_10empty_typeEEEZNS1_34radix_sort_onesweep_global_offsetsIS3_Lb1EPhPS5_mNS0_19identity_decomposerEEE10hipError_tT1_T2_PT3_SE_jT4_jjP12ihipStream_tbEUlT_E_NS1_11comp_targetILNS1_3genE0ELNS1_11target_archE4294967295ELNS1_3gpuE0ELNS1_3repE0EEENS1_52radix_sort_onesweep_histogram_config_static_selectorELNS0_4arch9wavefront6targetE1EEEvSC_,comdat
.Lfunc_end1715:
	.size	_ZN7rocprim17ROCPRIM_400000_NS6detail17trampoline_kernelINS0_14default_configENS1_35radix_sort_onesweep_config_selectorIhNS0_10empty_typeEEEZNS1_34radix_sort_onesweep_global_offsetsIS3_Lb1EPhPS5_mNS0_19identity_decomposerEEE10hipError_tT1_T2_PT3_SE_jT4_jjP12ihipStream_tbEUlT_E_NS1_11comp_targetILNS1_3genE0ELNS1_11target_archE4294967295ELNS1_3gpuE0ELNS1_3repE0EEENS1_52radix_sort_onesweep_histogram_config_static_selectorELNS0_4arch9wavefront6targetE1EEEvSC_, .Lfunc_end1715-_ZN7rocprim17ROCPRIM_400000_NS6detail17trampoline_kernelINS0_14default_configENS1_35radix_sort_onesweep_config_selectorIhNS0_10empty_typeEEEZNS1_34radix_sort_onesweep_global_offsetsIS3_Lb1EPhPS5_mNS0_19identity_decomposerEEE10hipError_tT1_T2_PT3_SE_jT4_jjP12ihipStream_tbEUlT_E_NS1_11comp_targetILNS1_3genE0ELNS1_11target_archE4294967295ELNS1_3gpuE0ELNS1_3repE0EEENS1_52radix_sort_onesweep_histogram_config_static_selectorELNS0_4arch9wavefront6targetE1EEEvSC_
                                        ; -- End function
	.section	.AMDGPU.csdata,"",@progbits
; Kernel info:
; codeLenInByte = 0
; NumSgprs: 4
; NumVgprs: 0
; NumAgprs: 0
; TotalNumVgprs: 0
; ScratchSize: 0
; MemoryBound: 0
; FloatMode: 240
; IeeeMode: 1
; LDSByteSize: 0 bytes/workgroup (compile time only)
; SGPRBlocks: 0
; VGPRBlocks: 0
; NumSGPRsForWavesPerEU: 4
; NumVGPRsForWavesPerEU: 1
; AccumOffset: 4
; Occupancy: 8
; WaveLimiterHint : 0
; COMPUTE_PGM_RSRC2:SCRATCH_EN: 0
; COMPUTE_PGM_RSRC2:USER_SGPR: 6
; COMPUTE_PGM_RSRC2:TRAP_HANDLER: 0
; COMPUTE_PGM_RSRC2:TGID_X_EN: 1
; COMPUTE_PGM_RSRC2:TGID_Y_EN: 0
; COMPUTE_PGM_RSRC2:TGID_Z_EN: 0
; COMPUTE_PGM_RSRC2:TIDIG_COMP_CNT: 0
; COMPUTE_PGM_RSRC3_GFX90A:ACCUM_OFFSET: 0
; COMPUTE_PGM_RSRC3_GFX90A:TG_SPLIT: 0
	.section	.text._ZN7rocprim17ROCPRIM_400000_NS6detail17trampoline_kernelINS0_14default_configENS1_35radix_sort_onesweep_config_selectorIhNS0_10empty_typeEEEZNS1_34radix_sort_onesweep_global_offsetsIS3_Lb1EPhPS5_mNS0_19identity_decomposerEEE10hipError_tT1_T2_PT3_SE_jT4_jjP12ihipStream_tbEUlT_E_NS1_11comp_targetILNS1_3genE6ELNS1_11target_archE950ELNS1_3gpuE13ELNS1_3repE0EEENS1_52radix_sort_onesweep_histogram_config_static_selectorELNS0_4arch9wavefront6targetE1EEEvSC_,"axG",@progbits,_ZN7rocprim17ROCPRIM_400000_NS6detail17trampoline_kernelINS0_14default_configENS1_35radix_sort_onesweep_config_selectorIhNS0_10empty_typeEEEZNS1_34radix_sort_onesweep_global_offsetsIS3_Lb1EPhPS5_mNS0_19identity_decomposerEEE10hipError_tT1_T2_PT3_SE_jT4_jjP12ihipStream_tbEUlT_E_NS1_11comp_targetILNS1_3genE6ELNS1_11target_archE950ELNS1_3gpuE13ELNS1_3repE0EEENS1_52radix_sort_onesweep_histogram_config_static_selectorELNS0_4arch9wavefront6targetE1EEEvSC_,comdat
	.protected	_ZN7rocprim17ROCPRIM_400000_NS6detail17trampoline_kernelINS0_14default_configENS1_35radix_sort_onesweep_config_selectorIhNS0_10empty_typeEEEZNS1_34radix_sort_onesweep_global_offsetsIS3_Lb1EPhPS5_mNS0_19identity_decomposerEEE10hipError_tT1_T2_PT3_SE_jT4_jjP12ihipStream_tbEUlT_E_NS1_11comp_targetILNS1_3genE6ELNS1_11target_archE950ELNS1_3gpuE13ELNS1_3repE0EEENS1_52radix_sort_onesweep_histogram_config_static_selectorELNS0_4arch9wavefront6targetE1EEEvSC_ ; -- Begin function _ZN7rocprim17ROCPRIM_400000_NS6detail17trampoline_kernelINS0_14default_configENS1_35radix_sort_onesweep_config_selectorIhNS0_10empty_typeEEEZNS1_34radix_sort_onesweep_global_offsetsIS3_Lb1EPhPS5_mNS0_19identity_decomposerEEE10hipError_tT1_T2_PT3_SE_jT4_jjP12ihipStream_tbEUlT_E_NS1_11comp_targetILNS1_3genE6ELNS1_11target_archE950ELNS1_3gpuE13ELNS1_3repE0EEENS1_52radix_sort_onesweep_histogram_config_static_selectorELNS0_4arch9wavefront6targetE1EEEvSC_
	.globl	_ZN7rocprim17ROCPRIM_400000_NS6detail17trampoline_kernelINS0_14default_configENS1_35radix_sort_onesweep_config_selectorIhNS0_10empty_typeEEEZNS1_34radix_sort_onesweep_global_offsetsIS3_Lb1EPhPS5_mNS0_19identity_decomposerEEE10hipError_tT1_T2_PT3_SE_jT4_jjP12ihipStream_tbEUlT_E_NS1_11comp_targetILNS1_3genE6ELNS1_11target_archE950ELNS1_3gpuE13ELNS1_3repE0EEENS1_52radix_sort_onesweep_histogram_config_static_selectorELNS0_4arch9wavefront6targetE1EEEvSC_
	.p2align	8
	.type	_ZN7rocprim17ROCPRIM_400000_NS6detail17trampoline_kernelINS0_14default_configENS1_35radix_sort_onesweep_config_selectorIhNS0_10empty_typeEEEZNS1_34radix_sort_onesweep_global_offsetsIS3_Lb1EPhPS5_mNS0_19identity_decomposerEEE10hipError_tT1_T2_PT3_SE_jT4_jjP12ihipStream_tbEUlT_E_NS1_11comp_targetILNS1_3genE6ELNS1_11target_archE950ELNS1_3gpuE13ELNS1_3repE0EEENS1_52radix_sort_onesweep_histogram_config_static_selectorELNS0_4arch9wavefront6targetE1EEEvSC_,@function
_ZN7rocprim17ROCPRIM_400000_NS6detail17trampoline_kernelINS0_14default_configENS1_35radix_sort_onesweep_config_selectorIhNS0_10empty_typeEEEZNS1_34radix_sort_onesweep_global_offsetsIS3_Lb1EPhPS5_mNS0_19identity_decomposerEEE10hipError_tT1_T2_PT3_SE_jT4_jjP12ihipStream_tbEUlT_E_NS1_11comp_targetILNS1_3genE6ELNS1_11target_archE950ELNS1_3gpuE13ELNS1_3repE0EEENS1_52radix_sort_onesweep_histogram_config_static_selectorELNS0_4arch9wavefront6targetE1EEEvSC_: ; @_ZN7rocprim17ROCPRIM_400000_NS6detail17trampoline_kernelINS0_14default_configENS1_35radix_sort_onesweep_config_selectorIhNS0_10empty_typeEEEZNS1_34radix_sort_onesweep_global_offsetsIS3_Lb1EPhPS5_mNS0_19identity_decomposerEEE10hipError_tT1_T2_PT3_SE_jT4_jjP12ihipStream_tbEUlT_E_NS1_11comp_targetILNS1_3genE6ELNS1_11target_archE950ELNS1_3gpuE13ELNS1_3repE0EEENS1_52radix_sort_onesweep_histogram_config_static_selectorELNS0_4arch9wavefront6targetE1EEEvSC_
; %bb.0:
	.section	.rodata,"a",@progbits
	.p2align	6, 0x0
	.amdhsa_kernel _ZN7rocprim17ROCPRIM_400000_NS6detail17trampoline_kernelINS0_14default_configENS1_35radix_sort_onesweep_config_selectorIhNS0_10empty_typeEEEZNS1_34radix_sort_onesweep_global_offsetsIS3_Lb1EPhPS5_mNS0_19identity_decomposerEEE10hipError_tT1_T2_PT3_SE_jT4_jjP12ihipStream_tbEUlT_E_NS1_11comp_targetILNS1_3genE6ELNS1_11target_archE950ELNS1_3gpuE13ELNS1_3repE0EEENS1_52radix_sort_onesweep_histogram_config_static_selectorELNS0_4arch9wavefront6targetE1EEEvSC_
		.amdhsa_group_segment_fixed_size 0
		.amdhsa_private_segment_fixed_size 0
		.amdhsa_kernarg_size 48
		.amdhsa_user_sgpr_count 6
		.amdhsa_user_sgpr_private_segment_buffer 1
		.amdhsa_user_sgpr_dispatch_ptr 0
		.amdhsa_user_sgpr_queue_ptr 0
		.amdhsa_user_sgpr_kernarg_segment_ptr 1
		.amdhsa_user_sgpr_dispatch_id 0
		.amdhsa_user_sgpr_flat_scratch_init 0
		.amdhsa_user_sgpr_kernarg_preload_length 0
		.amdhsa_user_sgpr_kernarg_preload_offset 0
		.amdhsa_user_sgpr_private_segment_size 0
		.amdhsa_uses_dynamic_stack 0
		.amdhsa_system_sgpr_private_segment_wavefront_offset 0
		.amdhsa_system_sgpr_workgroup_id_x 1
		.amdhsa_system_sgpr_workgroup_id_y 0
		.amdhsa_system_sgpr_workgroup_id_z 0
		.amdhsa_system_sgpr_workgroup_info 0
		.amdhsa_system_vgpr_workitem_id 0
		.amdhsa_next_free_vgpr 1
		.amdhsa_next_free_sgpr 0
		.amdhsa_accum_offset 4
		.amdhsa_reserve_vcc 0
		.amdhsa_reserve_flat_scratch 0
		.amdhsa_float_round_mode_32 0
		.amdhsa_float_round_mode_16_64 0
		.amdhsa_float_denorm_mode_32 3
		.amdhsa_float_denorm_mode_16_64 3
		.amdhsa_dx10_clamp 1
		.amdhsa_ieee_mode 1
		.amdhsa_fp16_overflow 0
		.amdhsa_tg_split 0
		.amdhsa_exception_fp_ieee_invalid_op 0
		.amdhsa_exception_fp_denorm_src 0
		.amdhsa_exception_fp_ieee_div_zero 0
		.amdhsa_exception_fp_ieee_overflow 0
		.amdhsa_exception_fp_ieee_underflow 0
		.amdhsa_exception_fp_ieee_inexact 0
		.amdhsa_exception_int_div_zero 0
	.end_amdhsa_kernel
	.section	.text._ZN7rocprim17ROCPRIM_400000_NS6detail17trampoline_kernelINS0_14default_configENS1_35radix_sort_onesweep_config_selectorIhNS0_10empty_typeEEEZNS1_34radix_sort_onesweep_global_offsetsIS3_Lb1EPhPS5_mNS0_19identity_decomposerEEE10hipError_tT1_T2_PT3_SE_jT4_jjP12ihipStream_tbEUlT_E_NS1_11comp_targetILNS1_3genE6ELNS1_11target_archE950ELNS1_3gpuE13ELNS1_3repE0EEENS1_52radix_sort_onesweep_histogram_config_static_selectorELNS0_4arch9wavefront6targetE1EEEvSC_,"axG",@progbits,_ZN7rocprim17ROCPRIM_400000_NS6detail17trampoline_kernelINS0_14default_configENS1_35radix_sort_onesweep_config_selectorIhNS0_10empty_typeEEEZNS1_34radix_sort_onesweep_global_offsetsIS3_Lb1EPhPS5_mNS0_19identity_decomposerEEE10hipError_tT1_T2_PT3_SE_jT4_jjP12ihipStream_tbEUlT_E_NS1_11comp_targetILNS1_3genE6ELNS1_11target_archE950ELNS1_3gpuE13ELNS1_3repE0EEENS1_52radix_sort_onesweep_histogram_config_static_selectorELNS0_4arch9wavefront6targetE1EEEvSC_,comdat
.Lfunc_end1716:
	.size	_ZN7rocprim17ROCPRIM_400000_NS6detail17trampoline_kernelINS0_14default_configENS1_35radix_sort_onesweep_config_selectorIhNS0_10empty_typeEEEZNS1_34radix_sort_onesweep_global_offsetsIS3_Lb1EPhPS5_mNS0_19identity_decomposerEEE10hipError_tT1_T2_PT3_SE_jT4_jjP12ihipStream_tbEUlT_E_NS1_11comp_targetILNS1_3genE6ELNS1_11target_archE950ELNS1_3gpuE13ELNS1_3repE0EEENS1_52radix_sort_onesweep_histogram_config_static_selectorELNS0_4arch9wavefront6targetE1EEEvSC_, .Lfunc_end1716-_ZN7rocprim17ROCPRIM_400000_NS6detail17trampoline_kernelINS0_14default_configENS1_35radix_sort_onesweep_config_selectorIhNS0_10empty_typeEEEZNS1_34radix_sort_onesweep_global_offsetsIS3_Lb1EPhPS5_mNS0_19identity_decomposerEEE10hipError_tT1_T2_PT3_SE_jT4_jjP12ihipStream_tbEUlT_E_NS1_11comp_targetILNS1_3genE6ELNS1_11target_archE950ELNS1_3gpuE13ELNS1_3repE0EEENS1_52radix_sort_onesweep_histogram_config_static_selectorELNS0_4arch9wavefront6targetE1EEEvSC_
                                        ; -- End function
	.section	.AMDGPU.csdata,"",@progbits
; Kernel info:
; codeLenInByte = 0
; NumSgprs: 4
; NumVgprs: 0
; NumAgprs: 0
; TotalNumVgprs: 0
; ScratchSize: 0
; MemoryBound: 0
; FloatMode: 240
; IeeeMode: 1
; LDSByteSize: 0 bytes/workgroup (compile time only)
; SGPRBlocks: 0
; VGPRBlocks: 0
; NumSGPRsForWavesPerEU: 4
; NumVGPRsForWavesPerEU: 1
; AccumOffset: 4
; Occupancy: 8
; WaveLimiterHint : 0
; COMPUTE_PGM_RSRC2:SCRATCH_EN: 0
; COMPUTE_PGM_RSRC2:USER_SGPR: 6
; COMPUTE_PGM_RSRC2:TRAP_HANDLER: 0
; COMPUTE_PGM_RSRC2:TGID_X_EN: 1
; COMPUTE_PGM_RSRC2:TGID_Y_EN: 0
; COMPUTE_PGM_RSRC2:TGID_Z_EN: 0
; COMPUTE_PGM_RSRC2:TIDIG_COMP_CNT: 0
; COMPUTE_PGM_RSRC3_GFX90A:ACCUM_OFFSET: 0
; COMPUTE_PGM_RSRC3_GFX90A:TG_SPLIT: 0
	.section	.text._ZN7rocprim17ROCPRIM_400000_NS6detail17trampoline_kernelINS0_14default_configENS1_35radix_sort_onesweep_config_selectorIhNS0_10empty_typeEEEZNS1_34radix_sort_onesweep_global_offsetsIS3_Lb1EPhPS5_mNS0_19identity_decomposerEEE10hipError_tT1_T2_PT3_SE_jT4_jjP12ihipStream_tbEUlT_E_NS1_11comp_targetILNS1_3genE5ELNS1_11target_archE942ELNS1_3gpuE9ELNS1_3repE0EEENS1_52radix_sort_onesweep_histogram_config_static_selectorELNS0_4arch9wavefront6targetE1EEEvSC_,"axG",@progbits,_ZN7rocprim17ROCPRIM_400000_NS6detail17trampoline_kernelINS0_14default_configENS1_35radix_sort_onesweep_config_selectorIhNS0_10empty_typeEEEZNS1_34radix_sort_onesweep_global_offsetsIS3_Lb1EPhPS5_mNS0_19identity_decomposerEEE10hipError_tT1_T2_PT3_SE_jT4_jjP12ihipStream_tbEUlT_E_NS1_11comp_targetILNS1_3genE5ELNS1_11target_archE942ELNS1_3gpuE9ELNS1_3repE0EEENS1_52radix_sort_onesweep_histogram_config_static_selectorELNS0_4arch9wavefront6targetE1EEEvSC_,comdat
	.protected	_ZN7rocprim17ROCPRIM_400000_NS6detail17trampoline_kernelINS0_14default_configENS1_35radix_sort_onesweep_config_selectorIhNS0_10empty_typeEEEZNS1_34radix_sort_onesweep_global_offsetsIS3_Lb1EPhPS5_mNS0_19identity_decomposerEEE10hipError_tT1_T2_PT3_SE_jT4_jjP12ihipStream_tbEUlT_E_NS1_11comp_targetILNS1_3genE5ELNS1_11target_archE942ELNS1_3gpuE9ELNS1_3repE0EEENS1_52radix_sort_onesweep_histogram_config_static_selectorELNS0_4arch9wavefront6targetE1EEEvSC_ ; -- Begin function _ZN7rocprim17ROCPRIM_400000_NS6detail17trampoline_kernelINS0_14default_configENS1_35radix_sort_onesweep_config_selectorIhNS0_10empty_typeEEEZNS1_34radix_sort_onesweep_global_offsetsIS3_Lb1EPhPS5_mNS0_19identity_decomposerEEE10hipError_tT1_T2_PT3_SE_jT4_jjP12ihipStream_tbEUlT_E_NS1_11comp_targetILNS1_3genE5ELNS1_11target_archE942ELNS1_3gpuE9ELNS1_3repE0EEENS1_52radix_sort_onesweep_histogram_config_static_selectorELNS0_4arch9wavefront6targetE1EEEvSC_
	.globl	_ZN7rocprim17ROCPRIM_400000_NS6detail17trampoline_kernelINS0_14default_configENS1_35radix_sort_onesweep_config_selectorIhNS0_10empty_typeEEEZNS1_34radix_sort_onesweep_global_offsetsIS3_Lb1EPhPS5_mNS0_19identity_decomposerEEE10hipError_tT1_T2_PT3_SE_jT4_jjP12ihipStream_tbEUlT_E_NS1_11comp_targetILNS1_3genE5ELNS1_11target_archE942ELNS1_3gpuE9ELNS1_3repE0EEENS1_52radix_sort_onesweep_histogram_config_static_selectorELNS0_4arch9wavefront6targetE1EEEvSC_
	.p2align	8
	.type	_ZN7rocprim17ROCPRIM_400000_NS6detail17trampoline_kernelINS0_14default_configENS1_35radix_sort_onesweep_config_selectorIhNS0_10empty_typeEEEZNS1_34radix_sort_onesweep_global_offsetsIS3_Lb1EPhPS5_mNS0_19identity_decomposerEEE10hipError_tT1_T2_PT3_SE_jT4_jjP12ihipStream_tbEUlT_E_NS1_11comp_targetILNS1_3genE5ELNS1_11target_archE942ELNS1_3gpuE9ELNS1_3repE0EEENS1_52radix_sort_onesweep_histogram_config_static_selectorELNS0_4arch9wavefront6targetE1EEEvSC_,@function
_ZN7rocprim17ROCPRIM_400000_NS6detail17trampoline_kernelINS0_14default_configENS1_35radix_sort_onesweep_config_selectorIhNS0_10empty_typeEEEZNS1_34radix_sort_onesweep_global_offsetsIS3_Lb1EPhPS5_mNS0_19identity_decomposerEEE10hipError_tT1_T2_PT3_SE_jT4_jjP12ihipStream_tbEUlT_E_NS1_11comp_targetILNS1_3genE5ELNS1_11target_archE942ELNS1_3gpuE9ELNS1_3repE0EEENS1_52radix_sort_onesweep_histogram_config_static_selectorELNS0_4arch9wavefront6targetE1EEEvSC_: ; @_ZN7rocprim17ROCPRIM_400000_NS6detail17trampoline_kernelINS0_14default_configENS1_35radix_sort_onesweep_config_selectorIhNS0_10empty_typeEEEZNS1_34radix_sort_onesweep_global_offsetsIS3_Lb1EPhPS5_mNS0_19identity_decomposerEEE10hipError_tT1_T2_PT3_SE_jT4_jjP12ihipStream_tbEUlT_E_NS1_11comp_targetILNS1_3genE5ELNS1_11target_archE942ELNS1_3gpuE9ELNS1_3repE0EEENS1_52radix_sort_onesweep_histogram_config_static_selectorELNS0_4arch9wavefront6targetE1EEEvSC_
; %bb.0:
	.section	.rodata,"a",@progbits
	.p2align	6, 0x0
	.amdhsa_kernel _ZN7rocprim17ROCPRIM_400000_NS6detail17trampoline_kernelINS0_14default_configENS1_35radix_sort_onesweep_config_selectorIhNS0_10empty_typeEEEZNS1_34radix_sort_onesweep_global_offsetsIS3_Lb1EPhPS5_mNS0_19identity_decomposerEEE10hipError_tT1_T2_PT3_SE_jT4_jjP12ihipStream_tbEUlT_E_NS1_11comp_targetILNS1_3genE5ELNS1_11target_archE942ELNS1_3gpuE9ELNS1_3repE0EEENS1_52radix_sort_onesweep_histogram_config_static_selectorELNS0_4arch9wavefront6targetE1EEEvSC_
		.amdhsa_group_segment_fixed_size 0
		.amdhsa_private_segment_fixed_size 0
		.amdhsa_kernarg_size 48
		.amdhsa_user_sgpr_count 6
		.amdhsa_user_sgpr_private_segment_buffer 1
		.amdhsa_user_sgpr_dispatch_ptr 0
		.amdhsa_user_sgpr_queue_ptr 0
		.amdhsa_user_sgpr_kernarg_segment_ptr 1
		.amdhsa_user_sgpr_dispatch_id 0
		.amdhsa_user_sgpr_flat_scratch_init 0
		.amdhsa_user_sgpr_kernarg_preload_length 0
		.amdhsa_user_sgpr_kernarg_preload_offset 0
		.amdhsa_user_sgpr_private_segment_size 0
		.amdhsa_uses_dynamic_stack 0
		.amdhsa_system_sgpr_private_segment_wavefront_offset 0
		.amdhsa_system_sgpr_workgroup_id_x 1
		.amdhsa_system_sgpr_workgroup_id_y 0
		.amdhsa_system_sgpr_workgroup_id_z 0
		.amdhsa_system_sgpr_workgroup_info 0
		.amdhsa_system_vgpr_workitem_id 0
		.amdhsa_next_free_vgpr 1
		.amdhsa_next_free_sgpr 0
		.amdhsa_accum_offset 4
		.amdhsa_reserve_vcc 0
		.amdhsa_reserve_flat_scratch 0
		.amdhsa_float_round_mode_32 0
		.amdhsa_float_round_mode_16_64 0
		.amdhsa_float_denorm_mode_32 3
		.amdhsa_float_denorm_mode_16_64 3
		.amdhsa_dx10_clamp 1
		.amdhsa_ieee_mode 1
		.amdhsa_fp16_overflow 0
		.amdhsa_tg_split 0
		.amdhsa_exception_fp_ieee_invalid_op 0
		.amdhsa_exception_fp_denorm_src 0
		.amdhsa_exception_fp_ieee_div_zero 0
		.amdhsa_exception_fp_ieee_overflow 0
		.amdhsa_exception_fp_ieee_underflow 0
		.amdhsa_exception_fp_ieee_inexact 0
		.amdhsa_exception_int_div_zero 0
	.end_amdhsa_kernel
	.section	.text._ZN7rocprim17ROCPRIM_400000_NS6detail17trampoline_kernelINS0_14default_configENS1_35radix_sort_onesweep_config_selectorIhNS0_10empty_typeEEEZNS1_34radix_sort_onesweep_global_offsetsIS3_Lb1EPhPS5_mNS0_19identity_decomposerEEE10hipError_tT1_T2_PT3_SE_jT4_jjP12ihipStream_tbEUlT_E_NS1_11comp_targetILNS1_3genE5ELNS1_11target_archE942ELNS1_3gpuE9ELNS1_3repE0EEENS1_52radix_sort_onesweep_histogram_config_static_selectorELNS0_4arch9wavefront6targetE1EEEvSC_,"axG",@progbits,_ZN7rocprim17ROCPRIM_400000_NS6detail17trampoline_kernelINS0_14default_configENS1_35radix_sort_onesweep_config_selectorIhNS0_10empty_typeEEEZNS1_34radix_sort_onesweep_global_offsetsIS3_Lb1EPhPS5_mNS0_19identity_decomposerEEE10hipError_tT1_T2_PT3_SE_jT4_jjP12ihipStream_tbEUlT_E_NS1_11comp_targetILNS1_3genE5ELNS1_11target_archE942ELNS1_3gpuE9ELNS1_3repE0EEENS1_52radix_sort_onesweep_histogram_config_static_selectorELNS0_4arch9wavefront6targetE1EEEvSC_,comdat
.Lfunc_end1717:
	.size	_ZN7rocprim17ROCPRIM_400000_NS6detail17trampoline_kernelINS0_14default_configENS1_35radix_sort_onesweep_config_selectorIhNS0_10empty_typeEEEZNS1_34radix_sort_onesweep_global_offsetsIS3_Lb1EPhPS5_mNS0_19identity_decomposerEEE10hipError_tT1_T2_PT3_SE_jT4_jjP12ihipStream_tbEUlT_E_NS1_11comp_targetILNS1_3genE5ELNS1_11target_archE942ELNS1_3gpuE9ELNS1_3repE0EEENS1_52radix_sort_onesweep_histogram_config_static_selectorELNS0_4arch9wavefront6targetE1EEEvSC_, .Lfunc_end1717-_ZN7rocprim17ROCPRIM_400000_NS6detail17trampoline_kernelINS0_14default_configENS1_35radix_sort_onesweep_config_selectorIhNS0_10empty_typeEEEZNS1_34radix_sort_onesweep_global_offsetsIS3_Lb1EPhPS5_mNS0_19identity_decomposerEEE10hipError_tT1_T2_PT3_SE_jT4_jjP12ihipStream_tbEUlT_E_NS1_11comp_targetILNS1_3genE5ELNS1_11target_archE942ELNS1_3gpuE9ELNS1_3repE0EEENS1_52radix_sort_onesweep_histogram_config_static_selectorELNS0_4arch9wavefront6targetE1EEEvSC_
                                        ; -- End function
	.section	.AMDGPU.csdata,"",@progbits
; Kernel info:
; codeLenInByte = 0
; NumSgprs: 4
; NumVgprs: 0
; NumAgprs: 0
; TotalNumVgprs: 0
; ScratchSize: 0
; MemoryBound: 0
; FloatMode: 240
; IeeeMode: 1
; LDSByteSize: 0 bytes/workgroup (compile time only)
; SGPRBlocks: 0
; VGPRBlocks: 0
; NumSGPRsForWavesPerEU: 4
; NumVGPRsForWavesPerEU: 1
; AccumOffset: 4
; Occupancy: 8
; WaveLimiterHint : 0
; COMPUTE_PGM_RSRC2:SCRATCH_EN: 0
; COMPUTE_PGM_RSRC2:USER_SGPR: 6
; COMPUTE_PGM_RSRC2:TRAP_HANDLER: 0
; COMPUTE_PGM_RSRC2:TGID_X_EN: 1
; COMPUTE_PGM_RSRC2:TGID_Y_EN: 0
; COMPUTE_PGM_RSRC2:TGID_Z_EN: 0
; COMPUTE_PGM_RSRC2:TIDIG_COMP_CNT: 0
; COMPUTE_PGM_RSRC3_GFX90A:ACCUM_OFFSET: 0
; COMPUTE_PGM_RSRC3_GFX90A:TG_SPLIT: 0
	.section	.text._ZN7rocprim17ROCPRIM_400000_NS6detail17trampoline_kernelINS0_14default_configENS1_35radix_sort_onesweep_config_selectorIhNS0_10empty_typeEEEZNS1_34radix_sort_onesweep_global_offsetsIS3_Lb1EPhPS5_mNS0_19identity_decomposerEEE10hipError_tT1_T2_PT3_SE_jT4_jjP12ihipStream_tbEUlT_E_NS1_11comp_targetILNS1_3genE2ELNS1_11target_archE906ELNS1_3gpuE6ELNS1_3repE0EEENS1_52radix_sort_onesweep_histogram_config_static_selectorELNS0_4arch9wavefront6targetE1EEEvSC_,"axG",@progbits,_ZN7rocprim17ROCPRIM_400000_NS6detail17trampoline_kernelINS0_14default_configENS1_35radix_sort_onesweep_config_selectorIhNS0_10empty_typeEEEZNS1_34radix_sort_onesweep_global_offsetsIS3_Lb1EPhPS5_mNS0_19identity_decomposerEEE10hipError_tT1_T2_PT3_SE_jT4_jjP12ihipStream_tbEUlT_E_NS1_11comp_targetILNS1_3genE2ELNS1_11target_archE906ELNS1_3gpuE6ELNS1_3repE0EEENS1_52radix_sort_onesweep_histogram_config_static_selectorELNS0_4arch9wavefront6targetE1EEEvSC_,comdat
	.protected	_ZN7rocprim17ROCPRIM_400000_NS6detail17trampoline_kernelINS0_14default_configENS1_35radix_sort_onesweep_config_selectorIhNS0_10empty_typeEEEZNS1_34radix_sort_onesweep_global_offsetsIS3_Lb1EPhPS5_mNS0_19identity_decomposerEEE10hipError_tT1_T2_PT3_SE_jT4_jjP12ihipStream_tbEUlT_E_NS1_11comp_targetILNS1_3genE2ELNS1_11target_archE906ELNS1_3gpuE6ELNS1_3repE0EEENS1_52radix_sort_onesweep_histogram_config_static_selectorELNS0_4arch9wavefront6targetE1EEEvSC_ ; -- Begin function _ZN7rocprim17ROCPRIM_400000_NS6detail17trampoline_kernelINS0_14default_configENS1_35radix_sort_onesweep_config_selectorIhNS0_10empty_typeEEEZNS1_34radix_sort_onesweep_global_offsetsIS3_Lb1EPhPS5_mNS0_19identity_decomposerEEE10hipError_tT1_T2_PT3_SE_jT4_jjP12ihipStream_tbEUlT_E_NS1_11comp_targetILNS1_3genE2ELNS1_11target_archE906ELNS1_3gpuE6ELNS1_3repE0EEENS1_52radix_sort_onesweep_histogram_config_static_selectorELNS0_4arch9wavefront6targetE1EEEvSC_
	.globl	_ZN7rocprim17ROCPRIM_400000_NS6detail17trampoline_kernelINS0_14default_configENS1_35radix_sort_onesweep_config_selectorIhNS0_10empty_typeEEEZNS1_34radix_sort_onesweep_global_offsetsIS3_Lb1EPhPS5_mNS0_19identity_decomposerEEE10hipError_tT1_T2_PT3_SE_jT4_jjP12ihipStream_tbEUlT_E_NS1_11comp_targetILNS1_3genE2ELNS1_11target_archE906ELNS1_3gpuE6ELNS1_3repE0EEENS1_52radix_sort_onesweep_histogram_config_static_selectorELNS0_4arch9wavefront6targetE1EEEvSC_
	.p2align	8
	.type	_ZN7rocprim17ROCPRIM_400000_NS6detail17trampoline_kernelINS0_14default_configENS1_35radix_sort_onesweep_config_selectorIhNS0_10empty_typeEEEZNS1_34radix_sort_onesweep_global_offsetsIS3_Lb1EPhPS5_mNS0_19identity_decomposerEEE10hipError_tT1_T2_PT3_SE_jT4_jjP12ihipStream_tbEUlT_E_NS1_11comp_targetILNS1_3genE2ELNS1_11target_archE906ELNS1_3gpuE6ELNS1_3repE0EEENS1_52radix_sort_onesweep_histogram_config_static_selectorELNS0_4arch9wavefront6targetE1EEEvSC_,@function
_ZN7rocprim17ROCPRIM_400000_NS6detail17trampoline_kernelINS0_14default_configENS1_35radix_sort_onesweep_config_selectorIhNS0_10empty_typeEEEZNS1_34radix_sort_onesweep_global_offsetsIS3_Lb1EPhPS5_mNS0_19identity_decomposerEEE10hipError_tT1_T2_PT3_SE_jT4_jjP12ihipStream_tbEUlT_E_NS1_11comp_targetILNS1_3genE2ELNS1_11target_archE906ELNS1_3gpuE6ELNS1_3repE0EEENS1_52radix_sort_onesweep_histogram_config_static_selectorELNS0_4arch9wavefront6targetE1EEEvSC_: ; @_ZN7rocprim17ROCPRIM_400000_NS6detail17trampoline_kernelINS0_14default_configENS1_35radix_sort_onesweep_config_selectorIhNS0_10empty_typeEEEZNS1_34radix_sort_onesweep_global_offsetsIS3_Lb1EPhPS5_mNS0_19identity_decomposerEEE10hipError_tT1_T2_PT3_SE_jT4_jjP12ihipStream_tbEUlT_E_NS1_11comp_targetILNS1_3genE2ELNS1_11target_archE906ELNS1_3gpuE6ELNS1_3repE0EEENS1_52radix_sort_onesweep_histogram_config_static_selectorELNS0_4arch9wavefront6targetE1EEEvSC_
; %bb.0:
	.section	.rodata,"a",@progbits
	.p2align	6, 0x0
	.amdhsa_kernel _ZN7rocprim17ROCPRIM_400000_NS6detail17trampoline_kernelINS0_14default_configENS1_35radix_sort_onesweep_config_selectorIhNS0_10empty_typeEEEZNS1_34radix_sort_onesweep_global_offsetsIS3_Lb1EPhPS5_mNS0_19identity_decomposerEEE10hipError_tT1_T2_PT3_SE_jT4_jjP12ihipStream_tbEUlT_E_NS1_11comp_targetILNS1_3genE2ELNS1_11target_archE906ELNS1_3gpuE6ELNS1_3repE0EEENS1_52radix_sort_onesweep_histogram_config_static_selectorELNS0_4arch9wavefront6targetE1EEEvSC_
		.amdhsa_group_segment_fixed_size 0
		.amdhsa_private_segment_fixed_size 0
		.amdhsa_kernarg_size 48
		.amdhsa_user_sgpr_count 6
		.amdhsa_user_sgpr_private_segment_buffer 1
		.amdhsa_user_sgpr_dispatch_ptr 0
		.amdhsa_user_sgpr_queue_ptr 0
		.amdhsa_user_sgpr_kernarg_segment_ptr 1
		.amdhsa_user_sgpr_dispatch_id 0
		.amdhsa_user_sgpr_flat_scratch_init 0
		.amdhsa_user_sgpr_kernarg_preload_length 0
		.amdhsa_user_sgpr_kernarg_preload_offset 0
		.amdhsa_user_sgpr_private_segment_size 0
		.amdhsa_uses_dynamic_stack 0
		.amdhsa_system_sgpr_private_segment_wavefront_offset 0
		.amdhsa_system_sgpr_workgroup_id_x 1
		.amdhsa_system_sgpr_workgroup_id_y 0
		.amdhsa_system_sgpr_workgroup_id_z 0
		.amdhsa_system_sgpr_workgroup_info 0
		.amdhsa_system_vgpr_workitem_id 0
		.amdhsa_next_free_vgpr 1
		.amdhsa_next_free_sgpr 0
		.amdhsa_accum_offset 4
		.amdhsa_reserve_vcc 0
		.amdhsa_reserve_flat_scratch 0
		.amdhsa_float_round_mode_32 0
		.amdhsa_float_round_mode_16_64 0
		.amdhsa_float_denorm_mode_32 3
		.amdhsa_float_denorm_mode_16_64 3
		.amdhsa_dx10_clamp 1
		.amdhsa_ieee_mode 1
		.amdhsa_fp16_overflow 0
		.amdhsa_tg_split 0
		.amdhsa_exception_fp_ieee_invalid_op 0
		.amdhsa_exception_fp_denorm_src 0
		.amdhsa_exception_fp_ieee_div_zero 0
		.amdhsa_exception_fp_ieee_overflow 0
		.amdhsa_exception_fp_ieee_underflow 0
		.amdhsa_exception_fp_ieee_inexact 0
		.amdhsa_exception_int_div_zero 0
	.end_amdhsa_kernel
	.section	.text._ZN7rocprim17ROCPRIM_400000_NS6detail17trampoline_kernelINS0_14default_configENS1_35radix_sort_onesweep_config_selectorIhNS0_10empty_typeEEEZNS1_34radix_sort_onesweep_global_offsetsIS3_Lb1EPhPS5_mNS0_19identity_decomposerEEE10hipError_tT1_T2_PT3_SE_jT4_jjP12ihipStream_tbEUlT_E_NS1_11comp_targetILNS1_3genE2ELNS1_11target_archE906ELNS1_3gpuE6ELNS1_3repE0EEENS1_52radix_sort_onesweep_histogram_config_static_selectorELNS0_4arch9wavefront6targetE1EEEvSC_,"axG",@progbits,_ZN7rocprim17ROCPRIM_400000_NS6detail17trampoline_kernelINS0_14default_configENS1_35radix_sort_onesweep_config_selectorIhNS0_10empty_typeEEEZNS1_34radix_sort_onesweep_global_offsetsIS3_Lb1EPhPS5_mNS0_19identity_decomposerEEE10hipError_tT1_T2_PT3_SE_jT4_jjP12ihipStream_tbEUlT_E_NS1_11comp_targetILNS1_3genE2ELNS1_11target_archE906ELNS1_3gpuE6ELNS1_3repE0EEENS1_52radix_sort_onesweep_histogram_config_static_selectorELNS0_4arch9wavefront6targetE1EEEvSC_,comdat
.Lfunc_end1718:
	.size	_ZN7rocprim17ROCPRIM_400000_NS6detail17trampoline_kernelINS0_14default_configENS1_35radix_sort_onesweep_config_selectorIhNS0_10empty_typeEEEZNS1_34radix_sort_onesweep_global_offsetsIS3_Lb1EPhPS5_mNS0_19identity_decomposerEEE10hipError_tT1_T2_PT3_SE_jT4_jjP12ihipStream_tbEUlT_E_NS1_11comp_targetILNS1_3genE2ELNS1_11target_archE906ELNS1_3gpuE6ELNS1_3repE0EEENS1_52radix_sort_onesweep_histogram_config_static_selectorELNS0_4arch9wavefront6targetE1EEEvSC_, .Lfunc_end1718-_ZN7rocprim17ROCPRIM_400000_NS6detail17trampoline_kernelINS0_14default_configENS1_35radix_sort_onesweep_config_selectorIhNS0_10empty_typeEEEZNS1_34radix_sort_onesweep_global_offsetsIS3_Lb1EPhPS5_mNS0_19identity_decomposerEEE10hipError_tT1_T2_PT3_SE_jT4_jjP12ihipStream_tbEUlT_E_NS1_11comp_targetILNS1_3genE2ELNS1_11target_archE906ELNS1_3gpuE6ELNS1_3repE0EEENS1_52radix_sort_onesweep_histogram_config_static_selectorELNS0_4arch9wavefront6targetE1EEEvSC_
                                        ; -- End function
	.section	.AMDGPU.csdata,"",@progbits
; Kernel info:
; codeLenInByte = 0
; NumSgprs: 4
; NumVgprs: 0
; NumAgprs: 0
; TotalNumVgprs: 0
; ScratchSize: 0
; MemoryBound: 0
; FloatMode: 240
; IeeeMode: 1
; LDSByteSize: 0 bytes/workgroup (compile time only)
; SGPRBlocks: 0
; VGPRBlocks: 0
; NumSGPRsForWavesPerEU: 4
; NumVGPRsForWavesPerEU: 1
; AccumOffset: 4
; Occupancy: 8
; WaveLimiterHint : 0
; COMPUTE_PGM_RSRC2:SCRATCH_EN: 0
; COMPUTE_PGM_RSRC2:USER_SGPR: 6
; COMPUTE_PGM_RSRC2:TRAP_HANDLER: 0
; COMPUTE_PGM_RSRC2:TGID_X_EN: 1
; COMPUTE_PGM_RSRC2:TGID_Y_EN: 0
; COMPUTE_PGM_RSRC2:TGID_Z_EN: 0
; COMPUTE_PGM_RSRC2:TIDIG_COMP_CNT: 0
; COMPUTE_PGM_RSRC3_GFX90A:ACCUM_OFFSET: 0
; COMPUTE_PGM_RSRC3_GFX90A:TG_SPLIT: 0
	.section	.text._ZN7rocprim17ROCPRIM_400000_NS6detail17trampoline_kernelINS0_14default_configENS1_35radix_sort_onesweep_config_selectorIhNS0_10empty_typeEEEZNS1_34radix_sort_onesweep_global_offsetsIS3_Lb1EPhPS5_mNS0_19identity_decomposerEEE10hipError_tT1_T2_PT3_SE_jT4_jjP12ihipStream_tbEUlT_E_NS1_11comp_targetILNS1_3genE4ELNS1_11target_archE910ELNS1_3gpuE8ELNS1_3repE0EEENS1_52radix_sort_onesweep_histogram_config_static_selectorELNS0_4arch9wavefront6targetE1EEEvSC_,"axG",@progbits,_ZN7rocprim17ROCPRIM_400000_NS6detail17trampoline_kernelINS0_14default_configENS1_35radix_sort_onesweep_config_selectorIhNS0_10empty_typeEEEZNS1_34radix_sort_onesweep_global_offsetsIS3_Lb1EPhPS5_mNS0_19identity_decomposerEEE10hipError_tT1_T2_PT3_SE_jT4_jjP12ihipStream_tbEUlT_E_NS1_11comp_targetILNS1_3genE4ELNS1_11target_archE910ELNS1_3gpuE8ELNS1_3repE0EEENS1_52radix_sort_onesweep_histogram_config_static_selectorELNS0_4arch9wavefront6targetE1EEEvSC_,comdat
	.protected	_ZN7rocprim17ROCPRIM_400000_NS6detail17trampoline_kernelINS0_14default_configENS1_35radix_sort_onesweep_config_selectorIhNS0_10empty_typeEEEZNS1_34radix_sort_onesweep_global_offsetsIS3_Lb1EPhPS5_mNS0_19identity_decomposerEEE10hipError_tT1_T2_PT3_SE_jT4_jjP12ihipStream_tbEUlT_E_NS1_11comp_targetILNS1_3genE4ELNS1_11target_archE910ELNS1_3gpuE8ELNS1_3repE0EEENS1_52radix_sort_onesweep_histogram_config_static_selectorELNS0_4arch9wavefront6targetE1EEEvSC_ ; -- Begin function _ZN7rocprim17ROCPRIM_400000_NS6detail17trampoline_kernelINS0_14default_configENS1_35radix_sort_onesweep_config_selectorIhNS0_10empty_typeEEEZNS1_34radix_sort_onesweep_global_offsetsIS3_Lb1EPhPS5_mNS0_19identity_decomposerEEE10hipError_tT1_T2_PT3_SE_jT4_jjP12ihipStream_tbEUlT_E_NS1_11comp_targetILNS1_3genE4ELNS1_11target_archE910ELNS1_3gpuE8ELNS1_3repE0EEENS1_52radix_sort_onesweep_histogram_config_static_selectorELNS0_4arch9wavefront6targetE1EEEvSC_
	.globl	_ZN7rocprim17ROCPRIM_400000_NS6detail17trampoline_kernelINS0_14default_configENS1_35radix_sort_onesweep_config_selectorIhNS0_10empty_typeEEEZNS1_34radix_sort_onesweep_global_offsetsIS3_Lb1EPhPS5_mNS0_19identity_decomposerEEE10hipError_tT1_T2_PT3_SE_jT4_jjP12ihipStream_tbEUlT_E_NS1_11comp_targetILNS1_3genE4ELNS1_11target_archE910ELNS1_3gpuE8ELNS1_3repE0EEENS1_52radix_sort_onesweep_histogram_config_static_selectorELNS0_4arch9wavefront6targetE1EEEvSC_
	.p2align	8
	.type	_ZN7rocprim17ROCPRIM_400000_NS6detail17trampoline_kernelINS0_14default_configENS1_35radix_sort_onesweep_config_selectorIhNS0_10empty_typeEEEZNS1_34radix_sort_onesweep_global_offsetsIS3_Lb1EPhPS5_mNS0_19identity_decomposerEEE10hipError_tT1_T2_PT3_SE_jT4_jjP12ihipStream_tbEUlT_E_NS1_11comp_targetILNS1_3genE4ELNS1_11target_archE910ELNS1_3gpuE8ELNS1_3repE0EEENS1_52radix_sort_onesweep_histogram_config_static_selectorELNS0_4arch9wavefront6targetE1EEEvSC_,@function
_ZN7rocprim17ROCPRIM_400000_NS6detail17trampoline_kernelINS0_14default_configENS1_35radix_sort_onesweep_config_selectorIhNS0_10empty_typeEEEZNS1_34radix_sort_onesweep_global_offsetsIS3_Lb1EPhPS5_mNS0_19identity_decomposerEEE10hipError_tT1_T2_PT3_SE_jT4_jjP12ihipStream_tbEUlT_E_NS1_11comp_targetILNS1_3genE4ELNS1_11target_archE910ELNS1_3gpuE8ELNS1_3repE0EEENS1_52radix_sort_onesweep_histogram_config_static_selectorELNS0_4arch9wavefront6targetE1EEEvSC_: ; @_ZN7rocprim17ROCPRIM_400000_NS6detail17trampoline_kernelINS0_14default_configENS1_35radix_sort_onesweep_config_selectorIhNS0_10empty_typeEEEZNS1_34radix_sort_onesweep_global_offsetsIS3_Lb1EPhPS5_mNS0_19identity_decomposerEEE10hipError_tT1_T2_PT3_SE_jT4_jjP12ihipStream_tbEUlT_E_NS1_11comp_targetILNS1_3genE4ELNS1_11target_archE910ELNS1_3gpuE8ELNS1_3repE0EEENS1_52radix_sort_onesweep_histogram_config_static_selectorELNS0_4arch9wavefront6targetE1EEEvSC_
; %bb.0:
	s_load_dwordx4 s[8:11], s[4:5], 0x0
	s_load_dwordx2 s[0:1], s[4:5], 0x18
	s_load_dwordx2 s[12:13], s[4:5], 0x24
	v_mov_b32_e32 v2, s6
	v_mov_b32_e32 v3, 0
	s_mul_hi_u32 s3, s6, 0x2c00
	s_mulk_i32 s6, 0x2c00
	s_waitcnt lgkmcnt(0)
	v_cmp_le_u64_e32 vcc, s[0:1], v[2:3]
	s_add_u32 s2, s8, s6
	s_addc_u32 s3, s9, s3
	v_and_b32_e32 v1, 3, v0
	s_mov_b64 s[6:7], -1
	s_cbranch_vccz .LBB1719_207
; %bb.1:
	s_load_dword s14, s[4:5], 0x10
	s_mulk_i32 s0, 0xd400
                                        ; implicit-def: $vgpr44
	s_waitcnt lgkmcnt(0)
	s_add_i32 s14, s14, s0
	v_cmp_gt_u32_e32 vcc, s14, v0
	s_and_saveexec_b64 s[0:1], vcc
	s_cbranch_execz .LBB1719_3
; %bb.2:
	global_load_ubyte v44, v0, s[2:3]
.LBB1719_3:
	s_or_b64 exec, exec, s[0:1]
	v_or_b32_e32 v42, 0x200, v0
	v_cmp_gt_u32_e32 vcc, s14, v42
                                        ; implicit-def: $vgpr43
	s_and_saveexec_b64 s[0:1], vcc
	s_cbranch_execz .LBB1719_5
; %bb.4:
	global_load_ubyte v43, v0, s[2:3] offset:512
.LBB1719_5:
	s_or_b64 exec, exec, s[0:1]
	v_or_b32_e32 v40, 0x400, v0
	v_cmp_gt_u32_e32 vcc, s14, v40
                                        ; implicit-def: $vgpr41
	s_and_saveexec_b64 s[0:1], vcc
	s_cbranch_execz .LBB1719_7
; %bb.6:
	global_load_ubyte v41, v0, s[2:3] offset:1024
.LBB1719_7:
	s_or_b64 exec, exec, s[0:1]
	v_or_b32_e32 v38, 0x600, v0
	v_cmp_gt_u32_e32 vcc, s14, v38
                                        ; implicit-def: $vgpr39
	s_and_saveexec_b64 s[0:1], vcc
	s_cbranch_execz .LBB1719_9
; %bb.8:
	global_load_ubyte v39, v0, s[2:3] offset:1536
.LBB1719_9:
	s_or_b64 exec, exec, s[0:1]
	v_or_b32_e32 v36, 0x800, v0
	v_cmp_gt_u32_e32 vcc, s14, v36
                                        ; implicit-def: $vgpr37
	s_and_saveexec_b64 s[0:1], vcc
	s_cbranch_execz .LBB1719_11
; %bb.10:
	global_load_ubyte v37, v0, s[2:3] offset:2048
.LBB1719_11:
	s_or_b64 exec, exec, s[0:1]
	v_or_b32_e32 v34, 0xa00, v0
	v_cmp_gt_u32_e32 vcc, s14, v34
                                        ; implicit-def: $vgpr35
	s_and_saveexec_b64 s[0:1], vcc
	s_cbranch_execz .LBB1719_13
; %bb.12:
	global_load_ubyte v35, v0, s[2:3] offset:2560
.LBB1719_13:
	s_or_b64 exec, exec, s[0:1]
	v_or_b32_e32 v32, 0xc00, v0
	v_cmp_gt_u32_e32 vcc, s14, v32
                                        ; implicit-def: $vgpr33
	s_and_saveexec_b64 s[0:1], vcc
	s_cbranch_execz .LBB1719_15
; %bb.14:
	global_load_ubyte v33, v0, s[2:3] offset:3072
.LBB1719_15:
	s_or_b64 exec, exec, s[0:1]
	v_or_b32_e32 v30, 0xe00, v0
	v_cmp_gt_u32_e32 vcc, s14, v30
                                        ; implicit-def: $vgpr31
	s_and_saveexec_b64 s[0:1], vcc
	s_cbranch_execz .LBB1719_17
; %bb.16:
	global_load_ubyte v31, v0, s[2:3] offset:3584
.LBB1719_17:
	s_or_b64 exec, exec, s[0:1]
	v_or_b32_e32 v28, 0x1000, v0
	v_cmp_gt_u32_e32 vcc, s14, v28
                                        ; implicit-def: $vgpr29
	s_and_saveexec_b64 s[0:1], vcc
	s_cbranch_execz .LBB1719_19
; %bb.18:
	global_load_ubyte v29, v28, s[2:3]
.LBB1719_19:
	s_or_b64 exec, exec, s[0:1]
	v_or_b32_e32 v26, 0x1200, v0
	v_cmp_gt_u32_e32 vcc, s14, v26
                                        ; implicit-def: $vgpr27
	s_and_saveexec_b64 s[0:1], vcc
	s_cbranch_execz .LBB1719_21
; %bb.20:
	global_load_ubyte v27, v26, s[2:3]
.LBB1719_21:
	s_or_b64 exec, exec, s[0:1]
	v_or_b32_e32 v24, 0x1400, v0
	v_cmp_gt_u32_e32 vcc, s14, v24
                                        ; implicit-def: $vgpr25
	s_and_saveexec_b64 s[0:1], vcc
	s_cbranch_execz .LBB1719_23
; %bb.22:
	global_load_ubyte v25, v24, s[2:3]
.LBB1719_23:
	s_or_b64 exec, exec, s[0:1]
	v_or_b32_e32 v22, 0x1600, v0
	v_cmp_gt_u32_e32 vcc, s14, v22
                                        ; implicit-def: $vgpr23
	s_and_saveexec_b64 s[0:1], vcc
	s_cbranch_execz .LBB1719_25
; %bb.24:
	global_load_ubyte v23, v22, s[2:3]
.LBB1719_25:
	s_or_b64 exec, exec, s[0:1]
	v_or_b32_e32 v20, 0x1800, v0
	v_cmp_gt_u32_e32 vcc, s14, v20
                                        ; implicit-def: $vgpr21
	s_and_saveexec_b64 s[0:1], vcc
	s_cbranch_execz .LBB1719_27
; %bb.26:
	global_load_ubyte v21, v20, s[2:3]
.LBB1719_27:
	s_or_b64 exec, exec, s[0:1]
	v_or_b32_e32 v18, 0x1a00, v0
	v_cmp_gt_u32_e32 vcc, s14, v18
                                        ; implicit-def: $vgpr19
	s_and_saveexec_b64 s[0:1], vcc
	s_cbranch_execz .LBB1719_29
; %bb.28:
	global_load_ubyte v19, v18, s[2:3]
.LBB1719_29:
	s_or_b64 exec, exec, s[0:1]
	v_or_b32_e32 v16, 0x1c00, v0
	v_cmp_gt_u32_e32 vcc, s14, v16
                                        ; implicit-def: $vgpr17
	s_and_saveexec_b64 s[0:1], vcc
	s_cbranch_execz .LBB1719_31
; %bb.30:
	global_load_ubyte v17, v16, s[2:3]
.LBB1719_31:
	s_or_b64 exec, exec, s[0:1]
	v_or_b32_e32 v14, 0x1e00, v0
	v_cmp_gt_u32_e32 vcc, s14, v14
                                        ; implicit-def: $vgpr15
	s_and_saveexec_b64 s[0:1], vcc
	s_cbranch_execz .LBB1719_33
; %bb.32:
	global_load_ubyte v15, v14, s[2:3]
.LBB1719_33:
	s_or_b64 exec, exec, s[0:1]
	v_or_b32_e32 v12, 0x2000, v0
	v_cmp_gt_u32_e32 vcc, s14, v12
                                        ; implicit-def: $vgpr13
	s_and_saveexec_b64 s[0:1], vcc
	s_cbranch_execz .LBB1719_35
; %bb.34:
	global_load_ubyte v13, v12, s[2:3]
.LBB1719_35:
	s_or_b64 exec, exec, s[0:1]
	v_or_b32_e32 v10, 0x2200, v0
	v_cmp_gt_u32_e32 vcc, s14, v10
                                        ; implicit-def: $vgpr11
	s_and_saveexec_b64 s[0:1], vcc
	s_cbranch_execz .LBB1719_37
; %bb.36:
	global_load_ubyte v11, v10, s[2:3]
.LBB1719_37:
	s_or_b64 exec, exec, s[0:1]
	v_or_b32_e32 v8, 0x2400, v0
	v_cmp_gt_u32_e32 vcc, s14, v8
                                        ; implicit-def: $vgpr9
	s_and_saveexec_b64 s[0:1], vcc
	s_cbranch_execz .LBB1719_39
; %bb.38:
	global_load_ubyte v9, v8, s[2:3]
.LBB1719_39:
	s_or_b64 exec, exec, s[0:1]
	v_or_b32_e32 v6, 0x2600, v0
	v_cmp_gt_u32_e32 vcc, s14, v6
                                        ; implicit-def: $vgpr7
	s_and_saveexec_b64 s[0:1], vcc
	s_cbranch_execz .LBB1719_41
; %bb.40:
	global_load_ubyte v7, v6, s[2:3]
.LBB1719_41:
	s_or_b64 exec, exec, s[0:1]
	v_or_b32_e32 v4, 0x2800, v0
	v_cmp_gt_u32_e32 vcc, s14, v4
                                        ; implicit-def: $vgpr5
	s_and_saveexec_b64 s[0:1], vcc
	s_cbranch_execz .LBB1719_43
; %bb.42:
	global_load_ubyte v5, v4, s[2:3]
.LBB1719_43:
	s_or_b64 exec, exec, s[0:1]
	v_or_b32_e32 v2, 0x2a00, v0
	v_cmp_gt_u32_e32 vcc, s14, v2
                                        ; implicit-def: $vgpr3
	s_and_saveexec_b64 s[0:1], vcc
	s_cbranch_execz .LBB1719_45
; %bb.44:
	global_load_ubyte v3, v2, s[2:3]
.LBB1719_45:
	s_or_b64 exec, exec, s[0:1]
	s_movk_i32 s0, 0x80
	v_cmp_gt_u32_e32 vcc, s0, v0
	s_and_saveexec_b64 s[0:1], vcc
	s_cbranch_execz .LBB1719_47
; %bb.46:
	v_lshlrev_b32_e32 v45, 2, v0
	v_mov_b32_e32 v46, 0
	ds_write_b32 v45, v46
.LBB1719_47:
	s_or_b64 exec, exec, s[0:1]
	s_cmp_le_u32 s13, s12
	s_cselect_b64 s[4:5], -1, 0
	v_cmp_le_u32_e32 vcc, s14, v0
	s_and_b64 s[0:1], s[4:5], exec
	s_cselect_b32 s15, 8, 10
	s_or_b64 s[0:1], s[4:5], vcc
	s_waitcnt vmcnt(0)
	v_xor_b32_e32 v44, -1, v44
	s_xor_b64 s[6:7], s[0:1], -1
	v_mov_b32_e32 v45, s15
	s_waitcnt lgkmcnt(0)
	s_barrier
	s_and_saveexec_b64 s[0:1], s[6:7]
	s_cbranch_execz .LBB1719_49
; %bb.48:
	s_sub_i32 s6, s13, s12
	s_min_u32 s6, s6, 4
	v_lshrrev_b32_sdwa v45, s12, v44 dst_sel:DWORD dst_unused:UNUSED_PAD src0_sel:DWORD src1_sel:BYTE_0
	v_bfe_u32 v45, v45, 0, s6
	v_lshlrev_b32_e32 v46, 2, v1
	v_lshl_or_b32 v45, v45, 4, v46
	v_mov_b32_e32 v46, 1
	ds_add_u32 v45, v46
	v_mov_b32_e32 v45, 0
.LBB1719_49:
	s_or_b64 exec, exec, s[0:1]
	v_cmp_gt_i32_e64 s[0:1], 10, v45
	s_mov_b64 s[6:7], -1
	s_and_saveexec_b64 s[8:9], s[0:1]
; %bb.50:
	v_cmp_eq_u32_e64 s[0:1], 0, v45
	s_orn2_b64 s[6:7], s[0:1], exec
; %bb.51:
	s_or_b64 exec, exec, s[8:9]
	s_and_saveexec_b64 s[0:1], s[6:7]
	s_cbranch_execz .LBB1719_54
; %bb.52:
	s_add_i32 s6, s12, 4
	s_cmp_gt_u32 s13, s6
	s_cselect_b64 s[8:9], -1, 0
	s_xor_b64 s[16:17], vcc, -1
	s_and_b64 s[8:9], s[8:9], s[16:17]
	s_and_b64 exec, exec, s[8:9]
	s_cbranch_execz .LBB1719_54
; %bb.53:
	s_sub_i32 s7, s13, s6
	s_min_u32 s7, s7, 4
	v_lshrrev_b32_sdwa v44, s6, v44 dst_sel:DWORD dst_unused:UNUSED_PAD src0_sel:DWORD src1_sel:BYTE_0
	v_bfe_u32 v44, v44, 0, s7
	v_lshlrev_b32_e32 v45, 2, v1
	v_lshl_or_b32 v44, v44, 4, v45
	v_mov_b32_e32 v45, 1
	ds_add_u32 v44, v45 offset:256
.LBB1719_54:
	s_or_b64 exec, exec, s[0:1]
	v_cmp_le_u32_e32 vcc, s14, v42
	s_or_b64 s[0:1], s[4:5], vcc
	v_xor_b32_e32 v43, -1, v43
	s_xor_b64 s[6:7], s[0:1], -1
	v_mov_b32_e32 v42, s15
	s_and_saveexec_b64 s[0:1], s[6:7]
	s_cbranch_execz .LBB1719_56
; %bb.55:
	s_sub_i32 s6, s13, s12
	s_min_u32 s6, s6, 4
	v_lshrrev_b32_sdwa v42, s12, v43 dst_sel:DWORD dst_unused:UNUSED_PAD src0_sel:DWORD src1_sel:BYTE_0
	v_bfe_u32 v42, v42, 0, s6
	v_lshlrev_b32_e32 v44, 2, v1
	v_lshl_or_b32 v42, v42, 4, v44
	v_mov_b32_e32 v44, 1
	ds_add_u32 v42, v44
	v_mov_b32_e32 v42, 0
.LBB1719_56:
	s_or_b64 exec, exec, s[0:1]
	v_cmp_gt_i32_e64 s[0:1], 10, v42
	s_mov_b64 s[6:7], -1
	s_and_saveexec_b64 s[8:9], s[0:1]
; %bb.57:
	v_cmp_eq_u32_e64 s[0:1], 0, v42
	s_orn2_b64 s[6:7], s[0:1], exec
; %bb.58:
	s_or_b64 exec, exec, s[8:9]
	s_and_saveexec_b64 s[0:1], s[6:7]
	s_cbranch_execz .LBB1719_61
; %bb.59:
	s_add_i32 s6, s12, 4
	s_cmp_gt_u32 s13, s6
	s_cselect_b64 s[8:9], -1, 0
	s_xor_b64 s[16:17], vcc, -1
	s_and_b64 s[8:9], s[8:9], s[16:17]
	s_and_b64 exec, exec, s[8:9]
	s_cbranch_execz .LBB1719_61
; %bb.60:
	s_sub_i32 s7, s13, s6
	s_min_u32 s7, s7, 4
	v_lshrrev_b32_sdwa v42, s6, v43 dst_sel:DWORD dst_unused:UNUSED_PAD src0_sel:DWORD src1_sel:BYTE_0
	v_bfe_u32 v42, v42, 0, s7
	v_lshlrev_b32_e32 v43, 2, v1
	v_lshl_or_b32 v42, v42, 4, v43
	v_mov_b32_e32 v43, 1
	ds_add_u32 v42, v43 offset:256
.LBB1719_61:
	s_or_b64 exec, exec, s[0:1]
	v_cmp_le_u32_e32 vcc, s14, v40
	s_or_b64 s[0:1], s[4:5], vcc
	v_xor_b32_e32 v41, -1, v41
	s_xor_b64 s[6:7], s[0:1], -1
	v_mov_b32_e32 v40, s15
	;; [unrolled: 48-line block ×21, first 2 shown]
	s_and_saveexec_b64 s[0:1], s[4:5]
	s_cbranch_execz .LBB1719_196
; %bb.195:
	s_sub_i32 s4, s13, s12
	s_min_u32 s4, s4, 4
	v_lshrrev_b32_sdwa v2, s12, v3 dst_sel:DWORD dst_unused:UNUSED_PAD src0_sel:DWORD src1_sel:BYTE_0
	v_bfe_u32 v2, v2, 0, s4
	v_lshlrev_b32_e32 v4, 2, v1
	v_lshl_or_b32 v2, v2, 4, v4
	v_mov_b32_e32 v4, 1
	ds_add_u32 v2, v4
	v_mov_b32_e32 v2, 0
.LBB1719_196:
	s_or_b64 exec, exec, s[0:1]
	v_cmp_gt_i32_e64 s[0:1], 10, v2
	s_mov_b64 s[4:5], -1
	s_and_saveexec_b64 s[6:7], s[0:1]
; %bb.197:
	v_cmp_eq_u32_e64 s[0:1], 0, v2
	s_orn2_b64 s[4:5], s[0:1], exec
; %bb.198:
	s_or_b64 exec, exec, s[6:7]
	s_and_saveexec_b64 s[0:1], s[4:5]
	s_cbranch_execz .LBB1719_201
; %bb.199:
	s_add_i32 s4, s12, 4
	s_cmp_gt_u32 s13, s4
	s_cselect_b64 s[6:7], -1, 0
	s_xor_b64 s[8:9], vcc, -1
	s_and_b64 s[6:7], s[6:7], s[8:9]
	s_and_b64 exec, exec, s[6:7]
	s_cbranch_execz .LBB1719_201
; %bb.200:
	s_sub_i32 s5, s13, s4
	s_min_u32 s5, s5, 4
	v_lshrrev_b32_sdwa v2, s4, v3 dst_sel:DWORD dst_unused:UNUSED_PAD src0_sel:DWORD src1_sel:BYTE_0
	v_bfe_u32 v2, v2, 0, s5
	v_lshlrev_b32_e32 v3, 2, v1
	v_lshl_or_b32 v2, v2, 4, v3
	v_mov_b32_e32 v3, 1
	ds_add_u32 v2, v3 offset:256
.LBB1719_201:
	s_or_b64 exec, exec, s[0:1]
	s_cmp_gt_u32 s13, s12
	s_waitcnt lgkmcnt(0)
	s_barrier
	s_cbranch_scc0 .LBB1719_206
; %bb.202:
	v_cmp_gt_u32_e32 vcc, 16, v0
	v_lshlrev_b32_e32 v4, 4, v0
	v_mov_b32_e32 v3, 0
	v_mov_b32_e32 v2, v0
	s_mov_b32 s6, s12
	s_branch .LBB1719_204
.LBB1719_203:                           ;   in Loop: Header=BB1719_204 Depth=1
	s_or_b64 exec, exec, s[4:5]
	s_add_i32 s6, s6, 4
	v_add_u32_e32 v2, 16, v2
	s_cmp_lt_u32 s6, s13
	v_add_u32_e32 v4, 0x100, v4
	s_cbranch_scc0 .LBB1719_206
.LBB1719_204:                           ; =>This Inner Loop Header: Depth=1
	s_and_saveexec_b64 s[4:5], vcc
	s_cbranch_execz .LBB1719_203
; %bb.205:                              ;   in Loop: Header=BB1719_204 Depth=1
	ds_read2_b32 v[6:7], v4 offset1:1
	ds_read2_b32 v[8:9], v4 offset0:2 offset1:3
	v_lshlrev_b64 v[10:11], 3, v[2:3]
	v_mov_b32_e32 v5, s11
	s_waitcnt lgkmcnt(1)
	v_add_u32_e32 v6, v7, v6
	s_waitcnt lgkmcnt(0)
	v_add3_u32 v6, v6, v8, v9
	v_add_co_u32_e64 v8, s[0:1], s10, v10
	v_addc_co_u32_e64 v9, s[0:1], v5, v11, s[0:1]
	v_mov_b32_e32 v7, v3
	global_atomic_add_x2 v[8:9], v[6:7], off
	s_branch .LBB1719_203
.LBB1719_206:
	s_mov_b64 s[6:7], 0
.LBB1719_207:
	s_and_b64 vcc, exec, s[6:7]
	s_cbranch_vccz .LBB1719_267
; %bb.208:
	v_mov_b32_e32 v2, s3
	v_add_co_u32_e32 v19, vcc, s2, v0
	v_addc_co_u32_e32 v20, vcc, 0, v2, vcc
	s_movk_i32 s0, 0x1000
	v_add_co_u32_e32 v2, vcc, s0, v19
	v_addc_co_u32_e32 v3, vcc, 0, v20, vcc
	global_load_ubyte v4, v0, s[2:3] offset:512
	global_load_ubyte v5, v0, s[2:3] offset:1024
	;; [unrolled: 1-line block ×7, first 2 shown]
	global_load_ubyte v11, v[2:3], off
	global_load_ubyte v12, v[2:3], off offset:512
	global_load_ubyte v13, v[2:3], off offset:1024
	;; [unrolled: 1-line block ×7, first 2 shown]
	v_add_co_u32_e32 v2, vcc, 0x2000, v19
	v_addc_co_u32_e32 v3, vcc, 0, v20, vcc
	global_load_ubyte v19, v[2:3], off
	global_load_ubyte v20, v[2:3], off offset:512
	global_load_ubyte v21, v[2:3], off offset:1024
	;; [unrolled: 1-line block ×4, first 2 shown]
	global_load_ubyte v25, v0, s[2:3]
	global_load_ubyte v24, v[2:3], off offset:2560
	s_cmp_lg_u32 s12, 0
	s_cselect_b64 s[0:1], -1, 0
	s_cmp_lg_u32 s13, 8
	s_cselect_b64 s[2:3], -1, 0
	s_or_b64 s[4:5], s[0:1], s[2:3]
	s_movk_i32 s0, 0x80
	v_cmp_gt_u32_e64 s[0:1], s0, v0
	s_mov_b64 s[2:3], -1
	s_and_b64 vcc, exec, s[4:5]
	s_cbranch_vccz .LBB1719_262
; %bb.209:
	s_and_saveexec_b64 s[2:3], s[0:1]
	s_cbranch_execz .LBB1719_211
; %bb.210:
	v_lshlrev_b32_e32 v2, 2, v0
	v_mov_b32_e32 v3, 0
	ds_write_b32 v2, v3
.LBB1719_211:
	s_or_b64 exec, exec, s[2:3]
	s_cmp_gt_u32 s13, s12
	s_cselect_b64 s[4:5], -1, 0
	s_and_b64 vcc, exec, s[4:5]
	s_waitcnt lgkmcnt(0)
	s_barrier
	s_cbranch_vccz .LBB1719_256
; %bb.212:
	s_sub_i32 s2, s13, s12
	s_min_u32 s2, s2, 4
	s_waitcnt vmcnt(1)
	v_xor_b32_e32 v26, -1, v25
	s_lshl_b32 s2, -1, s2
	s_not_b32 s9, s2
	v_lshrrev_b32_sdwa v2, s12, v26 dst_sel:DWORD dst_unused:UNUSED_PAD src0_sel:DWORD src1_sel:BYTE_0
	v_and_b32_e32 v3, s9, v2
	v_lshlrev_b32_e32 v2, 2, v1
	v_lshl_or_b32 v27, v3, 4, v2
	v_mov_b32_e32 v3, 1
	ds_add_u32 v27, v3
	s_add_i32 s8, s12, 4
	s_cmp_gt_u32 s13, s8
	s_cselect_b64 s[6:7], -1, 0
	s_cmp_le_u32 s13, s8
	s_cbranch_scc1 .LBB1719_214
; %bb.213:
	s_sub_i32 s2, s13, s8
	s_min_u32 s2, s2, 4
	v_lshrrev_b32_sdwa v26, s8, v26 dst_sel:DWORD dst_unused:UNUSED_PAD src0_sel:DWORD src1_sel:BYTE_0
	v_bfe_u32 v26, v26, 0, s2
	v_lshl_or_b32 v26, v26, 4, v2
	ds_add_u32 v26, v3 offset:256
.LBB1719_214:
	v_xor_b32_e32 v26, -1, v4
	v_lshrrev_b32_sdwa v27, s12, v26 dst_sel:DWORD dst_unused:UNUSED_PAD src0_sel:DWORD src1_sel:BYTE_0
	v_and_b32_e32 v27, s9, v27
	v_lshl_or_b32 v27, v27, 4, v2
	ds_add_u32 v27, v3
	v_cndmask_b32_e64 v3, 0, 1, s[6:7]
	v_cmp_ne_u32_e64 s[2:3], 1, v3
	s_andn2_b64 vcc, exec, s[6:7]
	s_cbranch_vccnz .LBB1719_216
; %bb.215:
	s_sub_i32 s6, s13, s8
	s_min_u32 s6, s6, 4
	v_lshrrev_b32_sdwa v3, s8, v26 dst_sel:DWORD dst_unused:UNUSED_PAD src0_sel:DWORD src1_sel:BYTE_0
	v_bfe_u32 v3, v3, 0, s6
	v_lshl_or_b32 v3, v3, 4, v2
	v_mov_b32_e32 v26, 1
	ds_add_u32 v3, v26 offset:256
.LBB1719_216:
	v_xor_b32_e32 v26, -1, v5
	v_lshrrev_b32_sdwa v3, s12, v26 dst_sel:DWORD dst_unused:UNUSED_PAD src0_sel:DWORD src1_sel:BYTE_0
	v_and_b32_e32 v3, s9, v3
	v_lshl_or_b32 v27, v3, 4, v2
	v_mov_b32_e32 v3, 1
	ds_add_u32 v27, v3
	s_and_b64 vcc, exec, s[2:3]
	s_cbranch_vccnz .LBB1719_218
; %bb.217:
	s_sub_i32 s6, s13, s8
	s_min_u32 s6, s6, 4
	v_lshrrev_b32_sdwa v26, s8, v26 dst_sel:DWORD dst_unused:UNUSED_PAD src0_sel:DWORD src1_sel:BYTE_0
	v_bfe_u32 v26, v26, 0, s6
	v_lshl_or_b32 v26, v26, 4, v2
	ds_add_u32 v26, v3 offset:256
.LBB1719_218:
	v_xor_b32_e32 v26, -1, v6
	v_lshrrev_b32_sdwa v27, s12, v26 dst_sel:DWORD dst_unused:UNUSED_PAD src0_sel:DWORD src1_sel:BYTE_0
	v_and_b32_e32 v27, s9, v27
	v_lshl_or_b32 v27, v27, 4, v2
	ds_add_u32 v27, v3
	s_and_b64 vcc, exec, s[2:3]
	s_cbranch_vccnz .LBB1719_220
; %bb.219:
	s_sub_i32 s6, s13, s8
	s_min_u32 s6, s6, 4
	v_lshrrev_b32_sdwa v3, s8, v26 dst_sel:DWORD dst_unused:UNUSED_PAD src0_sel:DWORD src1_sel:BYTE_0
	v_bfe_u32 v3, v3, 0, s6
	v_lshl_or_b32 v3, v3, 4, v2
	v_mov_b32_e32 v26, 1
	ds_add_u32 v3, v26 offset:256
.LBB1719_220:
	v_xor_b32_e32 v26, -1, v7
	v_lshrrev_b32_sdwa v3, s12, v26 dst_sel:DWORD dst_unused:UNUSED_PAD src0_sel:DWORD src1_sel:BYTE_0
	v_and_b32_e32 v3, s9, v3
	v_lshl_or_b32 v27, v3, 4, v2
	v_mov_b32_e32 v3, 1
	ds_add_u32 v27, v3
	s_and_b64 vcc, exec, s[2:3]
	s_cbranch_vccnz .LBB1719_222
; %bb.221:
	s_sub_i32 s6, s13, s8
	s_min_u32 s6, s6, 4
	v_lshrrev_b32_sdwa v26, s8, v26 dst_sel:DWORD dst_unused:UNUSED_PAD src0_sel:DWORD src1_sel:BYTE_0
	v_bfe_u32 v26, v26, 0, s6
	v_lshl_or_b32 v26, v26, 4, v2
	ds_add_u32 v26, v3 offset:256
.LBB1719_222:
	v_xor_b32_e32 v26, -1, v8
	v_lshrrev_b32_sdwa v27, s12, v26 dst_sel:DWORD dst_unused:UNUSED_PAD src0_sel:DWORD src1_sel:BYTE_0
	v_and_b32_e32 v27, s9, v27
	v_lshl_or_b32 v27, v27, 4, v2
	ds_add_u32 v27, v3
	s_and_b64 vcc, exec, s[2:3]
	;; [unrolled: 32-line block ×9, first 2 shown]
	s_cbranch_vccnz .LBB1719_252
; %bb.251:
	s_sub_i32 s6, s13, s8
	s_min_u32 s6, s6, 4
	v_lshrrev_b32_sdwa v3, s8, v26 dst_sel:DWORD dst_unused:UNUSED_PAD src0_sel:DWORD src1_sel:BYTE_0
	v_bfe_u32 v3, v3, 0, s6
	v_lshl_or_b32 v3, v3, 4, v2
	v_mov_b32_e32 v26, 1
	ds_add_u32 v3, v26 offset:256
.LBB1719_252:
	v_xor_b32_e32 v26, -1, v23
	v_lshrrev_b32_sdwa v3, s12, v26 dst_sel:DWORD dst_unused:UNUSED_PAD src0_sel:DWORD src1_sel:BYTE_0
	v_and_b32_e32 v3, s9, v3
	v_lshl_or_b32 v27, v3, 4, v2
	v_mov_b32_e32 v3, 1
	ds_add_u32 v27, v3
	s_and_b64 vcc, exec, s[2:3]
	s_cbranch_vccnz .LBB1719_254
; %bb.253:
	s_sub_i32 s6, s13, s8
	s_min_u32 s6, s6, 4
	v_lshrrev_b32_sdwa v26, s8, v26 dst_sel:DWORD dst_unused:UNUSED_PAD src0_sel:DWORD src1_sel:BYTE_0
	v_bfe_u32 v26, v26, 0, s6
	v_lshl_or_b32 v26, v26, 4, v2
	ds_add_u32 v26, v3 offset:256
.LBB1719_254:
	s_waitcnt vmcnt(0)
	v_xor_b32_e32 v26, -1, v24
	v_lshrrev_b32_sdwa v27, s12, v26 dst_sel:DWORD dst_unused:UNUSED_PAD src0_sel:DWORD src1_sel:BYTE_0
	v_and_b32_e32 v27, s9, v27
	v_lshl_or_b32 v27, v27, 4, v2
	ds_add_u32 v27, v3
	s_and_b64 vcc, exec, s[2:3]
	s_cbranch_vccnz .LBB1719_256
; %bb.255:
	s_sub_i32 s2, s13, s8
	s_min_u32 s2, s2, 4
	v_lshrrev_b32_sdwa v3, s8, v26 dst_sel:DWORD dst_unused:UNUSED_PAD src0_sel:DWORD src1_sel:BYTE_0
	v_bfe_u32 v3, v3, 0, s2
	v_lshl_or_b32 v2, v3, 4, v2
	v_mov_b32_e32 v3, 1
	ds_add_u32 v2, v3 offset:256
.LBB1719_256:
	s_and_b64 vcc, exec, s[4:5]
	s_waitcnt lgkmcnt(0)
	s_barrier
	s_cbranch_vccz .LBB1719_261
; %bb.257:
	v_cmp_gt_u32_e32 vcc, 16, v0
	v_lshlrev_b32_e32 v26, 4, v0
	v_mov_b32_e32 v3, 0
	v_mov_b32_e32 v2, v0
	s_branch .LBB1719_259
.LBB1719_258:                           ;   in Loop: Header=BB1719_259 Depth=1
	s_or_b64 exec, exec, s[4:5]
	s_add_i32 s12, s12, 4
	v_add_u32_e32 v2, 16, v2
	s_cmp_ge_u32 s12, s13
	v_add_u32_e32 v26, 0x100, v26
	s_cbranch_scc1 .LBB1719_261
.LBB1719_259:                           ; =>This Inner Loop Header: Depth=1
	s_and_saveexec_b64 s[4:5], vcc
	s_cbranch_execz .LBB1719_258
; %bb.260:                              ;   in Loop: Header=BB1719_259 Depth=1
	ds_read2_b32 v[28:29], v26 offset1:1
	ds_read2_b32 v[30:31], v26 offset0:2 offset1:3
	v_lshlrev_b64 v[32:33], 3, v[2:3]
	v_mov_b32_e32 v27, s11
	s_waitcnt lgkmcnt(1)
	v_add_u32_e32 v28, v29, v28
	s_waitcnt lgkmcnt(0)
	v_add3_u32 v28, v28, v30, v31
	v_add_co_u32_e64 v30, s[2:3], s10, v32
	v_addc_co_u32_e64 v31, s[2:3], v27, v33, s[2:3]
	v_mov_b32_e32 v29, v3
	global_atomic_add_x2 v[30:31], v[28:29], off
	s_branch .LBB1719_258
.LBB1719_261:
	s_mov_b64 s[2:3], 0
.LBB1719_262:
	s_and_b64 vcc, exec, s[2:3]
	s_cbranch_vccz .LBB1719_267
; %bb.263:
	s_and_saveexec_b64 s[2:3], s[0:1]
	s_cbranch_execz .LBB1719_265
; %bb.264:
	v_lshlrev_b32_e32 v2, 2, v0
	v_mov_b32_e32 v3, 0
	ds_write_b32 v2, v3
.LBB1719_265:
	s_or_b64 exec, exec, s[2:3]
	s_waitcnt vmcnt(1)
	v_xor_b32_e32 v2, -1, v25
	v_xor_b32_e32 v3, -1, v4
	;; [unrolled: 1-line block ×21, first 2 shown]
	s_waitcnt vmcnt(0)
	v_xor_b32_e32 v23, -1, v24
	v_lshlrev_b32_e32 v24, 2, v2
	v_and_or_b32 v24, v24, 60, v1
	v_lshrrev_b32_e32 v2, 2, v2
	v_lshlrev_b32_e32 v24, 2, v24
	v_mov_b32_e32 v25, 1
	v_and_or_b32 v2, v2, 60, v1
	s_waitcnt lgkmcnt(0)
	s_barrier
	ds_add_u32 v24, v25
	v_lshlrev_b32_e32 v2, 2, v2
	ds_add_u32 v2, v25 offset:256
	v_lshlrev_b32_e32 v2, 2, v3
	v_and_or_b32 v2, v2, 60, v1
	v_lshlrev_b32_e32 v2, 2, v2
	ds_add_u32 v2, v25
	v_lshrrev_b32_e32 v2, 2, v3
	v_and_or_b32 v2, v2, 60, v1
	v_lshlrev_b32_e32 v2, 2, v2
	ds_add_u32 v2, v25 offset:256
	v_lshlrev_b32_e32 v2, 2, v4
	v_and_or_b32 v2, v2, 60, v1
	v_lshlrev_b32_e32 v2, 2, v2
	ds_add_u32 v2, v25
	v_lshrrev_b32_e32 v2, 2, v4
	v_and_or_b32 v2, v2, 60, v1
	;; [unrolled: 8-line block ×21, first 2 shown]
	v_lshlrev_b32_e32 v1, 2, v1
	ds_add_u32 v1, v25 offset:256
	v_cmp_gt_u32_e32 vcc, 16, v0
	s_waitcnt lgkmcnt(0)
	s_barrier
	s_and_saveexec_b64 s[0:1], vcc
	s_cbranch_execz .LBB1719_267
; %bb.266:
	v_lshlrev_b32_e32 v6, 4, v0
	ds_read2_b32 v[2:3], v6 offset1:1
	ds_read2_b32 v[4:5], v6 offset0:2 offset1:3
	v_lshlrev_b32_e32 v7, 3, v0
	v_mov_b32_e32 v1, 0
	s_waitcnt lgkmcnt(1)
	v_add_u32_e32 v0, v3, v2
	s_waitcnt lgkmcnt(0)
	v_add3_u32 v0, v0, v4, v5
	global_atomic_add_x2 v7, v[0:1], s[10:11]
	ds_read2_b32 v[2:3], v6 offset0:64 offset1:65
	ds_read2_b32 v[4:5], v6 offset0:66 offset1:67
	s_waitcnt lgkmcnt(1)
	v_add_u32_e32 v0, v3, v2
	s_waitcnt lgkmcnt(0)
	v_add3_u32 v0, v0, v4, v5
	global_atomic_add_x2 v7, v[0:1], s[10:11] offset:128
.LBB1719_267:
	s_endpgm
	.section	.rodata,"a",@progbits
	.p2align	6, 0x0
	.amdhsa_kernel _ZN7rocprim17ROCPRIM_400000_NS6detail17trampoline_kernelINS0_14default_configENS1_35radix_sort_onesweep_config_selectorIhNS0_10empty_typeEEEZNS1_34radix_sort_onesweep_global_offsetsIS3_Lb1EPhPS5_mNS0_19identity_decomposerEEE10hipError_tT1_T2_PT3_SE_jT4_jjP12ihipStream_tbEUlT_E_NS1_11comp_targetILNS1_3genE4ELNS1_11target_archE910ELNS1_3gpuE8ELNS1_3repE0EEENS1_52radix_sort_onesweep_histogram_config_static_selectorELNS0_4arch9wavefront6targetE1EEEvSC_
		.amdhsa_group_segment_fixed_size 512
		.amdhsa_private_segment_fixed_size 0
		.amdhsa_kernarg_size 48
		.amdhsa_user_sgpr_count 6
		.amdhsa_user_sgpr_private_segment_buffer 1
		.amdhsa_user_sgpr_dispatch_ptr 0
		.amdhsa_user_sgpr_queue_ptr 0
		.amdhsa_user_sgpr_kernarg_segment_ptr 1
		.amdhsa_user_sgpr_dispatch_id 0
		.amdhsa_user_sgpr_flat_scratch_init 0
		.amdhsa_user_sgpr_kernarg_preload_length 0
		.amdhsa_user_sgpr_kernarg_preload_offset 0
		.amdhsa_user_sgpr_private_segment_size 0
		.amdhsa_uses_dynamic_stack 0
		.amdhsa_system_sgpr_private_segment_wavefront_offset 0
		.amdhsa_system_sgpr_workgroup_id_x 1
		.amdhsa_system_sgpr_workgroup_id_y 0
		.amdhsa_system_sgpr_workgroup_id_z 0
		.amdhsa_system_sgpr_workgroup_info 0
		.amdhsa_system_vgpr_workitem_id 0
		.amdhsa_next_free_vgpr 47
		.amdhsa_next_free_sgpr 18
		.amdhsa_accum_offset 48
		.amdhsa_reserve_vcc 1
		.amdhsa_reserve_flat_scratch 0
		.amdhsa_float_round_mode_32 0
		.amdhsa_float_round_mode_16_64 0
		.amdhsa_float_denorm_mode_32 3
		.amdhsa_float_denorm_mode_16_64 3
		.amdhsa_dx10_clamp 1
		.amdhsa_ieee_mode 1
		.amdhsa_fp16_overflow 0
		.amdhsa_tg_split 0
		.amdhsa_exception_fp_ieee_invalid_op 0
		.amdhsa_exception_fp_denorm_src 0
		.amdhsa_exception_fp_ieee_div_zero 0
		.amdhsa_exception_fp_ieee_overflow 0
		.amdhsa_exception_fp_ieee_underflow 0
		.amdhsa_exception_fp_ieee_inexact 0
		.amdhsa_exception_int_div_zero 0
	.end_amdhsa_kernel
	.section	.text._ZN7rocprim17ROCPRIM_400000_NS6detail17trampoline_kernelINS0_14default_configENS1_35radix_sort_onesweep_config_selectorIhNS0_10empty_typeEEEZNS1_34radix_sort_onesweep_global_offsetsIS3_Lb1EPhPS5_mNS0_19identity_decomposerEEE10hipError_tT1_T2_PT3_SE_jT4_jjP12ihipStream_tbEUlT_E_NS1_11comp_targetILNS1_3genE4ELNS1_11target_archE910ELNS1_3gpuE8ELNS1_3repE0EEENS1_52radix_sort_onesweep_histogram_config_static_selectorELNS0_4arch9wavefront6targetE1EEEvSC_,"axG",@progbits,_ZN7rocprim17ROCPRIM_400000_NS6detail17trampoline_kernelINS0_14default_configENS1_35radix_sort_onesweep_config_selectorIhNS0_10empty_typeEEEZNS1_34radix_sort_onesweep_global_offsetsIS3_Lb1EPhPS5_mNS0_19identity_decomposerEEE10hipError_tT1_T2_PT3_SE_jT4_jjP12ihipStream_tbEUlT_E_NS1_11comp_targetILNS1_3genE4ELNS1_11target_archE910ELNS1_3gpuE8ELNS1_3repE0EEENS1_52radix_sort_onesweep_histogram_config_static_selectorELNS0_4arch9wavefront6targetE1EEEvSC_,comdat
.Lfunc_end1719:
	.size	_ZN7rocprim17ROCPRIM_400000_NS6detail17trampoline_kernelINS0_14default_configENS1_35radix_sort_onesweep_config_selectorIhNS0_10empty_typeEEEZNS1_34radix_sort_onesweep_global_offsetsIS3_Lb1EPhPS5_mNS0_19identity_decomposerEEE10hipError_tT1_T2_PT3_SE_jT4_jjP12ihipStream_tbEUlT_E_NS1_11comp_targetILNS1_3genE4ELNS1_11target_archE910ELNS1_3gpuE8ELNS1_3repE0EEENS1_52radix_sort_onesweep_histogram_config_static_selectorELNS0_4arch9wavefront6targetE1EEEvSC_, .Lfunc_end1719-_ZN7rocprim17ROCPRIM_400000_NS6detail17trampoline_kernelINS0_14default_configENS1_35radix_sort_onesweep_config_selectorIhNS0_10empty_typeEEEZNS1_34radix_sort_onesweep_global_offsetsIS3_Lb1EPhPS5_mNS0_19identity_decomposerEEE10hipError_tT1_T2_PT3_SE_jT4_jjP12ihipStream_tbEUlT_E_NS1_11comp_targetILNS1_3genE4ELNS1_11target_archE910ELNS1_3gpuE8ELNS1_3repE0EEENS1_52radix_sort_onesweep_histogram_config_static_selectorELNS0_4arch9wavefront6targetE1EEEvSC_
                                        ; -- End function
	.section	.AMDGPU.csdata,"",@progbits
; Kernel info:
; codeLenInByte = 9200
; NumSgprs: 22
; NumVgprs: 47
; NumAgprs: 0
; TotalNumVgprs: 47
; ScratchSize: 0
; MemoryBound: 0
; FloatMode: 240
; IeeeMode: 1
; LDSByteSize: 512 bytes/workgroup (compile time only)
; SGPRBlocks: 2
; VGPRBlocks: 5
; NumSGPRsForWavesPerEU: 22
; NumVGPRsForWavesPerEU: 47
; AccumOffset: 48
; Occupancy: 8
; WaveLimiterHint : 1
; COMPUTE_PGM_RSRC2:SCRATCH_EN: 0
; COMPUTE_PGM_RSRC2:USER_SGPR: 6
; COMPUTE_PGM_RSRC2:TRAP_HANDLER: 0
; COMPUTE_PGM_RSRC2:TGID_X_EN: 1
; COMPUTE_PGM_RSRC2:TGID_Y_EN: 0
; COMPUTE_PGM_RSRC2:TGID_Z_EN: 0
; COMPUTE_PGM_RSRC2:TIDIG_COMP_CNT: 0
; COMPUTE_PGM_RSRC3_GFX90A:ACCUM_OFFSET: 11
; COMPUTE_PGM_RSRC3_GFX90A:TG_SPLIT: 0
	.section	.text._ZN7rocprim17ROCPRIM_400000_NS6detail17trampoline_kernelINS0_14default_configENS1_35radix_sort_onesweep_config_selectorIhNS0_10empty_typeEEEZNS1_34radix_sort_onesweep_global_offsetsIS3_Lb1EPhPS5_mNS0_19identity_decomposerEEE10hipError_tT1_T2_PT3_SE_jT4_jjP12ihipStream_tbEUlT_E_NS1_11comp_targetILNS1_3genE3ELNS1_11target_archE908ELNS1_3gpuE7ELNS1_3repE0EEENS1_52radix_sort_onesweep_histogram_config_static_selectorELNS0_4arch9wavefront6targetE1EEEvSC_,"axG",@progbits,_ZN7rocprim17ROCPRIM_400000_NS6detail17trampoline_kernelINS0_14default_configENS1_35radix_sort_onesweep_config_selectorIhNS0_10empty_typeEEEZNS1_34radix_sort_onesweep_global_offsetsIS3_Lb1EPhPS5_mNS0_19identity_decomposerEEE10hipError_tT1_T2_PT3_SE_jT4_jjP12ihipStream_tbEUlT_E_NS1_11comp_targetILNS1_3genE3ELNS1_11target_archE908ELNS1_3gpuE7ELNS1_3repE0EEENS1_52radix_sort_onesweep_histogram_config_static_selectorELNS0_4arch9wavefront6targetE1EEEvSC_,comdat
	.protected	_ZN7rocprim17ROCPRIM_400000_NS6detail17trampoline_kernelINS0_14default_configENS1_35radix_sort_onesweep_config_selectorIhNS0_10empty_typeEEEZNS1_34radix_sort_onesweep_global_offsetsIS3_Lb1EPhPS5_mNS0_19identity_decomposerEEE10hipError_tT1_T2_PT3_SE_jT4_jjP12ihipStream_tbEUlT_E_NS1_11comp_targetILNS1_3genE3ELNS1_11target_archE908ELNS1_3gpuE7ELNS1_3repE0EEENS1_52radix_sort_onesweep_histogram_config_static_selectorELNS0_4arch9wavefront6targetE1EEEvSC_ ; -- Begin function _ZN7rocprim17ROCPRIM_400000_NS6detail17trampoline_kernelINS0_14default_configENS1_35radix_sort_onesweep_config_selectorIhNS0_10empty_typeEEEZNS1_34radix_sort_onesweep_global_offsetsIS3_Lb1EPhPS5_mNS0_19identity_decomposerEEE10hipError_tT1_T2_PT3_SE_jT4_jjP12ihipStream_tbEUlT_E_NS1_11comp_targetILNS1_3genE3ELNS1_11target_archE908ELNS1_3gpuE7ELNS1_3repE0EEENS1_52radix_sort_onesweep_histogram_config_static_selectorELNS0_4arch9wavefront6targetE1EEEvSC_
	.globl	_ZN7rocprim17ROCPRIM_400000_NS6detail17trampoline_kernelINS0_14default_configENS1_35radix_sort_onesweep_config_selectorIhNS0_10empty_typeEEEZNS1_34radix_sort_onesweep_global_offsetsIS3_Lb1EPhPS5_mNS0_19identity_decomposerEEE10hipError_tT1_T2_PT3_SE_jT4_jjP12ihipStream_tbEUlT_E_NS1_11comp_targetILNS1_3genE3ELNS1_11target_archE908ELNS1_3gpuE7ELNS1_3repE0EEENS1_52radix_sort_onesweep_histogram_config_static_selectorELNS0_4arch9wavefront6targetE1EEEvSC_
	.p2align	8
	.type	_ZN7rocprim17ROCPRIM_400000_NS6detail17trampoline_kernelINS0_14default_configENS1_35radix_sort_onesweep_config_selectorIhNS0_10empty_typeEEEZNS1_34radix_sort_onesweep_global_offsetsIS3_Lb1EPhPS5_mNS0_19identity_decomposerEEE10hipError_tT1_T2_PT3_SE_jT4_jjP12ihipStream_tbEUlT_E_NS1_11comp_targetILNS1_3genE3ELNS1_11target_archE908ELNS1_3gpuE7ELNS1_3repE0EEENS1_52radix_sort_onesweep_histogram_config_static_selectorELNS0_4arch9wavefront6targetE1EEEvSC_,@function
_ZN7rocprim17ROCPRIM_400000_NS6detail17trampoline_kernelINS0_14default_configENS1_35radix_sort_onesweep_config_selectorIhNS0_10empty_typeEEEZNS1_34radix_sort_onesweep_global_offsetsIS3_Lb1EPhPS5_mNS0_19identity_decomposerEEE10hipError_tT1_T2_PT3_SE_jT4_jjP12ihipStream_tbEUlT_E_NS1_11comp_targetILNS1_3genE3ELNS1_11target_archE908ELNS1_3gpuE7ELNS1_3repE0EEENS1_52radix_sort_onesweep_histogram_config_static_selectorELNS0_4arch9wavefront6targetE1EEEvSC_: ; @_ZN7rocprim17ROCPRIM_400000_NS6detail17trampoline_kernelINS0_14default_configENS1_35radix_sort_onesweep_config_selectorIhNS0_10empty_typeEEEZNS1_34radix_sort_onesweep_global_offsetsIS3_Lb1EPhPS5_mNS0_19identity_decomposerEEE10hipError_tT1_T2_PT3_SE_jT4_jjP12ihipStream_tbEUlT_E_NS1_11comp_targetILNS1_3genE3ELNS1_11target_archE908ELNS1_3gpuE7ELNS1_3repE0EEENS1_52radix_sort_onesweep_histogram_config_static_selectorELNS0_4arch9wavefront6targetE1EEEvSC_
; %bb.0:
	.section	.rodata,"a",@progbits
	.p2align	6, 0x0
	.amdhsa_kernel _ZN7rocprim17ROCPRIM_400000_NS6detail17trampoline_kernelINS0_14default_configENS1_35radix_sort_onesweep_config_selectorIhNS0_10empty_typeEEEZNS1_34radix_sort_onesweep_global_offsetsIS3_Lb1EPhPS5_mNS0_19identity_decomposerEEE10hipError_tT1_T2_PT3_SE_jT4_jjP12ihipStream_tbEUlT_E_NS1_11comp_targetILNS1_3genE3ELNS1_11target_archE908ELNS1_3gpuE7ELNS1_3repE0EEENS1_52radix_sort_onesweep_histogram_config_static_selectorELNS0_4arch9wavefront6targetE1EEEvSC_
		.amdhsa_group_segment_fixed_size 0
		.amdhsa_private_segment_fixed_size 0
		.amdhsa_kernarg_size 48
		.amdhsa_user_sgpr_count 6
		.amdhsa_user_sgpr_private_segment_buffer 1
		.amdhsa_user_sgpr_dispatch_ptr 0
		.amdhsa_user_sgpr_queue_ptr 0
		.amdhsa_user_sgpr_kernarg_segment_ptr 1
		.amdhsa_user_sgpr_dispatch_id 0
		.amdhsa_user_sgpr_flat_scratch_init 0
		.amdhsa_user_sgpr_kernarg_preload_length 0
		.amdhsa_user_sgpr_kernarg_preload_offset 0
		.amdhsa_user_sgpr_private_segment_size 0
		.amdhsa_uses_dynamic_stack 0
		.amdhsa_system_sgpr_private_segment_wavefront_offset 0
		.amdhsa_system_sgpr_workgroup_id_x 1
		.amdhsa_system_sgpr_workgroup_id_y 0
		.amdhsa_system_sgpr_workgroup_id_z 0
		.amdhsa_system_sgpr_workgroup_info 0
		.amdhsa_system_vgpr_workitem_id 0
		.amdhsa_next_free_vgpr 1
		.amdhsa_next_free_sgpr 0
		.amdhsa_accum_offset 4
		.amdhsa_reserve_vcc 0
		.amdhsa_reserve_flat_scratch 0
		.amdhsa_float_round_mode_32 0
		.amdhsa_float_round_mode_16_64 0
		.amdhsa_float_denorm_mode_32 3
		.amdhsa_float_denorm_mode_16_64 3
		.amdhsa_dx10_clamp 1
		.amdhsa_ieee_mode 1
		.amdhsa_fp16_overflow 0
		.amdhsa_tg_split 0
		.amdhsa_exception_fp_ieee_invalid_op 0
		.amdhsa_exception_fp_denorm_src 0
		.amdhsa_exception_fp_ieee_div_zero 0
		.amdhsa_exception_fp_ieee_overflow 0
		.amdhsa_exception_fp_ieee_underflow 0
		.amdhsa_exception_fp_ieee_inexact 0
		.amdhsa_exception_int_div_zero 0
	.end_amdhsa_kernel
	.section	.text._ZN7rocprim17ROCPRIM_400000_NS6detail17trampoline_kernelINS0_14default_configENS1_35radix_sort_onesweep_config_selectorIhNS0_10empty_typeEEEZNS1_34radix_sort_onesweep_global_offsetsIS3_Lb1EPhPS5_mNS0_19identity_decomposerEEE10hipError_tT1_T2_PT3_SE_jT4_jjP12ihipStream_tbEUlT_E_NS1_11comp_targetILNS1_3genE3ELNS1_11target_archE908ELNS1_3gpuE7ELNS1_3repE0EEENS1_52radix_sort_onesweep_histogram_config_static_selectorELNS0_4arch9wavefront6targetE1EEEvSC_,"axG",@progbits,_ZN7rocprim17ROCPRIM_400000_NS6detail17trampoline_kernelINS0_14default_configENS1_35radix_sort_onesweep_config_selectorIhNS0_10empty_typeEEEZNS1_34radix_sort_onesweep_global_offsetsIS3_Lb1EPhPS5_mNS0_19identity_decomposerEEE10hipError_tT1_T2_PT3_SE_jT4_jjP12ihipStream_tbEUlT_E_NS1_11comp_targetILNS1_3genE3ELNS1_11target_archE908ELNS1_3gpuE7ELNS1_3repE0EEENS1_52radix_sort_onesweep_histogram_config_static_selectorELNS0_4arch9wavefront6targetE1EEEvSC_,comdat
.Lfunc_end1720:
	.size	_ZN7rocprim17ROCPRIM_400000_NS6detail17trampoline_kernelINS0_14default_configENS1_35radix_sort_onesweep_config_selectorIhNS0_10empty_typeEEEZNS1_34radix_sort_onesweep_global_offsetsIS3_Lb1EPhPS5_mNS0_19identity_decomposerEEE10hipError_tT1_T2_PT3_SE_jT4_jjP12ihipStream_tbEUlT_E_NS1_11comp_targetILNS1_3genE3ELNS1_11target_archE908ELNS1_3gpuE7ELNS1_3repE0EEENS1_52radix_sort_onesweep_histogram_config_static_selectorELNS0_4arch9wavefront6targetE1EEEvSC_, .Lfunc_end1720-_ZN7rocprim17ROCPRIM_400000_NS6detail17trampoline_kernelINS0_14default_configENS1_35radix_sort_onesweep_config_selectorIhNS0_10empty_typeEEEZNS1_34radix_sort_onesweep_global_offsetsIS3_Lb1EPhPS5_mNS0_19identity_decomposerEEE10hipError_tT1_T2_PT3_SE_jT4_jjP12ihipStream_tbEUlT_E_NS1_11comp_targetILNS1_3genE3ELNS1_11target_archE908ELNS1_3gpuE7ELNS1_3repE0EEENS1_52radix_sort_onesweep_histogram_config_static_selectorELNS0_4arch9wavefront6targetE1EEEvSC_
                                        ; -- End function
	.section	.AMDGPU.csdata,"",@progbits
; Kernel info:
; codeLenInByte = 0
; NumSgprs: 4
; NumVgprs: 0
; NumAgprs: 0
; TotalNumVgprs: 0
; ScratchSize: 0
; MemoryBound: 0
; FloatMode: 240
; IeeeMode: 1
; LDSByteSize: 0 bytes/workgroup (compile time only)
; SGPRBlocks: 0
; VGPRBlocks: 0
; NumSGPRsForWavesPerEU: 4
; NumVGPRsForWavesPerEU: 1
; AccumOffset: 4
; Occupancy: 8
; WaveLimiterHint : 0
; COMPUTE_PGM_RSRC2:SCRATCH_EN: 0
; COMPUTE_PGM_RSRC2:USER_SGPR: 6
; COMPUTE_PGM_RSRC2:TRAP_HANDLER: 0
; COMPUTE_PGM_RSRC2:TGID_X_EN: 1
; COMPUTE_PGM_RSRC2:TGID_Y_EN: 0
; COMPUTE_PGM_RSRC2:TGID_Z_EN: 0
; COMPUTE_PGM_RSRC2:TIDIG_COMP_CNT: 0
; COMPUTE_PGM_RSRC3_GFX90A:ACCUM_OFFSET: 0
; COMPUTE_PGM_RSRC3_GFX90A:TG_SPLIT: 0
	.section	.text._ZN7rocprim17ROCPRIM_400000_NS6detail17trampoline_kernelINS0_14default_configENS1_35radix_sort_onesweep_config_selectorIhNS0_10empty_typeEEEZNS1_34radix_sort_onesweep_global_offsetsIS3_Lb1EPhPS5_mNS0_19identity_decomposerEEE10hipError_tT1_T2_PT3_SE_jT4_jjP12ihipStream_tbEUlT_E_NS1_11comp_targetILNS1_3genE10ELNS1_11target_archE1201ELNS1_3gpuE5ELNS1_3repE0EEENS1_52radix_sort_onesweep_histogram_config_static_selectorELNS0_4arch9wavefront6targetE1EEEvSC_,"axG",@progbits,_ZN7rocprim17ROCPRIM_400000_NS6detail17trampoline_kernelINS0_14default_configENS1_35radix_sort_onesweep_config_selectorIhNS0_10empty_typeEEEZNS1_34radix_sort_onesweep_global_offsetsIS3_Lb1EPhPS5_mNS0_19identity_decomposerEEE10hipError_tT1_T2_PT3_SE_jT4_jjP12ihipStream_tbEUlT_E_NS1_11comp_targetILNS1_3genE10ELNS1_11target_archE1201ELNS1_3gpuE5ELNS1_3repE0EEENS1_52radix_sort_onesweep_histogram_config_static_selectorELNS0_4arch9wavefront6targetE1EEEvSC_,comdat
	.protected	_ZN7rocprim17ROCPRIM_400000_NS6detail17trampoline_kernelINS0_14default_configENS1_35radix_sort_onesweep_config_selectorIhNS0_10empty_typeEEEZNS1_34radix_sort_onesweep_global_offsetsIS3_Lb1EPhPS5_mNS0_19identity_decomposerEEE10hipError_tT1_T2_PT3_SE_jT4_jjP12ihipStream_tbEUlT_E_NS1_11comp_targetILNS1_3genE10ELNS1_11target_archE1201ELNS1_3gpuE5ELNS1_3repE0EEENS1_52radix_sort_onesweep_histogram_config_static_selectorELNS0_4arch9wavefront6targetE1EEEvSC_ ; -- Begin function _ZN7rocprim17ROCPRIM_400000_NS6detail17trampoline_kernelINS0_14default_configENS1_35radix_sort_onesweep_config_selectorIhNS0_10empty_typeEEEZNS1_34radix_sort_onesweep_global_offsetsIS3_Lb1EPhPS5_mNS0_19identity_decomposerEEE10hipError_tT1_T2_PT3_SE_jT4_jjP12ihipStream_tbEUlT_E_NS1_11comp_targetILNS1_3genE10ELNS1_11target_archE1201ELNS1_3gpuE5ELNS1_3repE0EEENS1_52radix_sort_onesweep_histogram_config_static_selectorELNS0_4arch9wavefront6targetE1EEEvSC_
	.globl	_ZN7rocprim17ROCPRIM_400000_NS6detail17trampoline_kernelINS0_14default_configENS1_35radix_sort_onesweep_config_selectorIhNS0_10empty_typeEEEZNS1_34radix_sort_onesweep_global_offsetsIS3_Lb1EPhPS5_mNS0_19identity_decomposerEEE10hipError_tT1_T2_PT3_SE_jT4_jjP12ihipStream_tbEUlT_E_NS1_11comp_targetILNS1_3genE10ELNS1_11target_archE1201ELNS1_3gpuE5ELNS1_3repE0EEENS1_52radix_sort_onesweep_histogram_config_static_selectorELNS0_4arch9wavefront6targetE1EEEvSC_
	.p2align	8
	.type	_ZN7rocprim17ROCPRIM_400000_NS6detail17trampoline_kernelINS0_14default_configENS1_35radix_sort_onesweep_config_selectorIhNS0_10empty_typeEEEZNS1_34radix_sort_onesweep_global_offsetsIS3_Lb1EPhPS5_mNS0_19identity_decomposerEEE10hipError_tT1_T2_PT3_SE_jT4_jjP12ihipStream_tbEUlT_E_NS1_11comp_targetILNS1_3genE10ELNS1_11target_archE1201ELNS1_3gpuE5ELNS1_3repE0EEENS1_52radix_sort_onesweep_histogram_config_static_selectorELNS0_4arch9wavefront6targetE1EEEvSC_,@function
_ZN7rocprim17ROCPRIM_400000_NS6detail17trampoline_kernelINS0_14default_configENS1_35radix_sort_onesweep_config_selectorIhNS0_10empty_typeEEEZNS1_34radix_sort_onesweep_global_offsetsIS3_Lb1EPhPS5_mNS0_19identity_decomposerEEE10hipError_tT1_T2_PT3_SE_jT4_jjP12ihipStream_tbEUlT_E_NS1_11comp_targetILNS1_3genE10ELNS1_11target_archE1201ELNS1_3gpuE5ELNS1_3repE0EEENS1_52radix_sort_onesweep_histogram_config_static_selectorELNS0_4arch9wavefront6targetE1EEEvSC_: ; @_ZN7rocprim17ROCPRIM_400000_NS6detail17trampoline_kernelINS0_14default_configENS1_35radix_sort_onesweep_config_selectorIhNS0_10empty_typeEEEZNS1_34radix_sort_onesweep_global_offsetsIS3_Lb1EPhPS5_mNS0_19identity_decomposerEEE10hipError_tT1_T2_PT3_SE_jT4_jjP12ihipStream_tbEUlT_E_NS1_11comp_targetILNS1_3genE10ELNS1_11target_archE1201ELNS1_3gpuE5ELNS1_3repE0EEENS1_52radix_sort_onesweep_histogram_config_static_selectorELNS0_4arch9wavefront6targetE1EEEvSC_
; %bb.0:
	.section	.rodata,"a",@progbits
	.p2align	6, 0x0
	.amdhsa_kernel _ZN7rocprim17ROCPRIM_400000_NS6detail17trampoline_kernelINS0_14default_configENS1_35radix_sort_onesweep_config_selectorIhNS0_10empty_typeEEEZNS1_34radix_sort_onesweep_global_offsetsIS3_Lb1EPhPS5_mNS0_19identity_decomposerEEE10hipError_tT1_T2_PT3_SE_jT4_jjP12ihipStream_tbEUlT_E_NS1_11comp_targetILNS1_3genE10ELNS1_11target_archE1201ELNS1_3gpuE5ELNS1_3repE0EEENS1_52radix_sort_onesweep_histogram_config_static_selectorELNS0_4arch9wavefront6targetE1EEEvSC_
		.amdhsa_group_segment_fixed_size 0
		.amdhsa_private_segment_fixed_size 0
		.amdhsa_kernarg_size 48
		.amdhsa_user_sgpr_count 6
		.amdhsa_user_sgpr_private_segment_buffer 1
		.amdhsa_user_sgpr_dispatch_ptr 0
		.amdhsa_user_sgpr_queue_ptr 0
		.amdhsa_user_sgpr_kernarg_segment_ptr 1
		.amdhsa_user_sgpr_dispatch_id 0
		.amdhsa_user_sgpr_flat_scratch_init 0
		.amdhsa_user_sgpr_kernarg_preload_length 0
		.amdhsa_user_sgpr_kernarg_preload_offset 0
		.amdhsa_user_sgpr_private_segment_size 0
		.amdhsa_uses_dynamic_stack 0
		.amdhsa_system_sgpr_private_segment_wavefront_offset 0
		.amdhsa_system_sgpr_workgroup_id_x 1
		.amdhsa_system_sgpr_workgroup_id_y 0
		.amdhsa_system_sgpr_workgroup_id_z 0
		.amdhsa_system_sgpr_workgroup_info 0
		.amdhsa_system_vgpr_workitem_id 0
		.amdhsa_next_free_vgpr 1
		.amdhsa_next_free_sgpr 0
		.amdhsa_accum_offset 4
		.amdhsa_reserve_vcc 0
		.amdhsa_reserve_flat_scratch 0
		.amdhsa_float_round_mode_32 0
		.amdhsa_float_round_mode_16_64 0
		.amdhsa_float_denorm_mode_32 3
		.amdhsa_float_denorm_mode_16_64 3
		.amdhsa_dx10_clamp 1
		.amdhsa_ieee_mode 1
		.amdhsa_fp16_overflow 0
		.amdhsa_tg_split 0
		.amdhsa_exception_fp_ieee_invalid_op 0
		.amdhsa_exception_fp_denorm_src 0
		.amdhsa_exception_fp_ieee_div_zero 0
		.amdhsa_exception_fp_ieee_overflow 0
		.amdhsa_exception_fp_ieee_underflow 0
		.amdhsa_exception_fp_ieee_inexact 0
		.amdhsa_exception_int_div_zero 0
	.end_amdhsa_kernel
	.section	.text._ZN7rocprim17ROCPRIM_400000_NS6detail17trampoline_kernelINS0_14default_configENS1_35radix_sort_onesweep_config_selectorIhNS0_10empty_typeEEEZNS1_34radix_sort_onesweep_global_offsetsIS3_Lb1EPhPS5_mNS0_19identity_decomposerEEE10hipError_tT1_T2_PT3_SE_jT4_jjP12ihipStream_tbEUlT_E_NS1_11comp_targetILNS1_3genE10ELNS1_11target_archE1201ELNS1_3gpuE5ELNS1_3repE0EEENS1_52radix_sort_onesweep_histogram_config_static_selectorELNS0_4arch9wavefront6targetE1EEEvSC_,"axG",@progbits,_ZN7rocprim17ROCPRIM_400000_NS6detail17trampoline_kernelINS0_14default_configENS1_35radix_sort_onesweep_config_selectorIhNS0_10empty_typeEEEZNS1_34radix_sort_onesweep_global_offsetsIS3_Lb1EPhPS5_mNS0_19identity_decomposerEEE10hipError_tT1_T2_PT3_SE_jT4_jjP12ihipStream_tbEUlT_E_NS1_11comp_targetILNS1_3genE10ELNS1_11target_archE1201ELNS1_3gpuE5ELNS1_3repE0EEENS1_52radix_sort_onesweep_histogram_config_static_selectorELNS0_4arch9wavefront6targetE1EEEvSC_,comdat
.Lfunc_end1721:
	.size	_ZN7rocprim17ROCPRIM_400000_NS6detail17trampoline_kernelINS0_14default_configENS1_35radix_sort_onesweep_config_selectorIhNS0_10empty_typeEEEZNS1_34radix_sort_onesweep_global_offsetsIS3_Lb1EPhPS5_mNS0_19identity_decomposerEEE10hipError_tT1_T2_PT3_SE_jT4_jjP12ihipStream_tbEUlT_E_NS1_11comp_targetILNS1_3genE10ELNS1_11target_archE1201ELNS1_3gpuE5ELNS1_3repE0EEENS1_52radix_sort_onesweep_histogram_config_static_selectorELNS0_4arch9wavefront6targetE1EEEvSC_, .Lfunc_end1721-_ZN7rocprim17ROCPRIM_400000_NS6detail17trampoline_kernelINS0_14default_configENS1_35radix_sort_onesweep_config_selectorIhNS0_10empty_typeEEEZNS1_34radix_sort_onesweep_global_offsetsIS3_Lb1EPhPS5_mNS0_19identity_decomposerEEE10hipError_tT1_T2_PT3_SE_jT4_jjP12ihipStream_tbEUlT_E_NS1_11comp_targetILNS1_3genE10ELNS1_11target_archE1201ELNS1_3gpuE5ELNS1_3repE0EEENS1_52radix_sort_onesweep_histogram_config_static_selectorELNS0_4arch9wavefront6targetE1EEEvSC_
                                        ; -- End function
	.section	.AMDGPU.csdata,"",@progbits
; Kernel info:
; codeLenInByte = 0
; NumSgprs: 4
; NumVgprs: 0
; NumAgprs: 0
; TotalNumVgprs: 0
; ScratchSize: 0
; MemoryBound: 0
; FloatMode: 240
; IeeeMode: 1
; LDSByteSize: 0 bytes/workgroup (compile time only)
; SGPRBlocks: 0
; VGPRBlocks: 0
; NumSGPRsForWavesPerEU: 4
; NumVGPRsForWavesPerEU: 1
; AccumOffset: 4
; Occupancy: 8
; WaveLimiterHint : 0
; COMPUTE_PGM_RSRC2:SCRATCH_EN: 0
; COMPUTE_PGM_RSRC2:USER_SGPR: 6
; COMPUTE_PGM_RSRC2:TRAP_HANDLER: 0
; COMPUTE_PGM_RSRC2:TGID_X_EN: 1
; COMPUTE_PGM_RSRC2:TGID_Y_EN: 0
; COMPUTE_PGM_RSRC2:TGID_Z_EN: 0
; COMPUTE_PGM_RSRC2:TIDIG_COMP_CNT: 0
; COMPUTE_PGM_RSRC3_GFX90A:ACCUM_OFFSET: 0
; COMPUTE_PGM_RSRC3_GFX90A:TG_SPLIT: 0
	.section	.text._ZN7rocprim17ROCPRIM_400000_NS6detail17trampoline_kernelINS0_14default_configENS1_35radix_sort_onesweep_config_selectorIhNS0_10empty_typeEEEZNS1_34radix_sort_onesweep_global_offsetsIS3_Lb1EPhPS5_mNS0_19identity_decomposerEEE10hipError_tT1_T2_PT3_SE_jT4_jjP12ihipStream_tbEUlT_E_NS1_11comp_targetILNS1_3genE9ELNS1_11target_archE1100ELNS1_3gpuE3ELNS1_3repE0EEENS1_52radix_sort_onesweep_histogram_config_static_selectorELNS0_4arch9wavefront6targetE1EEEvSC_,"axG",@progbits,_ZN7rocprim17ROCPRIM_400000_NS6detail17trampoline_kernelINS0_14default_configENS1_35radix_sort_onesweep_config_selectorIhNS0_10empty_typeEEEZNS1_34radix_sort_onesweep_global_offsetsIS3_Lb1EPhPS5_mNS0_19identity_decomposerEEE10hipError_tT1_T2_PT3_SE_jT4_jjP12ihipStream_tbEUlT_E_NS1_11comp_targetILNS1_3genE9ELNS1_11target_archE1100ELNS1_3gpuE3ELNS1_3repE0EEENS1_52radix_sort_onesweep_histogram_config_static_selectorELNS0_4arch9wavefront6targetE1EEEvSC_,comdat
	.protected	_ZN7rocprim17ROCPRIM_400000_NS6detail17trampoline_kernelINS0_14default_configENS1_35radix_sort_onesweep_config_selectorIhNS0_10empty_typeEEEZNS1_34radix_sort_onesweep_global_offsetsIS3_Lb1EPhPS5_mNS0_19identity_decomposerEEE10hipError_tT1_T2_PT3_SE_jT4_jjP12ihipStream_tbEUlT_E_NS1_11comp_targetILNS1_3genE9ELNS1_11target_archE1100ELNS1_3gpuE3ELNS1_3repE0EEENS1_52radix_sort_onesweep_histogram_config_static_selectorELNS0_4arch9wavefront6targetE1EEEvSC_ ; -- Begin function _ZN7rocprim17ROCPRIM_400000_NS6detail17trampoline_kernelINS0_14default_configENS1_35radix_sort_onesweep_config_selectorIhNS0_10empty_typeEEEZNS1_34radix_sort_onesweep_global_offsetsIS3_Lb1EPhPS5_mNS0_19identity_decomposerEEE10hipError_tT1_T2_PT3_SE_jT4_jjP12ihipStream_tbEUlT_E_NS1_11comp_targetILNS1_3genE9ELNS1_11target_archE1100ELNS1_3gpuE3ELNS1_3repE0EEENS1_52radix_sort_onesweep_histogram_config_static_selectorELNS0_4arch9wavefront6targetE1EEEvSC_
	.globl	_ZN7rocprim17ROCPRIM_400000_NS6detail17trampoline_kernelINS0_14default_configENS1_35radix_sort_onesweep_config_selectorIhNS0_10empty_typeEEEZNS1_34radix_sort_onesweep_global_offsetsIS3_Lb1EPhPS5_mNS0_19identity_decomposerEEE10hipError_tT1_T2_PT3_SE_jT4_jjP12ihipStream_tbEUlT_E_NS1_11comp_targetILNS1_3genE9ELNS1_11target_archE1100ELNS1_3gpuE3ELNS1_3repE0EEENS1_52radix_sort_onesweep_histogram_config_static_selectorELNS0_4arch9wavefront6targetE1EEEvSC_
	.p2align	8
	.type	_ZN7rocprim17ROCPRIM_400000_NS6detail17trampoline_kernelINS0_14default_configENS1_35radix_sort_onesweep_config_selectorIhNS0_10empty_typeEEEZNS1_34radix_sort_onesweep_global_offsetsIS3_Lb1EPhPS5_mNS0_19identity_decomposerEEE10hipError_tT1_T2_PT3_SE_jT4_jjP12ihipStream_tbEUlT_E_NS1_11comp_targetILNS1_3genE9ELNS1_11target_archE1100ELNS1_3gpuE3ELNS1_3repE0EEENS1_52radix_sort_onesweep_histogram_config_static_selectorELNS0_4arch9wavefront6targetE1EEEvSC_,@function
_ZN7rocprim17ROCPRIM_400000_NS6detail17trampoline_kernelINS0_14default_configENS1_35radix_sort_onesweep_config_selectorIhNS0_10empty_typeEEEZNS1_34radix_sort_onesweep_global_offsetsIS3_Lb1EPhPS5_mNS0_19identity_decomposerEEE10hipError_tT1_T2_PT3_SE_jT4_jjP12ihipStream_tbEUlT_E_NS1_11comp_targetILNS1_3genE9ELNS1_11target_archE1100ELNS1_3gpuE3ELNS1_3repE0EEENS1_52radix_sort_onesweep_histogram_config_static_selectorELNS0_4arch9wavefront6targetE1EEEvSC_: ; @_ZN7rocprim17ROCPRIM_400000_NS6detail17trampoline_kernelINS0_14default_configENS1_35radix_sort_onesweep_config_selectorIhNS0_10empty_typeEEEZNS1_34radix_sort_onesweep_global_offsetsIS3_Lb1EPhPS5_mNS0_19identity_decomposerEEE10hipError_tT1_T2_PT3_SE_jT4_jjP12ihipStream_tbEUlT_E_NS1_11comp_targetILNS1_3genE9ELNS1_11target_archE1100ELNS1_3gpuE3ELNS1_3repE0EEENS1_52radix_sort_onesweep_histogram_config_static_selectorELNS0_4arch9wavefront6targetE1EEEvSC_
; %bb.0:
	.section	.rodata,"a",@progbits
	.p2align	6, 0x0
	.amdhsa_kernel _ZN7rocprim17ROCPRIM_400000_NS6detail17trampoline_kernelINS0_14default_configENS1_35radix_sort_onesweep_config_selectorIhNS0_10empty_typeEEEZNS1_34radix_sort_onesweep_global_offsetsIS3_Lb1EPhPS5_mNS0_19identity_decomposerEEE10hipError_tT1_T2_PT3_SE_jT4_jjP12ihipStream_tbEUlT_E_NS1_11comp_targetILNS1_3genE9ELNS1_11target_archE1100ELNS1_3gpuE3ELNS1_3repE0EEENS1_52radix_sort_onesweep_histogram_config_static_selectorELNS0_4arch9wavefront6targetE1EEEvSC_
		.amdhsa_group_segment_fixed_size 0
		.amdhsa_private_segment_fixed_size 0
		.amdhsa_kernarg_size 48
		.amdhsa_user_sgpr_count 6
		.amdhsa_user_sgpr_private_segment_buffer 1
		.amdhsa_user_sgpr_dispatch_ptr 0
		.amdhsa_user_sgpr_queue_ptr 0
		.amdhsa_user_sgpr_kernarg_segment_ptr 1
		.amdhsa_user_sgpr_dispatch_id 0
		.amdhsa_user_sgpr_flat_scratch_init 0
		.amdhsa_user_sgpr_kernarg_preload_length 0
		.amdhsa_user_sgpr_kernarg_preload_offset 0
		.amdhsa_user_sgpr_private_segment_size 0
		.amdhsa_uses_dynamic_stack 0
		.amdhsa_system_sgpr_private_segment_wavefront_offset 0
		.amdhsa_system_sgpr_workgroup_id_x 1
		.amdhsa_system_sgpr_workgroup_id_y 0
		.amdhsa_system_sgpr_workgroup_id_z 0
		.amdhsa_system_sgpr_workgroup_info 0
		.amdhsa_system_vgpr_workitem_id 0
		.amdhsa_next_free_vgpr 1
		.amdhsa_next_free_sgpr 0
		.amdhsa_accum_offset 4
		.amdhsa_reserve_vcc 0
		.amdhsa_reserve_flat_scratch 0
		.amdhsa_float_round_mode_32 0
		.amdhsa_float_round_mode_16_64 0
		.amdhsa_float_denorm_mode_32 3
		.amdhsa_float_denorm_mode_16_64 3
		.amdhsa_dx10_clamp 1
		.amdhsa_ieee_mode 1
		.amdhsa_fp16_overflow 0
		.amdhsa_tg_split 0
		.amdhsa_exception_fp_ieee_invalid_op 0
		.amdhsa_exception_fp_denorm_src 0
		.amdhsa_exception_fp_ieee_div_zero 0
		.amdhsa_exception_fp_ieee_overflow 0
		.amdhsa_exception_fp_ieee_underflow 0
		.amdhsa_exception_fp_ieee_inexact 0
		.amdhsa_exception_int_div_zero 0
	.end_amdhsa_kernel
	.section	.text._ZN7rocprim17ROCPRIM_400000_NS6detail17trampoline_kernelINS0_14default_configENS1_35radix_sort_onesweep_config_selectorIhNS0_10empty_typeEEEZNS1_34radix_sort_onesweep_global_offsetsIS3_Lb1EPhPS5_mNS0_19identity_decomposerEEE10hipError_tT1_T2_PT3_SE_jT4_jjP12ihipStream_tbEUlT_E_NS1_11comp_targetILNS1_3genE9ELNS1_11target_archE1100ELNS1_3gpuE3ELNS1_3repE0EEENS1_52radix_sort_onesweep_histogram_config_static_selectorELNS0_4arch9wavefront6targetE1EEEvSC_,"axG",@progbits,_ZN7rocprim17ROCPRIM_400000_NS6detail17trampoline_kernelINS0_14default_configENS1_35radix_sort_onesweep_config_selectorIhNS0_10empty_typeEEEZNS1_34radix_sort_onesweep_global_offsetsIS3_Lb1EPhPS5_mNS0_19identity_decomposerEEE10hipError_tT1_T2_PT3_SE_jT4_jjP12ihipStream_tbEUlT_E_NS1_11comp_targetILNS1_3genE9ELNS1_11target_archE1100ELNS1_3gpuE3ELNS1_3repE0EEENS1_52radix_sort_onesweep_histogram_config_static_selectorELNS0_4arch9wavefront6targetE1EEEvSC_,comdat
.Lfunc_end1722:
	.size	_ZN7rocprim17ROCPRIM_400000_NS6detail17trampoline_kernelINS0_14default_configENS1_35radix_sort_onesweep_config_selectorIhNS0_10empty_typeEEEZNS1_34radix_sort_onesweep_global_offsetsIS3_Lb1EPhPS5_mNS0_19identity_decomposerEEE10hipError_tT1_T2_PT3_SE_jT4_jjP12ihipStream_tbEUlT_E_NS1_11comp_targetILNS1_3genE9ELNS1_11target_archE1100ELNS1_3gpuE3ELNS1_3repE0EEENS1_52radix_sort_onesweep_histogram_config_static_selectorELNS0_4arch9wavefront6targetE1EEEvSC_, .Lfunc_end1722-_ZN7rocprim17ROCPRIM_400000_NS6detail17trampoline_kernelINS0_14default_configENS1_35radix_sort_onesweep_config_selectorIhNS0_10empty_typeEEEZNS1_34radix_sort_onesweep_global_offsetsIS3_Lb1EPhPS5_mNS0_19identity_decomposerEEE10hipError_tT1_T2_PT3_SE_jT4_jjP12ihipStream_tbEUlT_E_NS1_11comp_targetILNS1_3genE9ELNS1_11target_archE1100ELNS1_3gpuE3ELNS1_3repE0EEENS1_52radix_sort_onesweep_histogram_config_static_selectorELNS0_4arch9wavefront6targetE1EEEvSC_
                                        ; -- End function
	.section	.AMDGPU.csdata,"",@progbits
; Kernel info:
; codeLenInByte = 0
; NumSgprs: 4
; NumVgprs: 0
; NumAgprs: 0
; TotalNumVgprs: 0
; ScratchSize: 0
; MemoryBound: 0
; FloatMode: 240
; IeeeMode: 1
; LDSByteSize: 0 bytes/workgroup (compile time only)
; SGPRBlocks: 0
; VGPRBlocks: 0
; NumSGPRsForWavesPerEU: 4
; NumVGPRsForWavesPerEU: 1
; AccumOffset: 4
; Occupancy: 8
; WaveLimiterHint : 0
; COMPUTE_PGM_RSRC2:SCRATCH_EN: 0
; COMPUTE_PGM_RSRC2:USER_SGPR: 6
; COMPUTE_PGM_RSRC2:TRAP_HANDLER: 0
; COMPUTE_PGM_RSRC2:TGID_X_EN: 1
; COMPUTE_PGM_RSRC2:TGID_Y_EN: 0
; COMPUTE_PGM_RSRC2:TGID_Z_EN: 0
; COMPUTE_PGM_RSRC2:TIDIG_COMP_CNT: 0
; COMPUTE_PGM_RSRC3_GFX90A:ACCUM_OFFSET: 0
; COMPUTE_PGM_RSRC3_GFX90A:TG_SPLIT: 0
	.section	.text._ZN7rocprim17ROCPRIM_400000_NS6detail17trampoline_kernelINS0_14default_configENS1_35radix_sort_onesweep_config_selectorIhNS0_10empty_typeEEEZNS1_34radix_sort_onesweep_global_offsetsIS3_Lb1EPhPS5_mNS0_19identity_decomposerEEE10hipError_tT1_T2_PT3_SE_jT4_jjP12ihipStream_tbEUlT_E_NS1_11comp_targetILNS1_3genE8ELNS1_11target_archE1030ELNS1_3gpuE2ELNS1_3repE0EEENS1_52radix_sort_onesweep_histogram_config_static_selectorELNS0_4arch9wavefront6targetE1EEEvSC_,"axG",@progbits,_ZN7rocprim17ROCPRIM_400000_NS6detail17trampoline_kernelINS0_14default_configENS1_35radix_sort_onesweep_config_selectorIhNS0_10empty_typeEEEZNS1_34radix_sort_onesweep_global_offsetsIS3_Lb1EPhPS5_mNS0_19identity_decomposerEEE10hipError_tT1_T2_PT3_SE_jT4_jjP12ihipStream_tbEUlT_E_NS1_11comp_targetILNS1_3genE8ELNS1_11target_archE1030ELNS1_3gpuE2ELNS1_3repE0EEENS1_52radix_sort_onesweep_histogram_config_static_selectorELNS0_4arch9wavefront6targetE1EEEvSC_,comdat
	.protected	_ZN7rocprim17ROCPRIM_400000_NS6detail17trampoline_kernelINS0_14default_configENS1_35radix_sort_onesweep_config_selectorIhNS0_10empty_typeEEEZNS1_34radix_sort_onesweep_global_offsetsIS3_Lb1EPhPS5_mNS0_19identity_decomposerEEE10hipError_tT1_T2_PT3_SE_jT4_jjP12ihipStream_tbEUlT_E_NS1_11comp_targetILNS1_3genE8ELNS1_11target_archE1030ELNS1_3gpuE2ELNS1_3repE0EEENS1_52radix_sort_onesweep_histogram_config_static_selectorELNS0_4arch9wavefront6targetE1EEEvSC_ ; -- Begin function _ZN7rocprim17ROCPRIM_400000_NS6detail17trampoline_kernelINS0_14default_configENS1_35radix_sort_onesweep_config_selectorIhNS0_10empty_typeEEEZNS1_34radix_sort_onesweep_global_offsetsIS3_Lb1EPhPS5_mNS0_19identity_decomposerEEE10hipError_tT1_T2_PT3_SE_jT4_jjP12ihipStream_tbEUlT_E_NS1_11comp_targetILNS1_3genE8ELNS1_11target_archE1030ELNS1_3gpuE2ELNS1_3repE0EEENS1_52radix_sort_onesweep_histogram_config_static_selectorELNS0_4arch9wavefront6targetE1EEEvSC_
	.globl	_ZN7rocprim17ROCPRIM_400000_NS6detail17trampoline_kernelINS0_14default_configENS1_35radix_sort_onesweep_config_selectorIhNS0_10empty_typeEEEZNS1_34radix_sort_onesweep_global_offsetsIS3_Lb1EPhPS5_mNS0_19identity_decomposerEEE10hipError_tT1_T2_PT3_SE_jT4_jjP12ihipStream_tbEUlT_E_NS1_11comp_targetILNS1_3genE8ELNS1_11target_archE1030ELNS1_3gpuE2ELNS1_3repE0EEENS1_52radix_sort_onesweep_histogram_config_static_selectorELNS0_4arch9wavefront6targetE1EEEvSC_
	.p2align	8
	.type	_ZN7rocprim17ROCPRIM_400000_NS6detail17trampoline_kernelINS0_14default_configENS1_35radix_sort_onesweep_config_selectorIhNS0_10empty_typeEEEZNS1_34radix_sort_onesweep_global_offsetsIS3_Lb1EPhPS5_mNS0_19identity_decomposerEEE10hipError_tT1_T2_PT3_SE_jT4_jjP12ihipStream_tbEUlT_E_NS1_11comp_targetILNS1_3genE8ELNS1_11target_archE1030ELNS1_3gpuE2ELNS1_3repE0EEENS1_52radix_sort_onesweep_histogram_config_static_selectorELNS0_4arch9wavefront6targetE1EEEvSC_,@function
_ZN7rocprim17ROCPRIM_400000_NS6detail17trampoline_kernelINS0_14default_configENS1_35radix_sort_onesweep_config_selectorIhNS0_10empty_typeEEEZNS1_34radix_sort_onesweep_global_offsetsIS3_Lb1EPhPS5_mNS0_19identity_decomposerEEE10hipError_tT1_T2_PT3_SE_jT4_jjP12ihipStream_tbEUlT_E_NS1_11comp_targetILNS1_3genE8ELNS1_11target_archE1030ELNS1_3gpuE2ELNS1_3repE0EEENS1_52radix_sort_onesweep_histogram_config_static_selectorELNS0_4arch9wavefront6targetE1EEEvSC_: ; @_ZN7rocprim17ROCPRIM_400000_NS6detail17trampoline_kernelINS0_14default_configENS1_35radix_sort_onesweep_config_selectorIhNS0_10empty_typeEEEZNS1_34radix_sort_onesweep_global_offsetsIS3_Lb1EPhPS5_mNS0_19identity_decomposerEEE10hipError_tT1_T2_PT3_SE_jT4_jjP12ihipStream_tbEUlT_E_NS1_11comp_targetILNS1_3genE8ELNS1_11target_archE1030ELNS1_3gpuE2ELNS1_3repE0EEENS1_52radix_sort_onesweep_histogram_config_static_selectorELNS0_4arch9wavefront6targetE1EEEvSC_
; %bb.0:
	.section	.rodata,"a",@progbits
	.p2align	6, 0x0
	.amdhsa_kernel _ZN7rocprim17ROCPRIM_400000_NS6detail17trampoline_kernelINS0_14default_configENS1_35radix_sort_onesweep_config_selectorIhNS0_10empty_typeEEEZNS1_34radix_sort_onesweep_global_offsetsIS3_Lb1EPhPS5_mNS0_19identity_decomposerEEE10hipError_tT1_T2_PT3_SE_jT4_jjP12ihipStream_tbEUlT_E_NS1_11comp_targetILNS1_3genE8ELNS1_11target_archE1030ELNS1_3gpuE2ELNS1_3repE0EEENS1_52radix_sort_onesweep_histogram_config_static_selectorELNS0_4arch9wavefront6targetE1EEEvSC_
		.amdhsa_group_segment_fixed_size 0
		.amdhsa_private_segment_fixed_size 0
		.amdhsa_kernarg_size 48
		.amdhsa_user_sgpr_count 6
		.amdhsa_user_sgpr_private_segment_buffer 1
		.amdhsa_user_sgpr_dispatch_ptr 0
		.amdhsa_user_sgpr_queue_ptr 0
		.amdhsa_user_sgpr_kernarg_segment_ptr 1
		.amdhsa_user_sgpr_dispatch_id 0
		.amdhsa_user_sgpr_flat_scratch_init 0
		.amdhsa_user_sgpr_kernarg_preload_length 0
		.amdhsa_user_sgpr_kernarg_preload_offset 0
		.amdhsa_user_sgpr_private_segment_size 0
		.amdhsa_uses_dynamic_stack 0
		.amdhsa_system_sgpr_private_segment_wavefront_offset 0
		.amdhsa_system_sgpr_workgroup_id_x 1
		.amdhsa_system_sgpr_workgroup_id_y 0
		.amdhsa_system_sgpr_workgroup_id_z 0
		.amdhsa_system_sgpr_workgroup_info 0
		.amdhsa_system_vgpr_workitem_id 0
		.amdhsa_next_free_vgpr 1
		.amdhsa_next_free_sgpr 0
		.amdhsa_accum_offset 4
		.amdhsa_reserve_vcc 0
		.amdhsa_reserve_flat_scratch 0
		.amdhsa_float_round_mode_32 0
		.amdhsa_float_round_mode_16_64 0
		.amdhsa_float_denorm_mode_32 3
		.amdhsa_float_denorm_mode_16_64 3
		.amdhsa_dx10_clamp 1
		.amdhsa_ieee_mode 1
		.amdhsa_fp16_overflow 0
		.amdhsa_tg_split 0
		.amdhsa_exception_fp_ieee_invalid_op 0
		.amdhsa_exception_fp_denorm_src 0
		.amdhsa_exception_fp_ieee_div_zero 0
		.amdhsa_exception_fp_ieee_overflow 0
		.amdhsa_exception_fp_ieee_underflow 0
		.amdhsa_exception_fp_ieee_inexact 0
		.amdhsa_exception_int_div_zero 0
	.end_amdhsa_kernel
	.section	.text._ZN7rocprim17ROCPRIM_400000_NS6detail17trampoline_kernelINS0_14default_configENS1_35radix_sort_onesweep_config_selectorIhNS0_10empty_typeEEEZNS1_34radix_sort_onesweep_global_offsetsIS3_Lb1EPhPS5_mNS0_19identity_decomposerEEE10hipError_tT1_T2_PT3_SE_jT4_jjP12ihipStream_tbEUlT_E_NS1_11comp_targetILNS1_3genE8ELNS1_11target_archE1030ELNS1_3gpuE2ELNS1_3repE0EEENS1_52radix_sort_onesweep_histogram_config_static_selectorELNS0_4arch9wavefront6targetE1EEEvSC_,"axG",@progbits,_ZN7rocprim17ROCPRIM_400000_NS6detail17trampoline_kernelINS0_14default_configENS1_35radix_sort_onesweep_config_selectorIhNS0_10empty_typeEEEZNS1_34radix_sort_onesweep_global_offsetsIS3_Lb1EPhPS5_mNS0_19identity_decomposerEEE10hipError_tT1_T2_PT3_SE_jT4_jjP12ihipStream_tbEUlT_E_NS1_11comp_targetILNS1_3genE8ELNS1_11target_archE1030ELNS1_3gpuE2ELNS1_3repE0EEENS1_52radix_sort_onesweep_histogram_config_static_selectorELNS0_4arch9wavefront6targetE1EEEvSC_,comdat
.Lfunc_end1723:
	.size	_ZN7rocprim17ROCPRIM_400000_NS6detail17trampoline_kernelINS0_14default_configENS1_35radix_sort_onesweep_config_selectorIhNS0_10empty_typeEEEZNS1_34radix_sort_onesweep_global_offsetsIS3_Lb1EPhPS5_mNS0_19identity_decomposerEEE10hipError_tT1_T2_PT3_SE_jT4_jjP12ihipStream_tbEUlT_E_NS1_11comp_targetILNS1_3genE8ELNS1_11target_archE1030ELNS1_3gpuE2ELNS1_3repE0EEENS1_52radix_sort_onesweep_histogram_config_static_selectorELNS0_4arch9wavefront6targetE1EEEvSC_, .Lfunc_end1723-_ZN7rocprim17ROCPRIM_400000_NS6detail17trampoline_kernelINS0_14default_configENS1_35radix_sort_onesweep_config_selectorIhNS0_10empty_typeEEEZNS1_34radix_sort_onesweep_global_offsetsIS3_Lb1EPhPS5_mNS0_19identity_decomposerEEE10hipError_tT1_T2_PT3_SE_jT4_jjP12ihipStream_tbEUlT_E_NS1_11comp_targetILNS1_3genE8ELNS1_11target_archE1030ELNS1_3gpuE2ELNS1_3repE0EEENS1_52radix_sort_onesweep_histogram_config_static_selectorELNS0_4arch9wavefront6targetE1EEEvSC_
                                        ; -- End function
	.section	.AMDGPU.csdata,"",@progbits
; Kernel info:
; codeLenInByte = 0
; NumSgprs: 4
; NumVgprs: 0
; NumAgprs: 0
; TotalNumVgprs: 0
; ScratchSize: 0
; MemoryBound: 0
; FloatMode: 240
; IeeeMode: 1
; LDSByteSize: 0 bytes/workgroup (compile time only)
; SGPRBlocks: 0
; VGPRBlocks: 0
; NumSGPRsForWavesPerEU: 4
; NumVGPRsForWavesPerEU: 1
; AccumOffset: 4
; Occupancy: 8
; WaveLimiterHint : 0
; COMPUTE_PGM_RSRC2:SCRATCH_EN: 0
; COMPUTE_PGM_RSRC2:USER_SGPR: 6
; COMPUTE_PGM_RSRC2:TRAP_HANDLER: 0
; COMPUTE_PGM_RSRC2:TGID_X_EN: 1
; COMPUTE_PGM_RSRC2:TGID_Y_EN: 0
; COMPUTE_PGM_RSRC2:TGID_Z_EN: 0
; COMPUTE_PGM_RSRC2:TIDIG_COMP_CNT: 0
; COMPUTE_PGM_RSRC3_GFX90A:ACCUM_OFFSET: 0
; COMPUTE_PGM_RSRC3_GFX90A:TG_SPLIT: 0
	.section	.text._ZN7rocprim17ROCPRIM_400000_NS6detail17trampoline_kernelINS0_14default_configENS1_35radix_sort_onesweep_config_selectorIhNS0_10empty_typeEEEZNS1_34radix_sort_onesweep_global_offsetsIS3_Lb1EPhPS5_mNS0_19identity_decomposerEEE10hipError_tT1_T2_PT3_SE_jT4_jjP12ihipStream_tbEUlT_E0_NS1_11comp_targetILNS1_3genE0ELNS1_11target_archE4294967295ELNS1_3gpuE0ELNS1_3repE0EEENS1_52radix_sort_onesweep_histogram_config_static_selectorELNS0_4arch9wavefront6targetE1EEEvSC_,"axG",@progbits,_ZN7rocprim17ROCPRIM_400000_NS6detail17trampoline_kernelINS0_14default_configENS1_35radix_sort_onesweep_config_selectorIhNS0_10empty_typeEEEZNS1_34radix_sort_onesweep_global_offsetsIS3_Lb1EPhPS5_mNS0_19identity_decomposerEEE10hipError_tT1_T2_PT3_SE_jT4_jjP12ihipStream_tbEUlT_E0_NS1_11comp_targetILNS1_3genE0ELNS1_11target_archE4294967295ELNS1_3gpuE0ELNS1_3repE0EEENS1_52radix_sort_onesweep_histogram_config_static_selectorELNS0_4arch9wavefront6targetE1EEEvSC_,comdat
	.protected	_ZN7rocprim17ROCPRIM_400000_NS6detail17trampoline_kernelINS0_14default_configENS1_35radix_sort_onesweep_config_selectorIhNS0_10empty_typeEEEZNS1_34radix_sort_onesweep_global_offsetsIS3_Lb1EPhPS5_mNS0_19identity_decomposerEEE10hipError_tT1_T2_PT3_SE_jT4_jjP12ihipStream_tbEUlT_E0_NS1_11comp_targetILNS1_3genE0ELNS1_11target_archE4294967295ELNS1_3gpuE0ELNS1_3repE0EEENS1_52radix_sort_onesweep_histogram_config_static_selectorELNS0_4arch9wavefront6targetE1EEEvSC_ ; -- Begin function _ZN7rocprim17ROCPRIM_400000_NS6detail17trampoline_kernelINS0_14default_configENS1_35radix_sort_onesweep_config_selectorIhNS0_10empty_typeEEEZNS1_34radix_sort_onesweep_global_offsetsIS3_Lb1EPhPS5_mNS0_19identity_decomposerEEE10hipError_tT1_T2_PT3_SE_jT4_jjP12ihipStream_tbEUlT_E0_NS1_11comp_targetILNS1_3genE0ELNS1_11target_archE4294967295ELNS1_3gpuE0ELNS1_3repE0EEENS1_52radix_sort_onesweep_histogram_config_static_selectorELNS0_4arch9wavefront6targetE1EEEvSC_
	.globl	_ZN7rocprim17ROCPRIM_400000_NS6detail17trampoline_kernelINS0_14default_configENS1_35radix_sort_onesweep_config_selectorIhNS0_10empty_typeEEEZNS1_34radix_sort_onesweep_global_offsetsIS3_Lb1EPhPS5_mNS0_19identity_decomposerEEE10hipError_tT1_T2_PT3_SE_jT4_jjP12ihipStream_tbEUlT_E0_NS1_11comp_targetILNS1_3genE0ELNS1_11target_archE4294967295ELNS1_3gpuE0ELNS1_3repE0EEENS1_52radix_sort_onesweep_histogram_config_static_selectorELNS0_4arch9wavefront6targetE1EEEvSC_
	.p2align	8
	.type	_ZN7rocprim17ROCPRIM_400000_NS6detail17trampoline_kernelINS0_14default_configENS1_35radix_sort_onesweep_config_selectorIhNS0_10empty_typeEEEZNS1_34radix_sort_onesweep_global_offsetsIS3_Lb1EPhPS5_mNS0_19identity_decomposerEEE10hipError_tT1_T2_PT3_SE_jT4_jjP12ihipStream_tbEUlT_E0_NS1_11comp_targetILNS1_3genE0ELNS1_11target_archE4294967295ELNS1_3gpuE0ELNS1_3repE0EEENS1_52radix_sort_onesweep_histogram_config_static_selectorELNS0_4arch9wavefront6targetE1EEEvSC_,@function
_ZN7rocprim17ROCPRIM_400000_NS6detail17trampoline_kernelINS0_14default_configENS1_35radix_sort_onesweep_config_selectorIhNS0_10empty_typeEEEZNS1_34radix_sort_onesweep_global_offsetsIS3_Lb1EPhPS5_mNS0_19identity_decomposerEEE10hipError_tT1_T2_PT3_SE_jT4_jjP12ihipStream_tbEUlT_E0_NS1_11comp_targetILNS1_3genE0ELNS1_11target_archE4294967295ELNS1_3gpuE0ELNS1_3repE0EEENS1_52radix_sort_onesweep_histogram_config_static_selectorELNS0_4arch9wavefront6targetE1EEEvSC_: ; @_ZN7rocprim17ROCPRIM_400000_NS6detail17trampoline_kernelINS0_14default_configENS1_35radix_sort_onesweep_config_selectorIhNS0_10empty_typeEEEZNS1_34radix_sort_onesweep_global_offsetsIS3_Lb1EPhPS5_mNS0_19identity_decomposerEEE10hipError_tT1_T2_PT3_SE_jT4_jjP12ihipStream_tbEUlT_E0_NS1_11comp_targetILNS1_3genE0ELNS1_11target_archE4294967295ELNS1_3gpuE0ELNS1_3repE0EEENS1_52radix_sort_onesweep_histogram_config_static_selectorELNS0_4arch9wavefront6targetE1EEEvSC_
; %bb.0:
	.section	.rodata,"a",@progbits
	.p2align	6, 0x0
	.amdhsa_kernel _ZN7rocprim17ROCPRIM_400000_NS6detail17trampoline_kernelINS0_14default_configENS1_35radix_sort_onesweep_config_selectorIhNS0_10empty_typeEEEZNS1_34radix_sort_onesweep_global_offsetsIS3_Lb1EPhPS5_mNS0_19identity_decomposerEEE10hipError_tT1_T2_PT3_SE_jT4_jjP12ihipStream_tbEUlT_E0_NS1_11comp_targetILNS1_3genE0ELNS1_11target_archE4294967295ELNS1_3gpuE0ELNS1_3repE0EEENS1_52radix_sort_onesweep_histogram_config_static_selectorELNS0_4arch9wavefront6targetE1EEEvSC_
		.amdhsa_group_segment_fixed_size 0
		.amdhsa_private_segment_fixed_size 0
		.amdhsa_kernarg_size 8
		.amdhsa_user_sgpr_count 6
		.amdhsa_user_sgpr_private_segment_buffer 1
		.amdhsa_user_sgpr_dispatch_ptr 0
		.amdhsa_user_sgpr_queue_ptr 0
		.amdhsa_user_sgpr_kernarg_segment_ptr 1
		.amdhsa_user_sgpr_dispatch_id 0
		.amdhsa_user_sgpr_flat_scratch_init 0
		.amdhsa_user_sgpr_kernarg_preload_length 0
		.amdhsa_user_sgpr_kernarg_preload_offset 0
		.amdhsa_user_sgpr_private_segment_size 0
		.amdhsa_uses_dynamic_stack 0
		.amdhsa_system_sgpr_private_segment_wavefront_offset 0
		.amdhsa_system_sgpr_workgroup_id_x 1
		.amdhsa_system_sgpr_workgroup_id_y 0
		.amdhsa_system_sgpr_workgroup_id_z 0
		.amdhsa_system_sgpr_workgroup_info 0
		.amdhsa_system_vgpr_workitem_id 0
		.amdhsa_next_free_vgpr 1
		.amdhsa_next_free_sgpr 0
		.amdhsa_accum_offset 4
		.amdhsa_reserve_vcc 0
		.amdhsa_reserve_flat_scratch 0
		.amdhsa_float_round_mode_32 0
		.amdhsa_float_round_mode_16_64 0
		.amdhsa_float_denorm_mode_32 3
		.amdhsa_float_denorm_mode_16_64 3
		.amdhsa_dx10_clamp 1
		.amdhsa_ieee_mode 1
		.amdhsa_fp16_overflow 0
		.amdhsa_tg_split 0
		.amdhsa_exception_fp_ieee_invalid_op 0
		.amdhsa_exception_fp_denorm_src 0
		.amdhsa_exception_fp_ieee_div_zero 0
		.amdhsa_exception_fp_ieee_overflow 0
		.amdhsa_exception_fp_ieee_underflow 0
		.amdhsa_exception_fp_ieee_inexact 0
		.amdhsa_exception_int_div_zero 0
	.end_amdhsa_kernel
	.section	.text._ZN7rocprim17ROCPRIM_400000_NS6detail17trampoline_kernelINS0_14default_configENS1_35radix_sort_onesweep_config_selectorIhNS0_10empty_typeEEEZNS1_34radix_sort_onesweep_global_offsetsIS3_Lb1EPhPS5_mNS0_19identity_decomposerEEE10hipError_tT1_T2_PT3_SE_jT4_jjP12ihipStream_tbEUlT_E0_NS1_11comp_targetILNS1_3genE0ELNS1_11target_archE4294967295ELNS1_3gpuE0ELNS1_3repE0EEENS1_52radix_sort_onesweep_histogram_config_static_selectorELNS0_4arch9wavefront6targetE1EEEvSC_,"axG",@progbits,_ZN7rocprim17ROCPRIM_400000_NS6detail17trampoline_kernelINS0_14default_configENS1_35radix_sort_onesweep_config_selectorIhNS0_10empty_typeEEEZNS1_34radix_sort_onesweep_global_offsetsIS3_Lb1EPhPS5_mNS0_19identity_decomposerEEE10hipError_tT1_T2_PT3_SE_jT4_jjP12ihipStream_tbEUlT_E0_NS1_11comp_targetILNS1_3genE0ELNS1_11target_archE4294967295ELNS1_3gpuE0ELNS1_3repE0EEENS1_52radix_sort_onesweep_histogram_config_static_selectorELNS0_4arch9wavefront6targetE1EEEvSC_,comdat
.Lfunc_end1724:
	.size	_ZN7rocprim17ROCPRIM_400000_NS6detail17trampoline_kernelINS0_14default_configENS1_35radix_sort_onesweep_config_selectorIhNS0_10empty_typeEEEZNS1_34radix_sort_onesweep_global_offsetsIS3_Lb1EPhPS5_mNS0_19identity_decomposerEEE10hipError_tT1_T2_PT3_SE_jT4_jjP12ihipStream_tbEUlT_E0_NS1_11comp_targetILNS1_3genE0ELNS1_11target_archE4294967295ELNS1_3gpuE0ELNS1_3repE0EEENS1_52radix_sort_onesweep_histogram_config_static_selectorELNS0_4arch9wavefront6targetE1EEEvSC_, .Lfunc_end1724-_ZN7rocprim17ROCPRIM_400000_NS6detail17trampoline_kernelINS0_14default_configENS1_35radix_sort_onesweep_config_selectorIhNS0_10empty_typeEEEZNS1_34radix_sort_onesweep_global_offsetsIS3_Lb1EPhPS5_mNS0_19identity_decomposerEEE10hipError_tT1_T2_PT3_SE_jT4_jjP12ihipStream_tbEUlT_E0_NS1_11comp_targetILNS1_3genE0ELNS1_11target_archE4294967295ELNS1_3gpuE0ELNS1_3repE0EEENS1_52radix_sort_onesweep_histogram_config_static_selectorELNS0_4arch9wavefront6targetE1EEEvSC_
                                        ; -- End function
	.section	.AMDGPU.csdata,"",@progbits
; Kernel info:
; codeLenInByte = 0
; NumSgprs: 4
; NumVgprs: 0
; NumAgprs: 0
; TotalNumVgprs: 0
; ScratchSize: 0
; MemoryBound: 0
; FloatMode: 240
; IeeeMode: 1
; LDSByteSize: 0 bytes/workgroup (compile time only)
; SGPRBlocks: 0
; VGPRBlocks: 0
; NumSGPRsForWavesPerEU: 4
; NumVGPRsForWavesPerEU: 1
; AccumOffset: 4
; Occupancy: 8
; WaveLimiterHint : 0
; COMPUTE_PGM_RSRC2:SCRATCH_EN: 0
; COMPUTE_PGM_RSRC2:USER_SGPR: 6
; COMPUTE_PGM_RSRC2:TRAP_HANDLER: 0
; COMPUTE_PGM_RSRC2:TGID_X_EN: 1
; COMPUTE_PGM_RSRC2:TGID_Y_EN: 0
; COMPUTE_PGM_RSRC2:TGID_Z_EN: 0
; COMPUTE_PGM_RSRC2:TIDIG_COMP_CNT: 0
; COMPUTE_PGM_RSRC3_GFX90A:ACCUM_OFFSET: 0
; COMPUTE_PGM_RSRC3_GFX90A:TG_SPLIT: 0
	.section	.text._ZN7rocprim17ROCPRIM_400000_NS6detail17trampoline_kernelINS0_14default_configENS1_35radix_sort_onesweep_config_selectorIhNS0_10empty_typeEEEZNS1_34radix_sort_onesweep_global_offsetsIS3_Lb1EPhPS5_mNS0_19identity_decomposerEEE10hipError_tT1_T2_PT3_SE_jT4_jjP12ihipStream_tbEUlT_E0_NS1_11comp_targetILNS1_3genE6ELNS1_11target_archE950ELNS1_3gpuE13ELNS1_3repE0EEENS1_52radix_sort_onesweep_histogram_config_static_selectorELNS0_4arch9wavefront6targetE1EEEvSC_,"axG",@progbits,_ZN7rocprim17ROCPRIM_400000_NS6detail17trampoline_kernelINS0_14default_configENS1_35radix_sort_onesweep_config_selectorIhNS0_10empty_typeEEEZNS1_34radix_sort_onesweep_global_offsetsIS3_Lb1EPhPS5_mNS0_19identity_decomposerEEE10hipError_tT1_T2_PT3_SE_jT4_jjP12ihipStream_tbEUlT_E0_NS1_11comp_targetILNS1_3genE6ELNS1_11target_archE950ELNS1_3gpuE13ELNS1_3repE0EEENS1_52radix_sort_onesweep_histogram_config_static_selectorELNS0_4arch9wavefront6targetE1EEEvSC_,comdat
	.protected	_ZN7rocprim17ROCPRIM_400000_NS6detail17trampoline_kernelINS0_14default_configENS1_35radix_sort_onesweep_config_selectorIhNS0_10empty_typeEEEZNS1_34radix_sort_onesweep_global_offsetsIS3_Lb1EPhPS5_mNS0_19identity_decomposerEEE10hipError_tT1_T2_PT3_SE_jT4_jjP12ihipStream_tbEUlT_E0_NS1_11comp_targetILNS1_3genE6ELNS1_11target_archE950ELNS1_3gpuE13ELNS1_3repE0EEENS1_52radix_sort_onesweep_histogram_config_static_selectorELNS0_4arch9wavefront6targetE1EEEvSC_ ; -- Begin function _ZN7rocprim17ROCPRIM_400000_NS6detail17trampoline_kernelINS0_14default_configENS1_35radix_sort_onesweep_config_selectorIhNS0_10empty_typeEEEZNS1_34radix_sort_onesweep_global_offsetsIS3_Lb1EPhPS5_mNS0_19identity_decomposerEEE10hipError_tT1_T2_PT3_SE_jT4_jjP12ihipStream_tbEUlT_E0_NS1_11comp_targetILNS1_3genE6ELNS1_11target_archE950ELNS1_3gpuE13ELNS1_3repE0EEENS1_52radix_sort_onesweep_histogram_config_static_selectorELNS0_4arch9wavefront6targetE1EEEvSC_
	.globl	_ZN7rocprim17ROCPRIM_400000_NS6detail17trampoline_kernelINS0_14default_configENS1_35radix_sort_onesweep_config_selectorIhNS0_10empty_typeEEEZNS1_34radix_sort_onesweep_global_offsetsIS3_Lb1EPhPS5_mNS0_19identity_decomposerEEE10hipError_tT1_T2_PT3_SE_jT4_jjP12ihipStream_tbEUlT_E0_NS1_11comp_targetILNS1_3genE6ELNS1_11target_archE950ELNS1_3gpuE13ELNS1_3repE0EEENS1_52radix_sort_onesweep_histogram_config_static_selectorELNS0_4arch9wavefront6targetE1EEEvSC_
	.p2align	8
	.type	_ZN7rocprim17ROCPRIM_400000_NS6detail17trampoline_kernelINS0_14default_configENS1_35radix_sort_onesweep_config_selectorIhNS0_10empty_typeEEEZNS1_34radix_sort_onesweep_global_offsetsIS3_Lb1EPhPS5_mNS0_19identity_decomposerEEE10hipError_tT1_T2_PT3_SE_jT4_jjP12ihipStream_tbEUlT_E0_NS1_11comp_targetILNS1_3genE6ELNS1_11target_archE950ELNS1_3gpuE13ELNS1_3repE0EEENS1_52radix_sort_onesweep_histogram_config_static_selectorELNS0_4arch9wavefront6targetE1EEEvSC_,@function
_ZN7rocprim17ROCPRIM_400000_NS6detail17trampoline_kernelINS0_14default_configENS1_35radix_sort_onesweep_config_selectorIhNS0_10empty_typeEEEZNS1_34radix_sort_onesweep_global_offsetsIS3_Lb1EPhPS5_mNS0_19identity_decomposerEEE10hipError_tT1_T2_PT3_SE_jT4_jjP12ihipStream_tbEUlT_E0_NS1_11comp_targetILNS1_3genE6ELNS1_11target_archE950ELNS1_3gpuE13ELNS1_3repE0EEENS1_52radix_sort_onesweep_histogram_config_static_selectorELNS0_4arch9wavefront6targetE1EEEvSC_: ; @_ZN7rocprim17ROCPRIM_400000_NS6detail17trampoline_kernelINS0_14default_configENS1_35radix_sort_onesweep_config_selectorIhNS0_10empty_typeEEEZNS1_34radix_sort_onesweep_global_offsetsIS3_Lb1EPhPS5_mNS0_19identity_decomposerEEE10hipError_tT1_T2_PT3_SE_jT4_jjP12ihipStream_tbEUlT_E0_NS1_11comp_targetILNS1_3genE6ELNS1_11target_archE950ELNS1_3gpuE13ELNS1_3repE0EEENS1_52radix_sort_onesweep_histogram_config_static_selectorELNS0_4arch9wavefront6targetE1EEEvSC_
; %bb.0:
	.section	.rodata,"a",@progbits
	.p2align	6, 0x0
	.amdhsa_kernel _ZN7rocprim17ROCPRIM_400000_NS6detail17trampoline_kernelINS0_14default_configENS1_35radix_sort_onesweep_config_selectorIhNS0_10empty_typeEEEZNS1_34radix_sort_onesweep_global_offsetsIS3_Lb1EPhPS5_mNS0_19identity_decomposerEEE10hipError_tT1_T2_PT3_SE_jT4_jjP12ihipStream_tbEUlT_E0_NS1_11comp_targetILNS1_3genE6ELNS1_11target_archE950ELNS1_3gpuE13ELNS1_3repE0EEENS1_52radix_sort_onesweep_histogram_config_static_selectorELNS0_4arch9wavefront6targetE1EEEvSC_
		.amdhsa_group_segment_fixed_size 0
		.amdhsa_private_segment_fixed_size 0
		.amdhsa_kernarg_size 8
		.amdhsa_user_sgpr_count 6
		.amdhsa_user_sgpr_private_segment_buffer 1
		.amdhsa_user_sgpr_dispatch_ptr 0
		.amdhsa_user_sgpr_queue_ptr 0
		.amdhsa_user_sgpr_kernarg_segment_ptr 1
		.amdhsa_user_sgpr_dispatch_id 0
		.amdhsa_user_sgpr_flat_scratch_init 0
		.amdhsa_user_sgpr_kernarg_preload_length 0
		.amdhsa_user_sgpr_kernarg_preload_offset 0
		.amdhsa_user_sgpr_private_segment_size 0
		.amdhsa_uses_dynamic_stack 0
		.amdhsa_system_sgpr_private_segment_wavefront_offset 0
		.amdhsa_system_sgpr_workgroup_id_x 1
		.amdhsa_system_sgpr_workgroup_id_y 0
		.amdhsa_system_sgpr_workgroup_id_z 0
		.amdhsa_system_sgpr_workgroup_info 0
		.amdhsa_system_vgpr_workitem_id 0
		.amdhsa_next_free_vgpr 1
		.amdhsa_next_free_sgpr 0
		.amdhsa_accum_offset 4
		.amdhsa_reserve_vcc 0
		.amdhsa_reserve_flat_scratch 0
		.amdhsa_float_round_mode_32 0
		.amdhsa_float_round_mode_16_64 0
		.amdhsa_float_denorm_mode_32 3
		.amdhsa_float_denorm_mode_16_64 3
		.amdhsa_dx10_clamp 1
		.amdhsa_ieee_mode 1
		.amdhsa_fp16_overflow 0
		.amdhsa_tg_split 0
		.amdhsa_exception_fp_ieee_invalid_op 0
		.amdhsa_exception_fp_denorm_src 0
		.amdhsa_exception_fp_ieee_div_zero 0
		.amdhsa_exception_fp_ieee_overflow 0
		.amdhsa_exception_fp_ieee_underflow 0
		.amdhsa_exception_fp_ieee_inexact 0
		.amdhsa_exception_int_div_zero 0
	.end_amdhsa_kernel
	.section	.text._ZN7rocprim17ROCPRIM_400000_NS6detail17trampoline_kernelINS0_14default_configENS1_35radix_sort_onesweep_config_selectorIhNS0_10empty_typeEEEZNS1_34radix_sort_onesweep_global_offsetsIS3_Lb1EPhPS5_mNS0_19identity_decomposerEEE10hipError_tT1_T2_PT3_SE_jT4_jjP12ihipStream_tbEUlT_E0_NS1_11comp_targetILNS1_3genE6ELNS1_11target_archE950ELNS1_3gpuE13ELNS1_3repE0EEENS1_52radix_sort_onesweep_histogram_config_static_selectorELNS0_4arch9wavefront6targetE1EEEvSC_,"axG",@progbits,_ZN7rocprim17ROCPRIM_400000_NS6detail17trampoline_kernelINS0_14default_configENS1_35radix_sort_onesweep_config_selectorIhNS0_10empty_typeEEEZNS1_34radix_sort_onesweep_global_offsetsIS3_Lb1EPhPS5_mNS0_19identity_decomposerEEE10hipError_tT1_T2_PT3_SE_jT4_jjP12ihipStream_tbEUlT_E0_NS1_11comp_targetILNS1_3genE6ELNS1_11target_archE950ELNS1_3gpuE13ELNS1_3repE0EEENS1_52radix_sort_onesweep_histogram_config_static_selectorELNS0_4arch9wavefront6targetE1EEEvSC_,comdat
.Lfunc_end1725:
	.size	_ZN7rocprim17ROCPRIM_400000_NS6detail17trampoline_kernelINS0_14default_configENS1_35radix_sort_onesweep_config_selectorIhNS0_10empty_typeEEEZNS1_34radix_sort_onesweep_global_offsetsIS3_Lb1EPhPS5_mNS0_19identity_decomposerEEE10hipError_tT1_T2_PT3_SE_jT4_jjP12ihipStream_tbEUlT_E0_NS1_11comp_targetILNS1_3genE6ELNS1_11target_archE950ELNS1_3gpuE13ELNS1_3repE0EEENS1_52radix_sort_onesweep_histogram_config_static_selectorELNS0_4arch9wavefront6targetE1EEEvSC_, .Lfunc_end1725-_ZN7rocprim17ROCPRIM_400000_NS6detail17trampoline_kernelINS0_14default_configENS1_35radix_sort_onesweep_config_selectorIhNS0_10empty_typeEEEZNS1_34radix_sort_onesweep_global_offsetsIS3_Lb1EPhPS5_mNS0_19identity_decomposerEEE10hipError_tT1_T2_PT3_SE_jT4_jjP12ihipStream_tbEUlT_E0_NS1_11comp_targetILNS1_3genE6ELNS1_11target_archE950ELNS1_3gpuE13ELNS1_3repE0EEENS1_52radix_sort_onesweep_histogram_config_static_selectorELNS0_4arch9wavefront6targetE1EEEvSC_
                                        ; -- End function
	.section	.AMDGPU.csdata,"",@progbits
; Kernel info:
; codeLenInByte = 0
; NumSgprs: 4
; NumVgprs: 0
; NumAgprs: 0
; TotalNumVgprs: 0
; ScratchSize: 0
; MemoryBound: 0
; FloatMode: 240
; IeeeMode: 1
; LDSByteSize: 0 bytes/workgroup (compile time only)
; SGPRBlocks: 0
; VGPRBlocks: 0
; NumSGPRsForWavesPerEU: 4
; NumVGPRsForWavesPerEU: 1
; AccumOffset: 4
; Occupancy: 8
; WaveLimiterHint : 0
; COMPUTE_PGM_RSRC2:SCRATCH_EN: 0
; COMPUTE_PGM_RSRC2:USER_SGPR: 6
; COMPUTE_PGM_RSRC2:TRAP_HANDLER: 0
; COMPUTE_PGM_RSRC2:TGID_X_EN: 1
; COMPUTE_PGM_RSRC2:TGID_Y_EN: 0
; COMPUTE_PGM_RSRC2:TGID_Z_EN: 0
; COMPUTE_PGM_RSRC2:TIDIG_COMP_CNT: 0
; COMPUTE_PGM_RSRC3_GFX90A:ACCUM_OFFSET: 0
; COMPUTE_PGM_RSRC3_GFX90A:TG_SPLIT: 0
	.section	.text._ZN7rocprim17ROCPRIM_400000_NS6detail17trampoline_kernelINS0_14default_configENS1_35radix_sort_onesweep_config_selectorIhNS0_10empty_typeEEEZNS1_34radix_sort_onesweep_global_offsetsIS3_Lb1EPhPS5_mNS0_19identity_decomposerEEE10hipError_tT1_T2_PT3_SE_jT4_jjP12ihipStream_tbEUlT_E0_NS1_11comp_targetILNS1_3genE5ELNS1_11target_archE942ELNS1_3gpuE9ELNS1_3repE0EEENS1_52radix_sort_onesweep_histogram_config_static_selectorELNS0_4arch9wavefront6targetE1EEEvSC_,"axG",@progbits,_ZN7rocprim17ROCPRIM_400000_NS6detail17trampoline_kernelINS0_14default_configENS1_35radix_sort_onesweep_config_selectorIhNS0_10empty_typeEEEZNS1_34radix_sort_onesweep_global_offsetsIS3_Lb1EPhPS5_mNS0_19identity_decomposerEEE10hipError_tT1_T2_PT3_SE_jT4_jjP12ihipStream_tbEUlT_E0_NS1_11comp_targetILNS1_3genE5ELNS1_11target_archE942ELNS1_3gpuE9ELNS1_3repE0EEENS1_52radix_sort_onesweep_histogram_config_static_selectorELNS0_4arch9wavefront6targetE1EEEvSC_,comdat
	.protected	_ZN7rocprim17ROCPRIM_400000_NS6detail17trampoline_kernelINS0_14default_configENS1_35radix_sort_onesweep_config_selectorIhNS0_10empty_typeEEEZNS1_34radix_sort_onesweep_global_offsetsIS3_Lb1EPhPS5_mNS0_19identity_decomposerEEE10hipError_tT1_T2_PT3_SE_jT4_jjP12ihipStream_tbEUlT_E0_NS1_11comp_targetILNS1_3genE5ELNS1_11target_archE942ELNS1_3gpuE9ELNS1_3repE0EEENS1_52radix_sort_onesweep_histogram_config_static_selectorELNS0_4arch9wavefront6targetE1EEEvSC_ ; -- Begin function _ZN7rocprim17ROCPRIM_400000_NS6detail17trampoline_kernelINS0_14default_configENS1_35radix_sort_onesweep_config_selectorIhNS0_10empty_typeEEEZNS1_34radix_sort_onesweep_global_offsetsIS3_Lb1EPhPS5_mNS0_19identity_decomposerEEE10hipError_tT1_T2_PT3_SE_jT4_jjP12ihipStream_tbEUlT_E0_NS1_11comp_targetILNS1_3genE5ELNS1_11target_archE942ELNS1_3gpuE9ELNS1_3repE0EEENS1_52radix_sort_onesweep_histogram_config_static_selectorELNS0_4arch9wavefront6targetE1EEEvSC_
	.globl	_ZN7rocprim17ROCPRIM_400000_NS6detail17trampoline_kernelINS0_14default_configENS1_35radix_sort_onesweep_config_selectorIhNS0_10empty_typeEEEZNS1_34radix_sort_onesweep_global_offsetsIS3_Lb1EPhPS5_mNS0_19identity_decomposerEEE10hipError_tT1_T2_PT3_SE_jT4_jjP12ihipStream_tbEUlT_E0_NS1_11comp_targetILNS1_3genE5ELNS1_11target_archE942ELNS1_3gpuE9ELNS1_3repE0EEENS1_52radix_sort_onesweep_histogram_config_static_selectorELNS0_4arch9wavefront6targetE1EEEvSC_
	.p2align	8
	.type	_ZN7rocprim17ROCPRIM_400000_NS6detail17trampoline_kernelINS0_14default_configENS1_35radix_sort_onesweep_config_selectorIhNS0_10empty_typeEEEZNS1_34radix_sort_onesweep_global_offsetsIS3_Lb1EPhPS5_mNS0_19identity_decomposerEEE10hipError_tT1_T2_PT3_SE_jT4_jjP12ihipStream_tbEUlT_E0_NS1_11comp_targetILNS1_3genE5ELNS1_11target_archE942ELNS1_3gpuE9ELNS1_3repE0EEENS1_52radix_sort_onesweep_histogram_config_static_selectorELNS0_4arch9wavefront6targetE1EEEvSC_,@function
_ZN7rocprim17ROCPRIM_400000_NS6detail17trampoline_kernelINS0_14default_configENS1_35radix_sort_onesweep_config_selectorIhNS0_10empty_typeEEEZNS1_34radix_sort_onesweep_global_offsetsIS3_Lb1EPhPS5_mNS0_19identity_decomposerEEE10hipError_tT1_T2_PT3_SE_jT4_jjP12ihipStream_tbEUlT_E0_NS1_11comp_targetILNS1_3genE5ELNS1_11target_archE942ELNS1_3gpuE9ELNS1_3repE0EEENS1_52radix_sort_onesweep_histogram_config_static_selectorELNS0_4arch9wavefront6targetE1EEEvSC_: ; @_ZN7rocprim17ROCPRIM_400000_NS6detail17trampoline_kernelINS0_14default_configENS1_35radix_sort_onesweep_config_selectorIhNS0_10empty_typeEEEZNS1_34radix_sort_onesweep_global_offsetsIS3_Lb1EPhPS5_mNS0_19identity_decomposerEEE10hipError_tT1_T2_PT3_SE_jT4_jjP12ihipStream_tbEUlT_E0_NS1_11comp_targetILNS1_3genE5ELNS1_11target_archE942ELNS1_3gpuE9ELNS1_3repE0EEENS1_52radix_sort_onesweep_histogram_config_static_selectorELNS0_4arch9wavefront6targetE1EEEvSC_
; %bb.0:
	.section	.rodata,"a",@progbits
	.p2align	6, 0x0
	.amdhsa_kernel _ZN7rocprim17ROCPRIM_400000_NS6detail17trampoline_kernelINS0_14default_configENS1_35radix_sort_onesweep_config_selectorIhNS0_10empty_typeEEEZNS1_34radix_sort_onesweep_global_offsetsIS3_Lb1EPhPS5_mNS0_19identity_decomposerEEE10hipError_tT1_T2_PT3_SE_jT4_jjP12ihipStream_tbEUlT_E0_NS1_11comp_targetILNS1_3genE5ELNS1_11target_archE942ELNS1_3gpuE9ELNS1_3repE0EEENS1_52radix_sort_onesweep_histogram_config_static_selectorELNS0_4arch9wavefront6targetE1EEEvSC_
		.amdhsa_group_segment_fixed_size 0
		.amdhsa_private_segment_fixed_size 0
		.amdhsa_kernarg_size 8
		.amdhsa_user_sgpr_count 6
		.amdhsa_user_sgpr_private_segment_buffer 1
		.amdhsa_user_sgpr_dispatch_ptr 0
		.amdhsa_user_sgpr_queue_ptr 0
		.amdhsa_user_sgpr_kernarg_segment_ptr 1
		.amdhsa_user_sgpr_dispatch_id 0
		.amdhsa_user_sgpr_flat_scratch_init 0
		.amdhsa_user_sgpr_kernarg_preload_length 0
		.amdhsa_user_sgpr_kernarg_preload_offset 0
		.amdhsa_user_sgpr_private_segment_size 0
		.amdhsa_uses_dynamic_stack 0
		.amdhsa_system_sgpr_private_segment_wavefront_offset 0
		.amdhsa_system_sgpr_workgroup_id_x 1
		.amdhsa_system_sgpr_workgroup_id_y 0
		.amdhsa_system_sgpr_workgroup_id_z 0
		.amdhsa_system_sgpr_workgroup_info 0
		.amdhsa_system_vgpr_workitem_id 0
		.amdhsa_next_free_vgpr 1
		.amdhsa_next_free_sgpr 0
		.amdhsa_accum_offset 4
		.amdhsa_reserve_vcc 0
		.amdhsa_reserve_flat_scratch 0
		.amdhsa_float_round_mode_32 0
		.amdhsa_float_round_mode_16_64 0
		.amdhsa_float_denorm_mode_32 3
		.amdhsa_float_denorm_mode_16_64 3
		.amdhsa_dx10_clamp 1
		.amdhsa_ieee_mode 1
		.amdhsa_fp16_overflow 0
		.amdhsa_tg_split 0
		.amdhsa_exception_fp_ieee_invalid_op 0
		.amdhsa_exception_fp_denorm_src 0
		.amdhsa_exception_fp_ieee_div_zero 0
		.amdhsa_exception_fp_ieee_overflow 0
		.amdhsa_exception_fp_ieee_underflow 0
		.amdhsa_exception_fp_ieee_inexact 0
		.amdhsa_exception_int_div_zero 0
	.end_amdhsa_kernel
	.section	.text._ZN7rocprim17ROCPRIM_400000_NS6detail17trampoline_kernelINS0_14default_configENS1_35radix_sort_onesweep_config_selectorIhNS0_10empty_typeEEEZNS1_34radix_sort_onesweep_global_offsetsIS3_Lb1EPhPS5_mNS0_19identity_decomposerEEE10hipError_tT1_T2_PT3_SE_jT4_jjP12ihipStream_tbEUlT_E0_NS1_11comp_targetILNS1_3genE5ELNS1_11target_archE942ELNS1_3gpuE9ELNS1_3repE0EEENS1_52radix_sort_onesweep_histogram_config_static_selectorELNS0_4arch9wavefront6targetE1EEEvSC_,"axG",@progbits,_ZN7rocprim17ROCPRIM_400000_NS6detail17trampoline_kernelINS0_14default_configENS1_35radix_sort_onesweep_config_selectorIhNS0_10empty_typeEEEZNS1_34radix_sort_onesweep_global_offsetsIS3_Lb1EPhPS5_mNS0_19identity_decomposerEEE10hipError_tT1_T2_PT3_SE_jT4_jjP12ihipStream_tbEUlT_E0_NS1_11comp_targetILNS1_3genE5ELNS1_11target_archE942ELNS1_3gpuE9ELNS1_3repE0EEENS1_52radix_sort_onesweep_histogram_config_static_selectorELNS0_4arch9wavefront6targetE1EEEvSC_,comdat
.Lfunc_end1726:
	.size	_ZN7rocprim17ROCPRIM_400000_NS6detail17trampoline_kernelINS0_14default_configENS1_35radix_sort_onesweep_config_selectorIhNS0_10empty_typeEEEZNS1_34radix_sort_onesweep_global_offsetsIS3_Lb1EPhPS5_mNS0_19identity_decomposerEEE10hipError_tT1_T2_PT3_SE_jT4_jjP12ihipStream_tbEUlT_E0_NS1_11comp_targetILNS1_3genE5ELNS1_11target_archE942ELNS1_3gpuE9ELNS1_3repE0EEENS1_52radix_sort_onesweep_histogram_config_static_selectorELNS0_4arch9wavefront6targetE1EEEvSC_, .Lfunc_end1726-_ZN7rocprim17ROCPRIM_400000_NS6detail17trampoline_kernelINS0_14default_configENS1_35radix_sort_onesweep_config_selectorIhNS0_10empty_typeEEEZNS1_34radix_sort_onesweep_global_offsetsIS3_Lb1EPhPS5_mNS0_19identity_decomposerEEE10hipError_tT1_T2_PT3_SE_jT4_jjP12ihipStream_tbEUlT_E0_NS1_11comp_targetILNS1_3genE5ELNS1_11target_archE942ELNS1_3gpuE9ELNS1_3repE0EEENS1_52radix_sort_onesweep_histogram_config_static_selectorELNS0_4arch9wavefront6targetE1EEEvSC_
                                        ; -- End function
	.section	.AMDGPU.csdata,"",@progbits
; Kernel info:
; codeLenInByte = 0
; NumSgprs: 4
; NumVgprs: 0
; NumAgprs: 0
; TotalNumVgprs: 0
; ScratchSize: 0
; MemoryBound: 0
; FloatMode: 240
; IeeeMode: 1
; LDSByteSize: 0 bytes/workgroup (compile time only)
; SGPRBlocks: 0
; VGPRBlocks: 0
; NumSGPRsForWavesPerEU: 4
; NumVGPRsForWavesPerEU: 1
; AccumOffset: 4
; Occupancy: 8
; WaveLimiterHint : 0
; COMPUTE_PGM_RSRC2:SCRATCH_EN: 0
; COMPUTE_PGM_RSRC2:USER_SGPR: 6
; COMPUTE_PGM_RSRC2:TRAP_HANDLER: 0
; COMPUTE_PGM_RSRC2:TGID_X_EN: 1
; COMPUTE_PGM_RSRC2:TGID_Y_EN: 0
; COMPUTE_PGM_RSRC2:TGID_Z_EN: 0
; COMPUTE_PGM_RSRC2:TIDIG_COMP_CNT: 0
; COMPUTE_PGM_RSRC3_GFX90A:ACCUM_OFFSET: 0
; COMPUTE_PGM_RSRC3_GFX90A:TG_SPLIT: 0
	.section	.text._ZN7rocprim17ROCPRIM_400000_NS6detail17trampoline_kernelINS0_14default_configENS1_35radix_sort_onesweep_config_selectorIhNS0_10empty_typeEEEZNS1_34radix_sort_onesweep_global_offsetsIS3_Lb1EPhPS5_mNS0_19identity_decomposerEEE10hipError_tT1_T2_PT3_SE_jT4_jjP12ihipStream_tbEUlT_E0_NS1_11comp_targetILNS1_3genE2ELNS1_11target_archE906ELNS1_3gpuE6ELNS1_3repE0EEENS1_52radix_sort_onesweep_histogram_config_static_selectorELNS0_4arch9wavefront6targetE1EEEvSC_,"axG",@progbits,_ZN7rocprim17ROCPRIM_400000_NS6detail17trampoline_kernelINS0_14default_configENS1_35radix_sort_onesweep_config_selectorIhNS0_10empty_typeEEEZNS1_34radix_sort_onesweep_global_offsetsIS3_Lb1EPhPS5_mNS0_19identity_decomposerEEE10hipError_tT1_T2_PT3_SE_jT4_jjP12ihipStream_tbEUlT_E0_NS1_11comp_targetILNS1_3genE2ELNS1_11target_archE906ELNS1_3gpuE6ELNS1_3repE0EEENS1_52radix_sort_onesweep_histogram_config_static_selectorELNS0_4arch9wavefront6targetE1EEEvSC_,comdat
	.protected	_ZN7rocprim17ROCPRIM_400000_NS6detail17trampoline_kernelINS0_14default_configENS1_35radix_sort_onesweep_config_selectorIhNS0_10empty_typeEEEZNS1_34radix_sort_onesweep_global_offsetsIS3_Lb1EPhPS5_mNS0_19identity_decomposerEEE10hipError_tT1_T2_PT3_SE_jT4_jjP12ihipStream_tbEUlT_E0_NS1_11comp_targetILNS1_3genE2ELNS1_11target_archE906ELNS1_3gpuE6ELNS1_3repE0EEENS1_52radix_sort_onesweep_histogram_config_static_selectorELNS0_4arch9wavefront6targetE1EEEvSC_ ; -- Begin function _ZN7rocprim17ROCPRIM_400000_NS6detail17trampoline_kernelINS0_14default_configENS1_35radix_sort_onesweep_config_selectorIhNS0_10empty_typeEEEZNS1_34radix_sort_onesweep_global_offsetsIS3_Lb1EPhPS5_mNS0_19identity_decomposerEEE10hipError_tT1_T2_PT3_SE_jT4_jjP12ihipStream_tbEUlT_E0_NS1_11comp_targetILNS1_3genE2ELNS1_11target_archE906ELNS1_3gpuE6ELNS1_3repE0EEENS1_52radix_sort_onesweep_histogram_config_static_selectorELNS0_4arch9wavefront6targetE1EEEvSC_
	.globl	_ZN7rocprim17ROCPRIM_400000_NS6detail17trampoline_kernelINS0_14default_configENS1_35radix_sort_onesweep_config_selectorIhNS0_10empty_typeEEEZNS1_34radix_sort_onesweep_global_offsetsIS3_Lb1EPhPS5_mNS0_19identity_decomposerEEE10hipError_tT1_T2_PT3_SE_jT4_jjP12ihipStream_tbEUlT_E0_NS1_11comp_targetILNS1_3genE2ELNS1_11target_archE906ELNS1_3gpuE6ELNS1_3repE0EEENS1_52radix_sort_onesweep_histogram_config_static_selectorELNS0_4arch9wavefront6targetE1EEEvSC_
	.p2align	8
	.type	_ZN7rocprim17ROCPRIM_400000_NS6detail17trampoline_kernelINS0_14default_configENS1_35radix_sort_onesweep_config_selectorIhNS0_10empty_typeEEEZNS1_34radix_sort_onesweep_global_offsetsIS3_Lb1EPhPS5_mNS0_19identity_decomposerEEE10hipError_tT1_T2_PT3_SE_jT4_jjP12ihipStream_tbEUlT_E0_NS1_11comp_targetILNS1_3genE2ELNS1_11target_archE906ELNS1_3gpuE6ELNS1_3repE0EEENS1_52radix_sort_onesweep_histogram_config_static_selectorELNS0_4arch9wavefront6targetE1EEEvSC_,@function
_ZN7rocprim17ROCPRIM_400000_NS6detail17trampoline_kernelINS0_14default_configENS1_35radix_sort_onesweep_config_selectorIhNS0_10empty_typeEEEZNS1_34radix_sort_onesweep_global_offsetsIS3_Lb1EPhPS5_mNS0_19identity_decomposerEEE10hipError_tT1_T2_PT3_SE_jT4_jjP12ihipStream_tbEUlT_E0_NS1_11comp_targetILNS1_3genE2ELNS1_11target_archE906ELNS1_3gpuE6ELNS1_3repE0EEENS1_52radix_sort_onesweep_histogram_config_static_selectorELNS0_4arch9wavefront6targetE1EEEvSC_: ; @_ZN7rocprim17ROCPRIM_400000_NS6detail17trampoline_kernelINS0_14default_configENS1_35radix_sort_onesweep_config_selectorIhNS0_10empty_typeEEEZNS1_34radix_sort_onesweep_global_offsetsIS3_Lb1EPhPS5_mNS0_19identity_decomposerEEE10hipError_tT1_T2_PT3_SE_jT4_jjP12ihipStream_tbEUlT_E0_NS1_11comp_targetILNS1_3genE2ELNS1_11target_archE906ELNS1_3gpuE6ELNS1_3repE0EEENS1_52radix_sort_onesweep_histogram_config_static_selectorELNS0_4arch9wavefront6targetE1EEEvSC_
; %bb.0:
	.section	.rodata,"a",@progbits
	.p2align	6, 0x0
	.amdhsa_kernel _ZN7rocprim17ROCPRIM_400000_NS6detail17trampoline_kernelINS0_14default_configENS1_35radix_sort_onesweep_config_selectorIhNS0_10empty_typeEEEZNS1_34radix_sort_onesweep_global_offsetsIS3_Lb1EPhPS5_mNS0_19identity_decomposerEEE10hipError_tT1_T2_PT3_SE_jT4_jjP12ihipStream_tbEUlT_E0_NS1_11comp_targetILNS1_3genE2ELNS1_11target_archE906ELNS1_3gpuE6ELNS1_3repE0EEENS1_52radix_sort_onesweep_histogram_config_static_selectorELNS0_4arch9wavefront6targetE1EEEvSC_
		.amdhsa_group_segment_fixed_size 0
		.amdhsa_private_segment_fixed_size 0
		.amdhsa_kernarg_size 8
		.amdhsa_user_sgpr_count 6
		.amdhsa_user_sgpr_private_segment_buffer 1
		.amdhsa_user_sgpr_dispatch_ptr 0
		.amdhsa_user_sgpr_queue_ptr 0
		.amdhsa_user_sgpr_kernarg_segment_ptr 1
		.amdhsa_user_sgpr_dispatch_id 0
		.amdhsa_user_sgpr_flat_scratch_init 0
		.amdhsa_user_sgpr_kernarg_preload_length 0
		.amdhsa_user_sgpr_kernarg_preload_offset 0
		.amdhsa_user_sgpr_private_segment_size 0
		.amdhsa_uses_dynamic_stack 0
		.amdhsa_system_sgpr_private_segment_wavefront_offset 0
		.amdhsa_system_sgpr_workgroup_id_x 1
		.amdhsa_system_sgpr_workgroup_id_y 0
		.amdhsa_system_sgpr_workgroup_id_z 0
		.amdhsa_system_sgpr_workgroup_info 0
		.amdhsa_system_vgpr_workitem_id 0
		.amdhsa_next_free_vgpr 1
		.amdhsa_next_free_sgpr 0
		.amdhsa_accum_offset 4
		.amdhsa_reserve_vcc 0
		.amdhsa_reserve_flat_scratch 0
		.amdhsa_float_round_mode_32 0
		.amdhsa_float_round_mode_16_64 0
		.amdhsa_float_denorm_mode_32 3
		.amdhsa_float_denorm_mode_16_64 3
		.amdhsa_dx10_clamp 1
		.amdhsa_ieee_mode 1
		.amdhsa_fp16_overflow 0
		.amdhsa_tg_split 0
		.amdhsa_exception_fp_ieee_invalid_op 0
		.amdhsa_exception_fp_denorm_src 0
		.amdhsa_exception_fp_ieee_div_zero 0
		.amdhsa_exception_fp_ieee_overflow 0
		.amdhsa_exception_fp_ieee_underflow 0
		.amdhsa_exception_fp_ieee_inexact 0
		.amdhsa_exception_int_div_zero 0
	.end_amdhsa_kernel
	.section	.text._ZN7rocprim17ROCPRIM_400000_NS6detail17trampoline_kernelINS0_14default_configENS1_35radix_sort_onesweep_config_selectorIhNS0_10empty_typeEEEZNS1_34radix_sort_onesweep_global_offsetsIS3_Lb1EPhPS5_mNS0_19identity_decomposerEEE10hipError_tT1_T2_PT3_SE_jT4_jjP12ihipStream_tbEUlT_E0_NS1_11comp_targetILNS1_3genE2ELNS1_11target_archE906ELNS1_3gpuE6ELNS1_3repE0EEENS1_52radix_sort_onesweep_histogram_config_static_selectorELNS0_4arch9wavefront6targetE1EEEvSC_,"axG",@progbits,_ZN7rocprim17ROCPRIM_400000_NS6detail17trampoline_kernelINS0_14default_configENS1_35radix_sort_onesweep_config_selectorIhNS0_10empty_typeEEEZNS1_34radix_sort_onesweep_global_offsetsIS3_Lb1EPhPS5_mNS0_19identity_decomposerEEE10hipError_tT1_T2_PT3_SE_jT4_jjP12ihipStream_tbEUlT_E0_NS1_11comp_targetILNS1_3genE2ELNS1_11target_archE906ELNS1_3gpuE6ELNS1_3repE0EEENS1_52radix_sort_onesweep_histogram_config_static_selectorELNS0_4arch9wavefront6targetE1EEEvSC_,comdat
.Lfunc_end1727:
	.size	_ZN7rocprim17ROCPRIM_400000_NS6detail17trampoline_kernelINS0_14default_configENS1_35radix_sort_onesweep_config_selectorIhNS0_10empty_typeEEEZNS1_34radix_sort_onesweep_global_offsetsIS3_Lb1EPhPS5_mNS0_19identity_decomposerEEE10hipError_tT1_T2_PT3_SE_jT4_jjP12ihipStream_tbEUlT_E0_NS1_11comp_targetILNS1_3genE2ELNS1_11target_archE906ELNS1_3gpuE6ELNS1_3repE0EEENS1_52radix_sort_onesweep_histogram_config_static_selectorELNS0_4arch9wavefront6targetE1EEEvSC_, .Lfunc_end1727-_ZN7rocprim17ROCPRIM_400000_NS6detail17trampoline_kernelINS0_14default_configENS1_35radix_sort_onesweep_config_selectorIhNS0_10empty_typeEEEZNS1_34radix_sort_onesweep_global_offsetsIS3_Lb1EPhPS5_mNS0_19identity_decomposerEEE10hipError_tT1_T2_PT3_SE_jT4_jjP12ihipStream_tbEUlT_E0_NS1_11comp_targetILNS1_3genE2ELNS1_11target_archE906ELNS1_3gpuE6ELNS1_3repE0EEENS1_52radix_sort_onesweep_histogram_config_static_selectorELNS0_4arch9wavefront6targetE1EEEvSC_
                                        ; -- End function
	.section	.AMDGPU.csdata,"",@progbits
; Kernel info:
; codeLenInByte = 0
; NumSgprs: 4
; NumVgprs: 0
; NumAgprs: 0
; TotalNumVgprs: 0
; ScratchSize: 0
; MemoryBound: 0
; FloatMode: 240
; IeeeMode: 1
; LDSByteSize: 0 bytes/workgroup (compile time only)
; SGPRBlocks: 0
; VGPRBlocks: 0
; NumSGPRsForWavesPerEU: 4
; NumVGPRsForWavesPerEU: 1
; AccumOffset: 4
; Occupancy: 8
; WaveLimiterHint : 0
; COMPUTE_PGM_RSRC2:SCRATCH_EN: 0
; COMPUTE_PGM_RSRC2:USER_SGPR: 6
; COMPUTE_PGM_RSRC2:TRAP_HANDLER: 0
; COMPUTE_PGM_RSRC2:TGID_X_EN: 1
; COMPUTE_PGM_RSRC2:TGID_Y_EN: 0
; COMPUTE_PGM_RSRC2:TGID_Z_EN: 0
; COMPUTE_PGM_RSRC2:TIDIG_COMP_CNT: 0
; COMPUTE_PGM_RSRC3_GFX90A:ACCUM_OFFSET: 0
; COMPUTE_PGM_RSRC3_GFX90A:TG_SPLIT: 0
	.section	.text._ZN7rocprim17ROCPRIM_400000_NS6detail17trampoline_kernelINS0_14default_configENS1_35radix_sort_onesweep_config_selectorIhNS0_10empty_typeEEEZNS1_34radix_sort_onesweep_global_offsetsIS3_Lb1EPhPS5_mNS0_19identity_decomposerEEE10hipError_tT1_T2_PT3_SE_jT4_jjP12ihipStream_tbEUlT_E0_NS1_11comp_targetILNS1_3genE4ELNS1_11target_archE910ELNS1_3gpuE8ELNS1_3repE0EEENS1_52radix_sort_onesweep_histogram_config_static_selectorELNS0_4arch9wavefront6targetE1EEEvSC_,"axG",@progbits,_ZN7rocprim17ROCPRIM_400000_NS6detail17trampoline_kernelINS0_14default_configENS1_35radix_sort_onesweep_config_selectorIhNS0_10empty_typeEEEZNS1_34radix_sort_onesweep_global_offsetsIS3_Lb1EPhPS5_mNS0_19identity_decomposerEEE10hipError_tT1_T2_PT3_SE_jT4_jjP12ihipStream_tbEUlT_E0_NS1_11comp_targetILNS1_3genE4ELNS1_11target_archE910ELNS1_3gpuE8ELNS1_3repE0EEENS1_52radix_sort_onesweep_histogram_config_static_selectorELNS0_4arch9wavefront6targetE1EEEvSC_,comdat
	.protected	_ZN7rocprim17ROCPRIM_400000_NS6detail17trampoline_kernelINS0_14default_configENS1_35radix_sort_onesweep_config_selectorIhNS0_10empty_typeEEEZNS1_34radix_sort_onesweep_global_offsetsIS3_Lb1EPhPS5_mNS0_19identity_decomposerEEE10hipError_tT1_T2_PT3_SE_jT4_jjP12ihipStream_tbEUlT_E0_NS1_11comp_targetILNS1_3genE4ELNS1_11target_archE910ELNS1_3gpuE8ELNS1_3repE0EEENS1_52radix_sort_onesweep_histogram_config_static_selectorELNS0_4arch9wavefront6targetE1EEEvSC_ ; -- Begin function _ZN7rocprim17ROCPRIM_400000_NS6detail17trampoline_kernelINS0_14default_configENS1_35radix_sort_onesweep_config_selectorIhNS0_10empty_typeEEEZNS1_34radix_sort_onesweep_global_offsetsIS3_Lb1EPhPS5_mNS0_19identity_decomposerEEE10hipError_tT1_T2_PT3_SE_jT4_jjP12ihipStream_tbEUlT_E0_NS1_11comp_targetILNS1_3genE4ELNS1_11target_archE910ELNS1_3gpuE8ELNS1_3repE0EEENS1_52radix_sort_onesweep_histogram_config_static_selectorELNS0_4arch9wavefront6targetE1EEEvSC_
	.globl	_ZN7rocprim17ROCPRIM_400000_NS6detail17trampoline_kernelINS0_14default_configENS1_35radix_sort_onesweep_config_selectorIhNS0_10empty_typeEEEZNS1_34radix_sort_onesweep_global_offsetsIS3_Lb1EPhPS5_mNS0_19identity_decomposerEEE10hipError_tT1_T2_PT3_SE_jT4_jjP12ihipStream_tbEUlT_E0_NS1_11comp_targetILNS1_3genE4ELNS1_11target_archE910ELNS1_3gpuE8ELNS1_3repE0EEENS1_52radix_sort_onesweep_histogram_config_static_selectorELNS0_4arch9wavefront6targetE1EEEvSC_
	.p2align	8
	.type	_ZN7rocprim17ROCPRIM_400000_NS6detail17trampoline_kernelINS0_14default_configENS1_35radix_sort_onesweep_config_selectorIhNS0_10empty_typeEEEZNS1_34radix_sort_onesweep_global_offsetsIS3_Lb1EPhPS5_mNS0_19identity_decomposerEEE10hipError_tT1_T2_PT3_SE_jT4_jjP12ihipStream_tbEUlT_E0_NS1_11comp_targetILNS1_3genE4ELNS1_11target_archE910ELNS1_3gpuE8ELNS1_3repE0EEENS1_52radix_sort_onesweep_histogram_config_static_selectorELNS0_4arch9wavefront6targetE1EEEvSC_,@function
_ZN7rocprim17ROCPRIM_400000_NS6detail17trampoline_kernelINS0_14default_configENS1_35radix_sort_onesweep_config_selectorIhNS0_10empty_typeEEEZNS1_34radix_sort_onesweep_global_offsetsIS3_Lb1EPhPS5_mNS0_19identity_decomposerEEE10hipError_tT1_T2_PT3_SE_jT4_jjP12ihipStream_tbEUlT_E0_NS1_11comp_targetILNS1_3genE4ELNS1_11target_archE910ELNS1_3gpuE8ELNS1_3repE0EEENS1_52radix_sort_onesweep_histogram_config_static_selectorELNS0_4arch9wavefront6targetE1EEEvSC_: ; @_ZN7rocprim17ROCPRIM_400000_NS6detail17trampoline_kernelINS0_14default_configENS1_35radix_sort_onesweep_config_selectorIhNS0_10empty_typeEEEZNS1_34radix_sort_onesweep_global_offsetsIS3_Lb1EPhPS5_mNS0_19identity_decomposerEEE10hipError_tT1_T2_PT3_SE_jT4_jjP12ihipStream_tbEUlT_E0_NS1_11comp_targetILNS1_3genE4ELNS1_11target_archE910ELNS1_3gpuE8ELNS1_3repE0EEENS1_52radix_sort_onesweep_histogram_config_static_selectorELNS0_4arch9wavefront6targetE1EEEvSC_
; %bb.0:
	s_load_dwordx2 s[0:1], s[4:5], 0x0
	s_lshl_b32 s2, s6, 4
	s_mov_b32 s3, 0
	s_lshl_b64 s[2:3], s[2:3], 3
	v_cmp_gt_u32_e32 vcc, 16, v0
	s_waitcnt lgkmcnt(0)
	s_add_u32 s6, s0, s2
	s_addc_u32 s7, s1, s3
	v_lshlrev_b32_e32 v6, 3, v0
                                        ; implicit-def: $vgpr2_vgpr3
	s_and_saveexec_b64 s[0:1], vcc
	s_cbranch_execz .LBB1728_2
; %bb.1:
	global_load_dwordx2 v[2:3], v6, s[6:7]
.LBB1728_2:
	s_or_b64 exec, exec, s[0:1]
	s_waitcnt vmcnt(0)
	v_mov_b32_dpp v4, v2 row_shr:1 row_mask:0xf bank_mask:0xf
	v_add_co_u32_e64 v4, s[0:1], v2, v4
	v_mbcnt_lo_u32_b32 v1, -1, 0
	v_addc_co_u32_e64 v8, s[0:1], 0, v3, s[0:1]
	v_mbcnt_hi_u32_b32 v7, -1, v1
	v_mov_b32_dpp v5, v3 row_shr:1 row_mask:0xf bank_mask:0xf
	v_add_co_u32_e64 v9, s[0:1], 0, v4
	v_and_b32_e32 v1, 15, v7
	v_addc_co_u32_e64 v5, s[0:1], v5, v8, s[0:1]
	v_cmp_eq_u32_e64 s[0:1], 0, v1
	v_cndmask_b32_e64 v4, v4, v2, s[0:1]
	v_cndmask_b32_e64 v5, v5, v3, s[0:1]
	v_cndmask_b32_e64 v8, v9, v2, s[0:1]
	v_mov_b32_dpp v9, v4 row_shr:2 row_mask:0xf bank_mask:0xf
	v_mov_b32_dpp v10, v5 row_shr:2 row_mask:0xf bank_mask:0xf
	v_add_co_u32_e64 v9, s[0:1], v9, v8
	v_addc_co_u32_e64 v10, s[0:1], v10, v5, s[0:1]
	v_cmp_lt_u32_e64 s[0:1], 1, v1
	v_cndmask_b32_e64 v4, v4, v9, s[0:1]
	v_cndmask_b32_e64 v5, v5, v10, s[0:1]
	v_cndmask_b32_e64 v8, v8, v9, s[0:1]
	v_mov_b32_dpp v9, v4 row_shr:4 row_mask:0xf bank_mask:0xf
	v_mov_b32_dpp v10, v5 row_shr:4 row_mask:0xf bank_mask:0xf
	v_add_co_u32_e64 v9, s[0:1], v9, v8
	v_addc_co_u32_e64 v10, s[0:1], v10, v5, s[0:1]
	v_cmp_lt_u32_e64 s[0:1], 3, v1
	;; [unrolled: 8-line block ×3, first 2 shown]
	v_cndmask_b32_e64 v11, v4, v9, s[0:1]
	v_cndmask_b32_e64 v1, v5, v10, s[0:1]
	;; [unrolled: 1-line block ×3, first 2 shown]
	v_mov_b32_dpp v5, v11 row_bcast:15 row_mask:0xf bank_mask:0xf
	v_mov_b32_dpp v8, v1 row_bcast:15 row_mask:0xf bank_mask:0xf
	v_and_b32_e32 v10, 16, v7
	v_add_co_u32_e64 v5, s[0:1], v5, v4
	v_addc_co_u32_e64 v9, s[0:1], v8, v1, s[0:1]
	v_cmp_eq_u32_e64 s[2:3], 0, v10
	v_cndmask_b32_e64 v10, v9, v1, s[2:3]
	v_cndmask_b32_e64 v8, v5, v11, s[2:3]
	v_cmp_eq_u32_e64 s[0:1], 0, v7
	v_mov_b32_dpp v10, v10 row_bcast:31 row_mask:0xf bank_mask:0xf
	v_mov_b32_dpp v8, v8 row_bcast:31 row_mask:0xf bank_mask:0xf
	v_cmp_ne_u32_e64 s[4:5], 0, v7
	s_and_saveexec_b64 s[8:9], s[4:5]
; %bb.3:
	v_cndmask_b32_e64 v1, v9, v1, s[2:3]
	v_cndmask_b32_e64 v2, v5, v4, s[2:3]
	v_cmp_lt_u32_e64 s[2:3], 31, v7
	v_cndmask_b32_e64 v4, 0, v8, s[2:3]
	v_cndmask_b32_e64 v3, 0, v10, s[2:3]
	v_add_co_u32_e64 v2, s[2:3], v4, v2
	v_addc_co_u32_e64 v3, s[2:3], v3, v1, s[2:3]
; %bb.4:
	s_or_b64 exec, exec, s[8:9]
	v_or_b32_e32 v1, 63, v0
	v_lshrrev_b32_e32 v8, 6, v0
	v_cmp_eq_u32_e64 s[2:3], v1, v0
	s_and_saveexec_b64 s[4:5], s[2:3]
	s_cbranch_execz .LBB1728_6
; %bb.5:
	v_lshlrev_b32_e32 v1, 3, v8
	ds_write_b64 v1, v[2:3]
.LBB1728_6:
	s_or_b64 exec, exec, s[4:5]
	v_cmp_gt_u32_e64 s[2:3], 8, v0
	s_waitcnt lgkmcnt(0)
	s_barrier
	s_and_saveexec_b64 s[8:9], s[2:3]
	s_cbranch_execz .LBB1728_10
; %bb.7:
	ds_read_b64 v[4:5], v6
	v_and_b32_e32 v1, 7, v7
	v_cmp_ne_u32_e64 s[4:5], 0, v1
	s_waitcnt lgkmcnt(0)
	v_mov_b32_dpp v9, v4 row_shr:1 row_mask:0xf bank_mask:0xf
	v_add_co_u32_e64 v11, s[2:3], v4, v9
	v_addc_co_u32_e64 v12, s[2:3], 0, v5, s[2:3]
	v_mov_b32_dpp v10, v5 row_shr:1 row_mask:0xf bank_mask:0xf
	v_add_co_u32_e64 v9, s[2:3], 0, v11
	v_addc_co_u32_e64 v10, s[2:3], v10, v12, s[2:3]
	v_cmp_eq_u32_e64 s[2:3], 0, v1
	v_cndmask_b32_e64 v12, v11, v4, s[2:3]
	v_cndmask_b32_e64 v14, v10, v5, s[2:3]
	;; [unrolled: 1-line block ×3, first 2 shown]
	v_mov_b32_dpp v13, v12 row_shr:2 row_mask:0xf bank_mask:0xf
	v_mov_b32_dpp v15, v14 row_shr:2 row_mask:0xf bank_mask:0xf
	v_add_co_u32_e64 v11, s[2:3], v13, v11
	v_addc_co_u32_e64 v13, s[2:3], v15, v14, s[2:3]
	v_cmp_lt_u32_e64 s[2:3], 1, v1
	v_cndmask_b32_e64 v14, v14, v13, s[2:3]
	v_cndmask_b32_e64 v12, v12, v11, s[2:3]
	s_nop 0
	v_mov_b32_dpp v14, v14 row_shr:4 row_mask:0xf bank_mask:0xf
	v_mov_b32_dpp v12, v12 row_shr:4 row_mask:0xf bank_mask:0xf
	s_and_saveexec_b64 s[10:11], s[4:5]
; %bb.8:
	v_cndmask_b32_e64 v5, v10, v13, s[2:3]
	v_cndmask_b32_e64 v4, v9, v11, s[2:3]
	v_cmp_lt_u32_e64 s[2:3], 3, v1
	v_cndmask_b32_e64 v9, 0, v12, s[2:3]
	v_cndmask_b32_e64 v1, 0, v14, s[2:3]
	v_add_co_u32_e64 v4, s[2:3], v9, v4
	v_addc_co_u32_e64 v5, s[2:3], v1, v5, s[2:3]
; %bb.9:
	s_or_b64 exec, exec, s[10:11]
	ds_write_b64 v6, v[4:5]
.LBB1728_10:
	s_or_b64 exec, exec, s[8:9]
	v_cmp_lt_u32_e64 s[2:3], 63, v0
	v_pk_mov_b32 v[0:1], 0, 0
	s_waitcnt lgkmcnt(0)
	s_barrier
	s_and_saveexec_b64 s[4:5], s[2:3]
	s_cbranch_execz .LBB1728_12
; %bb.11:
	v_lshl_add_u32 v0, v8, 3, -8
	ds_read_b64 v[0:1], v0
.LBB1728_12:
	s_or_b64 exec, exec, s[4:5]
	s_waitcnt lgkmcnt(0)
	v_add_co_u32_e64 v2, s[2:3], v0, v2
	v_addc_co_u32_e64 v3, s[2:3], v1, v3, s[2:3]
	v_add_u32_e32 v4, -1, v7
	v_and_b32_e32 v5, 64, v7
	v_cmp_lt_i32_e64 s[2:3], v4, v5
	v_cndmask_b32_e64 v4, v4, v7, s[2:3]
	v_lshlrev_b32_e32 v4, 2, v4
	ds_bpermute_b32 v2, v4, v2
	ds_bpermute_b32 v3, v4, v3
	s_and_saveexec_b64 s[2:3], vcc
	s_cbranch_execz .LBB1728_14
; %bb.13:
	s_waitcnt lgkmcnt(0)
	v_cndmask_b32_e64 v1, v3, v1, s[0:1]
	v_cndmask_b32_e64 v0, v2, v0, s[0:1]
	global_store_dwordx2 v6, v[0:1], s[6:7]
.LBB1728_14:
	s_endpgm
	.section	.rodata,"a",@progbits
	.p2align	6, 0x0
	.amdhsa_kernel _ZN7rocprim17ROCPRIM_400000_NS6detail17trampoline_kernelINS0_14default_configENS1_35radix_sort_onesweep_config_selectorIhNS0_10empty_typeEEEZNS1_34radix_sort_onesweep_global_offsetsIS3_Lb1EPhPS5_mNS0_19identity_decomposerEEE10hipError_tT1_T2_PT3_SE_jT4_jjP12ihipStream_tbEUlT_E0_NS1_11comp_targetILNS1_3genE4ELNS1_11target_archE910ELNS1_3gpuE8ELNS1_3repE0EEENS1_52radix_sort_onesweep_histogram_config_static_selectorELNS0_4arch9wavefront6targetE1EEEvSC_
		.amdhsa_group_segment_fixed_size 64
		.amdhsa_private_segment_fixed_size 0
		.amdhsa_kernarg_size 8
		.amdhsa_user_sgpr_count 6
		.amdhsa_user_sgpr_private_segment_buffer 1
		.amdhsa_user_sgpr_dispatch_ptr 0
		.amdhsa_user_sgpr_queue_ptr 0
		.amdhsa_user_sgpr_kernarg_segment_ptr 1
		.amdhsa_user_sgpr_dispatch_id 0
		.amdhsa_user_sgpr_flat_scratch_init 0
		.amdhsa_user_sgpr_kernarg_preload_length 0
		.amdhsa_user_sgpr_kernarg_preload_offset 0
		.amdhsa_user_sgpr_private_segment_size 0
		.amdhsa_uses_dynamic_stack 0
		.amdhsa_system_sgpr_private_segment_wavefront_offset 0
		.amdhsa_system_sgpr_workgroup_id_x 1
		.amdhsa_system_sgpr_workgroup_id_y 0
		.amdhsa_system_sgpr_workgroup_id_z 0
		.amdhsa_system_sgpr_workgroup_info 0
		.amdhsa_system_vgpr_workitem_id 0
		.amdhsa_next_free_vgpr 16
		.amdhsa_next_free_sgpr 12
		.amdhsa_accum_offset 16
		.amdhsa_reserve_vcc 1
		.amdhsa_reserve_flat_scratch 0
		.amdhsa_float_round_mode_32 0
		.amdhsa_float_round_mode_16_64 0
		.amdhsa_float_denorm_mode_32 3
		.amdhsa_float_denorm_mode_16_64 3
		.amdhsa_dx10_clamp 1
		.amdhsa_ieee_mode 1
		.amdhsa_fp16_overflow 0
		.amdhsa_tg_split 0
		.amdhsa_exception_fp_ieee_invalid_op 0
		.amdhsa_exception_fp_denorm_src 0
		.amdhsa_exception_fp_ieee_div_zero 0
		.amdhsa_exception_fp_ieee_overflow 0
		.amdhsa_exception_fp_ieee_underflow 0
		.amdhsa_exception_fp_ieee_inexact 0
		.amdhsa_exception_int_div_zero 0
	.end_amdhsa_kernel
	.section	.text._ZN7rocprim17ROCPRIM_400000_NS6detail17trampoline_kernelINS0_14default_configENS1_35radix_sort_onesweep_config_selectorIhNS0_10empty_typeEEEZNS1_34radix_sort_onesweep_global_offsetsIS3_Lb1EPhPS5_mNS0_19identity_decomposerEEE10hipError_tT1_T2_PT3_SE_jT4_jjP12ihipStream_tbEUlT_E0_NS1_11comp_targetILNS1_3genE4ELNS1_11target_archE910ELNS1_3gpuE8ELNS1_3repE0EEENS1_52radix_sort_onesweep_histogram_config_static_selectorELNS0_4arch9wavefront6targetE1EEEvSC_,"axG",@progbits,_ZN7rocprim17ROCPRIM_400000_NS6detail17trampoline_kernelINS0_14default_configENS1_35radix_sort_onesweep_config_selectorIhNS0_10empty_typeEEEZNS1_34radix_sort_onesweep_global_offsetsIS3_Lb1EPhPS5_mNS0_19identity_decomposerEEE10hipError_tT1_T2_PT3_SE_jT4_jjP12ihipStream_tbEUlT_E0_NS1_11comp_targetILNS1_3genE4ELNS1_11target_archE910ELNS1_3gpuE8ELNS1_3repE0EEENS1_52radix_sort_onesweep_histogram_config_static_selectorELNS0_4arch9wavefront6targetE1EEEvSC_,comdat
.Lfunc_end1728:
	.size	_ZN7rocprim17ROCPRIM_400000_NS6detail17trampoline_kernelINS0_14default_configENS1_35radix_sort_onesweep_config_selectorIhNS0_10empty_typeEEEZNS1_34radix_sort_onesweep_global_offsetsIS3_Lb1EPhPS5_mNS0_19identity_decomposerEEE10hipError_tT1_T2_PT3_SE_jT4_jjP12ihipStream_tbEUlT_E0_NS1_11comp_targetILNS1_3genE4ELNS1_11target_archE910ELNS1_3gpuE8ELNS1_3repE0EEENS1_52radix_sort_onesweep_histogram_config_static_selectorELNS0_4arch9wavefront6targetE1EEEvSC_, .Lfunc_end1728-_ZN7rocprim17ROCPRIM_400000_NS6detail17trampoline_kernelINS0_14default_configENS1_35radix_sort_onesweep_config_selectorIhNS0_10empty_typeEEEZNS1_34radix_sort_onesweep_global_offsetsIS3_Lb1EPhPS5_mNS0_19identity_decomposerEEE10hipError_tT1_T2_PT3_SE_jT4_jjP12ihipStream_tbEUlT_E0_NS1_11comp_targetILNS1_3genE4ELNS1_11target_archE910ELNS1_3gpuE8ELNS1_3repE0EEENS1_52radix_sort_onesweep_histogram_config_static_selectorELNS0_4arch9wavefront6targetE1EEEvSC_
                                        ; -- End function
	.section	.AMDGPU.csdata,"",@progbits
; Kernel info:
; codeLenInByte = 988
; NumSgprs: 16
; NumVgprs: 16
; NumAgprs: 0
; TotalNumVgprs: 16
; ScratchSize: 0
; MemoryBound: 0
; FloatMode: 240
; IeeeMode: 1
; LDSByteSize: 64 bytes/workgroup (compile time only)
; SGPRBlocks: 1
; VGPRBlocks: 1
; NumSGPRsForWavesPerEU: 16
; NumVGPRsForWavesPerEU: 16
; AccumOffset: 16
; Occupancy: 8
; WaveLimiterHint : 0
; COMPUTE_PGM_RSRC2:SCRATCH_EN: 0
; COMPUTE_PGM_RSRC2:USER_SGPR: 6
; COMPUTE_PGM_RSRC2:TRAP_HANDLER: 0
; COMPUTE_PGM_RSRC2:TGID_X_EN: 1
; COMPUTE_PGM_RSRC2:TGID_Y_EN: 0
; COMPUTE_PGM_RSRC2:TGID_Z_EN: 0
; COMPUTE_PGM_RSRC2:TIDIG_COMP_CNT: 0
; COMPUTE_PGM_RSRC3_GFX90A:ACCUM_OFFSET: 3
; COMPUTE_PGM_RSRC3_GFX90A:TG_SPLIT: 0
	.section	.text._ZN7rocprim17ROCPRIM_400000_NS6detail17trampoline_kernelINS0_14default_configENS1_35radix_sort_onesweep_config_selectorIhNS0_10empty_typeEEEZNS1_34radix_sort_onesweep_global_offsetsIS3_Lb1EPhPS5_mNS0_19identity_decomposerEEE10hipError_tT1_T2_PT3_SE_jT4_jjP12ihipStream_tbEUlT_E0_NS1_11comp_targetILNS1_3genE3ELNS1_11target_archE908ELNS1_3gpuE7ELNS1_3repE0EEENS1_52radix_sort_onesweep_histogram_config_static_selectorELNS0_4arch9wavefront6targetE1EEEvSC_,"axG",@progbits,_ZN7rocprim17ROCPRIM_400000_NS6detail17trampoline_kernelINS0_14default_configENS1_35radix_sort_onesweep_config_selectorIhNS0_10empty_typeEEEZNS1_34radix_sort_onesweep_global_offsetsIS3_Lb1EPhPS5_mNS0_19identity_decomposerEEE10hipError_tT1_T2_PT3_SE_jT4_jjP12ihipStream_tbEUlT_E0_NS1_11comp_targetILNS1_3genE3ELNS1_11target_archE908ELNS1_3gpuE7ELNS1_3repE0EEENS1_52radix_sort_onesweep_histogram_config_static_selectorELNS0_4arch9wavefront6targetE1EEEvSC_,comdat
	.protected	_ZN7rocprim17ROCPRIM_400000_NS6detail17trampoline_kernelINS0_14default_configENS1_35radix_sort_onesweep_config_selectorIhNS0_10empty_typeEEEZNS1_34radix_sort_onesweep_global_offsetsIS3_Lb1EPhPS5_mNS0_19identity_decomposerEEE10hipError_tT1_T2_PT3_SE_jT4_jjP12ihipStream_tbEUlT_E0_NS1_11comp_targetILNS1_3genE3ELNS1_11target_archE908ELNS1_3gpuE7ELNS1_3repE0EEENS1_52radix_sort_onesweep_histogram_config_static_selectorELNS0_4arch9wavefront6targetE1EEEvSC_ ; -- Begin function _ZN7rocprim17ROCPRIM_400000_NS6detail17trampoline_kernelINS0_14default_configENS1_35radix_sort_onesweep_config_selectorIhNS0_10empty_typeEEEZNS1_34radix_sort_onesweep_global_offsetsIS3_Lb1EPhPS5_mNS0_19identity_decomposerEEE10hipError_tT1_T2_PT3_SE_jT4_jjP12ihipStream_tbEUlT_E0_NS1_11comp_targetILNS1_3genE3ELNS1_11target_archE908ELNS1_3gpuE7ELNS1_3repE0EEENS1_52radix_sort_onesweep_histogram_config_static_selectorELNS0_4arch9wavefront6targetE1EEEvSC_
	.globl	_ZN7rocprim17ROCPRIM_400000_NS6detail17trampoline_kernelINS0_14default_configENS1_35radix_sort_onesweep_config_selectorIhNS0_10empty_typeEEEZNS1_34radix_sort_onesweep_global_offsetsIS3_Lb1EPhPS5_mNS0_19identity_decomposerEEE10hipError_tT1_T2_PT3_SE_jT4_jjP12ihipStream_tbEUlT_E0_NS1_11comp_targetILNS1_3genE3ELNS1_11target_archE908ELNS1_3gpuE7ELNS1_3repE0EEENS1_52radix_sort_onesweep_histogram_config_static_selectorELNS0_4arch9wavefront6targetE1EEEvSC_
	.p2align	8
	.type	_ZN7rocprim17ROCPRIM_400000_NS6detail17trampoline_kernelINS0_14default_configENS1_35radix_sort_onesweep_config_selectorIhNS0_10empty_typeEEEZNS1_34radix_sort_onesweep_global_offsetsIS3_Lb1EPhPS5_mNS0_19identity_decomposerEEE10hipError_tT1_T2_PT3_SE_jT4_jjP12ihipStream_tbEUlT_E0_NS1_11comp_targetILNS1_3genE3ELNS1_11target_archE908ELNS1_3gpuE7ELNS1_3repE0EEENS1_52radix_sort_onesweep_histogram_config_static_selectorELNS0_4arch9wavefront6targetE1EEEvSC_,@function
_ZN7rocprim17ROCPRIM_400000_NS6detail17trampoline_kernelINS0_14default_configENS1_35radix_sort_onesweep_config_selectorIhNS0_10empty_typeEEEZNS1_34radix_sort_onesweep_global_offsetsIS3_Lb1EPhPS5_mNS0_19identity_decomposerEEE10hipError_tT1_T2_PT3_SE_jT4_jjP12ihipStream_tbEUlT_E0_NS1_11comp_targetILNS1_3genE3ELNS1_11target_archE908ELNS1_3gpuE7ELNS1_3repE0EEENS1_52radix_sort_onesweep_histogram_config_static_selectorELNS0_4arch9wavefront6targetE1EEEvSC_: ; @_ZN7rocprim17ROCPRIM_400000_NS6detail17trampoline_kernelINS0_14default_configENS1_35radix_sort_onesweep_config_selectorIhNS0_10empty_typeEEEZNS1_34radix_sort_onesweep_global_offsetsIS3_Lb1EPhPS5_mNS0_19identity_decomposerEEE10hipError_tT1_T2_PT3_SE_jT4_jjP12ihipStream_tbEUlT_E0_NS1_11comp_targetILNS1_3genE3ELNS1_11target_archE908ELNS1_3gpuE7ELNS1_3repE0EEENS1_52radix_sort_onesweep_histogram_config_static_selectorELNS0_4arch9wavefront6targetE1EEEvSC_
; %bb.0:
	.section	.rodata,"a",@progbits
	.p2align	6, 0x0
	.amdhsa_kernel _ZN7rocprim17ROCPRIM_400000_NS6detail17trampoline_kernelINS0_14default_configENS1_35radix_sort_onesweep_config_selectorIhNS0_10empty_typeEEEZNS1_34radix_sort_onesweep_global_offsetsIS3_Lb1EPhPS5_mNS0_19identity_decomposerEEE10hipError_tT1_T2_PT3_SE_jT4_jjP12ihipStream_tbEUlT_E0_NS1_11comp_targetILNS1_3genE3ELNS1_11target_archE908ELNS1_3gpuE7ELNS1_3repE0EEENS1_52radix_sort_onesweep_histogram_config_static_selectorELNS0_4arch9wavefront6targetE1EEEvSC_
		.amdhsa_group_segment_fixed_size 0
		.amdhsa_private_segment_fixed_size 0
		.amdhsa_kernarg_size 8
		.amdhsa_user_sgpr_count 6
		.amdhsa_user_sgpr_private_segment_buffer 1
		.amdhsa_user_sgpr_dispatch_ptr 0
		.amdhsa_user_sgpr_queue_ptr 0
		.amdhsa_user_sgpr_kernarg_segment_ptr 1
		.amdhsa_user_sgpr_dispatch_id 0
		.amdhsa_user_sgpr_flat_scratch_init 0
		.amdhsa_user_sgpr_kernarg_preload_length 0
		.amdhsa_user_sgpr_kernarg_preload_offset 0
		.amdhsa_user_sgpr_private_segment_size 0
		.amdhsa_uses_dynamic_stack 0
		.amdhsa_system_sgpr_private_segment_wavefront_offset 0
		.amdhsa_system_sgpr_workgroup_id_x 1
		.amdhsa_system_sgpr_workgroup_id_y 0
		.amdhsa_system_sgpr_workgroup_id_z 0
		.amdhsa_system_sgpr_workgroup_info 0
		.amdhsa_system_vgpr_workitem_id 0
		.amdhsa_next_free_vgpr 1
		.amdhsa_next_free_sgpr 0
		.amdhsa_accum_offset 4
		.amdhsa_reserve_vcc 0
		.amdhsa_reserve_flat_scratch 0
		.amdhsa_float_round_mode_32 0
		.amdhsa_float_round_mode_16_64 0
		.amdhsa_float_denorm_mode_32 3
		.amdhsa_float_denorm_mode_16_64 3
		.amdhsa_dx10_clamp 1
		.amdhsa_ieee_mode 1
		.amdhsa_fp16_overflow 0
		.amdhsa_tg_split 0
		.amdhsa_exception_fp_ieee_invalid_op 0
		.amdhsa_exception_fp_denorm_src 0
		.amdhsa_exception_fp_ieee_div_zero 0
		.amdhsa_exception_fp_ieee_overflow 0
		.amdhsa_exception_fp_ieee_underflow 0
		.amdhsa_exception_fp_ieee_inexact 0
		.amdhsa_exception_int_div_zero 0
	.end_amdhsa_kernel
	.section	.text._ZN7rocprim17ROCPRIM_400000_NS6detail17trampoline_kernelINS0_14default_configENS1_35radix_sort_onesweep_config_selectorIhNS0_10empty_typeEEEZNS1_34radix_sort_onesweep_global_offsetsIS3_Lb1EPhPS5_mNS0_19identity_decomposerEEE10hipError_tT1_T2_PT3_SE_jT4_jjP12ihipStream_tbEUlT_E0_NS1_11comp_targetILNS1_3genE3ELNS1_11target_archE908ELNS1_3gpuE7ELNS1_3repE0EEENS1_52radix_sort_onesweep_histogram_config_static_selectorELNS0_4arch9wavefront6targetE1EEEvSC_,"axG",@progbits,_ZN7rocprim17ROCPRIM_400000_NS6detail17trampoline_kernelINS0_14default_configENS1_35radix_sort_onesweep_config_selectorIhNS0_10empty_typeEEEZNS1_34radix_sort_onesweep_global_offsetsIS3_Lb1EPhPS5_mNS0_19identity_decomposerEEE10hipError_tT1_T2_PT3_SE_jT4_jjP12ihipStream_tbEUlT_E0_NS1_11comp_targetILNS1_3genE3ELNS1_11target_archE908ELNS1_3gpuE7ELNS1_3repE0EEENS1_52radix_sort_onesweep_histogram_config_static_selectorELNS0_4arch9wavefront6targetE1EEEvSC_,comdat
.Lfunc_end1729:
	.size	_ZN7rocprim17ROCPRIM_400000_NS6detail17trampoline_kernelINS0_14default_configENS1_35radix_sort_onesweep_config_selectorIhNS0_10empty_typeEEEZNS1_34radix_sort_onesweep_global_offsetsIS3_Lb1EPhPS5_mNS0_19identity_decomposerEEE10hipError_tT1_T2_PT3_SE_jT4_jjP12ihipStream_tbEUlT_E0_NS1_11comp_targetILNS1_3genE3ELNS1_11target_archE908ELNS1_3gpuE7ELNS1_3repE0EEENS1_52radix_sort_onesweep_histogram_config_static_selectorELNS0_4arch9wavefront6targetE1EEEvSC_, .Lfunc_end1729-_ZN7rocprim17ROCPRIM_400000_NS6detail17trampoline_kernelINS0_14default_configENS1_35radix_sort_onesweep_config_selectorIhNS0_10empty_typeEEEZNS1_34radix_sort_onesweep_global_offsetsIS3_Lb1EPhPS5_mNS0_19identity_decomposerEEE10hipError_tT1_T2_PT3_SE_jT4_jjP12ihipStream_tbEUlT_E0_NS1_11comp_targetILNS1_3genE3ELNS1_11target_archE908ELNS1_3gpuE7ELNS1_3repE0EEENS1_52radix_sort_onesweep_histogram_config_static_selectorELNS0_4arch9wavefront6targetE1EEEvSC_
                                        ; -- End function
	.section	.AMDGPU.csdata,"",@progbits
; Kernel info:
; codeLenInByte = 0
; NumSgprs: 4
; NumVgprs: 0
; NumAgprs: 0
; TotalNumVgprs: 0
; ScratchSize: 0
; MemoryBound: 0
; FloatMode: 240
; IeeeMode: 1
; LDSByteSize: 0 bytes/workgroup (compile time only)
; SGPRBlocks: 0
; VGPRBlocks: 0
; NumSGPRsForWavesPerEU: 4
; NumVGPRsForWavesPerEU: 1
; AccumOffset: 4
; Occupancy: 8
; WaveLimiterHint : 0
; COMPUTE_PGM_RSRC2:SCRATCH_EN: 0
; COMPUTE_PGM_RSRC2:USER_SGPR: 6
; COMPUTE_PGM_RSRC2:TRAP_HANDLER: 0
; COMPUTE_PGM_RSRC2:TGID_X_EN: 1
; COMPUTE_PGM_RSRC2:TGID_Y_EN: 0
; COMPUTE_PGM_RSRC2:TGID_Z_EN: 0
; COMPUTE_PGM_RSRC2:TIDIG_COMP_CNT: 0
; COMPUTE_PGM_RSRC3_GFX90A:ACCUM_OFFSET: 0
; COMPUTE_PGM_RSRC3_GFX90A:TG_SPLIT: 0
	.section	.text._ZN7rocprim17ROCPRIM_400000_NS6detail17trampoline_kernelINS0_14default_configENS1_35radix_sort_onesweep_config_selectorIhNS0_10empty_typeEEEZNS1_34radix_sort_onesweep_global_offsetsIS3_Lb1EPhPS5_mNS0_19identity_decomposerEEE10hipError_tT1_T2_PT3_SE_jT4_jjP12ihipStream_tbEUlT_E0_NS1_11comp_targetILNS1_3genE10ELNS1_11target_archE1201ELNS1_3gpuE5ELNS1_3repE0EEENS1_52radix_sort_onesweep_histogram_config_static_selectorELNS0_4arch9wavefront6targetE1EEEvSC_,"axG",@progbits,_ZN7rocprim17ROCPRIM_400000_NS6detail17trampoline_kernelINS0_14default_configENS1_35radix_sort_onesweep_config_selectorIhNS0_10empty_typeEEEZNS1_34radix_sort_onesweep_global_offsetsIS3_Lb1EPhPS5_mNS0_19identity_decomposerEEE10hipError_tT1_T2_PT3_SE_jT4_jjP12ihipStream_tbEUlT_E0_NS1_11comp_targetILNS1_3genE10ELNS1_11target_archE1201ELNS1_3gpuE5ELNS1_3repE0EEENS1_52radix_sort_onesweep_histogram_config_static_selectorELNS0_4arch9wavefront6targetE1EEEvSC_,comdat
	.protected	_ZN7rocprim17ROCPRIM_400000_NS6detail17trampoline_kernelINS0_14default_configENS1_35radix_sort_onesweep_config_selectorIhNS0_10empty_typeEEEZNS1_34radix_sort_onesweep_global_offsetsIS3_Lb1EPhPS5_mNS0_19identity_decomposerEEE10hipError_tT1_T2_PT3_SE_jT4_jjP12ihipStream_tbEUlT_E0_NS1_11comp_targetILNS1_3genE10ELNS1_11target_archE1201ELNS1_3gpuE5ELNS1_3repE0EEENS1_52radix_sort_onesweep_histogram_config_static_selectorELNS0_4arch9wavefront6targetE1EEEvSC_ ; -- Begin function _ZN7rocprim17ROCPRIM_400000_NS6detail17trampoline_kernelINS0_14default_configENS1_35radix_sort_onesweep_config_selectorIhNS0_10empty_typeEEEZNS1_34radix_sort_onesweep_global_offsetsIS3_Lb1EPhPS5_mNS0_19identity_decomposerEEE10hipError_tT1_T2_PT3_SE_jT4_jjP12ihipStream_tbEUlT_E0_NS1_11comp_targetILNS1_3genE10ELNS1_11target_archE1201ELNS1_3gpuE5ELNS1_3repE0EEENS1_52radix_sort_onesweep_histogram_config_static_selectorELNS0_4arch9wavefront6targetE1EEEvSC_
	.globl	_ZN7rocprim17ROCPRIM_400000_NS6detail17trampoline_kernelINS0_14default_configENS1_35radix_sort_onesweep_config_selectorIhNS0_10empty_typeEEEZNS1_34radix_sort_onesweep_global_offsetsIS3_Lb1EPhPS5_mNS0_19identity_decomposerEEE10hipError_tT1_T2_PT3_SE_jT4_jjP12ihipStream_tbEUlT_E0_NS1_11comp_targetILNS1_3genE10ELNS1_11target_archE1201ELNS1_3gpuE5ELNS1_3repE0EEENS1_52radix_sort_onesweep_histogram_config_static_selectorELNS0_4arch9wavefront6targetE1EEEvSC_
	.p2align	8
	.type	_ZN7rocprim17ROCPRIM_400000_NS6detail17trampoline_kernelINS0_14default_configENS1_35radix_sort_onesweep_config_selectorIhNS0_10empty_typeEEEZNS1_34radix_sort_onesweep_global_offsetsIS3_Lb1EPhPS5_mNS0_19identity_decomposerEEE10hipError_tT1_T2_PT3_SE_jT4_jjP12ihipStream_tbEUlT_E0_NS1_11comp_targetILNS1_3genE10ELNS1_11target_archE1201ELNS1_3gpuE5ELNS1_3repE0EEENS1_52radix_sort_onesweep_histogram_config_static_selectorELNS0_4arch9wavefront6targetE1EEEvSC_,@function
_ZN7rocprim17ROCPRIM_400000_NS6detail17trampoline_kernelINS0_14default_configENS1_35radix_sort_onesweep_config_selectorIhNS0_10empty_typeEEEZNS1_34radix_sort_onesweep_global_offsetsIS3_Lb1EPhPS5_mNS0_19identity_decomposerEEE10hipError_tT1_T2_PT3_SE_jT4_jjP12ihipStream_tbEUlT_E0_NS1_11comp_targetILNS1_3genE10ELNS1_11target_archE1201ELNS1_3gpuE5ELNS1_3repE0EEENS1_52radix_sort_onesweep_histogram_config_static_selectorELNS0_4arch9wavefront6targetE1EEEvSC_: ; @_ZN7rocprim17ROCPRIM_400000_NS6detail17trampoline_kernelINS0_14default_configENS1_35radix_sort_onesweep_config_selectorIhNS0_10empty_typeEEEZNS1_34radix_sort_onesweep_global_offsetsIS3_Lb1EPhPS5_mNS0_19identity_decomposerEEE10hipError_tT1_T2_PT3_SE_jT4_jjP12ihipStream_tbEUlT_E0_NS1_11comp_targetILNS1_3genE10ELNS1_11target_archE1201ELNS1_3gpuE5ELNS1_3repE0EEENS1_52radix_sort_onesweep_histogram_config_static_selectorELNS0_4arch9wavefront6targetE1EEEvSC_
; %bb.0:
	.section	.rodata,"a",@progbits
	.p2align	6, 0x0
	.amdhsa_kernel _ZN7rocprim17ROCPRIM_400000_NS6detail17trampoline_kernelINS0_14default_configENS1_35radix_sort_onesweep_config_selectorIhNS0_10empty_typeEEEZNS1_34radix_sort_onesweep_global_offsetsIS3_Lb1EPhPS5_mNS0_19identity_decomposerEEE10hipError_tT1_T2_PT3_SE_jT4_jjP12ihipStream_tbEUlT_E0_NS1_11comp_targetILNS1_3genE10ELNS1_11target_archE1201ELNS1_3gpuE5ELNS1_3repE0EEENS1_52radix_sort_onesweep_histogram_config_static_selectorELNS0_4arch9wavefront6targetE1EEEvSC_
		.amdhsa_group_segment_fixed_size 0
		.amdhsa_private_segment_fixed_size 0
		.amdhsa_kernarg_size 8
		.amdhsa_user_sgpr_count 6
		.amdhsa_user_sgpr_private_segment_buffer 1
		.amdhsa_user_sgpr_dispatch_ptr 0
		.amdhsa_user_sgpr_queue_ptr 0
		.amdhsa_user_sgpr_kernarg_segment_ptr 1
		.amdhsa_user_sgpr_dispatch_id 0
		.amdhsa_user_sgpr_flat_scratch_init 0
		.amdhsa_user_sgpr_kernarg_preload_length 0
		.amdhsa_user_sgpr_kernarg_preload_offset 0
		.amdhsa_user_sgpr_private_segment_size 0
		.amdhsa_uses_dynamic_stack 0
		.amdhsa_system_sgpr_private_segment_wavefront_offset 0
		.amdhsa_system_sgpr_workgroup_id_x 1
		.amdhsa_system_sgpr_workgroup_id_y 0
		.amdhsa_system_sgpr_workgroup_id_z 0
		.amdhsa_system_sgpr_workgroup_info 0
		.amdhsa_system_vgpr_workitem_id 0
		.amdhsa_next_free_vgpr 1
		.amdhsa_next_free_sgpr 0
		.amdhsa_accum_offset 4
		.amdhsa_reserve_vcc 0
		.amdhsa_reserve_flat_scratch 0
		.amdhsa_float_round_mode_32 0
		.amdhsa_float_round_mode_16_64 0
		.amdhsa_float_denorm_mode_32 3
		.amdhsa_float_denorm_mode_16_64 3
		.amdhsa_dx10_clamp 1
		.amdhsa_ieee_mode 1
		.amdhsa_fp16_overflow 0
		.amdhsa_tg_split 0
		.amdhsa_exception_fp_ieee_invalid_op 0
		.amdhsa_exception_fp_denorm_src 0
		.amdhsa_exception_fp_ieee_div_zero 0
		.amdhsa_exception_fp_ieee_overflow 0
		.amdhsa_exception_fp_ieee_underflow 0
		.amdhsa_exception_fp_ieee_inexact 0
		.amdhsa_exception_int_div_zero 0
	.end_amdhsa_kernel
	.section	.text._ZN7rocprim17ROCPRIM_400000_NS6detail17trampoline_kernelINS0_14default_configENS1_35radix_sort_onesweep_config_selectorIhNS0_10empty_typeEEEZNS1_34radix_sort_onesweep_global_offsetsIS3_Lb1EPhPS5_mNS0_19identity_decomposerEEE10hipError_tT1_T2_PT3_SE_jT4_jjP12ihipStream_tbEUlT_E0_NS1_11comp_targetILNS1_3genE10ELNS1_11target_archE1201ELNS1_3gpuE5ELNS1_3repE0EEENS1_52radix_sort_onesweep_histogram_config_static_selectorELNS0_4arch9wavefront6targetE1EEEvSC_,"axG",@progbits,_ZN7rocprim17ROCPRIM_400000_NS6detail17trampoline_kernelINS0_14default_configENS1_35radix_sort_onesweep_config_selectorIhNS0_10empty_typeEEEZNS1_34radix_sort_onesweep_global_offsetsIS3_Lb1EPhPS5_mNS0_19identity_decomposerEEE10hipError_tT1_T2_PT3_SE_jT4_jjP12ihipStream_tbEUlT_E0_NS1_11comp_targetILNS1_3genE10ELNS1_11target_archE1201ELNS1_3gpuE5ELNS1_3repE0EEENS1_52radix_sort_onesweep_histogram_config_static_selectorELNS0_4arch9wavefront6targetE1EEEvSC_,comdat
.Lfunc_end1730:
	.size	_ZN7rocprim17ROCPRIM_400000_NS6detail17trampoline_kernelINS0_14default_configENS1_35radix_sort_onesweep_config_selectorIhNS0_10empty_typeEEEZNS1_34radix_sort_onesweep_global_offsetsIS3_Lb1EPhPS5_mNS0_19identity_decomposerEEE10hipError_tT1_T2_PT3_SE_jT4_jjP12ihipStream_tbEUlT_E0_NS1_11comp_targetILNS1_3genE10ELNS1_11target_archE1201ELNS1_3gpuE5ELNS1_3repE0EEENS1_52radix_sort_onesweep_histogram_config_static_selectorELNS0_4arch9wavefront6targetE1EEEvSC_, .Lfunc_end1730-_ZN7rocprim17ROCPRIM_400000_NS6detail17trampoline_kernelINS0_14default_configENS1_35radix_sort_onesweep_config_selectorIhNS0_10empty_typeEEEZNS1_34radix_sort_onesweep_global_offsetsIS3_Lb1EPhPS5_mNS0_19identity_decomposerEEE10hipError_tT1_T2_PT3_SE_jT4_jjP12ihipStream_tbEUlT_E0_NS1_11comp_targetILNS1_3genE10ELNS1_11target_archE1201ELNS1_3gpuE5ELNS1_3repE0EEENS1_52radix_sort_onesweep_histogram_config_static_selectorELNS0_4arch9wavefront6targetE1EEEvSC_
                                        ; -- End function
	.section	.AMDGPU.csdata,"",@progbits
; Kernel info:
; codeLenInByte = 0
; NumSgprs: 4
; NumVgprs: 0
; NumAgprs: 0
; TotalNumVgprs: 0
; ScratchSize: 0
; MemoryBound: 0
; FloatMode: 240
; IeeeMode: 1
; LDSByteSize: 0 bytes/workgroup (compile time only)
; SGPRBlocks: 0
; VGPRBlocks: 0
; NumSGPRsForWavesPerEU: 4
; NumVGPRsForWavesPerEU: 1
; AccumOffset: 4
; Occupancy: 8
; WaveLimiterHint : 0
; COMPUTE_PGM_RSRC2:SCRATCH_EN: 0
; COMPUTE_PGM_RSRC2:USER_SGPR: 6
; COMPUTE_PGM_RSRC2:TRAP_HANDLER: 0
; COMPUTE_PGM_RSRC2:TGID_X_EN: 1
; COMPUTE_PGM_RSRC2:TGID_Y_EN: 0
; COMPUTE_PGM_RSRC2:TGID_Z_EN: 0
; COMPUTE_PGM_RSRC2:TIDIG_COMP_CNT: 0
; COMPUTE_PGM_RSRC3_GFX90A:ACCUM_OFFSET: 0
; COMPUTE_PGM_RSRC3_GFX90A:TG_SPLIT: 0
	.section	.text._ZN7rocprim17ROCPRIM_400000_NS6detail17trampoline_kernelINS0_14default_configENS1_35radix_sort_onesweep_config_selectorIhNS0_10empty_typeEEEZNS1_34radix_sort_onesweep_global_offsetsIS3_Lb1EPhPS5_mNS0_19identity_decomposerEEE10hipError_tT1_T2_PT3_SE_jT4_jjP12ihipStream_tbEUlT_E0_NS1_11comp_targetILNS1_3genE9ELNS1_11target_archE1100ELNS1_3gpuE3ELNS1_3repE0EEENS1_52radix_sort_onesweep_histogram_config_static_selectorELNS0_4arch9wavefront6targetE1EEEvSC_,"axG",@progbits,_ZN7rocprim17ROCPRIM_400000_NS6detail17trampoline_kernelINS0_14default_configENS1_35radix_sort_onesweep_config_selectorIhNS0_10empty_typeEEEZNS1_34radix_sort_onesweep_global_offsetsIS3_Lb1EPhPS5_mNS0_19identity_decomposerEEE10hipError_tT1_T2_PT3_SE_jT4_jjP12ihipStream_tbEUlT_E0_NS1_11comp_targetILNS1_3genE9ELNS1_11target_archE1100ELNS1_3gpuE3ELNS1_3repE0EEENS1_52radix_sort_onesweep_histogram_config_static_selectorELNS0_4arch9wavefront6targetE1EEEvSC_,comdat
	.protected	_ZN7rocprim17ROCPRIM_400000_NS6detail17trampoline_kernelINS0_14default_configENS1_35radix_sort_onesweep_config_selectorIhNS0_10empty_typeEEEZNS1_34radix_sort_onesweep_global_offsetsIS3_Lb1EPhPS5_mNS0_19identity_decomposerEEE10hipError_tT1_T2_PT3_SE_jT4_jjP12ihipStream_tbEUlT_E0_NS1_11comp_targetILNS1_3genE9ELNS1_11target_archE1100ELNS1_3gpuE3ELNS1_3repE0EEENS1_52radix_sort_onesweep_histogram_config_static_selectorELNS0_4arch9wavefront6targetE1EEEvSC_ ; -- Begin function _ZN7rocprim17ROCPRIM_400000_NS6detail17trampoline_kernelINS0_14default_configENS1_35radix_sort_onesweep_config_selectorIhNS0_10empty_typeEEEZNS1_34radix_sort_onesweep_global_offsetsIS3_Lb1EPhPS5_mNS0_19identity_decomposerEEE10hipError_tT1_T2_PT3_SE_jT4_jjP12ihipStream_tbEUlT_E0_NS1_11comp_targetILNS1_3genE9ELNS1_11target_archE1100ELNS1_3gpuE3ELNS1_3repE0EEENS1_52radix_sort_onesweep_histogram_config_static_selectorELNS0_4arch9wavefront6targetE1EEEvSC_
	.globl	_ZN7rocprim17ROCPRIM_400000_NS6detail17trampoline_kernelINS0_14default_configENS1_35radix_sort_onesweep_config_selectorIhNS0_10empty_typeEEEZNS1_34radix_sort_onesweep_global_offsetsIS3_Lb1EPhPS5_mNS0_19identity_decomposerEEE10hipError_tT1_T2_PT3_SE_jT4_jjP12ihipStream_tbEUlT_E0_NS1_11comp_targetILNS1_3genE9ELNS1_11target_archE1100ELNS1_3gpuE3ELNS1_3repE0EEENS1_52radix_sort_onesweep_histogram_config_static_selectorELNS0_4arch9wavefront6targetE1EEEvSC_
	.p2align	8
	.type	_ZN7rocprim17ROCPRIM_400000_NS6detail17trampoline_kernelINS0_14default_configENS1_35radix_sort_onesweep_config_selectorIhNS0_10empty_typeEEEZNS1_34radix_sort_onesweep_global_offsetsIS3_Lb1EPhPS5_mNS0_19identity_decomposerEEE10hipError_tT1_T2_PT3_SE_jT4_jjP12ihipStream_tbEUlT_E0_NS1_11comp_targetILNS1_3genE9ELNS1_11target_archE1100ELNS1_3gpuE3ELNS1_3repE0EEENS1_52radix_sort_onesweep_histogram_config_static_selectorELNS0_4arch9wavefront6targetE1EEEvSC_,@function
_ZN7rocprim17ROCPRIM_400000_NS6detail17trampoline_kernelINS0_14default_configENS1_35radix_sort_onesweep_config_selectorIhNS0_10empty_typeEEEZNS1_34radix_sort_onesweep_global_offsetsIS3_Lb1EPhPS5_mNS0_19identity_decomposerEEE10hipError_tT1_T2_PT3_SE_jT4_jjP12ihipStream_tbEUlT_E0_NS1_11comp_targetILNS1_3genE9ELNS1_11target_archE1100ELNS1_3gpuE3ELNS1_3repE0EEENS1_52radix_sort_onesweep_histogram_config_static_selectorELNS0_4arch9wavefront6targetE1EEEvSC_: ; @_ZN7rocprim17ROCPRIM_400000_NS6detail17trampoline_kernelINS0_14default_configENS1_35radix_sort_onesweep_config_selectorIhNS0_10empty_typeEEEZNS1_34radix_sort_onesweep_global_offsetsIS3_Lb1EPhPS5_mNS0_19identity_decomposerEEE10hipError_tT1_T2_PT3_SE_jT4_jjP12ihipStream_tbEUlT_E0_NS1_11comp_targetILNS1_3genE9ELNS1_11target_archE1100ELNS1_3gpuE3ELNS1_3repE0EEENS1_52radix_sort_onesweep_histogram_config_static_selectorELNS0_4arch9wavefront6targetE1EEEvSC_
; %bb.0:
	.section	.rodata,"a",@progbits
	.p2align	6, 0x0
	.amdhsa_kernel _ZN7rocprim17ROCPRIM_400000_NS6detail17trampoline_kernelINS0_14default_configENS1_35radix_sort_onesweep_config_selectorIhNS0_10empty_typeEEEZNS1_34radix_sort_onesweep_global_offsetsIS3_Lb1EPhPS5_mNS0_19identity_decomposerEEE10hipError_tT1_T2_PT3_SE_jT4_jjP12ihipStream_tbEUlT_E0_NS1_11comp_targetILNS1_3genE9ELNS1_11target_archE1100ELNS1_3gpuE3ELNS1_3repE0EEENS1_52radix_sort_onesweep_histogram_config_static_selectorELNS0_4arch9wavefront6targetE1EEEvSC_
		.amdhsa_group_segment_fixed_size 0
		.amdhsa_private_segment_fixed_size 0
		.amdhsa_kernarg_size 8
		.amdhsa_user_sgpr_count 6
		.amdhsa_user_sgpr_private_segment_buffer 1
		.amdhsa_user_sgpr_dispatch_ptr 0
		.amdhsa_user_sgpr_queue_ptr 0
		.amdhsa_user_sgpr_kernarg_segment_ptr 1
		.amdhsa_user_sgpr_dispatch_id 0
		.amdhsa_user_sgpr_flat_scratch_init 0
		.amdhsa_user_sgpr_kernarg_preload_length 0
		.amdhsa_user_sgpr_kernarg_preload_offset 0
		.amdhsa_user_sgpr_private_segment_size 0
		.amdhsa_uses_dynamic_stack 0
		.amdhsa_system_sgpr_private_segment_wavefront_offset 0
		.amdhsa_system_sgpr_workgroup_id_x 1
		.amdhsa_system_sgpr_workgroup_id_y 0
		.amdhsa_system_sgpr_workgroup_id_z 0
		.amdhsa_system_sgpr_workgroup_info 0
		.amdhsa_system_vgpr_workitem_id 0
		.amdhsa_next_free_vgpr 1
		.amdhsa_next_free_sgpr 0
		.amdhsa_accum_offset 4
		.amdhsa_reserve_vcc 0
		.amdhsa_reserve_flat_scratch 0
		.amdhsa_float_round_mode_32 0
		.amdhsa_float_round_mode_16_64 0
		.amdhsa_float_denorm_mode_32 3
		.amdhsa_float_denorm_mode_16_64 3
		.amdhsa_dx10_clamp 1
		.amdhsa_ieee_mode 1
		.amdhsa_fp16_overflow 0
		.amdhsa_tg_split 0
		.amdhsa_exception_fp_ieee_invalid_op 0
		.amdhsa_exception_fp_denorm_src 0
		.amdhsa_exception_fp_ieee_div_zero 0
		.amdhsa_exception_fp_ieee_overflow 0
		.amdhsa_exception_fp_ieee_underflow 0
		.amdhsa_exception_fp_ieee_inexact 0
		.amdhsa_exception_int_div_zero 0
	.end_amdhsa_kernel
	.section	.text._ZN7rocprim17ROCPRIM_400000_NS6detail17trampoline_kernelINS0_14default_configENS1_35radix_sort_onesweep_config_selectorIhNS0_10empty_typeEEEZNS1_34radix_sort_onesweep_global_offsetsIS3_Lb1EPhPS5_mNS0_19identity_decomposerEEE10hipError_tT1_T2_PT3_SE_jT4_jjP12ihipStream_tbEUlT_E0_NS1_11comp_targetILNS1_3genE9ELNS1_11target_archE1100ELNS1_3gpuE3ELNS1_3repE0EEENS1_52radix_sort_onesweep_histogram_config_static_selectorELNS0_4arch9wavefront6targetE1EEEvSC_,"axG",@progbits,_ZN7rocprim17ROCPRIM_400000_NS6detail17trampoline_kernelINS0_14default_configENS1_35radix_sort_onesweep_config_selectorIhNS0_10empty_typeEEEZNS1_34radix_sort_onesweep_global_offsetsIS3_Lb1EPhPS5_mNS0_19identity_decomposerEEE10hipError_tT1_T2_PT3_SE_jT4_jjP12ihipStream_tbEUlT_E0_NS1_11comp_targetILNS1_3genE9ELNS1_11target_archE1100ELNS1_3gpuE3ELNS1_3repE0EEENS1_52radix_sort_onesweep_histogram_config_static_selectorELNS0_4arch9wavefront6targetE1EEEvSC_,comdat
.Lfunc_end1731:
	.size	_ZN7rocprim17ROCPRIM_400000_NS6detail17trampoline_kernelINS0_14default_configENS1_35radix_sort_onesweep_config_selectorIhNS0_10empty_typeEEEZNS1_34radix_sort_onesweep_global_offsetsIS3_Lb1EPhPS5_mNS0_19identity_decomposerEEE10hipError_tT1_T2_PT3_SE_jT4_jjP12ihipStream_tbEUlT_E0_NS1_11comp_targetILNS1_3genE9ELNS1_11target_archE1100ELNS1_3gpuE3ELNS1_3repE0EEENS1_52radix_sort_onesweep_histogram_config_static_selectorELNS0_4arch9wavefront6targetE1EEEvSC_, .Lfunc_end1731-_ZN7rocprim17ROCPRIM_400000_NS6detail17trampoline_kernelINS0_14default_configENS1_35radix_sort_onesweep_config_selectorIhNS0_10empty_typeEEEZNS1_34radix_sort_onesweep_global_offsetsIS3_Lb1EPhPS5_mNS0_19identity_decomposerEEE10hipError_tT1_T2_PT3_SE_jT4_jjP12ihipStream_tbEUlT_E0_NS1_11comp_targetILNS1_3genE9ELNS1_11target_archE1100ELNS1_3gpuE3ELNS1_3repE0EEENS1_52radix_sort_onesweep_histogram_config_static_selectorELNS0_4arch9wavefront6targetE1EEEvSC_
                                        ; -- End function
	.section	.AMDGPU.csdata,"",@progbits
; Kernel info:
; codeLenInByte = 0
; NumSgprs: 4
; NumVgprs: 0
; NumAgprs: 0
; TotalNumVgprs: 0
; ScratchSize: 0
; MemoryBound: 0
; FloatMode: 240
; IeeeMode: 1
; LDSByteSize: 0 bytes/workgroup (compile time only)
; SGPRBlocks: 0
; VGPRBlocks: 0
; NumSGPRsForWavesPerEU: 4
; NumVGPRsForWavesPerEU: 1
; AccumOffset: 4
; Occupancy: 8
; WaveLimiterHint : 0
; COMPUTE_PGM_RSRC2:SCRATCH_EN: 0
; COMPUTE_PGM_RSRC2:USER_SGPR: 6
; COMPUTE_PGM_RSRC2:TRAP_HANDLER: 0
; COMPUTE_PGM_RSRC2:TGID_X_EN: 1
; COMPUTE_PGM_RSRC2:TGID_Y_EN: 0
; COMPUTE_PGM_RSRC2:TGID_Z_EN: 0
; COMPUTE_PGM_RSRC2:TIDIG_COMP_CNT: 0
; COMPUTE_PGM_RSRC3_GFX90A:ACCUM_OFFSET: 0
; COMPUTE_PGM_RSRC3_GFX90A:TG_SPLIT: 0
	.section	.text._ZN7rocprim17ROCPRIM_400000_NS6detail17trampoline_kernelINS0_14default_configENS1_35radix_sort_onesweep_config_selectorIhNS0_10empty_typeEEEZNS1_34radix_sort_onesweep_global_offsetsIS3_Lb1EPhPS5_mNS0_19identity_decomposerEEE10hipError_tT1_T2_PT3_SE_jT4_jjP12ihipStream_tbEUlT_E0_NS1_11comp_targetILNS1_3genE8ELNS1_11target_archE1030ELNS1_3gpuE2ELNS1_3repE0EEENS1_52radix_sort_onesweep_histogram_config_static_selectorELNS0_4arch9wavefront6targetE1EEEvSC_,"axG",@progbits,_ZN7rocprim17ROCPRIM_400000_NS6detail17trampoline_kernelINS0_14default_configENS1_35radix_sort_onesweep_config_selectorIhNS0_10empty_typeEEEZNS1_34radix_sort_onesweep_global_offsetsIS3_Lb1EPhPS5_mNS0_19identity_decomposerEEE10hipError_tT1_T2_PT3_SE_jT4_jjP12ihipStream_tbEUlT_E0_NS1_11comp_targetILNS1_3genE8ELNS1_11target_archE1030ELNS1_3gpuE2ELNS1_3repE0EEENS1_52radix_sort_onesweep_histogram_config_static_selectorELNS0_4arch9wavefront6targetE1EEEvSC_,comdat
	.protected	_ZN7rocprim17ROCPRIM_400000_NS6detail17trampoline_kernelINS0_14default_configENS1_35radix_sort_onesweep_config_selectorIhNS0_10empty_typeEEEZNS1_34radix_sort_onesweep_global_offsetsIS3_Lb1EPhPS5_mNS0_19identity_decomposerEEE10hipError_tT1_T2_PT3_SE_jT4_jjP12ihipStream_tbEUlT_E0_NS1_11comp_targetILNS1_3genE8ELNS1_11target_archE1030ELNS1_3gpuE2ELNS1_3repE0EEENS1_52radix_sort_onesweep_histogram_config_static_selectorELNS0_4arch9wavefront6targetE1EEEvSC_ ; -- Begin function _ZN7rocprim17ROCPRIM_400000_NS6detail17trampoline_kernelINS0_14default_configENS1_35radix_sort_onesweep_config_selectorIhNS0_10empty_typeEEEZNS1_34radix_sort_onesweep_global_offsetsIS3_Lb1EPhPS5_mNS0_19identity_decomposerEEE10hipError_tT1_T2_PT3_SE_jT4_jjP12ihipStream_tbEUlT_E0_NS1_11comp_targetILNS1_3genE8ELNS1_11target_archE1030ELNS1_3gpuE2ELNS1_3repE0EEENS1_52radix_sort_onesweep_histogram_config_static_selectorELNS0_4arch9wavefront6targetE1EEEvSC_
	.globl	_ZN7rocprim17ROCPRIM_400000_NS6detail17trampoline_kernelINS0_14default_configENS1_35radix_sort_onesweep_config_selectorIhNS0_10empty_typeEEEZNS1_34radix_sort_onesweep_global_offsetsIS3_Lb1EPhPS5_mNS0_19identity_decomposerEEE10hipError_tT1_T2_PT3_SE_jT4_jjP12ihipStream_tbEUlT_E0_NS1_11comp_targetILNS1_3genE8ELNS1_11target_archE1030ELNS1_3gpuE2ELNS1_3repE0EEENS1_52radix_sort_onesweep_histogram_config_static_selectorELNS0_4arch9wavefront6targetE1EEEvSC_
	.p2align	8
	.type	_ZN7rocprim17ROCPRIM_400000_NS6detail17trampoline_kernelINS0_14default_configENS1_35radix_sort_onesweep_config_selectorIhNS0_10empty_typeEEEZNS1_34radix_sort_onesweep_global_offsetsIS3_Lb1EPhPS5_mNS0_19identity_decomposerEEE10hipError_tT1_T2_PT3_SE_jT4_jjP12ihipStream_tbEUlT_E0_NS1_11comp_targetILNS1_3genE8ELNS1_11target_archE1030ELNS1_3gpuE2ELNS1_3repE0EEENS1_52radix_sort_onesweep_histogram_config_static_selectorELNS0_4arch9wavefront6targetE1EEEvSC_,@function
_ZN7rocprim17ROCPRIM_400000_NS6detail17trampoline_kernelINS0_14default_configENS1_35radix_sort_onesweep_config_selectorIhNS0_10empty_typeEEEZNS1_34radix_sort_onesweep_global_offsetsIS3_Lb1EPhPS5_mNS0_19identity_decomposerEEE10hipError_tT1_T2_PT3_SE_jT4_jjP12ihipStream_tbEUlT_E0_NS1_11comp_targetILNS1_3genE8ELNS1_11target_archE1030ELNS1_3gpuE2ELNS1_3repE0EEENS1_52radix_sort_onesweep_histogram_config_static_selectorELNS0_4arch9wavefront6targetE1EEEvSC_: ; @_ZN7rocprim17ROCPRIM_400000_NS6detail17trampoline_kernelINS0_14default_configENS1_35radix_sort_onesweep_config_selectorIhNS0_10empty_typeEEEZNS1_34radix_sort_onesweep_global_offsetsIS3_Lb1EPhPS5_mNS0_19identity_decomposerEEE10hipError_tT1_T2_PT3_SE_jT4_jjP12ihipStream_tbEUlT_E0_NS1_11comp_targetILNS1_3genE8ELNS1_11target_archE1030ELNS1_3gpuE2ELNS1_3repE0EEENS1_52radix_sort_onesweep_histogram_config_static_selectorELNS0_4arch9wavefront6targetE1EEEvSC_
; %bb.0:
	.section	.rodata,"a",@progbits
	.p2align	6, 0x0
	.amdhsa_kernel _ZN7rocprim17ROCPRIM_400000_NS6detail17trampoline_kernelINS0_14default_configENS1_35radix_sort_onesweep_config_selectorIhNS0_10empty_typeEEEZNS1_34radix_sort_onesweep_global_offsetsIS3_Lb1EPhPS5_mNS0_19identity_decomposerEEE10hipError_tT1_T2_PT3_SE_jT4_jjP12ihipStream_tbEUlT_E0_NS1_11comp_targetILNS1_3genE8ELNS1_11target_archE1030ELNS1_3gpuE2ELNS1_3repE0EEENS1_52radix_sort_onesweep_histogram_config_static_selectorELNS0_4arch9wavefront6targetE1EEEvSC_
		.amdhsa_group_segment_fixed_size 0
		.amdhsa_private_segment_fixed_size 0
		.amdhsa_kernarg_size 8
		.amdhsa_user_sgpr_count 6
		.amdhsa_user_sgpr_private_segment_buffer 1
		.amdhsa_user_sgpr_dispatch_ptr 0
		.amdhsa_user_sgpr_queue_ptr 0
		.amdhsa_user_sgpr_kernarg_segment_ptr 1
		.amdhsa_user_sgpr_dispatch_id 0
		.amdhsa_user_sgpr_flat_scratch_init 0
		.amdhsa_user_sgpr_kernarg_preload_length 0
		.amdhsa_user_sgpr_kernarg_preload_offset 0
		.amdhsa_user_sgpr_private_segment_size 0
		.amdhsa_uses_dynamic_stack 0
		.amdhsa_system_sgpr_private_segment_wavefront_offset 0
		.amdhsa_system_sgpr_workgroup_id_x 1
		.amdhsa_system_sgpr_workgroup_id_y 0
		.amdhsa_system_sgpr_workgroup_id_z 0
		.amdhsa_system_sgpr_workgroup_info 0
		.amdhsa_system_vgpr_workitem_id 0
		.amdhsa_next_free_vgpr 1
		.amdhsa_next_free_sgpr 0
		.amdhsa_accum_offset 4
		.amdhsa_reserve_vcc 0
		.amdhsa_reserve_flat_scratch 0
		.amdhsa_float_round_mode_32 0
		.amdhsa_float_round_mode_16_64 0
		.amdhsa_float_denorm_mode_32 3
		.amdhsa_float_denorm_mode_16_64 3
		.amdhsa_dx10_clamp 1
		.amdhsa_ieee_mode 1
		.amdhsa_fp16_overflow 0
		.amdhsa_tg_split 0
		.amdhsa_exception_fp_ieee_invalid_op 0
		.amdhsa_exception_fp_denorm_src 0
		.amdhsa_exception_fp_ieee_div_zero 0
		.amdhsa_exception_fp_ieee_overflow 0
		.amdhsa_exception_fp_ieee_underflow 0
		.amdhsa_exception_fp_ieee_inexact 0
		.amdhsa_exception_int_div_zero 0
	.end_amdhsa_kernel
	.section	.text._ZN7rocprim17ROCPRIM_400000_NS6detail17trampoline_kernelINS0_14default_configENS1_35radix_sort_onesweep_config_selectorIhNS0_10empty_typeEEEZNS1_34radix_sort_onesweep_global_offsetsIS3_Lb1EPhPS5_mNS0_19identity_decomposerEEE10hipError_tT1_T2_PT3_SE_jT4_jjP12ihipStream_tbEUlT_E0_NS1_11comp_targetILNS1_3genE8ELNS1_11target_archE1030ELNS1_3gpuE2ELNS1_3repE0EEENS1_52radix_sort_onesweep_histogram_config_static_selectorELNS0_4arch9wavefront6targetE1EEEvSC_,"axG",@progbits,_ZN7rocprim17ROCPRIM_400000_NS6detail17trampoline_kernelINS0_14default_configENS1_35radix_sort_onesweep_config_selectorIhNS0_10empty_typeEEEZNS1_34radix_sort_onesweep_global_offsetsIS3_Lb1EPhPS5_mNS0_19identity_decomposerEEE10hipError_tT1_T2_PT3_SE_jT4_jjP12ihipStream_tbEUlT_E0_NS1_11comp_targetILNS1_3genE8ELNS1_11target_archE1030ELNS1_3gpuE2ELNS1_3repE0EEENS1_52radix_sort_onesweep_histogram_config_static_selectorELNS0_4arch9wavefront6targetE1EEEvSC_,comdat
.Lfunc_end1732:
	.size	_ZN7rocprim17ROCPRIM_400000_NS6detail17trampoline_kernelINS0_14default_configENS1_35radix_sort_onesweep_config_selectorIhNS0_10empty_typeEEEZNS1_34radix_sort_onesweep_global_offsetsIS3_Lb1EPhPS5_mNS0_19identity_decomposerEEE10hipError_tT1_T2_PT3_SE_jT4_jjP12ihipStream_tbEUlT_E0_NS1_11comp_targetILNS1_3genE8ELNS1_11target_archE1030ELNS1_3gpuE2ELNS1_3repE0EEENS1_52radix_sort_onesweep_histogram_config_static_selectorELNS0_4arch9wavefront6targetE1EEEvSC_, .Lfunc_end1732-_ZN7rocprim17ROCPRIM_400000_NS6detail17trampoline_kernelINS0_14default_configENS1_35radix_sort_onesweep_config_selectorIhNS0_10empty_typeEEEZNS1_34radix_sort_onesweep_global_offsetsIS3_Lb1EPhPS5_mNS0_19identity_decomposerEEE10hipError_tT1_T2_PT3_SE_jT4_jjP12ihipStream_tbEUlT_E0_NS1_11comp_targetILNS1_3genE8ELNS1_11target_archE1030ELNS1_3gpuE2ELNS1_3repE0EEENS1_52radix_sort_onesweep_histogram_config_static_selectorELNS0_4arch9wavefront6targetE1EEEvSC_
                                        ; -- End function
	.section	.AMDGPU.csdata,"",@progbits
; Kernel info:
; codeLenInByte = 0
; NumSgprs: 4
; NumVgprs: 0
; NumAgprs: 0
; TotalNumVgprs: 0
; ScratchSize: 0
; MemoryBound: 0
; FloatMode: 240
; IeeeMode: 1
; LDSByteSize: 0 bytes/workgroup (compile time only)
; SGPRBlocks: 0
; VGPRBlocks: 0
; NumSGPRsForWavesPerEU: 4
; NumVGPRsForWavesPerEU: 1
; AccumOffset: 4
; Occupancy: 8
; WaveLimiterHint : 0
; COMPUTE_PGM_RSRC2:SCRATCH_EN: 0
; COMPUTE_PGM_RSRC2:USER_SGPR: 6
; COMPUTE_PGM_RSRC2:TRAP_HANDLER: 0
; COMPUTE_PGM_RSRC2:TGID_X_EN: 1
; COMPUTE_PGM_RSRC2:TGID_Y_EN: 0
; COMPUTE_PGM_RSRC2:TGID_Z_EN: 0
; COMPUTE_PGM_RSRC2:TIDIG_COMP_CNT: 0
; COMPUTE_PGM_RSRC3_GFX90A:ACCUM_OFFSET: 0
; COMPUTE_PGM_RSRC3_GFX90A:TG_SPLIT: 0
	.section	.text._ZN7rocprim17ROCPRIM_400000_NS6detail17trampoline_kernelINS0_14default_configENS1_35radix_sort_onesweep_config_selectorIhNS0_10empty_typeEEEZZNS1_29radix_sort_onesweep_iterationIS3_Lb1EPhS8_PS5_S9_mNS0_19identity_decomposerENS1_16block_id_wrapperIjLb1EEEEE10hipError_tT1_PNSt15iterator_traitsISE_E10value_typeET2_T3_PNSF_ISK_E10value_typeET4_T5_PSP_SQ_PNS1_23onesweep_lookback_stateEbbT6_jjT7_P12ihipStream_tbENKUlT_T0_SE_SJ_E_clIS8_S8_S9_S9_EEDaSX_SY_SE_SJ_EUlSX_E_NS1_11comp_targetILNS1_3genE0ELNS1_11target_archE4294967295ELNS1_3gpuE0ELNS1_3repE0EEENS1_47radix_sort_onesweep_sort_config_static_selectorELNS0_4arch9wavefront6targetE1EEEvSE_,"axG",@progbits,_ZN7rocprim17ROCPRIM_400000_NS6detail17trampoline_kernelINS0_14default_configENS1_35radix_sort_onesweep_config_selectorIhNS0_10empty_typeEEEZZNS1_29radix_sort_onesweep_iterationIS3_Lb1EPhS8_PS5_S9_mNS0_19identity_decomposerENS1_16block_id_wrapperIjLb1EEEEE10hipError_tT1_PNSt15iterator_traitsISE_E10value_typeET2_T3_PNSF_ISK_E10value_typeET4_T5_PSP_SQ_PNS1_23onesweep_lookback_stateEbbT6_jjT7_P12ihipStream_tbENKUlT_T0_SE_SJ_E_clIS8_S8_S9_S9_EEDaSX_SY_SE_SJ_EUlSX_E_NS1_11comp_targetILNS1_3genE0ELNS1_11target_archE4294967295ELNS1_3gpuE0ELNS1_3repE0EEENS1_47radix_sort_onesweep_sort_config_static_selectorELNS0_4arch9wavefront6targetE1EEEvSE_,comdat
	.protected	_ZN7rocprim17ROCPRIM_400000_NS6detail17trampoline_kernelINS0_14default_configENS1_35radix_sort_onesweep_config_selectorIhNS0_10empty_typeEEEZZNS1_29radix_sort_onesweep_iterationIS3_Lb1EPhS8_PS5_S9_mNS0_19identity_decomposerENS1_16block_id_wrapperIjLb1EEEEE10hipError_tT1_PNSt15iterator_traitsISE_E10value_typeET2_T3_PNSF_ISK_E10value_typeET4_T5_PSP_SQ_PNS1_23onesweep_lookback_stateEbbT6_jjT7_P12ihipStream_tbENKUlT_T0_SE_SJ_E_clIS8_S8_S9_S9_EEDaSX_SY_SE_SJ_EUlSX_E_NS1_11comp_targetILNS1_3genE0ELNS1_11target_archE4294967295ELNS1_3gpuE0ELNS1_3repE0EEENS1_47radix_sort_onesweep_sort_config_static_selectorELNS0_4arch9wavefront6targetE1EEEvSE_ ; -- Begin function _ZN7rocprim17ROCPRIM_400000_NS6detail17trampoline_kernelINS0_14default_configENS1_35radix_sort_onesweep_config_selectorIhNS0_10empty_typeEEEZZNS1_29radix_sort_onesweep_iterationIS3_Lb1EPhS8_PS5_S9_mNS0_19identity_decomposerENS1_16block_id_wrapperIjLb1EEEEE10hipError_tT1_PNSt15iterator_traitsISE_E10value_typeET2_T3_PNSF_ISK_E10value_typeET4_T5_PSP_SQ_PNS1_23onesweep_lookback_stateEbbT6_jjT7_P12ihipStream_tbENKUlT_T0_SE_SJ_E_clIS8_S8_S9_S9_EEDaSX_SY_SE_SJ_EUlSX_E_NS1_11comp_targetILNS1_3genE0ELNS1_11target_archE4294967295ELNS1_3gpuE0ELNS1_3repE0EEENS1_47radix_sort_onesweep_sort_config_static_selectorELNS0_4arch9wavefront6targetE1EEEvSE_
	.globl	_ZN7rocprim17ROCPRIM_400000_NS6detail17trampoline_kernelINS0_14default_configENS1_35radix_sort_onesweep_config_selectorIhNS0_10empty_typeEEEZZNS1_29radix_sort_onesweep_iterationIS3_Lb1EPhS8_PS5_S9_mNS0_19identity_decomposerENS1_16block_id_wrapperIjLb1EEEEE10hipError_tT1_PNSt15iterator_traitsISE_E10value_typeET2_T3_PNSF_ISK_E10value_typeET4_T5_PSP_SQ_PNS1_23onesweep_lookback_stateEbbT6_jjT7_P12ihipStream_tbENKUlT_T0_SE_SJ_E_clIS8_S8_S9_S9_EEDaSX_SY_SE_SJ_EUlSX_E_NS1_11comp_targetILNS1_3genE0ELNS1_11target_archE4294967295ELNS1_3gpuE0ELNS1_3repE0EEENS1_47radix_sort_onesweep_sort_config_static_selectorELNS0_4arch9wavefront6targetE1EEEvSE_
	.p2align	8
	.type	_ZN7rocprim17ROCPRIM_400000_NS6detail17trampoline_kernelINS0_14default_configENS1_35radix_sort_onesweep_config_selectorIhNS0_10empty_typeEEEZZNS1_29radix_sort_onesweep_iterationIS3_Lb1EPhS8_PS5_S9_mNS0_19identity_decomposerENS1_16block_id_wrapperIjLb1EEEEE10hipError_tT1_PNSt15iterator_traitsISE_E10value_typeET2_T3_PNSF_ISK_E10value_typeET4_T5_PSP_SQ_PNS1_23onesweep_lookback_stateEbbT6_jjT7_P12ihipStream_tbENKUlT_T0_SE_SJ_E_clIS8_S8_S9_S9_EEDaSX_SY_SE_SJ_EUlSX_E_NS1_11comp_targetILNS1_3genE0ELNS1_11target_archE4294967295ELNS1_3gpuE0ELNS1_3repE0EEENS1_47radix_sort_onesweep_sort_config_static_selectorELNS0_4arch9wavefront6targetE1EEEvSE_,@function
_ZN7rocprim17ROCPRIM_400000_NS6detail17trampoline_kernelINS0_14default_configENS1_35radix_sort_onesweep_config_selectorIhNS0_10empty_typeEEEZZNS1_29radix_sort_onesweep_iterationIS3_Lb1EPhS8_PS5_S9_mNS0_19identity_decomposerENS1_16block_id_wrapperIjLb1EEEEE10hipError_tT1_PNSt15iterator_traitsISE_E10value_typeET2_T3_PNSF_ISK_E10value_typeET4_T5_PSP_SQ_PNS1_23onesweep_lookback_stateEbbT6_jjT7_P12ihipStream_tbENKUlT_T0_SE_SJ_E_clIS8_S8_S9_S9_EEDaSX_SY_SE_SJ_EUlSX_E_NS1_11comp_targetILNS1_3genE0ELNS1_11target_archE4294967295ELNS1_3gpuE0ELNS1_3repE0EEENS1_47radix_sort_onesweep_sort_config_static_selectorELNS0_4arch9wavefront6targetE1EEEvSE_: ; @_ZN7rocprim17ROCPRIM_400000_NS6detail17trampoline_kernelINS0_14default_configENS1_35radix_sort_onesweep_config_selectorIhNS0_10empty_typeEEEZZNS1_29radix_sort_onesweep_iterationIS3_Lb1EPhS8_PS5_S9_mNS0_19identity_decomposerENS1_16block_id_wrapperIjLb1EEEEE10hipError_tT1_PNSt15iterator_traitsISE_E10value_typeET2_T3_PNSF_ISK_E10value_typeET4_T5_PSP_SQ_PNS1_23onesweep_lookback_stateEbbT6_jjT7_P12ihipStream_tbENKUlT_T0_SE_SJ_E_clIS8_S8_S9_S9_EEDaSX_SY_SE_SJ_EUlSX_E_NS1_11comp_targetILNS1_3genE0ELNS1_11target_archE4294967295ELNS1_3gpuE0ELNS1_3repE0EEENS1_47radix_sort_onesweep_sort_config_static_selectorELNS0_4arch9wavefront6targetE1EEEvSE_
; %bb.0:
	.section	.rodata,"a",@progbits
	.p2align	6, 0x0
	.amdhsa_kernel _ZN7rocprim17ROCPRIM_400000_NS6detail17trampoline_kernelINS0_14default_configENS1_35radix_sort_onesweep_config_selectorIhNS0_10empty_typeEEEZZNS1_29radix_sort_onesweep_iterationIS3_Lb1EPhS8_PS5_S9_mNS0_19identity_decomposerENS1_16block_id_wrapperIjLb1EEEEE10hipError_tT1_PNSt15iterator_traitsISE_E10value_typeET2_T3_PNSF_ISK_E10value_typeET4_T5_PSP_SQ_PNS1_23onesweep_lookback_stateEbbT6_jjT7_P12ihipStream_tbENKUlT_T0_SE_SJ_E_clIS8_S8_S9_S9_EEDaSX_SY_SE_SJ_EUlSX_E_NS1_11comp_targetILNS1_3genE0ELNS1_11target_archE4294967295ELNS1_3gpuE0ELNS1_3repE0EEENS1_47radix_sort_onesweep_sort_config_static_selectorELNS0_4arch9wavefront6targetE1EEEvSE_
		.amdhsa_group_segment_fixed_size 0
		.amdhsa_private_segment_fixed_size 0
		.amdhsa_kernarg_size 88
		.amdhsa_user_sgpr_count 6
		.amdhsa_user_sgpr_private_segment_buffer 1
		.amdhsa_user_sgpr_dispatch_ptr 0
		.amdhsa_user_sgpr_queue_ptr 0
		.amdhsa_user_sgpr_kernarg_segment_ptr 1
		.amdhsa_user_sgpr_dispatch_id 0
		.amdhsa_user_sgpr_flat_scratch_init 0
		.amdhsa_user_sgpr_kernarg_preload_length 0
		.amdhsa_user_sgpr_kernarg_preload_offset 0
		.amdhsa_user_sgpr_private_segment_size 0
		.amdhsa_uses_dynamic_stack 0
		.amdhsa_system_sgpr_private_segment_wavefront_offset 0
		.amdhsa_system_sgpr_workgroup_id_x 1
		.amdhsa_system_sgpr_workgroup_id_y 0
		.amdhsa_system_sgpr_workgroup_id_z 0
		.amdhsa_system_sgpr_workgroup_info 0
		.amdhsa_system_vgpr_workitem_id 0
		.amdhsa_next_free_vgpr 1
		.amdhsa_next_free_sgpr 0
		.amdhsa_accum_offset 4
		.amdhsa_reserve_vcc 0
		.amdhsa_reserve_flat_scratch 0
		.amdhsa_float_round_mode_32 0
		.amdhsa_float_round_mode_16_64 0
		.amdhsa_float_denorm_mode_32 3
		.amdhsa_float_denorm_mode_16_64 3
		.amdhsa_dx10_clamp 1
		.amdhsa_ieee_mode 1
		.amdhsa_fp16_overflow 0
		.amdhsa_tg_split 0
		.amdhsa_exception_fp_ieee_invalid_op 0
		.amdhsa_exception_fp_denorm_src 0
		.amdhsa_exception_fp_ieee_div_zero 0
		.amdhsa_exception_fp_ieee_overflow 0
		.amdhsa_exception_fp_ieee_underflow 0
		.amdhsa_exception_fp_ieee_inexact 0
		.amdhsa_exception_int_div_zero 0
	.end_amdhsa_kernel
	.section	.text._ZN7rocprim17ROCPRIM_400000_NS6detail17trampoline_kernelINS0_14default_configENS1_35radix_sort_onesweep_config_selectorIhNS0_10empty_typeEEEZZNS1_29radix_sort_onesweep_iterationIS3_Lb1EPhS8_PS5_S9_mNS0_19identity_decomposerENS1_16block_id_wrapperIjLb1EEEEE10hipError_tT1_PNSt15iterator_traitsISE_E10value_typeET2_T3_PNSF_ISK_E10value_typeET4_T5_PSP_SQ_PNS1_23onesweep_lookback_stateEbbT6_jjT7_P12ihipStream_tbENKUlT_T0_SE_SJ_E_clIS8_S8_S9_S9_EEDaSX_SY_SE_SJ_EUlSX_E_NS1_11comp_targetILNS1_3genE0ELNS1_11target_archE4294967295ELNS1_3gpuE0ELNS1_3repE0EEENS1_47radix_sort_onesweep_sort_config_static_selectorELNS0_4arch9wavefront6targetE1EEEvSE_,"axG",@progbits,_ZN7rocprim17ROCPRIM_400000_NS6detail17trampoline_kernelINS0_14default_configENS1_35radix_sort_onesweep_config_selectorIhNS0_10empty_typeEEEZZNS1_29radix_sort_onesweep_iterationIS3_Lb1EPhS8_PS5_S9_mNS0_19identity_decomposerENS1_16block_id_wrapperIjLb1EEEEE10hipError_tT1_PNSt15iterator_traitsISE_E10value_typeET2_T3_PNSF_ISK_E10value_typeET4_T5_PSP_SQ_PNS1_23onesweep_lookback_stateEbbT6_jjT7_P12ihipStream_tbENKUlT_T0_SE_SJ_E_clIS8_S8_S9_S9_EEDaSX_SY_SE_SJ_EUlSX_E_NS1_11comp_targetILNS1_3genE0ELNS1_11target_archE4294967295ELNS1_3gpuE0ELNS1_3repE0EEENS1_47radix_sort_onesweep_sort_config_static_selectorELNS0_4arch9wavefront6targetE1EEEvSE_,comdat
.Lfunc_end1733:
	.size	_ZN7rocprim17ROCPRIM_400000_NS6detail17trampoline_kernelINS0_14default_configENS1_35radix_sort_onesweep_config_selectorIhNS0_10empty_typeEEEZZNS1_29radix_sort_onesweep_iterationIS3_Lb1EPhS8_PS5_S9_mNS0_19identity_decomposerENS1_16block_id_wrapperIjLb1EEEEE10hipError_tT1_PNSt15iterator_traitsISE_E10value_typeET2_T3_PNSF_ISK_E10value_typeET4_T5_PSP_SQ_PNS1_23onesweep_lookback_stateEbbT6_jjT7_P12ihipStream_tbENKUlT_T0_SE_SJ_E_clIS8_S8_S9_S9_EEDaSX_SY_SE_SJ_EUlSX_E_NS1_11comp_targetILNS1_3genE0ELNS1_11target_archE4294967295ELNS1_3gpuE0ELNS1_3repE0EEENS1_47radix_sort_onesweep_sort_config_static_selectorELNS0_4arch9wavefront6targetE1EEEvSE_, .Lfunc_end1733-_ZN7rocprim17ROCPRIM_400000_NS6detail17trampoline_kernelINS0_14default_configENS1_35radix_sort_onesweep_config_selectorIhNS0_10empty_typeEEEZZNS1_29radix_sort_onesweep_iterationIS3_Lb1EPhS8_PS5_S9_mNS0_19identity_decomposerENS1_16block_id_wrapperIjLb1EEEEE10hipError_tT1_PNSt15iterator_traitsISE_E10value_typeET2_T3_PNSF_ISK_E10value_typeET4_T5_PSP_SQ_PNS1_23onesweep_lookback_stateEbbT6_jjT7_P12ihipStream_tbENKUlT_T0_SE_SJ_E_clIS8_S8_S9_S9_EEDaSX_SY_SE_SJ_EUlSX_E_NS1_11comp_targetILNS1_3genE0ELNS1_11target_archE4294967295ELNS1_3gpuE0ELNS1_3repE0EEENS1_47radix_sort_onesweep_sort_config_static_selectorELNS0_4arch9wavefront6targetE1EEEvSE_
                                        ; -- End function
	.section	.AMDGPU.csdata,"",@progbits
; Kernel info:
; codeLenInByte = 0
; NumSgprs: 4
; NumVgprs: 0
; NumAgprs: 0
; TotalNumVgprs: 0
; ScratchSize: 0
; MemoryBound: 0
; FloatMode: 240
; IeeeMode: 1
; LDSByteSize: 0 bytes/workgroup (compile time only)
; SGPRBlocks: 0
; VGPRBlocks: 0
; NumSGPRsForWavesPerEU: 4
; NumVGPRsForWavesPerEU: 1
; AccumOffset: 4
; Occupancy: 8
; WaveLimiterHint : 0
; COMPUTE_PGM_RSRC2:SCRATCH_EN: 0
; COMPUTE_PGM_RSRC2:USER_SGPR: 6
; COMPUTE_PGM_RSRC2:TRAP_HANDLER: 0
; COMPUTE_PGM_RSRC2:TGID_X_EN: 1
; COMPUTE_PGM_RSRC2:TGID_Y_EN: 0
; COMPUTE_PGM_RSRC2:TGID_Z_EN: 0
; COMPUTE_PGM_RSRC2:TIDIG_COMP_CNT: 0
; COMPUTE_PGM_RSRC3_GFX90A:ACCUM_OFFSET: 0
; COMPUTE_PGM_RSRC3_GFX90A:TG_SPLIT: 0
	.section	.text._ZN7rocprim17ROCPRIM_400000_NS6detail17trampoline_kernelINS0_14default_configENS1_35radix_sort_onesweep_config_selectorIhNS0_10empty_typeEEEZZNS1_29radix_sort_onesweep_iterationIS3_Lb1EPhS8_PS5_S9_mNS0_19identity_decomposerENS1_16block_id_wrapperIjLb1EEEEE10hipError_tT1_PNSt15iterator_traitsISE_E10value_typeET2_T3_PNSF_ISK_E10value_typeET4_T5_PSP_SQ_PNS1_23onesweep_lookback_stateEbbT6_jjT7_P12ihipStream_tbENKUlT_T0_SE_SJ_E_clIS8_S8_S9_S9_EEDaSX_SY_SE_SJ_EUlSX_E_NS1_11comp_targetILNS1_3genE6ELNS1_11target_archE950ELNS1_3gpuE13ELNS1_3repE0EEENS1_47radix_sort_onesweep_sort_config_static_selectorELNS0_4arch9wavefront6targetE1EEEvSE_,"axG",@progbits,_ZN7rocprim17ROCPRIM_400000_NS6detail17trampoline_kernelINS0_14default_configENS1_35radix_sort_onesweep_config_selectorIhNS0_10empty_typeEEEZZNS1_29radix_sort_onesweep_iterationIS3_Lb1EPhS8_PS5_S9_mNS0_19identity_decomposerENS1_16block_id_wrapperIjLb1EEEEE10hipError_tT1_PNSt15iterator_traitsISE_E10value_typeET2_T3_PNSF_ISK_E10value_typeET4_T5_PSP_SQ_PNS1_23onesweep_lookback_stateEbbT6_jjT7_P12ihipStream_tbENKUlT_T0_SE_SJ_E_clIS8_S8_S9_S9_EEDaSX_SY_SE_SJ_EUlSX_E_NS1_11comp_targetILNS1_3genE6ELNS1_11target_archE950ELNS1_3gpuE13ELNS1_3repE0EEENS1_47radix_sort_onesweep_sort_config_static_selectorELNS0_4arch9wavefront6targetE1EEEvSE_,comdat
	.protected	_ZN7rocprim17ROCPRIM_400000_NS6detail17trampoline_kernelINS0_14default_configENS1_35radix_sort_onesweep_config_selectorIhNS0_10empty_typeEEEZZNS1_29radix_sort_onesweep_iterationIS3_Lb1EPhS8_PS5_S9_mNS0_19identity_decomposerENS1_16block_id_wrapperIjLb1EEEEE10hipError_tT1_PNSt15iterator_traitsISE_E10value_typeET2_T3_PNSF_ISK_E10value_typeET4_T5_PSP_SQ_PNS1_23onesweep_lookback_stateEbbT6_jjT7_P12ihipStream_tbENKUlT_T0_SE_SJ_E_clIS8_S8_S9_S9_EEDaSX_SY_SE_SJ_EUlSX_E_NS1_11comp_targetILNS1_3genE6ELNS1_11target_archE950ELNS1_3gpuE13ELNS1_3repE0EEENS1_47radix_sort_onesweep_sort_config_static_selectorELNS0_4arch9wavefront6targetE1EEEvSE_ ; -- Begin function _ZN7rocprim17ROCPRIM_400000_NS6detail17trampoline_kernelINS0_14default_configENS1_35radix_sort_onesweep_config_selectorIhNS0_10empty_typeEEEZZNS1_29radix_sort_onesweep_iterationIS3_Lb1EPhS8_PS5_S9_mNS0_19identity_decomposerENS1_16block_id_wrapperIjLb1EEEEE10hipError_tT1_PNSt15iterator_traitsISE_E10value_typeET2_T3_PNSF_ISK_E10value_typeET4_T5_PSP_SQ_PNS1_23onesweep_lookback_stateEbbT6_jjT7_P12ihipStream_tbENKUlT_T0_SE_SJ_E_clIS8_S8_S9_S9_EEDaSX_SY_SE_SJ_EUlSX_E_NS1_11comp_targetILNS1_3genE6ELNS1_11target_archE950ELNS1_3gpuE13ELNS1_3repE0EEENS1_47radix_sort_onesweep_sort_config_static_selectorELNS0_4arch9wavefront6targetE1EEEvSE_
	.globl	_ZN7rocprim17ROCPRIM_400000_NS6detail17trampoline_kernelINS0_14default_configENS1_35radix_sort_onesweep_config_selectorIhNS0_10empty_typeEEEZZNS1_29radix_sort_onesweep_iterationIS3_Lb1EPhS8_PS5_S9_mNS0_19identity_decomposerENS1_16block_id_wrapperIjLb1EEEEE10hipError_tT1_PNSt15iterator_traitsISE_E10value_typeET2_T3_PNSF_ISK_E10value_typeET4_T5_PSP_SQ_PNS1_23onesweep_lookback_stateEbbT6_jjT7_P12ihipStream_tbENKUlT_T0_SE_SJ_E_clIS8_S8_S9_S9_EEDaSX_SY_SE_SJ_EUlSX_E_NS1_11comp_targetILNS1_3genE6ELNS1_11target_archE950ELNS1_3gpuE13ELNS1_3repE0EEENS1_47radix_sort_onesweep_sort_config_static_selectorELNS0_4arch9wavefront6targetE1EEEvSE_
	.p2align	8
	.type	_ZN7rocprim17ROCPRIM_400000_NS6detail17trampoline_kernelINS0_14default_configENS1_35radix_sort_onesweep_config_selectorIhNS0_10empty_typeEEEZZNS1_29radix_sort_onesweep_iterationIS3_Lb1EPhS8_PS5_S9_mNS0_19identity_decomposerENS1_16block_id_wrapperIjLb1EEEEE10hipError_tT1_PNSt15iterator_traitsISE_E10value_typeET2_T3_PNSF_ISK_E10value_typeET4_T5_PSP_SQ_PNS1_23onesweep_lookback_stateEbbT6_jjT7_P12ihipStream_tbENKUlT_T0_SE_SJ_E_clIS8_S8_S9_S9_EEDaSX_SY_SE_SJ_EUlSX_E_NS1_11comp_targetILNS1_3genE6ELNS1_11target_archE950ELNS1_3gpuE13ELNS1_3repE0EEENS1_47radix_sort_onesweep_sort_config_static_selectorELNS0_4arch9wavefront6targetE1EEEvSE_,@function
_ZN7rocprim17ROCPRIM_400000_NS6detail17trampoline_kernelINS0_14default_configENS1_35radix_sort_onesweep_config_selectorIhNS0_10empty_typeEEEZZNS1_29radix_sort_onesweep_iterationIS3_Lb1EPhS8_PS5_S9_mNS0_19identity_decomposerENS1_16block_id_wrapperIjLb1EEEEE10hipError_tT1_PNSt15iterator_traitsISE_E10value_typeET2_T3_PNSF_ISK_E10value_typeET4_T5_PSP_SQ_PNS1_23onesweep_lookback_stateEbbT6_jjT7_P12ihipStream_tbENKUlT_T0_SE_SJ_E_clIS8_S8_S9_S9_EEDaSX_SY_SE_SJ_EUlSX_E_NS1_11comp_targetILNS1_3genE6ELNS1_11target_archE950ELNS1_3gpuE13ELNS1_3repE0EEENS1_47radix_sort_onesweep_sort_config_static_selectorELNS0_4arch9wavefront6targetE1EEEvSE_: ; @_ZN7rocprim17ROCPRIM_400000_NS6detail17trampoline_kernelINS0_14default_configENS1_35radix_sort_onesweep_config_selectorIhNS0_10empty_typeEEEZZNS1_29radix_sort_onesweep_iterationIS3_Lb1EPhS8_PS5_S9_mNS0_19identity_decomposerENS1_16block_id_wrapperIjLb1EEEEE10hipError_tT1_PNSt15iterator_traitsISE_E10value_typeET2_T3_PNSF_ISK_E10value_typeET4_T5_PSP_SQ_PNS1_23onesweep_lookback_stateEbbT6_jjT7_P12ihipStream_tbENKUlT_T0_SE_SJ_E_clIS8_S8_S9_S9_EEDaSX_SY_SE_SJ_EUlSX_E_NS1_11comp_targetILNS1_3genE6ELNS1_11target_archE950ELNS1_3gpuE13ELNS1_3repE0EEENS1_47radix_sort_onesweep_sort_config_static_selectorELNS0_4arch9wavefront6targetE1EEEvSE_
; %bb.0:
	.section	.rodata,"a",@progbits
	.p2align	6, 0x0
	.amdhsa_kernel _ZN7rocprim17ROCPRIM_400000_NS6detail17trampoline_kernelINS0_14default_configENS1_35radix_sort_onesweep_config_selectorIhNS0_10empty_typeEEEZZNS1_29radix_sort_onesweep_iterationIS3_Lb1EPhS8_PS5_S9_mNS0_19identity_decomposerENS1_16block_id_wrapperIjLb1EEEEE10hipError_tT1_PNSt15iterator_traitsISE_E10value_typeET2_T3_PNSF_ISK_E10value_typeET4_T5_PSP_SQ_PNS1_23onesweep_lookback_stateEbbT6_jjT7_P12ihipStream_tbENKUlT_T0_SE_SJ_E_clIS8_S8_S9_S9_EEDaSX_SY_SE_SJ_EUlSX_E_NS1_11comp_targetILNS1_3genE6ELNS1_11target_archE950ELNS1_3gpuE13ELNS1_3repE0EEENS1_47radix_sort_onesweep_sort_config_static_selectorELNS0_4arch9wavefront6targetE1EEEvSE_
		.amdhsa_group_segment_fixed_size 0
		.amdhsa_private_segment_fixed_size 0
		.amdhsa_kernarg_size 88
		.amdhsa_user_sgpr_count 6
		.amdhsa_user_sgpr_private_segment_buffer 1
		.amdhsa_user_sgpr_dispatch_ptr 0
		.amdhsa_user_sgpr_queue_ptr 0
		.amdhsa_user_sgpr_kernarg_segment_ptr 1
		.amdhsa_user_sgpr_dispatch_id 0
		.amdhsa_user_sgpr_flat_scratch_init 0
		.amdhsa_user_sgpr_kernarg_preload_length 0
		.amdhsa_user_sgpr_kernarg_preload_offset 0
		.amdhsa_user_sgpr_private_segment_size 0
		.amdhsa_uses_dynamic_stack 0
		.amdhsa_system_sgpr_private_segment_wavefront_offset 0
		.amdhsa_system_sgpr_workgroup_id_x 1
		.amdhsa_system_sgpr_workgroup_id_y 0
		.amdhsa_system_sgpr_workgroup_id_z 0
		.amdhsa_system_sgpr_workgroup_info 0
		.amdhsa_system_vgpr_workitem_id 0
		.amdhsa_next_free_vgpr 1
		.amdhsa_next_free_sgpr 0
		.amdhsa_accum_offset 4
		.amdhsa_reserve_vcc 0
		.amdhsa_reserve_flat_scratch 0
		.amdhsa_float_round_mode_32 0
		.amdhsa_float_round_mode_16_64 0
		.amdhsa_float_denorm_mode_32 3
		.amdhsa_float_denorm_mode_16_64 3
		.amdhsa_dx10_clamp 1
		.amdhsa_ieee_mode 1
		.amdhsa_fp16_overflow 0
		.amdhsa_tg_split 0
		.amdhsa_exception_fp_ieee_invalid_op 0
		.amdhsa_exception_fp_denorm_src 0
		.amdhsa_exception_fp_ieee_div_zero 0
		.amdhsa_exception_fp_ieee_overflow 0
		.amdhsa_exception_fp_ieee_underflow 0
		.amdhsa_exception_fp_ieee_inexact 0
		.amdhsa_exception_int_div_zero 0
	.end_amdhsa_kernel
	.section	.text._ZN7rocprim17ROCPRIM_400000_NS6detail17trampoline_kernelINS0_14default_configENS1_35radix_sort_onesweep_config_selectorIhNS0_10empty_typeEEEZZNS1_29radix_sort_onesweep_iterationIS3_Lb1EPhS8_PS5_S9_mNS0_19identity_decomposerENS1_16block_id_wrapperIjLb1EEEEE10hipError_tT1_PNSt15iterator_traitsISE_E10value_typeET2_T3_PNSF_ISK_E10value_typeET4_T5_PSP_SQ_PNS1_23onesweep_lookback_stateEbbT6_jjT7_P12ihipStream_tbENKUlT_T0_SE_SJ_E_clIS8_S8_S9_S9_EEDaSX_SY_SE_SJ_EUlSX_E_NS1_11comp_targetILNS1_3genE6ELNS1_11target_archE950ELNS1_3gpuE13ELNS1_3repE0EEENS1_47radix_sort_onesweep_sort_config_static_selectorELNS0_4arch9wavefront6targetE1EEEvSE_,"axG",@progbits,_ZN7rocprim17ROCPRIM_400000_NS6detail17trampoline_kernelINS0_14default_configENS1_35radix_sort_onesweep_config_selectorIhNS0_10empty_typeEEEZZNS1_29radix_sort_onesweep_iterationIS3_Lb1EPhS8_PS5_S9_mNS0_19identity_decomposerENS1_16block_id_wrapperIjLb1EEEEE10hipError_tT1_PNSt15iterator_traitsISE_E10value_typeET2_T3_PNSF_ISK_E10value_typeET4_T5_PSP_SQ_PNS1_23onesweep_lookback_stateEbbT6_jjT7_P12ihipStream_tbENKUlT_T0_SE_SJ_E_clIS8_S8_S9_S9_EEDaSX_SY_SE_SJ_EUlSX_E_NS1_11comp_targetILNS1_3genE6ELNS1_11target_archE950ELNS1_3gpuE13ELNS1_3repE0EEENS1_47radix_sort_onesweep_sort_config_static_selectorELNS0_4arch9wavefront6targetE1EEEvSE_,comdat
.Lfunc_end1734:
	.size	_ZN7rocprim17ROCPRIM_400000_NS6detail17trampoline_kernelINS0_14default_configENS1_35radix_sort_onesweep_config_selectorIhNS0_10empty_typeEEEZZNS1_29radix_sort_onesweep_iterationIS3_Lb1EPhS8_PS5_S9_mNS0_19identity_decomposerENS1_16block_id_wrapperIjLb1EEEEE10hipError_tT1_PNSt15iterator_traitsISE_E10value_typeET2_T3_PNSF_ISK_E10value_typeET4_T5_PSP_SQ_PNS1_23onesweep_lookback_stateEbbT6_jjT7_P12ihipStream_tbENKUlT_T0_SE_SJ_E_clIS8_S8_S9_S9_EEDaSX_SY_SE_SJ_EUlSX_E_NS1_11comp_targetILNS1_3genE6ELNS1_11target_archE950ELNS1_3gpuE13ELNS1_3repE0EEENS1_47radix_sort_onesweep_sort_config_static_selectorELNS0_4arch9wavefront6targetE1EEEvSE_, .Lfunc_end1734-_ZN7rocprim17ROCPRIM_400000_NS6detail17trampoline_kernelINS0_14default_configENS1_35radix_sort_onesweep_config_selectorIhNS0_10empty_typeEEEZZNS1_29radix_sort_onesweep_iterationIS3_Lb1EPhS8_PS5_S9_mNS0_19identity_decomposerENS1_16block_id_wrapperIjLb1EEEEE10hipError_tT1_PNSt15iterator_traitsISE_E10value_typeET2_T3_PNSF_ISK_E10value_typeET4_T5_PSP_SQ_PNS1_23onesweep_lookback_stateEbbT6_jjT7_P12ihipStream_tbENKUlT_T0_SE_SJ_E_clIS8_S8_S9_S9_EEDaSX_SY_SE_SJ_EUlSX_E_NS1_11comp_targetILNS1_3genE6ELNS1_11target_archE950ELNS1_3gpuE13ELNS1_3repE0EEENS1_47radix_sort_onesweep_sort_config_static_selectorELNS0_4arch9wavefront6targetE1EEEvSE_
                                        ; -- End function
	.section	.AMDGPU.csdata,"",@progbits
; Kernel info:
; codeLenInByte = 0
; NumSgprs: 4
; NumVgprs: 0
; NumAgprs: 0
; TotalNumVgprs: 0
; ScratchSize: 0
; MemoryBound: 0
; FloatMode: 240
; IeeeMode: 1
; LDSByteSize: 0 bytes/workgroup (compile time only)
; SGPRBlocks: 0
; VGPRBlocks: 0
; NumSGPRsForWavesPerEU: 4
; NumVGPRsForWavesPerEU: 1
; AccumOffset: 4
; Occupancy: 8
; WaveLimiterHint : 0
; COMPUTE_PGM_RSRC2:SCRATCH_EN: 0
; COMPUTE_PGM_RSRC2:USER_SGPR: 6
; COMPUTE_PGM_RSRC2:TRAP_HANDLER: 0
; COMPUTE_PGM_RSRC2:TGID_X_EN: 1
; COMPUTE_PGM_RSRC2:TGID_Y_EN: 0
; COMPUTE_PGM_RSRC2:TGID_Z_EN: 0
; COMPUTE_PGM_RSRC2:TIDIG_COMP_CNT: 0
; COMPUTE_PGM_RSRC3_GFX90A:ACCUM_OFFSET: 0
; COMPUTE_PGM_RSRC3_GFX90A:TG_SPLIT: 0
	.section	.text._ZN7rocprim17ROCPRIM_400000_NS6detail17trampoline_kernelINS0_14default_configENS1_35radix_sort_onesweep_config_selectorIhNS0_10empty_typeEEEZZNS1_29radix_sort_onesweep_iterationIS3_Lb1EPhS8_PS5_S9_mNS0_19identity_decomposerENS1_16block_id_wrapperIjLb1EEEEE10hipError_tT1_PNSt15iterator_traitsISE_E10value_typeET2_T3_PNSF_ISK_E10value_typeET4_T5_PSP_SQ_PNS1_23onesweep_lookback_stateEbbT6_jjT7_P12ihipStream_tbENKUlT_T0_SE_SJ_E_clIS8_S8_S9_S9_EEDaSX_SY_SE_SJ_EUlSX_E_NS1_11comp_targetILNS1_3genE5ELNS1_11target_archE942ELNS1_3gpuE9ELNS1_3repE0EEENS1_47radix_sort_onesweep_sort_config_static_selectorELNS0_4arch9wavefront6targetE1EEEvSE_,"axG",@progbits,_ZN7rocprim17ROCPRIM_400000_NS6detail17trampoline_kernelINS0_14default_configENS1_35radix_sort_onesweep_config_selectorIhNS0_10empty_typeEEEZZNS1_29radix_sort_onesweep_iterationIS3_Lb1EPhS8_PS5_S9_mNS0_19identity_decomposerENS1_16block_id_wrapperIjLb1EEEEE10hipError_tT1_PNSt15iterator_traitsISE_E10value_typeET2_T3_PNSF_ISK_E10value_typeET4_T5_PSP_SQ_PNS1_23onesweep_lookback_stateEbbT6_jjT7_P12ihipStream_tbENKUlT_T0_SE_SJ_E_clIS8_S8_S9_S9_EEDaSX_SY_SE_SJ_EUlSX_E_NS1_11comp_targetILNS1_3genE5ELNS1_11target_archE942ELNS1_3gpuE9ELNS1_3repE0EEENS1_47radix_sort_onesweep_sort_config_static_selectorELNS0_4arch9wavefront6targetE1EEEvSE_,comdat
	.protected	_ZN7rocprim17ROCPRIM_400000_NS6detail17trampoline_kernelINS0_14default_configENS1_35radix_sort_onesweep_config_selectorIhNS0_10empty_typeEEEZZNS1_29radix_sort_onesweep_iterationIS3_Lb1EPhS8_PS5_S9_mNS0_19identity_decomposerENS1_16block_id_wrapperIjLb1EEEEE10hipError_tT1_PNSt15iterator_traitsISE_E10value_typeET2_T3_PNSF_ISK_E10value_typeET4_T5_PSP_SQ_PNS1_23onesweep_lookback_stateEbbT6_jjT7_P12ihipStream_tbENKUlT_T0_SE_SJ_E_clIS8_S8_S9_S9_EEDaSX_SY_SE_SJ_EUlSX_E_NS1_11comp_targetILNS1_3genE5ELNS1_11target_archE942ELNS1_3gpuE9ELNS1_3repE0EEENS1_47radix_sort_onesweep_sort_config_static_selectorELNS0_4arch9wavefront6targetE1EEEvSE_ ; -- Begin function _ZN7rocprim17ROCPRIM_400000_NS6detail17trampoline_kernelINS0_14default_configENS1_35radix_sort_onesweep_config_selectorIhNS0_10empty_typeEEEZZNS1_29radix_sort_onesweep_iterationIS3_Lb1EPhS8_PS5_S9_mNS0_19identity_decomposerENS1_16block_id_wrapperIjLb1EEEEE10hipError_tT1_PNSt15iterator_traitsISE_E10value_typeET2_T3_PNSF_ISK_E10value_typeET4_T5_PSP_SQ_PNS1_23onesweep_lookback_stateEbbT6_jjT7_P12ihipStream_tbENKUlT_T0_SE_SJ_E_clIS8_S8_S9_S9_EEDaSX_SY_SE_SJ_EUlSX_E_NS1_11comp_targetILNS1_3genE5ELNS1_11target_archE942ELNS1_3gpuE9ELNS1_3repE0EEENS1_47radix_sort_onesweep_sort_config_static_selectorELNS0_4arch9wavefront6targetE1EEEvSE_
	.globl	_ZN7rocprim17ROCPRIM_400000_NS6detail17trampoline_kernelINS0_14default_configENS1_35radix_sort_onesweep_config_selectorIhNS0_10empty_typeEEEZZNS1_29radix_sort_onesweep_iterationIS3_Lb1EPhS8_PS5_S9_mNS0_19identity_decomposerENS1_16block_id_wrapperIjLb1EEEEE10hipError_tT1_PNSt15iterator_traitsISE_E10value_typeET2_T3_PNSF_ISK_E10value_typeET4_T5_PSP_SQ_PNS1_23onesweep_lookback_stateEbbT6_jjT7_P12ihipStream_tbENKUlT_T0_SE_SJ_E_clIS8_S8_S9_S9_EEDaSX_SY_SE_SJ_EUlSX_E_NS1_11comp_targetILNS1_3genE5ELNS1_11target_archE942ELNS1_3gpuE9ELNS1_3repE0EEENS1_47radix_sort_onesweep_sort_config_static_selectorELNS0_4arch9wavefront6targetE1EEEvSE_
	.p2align	8
	.type	_ZN7rocprim17ROCPRIM_400000_NS6detail17trampoline_kernelINS0_14default_configENS1_35radix_sort_onesweep_config_selectorIhNS0_10empty_typeEEEZZNS1_29radix_sort_onesweep_iterationIS3_Lb1EPhS8_PS5_S9_mNS0_19identity_decomposerENS1_16block_id_wrapperIjLb1EEEEE10hipError_tT1_PNSt15iterator_traitsISE_E10value_typeET2_T3_PNSF_ISK_E10value_typeET4_T5_PSP_SQ_PNS1_23onesweep_lookback_stateEbbT6_jjT7_P12ihipStream_tbENKUlT_T0_SE_SJ_E_clIS8_S8_S9_S9_EEDaSX_SY_SE_SJ_EUlSX_E_NS1_11comp_targetILNS1_3genE5ELNS1_11target_archE942ELNS1_3gpuE9ELNS1_3repE0EEENS1_47radix_sort_onesweep_sort_config_static_selectorELNS0_4arch9wavefront6targetE1EEEvSE_,@function
_ZN7rocprim17ROCPRIM_400000_NS6detail17trampoline_kernelINS0_14default_configENS1_35radix_sort_onesweep_config_selectorIhNS0_10empty_typeEEEZZNS1_29radix_sort_onesweep_iterationIS3_Lb1EPhS8_PS5_S9_mNS0_19identity_decomposerENS1_16block_id_wrapperIjLb1EEEEE10hipError_tT1_PNSt15iterator_traitsISE_E10value_typeET2_T3_PNSF_ISK_E10value_typeET4_T5_PSP_SQ_PNS1_23onesweep_lookback_stateEbbT6_jjT7_P12ihipStream_tbENKUlT_T0_SE_SJ_E_clIS8_S8_S9_S9_EEDaSX_SY_SE_SJ_EUlSX_E_NS1_11comp_targetILNS1_3genE5ELNS1_11target_archE942ELNS1_3gpuE9ELNS1_3repE0EEENS1_47radix_sort_onesweep_sort_config_static_selectorELNS0_4arch9wavefront6targetE1EEEvSE_: ; @_ZN7rocprim17ROCPRIM_400000_NS6detail17trampoline_kernelINS0_14default_configENS1_35radix_sort_onesweep_config_selectorIhNS0_10empty_typeEEEZZNS1_29radix_sort_onesweep_iterationIS3_Lb1EPhS8_PS5_S9_mNS0_19identity_decomposerENS1_16block_id_wrapperIjLb1EEEEE10hipError_tT1_PNSt15iterator_traitsISE_E10value_typeET2_T3_PNSF_ISK_E10value_typeET4_T5_PSP_SQ_PNS1_23onesweep_lookback_stateEbbT6_jjT7_P12ihipStream_tbENKUlT_T0_SE_SJ_E_clIS8_S8_S9_S9_EEDaSX_SY_SE_SJ_EUlSX_E_NS1_11comp_targetILNS1_3genE5ELNS1_11target_archE942ELNS1_3gpuE9ELNS1_3repE0EEENS1_47radix_sort_onesweep_sort_config_static_selectorELNS0_4arch9wavefront6targetE1EEEvSE_
; %bb.0:
	.section	.rodata,"a",@progbits
	.p2align	6, 0x0
	.amdhsa_kernel _ZN7rocprim17ROCPRIM_400000_NS6detail17trampoline_kernelINS0_14default_configENS1_35radix_sort_onesweep_config_selectorIhNS0_10empty_typeEEEZZNS1_29radix_sort_onesweep_iterationIS3_Lb1EPhS8_PS5_S9_mNS0_19identity_decomposerENS1_16block_id_wrapperIjLb1EEEEE10hipError_tT1_PNSt15iterator_traitsISE_E10value_typeET2_T3_PNSF_ISK_E10value_typeET4_T5_PSP_SQ_PNS1_23onesweep_lookback_stateEbbT6_jjT7_P12ihipStream_tbENKUlT_T0_SE_SJ_E_clIS8_S8_S9_S9_EEDaSX_SY_SE_SJ_EUlSX_E_NS1_11comp_targetILNS1_3genE5ELNS1_11target_archE942ELNS1_3gpuE9ELNS1_3repE0EEENS1_47radix_sort_onesweep_sort_config_static_selectorELNS0_4arch9wavefront6targetE1EEEvSE_
		.amdhsa_group_segment_fixed_size 0
		.amdhsa_private_segment_fixed_size 0
		.amdhsa_kernarg_size 88
		.amdhsa_user_sgpr_count 6
		.amdhsa_user_sgpr_private_segment_buffer 1
		.amdhsa_user_sgpr_dispatch_ptr 0
		.amdhsa_user_sgpr_queue_ptr 0
		.amdhsa_user_sgpr_kernarg_segment_ptr 1
		.amdhsa_user_sgpr_dispatch_id 0
		.amdhsa_user_sgpr_flat_scratch_init 0
		.amdhsa_user_sgpr_kernarg_preload_length 0
		.amdhsa_user_sgpr_kernarg_preload_offset 0
		.amdhsa_user_sgpr_private_segment_size 0
		.amdhsa_uses_dynamic_stack 0
		.amdhsa_system_sgpr_private_segment_wavefront_offset 0
		.amdhsa_system_sgpr_workgroup_id_x 1
		.amdhsa_system_sgpr_workgroup_id_y 0
		.amdhsa_system_sgpr_workgroup_id_z 0
		.amdhsa_system_sgpr_workgroup_info 0
		.amdhsa_system_vgpr_workitem_id 0
		.amdhsa_next_free_vgpr 1
		.amdhsa_next_free_sgpr 0
		.amdhsa_accum_offset 4
		.amdhsa_reserve_vcc 0
		.amdhsa_reserve_flat_scratch 0
		.amdhsa_float_round_mode_32 0
		.amdhsa_float_round_mode_16_64 0
		.amdhsa_float_denorm_mode_32 3
		.amdhsa_float_denorm_mode_16_64 3
		.amdhsa_dx10_clamp 1
		.amdhsa_ieee_mode 1
		.amdhsa_fp16_overflow 0
		.amdhsa_tg_split 0
		.amdhsa_exception_fp_ieee_invalid_op 0
		.amdhsa_exception_fp_denorm_src 0
		.amdhsa_exception_fp_ieee_div_zero 0
		.amdhsa_exception_fp_ieee_overflow 0
		.amdhsa_exception_fp_ieee_underflow 0
		.amdhsa_exception_fp_ieee_inexact 0
		.amdhsa_exception_int_div_zero 0
	.end_amdhsa_kernel
	.section	.text._ZN7rocprim17ROCPRIM_400000_NS6detail17trampoline_kernelINS0_14default_configENS1_35radix_sort_onesweep_config_selectorIhNS0_10empty_typeEEEZZNS1_29radix_sort_onesweep_iterationIS3_Lb1EPhS8_PS5_S9_mNS0_19identity_decomposerENS1_16block_id_wrapperIjLb1EEEEE10hipError_tT1_PNSt15iterator_traitsISE_E10value_typeET2_T3_PNSF_ISK_E10value_typeET4_T5_PSP_SQ_PNS1_23onesweep_lookback_stateEbbT6_jjT7_P12ihipStream_tbENKUlT_T0_SE_SJ_E_clIS8_S8_S9_S9_EEDaSX_SY_SE_SJ_EUlSX_E_NS1_11comp_targetILNS1_3genE5ELNS1_11target_archE942ELNS1_3gpuE9ELNS1_3repE0EEENS1_47radix_sort_onesweep_sort_config_static_selectorELNS0_4arch9wavefront6targetE1EEEvSE_,"axG",@progbits,_ZN7rocprim17ROCPRIM_400000_NS6detail17trampoline_kernelINS0_14default_configENS1_35radix_sort_onesweep_config_selectorIhNS0_10empty_typeEEEZZNS1_29radix_sort_onesweep_iterationIS3_Lb1EPhS8_PS5_S9_mNS0_19identity_decomposerENS1_16block_id_wrapperIjLb1EEEEE10hipError_tT1_PNSt15iterator_traitsISE_E10value_typeET2_T3_PNSF_ISK_E10value_typeET4_T5_PSP_SQ_PNS1_23onesweep_lookback_stateEbbT6_jjT7_P12ihipStream_tbENKUlT_T0_SE_SJ_E_clIS8_S8_S9_S9_EEDaSX_SY_SE_SJ_EUlSX_E_NS1_11comp_targetILNS1_3genE5ELNS1_11target_archE942ELNS1_3gpuE9ELNS1_3repE0EEENS1_47radix_sort_onesweep_sort_config_static_selectorELNS0_4arch9wavefront6targetE1EEEvSE_,comdat
.Lfunc_end1735:
	.size	_ZN7rocprim17ROCPRIM_400000_NS6detail17trampoline_kernelINS0_14default_configENS1_35radix_sort_onesweep_config_selectorIhNS0_10empty_typeEEEZZNS1_29radix_sort_onesweep_iterationIS3_Lb1EPhS8_PS5_S9_mNS0_19identity_decomposerENS1_16block_id_wrapperIjLb1EEEEE10hipError_tT1_PNSt15iterator_traitsISE_E10value_typeET2_T3_PNSF_ISK_E10value_typeET4_T5_PSP_SQ_PNS1_23onesweep_lookback_stateEbbT6_jjT7_P12ihipStream_tbENKUlT_T0_SE_SJ_E_clIS8_S8_S9_S9_EEDaSX_SY_SE_SJ_EUlSX_E_NS1_11comp_targetILNS1_3genE5ELNS1_11target_archE942ELNS1_3gpuE9ELNS1_3repE0EEENS1_47radix_sort_onesweep_sort_config_static_selectorELNS0_4arch9wavefront6targetE1EEEvSE_, .Lfunc_end1735-_ZN7rocprim17ROCPRIM_400000_NS6detail17trampoline_kernelINS0_14default_configENS1_35radix_sort_onesweep_config_selectorIhNS0_10empty_typeEEEZZNS1_29radix_sort_onesweep_iterationIS3_Lb1EPhS8_PS5_S9_mNS0_19identity_decomposerENS1_16block_id_wrapperIjLb1EEEEE10hipError_tT1_PNSt15iterator_traitsISE_E10value_typeET2_T3_PNSF_ISK_E10value_typeET4_T5_PSP_SQ_PNS1_23onesweep_lookback_stateEbbT6_jjT7_P12ihipStream_tbENKUlT_T0_SE_SJ_E_clIS8_S8_S9_S9_EEDaSX_SY_SE_SJ_EUlSX_E_NS1_11comp_targetILNS1_3genE5ELNS1_11target_archE942ELNS1_3gpuE9ELNS1_3repE0EEENS1_47radix_sort_onesweep_sort_config_static_selectorELNS0_4arch9wavefront6targetE1EEEvSE_
                                        ; -- End function
	.section	.AMDGPU.csdata,"",@progbits
; Kernel info:
; codeLenInByte = 0
; NumSgprs: 4
; NumVgprs: 0
; NumAgprs: 0
; TotalNumVgprs: 0
; ScratchSize: 0
; MemoryBound: 0
; FloatMode: 240
; IeeeMode: 1
; LDSByteSize: 0 bytes/workgroup (compile time only)
; SGPRBlocks: 0
; VGPRBlocks: 0
; NumSGPRsForWavesPerEU: 4
; NumVGPRsForWavesPerEU: 1
; AccumOffset: 4
; Occupancy: 8
; WaveLimiterHint : 0
; COMPUTE_PGM_RSRC2:SCRATCH_EN: 0
; COMPUTE_PGM_RSRC2:USER_SGPR: 6
; COMPUTE_PGM_RSRC2:TRAP_HANDLER: 0
; COMPUTE_PGM_RSRC2:TGID_X_EN: 1
; COMPUTE_PGM_RSRC2:TGID_Y_EN: 0
; COMPUTE_PGM_RSRC2:TGID_Z_EN: 0
; COMPUTE_PGM_RSRC2:TIDIG_COMP_CNT: 0
; COMPUTE_PGM_RSRC3_GFX90A:ACCUM_OFFSET: 0
; COMPUTE_PGM_RSRC3_GFX90A:TG_SPLIT: 0
	.section	.text._ZN7rocprim17ROCPRIM_400000_NS6detail17trampoline_kernelINS0_14default_configENS1_35radix_sort_onesweep_config_selectorIhNS0_10empty_typeEEEZZNS1_29radix_sort_onesweep_iterationIS3_Lb1EPhS8_PS5_S9_mNS0_19identity_decomposerENS1_16block_id_wrapperIjLb1EEEEE10hipError_tT1_PNSt15iterator_traitsISE_E10value_typeET2_T3_PNSF_ISK_E10value_typeET4_T5_PSP_SQ_PNS1_23onesweep_lookback_stateEbbT6_jjT7_P12ihipStream_tbENKUlT_T0_SE_SJ_E_clIS8_S8_S9_S9_EEDaSX_SY_SE_SJ_EUlSX_E_NS1_11comp_targetILNS1_3genE2ELNS1_11target_archE906ELNS1_3gpuE6ELNS1_3repE0EEENS1_47radix_sort_onesweep_sort_config_static_selectorELNS0_4arch9wavefront6targetE1EEEvSE_,"axG",@progbits,_ZN7rocprim17ROCPRIM_400000_NS6detail17trampoline_kernelINS0_14default_configENS1_35radix_sort_onesweep_config_selectorIhNS0_10empty_typeEEEZZNS1_29radix_sort_onesweep_iterationIS3_Lb1EPhS8_PS5_S9_mNS0_19identity_decomposerENS1_16block_id_wrapperIjLb1EEEEE10hipError_tT1_PNSt15iterator_traitsISE_E10value_typeET2_T3_PNSF_ISK_E10value_typeET4_T5_PSP_SQ_PNS1_23onesweep_lookback_stateEbbT6_jjT7_P12ihipStream_tbENKUlT_T0_SE_SJ_E_clIS8_S8_S9_S9_EEDaSX_SY_SE_SJ_EUlSX_E_NS1_11comp_targetILNS1_3genE2ELNS1_11target_archE906ELNS1_3gpuE6ELNS1_3repE0EEENS1_47radix_sort_onesweep_sort_config_static_selectorELNS0_4arch9wavefront6targetE1EEEvSE_,comdat
	.protected	_ZN7rocprim17ROCPRIM_400000_NS6detail17trampoline_kernelINS0_14default_configENS1_35radix_sort_onesweep_config_selectorIhNS0_10empty_typeEEEZZNS1_29radix_sort_onesweep_iterationIS3_Lb1EPhS8_PS5_S9_mNS0_19identity_decomposerENS1_16block_id_wrapperIjLb1EEEEE10hipError_tT1_PNSt15iterator_traitsISE_E10value_typeET2_T3_PNSF_ISK_E10value_typeET4_T5_PSP_SQ_PNS1_23onesweep_lookback_stateEbbT6_jjT7_P12ihipStream_tbENKUlT_T0_SE_SJ_E_clIS8_S8_S9_S9_EEDaSX_SY_SE_SJ_EUlSX_E_NS1_11comp_targetILNS1_3genE2ELNS1_11target_archE906ELNS1_3gpuE6ELNS1_3repE0EEENS1_47radix_sort_onesweep_sort_config_static_selectorELNS0_4arch9wavefront6targetE1EEEvSE_ ; -- Begin function _ZN7rocprim17ROCPRIM_400000_NS6detail17trampoline_kernelINS0_14default_configENS1_35radix_sort_onesweep_config_selectorIhNS0_10empty_typeEEEZZNS1_29radix_sort_onesweep_iterationIS3_Lb1EPhS8_PS5_S9_mNS0_19identity_decomposerENS1_16block_id_wrapperIjLb1EEEEE10hipError_tT1_PNSt15iterator_traitsISE_E10value_typeET2_T3_PNSF_ISK_E10value_typeET4_T5_PSP_SQ_PNS1_23onesweep_lookback_stateEbbT6_jjT7_P12ihipStream_tbENKUlT_T0_SE_SJ_E_clIS8_S8_S9_S9_EEDaSX_SY_SE_SJ_EUlSX_E_NS1_11comp_targetILNS1_3genE2ELNS1_11target_archE906ELNS1_3gpuE6ELNS1_3repE0EEENS1_47radix_sort_onesweep_sort_config_static_selectorELNS0_4arch9wavefront6targetE1EEEvSE_
	.globl	_ZN7rocprim17ROCPRIM_400000_NS6detail17trampoline_kernelINS0_14default_configENS1_35radix_sort_onesweep_config_selectorIhNS0_10empty_typeEEEZZNS1_29radix_sort_onesweep_iterationIS3_Lb1EPhS8_PS5_S9_mNS0_19identity_decomposerENS1_16block_id_wrapperIjLb1EEEEE10hipError_tT1_PNSt15iterator_traitsISE_E10value_typeET2_T3_PNSF_ISK_E10value_typeET4_T5_PSP_SQ_PNS1_23onesweep_lookback_stateEbbT6_jjT7_P12ihipStream_tbENKUlT_T0_SE_SJ_E_clIS8_S8_S9_S9_EEDaSX_SY_SE_SJ_EUlSX_E_NS1_11comp_targetILNS1_3genE2ELNS1_11target_archE906ELNS1_3gpuE6ELNS1_3repE0EEENS1_47radix_sort_onesweep_sort_config_static_selectorELNS0_4arch9wavefront6targetE1EEEvSE_
	.p2align	8
	.type	_ZN7rocprim17ROCPRIM_400000_NS6detail17trampoline_kernelINS0_14default_configENS1_35radix_sort_onesweep_config_selectorIhNS0_10empty_typeEEEZZNS1_29radix_sort_onesweep_iterationIS3_Lb1EPhS8_PS5_S9_mNS0_19identity_decomposerENS1_16block_id_wrapperIjLb1EEEEE10hipError_tT1_PNSt15iterator_traitsISE_E10value_typeET2_T3_PNSF_ISK_E10value_typeET4_T5_PSP_SQ_PNS1_23onesweep_lookback_stateEbbT6_jjT7_P12ihipStream_tbENKUlT_T0_SE_SJ_E_clIS8_S8_S9_S9_EEDaSX_SY_SE_SJ_EUlSX_E_NS1_11comp_targetILNS1_3genE2ELNS1_11target_archE906ELNS1_3gpuE6ELNS1_3repE0EEENS1_47radix_sort_onesweep_sort_config_static_selectorELNS0_4arch9wavefront6targetE1EEEvSE_,@function
_ZN7rocprim17ROCPRIM_400000_NS6detail17trampoline_kernelINS0_14default_configENS1_35radix_sort_onesweep_config_selectorIhNS0_10empty_typeEEEZZNS1_29radix_sort_onesweep_iterationIS3_Lb1EPhS8_PS5_S9_mNS0_19identity_decomposerENS1_16block_id_wrapperIjLb1EEEEE10hipError_tT1_PNSt15iterator_traitsISE_E10value_typeET2_T3_PNSF_ISK_E10value_typeET4_T5_PSP_SQ_PNS1_23onesweep_lookback_stateEbbT6_jjT7_P12ihipStream_tbENKUlT_T0_SE_SJ_E_clIS8_S8_S9_S9_EEDaSX_SY_SE_SJ_EUlSX_E_NS1_11comp_targetILNS1_3genE2ELNS1_11target_archE906ELNS1_3gpuE6ELNS1_3repE0EEENS1_47radix_sort_onesweep_sort_config_static_selectorELNS0_4arch9wavefront6targetE1EEEvSE_: ; @_ZN7rocprim17ROCPRIM_400000_NS6detail17trampoline_kernelINS0_14default_configENS1_35radix_sort_onesweep_config_selectorIhNS0_10empty_typeEEEZZNS1_29radix_sort_onesweep_iterationIS3_Lb1EPhS8_PS5_S9_mNS0_19identity_decomposerENS1_16block_id_wrapperIjLb1EEEEE10hipError_tT1_PNSt15iterator_traitsISE_E10value_typeET2_T3_PNSF_ISK_E10value_typeET4_T5_PSP_SQ_PNS1_23onesweep_lookback_stateEbbT6_jjT7_P12ihipStream_tbENKUlT_T0_SE_SJ_E_clIS8_S8_S9_S9_EEDaSX_SY_SE_SJ_EUlSX_E_NS1_11comp_targetILNS1_3genE2ELNS1_11target_archE906ELNS1_3gpuE6ELNS1_3repE0EEENS1_47radix_sort_onesweep_sort_config_static_selectorELNS0_4arch9wavefront6targetE1EEEvSE_
; %bb.0:
	.section	.rodata,"a",@progbits
	.p2align	6, 0x0
	.amdhsa_kernel _ZN7rocprim17ROCPRIM_400000_NS6detail17trampoline_kernelINS0_14default_configENS1_35radix_sort_onesweep_config_selectorIhNS0_10empty_typeEEEZZNS1_29radix_sort_onesweep_iterationIS3_Lb1EPhS8_PS5_S9_mNS0_19identity_decomposerENS1_16block_id_wrapperIjLb1EEEEE10hipError_tT1_PNSt15iterator_traitsISE_E10value_typeET2_T3_PNSF_ISK_E10value_typeET4_T5_PSP_SQ_PNS1_23onesweep_lookback_stateEbbT6_jjT7_P12ihipStream_tbENKUlT_T0_SE_SJ_E_clIS8_S8_S9_S9_EEDaSX_SY_SE_SJ_EUlSX_E_NS1_11comp_targetILNS1_3genE2ELNS1_11target_archE906ELNS1_3gpuE6ELNS1_3repE0EEENS1_47radix_sort_onesweep_sort_config_static_selectorELNS0_4arch9wavefront6targetE1EEEvSE_
		.amdhsa_group_segment_fixed_size 0
		.amdhsa_private_segment_fixed_size 0
		.amdhsa_kernarg_size 88
		.amdhsa_user_sgpr_count 6
		.amdhsa_user_sgpr_private_segment_buffer 1
		.amdhsa_user_sgpr_dispatch_ptr 0
		.amdhsa_user_sgpr_queue_ptr 0
		.amdhsa_user_sgpr_kernarg_segment_ptr 1
		.amdhsa_user_sgpr_dispatch_id 0
		.amdhsa_user_sgpr_flat_scratch_init 0
		.amdhsa_user_sgpr_kernarg_preload_length 0
		.amdhsa_user_sgpr_kernarg_preload_offset 0
		.amdhsa_user_sgpr_private_segment_size 0
		.amdhsa_uses_dynamic_stack 0
		.amdhsa_system_sgpr_private_segment_wavefront_offset 0
		.amdhsa_system_sgpr_workgroup_id_x 1
		.amdhsa_system_sgpr_workgroup_id_y 0
		.amdhsa_system_sgpr_workgroup_id_z 0
		.amdhsa_system_sgpr_workgroup_info 0
		.amdhsa_system_vgpr_workitem_id 0
		.amdhsa_next_free_vgpr 1
		.amdhsa_next_free_sgpr 0
		.amdhsa_accum_offset 4
		.amdhsa_reserve_vcc 0
		.amdhsa_reserve_flat_scratch 0
		.amdhsa_float_round_mode_32 0
		.amdhsa_float_round_mode_16_64 0
		.amdhsa_float_denorm_mode_32 3
		.amdhsa_float_denorm_mode_16_64 3
		.amdhsa_dx10_clamp 1
		.amdhsa_ieee_mode 1
		.amdhsa_fp16_overflow 0
		.amdhsa_tg_split 0
		.amdhsa_exception_fp_ieee_invalid_op 0
		.amdhsa_exception_fp_denorm_src 0
		.amdhsa_exception_fp_ieee_div_zero 0
		.amdhsa_exception_fp_ieee_overflow 0
		.amdhsa_exception_fp_ieee_underflow 0
		.amdhsa_exception_fp_ieee_inexact 0
		.amdhsa_exception_int_div_zero 0
	.end_amdhsa_kernel
	.section	.text._ZN7rocprim17ROCPRIM_400000_NS6detail17trampoline_kernelINS0_14default_configENS1_35radix_sort_onesweep_config_selectorIhNS0_10empty_typeEEEZZNS1_29radix_sort_onesweep_iterationIS3_Lb1EPhS8_PS5_S9_mNS0_19identity_decomposerENS1_16block_id_wrapperIjLb1EEEEE10hipError_tT1_PNSt15iterator_traitsISE_E10value_typeET2_T3_PNSF_ISK_E10value_typeET4_T5_PSP_SQ_PNS1_23onesweep_lookback_stateEbbT6_jjT7_P12ihipStream_tbENKUlT_T0_SE_SJ_E_clIS8_S8_S9_S9_EEDaSX_SY_SE_SJ_EUlSX_E_NS1_11comp_targetILNS1_3genE2ELNS1_11target_archE906ELNS1_3gpuE6ELNS1_3repE0EEENS1_47radix_sort_onesweep_sort_config_static_selectorELNS0_4arch9wavefront6targetE1EEEvSE_,"axG",@progbits,_ZN7rocprim17ROCPRIM_400000_NS6detail17trampoline_kernelINS0_14default_configENS1_35radix_sort_onesweep_config_selectorIhNS0_10empty_typeEEEZZNS1_29radix_sort_onesweep_iterationIS3_Lb1EPhS8_PS5_S9_mNS0_19identity_decomposerENS1_16block_id_wrapperIjLb1EEEEE10hipError_tT1_PNSt15iterator_traitsISE_E10value_typeET2_T3_PNSF_ISK_E10value_typeET4_T5_PSP_SQ_PNS1_23onesweep_lookback_stateEbbT6_jjT7_P12ihipStream_tbENKUlT_T0_SE_SJ_E_clIS8_S8_S9_S9_EEDaSX_SY_SE_SJ_EUlSX_E_NS1_11comp_targetILNS1_3genE2ELNS1_11target_archE906ELNS1_3gpuE6ELNS1_3repE0EEENS1_47radix_sort_onesweep_sort_config_static_selectorELNS0_4arch9wavefront6targetE1EEEvSE_,comdat
.Lfunc_end1736:
	.size	_ZN7rocprim17ROCPRIM_400000_NS6detail17trampoline_kernelINS0_14default_configENS1_35radix_sort_onesweep_config_selectorIhNS0_10empty_typeEEEZZNS1_29radix_sort_onesweep_iterationIS3_Lb1EPhS8_PS5_S9_mNS0_19identity_decomposerENS1_16block_id_wrapperIjLb1EEEEE10hipError_tT1_PNSt15iterator_traitsISE_E10value_typeET2_T3_PNSF_ISK_E10value_typeET4_T5_PSP_SQ_PNS1_23onesweep_lookback_stateEbbT6_jjT7_P12ihipStream_tbENKUlT_T0_SE_SJ_E_clIS8_S8_S9_S9_EEDaSX_SY_SE_SJ_EUlSX_E_NS1_11comp_targetILNS1_3genE2ELNS1_11target_archE906ELNS1_3gpuE6ELNS1_3repE0EEENS1_47radix_sort_onesweep_sort_config_static_selectorELNS0_4arch9wavefront6targetE1EEEvSE_, .Lfunc_end1736-_ZN7rocprim17ROCPRIM_400000_NS6detail17trampoline_kernelINS0_14default_configENS1_35radix_sort_onesweep_config_selectorIhNS0_10empty_typeEEEZZNS1_29radix_sort_onesweep_iterationIS3_Lb1EPhS8_PS5_S9_mNS0_19identity_decomposerENS1_16block_id_wrapperIjLb1EEEEE10hipError_tT1_PNSt15iterator_traitsISE_E10value_typeET2_T3_PNSF_ISK_E10value_typeET4_T5_PSP_SQ_PNS1_23onesweep_lookback_stateEbbT6_jjT7_P12ihipStream_tbENKUlT_T0_SE_SJ_E_clIS8_S8_S9_S9_EEDaSX_SY_SE_SJ_EUlSX_E_NS1_11comp_targetILNS1_3genE2ELNS1_11target_archE906ELNS1_3gpuE6ELNS1_3repE0EEENS1_47radix_sort_onesweep_sort_config_static_selectorELNS0_4arch9wavefront6targetE1EEEvSE_
                                        ; -- End function
	.section	.AMDGPU.csdata,"",@progbits
; Kernel info:
; codeLenInByte = 0
; NumSgprs: 4
; NumVgprs: 0
; NumAgprs: 0
; TotalNumVgprs: 0
; ScratchSize: 0
; MemoryBound: 0
; FloatMode: 240
; IeeeMode: 1
; LDSByteSize: 0 bytes/workgroup (compile time only)
; SGPRBlocks: 0
; VGPRBlocks: 0
; NumSGPRsForWavesPerEU: 4
; NumVGPRsForWavesPerEU: 1
; AccumOffset: 4
; Occupancy: 8
; WaveLimiterHint : 0
; COMPUTE_PGM_RSRC2:SCRATCH_EN: 0
; COMPUTE_PGM_RSRC2:USER_SGPR: 6
; COMPUTE_PGM_RSRC2:TRAP_HANDLER: 0
; COMPUTE_PGM_RSRC2:TGID_X_EN: 1
; COMPUTE_PGM_RSRC2:TGID_Y_EN: 0
; COMPUTE_PGM_RSRC2:TGID_Z_EN: 0
; COMPUTE_PGM_RSRC2:TIDIG_COMP_CNT: 0
; COMPUTE_PGM_RSRC3_GFX90A:ACCUM_OFFSET: 0
; COMPUTE_PGM_RSRC3_GFX90A:TG_SPLIT: 0
	.section	.text._ZN7rocprim17ROCPRIM_400000_NS6detail17trampoline_kernelINS0_14default_configENS1_35radix_sort_onesweep_config_selectorIhNS0_10empty_typeEEEZZNS1_29radix_sort_onesweep_iterationIS3_Lb1EPhS8_PS5_S9_mNS0_19identity_decomposerENS1_16block_id_wrapperIjLb1EEEEE10hipError_tT1_PNSt15iterator_traitsISE_E10value_typeET2_T3_PNSF_ISK_E10value_typeET4_T5_PSP_SQ_PNS1_23onesweep_lookback_stateEbbT6_jjT7_P12ihipStream_tbENKUlT_T0_SE_SJ_E_clIS8_S8_S9_S9_EEDaSX_SY_SE_SJ_EUlSX_E_NS1_11comp_targetILNS1_3genE4ELNS1_11target_archE910ELNS1_3gpuE8ELNS1_3repE0EEENS1_47radix_sort_onesweep_sort_config_static_selectorELNS0_4arch9wavefront6targetE1EEEvSE_,"axG",@progbits,_ZN7rocprim17ROCPRIM_400000_NS6detail17trampoline_kernelINS0_14default_configENS1_35radix_sort_onesweep_config_selectorIhNS0_10empty_typeEEEZZNS1_29radix_sort_onesweep_iterationIS3_Lb1EPhS8_PS5_S9_mNS0_19identity_decomposerENS1_16block_id_wrapperIjLb1EEEEE10hipError_tT1_PNSt15iterator_traitsISE_E10value_typeET2_T3_PNSF_ISK_E10value_typeET4_T5_PSP_SQ_PNS1_23onesweep_lookback_stateEbbT6_jjT7_P12ihipStream_tbENKUlT_T0_SE_SJ_E_clIS8_S8_S9_S9_EEDaSX_SY_SE_SJ_EUlSX_E_NS1_11comp_targetILNS1_3genE4ELNS1_11target_archE910ELNS1_3gpuE8ELNS1_3repE0EEENS1_47radix_sort_onesweep_sort_config_static_selectorELNS0_4arch9wavefront6targetE1EEEvSE_,comdat
	.protected	_ZN7rocprim17ROCPRIM_400000_NS6detail17trampoline_kernelINS0_14default_configENS1_35radix_sort_onesweep_config_selectorIhNS0_10empty_typeEEEZZNS1_29radix_sort_onesweep_iterationIS3_Lb1EPhS8_PS5_S9_mNS0_19identity_decomposerENS1_16block_id_wrapperIjLb1EEEEE10hipError_tT1_PNSt15iterator_traitsISE_E10value_typeET2_T3_PNSF_ISK_E10value_typeET4_T5_PSP_SQ_PNS1_23onesweep_lookback_stateEbbT6_jjT7_P12ihipStream_tbENKUlT_T0_SE_SJ_E_clIS8_S8_S9_S9_EEDaSX_SY_SE_SJ_EUlSX_E_NS1_11comp_targetILNS1_3genE4ELNS1_11target_archE910ELNS1_3gpuE8ELNS1_3repE0EEENS1_47radix_sort_onesweep_sort_config_static_selectorELNS0_4arch9wavefront6targetE1EEEvSE_ ; -- Begin function _ZN7rocprim17ROCPRIM_400000_NS6detail17trampoline_kernelINS0_14default_configENS1_35radix_sort_onesweep_config_selectorIhNS0_10empty_typeEEEZZNS1_29radix_sort_onesweep_iterationIS3_Lb1EPhS8_PS5_S9_mNS0_19identity_decomposerENS1_16block_id_wrapperIjLb1EEEEE10hipError_tT1_PNSt15iterator_traitsISE_E10value_typeET2_T3_PNSF_ISK_E10value_typeET4_T5_PSP_SQ_PNS1_23onesweep_lookback_stateEbbT6_jjT7_P12ihipStream_tbENKUlT_T0_SE_SJ_E_clIS8_S8_S9_S9_EEDaSX_SY_SE_SJ_EUlSX_E_NS1_11comp_targetILNS1_3genE4ELNS1_11target_archE910ELNS1_3gpuE8ELNS1_3repE0EEENS1_47radix_sort_onesweep_sort_config_static_selectorELNS0_4arch9wavefront6targetE1EEEvSE_
	.globl	_ZN7rocprim17ROCPRIM_400000_NS6detail17trampoline_kernelINS0_14default_configENS1_35radix_sort_onesweep_config_selectorIhNS0_10empty_typeEEEZZNS1_29radix_sort_onesweep_iterationIS3_Lb1EPhS8_PS5_S9_mNS0_19identity_decomposerENS1_16block_id_wrapperIjLb1EEEEE10hipError_tT1_PNSt15iterator_traitsISE_E10value_typeET2_T3_PNSF_ISK_E10value_typeET4_T5_PSP_SQ_PNS1_23onesweep_lookback_stateEbbT6_jjT7_P12ihipStream_tbENKUlT_T0_SE_SJ_E_clIS8_S8_S9_S9_EEDaSX_SY_SE_SJ_EUlSX_E_NS1_11comp_targetILNS1_3genE4ELNS1_11target_archE910ELNS1_3gpuE8ELNS1_3repE0EEENS1_47radix_sort_onesweep_sort_config_static_selectorELNS0_4arch9wavefront6targetE1EEEvSE_
	.p2align	8
	.type	_ZN7rocprim17ROCPRIM_400000_NS6detail17trampoline_kernelINS0_14default_configENS1_35radix_sort_onesweep_config_selectorIhNS0_10empty_typeEEEZZNS1_29radix_sort_onesweep_iterationIS3_Lb1EPhS8_PS5_S9_mNS0_19identity_decomposerENS1_16block_id_wrapperIjLb1EEEEE10hipError_tT1_PNSt15iterator_traitsISE_E10value_typeET2_T3_PNSF_ISK_E10value_typeET4_T5_PSP_SQ_PNS1_23onesweep_lookback_stateEbbT6_jjT7_P12ihipStream_tbENKUlT_T0_SE_SJ_E_clIS8_S8_S9_S9_EEDaSX_SY_SE_SJ_EUlSX_E_NS1_11comp_targetILNS1_3genE4ELNS1_11target_archE910ELNS1_3gpuE8ELNS1_3repE0EEENS1_47radix_sort_onesweep_sort_config_static_selectorELNS0_4arch9wavefront6targetE1EEEvSE_,@function
_ZN7rocprim17ROCPRIM_400000_NS6detail17trampoline_kernelINS0_14default_configENS1_35radix_sort_onesweep_config_selectorIhNS0_10empty_typeEEEZZNS1_29radix_sort_onesweep_iterationIS3_Lb1EPhS8_PS5_S9_mNS0_19identity_decomposerENS1_16block_id_wrapperIjLb1EEEEE10hipError_tT1_PNSt15iterator_traitsISE_E10value_typeET2_T3_PNSF_ISK_E10value_typeET4_T5_PSP_SQ_PNS1_23onesweep_lookback_stateEbbT6_jjT7_P12ihipStream_tbENKUlT_T0_SE_SJ_E_clIS8_S8_S9_S9_EEDaSX_SY_SE_SJ_EUlSX_E_NS1_11comp_targetILNS1_3genE4ELNS1_11target_archE910ELNS1_3gpuE8ELNS1_3repE0EEENS1_47radix_sort_onesweep_sort_config_static_selectorELNS0_4arch9wavefront6targetE1EEEvSE_: ; @_ZN7rocprim17ROCPRIM_400000_NS6detail17trampoline_kernelINS0_14default_configENS1_35radix_sort_onesweep_config_selectorIhNS0_10empty_typeEEEZZNS1_29radix_sort_onesweep_iterationIS3_Lb1EPhS8_PS5_S9_mNS0_19identity_decomposerENS1_16block_id_wrapperIjLb1EEEEE10hipError_tT1_PNSt15iterator_traitsISE_E10value_typeET2_T3_PNSF_ISK_E10value_typeET4_T5_PSP_SQ_PNS1_23onesweep_lookback_stateEbbT6_jjT7_P12ihipStream_tbENKUlT_T0_SE_SJ_E_clIS8_S8_S9_S9_EEDaSX_SY_SE_SJ_EUlSX_E_NS1_11comp_targetILNS1_3genE4ELNS1_11target_archE910ELNS1_3gpuE8ELNS1_3repE0EEENS1_47radix_sort_onesweep_sort_config_static_selectorELNS0_4arch9wavefront6targetE1EEEvSE_
; %bb.0:
	s_load_dwordx4 s[8:11], s[4:5], 0x28
	s_load_dwordx2 s[6:7], s[4:5], 0x38
	s_load_dwordx4 s[16:19], s[4:5], 0x44
	v_cmp_eq_u32_e32 vcc, 0, v0
	s_and_saveexec_b64 s[0:1], vcc
	s_cbranch_execz .LBB1737_4
; %bb.1:
	s_mov_b64 s[12:13], exec
	v_mbcnt_lo_u32_b32 v1, s12, 0
	v_mbcnt_hi_u32_b32 v1, s13, v1
	v_cmp_eq_u32_e32 vcc, 0, v1
                                        ; implicit-def: $vgpr2
	s_and_saveexec_b64 s[2:3], vcc
	s_cbranch_execz .LBB1737_3
; %bb.2:
	s_load_dwordx2 s[14:15], s[4:5], 0x50
	s_bcnt1_i32_b64 s12, s[12:13]
	v_mov_b32_e32 v2, 0
	v_mov_b32_e32 v3, s12
	s_waitcnt lgkmcnt(0)
	global_atomic_add v2, v2, v3, s[14:15] glc
.LBB1737_3:
	s_or_b64 exec, exec, s[2:3]
	s_waitcnt vmcnt(0)
	v_readfirstlane_b32 s2, v2
	v_add_u32_e32 v1, s2, v1
	v_mov_b32_e32 v2, 0
	ds_write_b32 v2, v1 offset:16416
.LBB1737_4:
	s_or_b64 exec, exec, s[0:1]
	v_mov_b32_e32 v1, 0
	s_load_dwordx4 s[12:15], s[4:5], 0x0
	s_load_dword s0, s[4:5], 0x20
	s_waitcnt lgkmcnt(0)
	s_barrier
	ds_read_b32 v2, v1 offset:16416
	v_mul_u32_u24_e32 v10, 22, v0
	s_waitcnt lgkmcnt(0)
	s_barrier
	v_readfirstlane_b32 s24, v2
	v_cmp_le_u32_e32 vcc, s18, v2
	s_mul_i32 s25, s24, 0x2c00
	s_cbranch_vccz .LBB1737_124
; %bb.5:
	s_mul_i32 s26, s18, 0xffffd400
	s_add_i32 s26, s26, s0
	s_add_u32 s0, s12, s25
	s_addc_u32 s1, s13, 0
	v_mov_b32_e32 v3, s1
	v_add_co_u32_e32 v2, vcc, s0, v10
	v_addc_co_u32_e32 v3, vcc, 0, v3, vcc
	v_cmp_gt_u32_e32 vcc, s26, v10
	s_and_saveexec_b64 s[0:1], vcc
	s_cbranch_execz .LBB1737_7
; %bb.6:
	global_load_ubyte v1, v[2:3], off
.LBB1737_7:
	s_or_b64 exec, exec, s[0:1]
	v_or_b32_e32 v4, 1, v10
	v_cmp_gt_u32_e32 vcc, s26, v4
	v_mov_b32_e32 v5, 0
	v_mov_b32_e32 v4, 0
	s_and_saveexec_b64 s[0:1], vcc
	s_cbranch_execz .LBB1737_9
; %bb.8:
	global_load_ubyte v4, v[2:3], off offset:1
.LBB1737_9:
	s_or_b64 exec, exec, s[0:1]
	v_add_u32_e32 v6, 2, v10
	v_cmp_gt_u32_e32 vcc, s26, v6
	s_and_saveexec_b64 s[0:1], vcc
	s_cbranch_execz .LBB1737_11
; %bb.10:
	global_load_ubyte v5, v[2:3], off offset:2
.LBB1737_11:
	s_or_b64 exec, exec, s[0:1]
	v_add_u32_e32 v6, 3, v10
	v_cmp_gt_u32_e32 vcc, s26, v6
	v_mov_b32_e32 v8, 0
	v_mov_b32_e32 v6, 0
	s_and_saveexec_b64 s[0:1], vcc
	s_cbranch_execz .LBB1737_13
; %bb.12:
	global_load_ubyte v6, v[2:3], off offset:3
.LBB1737_13:
	s_or_b64 exec, exec, s[0:1]
	v_add_u32_e32 v7, 4, v10
	v_cmp_gt_u32_e32 vcc, s26, v7
	s_and_saveexec_b64 s[0:1], vcc
	s_cbranch_execz .LBB1737_15
; %bb.14:
	global_load_ubyte v8, v[2:3], off offset:4
.LBB1737_15:
	s_or_b64 exec, exec, s[0:1]
	v_add_u32_e32 v7, 5, v10
	;; [unrolled: 18-line block ×10, first 2 shown]
	v_cmp_gt_u32_e32 vcc, s26, v7
	v_mov_b32_e32 v7, 0
	v_mov_b32_e32 v44, 0
	s_and_saveexec_b64 s[0:1], vcc
	s_cbranch_execz .LBB1737_49
; %bb.48:
	global_load_ubyte v44, v[2:3], off offset:21
.LBB1737_49:
	s_or_b64 exec, exec, s[0:1]
	v_lshlrev_b32_e32 v2, 2, v0
	s_mov_b64 s[0:1], -1
	ds_write2st64_b32 v2, v7, v7 offset1:8
	ds_write2st64_b32 v2, v7, v7 offset0:16 offset1:24
	s_and_saveexec_b64 s[2:3], s[0:1]
	s_cbranch_execz .LBB1737_51
; %bb.50:
	v_mov_b32_e32 v3, 0
	ds_write_b32 v2, v3 offset:8192
.LBB1737_51:
	s_or_b64 exec, exec, s[2:3]
	s_and_saveexec_b64 s[2:3], s[0:1]
	s_cbranch_execz .LBB1737_53
; %bb.52:
	v_mov_b32_e32 v3, 0
	ds_write_b32 v2, v3 offset:10240
.LBB1737_53:
	s_or_b64 exec, exec, s[2:3]
	v_cmp_gt_u32_e64 s[0:1], 7, 6
	v_cmp_gt_u32_e64 s[18:19], 7, 5
	s_and_saveexec_b64 s[2:3], s[18:19]
	s_cbranch_execz .LBB1737_55
; %bb.54:
	v_mov_b32_e32 v3, 0
	ds_write_b32 v2, v3 offset:12288
.LBB1737_55:
	s_or_b64 exec, exec, s[2:3]
	s_and_saveexec_b64 s[2:3], s[0:1]
	s_cbranch_execz .LBB1737_57
; %bb.56:
	v_mov_b32_e32 v3, 0
	ds_write_b32 v2, v3 offset:14336
.LBB1737_57:
	s_or_b64 exec, exec, s[2:3]
	s_waitcnt vmcnt(0)
	v_xor_b32_e32 v1, -1, v1
	s_lshl_b32 s0, -1, s17
	s_not_b32 s27, s0
	v_lshrrev_b32_sdwa v2, s16, v1 dst_sel:DWORD dst_unused:UNUSED_PAD src0_sel:DWORD src1_sel:BYTE_0
	v_and_b32_e32 v2, s27, v2
	v_lshrrev_b32_e32 v3, 3, v2
	v_lshlrev_b32_e32 v2, 9, v2
	s_movk_i32 s0, 0xe00
	v_and_or_b32 v2, v2, s0, v0
	v_lshlrev_b32_e32 v2, 1, v2
	v_add_lshl_u32 v2, v2, v3, 1
	ds_read_u16 v7, v2
	v_xor_b32_e32 v4, -1, v4
	v_xor_b32_e32 v5, -1, v5
	v_xor_b32_e32 v6, -1, v6
	v_xor_b32_e32 v8, -1, v8
	s_waitcnt lgkmcnt(0)
	v_add_u16_e32 v3, 1, v7
	ds_write_b16 v2, v3
	v_lshrrev_b32_sdwa v3, s16, v4 dst_sel:DWORD dst_unused:UNUSED_PAD src0_sel:DWORD src1_sel:BYTE_0
	v_and_b32_e32 v3, s27, v3
	v_lshrrev_b32_e32 v9, 3, v3
	v_lshlrev_b32_e32 v3, 9, v3
	v_and_or_b32 v3, v3, s0, v0
	v_lshlrev_b32_e32 v3, 1, v3
	v_add_lshl_u32 v3, v3, v9, 1
	ds_read_u16 v9, v3
	v_xor_b32_e32 v12, -1, v12
	v_xor_b32_e32 v16, -1, v16
	v_xor_b32_e32 v18, -1, v18
	v_xor_b32_e32 v20, -1, v20
	s_waitcnt lgkmcnt(0)
	v_add_u16_e32 v13, 1, v9
	ds_write_b16 v3, v13
	v_lshrrev_b32_sdwa v13, s16, v5 dst_sel:DWORD dst_unused:UNUSED_PAD src0_sel:DWORD src1_sel:BYTE_0
	v_and_b32_e32 v13, s27, v13
	v_lshrrev_b32_e32 v14, 3, v13
	v_lshlrev_b32_e32 v13, 9, v13
	;; [unrolled: 15-line block ×5, first 2 shown]
	v_and_or_b32 v14, v14, s0, v0
	v_lshlrev_b32_e32 v14, 1, v14
	v_add_lshl_u32 v40, v14, v19, 1
	ds_read_u16 v19, v40
	v_xor_b32_e32 v14, -1, v11
	s_waitcnt lgkmcnt(0)
	v_add_u16_e32 v11, 1, v19
	ds_write_b16 v40, v11
	v_lshrrev_b32_sdwa v11, s16, v14 dst_sel:DWORD dst_unused:UNUSED_PAD src0_sel:DWORD src1_sel:BYTE_0
	v_and_b32_e32 v11, s27, v11
	v_lshrrev_b32_e32 v21, 3, v11
	v_lshlrev_b32_e32 v11, 9, v11
	v_and_or_b32 v11, v11, s0, v0
	v_lshlrev_b32_e32 v11, 1, v11
	v_add_lshl_u32 v11, v11, v21, 1
	ds_read_u16 v21, v11
	s_waitcnt lgkmcnt(0)
	v_add_u16_e32 v23, 1, v21
	ds_write_b16 v11, v23
	v_lshrrev_b32_sdwa v23, s16, v16 dst_sel:DWORD dst_unused:UNUSED_PAD src0_sel:DWORD src1_sel:BYTE_0
	v_and_b32_e32 v23, s27, v23
	v_lshrrev_b32_e32 v25, 3, v23
	v_lshlrev_b32_e32 v23, 9, v23
	v_and_or_b32 v23, v23, s0, v0
	v_lshlrev_b32_e32 v23, 1, v23
	v_add_lshl_u32 v46, v23, v25, 1
	ds_read_u16 v23, v46
	;; [unrolled: 11-line block ×16, first 2 shown]
	s_waitcnt lgkmcnt(0)
	v_add_u16_e32 v68, 1, v59
	ds_write_b16 v67, v68
	v_lshlrev_b32_e32 v68, 5, v0
	s_waitcnt lgkmcnt(0)
	s_barrier
	ds_read2_b64 v[70:73], v68 offset1:1
	ds_read2_b64 v[74:77], v68 offset0:2 offset1:3
	s_waitcnt lgkmcnt(1)
	v_add_u32_e32 v69, v71, v70
	v_add3_u32 v69, v69, v72, v73
	s_waitcnt lgkmcnt(0)
	v_add3_u32 v69, v69, v74, v75
	v_add3_u32 v70, v69, v76, v77
	v_mbcnt_lo_u32_b32 v69, -1, 0
	v_mbcnt_hi_u32_b32 v69, -1, v69
	v_and_b32_e32 v71, 15, v69
	v_mov_b32_dpp v72, v70 row_shr:1 row_mask:0xf bank_mask:0xf
	v_cmp_ne_u32_e32 vcc, 0, v71
	v_cndmask_b32_e32 v72, 0, v72, vcc
	v_add_u32_e32 v70, v72, v70
	v_cmp_lt_u32_e32 vcc, 1, v71
	s_nop 0
	v_mov_b32_dpp v72, v70 row_shr:2 row_mask:0xf bank_mask:0xf
	v_cndmask_b32_e32 v72, 0, v72, vcc
	v_add_u32_e32 v70, v70, v72
	v_cmp_lt_u32_e32 vcc, 3, v71
	s_nop 0
	v_mov_b32_dpp v72, v70 row_shr:4 row_mask:0xf bank_mask:0xf
	;; [unrolled: 5-line block ×3, first 2 shown]
	v_cndmask_b32_e32 v71, 0, v72, vcc
	v_add_u32_e32 v70, v70, v71
	v_bfe_i32 v72, v69, 4, 1
	v_cmp_lt_u32_e32 vcc, 31, v69
	v_mov_b32_dpp v71, v70 row_bcast:15 row_mask:0xf bank_mask:0xf
	v_and_b32_e32 v71, v72, v71
	v_add_u32_e32 v70, v70, v71
	v_or_b32_e32 v72, 63, v0
	s_nop 0
	v_mov_b32_dpp v71, v70 row_bcast:31 row_mask:0xf bank_mask:0xf
	v_cndmask_b32_e32 v71, 0, v71, vcc
	v_add_u32_e32 v70, v70, v71
	v_lshrrev_b32_e32 v71, 6, v0
	v_cmp_eq_u32_e32 vcc, v72, v0
	v_lshlrev_b32_e32 v71, 2, v71
	s_and_saveexec_b64 s[0:1], vcc
	s_cbranch_execz .LBB1737_59
; %bb.58:
	ds_write_b32 v71, v70 offset:16384
.LBB1737_59:
	s_or_b64 exec, exec, s[0:1]
	v_cmp_gt_u32_e32 vcc, 8, v0
	s_waitcnt lgkmcnt(0)
	s_barrier
	s_and_saveexec_b64 s[0:1], vcc
	s_cbranch_execz .LBB1737_61
; %bb.60:
	s_movk_i32 s2, 0xffe4
	v_mad_i32_i24 v72, v0, s2, v68
	ds_read_b32 v73, v72 offset:16384
	v_and_b32_e32 v74, 7, v69
	v_cmp_ne_u32_e32 vcc, 0, v74
	s_waitcnt lgkmcnt(0)
	v_mov_b32_dpp v75, v73 row_shr:1 row_mask:0xf bank_mask:0xf
	v_cndmask_b32_e32 v75, 0, v75, vcc
	v_add_u32_e32 v73, v75, v73
	v_cmp_lt_u32_e32 vcc, 1, v74
	s_nop 0
	v_mov_b32_dpp v75, v73 row_shr:2 row_mask:0xf bank_mask:0xf
	v_cndmask_b32_e32 v75, 0, v75, vcc
	v_add_u32_e32 v73, v73, v75
	v_cmp_lt_u32_e32 vcc, 3, v74
	s_nop 0
	v_mov_b32_dpp v75, v73 row_shr:4 row_mask:0xf bank_mask:0xf
	v_cndmask_b32_e32 v74, 0, v75, vcc
	v_add_u32_e32 v73, v73, v74
	ds_write_b32 v72, v73 offset:16384
.LBB1737_61:
	s_or_b64 exec, exec, s[0:1]
	v_cmp_lt_u32_e32 vcc, 63, v0
	v_mov_b32_e32 v73, 0
	v_mov_b32_e32 v72, 0
	s_waitcnt lgkmcnt(0)
	s_barrier
	s_and_saveexec_b64 s[0:1], vcc
	s_cbranch_execz .LBB1737_63
; %bb.62:
	ds_read_b32 v72, v71 offset:16380
.LBB1737_63:
	s_or_b64 exec, exec, s[0:1]
	v_add_u32_e32 v71, -1, v69
	v_and_b32_e32 v74, 64, v69
	v_cmp_lt_i32_e32 vcc, v71, v74
	v_cndmask_b32_e32 v71, v71, v69, vcc
	s_waitcnt lgkmcnt(0)
	v_add_u32_e32 v70, v72, v70
	v_lshlrev_b32_e32 v71, 2, v71
	ds_bpermute_b32 v70, v71, v70
	ds_read_b32 v71, v73 offset:16412
	ds_read2_b64 v[74:77], v68 offset1:1
	v_cmp_eq_u32_e32 vcc, 0, v69
	ds_read_b32 v78, v68 offset:24
	s_waitcnt lgkmcnt(3)
	v_cndmask_b32_e32 v69, v70, v72, vcc
	ds_read_b64 v[72:73], v68 offset:16
	s_waitcnt lgkmcnt(3)
	v_lshl_add_u32 v70, v71, 16, v69
	s_waitcnt lgkmcnt(2)
	v_add_u32_e32 v71, v70, v74
	v_add_u32_e32 v74, v75, v71
	;; [unrolled: 1-line block ×3, first 2 shown]
	ds_write2_b64 v68, v[70:71], v[74:75] offset1:1
	v_add_u32_e32 v70, v77, v75
	s_waitcnt lgkmcnt(1)
	v_add_u32_e32 v71, v72, v70
	v_add_u32_e32 v72, v73, v71
	;; [unrolled: 1-line block ×3, first 2 shown]
	ds_write2_b64 v68, v[70:71], v[72:73] offset0:2 offset1:3
	s_waitcnt lgkmcnt(0)
	s_barrier
	ds_read_u16 v68, v2
	ds_read_u16 v69, v3
	;; [unrolled: 1-line block ×22, first 2 shown]
	v_cmp_gt_u32_e32 vcc, 16, v0
	v_pk_mov_b32 v[2:3], 0, 0
                                        ; implicit-def: $vgpr11
	s_and_saveexec_b64 s[2:3], vcc
	s_cbranch_execz .LBB1737_67
; %bb.64:
	v_lshrrev_b32_e32 v2, 3, v0
	v_lshlrev_b32_e32 v3, 10, v0
	s_movk_i32 s20, 0x1c00
	v_and_or_b32 v2, v3, s20, v2
	v_lshlrev_b32_e32 v2, 1, v2
	ds_read_u16 v2, v2
	v_add_u32_e32 v11, 1, v0
	v_cmp_ne_u32_e64 s[0:1], 16, v11
	v_mov_b32_e32 v3, 0x2c00
	s_and_saveexec_b64 s[18:19], s[0:1]
	s_cbranch_execz .LBB1737_66
; %bb.65:
	v_lshlrev_b32_e32 v3, 10, v11
	v_lshrrev_b32_e32 v11, 3, v11
	v_and_or_b32 v3, v3, s20, v11
	v_lshlrev_b32_e32 v3, 1, v3
	ds_read_u16 v3, v3
.LBB1737_66:
	s_or_b64 exec, exec, s[18:19]
	s_waitcnt lgkmcnt(0)
	v_and_b32_e32 v2, 0xffff, v2
	s_mov_b32 s0, 0
	v_sub_u32_e32 v11, v3, v2
	v_mov_b32_e32 v3, s0
.LBB1737_67:
	s_or_b64 exec, exec, s[2:3]
	s_waitcnt lgkmcnt(14)
	v_add_u32_sdwa v7, v68, v7 dst_sel:DWORD dst_unused:UNUSED_PAD src0_sel:WORD_0 src1_sel:WORD_0
	v_add_u32_sdwa v9, v69, v9 dst_sel:DWORD dst_unused:UNUSED_PAD src0_sel:WORD_0 src1_sel:WORD_0
	;; [unrolled: 1-line block ×8, first 2 shown]
	s_waitcnt lgkmcnt(13)
	v_add_u32_sdwa v25, v48, v25 dst_sel:DWORD dst_unused:UNUSED_PAD src0_sel:WORD_0 src1_sel:WORD_0
	s_waitcnt lgkmcnt(12)
	v_add_u32_sdwa v27, v50, v27 dst_sel:DWORD dst_unused:UNUSED_PAD src0_sel:WORD_0 src1_sel:WORD_0
	;; [unrolled: 2-line block ×14, first 2 shown]
	s_barrier
	ds_write_b8 v7, v1 offset:128
	ds_write_b8 v9, v4 offset:128
	;; [unrolled: 1-line block ×22, first 2 shown]
	s_and_saveexec_b64 s[2:3], vcc
	s_cbranch_execz .LBB1737_77
; %bb.68:
	v_lshl_or_b32 v4, s24, 4, v0
	v_mov_b32_e32 v5, 0
	v_lshlrev_b64 v[6:7], 2, v[4:5]
	v_mov_b32_e32 v1, s7
	v_add_co_u32_e64 v6, s[0:1], s6, v6
	v_addc_co_u32_e64 v7, s[0:1], v1, v7, s[0:1]
	v_or_b32_e32 v4, 2.0, v11
	s_mov_b64 s[18:19], 0
	s_brev_b32 s28, 1
	s_mov_b32 s29, s24
	v_mov_b32_e32 v12, 0
	global_store_dword v[6:7], v4, off
                                        ; implicit-def: $sgpr0_sgpr1
	s_branch .LBB1737_70
.LBB1737_69:                            ;   in Loop: Header=BB1737_70 Depth=1
	s_or_b64 exec, exec, s[20:21]
	v_and_b32_e32 v8, 0x3fffffff, v13
	v_add_u32_e32 v12, v8, v12
	v_cmp_eq_u32_e64 s[0:1], s28, v4
	s_and_b64 s[20:21], exec, s[0:1]
	s_or_b64 s[18:19], s[20:21], s[18:19]
	s_andn2_b64 exec, exec, s[18:19]
	s_cbranch_execz .LBB1737_76
.LBB1737_70:                            ; =>This Loop Header: Depth=1
                                        ;     Child Loop BB1737_73 Depth 2
	s_or_b64 s[0:1], s[0:1], exec
	s_cmp_eq_u32 s29, 0
	s_cbranch_scc1 .LBB1737_75
; %bb.71:                               ;   in Loop: Header=BB1737_70 Depth=1
	s_add_i32 s29, s29, -1
	v_lshl_or_b32 v4, s29, 4, v0
	v_lshlrev_b64 v[8:9], 2, v[4:5]
	v_add_co_u32_e64 v8, s[0:1], s6, v8
	v_addc_co_u32_e64 v9, s[0:1], v1, v9, s[0:1]
	global_load_dword v13, v[8:9], off glc
	s_waitcnt vmcnt(0)
	v_and_b32_e32 v4, -2.0, v13
	v_cmp_eq_u32_e64 s[0:1], 0, v4
	s_and_saveexec_b64 s[20:21], s[0:1]
	s_cbranch_execz .LBB1737_69
; %bb.72:                               ;   in Loop: Header=BB1737_70 Depth=1
	s_mov_b64 s[22:23], 0
.LBB1737_73:                            ;   Parent Loop BB1737_70 Depth=1
                                        ; =>  This Inner Loop Header: Depth=2
	global_load_dword v13, v[8:9], off glc
	s_waitcnt vmcnt(0)
	v_and_b32_e32 v4, -2.0, v13
	v_cmp_ne_u32_e64 s[0:1], 0, v4
	s_or_b64 s[22:23], s[0:1], s[22:23]
	s_andn2_b64 exec, exec, s[22:23]
	s_cbranch_execnz .LBB1737_73
; %bb.74:                               ;   in Loop: Header=BB1737_70 Depth=1
	s_or_b64 exec, exec, s[22:23]
	s_branch .LBB1737_69
.LBB1737_75:                            ;   in Loop: Header=BB1737_70 Depth=1
                                        ; implicit-def: $sgpr29
	s_and_b64 s[20:21], exec, s[0:1]
	s_or_b64 s[18:19], s[20:21], s[18:19]
	s_andn2_b64 exec, exec, s[18:19]
	s_cbranch_execnz .LBB1737_70
.LBB1737_76:
	s_or_b64 exec, exec, s[18:19]
	v_add_u32_e32 v1, v12, v11
	v_or_b32_e32 v1, 0x80000000, v1
	global_store_dword v[6:7], v1, off
	v_lshlrev_b32_e32 v1, 3, v0
	global_load_dwordx2 v[4:5], v1, s[8:9]
	v_sub_co_u32_e64 v6, s[0:1], v12, v2
	v_subb_co_u32_e64 v7, s[0:1], 0, v3, s[0:1]
	s_waitcnt vmcnt(0)
	v_add_co_u32_e64 v4, s[0:1], v6, v4
	v_addc_co_u32_e64 v5, s[0:1], v7, v5, s[0:1]
	ds_write_b64 v1, v[4:5]
.LBB1737_77:
	s_or_b64 exec, exec, s[2:3]
	v_cmp_gt_u32_e64 s[0:1], s26, v0
	s_waitcnt lgkmcnt(0)
	s_barrier
	s_and_saveexec_b64 s[2:3], s[0:1]
	s_cbranch_execz .LBB1737_79
; %bb.78:
	ds_read_u8 v1, v0 offset:128
	v_mov_b32_e32 v6, s15
	s_waitcnt lgkmcnt(0)
	v_lshrrev_b32_sdwa v4, s16, v1 dst_sel:DWORD dst_unused:UNUSED_PAD src0_sel:DWORD src1_sel:BYTE_0
	v_and_b32_e32 v4, s27, v4
	v_lshlrev_b32_e32 v4, 3, v4
	ds_read_b64 v[4:5], v4
	v_xor_b32_e32 v1, -1, v1
	s_waitcnt lgkmcnt(0)
	v_add_co_u32_e64 v4, s[0:1], s14, v4
	v_addc_co_u32_e64 v5, s[0:1], v6, v5, s[0:1]
	v_add_co_u32_e64 v4, s[0:1], v4, v0
	v_addc_co_u32_e64 v5, s[0:1], 0, v5, s[0:1]
	global_store_byte v[4:5], v1, off
.LBB1737_79:
	s_or_b64 exec, exec, s[2:3]
	v_or_b32_e32 v1, 0x200, v0
	v_cmp_gt_u32_e64 s[0:1], s26, v1
	s_and_saveexec_b64 s[2:3], s[0:1]
	s_cbranch_execz .LBB1737_81
; %bb.80:
	ds_read_u8 v1, v0 offset:640
	v_mov_b32_e32 v6, s15
	s_waitcnt lgkmcnt(0)
	v_lshrrev_b32_sdwa v4, s16, v1 dst_sel:DWORD dst_unused:UNUSED_PAD src0_sel:DWORD src1_sel:BYTE_0
	v_and_b32_e32 v4, s27, v4
	v_lshlrev_b32_e32 v4, 3, v4
	ds_read_b64 v[4:5], v4
	v_xor_b32_e32 v1, -1, v1
	s_waitcnt lgkmcnt(0)
	v_add_co_u32_e64 v4, s[0:1], s14, v4
	v_addc_co_u32_e64 v5, s[0:1], v6, v5, s[0:1]
	v_add_co_u32_e64 v4, s[0:1], v4, v0
	v_addc_co_u32_e64 v5, s[0:1], 0, v5, s[0:1]
	global_store_byte v[4:5], v1, off offset:512
.LBB1737_81:
	s_or_b64 exec, exec, s[2:3]
	v_or_b32_e32 v1, 0x400, v0
	v_cmp_gt_u32_e64 s[0:1], s26, v1
	s_and_saveexec_b64 s[2:3], s[0:1]
	s_cbranch_execz .LBB1737_83
; %bb.82:
	ds_read_u8 v1, v0 offset:1152
	v_mov_b32_e32 v6, s15
	s_waitcnt lgkmcnt(0)
	v_lshrrev_b32_sdwa v4, s16, v1 dst_sel:DWORD dst_unused:UNUSED_PAD src0_sel:DWORD src1_sel:BYTE_0
	v_and_b32_e32 v4, s27, v4
	v_lshlrev_b32_e32 v4, 3, v4
	ds_read_b64 v[4:5], v4
	v_xor_b32_e32 v1, -1, v1
	s_waitcnt lgkmcnt(0)
	v_add_co_u32_e64 v4, s[0:1], s14, v4
	v_addc_co_u32_e64 v5, s[0:1], v6, v5, s[0:1]
	v_add_co_u32_e64 v4, s[0:1], v4, v0
	v_addc_co_u32_e64 v5, s[0:1], 0, v5, s[0:1]
	global_store_byte v[4:5], v1, off offset:1024
.LBB1737_83:
	;; [unrolled: 21-line block ×7, first 2 shown]
	s_or_b64 exec, exec, s[2:3]
	v_or_b32_e32 v1, 0x1000, v0
	v_cmp_gt_u32_e64 s[0:1], s26, v1
	s_and_saveexec_b64 s[2:3], s[0:1]
	s_cbranch_execz .LBB1737_95
; %bb.94:
	ds_read_u8 v6, v0 offset:4224
	v_mov_b32_e32 v7, s15
	s_waitcnt lgkmcnt(0)
	v_lshrrev_b32_sdwa v4, s16, v6 dst_sel:DWORD dst_unused:UNUSED_PAD src0_sel:DWORD src1_sel:BYTE_0
	v_and_b32_e32 v4, s27, v4
	v_lshlrev_b32_e32 v4, 3, v4
	ds_read_b64 v[4:5], v4
	v_xor_b32_e32 v6, -1, v6
	s_waitcnt lgkmcnt(0)
	v_add_co_u32_e64 v4, s[0:1], s14, v4
	v_addc_co_u32_e64 v5, s[0:1], v7, v5, s[0:1]
	v_add_co_u32_e64 v4, s[0:1], v4, v1
	v_addc_co_u32_e64 v5, s[0:1], 0, v5, s[0:1]
	global_store_byte v[4:5], v6, off
.LBB1737_95:
	s_or_b64 exec, exec, s[2:3]
	v_or_b32_e32 v1, 0x1200, v0
	v_cmp_gt_u32_e64 s[0:1], s26, v1
	s_and_saveexec_b64 s[2:3], s[0:1]
	s_cbranch_execz .LBB1737_97
; %bb.96:
	ds_read_u8 v6, v0 offset:4736
	v_mov_b32_e32 v7, s15
	s_waitcnt lgkmcnt(0)
	v_lshrrev_b32_sdwa v4, s16, v6 dst_sel:DWORD dst_unused:UNUSED_PAD src0_sel:DWORD src1_sel:BYTE_0
	v_and_b32_e32 v4, s27, v4
	v_lshlrev_b32_e32 v4, 3, v4
	ds_read_b64 v[4:5], v4
	v_xor_b32_e32 v6, -1, v6
	s_waitcnt lgkmcnt(0)
	v_add_co_u32_e64 v4, s[0:1], s14, v4
	v_addc_co_u32_e64 v5, s[0:1], v7, v5, s[0:1]
	v_add_co_u32_e64 v4, s[0:1], v4, v1
	v_addc_co_u32_e64 v5, s[0:1], 0, v5, s[0:1]
	global_store_byte v[4:5], v6, off
.LBB1737_97:
	;; [unrolled: 21-line block ×14, first 2 shown]
	s_or_b64 exec, exec, s[2:3]
	s_load_dword s2, s[4:5], 0x58
	s_mov_b64 s[0:1], 0
	s_mov_b64 s[18:19], 0
                                        ; implicit-def: $vgpr4_vgpr5
	s_waitcnt lgkmcnt(0)
	s_add_i32 s2, s2, -1
	s_cmp_eq_u32 s2, s24
	s_cselect_b64 s[2:3], -1, 0
	s_and_b64 s[2:3], vcc, s[2:3]
	s_and_saveexec_b64 s[20:21], s[2:3]
	s_xor_b64 s[2:3], exec, s[20:21]
; %bb.122:
	v_add_co_u32_e32 v4, vcc, v2, v11
	s_mov_b64 s[18:19], exec
	v_mov_b32_e32 v1, 0
	v_addc_co_u32_e32 v5, vcc, 0, v3, vcc
; %bb.123:
	s_or_b64 exec, exec, s[2:3]
	s_and_b64 vcc, exec, s[0:1]
	s_cbranch_vccnz .LBB1737_125
	s_branch .LBB1737_158
.LBB1737_124:
	s_mov_b64 s[18:19], 0
                                        ; implicit-def: $vgpr4_vgpr5
	s_cbranch_execz .LBB1737_158
.LBB1737_125:
	s_add_u32 s0, s12, s25
	s_addc_u32 s1, s13, 0
	global_load_ushort v7, v10, s[0:1] offset:20
	global_load_dwordx4 v[2:5], v10, s[0:1]
	global_load_dword v6, v10, s[0:1] offset:16
	v_mov_b32_e32 v9, 8
	s_mov_b32 s12, 0x3020104
	v_lshlrev_b32_e32 v1, 2, v0
	v_mov_b32_e32 v8, 0
	s_mov_b64 s[0:1], -1
	ds_write2st64_b32 v1, v8, v8 offset1:8
	ds_write2st64_b32 v1, v8, v8 offset0:16 offset1:24
	s_waitcnt vmcnt(2)
	v_lshrrev_b32_sdwa v9, v9, v7 dst_sel:BYTE_1 dst_unused:UNUSED_PAD src0_sel:DWORD src1_sel:DWORD
	v_or_b32_sdwa v7, v7, v9 dst_sel:DWORD dst_unused:UNUSED_PAD src0_sel:BYTE_0 src1_sel:DWORD
	s_and_saveexec_b64 s[2:3], s[0:1]
	s_cbranch_execz .LBB1737_127
; %bb.126:
	ds_write_b32 v1, v8 offset:8192
.LBB1737_127:
	s_or_b64 exec, exec, s[2:3]
	v_and_b32_e32 v7, 0xffff, v7
	s_waitcnt vmcnt(0)
	v_perm_b32 v6, v6, v6, s12
	s_and_saveexec_b64 s[2:3], s[0:1]
	s_cbranch_execz .LBB1737_129
; %bb.128:
	v_mov_b32_e32 v8, 0
	ds_write_b32 v1, v8 offset:10240
.LBB1737_129:
	s_or_b64 exec, exec, s[2:3]
	v_cmp_gt_u32_e64 s[0:1], 7, 6
	v_cmp_gt_u32_e64 s[12:13], 7, 5
	s_and_saveexec_b64 s[2:3], s[12:13]
	s_cbranch_execz .LBB1737_131
; %bb.130:
	v_mov_b32_e32 v8, 0
	ds_write_b32 v1, v8 offset:12288
.LBB1737_131:
	s_or_b64 exec, exec, s[2:3]
	s_and_saveexec_b64 s[2:3], s[0:1]
	s_cbranch_execz .LBB1737_133
; %bb.132:
	v_mov_b32_e32 v8, 0
	ds_write_b32 v1, v8 offset:14336
.LBB1737_133:
	s_or_b64 exec, exec, s[2:3]
	v_xor_b32_e32 v1, -1, v2
	s_lshl_b32 s0, -1, s17
	s_not_b32 s17, s0
	v_lshrrev_b32_sdwa v8, s16, v1 dst_sel:DWORD dst_unused:UNUSED_PAD src0_sel:DWORD src1_sel:BYTE_0
	v_and_b32_e32 v8, s17, v8
	v_lshrrev_b32_e32 v9, 3, v8
	v_lshlrev_b32_e32 v8, 9, v8
	s_movk_i32 s0, 0xe00
	v_and_or_b32 v8, v8, s0, v0
	v_lshlrev_b32_e32 v8, 1, v8
	v_add_lshl_u32 v10, v8, v9, 1
	ds_read_u16 v12, v10
	v_lshrrev_b32_e32 v8, 8, v2
	v_xor_b32_e32 v8, -1, v8
	v_mov_b32_e32 v44, -1
	v_lshrrev_b64 v[18:19], 24, v[2:3]
	s_waitcnt lgkmcnt(0)
	v_add_u16_e32 v9, 1, v12
	ds_write_b16 v10, v9
	v_lshrrev_b32_sdwa v9, s16, v8 dst_sel:DWORD dst_unused:UNUSED_PAD src0_sel:DWORD src1_sel:BYTE_0
	v_and_b32_e32 v9, s17, v9
	v_lshrrev_b32_e32 v11, 3, v9
	v_lshlrev_b32_e32 v9, 9, v9
	v_and_or_b32 v9, v9, s0, v0
	v_lshlrev_b32_e32 v9, 1, v9
	v_add_lshl_u32 v27, v9, v11, 1
	ds_read_u16 v14, v27
	v_xor_b32_sdwa v9, v2, v44 dst_sel:DWORD dst_unused:UNUSED_PAD src0_sel:WORD_1 src1_sel:DWORD
	v_lshrrev_b64 v[36:37], 24, v[4:5]
	v_lshrrev_b64 v[64:65], 24, v[6:7]
	s_waitcnt lgkmcnt(0)
	v_add_u16_e32 v11, 1, v14
	ds_write_b16 v27, v11
	v_lshrrev_b32_sdwa v11, s16, v9 dst_sel:DWORD dst_unused:UNUSED_PAD src0_sel:DWORD src1_sel:BYTE_0
	v_and_b32_e32 v11, s17, v11
	v_lshrrev_b32_e32 v13, 3, v11
	v_lshlrev_b32_e32 v11, 9, v11
	v_and_or_b32 v11, v11, s0, v0
	v_lshlrev_b32_e32 v11, 1, v11
	v_add_lshl_u32 v30, v11, v13, 1
	ds_read_u16 v16, v30
	v_xor_b32_e32 v11, -1, v18
	s_waitcnt lgkmcnt(0)
	v_add_u16_e32 v2, 1, v16
	ds_write_b16 v30, v2
	v_lshrrev_b32_sdwa v2, s16, v11 dst_sel:DWORD dst_unused:UNUSED_PAD src0_sel:DWORD src1_sel:BYTE_0
	v_and_b32_e32 v2, s17, v2
	v_lshrrev_b32_e32 v13, 3, v2
	v_lshlrev_b32_e32 v2, 9, v2
	v_and_or_b32 v2, v2, s0, v0
	v_lshlrev_b32_e32 v2, 1, v2
	v_add_lshl_u32 v2, v2, v13, 1
	ds_read_u16 v18, v2
	v_xor_b32_e32 v13, -1, v3
	s_waitcnt lgkmcnt(0)
	v_add_u16_e32 v15, 1, v18
	ds_write_b16 v2, v15
	v_lshrrev_b32_sdwa v15, s16, v13 dst_sel:DWORD dst_unused:UNUSED_PAD src0_sel:DWORD src1_sel:BYTE_0
	v_and_b32_e32 v15, s17, v15
	v_lshrrev_b32_e32 v17, 3, v15
	v_lshlrev_b32_e32 v15, 9, v15
	v_and_or_b32 v15, v15, s0, v0
	v_lshlrev_b32_e32 v15, 1, v15
	v_add_lshl_u32 v35, v15, v17, 1
	ds_read_u16 v20, v35
	v_lshrrev_b32_e32 v15, 8, v3
	v_xor_b32_e32 v15, -1, v15
	s_waitcnt lgkmcnt(0)
	v_add_u16_e32 v17, 1, v20
	ds_write_b16 v35, v17
	v_lshrrev_b32_sdwa v17, s16, v15 dst_sel:DWORD dst_unused:UNUSED_PAD src0_sel:DWORD src1_sel:BYTE_0
	v_and_b32_e32 v17, s17, v17
	v_lshrrev_b32_e32 v19, 3, v17
	v_lshlrev_b32_e32 v17, 9, v17
	v_and_or_b32 v17, v17, s0, v0
	v_lshlrev_b32_e32 v17, 1, v17
	v_add_lshl_u32 v38, v17, v19, 1
	ds_read_u16 v22, v38
	v_xor_b32_sdwa v17, v3, v44 dst_sel:DWORD dst_unused:UNUSED_PAD src0_sel:WORD_1 src1_sel:DWORD
	s_waitcnt lgkmcnt(0)
	v_add_u16_e32 v19, 1, v22
	ds_write_b16 v38, v19
	v_lshrrev_b32_sdwa v19, s16, v17 dst_sel:DWORD dst_unused:UNUSED_PAD src0_sel:DWORD src1_sel:BYTE_0
	v_and_b32_e32 v19, s17, v19
	v_lshrrev_b32_e32 v21, 3, v19
	v_lshlrev_b32_e32 v19, 9, v19
	v_and_or_b32 v19, v19, s0, v0
	v_lshlrev_b32_e32 v19, 1, v19
	v_add_lshl_u32 v40, v19, v21, 1
	ds_read_u16 v24, v40
	v_xor_b32_sdwa v19, v3, v44 dst_sel:DWORD dst_unused:UNUSED_PAD src0_sel:BYTE_3 src1_sel:DWORD
	s_waitcnt lgkmcnt(0)
	v_add_u16_e32 v3, 1, v24
	ds_write_b16 v40, v3
	v_lshrrev_b32_sdwa v3, s16, v19 dst_sel:DWORD dst_unused:UNUSED_PAD src0_sel:DWORD src1_sel:BYTE_0
	v_and_b32_e32 v3, s17, v3
	v_lshrrev_b32_e32 v21, 3, v3
	v_lshlrev_b32_e32 v3, 9, v3
	v_and_or_b32 v3, v3, s0, v0
	v_lshlrev_b32_e32 v3, 1, v3
	v_add_lshl_u32 v3, v3, v21, 1
	ds_read_u16 v26, v3
	v_xor_b32_e32 v21, -1, v4
	s_waitcnt lgkmcnt(0)
	v_add_u16_e32 v23, 1, v26
	ds_write_b16 v3, v23
	v_lshrrev_b32_sdwa v23, s16, v21 dst_sel:DWORD dst_unused:UNUSED_PAD src0_sel:DWORD src1_sel:BYTE_0
	v_and_b32_e32 v23, s17, v23
	v_lshrrev_b32_e32 v25, 3, v23
	v_lshlrev_b32_e32 v23, 9, v23
	v_and_or_b32 v23, v23, s0, v0
	v_lshlrev_b32_e32 v23, 1, v23
	v_add_lshl_u32 v45, v23, v25, 1
	ds_read_u16 v28, v45
	v_lshrrev_b32_e32 v23, 8, v4
	v_xor_b32_e32 v23, -1, v23
	s_waitcnt lgkmcnt(0)
	v_add_u16_e32 v25, 1, v28
	ds_write_b16 v45, v25
	v_lshrrev_b32_sdwa v25, s16, v23 dst_sel:DWORD dst_unused:UNUSED_PAD src0_sel:DWORD src1_sel:BYTE_0
	v_and_b32_e32 v25, s17, v25
	v_lshrrev_b32_e32 v29, 3, v25
	v_lshlrev_b32_e32 v25, 9, v25
	v_and_or_b32 v25, v25, s0, v0
	v_lshlrev_b32_e32 v25, 1, v25
	v_add_lshl_u32 v48, v25, v29, 1
	ds_read_u16 v31, v48
	v_xor_b32_sdwa v25, v4, v44 dst_sel:DWORD dst_unused:UNUSED_PAD src0_sel:WORD_1 src1_sel:DWORD
	v_xor_b32_e32 v4, -1, v36
	s_waitcnt lgkmcnt(0)
	v_add_u16_e32 v29, 1, v31
	ds_write_b16 v48, v29
	v_lshrrev_b32_sdwa v29, s16, v25 dst_sel:DWORD dst_unused:UNUSED_PAD src0_sel:DWORD src1_sel:BYTE_0
	v_and_b32_e32 v29, s17, v29
	v_lshrrev_b32_e32 v32, 3, v29
	v_lshlrev_b32_e32 v29, 9, v29
	v_and_or_b32 v29, v29, s0, v0
	v_lshlrev_b32_e32 v29, 1, v29
	v_add_lshl_u32 v50, v29, v32, 1
	ds_read_u16 v33, v50
	s_waitcnt lgkmcnt(0)
	v_add_u16_e32 v29, 1, v33
	ds_write_b16 v50, v29
	v_lshrrev_b32_sdwa v29, s16, v4 dst_sel:DWORD dst_unused:UNUSED_PAD src0_sel:DWORD src1_sel:BYTE_0
	v_and_b32_e32 v29, s17, v29
	v_lshrrev_b32_e32 v32, 3, v29
	v_lshlrev_b32_e32 v29, 9, v29
	v_and_or_b32 v29, v29, s0, v0
	v_lshlrev_b32_e32 v29, 1, v29
	v_add_lshl_u32 v53, v29, v32, 1
	ds_read_u16 v36, v53
	v_xor_b32_e32 v29, -1, v5
	s_waitcnt lgkmcnt(0)
	v_add_u16_e32 v32, 1, v36
	ds_write_b16 v53, v32
	v_lshrrev_b32_sdwa v32, s16, v29 dst_sel:DWORD dst_unused:UNUSED_PAD src0_sel:DWORD src1_sel:BYTE_0
	v_and_b32_e32 v32, s17, v32
	v_lshrrev_b32_e32 v34, 3, v32
	v_lshlrev_b32_e32 v32, 9, v32
	v_and_or_b32 v32, v32, s0, v0
	v_lshlrev_b32_e32 v32, 1, v32
	v_add_lshl_u32 v54, v32, v34, 1
	ds_read_u16 v37, v54
	v_lshrrev_b32_e32 v32, 8, v5
	v_xor_b32_e32 v32, -1, v32
	s_waitcnt lgkmcnt(0)
	v_add_u16_e32 v34, 1, v37
	ds_write_b16 v54, v34
	v_lshrrev_b32_sdwa v34, s16, v32 dst_sel:DWORD dst_unused:UNUSED_PAD src0_sel:DWORD src1_sel:BYTE_0
	v_and_b32_e32 v34, s17, v34
	v_lshrrev_b32_e32 v39, 3, v34
	v_lshlrev_b32_e32 v34, 9, v34
	v_and_or_b32 v34, v34, s0, v0
	v_lshlrev_b32_e32 v34, 1, v34
	v_add_lshl_u32 v57, v34, v39, 1
	ds_read_u16 v41, v57
	v_xor_b32_sdwa v34, v5, v44 dst_sel:DWORD dst_unused:UNUSED_PAD src0_sel:WORD_1 src1_sel:DWORD
	v_xor_b32_sdwa v5, v5, v44 dst_sel:DWORD dst_unused:UNUSED_PAD src0_sel:BYTE_3 src1_sel:DWORD
	v_xor_b32_sdwa v44, v6, v44 dst_sel:DWORD dst_unused:UNUSED_PAD src0_sel:WORD_1 src1_sel:DWORD
	s_waitcnt lgkmcnt(0)
	v_add_u16_e32 v39, 1, v41
	ds_write_b16 v57, v39
	v_lshrrev_b32_sdwa v39, s16, v34 dst_sel:DWORD dst_unused:UNUSED_PAD src0_sel:DWORD src1_sel:BYTE_0
	v_and_b32_e32 v39, s17, v39
	v_lshrrev_b32_e32 v42, 3, v39
	v_lshlrev_b32_e32 v39, 9, v39
	v_and_or_b32 v39, v39, s0, v0
	v_lshlrev_b32_e32 v39, 1, v39
	v_add_lshl_u32 v58, v39, v42, 1
	ds_read_u16 v43, v58
	s_waitcnt lgkmcnt(0)
	v_add_u16_e32 v39, 1, v43
	ds_write_b16 v58, v39
	v_lshrrev_b32_sdwa v39, s16, v5 dst_sel:DWORD dst_unused:UNUSED_PAD src0_sel:DWORD src1_sel:BYTE_0
	v_and_b32_e32 v39, s17, v39
	v_lshrrev_b32_e32 v42, 3, v39
	v_lshlrev_b32_e32 v39, 9, v39
	v_and_or_b32 v39, v39, s0, v0
	v_lshlrev_b32_e32 v39, 1, v39
	v_add_lshl_u32 v60, v39, v42, 1
	ds_read_u16 v46, v60
	v_xor_b32_e32 v39, -1, v6
	s_waitcnt lgkmcnt(0)
	v_add_u16_e32 v42, 1, v46
	ds_write_b16 v60, v42
	v_lshrrev_b32_sdwa v42, s16, v39 dst_sel:DWORD dst_unused:UNUSED_PAD src0_sel:DWORD src1_sel:BYTE_0
	v_and_b32_e32 v42, s17, v42
	v_lshrrev_b32_e32 v47, 3, v42
	v_lshlrev_b32_e32 v42, 9, v42
	v_and_or_b32 v42, v42, s0, v0
	v_lshlrev_b32_e32 v42, 1, v42
	v_add_lshl_u32 v61, v42, v47, 1
	ds_read_u16 v47, v61
	v_lshrrev_b32_e32 v42, 8, v6
	v_xor_b32_e32 v42, -1, v42
	v_xor_b32_e32 v6, -1, v64
	s_waitcnt lgkmcnt(0)
	v_add_u16_e32 v49, 1, v47
	ds_write_b16 v61, v49
	v_lshrrev_b32_sdwa v49, s16, v42 dst_sel:DWORD dst_unused:UNUSED_PAD src0_sel:DWORD src1_sel:BYTE_0
	v_and_b32_e32 v49, s17, v49
	v_lshrrev_b32_e32 v51, 3, v49
	v_lshlrev_b32_e32 v49, 9, v49
	v_and_or_b32 v49, v49, s0, v0
	v_lshlrev_b32_e32 v49, 1, v49
	v_add_lshl_u32 v62, v49, v51, 1
	ds_read_u16 v51, v62
	s_waitcnt lgkmcnt(0)
	v_add_u16_e32 v49, 1, v51
	ds_write_b16 v62, v49
	v_lshrrev_b32_sdwa v49, s16, v44 dst_sel:DWORD dst_unused:UNUSED_PAD src0_sel:DWORD src1_sel:BYTE_0
	v_and_b32_e32 v49, s17, v49
	v_lshrrev_b32_e32 v52, 3, v49
	v_lshlrev_b32_e32 v49, 9, v49
	v_and_or_b32 v49, v49, s0, v0
	v_lshlrev_b32_e32 v49, 1, v49
	v_add_lshl_u32 v63, v49, v52, 1
	ds_read_u16 v52, v63
	;; [unrolled: 11-line block ×3, first 2 shown]
	v_xor_b32_e32 v49, -1, v7
	v_lshrrev_b32_e32 v7, 8, v7
	v_xor_b32_e32 v7, -1, v7
	s_waitcnt lgkmcnt(0)
	v_add_u16_e32 v56, 1, v55
	ds_write_b16 v64, v56
	v_lshrrev_b32_sdwa v56, s16, v49 dst_sel:DWORD dst_unused:UNUSED_PAD src0_sel:DWORD src1_sel:BYTE_0
	v_and_b32_e32 v56, s17, v56
	v_lshrrev_b32_e32 v59, 3, v56
	v_lshlrev_b32_e32 v56, 9, v56
	v_and_or_b32 v56, v56, s0, v0
	v_lshlrev_b32_e32 v56, 1, v56
	v_add_lshl_u32 v65, v56, v59, 1
	ds_read_u16 v56, v65
	s_waitcnt lgkmcnt(0)
	v_add_u16_e32 v59, 1, v56
	ds_write_b16 v65, v59
	v_lshrrev_b32_sdwa v59, s16, v7 dst_sel:DWORD dst_unused:UNUSED_PAD src0_sel:DWORD src1_sel:BYTE_0
	v_and_b32_e32 v59, s17, v59
	v_lshrrev_b32_e32 v66, 3, v59
	v_lshlrev_b32_e32 v59, 9, v59
	v_and_or_b32 v59, v59, s0, v0
	v_lshlrev_b32_e32 v59, 1, v59
	v_add_lshl_u32 v66, v59, v66, 1
	ds_read_u16 v59, v66
	s_waitcnt lgkmcnt(0)
	v_add_u16_e32 v67, 1, v59
	ds_write_b16 v66, v67
	v_lshlrev_b32_e32 v67, 5, v0
	s_waitcnt lgkmcnt(0)
	s_barrier
	ds_read2_b64 v[68:71], v67 offset1:1
	ds_read2_b64 v[72:75], v67 offset0:2 offset1:3
	s_waitcnt lgkmcnt(1)
	v_add_u32_e32 v68, v69, v68
	v_add3_u32 v68, v68, v70, v71
	s_waitcnt lgkmcnt(0)
	v_add3_u32 v68, v68, v72, v73
	v_add3_u32 v69, v68, v74, v75
	v_mbcnt_lo_u32_b32 v68, -1, 0
	v_mbcnt_hi_u32_b32 v68, -1, v68
	v_and_b32_e32 v70, 15, v68
	v_mov_b32_dpp v71, v69 row_shr:1 row_mask:0xf bank_mask:0xf
	v_cmp_ne_u32_e32 vcc, 0, v70
	v_cndmask_b32_e32 v71, 0, v71, vcc
	v_add_u32_e32 v69, v71, v69
	v_cmp_lt_u32_e32 vcc, 1, v70
	s_nop 0
	v_mov_b32_dpp v71, v69 row_shr:2 row_mask:0xf bank_mask:0xf
	v_cndmask_b32_e32 v71, 0, v71, vcc
	v_add_u32_e32 v69, v69, v71
	v_cmp_lt_u32_e32 vcc, 3, v70
	s_nop 0
	v_mov_b32_dpp v71, v69 row_shr:4 row_mask:0xf bank_mask:0xf
	;; [unrolled: 5-line block ×3, first 2 shown]
	v_cndmask_b32_e32 v70, 0, v71, vcc
	v_add_u32_e32 v69, v69, v70
	v_bfe_i32 v71, v68, 4, 1
	v_cmp_lt_u32_e32 vcc, 31, v68
	v_mov_b32_dpp v70, v69 row_bcast:15 row_mask:0xf bank_mask:0xf
	v_and_b32_e32 v70, v71, v70
	v_add_u32_e32 v69, v69, v70
	v_or_b32_e32 v71, 63, v0
	s_nop 0
	v_mov_b32_dpp v70, v69 row_bcast:31 row_mask:0xf bank_mask:0xf
	v_cndmask_b32_e32 v70, 0, v70, vcc
	v_add_u32_e32 v69, v69, v70
	v_lshrrev_b32_e32 v70, 6, v0
	v_cmp_eq_u32_e32 vcc, v71, v0
	v_lshlrev_b32_e32 v70, 2, v70
	s_and_saveexec_b64 s[0:1], vcc
	s_cbranch_execz .LBB1737_135
; %bb.134:
	ds_write_b32 v70, v69 offset:16384
.LBB1737_135:
	s_or_b64 exec, exec, s[0:1]
	v_cmp_gt_u32_e32 vcc, 8, v0
	s_waitcnt lgkmcnt(0)
	s_barrier
	s_and_saveexec_b64 s[0:1], vcc
	s_cbranch_execz .LBB1737_137
; %bb.136:
	s_movk_i32 s2, 0xffe4
	v_mad_i32_i24 v71, v0, s2, v67
	ds_read_b32 v72, v71 offset:16384
	v_and_b32_e32 v73, 7, v68
	v_cmp_ne_u32_e32 vcc, 0, v73
	s_waitcnt lgkmcnt(0)
	v_mov_b32_dpp v74, v72 row_shr:1 row_mask:0xf bank_mask:0xf
	v_cndmask_b32_e32 v74, 0, v74, vcc
	v_add_u32_e32 v72, v74, v72
	v_cmp_lt_u32_e32 vcc, 1, v73
	s_nop 0
	v_mov_b32_dpp v74, v72 row_shr:2 row_mask:0xf bank_mask:0xf
	v_cndmask_b32_e32 v74, 0, v74, vcc
	v_add_u32_e32 v72, v72, v74
	v_cmp_lt_u32_e32 vcc, 3, v73
	s_nop 0
	v_mov_b32_dpp v74, v72 row_shr:4 row_mask:0xf bank_mask:0xf
	v_cndmask_b32_e32 v73, 0, v74, vcc
	v_add_u32_e32 v72, v72, v73
	ds_write_b32 v71, v72 offset:16384
.LBB1737_137:
	s_or_b64 exec, exec, s[0:1]
	v_cmp_lt_u32_e32 vcc, 63, v0
	v_mov_b32_e32 v72, 0
	v_mov_b32_e32 v71, 0
	s_waitcnt lgkmcnt(0)
	s_barrier
	s_and_saveexec_b64 s[0:1], vcc
	s_cbranch_execz .LBB1737_139
; %bb.138:
	ds_read_b32 v71, v70 offset:16380
.LBB1737_139:
	s_or_b64 exec, exec, s[0:1]
	v_add_u32_e32 v70, -1, v68
	v_and_b32_e32 v73, 64, v68
	v_cmp_lt_i32_e32 vcc, v70, v73
	v_cndmask_b32_e32 v70, v70, v68, vcc
	s_waitcnt lgkmcnt(0)
	v_add_u32_e32 v69, v71, v69
	v_lshlrev_b32_e32 v70, 2, v70
	ds_bpermute_b32 v69, v70, v69
	ds_read_b32 v70, v72 offset:16412
	ds_read2_b64 v[72:75], v67 offset1:1
	v_cmp_eq_u32_e32 vcc, 0, v68
	ds_read_b32 v76, v67 offset:24
	v_cmp_lt_u32_e64 s[0:1], 15, v0
	s_waitcnt lgkmcnt(3)
	v_cndmask_b32_e32 v68, v69, v71, vcc
	s_waitcnt lgkmcnt(2)
	v_lshl_add_u32 v68, v70, 16, v68
	ds_read_b64 v[70:71], v67 offset:16
	s_waitcnt lgkmcnt(2)
	v_add_u32_e32 v69, v68, v72
	v_add_u32_e32 v72, v73, v69
	;; [unrolled: 1-line block ×3, first 2 shown]
	ds_write2_b64 v67, v[68:69], v[72:73] offset1:1
	v_add_u32_e32 v68, v75, v73
	s_waitcnt lgkmcnt(1)
	v_add_u32_e32 v69, v70, v68
	v_add_u32_e32 v70, v71, v69
	;; [unrolled: 1-line block ×3, first 2 shown]
	ds_write2_b64 v67, v[68:69], v[70:71] offset0:2 offset1:3
	s_waitcnt lgkmcnt(0)
	s_barrier
	ds_read_u16 v67, v10
	ds_read_u16 v27, v27
	;; [unrolled: 1-line block ×22, first 2 shown]
	v_cmp_gt_u32_e32 vcc, 16, v0
	v_pk_mov_b32 v[2:3], 0, 0
                                        ; implicit-def: $vgpr10
	s_and_saveexec_b64 s[12:13], vcc
	s_cbranch_execz .LBB1737_143
; %bb.140:
	v_lshrrev_b32_e32 v2, 3, v0
	v_lshlrev_b32_e32 v3, 10, v0
	s_movk_i32 s22, 0x1c00
	v_and_or_b32 v2, v3, s22, v2
	v_lshlrev_b32_e32 v2, 1, v2
	ds_read_u16 v2, v2
	v_add_u32_e32 v10, 1, v0
	v_cmp_ne_u32_e64 s[2:3], 16, v10
	v_mov_b32_e32 v3, 0x2c00
	s_and_saveexec_b64 s[20:21], s[2:3]
	s_cbranch_execz .LBB1737_142
; %bb.141:
	v_lshlrev_b32_e32 v3, 10, v10
	v_lshrrev_b32_e32 v10, 3, v10
	v_and_or_b32 v3, v3, s22, v10
	v_lshlrev_b32_e32 v3, 1, v3
	ds_read_u16 v3, v3
.LBB1737_142:
	s_or_b64 exec, exec, s[20:21]
	s_waitcnt lgkmcnt(0)
	v_and_b32_e32 v2, 0xffff, v2
	s_mov_b32 s2, 0
	v_sub_u32_e32 v10, v3, v2
	v_mov_b32_e32 v3, s2
.LBB1737_143:
	s_or_b64 exec, exec, s[12:13]
	s_waitcnt lgkmcnt(14)
	v_add_u32_sdwa v12, v67, v12 dst_sel:DWORD dst_unused:UNUSED_PAD src0_sel:WORD_0 src1_sel:WORD_0
	v_add_u32_sdwa v14, v27, v14 dst_sel:DWORD dst_unused:UNUSED_PAD src0_sel:WORD_0 src1_sel:WORD_0
	;; [unrolled: 1-line block ×8, first 2 shown]
	s_waitcnt lgkmcnt(13)
	v_add_u32_sdwa v27, v45, v28 dst_sel:DWORD dst_unused:UNUSED_PAD src0_sel:WORD_0 src1_sel:WORD_0
	s_waitcnt lgkmcnt(12)
	v_add_u32_sdwa v28, v48, v31 dst_sel:DWORD dst_unused:UNUSED_PAD src0_sel:WORD_0 src1_sel:WORD_0
	;; [unrolled: 2-line block ×14, first 2 shown]
	s_barrier
	ds_write_b8 v12, v1 offset:128
	ds_write_b8 v14, v8 offset:128
	;; [unrolled: 1-line block ×22, first 2 shown]
	s_and_saveexec_b64 s[2:3], s[0:1]
	s_xor_b64 s[0:1], exec, s[2:3]
; %bb.144:
	v_mov_b32_e32 v1, 0
; %bb.145:
	s_andn2_saveexec_b64 s[2:3], s[0:1]
	s_cbranch_execz .LBB1737_155
; %bb.146:
	v_lshl_or_b32 v4, s24, 4, v0
	v_mov_b32_e32 v5, 0
	v_lshlrev_b64 v[6:7], 2, v[4:5]
	v_mov_b32_e32 v1, s7
	v_add_co_u32_e64 v6, s[0:1], s6, v6
	v_addc_co_u32_e64 v7, s[0:1], v1, v7, s[0:1]
	v_or_b32_e32 v4, 2.0, v10
	s_mov_b64 s[12:13], 0
	s_brev_b32 s7, 1
	s_mov_b32 s25, s24
	v_mov_b32_e32 v11, 0
	global_store_dword v[6:7], v4, off
                                        ; implicit-def: $sgpr0_sgpr1
	s_branch .LBB1737_149
.LBB1737_147:                           ;   in Loop: Header=BB1737_149 Depth=1
	s_or_b64 exec, exec, s[22:23]
.LBB1737_148:                           ;   in Loop: Header=BB1737_149 Depth=1
	s_or_b64 exec, exec, s[20:21]
	v_and_b32_e32 v8, 0x3fffffff, v12
	v_add_u32_e32 v11, v8, v11
	v_cmp_eq_u32_e64 s[0:1], s7, v4
	s_and_b64 s[20:21], exec, s[0:1]
	s_or_b64 s[12:13], s[20:21], s[12:13]
	s_andn2_b64 exec, exec, s[12:13]
	s_cbranch_execz .LBB1737_154
.LBB1737_149:                           ; =>This Loop Header: Depth=1
                                        ;     Child Loop BB1737_152 Depth 2
	s_or_b64 s[0:1], s[0:1], exec
	s_cmp_eq_u32 s25, 0
	s_cbranch_scc1 .LBB1737_153
; %bb.150:                              ;   in Loop: Header=BB1737_149 Depth=1
	s_add_i32 s25, s25, -1
	v_lshl_or_b32 v4, s25, 4, v0
	v_lshlrev_b64 v[8:9], 2, v[4:5]
	v_add_co_u32_e64 v8, s[0:1], s6, v8
	v_addc_co_u32_e64 v9, s[0:1], v1, v9, s[0:1]
	global_load_dword v12, v[8:9], off glc
	s_waitcnt vmcnt(0)
	v_and_b32_e32 v4, -2.0, v12
	v_cmp_eq_u32_e64 s[0:1], 0, v4
	s_and_saveexec_b64 s[20:21], s[0:1]
	s_cbranch_execz .LBB1737_148
; %bb.151:                              ;   in Loop: Header=BB1737_149 Depth=1
	s_mov_b64 s[22:23], 0
.LBB1737_152:                           ;   Parent Loop BB1737_149 Depth=1
                                        ; =>  This Inner Loop Header: Depth=2
	global_load_dword v12, v[8:9], off glc
	s_waitcnt vmcnt(0)
	v_and_b32_e32 v4, -2.0, v12
	v_cmp_ne_u32_e64 s[0:1], 0, v4
	s_or_b64 s[22:23], s[0:1], s[22:23]
	s_andn2_b64 exec, exec, s[22:23]
	s_cbranch_execnz .LBB1737_152
	s_branch .LBB1737_147
.LBB1737_153:                           ;   in Loop: Header=BB1737_149 Depth=1
                                        ; implicit-def: $sgpr25
	s_and_b64 s[20:21], exec, s[0:1]
	s_or_b64 s[12:13], s[20:21], s[12:13]
	s_andn2_b64 exec, exec, s[12:13]
	s_cbranch_execnz .LBB1737_149
.LBB1737_154:
	s_or_b64 exec, exec, s[12:13]
	v_add_u32_e32 v1, v11, v10
	v_or_b32_e32 v1, 0x80000000, v1
	global_store_dword v[6:7], v1, off
	v_lshlrev_b32_e32 v6, 3, v0
	global_load_dwordx2 v[4:5], v6, s[8:9]
	v_sub_co_u32_e64 v7, s[0:1], v11, v2
	v_subb_co_u32_e64 v8, s[0:1], 0, v3, s[0:1]
	v_mov_b32_e32 v1, 0
	s_waitcnt vmcnt(0)
	v_add_co_u32_e64 v4, s[0:1], v7, v4
	v_addc_co_u32_e64 v5, s[0:1], v8, v5, s[0:1]
	ds_write_b64 v6, v[4:5]
.LBB1737_155:
	s_or_b64 exec, exec, s[2:3]
	s_waitcnt lgkmcnt(0)
	s_barrier
	ds_read_u8 v11, v0 offset:10368
	ds_read_u8 v18, v0 offset:9344
	;; [unrolled: 1-line block ×5, first 2 shown]
	s_waitcnt lgkmcnt(4)
	v_lshrrev_b32_sdwa v4, s16, v11 dst_sel:DWORD dst_unused:UNUSED_PAD src0_sel:DWORD src1_sel:BYTE_0
	v_and_b32_e32 v4, s17, v4
	v_lshlrev_b32_e32 v4, 3, v4
	ds_read_b64 v[6:7], v4
	ds_read_u8 v8, v0 offset:128
	s_waitcnt lgkmcnt(2)
	v_lshrrev_b32_sdwa v4, s16, v21 dst_sel:DWORD dst_unused:UNUSED_PAD src0_sel:DWORD src1_sel:BYTE_0
	v_and_b32_e32 v4, s17, v4
	v_lshlrev_b32_e32 v4, 3, v4
	ds_read_b64 v[4:5], v4
	s_waitcnt lgkmcnt(1)
	v_lshrrev_b32_sdwa v9, s16, v8 dst_sel:DWORD dst_unused:UNUSED_PAD src0_sel:DWORD src1_sel:BYTE_0
	v_and_b32_e32 v9, s17, v9
	v_xor_b32_e32 v22, -1, v8
	v_lshlrev_b32_e32 v8, 3, v9
	v_lshrrev_b32_sdwa v9, s16, v20 dst_sel:DWORD dst_unused:UNUSED_PAD src0_sel:DWORD src1_sel:BYTE_0
	v_and_b32_e32 v9, s17, v9
	v_lshlrev_b32_e32 v12, 3, v9
	ds_read_u8 v24, v0 offset:1152
	ds_read_u8 v25, v0 offset:1664
	;; [unrolled: 1-line block ×8, first 2 shown]
	s_waitcnt lgkmcnt(7)
	v_lshrrev_b32_sdwa v9, s16, v24 dst_sel:DWORD dst_unused:UNUSED_PAD src0_sel:DWORD src1_sel:BYTE_0
	v_and_b32_e32 v9, s17, v9
	v_lshlrev_b32_e32 v14, 3, v9
	s_waitcnt lgkmcnt(6)
	v_lshrrev_b32_sdwa v9, s16, v25 dst_sel:DWORD dst_unused:UNUSED_PAD src0_sel:DWORD src1_sel:BYTE_0
	v_and_b32_e32 v9, s17, v9
	v_lshlrev_b32_e32 v16, 3, v9
	ds_read_b64 v[8:9], v8
	ds_read_b64 v[12:13], v12
	;; [unrolled: 1-line block ×4, first 2 shown]
	v_mov_b32_e32 v23, s15
	s_waitcnt lgkmcnt(3)
	v_add_co_u32_e64 v8, s[0:1], s14, v8
	v_addc_co_u32_e64 v9, s[0:1], v23, v9, s[0:1]
	v_add_co_u32_e64 v8, s[0:1], v8, v0
	v_addc_co_u32_e64 v9, s[0:1], v9, v1, s[0:1]
	global_store_byte v[8:9], v22, off
	v_mov_b32_e32 v8, s15
	s_waitcnt lgkmcnt(2)
	v_add_co_u32_e64 v9, s[0:1], s14, v12
	v_addc_co_u32_e64 v12, s[0:1], v8, v13, s[0:1]
	v_add_co_u32_e64 v8, s[0:1], v9, v0
	v_xor_b32_e32 v20, -1, v20
	v_addc_co_u32_e64 v9, s[0:1], v12, v1, s[0:1]
	global_store_byte v[8:9], v20, off offset:512
	v_mov_b32_e32 v8, s15
	s_waitcnt lgkmcnt(1)
	v_add_co_u32_e64 v9, s[0:1], s14, v14
	v_addc_co_u32_e64 v13, s[0:1], v8, v15, s[0:1]
	v_add_co_u32_e64 v8, s[0:1], v9, v0
	v_xor_b32_e32 v12, -1, v24
	v_addc_co_u32_e64 v9, s[0:1], v13, v1, s[0:1]
	global_store_byte v[8:9], v12, off offset:1024
	;; [unrolled: 8-line block ×3, first 2 shown]
	v_lshrrev_b32_sdwa v9, s16, v27 dst_sel:DWORD dst_unused:UNUSED_PAD src0_sel:DWORD src1_sel:BYTE_0
	v_and_b32_e32 v9, s17, v9
	v_lshlrev_b32_e32 v12, 3, v9
	v_lshrrev_b32_sdwa v9, s16, v28 dst_sel:DWORD dst_unused:UNUSED_PAD src0_sel:DWORD src1_sel:BYTE_0
	v_and_b32_e32 v9, s17, v9
	v_lshrrev_b32_sdwa v8, s16, v26 dst_sel:DWORD dst_unused:UNUSED_PAD src0_sel:DWORD src1_sel:BYTE_0
	v_lshlrev_b32_e32 v14, 3, v9
	v_lshrrev_b32_sdwa v9, s16, v29 dst_sel:DWORD dst_unused:UNUSED_PAD src0_sel:DWORD src1_sel:BYTE_0
	v_and_b32_e32 v8, s17, v8
	v_and_b32_e32 v9, s17, v9
	v_lshlrev_b32_e32 v8, 3, v8
	v_lshlrev_b32_e32 v16, 3, v9
	ds_read_b64 v[8:9], v8
	ds_read_b64 v[12:13], v12
	;; [unrolled: 1-line block ×4, first 2 shown]
	v_mov_b32_e32 v22, s15
	s_waitcnt lgkmcnt(3)
	v_add_co_u32_e64 v8, s[0:1], s14, v8
	v_addc_co_u32_e64 v9, s[0:1], v22, v9, s[0:1]
	v_add_co_u32_e64 v8, s[0:1], v8, v0
	v_xor_b32_e32 v20, -1, v26
	v_addc_co_u32_e64 v9, s[0:1], v9, v1, s[0:1]
	global_store_byte v[8:9], v20, off offset:2048
	v_mov_b32_e32 v8, s15
	s_waitcnt lgkmcnt(2)
	v_add_co_u32_e64 v9, s[0:1], s14, v12
	v_addc_co_u32_e64 v12, s[0:1], v8, v13, s[0:1]
	v_add_co_u32_e64 v8, s[0:1], v9, v0
	v_xor_b32_e32 v20, -1, v27
	v_addc_co_u32_e64 v9, s[0:1], v12, v1, s[0:1]
	global_store_byte v[8:9], v20, off offset:2560
	;; [unrolled: 8-line block ×4, first 2 shown]
	v_lshrrev_b32_sdwa v9, s16, v31 dst_sel:DWORD dst_unused:UNUSED_PAD src0_sel:DWORD src1_sel:BYTE_0
	v_and_b32_e32 v9, s17, v9
	v_lshrrev_b32_sdwa v8, s16, v30 dst_sel:DWORD dst_unused:UNUSED_PAD src0_sel:DWORD src1_sel:BYTE_0
	v_xor_b32_e32 v22, -1, v30
	v_lshlrev_b32_e32 v12, 3, v9
	ds_read_u8 v24, v0 offset:5248
	ds_read_u8 v25, v0 offset:5760
	;; [unrolled: 1-line block ×8, first 2 shown]
	s_waitcnt lgkmcnt(7)
	v_lshrrev_b32_sdwa v9, s16, v24 dst_sel:DWORD dst_unused:UNUSED_PAD src0_sel:DWORD src1_sel:BYTE_0
	v_and_b32_e32 v9, s17, v9
	v_lshlrev_b32_e32 v14, 3, v9
	s_waitcnt lgkmcnt(6)
	v_lshrrev_b32_sdwa v9, s16, v25 dst_sel:DWORD dst_unused:UNUSED_PAD src0_sel:DWORD src1_sel:BYTE_0
	v_and_b32_e32 v8, s17, v8
	v_and_b32_e32 v9, s17, v9
	v_lshlrev_b32_e32 v8, 3, v8
	v_lshlrev_b32_e32 v16, 3, v9
	ds_read_b64 v[8:9], v8
	ds_read_b64 v[12:13], v12
	;; [unrolled: 1-line block ×4, first 2 shown]
	v_or_b32_e32 v20, 0x1000, v0
	s_waitcnt lgkmcnt(3)
	v_add_co_u32_e64 v8, s[0:1], s14, v8
	v_addc_co_u32_e64 v9, s[0:1], v23, v9, s[0:1]
	v_add_co_u32_e64 v8, s[0:1], v8, v20
	v_addc_co_u32_e64 v9, s[0:1], 0, v9, s[0:1]
	global_store_byte v[8:9], v22, off
	v_mov_b32_e32 v9, s15
	s_waitcnt lgkmcnt(2)
	v_add_co_u32_e64 v12, s[0:1], s14, v12
	v_or_b32_e32 v8, 0x1200, v0
	v_addc_co_u32_e64 v9, s[0:1], v9, v13, s[0:1]
	v_add_co_u32_e64 v8, s[0:1], v12, v8
	v_xor_b32_e32 v20, -1, v31
	v_addc_co_u32_e64 v9, s[0:1], 0, v9, s[0:1]
	global_store_byte v[8:9], v20, off
	v_mov_b32_e32 v9, s15
	s_waitcnt lgkmcnt(1)
	v_add_co_u32_e64 v13, s[0:1], s14, v14
	v_or_b32_e32 v8, 0x1400, v0
	v_addc_co_u32_e64 v9, s[0:1], v9, v15, s[0:1]
	v_add_co_u32_e64 v8, s[0:1], v13, v8
	v_xor_b32_e32 v12, -1, v24
	;; [unrolled: 9-line block ×3, first 2 shown]
	v_addc_co_u32_e64 v9, s[0:1], 0, v9, s[0:1]
	global_store_byte v[8:9], v12, off
	v_lshrrev_b32_sdwa v9, s16, v27 dst_sel:DWORD dst_unused:UNUSED_PAD src0_sel:DWORD src1_sel:BYTE_0
	v_and_b32_e32 v9, s17, v9
	v_lshlrev_b32_e32 v12, 3, v9
	v_lshrrev_b32_sdwa v9, s16, v28 dst_sel:DWORD dst_unused:UNUSED_PAD src0_sel:DWORD src1_sel:BYTE_0
	v_and_b32_e32 v9, s17, v9
	v_lshrrev_b32_sdwa v8, s16, v26 dst_sel:DWORD dst_unused:UNUSED_PAD src0_sel:DWORD src1_sel:BYTE_0
	v_lshlrev_b32_e32 v14, 3, v9
	v_lshrrev_b32_sdwa v9, s16, v29 dst_sel:DWORD dst_unused:UNUSED_PAD src0_sel:DWORD src1_sel:BYTE_0
	v_and_b32_e32 v8, s17, v8
	v_and_b32_e32 v9, s17, v9
	v_lshlrev_b32_e32 v8, 3, v8
	v_lshlrev_b32_e32 v16, 3, v9
	ds_read_b64 v[8:9], v8
	ds_read_b64 v[12:13], v12
	;; [unrolled: 1-line block ×4, first 2 shown]
	v_or_b32_e32 v20, 0x1800, v0
	s_waitcnt lgkmcnt(3)
	v_add_co_u32_e64 v8, s[0:1], s14, v8
	v_addc_co_u32_e64 v9, s[0:1], v23, v9, s[0:1]
	v_add_co_u32_e64 v8, s[0:1], v8, v20
	v_xor_b32_e32 v22, -1, v26
	v_addc_co_u32_e64 v9, s[0:1], 0, v9, s[0:1]
	global_store_byte v[8:9], v22, off
	v_mov_b32_e32 v9, s15
	s_waitcnt lgkmcnt(2)
	v_add_co_u32_e64 v12, s[0:1], s14, v12
	v_or_b32_e32 v8, 0x1a00, v0
	v_addc_co_u32_e64 v9, s[0:1], v9, v13, s[0:1]
	v_add_co_u32_e64 v8, s[0:1], v12, v8
	v_xor_b32_e32 v20, -1, v27
	v_addc_co_u32_e64 v9, s[0:1], 0, v9, s[0:1]
	global_store_byte v[8:9], v20, off
	v_mov_b32_e32 v9, s15
	s_waitcnt lgkmcnt(1)
	v_add_co_u32_e64 v13, s[0:1], s14, v14
	v_or_b32_e32 v8, 0x1c00, v0
	v_addc_co_u32_e64 v9, s[0:1], v9, v15, s[0:1]
	v_add_co_u32_e64 v8, s[0:1], v13, v8
	v_xor_b32_e32 v12, -1, v28
	v_addc_co_u32_e64 v9, s[0:1], 0, v9, s[0:1]
	global_store_byte v[8:9], v12, off
	v_mov_b32_e32 v9, s15
	s_waitcnt lgkmcnt(0)
	v_add_co_u32_e64 v13, s[0:1], s14, v16
	v_or_b32_e32 v8, 0x1e00, v0
	v_addc_co_u32_e64 v9, s[0:1], v9, v17, s[0:1]
	v_add_co_u32_e64 v8, s[0:1], v13, v8
	v_xor_b32_e32 v12, -1, v29
	v_addc_co_u32_e64 v9, s[0:1], 0, v9, s[0:1]
	global_store_byte v[8:9], v12, off
	v_lshrrev_b32_sdwa v9, s16, v32 dst_sel:DWORD dst_unused:UNUSED_PAD src0_sel:DWORD src1_sel:BYTE_0
	v_and_b32_e32 v9, s17, v9
	v_lshlrev_b32_e32 v12, 3, v9
	v_lshrrev_b32_sdwa v9, s16, v18 dst_sel:DWORD dst_unused:UNUSED_PAD src0_sel:DWORD src1_sel:BYTE_0
	v_and_b32_e32 v9, s17, v9
	v_lshrrev_b32_sdwa v8, s16, v30 dst_sel:DWORD dst_unused:UNUSED_PAD src0_sel:DWORD src1_sel:BYTE_0
	v_lshlrev_b32_e32 v14, 3, v9
	v_lshrrev_b32_sdwa v9, s16, v19 dst_sel:DWORD dst_unused:UNUSED_PAD src0_sel:DWORD src1_sel:BYTE_0
	v_and_b32_e32 v8, s17, v8
	v_and_b32_e32 v9, s17, v9
	v_lshlrev_b32_e32 v8, 3, v8
	v_lshlrev_b32_e32 v16, 3, v9
	ds_read_b64 v[8:9], v8
	ds_read_b64 v[12:13], v12
	;; [unrolled: 1-line block ×4, first 2 shown]
	v_or_b32_e32 v20, 0x2000, v0
	s_waitcnt lgkmcnt(3)
	v_add_co_u32_e64 v8, s[0:1], s14, v8
	v_addc_co_u32_e64 v9, s[0:1], v23, v9, s[0:1]
	v_add_co_u32_e64 v8, s[0:1], v8, v20
	v_xor_b32_e32 v22, -1, v30
	v_addc_co_u32_e64 v9, s[0:1], 0, v9, s[0:1]
	global_store_byte v[8:9], v22, off
	v_mov_b32_e32 v9, s15
	s_waitcnt lgkmcnt(2)
	v_add_co_u32_e64 v12, s[0:1], s14, v12
	v_or_b32_e32 v8, 0x2200, v0
	v_addc_co_u32_e64 v9, s[0:1], v9, v13, s[0:1]
	v_add_co_u32_e64 v8, s[0:1], v12, v8
	v_xor_b32_e32 v20, -1, v32
	v_addc_co_u32_e64 v9, s[0:1], 0, v9, s[0:1]
	global_store_byte v[8:9], v20, off
	v_mov_b32_e32 v9, s15
	s_waitcnt lgkmcnt(1)
	v_add_co_u32_e64 v13, s[0:1], s14, v14
	v_or_b32_e32 v8, 0x2400, v0
	;; [unrolled: 9-line block ×3, first 2 shown]
	v_addc_co_u32_e64 v9, s[0:1], v9, v17, s[0:1]
	v_add_co_u32_e64 v8, s[0:1], v13, v8
	v_xor_b32_e32 v12, -1, v19
	v_addc_co_u32_e64 v9, s[0:1], 0, v9, s[0:1]
	global_store_byte v[8:9], v12, off
	v_xor_b32_e32 v9, -1, v11
	v_mov_b32_e32 v11, s15
	v_add_co_u32_e64 v6, s[0:1], s14, v6
	v_or_b32_e32 v8, 0x2800, v0
	v_addc_co_u32_e64 v7, s[0:1], v11, v7, s[0:1]
	v_add_co_u32_e64 v6, s[0:1], v6, v8
	v_addc_co_u32_e64 v7, s[0:1], 0, v7, s[0:1]
	v_mov_b32_e32 v8, s15
	v_add_co_u32_e64 v4, s[0:1], s14, v4
	global_store_byte v[6:7], v9, off
	v_or_b32_e32 v6, 0x2a00, v0
	v_addc_co_u32_e64 v5, s[0:1], v8, v5, s[0:1]
	v_add_co_u32_e64 v4, s[0:1], v4, v6
	v_xor_b32_e32 v7, -1, v21
	v_addc_co_u32_e64 v5, s[0:1], 0, v5, s[0:1]
	global_store_byte v[4:5], v7, off
	s_load_dword s0, s[4:5], 0x58
                                        ; implicit-def: $vgpr4_vgpr5
	s_waitcnt lgkmcnt(0)
	s_add_i32 s0, s0, -1
	s_cmp_eq_u32 s0, s24
	s_cselect_b64 s[0:1], -1, 0
	s_and_b64 s[2:3], vcc, s[0:1]
	s_and_saveexec_b64 s[0:1], s[2:3]
; %bb.156:
	v_add_co_u32_e32 v4, vcc, v2, v10
	v_addc_co_u32_e32 v5, vcc, 0, v3, vcc
	s_or_b64 s[18:19], s[18:19], exec
; %bb.157:
	s_or_b64 exec, exec, s[0:1]
.LBB1737_158:
	s_and_saveexec_b64 s[0:1], s[18:19]
	s_cbranch_execnz .LBB1737_160
; %bb.159:
	s_endpgm
.LBB1737_160:
	v_lshlrev_b32_e32 v2, 3, v0
	ds_read_b64 v[2:3], v2
	v_lshlrev_b64 v[0:1], 3, v[0:1]
	v_mov_b32_e32 v6, s11
	v_add_co_u32_e32 v0, vcc, s10, v0
	v_addc_co_u32_e32 v1, vcc, v6, v1, vcc
	s_waitcnt lgkmcnt(0)
	v_add_co_u32_e32 v2, vcc, v2, v4
	v_addc_co_u32_e32 v3, vcc, v3, v5, vcc
	global_store_dwordx2 v[0:1], v[2:3], off
	s_endpgm
	.section	.rodata,"a",@progbits
	.p2align	6, 0x0
	.amdhsa_kernel _ZN7rocprim17ROCPRIM_400000_NS6detail17trampoline_kernelINS0_14default_configENS1_35radix_sort_onesweep_config_selectorIhNS0_10empty_typeEEEZZNS1_29radix_sort_onesweep_iterationIS3_Lb1EPhS8_PS5_S9_mNS0_19identity_decomposerENS1_16block_id_wrapperIjLb1EEEEE10hipError_tT1_PNSt15iterator_traitsISE_E10value_typeET2_T3_PNSF_ISK_E10value_typeET4_T5_PSP_SQ_PNS1_23onesweep_lookback_stateEbbT6_jjT7_P12ihipStream_tbENKUlT_T0_SE_SJ_E_clIS8_S8_S9_S9_EEDaSX_SY_SE_SJ_EUlSX_E_NS1_11comp_targetILNS1_3genE4ELNS1_11target_archE910ELNS1_3gpuE8ELNS1_3repE0EEENS1_47radix_sort_onesweep_sort_config_static_selectorELNS0_4arch9wavefront6targetE1EEEvSE_
		.amdhsa_group_segment_fixed_size 16424
		.amdhsa_private_segment_fixed_size 0
		.amdhsa_kernarg_size 344
		.amdhsa_user_sgpr_count 6
		.amdhsa_user_sgpr_private_segment_buffer 1
		.amdhsa_user_sgpr_dispatch_ptr 0
		.amdhsa_user_sgpr_queue_ptr 0
		.amdhsa_user_sgpr_kernarg_segment_ptr 1
		.amdhsa_user_sgpr_dispatch_id 0
		.amdhsa_user_sgpr_flat_scratch_init 0
		.amdhsa_user_sgpr_kernarg_preload_length 0
		.amdhsa_user_sgpr_kernarg_preload_offset 0
		.amdhsa_user_sgpr_private_segment_size 0
		.amdhsa_uses_dynamic_stack 0
		.amdhsa_system_sgpr_private_segment_wavefront_offset 0
		.amdhsa_system_sgpr_workgroup_id_x 1
		.amdhsa_system_sgpr_workgroup_id_y 0
		.amdhsa_system_sgpr_workgroup_id_z 0
		.amdhsa_system_sgpr_workgroup_info 0
		.amdhsa_system_vgpr_workitem_id 0
		.amdhsa_next_free_vgpr 79
		.amdhsa_next_free_sgpr 30
		.amdhsa_accum_offset 80
		.amdhsa_reserve_vcc 1
		.amdhsa_reserve_flat_scratch 0
		.amdhsa_float_round_mode_32 0
		.amdhsa_float_round_mode_16_64 0
		.amdhsa_float_denorm_mode_32 3
		.amdhsa_float_denorm_mode_16_64 3
		.amdhsa_dx10_clamp 1
		.amdhsa_ieee_mode 1
		.amdhsa_fp16_overflow 0
		.amdhsa_tg_split 0
		.amdhsa_exception_fp_ieee_invalid_op 0
		.amdhsa_exception_fp_denorm_src 0
		.amdhsa_exception_fp_ieee_div_zero 0
		.amdhsa_exception_fp_ieee_overflow 0
		.amdhsa_exception_fp_ieee_underflow 0
		.amdhsa_exception_fp_ieee_inexact 0
		.amdhsa_exception_int_div_zero 0
	.end_amdhsa_kernel
	.section	.text._ZN7rocprim17ROCPRIM_400000_NS6detail17trampoline_kernelINS0_14default_configENS1_35radix_sort_onesweep_config_selectorIhNS0_10empty_typeEEEZZNS1_29radix_sort_onesweep_iterationIS3_Lb1EPhS8_PS5_S9_mNS0_19identity_decomposerENS1_16block_id_wrapperIjLb1EEEEE10hipError_tT1_PNSt15iterator_traitsISE_E10value_typeET2_T3_PNSF_ISK_E10value_typeET4_T5_PSP_SQ_PNS1_23onesweep_lookback_stateEbbT6_jjT7_P12ihipStream_tbENKUlT_T0_SE_SJ_E_clIS8_S8_S9_S9_EEDaSX_SY_SE_SJ_EUlSX_E_NS1_11comp_targetILNS1_3genE4ELNS1_11target_archE910ELNS1_3gpuE8ELNS1_3repE0EEENS1_47radix_sort_onesweep_sort_config_static_selectorELNS0_4arch9wavefront6targetE1EEEvSE_,"axG",@progbits,_ZN7rocprim17ROCPRIM_400000_NS6detail17trampoline_kernelINS0_14default_configENS1_35radix_sort_onesweep_config_selectorIhNS0_10empty_typeEEEZZNS1_29radix_sort_onesweep_iterationIS3_Lb1EPhS8_PS5_S9_mNS0_19identity_decomposerENS1_16block_id_wrapperIjLb1EEEEE10hipError_tT1_PNSt15iterator_traitsISE_E10value_typeET2_T3_PNSF_ISK_E10value_typeET4_T5_PSP_SQ_PNS1_23onesweep_lookback_stateEbbT6_jjT7_P12ihipStream_tbENKUlT_T0_SE_SJ_E_clIS8_S8_S9_S9_EEDaSX_SY_SE_SJ_EUlSX_E_NS1_11comp_targetILNS1_3genE4ELNS1_11target_archE910ELNS1_3gpuE8ELNS1_3repE0EEENS1_47radix_sort_onesweep_sort_config_static_selectorELNS0_4arch9wavefront6targetE1EEEvSE_,comdat
.Lfunc_end1737:
	.size	_ZN7rocprim17ROCPRIM_400000_NS6detail17trampoline_kernelINS0_14default_configENS1_35radix_sort_onesweep_config_selectorIhNS0_10empty_typeEEEZZNS1_29radix_sort_onesweep_iterationIS3_Lb1EPhS8_PS5_S9_mNS0_19identity_decomposerENS1_16block_id_wrapperIjLb1EEEEE10hipError_tT1_PNSt15iterator_traitsISE_E10value_typeET2_T3_PNSF_ISK_E10value_typeET4_T5_PSP_SQ_PNS1_23onesweep_lookback_stateEbbT6_jjT7_P12ihipStream_tbENKUlT_T0_SE_SJ_E_clIS8_S8_S9_S9_EEDaSX_SY_SE_SJ_EUlSX_E_NS1_11comp_targetILNS1_3genE4ELNS1_11target_archE910ELNS1_3gpuE8ELNS1_3repE0EEENS1_47radix_sort_onesweep_sort_config_static_selectorELNS0_4arch9wavefront6targetE1EEEvSE_, .Lfunc_end1737-_ZN7rocprim17ROCPRIM_400000_NS6detail17trampoline_kernelINS0_14default_configENS1_35radix_sort_onesweep_config_selectorIhNS0_10empty_typeEEEZZNS1_29radix_sort_onesweep_iterationIS3_Lb1EPhS8_PS5_S9_mNS0_19identity_decomposerENS1_16block_id_wrapperIjLb1EEEEE10hipError_tT1_PNSt15iterator_traitsISE_E10value_typeET2_T3_PNSF_ISK_E10value_typeET4_T5_PSP_SQ_PNS1_23onesweep_lookback_stateEbbT6_jjT7_P12ihipStream_tbENKUlT_T0_SE_SJ_E_clIS8_S8_S9_S9_EEDaSX_SY_SE_SJ_EUlSX_E_NS1_11comp_targetILNS1_3genE4ELNS1_11target_archE910ELNS1_3gpuE8ELNS1_3repE0EEENS1_47radix_sort_onesweep_sort_config_static_selectorELNS0_4arch9wavefront6targetE1EEEvSE_
                                        ; -- End function
	.section	.AMDGPU.csdata,"",@progbits
; Kernel info:
; codeLenInByte = 12460
; NumSgprs: 34
; NumVgprs: 79
; NumAgprs: 0
; TotalNumVgprs: 79
; ScratchSize: 0
; MemoryBound: 0
; FloatMode: 240
; IeeeMode: 1
; LDSByteSize: 16424 bytes/workgroup (compile time only)
; SGPRBlocks: 4
; VGPRBlocks: 9
; NumSGPRsForWavesPerEU: 34
; NumVGPRsForWavesPerEU: 79
; AccumOffset: 80
; Occupancy: 6
; WaveLimiterHint : 0
; COMPUTE_PGM_RSRC2:SCRATCH_EN: 0
; COMPUTE_PGM_RSRC2:USER_SGPR: 6
; COMPUTE_PGM_RSRC2:TRAP_HANDLER: 0
; COMPUTE_PGM_RSRC2:TGID_X_EN: 1
; COMPUTE_PGM_RSRC2:TGID_Y_EN: 0
; COMPUTE_PGM_RSRC2:TGID_Z_EN: 0
; COMPUTE_PGM_RSRC2:TIDIG_COMP_CNT: 0
; COMPUTE_PGM_RSRC3_GFX90A:ACCUM_OFFSET: 19
; COMPUTE_PGM_RSRC3_GFX90A:TG_SPLIT: 0
	.section	.text._ZN7rocprim17ROCPRIM_400000_NS6detail17trampoline_kernelINS0_14default_configENS1_35radix_sort_onesweep_config_selectorIhNS0_10empty_typeEEEZZNS1_29radix_sort_onesweep_iterationIS3_Lb1EPhS8_PS5_S9_mNS0_19identity_decomposerENS1_16block_id_wrapperIjLb1EEEEE10hipError_tT1_PNSt15iterator_traitsISE_E10value_typeET2_T3_PNSF_ISK_E10value_typeET4_T5_PSP_SQ_PNS1_23onesweep_lookback_stateEbbT6_jjT7_P12ihipStream_tbENKUlT_T0_SE_SJ_E_clIS8_S8_S9_S9_EEDaSX_SY_SE_SJ_EUlSX_E_NS1_11comp_targetILNS1_3genE3ELNS1_11target_archE908ELNS1_3gpuE7ELNS1_3repE0EEENS1_47radix_sort_onesweep_sort_config_static_selectorELNS0_4arch9wavefront6targetE1EEEvSE_,"axG",@progbits,_ZN7rocprim17ROCPRIM_400000_NS6detail17trampoline_kernelINS0_14default_configENS1_35radix_sort_onesweep_config_selectorIhNS0_10empty_typeEEEZZNS1_29radix_sort_onesweep_iterationIS3_Lb1EPhS8_PS5_S9_mNS0_19identity_decomposerENS1_16block_id_wrapperIjLb1EEEEE10hipError_tT1_PNSt15iterator_traitsISE_E10value_typeET2_T3_PNSF_ISK_E10value_typeET4_T5_PSP_SQ_PNS1_23onesweep_lookback_stateEbbT6_jjT7_P12ihipStream_tbENKUlT_T0_SE_SJ_E_clIS8_S8_S9_S9_EEDaSX_SY_SE_SJ_EUlSX_E_NS1_11comp_targetILNS1_3genE3ELNS1_11target_archE908ELNS1_3gpuE7ELNS1_3repE0EEENS1_47radix_sort_onesweep_sort_config_static_selectorELNS0_4arch9wavefront6targetE1EEEvSE_,comdat
	.protected	_ZN7rocprim17ROCPRIM_400000_NS6detail17trampoline_kernelINS0_14default_configENS1_35radix_sort_onesweep_config_selectorIhNS0_10empty_typeEEEZZNS1_29radix_sort_onesweep_iterationIS3_Lb1EPhS8_PS5_S9_mNS0_19identity_decomposerENS1_16block_id_wrapperIjLb1EEEEE10hipError_tT1_PNSt15iterator_traitsISE_E10value_typeET2_T3_PNSF_ISK_E10value_typeET4_T5_PSP_SQ_PNS1_23onesweep_lookback_stateEbbT6_jjT7_P12ihipStream_tbENKUlT_T0_SE_SJ_E_clIS8_S8_S9_S9_EEDaSX_SY_SE_SJ_EUlSX_E_NS1_11comp_targetILNS1_3genE3ELNS1_11target_archE908ELNS1_3gpuE7ELNS1_3repE0EEENS1_47radix_sort_onesweep_sort_config_static_selectorELNS0_4arch9wavefront6targetE1EEEvSE_ ; -- Begin function _ZN7rocprim17ROCPRIM_400000_NS6detail17trampoline_kernelINS0_14default_configENS1_35radix_sort_onesweep_config_selectorIhNS0_10empty_typeEEEZZNS1_29radix_sort_onesweep_iterationIS3_Lb1EPhS8_PS5_S9_mNS0_19identity_decomposerENS1_16block_id_wrapperIjLb1EEEEE10hipError_tT1_PNSt15iterator_traitsISE_E10value_typeET2_T3_PNSF_ISK_E10value_typeET4_T5_PSP_SQ_PNS1_23onesweep_lookback_stateEbbT6_jjT7_P12ihipStream_tbENKUlT_T0_SE_SJ_E_clIS8_S8_S9_S9_EEDaSX_SY_SE_SJ_EUlSX_E_NS1_11comp_targetILNS1_3genE3ELNS1_11target_archE908ELNS1_3gpuE7ELNS1_3repE0EEENS1_47radix_sort_onesweep_sort_config_static_selectorELNS0_4arch9wavefront6targetE1EEEvSE_
	.globl	_ZN7rocprim17ROCPRIM_400000_NS6detail17trampoline_kernelINS0_14default_configENS1_35radix_sort_onesweep_config_selectorIhNS0_10empty_typeEEEZZNS1_29radix_sort_onesweep_iterationIS3_Lb1EPhS8_PS5_S9_mNS0_19identity_decomposerENS1_16block_id_wrapperIjLb1EEEEE10hipError_tT1_PNSt15iterator_traitsISE_E10value_typeET2_T3_PNSF_ISK_E10value_typeET4_T5_PSP_SQ_PNS1_23onesweep_lookback_stateEbbT6_jjT7_P12ihipStream_tbENKUlT_T0_SE_SJ_E_clIS8_S8_S9_S9_EEDaSX_SY_SE_SJ_EUlSX_E_NS1_11comp_targetILNS1_3genE3ELNS1_11target_archE908ELNS1_3gpuE7ELNS1_3repE0EEENS1_47radix_sort_onesweep_sort_config_static_selectorELNS0_4arch9wavefront6targetE1EEEvSE_
	.p2align	8
	.type	_ZN7rocprim17ROCPRIM_400000_NS6detail17trampoline_kernelINS0_14default_configENS1_35radix_sort_onesweep_config_selectorIhNS0_10empty_typeEEEZZNS1_29radix_sort_onesweep_iterationIS3_Lb1EPhS8_PS5_S9_mNS0_19identity_decomposerENS1_16block_id_wrapperIjLb1EEEEE10hipError_tT1_PNSt15iterator_traitsISE_E10value_typeET2_T3_PNSF_ISK_E10value_typeET4_T5_PSP_SQ_PNS1_23onesweep_lookback_stateEbbT6_jjT7_P12ihipStream_tbENKUlT_T0_SE_SJ_E_clIS8_S8_S9_S9_EEDaSX_SY_SE_SJ_EUlSX_E_NS1_11comp_targetILNS1_3genE3ELNS1_11target_archE908ELNS1_3gpuE7ELNS1_3repE0EEENS1_47radix_sort_onesweep_sort_config_static_selectorELNS0_4arch9wavefront6targetE1EEEvSE_,@function
_ZN7rocprim17ROCPRIM_400000_NS6detail17trampoline_kernelINS0_14default_configENS1_35radix_sort_onesweep_config_selectorIhNS0_10empty_typeEEEZZNS1_29radix_sort_onesweep_iterationIS3_Lb1EPhS8_PS5_S9_mNS0_19identity_decomposerENS1_16block_id_wrapperIjLb1EEEEE10hipError_tT1_PNSt15iterator_traitsISE_E10value_typeET2_T3_PNSF_ISK_E10value_typeET4_T5_PSP_SQ_PNS1_23onesweep_lookback_stateEbbT6_jjT7_P12ihipStream_tbENKUlT_T0_SE_SJ_E_clIS8_S8_S9_S9_EEDaSX_SY_SE_SJ_EUlSX_E_NS1_11comp_targetILNS1_3genE3ELNS1_11target_archE908ELNS1_3gpuE7ELNS1_3repE0EEENS1_47radix_sort_onesweep_sort_config_static_selectorELNS0_4arch9wavefront6targetE1EEEvSE_: ; @_ZN7rocprim17ROCPRIM_400000_NS6detail17trampoline_kernelINS0_14default_configENS1_35radix_sort_onesweep_config_selectorIhNS0_10empty_typeEEEZZNS1_29radix_sort_onesweep_iterationIS3_Lb1EPhS8_PS5_S9_mNS0_19identity_decomposerENS1_16block_id_wrapperIjLb1EEEEE10hipError_tT1_PNSt15iterator_traitsISE_E10value_typeET2_T3_PNSF_ISK_E10value_typeET4_T5_PSP_SQ_PNS1_23onesweep_lookback_stateEbbT6_jjT7_P12ihipStream_tbENKUlT_T0_SE_SJ_E_clIS8_S8_S9_S9_EEDaSX_SY_SE_SJ_EUlSX_E_NS1_11comp_targetILNS1_3genE3ELNS1_11target_archE908ELNS1_3gpuE7ELNS1_3repE0EEENS1_47radix_sort_onesweep_sort_config_static_selectorELNS0_4arch9wavefront6targetE1EEEvSE_
; %bb.0:
	.section	.rodata,"a",@progbits
	.p2align	6, 0x0
	.amdhsa_kernel _ZN7rocprim17ROCPRIM_400000_NS6detail17trampoline_kernelINS0_14default_configENS1_35radix_sort_onesweep_config_selectorIhNS0_10empty_typeEEEZZNS1_29radix_sort_onesweep_iterationIS3_Lb1EPhS8_PS5_S9_mNS0_19identity_decomposerENS1_16block_id_wrapperIjLb1EEEEE10hipError_tT1_PNSt15iterator_traitsISE_E10value_typeET2_T3_PNSF_ISK_E10value_typeET4_T5_PSP_SQ_PNS1_23onesweep_lookback_stateEbbT6_jjT7_P12ihipStream_tbENKUlT_T0_SE_SJ_E_clIS8_S8_S9_S9_EEDaSX_SY_SE_SJ_EUlSX_E_NS1_11comp_targetILNS1_3genE3ELNS1_11target_archE908ELNS1_3gpuE7ELNS1_3repE0EEENS1_47radix_sort_onesweep_sort_config_static_selectorELNS0_4arch9wavefront6targetE1EEEvSE_
		.amdhsa_group_segment_fixed_size 0
		.amdhsa_private_segment_fixed_size 0
		.amdhsa_kernarg_size 88
		.amdhsa_user_sgpr_count 6
		.amdhsa_user_sgpr_private_segment_buffer 1
		.amdhsa_user_sgpr_dispatch_ptr 0
		.amdhsa_user_sgpr_queue_ptr 0
		.amdhsa_user_sgpr_kernarg_segment_ptr 1
		.amdhsa_user_sgpr_dispatch_id 0
		.amdhsa_user_sgpr_flat_scratch_init 0
		.amdhsa_user_sgpr_kernarg_preload_length 0
		.amdhsa_user_sgpr_kernarg_preload_offset 0
		.amdhsa_user_sgpr_private_segment_size 0
		.amdhsa_uses_dynamic_stack 0
		.amdhsa_system_sgpr_private_segment_wavefront_offset 0
		.amdhsa_system_sgpr_workgroup_id_x 1
		.amdhsa_system_sgpr_workgroup_id_y 0
		.amdhsa_system_sgpr_workgroup_id_z 0
		.amdhsa_system_sgpr_workgroup_info 0
		.amdhsa_system_vgpr_workitem_id 0
		.amdhsa_next_free_vgpr 1
		.amdhsa_next_free_sgpr 0
		.amdhsa_accum_offset 4
		.amdhsa_reserve_vcc 0
		.amdhsa_reserve_flat_scratch 0
		.amdhsa_float_round_mode_32 0
		.amdhsa_float_round_mode_16_64 0
		.amdhsa_float_denorm_mode_32 3
		.amdhsa_float_denorm_mode_16_64 3
		.amdhsa_dx10_clamp 1
		.amdhsa_ieee_mode 1
		.amdhsa_fp16_overflow 0
		.amdhsa_tg_split 0
		.amdhsa_exception_fp_ieee_invalid_op 0
		.amdhsa_exception_fp_denorm_src 0
		.amdhsa_exception_fp_ieee_div_zero 0
		.amdhsa_exception_fp_ieee_overflow 0
		.amdhsa_exception_fp_ieee_underflow 0
		.amdhsa_exception_fp_ieee_inexact 0
		.amdhsa_exception_int_div_zero 0
	.end_amdhsa_kernel
	.section	.text._ZN7rocprim17ROCPRIM_400000_NS6detail17trampoline_kernelINS0_14default_configENS1_35radix_sort_onesweep_config_selectorIhNS0_10empty_typeEEEZZNS1_29radix_sort_onesweep_iterationIS3_Lb1EPhS8_PS5_S9_mNS0_19identity_decomposerENS1_16block_id_wrapperIjLb1EEEEE10hipError_tT1_PNSt15iterator_traitsISE_E10value_typeET2_T3_PNSF_ISK_E10value_typeET4_T5_PSP_SQ_PNS1_23onesweep_lookback_stateEbbT6_jjT7_P12ihipStream_tbENKUlT_T0_SE_SJ_E_clIS8_S8_S9_S9_EEDaSX_SY_SE_SJ_EUlSX_E_NS1_11comp_targetILNS1_3genE3ELNS1_11target_archE908ELNS1_3gpuE7ELNS1_3repE0EEENS1_47radix_sort_onesweep_sort_config_static_selectorELNS0_4arch9wavefront6targetE1EEEvSE_,"axG",@progbits,_ZN7rocprim17ROCPRIM_400000_NS6detail17trampoline_kernelINS0_14default_configENS1_35radix_sort_onesweep_config_selectorIhNS0_10empty_typeEEEZZNS1_29radix_sort_onesweep_iterationIS3_Lb1EPhS8_PS5_S9_mNS0_19identity_decomposerENS1_16block_id_wrapperIjLb1EEEEE10hipError_tT1_PNSt15iterator_traitsISE_E10value_typeET2_T3_PNSF_ISK_E10value_typeET4_T5_PSP_SQ_PNS1_23onesweep_lookback_stateEbbT6_jjT7_P12ihipStream_tbENKUlT_T0_SE_SJ_E_clIS8_S8_S9_S9_EEDaSX_SY_SE_SJ_EUlSX_E_NS1_11comp_targetILNS1_3genE3ELNS1_11target_archE908ELNS1_3gpuE7ELNS1_3repE0EEENS1_47radix_sort_onesweep_sort_config_static_selectorELNS0_4arch9wavefront6targetE1EEEvSE_,comdat
.Lfunc_end1738:
	.size	_ZN7rocprim17ROCPRIM_400000_NS6detail17trampoline_kernelINS0_14default_configENS1_35radix_sort_onesweep_config_selectorIhNS0_10empty_typeEEEZZNS1_29radix_sort_onesweep_iterationIS3_Lb1EPhS8_PS5_S9_mNS0_19identity_decomposerENS1_16block_id_wrapperIjLb1EEEEE10hipError_tT1_PNSt15iterator_traitsISE_E10value_typeET2_T3_PNSF_ISK_E10value_typeET4_T5_PSP_SQ_PNS1_23onesweep_lookback_stateEbbT6_jjT7_P12ihipStream_tbENKUlT_T0_SE_SJ_E_clIS8_S8_S9_S9_EEDaSX_SY_SE_SJ_EUlSX_E_NS1_11comp_targetILNS1_3genE3ELNS1_11target_archE908ELNS1_3gpuE7ELNS1_3repE0EEENS1_47radix_sort_onesweep_sort_config_static_selectorELNS0_4arch9wavefront6targetE1EEEvSE_, .Lfunc_end1738-_ZN7rocprim17ROCPRIM_400000_NS6detail17trampoline_kernelINS0_14default_configENS1_35radix_sort_onesweep_config_selectorIhNS0_10empty_typeEEEZZNS1_29radix_sort_onesweep_iterationIS3_Lb1EPhS8_PS5_S9_mNS0_19identity_decomposerENS1_16block_id_wrapperIjLb1EEEEE10hipError_tT1_PNSt15iterator_traitsISE_E10value_typeET2_T3_PNSF_ISK_E10value_typeET4_T5_PSP_SQ_PNS1_23onesweep_lookback_stateEbbT6_jjT7_P12ihipStream_tbENKUlT_T0_SE_SJ_E_clIS8_S8_S9_S9_EEDaSX_SY_SE_SJ_EUlSX_E_NS1_11comp_targetILNS1_3genE3ELNS1_11target_archE908ELNS1_3gpuE7ELNS1_3repE0EEENS1_47radix_sort_onesweep_sort_config_static_selectorELNS0_4arch9wavefront6targetE1EEEvSE_
                                        ; -- End function
	.section	.AMDGPU.csdata,"",@progbits
; Kernel info:
; codeLenInByte = 0
; NumSgprs: 4
; NumVgprs: 0
; NumAgprs: 0
; TotalNumVgprs: 0
; ScratchSize: 0
; MemoryBound: 0
; FloatMode: 240
; IeeeMode: 1
; LDSByteSize: 0 bytes/workgroup (compile time only)
; SGPRBlocks: 0
; VGPRBlocks: 0
; NumSGPRsForWavesPerEU: 4
; NumVGPRsForWavesPerEU: 1
; AccumOffset: 4
; Occupancy: 8
; WaveLimiterHint : 0
; COMPUTE_PGM_RSRC2:SCRATCH_EN: 0
; COMPUTE_PGM_RSRC2:USER_SGPR: 6
; COMPUTE_PGM_RSRC2:TRAP_HANDLER: 0
; COMPUTE_PGM_RSRC2:TGID_X_EN: 1
; COMPUTE_PGM_RSRC2:TGID_Y_EN: 0
; COMPUTE_PGM_RSRC2:TGID_Z_EN: 0
; COMPUTE_PGM_RSRC2:TIDIG_COMP_CNT: 0
; COMPUTE_PGM_RSRC3_GFX90A:ACCUM_OFFSET: 0
; COMPUTE_PGM_RSRC3_GFX90A:TG_SPLIT: 0
	.section	.text._ZN7rocprim17ROCPRIM_400000_NS6detail17trampoline_kernelINS0_14default_configENS1_35radix_sort_onesweep_config_selectorIhNS0_10empty_typeEEEZZNS1_29radix_sort_onesweep_iterationIS3_Lb1EPhS8_PS5_S9_mNS0_19identity_decomposerENS1_16block_id_wrapperIjLb1EEEEE10hipError_tT1_PNSt15iterator_traitsISE_E10value_typeET2_T3_PNSF_ISK_E10value_typeET4_T5_PSP_SQ_PNS1_23onesweep_lookback_stateEbbT6_jjT7_P12ihipStream_tbENKUlT_T0_SE_SJ_E_clIS8_S8_S9_S9_EEDaSX_SY_SE_SJ_EUlSX_E_NS1_11comp_targetILNS1_3genE10ELNS1_11target_archE1201ELNS1_3gpuE5ELNS1_3repE0EEENS1_47radix_sort_onesweep_sort_config_static_selectorELNS0_4arch9wavefront6targetE1EEEvSE_,"axG",@progbits,_ZN7rocprim17ROCPRIM_400000_NS6detail17trampoline_kernelINS0_14default_configENS1_35radix_sort_onesweep_config_selectorIhNS0_10empty_typeEEEZZNS1_29radix_sort_onesweep_iterationIS3_Lb1EPhS8_PS5_S9_mNS0_19identity_decomposerENS1_16block_id_wrapperIjLb1EEEEE10hipError_tT1_PNSt15iterator_traitsISE_E10value_typeET2_T3_PNSF_ISK_E10value_typeET4_T5_PSP_SQ_PNS1_23onesweep_lookback_stateEbbT6_jjT7_P12ihipStream_tbENKUlT_T0_SE_SJ_E_clIS8_S8_S9_S9_EEDaSX_SY_SE_SJ_EUlSX_E_NS1_11comp_targetILNS1_3genE10ELNS1_11target_archE1201ELNS1_3gpuE5ELNS1_3repE0EEENS1_47radix_sort_onesweep_sort_config_static_selectorELNS0_4arch9wavefront6targetE1EEEvSE_,comdat
	.protected	_ZN7rocprim17ROCPRIM_400000_NS6detail17trampoline_kernelINS0_14default_configENS1_35radix_sort_onesweep_config_selectorIhNS0_10empty_typeEEEZZNS1_29radix_sort_onesweep_iterationIS3_Lb1EPhS8_PS5_S9_mNS0_19identity_decomposerENS1_16block_id_wrapperIjLb1EEEEE10hipError_tT1_PNSt15iterator_traitsISE_E10value_typeET2_T3_PNSF_ISK_E10value_typeET4_T5_PSP_SQ_PNS1_23onesweep_lookback_stateEbbT6_jjT7_P12ihipStream_tbENKUlT_T0_SE_SJ_E_clIS8_S8_S9_S9_EEDaSX_SY_SE_SJ_EUlSX_E_NS1_11comp_targetILNS1_3genE10ELNS1_11target_archE1201ELNS1_3gpuE5ELNS1_3repE0EEENS1_47radix_sort_onesweep_sort_config_static_selectorELNS0_4arch9wavefront6targetE1EEEvSE_ ; -- Begin function _ZN7rocprim17ROCPRIM_400000_NS6detail17trampoline_kernelINS0_14default_configENS1_35radix_sort_onesweep_config_selectorIhNS0_10empty_typeEEEZZNS1_29radix_sort_onesweep_iterationIS3_Lb1EPhS8_PS5_S9_mNS0_19identity_decomposerENS1_16block_id_wrapperIjLb1EEEEE10hipError_tT1_PNSt15iterator_traitsISE_E10value_typeET2_T3_PNSF_ISK_E10value_typeET4_T5_PSP_SQ_PNS1_23onesweep_lookback_stateEbbT6_jjT7_P12ihipStream_tbENKUlT_T0_SE_SJ_E_clIS8_S8_S9_S9_EEDaSX_SY_SE_SJ_EUlSX_E_NS1_11comp_targetILNS1_3genE10ELNS1_11target_archE1201ELNS1_3gpuE5ELNS1_3repE0EEENS1_47radix_sort_onesweep_sort_config_static_selectorELNS0_4arch9wavefront6targetE1EEEvSE_
	.globl	_ZN7rocprim17ROCPRIM_400000_NS6detail17trampoline_kernelINS0_14default_configENS1_35radix_sort_onesweep_config_selectorIhNS0_10empty_typeEEEZZNS1_29radix_sort_onesweep_iterationIS3_Lb1EPhS8_PS5_S9_mNS0_19identity_decomposerENS1_16block_id_wrapperIjLb1EEEEE10hipError_tT1_PNSt15iterator_traitsISE_E10value_typeET2_T3_PNSF_ISK_E10value_typeET4_T5_PSP_SQ_PNS1_23onesweep_lookback_stateEbbT6_jjT7_P12ihipStream_tbENKUlT_T0_SE_SJ_E_clIS8_S8_S9_S9_EEDaSX_SY_SE_SJ_EUlSX_E_NS1_11comp_targetILNS1_3genE10ELNS1_11target_archE1201ELNS1_3gpuE5ELNS1_3repE0EEENS1_47radix_sort_onesweep_sort_config_static_selectorELNS0_4arch9wavefront6targetE1EEEvSE_
	.p2align	8
	.type	_ZN7rocprim17ROCPRIM_400000_NS6detail17trampoline_kernelINS0_14default_configENS1_35radix_sort_onesweep_config_selectorIhNS0_10empty_typeEEEZZNS1_29radix_sort_onesweep_iterationIS3_Lb1EPhS8_PS5_S9_mNS0_19identity_decomposerENS1_16block_id_wrapperIjLb1EEEEE10hipError_tT1_PNSt15iterator_traitsISE_E10value_typeET2_T3_PNSF_ISK_E10value_typeET4_T5_PSP_SQ_PNS1_23onesweep_lookback_stateEbbT6_jjT7_P12ihipStream_tbENKUlT_T0_SE_SJ_E_clIS8_S8_S9_S9_EEDaSX_SY_SE_SJ_EUlSX_E_NS1_11comp_targetILNS1_3genE10ELNS1_11target_archE1201ELNS1_3gpuE5ELNS1_3repE0EEENS1_47radix_sort_onesweep_sort_config_static_selectorELNS0_4arch9wavefront6targetE1EEEvSE_,@function
_ZN7rocprim17ROCPRIM_400000_NS6detail17trampoline_kernelINS0_14default_configENS1_35radix_sort_onesweep_config_selectorIhNS0_10empty_typeEEEZZNS1_29radix_sort_onesweep_iterationIS3_Lb1EPhS8_PS5_S9_mNS0_19identity_decomposerENS1_16block_id_wrapperIjLb1EEEEE10hipError_tT1_PNSt15iterator_traitsISE_E10value_typeET2_T3_PNSF_ISK_E10value_typeET4_T5_PSP_SQ_PNS1_23onesweep_lookback_stateEbbT6_jjT7_P12ihipStream_tbENKUlT_T0_SE_SJ_E_clIS8_S8_S9_S9_EEDaSX_SY_SE_SJ_EUlSX_E_NS1_11comp_targetILNS1_3genE10ELNS1_11target_archE1201ELNS1_3gpuE5ELNS1_3repE0EEENS1_47radix_sort_onesweep_sort_config_static_selectorELNS0_4arch9wavefront6targetE1EEEvSE_: ; @_ZN7rocprim17ROCPRIM_400000_NS6detail17trampoline_kernelINS0_14default_configENS1_35radix_sort_onesweep_config_selectorIhNS0_10empty_typeEEEZZNS1_29radix_sort_onesweep_iterationIS3_Lb1EPhS8_PS5_S9_mNS0_19identity_decomposerENS1_16block_id_wrapperIjLb1EEEEE10hipError_tT1_PNSt15iterator_traitsISE_E10value_typeET2_T3_PNSF_ISK_E10value_typeET4_T5_PSP_SQ_PNS1_23onesweep_lookback_stateEbbT6_jjT7_P12ihipStream_tbENKUlT_T0_SE_SJ_E_clIS8_S8_S9_S9_EEDaSX_SY_SE_SJ_EUlSX_E_NS1_11comp_targetILNS1_3genE10ELNS1_11target_archE1201ELNS1_3gpuE5ELNS1_3repE0EEENS1_47radix_sort_onesweep_sort_config_static_selectorELNS0_4arch9wavefront6targetE1EEEvSE_
; %bb.0:
	.section	.rodata,"a",@progbits
	.p2align	6, 0x0
	.amdhsa_kernel _ZN7rocprim17ROCPRIM_400000_NS6detail17trampoline_kernelINS0_14default_configENS1_35radix_sort_onesweep_config_selectorIhNS0_10empty_typeEEEZZNS1_29radix_sort_onesweep_iterationIS3_Lb1EPhS8_PS5_S9_mNS0_19identity_decomposerENS1_16block_id_wrapperIjLb1EEEEE10hipError_tT1_PNSt15iterator_traitsISE_E10value_typeET2_T3_PNSF_ISK_E10value_typeET4_T5_PSP_SQ_PNS1_23onesweep_lookback_stateEbbT6_jjT7_P12ihipStream_tbENKUlT_T0_SE_SJ_E_clIS8_S8_S9_S9_EEDaSX_SY_SE_SJ_EUlSX_E_NS1_11comp_targetILNS1_3genE10ELNS1_11target_archE1201ELNS1_3gpuE5ELNS1_3repE0EEENS1_47radix_sort_onesweep_sort_config_static_selectorELNS0_4arch9wavefront6targetE1EEEvSE_
		.amdhsa_group_segment_fixed_size 0
		.amdhsa_private_segment_fixed_size 0
		.amdhsa_kernarg_size 88
		.amdhsa_user_sgpr_count 6
		.amdhsa_user_sgpr_private_segment_buffer 1
		.amdhsa_user_sgpr_dispatch_ptr 0
		.amdhsa_user_sgpr_queue_ptr 0
		.amdhsa_user_sgpr_kernarg_segment_ptr 1
		.amdhsa_user_sgpr_dispatch_id 0
		.amdhsa_user_sgpr_flat_scratch_init 0
		.amdhsa_user_sgpr_kernarg_preload_length 0
		.amdhsa_user_sgpr_kernarg_preload_offset 0
		.amdhsa_user_sgpr_private_segment_size 0
		.amdhsa_uses_dynamic_stack 0
		.amdhsa_system_sgpr_private_segment_wavefront_offset 0
		.amdhsa_system_sgpr_workgroup_id_x 1
		.amdhsa_system_sgpr_workgroup_id_y 0
		.amdhsa_system_sgpr_workgroup_id_z 0
		.amdhsa_system_sgpr_workgroup_info 0
		.amdhsa_system_vgpr_workitem_id 0
		.amdhsa_next_free_vgpr 1
		.amdhsa_next_free_sgpr 0
		.amdhsa_accum_offset 4
		.amdhsa_reserve_vcc 0
		.amdhsa_reserve_flat_scratch 0
		.amdhsa_float_round_mode_32 0
		.amdhsa_float_round_mode_16_64 0
		.amdhsa_float_denorm_mode_32 3
		.amdhsa_float_denorm_mode_16_64 3
		.amdhsa_dx10_clamp 1
		.amdhsa_ieee_mode 1
		.amdhsa_fp16_overflow 0
		.amdhsa_tg_split 0
		.amdhsa_exception_fp_ieee_invalid_op 0
		.amdhsa_exception_fp_denorm_src 0
		.amdhsa_exception_fp_ieee_div_zero 0
		.amdhsa_exception_fp_ieee_overflow 0
		.amdhsa_exception_fp_ieee_underflow 0
		.amdhsa_exception_fp_ieee_inexact 0
		.amdhsa_exception_int_div_zero 0
	.end_amdhsa_kernel
	.section	.text._ZN7rocprim17ROCPRIM_400000_NS6detail17trampoline_kernelINS0_14default_configENS1_35radix_sort_onesweep_config_selectorIhNS0_10empty_typeEEEZZNS1_29radix_sort_onesweep_iterationIS3_Lb1EPhS8_PS5_S9_mNS0_19identity_decomposerENS1_16block_id_wrapperIjLb1EEEEE10hipError_tT1_PNSt15iterator_traitsISE_E10value_typeET2_T3_PNSF_ISK_E10value_typeET4_T5_PSP_SQ_PNS1_23onesweep_lookback_stateEbbT6_jjT7_P12ihipStream_tbENKUlT_T0_SE_SJ_E_clIS8_S8_S9_S9_EEDaSX_SY_SE_SJ_EUlSX_E_NS1_11comp_targetILNS1_3genE10ELNS1_11target_archE1201ELNS1_3gpuE5ELNS1_3repE0EEENS1_47radix_sort_onesweep_sort_config_static_selectorELNS0_4arch9wavefront6targetE1EEEvSE_,"axG",@progbits,_ZN7rocprim17ROCPRIM_400000_NS6detail17trampoline_kernelINS0_14default_configENS1_35radix_sort_onesweep_config_selectorIhNS0_10empty_typeEEEZZNS1_29radix_sort_onesweep_iterationIS3_Lb1EPhS8_PS5_S9_mNS0_19identity_decomposerENS1_16block_id_wrapperIjLb1EEEEE10hipError_tT1_PNSt15iterator_traitsISE_E10value_typeET2_T3_PNSF_ISK_E10value_typeET4_T5_PSP_SQ_PNS1_23onesweep_lookback_stateEbbT6_jjT7_P12ihipStream_tbENKUlT_T0_SE_SJ_E_clIS8_S8_S9_S9_EEDaSX_SY_SE_SJ_EUlSX_E_NS1_11comp_targetILNS1_3genE10ELNS1_11target_archE1201ELNS1_3gpuE5ELNS1_3repE0EEENS1_47radix_sort_onesweep_sort_config_static_selectorELNS0_4arch9wavefront6targetE1EEEvSE_,comdat
.Lfunc_end1739:
	.size	_ZN7rocprim17ROCPRIM_400000_NS6detail17trampoline_kernelINS0_14default_configENS1_35radix_sort_onesweep_config_selectorIhNS0_10empty_typeEEEZZNS1_29radix_sort_onesweep_iterationIS3_Lb1EPhS8_PS5_S9_mNS0_19identity_decomposerENS1_16block_id_wrapperIjLb1EEEEE10hipError_tT1_PNSt15iterator_traitsISE_E10value_typeET2_T3_PNSF_ISK_E10value_typeET4_T5_PSP_SQ_PNS1_23onesweep_lookback_stateEbbT6_jjT7_P12ihipStream_tbENKUlT_T0_SE_SJ_E_clIS8_S8_S9_S9_EEDaSX_SY_SE_SJ_EUlSX_E_NS1_11comp_targetILNS1_3genE10ELNS1_11target_archE1201ELNS1_3gpuE5ELNS1_3repE0EEENS1_47radix_sort_onesweep_sort_config_static_selectorELNS0_4arch9wavefront6targetE1EEEvSE_, .Lfunc_end1739-_ZN7rocprim17ROCPRIM_400000_NS6detail17trampoline_kernelINS0_14default_configENS1_35radix_sort_onesweep_config_selectorIhNS0_10empty_typeEEEZZNS1_29radix_sort_onesweep_iterationIS3_Lb1EPhS8_PS5_S9_mNS0_19identity_decomposerENS1_16block_id_wrapperIjLb1EEEEE10hipError_tT1_PNSt15iterator_traitsISE_E10value_typeET2_T3_PNSF_ISK_E10value_typeET4_T5_PSP_SQ_PNS1_23onesweep_lookback_stateEbbT6_jjT7_P12ihipStream_tbENKUlT_T0_SE_SJ_E_clIS8_S8_S9_S9_EEDaSX_SY_SE_SJ_EUlSX_E_NS1_11comp_targetILNS1_3genE10ELNS1_11target_archE1201ELNS1_3gpuE5ELNS1_3repE0EEENS1_47radix_sort_onesweep_sort_config_static_selectorELNS0_4arch9wavefront6targetE1EEEvSE_
                                        ; -- End function
	.section	.AMDGPU.csdata,"",@progbits
; Kernel info:
; codeLenInByte = 0
; NumSgprs: 4
; NumVgprs: 0
; NumAgprs: 0
; TotalNumVgprs: 0
; ScratchSize: 0
; MemoryBound: 0
; FloatMode: 240
; IeeeMode: 1
; LDSByteSize: 0 bytes/workgroup (compile time only)
; SGPRBlocks: 0
; VGPRBlocks: 0
; NumSGPRsForWavesPerEU: 4
; NumVGPRsForWavesPerEU: 1
; AccumOffset: 4
; Occupancy: 8
; WaveLimiterHint : 0
; COMPUTE_PGM_RSRC2:SCRATCH_EN: 0
; COMPUTE_PGM_RSRC2:USER_SGPR: 6
; COMPUTE_PGM_RSRC2:TRAP_HANDLER: 0
; COMPUTE_PGM_RSRC2:TGID_X_EN: 1
; COMPUTE_PGM_RSRC2:TGID_Y_EN: 0
; COMPUTE_PGM_RSRC2:TGID_Z_EN: 0
; COMPUTE_PGM_RSRC2:TIDIG_COMP_CNT: 0
; COMPUTE_PGM_RSRC3_GFX90A:ACCUM_OFFSET: 0
; COMPUTE_PGM_RSRC3_GFX90A:TG_SPLIT: 0
	.section	.text._ZN7rocprim17ROCPRIM_400000_NS6detail17trampoline_kernelINS0_14default_configENS1_35radix_sort_onesweep_config_selectorIhNS0_10empty_typeEEEZZNS1_29radix_sort_onesweep_iterationIS3_Lb1EPhS8_PS5_S9_mNS0_19identity_decomposerENS1_16block_id_wrapperIjLb1EEEEE10hipError_tT1_PNSt15iterator_traitsISE_E10value_typeET2_T3_PNSF_ISK_E10value_typeET4_T5_PSP_SQ_PNS1_23onesweep_lookback_stateEbbT6_jjT7_P12ihipStream_tbENKUlT_T0_SE_SJ_E_clIS8_S8_S9_S9_EEDaSX_SY_SE_SJ_EUlSX_E_NS1_11comp_targetILNS1_3genE9ELNS1_11target_archE1100ELNS1_3gpuE3ELNS1_3repE0EEENS1_47radix_sort_onesweep_sort_config_static_selectorELNS0_4arch9wavefront6targetE1EEEvSE_,"axG",@progbits,_ZN7rocprim17ROCPRIM_400000_NS6detail17trampoline_kernelINS0_14default_configENS1_35radix_sort_onesweep_config_selectorIhNS0_10empty_typeEEEZZNS1_29radix_sort_onesweep_iterationIS3_Lb1EPhS8_PS5_S9_mNS0_19identity_decomposerENS1_16block_id_wrapperIjLb1EEEEE10hipError_tT1_PNSt15iterator_traitsISE_E10value_typeET2_T3_PNSF_ISK_E10value_typeET4_T5_PSP_SQ_PNS1_23onesweep_lookback_stateEbbT6_jjT7_P12ihipStream_tbENKUlT_T0_SE_SJ_E_clIS8_S8_S9_S9_EEDaSX_SY_SE_SJ_EUlSX_E_NS1_11comp_targetILNS1_3genE9ELNS1_11target_archE1100ELNS1_3gpuE3ELNS1_3repE0EEENS1_47radix_sort_onesweep_sort_config_static_selectorELNS0_4arch9wavefront6targetE1EEEvSE_,comdat
	.protected	_ZN7rocprim17ROCPRIM_400000_NS6detail17trampoline_kernelINS0_14default_configENS1_35radix_sort_onesweep_config_selectorIhNS0_10empty_typeEEEZZNS1_29radix_sort_onesweep_iterationIS3_Lb1EPhS8_PS5_S9_mNS0_19identity_decomposerENS1_16block_id_wrapperIjLb1EEEEE10hipError_tT1_PNSt15iterator_traitsISE_E10value_typeET2_T3_PNSF_ISK_E10value_typeET4_T5_PSP_SQ_PNS1_23onesweep_lookback_stateEbbT6_jjT7_P12ihipStream_tbENKUlT_T0_SE_SJ_E_clIS8_S8_S9_S9_EEDaSX_SY_SE_SJ_EUlSX_E_NS1_11comp_targetILNS1_3genE9ELNS1_11target_archE1100ELNS1_3gpuE3ELNS1_3repE0EEENS1_47radix_sort_onesweep_sort_config_static_selectorELNS0_4arch9wavefront6targetE1EEEvSE_ ; -- Begin function _ZN7rocprim17ROCPRIM_400000_NS6detail17trampoline_kernelINS0_14default_configENS1_35radix_sort_onesweep_config_selectorIhNS0_10empty_typeEEEZZNS1_29radix_sort_onesweep_iterationIS3_Lb1EPhS8_PS5_S9_mNS0_19identity_decomposerENS1_16block_id_wrapperIjLb1EEEEE10hipError_tT1_PNSt15iterator_traitsISE_E10value_typeET2_T3_PNSF_ISK_E10value_typeET4_T5_PSP_SQ_PNS1_23onesweep_lookback_stateEbbT6_jjT7_P12ihipStream_tbENKUlT_T0_SE_SJ_E_clIS8_S8_S9_S9_EEDaSX_SY_SE_SJ_EUlSX_E_NS1_11comp_targetILNS1_3genE9ELNS1_11target_archE1100ELNS1_3gpuE3ELNS1_3repE0EEENS1_47radix_sort_onesweep_sort_config_static_selectorELNS0_4arch9wavefront6targetE1EEEvSE_
	.globl	_ZN7rocprim17ROCPRIM_400000_NS6detail17trampoline_kernelINS0_14default_configENS1_35radix_sort_onesweep_config_selectorIhNS0_10empty_typeEEEZZNS1_29radix_sort_onesweep_iterationIS3_Lb1EPhS8_PS5_S9_mNS0_19identity_decomposerENS1_16block_id_wrapperIjLb1EEEEE10hipError_tT1_PNSt15iterator_traitsISE_E10value_typeET2_T3_PNSF_ISK_E10value_typeET4_T5_PSP_SQ_PNS1_23onesweep_lookback_stateEbbT6_jjT7_P12ihipStream_tbENKUlT_T0_SE_SJ_E_clIS8_S8_S9_S9_EEDaSX_SY_SE_SJ_EUlSX_E_NS1_11comp_targetILNS1_3genE9ELNS1_11target_archE1100ELNS1_3gpuE3ELNS1_3repE0EEENS1_47radix_sort_onesweep_sort_config_static_selectorELNS0_4arch9wavefront6targetE1EEEvSE_
	.p2align	8
	.type	_ZN7rocprim17ROCPRIM_400000_NS6detail17trampoline_kernelINS0_14default_configENS1_35radix_sort_onesweep_config_selectorIhNS0_10empty_typeEEEZZNS1_29radix_sort_onesweep_iterationIS3_Lb1EPhS8_PS5_S9_mNS0_19identity_decomposerENS1_16block_id_wrapperIjLb1EEEEE10hipError_tT1_PNSt15iterator_traitsISE_E10value_typeET2_T3_PNSF_ISK_E10value_typeET4_T5_PSP_SQ_PNS1_23onesweep_lookback_stateEbbT6_jjT7_P12ihipStream_tbENKUlT_T0_SE_SJ_E_clIS8_S8_S9_S9_EEDaSX_SY_SE_SJ_EUlSX_E_NS1_11comp_targetILNS1_3genE9ELNS1_11target_archE1100ELNS1_3gpuE3ELNS1_3repE0EEENS1_47radix_sort_onesweep_sort_config_static_selectorELNS0_4arch9wavefront6targetE1EEEvSE_,@function
_ZN7rocprim17ROCPRIM_400000_NS6detail17trampoline_kernelINS0_14default_configENS1_35radix_sort_onesweep_config_selectorIhNS0_10empty_typeEEEZZNS1_29radix_sort_onesweep_iterationIS3_Lb1EPhS8_PS5_S9_mNS0_19identity_decomposerENS1_16block_id_wrapperIjLb1EEEEE10hipError_tT1_PNSt15iterator_traitsISE_E10value_typeET2_T3_PNSF_ISK_E10value_typeET4_T5_PSP_SQ_PNS1_23onesweep_lookback_stateEbbT6_jjT7_P12ihipStream_tbENKUlT_T0_SE_SJ_E_clIS8_S8_S9_S9_EEDaSX_SY_SE_SJ_EUlSX_E_NS1_11comp_targetILNS1_3genE9ELNS1_11target_archE1100ELNS1_3gpuE3ELNS1_3repE0EEENS1_47radix_sort_onesweep_sort_config_static_selectorELNS0_4arch9wavefront6targetE1EEEvSE_: ; @_ZN7rocprim17ROCPRIM_400000_NS6detail17trampoline_kernelINS0_14default_configENS1_35radix_sort_onesweep_config_selectorIhNS0_10empty_typeEEEZZNS1_29radix_sort_onesweep_iterationIS3_Lb1EPhS8_PS5_S9_mNS0_19identity_decomposerENS1_16block_id_wrapperIjLb1EEEEE10hipError_tT1_PNSt15iterator_traitsISE_E10value_typeET2_T3_PNSF_ISK_E10value_typeET4_T5_PSP_SQ_PNS1_23onesweep_lookback_stateEbbT6_jjT7_P12ihipStream_tbENKUlT_T0_SE_SJ_E_clIS8_S8_S9_S9_EEDaSX_SY_SE_SJ_EUlSX_E_NS1_11comp_targetILNS1_3genE9ELNS1_11target_archE1100ELNS1_3gpuE3ELNS1_3repE0EEENS1_47radix_sort_onesweep_sort_config_static_selectorELNS0_4arch9wavefront6targetE1EEEvSE_
; %bb.0:
	.section	.rodata,"a",@progbits
	.p2align	6, 0x0
	.amdhsa_kernel _ZN7rocprim17ROCPRIM_400000_NS6detail17trampoline_kernelINS0_14default_configENS1_35radix_sort_onesweep_config_selectorIhNS0_10empty_typeEEEZZNS1_29radix_sort_onesweep_iterationIS3_Lb1EPhS8_PS5_S9_mNS0_19identity_decomposerENS1_16block_id_wrapperIjLb1EEEEE10hipError_tT1_PNSt15iterator_traitsISE_E10value_typeET2_T3_PNSF_ISK_E10value_typeET4_T5_PSP_SQ_PNS1_23onesweep_lookback_stateEbbT6_jjT7_P12ihipStream_tbENKUlT_T0_SE_SJ_E_clIS8_S8_S9_S9_EEDaSX_SY_SE_SJ_EUlSX_E_NS1_11comp_targetILNS1_3genE9ELNS1_11target_archE1100ELNS1_3gpuE3ELNS1_3repE0EEENS1_47radix_sort_onesweep_sort_config_static_selectorELNS0_4arch9wavefront6targetE1EEEvSE_
		.amdhsa_group_segment_fixed_size 0
		.amdhsa_private_segment_fixed_size 0
		.amdhsa_kernarg_size 88
		.amdhsa_user_sgpr_count 6
		.amdhsa_user_sgpr_private_segment_buffer 1
		.amdhsa_user_sgpr_dispatch_ptr 0
		.amdhsa_user_sgpr_queue_ptr 0
		.amdhsa_user_sgpr_kernarg_segment_ptr 1
		.amdhsa_user_sgpr_dispatch_id 0
		.amdhsa_user_sgpr_flat_scratch_init 0
		.amdhsa_user_sgpr_kernarg_preload_length 0
		.amdhsa_user_sgpr_kernarg_preload_offset 0
		.amdhsa_user_sgpr_private_segment_size 0
		.amdhsa_uses_dynamic_stack 0
		.amdhsa_system_sgpr_private_segment_wavefront_offset 0
		.amdhsa_system_sgpr_workgroup_id_x 1
		.amdhsa_system_sgpr_workgroup_id_y 0
		.amdhsa_system_sgpr_workgroup_id_z 0
		.amdhsa_system_sgpr_workgroup_info 0
		.amdhsa_system_vgpr_workitem_id 0
		.amdhsa_next_free_vgpr 1
		.amdhsa_next_free_sgpr 0
		.amdhsa_accum_offset 4
		.amdhsa_reserve_vcc 0
		.amdhsa_reserve_flat_scratch 0
		.amdhsa_float_round_mode_32 0
		.amdhsa_float_round_mode_16_64 0
		.amdhsa_float_denorm_mode_32 3
		.amdhsa_float_denorm_mode_16_64 3
		.amdhsa_dx10_clamp 1
		.amdhsa_ieee_mode 1
		.amdhsa_fp16_overflow 0
		.amdhsa_tg_split 0
		.amdhsa_exception_fp_ieee_invalid_op 0
		.amdhsa_exception_fp_denorm_src 0
		.amdhsa_exception_fp_ieee_div_zero 0
		.amdhsa_exception_fp_ieee_overflow 0
		.amdhsa_exception_fp_ieee_underflow 0
		.amdhsa_exception_fp_ieee_inexact 0
		.amdhsa_exception_int_div_zero 0
	.end_amdhsa_kernel
	.section	.text._ZN7rocprim17ROCPRIM_400000_NS6detail17trampoline_kernelINS0_14default_configENS1_35radix_sort_onesweep_config_selectorIhNS0_10empty_typeEEEZZNS1_29radix_sort_onesweep_iterationIS3_Lb1EPhS8_PS5_S9_mNS0_19identity_decomposerENS1_16block_id_wrapperIjLb1EEEEE10hipError_tT1_PNSt15iterator_traitsISE_E10value_typeET2_T3_PNSF_ISK_E10value_typeET4_T5_PSP_SQ_PNS1_23onesweep_lookback_stateEbbT6_jjT7_P12ihipStream_tbENKUlT_T0_SE_SJ_E_clIS8_S8_S9_S9_EEDaSX_SY_SE_SJ_EUlSX_E_NS1_11comp_targetILNS1_3genE9ELNS1_11target_archE1100ELNS1_3gpuE3ELNS1_3repE0EEENS1_47radix_sort_onesweep_sort_config_static_selectorELNS0_4arch9wavefront6targetE1EEEvSE_,"axG",@progbits,_ZN7rocprim17ROCPRIM_400000_NS6detail17trampoline_kernelINS0_14default_configENS1_35radix_sort_onesweep_config_selectorIhNS0_10empty_typeEEEZZNS1_29radix_sort_onesweep_iterationIS3_Lb1EPhS8_PS5_S9_mNS0_19identity_decomposerENS1_16block_id_wrapperIjLb1EEEEE10hipError_tT1_PNSt15iterator_traitsISE_E10value_typeET2_T3_PNSF_ISK_E10value_typeET4_T5_PSP_SQ_PNS1_23onesweep_lookback_stateEbbT6_jjT7_P12ihipStream_tbENKUlT_T0_SE_SJ_E_clIS8_S8_S9_S9_EEDaSX_SY_SE_SJ_EUlSX_E_NS1_11comp_targetILNS1_3genE9ELNS1_11target_archE1100ELNS1_3gpuE3ELNS1_3repE0EEENS1_47radix_sort_onesweep_sort_config_static_selectorELNS0_4arch9wavefront6targetE1EEEvSE_,comdat
.Lfunc_end1740:
	.size	_ZN7rocprim17ROCPRIM_400000_NS6detail17trampoline_kernelINS0_14default_configENS1_35radix_sort_onesweep_config_selectorIhNS0_10empty_typeEEEZZNS1_29radix_sort_onesweep_iterationIS3_Lb1EPhS8_PS5_S9_mNS0_19identity_decomposerENS1_16block_id_wrapperIjLb1EEEEE10hipError_tT1_PNSt15iterator_traitsISE_E10value_typeET2_T3_PNSF_ISK_E10value_typeET4_T5_PSP_SQ_PNS1_23onesweep_lookback_stateEbbT6_jjT7_P12ihipStream_tbENKUlT_T0_SE_SJ_E_clIS8_S8_S9_S9_EEDaSX_SY_SE_SJ_EUlSX_E_NS1_11comp_targetILNS1_3genE9ELNS1_11target_archE1100ELNS1_3gpuE3ELNS1_3repE0EEENS1_47radix_sort_onesweep_sort_config_static_selectorELNS0_4arch9wavefront6targetE1EEEvSE_, .Lfunc_end1740-_ZN7rocprim17ROCPRIM_400000_NS6detail17trampoline_kernelINS0_14default_configENS1_35radix_sort_onesweep_config_selectorIhNS0_10empty_typeEEEZZNS1_29radix_sort_onesweep_iterationIS3_Lb1EPhS8_PS5_S9_mNS0_19identity_decomposerENS1_16block_id_wrapperIjLb1EEEEE10hipError_tT1_PNSt15iterator_traitsISE_E10value_typeET2_T3_PNSF_ISK_E10value_typeET4_T5_PSP_SQ_PNS1_23onesweep_lookback_stateEbbT6_jjT7_P12ihipStream_tbENKUlT_T0_SE_SJ_E_clIS8_S8_S9_S9_EEDaSX_SY_SE_SJ_EUlSX_E_NS1_11comp_targetILNS1_3genE9ELNS1_11target_archE1100ELNS1_3gpuE3ELNS1_3repE0EEENS1_47radix_sort_onesweep_sort_config_static_selectorELNS0_4arch9wavefront6targetE1EEEvSE_
                                        ; -- End function
	.section	.AMDGPU.csdata,"",@progbits
; Kernel info:
; codeLenInByte = 0
; NumSgprs: 4
; NumVgprs: 0
; NumAgprs: 0
; TotalNumVgprs: 0
; ScratchSize: 0
; MemoryBound: 0
; FloatMode: 240
; IeeeMode: 1
; LDSByteSize: 0 bytes/workgroup (compile time only)
; SGPRBlocks: 0
; VGPRBlocks: 0
; NumSGPRsForWavesPerEU: 4
; NumVGPRsForWavesPerEU: 1
; AccumOffset: 4
; Occupancy: 8
; WaveLimiterHint : 0
; COMPUTE_PGM_RSRC2:SCRATCH_EN: 0
; COMPUTE_PGM_RSRC2:USER_SGPR: 6
; COMPUTE_PGM_RSRC2:TRAP_HANDLER: 0
; COMPUTE_PGM_RSRC2:TGID_X_EN: 1
; COMPUTE_PGM_RSRC2:TGID_Y_EN: 0
; COMPUTE_PGM_RSRC2:TGID_Z_EN: 0
; COMPUTE_PGM_RSRC2:TIDIG_COMP_CNT: 0
; COMPUTE_PGM_RSRC3_GFX90A:ACCUM_OFFSET: 0
; COMPUTE_PGM_RSRC3_GFX90A:TG_SPLIT: 0
	.section	.text._ZN7rocprim17ROCPRIM_400000_NS6detail17trampoline_kernelINS0_14default_configENS1_35radix_sort_onesweep_config_selectorIhNS0_10empty_typeEEEZZNS1_29radix_sort_onesweep_iterationIS3_Lb1EPhS8_PS5_S9_mNS0_19identity_decomposerENS1_16block_id_wrapperIjLb1EEEEE10hipError_tT1_PNSt15iterator_traitsISE_E10value_typeET2_T3_PNSF_ISK_E10value_typeET4_T5_PSP_SQ_PNS1_23onesweep_lookback_stateEbbT6_jjT7_P12ihipStream_tbENKUlT_T0_SE_SJ_E_clIS8_S8_S9_S9_EEDaSX_SY_SE_SJ_EUlSX_E_NS1_11comp_targetILNS1_3genE8ELNS1_11target_archE1030ELNS1_3gpuE2ELNS1_3repE0EEENS1_47radix_sort_onesweep_sort_config_static_selectorELNS0_4arch9wavefront6targetE1EEEvSE_,"axG",@progbits,_ZN7rocprim17ROCPRIM_400000_NS6detail17trampoline_kernelINS0_14default_configENS1_35radix_sort_onesweep_config_selectorIhNS0_10empty_typeEEEZZNS1_29radix_sort_onesweep_iterationIS3_Lb1EPhS8_PS5_S9_mNS0_19identity_decomposerENS1_16block_id_wrapperIjLb1EEEEE10hipError_tT1_PNSt15iterator_traitsISE_E10value_typeET2_T3_PNSF_ISK_E10value_typeET4_T5_PSP_SQ_PNS1_23onesweep_lookback_stateEbbT6_jjT7_P12ihipStream_tbENKUlT_T0_SE_SJ_E_clIS8_S8_S9_S9_EEDaSX_SY_SE_SJ_EUlSX_E_NS1_11comp_targetILNS1_3genE8ELNS1_11target_archE1030ELNS1_3gpuE2ELNS1_3repE0EEENS1_47radix_sort_onesweep_sort_config_static_selectorELNS0_4arch9wavefront6targetE1EEEvSE_,comdat
	.protected	_ZN7rocprim17ROCPRIM_400000_NS6detail17trampoline_kernelINS0_14default_configENS1_35radix_sort_onesweep_config_selectorIhNS0_10empty_typeEEEZZNS1_29radix_sort_onesweep_iterationIS3_Lb1EPhS8_PS5_S9_mNS0_19identity_decomposerENS1_16block_id_wrapperIjLb1EEEEE10hipError_tT1_PNSt15iterator_traitsISE_E10value_typeET2_T3_PNSF_ISK_E10value_typeET4_T5_PSP_SQ_PNS1_23onesweep_lookback_stateEbbT6_jjT7_P12ihipStream_tbENKUlT_T0_SE_SJ_E_clIS8_S8_S9_S9_EEDaSX_SY_SE_SJ_EUlSX_E_NS1_11comp_targetILNS1_3genE8ELNS1_11target_archE1030ELNS1_3gpuE2ELNS1_3repE0EEENS1_47radix_sort_onesweep_sort_config_static_selectorELNS0_4arch9wavefront6targetE1EEEvSE_ ; -- Begin function _ZN7rocprim17ROCPRIM_400000_NS6detail17trampoline_kernelINS0_14default_configENS1_35radix_sort_onesweep_config_selectorIhNS0_10empty_typeEEEZZNS1_29radix_sort_onesweep_iterationIS3_Lb1EPhS8_PS5_S9_mNS0_19identity_decomposerENS1_16block_id_wrapperIjLb1EEEEE10hipError_tT1_PNSt15iterator_traitsISE_E10value_typeET2_T3_PNSF_ISK_E10value_typeET4_T5_PSP_SQ_PNS1_23onesweep_lookback_stateEbbT6_jjT7_P12ihipStream_tbENKUlT_T0_SE_SJ_E_clIS8_S8_S9_S9_EEDaSX_SY_SE_SJ_EUlSX_E_NS1_11comp_targetILNS1_3genE8ELNS1_11target_archE1030ELNS1_3gpuE2ELNS1_3repE0EEENS1_47radix_sort_onesweep_sort_config_static_selectorELNS0_4arch9wavefront6targetE1EEEvSE_
	.globl	_ZN7rocprim17ROCPRIM_400000_NS6detail17trampoline_kernelINS0_14default_configENS1_35radix_sort_onesweep_config_selectorIhNS0_10empty_typeEEEZZNS1_29radix_sort_onesweep_iterationIS3_Lb1EPhS8_PS5_S9_mNS0_19identity_decomposerENS1_16block_id_wrapperIjLb1EEEEE10hipError_tT1_PNSt15iterator_traitsISE_E10value_typeET2_T3_PNSF_ISK_E10value_typeET4_T5_PSP_SQ_PNS1_23onesweep_lookback_stateEbbT6_jjT7_P12ihipStream_tbENKUlT_T0_SE_SJ_E_clIS8_S8_S9_S9_EEDaSX_SY_SE_SJ_EUlSX_E_NS1_11comp_targetILNS1_3genE8ELNS1_11target_archE1030ELNS1_3gpuE2ELNS1_3repE0EEENS1_47radix_sort_onesweep_sort_config_static_selectorELNS0_4arch9wavefront6targetE1EEEvSE_
	.p2align	8
	.type	_ZN7rocprim17ROCPRIM_400000_NS6detail17trampoline_kernelINS0_14default_configENS1_35radix_sort_onesweep_config_selectorIhNS0_10empty_typeEEEZZNS1_29radix_sort_onesweep_iterationIS3_Lb1EPhS8_PS5_S9_mNS0_19identity_decomposerENS1_16block_id_wrapperIjLb1EEEEE10hipError_tT1_PNSt15iterator_traitsISE_E10value_typeET2_T3_PNSF_ISK_E10value_typeET4_T5_PSP_SQ_PNS1_23onesweep_lookback_stateEbbT6_jjT7_P12ihipStream_tbENKUlT_T0_SE_SJ_E_clIS8_S8_S9_S9_EEDaSX_SY_SE_SJ_EUlSX_E_NS1_11comp_targetILNS1_3genE8ELNS1_11target_archE1030ELNS1_3gpuE2ELNS1_3repE0EEENS1_47radix_sort_onesweep_sort_config_static_selectorELNS0_4arch9wavefront6targetE1EEEvSE_,@function
_ZN7rocprim17ROCPRIM_400000_NS6detail17trampoline_kernelINS0_14default_configENS1_35radix_sort_onesweep_config_selectorIhNS0_10empty_typeEEEZZNS1_29radix_sort_onesweep_iterationIS3_Lb1EPhS8_PS5_S9_mNS0_19identity_decomposerENS1_16block_id_wrapperIjLb1EEEEE10hipError_tT1_PNSt15iterator_traitsISE_E10value_typeET2_T3_PNSF_ISK_E10value_typeET4_T5_PSP_SQ_PNS1_23onesweep_lookback_stateEbbT6_jjT7_P12ihipStream_tbENKUlT_T0_SE_SJ_E_clIS8_S8_S9_S9_EEDaSX_SY_SE_SJ_EUlSX_E_NS1_11comp_targetILNS1_3genE8ELNS1_11target_archE1030ELNS1_3gpuE2ELNS1_3repE0EEENS1_47radix_sort_onesweep_sort_config_static_selectorELNS0_4arch9wavefront6targetE1EEEvSE_: ; @_ZN7rocprim17ROCPRIM_400000_NS6detail17trampoline_kernelINS0_14default_configENS1_35radix_sort_onesweep_config_selectorIhNS0_10empty_typeEEEZZNS1_29radix_sort_onesweep_iterationIS3_Lb1EPhS8_PS5_S9_mNS0_19identity_decomposerENS1_16block_id_wrapperIjLb1EEEEE10hipError_tT1_PNSt15iterator_traitsISE_E10value_typeET2_T3_PNSF_ISK_E10value_typeET4_T5_PSP_SQ_PNS1_23onesweep_lookback_stateEbbT6_jjT7_P12ihipStream_tbENKUlT_T0_SE_SJ_E_clIS8_S8_S9_S9_EEDaSX_SY_SE_SJ_EUlSX_E_NS1_11comp_targetILNS1_3genE8ELNS1_11target_archE1030ELNS1_3gpuE2ELNS1_3repE0EEENS1_47radix_sort_onesweep_sort_config_static_selectorELNS0_4arch9wavefront6targetE1EEEvSE_
; %bb.0:
	.section	.rodata,"a",@progbits
	.p2align	6, 0x0
	.amdhsa_kernel _ZN7rocprim17ROCPRIM_400000_NS6detail17trampoline_kernelINS0_14default_configENS1_35radix_sort_onesweep_config_selectorIhNS0_10empty_typeEEEZZNS1_29radix_sort_onesweep_iterationIS3_Lb1EPhS8_PS5_S9_mNS0_19identity_decomposerENS1_16block_id_wrapperIjLb1EEEEE10hipError_tT1_PNSt15iterator_traitsISE_E10value_typeET2_T3_PNSF_ISK_E10value_typeET4_T5_PSP_SQ_PNS1_23onesweep_lookback_stateEbbT6_jjT7_P12ihipStream_tbENKUlT_T0_SE_SJ_E_clIS8_S8_S9_S9_EEDaSX_SY_SE_SJ_EUlSX_E_NS1_11comp_targetILNS1_3genE8ELNS1_11target_archE1030ELNS1_3gpuE2ELNS1_3repE0EEENS1_47radix_sort_onesweep_sort_config_static_selectorELNS0_4arch9wavefront6targetE1EEEvSE_
		.amdhsa_group_segment_fixed_size 0
		.amdhsa_private_segment_fixed_size 0
		.amdhsa_kernarg_size 88
		.amdhsa_user_sgpr_count 6
		.amdhsa_user_sgpr_private_segment_buffer 1
		.amdhsa_user_sgpr_dispatch_ptr 0
		.amdhsa_user_sgpr_queue_ptr 0
		.amdhsa_user_sgpr_kernarg_segment_ptr 1
		.amdhsa_user_sgpr_dispatch_id 0
		.amdhsa_user_sgpr_flat_scratch_init 0
		.amdhsa_user_sgpr_kernarg_preload_length 0
		.amdhsa_user_sgpr_kernarg_preload_offset 0
		.amdhsa_user_sgpr_private_segment_size 0
		.amdhsa_uses_dynamic_stack 0
		.amdhsa_system_sgpr_private_segment_wavefront_offset 0
		.amdhsa_system_sgpr_workgroup_id_x 1
		.amdhsa_system_sgpr_workgroup_id_y 0
		.amdhsa_system_sgpr_workgroup_id_z 0
		.amdhsa_system_sgpr_workgroup_info 0
		.amdhsa_system_vgpr_workitem_id 0
		.amdhsa_next_free_vgpr 1
		.amdhsa_next_free_sgpr 0
		.amdhsa_accum_offset 4
		.amdhsa_reserve_vcc 0
		.amdhsa_reserve_flat_scratch 0
		.amdhsa_float_round_mode_32 0
		.amdhsa_float_round_mode_16_64 0
		.amdhsa_float_denorm_mode_32 3
		.amdhsa_float_denorm_mode_16_64 3
		.amdhsa_dx10_clamp 1
		.amdhsa_ieee_mode 1
		.amdhsa_fp16_overflow 0
		.amdhsa_tg_split 0
		.amdhsa_exception_fp_ieee_invalid_op 0
		.amdhsa_exception_fp_denorm_src 0
		.amdhsa_exception_fp_ieee_div_zero 0
		.amdhsa_exception_fp_ieee_overflow 0
		.amdhsa_exception_fp_ieee_underflow 0
		.amdhsa_exception_fp_ieee_inexact 0
		.amdhsa_exception_int_div_zero 0
	.end_amdhsa_kernel
	.section	.text._ZN7rocprim17ROCPRIM_400000_NS6detail17trampoline_kernelINS0_14default_configENS1_35radix_sort_onesweep_config_selectorIhNS0_10empty_typeEEEZZNS1_29radix_sort_onesweep_iterationIS3_Lb1EPhS8_PS5_S9_mNS0_19identity_decomposerENS1_16block_id_wrapperIjLb1EEEEE10hipError_tT1_PNSt15iterator_traitsISE_E10value_typeET2_T3_PNSF_ISK_E10value_typeET4_T5_PSP_SQ_PNS1_23onesweep_lookback_stateEbbT6_jjT7_P12ihipStream_tbENKUlT_T0_SE_SJ_E_clIS8_S8_S9_S9_EEDaSX_SY_SE_SJ_EUlSX_E_NS1_11comp_targetILNS1_3genE8ELNS1_11target_archE1030ELNS1_3gpuE2ELNS1_3repE0EEENS1_47radix_sort_onesweep_sort_config_static_selectorELNS0_4arch9wavefront6targetE1EEEvSE_,"axG",@progbits,_ZN7rocprim17ROCPRIM_400000_NS6detail17trampoline_kernelINS0_14default_configENS1_35radix_sort_onesweep_config_selectorIhNS0_10empty_typeEEEZZNS1_29radix_sort_onesweep_iterationIS3_Lb1EPhS8_PS5_S9_mNS0_19identity_decomposerENS1_16block_id_wrapperIjLb1EEEEE10hipError_tT1_PNSt15iterator_traitsISE_E10value_typeET2_T3_PNSF_ISK_E10value_typeET4_T5_PSP_SQ_PNS1_23onesweep_lookback_stateEbbT6_jjT7_P12ihipStream_tbENKUlT_T0_SE_SJ_E_clIS8_S8_S9_S9_EEDaSX_SY_SE_SJ_EUlSX_E_NS1_11comp_targetILNS1_3genE8ELNS1_11target_archE1030ELNS1_3gpuE2ELNS1_3repE0EEENS1_47radix_sort_onesweep_sort_config_static_selectorELNS0_4arch9wavefront6targetE1EEEvSE_,comdat
.Lfunc_end1741:
	.size	_ZN7rocprim17ROCPRIM_400000_NS6detail17trampoline_kernelINS0_14default_configENS1_35radix_sort_onesweep_config_selectorIhNS0_10empty_typeEEEZZNS1_29radix_sort_onesweep_iterationIS3_Lb1EPhS8_PS5_S9_mNS0_19identity_decomposerENS1_16block_id_wrapperIjLb1EEEEE10hipError_tT1_PNSt15iterator_traitsISE_E10value_typeET2_T3_PNSF_ISK_E10value_typeET4_T5_PSP_SQ_PNS1_23onesweep_lookback_stateEbbT6_jjT7_P12ihipStream_tbENKUlT_T0_SE_SJ_E_clIS8_S8_S9_S9_EEDaSX_SY_SE_SJ_EUlSX_E_NS1_11comp_targetILNS1_3genE8ELNS1_11target_archE1030ELNS1_3gpuE2ELNS1_3repE0EEENS1_47radix_sort_onesweep_sort_config_static_selectorELNS0_4arch9wavefront6targetE1EEEvSE_, .Lfunc_end1741-_ZN7rocprim17ROCPRIM_400000_NS6detail17trampoline_kernelINS0_14default_configENS1_35radix_sort_onesweep_config_selectorIhNS0_10empty_typeEEEZZNS1_29radix_sort_onesweep_iterationIS3_Lb1EPhS8_PS5_S9_mNS0_19identity_decomposerENS1_16block_id_wrapperIjLb1EEEEE10hipError_tT1_PNSt15iterator_traitsISE_E10value_typeET2_T3_PNSF_ISK_E10value_typeET4_T5_PSP_SQ_PNS1_23onesweep_lookback_stateEbbT6_jjT7_P12ihipStream_tbENKUlT_T0_SE_SJ_E_clIS8_S8_S9_S9_EEDaSX_SY_SE_SJ_EUlSX_E_NS1_11comp_targetILNS1_3genE8ELNS1_11target_archE1030ELNS1_3gpuE2ELNS1_3repE0EEENS1_47radix_sort_onesweep_sort_config_static_selectorELNS0_4arch9wavefront6targetE1EEEvSE_
                                        ; -- End function
	.section	.AMDGPU.csdata,"",@progbits
; Kernel info:
; codeLenInByte = 0
; NumSgprs: 4
; NumVgprs: 0
; NumAgprs: 0
; TotalNumVgprs: 0
; ScratchSize: 0
; MemoryBound: 0
; FloatMode: 240
; IeeeMode: 1
; LDSByteSize: 0 bytes/workgroup (compile time only)
; SGPRBlocks: 0
; VGPRBlocks: 0
; NumSGPRsForWavesPerEU: 4
; NumVGPRsForWavesPerEU: 1
; AccumOffset: 4
; Occupancy: 8
; WaveLimiterHint : 0
; COMPUTE_PGM_RSRC2:SCRATCH_EN: 0
; COMPUTE_PGM_RSRC2:USER_SGPR: 6
; COMPUTE_PGM_RSRC2:TRAP_HANDLER: 0
; COMPUTE_PGM_RSRC2:TGID_X_EN: 1
; COMPUTE_PGM_RSRC2:TGID_Y_EN: 0
; COMPUTE_PGM_RSRC2:TGID_Z_EN: 0
; COMPUTE_PGM_RSRC2:TIDIG_COMP_CNT: 0
; COMPUTE_PGM_RSRC3_GFX90A:ACCUM_OFFSET: 0
; COMPUTE_PGM_RSRC3_GFX90A:TG_SPLIT: 0
	.section	.text._ZN7rocprim17ROCPRIM_400000_NS6detail17trampoline_kernelINS0_14default_configENS1_35radix_sort_onesweep_config_selectorIhNS0_10empty_typeEEEZZNS1_29radix_sort_onesweep_iterationIS3_Lb1EPhS8_PS5_S9_mNS0_19identity_decomposerENS1_16block_id_wrapperIjLb0EEEEE10hipError_tT1_PNSt15iterator_traitsISE_E10value_typeET2_T3_PNSF_ISK_E10value_typeET4_T5_PSP_SQ_PNS1_23onesweep_lookback_stateEbbT6_jjT7_P12ihipStream_tbENKUlT_T0_SE_SJ_E_clIS8_S8_S9_S9_EEDaSX_SY_SE_SJ_EUlSX_E_NS1_11comp_targetILNS1_3genE0ELNS1_11target_archE4294967295ELNS1_3gpuE0ELNS1_3repE0EEENS1_47radix_sort_onesweep_sort_config_static_selectorELNS0_4arch9wavefront6targetE1EEEvSE_,"axG",@progbits,_ZN7rocprim17ROCPRIM_400000_NS6detail17trampoline_kernelINS0_14default_configENS1_35radix_sort_onesweep_config_selectorIhNS0_10empty_typeEEEZZNS1_29radix_sort_onesweep_iterationIS3_Lb1EPhS8_PS5_S9_mNS0_19identity_decomposerENS1_16block_id_wrapperIjLb0EEEEE10hipError_tT1_PNSt15iterator_traitsISE_E10value_typeET2_T3_PNSF_ISK_E10value_typeET4_T5_PSP_SQ_PNS1_23onesweep_lookback_stateEbbT6_jjT7_P12ihipStream_tbENKUlT_T0_SE_SJ_E_clIS8_S8_S9_S9_EEDaSX_SY_SE_SJ_EUlSX_E_NS1_11comp_targetILNS1_3genE0ELNS1_11target_archE4294967295ELNS1_3gpuE0ELNS1_3repE0EEENS1_47radix_sort_onesweep_sort_config_static_selectorELNS0_4arch9wavefront6targetE1EEEvSE_,comdat
	.protected	_ZN7rocprim17ROCPRIM_400000_NS6detail17trampoline_kernelINS0_14default_configENS1_35radix_sort_onesweep_config_selectorIhNS0_10empty_typeEEEZZNS1_29radix_sort_onesweep_iterationIS3_Lb1EPhS8_PS5_S9_mNS0_19identity_decomposerENS1_16block_id_wrapperIjLb0EEEEE10hipError_tT1_PNSt15iterator_traitsISE_E10value_typeET2_T3_PNSF_ISK_E10value_typeET4_T5_PSP_SQ_PNS1_23onesweep_lookback_stateEbbT6_jjT7_P12ihipStream_tbENKUlT_T0_SE_SJ_E_clIS8_S8_S9_S9_EEDaSX_SY_SE_SJ_EUlSX_E_NS1_11comp_targetILNS1_3genE0ELNS1_11target_archE4294967295ELNS1_3gpuE0ELNS1_3repE0EEENS1_47radix_sort_onesweep_sort_config_static_selectorELNS0_4arch9wavefront6targetE1EEEvSE_ ; -- Begin function _ZN7rocprim17ROCPRIM_400000_NS6detail17trampoline_kernelINS0_14default_configENS1_35radix_sort_onesweep_config_selectorIhNS0_10empty_typeEEEZZNS1_29radix_sort_onesweep_iterationIS3_Lb1EPhS8_PS5_S9_mNS0_19identity_decomposerENS1_16block_id_wrapperIjLb0EEEEE10hipError_tT1_PNSt15iterator_traitsISE_E10value_typeET2_T3_PNSF_ISK_E10value_typeET4_T5_PSP_SQ_PNS1_23onesweep_lookback_stateEbbT6_jjT7_P12ihipStream_tbENKUlT_T0_SE_SJ_E_clIS8_S8_S9_S9_EEDaSX_SY_SE_SJ_EUlSX_E_NS1_11comp_targetILNS1_3genE0ELNS1_11target_archE4294967295ELNS1_3gpuE0ELNS1_3repE0EEENS1_47radix_sort_onesweep_sort_config_static_selectorELNS0_4arch9wavefront6targetE1EEEvSE_
	.globl	_ZN7rocprim17ROCPRIM_400000_NS6detail17trampoline_kernelINS0_14default_configENS1_35radix_sort_onesweep_config_selectorIhNS0_10empty_typeEEEZZNS1_29radix_sort_onesweep_iterationIS3_Lb1EPhS8_PS5_S9_mNS0_19identity_decomposerENS1_16block_id_wrapperIjLb0EEEEE10hipError_tT1_PNSt15iterator_traitsISE_E10value_typeET2_T3_PNSF_ISK_E10value_typeET4_T5_PSP_SQ_PNS1_23onesweep_lookback_stateEbbT6_jjT7_P12ihipStream_tbENKUlT_T0_SE_SJ_E_clIS8_S8_S9_S9_EEDaSX_SY_SE_SJ_EUlSX_E_NS1_11comp_targetILNS1_3genE0ELNS1_11target_archE4294967295ELNS1_3gpuE0ELNS1_3repE0EEENS1_47radix_sort_onesweep_sort_config_static_selectorELNS0_4arch9wavefront6targetE1EEEvSE_
	.p2align	8
	.type	_ZN7rocprim17ROCPRIM_400000_NS6detail17trampoline_kernelINS0_14default_configENS1_35radix_sort_onesweep_config_selectorIhNS0_10empty_typeEEEZZNS1_29radix_sort_onesweep_iterationIS3_Lb1EPhS8_PS5_S9_mNS0_19identity_decomposerENS1_16block_id_wrapperIjLb0EEEEE10hipError_tT1_PNSt15iterator_traitsISE_E10value_typeET2_T3_PNSF_ISK_E10value_typeET4_T5_PSP_SQ_PNS1_23onesweep_lookback_stateEbbT6_jjT7_P12ihipStream_tbENKUlT_T0_SE_SJ_E_clIS8_S8_S9_S9_EEDaSX_SY_SE_SJ_EUlSX_E_NS1_11comp_targetILNS1_3genE0ELNS1_11target_archE4294967295ELNS1_3gpuE0ELNS1_3repE0EEENS1_47radix_sort_onesweep_sort_config_static_selectorELNS0_4arch9wavefront6targetE1EEEvSE_,@function
_ZN7rocprim17ROCPRIM_400000_NS6detail17trampoline_kernelINS0_14default_configENS1_35radix_sort_onesweep_config_selectorIhNS0_10empty_typeEEEZZNS1_29radix_sort_onesweep_iterationIS3_Lb1EPhS8_PS5_S9_mNS0_19identity_decomposerENS1_16block_id_wrapperIjLb0EEEEE10hipError_tT1_PNSt15iterator_traitsISE_E10value_typeET2_T3_PNSF_ISK_E10value_typeET4_T5_PSP_SQ_PNS1_23onesweep_lookback_stateEbbT6_jjT7_P12ihipStream_tbENKUlT_T0_SE_SJ_E_clIS8_S8_S9_S9_EEDaSX_SY_SE_SJ_EUlSX_E_NS1_11comp_targetILNS1_3genE0ELNS1_11target_archE4294967295ELNS1_3gpuE0ELNS1_3repE0EEENS1_47radix_sort_onesweep_sort_config_static_selectorELNS0_4arch9wavefront6targetE1EEEvSE_: ; @_ZN7rocprim17ROCPRIM_400000_NS6detail17trampoline_kernelINS0_14default_configENS1_35radix_sort_onesweep_config_selectorIhNS0_10empty_typeEEEZZNS1_29radix_sort_onesweep_iterationIS3_Lb1EPhS8_PS5_S9_mNS0_19identity_decomposerENS1_16block_id_wrapperIjLb0EEEEE10hipError_tT1_PNSt15iterator_traitsISE_E10value_typeET2_T3_PNSF_ISK_E10value_typeET4_T5_PSP_SQ_PNS1_23onesweep_lookback_stateEbbT6_jjT7_P12ihipStream_tbENKUlT_T0_SE_SJ_E_clIS8_S8_S9_S9_EEDaSX_SY_SE_SJ_EUlSX_E_NS1_11comp_targetILNS1_3genE0ELNS1_11target_archE4294967295ELNS1_3gpuE0ELNS1_3repE0EEENS1_47radix_sort_onesweep_sort_config_static_selectorELNS0_4arch9wavefront6targetE1EEEvSE_
; %bb.0:
	.section	.rodata,"a",@progbits
	.p2align	6, 0x0
	.amdhsa_kernel _ZN7rocprim17ROCPRIM_400000_NS6detail17trampoline_kernelINS0_14default_configENS1_35radix_sort_onesweep_config_selectorIhNS0_10empty_typeEEEZZNS1_29radix_sort_onesweep_iterationIS3_Lb1EPhS8_PS5_S9_mNS0_19identity_decomposerENS1_16block_id_wrapperIjLb0EEEEE10hipError_tT1_PNSt15iterator_traitsISE_E10value_typeET2_T3_PNSF_ISK_E10value_typeET4_T5_PSP_SQ_PNS1_23onesweep_lookback_stateEbbT6_jjT7_P12ihipStream_tbENKUlT_T0_SE_SJ_E_clIS8_S8_S9_S9_EEDaSX_SY_SE_SJ_EUlSX_E_NS1_11comp_targetILNS1_3genE0ELNS1_11target_archE4294967295ELNS1_3gpuE0ELNS1_3repE0EEENS1_47radix_sort_onesweep_sort_config_static_selectorELNS0_4arch9wavefront6targetE1EEEvSE_
		.amdhsa_group_segment_fixed_size 0
		.amdhsa_private_segment_fixed_size 0
		.amdhsa_kernarg_size 88
		.amdhsa_user_sgpr_count 6
		.amdhsa_user_sgpr_private_segment_buffer 1
		.amdhsa_user_sgpr_dispatch_ptr 0
		.amdhsa_user_sgpr_queue_ptr 0
		.amdhsa_user_sgpr_kernarg_segment_ptr 1
		.amdhsa_user_sgpr_dispatch_id 0
		.amdhsa_user_sgpr_flat_scratch_init 0
		.amdhsa_user_sgpr_kernarg_preload_length 0
		.amdhsa_user_sgpr_kernarg_preload_offset 0
		.amdhsa_user_sgpr_private_segment_size 0
		.amdhsa_uses_dynamic_stack 0
		.amdhsa_system_sgpr_private_segment_wavefront_offset 0
		.amdhsa_system_sgpr_workgroup_id_x 1
		.amdhsa_system_sgpr_workgroup_id_y 0
		.amdhsa_system_sgpr_workgroup_id_z 0
		.amdhsa_system_sgpr_workgroup_info 0
		.amdhsa_system_vgpr_workitem_id 0
		.amdhsa_next_free_vgpr 1
		.amdhsa_next_free_sgpr 0
		.amdhsa_accum_offset 4
		.amdhsa_reserve_vcc 0
		.amdhsa_reserve_flat_scratch 0
		.amdhsa_float_round_mode_32 0
		.amdhsa_float_round_mode_16_64 0
		.amdhsa_float_denorm_mode_32 3
		.amdhsa_float_denorm_mode_16_64 3
		.amdhsa_dx10_clamp 1
		.amdhsa_ieee_mode 1
		.amdhsa_fp16_overflow 0
		.amdhsa_tg_split 0
		.amdhsa_exception_fp_ieee_invalid_op 0
		.amdhsa_exception_fp_denorm_src 0
		.amdhsa_exception_fp_ieee_div_zero 0
		.amdhsa_exception_fp_ieee_overflow 0
		.amdhsa_exception_fp_ieee_underflow 0
		.amdhsa_exception_fp_ieee_inexact 0
		.amdhsa_exception_int_div_zero 0
	.end_amdhsa_kernel
	.section	.text._ZN7rocprim17ROCPRIM_400000_NS6detail17trampoline_kernelINS0_14default_configENS1_35radix_sort_onesweep_config_selectorIhNS0_10empty_typeEEEZZNS1_29radix_sort_onesweep_iterationIS3_Lb1EPhS8_PS5_S9_mNS0_19identity_decomposerENS1_16block_id_wrapperIjLb0EEEEE10hipError_tT1_PNSt15iterator_traitsISE_E10value_typeET2_T3_PNSF_ISK_E10value_typeET4_T5_PSP_SQ_PNS1_23onesweep_lookback_stateEbbT6_jjT7_P12ihipStream_tbENKUlT_T0_SE_SJ_E_clIS8_S8_S9_S9_EEDaSX_SY_SE_SJ_EUlSX_E_NS1_11comp_targetILNS1_3genE0ELNS1_11target_archE4294967295ELNS1_3gpuE0ELNS1_3repE0EEENS1_47radix_sort_onesweep_sort_config_static_selectorELNS0_4arch9wavefront6targetE1EEEvSE_,"axG",@progbits,_ZN7rocprim17ROCPRIM_400000_NS6detail17trampoline_kernelINS0_14default_configENS1_35radix_sort_onesweep_config_selectorIhNS0_10empty_typeEEEZZNS1_29radix_sort_onesweep_iterationIS3_Lb1EPhS8_PS5_S9_mNS0_19identity_decomposerENS1_16block_id_wrapperIjLb0EEEEE10hipError_tT1_PNSt15iterator_traitsISE_E10value_typeET2_T3_PNSF_ISK_E10value_typeET4_T5_PSP_SQ_PNS1_23onesweep_lookback_stateEbbT6_jjT7_P12ihipStream_tbENKUlT_T0_SE_SJ_E_clIS8_S8_S9_S9_EEDaSX_SY_SE_SJ_EUlSX_E_NS1_11comp_targetILNS1_3genE0ELNS1_11target_archE4294967295ELNS1_3gpuE0ELNS1_3repE0EEENS1_47radix_sort_onesweep_sort_config_static_selectorELNS0_4arch9wavefront6targetE1EEEvSE_,comdat
.Lfunc_end1742:
	.size	_ZN7rocprim17ROCPRIM_400000_NS6detail17trampoline_kernelINS0_14default_configENS1_35radix_sort_onesweep_config_selectorIhNS0_10empty_typeEEEZZNS1_29radix_sort_onesweep_iterationIS3_Lb1EPhS8_PS5_S9_mNS0_19identity_decomposerENS1_16block_id_wrapperIjLb0EEEEE10hipError_tT1_PNSt15iterator_traitsISE_E10value_typeET2_T3_PNSF_ISK_E10value_typeET4_T5_PSP_SQ_PNS1_23onesweep_lookback_stateEbbT6_jjT7_P12ihipStream_tbENKUlT_T0_SE_SJ_E_clIS8_S8_S9_S9_EEDaSX_SY_SE_SJ_EUlSX_E_NS1_11comp_targetILNS1_3genE0ELNS1_11target_archE4294967295ELNS1_3gpuE0ELNS1_3repE0EEENS1_47radix_sort_onesweep_sort_config_static_selectorELNS0_4arch9wavefront6targetE1EEEvSE_, .Lfunc_end1742-_ZN7rocprim17ROCPRIM_400000_NS6detail17trampoline_kernelINS0_14default_configENS1_35radix_sort_onesweep_config_selectorIhNS0_10empty_typeEEEZZNS1_29radix_sort_onesweep_iterationIS3_Lb1EPhS8_PS5_S9_mNS0_19identity_decomposerENS1_16block_id_wrapperIjLb0EEEEE10hipError_tT1_PNSt15iterator_traitsISE_E10value_typeET2_T3_PNSF_ISK_E10value_typeET4_T5_PSP_SQ_PNS1_23onesweep_lookback_stateEbbT6_jjT7_P12ihipStream_tbENKUlT_T0_SE_SJ_E_clIS8_S8_S9_S9_EEDaSX_SY_SE_SJ_EUlSX_E_NS1_11comp_targetILNS1_3genE0ELNS1_11target_archE4294967295ELNS1_3gpuE0ELNS1_3repE0EEENS1_47radix_sort_onesweep_sort_config_static_selectorELNS0_4arch9wavefront6targetE1EEEvSE_
                                        ; -- End function
	.section	.AMDGPU.csdata,"",@progbits
; Kernel info:
; codeLenInByte = 0
; NumSgprs: 4
; NumVgprs: 0
; NumAgprs: 0
; TotalNumVgprs: 0
; ScratchSize: 0
; MemoryBound: 0
; FloatMode: 240
; IeeeMode: 1
; LDSByteSize: 0 bytes/workgroup (compile time only)
; SGPRBlocks: 0
; VGPRBlocks: 0
; NumSGPRsForWavesPerEU: 4
; NumVGPRsForWavesPerEU: 1
; AccumOffset: 4
; Occupancy: 8
; WaveLimiterHint : 0
; COMPUTE_PGM_RSRC2:SCRATCH_EN: 0
; COMPUTE_PGM_RSRC2:USER_SGPR: 6
; COMPUTE_PGM_RSRC2:TRAP_HANDLER: 0
; COMPUTE_PGM_RSRC2:TGID_X_EN: 1
; COMPUTE_PGM_RSRC2:TGID_Y_EN: 0
; COMPUTE_PGM_RSRC2:TGID_Z_EN: 0
; COMPUTE_PGM_RSRC2:TIDIG_COMP_CNT: 0
; COMPUTE_PGM_RSRC3_GFX90A:ACCUM_OFFSET: 0
; COMPUTE_PGM_RSRC3_GFX90A:TG_SPLIT: 0
	.section	.text._ZN7rocprim17ROCPRIM_400000_NS6detail17trampoline_kernelINS0_14default_configENS1_35radix_sort_onesweep_config_selectorIhNS0_10empty_typeEEEZZNS1_29radix_sort_onesweep_iterationIS3_Lb1EPhS8_PS5_S9_mNS0_19identity_decomposerENS1_16block_id_wrapperIjLb0EEEEE10hipError_tT1_PNSt15iterator_traitsISE_E10value_typeET2_T3_PNSF_ISK_E10value_typeET4_T5_PSP_SQ_PNS1_23onesweep_lookback_stateEbbT6_jjT7_P12ihipStream_tbENKUlT_T0_SE_SJ_E_clIS8_S8_S9_S9_EEDaSX_SY_SE_SJ_EUlSX_E_NS1_11comp_targetILNS1_3genE6ELNS1_11target_archE950ELNS1_3gpuE13ELNS1_3repE0EEENS1_47radix_sort_onesweep_sort_config_static_selectorELNS0_4arch9wavefront6targetE1EEEvSE_,"axG",@progbits,_ZN7rocprim17ROCPRIM_400000_NS6detail17trampoline_kernelINS0_14default_configENS1_35radix_sort_onesweep_config_selectorIhNS0_10empty_typeEEEZZNS1_29radix_sort_onesweep_iterationIS3_Lb1EPhS8_PS5_S9_mNS0_19identity_decomposerENS1_16block_id_wrapperIjLb0EEEEE10hipError_tT1_PNSt15iterator_traitsISE_E10value_typeET2_T3_PNSF_ISK_E10value_typeET4_T5_PSP_SQ_PNS1_23onesweep_lookback_stateEbbT6_jjT7_P12ihipStream_tbENKUlT_T0_SE_SJ_E_clIS8_S8_S9_S9_EEDaSX_SY_SE_SJ_EUlSX_E_NS1_11comp_targetILNS1_3genE6ELNS1_11target_archE950ELNS1_3gpuE13ELNS1_3repE0EEENS1_47radix_sort_onesweep_sort_config_static_selectorELNS0_4arch9wavefront6targetE1EEEvSE_,comdat
	.protected	_ZN7rocprim17ROCPRIM_400000_NS6detail17trampoline_kernelINS0_14default_configENS1_35radix_sort_onesweep_config_selectorIhNS0_10empty_typeEEEZZNS1_29radix_sort_onesweep_iterationIS3_Lb1EPhS8_PS5_S9_mNS0_19identity_decomposerENS1_16block_id_wrapperIjLb0EEEEE10hipError_tT1_PNSt15iterator_traitsISE_E10value_typeET2_T3_PNSF_ISK_E10value_typeET4_T5_PSP_SQ_PNS1_23onesweep_lookback_stateEbbT6_jjT7_P12ihipStream_tbENKUlT_T0_SE_SJ_E_clIS8_S8_S9_S9_EEDaSX_SY_SE_SJ_EUlSX_E_NS1_11comp_targetILNS1_3genE6ELNS1_11target_archE950ELNS1_3gpuE13ELNS1_3repE0EEENS1_47radix_sort_onesweep_sort_config_static_selectorELNS0_4arch9wavefront6targetE1EEEvSE_ ; -- Begin function _ZN7rocprim17ROCPRIM_400000_NS6detail17trampoline_kernelINS0_14default_configENS1_35radix_sort_onesweep_config_selectorIhNS0_10empty_typeEEEZZNS1_29radix_sort_onesweep_iterationIS3_Lb1EPhS8_PS5_S9_mNS0_19identity_decomposerENS1_16block_id_wrapperIjLb0EEEEE10hipError_tT1_PNSt15iterator_traitsISE_E10value_typeET2_T3_PNSF_ISK_E10value_typeET4_T5_PSP_SQ_PNS1_23onesweep_lookback_stateEbbT6_jjT7_P12ihipStream_tbENKUlT_T0_SE_SJ_E_clIS8_S8_S9_S9_EEDaSX_SY_SE_SJ_EUlSX_E_NS1_11comp_targetILNS1_3genE6ELNS1_11target_archE950ELNS1_3gpuE13ELNS1_3repE0EEENS1_47radix_sort_onesweep_sort_config_static_selectorELNS0_4arch9wavefront6targetE1EEEvSE_
	.globl	_ZN7rocprim17ROCPRIM_400000_NS6detail17trampoline_kernelINS0_14default_configENS1_35radix_sort_onesweep_config_selectorIhNS0_10empty_typeEEEZZNS1_29radix_sort_onesweep_iterationIS3_Lb1EPhS8_PS5_S9_mNS0_19identity_decomposerENS1_16block_id_wrapperIjLb0EEEEE10hipError_tT1_PNSt15iterator_traitsISE_E10value_typeET2_T3_PNSF_ISK_E10value_typeET4_T5_PSP_SQ_PNS1_23onesweep_lookback_stateEbbT6_jjT7_P12ihipStream_tbENKUlT_T0_SE_SJ_E_clIS8_S8_S9_S9_EEDaSX_SY_SE_SJ_EUlSX_E_NS1_11comp_targetILNS1_3genE6ELNS1_11target_archE950ELNS1_3gpuE13ELNS1_3repE0EEENS1_47radix_sort_onesweep_sort_config_static_selectorELNS0_4arch9wavefront6targetE1EEEvSE_
	.p2align	8
	.type	_ZN7rocprim17ROCPRIM_400000_NS6detail17trampoline_kernelINS0_14default_configENS1_35radix_sort_onesweep_config_selectorIhNS0_10empty_typeEEEZZNS1_29radix_sort_onesweep_iterationIS3_Lb1EPhS8_PS5_S9_mNS0_19identity_decomposerENS1_16block_id_wrapperIjLb0EEEEE10hipError_tT1_PNSt15iterator_traitsISE_E10value_typeET2_T3_PNSF_ISK_E10value_typeET4_T5_PSP_SQ_PNS1_23onesweep_lookback_stateEbbT6_jjT7_P12ihipStream_tbENKUlT_T0_SE_SJ_E_clIS8_S8_S9_S9_EEDaSX_SY_SE_SJ_EUlSX_E_NS1_11comp_targetILNS1_3genE6ELNS1_11target_archE950ELNS1_3gpuE13ELNS1_3repE0EEENS1_47radix_sort_onesweep_sort_config_static_selectorELNS0_4arch9wavefront6targetE1EEEvSE_,@function
_ZN7rocprim17ROCPRIM_400000_NS6detail17trampoline_kernelINS0_14default_configENS1_35radix_sort_onesweep_config_selectorIhNS0_10empty_typeEEEZZNS1_29radix_sort_onesweep_iterationIS3_Lb1EPhS8_PS5_S9_mNS0_19identity_decomposerENS1_16block_id_wrapperIjLb0EEEEE10hipError_tT1_PNSt15iterator_traitsISE_E10value_typeET2_T3_PNSF_ISK_E10value_typeET4_T5_PSP_SQ_PNS1_23onesweep_lookback_stateEbbT6_jjT7_P12ihipStream_tbENKUlT_T0_SE_SJ_E_clIS8_S8_S9_S9_EEDaSX_SY_SE_SJ_EUlSX_E_NS1_11comp_targetILNS1_3genE6ELNS1_11target_archE950ELNS1_3gpuE13ELNS1_3repE0EEENS1_47radix_sort_onesweep_sort_config_static_selectorELNS0_4arch9wavefront6targetE1EEEvSE_: ; @_ZN7rocprim17ROCPRIM_400000_NS6detail17trampoline_kernelINS0_14default_configENS1_35radix_sort_onesweep_config_selectorIhNS0_10empty_typeEEEZZNS1_29radix_sort_onesweep_iterationIS3_Lb1EPhS8_PS5_S9_mNS0_19identity_decomposerENS1_16block_id_wrapperIjLb0EEEEE10hipError_tT1_PNSt15iterator_traitsISE_E10value_typeET2_T3_PNSF_ISK_E10value_typeET4_T5_PSP_SQ_PNS1_23onesweep_lookback_stateEbbT6_jjT7_P12ihipStream_tbENKUlT_T0_SE_SJ_E_clIS8_S8_S9_S9_EEDaSX_SY_SE_SJ_EUlSX_E_NS1_11comp_targetILNS1_3genE6ELNS1_11target_archE950ELNS1_3gpuE13ELNS1_3repE0EEENS1_47radix_sort_onesweep_sort_config_static_selectorELNS0_4arch9wavefront6targetE1EEEvSE_
; %bb.0:
	.section	.rodata,"a",@progbits
	.p2align	6, 0x0
	.amdhsa_kernel _ZN7rocprim17ROCPRIM_400000_NS6detail17trampoline_kernelINS0_14default_configENS1_35radix_sort_onesweep_config_selectorIhNS0_10empty_typeEEEZZNS1_29radix_sort_onesweep_iterationIS3_Lb1EPhS8_PS5_S9_mNS0_19identity_decomposerENS1_16block_id_wrapperIjLb0EEEEE10hipError_tT1_PNSt15iterator_traitsISE_E10value_typeET2_T3_PNSF_ISK_E10value_typeET4_T5_PSP_SQ_PNS1_23onesweep_lookback_stateEbbT6_jjT7_P12ihipStream_tbENKUlT_T0_SE_SJ_E_clIS8_S8_S9_S9_EEDaSX_SY_SE_SJ_EUlSX_E_NS1_11comp_targetILNS1_3genE6ELNS1_11target_archE950ELNS1_3gpuE13ELNS1_3repE0EEENS1_47radix_sort_onesweep_sort_config_static_selectorELNS0_4arch9wavefront6targetE1EEEvSE_
		.amdhsa_group_segment_fixed_size 0
		.amdhsa_private_segment_fixed_size 0
		.amdhsa_kernarg_size 88
		.amdhsa_user_sgpr_count 6
		.amdhsa_user_sgpr_private_segment_buffer 1
		.amdhsa_user_sgpr_dispatch_ptr 0
		.amdhsa_user_sgpr_queue_ptr 0
		.amdhsa_user_sgpr_kernarg_segment_ptr 1
		.amdhsa_user_sgpr_dispatch_id 0
		.amdhsa_user_sgpr_flat_scratch_init 0
		.amdhsa_user_sgpr_kernarg_preload_length 0
		.amdhsa_user_sgpr_kernarg_preload_offset 0
		.amdhsa_user_sgpr_private_segment_size 0
		.amdhsa_uses_dynamic_stack 0
		.amdhsa_system_sgpr_private_segment_wavefront_offset 0
		.amdhsa_system_sgpr_workgroup_id_x 1
		.amdhsa_system_sgpr_workgroup_id_y 0
		.amdhsa_system_sgpr_workgroup_id_z 0
		.amdhsa_system_sgpr_workgroup_info 0
		.amdhsa_system_vgpr_workitem_id 0
		.amdhsa_next_free_vgpr 1
		.amdhsa_next_free_sgpr 0
		.amdhsa_accum_offset 4
		.amdhsa_reserve_vcc 0
		.amdhsa_reserve_flat_scratch 0
		.amdhsa_float_round_mode_32 0
		.amdhsa_float_round_mode_16_64 0
		.amdhsa_float_denorm_mode_32 3
		.amdhsa_float_denorm_mode_16_64 3
		.amdhsa_dx10_clamp 1
		.amdhsa_ieee_mode 1
		.amdhsa_fp16_overflow 0
		.amdhsa_tg_split 0
		.amdhsa_exception_fp_ieee_invalid_op 0
		.amdhsa_exception_fp_denorm_src 0
		.amdhsa_exception_fp_ieee_div_zero 0
		.amdhsa_exception_fp_ieee_overflow 0
		.amdhsa_exception_fp_ieee_underflow 0
		.amdhsa_exception_fp_ieee_inexact 0
		.amdhsa_exception_int_div_zero 0
	.end_amdhsa_kernel
	.section	.text._ZN7rocprim17ROCPRIM_400000_NS6detail17trampoline_kernelINS0_14default_configENS1_35radix_sort_onesweep_config_selectorIhNS0_10empty_typeEEEZZNS1_29radix_sort_onesweep_iterationIS3_Lb1EPhS8_PS5_S9_mNS0_19identity_decomposerENS1_16block_id_wrapperIjLb0EEEEE10hipError_tT1_PNSt15iterator_traitsISE_E10value_typeET2_T3_PNSF_ISK_E10value_typeET4_T5_PSP_SQ_PNS1_23onesweep_lookback_stateEbbT6_jjT7_P12ihipStream_tbENKUlT_T0_SE_SJ_E_clIS8_S8_S9_S9_EEDaSX_SY_SE_SJ_EUlSX_E_NS1_11comp_targetILNS1_3genE6ELNS1_11target_archE950ELNS1_3gpuE13ELNS1_3repE0EEENS1_47radix_sort_onesweep_sort_config_static_selectorELNS0_4arch9wavefront6targetE1EEEvSE_,"axG",@progbits,_ZN7rocprim17ROCPRIM_400000_NS6detail17trampoline_kernelINS0_14default_configENS1_35radix_sort_onesweep_config_selectorIhNS0_10empty_typeEEEZZNS1_29radix_sort_onesweep_iterationIS3_Lb1EPhS8_PS5_S9_mNS0_19identity_decomposerENS1_16block_id_wrapperIjLb0EEEEE10hipError_tT1_PNSt15iterator_traitsISE_E10value_typeET2_T3_PNSF_ISK_E10value_typeET4_T5_PSP_SQ_PNS1_23onesweep_lookback_stateEbbT6_jjT7_P12ihipStream_tbENKUlT_T0_SE_SJ_E_clIS8_S8_S9_S9_EEDaSX_SY_SE_SJ_EUlSX_E_NS1_11comp_targetILNS1_3genE6ELNS1_11target_archE950ELNS1_3gpuE13ELNS1_3repE0EEENS1_47radix_sort_onesweep_sort_config_static_selectorELNS0_4arch9wavefront6targetE1EEEvSE_,comdat
.Lfunc_end1743:
	.size	_ZN7rocprim17ROCPRIM_400000_NS6detail17trampoline_kernelINS0_14default_configENS1_35radix_sort_onesweep_config_selectorIhNS0_10empty_typeEEEZZNS1_29radix_sort_onesweep_iterationIS3_Lb1EPhS8_PS5_S9_mNS0_19identity_decomposerENS1_16block_id_wrapperIjLb0EEEEE10hipError_tT1_PNSt15iterator_traitsISE_E10value_typeET2_T3_PNSF_ISK_E10value_typeET4_T5_PSP_SQ_PNS1_23onesweep_lookback_stateEbbT6_jjT7_P12ihipStream_tbENKUlT_T0_SE_SJ_E_clIS8_S8_S9_S9_EEDaSX_SY_SE_SJ_EUlSX_E_NS1_11comp_targetILNS1_3genE6ELNS1_11target_archE950ELNS1_3gpuE13ELNS1_3repE0EEENS1_47radix_sort_onesweep_sort_config_static_selectorELNS0_4arch9wavefront6targetE1EEEvSE_, .Lfunc_end1743-_ZN7rocprim17ROCPRIM_400000_NS6detail17trampoline_kernelINS0_14default_configENS1_35radix_sort_onesweep_config_selectorIhNS0_10empty_typeEEEZZNS1_29radix_sort_onesweep_iterationIS3_Lb1EPhS8_PS5_S9_mNS0_19identity_decomposerENS1_16block_id_wrapperIjLb0EEEEE10hipError_tT1_PNSt15iterator_traitsISE_E10value_typeET2_T3_PNSF_ISK_E10value_typeET4_T5_PSP_SQ_PNS1_23onesweep_lookback_stateEbbT6_jjT7_P12ihipStream_tbENKUlT_T0_SE_SJ_E_clIS8_S8_S9_S9_EEDaSX_SY_SE_SJ_EUlSX_E_NS1_11comp_targetILNS1_3genE6ELNS1_11target_archE950ELNS1_3gpuE13ELNS1_3repE0EEENS1_47radix_sort_onesweep_sort_config_static_selectorELNS0_4arch9wavefront6targetE1EEEvSE_
                                        ; -- End function
	.section	.AMDGPU.csdata,"",@progbits
; Kernel info:
; codeLenInByte = 0
; NumSgprs: 4
; NumVgprs: 0
; NumAgprs: 0
; TotalNumVgprs: 0
; ScratchSize: 0
; MemoryBound: 0
; FloatMode: 240
; IeeeMode: 1
; LDSByteSize: 0 bytes/workgroup (compile time only)
; SGPRBlocks: 0
; VGPRBlocks: 0
; NumSGPRsForWavesPerEU: 4
; NumVGPRsForWavesPerEU: 1
; AccumOffset: 4
; Occupancy: 8
; WaveLimiterHint : 0
; COMPUTE_PGM_RSRC2:SCRATCH_EN: 0
; COMPUTE_PGM_RSRC2:USER_SGPR: 6
; COMPUTE_PGM_RSRC2:TRAP_HANDLER: 0
; COMPUTE_PGM_RSRC2:TGID_X_EN: 1
; COMPUTE_PGM_RSRC2:TGID_Y_EN: 0
; COMPUTE_PGM_RSRC2:TGID_Z_EN: 0
; COMPUTE_PGM_RSRC2:TIDIG_COMP_CNT: 0
; COMPUTE_PGM_RSRC3_GFX90A:ACCUM_OFFSET: 0
; COMPUTE_PGM_RSRC3_GFX90A:TG_SPLIT: 0
	.section	.text._ZN7rocprim17ROCPRIM_400000_NS6detail17trampoline_kernelINS0_14default_configENS1_35radix_sort_onesweep_config_selectorIhNS0_10empty_typeEEEZZNS1_29radix_sort_onesweep_iterationIS3_Lb1EPhS8_PS5_S9_mNS0_19identity_decomposerENS1_16block_id_wrapperIjLb0EEEEE10hipError_tT1_PNSt15iterator_traitsISE_E10value_typeET2_T3_PNSF_ISK_E10value_typeET4_T5_PSP_SQ_PNS1_23onesweep_lookback_stateEbbT6_jjT7_P12ihipStream_tbENKUlT_T0_SE_SJ_E_clIS8_S8_S9_S9_EEDaSX_SY_SE_SJ_EUlSX_E_NS1_11comp_targetILNS1_3genE5ELNS1_11target_archE942ELNS1_3gpuE9ELNS1_3repE0EEENS1_47radix_sort_onesweep_sort_config_static_selectorELNS0_4arch9wavefront6targetE1EEEvSE_,"axG",@progbits,_ZN7rocprim17ROCPRIM_400000_NS6detail17trampoline_kernelINS0_14default_configENS1_35radix_sort_onesweep_config_selectorIhNS0_10empty_typeEEEZZNS1_29radix_sort_onesweep_iterationIS3_Lb1EPhS8_PS5_S9_mNS0_19identity_decomposerENS1_16block_id_wrapperIjLb0EEEEE10hipError_tT1_PNSt15iterator_traitsISE_E10value_typeET2_T3_PNSF_ISK_E10value_typeET4_T5_PSP_SQ_PNS1_23onesweep_lookback_stateEbbT6_jjT7_P12ihipStream_tbENKUlT_T0_SE_SJ_E_clIS8_S8_S9_S9_EEDaSX_SY_SE_SJ_EUlSX_E_NS1_11comp_targetILNS1_3genE5ELNS1_11target_archE942ELNS1_3gpuE9ELNS1_3repE0EEENS1_47radix_sort_onesweep_sort_config_static_selectorELNS0_4arch9wavefront6targetE1EEEvSE_,comdat
	.protected	_ZN7rocprim17ROCPRIM_400000_NS6detail17trampoline_kernelINS0_14default_configENS1_35radix_sort_onesweep_config_selectorIhNS0_10empty_typeEEEZZNS1_29radix_sort_onesweep_iterationIS3_Lb1EPhS8_PS5_S9_mNS0_19identity_decomposerENS1_16block_id_wrapperIjLb0EEEEE10hipError_tT1_PNSt15iterator_traitsISE_E10value_typeET2_T3_PNSF_ISK_E10value_typeET4_T5_PSP_SQ_PNS1_23onesweep_lookback_stateEbbT6_jjT7_P12ihipStream_tbENKUlT_T0_SE_SJ_E_clIS8_S8_S9_S9_EEDaSX_SY_SE_SJ_EUlSX_E_NS1_11comp_targetILNS1_3genE5ELNS1_11target_archE942ELNS1_3gpuE9ELNS1_3repE0EEENS1_47radix_sort_onesweep_sort_config_static_selectorELNS0_4arch9wavefront6targetE1EEEvSE_ ; -- Begin function _ZN7rocprim17ROCPRIM_400000_NS6detail17trampoline_kernelINS0_14default_configENS1_35radix_sort_onesweep_config_selectorIhNS0_10empty_typeEEEZZNS1_29radix_sort_onesweep_iterationIS3_Lb1EPhS8_PS5_S9_mNS0_19identity_decomposerENS1_16block_id_wrapperIjLb0EEEEE10hipError_tT1_PNSt15iterator_traitsISE_E10value_typeET2_T3_PNSF_ISK_E10value_typeET4_T5_PSP_SQ_PNS1_23onesweep_lookback_stateEbbT6_jjT7_P12ihipStream_tbENKUlT_T0_SE_SJ_E_clIS8_S8_S9_S9_EEDaSX_SY_SE_SJ_EUlSX_E_NS1_11comp_targetILNS1_3genE5ELNS1_11target_archE942ELNS1_3gpuE9ELNS1_3repE0EEENS1_47radix_sort_onesweep_sort_config_static_selectorELNS0_4arch9wavefront6targetE1EEEvSE_
	.globl	_ZN7rocprim17ROCPRIM_400000_NS6detail17trampoline_kernelINS0_14default_configENS1_35radix_sort_onesweep_config_selectorIhNS0_10empty_typeEEEZZNS1_29radix_sort_onesweep_iterationIS3_Lb1EPhS8_PS5_S9_mNS0_19identity_decomposerENS1_16block_id_wrapperIjLb0EEEEE10hipError_tT1_PNSt15iterator_traitsISE_E10value_typeET2_T3_PNSF_ISK_E10value_typeET4_T5_PSP_SQ_PNS1_23onesweep_lookback_stateEbbT6_jjT7_P12ihipStream_tbENKUlT_T0_SE_SJ_E_clIS8_S8_S9_S9_EEDaSX_SY_SE_SJ_EUlSX_E_NS1_11comp_targetILNS1_3genE5ELNS1_11target_archE942ELNS1_3gpuE9ELNS1_3repE0EEENS1_47radix_sort_onesweep_sort_config_static_selectorELNS0_4arch9wavefront6targetE1EEEvSE_
	.p2align	8
	.type	_ZN7rocprim17ROCPRIM_400000_NS6detail17trampoline_kernelINS0_14default_configENS1_35radix_sort_onesweep_config_selectorIhNS0_10empty_typeEEEZZNS1_29radix_sort_onesweep_iterationIS3_Lb1EPhS8_PS5_S9_mNS0_19identity_decomposerENS1_16block_id_wrapperIjLb0EEEEE10hipError_tT1_PNSt15iterator_traitsISE_E10value_typeET2_T3_PNSF_ISK_E10value_typeET4_T5_PSP_SQ_PNS1_23onesweep_lookback_stateEbbT6_jjT7_P12ihipStream_tbENKUlT_T0_SE_SJ_E_clIS8_S8_S9_S9_EEDaSX_SY_SE_SJ_EUlSX_E_NS1_11comp_targetILNS1_3genE5ELNS1_11target_archE942ELNS1_3gpuE9ELNS1_3repE0EEENS1_47radix_sort_onesweep_sort_config_static_selectorELNS0_4arch9wavefront6targetE1EEEvSE_,@function
_ZN7rocprim17ROCPRIM_400000_NS6detail17trampoline_kernelINS0_14default_configENS1_35radix_sort_onesweep_config_selectorIhNS0_10empty_typeEEEZZNS1_29radix_sort_onesweep_iterationIS3_Lb1EPhS8_PS5_S9_mNS0_19identity_decomposerENS1_16block_id_wrapperIjLb0EEEEE10hipError_tT1_PNSt15iterator_traitsISE_E10value_typeET2_T3_PNSF_ISK_E10value_typeET4_T5_PSP_SQ_PNS1_23onesweep_lookback_stateEbbT6_jjT7_P12ihipStream_tbENKUlT_T0_SE_SJ_E_clIS8_S8_S9_S9_EEDaSX_SY_SE_SJ_EUlSX_E_NS1_11comp_targetILNS1_3genE5ELNS1_11target_archE942ELNS1_3gpuE9ELNS1_3repE0EEENS1_47radix_sort_onesweep_sort_config_static_selectorELNS0_4arch9wavefront6targetE1EEEvSE_: ; @_ZN7rocprim17ROCPRIM_400000_NS6detail17trampoline_kernelINS0_14default_configENS1_35radix_sort_onesweep_config_selectorIhNS0_10empty_typeEEEZZNS1_29radix_sort_onesweep_iterationIS3_Lb1EPhS8_PS5_S9_mNS0_19identity_decomposerENS1_16block_id_wrapperIjLb0EEEEE10hipError_tT1_PNSt15iterator_traitsISE_E10value_typeET2_T3_PNSF_ISK_E10value_typeET4_T5_PSP_SQ_PNS1_23onesweep_lookback_stateEbbT6_jjT7_P12ihipStream_tbENKUlT_T0_SE_SJ_E_clIS8_S8_S9_S9_EEDaSX_SY_SE_SJ_EUlSX_E_NS1_11comp_targetILNS1_3genE5ELNS1_11target_archE942ELNS1_3gpuE9ELNS1_3repE0EEENS1_47radix_sort_onesweep_sort_config_static_selectorELNS0_4arch9wavefront6targetE1EEEvSE_
; %bb.0:
	.section	.rodata,"a",@progbits
	.p2align	6, 0x0
	.amdhsa_kernel _ZN7rocprim17ROCPRIM_400000_NS6detail17trampoline_kernelINS0_14default_configENS1_35radix_sort_onesweep_config_selectorIhNS0_10empty_typeEEEZZNS1_29radix_sort_onesweep_iterationIS3_Lb1EPhS8_PS5_S9_mNS0_19identity_decomposerENS1_16block_id_wrapperIjLb0EEEEE10hipError_tT1_PNSt15iterator_traitsISE_E10value_typeET2_T3_PNSF_ISK_E10value_typeET4_T5_PSP_SQ_PNS1_23onesweep_lookback_stateEbbT6_jjT7_P12ihipStream_tbENKUlT_T0_SE_SJ_E_clIS8_S8_S9_S9_EEDaSX_SY_SE_SJ_EUlSX_E_NS1_11comp_targetILNS1_3genE5ELNS1_11target_archE942ELNS1_3gpuE9ELNS1_3repE0EEENS1_47radix_sort_onesweep_sort_config_static_selectorELNS0_4arch9wavefront6targetE1EEEvSE_
		.amdhsa_group_segment_fixed_size 0
		.amdhsa_private_segment_fixed_size 0
		.amdhsa_kernarg_size 88
		.amdhsa_user_sgpr_count 6
		.amdhsa_user_sgpr_private_segment_buffer 1
		.amdhsa_user_sgpr_dispatch_ptr 0
		.amdhsa_user_sgpr_queue_ptr 0
		.amdhsa_user_sgpr_kernarg_segment_ptr 1
		.amdhsa_user_sgpr_dispatch_id 0
		.amdhsa_user_sgpr_flat_scratch_init 0
		.amdhsa_user_sgpr_kernarg_preload_length 0
		.amdhsa_user_sgpr_kernarg_preload_offset 0
		.amdhsa_user_sgpr_private_segment_size 0
		.amdhsa_uses_dynamic_stack 0
		.amdhsa_system_sgpr_private_segment_wavefront_offset 0
		.amdhsa_system_sgpr_workgroup_id_x 1
		.amdhsa_system_sgpr_workgroup_id_y 0
		.amdhsa_system_sgpr_workgroup_id_z 0
		.amdhsa_system_sgpr_workgroup_info 0
		.amdhsa_system_vgpr_workitem_id 0
		.amdhsa_next_free_vgpr 1
		.amdhsa_next_free_sgpr 0
		.amdhsa_accum_offset 4
		.amdhsa_reserve_vcc 0
		.amdhsa_reserve_flat_scratch 0
		.amdhsa_float_round_mode_32 0
		.amdhsa_float_round_mode_16_64 0
		.amdhsa_float_denorm_mode_32 3
		.amdhsa_float_denorm_mode_16_64 3
		.amdhsa_dx10_clamp 1
		.amdhsa_ieee_mode 1
		.amdhsa_fp16_overflow 0
		.amdhsa_tg_split 0
		.amdhsa_exception_fp_ieee_invalid_op 0
		.amdhsa_exception_fp_denorm_src 0
		.amdhsa_exception_fp_ieee_div_zero 0
		.amdhsa_exception_fp_ieee_overflow 0
		.amdhsa_exception_fp_ieee_underflow 0
		.amdhsa_exception_fp_ieee_inexact 0
		.amdhsa_exception_int_div_zero 0
	.end_amdhsa_kernel
	.section	.text._ZN7rocprim17ROCPRIM_400000_NS6detail17trampoline_kernelINS0_14default_configENS1_35radix_sort_onesweep_config_selectorIhNS0_10empty_typeEEEZZNS1_29radix_sort_onesweep_iterationIS3_Lb1EPhS8_PS5_S9_mNS0_19identity_decomposerENS1_16block_id_wrapperIjLb0EEEEE10hipError_tT1_PNSt15iterator_traitsISE_E10value_typeET2_T3_PNSF_ISK_E10value_typeET4_T5_PSP_SQ_PNS1_23onesweep_lookback_stateEbbT6_jjT7_P12ihipStream_tbENKUlT_T0_SE_SJ_E_clIS8_S8_S9_S9_EEDaSX_SY_SE_SJ_EUlSX_E_NS1_11comp_targetILNS1_3genE5ELNS1_11target_archE942ELNS1_3gpuE9ELNS1_3repE0EEENS1_47radix_sort_onesweep_sort_config_static_selectorELNS0_4arch9wavefront6targetE1EEEvSE_,"axG",@progbits,_ZN7rocprim17ROCPRIM_400000_NS6detail17trampoline_kernelINS0_14default_configENS1_35radix_sort_onesweep_config_selectorIhNS0_10empty_typeEEEZZNS1_29radix_sort_onesweep_iterationIS3_Lb1EPhS8_PS5_S9_mNS0_19identity_decomposerENS1_16block_id_wrapperIjLb0EEEEE10hipError_tT1_PNSt15iterator_traitsISE_E10value_typeET2_T3_PNSF_ISK_E10value_typeET4_T5_PSP_SQ_PNS1_23onesweep_lookback_stateEbbT6_jjT7_P12ihipStream_tbENKUlT_T0_SE_SJ_E_clIS8_S8_S9_S9_EEDaSX_SY_SE_SJ_EUlSX_E_NS1_11comp_targetILNS1_3genE5ELNS1_11target_archE942ELNS1_3gpuE9ELNS1_3repE0EEENS1_47radix_sort_onesweep_sort_config_static_selectorELNS0_4arch9wavefront6targetE1EEEvSE_,comdat
.Lfunc_end1744:
	.size	_ZN7rocprim17ROCPRIM_400000_NS6detail17trampoline_kernelINS0_14default_configENS1_35radix_sort_onesweep_config_selectorIhNS0_10empty_typeEEEZZNS1_29radix_sort_onesweep_iterationIS3_Lb1EPhS8_PS5_S9_mNS0_19identity_decomposerENS1_16block_id_wrapperIjLb0EEEEE10hipError_tT1_PNSt15iterator_traitsISE_E10value_typeET2_T3_PNSF_ISK_E10value_typeET4_T5_PSP_SQ_PNS1_23onesweep_lookback_stateEbbT6_jjT7_P12ihipStream_tbENKUlT_T0_SE_SJ_E_clIS8_S8_S9_S9_EEDaSX_SY_SE_SJ_EUlSX_E_NS1_11comp_targetILNS1_3genE5ELNS1_11target_archE942ELNS1_3gpuE9ELNS1_3repE0EEENS1_47radix_sort_onesweep_sort_config_static_selectorELNS0_4arch9wavefront6targetE1EEEvSE_, .Lfunc_end1744-_ZN7rocprim17ROCPRIM_400000_NS6detail17trampoline_kernelINS0_14default_configENS1_35radix_sort_onesweep_config_selectorIhNS0_10empty_typeEEEZZNS1_29radix_sort_onesweep_iterationIS3_Lb1EPhS8_PS5_S9_mNS0_19identity_decomposerENS1_16block_id_wrapperIjLb0EEEEE10hipError_tT1_PNSt15iterator_traitsISE_E10value_typeET2_T3_PNSF_ISK_E10value_typeET4_T5_PSP_SQ_PNS1_23onesweep_lookback_stateEbbT6_jjT7_P12ihipStream_tbENKUlT_T0_SE_SJ_E_clIS8_S8_S9_S9_EEDaSX_SY_SE_SJ_EUlSX_E_NS1_11comp_targetILNS1_3genE5ELNS1_11target_archE942ELNS1_3gpuE9ELNS1_3repE0EEENS1_47radix_sort_onesweep_sort_config_static_selectorELNS0_4arch9wavefront6targetE1EEEvSE_
                                        ; -- End function
	.section	.AMDGPU.csdata,"",@progbits
; Kernel info:
; codeLenInByte = 0
; NumSgprs: 4
; NumVgprs: 0
; NumAgprs: 0
; TotalNumVgprs: 0
; ScratchSize: 0
; MemoryBound: 0
; FloatMode: 240
; IeeeMode: 1
; LDSByteSize: 0 bytes/workgroup (compile time only)
; SGPRBlocks: 0
; VGPRBlocks: 0
; NumSGPRsForWavesPerEU: 4
; NumVGPRsForWavesPerEU: 1
; AccumOffset: 4
; Occupancy: 8
; WaveLimiterHint : 0
; COMPUTE_PGM_RSRC2:SCRATCH_EN: 0
; COMPUTE_PGM_RSRC2:USER_SGPR: 6
; COMPUTE_PGM_RSRC2:TRAP_HANDLER: 0
; COMPUTE_PGM_RSRC2:TGID_X_EN: 1
; COMPUTE_PGM_RSRC2:TGID_Y_EN: 0
; COMPUTE_PGM_RSRC2:TGID_Z_EN: 0
; COMPUTE_PGM_RSRC2:TIDIG_COMP_CNT: 0
; COMPUTE_PGM_RSRC3_GFX90A:ACCUM_OFFSET: 0
; COMPUTE_PGM_RSRC3_GFX90A:TG_SPLIT: 0
	.section	.text._ZN7rocprim17ROCPRIM_400000_NS6detail17trampoline_kernelINS0_14default_configENS1_35radix_sort_onesweep_config_selectorIhNS0_10empty_typeEEEZZNS1_29radix_sort_onesweep_iterationIS3_Lb1EPhS8_PS5_S9_mNS0_19identity_decomposerENS1_16block_id_wrapperIjLb0EEEEE10hipError_tT1_PNSt15iterator_traitsISE_E10value_typeET2_T3_PNSF_ISK_E10value_typeET4_T5_PSP_SQ_PNS1_23onesweep_lookback_stateEbbT6_jjT7_P12ihipStream_tbENKUlT_T0_SE_SJ_E_clIS8_S8_S9_S9_EEDaSX_SY_SE_SJ_EUlSX_E_NS1_11comp_targetILNS1_3genE2ELNS1_11target_archE906ELNS1_3gpuE6ELNS1_3repE0EEENS1_47radix_sort_onesweep_sort_config_static_selectorELNS0_4arch9wavefront6targetE1EEEvSE_,"axG",@progbits,_ZN7rocprim17ROCPRIM_400000_NS6detail17trampoline_kernelINS0_14default_configENS1_35radix_sort_onesweep_config_selectorIhNS0_10empty_typeEEEZZNS1_29radix_sort_onesweep_iterationIS3_Lb1EPhS8_PS5_S9_mNS0_19identity_decomposerENS1_16block_id_wrapperIjLb0EEEEE10hipError_tT1_PNSt15iterator_traitsISE_E10value_typeET2_T3_PNSF_ISK_E10value_typeET4_T5_PSP_SQ_PNS1_23onesweep_lookback_stateEbbT6_jjT7_P12ihipStream_tbENKUlT_T0_SE_SJ_E_clIS8_S8_S9_S9_EEDaSX_SY_SE_SJ_EUlSX_E_NS1_11comp_targetILNS1_3genE2ELNS1_11target_archE906ELNS1_3gpuE6ELNS1_3repE0EEENS1_47radix_sort_onesweep_sort_config_static_selectorELNS0_4arch9wavefront6targetE1EEEvSE_,comdat
	.protected	_ZN7rocprim17ROCPRIM_400000_NS6detail17trampoline_kernelINS0_14default_configENS1_35radix_sort_onesweep_config_selectorIhNS0_10empty_typeEEEZZNS1_29radix_sort_onesweep_iterationIS3_Lb1EPhS8_PS5_S9_mNS0_19identity_decomposerENS1_16block_id_wrapperIjLb0EEEEE10hipError_tT1_PNSt15iterator_traitsISE_E10value_typeET2_T3_PNSF_ISK_E10value_typeET4_T5_PSP_SQ_PNS1_23onesweep_lookback_stateEbbT6_jjT7_P12ihipStream_tbENKUlT_T0_SE_SJ_E_clIS8_S8_S9_S9_EEDaSX_SY_SE_SJ_EUlSX_E_NS1_11comp_targetILNS1_3genE2ELNS1_11target_archE906ELNS1_3gpuE6ELNS1_3repE0EEENS1_47radix_sort_onesweep_sort_config_static_selectorELNS0_4arch9wavefront6targetE1EEEvSE_ ; -- Begin function _ZN7rocprim17ROCPRIM_400000_NS6detail17trampoline_kernelINS0_14default_configENS1_35radix_sort_onesweep_config_selectorIhNS0_10empty_typeEEEZZNS1_29radix_sort_onesweep_iterationIS3_Lb1EPhS8_PS5_S9_mNS0_19identity_decomposerENS1_16block_id_wrapperIjLb0EEEEE10hipError_tT1_PNSt15iterator_traitsISE_E10value_typeET2_T3_PNSF_ISK_E10value_typeET4_T5_PSP_SQ_PNS1_23onesweep_lookback_stateEbbT6_jjT7_P12ihipStream_tbENKUlT_T0_SE_SJ_E_clIS8_S8_S9_S9_EEDaSX_SY_SE_SJ_EUlSX_E_NS1_11comp_targetILNS1_3genE2ELNS1_11target_archE906ELNS1_3gpuE6ELNS1_3repE0EEENS1_47radix_sort_onesweep_sort_config_static_selectorELNS0_4arch9wavefront6targetE1EEEvSE_
	.globl	_ZN7rocprim17ROCPRIM_400000_NS6detail17trampoline_kernelINS0_14default_configENS1_35radix_sort_onesweep_config_selectorIhNS0_10empty_typeEEEZZNS1_29radix_sort_onesweep_iterationIS3_Lb1EPhS8_PS5_S9_mNS0_19identity_decomposerENS1_16block_id_wrapperIjLb0EEEEE10hipError_tT1_PNSt15iterator_traitsISE_E10value_typeET2_T3_PNSF_ISK_E10value_typeET4_T5_PSP_SQ_PNS1_23onesweep_lookback_stateEbbT6_jjT7_P12ihipStream_tbENKUlT_T0_SE_SJ_E_clIS8_S8_S9_S9_EEDaSX_SY_SE_SJ_EUlSX_E_NS1_11comp_targetILNS1_3genE2ELNS1_11target_archE906ELNS1_3gpuE6ELNS1_3repE0EEENS1_47radix_sort_onesweep_sort_config_static_selectorELNS0_4arch9wavefront6targetE1EEEvSE_
	.p2align	8
	.type	_ZN7rocprim17ROCPRIM_400000_NS6detail17trampoline_kernelINS0_14default_configENS1_35radix_sort_onesweep_config_selectorIhNS0_10empty_typeEEEZZNS1_29radix_sort_onesweep_iterationIS3_Lb1EPhS8_PS5_S9_mNS0_19identity_decomposerENS1_16block_id_wrapperIjLb0EEEEE10hipError_tT1_PNSt15iterator_traitsISE_E10value_typeET2_T3_PNSF_ISK_E10value_typeET4_T5_PSP_SQ_PNS1_23onesweep_lookback_stateEbbT6_jjT7_P12ihipStream_tbENKUlT_T0_SE_SJ_E_clIS8_S8_S9_S9_EEDaSX_SY_SE_SJ_EUlSX_E_NS1_11comp_targetILNS1_3genE2ELNS1_11target_archE906ELNS1_3gpuE6ELNS1_3repE0EEENS1_47radix_sort_onesweep_sort_config_static_selectorELNS0_4arch9wavefront6targetE1EEEvSE_,@function
_ZN7rocprim17ROCPRIM_400000_NS6detail17trampoline_kernelINS0_14default_configENS1_35radix_sort_onesweep_config_selectorIhNS0_10empty_typeEEEZZNS1_29radix_sort_onesweep_iterationIS3_Lb1EPhS8_PS5_S9_mNS0_19identity_decomposerENS1_16block_id_wrapperIjLb0EEEEE10hipError_tT1_PNSt15iterator_traitsISE_E10value_typeET2_T3_PNSF_ISK_E10value_typeET4_T5_PSP_SQ_PNS1_23onesweep_lookback_stateEbbT6_jjT7_P12ihipStream_tbENKUlT_T0_SE_SJ_E_clIS8_S8_S9_S9_EEDaSX_SY_SE_SJ_EUlSX_E_NS1_11comp_targetILNS1_3genE2ELNS1_11target_archE906ELNS1_3gpuE6ELNS1_3repE0EEENS1_47radix_sort_onesweep_sort_config_static_selectorELNS0_4arch9wavefront6targetE1EEEvSE_: ; @_ZN7rocprim17ROCPRIM_400000_NS6detail17trampoline_kernelINS0_14default_configENS1_35radix_sort_onesweep_config_selectorIhNS0_10empty_typeEEEZZNS1_29radix_sort_onesweep_iterationIS3_Lb1EPhS8_PS5_S9_mNS0_19identity_decomposerENS1_16block_id_wrapperIjLb0EEEEE10hipError_tT1_PNSt15iterator_traitsISE_E10value_typeET2_T3_PNSF_ISK_E10value_typeET4_T5_PSP_SQ_PNS1_23onesweep_lookback_stateEbbT6_jjT7_P12ihipStream_tbENKUlT_T0_SE_SJ_E_clIS8_S8_S9_S9_EEDaSX_SY_SE_SJ_EUlSX_E_NS1_11comp_targetILNS1_3genE2ELNS1_11target_archE906ELNS1_3gpuE6ELNS1_3repE0EEENS1_47radix_sort_onesweep_sort_config_static_selectorELNS0_4arch9wavefront6targetE1EEEvSE_
; %bb.0:
	.section	.rodata,"a",@progbits
	.p2align	6, 0x0
	.amdhsa_kernel _ZN7rocprim17ROCPRIM_400000_NS6detail17trampoline_kernelINS0_14default_configENS1_35radix_sort_onesweep_config_selectorIhNS0_10empty_typeEEEZZNS1_29radix_sort_onesweep_iterationIS3_Lb1EPhS8_PS5_S9_mNS0_19identity_decomposerENS1_16block_id_wrapperIjLb0EEEEE10hipError_tT1_PNSt15iterator_traitsISE_E10value_typeET2_T3_PNSF_ISK_E10value_typeET4_T5_PSP_SQ_PNS1_23onesweep_lookback_stateEbbT6_jjT7_P12ihipStream_tbENKUlT_T0_SE_SJ_E_clIS8_S8_S9_S9_EEDaSX_SY_SE_SJ_EUlSX_E_NS1_11comp_targetILNS1_3genE2ELNS1_11target_archE906ELNS1_3gpuE6ELNS1_3repE0EEENS1_47radix_sort_onesweep_sort_config_static_selectorELNS0_4arch9wavefront6targetE1EEEvSE_
		.amdhsa_group_segment_fixed_size 0
		.amdhsa_private_segment_fixed_size 0
		.amdhsa_kernarg_size 88
		.amdhsa_user_sgpr_count 6
		.amdhsa_user_sgpr_private_segment_buffer 1
		.amdhsa_user_sgpr_dispatch_ptr 0
		.amdhsa_user_sgpr_queue_ptr 0
		.amdhsa_user_sgpr_kernarg_segment_ptr 1
		.amdhsa_user_sgpr_dispatch_id 0
		.amdhsa_user_sgpr_flat_scratch_init 0
		.amdhsa_user_sgpr_kernarg_preload_length 0
		.amdhsa_user_sgpr_kernarg_preload_offset 0
		.amdhsa_user_sgpr_private_segment_size 0
		.amdhsa_uses_dynamic_stack 0
		.amdhsa_system_sgpr_private_segment_wavefront_offset 0
		.amdhsa_system_sgpr_workgroup_id_x 1
		.amdhsa_system_sgpr_workgroup_id_y 0
		.amdhsa_system_sgpr_workgroup_id_z 0
		.amdhsa_system_sgpr_workgroup_info 0
		.amdhsa_system_vgpr_workitem_id 0
		.amdhsa_next_free_vgpr 1
		.amdhsa_next_free_sgpr 0
		.amdhsa_accum_offset 4
		.amdhsa_reserve_vcc 0
		.amdhsa_reserve_flat_scratch 0
		.amdhsa_float_round_mode_32 0
		.amdhsa_float_round_mode_16_64 0
		.amdhsa_float_denorm_mode_32 3
		.amdhsa_float_denorm_mode_16_64 3
		.amdhsa_dx10_clamp 1
		.amdhsa_ieee_mode 1
		.amdhsa_fp16_overflow 0
		.amdhsa_tg_split 0
		.amdhsa_exception_fp_ieee_invalid_op 0
		.amdhsa_exception_fp_denorm_src 0
		.amdhsa_exception_fp_ieee_div_zero 0
		.amdhsa_exception_fp_ieee_overflow 0
		.amdhsa_exception_fp_ieee_underflow 0
		.amdhsa_exception_fp_ieee_inexact 0
		.amdhsa_exception_int_div_zero 0
	.end_amdhsa_kernel
	.section	.text._ZN7rocprim17ROCPRIM_400000_NS6detail17trampoline_kernelINS0_14default_configENS1_35radix_sort_onesweep_config_selectorIhNS0_10empty_typeEEEZZNS1_29radix_sort_onesweep_iterationIS3_Lb1EPhS8_PS5_S9_mNS0_19identity_decomposerENS1_16block_id_wrapperIjLb0EEEEE10hipError_tT1_PNSt15iterator_traitsISE_E10value_typeET2_T3_PNSF_ISK_E10value_typeET4_T5_PSP_SQ_PNS1_23onesweep_lookback_stateEbbT6_jjT7_P12ihipStream_tbENKUlT_T0_SE_SJ_E_clIS8_S8_S9_S9_EEDaSX_SY_SE_SJ_EUlSX_E_NS1_11comp_targetILNS1_3genE2ELNS1_11target_archE906ELNS1_3gpuE6ELNS1_3repE0EEENS1_47radix_sort_onesweep_sort_config_static_selectorELNS0_4arch9wavefront6targetE1EEEvSE_,"axG",@progbits,_ZN7rocprim17ROCPRIM_400000_NS6detail17trampoline_kernelINS0_14default_configENS1_35radix_sort_onesweep_config_selectorIhNS0_10empty_typeEEEZZNS1_29radix_sort_onesweep_iterationIS3_Lb1EPhS8_PS5_S9_mNS0_19identity_decomposerENS1_16block_id_wrapperIjLb0EEEEE10hipError_tT1_PNSt15iterator_traitsISE_E10value_typeET2_T3_PNSF_ISK_E10value_typeET4_T5_PSP_SQ_PNS1_23onesweep_lookback_stateEbbT6_jjT7_P12ihipStream_tbENKUlT_T0_SE_SJ_E_clIS8_S8_S9_S9_EEDaSX_SY_SE_SJ_EUlSX_E_NS1_11comp_targetILNS1_3genE2ELNS1_11target_archE906ELNS1_3gpuE6ELNS1_3repE0EEENS1_47radix_sort_onesweep_sort_config_static_selectorELNS0_4arch9wavefront6targetE1EEEvSE_,comdat
.Lfunc_end1745:
	.size	_ZN7rocprim17ROCPRIM_400000_NS6detail17trampoline_kernelINS0_14default_configENS1_35radix_sort_onesweep_config_selectorIhNS0_10empty_typeEEEZZNS1_29radix_sort_onesweep_iterationIS3_Lb1EPhS8_PS5_S9_mNS0_19identity_decomposerENS1_16block_id_wrapperIjLb0EEEEE10hipError_tT1_PNSt15iterator_traitsISE_E10value_typeET2_T3_PNSF_ISK_E10value_typeET4_T5_PSP_SQ_PNS1_23onesweep_lookback_stateEbbT6_jjT7_P12ihipStream_tbENKUlT_T0_SE_SJ_E_clIS8_S8_S9_S9_EEDaSX_SY_SE_SJ_EUlSX_E_NS1_11comp_targetILNS1_3genE2ELNS1_11target_archE906ELNS1_3gpuE6ELNS1_3repE0EEENS1_47radix_sort_onesweep_sort_config_static_selectorELNS0_4arch9wavefront6targetE1EEEvSE_, .Lfunc_end1745-_ZN7rocprim17ROCPRIM_400000_NS6detail17trampoline_kernelINS0_14default_configENS1_35radix_sort_onesweep_config_selectorIhNS0_10empty_typeEEEZZNS1_29radix_sort_onesweep_iterationIS3_Lb1EPhS8_PS5_S9_mNS0_19identity_decomposerENS1_16block_id_wrapperIjLb0EEEEE10hipError_tT1_PNSt15iterator_traitsISE_E10value_typeET2_T3_PNSF_ISK_E10value_typeET4_T5_PSP_SQ_PNS1_23onesweep_lookback_stateEbbT6_jjT7_P12ihipStream_tbENKUlT_T0_SE_SJ_E_clIS8_S8_S9_S9_EEDaSX_SY_SE_SJ_EUlSX_E_NS1_11comp_targetILNS1_3genE2ELNS1_11target_archE906ELNS1_3gpuE6ELNS1_3repE0EEENS1_47radix_sort_onesweep_sort_config_static_selectorELNS0_4arch9wavefront6targetE1EEEvSE_
                                        ; -- End function
	.section	.AMDGPU.csdata,"",@progbits
; Kernel info:
; codeLenInByte = 0
; NumSgprs: 4
; NumVgprs: 0
; NumAgprs: 0
; TotalNumVgprs: 0
; ScratchSize: 0
; MemoryBound: 0
; FloatMode: 240
; IeeeMode: 1
; LDSByteSize: 0 bytes/workgroup (compile time only)
; SGPRBlocks: 0
; VGPRBlocks: 0
; NumSGPRsForWavesPerEU: 4
; NumVGPRsForWavesPerEU: 1
; AccumOffset: 4
; Occupancy: 8
; WaveLimiterHint : 0
; COMPUTE_PGM_RSRC2:SCRATCH_EN: 0
; COMPUTE_PGM_RSRC2:USER_SGPR: 6
; COMPUTE_PGM_RSRC2:TRAP_HANDLER: 0
; COMPUTE_PGM_RSRC2:TGID_X_EN: 1
; COMPUTE_PGM_RSRC2:TGID_Y_EN: 0
; COMPUTE_PGM_RSRC2:TGID_Z_EN: 0
; COMPUTE_PGM_RSRC2:TIDIG_COMP_CNT: 0
; COMPUTE_PGM_RSRC3_GFX90A:ACCUM_OFFSET: 0
; COMPUTE_PGM_RSRC3_GFX90A:TG_SPLIT: 0
	.section	.text._ZN7rocprim17ROCPRIM_400000_NS6detail17trampoline_kernelINS0_14default_configENS1_35radix_sort_onesweep_config_selectorIhNS0_10empty_typeEEEZZNS1_29radix_sort_onesweep_iterationIS3_Lb1EPhS8_PS5_S9_mNS0_19identity_decomposerENS1_16block_id_wrapperIjLb0EEEEE10hipError_tT1_PNSt15iterator_traitsISE_E10value_typeET2_T3_PNSF_ISK_E10value_typeET4_T5_PSP_SQ_PNS1_23onesweep_lookback_stateEbbT6_jjT7_P12ihipStream_tbENKUlT_T0_SE_SJ_E_clIS8_S8_S9_S9_EEDaSX_SY_SE_SJ_EUlSX_E_NS1_11comp_targetILNS1_3genE4ELNS1_11target_archE910ELNS1_3gpuE8ELNS1_3repE0EEENS1_47radix_sort_onesweep_sort_config_static_selectorELNS0_4arch9wavefront6targetE1EEEvSE_,"axG",@progbits,_ZN7rocprim17ROCPRIM_400000_NS6detail17trampoline_kernelINS0_14default_configENS1_35radix_sort_onesweep_config_selectorIhNS0_10empty_typeEEEZZNS1_29radix_sort_onesweep_iterationIS3_Lb1EPhS8_PS5_S9_mNS0_19identity_decomposerENS1_16block_id_wrapperIjLb0EEEEE10hipError_tT1_PNSt15iterator_traitsISE_E10value_typeET2_T3_PNSF_ISK_E10value_typeET4_T5_PSP_SQ_PNS1_23onesweep_lookback_stateEbbT6_jjT7_P12ihipStream_tbENKUlT_T0_SE_SJ_E_clIS8_S8_S9_S9_EEDaSX_SY_SE_SJ_EUlSX_E_NS1_11comp_targetILNS1_3genE4ELNS1_11target_archE910ELNS1_3gpuE8ELNS1_3repE0EEENS1_47radix_sort_onesweep_sort_config_static_selectorELNS0_4arch9wavefront6targetE1EEEvSE_,comdat
	.protected	_ZN7rocprim17ROCPRIM_400000_NS6detail17trampoline_kernelINS0_14default_configENS1_35radix_sort_onesweep_config_selectorIhNS0_10empty_typeEEEZZNS1_29radix_sort_onesweep_iterationIS3_Lb1EPhS8_PS5_S9_mNS0_19identity_decomposerENS1_16block_id_wrapperIjLb0EEEEE10hipError_tT1_PNSt15iterator_traitsISE_E10value_typeET2_T3_PNSF_ISK_E10value_typeET4_T5_PSP_SQ_PNS1_23onesweep_lookback_stateEbbT6_jjT7_P12ihipStream_tbENKUlT_T0_SE_SJ_E_clIS8_S8_S9_S9_EEDaSX_SY_SE_SJ_EUlSX_E_NS1_11comp_targetILNS1_3genE4ELNS1_11target_archE910ELNS1_3gpuE8ELNS1_3repE0EEENS1_47radix_sort_onesweep_sort_config_static_selectorELNS0_4arch9wavefront6targetE1EEEvSE_ ; -- Begin function _ZN7rocprim17ROCPRIM_400000_NS6detail17trampoline_kernelINS0_14default_configENS1_35radix_sort_onesweep_config_selectorIhNS0_10empty_typeEEEZZNS1_29radix_sort_onesweep_iterationIS3_Lb1EPhS8_PS5_S9_mNS0_19identity_decomposerENS1_16block_id_wrapperIjLb0EEEEE10hipError_tT1_PNSt15iterator_traitsISE_E10value_typeET2_T3_PNSF_ISK_E10value_typeET4_T5_PSP_SQ_PNS1_23onesweep_lookback_stateEbbT6_jjT7_P12ihipStream_tbENKUlT_T0_SE_SJ_E_clIS8_S8_S9_S9_EEDaSX_SY_SE_SJ_EUlSX_E_NS1_11comp_targetILNS1_3genE4ELNS1_11target_archE910ELNS1_3gpuE8ELNS1_3repE0EEENS1_47radix_sort_onesweep_sort_config_static_selectorELNS0_4arch9wavefront6targetE1EEEvSE_
	.globl	_ZN7rocprim17ROCPRIM_400000_NS6detail17trampoline_kernelINS0_14default_configENS1_35radix_sort_onesweep_config_selectorIhNS0_10empty_typeEEEZZNS1_29radix_sort_onesweep_iterationIS3_Lb1EPhS8_PS5_S9_mNS0_19identity_decomposerENS1_16block_id_wrapperIjLb0EEEEE10hipError_tT1_PNSt15iterator_traitsISE_E10value_typeET2_T3_PNSF_ISK_E10value_typeET4_T5_PSP_SQ_PNS1_23onesweep_lookback_stateEbbT6_jjT7_P12ihipStream_tbENKUlT_T0_SE_SJ_E_clIS8_S8_S9_S9_EEDaSX_SY_SE_SJ_EUlSX_E_NS1_11comp_targetILNS1_3genE4ELNS1_11target_archE910ELNS1_3gpuE8ELNS1_3repE0EEENS1_47radix_sort_onesweep_sort_config_static_selectorELNS0_4arch9wavefront6targetE1EEEvSE_
	.p2align	8
	.type	_ZN7rocprim17ROCPRIM_400000_NS6detail17trampoline_kernelINS0_14default_configENS1_35radix_sort_onesweep_config_selectorIhNS0_10empty_typeEEEZZNS1_29radix_sort_onesweep_iterationIS3_Lb1EPhS8_PS5_S9_mNS0_19identity_decomposerENS1_16block_id_wrapperIjLb0EEEEE10hipError_tT1_PNSt15iterator_traitsISE_E10value_typeET2_T3_PNSF_ISK_E10value_typeET4_T5_PSP_SQ_PNS1_23onesweep_lookback_stateEbbT6_jjT7_P12ihipStream_tbENKUlT_T0_SE_SJ_E_clIS8_S8_S9_S9_EEDaSX_SY_SE_SJ_EUlSX_E_NS1_11comp_targetILNS1_3genE4ELNS1_11target_archE910ELNS1_3gpuE8ELNS1_3repE0EEENS1_47radix_sort_onesweep_sort_config_static_selectorELNS0_4arch9wavefront6targetE1EEEvSE_,@function
_ZN7rocprim17ROCPRIM_400000_NS6detail17trampoline_kernelINS0_14default_configENS1_35radix_sort_onesweep_config_selectorIhNS0_10empty_typeEEEZZNS1_29radix_sort_onesweep_iterationIS3_Lb1EPhS8_PS5_S9_mNS0_19identity_decomposerENS1_16block_id_wrapperIjLb0EEEEE10hipError_tT1_PNSt15iterator_traitsISE_E10value_typeET2_T3_PNSF_ISK_E10value_typeET4_T5_PSP_SQ_PNS1_23onesweep_lookback_stateEbbT6_jjT7_P12ihipStream_tbENKUlT_T0_SE_SJ_E_clIS8_S8_S9_S9_EEDaSX_SY_SE_SJ_EUlSX_E_NS1_11comp_targetILNS1_3genE4ELNS1_11target_archE910ELNS1_3gpuE8ELNS1_3repE0EEENS1_47radix_sort_onesweep_sort_config_static_selectorELNS0_4arch9wavefront6targetE1EEEvSE_: ; @_ZN7rocprim17ROCPRIM_400000_NS6detail17trampoline_kernelINS0_14default_configENS1_35radix_sort_onesweep_config_selectorIhNS0_10empty_typeEEEZZNS1_29radix_sort_onesweep_iterationIS3_Lb1EPhS8_PS5_S9_mNS0_19identity_decomposerENS1_16block_id_wrapperIjLb0EEEEE10hipError_tT1_PNSt15iterator_traitsISE_E10value_typeET2_T3_PNSF_ISK_E10value_typeET4_T5_PSP_SQ_PNS1_23onesweep_lookback_stateEbbT6_jjT7_P12ihipStream_tbENKUlT_T0_SE_SJ_E_clIS8_S8_S9_S9_EEDaSX_SY_SE_SJ_EUlSX_E_NS1_11comp_targetILNS1_3genE4ELNS1_11target_archE910ELNS1_3gpuE8ELNS1_3repE0EEENS1_47radix_sort_onesweep_sort_config_static_selectorELNS0_4arch9wavefront6targetE1EEEvSE_
; %bb.0:
	s_load_dwordx4 s[16:19], s[4:5], 0x44
	s_load_dwordx2 s[20:21], s[4:5], 0x38
	s_load_dwordx4 s[12:15], s[4:5], 0x0
	s_load_dwordx4 s[8:11], s[4:5], 0x28
	s_mul_i32 s7, s6, 0x2c00
	s_waitcnt lgkmcnt(0)
	s_cmp_ge_u32 s6, s18
	v_mul_u32_u24_e32 v10, 22, v0
	s_cbranch_scc0 .LBB1746_120
; %bb.1:
	s_load_dword s26, s[4:5], 0x20
	s_mul_i32 s0, s18, 0xffffd400
	v_mov_b32_e32 v4, 0
	s_waitcnt lgkmcnt(0)
	s_add_i32 s26, s26, s0
	s_add_u32 s0, s12, s7
	s_addc_u32 s1, s13, 0
	v_mov_b32_e32 v1, s1
	v_add_co_u32_e32 v2, vcc, s0, v10
	v_addc_co_u32_e32 v3, vcc, 0, v1, vcc
	v_cmp_gt_u32_e32 vcc, s26, v10
	v_mov_b32_e32 v1, 0
	s_and_saveexec_b64 s[0:1], vcc
	s_cbranch_execz .LBB1746_3
; %bb.2:
	global_load_ubyte v1, v[2:3], off
.LBB1746_3:
	s_or_b64 exec, exec, s[0:1]
	v_or_b32_e32 v5, 1, v10
	v_cmp_gt_u32_e32 vcc, s26, v5
	s_and_saveexec_b64 s[0:1], vcc
	s_cbranch_execz .LBB1746_5
; %bb.4:
	global_load_ubyte v4, v[2:3], off offset:1
.LBB1746_5:
	s_or_b64 exec, exec, s[0:1]
	v_add_u32_e32 v5, 2, v10
	v_cmp_gt_u32_e32 vcc, s26, v5
	v_mov_b32_e32 v6, 0
	v_mov_b32_e32 v5, 0
	s_and_saveexec_b64 s[0:1], vcc
	s_cbranch_execz .LBB1746_7
; %bb.6:
	global_load_ubyte v5, v[2:3], off offset:2
.LBB1746_7:
	s_or_b64 exec, exec, s[0:1]
	v_add_u32_e32 v7, 3, v10
	v_cmp_gt_u32_e32 vcc, s26, v7
	s_and_saveexec_b64 s[0:1], vcc
	s_cbranch_execz .LBB1746_9
; %bb.8:
	global_load_ubyte v6, v[2:3], off offset:3
.LBB1746_9:
	s_or_b64 exec, exec, s[0:1]
	v_add_u32_e32 v7, 4, v10
	v_cmp_gt_u32_e32 vcc, s26, v7
	v_mov_b32_e32 v11, 0
	v_mov_b32_e32 v8, 0
	s_and_saveexec_b64 s[0:1], vcc
	s_cbranch_execz .LBB1746_11
; %bb.10:
	global_load_ubyte v8, v[2:3], off offset:4
.LBB1746_11:
	s_or_b64 exec, exec, s[0:1]
	v_add_u32_e32 v7, 5, v10
	;; [unrolled: 18-line block ×10, first 2 shown]
	v_cmp_gt_u32_e32 vcc, s26, v7
	s_and_saveexec_b64 s[0:1], vcc
	s_cbranch_execz .LBB1746_45
; %bb.44:
	global_load_ubyte v40, v[2:3], off offset:21
.LBB1746_45:
	s_or_b64 exec, exec, s[0:1]
	v_lshlrev_b32_e32 v2, 2, v0
	v_mov_b32_e32 v3, 0
	s_mov_b64 s[0:1], -1
	ds_write2st64_b32 v2, v3, v3 offset1:8
	ds_write2st64_b32 v2, v3, v3 offset0:16 offset1:24
	s_and_saveexec_b64 s[2:3], s[0:1]
	s_cbranch_execz .LBB1746_47
; %bb.46:
	ds_write_b32 v2, v3 offset:8192
.LBB1746_47:
	s_or_b64 exec, exec, s[2:3]
	s_and_saveexec_b64 s[2:3], s[0:1]
	s_cbranch_execz .LBB1746_49
; %bb.48:
	v_mov_b32_e32 v3, 0
	ds_write_b32 v2, v3 offset:10240
.LBB1746_49:
	s_or_b64 exec, exec, s[2:3]
	v_cmp_gt_u32_e64 s[0:1], 7, 6
	v_cmp_gt_u32_e64 s[18:19], 7, 5
	s_and_saveexec_b64 s[2:3], s[18:19]
	s_cbranch_execz .LBB1746_51
; %bb.50:
	v_mov_b32_e32 v3, 0
	ds_write_b32 v2, v3 offset:12288
.LBB1746_51:
	s_or_b64 exec, exec, s[2:3]
	s_and_saveexec_b64 s[2:3], s[0:1]
	s_cbranch_execz .LBB1746_53
; %bb.52:
	v_mov_b32_e32 v3, 0
	ds_write_b32 v2, v3 offset:14336
.LBB1746_53:
	s_or_b64 exec, exec, s[2:3]
	s_waitcnt vmcnt(0)
	v_xor_b32_e32 v1, -1, v1
	s_lshl_b32 s0, -1, s17
	s_not_b32 s27, s0
	v_lshrrev_b32_sdwa v2, s16, v1 dst_sel:DWORD dst_unused:UNUSED_PAD src0_sel:DWORD src1_sel:BYTE_0
	v_and_b32_e32 v2, s27, v2
	v_lshrrev_b32_e32 v3, 3, v2
	v_lshlrev_b32_e32 v2, 9, v2
	s_movk_i32 s0, 0xe00
	v_and_or_b32 v2, v2, s0, v0
	v_lshlrev_b32_e32 v2, 1, v2
	v_add_lshl_u32 v2, v2, v3, 1
	ds_read_u16 v7, v2
	v_xor_b32_e32 v4, -1, v4
	v_xor_b32_e32 v5, -1, v5
	v_xor_b32_e32 v6, -1, v6
	v_xor_b32_e32 v8, -1, v8
	s_waitcnt lgkmcnt(0)
	v_add_u16_e32 v3, 1, v7
	ds_write_b16 v2, v3
	v_lshrrev_b32_sdwa v3, s16, v4 dst_sel:DWORD dst_unused:UNUSED_PAD src0_sel:DWORD src1_sel:BYTE_0
	v_and_b32_e32 v3, s27, v3
	v_lshrrev_b32_e32 v9, 3, v3
	v_lshlrev_b32_e32 v3, 9, v3
	v_and_or_b32 v3, v3, s0, v0
	v_lshlrev_b32_e32 v3, 1, v3
	v_add_lshl_u32 v3, v3, v9, 1
	ds_read_u16 v9, v3
	v_xor_b32_e32 v14, -1, v14
	v_xor_b32_e32 v16, -1, v16
	v_xor_b32_e32 v18, -1, v18
	v_xor_b32_e32 v20, -1, v20
	s_waitcnt lgkmcnt(0)
	v_add_u16_e32 v12, 1, v9
	ds_write_b16 v3, v12
	v_lshrrev_b32_sdwa v12, s16, v5 dst_sel:DWORD dst_unused:UNUSED_PAD src0_sel:DWORD src1_sel:BYTE_0
	v_and_b32_e32 v12, s27, v12
	v_lshrrev_b32_e32 v13, 3, v12
	v_lshlrev_b32_e32 v12, 9, v12
	;; [unrolled: 15-line block ×5, first 2 shown]
	v_and_or_b32 v11, v11, s0, v0
	v_lshlrev_b32_e32 v11, 1, v11
	v_add_lshl_u32 v11, v11, v19, 1
	ds_read_u16 v19, v11
	v_xor_b32_e32 v40, -1, v40
	s_waitcnt lgkmcnt(0)
	v_add_u16_e32 v21, 1, v19
	ds_write_b16 v11, v21
	v_lshrrev_b32_sdwa v21, s16, v14 dst_sel:DWORD dst_unused:UNUSED_PAD src0_sel:DWORD src1_sel:BYTE_0
	v_and_b32_e32 v21, s27, v21
	v_lshrrev_b32_e32 v23, 3, v21
	v_lshlrev_b32_e32 v21, 9, v21
	v_and_or_b32 v21, v21, s0, v0
	v_lshlrev_b32_e32 v21, 1, v21
	v_add_lshl_u32 v43, v21, v23, 1
	ds_read_u16 v21, v43
	s_waitcnt lgkmcnt(0)
	v_add_u16_e32 v23, 1, v21
	ds_write_b16 v43, v23
	v_lshrrev_b32_sdwa v23, s16, v16 dst_sel:DWORD dst_unused:UNUSED_PAD src0_sel:DWORD src1_sel:BYTE_0
	v_and_b32_e32 v23, s27, v23
	v_lshrrev_b32_e32 v25, 3, v23
	v_lshlrev_b32_e32 v23, 9, v23
	v_and_or_b32 v23, v23, s0, v0
	v_lshlrev_b32_e32 v23, 1, v23
	v_add_lshl_u32 v46, v23, v25, 1
	ds_read_u16 v23, v46
	;; [unrolled: 11-line block ×16, first 2 shown]
	s_waitcnt lgkmcnt(0)
	v_add_u16_e32 v68, 1, v59
	ds_write_b16 v67, v68
	v_lshlrev_b32_e32 v68, 5, v0
	s_waitcnt lgkmcnt(0)
	s_barrier
	ds_read2_b64 v[70:73], v68 offset1:1
	ds_read2_b64 v[74:77], v68 offset0:2 offset1:3
	s_waitcnt lgkmcnt(1)
	v_add_u32_e32 v69, v71, v70
	v_add3_u32 v69, v69, v72, v73
	s_waitcnt lgkmcnt(0)
	v_add3_u32 v69, v69, v74, v75
	v_add3_u32 v70, v69, v76, v77
	v_mbcnt_lo_u32_b32 v69, -1, 0
	v_mbcnt_hi_u32_b32 v69, -1, v69
	v_and_b32_e32 v71, 15, v69
	v_mov_b32_dpp v72, v70 row_shr:1 row_mask:0xf bank_mask:0xf
	v_cmp_ne_u32_e32 vcc, 0, v71
	v_cndmask_b32_e32 v72, 0, v72, vcc
	v_add_u32_e32 v70, v72, v70
	v_cmp_lt_u32_e32 vcc, 1, v71
	s_nop 0
	v_mov_b32_dpp v72, v70 row_shr:2 row_mask:0xf bank_mask:0xf
	v_cndmask_b32_e32 v72, 0, v72, vcc
	v_add_u32_e32 v70, v70, v72
	v_cmp_lt_u32_e32 vcc, 3, v71
	s_nop 0
	v_mov_b32_dpp v72, v70 row_shr:4 row_mask:0xf bank_mask:0xf
	v_cndmask_b32_e32 v72, 0, v72, vcc
	v_add_u32_e32 v70, v70, v72
	v_cmp_lt_u32_e32 vcc, 7, v71
	s_nop 0
	v_mov_b32_dpp v72, v70 row_shr:8 row_mask:0xf bank_mask:0xf
	v_cndmask_b32_e32 v71, 0, v72, vcc
	v_add_u32_e32 v70, v70, v71
	v_bfe_i32 v72, v69, 4, 1
	v_cmp_lt_u32_e32 vcc, 31, v69
	v_mov_b32_dpp v71, v70 row_bcast:15 row_mask:0xf bank_mask:0xf
	v_and_b32_e32 v71, v72, v71
	v_add_u32_e32 v70, v70, v71
	v_or_b32_e32 v72, 63, v0
	s_nop 0
	v_mov_b32_dpp v71, v70 row_bcast:31 row_mask:0xf bank_mask:0xf
	v_cndmask_b32_e32 v71, 0, v71, vcc
	v_add_u32_e32 v70, v70, v71
	v_lshrrev_b32_e32 v71, 6, v0
	v_cmp_eq_u32_e32 vcc, v72, v0
	v_lshlrev_b32_e32 v71, 2, v71
	s_and_saveexec_b64 s[0:1], vcc
	s_cbranch_execz .LBB1746_55
; %bb.54:
	ds_write_b32 v71, v70 offset:16384
.LBB1746_55:
	s_or_b64 exec, exec, s[0:1]
	v_cmp_gt_u32_e32 vcc, 8, v0
	s_waitcnt lgkmcnt(0)
	s_barrier
	s_and_saveexec_b64 s[0:1], vcc
	s_cbranch_execz .LBB1746_57
; %bb.56:
	s_movk_i32 s2, 0xffe4
	v_mad_i32_i24 v72, v0, s2, v68
	ds_read_b32 v73, v72 offset:16384
	v_and_b32_e32 v74, 7, v69
	v_cmp_ne_u32_e32 vcc, 0, v74
	s_waitcnt lgkmcnt(0)
	v_mov_b32_dpp v75, v73 row_shr:1 row_mask:0xf bank_mask:0xf
	v_cndmask_b32_e32 v75, 0, v75, vcc
	v_add_u32_e32 v73, v75, v73
	v_cmp_lt_u32_e32 vcc, 1, v74
	s_nop 0
	v_mov_b32_dpp v75, v73 row_shr:2 row_mask:0xf bank_mask:0xf
	v_cndmask_b32_e32 v75, 0, v75, vcc
	v_add_u32_e32 v73, v73, v75
	v_cmp_lt_u32_e32 vcc, 3, v74
	s_nop 0
	v_mov_b32_dpp v75, v73 row_shr:4 row_mask:0xf bank_mask:0xf
	v_cndmask_b32_e32 v74, 0, v75, vcc
	v_add_u32_e32 v73, v73, v74
	ds_write_b32 v72, v73 offset:16384
.LBB1746_57:
	s_or_b64 exec, exec, s[0:1]
	v_cmp_lt_u32_e32 vcc, 63, v0
	v_mov_b32_e32 v73, 0
	v_mov_b32_e32 v72, 0
	s_waitcnt lgkmcnt(0)
	s_barrier
	s_and_saveexec_b64 s[0:1], vcc
	s_cbranch_execz .LBB1746_59
; %bb.58:
	ds_read_b32 v72, v71 offset:16380
.LBB1746_59:
	s_or_b64 exec, exec, s[0:1]
	v_add_u32_e32 v71, -1, v69
	v_and_b32_e32 v74, 64, v69
	v_cmp_lt_i32_e32 vcc, v71, v74
	v_cndmask_b32_e32 v71, v71, v69, vcc
	s_waitcnt lgkmcnt(0)
	v_add_u32_e32 v70, v72, v70
	v_lshlrev_b32_e32 v71, 2, v71
	ds_bpermute_b32 v70, v71, v70
	ds_read_b32 v71, v73 offset:16412
	ds_read2_b64 v[74:77], v68 offset1:1
	v_cmp_eq_u32_e32 vcc, 0, v69
	ds_read_b32 v78, v68 offset:24
	s_waitcnt lgkmcnt(3)
	v_cndmask_b32_e32 v69, v70, v72, vcc
	ds_read_b64 v[72:73], v68 offset:16
	s_waitcnt lgkmcnt(3)
	v_lshl_add_u32 v70, v71, 16, v69
	s_waitcnt lgkmcnt(2)
	v_add_u32_e32 v71, v70, v74
	v_add_u32_e32 v74, v75, v71
	;; [unrolled: 1-line block ×3, first 2 shown]
	ds_write2_b64 v68, v[70:71], v[74:75] offset1:1
	v_add_u32_e32 v70, v77, v75
	s_waitcnt lgkmcnt(1)
	v_add_u32_e32 v71, v72, v70
	v_add_u32_e32 v72, v73, v71
	;; [unrolled: 1-line block ×3, first 2 shown]
	ds_write2_b64 v68, v[70:71], v[72:73] offset0:2 offset1:3
	s_waitcnt lgkmcnt(0)
	s_barrier
	ds_read_u16 v68, v2
	ds_read_u16 v69, v3
	;; [unrolled: 1-line block ×22, first 2 shown]
	v_cmp_gt_u32_e32 vcc, 16, v0
	v_pk_mov_b32 v[2:3], 0, 0
                                        ; implicit-def: $vgpr11
	s_and_saveexec_b64 s[2:3], vcc
	s_cbranch_execz .LBB1746_63
; %bb.60:
	v_lshrrev_b32_e32 v2, 3, v0
	v_lshlrev_b32_e32 v3, 10, v0
	s_movk_i32 s22, 0x1c00
	v_and_or_b32 v2, v3, s22, v2
	v_lshlrev_b32_e32 v2, 1, v2
	ds_read_u16 v2, v2
	v_add_u32_e32 v11, 1, v0
	v_cmp_ne_u32_e64 s[0:1], 16, v11
	v_mov_b32_e32 v3, 0x2c00
	s_and_saveexec_b64 s[18:19], s[0:1]
	s_cbranch_execz .LBB1746_62
; %bb.61:
	v_lshlrev_b32_e32 v3, 10, v11
	v_lshrrev_b32_e32 v11, 3, v11
	v_and_or_b32 v3, v3, s22, v11
	v_lshlrev_b32_e32 v3, 1, v3
	ds_read_u16 v3, v3
.LBB1746_62:
	s_or_b64 exec, exec, s[18:19]
	s_waitcnt lgkmcnt(0)
	v_and_b32_e32 v2, 0xffff, v2
	s_mov_b32 s0, 0
	v_sub_u32_e32 v11, v3, v2
	v_mov_b32_e32 v3, s0
.LBB1746_63:
	s_or_b64 exec, exec, s[2:3]
	s_waitcnt lgkmcnt(14)
	v_add_u32_sdwa v7, v68, v7 dst_sel:DWORD dst_unused:UNUSED_PAD src0_sel:WORD_0 src1_sel:WORD_0
	v_add_u32_sdwa v9, v69, v9 dst_sel:DWORD dst_unused:UNUSED_PAD src0_sel:WORD_0 src1_sel:WORD_0
	;; [unrolled: 1-line block ×8, first 2 shown]
	s_waitcnt lgkmcnt(13)
	v_add_u32_sdwa v25, v48, v25 dst_sel:DWORD dst_unused:UNUSED_PAD src0_sel:WORD_0 src1_sel:WORD_0
	s_waitcnt lgkmcnt(12)
	v_add_u32_sdwa v27, v50, v27 dst_sel:DWORD dst_unused:UNUSED_PAD src0_sel:WORD_0 src1_sel:WORD_0
	;; [unrolled: 2-line block ×14, first 2 shown]
	s_barrier
	ds_write_b8 v7, v1 offset:128
	ds_write_b8 v9, v4 offset:128
	;; [unrolled: 1-line block ×22, first 2 shown]
	s_and_saveexec_b64 s[2:3], vcc
	s_cbranch_execz .LBB1746_73
; %bb.64:
	v_lshl_or_b32 v4, s6, 4, v0
	v_mov_b32_e32 v5, 0
	v_lshlrev_b64 v[6:7], 2, v[4:5]
	v_mov_b32_e32 v1, s21
	v_add_co_u32_e64 v6, s[0:1], s20, v6
	v_addc_co_u32_e64 v7, s[0:1], v1, v7, s[0:1]
	v_or_b32_e32 v4, 2.0, v11
	s_mov_b64 s[18:19], 0
	s_brev_b32 s28, 1
	s_mov_b32 s29, s6
	v_mov_b32_e32 v12, 0
	global_store_dword v[6:7], v4, off
                                        ; implicit-def: $sgpr0_sgpr1
	s_branch .LBB1746_66
.LBB1746_65:                            ;   in Loop: Header=BB1746_66 Depth=1
	s_or_b64 exec, exec, s[22:23]
	v_and_b32_e32 v8, 0x3fffffff, v13
	v_add_u32_e32 v12, v8, v12
	v_cmp_eq_u32_e64 s[0:1], s28, v4
	s_and_b64 s[22:23], exec, s[0:1]
	s_or_b64 s[18:19], s[22:23], s[18:19]
	s_andn2_b64 exec, exec, s[18:19]
	s_cbranch_execz .LBB1746_72
.LBB1746_66:                            ; =>This Loop Header: Depth=1
                                        ;     Child Loop BB1746_69 Depth 2
	s_or_b64 s[0:1], s[0:1], exec
	s_cmp_eq_u32 s29, 0
	s_cbranch_scc1 .LBB1746_71
; %bb.67:                               ;   in Loop: Header=BB1746_66 Depth=1
	s_add_i32 s29, s29, -1
	v_lshl_or_b32 v4, s29, 4, v0
	v_lshlrev_b64 v[8:9], 2, v[4:5]
	v_add_co_u32_e64 v8, s[0:1], s20, v8
	v_addc_co_u32_e64 v9, s[0:1], v1, v9, s[0:1]
	global_load_dword v13, v[8:9], off glc
	s_waitcnt vmcnt(0)
	v_and_b32_e32 v4, -2.0, v13
	v_cmp_eq_u32_e64 s[0:1], 0, v4
	s_and_saveexec_b64 s[22:23], s[0:1]
	s_cbranch_execz .LBB1746_65
; %bb.68:                               ;   in Loop: Header=BB1746_66 Depth=1
	s_mov_b64 s[24:25], 0
.LBB1746_69:                            ;   Parent Loop BB1746_66 Depth=1
                                        ; =>  This Inner Loop Header: Depth=2
	global_load_dword v13, v[8:9], off glc
	s_waitcnt vmcnt(0)
	v_and_b32_e32 v4, -2.0, v13
	v_cmp_ne_u32_e64 s[0:1], 0, v4
	s_or_b64 s[24:25], s[0:1], s[24:25]
	s_andn2_b64 exec, exec, s[24:25]
	s_cbranch_execnz .LBB1746_69
; %bb.70:                               ;   in Loop: Header=BB1746_66 Depth=1
	s_or_b64 exec, exec, s[24:25]
	s_branch .LBB1746_65
.LBB1746_71:                            ;   in Loop: Header=BB1746_66 Depth=1
                                        ; implicit-def: $sgpr29
	s_and_b64 s[22:23], exec, s[0:1]
	s_or_b64 s[18:19], s[22:23], s[18:19]
	s_andn2_b64 exec, exec, s[18:19]
	s_cbranch_execnz .LBB1746_66
.LBB1746_72:
	s_or_b64 exec, exec, s[18:19]
	v_add_u32_e32 v1, v12, v11
	v_or_b32_e32 v1, 0x80000000, v1
	global_store_dword v[6:7], v1, off
	v_lshlrev_b32_e32 v1, 3, v0
	global_load_dwordx2 v[4:5], v1, s[8:9]
	v_sub_co_u32_e64 v6, s[0:1], v12, v2
	v_subb_co_u32_e64 v7, s[0:1], 0, v3, s[0:1]
	s_waitcnt vmcnt(0)
	v_add_co_u32_e64 v4, s[0:1], v6, v4
	v_addc_co_u32_e64 v5, s[0:1], v7, v5, s[0:1]
	ds_write_b64 v1, v[4:5]
.LBB1746_73:
	s_or_b64 exec, exec, s[2:3]
	v_cmp_gt_u32_e64 s[0:1], s26, v0
	s_waitcnt lgkmcnt(0)
	s_barrier
	s_and_saveexec_b64 s[2:3], s[0:1]
	s_cbranch_execz .LBB1746_75
; %bb.74:
	ds_read_u8 v1, v0 offset:128
	v_mov_b32_e32 v6, s15
	s_waitcnt lgkmcnt(0)
	v_lshrrev_b32_sdwa v4, s16, v1 dst_sel:DWORD dst_unused:UNUSED_PAD src0_sel:DWORD src1_sel:BYTE_0
	v_and_b32_e32 v4, s27, v4
	v_lshlrev_b32_e32 v4, 3, v4
	ds_read_b64 v[4:5], v4
	v_xor_b32_e32 v1, -1, v1
	s_waitcnt lgkmcnt(0)
	v_add_co_u32_e64 v4, s[0:1], s14, v4
	v_addc_co_u32_e64 v5, s[0:1], v6, v5, s[0:1]
	v_add_co_u32_e64 v4, s[0:1], v4, v0
	v_addc_co_u32_e64 v5, s[0:1], 0, v5, s[0:1]
	global_store_byte v[4:5], v1, off
.LBB1746_75:
	s_or_b64 exec, exec, s[2:3]
	v_or_b32_e32 v1, 0x200, v0
	v_cmp_gt_u32_e64 s[0:1], s26, v1
	s_and_saveexec_b64 s[2:3], s[0:1]
	s_cbranch_execz .LBB1746_77
; %bb.76:
	ds_read_u8 v1, v0 offset:640
	v_mov_b32_e32 v6, s15
	s_waitcnt lgkmcnt(0)
	v_lshrrev_b32_sdwa v4, s16, v1 dst_sel:DWORD dst_unused:UNUSED_PAD src0_sel:DWORD src1_sel:BYTE_0
	v_and_b32_e32 v4, s27, v4
	v_lshlrev_b32_e32 v4, 3, v4
	ds_read_b64 v[4:5], v4
	v_xor_b32_e32 v1, -1, v1
	s_waitcnt lgkmcnt(0)
	v_add_co_u32_e64 v4, s[0:1], s14, v4
	v_addc_co_u32_e64 v5, s[0:1], v6, v5, s[0:1]
	v_add_co_u32_e64 v4, s[0:1], v4, v0
	v_addc_co_u32_e64 v5, s[0:1], 0, v5, s[0:1]
	global_store_byte v[4:5], v1, off offset:512
.LBB1746_77:
	s_or_b64 exec, exec, s[2:3]
	v_or_b32_e32 v1, 0x400, v0
	v_cmp_gt_u32_e64 s[0:1], s26, v1
	s_and_saveexec_b64 s[2:3], s[0:1]
	s_cbranch_execz .LBB1746_79
; %bb.78:
	ds_read_u8 v1, v0 offset:1152
	v_mov_b32_e32 v6, s15
	s_waitcnt lgkmcnt(0)
	v_lshrrev_b32_sdwa v4, s16, v1 dst_sel:DWORD dst_unused:UNUSED_PAD src0_sel:DWORD src1_sel:BYTE_0
	v_and_b32_e32 v4, s27, v4
	v_lshlrev_b32_e32 v4, 3, v4
	ds_read_b64 v[4:5], v4
	v_xor_b32_e32 v1, -1, v1
	s_waitcnt lgkmcnt(0)
	v_add_co_u32_e64 v4, s[0:1], s14, v4
	v_addc_co_u32_e64 v5, s[0:1], v6, v5, s[0:1]
	v_add_co_u32_e64 v4, s[0:1], v4, v0
	v_addc_co_u32_e64 v5, s[0:1], 0, v5, s[0:1]
	global_store_byte v[4:5], v1, off offset:1024
.LBB1746_79:
	;; [unrolled: 21-line block ×7, first 2 shown]
	s_or_b64 exec, exec, s[2:3]
	v_or_b32_e32 v1, 0x1000, v0
	v_cmp_gt_u32_e64 s[0:1], s26, v1
	s_and_saveexec_b64 s[2:3], s[0:1]
	s_cbranch_execz .LBB1746_91
; %bb.90:
	ds_read_u8 v6, v0 offset:4224
	v_mov_b32_e32 v7, s15
	s_waitcnt lgkmcnt(0)
	v_lshrrev_b32_sdwa v4, s16, v6 dst_sel:DWORD dst_unused:UNUSED_PAD src0_sel:DWORD src1_sel:BYTE_0
	v_and_b32_e32 v4, s27, v4
	v_lshlrev_b32_e32 v4, 3, v4
	ds_read_b64 v[4:5], v4
	v_xor_b32_e32 v6, -1, v6
	s_waitcnt lgkmcnt(0)
	v_add_co_u32_e64 v4, s[0:1], s14, v4
	v_addc_co_u32_e64 v5, s[0:1], v7, v5, s[0:1]
	v_add_co_u32_e64 v4, s[0:1], v4, v1
	v_addc_co_u32_e64 v5, s[0:1], 0, v5, s[0:1]
	global_store_byte v[4:5], v6, off
.LBB1746_91:
	s_or_b64 exec, exec, s[2:3]
	v_or_b32_e32 v1, 0x1200, v0
	v_cmp_gt_u32_e64 s[0:1], s26, v1
	s_and_saveexec_b64 s[2:3], s[0:1]
	s_cbranch_execz .LBB1746_93
; %bb.92:
	ds_read_u8 v6, v0 offset:4736
	v_mov_b32_e32 v7, s15
	s_waitcnt lgkmcnt(0)
	v_lshrrev_b32_sdwa v4, s16, v6 dst_sel:DWORD dst_unused:UNUSED_PAD src0_sel:DWORD src1_sel:BYTE_0
	v_and_b32_e32 v4, s27, v4
	v_lshlrev_b32_e32 v4, 3, v4
	ds_read_b64 v[4:5], v4
	v_xor_b32_e32 v6, -1, v6
	s_waitcnt lgkmcnt(0)
	v_add_co_u32_e64 v4, s[0:1], s14, v4
	v_addc_co_u32_e64 v5, s[0:1], v7, v5, s[0:1]
	v_add_co_u32_e64 v4, s[0:1], v4, v1
	v_addc_co_u32_e64 v5, s[0:1], 0, v5, s[0:1]
	global_store_byte v[4:5], v6, off
.LBB1746_93:
	s_or_b64 exec, exec, s[2:3]
	v_or_b32_e32 v1, 0x1400, v0
	v_cmp_gt_u32_e64 s[0:1], s26, v1
	s_and_saveexec_b64 s[2:3], s[0:1]
	s_cbranch_execz .LBB1746_95
; %bb.94:
	ds_read_u8 v6, v0 offset:5248
	v_mov_b32_e32 v7, s15
	s_waitcnt lgkmcnt(0)
	v_lshrrev_b32_sdwa v4, s16, v6 dst_sel:DWORD dst_unused:UNUSED_PAD src0_sel:DWORD src1_sel:BYTE_0
	v_and_b32_e32 v4, s27, v4
	v_lshlrev_b32_e32 v4, 3, v4
	ds_read_b64 v[4:5], v4
	v_xor_b32_e32 v6, -1, v6
	s_waitcnt lgkmcnt(0)
	v_add_co_u32_e64 v4, s[0:1], s14, v4
	v_addc_co_u32_e64 v5, s[0:1], v7, v5, s[0:1]
	v_add_co_u32_e64 v4, s[0:1], v4, v1
	v_addc_co_u32_e64 v5, s[0:1], 0, v5, s[0:1]
	global_store_byte v[4:5], v6, off
.LBB1746_95:
	s_or_b64 exec, exec, s[2:3]
	v_or_b32_e32 v1, 0x1600, v0
	v_cmp_gt_u32_e64 s[0:1], s26, v1
	s_and_saveexec_b64 s[2:3], s[0:1]
	s_cbranch_execz .LBB1746_97
; %bb.96:
	ds_read_u8 v6, v0 offset:5760
	v_mov_b32_e32 v7, s15
	s_waitcnt lgkmcnt(0)
	v_lshrrev_b32_sdwa v4, s16, v6 dst_sel:DWORD dst_unused:UNUSED_PAD src0_sel:DWORD src1_sel:BYTE_0
	v_and_b32_e32 v4, s27, v4
	v_lshlrev_b32_e32 v4, 3, v4
	ds_read_b64 v[4:5], v4
	v_xor_b32_e32 v6, -1, v6
	s_waitcnt lgkmcnt(0)
	v_add_co_u32_e64 v4, s[0:1], s14, v4
	v_addc_co_u32_e64 v5, s[0:1], v7, v5, s[0:1]
	v_add_co_u32_e64 v4, s[0:1], v4, v1
	v_addc_co_u32_e64 v5, s[0:1], 0, v5, s[0:1]
	global_store_byte v[4:5], v6, off
.LBB1746_97:
	s_or_b64 exec, exec, s[2:3]
	v_or_b32_e32 v1, 0x1800, v0
	v_cmp_gt_u32_e64 s[0:1], s26, v1
	s_and_saveexec_b64 s[2:3], s[0:1]
	s_cbranch_execz .LBB1746_99
; %bb.98:
	ds_read_u8 v6, v0 offset:6272
	v_mov_b32_e32 v7, s15
	s_waitcnt lgkmcnt(0)
	v_lshrrev_b32_sdwa v4, s16, v6 dst_sel:DWORD dst_unused:UNUSED_PAD src0_sel:DWORD src1_sel:BYTE_0
	v_and_b32_e32 v4, s27, v4
	v_lshlrev_b32_e32 v4, 3, v4
	ds_read_b64 v[4:5], v4
	v_xor_b32_e32 v6, -1, v6
	s_waitcnt lgkmcnt(0)
	v_add_co_u32_e64 v4, s[0:1], s14, v4
	v_addc_co_u32_e64 v5, s[0:1], v7, v5, s[0:1]
	v_add_co_u32_e64 v4, s[0:1], v4, v1
	v_addc_co_u32_e64 v5, s[0:1], 0, v5, s[0:1]
	global_store_byte v[4:5], v6, off
.LBB1746_99:
	s_or_b64 exec, exec, s[2:3]
	v_or_b32_e32 v1, 0x1a00, v0
	v_cmp_gt_u32_e64 s[0:1], s26, v1
	s_and_saveexec_b64 s[2:3], s[0:1]
	s_cbranch_execz .LBB1746_101
; %bb.100:
	ds_read_u8 v6, v0 offset:6784
	v_mov_b32_e32 v7, s15
	s_waitcnt lgkmcnt(0)
	v_lshrrev_b32_sdwa v4, s16, v6 dst_sel:DWORD dst_unused:UNUSED_PAD src0_sel:DWORD src1_sel:BYTE_0
	v_and_b32_e32 v4, s27, v4
	v_lshlrev_b32_e32 v4, 3, v4
	ds_read_b64 v[4:5], v4
	v_xor_b32_e32 v6, -1, v6
	s_waitcnt lgkmcnt(0)
	v_add_co_u32_e64 v4, s[0:1], s14, v4
	v_addc_co_u32_e64 v5, s[0:1], v7, v5, s[0:1]
	v_add_co_u32_e64 v4, s[0:1], v4, v1
	v_addc_co_u32_e64 v5, s[0:1], 0, v5, s[0:1]
	global_store_byte v[4:5], v6, off
.LBB1746_101:
	s_or_b64 exec, exec, s[2:3]
	v_or_b32_e32 v1, 0x1c00, v0
	v_cmp_gt_u32_e64 s[0:1], s26, v1
	s_and_saveexec_b64 s[2:3], s[0:1]
	s_cbranch_execz .LBB1746_103
; %bb.102:
	ds_read_u8 v6, v0 offset:7296
	v_mov_b32_e32 v7, s15
	s_waitcnt lgkmcnt(0)
	v_lshrrev_b32_sdwa v4, s16, v6 dst_sel:DWORD dst_unused:UNUSED_PAD src0_sel:DWORD src1_sel:BYTE_0
	v_and_b32_e32 v4, s27, v4
	v_lshlrev_b32_e32 v4, 3, v4
	ds_read_b64 v[4:5], v4
	v_xor_b32_e32 v6, -1, v6
	s_waitcnt lgkmcnt(0)
	v_add_co_u32_e64 v4, s[0:1], s14, v4
	v_addc_co_u32_e64 v5, s[0:1], v7, v5, s[0:1]
	v_add_co_u32_e64 v4, s[0:1], v4, v1
	v_addc_co_u32_e64 v5, s[0:1], 0, v5, s[0:1]
	global_store_byte v[4:5], v6, off
.LBB1746_103:
	s_or_b64 exec, exec, s[2:3]
	v_or_b32_e32 v1, 0x1e00, v0
	v_cmp_gt_u32_e64 s[0:1], s26, v1
	s_and_saveexec_b64 s[2:3], s[0:1]
	s_cbranch_execz .LBB1746_105
; %bb.104:
	ds_read_u8 v6, v0 offset:7808
	v_mov_b32_e32 v7, s15
	s_waitcnt lgkmcnt(0)
	v_lshrrev_b32_sdwa v4, s16, v6 dst_sel:DWORD dst_unused:UNUSED_PAD src0_sel:DWORD src1_sel:BYTE_0
	v_and_b32_e32 v4, s27, v4
	v_lshlrev_b32_e32 v4, 3, v4
	ds_read_b64 v[4:5], v4
	v_xor_b32_e32 v6, -1, v6
	s_waitcnt lgkmcnt(0)
	v_add_co_u32_e64 v4, s[0:1], s14, v4
	v_addc_co_u32_e64 v5, s[0:1], v7, v5, s[0:1]
	v_add_co_u32_e64 v4, s[0:1], v4, v1
	v_addc_co_u32_e64 v5, s[0:1], 0, v5, s[0:1]
	global_store_byte v[4:5], v6, off
.LBB1746_105:
	s_or_b64 exec, exec, s[2:3]
	v_or_b32_e32 v1, 0x2000, v0
	v_cmp_gt_u32_e64 s[0:1], s26, v1
	s_and_saveexec_b64 s[2:3], s[0:1]
	s_cbranch_execz .LBB1746_107
; %bb.106:
	ds_read_u8 v6, v0 offset:8320
	v_mov_b32_e32 v7, s15
	s_waitcnt lgkmcnt(0)
	v_lshrrev_b32_sdwa v4, s16, v6 dst_sel:DWORD dst_unused:UNUSED_PAD src0_sel:DWORD src1_sel:BYTE_0
	v_and_b32_e32 v4, s27, v4
	v_lshlrev_b32_e32 v4, 3, v4
	ds_read_b64 v[4:5], v4
	v_xor_b32_e32 v6, -1, v6
	s_waitcnt lgkmcnt(0)
	v_add_co_u32_e64 v4, s[0:1], s14, v4
	v_addc_co_u32_e64 v5, s[0:1], v7, v5, s[0:1]
	v_add_co_u32_e64 v4, s[0:1], v4, v1
	v_addc_co_u32_e64 v5, s[0:1], 0, v5, s[0:1]
	global_store_byte v[4:5], v6, off
.LBB1746_107:
	s_or_b64 exec, exec, s[2:3]
	v_or_b32_e32 v1, 0x2200, v0
	v_cmp_gt_u32_e64 s[0:1], s26, v1
	s_and_saveexec_b64 s[2:3], s[0:1]
	s_cbranch_execz .LBB1746_109
; %bb.108:
	ds_read_u8 v6, v0 offset:8832
	v_mov_b32_e32 v7, s15
	s_waitcnt lgkmcnt(0)
	v_lshrrev_b32_sdwa v4, s16, v6 dst_sel:DWORD dst_unused:UNUSED_PAD src0_sel:DWORD src1_sel:BYTE_0
	v_and_b32_e32 v4, s27, v4
	v_lshlrev_b32_e32 v4, 3, v4
	ds_read_b64 v[4:5], v4
	v_xor_b32_e32 v6, -1, v6
	s_waitcnt lgkmcnt(0)
	v_add_co_u32_e64 v4, s[0:1], s14, v4
	v_addc_co_u32_e64 v5, s[0:1], v7, v5, s[0:1]
	v_add_co_u32_e64 v4, s[0:1], v4, v1
	v_addc_co_u32_e64 v5, s[0:1], 0, v5, s[0:1]
	global_store_byte v[4:5], v6, off
.LBB1746_109:
	s_or_b64 exec, exec, s[2:3]
	v_or_b32_e32 v1, 0x2400, v0
	v_cmp_gt_u32_e64 s[0:1], s26, v1
	s_and_saveexec_b64 s[2:3], s[0:1]
	s_cbranch_execz .LBB1746_111
; %bb.110:
	ds_read_u8 v6, v0 offset:9344
	v_mov_b32_e32 v7, s15
	s_waitcnt lgkmcnt(0)
	v_lshrrev_b32_sdwa v4, s16, v6 dst_sel:DWORD dst_unused:UNUSED_PAD src0_sel:DWORD src1_sel:BYTE_0
	v_and_b32_e32 v4, s27, v4
	v_lshlrev_b32_e32 v4, 3, v4
	ds_read_b64 v[4:5], v4
	v_xor_b32_e32 v6, -1, v6
	s_waitcnt lgkmcnt(0)
	v_add_co_u32_e64 v4, s[0:1], s14, v4
	v_addc_co_u32_e64 v5, s[0:1], v7, v5, s[0:1]
	v_add_co_u32_e64 v4, s[0:1], v4, v1
	v_addc_co_u32_e64 v5, s[0:1], 0, v5, s[0:1]
	global_store_byte v[4:5], v6, off
.LBB1746_111:
	s_or_b64 exec, exec, s[2:3]
	v_or_b32_e32 v1, 0x2600, v0
	v_cmp_gt_u32_e64 s[0:1], s26, v1
	s_and_saveexec_b64 s[2:3], s[0:1]
	s_cbranch_execz .LBB1746_113
; %bb.112:
	ds_read_u8 v6, v0 offset:9856
	v_mov_b32_e32 v7, s15
	s_waitcnt lgkmcnt(0)
	v_lshrrev_b32_sdwa v4, s16, v6 dst_sel:DWORD dst_unused:UNUSED_PAD src0_sel:DWORD src1_sel:BYTE_0
	v_and_b32_e32 v4, s27, v4
	v_lshlrev_b32_e32 v4, 3, v4
	ds_read_b64 v[4:5], v4
	v_xor_b32_e32 v6, -1, v6
	s_waitcnt lgkmcnt(0)
	v_add_co_u32_e64 v4, s[0:1], s14, v4
	v_addc_co_u32_e64 v5, s[0:1], v7, v5, s[0:1]
	v_add_co_u32_e64 v4, s[0:1], v4, v1
	v_addc_co_u32_e64 v5, s[0:1], 0, v5, s[0:1]
	global_store_byte v[4:5], v6, off
.LBB1746_113:
	s_or_b64 exec, exec, s[2:3]
	v_or_b32_e32 v1, 0x2800, v0
	v_cmp_gt_u32_e64 s[0:1], s26, v1
	s_and_saveexec_b64 s[2:3], s[0:1]
	s_cbranch_execz .LBB1746_115
; %bb.114:
	ds_read_u8 v6, v0 offset:10368
	v_mov_b32_e32 v7, s15
	s_waitcnt lgkmcnt(0)
	v_lshrrev_b32_sdwa v4, s16, v6 dst_sel:DWORD dst_unused:UNUSED_PAD src0_sel:DWORD src1_sel:BYTE_0
	v_and_b32_e32 v4, s27, v4
	v_lshlrev_b32_e32 v4, 3, v4
	ds_read_b64 v[4:5], v4
	v_xor_b32_e32 v6, -1, v6
	s_waitcnt lgkmcnt(0)
	v_add_co_u32_e64 v4, s[0:1], s14, v4
	v_addc_co_u32_e64 v5, s[0:1], v7, v5, s[0:1]
	v_add_co_u32_e64 v4, s[0:1], v4, v1
	v_addc_co_u32_e64 v5, s[0:1], 0, v5, s[0:1]
	global_store_byte v[4:5], v6, off
.LBB1746_115:
	s_or_b64 exec, exec, s[2:3]
	v_or_b32_e32 v1, 0x2a00, v0
	v_cmp_gt_u32_e64 s[0:1], s26, v1
	s_and_saveexec_b64 s[2:3], s[0:1]
	s_cbranch_execz .LBB1746_117
; %bb.116:
	ds_read_u8 v6, v0 offset:10880
	v_mov_b32_e32 v7, s15
	s_waitcnt lgkmcnt(0)
	v_lshrrev_b32_sdwa v4, s16, v6 dst_sel:DWORD dst_unused:UNUSED_PAD src0_sel:DWORD src1_sel:BYTE_0
	v_and_b32_e32 v4, s27, v4
	v_lshlrev_b32_e32 v4, 3, v4
	ds_read_b64 v[4:5], v4
	v_xor_b32_e32 v6, -1, v6
	s_waitcnt lgkmcnt(0)
	v_add_co_u32_e64 v4, s[0:1], s14, v4
	v_addc_co_u32_e64 v5, s[0:1], v7, v5, s[0:1]
	v_add_co_u32_e64 v4, s[0:1], v4, v1
	v_addc_co_u32_e64 v5, s[0:1], 0, v5, s[0:1]
	global_store_byte v[4:5], v6, off
.LBB1746_117:
	s_or_b64 exec, exec, s[2:3]
	s_load_dword s2, s[4:5], 0x58
	s_mov_b64 s[0:1], 0
	s_mov_b64 s[18:19], 0
                                        ; implicit-def: $vgpr4_vgpr5
	s_waitcnt lgkmcnt(0)
	s_add_i32 s2, s2, -1
	s_cmp_eq_u32 s2, s6
	s_cselect_b64 s[2:3], -1, 0
	s_and_b64 s[2:3], vcc, s[2:3]
	s_and_saveexec_b64 s[22:23], s[2:3]
	s_xor_b64 s[2:3], exec, s[22:23]
; %bb.118:
	v_add_co_u32_e32 v4, vcc, v2, v11
	s_mov_b64 s[18:19], exec
	v_mov_b32_e32 v1, 0
	v_addc_co_u32_e32 v5, vcc, 0, v3, vcc
; %bb.119:
	s_or_b64 exec, exec, s[2:3]
	s_and_b64 vcc, exec, s[0:1]
	s_cbranch_vccnz .LBB1746_121
	s_branch .LBB1746_154
.LBB1746_120:
	s_mov_b64 s[18:19], 0
                                        ; implicit-def: $vgpr4_vgpr5
	s_cbranch_execz .LBB1746_154
.LBB1746_121:
	s_add_u32 s0, s12, s7
	s_addc_u32 s1, s13, 0
	global_load_ushort v7, v10, s[0:1] offset:20
	global_load_dwordx4 v[2:5], v10, s[0:1]
	global_load_dword v6, v10, s[0:1] offset:16
	v_mov_b32_e32 v9, 8
	s_mov_b32 s7, 0x3020104
	v_lshlrev_b32_e32 v1, 2, v0
	v_mov_b32_e32 v8, 0
	s_mov_b64 s[0:1], -1
	ds_write2st64_b32 v1, v8, v8 offset1:8
	ds_write2st64_b32 v1, v8, v8 offset0:16 offset1:24
	s_waitcnt vmcnt(2)
	v_lshrrev_b32_sdwa v9, v9, v7 dst_sel:BYTE_1 dst_unused:UNUSED_PAD src0_sel:DWORD src1_sel:DWORD
	v_or_b32_sdwa v7, v7, v9 dst_sel:DWORD dst_unused:UNUSED_PAD src0_sel:BYTE_0 src1_sel:DWORD
	s_and_saveexec_b64 s[2:3], s[0:1]
	s_cbranch_execz .LBB1746_123
; %bb.122:
	ds_write_b32 v1, v8 offset:8192
.LBB1746_123:
	s_or_b64 exec, exec, s[2:3]
	v_and_b32_e32 v7, 0xffff, v7
	s_waitcnt vmcnt(0)
	v_perm_b32 v6, v6, v6, s7
	s_and_saveexec_b64 s[2:3], s[0:1]
	s_cbranch_execz .LBB1746_125
; %bb.124:
	v_mov_b32_e32 v8, 0
	ds_write_b32 v1, v8 offset:10240
.LBB1746_125:
	s_or_b64 exec, exec, s[2:3]
	v_cmp_gt_u32_e64 s[0:1], 7, 6
	v_cmp_gt_u32_e64 s[12:13], 7, 5
	s_and_saveexec_b64 s[2:3], s[12:13]
	s_cbranch_execz .LBB1746_127
; %bb.126:
	v_mov_b32_e32 v8, 0
	ds_write_b32 v1, v8 offset:12288
.LBB1746_127:
	s_or_b64 exec, exec, s[2:3]
	s_and_saveexec_b64 s[2:3], s[0:1]
	s_cbranch_execz .LBB1746_129
; %bb.128:
	v_mov_b32_e32 v8, 0
	ds_write_b32 v1, v8 offset:14336
.LBB1746_129:
	s_or_b64 exec, exec, s[2:3]
	v_xor_b32_e32 v1, -1, v2
	s_lshl_b32 s0, -1, s17
	s_not_b32 s7, s0
	v_lshrrev_b32_sdwa v8, s16, v1 dst_sel:DWORD dst_unused:UNUSED_PAD src0_sel:DWORD src1_sel:BYTE_0
	v_and_b32_e32 v8, s7, v8
	v_lshrrev_b32_e32 v9, 3, v8
	v_lshlrev_b32_e32 v8, 9, v8
	s_movk_i32 s0, 0xe00
	v_and_or_b32 v8, v8, s0, v0
	v_lshlrev_b32_e32 v8, 1, v8
	v_add_lshl_u32 v10, v8, v9, 1
	ds_read_u16 v12, v10
	v_lshrrev_b32_e32 v8, 8, v2
	v_xor_b32_e32 v8, -1, v8
	v_mov_b32_e32 v44, -1
	v_lshrrev_b64 v[18:19], 24, v[2:3]
	s_waitcnt lgkmcnt(0)
	v_add_u16_e32 v9, 1, v12
	ds_write_b16 v10, v9
	v_lshrrev_b32_sdwa v9, s16, v8 dst_sel:DWORD dst_unused:UNUSED_PAD src0_sel:DWORD src1_sel:BYTE_0
	v_and_b32_e32 v9, s7, v9
	v_lshrrev_b32_e32 v11, 3, v9
	v_lshlrev_b32_e32 v9, 9, v9
	v_and_or_b32 v9, v9, s0, v0
	v_lshlrev_b32_e32 v9, 1, v9
	v_add_lshl_u32 v28, v9, v11, 1
	ds_read_u16 v14, v28
	v_xor_b32_sdwa v9, v2, v44 dst_sel:DWORD dst_unused:UNUSED_PAD src0_sel:WORD_1 src1_sel:DWORD
	v_lshrrev_b64 v[34:35], 24, v[4:5]
	v_lshrrev_b64 v[64:65], 24, v[6:7]
	s_waitcnt lgkmcnt(0)
	v_add_u16_e32 v11, 1, v14
	ds_write_b16 v28, v11
	v_lshrrev_b32_sdwa v11, s16, v9 dst_sel:DWORD dst_unused:UNUSED_PAD src0_sel:DWORD src1_sel:BYTE_0
	v_and_b32_e32 v11, s7, v11
	v_lshrrev_b32_e32 v13, 3, v11
	v_lshlrev_b32_e32 v11, 9, v11
	v_and_or_b32 v11, v11, s0, v0
	v_lshlrev_b32_e32 v11, 1, v11
	v_add_lshl_u32 v31, v11, v13, 1
	ds_read_u16 v16, v31
	v_xor_b32_e32 v11, -1, v18
	s_waitcnt lgkmcnt(0)
	v_add_u16_e32 v2, 1, v16
	ds_write_b16 v31, v2
	v_lshrrev_b32_sdwa v2, s16, v11 dst_sel:DWORD dst_unused:UNUSED_PAD src0_sel:DWORD src1_sel:BYTE_0
	v_and_b32_e32 v2, s7, v2
	v_lshrrev_b32_e32 v13, 3, v2
	v_lshlrev_b32_e32 v2, 9, v2
	v_and_or_b32 v2, v2, s0, v0
	v_lshlrev_b32_e32 v2, 1, v2
	v_add_lshl_u32 v2, v2, v13, 1
	ds_read_u16 v18, v2
	v_xor_b32_e32 v13, -1, v3
	s_waitcnt lgkmcnt(0)
	v_add_u16_e32 v15, 1, v18
	ds_write_b16 v2, v15
	v_lshrrev_b32_sdwa v15, s16, v13 dst_sel:DWORD dst_unused:UNUSED_PAD src0_sel:DWORD src1_sel:BYTE_0
	v_and_b32_e32 v15, s7, v15
	v_lshrrev_b32_e32 v17, 3, v15
	v_lshlrev_b32_e32 v15, 9, v15
	v_and_or_b32 v15, v15, s0, v0
	v_lshlrev_b32_e32 v15, 1, v15
	v_add_lshl_u32 v36, v15, v17, 1
	ds_read_u16 v20, v36
	v_lshrrev_b32_e32 v15, 8, v3
	v_xor_b32_e32 v15, -1, v15
	s_waitcnt lgkmcnt(0)
	v_add_u16_e32 v17, 1, v20
	ds_write_b16 v36, v17
	v_lshrrev_b32_sdwa v17, s16, v15 dst_sel:DWORD dst_unused:UNUSED_PAD src0_sel:DWORD src1_sel:BYTE_0
	v_and_b32_e32 v17, s7, v17
	v_lshrrev_b32_e32 v19, 3, v17
	v_lshlrev_b32_e32 v17, 9, v17
	v_and_or_b32 v17, v17, s0, v0
	v_lshlrev_b32_e32 v17, 1, v17
	v_add_lshl_u32 v38, v17, v19, 1
	ds_read_u16 v22, v38
	v_xor_b32_sdwa v17, v3, v44 dst_sel:DWORD dst_unused:UNUSED_PAD src0_sel:WORD_1 src1_sel:DWORD
	s_waitcnt lgkmcnt(0)
	v_add_u16_e32 v19, 1, v22
	ds_write_b16 v38, v19
	v_lshrrev_b32_sdwa v19, s16, v17 dst_sel:DWORD dst_unused:UNUSED_PAD src0_sel:DWORD src1_sel:BYTE_0
	v_and_b32_e32 v19, s7, v19
	v_lshrrev_b32_e32 v21, 3, v19
	v_lshlrev_b32_e32 v19, 9, v19
	v_and_or_b32 v19, v19, s0, v0
	v_lshlrev_b32_e32 v19, 1, v19
	v_add_lshl_u32 v41, v19, v21, 1
	ds_read_u16 v24, v41
	v_xor_b32_sdwa v19, v3, v44 dst_sel:DWORD dst_unused:UNUSED_PAD src0_sel:BYTE_3 src1_sel:DWORD
	s_waitcnt lgkmcnt(0)
	v_add_u16_e32 v3, 1, v24
	ds_write_b16 v41, v3
	v_lshrrev_b32_sdwa v3, s16, v19 dst_sel:DWORD dst_unused:UNUSED_PAD src0_sel:DWORD src1_sel:BYTE_0
	v_and_b32_e32 v3, s7, v3
	v_lshrrev_b32_e32 v21, 3, v3
	v_lshlrev_b32_e32 v3, 9, v3
	v_and_or_b32 v3, v3, s0, v0
	v_lshlrev_b32_e32 v3, 1, v3
	v_add_lshl_u32 v3, v3, v21, 1
	ds_read_u16 v26, v3
	v_xor_b32_e32 v21, -1, v4
	s_waitcnt lgkmcnt(0)
	v_add_u16_e32 v23, 1, v26
	ds_write_b16 v3, v23
	v_lshrrev_b32_sdwa v23, s16, v21 dst_sel:DWORD dst_unused:UNUSED_PAD src0_sel:DWORD src1_sel:BYTE_0
	v_and_b32_e32 v23, s7, v23
	v_lshrrev_b32_e32 v25, 3, v23
	v_lshlrev_b32_e32 v23, 9, v23
	v_and_or_b32 v23, v23, s0, v0
	v_lshlrev_b32_e32 v23, 1, v23
	v_add_lshl_u32 v46, v23, v25, 1
	ds_read_u16 v27, v46
	v_lshrrev_b32_e32 v23, 8, v4
	v_xor_b32_e32 v23, -1, v23
	s_waitcnt lgkmcnt(0)
	v_add_u16_e32 v25, 1, v27
	ds_write_b16 v46, v25
	v_lshrrev_b32_sdwa v25, s16, v23 dst_sel:DWORD dst_unused:UNUSED_PAD src0_sel:DWORD src1_sel:BYTE_0
	v_and_b32_e32 v25, s7, v25
	v_lshrrev_b32_e32 v29, 3, v25
	v_lshlrev_b32_e32 v25, 9, v25
	v_and_or_b32 v25, v25, s0, v0
	v_lshlrev_b32_e32 v25, 1, v25
	v_add_lshl_u32 v48, v25, v29, 1
	ds_read_u16 v30, v48
	v_xor_b32_sdwa v25, v4, v44 dst_sel:DWORD dst_unused:UNUSED_PAD src0_sel:WORD_1 src1_sel:DWORD
	v_xor_b32_e32 v4, -1, v34
	s_waitcnt lgkmcnt(0)
	v_add_u16_e32 v29, 1, v30
	ds_write_b16 v48, v29
	v_lshrrev_b32_sdwa v29, s16, v25 dst_sel:DWORD dst_unused:UNUSED_PAD src0_sel:DWORD src1_sel:BYTE_0
	v_and_b32_e32 v29, s7, v29
	v_lshrrev_b32_e32 v32, 3, v29
	v_lshlrev_b32_e32 v29, 9, v29
	v_and_or_b32 v29, v29, s0, v0
	v_lshlrev_b32_e32 v29, 1, v29
	v_add_lshl_u32 v51, v29, v32, 1
	ds_read_u16 v33, v51
	s_waitcnt lgkmcnt(0)
	v_add_u16_e32 v29, 1, v33
	ds_write_b16 v51, v29
	v_lshrrev_b32_sdwa v29, s16, v4 dst_sel:DWORD dst_unused:UNUSED_PAD src0_sel:DWORD src1_sel:BYTE_0
	v_and_b32_e32 v29, s7, v29
	v_lshrrev_b32_e32 v32, 3, v29
	v_lshlrev_b32_e32 v29, 9, v29
	v_and_or_b32 v29, v29, s0, v0
	v_lshlrev_b32_e32 v29, 1, v29
	v_add_lshl_u32 v53, v29, v32, 1
	ds_read_u16 v35, v53
	v_xor_b32_e32 v29, -1, v5
	s_waitcnt lgkmcnt(0)
	v_add_u16_e32 v32, 1, v35
	ds_write_b16 v53, v32
	v_lshrrev_b32_sdwa v32, s16, v29 dst_sel:DWORD dst_unused:UNUSED_PAD src0_sel:DWORD src1_sel:BYTE_0
	v_and_b32_e32 v32, s7, v32
	v_lshrrev_b32_e32 v34, 3, v32
	v_lshlrev_b32_e32 v32, 9, v32
	v_and_or_b32 v32, v32, s0, v0
	v_lshlrev_b32_e32 v32, 1, v32
	v_add_lshl_u32 v55, v32, v34, 1
	ds_read_u16 v37, v55
	v_lshrrev_b32_e32 v32, 8, v5
	v_xor_b32_e32 v32, -1, v32
	s_waitcnt lgkmcnt(0)
	v_add_u16_e32 v34, 1, v37
	ds_write_b16 v55, v34
	v_lshrrev_b32_sdwa v34, s16, v32 dst_sel:DWORD dst_unused:UNUSED_PAD src0_sel:DWORD src1_sel:BYTE_0
	v_and_b32_e32 v34, s7, v34
	v_lshrrev_b32_e32 v39, 3, v34
	v_lshlrev_b32_e32 v34, 9, v34
	v_and_or_b32 v34, v34, s0, v0
	v_lshlrev_b32_e32 v34, 1, v34
	v_add_lshl_u32 v57, v34, v39, 1
	ds_read_u16 v40, v57
	v_xor_b32_sdwa v34, v5, v44 dst_sel:DWORD dst_unused:UNUSED_PAD src0_sel:WORD_1 src1_sel:DWORD
	v_xor_b32_sdwa v5, v5, v44 dst_sel:DWORD dst_unused:UNUSED_PAD src0_sel:BYTE_3 src1_sel:DWORD
	v_xor_b32_sdwa v44, v6, v44 dst_sel:DWORD dst_unused:UNUSED_PAD src0_sel:WORD_1 src1_sel:DWORD
	s_waitcnt lgkmcnt(0)
	v_add_u16_e32 v39, 1, v40
	ds_write_b16 v57, v39
	v_lshrrev_b32_sdwa v39, s16, v34 dst_sel:DWORD dst_unused:UNUSED_PAD src0_sel:DWORD src1_sel:BYTE_0
	v_and_b32_e32 v39, s7, v39
	v_lshrrev_b32_e32 v42, 3, v39
	v_lshlrev_b32_e32 v39, 9, v39
	v_and_or_b32 v39, v39, s0, v0
	v_lshlrev_b32_e32 v39, 1, v39
	v_add_lshl_u32 v59, v39, v42, 1
	ds_read_u16 v43, v59
	s_waitcnt lgkmcnt(0)
	v_add_u16_e32 v39, 1, v43
	ds_write_b16 v59, v39
	v_lshrrev_b32_sdwa v39, s16, v5 dst_sel:DWORD dst_unused:UNUSED_PAD src0_sel:DWORD src1_sel:BYTE_0
	v_and_b32_e32 v39, s7, v39
	v_lshrrev_b32_e32 v42, 3, v39
	v_lshlrev_b32_e32 v39, 9, v39
	v_and_or_b32 v39, v39, s0, v0
	v_lshlrev_b32_e32 v39, 1, v39
	v_add_lshl_u32 v60, v39, v42, 1
	ds_read_u16 v45, v60
	v_xor_b32_e32 v39, -1, v6
	s_waitcnt lgkmcnt(0)
	v_add_u16_e32 v42, 1, v45
	ds_write_b16 v60, v42
	v_lshrrev_b32_sdwa v42, s16, v39 dst_sel:DWORD dst_unused:UNUSED_PAD src0_sel:DWORD src1_sel:BYTE_0
	v_and_b32_e32 v42, s7, v42
	v_lshrrev_b32_e32 v47, 3, v42
	v_lshlrev_b32_e32 v42, 9, v42
	v_and_or_b32 v42, v42, s0, v0
	v_lshlrev_b32_e32 v42, 1, v42
	v_add_lshl_u32 v61, v42, v47, 1
	ds_read_u16 v47, v61
	v_lshrrev_b32_e32 v42, 8, v6
	v_xor_b32_e32 v42, -1, v42
	v_xor_b32_e32 v6, -1, v64
	s_waitcnt lgkmcnt(0)
	v_add_u16_e32 v49, 1, v47
	ds_write_b16 v61, v49
	v_lshrrev_b32_sdwa v49, s16, v42 dst_sel:DWORD dst_unused:UNUSED_PAD src0_sel:DWORD src1_sel:BYTE_0
	v_and_b32_e32 v49, s7, v49
	v_lshrrev_b32_e32 v50, 3, v49
	v_lshlrev_b32_e32 v49, 9, v49
	v_and_or_b32 v49, v49, s0, v0
	v_lshlrev_b32_e32 v49, 1, v49
	v_add_lshl_u32 v62, v49, v50, 1
	ds_read_u16 v50, v62
	s_waitcnt lgkmcnt(0)
	v_add_u16_e32 v49, 1, v50
	ds_write_b16 v62, v49
	v_lshrrev_b32_sdwa v49, s16, v44 dst_sel:DWORD dst_unused:UNUSED_PAD src0_sel:DWORD src1_sel:BYTE_0
	v_and_b32_e32 v49, s7, v49
	v_lshrrev_b32_e32 v52, 3, v49
	v_lshlrev_b32_e32 v49, 9, v49
	v_and_or_b32 v49, v49, s0, v0
	v_lshlrev_b32_e32 v49, 1, v49
	v_add_lshl_u32 v63, v49, v52, 1
	ds_read_u16 v52, v63
	;; [unrolled: 11-line block ×3, first 2 shown]
	v_xor_b32_e32 v49, -1, v7
	v_lshrrev_b32_e32 v7, 8, v7
	v_xor_b32_e32 v7, -1, v7
	s_waitcnt lgkmcnt(0)
	v_add_u16_e32 v56, 1, v54
	ds_write_b16 v64, v56
	v_lshrrev_b32_sdwa v56, s16, v49 dst_sel:DWORD dst_unused:UNUSED_PAD src0_sel:DWORD src1_sel:BYTE_0
	v_and_b32_e32 v56, s7, v56
	v_lshrrev_b32_e32 v58, 3, v56
	v_lshlrev_b32_e32 v56, 9, v56
	v_and_or_b32 v56, v56, s0, v0
	v_lshlrev_b32_e32 v56, 1, v56
	v_add_lshl_u32 v65, v56, v58, 1
	ds_read_u16 v56, v65
	s_waitcnt lgkmcnt(0)
	v_add_u16_e32 v58, 1, v56
	ds_write_b16 v65, v58
	v_lshrrev_b32_sdwa v58, s16, v7 dst_sel:DWORD dst_unused:UNUSED_PAD src0_sel:DWORD src1_sel:BYTE_0
	v_and_b32_e32 v58, s7, v58
	v_lshrrev_b32_e32 v66, 3, v58
	v_lshlrev_b32_e32 v58, 9, v58
	v_and_or_b32 v58, v58, s0, v0
	v_lshlrev_b32_e32 v58, 1, v58
	v_add_lshl_u32 v66, v58, v66, 1
	ds_read_u16 v58, v66
	s_waitcnt lgkmcnt(0)
	v_add_u16_e32 v67, 1, v58
	ds_write_b16 v66, v67
	v_lshlrev_b32_e32 v67, 5, v0
	s_waitcnt lgkmcnt(0)
	s_barrier
	ds_read2_b64 v[68:71], v67 offset1:1
	ds_read2_b64 v[72:75], v67 offset0:2 offset1:3
	s_waitcnt lgkmcnt(1)
	v_add_u32_e32 v68, v69, v68
	v_add3_u32 v68, v68, v70, v71
	s_waitcnt lgkmcnt(0)
	v_add3_u32 v68, v68, v72, v73
	v_add3_u32 v69, v68, v74, v75
	v_mbcnt_lo_u32_b32 v68, -1, 0
	v_mbcnt_hi_u32_b32 v68, -1, v68
	v_and_b32_e32 v70, 15, v68
	v_mov_b32_dpp v71, v69 row_shr:1 row_mask:0xf bank_mask:0xf
	v_cmp_ne_u32_e32 vcc, 0, v70
	v_cndmask_b32_e32 v71, 0, v71, vcc
	v_add_u32_e32 v69, v71, v69
	v_cmp_lt_u32_e32 vcc, 1, v70
	s_nop 0
	v_mov_b32_dpp v71, v69 row_shr:2 row_mask:0xf bank_mask:0xf
	v_cndmask_b32_e32 v71, 0, v71, vcc
	v_add_u32_e32 v69, v69, v71
	v_cmp_lt_u32_e32 vcc, 3, v70
	s_nop 0
	v_mov_b32_dpp v71, v69 row_shr:4 row_mask:0xf bank_mask:0xf
	;; [unrolled: 5-line block ×3, first 2 shown]
	v_cndmask_b32_e32 v70, 0, v71, vcc
	v_add_u32_e32 v69, v69, v70
	v_bfe_i32 v71, v68, 4, 1
	v_cmp_lt_u32_e32 vcc, 31, v68
	v_mov_b32_dpp v70, v69 row_bcast:15 row_mask:0xf bank_mask:0xf
	v_and_b32_e32 v70, v71, v70
	v_add_u32_e32 v69, v69, v70
	v_or_b32_e32 v71, 63, v0
	s_nop 0
	v_mov_b32_dpp v70, v69 row_bcast:31 row_mask:0xf bank_mask:0xf
	v_cndmask_b32_e32 v70, 0, v70, vcc
	v_add_u32_e32 v69, v69, v70
	v_lshrrev_b32_e32 v70, 6, v0
	v_cmp_eq_u32_e32 vcc, v71, v0
	v_lshlrev_b32_e32 v70, 2, v70
	s_and_saveexec_b64 s[0:1], vcc
	s_cbranch_execz .LBB1746_131
; %bb.130:
	ds_write_b32 v70, v69 offset:16384
.LBB1746_131:
	s_or_b64 exec, exec, s[0:1]
	v_cmp_gt_u32_e32 vcc, 8, v0
	s_waitcnt lgkmcnt(0)
	s_barrier
	s_and_saveexec_b64 s[0:1], vcc
	s_cbranch_execz .LBB1746_133
; %bb.132:
	s_movk_i32 s2, 0xffe4
	v_mad_i32_i24 v71, v0, s2, v67
	ds_read_b32 v72, v71 offset:16384
	v_and_b32_e32 v73, 7, v68
	v_cmp_ne_u32_e32 vcc, 0, v73
	s_waitcnt lgkmcnt(0)
	v_mov_b32_dpp v74, v72 row_shr:1 row_mask:0xf bank_mask:0xf
	v_cndmask_b32_e32 v74, 0, v74, vcc
	v_add_u32_e32 v72, v74, v72
	v_cmp_lt_u32_e32 vcc, 1, v73
	s_nop 0
	v_mov_b32_dpp v74, v72 row_shr:2 row_mask:0xf bank_mask:0xf
	v_cndmask_b32_e32 v74, 0, v74, vcc
	v_add_u32_e32 v72, v72, v74
	v_cmp_lt_u32_e32 vcc, 3, v73
	s_nop 0
	v_mov_b32_dpp v74, v72 row_shr:4 row_mask:0xf bank_mask:0xf
	v_cndmask_b32_e32 v73, 0, v74, vcc
	v_add_u32_e32 v72, v72, v73
	ds_write_b32 v71, v72 offset:16384
.LBB1746_133:
	s_or_b64 exec, exec, s[0:1]
	v_cmp_lt_u32_e32 vcc, 63, v0
	v_mov_b32_e32 v72, 0
	v_mov_b32_e32 v71, 0
	s_waitcnt lgkmcnt(0)
	s_barrier
	s_and_saveexec_b64 s[0:1], vcc
	s_cbranch_execz .LBB1746_135
; %bb.134:
	ds_read_b32 v71, v70 offset:16380
.LBB1746_135:
	s_or_b64 exec, exec, s[0:1]
	v_add_u32_e32 v70, -1, v68
	v_and_b32_e32 v73, 64, v68
	v_cmp_lt_i32_e32 vcc, v70, v73
	v_cndmask_b32_e32 v70, v70, v68, vcc
	s_waitcnt lgkmcnt(0)
	v_add_u32_e32 v69, v71, v69
	v_lshlrev_b32_e32 v70, 2, v70
	ds_bpermute_b32 v69, v70, v69
	ds_read_b32 v70, v72 offset:16412
	ds_read2_b64 v[72:75], v67 offset1:1
	v_cmp_eq_u32_e32 vcc, 0, v68
	ds_read_b32 v76, v67 offset:24
	v_cmp_lt_u32_e64 s[0:1], 15, v0
	s_waitcnt lgkmcnt(3)
	v_cndmask_b32_e32 v68, v69, v71, vcc
	s_waitcnt lgkmcnt(2)
	v_lshl_add_u32 v68, v70, 16, v68
	ds_read_b64 v[70:71], v67 offset:16
	s_waitcnt lgkmcnt(2)
	v_add_u32_e32 v69, v68, v72
	v_add_u32_e32 v72, v73, v69
	;; [unrolled: 1-line block ×3, first 2 shown]
	ds_write2_b64 v67, v[68:69], v[72:73] offset1:1
	v_add_u32_e32 v68, v75, v73
	s_waitcnt lgkmcnt(1)
	v_add_u32_e32 v69, v70, v68
	v_add_u32_e32 v70, v71, v69
	;; [unrolled: 1-line block ×3, first 2 shown]
	ds_write2_b64 v67, v[68:69], v[70:71] offset0:2 offset1:3
	s_waitcnt lgkmcnt(0)
	s_barrier
	ds_read_u16 v67, v10
	ds_read_u16 v28, v28
	;; [unrolled: 1-line block ×22, first 2 shown]
	v_cmp_gt_u32_e32 vcc, 16, v0
	v_pk_mov_b32 v[2:3], 0, 0
                                        ; implicit-def: $vgpr10
	s_and_saveexec_b64 s[12:13], vcc
	s_cbranch_execz .LBB1746_139
; %bb.136:
	v_lshrrev_b32_e32 v2, 3, v0
	v_lshlrev_b32_e32 v3, 10, v0
	s_movk_i32 s17, 0x1c00
	v_and_or_b32 v2, v3, s17, v2
	v_lshlrev_b32_e32 v2, 1, v2
	ds_read_u16 v2, v2
	v_add_u32_e32 v10, 1, v0
	v_cmp_ne_u32_e64 s[2:3], 16, v10
	v_mov_b32_e32 v3, 0x2c00
	s_and_saveexec_b64 s[22:23], s[2:3]
	s_cbranch_execz .LBB1746_138
; %bb.137:
	v_lshlrev_b32_e32 v3, 10, v10
	v_lshrrev_b32_e32 v10, 3, v10
	v_and_or_b32 v3, v3, s17, v10
	v_lshlrev_b32_e32 v3, 1, v3
	ds_read_u16 v3, v3
.LBB1746_138:
	s_or_b64 exec, exec, s[22:23]
	s_waitcnt lgkmcnt(0)
	v_and_b32_e32 v2, 0xffff, v2
	s_mov_b32 s2, 0
	v_sub_u32_e32 v10, v3, v2
	v_mov_b32_e32 v3, s2
.LBB1746_139:
	s_or_b64 exec, exec, s[12:13]
	s_waitcnt lgkmcnt(14)
	v_add_u32_sdwa v12, v67, v12 dst_sel:DWORD dst_unused:UNUSED_PAD src0_sel:WORD_0 src1_sel:WORD_0
	v_add_u32_sdwa v14, v28, v14 dst_sel:DWORD dst_unused:UNUSED_PAD src0_sel:WORD_0 src1_sel:WORD_0
	;; [unrolled: 1-line block ×8, first 2 shown]
	s_waitcnt lgkmcnt(13)
	v_add_u32_sdwa v27, v46, v27 dst_sel:DWORD dst_unused:UNUSED_PAD src0_sel:WORD_0 src1_sel:WORD_0
	s_waitcnt lgkmcnt(12)
	v_add_u32_sdwa v28, v48, v30 dst_sel:DWORD dst_unused:UNUSED_PAD src0_sel:WORD_0 src1_sel:WORD_0
	;; [unrolled: 2-line block ×14, first 2 shown]
	s_barrier
	ds_write_b8 v12, v1 offset:128
	ds_write_b8 v14, v8 offset:128
	;; [unrolled: 1-line block ×22, first 2 shown]
	s_and_saveexec_b64 s[2:3], s[0:1]
	s_xor_b64 s[0:1], exec, s[2:3]
; %bb.140:
	v_mov_b32_e32 v1, 0
; %bb.141:
	s_andn2_saveexec_b64 s[2:3], s[0:1]
	s_cbranch_execz .LBB1746_151
; %bb.142:
	v_lshl_or_b32 v4, s6, 4, v0
	v_mov_b32_e32 v5, 0
	v_lshlrev_b64 v[6:7], 2, v[4:5]
	v_mov_b32_e32 v1, s21
	v_add_co_u32_e64 v6, s[0:1], s20, v6
	v_addc_co_u32_e64 v7, s[0:1], v1, v7, s[0:1]
	v_or_b32_e32 v4, 2.0, v10
	s_mov_b64 s[12:13], 0
	s_brev_b32 s17, 1
	s_mov_b32 s21, s6
	v_mov_b32_e32 v11, 0
	global_store_dword v[6:7], v4, off
                                        ; implicit-def: $sgpr0_sgpr1
	s_branch .LBB1746_145
.LBB1746_143:                           ;   in Loop: Header=BB1746_145 Depth=1
	s_or_b64 exec, exec, s[24:25]
.LBB1746_144:                           ;   in Loop: Header=BB1746_145 Depth=1
	s_or_b64 exec, exec, s[22:23]
	v_and_b32_e32 v8, 0x3fffffff, v12
	v_add_u32_e32 v11, v8, v11
	v_cmp_eq_u32_e64 s[0:1], s17, v4
	s_and_b64 s[22:23], exec, s[0:1]
	s_or_b64 s[12:13], s[22:23], s[12:13]
	s_andn2_b64 exec, exec, s[12:13]
	s_cbranch_execz .LBB1746_150
.LBB1746_145:                           ; =>This Loop Header: Depth=1
                                        ;     Child Loop BB1746_148 Depth 2
	s_or_b64 s[0:1], s[0:1], exec
	s_cmp_eq_u32 s21, 0
	s_cbranch_scc1 .LBB1746_149
; %bb.146:                              ;   in Loop: Header=BB1746_145 Depth=1
	s_add_i32 s21, s21, -1
	v_lshl_or_b32 v4, s21, 4, v0
	v_lshlrev_b64 v[8:9], 2, v[4:5]
	v_add_co_u32_e64 v8, s[0:1], s20, v8
	v_addc_co_u32_e64 v9, s[0:1], v1, v9, s[0:1]
	global_load_dword v12, v[8:9], off glc
	s_waitcnt vmcnt(0)
	v_and_b32_e32 v4, -2.0, v12
	v_cmp_eq_u32_e64 s[0:1], 0, v4
	s_and_saveexec_b64 s[22:23], s[0:1]
	s_cbranch_execz .LBB1746_144
; %bb.147:                              ;   in Loop: Header=BB1746_145 Depth=1
	s_mov_b64 s[24:25], 0
.LBB1746_148:                           ;   Parent Loop BB1746_145 Depth=1
                                        ; =>  This Inner Loop Header: Depth=2
	global_load_dword v12, v[8:9], off glc
	s_waitcnt vmcnt(0)
	v_and_b32_e32 v4, -2.0, v12
	v_cmp_ne_u32_e64 s[0:1], 0, v4
	s_or_b64 s[24:25], s[0:1], s[24:25]
	s_andn2_b64 exec, exec, s[24:25]
	s_cbranch_execnz .LBB1746_148
	s_branch .LBB1746_143
.LBB1746_149:                           ;   in Loop: Header=BB1746_145 Depth=1
                                        ; implicit-def: $sgpr21
	s_and_b64 s[22:23], exec, s[0:1]
	s_or_b64 s[12:13], s[22:23], s[12:13]
	s_andn2_b64 exec, exec, s[12:13]
	s_cbranch_execnz .LBB1746_145
.LBB1746_150:
	s_or_b64 exec, exec, s[12:13]
	v_add_u32_e32 v1, v11, v10
	v_or_b32_e32 v1, 0x80000000, v1
	global_store_dword v[6:7], v1, off
	v_lshlrev_b32_e32 v6, 3, v0
	global_load_dwordx2 v[4:5], v6, s[8:9]
	v_sub_co_u32_e64 v7, s[0:1], v11, v2
	v_subb_co_u32_e64 v8, s[0:1], 0, v3, s[0:1]
	v_mov_b32_e32 v1, 0
	s_waitcnt vmcnt(0)
	v_add_co_u32_e64 v4, s[0:1], v7, v4
	v_addc_co_u32_e64 v5, s[0:1], v8, v5, s[0:1]
	ds_write_b64 v6, v[4:5]
.LBB1746_151:
	s_or_b64 exec, exec, s[2:3]
	s_waitcnt lgkmcnt(0)
	s_barrier
	ds_read_u8 v11, v0 offset:10368
	ds_read_u8 v18, v0 offset:9344
	;; [unrolled: 1-line block ×5, first 2 shown]
	s_waitcnt lgkmcnt(4)
	v_lshrrev_b32_sdwa v4, s16, v11 dst_sel:DWORD dst_unused:UNUSED_PAD src0_sel:DWORD src1_sel:BYTE_0
	v_and_b32_e32 v4, s7, v4
	v_lshlrev_b32_e32 v4, 3, v4
	ds_read_b64 v[6:7], v4
	ds_read_u8 v8, v0 offset:128
	s_waitcnt lgkmcnt(2)
	v_lshrrev_b32_sdwa v4, s16, v21 dst_sel:DWORD dst_unused:UNUSED_PAD src0_sel:DWORD src1_sel:BYTE_0
	v_and_b32_e32 v4, s7, v4
	v_lshlrev_b32_e32 v4, 3, v4
	ds_read_b64 v[4:5], v4
	s_waitcnt lgkmcnt(1)
	v_lshrrev_b32_sdwa v9, s16, v8 dst_sel:DWORD dst_unused:UNUSED_PAD src0_sel:DWORD src1_sel:BYTE_0
	v_and_b32_e32 v9, s7, v9
	v_xor_b32_e32 v22, -1, v8
	v_lshlrev_b32_e32 v8, 3, v9
	v_lshrrev_b32_sdwa v9, s16, v20 dst_sel:DWORD dst_unused:UNUSED_PAD src0_sel:DWORD src1_sel:BYTE_0
	v_and_b32_e32 v9, s7, v9
	v_lshlrev_b32_e32 v12, 3, v9
	ds_read_u8 v24, v0 offset:1152
	ds_read_u8 v25, v0 offset:1664
	;; [unrolled: 1-line block ×8, first 2 shown]
	s_waitcnt lgkmcnt(7)
	v_lshrrev_b32_sdwa v9, s16, v24 dst_sel:DWORD dst_unused:UNUSED_PAD src0_sel:DWORD src1_sel:BYTE_0
	v_and_b32_e32 v9, s7, v9
	v_lshlrev_b32_e32 v14, 3, v9
	s_waitcnt lgkmcnt(6)
	v_lshrrev_b32_sdwa v9, s16, v25 dst_sel:DWORD dst_unused:UNUSED_PAD src0_sel:DWORD src1_sel:BYTE_0
	v_and_b32_e32 v9, s7, v9
	v_lshlrev_b32_e32 v16, 3, v9
	ds_read_b64 v[8:9], v8
	ds_read_b64 v[12:13], v12
	;; [unrolled: 1-line block ×4, first 2 shown]
	v_mov_b32_e32 v23, s15
	s_waitcnt lgkmcnt(3)
	v_add_co_u32_e64 v8, s[0:1], s14, v8
	v_addc_co_u32_e64 v9, s[0:1], v23, v9, s[0:1]
	v_add_co_u32_e64 v8, s[0:1], v8, v0
	v_addc_co_u32_e64 v9, s[0:1], v9, v1, s[0:1]
	global_store_byte v[8:9], v22, off
	v_mov_b32_e32 v8, s15
	s_waitcnt lgkmcnt(2)
	v_add_co_u32_e64 v9, s[0:1], s14, v12
	v_addc_co_u32_e64 v12, s[0:1], v8, v13, s[0:1]
	v_add_co_u32_e64 v8, s[0:1], v9, v0
	v_xor_b32_e32 v20, -1, v20
	v_addc_co_u32_e64 v9, s[0:1], v12, v1, s[0:1]
	global_store_byte v[8:9], v20, off offset:512
	v_mov_b32_e32 v8, s15
	s_waitcnt lgkmcnt(1)
	v_add_co_u32_e64 v9, s[0:1], s14, v14
	v_addc_co_u32_e64 v13, s[0:1], v8, v15, s[0:1]
	v_add_co_u32_e64 v8, s[0:1], v9, v0
	v_xor_b32_e32 v12, -1, v24
	v_addc_co_u32_e64 v9, s[0:1], v13, v1, s[0:1]
	global_store_byte v[8:9], v12, off offset:1024
	;; [unrolled: 8-line block ×3, first 2 shown]
	v_lshrrev_b32_sdwa v9, s16, v27 dst_sel:DWORD dst_unused:UNUSED_PAD src0_sel:DWORD src1_sel:BYTE_0
	v_and_b32_e32 v9, s7, v9
	v_lshlrev_b32_e32 v12, 3, v9
	v_lshrrev_b32_sdwa v9, s16, v28 dst_sel:DWORD dst_unused:UNUSED_PAD src0_sel:DWORD src1_sel:BYTE_0
	v_and_b32_e32 v9, s7, v9
	v_lshrrev_b32_sdwa v8, s16, v26 dst_sel:DWORD dst_unused:UNUSED_PAD src0_sel:DWORD src1_sel:BYTE_0
	v_lshlrev_b32_e32 v14, 3, v9
	v_lshrrev_b32_sdwa v9, s16, v29 dst_sel:DWORD dst_unused:UNUSED_PAD src0_sel:DWORD src1_sel:BYTE_0
	v_and_b32_e32 v8, s7, v8
	v_and_b32_e32 v9, s7, v9
	v_lshlrev_b32_e32 v8, 3, v8
	v_lshlrev_b32_e32 v16, 3, v9
	ds_read_b64 v[8:9], v8
	ds_read_b64 v[12:13], v12
	;; [unrolled: 1-line block ×4, first 2 shown]
	v_mov_b32_e32 v22, s15
	s_waitcnt lgkmcnt(3)
	v_add_co_u32_e64 v8, s[0:1], s14, v8
	v_addc_co_u32_e64 v9, s[0:1], v22, v9, s[0:1]
	v_add_co_u32_e64 v8, s[0:1], v8, v0
	v_xor_b32_e32 v20, -1, v26
	v_addc_co_u32_e64 v9, s[0:1], v9, v1, s[0:1]
	global_store_byte v[8:9], v20, off offset:2048
	v_mov_b32_e32 v8, s15
	s_waitcnt lgkmcnt(2)
	v_add_co_u32_e64 v9, s[0:1], s14, v12
	v_addc_co_u32_e64 v12, s[0:1], v8, v13, s[0:1]
	v_add_co_u32_e64 v8, s[0:1], v9, v0
	v_xor_b32_e32 v20, -1, v27
	v_addc_co_u32_e64 v9, s[0:1], v12, v1, s[0:1]
	global_store_byte v[8:9], v20, off offset:2560
	v_mov_b32_e32 v8, s15
	s_waitcnt lgkmcnt(1)
	v_add_co_u32_e64 v9, s[0:1], s14, v14
	v_addc_co_u32_e64 v13, s[0:1], v8, v15, s[0:1]
	v_add_co_u32_e64 v8, s[0:1], v9, v0
	v_xor_b32_e32 v12, -1, v28
	v_addc_co_u32_e64 v9, s[0:1], v13, v1, s[0:1]
	global_store_byte v[8:9], v12, off offset:3072
	v_mov_b32_e32 v8, s15
	s_waitcnt lgkmcnt(0)
	v_add_co_u32_e64 v9, s[0:1], s14, v16
	v_addc_co_u32_e64 v13, s[0:1], v8, v17, s[0:1]
	v_add_co_u32_e64 v8, s[0:1], v9, v0
	v_xor_b32_e32 v12, -1, v29
	v_addc_co_u32_e64 v9, s[0:1], v13, v1, s[0:1]
	global_store_byte v[8:9], v12, off offset:3584
	v_lshrrev_b32_sdwa v9, s16, v31 dst_sel:DWORD dst_unused:UNUSED_PAD src0_sel:DWORD src1_sel:BYTE_0
	v_and_b32_e32 v9, s7, v9
	v_lshrrev_b32_sdwa v8, s16, v30 dst_sel:DWORD dst_unused:UNUSED_PAD src0_sel:DWORD src1_sel:BYTE_0
	v_xor_b32_e32 v22, -1, v30
	v_lshlrev_b32_e32 v12, 3, v9
	ds_read_u8 v24, v0 offset:5248
	ds_read_u8 v25, v0 offset:5760
	;; [unrolled: 1-line block ×8, first 2 shown]
	s_waitcnt lgkmcnt(7)
	v_lshrrev_b32_sdwa v9, s16, v24 dst_sel:DWORD dst_unused:UNUSED_PAD src0_sel:DWORD src1_sel:BYTE_0
	v_and_b32_e32 v9, s7, v9
	v_lshlrev_b32_e32 v14, 3, v9
	s_waitcnt lgkmcnt(6)
	v_lshrrev_b32_sdwa v9, s16, v25 dst_sel:DWORD dst_unused:UNUSED_PAD src0_sel:DWORD src1_sel:BYTE_0
	v_and_b32_e32 v8, s7, v8
	v_and_b32_e32 v9, s7, v9
	v_lshlrev_b32_e32 v8, 3, v8
	v_lshlrev_b32_e32 v16, 3, v9
	ds_read_b64 v[8:9], v8
	ds_read_b64 v[12:13], v12
	;; [unrolled: 1-line block ×4, first 2 shown]
	v_or_b32_e32 v20, 0x1000, v0
	s_waitcnt lgkmcnt(3)
	v_add_co_u32_e64 v8, s[0:1], s14, v8
	v_addc_co_u32_e64 v9, s[0:1], v23, v9, s[0:1]
	v_add_co_u32_e64 v8, s[0:1], v8, v20
	v_addc_co_u32_e64 v9, s[0:1], 0, v9, s[0:1]
	global_store_byte v[8:9], v22, off
	v_mov_b32_e32 v9, s15
	s_waitcnt lgkmcnt(2)
	v_add_co_u32_e64 v12, s[0:1], s14, v12
	v_or_b32_e32 v8, 0x1200, v0
	v_addc_co_u32_e64 v9, s[0:1], v9, v13, s[0:1]
	v_add_co_u32_e64 v8, s[0:1], v12, v8
	v_xor_b32_e32 v20, -1, v31
	v_addc_co_u32_e64 v9, s[0:1], 0, v9, s[0:1]
	global_store_byte v[8:9], v20, off
	v_mov_b32_e32 v9, s15
	s_waitcnt lgkmcnt(1)
	v_add_co_u32_e64 v13, s[0:1], s14, v14
	v_or_b32_e32 v8, 0x1400, v0
	v_addc_co_u32_e64 v9, s[0:1], v9, v15, s[0:1]
	v_add_co_u32_e64 v8, s[0:1], v13, v8
	v_xor_b32_e32 v12, -1, v24
	;; [unrolled: 9-line block ×3, first 2 shown]
	v_addc_co_u32_e64 v9, s[0:1], 0, v9, s[0:1]
	global_store_byte v[8:9], v12, off
	v_lshrrev_b32_sdwa v9, s16, v27 dst_sel:DWORD dst_unused:UNUSED_PAD src0_sel:DWORD src1_sel:BYTE_0
	v_and_b32_e32 v9, s7, v9
	v_lshlrev_b32_e32 v12, 3, v9
	v_lshrrev_b32_sdwa v9, s16, v28 dst_sel:DWORD dst_unused:UNUSED_PAD src0_sel:DWORD src1_sel:BYTE_0
	v_and_b32_e32 v9, s7, v9
	v_lshrrev_b32_sdwa v8, s16, v26 dst_sel:DWORD dst_unused:UNUSED_PAD src0_sel:DWORD src1_sel:BYTE_0
	v_lshlrev_b32_e32 v14, 3, v9
	v_lshrrev_b32_sdwa v9, s16, v29 dst_sel:DWORD dst_unused:UNUSED_PAD src0_sel:DWORD src1_sel:BYTE_0
	v_and_b32_e32 v8, s7, v8
	v_and_b32_e32 v9, s7, v9
	v_lshlrev_b32_e32 v8, 3, v8
	v_lshlrev_b32_e32 v16, 3, v9
	ds_read_b64 v[8:9], v8
	ds_read_b64 v[12:13], v12
	;; [unrolled: 1-line block ×4, first 2 shown]
	v_or_b32_e32 v20, 0x1800, v0
	s_waitcnt lgkmcnt(3)
	v_add_co_u32_e64 v8, s[0:1], s14, v8
	v_addc_co_u32_e64 v9, s[0:1], v23, v9, s[0:1]
	v_add_co_u32_e64 v8, s[0:1], v8, v20
	v_xor_b32_e32 v22, -1, v26
	v_addc_co_u32_e64 v9, s[0:1], 0, v9, s[0:1]
	global_store_byte v[8:9], v22, off
	v_mov_b32_e32 v9, s15
	s_waitcnt lgkmcnt(2)
	v_add_co_u32_e64 v12, s[0:1], s14, v12
	v_or_b32_e32 v8, 0x1a00, v0
	v_addc_co_u32_e64 v9, s[0:1], v9, v13, s[0:1]
	v_add_co_u32_e64 v8, s[0:1], v12, v8
	v_xor_b32_e32 v20, -1, v27
	v_addc_co_u32_e64 v9, s[0:1], 0, v9, s[0:1]
	global_store_byte v[8:9], v20, off
	v_mov_b32_e32 v9, s15
	s_waitcnt lgkmcnt(1)
	v_add_co_u32_e64 v13, s[0:1], s14, v14
	v_or_b32_e32 v8, 0x1c00, v0
	;; [unrolled: 9-line block ×3, first 2 shown]
	v_addc_co_u32_e64 v9, s[0:1], v9, v17, s[0:1]
	v_add_co_u32_e64 v8, s[0:1], v13, v8
	v_xor_b32_e32 v12, -1, v29
	v_addc_co_u32_e64 v9, s[0:1], 0, v9, s[0:1]
	global_store_byte v[8:9], v12, off
	v_lshrrev_b32_sdwa v9, s16, v32 dst_sel:DWORD dst_unused:UNUSED_PAD src0_sel:DWORD src1_sel:BYTE_0
	v_and_b32_e32 v9, s7, v9
	v_lshlrev_b32_e32 v12, 3, v9
	v_lshrrev_b32_sdwa v9, s16, v18 dst_sel:DWORD dst_unused:UNUSED_PAD src0_sel:DWORD src1_sel:BYTE_0
	v_and_b32_e32 v9, s7, v9
	v_lshrrev_b32_sdwa v8, s16, v30 dst_sel:DWORD dst_unused:UNUSED_PAD src0_sel:DWORD src1_sel:BYTE_0
	v_lshlrev_b32_e32 v14, 3, v9
	v_lshrrev_b32_sdwa v9, s16, v19 dst_sel:DWORD dst_unused:UNUSED_PAD src0_sel:DWORD src1_sel:BYTE_0
	v_and_b32_e32 v8, s7, v8
	v_and_b32_e32 v9, s7, v9
	v_lshlrev_b32_e32 v8, 3, v8
	v_lshlrev_b32_e32 v16, 3, v9
	ds_read_b64 v[8:9], v8
	ds_read_b64 v[12:13], v12
	;; [unrolled: 1-line block ×4, first 2 shown]
	v_or_b32_e32 v20, 0x2000, v0
	s_waitcnt lgkmcnt(3)
	v_add_co_u32_e64 v8, s[0:1], s14, v8
	v_addc_co_u32_e64 v9, s[0:1], v23, v9, s[0:1]
	v_add_co_u32_e64 v8, s[0:1], v8, v20
	v_xor_b32_e32 v22, -1, v30
	v_addc_co_u32_e64 v9, s[0:1], 0, v9, s[0:1]
	global_store_byte v[8:9], v22, off
	v_mov_b32_e32 v9, s15
	s_waitcnt lgkmcnt(2)
	v_add_co_u32_e64 v12, s[0:1], s14, v12
	v_or_b32_e32 v8, 0x2200, v0
	v_addc_co_u32_e64 v9, s[0:1], v9, v13, s[0:1]
	v_add_co_u32_e64 v8, s[0:1], v12, v8
	v_xor_b32_e32 v20, -1, v32
	v_addc_co_u32_e64 v9, s[0:1], 0, v9, s[0:1]
	global_store_byte v[8:9], v20, off
	v_mov_b32_e32 v9, s15
	s_waitcnt lgkmcnt(1)
	v_add_co_u32_e64 v13, s[0:1], s14, v14
	v_or_b32_e32 v8, 0x2400, v0
	;; [unrolled: 9-line block ×3, first 2 shown]
	v_addc_co_u32_e64 v9, s[0:1], v9, v17, s[0:1]
	v_add_co_u32_e64 v8, s[0:1], v13, v8
	v_xor_b32_e32 v12, -1, v19
	v_addc_co_u32_e64 v9, s[0:1], 0, v9, s[0:1]
	global_store_byte v[8:9], v12, off
	v_xor_b32_e32 v9, -1, v11
	v_mov_b32_e32 v11, s15
	v_add_co_u32_e64 v6, s[0:1], s14, v6
	v_or_b32_e32 v8, 0x2800, v0
	v_addc_co_u32_e64 v7, s[0:1], v11, v7, s[0:1]
	v_add_co_u32_e64 v6, s[0:1], v6, v8
	v_addc_co_u32_e64 v7, s[0:1], 0, v7, s[0:1]
	v_mov_b32_e32 v8, s15
	v_add_co_u32_e64 v4, s[0:1], s14, v4
	global_store_byte v[6:7], v9, off
	v_or_b32_e32 v6, 0x2a00, v0
	v_addc_co_u32_e64 v5, s[0:1], v8, v5, s[0:1]
	v_add_co_u32_e64 v4, s[0:1], v4, v6
	v_xor_b32_e32 v7, -1, v21
	v_addc_co_u32_e64 v5, s[0:1], 0, v5, s[0:1]
	global_store_byte v[4:5], v7, off
	s_load_dword s0, s[4:5], 0x58
                                        ; implicit-def: $vgpr4_vgpr5
	s_waitcnt lgkmcnt(0)
	s_add_i32 s0, s0, -1
	s_cmp_eq_u32 s0, s6
	s_cselect_b64 s[0:1], -1, 0
	s_and_b64 s[2:3], vcc, s[0:1]
	s_and_saveexec_b64 s[0:1], s[2:3]
; %bb.152:
	v_add_co_u32_e32 v4, vcc, v2, v10
	v_addc_co_u32_e32 v5, vcc, 0, v3, vcc
	s_or_b64 s[18:19], s[18:19], exec
; %bb.153:
	s_or_b64 exec, exec, s[0:1]
.LBB1746_154:
	s_and_saveexec_b64 s[0:1], s[18:19]
	s_cbranch_execnz .LBB1746_156
; %bb.155:
	s_endpgm
.LBB1746_156:
	v_lshlrev_b32_e32 v2, 3, v0
	ds_read_b64 v[2:3], v2
	v_lshlrev_b64 v[0:1], 3, v[0:1]
	v_mov_b32_e32 v6, s11
	v_add_co_u32_e32 v0, vcc, s10, v0
	v_addc_co_u32_e32 v1, vcc, v6, v1, vcc
	s_waitcnt lgkmcnt(0)
	v_add_co_u32_e32 v2, vcc, v2, v4
	v_addc_co_u32_e32 v3, vcc, v3, v5, vcc
	global_store_dwordx2 v[0:1], v[2:3], off
	s_endpgm
	.section	.rodata,"a",@progbits
	.p2align	6, 0x0
	.amdhsa_kernel _ZN7rocprim17ROCPRIM_400000_NS6detail17trampoline_kernelINS0_14default_configENS1_35radix_sort_onesweep_config_selectorIhNS0_10empty_typeEEEZZNS1_29radix_sort_onesweep_iterationIS3_Lb1EPhS8_PS5_S9_mNS0_19identity_decomposerENS1_16block_id_wrapperIjLb0EEEEE10hipError_tT1_PNSt15iterator_traitsISE_E10value_typeET2_T3_PNSF_ISK_E10value_typeET4_T5_PSP_SQ_PNS1_23onesweep_lookback_stateEbbT6_jjT7_P12ihipStream_tbENKUlT_T0_SE_SJ_E_clIS8_S8_S9_S9_EEDaSX_SY_SE_SJ_EUlSX_E_NS1_11comp_targetILNS1_3genE4ELNS1_11target_archE910ELNS1_3gpuE8ELNS1_3repE0EEENS1_47radix_sort_onesweep_sort_config_static_selectorELNS0_4arch9wavefront6targetE1EEEvSE_
		.amdhsa_group_segment_fixed_size 16424
		.amdhsa_private_segment_fixed_size 0
		.amdhsa_kernarg_size 344
		.amdhsa_user_sgpr_count 6
		.amdhsa_user_sgpr_private_segment_buffer 1
		.amdhsa_user_sgpr_dispatch_ptr 0
		.amdhsa_user_sgpr_queue_ptr 0
		.amdhsa_user_sgpr_kernarg_segment_ptr 1
		.amdhsa_user_sgpr_dispatch_id 0
		.amdhsa_user_sgpr_flat_scratch_init 0
		.amdhsa_user_sgpr_kernarg_preload_length 0
		.amdhsa_user_sgpr_kernarg_preload_offset 0
		.amdhsa_user_sgpr_private_segment_size 0
		.amdhsa_uses_dynamic_stack 0
		.amdhsa_system_sgpr_private_segment_wavefront_offset 0
		.amdhsa_system_sgpr_workgroup_id_x 1
		.amdhsa_system_sgpr_workgroup_id_y 0
		.amdhsa_system_sgpr_workgroup_id_z 0
		.amdhsa_system_sgpr_workgroup_info 0
		.amdhsa_system_vgpr_workitem_id 0
		.amdhsa_next_free_vgpr 79
		.amdhsa_next_free_sgpr 30
		.amdhsa_accum_offset 80
		.amdhsa_reserve_vcc 1
		.amdhsa_reserve_flat_scratch 0
		.amdhsa_float_round_mode_32 0
		.amdhsa_float_round_mode_16_64 0
		.amdhsa_float_denorm_mode_32 3
		.amdhsa_float_denorm_mode_16_64 3
		.amdhsa_dx10_clamp 1
		.amdhsa_ieee_mode 1
		.amdhsa_fp16_overflow 0
		.amdhsa_tg_split 0
		.amdhsa_exception_fp_ieee_invalid_op 0
		.amdhsa_exception_fp_denorm_src 0
		.amdhsa_exception_fp_ieee_div_zero 0
		.amdhsa_exception_fp_ieee_overflow 0
		.amdhsa_exception_fp_ieee_underflow 0
		.amdhsa_exception_fp_ieee_inexact 0
		.amdhsa_exception_int_div_zero 0
	.end_amdhsa_kernel
	.section	.text._ZN7rocprim17ROCPRIM_400000_NS6detail17trampoline_kernelINS0_14default_configENS1_35radix_sort_onesweep_config_selectorIhNS0_10empty_typeEEEZZNS1_29radix_sort_onesweep_iterationIS3_Lb1EPhS8_PS5_S9_mNS0_19identity_decomposerENS1_16block_id_wrapperIjLb0EEEEE10hipError_tT1_PNSt15iterator_traitsISE_E10value_typeET2_T3_PNSF_ISK_E10value_typeET4_T5_PSP_SQ_PNS1_23onesweep_lookback_stateEbbT6_jjT7_P12ihipStream_tbENKUlT_T0_SE_SJ_E_clIS8_S8_S9_S9_EEDaSX_SY_SE_SJ_EUlSX_E_NS1_11comp_targetILNS1_3genE4ELNS1_11target_archE910ELNS1_3gpuE8ELNS1_3repE0EEENS1_47radix_sort_onesweep_sort_config_static_selectorELNS0_4arch9wavefront6targetE1EEEvSE_,"axG",@progbits,_ZN7rocprim17ROCPRIM_400000_NS6detail17trampoline_kernelINS0_14default_configENS1_35radix_sort_onesweep_config_selectorIhNS0_10empty_typeEEEZZNS1_29radix_sort_onesweep_iterationIS3_Lb1EPhS8_PS5_S9_mNS0_19identity_decomposerENS1_16block_id_wrapperIjLb0EEEEE10hipError_tT1_PNSt15iterator_traitsISE_E10value_typeET2_T3_PNSF_ISK_E10value_typeET4_T5_PSP_SQ_PNS1_23onesweep_lookback_stateEbbT6_jjT7_P12ihipStream_tbENKUlT_T0_SE_SJ_E_clIS8_S8_S9_S9_EEDaSX_SY_SE_SJ_EUlSX_E_NS1_11comp_targetILNS1_3genE4ELNS1_11target_archE910ELNS1_3gpuE8ELNS1_3repE0EEENS1_47radix_sort_onesweep_sort_config_static_selectorELNS0_4arch9wavefront6targetE1EEEvSE_,comdat
.Lfunc_end1746:
	.size	_ZN7rocprim17ROCPRIM_400000_NS6detail17trampoline_kernelINS0_14default_configENS1_35radix_sort_onesweep_config_selectorIhNS0_10empty_typeEEEZZNS1_29radix_sort_onesweep_iterationIS3_Lb1EPhS8_PS5_S9_mNS0_19identity_decomposerENS1_16block_id_wrapperIjLb0EEEEE10hipError_tT1_PNSt15iterator_traitsISE_E10value_typeET2_T3_PNSF_ISK_E10value_typeET4_T5_PSP_SQ_PNS1_23onesweep_lookback_stateEbbT6_jjT7_P12ihipStream_tbENKUlT_T0_SE_SJ_E_clIS8_S8_S9_S9_EEDaSX_SY_SE_SJ_EUlSX_E_NS1_11comp_targetILNS1_3genE4ELNS1_11target_archE910ELNS1_3gpuE8ELNS1_3repE0EEENS1_47radix_sort_onesweep_sort_config_static_selectorELNS0_4arch9wavefront6targetE1EEEvSE_, .Lfunc_end1746-_ZN7rocprim17ROCPRIM_400000_NS6detail17trampoline_kernelINS0_14default_configENS1_35radix_sort_onesweep_config_selectorIhNS0_10empty_typeEEEZZNS1_29radix_sort_onesweep_iterationIS3_Lb1EPhS8_PS5_S9_mNS0_19identity_decomposerENS1_16block_id_wrapperIjLb0EEEEE10hipError_tT1_PNSt15iterator_traitsISE_E10value_typeET2_T3_PNSF_ISK_E10value_typeET4_T5_PSP_SQ_PNS1_23onesweep_lookback_stateEbbT6_jjT7_P12ihipStream_tbENKUlT_T0_SE_SJ_E_clIS8_S8_S9_S9_EEDaSX_SY_SE_SJ_EUlSX_E_NS1_11comp_targetILNS1_3genE4ELNS1_11target_archE910ELNS1_3gpuE8ELNS1_3repE0EEENS1_47radix_sort_onesweep_sort_config_static_selectorELNS0_4arch9wavefront6targetE1EEEvSE_
                                        ; -- End function
	.section	.AMDGPU.csdata,"",@progbits
; Kernel info:
; codeLenInByte = 12328
; NumSgprs: 34
; NumVgprs: 79
; NumAgprs: 0
; TotalNumVgprs: 79
; ScratchSize: 0
; MemoryBound: 0
; FloatMode: 240
; IeeeMode: 1
; LDSByteSize: 16424 bytes/workgroup (compile time only)
; SGPRBlocks: 4
; VGPRBlocks: 9
; NumSGPRsForWavesPerEU: 34
; NumVGPRsForWavesPerEU: 79
; AccumOffset: 80
; Occupancy: 6
; WaveLimiterHint : 0
; COMPUTE_PGM_RSRC2:SCRATCH_EN: 0
; COMPUTE_PGM_RSRC2:USER_SGPR: 6
; COMPUTE_PGM_RSRC2:TRAP_HANDLER: 0
; COMPUTE_PGM_RSRC2:TGID_X_EN: 1
; COMPUTE_PGM_RSRC2:TGID_Y_EN: 0
; COMPUTE_PGM_RSRC2:TGID_Z_EN: 0
; COMPUTE_PGM_RSRC2:TIDIG_COMP_CNT: 0
; COMPUTE_PGM_RSRC3_GFX90A:ACCUM_OFFSET: 19
; COMPUTE_PGM_RSRC3_GFX90A:TG_SPLIT: 0
	.section	.text._ZN7rocprim17ROCPRIM_400000_NS6detail17trampoline_kernelINS0_14default_configENS1_35radix_sort_onesweep_config_selectorIhNS0_10empty_typeEEEZZNS1_29radix_sort_onesweep_iterationIS3_Lb1EPhS8_PS5_S9_mNS0_19identity_decomposerENS1_16block_id_wrapperIjLb0EEEEE10hipError_tT1_PNSt15iterator_traitsISE_E10value_typeET2_T3_PNSF_ISK_E10value_typeET4_T5_PSP_SQ_PNS1_23onesweep_lookback_stateEbbT6_jjT7_P12ihipStream_tbENKUlT_T0_SE_SJ_E_clIS8_S8_S9_S9_EEDaSX_SY_SE_SJ_EUlSX_E_NS1_11comp_targetILNS1_3genE3ELNS1_11target_archE908ELNS1_3gpuE7ELNS1_3repE0EEENS1_47radix_sort_onesweep_sort_config_static_selectorELNS0_4arch9wavefront6targetE1EEEvSE_,"axG",@progbits,_ZN7rocprim17ROCPRIM_400000_NS6detail17trampoline_kernelINS0_14default_configENS1_35radix_sort_onesweep_config_selectorIhNS0_10empty_typeEEEZZNS1_29radix_sort_onesweep_iterationIS3_Lb1EPhS8_PS5_S9_mNS0_19identity_decomposerENS1_16block_id_wrapperIjLb0EEEEE10hipError_tT1_PNSt15iterator_traitsISE_E10value_typeET2_T3_PNSF_ISK_E10value_typeET4_T5_PSP_SQ_PNS1_23onesweep_lookback_stateEbbT6_jjT7_P12ihipStream_tbENKUlT_T0_SE_SJ_E_clIS8_S8_S9_S9_EEDaSX_SY_SE_SJ_EUlSX_E_NS1_11comp_targetILNS1_3genE3ELNS1_11target_archE908ELNS1_3gpuE7ELNS1_3repE0EEENS1_47radix_sort_onesweep_sort_config_static_selectorELNS0_4arch9wavefront6targetE1EEEvSE_,comdat
	.protected	_ZN7rocprim17ROCPRIM_400000_NS6detail17trampoline_kernelINS0_14default_configENS1_35radix_sort_onesweep_config_selectorIhNS0_10empty_typeEEEZZNS1_29radix_sort_onesweep_iterationIS3_Lb1EPhS8_PS5_S9_mNS0_19identity_decomposerENS1_16block_id_wrapperIjLb0EEEEE10hipError_tT1_PNSt15iterator_traitsISE_E10value_typeET2_T3_PNSF_ISK_E10value_typeET4_T5_PSP_SQ_PNS1_23onesweep_lookback_stateEbbT6_jjT7_P12ihipStream_tbENKUlT_T0_SE_SJ_E_clIS8_S8_S9_S9_EEDaSX_SY_SE_SJ_EUlSX_E_NS1_11comp_targetILNS1_3genE3ELNS1_11target_archE908ELNS1_3gpuE7ELNS1_3repE0EEENS1_47radix_sort_onesweep_sort_config_static_selectorELNS0_4arch9wavefront6targetE1EEEvSE_ ; -- Begin function _ZN7rocprim17ROCPRIM_400000_NS6detail17trampoline_kernelINS0_14default_configENS1_35radix_sort_onesweep_config_selectorIhNS0_10empty_typeEEEZZNS1_29radix_sort_onesweep_iterationIS3_Lb1EPhS8_PS5_S9_mNS0_19identity_decomposerENS1_16block_id_wrapperIjLb0EEEEE10hipError_tT1_PNSt15iterator_traitsISE_E10value_typeET2_T3_PNSF_ISK_E10value_typeET4_T5_PSP_SQ_PNS1_23onesweep_lookback_stateEbbT6_jjT7_P12ihipStream_tbENKUlT_T0_SE_SJ_E_clIS8_S8_S9_S9_EEDaSX_SY_SE_SJ_EUlSX_E_NS1_11comp_targetILNS1_3genE3ELNS1_11target_archE908ELNS1_3gpuE7ELNS1_3repE0EEENS1_47radix_sort_onesweep_sort_config_static_selectorELNS0_4arch9wavefront6targetE1EEEvSE_
	.globl	_ZN7rocprim17ROCPRIM_400000_NS6detail17trampoline_kernelINS0_14default_configENS1_35radix_sort_onesweep_config_selectorIhNS0_10empty_typeEEEZZNS1_29radix_sort_onesweep_iterationIS3_Lb1EPhS8_PS5_S9_mNS0_19identity_decomposerENS1_16block_id_wrapperIjLb0EEEEE10hipError_tT1_PNSt15iterator_traitsISE_E10value_typeET2_T3_PNSF_ISK_E10value_typeET4_T5_PSP_SQ_PNS1_23onesweep_lookback_stateEbbT6_jjT7_P12ihipStream_tbENKUlT_T0_SE_SJ_E_clIS8_S8_S9_S9_EEDaSX_SY_SE_SJ_EUlSX_E_NS1_11comp_targetILNS1_3genE3ELNS1_11target_archE908ELNS1_3gpuE7ELNS1_3repE0EEENS1_47radix_sort_onesweep_sort_config_static_selectorELNS0_4arch9wavefront6targetE1EEEvSE_
	.p2align	8
	.type	_ZN7rocprim17ROCPRIM_400000_NS6detail17trampoline_kernelINS0_14default_configENS1_35radix_sort_onesweep_config_selectorIhNS0_10empty_typeEEEZZNS1_29radix_sort_onesweep_iterationIS3_Lb1EPhS8_PS5_S9_mNS0_19identity_decomposerENS1_16block_id_wrapperIjLb0EEEEE10hipError_tT1_PNSt15iterator_traitsISE_E10value_typeET2_T3_PNSF_ISK_E10value_typeET4_T5_PSP_SQ_PNS1_23onesweep_lookback_stateEbbT6_jjT7_P12ihipStream_tbENKUlT_T0_SE_SJ_E_clIS8_S8_S9_S9_EEDaSX_SY_SE_SJ_EUlSX_E_NS1_11comp_targetILNS1_3genE3ELNS1_11target_archE908ELNS1_3gpuE7ELNS1_3repE0EEENS1_47radix_sort_onesweep_sort_config_static_selectorELNS0_4arch9wavefront6targetE1EEEvSE_,@function
_ZN7rocprim17ROCPRIM_400000_NS6detail17trampoline_kernelINS0_14default_configENS1_35radix_sort_onesweep_config_selectorIhNS0_10empty_typeEEEZZNS1_29radix_sort_onesweep_iterationIS3_Lb1EPhS8_PS5_S9_mNS0_19identity_decomposerENS1_16block_id_wrapperIjLb0EEEEE10hipError_tT1_PNSt15iterator_traitsISE_E10value_typeET2_T3_PNSF_ISK_E10value_typeET4_T5_PSP_SQ_PNS1_23onesweep_lookback_stateEbbT6_jjT7_P12ihipStream_tbENKUlT_T0_SE_SJ_E_clIS8_S8_S9_S9_EEDaSX_SY_SE_SJ_EUlSX_E_NS1_11comp_targetILNS1_3genE3ELNS1_11target_archE908ELNS1_3gpuE7ELNS1_3repE0EEENS1_47radix_sort_onesweep_sort_config_static_selectorELNS0_4arch9wavefront6targetE1EEEvSE_: ; @_ZN7rocprim17ROCPRIM_400000_NS6detail17trampoline_kernelINS0_14default_configENS1_35radix_sort_onesweep_config_selectorIhNS0_10empty_typeEEEZZNS1_29radix_sort_onesweep_iterationIS3_Lb1EPhS8_PS5_S9_mNS0_19identity_decomposerENS1_16block_id_wrapperIjLb0EEEEE10hipError_tT1_PNSt15iterator_traitsISE_E10value_typeET2_T3_PNSF_ISK_E10value_typeET4_T5_PSP_SQ_PNS1_23onesweep_lookback_stateEbbT6_jjT7_P12ihipStream_tbENKUlT_T0_SE_SJ_E_clIS8_S8_S9_S9_EEDaSX_SY_SE_SJ_EUlSX_E_NS1_11comp_targetILNS1_3genE3ELNS1_11target_archE908ELNS1_3gpuE7ELNS1_3repE0EEENS1_47radix_sort_onesweep_sort_config_static_selectorELNS0_4arch9wavefront6targetE1EEEvSE_
; %bb.0:
	.section	.rodata,"a",@progbits
	.p2align	6, 0x0
	.amdhsa_kernel _ZN7rocprim17ROCPRIM_400000_NS6detail17trampoline_kernelINS0_14default_configENS1_35radix_sort_onesweep_config_selectorIhNS0_10empty_typeEEEZZNS1_29radix_sort_onesweep_iterationIS3_Lb1EPhS8_PS5_S9_mNS0_19identity_decomposerENS1_16block_id_wrapperIjLb0EEEEE10hipError_tT1_PNSt15iterator_traitsISE_E10value_typeET2_T3_PNSF_ISK_E10value_typeET4_T5_PSP_SQ_PNS1_23onesweep_lookback_stateEbbT6_jjT7_P12ihipStream_tbENKUlT_T0_SE_SJ_E_clIS8_S8_S9_S9_EEDaSX_SY_SE_SJ_EUlSX_E_NS1_11comp_targetILNS1_3genE3ELNS1_11target_archE908ELNS1_3gpuE7ELNS1_3repE0EEENS1_47radix_sort_onesweep_sort_config_static_selectorELNS0_4arch9wavefront6targetE1EEEvSE_
		.amdhsa_group_segment_fixed_size 0
		.amdhsa_private_segment_fixed_size 0
		.amdhsa_kernarg_size 88
		.amdhsa_user_sgpr_count 6
		.amdhsa_user_sgpr_private_segment_buffer 1
		.amdhsa_user_sgpr_dispatch_ptr 0
		.amdhsa_user_sgpr_queue_ptr 0
		.amdhsa_user_sgpr_kernarg_segment_ptr 1
		.amdhsa_user_sgpr_dispatch_id 0
		.amdhsa_user_sgpr_flat_scratch_init 0
		.amdhsa_user_sgpr_kernarg_preload_length 0
		.amdhsa_user_sgpr_kernarg_preload_offset 0
		.amdhsa_user_sgpr_private_segment_size 0
		.amdhsa_uses_dynamic_stack 0
		.amdhsa_system_sgpr_private_segment_wavefront_offset 0
		.amdhsa_system_sgpr_workgroup_id_x 1
		.amdhsa_system_sgpr_workgroup_id_y 0
		.amdhsa_system_sgpr_workgroup_id_z 0
		.amdhsa_system_sgpr_workgroup_info 0
		.amdhsa_system_vgpr_workitem_id 0
		.amdhsa_next_free_vgpr 1
		.amdhsa_next_free_sgpr 0
		.amdhsa_accum_offset 4
		.amdhsa_reserve_vcc 0
		.amdhsa_reserve_flat_scratch 0
		.amdhsa_float_round_mode_32 0
		.amdhsa_float_round_mode_16_64 0
		.amdhsa_float_denorm_mode_32 3
		.amdhsa_float_denorm_mode_16_64 3
		.amdhsa_dx10_clamp 1
		.amdhsa_ieee_mode 1
		.amdhsa_fp16_overflow 0
		.amdhsa_tg_split 0
		.amdhsa_exception_fp_ieee_invalid_op 0
		.amdhsa_exception_fp_denorm_src 0
		.amdhsa_exception_fp_ieee_div_zero 0
		.amdhsa_exception_fp_ieee_overflow 0
		.amdhsa_exception_fp_ieee_underflow 0
		.amdhsa_exception_fp_ieee_inexact 0
		.amdhsa_exception_int_div_zero 0
	.end_amdhsa_kernel
	.section	.text._ZN7rocprim17ROCPRIM_400000_NS6detail17trampoline_kernelINS0_14default_configENS1_35radix_sort_onesweep_config_selectorIhNS0_10empty_typeEEEZZNS1_29radix_sort_onesweep_iterationIS3_Lb1EPhS8_PS5_S9_mNS0_19identity_decomposerENS1_16block_id_wrapperIjLb0EEEEE10hipError_tT1_PNSt15iterator_traitsISE_E10value_typeET2_T3_PNSF_ISK_E10value_typeET4_T5_PSP_SQ_PNS1_23onesweep_lookback_stateEbbT6_jjT7_P12ihipStream_tbENKUlT_T0_SE_SJ_E_clIS8_S8_S9_S9_EEDaSX_SY_SE_SJ_EUlSX_E_NS1_11comp_targetILNS1_3genE3ELNS1_11target_archE908ELNS1_3gpuE7ELNS1_3repE0EEENS1_47radix_sort_onesweep_sort_config_static_selectorELNS0_4arch9wavefront6targetE1EEEvSE_,"axG",@progbits,_ZN7rocprim17ROCPRIM_400000_NS6detail17trampoline_kernelINS0_14default_configENS1_35radix_sort_onesweep_config_selectorIhNS0_10empty_typeEEEZZNS1_29radix_sort_onesweep_iterationIS3_Lb1EPhS8_PS5_S9_mNS0_19identity_decomposerENS1_16block_id_wrapperIjLb0EEEEE10hipError_tT1_PNSt15iterator_traitsISE_E10value_typeET2_T3_PNSF_ISK_E10value_typeET4_T5_PSP_SQ_PNS1_23onesweep_lookback_stateEbbT6_jjT7_P12ihipStream_tbENKUlT_T0_SE_SJ_E_clIS8_S8_S9_S9_EEDaSX_SY_SE_SJ_EUlSX_E_NS1_11comp_targetILNS1_3genE3ELNS1_11target_archE908ELNS1_3gpuE7ELNS1_3repE0EEENS1_47radix_sort_onesweep_sort_config_static_selectorELNS0_4arch9wavefront6targetE1EEEvSE_,comdat
.Lfunc_end1747:
	.size	_ZN7rocprim17ROCPRIM_400000_NS6detail17trampoline_kernelINS0_14default_configENS1_35radix_sort_onesweep_config_selectorIhNS0_10empty_typeEEEZZNS1_29radix_sort_onesweep_iterationIS3_Lb1EPhS8_PS5_S9_mNS0_19identity_decomposerENS1_16block_id_wrapperIjLb0EEEEE10hipError_tT1_PNSt15iterator_traitsISE_E10value_typeET2_T3_PNSF_ISK_E10value_typeET4_T5_PSP_SQ_PNS1_23onesweep_lookback_stateEbbT6_jjT7_P12ihipStream_tbENKUlT_T0_SE_SJ_E_clIS8_S8_S9_S9_EEDaSX_SY_SE_SJ_EUlSX_E_NS1_11comp_targetILNS1_3genE3ELNS1_11target_archE908ELNS1_3gpuE7ELNS1_3repE0EEENS1_47radix_sort_onesweep_sort_config_static_selectorELNS0_4arch9wavefront6targetE1EEEvSE_, .Lfunc_end1747-_ZN7rocprim17ROCPRIM_400000_NS6detail17trampoline_kernelINS0_14default_configENS1_35radix_sort_onesweep_config_selectorIhNS0_10empty_typeEEEZZNS1_29radix_sort_onesweep_iterationIS3_Lb1EPhS8_PS5_S9_mNS0_19identity_decomposerENS1_16block_id_wrapperIjLb0EEEEE10hipError_tT1_PNSt15iterator_traitsISE_E10value_typeET2_T3_PNSF_ISK_E10value_typeET4_T5_PSP_SQ_PNS1_23onesweep_lookback_stateEbbT6_jjT7_P12ihipStream_tbENKUlT_T0_SE_SJ_E_clIS8_S8_S9_S9_EEDaSX_SY_SE_SJ_EUlSX_E_NS1_11comp_targetILNS1_3genE3ELNS1_11target_archE908ELNS1_3gpuE7ELNS1_3repE0EEENS1_47radix_sort_onesweep_sort_config_static_selectorELNS0_4arch9wavefront6targetE1EEEvSE_
                                        ; -- End function
	.section	.AMDGPU.csdata,"",@progbits
; Kernel info:
; codeLenInByte = 0
; NumSgprs: 4
; NumVgprs: 0
; NumAgprs: 0
; TotalNumVgprs: 0
; ScratchSize: 0
; MemoryBound: 0
; FloatMode: 240
; IeeeMode: 1
; LDSByteSize: 0 bytes/workgroup (compile time only)
; SGPRBlocks: 0
; VGPRBlocks: 0
; NumSGPRsForWavesPerEU: 4
; NumVGPRsForWavesPerEU: 1
; AccumOffset: 4
; Occupancy: 8
; WaveLimiterHint : 0
; COMPUTE_PGM_RSRC2:SCRATCH_EN: 0
; COMPUTE_PGM_RSRC2:USER_SGPR: 6
; COMPUTE_PGM_RSRC2:TRAP_HANDLER: 0
; COMPUTE_PGM_RSRC2:TGID_X_EN: 1
; COMPUTE_PGM_RSRC2:TGID_Y_EN: 0
; COMPUTE_PGM_RSRC2:TGID_Z_EN: 0
; COMPUTE_PGM_RSRC2:TIDIG_COMP_CNT: 0
; COMPUTE_PGM_RSRC3_GFX90A:ACCUM_OFFSET: 0
; COMPUTE_PGM_RSRC3_GFX90A:TG_SPLIT: 0
	.section	.text._ZN7rocprim17ROCPRIM_400000_NS6detail17trampoline_kernelINS0_14default_configENS1_35radix_sort_onesweep_config_selectorIhNS0_10empty_typeEEEZZNS1_29radix_sort_onesweep_iterationIS3_Lb1EPhS8_PS5_S9_mNS0_19identity_decomposerENS1_16block_id_wrapperIjLb0EEEEE10hipError_tT1_PNSt15iterator_traitsISE_E10value_typeET2_T3_PNSF_ISK_E10value_typeET4_T5_PSP_SQ_PNS1_23onesweep_lookback_stateEbbT6_jjT7_P12ihipStream_tbENKUlT_T0_SE_SJ_E_clIS8_S8_S9_S9_EEDaSX_SY_SE_SJ_EUlSX_E_NS1_11comp_targetILNS1_3genE10ELNS1_11target_archE1201ELNS1_3gpuE5ELNS1_3repE0EEENS1_47radix_sort_onesweep_sort_config_static_selectorELNS0_4arch9wavefront6targetE1EEEvSE_,"axG",@progbits,_ZN7rocprim17ROCPRIM_400000_NS6detail17trampoline_kernelINS0_14default_configENS1_35radix_sort_onesweep_config_selectorIhNS0_10empty_typeEEEZZNS1_29radix_sort_onesweep_iterationIS3_Lb1EPhS8_PS5_S9_mNS0_19identity_decomposerENS1_16block_id_wrapperIjLb0EEEEE10hipError_tT1_PNSt15iterator_traitsISE_E10value_typeET2_T3_PNSF_ISK_E10value_typeET4_T5_PSP_SQ_PNS1_23onesweep_lookback_stateEbbT6_jjT7_P12ihipStream_tbENKUlT_T0_SE_SJ_E_clIS8_S8_S9_S9_EEDaSX_SY_SE_SJ_EUlSX_E_NS1_11comp_targetILNS1_3genE10ELNS1_11target_archE1201ELNS1_3gpuE5ELNS1_3repE0EEENS1_47radix_sort_onesweep_sort_config_static_selectorELNS0_4arch9wavefront6targetE1EEEvSE_,comdat
	.protected	_ZN7rocprim17ROCPRIM_400000_NS6detail17trampoline_kernelINS0_14default_configENS1_35radix_sort_onesweep_config_selectorIhNS0_10empty_typeEEEZZNS1_29radix_sort_onesweep_iterationIS3_Lb1EPhS8_PS5_S9_mNS0_19identity_decomposerENS1_16block_id_wrapperIjLb0EEEEE10hipError_tT1_PNSt15iterator_traitsISE_E10value_typeET2_T3_PNSF_ISK_E10value_typeET4_T5_PSP_SQ_PNS1_23onesweep_lookback_stateEbbT6_jjT7_P12ihipStream_tbENKUlT_T0_SE_SJ_E_clIS8_S8_S9_S9_EEDaSX_SY_SE_SJ_EUlSX_E_NS1_11comp_targetILNS1_3genE10ELNS1_11target_archE1201ELNS1_3gpuE5ELNS1_3repE0EEENS1_47radix_sort_onesweep_sort_config_static_selectorELNS0_4arch9wavefront6targetE1EEEvSE_ ; -- Begin function _ZN7rocprim17ROCPRIM_400000_NS6detail17trampoline_kernelINS0_14default_configENS1_35radix_sort_onesweep_config_selectorIhNS0_10empty_typeEEEZZNS1_29radix_sort_onesweep_iterationIS3_Lb1EPhS8_PS5_S9_mNS0_19identity_decomposerENS1_16block_id_wrapperIjLb0EEEEE10hipError_tT1_PNSt15iterator_traitsISE_E10value_typeET2_T3_PNSF_ISK_E10value_typeET4_T5_PSP_SQ_PNS1_23onesweep_lookback_stateEbbT6_jjT7_P12ihipStream_tbENKUlT_T0_SE_SJ_E_clIS8_S8_S9_S9_EEDaSX_SY_SE_SJ_EUlSX_E_NS1_11comp_targetILNS1_3genE10ELNS1_11target_archE1201ELNS1_3gpuE5ELNS1_3repE0EEENS1_47radix_sort_onesweep_sort_config_static_selectorELNS0_4arch9wavefront6targetE1EEEvSE_
	.globl	_ZN7rocprim17ROCPRIM_400000_NS6detail17trampoline_kernelINS0_14default_configENS1_35radix_sort_onesweep_config_selectorIhNS0_10empty_typeEEEZZNS1_29radix_sort_onesweep_iterationIS3_Lb1EPhS8_PS5_S9_mNS0_19identity_decomposerENS1_16block_id_wrapperIjLb0EEEEE10hipError_tT1_PNSt15iterator_traitsISE_E10value_typeET2_T3_PNSF_ISK_E10value_typeET4_T5_PSP_SQ_PNS1_23onesweep_lookback_stateEbbT6_jjT7_P12ihipStream_tbENKUlT_T0_SE_SJ_E_clIS8_S8_S9_S9_EEDaSX_SY_SE_SJ_EUlSX_E_NS1_11comp_targetILNS1_3genE10ELNS1_11target_archE1201ELNS1_3gpuE5ELNS1_3repE0EEENS1_47radix_sort_onesweep_sort_config_static_selectorELNS0_4arch9wavefront6targetE1EEEvSE_
	.p2align	8
	.type	_ZN7rocprim17ROCPRIM_400000_NS6detail17trampoline_kernelINS0_14default_configENS1_35radix_sort_onesweep_config_selectorIhNS0_10empty_typeEEEZZNS1_29radix_sort_onesweep_iterationIS3_Lb1EPhS8_PS5_S9_mNS0_19identity_decomposerENS1_16block_id_wrapperIjLb0EEEEE10hipError_tT1_PNSt15iterator_traitsISE_E10value_typeET2_T3_PNSF_ISK_E10value_typeET4_T5_PSP_SQ_PNS1_23onesweep_lookback_stateEbbT6_jjT7_P12ihipStream_tbENKUlT_T0_SE_SJ_E_clIS8_S8_S9_S9_EEDaSX_SY_SE_SJ_EUlSX_E_NS1_11comp_targetILNS1_3genE10ELNS1_11target_archE1201ELNS1_3gpuE5ELNS1_3repE0EEENS1_47radix_sort_onesweep_sort_config_static_selectorELNS0_4arch9wavefront6targetE1EEEvSE_,@function
_ZN7rocprim17ROCPRIM_400000_NS6detail17trampoline_kernelINS0_14default_configENS1_35radix_sort_onesweep_config_selectorIhNS0_10empty_typeEEEZZNS1_29radix_sort_onesweep_iterationIS3_Lb1EPhS8_PS5_S9_mNS0_19identity_decomposerENS1_16block_id_wrapperIjLb0EEEEE10hipError_tT1_PNSt15iterator_traitsISE_E10value_typeET2_T3_PNSF_ISK_E10value_typeET4_T5_PSP_SQ_PNS1_23onesweep_lookback_stateEbbT6_jjT7_P12ihipStream_tbENKUlT_T0_SE_SJ_E_clIS8_S8_S9_S9_EEDaSX_SY_SE_SJ_EUlSX_E_NS1_11comp_targetILNS1_3genE10ELNS1_11target_archE1201ELNS1_3gpuE5ELNS1_3repE0EEENS1_47radix_sort_onesweep_sort_config_static_selectorELNS0_4arch9wavefront6targetE1EEEvSE_: ; @_ZN7rocprim17ROCPRIM_400000_NS6detail17trampoline_kernelINS0_14default_configENS1_35radix_sort_onesweep_config_selectorIhNS0_10empty_typeEEEZZNS1_29radix_sort_onesweep_iterationIS3_Lb1EPhS8_PS5_S9_mNS0_19identity_decomposerENS1_16block_id_wrapperIjLb0EEEEE10hipError_tT1_PNSt15iterator_traitsISE_E10value_typeET2_T3_PNSF_ISK_E10value_typeET4_T5_PSP_SQ_PNS1_23onesweep_lookback_stateEbbT6_jjT7_P12ihipStream_tbENKUlT_T0_SE_SJ_E_clIS8_S8_S9_S9_EEDaSX_SY_SE_SJ_EUlSX_E_NS1_11comp_targetILNS1_3genE10ELNS1_11target_archE1201ELNS1_3gpuE5ELNS1_3repE0EEENS1_47radix_sort_onesweep_sort_config_static_selectorELNS0_4arch9wavefront6targetE1EEEvSE_
; %bb.0:
	.section	.rodata,"a",@progbits
	.p2align	6, 0x0
	.amdhsa_kernel _ZN7rocprim17ROCPRIM_400000_NS6detail17trampoline_kernelINS0_14default_configENS1_35radix_sort_onesweep_config_selectorIhNS0_10empty_typeEEEZZNS1_29radix_sort_onesweep_iterationIS3_Lb1EPhS8_PS5_S9_mNS0_19identity_decomposerENS1_16block_id_wrapperIjLb0EEEEE10hipError_tT1_PNSt15iterator_traitsISE_E10value_typeET2_T3_PNSF_ISK_E10value_typeET4_T5_PSP_SQ_PNS1_23onesweep_lookback_stateEbbT6_jjT7_P12ihipStream_tbENKUlT_T0_SE_SJ_E_clIS8_S8_S9_S9_EEDaSX_SY_SE_SJ_EUlSX_E_NS1_11comp_targetILNS1_3genE10ELNS1_11target_archE1201ELNS1_3gpuE5ELNS1_3repE0EEENS1_47radix_sort_onesweep_sort_config_static_selectorELNS0_4arch9wavefront6targetE1EEEvSE_
		.amdhsa_group_segment_fixed_size 0
		.amdhsa_private_segment_fixed_size 0
		.amdhsa_kernarg_size 88
		.amdhsa_user_sgpr_count 6
		.amdhsa_user_sgpr_private_segment_buffer 1
		.amdhsa_user_sgpr_dispatch_ptr 0
		.amdhsa_user_sgpr_queue_ptr 0
		.amdhsa_user_sgpr_kernarg_segment_ptr 1
		.amdhsa_user_sgpr_dispatch_id 0
		.amdhsa_user_sgpr_flat_scratch_init 0
		.amdhsa_user_sgpr_kernarg_preload_length 0
		.amdhsa_user_sgpr_kernarg_preload_offset 0
		.amdhsa_user_sgpr_private_segment_size 0
		.amdhsa_uses_dynamic_stack 0
		.amdhsa_system_sgpr_private_segment_wavefront_offset 0
		.amdhsa_system_sgpr_workgroup_id_x 1
		.amdhsa_system_sgpr_workgroup_id_y 0
		.amdhsa_system_sgpr_workgroup_id_z 0
		.amdhsa_system_sgpr_workgroup_info 0
		.amdhsa_system_vgpr_workitem_id 0
		.amdhsa_next_free_vgpr 1
		.amdhsa_next_free_sgpr 0
		.amdhsa_accum_offset 4
		.amdhsa_reserve_vcc 0
		.amdhsa_reserve_flat_scratch 0
		.amdhsa_float_round_mode_32 0
		.amdhsa_float_round_mode_16_64 0
		.amdhsa_float_denorm_mode_32 3
		.amdhsa_float_denorm_mode_16_64 3
		.amdhsa_dx10_clamp 1
		.amdhsa_ieee_mode 1
		.amdhsa_fp16_overflow 0
		.amdhsa_tg_split 0
		.amdhsa_exception_fp_ieee_invalid_op 0
		.amdhsa_exception_fp_denorm_src 0
		.amdhsa_exception_fp_ieee_div_zero 0
		.amdhsa_exception_fp_ieee_overflow 0
		.amdhsa_exception_fp_ieee_underflow 0
		.amdhsa_exception_fp_ieee_inexact 0
		.amdhsa_exception_int_div_zero 0
	.end_amdhsa_kernel
	.section	.text._ZN7rocprim17ROCPRIM_400000_NS6detail17trampoline_kernelINS0_14default_configENS1_35radix_sort_onesweep_config_selectorIhNS0_10empty_typeEEEZZNS1_29radix_sort_onesweep_iterationIS3_Lb1EPhS8_PS5_S9_mNS0_19identity_decomposerENS1_16block_id_wrapperIjLb0EEEEE10hipError_tT1_PNSt15iterator_traitsISE_E10value_typeET2_T3_PNSF_ISK_E10value_typeET4_T5_PSP_SQ_PNS1_23onesweep_lookback_stateEbbT6_jjT7_P12ihipStream_tbENKUlT_T0_SE_SJ_E_clIS8_S8_S9_S9_EEDaSX_SY_SE_SJ_EUlSX_E_NS1_11comp_targetILNS1_3genE10ELNS1_11target_archE1201ELNS1_3gpuE5ELNS1_3repE0EEENS1_47radix_sort_onesweep_sort_config_static_selectorELNS0_4arch9wavefront6targetE1EEEvSE_,"axG",@progbits,_ZN7rocprim17ROCPRIM_400000_NS6detail17trampoline_kernelINS0_14default_configENS1_35radix_sort_onesweep_config_selectorIhNS0_10empty_typeEEEZZNS1_29radix_sort_onesweep_iterationIS3_Lb1EPhS8_PS5_S9_mNS0_19identity_decomposerENS1_16block_id_wrapperIjLb0EEEEE10hipError_tT1_PNSt15iterator_traitsISE_E10value_typeET2_T3_PNSF_ISK_E10value_typeET4_T5_PSP_SQ_PNS1_23onesweep_lookback_stateEbbT6_jjT7_P12ihipStream_tbENKUlT_T0_SE_SJ_E_clIS8_S8_S9_S9_EEDaSX_SY_SE_SJ_EUlSX_E_NS1_11comp_targetILNS1_3genE10ELNS1_11target_archE1201ELNS1_3gpuE5ELNS1_3repE0EEENS1_47radix_sort_onesweep_sort_config_static_selectorELNS0_4arch9wavefront6targetE1EEEvSE_,comdat
.Lfunc_end1748:
	.size	_ZN7rocprim17ROCPRIM_400000_NS6detail17trampoline_kernelINS0_14default_configENS1_35radix_sort_onesweep_config_selectorIhNS0_10empty_typeEEEZZNS1_29radix_sort_onesweep_iterationIS3_Lb1EPhS8_PS5_S9_mNS0_19identity_decomposerENS1_16block_id_wrapperIjLb0EEEEE10hipError_tT1_PNSt15iterator_traitsISE_E10value_typeET2_T3_PNSF_ISK_E10value_typeET4_T5_PSP_SQ_PNS1_23onesweep_lookback_stateEbbT6_jjT7_P12ihipStream_tbENKUlT_T0_SE_SJ_E_clIS8_S8_S9_S9_EEDaSX_SY_SE_SJ_EUlSX_E_NS1_11comp_targetILNS1_3genE10ELNS1_11target_archE1201ELNS1_3gpuE5ELNS1_3repE0EEENS1_47radix_sort_onesweep_sort_config_static_selectorELNS0_4arch9wavefront6targetE1EEEvSE_, .Lfunc_end1748-_ZN7rocprim17ROCPRIM_400000_NS6detail17trampoline_kernelINS0_14default_configENS1_35radix_sort_onesweep_config_selectorIhNS0_10empty_typeEEEZZNS1_29radix_sort_onesweep_iterationIS3_Lb1EPhS8_PS5_S9_mNS0_19identity_decomposerENS1_16block_id_wrapperIjLb0EEEEE10hipError_tT1_PNSt15iterator_traitsISE_E10value_typeET2_T3_PNSF_ISK_E10value_typeET4_T5_PSP_SQ_PNS1_23onesweep_lookback_stateEbbT6_jjT7_P12ihipStream_tbENKUlT_T0_SE_SJ_E_clIS8_S8_S9_S9_EEDaSX_SY_SE_SJ_EUlSX_E_NS1_11comp_targetILNS1_3genE10ELNS1_11target_archE1201ELNS1_3gpuE5ELNS1_3repE0EEENS1_47radix_sort_onesweep_sort_config_static_selectorELNS0_4arch9wavefront6targetE1EEEvSE_
                                        ; -- End function
	.section	.AMDGPU.csdata,"",@progbits
; Kernel info:
; codeLenInByte = 0
; NumSgprs: 4
; NumVgprs: 0
; NumAgprs: 0
; TotalNumVgprs: 0
; ScratchSize: 0
; MemoryBound: 0
; FloatMode: 240
; IeeeMode: 1
; LDSByteSize: 0 bytes/workgroup (compile time only)
; SGPRBlocks: 0
; VGPRBlocks: 0
; NumSGPRsForWavesPerEU: 4
; NumVGPRsForWavesPerEU: 1
; AccumOffset: 4
; Occupancy: 8
; WaveLimiterHint : 0
; COMPUTE_PGM_RSRC2:SCRATCH_EN: 0
; COMPUTE_PGM_RSRC2:USER_SGPR: 6
; COMPUTE_PGM_RSRC2:TRAP_HANDLER: 0
; COMPUTE_PGM_RSRC2:TGID_X_EN: 1
; COMPUTE_PGM_RSRC2:TGID_Y_EN: 0
; COMPUTE_PGM_RSRC2:TGID_Z_EN: 0
; COMPUTE_PGM_RSRC2:TIDIG_COMP_CNT: 0
; COMPUTE_PGM_RSRC3_GFX90A:ACCUM_OFFSET: 0
; COMPUTE_PGM_RSRC3_GFX90A:TG_SPLIT: 0
	.section	.text._ZN7rocprim17ROCPRIM_400000_NS6detail17trampoline_kernelINS0_14default_configENS1_35radix_sort_onesweep_config_selectorIhNS0_10empty_typeEEEZZNS1_29radix_sort_onesweep_iterationIS3_Lb1EPhS8_PS5_S9_mNS0_19identity_decomposerENS1_16block_id_wrapperIjLb0EEEEE10hipError_tT1_PNSt15iterator_traitsISE_E10value_typeET2_T3_PNSF_ISK_E10value_typeET4_T5_PSP_SQ_PNS1_23onesweep_lookback_stateEbbT6_jjT7_P12ihipStream_tbENKUlT_T0_SE_SJ_E_clIS8_S8_S9_S9_EEDaSX_SY_SE_SJ_EUlSX_E_NS1_11comp_targetILNS1_3genE9ELNS1_11target_archE1100ELNS1_3gpuE3ELNS1_3repE0EEENS1_47radix_sort_onesweep_sort_config_static_selectorELNS0_4arch9wavefront6targetE1EEEvSE_,"axG",@progbits,_ZN7rocprim17ROCPRIM_400000_NS6detail17trampoline_kernelINS0_14default_configENS1_35radix_sort_onesweep_config_selectorIhNS0_10empty_typeEEEZZNS1_29radix_sort_onesweep_iterationIS3_Lb1EPhS8_PS5_S9_mNS0_19identity_decomposerENS1_16block_id_wrapperIjLb0EEEEE10hipError_tT1_PNSt15iterator_traitsISE_E10value_typeET2_T3_PNSF_ISK_E10value_typeET4_T5_PSP_SQ_PNS1_23onesweep_lookback_stateEbbT6_jjT7_P12ihipStream_tbENKUlT_T0_SE_SJ_E_clIS8_S8_S9_S9_EEDaSX_SY_SE_SJ_EUlSX_E_NS1_11comp_targetILNS1_3genE9ELNS1_11target_archE1100ELNS1_3gpuE3ELNS1_3repE0EEENS1_47radix_sort_onesweep_sort_config_static_selectorELNS0_4arch9wavefront6targetE1EEEvSE_,comdat
	.protected	_ZN7rocprim17ROCPRIM_400000_NS6detail17trampoline_kernelINS0_14default_configENS1_35radix_sort_onesweep_config_selectorIhNS0_10empty_typeEEEZZNS1_29radix_sort_onesweep_iterationIS3_Lb1EPhS8_PS5_S9_mNS0_19identity_decomposerENS1_16block_id_wrapperIjLb0EEEEE10hipError_tT1_PNSt15iterator_traitsISE_E10value_typeET2_T3_PNSF_ISK_E10value_typeET4_T5_PSP_SQ_PNS1_23onesweep_lookback_stateEbbT6_jjT7_P12ihipStream_tbENKUlT_T0_SE_SJ_E_clIS8_S8_S9_S9_EEDaSX_SY_SE_SJ_EUlSX_E_NS1_11comp_targetILNS1_3genE9ELNS1_11target_archE1100ELNS1_3gpuE3ELNS1_3repE0EEENS1_47radix_sort_onesweep_sort_config_static_selectorELNS0_4arch9wavefront6targetE1EEEvSE_ ; -- Begin function _ZN7rocprim17ROCPRIM_400000_NS6detail17trampoline_kernelINS0_14default_configENS1_35radix_sort_onesweep_config_selectorIhNS0_10empty_typeEEEZZNS1_29radix_sort_onesweep_iterationIS3_Lb1EPhS8_PS5_S9_mNS0_19identity_decomposerENS1_16block_id_wrapperIjLb0EEEEE10hipError_tT1_PNSt15iterator_traitsISE_E10value_typeET2_T3_PNSF_ISK_E10value_typeET4_T5_PSP_SQ_PNS1_23onesweep_lookback_stateEbbT6_jjT7_P12ihipStream_tbENKUlT_T0_SE_SJ_E_clIS8_S8_S9_S9_EEDaSX_SY_SE_SJ_EUlSX_E_NS1_11comp_targetILNS1_3genE9ELNS1_11target_archE1100ELNS1_3gpuE3ELNS1_3repE0EEENS1_47radix_sort_onesweep_sort_config_static_selectorELNS0_4arch9wavefront6targetE1EEEvSE_
	.globl	_ZN7rocprim17ROCPRIM_400000_NS6detail17trampoline_kernelINS0_14default_configENS1_35radix_sort_onesweep_config_selectorIhNS0_10empty_typeEEEZZNS1_29radix_sort_onesweep_iterationIS3_Lb1EPhS8_PS5_S9_mNS0_19identity_decomposerENS1_16block_id_wrapperIjLb0EEEEE10hipError_tT1_PNSt15iterator_traitsISE_E10value_typeET2_T3_PNSF_ISK_E10value_typeET4_T5_PSP_SQ_PNS1_23onesweep_lookback_stateEbbT6_jjT7_P12ihipStream_tbENKUlT_T0_SE_SJ_E_clIS8_S8_S9_S9_EEDaSX_SY_SE_SJ_EUlSX_E_NS1_11comp_targetILNS1_3genE9ELNS1_11target_archE1100ELNS1_3gpuE3ELNS1_3repE0EEENS1_47radix_sort_onesweep_sort_config_static_selectorELNS0_4arch9wavefront6targetE1EEEvSE_
	.p2align	8
	.type	_ZN7rocprim17ROCPRIM_400000_NS6detail17trampoline_kernelINS0_14default_configENS1_35radix_sort_onesweep_config_selectorIhNS0_10empty_typeEEEZZNS1_29radix_sort_onesweep_iterationIS3_Lb1EPhS8_PS5_S9_mNS0_19identity_decomposerENS1_16block_id_wrapperIjLb0EEEEE10hipError_tT1_PNSt15iterator_traitsISE_E10value_typeET2_T3_PNSF_ISK_E10value_typeET4_T5_PSP_SQ_PNS1_23onesweep_lookback_stateEbbT6_jjT7_P12ihipStream_tbENKUlT_T0_SE_SJ_E_clIS8_S8_S9_S9_EEDaSX_SY_SE_SJ_EUlSX_E_NS1_11comp_targetILNS1_3genE9ELNS1_11target_archE1100ELNS1_3gpuE3ELNS1_3repE0EEENS1_47radix_sort_onesweep_sort_config_static_selectorELNS0_4arch9wavefront6targetE1EEEvSE_,@function
_ZN7rocprim17ROCPRIM_400000_NS6detail17trampoline_kernelINS0_14default_configENS1_35radix_sort_onesweep_config_selectorIhNS0_10empty_typeEEEZZNS1_29radix_sort_onesweep_iterationIS3_Lb1EPhS8_PS5_S9_mNS0_19identity_decomposerENS1_16block_id_wrapperIjLb0EEEEE10hipError_tT1_PNSt15iterator_traitsISE_E10value_typeET2_T3_PNSF_ISK_E10value_typeET4_T5_PSP_SQ_PNS1_23onesweep_lookback_stateEbbT6_jjT7_P12ihipStream_tbENKUlT_T0_SE_SJ_E_clIS8_S8_S9_S9_EEDaSX_SY_SE_SJ_EUlSX_E_NS1_11comp_targetILNS1_3genE9ELNS1_11target_archE1100ELNS1_3gpuE3ELNS1_3repE0EEENS1_47radix_sort_onesweep_sort_config_static_selectorELNS0_4arch9wavefront6targetE1EEEvSE_: ; @_ZN7rocprim17ROCPRIM_400000_NS6detail17trampoline_kernelINS0_14default_configENS1_35radix_sort_onesweep_config_selectorIhNS0_10empty_typeEEEZZNS1_29radix_sort_onesweep_iterationIS3_Lb1EPhS8_PS5_S9_mNS0_19identity_decomposerENS1_16block_id_wrapperIjLb0EEEEE10hipError_tT1_PNSt15iterator_traitsISE_E10value_typeET2_T3_PNSF_ISK_E10value_typeET4_T5_PSP_SQ_PNS1_23onesweep_lookback_stateEbbT6_jjT7_P12ihipStream_tbENKUlT_T0_SE_SJ_E_clIS8_S8_S9_S9_EEDaSX_SY_SE_SJ_EUlSX_E_NS1_11comp_targetILNS1_3genE9ELNS1_11target_archE1100ELNS1_3gpuE3ELNS1_3repE0EEENS1_47radix_sort_onesweep_sort_config_static_selectorELNS0_4arch9wavefront6targetE1EEEvSE_
; %bb.0:
	.section	.rodata,"a",@progbits
	.p2align	6, 0x0
	.amdhsa_kernel _ZN7rocprim17ROCPRIM_400000_NS6detail17trampoline_kernelINS0_14default_configENS1_35radix_sort_onesweep_config_selectorIhNS0_10empty_typeEEEZZNS1_29radix_sort_onesweep_iterationIS3_Lb1EPhS8_PS5_S9_mNS0_19identity_decomposerENS1_16block_id_wrapperIjLb0EEEEE10hipError_tT1_PNSt15iterator_traitsISE_E10value_typeET2_T3_PNSF_ISK_E10value_typeET4_T5_PSP_SQ_PNS1_23onesweep_lookback_stateEbbT6_jjT7_P12ihipStream_tbENKUlT_T0_SE_SJ_E_clIS8_S8_S9_S9_EEDaSX_SY_SE_SJ_EUlSX_E_NS1_11comp_targetILNS1_3genE9ELNS1_11target_archE1100ELNS1_3gpuE3ELNS1_3repE0EEENS1_47radix_sort_onesweep_sort_config_static_selectorELNS0_4arch9wavefront6targetE1EEEvSE_
		.amdhsa_group_segment_fixed_size 0
		.amdhsa_private_segment_fixed_size 0
		.amdhsa_kernarg_size 88
		.amdhsa_user_sgpr_count 6
		.amdhsa_user_sgpr_private_segment_buffer 1
		.amdhsa_user_sgpr_dispatch_ptr 0
		.amdhsa_user_sgpr_queue_ptr 0
		.amdhsa_user_sgpr_kernarg_segment_ptr 1
		.amdhsa_user_sgpr_dispatch_id 0
		.amdhsa_user_sgpr_flat_scratch_init 0
		.amdhsa_user_sgpr_kernarg_preload_length 0
		.amdhsa_user_sgpr_kernarg_preload_offset 0
		.amdhsa_user_sgpr_private_segment_size 0
		.amdhsa_uses_dynamic_stack 0
		.amdhsa_system_sgpr_private_segment_wavefront_offset 0
		.amdhsa_system_sgpr_workgroup_id_x 1
		.amdhsa_system_sgpr_workgroup_id_y 0
		.amdhsa_system_sgpr_workgroup_id_z 0
		.amdhsa_system_sgpr_workgroup_info 0
		.amdhsa_system_vgpr_workitem_id 0
		.amdhsa_next_free_vgpr 1
		.amdhsa_next_free_sgpr 0
		.amdhsa_accum_offset 4
		.amdhsa_reserve_vcc 0
		.amdhsa_reserve_flat_scratch 0
		.amdhsa_float_round_mode_32 0
		.amdhsa_float_round_mode_16_64 0
		.amdhsa_float_denorm_mode_32 3
		.amdhsa_float_denorm_mode_16_64 3
		.amdhsa_dx10_clamp 1
		.amdhsa_ieee_mode 1
		.amdhsa_fp16_overflow 0
		.amdhsa_tg_split 0
		.amdhsa_exception_fp_ieee_invalid_op 0
		.amdhsa_exception_fp_denorm_src 0
		.amdhsa_exception_fp_ieee_div_zero 0
		.amdhsa_exception_fp_ieee_overflow 0
		.amdhsa_exception_fp_ieee_underflow 0
		.amdhsa_exception_fp_ieee_inexact 0
		.amdhsa_exception_int_div_zero 0
	.end_amdhsa_kernel
	.section	.text._ZN7rocprim17ROCPRIM_400000_NS6detail17trampoline_kernelINS0_14default_configENS1_35radix_sort_onesweep_config_selectorIhNS0_10empty_typeEEEZZNS1_29radix_sort_onesweep_iterationIS3_Lb1EPhS8_PS5_S9_mNS0_19identity_decomposerENS1_16block_id_wrapperIjLb0EEEEE10hipError_tT1_PNSt15iterator_traitsISE_E10value_typeET2_T3_PNSF_ISK_E10value_typeET4_T5_PSP_SQ_PNS1_23onesweep_lookback_stateEbbT6_jjT7_P12ihipStream_tbENKUlT_T0_SE_SJ_E_clIS8_S8_S9_S9_EEDaSX_SY_SE_SJ_EUlSX_E_NS1_11comp_targetILNS1_3genE9ELNS1_11target_archE1100ELNS1_3gpuE3ELNS1_3repE0EEENS1_47radix_sort_onesweep_sort_config_static_selectorELNS0_4arch9wavefront6targetE1EEEvSE_,"axG",@progbits,_ZN7rocprim17ROCPRIM_400000_NS6detail17trampoline_kernelINS0_14default_configENS1_35radix_sort_onesweep_config_selectorIhNS0_10empty_typeEEEZZNS1_29radix_sort_onesweep_iterationIS3_Lb1EPhS8_PS5_S9_mNS0_19identity_decomposerENS1_16block_id_wrapperIjLb0EEEEE10hipError_tT1_PNSt15iterator_traitsISE_E10value_typeET2_T3_PNSF_ISK_E10value_typeET4_T5_PSP_SQ_PNS1_23onesweep_lookback_stateEbbT6_jjT7_P12ihipStream_tbENKUlT_T0_SE_SJ_E_clIS8_S8_S9_S9_EEDaSX_SY_SE_SJ_EUlSX_E_NS1_11comp_targetILNS1_3genE9ELNS1_11target_archE1100ELNS1_3gpuE3ELNS1_3repE0EEENS1_47radix_sort_onesweep_sort_config_static_selectorELNS0_4arch9wavefront6targetE1EEEvSE_,comdat
.Lfunc_end1749:
	.size	_ZN7rocprim17ROCPRIM_400000_NS6detail17trampoline_kernelINS0_14default_configENS1_35radix_sort_onesweep_config_selectorIhNS0_10empty_typeEEEZZNS1_29radix_sort_onesweep_iterationIS3_Lb1EPhS8_PS5_S9_mNS0_19identity_decomposerENS1_16block_id_wrapperIjLb0EEEEE10hipError_tT1_PNSt15iterator_traitsISE_E10value_typeET2_T3_PNSF_ISK_E10value_typeET4_T5_PSP_SQ_PNS1_23onesweep_lookback_stateEbbT6_jjT7_P12ihipStream_tbENKUlT_T0_SE_SJ_E_clIS8_S8_S9_S9_EEDaSX_SY_SE_SJ_EUlSX_E_NS1_11comp_targetILNS1_3genE9ELNS1_11target_archE1100ELNS1_3gpuE3ELNS1_3repE0EEENS1_47radix_sort_onesweep_sort_config_static_selectorELNS0_4arch9wavefront6targetE1EEEvSE_, .Lfunc_end1749-_ZN7rocprim17ROCPRIM_400000_NS6detail17trampoline_kernelINS0_14default_configENS1_35radix_sort_onesweep_config_selectorIhNS0_10empty_typeEEEZZNS1_29radix_sort_onesweep_iterationIS3_Lb1EPhS8_PS5_S9_mNS0_19identity_decomposerENS1_16block_id_wrapperIjLb0EEEEE10hipError_tT1_PNSt15iterator_traitsISE_E10value_typeET2_T3_PNSF_ISK_E10value_typeET4_T5_PSP_SQ_PNS1_23onesweep_lookback_stateEbbT6_jjT7_P12ihipStream_tbENKUlT_T0_SE_SJ_E_clIS8_S8_S9_S9_EEDaSX_SY_SE_SJ_EUlSX_E_NS1_11comp_targetILNS1_3genE9ELNS1_11target_archE1100ELNS1_3gpuE3ELNS1_3repE0EEENS1_47radix_sort_onesweep_sort_config_static_selectorELNS0_4arch9wavefront6targetE1EEEvSE_
                                        ; -- End function
	.section	.AMDGPU.csdata,"",@progbits
; Kernel info:
; codeLenInByte = 0
; NumSgprs: 4
; NumVgprs: 0
; NumAgprs: 0
; TotalNumVgprs: 0
; ScratchSize: 0
; MemoryBound: 0
; FloatMode: 240
; IeeeMode: 1
; LDSByteSize: 0 bytes/workgroup (compile time only)
; SGPRBlocks: 0
; VGPRBlocks: 0
; NumSGPRsForWavesPerEU: 4
; NumVGPRsForWavesPerEU: 1
; AccumOffset: 4
; Occupancy: 8
; WaveLimiterHint : 0
; COMPUTE_PGM_RSRC2:SCRATCH_EN: 0
; COMPUTE_PGM_RSRC2:USER_SGPR: 6
; COMPUTE_PGM_RSRC2:TRAP_HANDLER: 0
; COMPUTE_PGM_RSRC2:TGID_X_EN: 1
; COMPUTE_PGM_RSRC2:TGID_Y_EN: 0
; COMPUTE_PGM_RSRC2:TGID_Z_EN: 0
; COMPUTE_PGM_RSRC2:TIDIG_COMP_CNT: 0
; COMPUTE_PGM_RSRC3_GFX90A:ACCUM_OFFSET: 0
; COMPUTE_PGM_RSRC3_GFX90A:TG_SPLIT: 0
	.section	.text._ZN7rocprim17ROCPRIM_400000_NS6detail17trampoline_kernelINS0_14default_configENS1_35radix_sort_onesweep_config_selectorIhNS0_10empty_typeEEEZZNS1_29radix_sort_onesweep_iterationIS3_Lb1EPhS8_PS5_S9_mNS0_19identity_decomposerENS1_16block_id_wrapperIjLb0EEEEE10hipError_tT1_PNSt15iterator_traitsISE_E10value_typeET2_T3_PNSF_ISK_E10value_typeET4_T5_PSP_SQ_PNS1_23onesweep_lookback_stateEbbT6_jjT7_P12ihipStream_tbENKUlT_T0_SE_SJ_E_clIS8_S8_S9_S9_EEDaSX_SY_SE_SJ_EUlSX_E_NS1_11comp_targetILNS1_3genE8ELNS1_11target_archE1030ELNS1_3gpuE2ELNS1_3repE0EEENS1_47radix_sort_onesweep_sort_config_static_selectorELNS0_4arch9wavefront6targetE1EEEvSE_,"axG",@progbits,_ZN7rocprim17ROCPRIM_400000_NS6detail17trampoline_kernelINS0_14default_configENS1_35radix_sort_onesweep_config_selectorIhNS0_10empty_typeEEEZZNS1_29radix_sort_onesweep_iterationIS3_Lb1EPhS8_PS5_S9_mNS0_19identity_decomposerENS1_16block_id_wrapperIjLb0EEEEE10hipError_tT1_PNSt15iterator_traitsISE_E10value_typeET2_T3_PNSF_ISK_E10value_typeET4_T5_PSP_SQ_PNS1_23onesweep_lookback_stateEbbT6_jjT7_P12ihipStream_tbENKUlT_T0_SE_SJ_E_clIS8_S8_S9_S9_EEDaSX_SY_SE_SJ_EUlSX_E_NS1_11comp_targetILNS1_3genE8ELNS1_11target_archE1030ELNS1_3gpuE2ELNS1_3repE0EEENS1_47radix_sort_onesweep_sort_config_static_selectorELNS0_4arch9wavefront6targetE1EEEvSE_,comdat
	.protected	_ZN7rocprim17ROCPRIM_400000_NS6detail17trampoline_kernelINS0_14default_configENS1_35radix_sort_onesweep_config_selectorIhNS0_10empty_typeEEEZZNS1_29radix_sort_onesweep_iterationIS3_Lb1EPhS8_PS5_S9_mNS0_19identity_decomposerENS1_16block_id_wrapperIjLb0EEEEE10hipError_tT1_PNSt15iterator_traitsISE_E10value_typeET2_T3_PNSF_ISK_E10value_typeET4_T5_PSP_SQ_PNS1_23onesweep_lookback_stateEbbT6_jjT7_P12ihipStream_tbENKUlT_T0_SE_SJ_E_clIS8_S8_S9_S9_EEDaSX_SY_SE_SJ_EUlSX_E_NS1_11comp_targetILNS1_3genE8ELNS1_11target_archE1030ELNS1_3gpuE2ELNS1_3repE0EEENS1_47radix_sort_onesweep_sort_config_static_selectorELNS0_4arch9wavefront6targetE1EEEvSE_ ; -- Begin function _ZN7rocprim17ROCPRIM_400000_NS6detail17trampoline_kernelINS0_14default_configENS1_35radix_sort_onesweep_config_selectorIhNS0_10empty_typeEEEZZNS1_29radix_sort_onesweep_iterationIS3_Lb1EPhS8_PS5_S9_mNS0_19identity_decomposerENS1_16block_id_wrapperIjLb0EEEEE10hipError_tT1_PNSt15iterator_traitsISE_E10value_typeET2_T3_PNSF_ISK_E10value_typeET4_T5_PSP_SQ_PNS1_23onesweep_lookback_stateEbbT6_jjT7_P12ihipStream_tbENKUlT_T0_SE_SJ_E_clIS8_S8_S9_S9_EEDaSX_SY_SE_SJ_EUlSX_E_NS1_11comp_targetILNS1_3genE8ELNS1_11target_archE1030ELNS1_3gpuE2ELNS1_3repE0EEENS1_47radix_sort_onesweep_sort_config_static_selectorELNS0_4arch9wavefront6targetE1EEEvSE_
	.globl	_ZN7rocprim17ROCPRIM_400000_NS6detail17trampoline_kernelINS0_14default_configENS1_35radix_sort_onesweep_config_selectorIhNS0_10empty_typeEEEZZNS1_29radix_sort_onesweep_iterationIS3_Lb1EPhS8_PS5_S9_mNS0_19identity_decomposerENS1_16block_id_wrapperIjLb0EEEEE10hipError_tT1_PNSt15iterator_traitsISE_E10value_typeET2_T3_PNSF_ISK_E10value_typeET4_T5_PSP_SQ_PNS1_23onesweep_lookback_stateEbbT6_jjT7_P12ihipStream_tbENKUlT_T0_SE_SJ_E_clIS8_S8_S9_S9_EEDaSX_SY_SE_SJ_EUlSX_E_NS1_11comp_targetILNS1_3genE8ELNS1_11target_archE1030ELNS1_3gpuE2ELNS1_3repE0EEENS1_47radix_sort_onesweep_sort_config_static_selectorELNS0_4arch9wavefront6targetE1EEEvSE_
	.p2align	8
	.type	_ZN7rocprim17ROCPRIM_400000_NS6detail17trampoline_kernelINS0_14default_configENS1_35radix_sort_onesweep_config_selectorIhNS0_10empty_typeEEEZZNS1_29radix_sort_onesweep_iterationIS3_Lb1EPhS8_PS5_S9_mNS0_19identity_decomposerENS1_16block_id_wrapperIjLb0EEEEE10hipError_tT1_PNSt15iterator_traitsISE_E10value_typeET2_T3_PNSF_ISK_E10value_typeET4_T5_PSP_SQ_PNS1_23onesweep_lookback_stateEbbT6_jjT7_P12ihipStream_tbENKUlT_T0_SE_SJ_E_clIS8_S8_S9_S9_EEDaSX_SY_SE_SJ_EUlSX_E_NS1_11comp_targetILNS1_3genE8ELNS1_11target_archE1030ELNS1_3gpuE2ELNS1_3repE0EEENS1_47radix_sort_onesweep_sort_config_static_selectorELNS0_4arch9wavefront6targetE1EEEvSE_,@function
_ZN7rocprim17ROCPRIM_400000_NS6detail17trampoline_kernelINS0_14default_configENS1_35radix_sort_onesweep_config_selectorIhNS0_10empty_typeEEEZZNS1_29radix_sort_onesweep_iterationIS3_Lb1EPhS8_PS5_S9_mNS0_19identity_decomposerENS1_16block_id_wrapperIjLb0EEEEE10hipError_tT1_PNSt15iterator_traitsISE_E10value_typeET2_T3_PNSF_ISK_E10value_typeET4_T5_PSP_SQ_PNS1_23onesweep_lookback_stateEbbT6_jjT7_P12ihipStream_tbENKUlT_T0_SE_SJ_E_clIS8_S8_S9_S9_EEDaSX_SY_SE_SJ_EUlSX_E_NS1_11comp_targetILNS1_3genE8ELNS1_11target_archE1030ELNS1_3gpuE2ELNS1_3repE0EEENS1_47radix_sort_onesweep_sort_config_static_selectorELNS0_4arch9wavefront6targetE1EEEvSE_: ; @_ZN7rocprim17ROCPRIM_400000_NS6detail17trampoline_kernelINS0_14default_configENS1_35radix_sort_onesweep_config_selectorIhNS0_10empty_typeEEEZZNS1_29radix_sort_onesweep_iterationIS3_Lb1EPhS8_PS5_S9_mNS0_19identity_decomposerENS1_16block_id_wrapperIjLb0EEEEE10hipError_tT1_PNSt15iterator_traitsISE_E10value_typeET2_T3_PNSF_ISK_E10value_typeET4_T5_PSP_SQ_PNS1_23onesweep_lookback_stateEbbT6_jjT7_P12ihipStream_tbENKUlT_T0_SE_SJ_E_clIS8_S8_S9_S9_EEDaSX_SY_SE_SJ_EUlSX_E_NS1_11comp_targetILNS1_3genE8ELNS1_11target_archE1030ELNS1_3gpuE2ELNS1_3repE0EEENS1_47radix_sort_onesweep_sort_config_static_selectorELNS0_4arch9wavefront6targetE1EEEvSE_
; %bb.0:
	.section	.rodata,"a",@progbits
	.p2align	6, 0x0
	.amdhsa_kernel _ZN7rocprim17ROCPRIM_400000_NS6detail17trampoline_kernelINS0_14default_configENS1_35radix_sort_onesweep_config_selectorIhNS0_10empty_typeEEEZZNS1_29radix_sort_onesweep_iterationIS3_Lb1EPhS8_PS5_S9_mNS0_19identity_decomposerENS1_16block_id_wrapperIjLb0EEEEE10hipError_tT1_PNSt15iterator_traitsISE_E10value_typeET2_T3_PNSF_ISK_E10value_typeET4_T5_PSP_SQ_PNS1_23onesweep_lookback_stateEbbT6_jjT7_P12ihipStream_tbENKUlT_T0_SE_SJ_E_clIS8_S8_S9_S9_EEDaSX_SY_SE_SJ_EUlSX_E_NS1_11comp_targetILNS1_3genE8ELNS1_11target_archE1030ELNS1_3gpuE2ELNS1_3repE0EEENS1_47radix_sort_onesweep_sort_config_static_selectorELNS0_4arch9wavefront6targetE1EEEvSE_
		.amdhsa_group_segment_fixed_size 0
		.amdhsa_private_segment_fixed_size 0
		.amdhsa_kernarg_size 88
		.amdhsa_user_sgpr_count 6
		.amdhsa_user_sgpr_private_segment_buffer 1
		.amdhsa_user_sgpr_dispatch_ptr 0
		.amdhsa_user_sgpr_queue_ptr 0
		.amdhsa_user_sgpr_kernarg_segment_ptr 1
		.amdhsa_user_sgpr_dispatch_id 0
		.amdhsa_user_sgpr_flat_scratch_init 0
		.amdhsa_user_sgpr_kernarg_preload_length 0
		.amdhsa_user_sgpr_kernarg_preload_offset 0
		.amdhsa_user_sgpr_private_segment_size 0
		.amdhsa_uses_dynamic_stack 0
		.amdhsa_system_sgpr_private_segment_wavefront_offset 0
		.amdhsa_system_sgpr_workgroup_id_x 1
		.amdhsa_system_sgpr_workgroup_id_y 0
		.amdhsa_system_sgpr_workgroup_id_z 0
		.amdhsa_system_sgpr_workgroup_info 0
		.amdhsa_system_vgpr_workitem_id 0
		.amdhsa_next_free_vgpr 1
		.amdhsa_next_free_sgpr 0
		.amdhsa_accum_offset 4
		.amdhsa_reserve_vcc 0
		.amdhsa_reserve_flat_scratch 0
		.amdhsa_float_round_mode_32 0
		.amdhsa_float_round_mode_16_64 0
		.amdhsa_float_denorm_mode_32 3
		.amdhsa_float_denorm_mode_16_64 3
		.amdhsa_dx10_clamp 1
		.amdhsa_ieee_mode 1
		.amdhsa_fp16_overflow 0
		.amdhsa_tg_split 0
		.amdhsa_exception_fp_ieee_invalid_op 0
		.amdhsa_exception_fp_denorm_src 0
		.amdhsa_exception_fp_ieee_div_zero 0
		.amdhsa_exception_fp_ieee_overflow 0
		.amdhsa_exception_fp_ieee_underflow 0
		.amdhsa_exception_fp_ieee_inexact 0
		.amdhsa_exception_int_div_zero 0
	.end_amdhsa_kernel
	.section	.text._ZN7rocprim17ROCPRIM_400000_NS6detail17trampoline_kernelINS0_14default_configENS1_35radix_sort_onesweep_config_selectorIhNS0_10empty_typeEEEZZNS1_29radix_sort_onesweep_iterationIS3_Lb1EPhS8_PS5_S9_mNS0_19identity_decomposerENS1_16block_id_wrapperIjLb0EEEEE10hipError_tT1_PNSt15iterator_traitsISE_E10value_typeET2_T3_PNSF_ISK_E10value_typeET4_T5_PSP_SQ_PNS1_23onesweep_lookback_stateEbbT6_jjT7_P12ihipStream_tbENKUlT_T0_SE_SJ_E_clIS8_S8_S9_S9_EEDaSX_SY_SE_SJ_EUlSX_E_NS1_11comp_targetILNS1_3genE8ELNS1_11target_archE1030ELNS1_3gpuE2ELNS1_3repE0EEENS1_47radix_sort_onesweep_sort_config_static_selectorELNS0_4arch9wavefront6targetE1EEEvSE_,"axG",@progbits,_ZN7rocprim17ROCPRIM_400000_NS6detail17trampoline_kernelINS0_14default_configENS1_35radix_sort_onesweep_config_selectorIhNS0_10empty_typeEEEZZNS1_29radix_sort_onesweep_iterationIS3_Lb1EPhS8_PS5_S9_mNS0_19identity_decomposerENS1_16block_id_wrapperIjLb0EEEEE10hipError_tT1_PNSt15iterator_traitsISE_E10value_typeET2_T3_PNSF_ISK_E10value_typeET4_T5_PSP_SQ_PNS1_23onesweep_lookback_stateEbbT6_jjT7_P12ihipStream_tbENKUlT_T0_SE_SJ_E_clIS8_S8_S9_S9_EEDaSX_SY_SE_SJ_EUlSX_E_NS1_11comp_targetILNS1_3genE8ELNS1_11target_archE1030ELNS1_3gpuE2ELNS1_3repE0EEENS1_47radix_sort_onesweep_sort_config_static_selectorELNS0_4arch9wavefront6targetE1EEEvSE_,comdat
.Lfunc_end1750:
	.size	_ZN7rocprim17ROCPRIM_400000_NS6detail17trampoline_kernelINS0_14default_configENS1_35radix_sort_onesweep_config_selectorIhNS0_10empty_typeEEEZZNS1_29radix_sort_onesweep_iterationIS3_Lb1EPhS8_PS5_S9_mNS0_19identity_decomposerENS1_16block_id_wrapperIjLb0EEEEE10hipError_tT1_PNSt15iterator_traitsISE_E10value_typeET2_T3_PNSF_ISK_E10value_typeET4_T5_PSP_SQ_PNS1_23onesweep_lookback_stateEbbT6_jjT7_P12ihipStream_tbENKUlT_T0_SE_SJ_E_clIS8_S8_S9_S9_EEDaSX_SY_SE_SJ_EUlSX_E_NS1_11comp_targetILNS1_3genE8ELNS1_11target_archE1030ELNS1_3gpuE2ELNS1_3repE0EEENS1_47radix_sort_onesweep_sort_config_static_selectorELNS0_4arch9wavefront6targetE1EEEvSE_, .Lfunc_end1750-_ZN7rocprim17ROCPRIM_400000_NS6detail17trampoline_kernelINS0_14default_configENS1_35radix_sort_onesweep_config_selectorIhNS0_10empty_typeEEEZZNS1_29radix_sort_onesweep_iterationIS3_Lb1EPhS8_PS5_S9_mNS0_19identity_decomposerENS1_16block_id_wrapperIjLb0EEEEE10hipError_tT1_PNSt15iterator_traitsISE_E10value_typeET2_T3_PNSF_ISK_E10value_typeET4_T5_PSP_SQ_PNS1_23onesweep_lookback_stateEbbT6_jjT7_P12ihipStream_tbENKUlT_T0_SE_SJ_E_clIS8_S8_S9_S9_EEDaSX_SY_SE_SJ_EUlSX_E_NS1_11comp_targetILNS1_3genE8ELNS1_11target_archE1030ELNS1_3gpuE2ELNS1_3repE0EEENS1_47radix_sort_onesweep_sort_config_static_selectorELNS0_4arch9wavefront6targetE1EEEvSE_
                                        ; -- End function
	.section	.AMDGPU.csdata,"",@progbits
; Kernel info:
; codeLenInByte = 0
; NumSgprs: 4
; NumVgprs: 0
; NumAgprs: 0
; TotalNumVgprs: 0
; ScratchSize: 0
; MemoryBound: 0
; FloatMode: 240
; IeeeMode: 1
; LDSByteSize: 0 bytes/workgroup (compile time only)
; SGPRBlocks: 0
; VGPRBlocks: 0
; NumSGPRsForWavesPerEU: 4
; NumVGPRsForWavesPerEU: 1
; AccumOffset: 4
; Occupancy: 8
; WaveLimiterHint : 0
; COMPUTE_PGM_RSRC2:SCRATCH_EN: 0
; COMPUTE_PGM_RSRC2:USER_SGPR: 6
; COMPUTE_PGM_RSRC2:TRAP_HANDLER: 0
; COMPUTE_PGM_RSRC2:TGID_X_EN: 1
; COMPUTE_PGM_RSRC2:TGID_Y_EN: 0
; COMPUTE_PGM_RSRC2:TGID_Z_EN: 0
; COMPUTE_PGM_RSRC2:TIDIG_COMP_CNT: 0
; COMPUTE_PGM_RSRC3_GFX90A:ACCUM_OFFSET: 0
; COMPUTE_PGM_RSRC3_GFX90A:TG_SPLIT: 0
	.section	.text._ZN7rocprim17ROCPRIM_400000_NS6detail17trampoline_kernelINS0_13kernel_configILj256ELj4ELj4294967295EEENS1_37radix_sort_block_sort_config_selectorIsNS0_10empty_typeEEEZNS1_21radix_sort_block_sortIS4_Lb1EPsS9_PS6_SA_NS0_19identity_decomposerEEE10hipError_tT1_T2_T3_T4_jRjT5_jjP12ihipStream_tbEUlT_E_NS1_11comp_targetILNS1_3genE0ELNS1_11target_archE4294967295ELNS1_3gpuE0ELNS1_3repE0EEENS1_44radix_sort_block_sort_config_static_selectorELNS0_4arch9wavefront6targetE1EEEvSD_,"axG",@progbits,_ZN7rocprim17ROCPRIM_400000_NS6detail17trampoline_kernelINS0_13kernel_configILj256ELj4ELj4294967295EEENS1_37radix_sort_block_sort_config_selectorIsNS0_10empty_typeEEEZNS1_21radix_sort_block_sortIS4_Lb1EPsS9_PS6_SA_NS0_19identity_decomposerEEE10hipError_tT1_T2_T3_T4_jRjT5_jjP12ihipStream_tbEUlT_E_NS1_11comp_targetILNS1_3genE0ELNS1_11target_archE4294967295ELNS1_3gpuE0ELNS1_3repE0EEENS1_44radix_sort_block_sort_config_static_selectorELNS0_4arch9wavefront6targetE1EEEvSD_,comdat
	.protected	_ZN7rocprim17ROCPRIM_400000_NS6detail17trampoline_kernelINS0_13kernel_configILj256ELj4ELj4294967295EEENS1_37radix_sort_block_sort_config_selectorIsNS0_10empty_typeEEEZNS1_21radix_sort_block_sortIS4_Lb1EPsS9_PS6_SA_NS0_19identity_decomposerEEE10hipError_tT1_T2_T3_T4_jRjT5_jjP12ihipStream_tbEUlT_E_NS1_11comp_targetILNS1_3genE0ELNS1_11target_archE4294967295ELNS1_3gpuE0ELNS1_3repE0EEENS1_44radix_sort_block_sort_config_static_selectorELNS0_4arch9wavefront6targetE1EEEvSD_ ; -- Begin function _ZN7rocprim17ROCPRIM_400000_NS6detail17trampoline_kernelINS0_13kernel_configILj256ELj4ELj4294967295EEENS1_37radix_sort_block_sort_config_selectorIsNS0_10empty_typeEEEZNS1_21radix_sort_block_sortIS4_Lb1EPsS9_PS6_SA_NS0_19identity_decomposerEEE10hipError_tT1_T2_T3_T4_jRjT5_jjP12ihipStream_tbEUlT_E_NS1_11comp_targetILNS1_3genE0ELNS1_11target_archE4294967295ELNS1_3gpuE0ELNS1_3repE0EEENS1_44radix_sort_block_sort_config_static_selectorELNS0_4arch9wavefront6targetE1EEEvSD_
	.globl	_ZN7rocprim17ROCPRIM_400000_NS6detail17trampoline_kernelINS0_13kernel_configILj256ELj4ELj4294967295EEENS1_37radix_sort_block_sort_config_selectorIsNS0_10empty_typeEEEZNS1_21radix_sort_block_sortIS4_Lb1EPsS9_PS6_SA_NS0_19identity_decomposerEEE10hipError_tT1_T2_T3_T4_jRjT5_jjP12ihipStream_tbEUlT_E_NS1_11comp_targetILNS1_3genE0ELNS1_11target_archE4294967295ELNS1_3gpuE0ELNS1_3repE0EEENS1_44radix_sort_block_sort_config_static_selectorELNS0_4arch9wavefront6targetE1EEEvSD_
	.p2align	8
	.type	_ZN7rocprim17ROCPRIM_400000_NS6detail17trampoline_kernelINS0_13kernel_configILj256ELj4ELj4294967295EEENS1_37radix_sort_block_sort_config_selectorIsNS0_10empty_typeEEEZNS1_21radix_sort_block_sortIS4_Lb1EPsS9_PS6_SA_NS0_19identity_decomposerEEE10hipError_tT1_T2_T3_T4_jRjT5_jjP12ihipStream_tbEUlT_E_NS1_11comp_targetILNS1_3genE0ELNS1_11target_archE4294967295ELNS1_3gpuE0ELNS1_3repE0EEENS1_44radix_sort_block_sort_config_static_selectorELNS0_4arch9wavefront6targetE1EEEvSD_,@function
_ZN7rocprim17ROCPRIM_400000_NS6detail17trampoline_kernelINS0_13kernel_configILj256ELj4ELj4294967295EEENS1_37radix_sort_block_sort_config_selectorIsNS0_10empty_typeEEEZNS1_21radix_sort_block_sortIS4_Lb1EPsS9_PS6_SA_NS0_19identity_decomposerEEE10hipError_tT1_T2_T3_T4_jRjT5_jjP12ihipStream_tbEUlT_E_NS1_11comp_targetILNS1_3genE0ELNS1_11target_archE4294967295ELNS1_3gpuE0ELNS1_3repE0EEENS1_44radix_sort_block_sort_config_static_selectorELNS0_4arch9wavefront6targetE1EEEvSD_: ; @_ZN7rocprim17ROCPRIM_400000_NS6detail17trampoline_kernelINS0_13kernel_configILj256ELj4ELj4294967295EEENS1_37radix_sort_block_sort_config_selectorIsNS0_10empty_typeEEEZNS1_21radix_sort_block_sortIS4_Lb1EPsS9_PS6_SA_NS0_19identity_decomposerEEE10hipError_tT1_T2_T3_T4_jRjT5_jjP12ihipStream_tbEUlT_E_NS1_11comp_targetILNS1_3genE0ELNS1_11target_archE4294967295ELNS1_3gpuE0ELNS1_3repE0EEENS1_44radix_sort_block_sort_config_static_selectorELNS0_4arch9wavefront6targetE1EEEvSD_
; %bb.0:
	.section	.rodata,"a",@progbits
	.p2align	6, 0x0
	.amdhsa_kernel _ZN7rocprim17ROCPRIM_400000_NS6detail17trampoline_kernelINS0_13kernel_configILj256ELj4ELj4294967295EEENS1_37radix_sort_block_sort_config_selectorIsNS0_10empty_typeEEEZNS1_21radix_sort_block_sortIS4_Lb1EPsS9_PS6_SA_NS0_19identity_decomposerEEE10hipError_tT1_T2_T3_T4_jRjT5_jjP12ihipStream_tbEUlT_E_NS1_11comp_targetILNS1_3genE0ELNS1_11target_archE4294967295ELNS1_3gpuE0ELNS1_3repE0EEENS1_44radix_sort_block_sort_config_static_selectorELNS0_4arch9wavefront6targetE1EEEvSD_
		.amdhsa_group_segment_fixed_size 0
		.amdhsa_private_segment_fixed_size 0
		.amdhsa_kernarg_size 48
		.amdhsa_user_sgpr_count 6
		.amdhsa_user_sgpr_private_segment_buffer 1
		.amdhsa_user_sgpr_dispatch_ptr 0
		.amdhsa_user_sgpr_queue_ptr 0
		.amdhsa_user_sgpr_kernarg_segment_ptr 1
		.amdhsa_user_sgpr_dispatch_id 0
		.amdhsa_user_sgpr_flat_scratch_init 0
		.amdhsa_user_sgpr_kernarg_preload_length 0
		.amdhsa_user_sgpr_kernarg_preload_offset 0
		.amdhsa_user_sgpr_private_segment_size 0
		.amdhsa_uses_dynamic_stack 0
		.amdhsa_system_sgpr_private_segment_wavefront_offset 0
		.amdhsa_system_sgpr_workgroup_id_x 1
		.amdhsa_system_sgpr_workgroup_id_y 0
		.amdhsa_system_sgpr_workgroup_id_z 0
		.amdhsa_system_sgpr_workgroup_info 0
		.amdhsa_system_vgpr_workitem_id 0
		.amdhsa_next_free_vgpr 1
		.amdhsa_next_free_sgpr 0
		.amdhsa_accum_offset 4
		.amdhsa_reserve_vcc 0
		.amdhsa_reserve_flat_scratch 0
		.amdhsa_float_round_mode_32 0
		.amdhsa_float_round_mode_16_64 0
		.amdhsa_float_denorm_mode_32 3
		.amdhsa_float_denorm_mode_16_64 3
		.amdhsa_dx10_clamp 1
		.amdhsa_ieee_mode 1
		.amdhsa_fp16_overflow 0
		.amdhsa_tg_split 0
		.amdhsa_exception_fp_ieee_invalid_op 0
		.amdhsa_exception_fp_denorm_src 0
		.amdhsa_exception_fp_ieee_div_zero 0
		.amdhsa_exception_fp_ieee_overflow 0
		.amdhsa_exception_fp_ieee_underflow 0
		.amdhsa_exception_fp_ieee_inexact 0
		.amdhsa_exception_int_div_zero 0
	.end_amdhsa_kernel
	.section	.text._ZN7rocprim17ROCPRIM_400000_NS6detail17trampoline_kernelINS0_13kernel_configILj256ELj4ELj4294967295EEENS1_37radix_sort_block_sort_config_selectorIsNS0_10empty_typeEEEZNS1_21radix_sort_block_sortIS4_Lb1EPsS9_PS6_SA_NS0_19identity_decomposerEEE10hipError_tT1_T2_T3_T4_jRjT5_jjP12ihipStream_tbEUlT_E_NS1_11comp_targetILNS1_3genE0ELNS1_11target_archE4294967295ELNS1_3gpuE0ELNS1_3repE0EEENS1_44radix_sort_block_sort_config_static_selectorELNS0_4arch9wavefront6targetE1EEEvSD_,"axG",@progbits,_ZN7rocprim17ROCPRIM_400000_NS6detail17trampoline_kernelINS0_13kernel_configILj256ELj4ELj4294967295EEENS1_37radix_sort_block_sort_config_selectorIsNS0_10empty_typeEEEZNS1_21radix_sort_block_sortIS4_Lb1EPsS9_PS6_SA_NS0_19identity_decomposerEEE10hipError_tT1_T2_T3_T4_jRjT5_jjP12ihipStream_tbEUlT_E_NS1_11comp_targetILNS1_3genE0ELNS1_11target_archE4294967295ELNS1_3gpuE0ELNS1_3repE0EEENS1_44radix_sort_block_sort_config_static_selectorELNS0_4arch9wavefront6targetE1EEEvSD_,comdat
.Lfunc_end1751:
	.size	_ZN7rocprim17ROCPRIM_400000_NS6detail17trampoline_kernelINS0_13kernel_configILj256ELj4ELj4294967295EEENS1_37radix_sort_block_sort_config_selectorIsNS0_10empty_typeEEEZNS1_21radix_sort_block_sortIS4_Lb1EPsS9_PS6_SA_NS0_19identity_decomposerEEE10hipError_tT1_T2_T3_T4_jRjT5_jjP12ihipStream_tbEUlT_E_NS1_11comp_targetILNS1_3genE0ELNS1_11target_archE4294967295ELNS1_3gpuE0ELNS1_3repE0EEENS1_44radix_sort_block_sort_config_static_selectorELNS0_4arch9wavefront6targetE1EEEvSD_, .Lfunc_end1751-_ZN7rocprim17ROCPRIM_400000_NS6detail17trampoline_kernelINS0_13kernel_configILj256ELj4ELj4294967295EEENS1_37radix_sort_block_sort_config_selectorIsNS0_10empty_typeEEEZNS1_21radix_sort_block_sortIS4_Lb1EPsS9_PS6_SA_NS0_19identity_decomposerEEE10hipError_tT1_T2_T3_T4_jRjT5_jjP12ihipStream_tbEUlT_E_NS1_11comp_targetILNS1_3genE0ELNS1_11target_archE4294967295ELNS1_3gpuE0ELNS1_3repE0EEENS1_44radix_sort_block_sort_config_static_selectorELNS0_4arch9wavefront6targetE1EEEvSD_
                                        ; -- End function
	.section	.AMDGPU.csdata,"",@progbits
; Kernel info:
; codeLenInByte = 0
; NumSgprs: 4
; NumVgprs: 0
; NumAgprs: 0
; TotalNumVgprs: 0
; ScratchSize: 0
; MemoryBound: 0
; FloatMode: 240
; IeeeMode: 1
; LDSByteSize: 0 bytes/workgroup (compile time only)
; SGPRBlocks: 0
; VGPRBlocks: 0
; NumSGPRsForWavesPerEU: 4
; NumVGPRsForWavesPerEU: 1
; AccumOffset: 4
; Occupancy: 8
; WaveLimiterHint : 0
; COMPUTE_PGM_RSRC2:SCRATCH_EN: 0
; COMPUTE_PGM_RSRC2:USER_SGPR: 6
; COMPUTE_PGM_RSRC2:TRAP_HANDLER: 0
; COMPUTE_PGM_RSRC2:TGID_X_EN: 1
; COMPUTE_PGM_RSRC2:TGID_Y_EN: 0
; COMPUTE_PGM_RSRC2:TGID_Z_EN: 0
; COMPUTE_PGM_RSRC2:TIDIG_COMP_CNT: 0
; COMPUTE_PGM_RSRC3_GFX90A:ACCUM_OFFSET: 0
; COMPUTE_PGM_RSRC3_GFX90A:TG_SPLIT: 0
	.section	.text._ZN7rocprim17ROCPRIM_400000_NS6detail17trampoline_kernelINS0_13kernel_configILj256ELj4ELj4294967295EEENS1_37radix_sort_block_sort_config_selectorIsNS0_10empty_typeEEEZNS1_21radix_sort_block_sortIS4_Lb1EPsS9_PS6_SA_NS0_19identity_decomposerEEE10hipError_tT1_T2_T3_T4_jRjT5_jjP12ihipStream_tbEUlT_E_NS1_11comp_targetILNS1_3genE5ELNS1_11target_archE942ELNS1_3gpuE9ELNS1_3repE0EEENS1_44radix_sort_block_sort_config_static_selectorELNS0_4arch9wavefront6targetE1EEEvSD_,"axG",@progbits,_ZN7rocprim17ROCPRIM_400000_NS6detail17trampoline_kernelINS0_13kernel_configILj256ELj4ELj4294967295EEENS1_37radix_sort_block_sort_config_selectorIsNS0_10empty_typeEEEZNS1_21radix_sort_block_sortIS4_Lb1EPsS9_PS6_SA_NS0_19identity_decomposerEEE10hipError_tT1_T2_T3_T4_jRjT5_jjP12ihipStream_tbEUlT_E_NS1_11comp_targetILNS1_3genE5ELNS1_11target_archE942ELNS1_3gpuE9ELNS1_3repE0EEENS1_44radix_sort_block_sort_config_static_selectorELNS0_4arch9wavefront6targetE1EEEvSD_,comdat
	.protected	_ZN7rocprim17ROCPRIM_400000_NS6detail17trampoline_kernelINS0_13kernel_configILj256ELj4ELj4294967295EEENS1_37radix_sort_block_sort_config_selectorIsNS0_10empty_typeEEEZNS1_21radix_sort_block_sortIS4_Lb1EPsS9_PS6_SA_NS0_19identity_decomposerEEE10hipError_tT1_T2_T3_T4_jRjT5_jjP12ihipStream_tbEUlT_E_NS1_11comp_targetILNS1_3genE5ELNS1_11target_archE942ELNS1_3gpuE9ELNS1_3repE0EEENS1_44radix_sort_block_sort_config_static_selectorELNS0_4arch9wavefront6targetE1EEEvSD_ ; -- Begin function _ZN7rocprim17ROCPRIM_400000_NS6detail17trampoline_kernelINS0_13kernel_configILj256ELj4ELj4294967295EEENS1_37radix_sort_block_sort_config_selectorIsNS0_10empty_typeEEEZNS1_21radix_sort_block_sortIS4_Lb1EPsS9_PS6_SA_NS0_19identity_decomposerEEE10hipError_tT1_T2_T3_T4_jRjT5_jjP12ihipStream_tbEUlT_E_NS1_11comp_targetILNS1_3genE5ELNS1_11target_archE942ELNS1_3gpuE9ELNS1_3repE0EEENS1_44radix_sort_block_sort_config_static_selectorELNS0_4arch9wavefront6targetE1EEEvSD_
	.globl	_ZN7rocprim17ROCPRIM_400000_NS6detail17trampoline_kernelINS0_13kernel_configILj256ELj4ELj4294967295EEENS1_37radix_sort_block_sort_config_selectorIsNS0_10empty_typeEEEZNS1_21radix_sort_block_sortIS4_Lb1EPsS9_PS6_SA_NS0_19identity_decomposerEEE10hipError_tT1_T2_T3_T4_jRjT5_jjP12ihipStream_tbEUlT_E_NS1_11comp_targetILNS1_3genE5ELNS1_11target_archE942ELNS1_3gpuE9ELNS1_3repE0EEENS1_44radix_sort_block_sort_config_static_selectorELNS0_4arch9wavefront6targetE1EEEvSD_
	.p2align	8
	.type	_ZN7rocprim17ROCPRIM_400000_NS6detail17trampoline_kernelINS0_13kernel_configILj256ELj4ELj4294967295EEENS1_37radix_sort_block_sort_config_selectorIsNS0_10empty_typeEEEZNS1_21radix_sort_block_sortIS4_Lb1EPsS9_PS6_SA_NS0_19identity_decomposerEEE10hipError_tT1_T2_T3_T4_jRjT5_jjP12ihipStream_tbEUlT_E_NS1_11comp_targetILNS1_3genE5ELNS1_11target_archE942ELNS1_3gpuE9ELNS1_3repE0EEENS1_44radix_sort_block_sort_config_static_selectorELNS0_4arch9wavefront6targetE1EEEvSD_,@function
_ZN7rocprim17ROCPRIM_400000_NS6detail17trampoline_kernelINS0_13kernel_configILj256ELj4ELj4294967295EEENS1_37radix_sort_block_sort_config_selectorIsNS0_10empty_typeEEEZNS1_21radix_sort_block_sortIS4_Lb1EPsS9_PS6_SA_NS0_19identity_decomposerEEE10hipError_tT1_T2_T3_T4_jRjT5_jjP12ihipStream_tbEUlT_E_NS1_11comp_targetILNS1_3genE5ELNS1_11target_archE942ELNS1_3gpuE9ELNS1_3repE0EEENS1_44radix_sort_block_sort_config_static_selectorELNS0_4arch9wavefront6targetE1EEEvSD_: ; @_ZN7rocprim17ROCPRIM_400000_NS6detail17trampoline_kernelINS0_13kernel_configILj256ELj4ELj4294967295EEENS1_37radix_sort_block_sort_config_selectorIsNS0_10empty_typeEEEZNS1_21radix_sort_block_sortIS4_Lb1EPsS9_PS6_SA_NS0_19identity_decomposerEEE10hipError_tT1_T2_T3_T4_jRjT5_jjP12ihipStream_tbEUlT_E_NS1_11comp_targetILNS1_3genE5ELNS1_11target_archE942ELNS1_3gpuE9ELNS1_3repE0EEENS1_44radix_sort_block_sort_config_static_selectorELNS0_4arch9wavefront6targetE1EEEvSD_
; %bb.0:
	.section	.rodata,"a",@progbits
	.p2align	6, 0x0
	.amdhsa_kernel _ZN7rocprim17ROCPRIM_400000_NS6detail17trampoline_kernelINS0_13kernel_configILj256ELj4ELj4294967295EEENS1_37radix_sort_block_sort_config_selectorIsNS0_10empty_typeEEEZNS1_21radix_sort_block_sortIS4_Lb1EPsS9_PS6_SA_NS0_19identity_decomposerEEE10hipError_tT1_T2_T3_T4_jRjT5_jjP12ihipStream_tbEUlT_E_NS1_11comp_targetILNS1_3genE5ELNS1_11target_archE942ELNS1_3gpuE9ELNS1_3repE0EEENS1_44radix_sort_block_sort_config_static_selectorELNS0_4arch9wavefront6targetE1EEEvSD_
		.amdhsa_group_segment_fixed_size 0
		.amdhsa_private_segment_fixed_size 0
		.amdhsa_kernarg_size 48
		.amdhsa_user_sgpr_count 6
		.amdhsa_user_sgpr_private_segment_buffer 1
		.amdhsa_user_sgpr_dispatch_ptr 0
		.amdhsa_user_sgpr_queue_ptr 0
		.amdhsa_user_sgpr_kernarg_segment_ptr 1
		.amdhsa_user_sgpr_dispatch_id 0
		.amdhsa_user_sgpr_flat_scratch_init 0
		.amdhsa_user_sgpr_kernarg_preload_length 0
		.amdhsa_user_sgpr_kernarg_preload_offset 0
		.amdhsa_user_sgpr_private_segment_size 0
		.amdhsa_uses_dynamic_stack 0
		.amdhsa_system_sgpr_private_segment_wavefront_offset 0
		.amdhsa_system_sgpr_workgroup_id_x 1
		.amdhsa_system_sgpr_workgroup_id_y 0
		.amdhsa_system_sgpr_workgroup_id_z 0
		.amdhsa_system_sgpr_workgroup_info 0
		.amdhsa_system_vgpr_workitem_id 0
		.amdhsa_next_free_vgpr 1
		.amdhsa_next_free_sgpr 0
		.amdhsa_accum_offset 4
		.amdhsa_reserve_vcc 0
		.amdhsa_reserve_flat_scratch 0
		.amdhsa_float_round_mode_32 0
		.amdhsa_float_round_mode_16_64 0
		.amdhsa_float_denorm_mode_32 3
		.amdhsa_float_denorm_mode_16_64 3
		.amdhsa_dx10_clamp 1
		.amdhsa_ieee_mode 1
		.amdhsa_fp16_overflow 0
		.amdhsa_tg_split 0
		.amdhsa_exception_fp_ieee_invalid_op 0
		.amdhsa_exception_fp_denorm_src 0
		.amdhsa_exception_fp_ieee_div_zero 0
		.amdhsa_exception_fp_ieee_overflow 0
		.amdhsa_exception_fp_ieee_underflow 0
		.amdhsa_exception_fp_ieee_inexact 0
		.amdhsa_exception_int_div_zero 0
	.end_amdhsa_kernel
	.section	.text._ZN7rocprim17ROCPRIM_400000_NS6detail17trampoline_kernelINS0_13kernel_configILj256ELj4ELj4294967295EEENS1_37radix_sort_block_sort_config_selectorIsNS0_10empty_typeEEEZNS1_21radix_sort_block_sortIS4_Lb1EPsS9_PS6_SA_NS0_19identity_decomposerEEE10hipError_tT1_T2_T3_T4_jRjT5_jjP12ihipStream_tbEUlT_E_NS1_11comp_targetILNS1_3genE5ELNS1_11target_archE942ELNS1_3gpuE9ELNS1_3repE0EEENS1_44radix_sort_block_sort_config_static_selectorELNS0_4arch9wavefront6targetE1EEEvSD_,"axG",@progbits,_ZN7rocprim17ROCPRIM_400000_NS6detail17trampoline_kernelINS0_13kernel_configILj256ELj4ELj4294967295EEENS1_37radix_sort_block_sort_config_selectorIsNS0_10empty_typeEEEZNS1_21radix_sort_block_sortIS4_Lb1EPsS9_PS6_SA_NS0_19identity_decomposerEEE10hipError_tT1_T2_T3_T4_jRjT5_jjP12ihipStream_tbEUlT_E_NS1_11comp_targetILNS1_3genE5ELNS1_11target_archE942ELNS1_3gpuE9ELNS1_3repE0EEENS1_44radix_sort_block_sort_config_static_selectorELNS0_4arch9wavefront6targetE1EEEvSD_,comdat
.Lfunc_end1752:
	.size	_ZN7rocprim17ROCPRIM_400000_NS6detail17trampoline_kernelINS0_13kernel_configILj256ELj4ELj4294967295EEENS1_37radix_sort_block_sort_config_selectorIsNS0_10empty_typeEEEZNS1_21radix_sort_block_sortIS4_Lb1EPsS9_PS6_SA_NS0_19identity_decomposerEEE10hipError_tT1_T2_T3_T4_jRjT5_jjP12ihipStream_tbEUlT_E_NS1_11comp_targetILNS1_3genE5ELNS1_11target_archE942ELNS1_3gpuE9ELNS1_3repE0EEENS1_44radix_sort_block_sort_config_static_selectorELNS0_4arch9wavefront6targetE1EEEvSD_, .Lfunc_end1752-_ZN7rocprim17ROCPRIM_400000_NS6detail17trampoline_kernelINS0_13kernel_configILj256ELj4ELj4294967295EEENS1_37radix_sort_block_sort_config_selectorIsNS0_10empty_typeEEEZNS1_21radix_sort_block_sortIS4_Lb1EPsS9_PS6_SA_NS0_19identity_decomposerEEE10hipError_tT1_T2_T3_T4_jRjT5_jjP12ihipStream_tbEUlT_E_NS1_11comp_targetILNS1_3genE5ELNS1_11target_archE942ELNS1_3gpuE9ELNS1_3repE0EEENS1_44radix_sort_block_sort_config_static_selectorELNS0_4arch9wavefront6targetE1EEEvSD_
                                        ; -- End function
	.section	.AMDGPU.csdata,"",@progbits
; Kernel info:
; codeLenInByte = 0
; NumSgprs: 4
; NumVgprs: 0
; NumAgprs: 0
; TotalNumVgprs: 0
; ScratchSize: 0
; MemoryBound: 0
; FloatMode: 240
; IeeeMode: 1
; LDSByteSize: 0 bytes/workgroup (compile time only)
; SGPRBlocks: 0
; VGPRBlocks: 0
; NumSGPRsForWavesPerEU: 4
; NumVGPRsForWavesPerEU: 1
; AccumOffset: 4
; Occupancy: 8
; WaveLimiterHint : 0
; COMPUTE_PGM_RSRC2:SCRATCH_EN: 0
; COMPUTE_PGM_RSRC2:USER_SGPR: 6
; COMPUTE_PGM_RSRC2:TRAP_HANDLER: 0
; COMPUTE_PGM_RSRC2:TGID_X_EN: 1
; COMPUTE_PGM_RSRC2:TGID_Y_EN: 0
; COMPUTE_PGM_RSRC2:TGID_Z_EN: 0
; COMPUTE_PGM_RSRC2:TIDIG_COMP_CNT: 0
; COMPUTE_PGM_RSRC3_GFX90A:ACCUM_OFFSET: 0
; COMPUTE_PGM_RSRC3_GFX90A:TG_SPLIT: 0
	.section	.text._ZN7rocprim17ROCPRIM_400000_NS6detail17trampoline_kernelINS0_13kernel_configILj256ELj4ELj4294967295EEENS1_37radix_sort_block_sort_config_selectorIsNS0_10empty_typeEEEZNS1_21radix_sort_block_sortIS4_Lb1EPsS9_PS6_SA_NS0_19identity_decomposerEEE10hipError_tT1_T2_T3_T4_jRjT5_jjP12ihipStream_tbEUlT_E_NS1_11comp_targetILNS1_3genE4ELNS1_11target_archE910ELNS1_3gpuE8ELNS1_3repE0EEENS1_44radix_sort_block_sort_config_static_selectorELNS0_4arch9wavefront6targetE1EEEvSD_,"axG",@progbits,_ZN7rocprim17ROCPRIM_400000_NS6detail17trampoline_kernelINS0_13kernel_configILj256ELj4ELj4294967295EEENS1_37radix_sort_block_sort_config_selectorIsNS0_10empty_typeEEEZNS1_21radix_sort_block_sortIS4_Lb1EPsS9_PS6_SA_NS0_19identity_decomposerEEE10hipError_tT1_T2_T3_T4_jRjT5_jjP12ihipStream_tbEUlT_E_NS1_11comp_targetILNS1_3genE4ELNS1_11target_archE910ELNS1_3gpuE8ELNS1_3repE0EEENS1_44radix_sort_block_sort_config_static_selectorELNS0_4arch9wavefront6targetE1EEEvSD_,comdat
	.protected	_ZN7rocprim17ROCPRIM_400000_NS6detail17trampoline_kernelINS0_13kernel_configILj256ELj4ELj4294967295EEENS1_37radix_sort_block_sort_config_selectorIsNS0_10empty_typeEEEZNS1_21radix_sort_block_sortIS4_Lb1EPsS9_PS6_SA_NS0_19identity_decomposerEEE10hipError_tT1_T2_T3_T4_jRjT5_jjP12ihipStream_tbEUlT_E_NS1_11comp_targetILNS1_3genE4ELNS1_11target_archE910ELNS1_3gpuE8ELNS1_3repE0EEENS1_44radix_sort_block_sort_config_static_selectorELNS0_4arch9wavefront6targetE1EEEvSD_ ; -- Begin function _ZN7rocprim17ROCPRIM_400000_NS6detail17trampoline_kernelINS0_13kernel_configILj256ELj4ELj4294967295EEENS1_37radix_sort_block_sort_config_selectorIsNS0_10empty_typeEEEZNS1_21radix_sort_block_sortIS4_Lb1EPsS9_PS6_SA_NS0_19identity_decomposerEEE10hipError_tT1_T2_T3_T4_jRjT5_jjP12ihipStream_tbEUlT_E_NS1_11comp_targetILNS1_3genE4ELNS1_11target_archE910ELNS1_3gpuE8ELNS1_3repE0EEENS1_44radix_sort_block_sort_config_static_selectorELNS0_4arch9wavefront6targetE1EEEvSD_
	.globl	_ZN7rocprim17ROCPRIM_400000_NS6detail17trampoline_kernelINS0_13kernel_configILj256ELj4ELj4294967295EEENS1_37radix_sort_block_sort_config_selectorIsNS0_10empty_typeEEEZNS1_21radix_sort_block_sortIS4_Lb1EPsS9_PS6_SA_NS0_19identity_decomposerEEE10hipError_tT1_T2_T3_T4_jRjT5_jjP12ihipStream_tbEUlT_E_NS1_11comp_targetILNS1_3genE4ELNS1_11target_archE910ELNS1_3gpuE8ELNS1_3repE0EEENS1_44radix_sort_block_sort_config_static_selectorELNS0_4arch9wavefront6targetE1EEEvSD_
	.p2align	8
	.type	_ZN7rocprim17ROCPRIM_400000_NS6detail17trampoline_kernelINS0_13kernel_configILj256ELj4ELj4294967295EEENS1_37radix_sort_block_sort_config_selectorIsNS0_10empty_typeEEEZNS1_21radix_sort_block_sortIS4_Lb1EPsS9_PS6_SA_NS0_19identity_decomposerEEE10hipError_tT1_T2_T3_T4_jRjT5_jjP12ihipStream_tbEUlT_E_NS1_11comp_targetILNS1_3genE4ELNS1_11target_archE910ELNS1_3gpuE8ELNS1_3repE0EEENS1_44radix_sort_block_sort_config_static_selectorELNS0_4arch9wavefront6targetE1EEEvSD_,@function
_ZN7rocprim17ROCPRIM_400000_NS6detail17trampoline_kernelINS0_13kernel_configILj256ELj4ELj4294967295EEENS1_37radix_sort_block_sort_config_selectorIsNS0_10empty_typeEEEZNS1_21radix_sort_block_sortIS4_Lb1EPsS9_PS6_SA_NS0_19identity_decomposerEEE10hipError_tT1_T2_T3_T4_jRjT5_jjP12ihipStream_tbEUlT_E_NS1_11comp_targetILNS1_3genE4ELNS1_11target_archE910ELNS1_3gpuE8ELNS1_3repE0EEENS1_44radix_sort_block_sort_config_static_selectorELNS0_4arch9wavefront6targetE1EEEvSD_: ; @_ZN7rocprim17ROCPRIM_400000_NS6detail17trampoline_kernelINS0_13kernel_configILj256ELj4ELj4294967295EEENS1_37radix_sort_block_sort_config_selectorIsNS0_10empty_typeEEEZNS1_21radix_sort_block_sortIS4_Lb1EPsS9_PS6_SA_NS0_19identity_decomposerEEE10hipError_tT1_T2_T3_T4_jRjT5_jjP12ihipStream_tbEUlT_E_NS1_11comp_targetILNS1_3genE4ELNS1_11target_archE910ELNS1_3gpuE8ELNS1_3repE0EEENS1_44radix_sort_block_sort_config_static_selectorELNS0_4arch9wavefront6targetE1EEEvSD_
; %bb.0:
	s_load_dword s7, s[4:5], 0x20
	s_load_dwordx4 s[28:31], s[4:5], 0x0
	s_lshl_b32 s0, s6, 10
	s_mov_b32 s1, 0
	v_mbcnt_lo_u32_b32 v1, -1, 0
	s_waitcnt lgkmcnt(0)
	s_lshr_b32 s2, s7, 10
	s_cmp_lg_u32 s6, s2
	s_cselect_b64 s[34:35], -1, 0
	s_lshl_b64 s[36:37], s[0:1], 1
	v_mbcnt_hi_u32_b32 v1, -1, v1
	v_and_b32_e32 v4, 0x3ff, v0
	s_add_u32 s1, s28, s36
	v_and_b32_e32 v2, 63, v1
	s_addc_u32 s3, s29, s37
	v_lshlrev_b32_e32 v5, 2, v4
	v_lshlrev_b32_e32 v6, 1, v2
	v_and_b32_e32 v3, 0x300, v5
	v_mov_b32_e32 v7, s3
	v_add_co_u32_e32 v6, vcc, s1, v6
	v_addc_co_u32_e32 v7, vcc, 0, v7, vcc
	v_lshlrev_b32_e32 v8, 1, v3
	v_add_co_u32_e32 v6, vcc, v6, v8
	s_cmp_eq_u32 s6, s2
	v_addc_co_u32_e32 v7, vcc, 0, v7, vcc
	v_or_b32_e32 v9, v2, v3
	s_cbranch_scc1 .LBB1753_2
; %bb.1:
	global_load_ushort v12, v[6:7], off offset:256
	global_load_ushort v13, v[6:7], off offset:384
	global_load_ushort v14, v[6:7], off
	global_load_ushort v15, v[6:7], off offset:128
	s_mov_b32 s1, 0x5040100
	v_or_b32_e32 v16, v2, v3
	v_or_b32_e32 v8, 64, v16
	;; [unrolled: 1-line block ×4, first 2 shown]
	s_waitcnt vmcnt(2)
	v_perm_b32 v3, v13, v12, s1
	s_waitcnt vmcnt(0)
	v_perm_b32 v2, v15, v14, s1
	s_load_dwordx2 s[28:29], s[4:5], 0x28
	s_sub_i32 s33, s7, s0
	s_cbranch_execz .LBB1753_3
	s_branch .LBB1753_12
.LBB1753_2:
                                        ; implicit-def: $vgpr2_vgpr3
                                        ; implicit-def: $vgpr16
                                        ; implicit-def: $vgpr8
                                        ; implicit-def: $vgpr10
                                        ; implicit-def: $vgpr11
	s_load_dwordx2 s[28:29], s[4:5], 0x28
	s_sub_i32 s33, s7, s0
.LBB1753_3:
	s_mov_b32 s0, 0x80008000
	s_mov_b32 s1, s0
	v_cmp_gt_u32_e32 vcc, s33, v9
	v_pk_mov_b32 v[2:3], s[0:1], s[0:1] op_sel:[0,1]
	s_and_saveexec_b64 s[0:1], vcc
	s_cbranch_execz .LBB1753_5
; %bb.4:
	global_load_ushort v2, v[6:7], off
	s_movk_i32 s2, 0x8000
	v_mov_b32_e32 v3, 0x5040100
	s_waitcnt vmcnt(0)
	v_perm_b32 v2, s2, v2, v3
	v_mov_b32_e32 v3, 0x80008000
.LBB1753_5:
	s_or_b64 exec, exec, s[0:1]
	v_or_b32_e32 v8, 64, v9
	v_cmp_gt_u32_e32 vcc, s33, v8
	s_and_saveexec_b64 s[0:1], vcc
	s_cbranch_execz .LBB1753_7
; %bb.6:
	global_load_ushort v10, v[6:7], off offset:128
	s_mov_b32 s2, 0x5040100
	s_waitcnt vmcnt(0)
	v_perm_b32 v2, v10, v2, s2
.LBB1753_7:
	s_or_b64 exec, exec, s[0:1]
	v_or_b32_e32 v10, 0x80, v9
	v_cmp_gt_u32_e32 vcc, s33, v10
	s_and_saveexec_b64 s[0:1], vcc
	s_cbranch_execz .LBB1753_9
; %bb.8:
	global_load_ushort v11, v[6:7], off offset:256
	s_mov_b32 s2, 0xffff
	s_waitcnt vmcnt(0)
	v_bfi_b32 v3, s2, v11, v3
.LBB1753_9:
	s_or_b64 exec, exec, s[0:1]
	v_or_b32_e32 v11, 0xc0, v9
	v_cmp_gt_u32_e32 vcc, s33, v11
	s_and_saveexec_b64 s[0:1], vcc
	s_cbranch_execz .LBB1753_11
; %bb.10:
	global_load_ushort v6, v[6:7], off offset:384
	s_mov_b32 s2, 0x5040100
	s_waitcnt vmcnt(0)
	v_perm_b32 v3, v6, v3, s2
.LBB1753_11:
	s_or_b64 exec, exec, s[0:1]
	v_mov_b32_e32 v16, v9
.LBB1753_12:
	s_load_dword s2, s[4:5], 0x3c
	s_waitcnt lgkmcnt(0)
	s_add_i32 s38, s29, s28
	s_getpc_b64 s[0:1]
	s_add_u32 s0, s0, _ZN7rocprim17ROCPRIM_400000_NS16block_radix_sortIsLj256ELj4ENS0_10empty_typeELj1ELj1ELj0ELNS0_26block_radix_rank_algorithmE1ELNS0_18block_padding_hintE2ELNS0_4arch9wavefront6targetE1EE19radix_bits_per_passE@rel32@lo+4
	s_addc_u32 s1, s1, _ZN7rocprim17ROCPRIM_400000_NS16block_radix_sortIsLj256ELj4ENS0_10empty_typeELj1ELj1ELj0ELNS0_26block_radix_rank_algorithmE1ELNS0_18block_padding_hintE2ELNS0_4arch9wavefront6targetE1EE19radix_bits_per_passE@rel32@hi+12
	s_load_dword s39, s[0:1], 0x0
	v_bfe_u32 v6, v0, 10, 10
	s_lshr_b32 s0, s2, 16
	v_bfe_u32 v0, v0, 20, 10
	s_and_b32 s1, s2, 0xffff
	v_mad_u32_u24 v0, v0, s0, v6
	v_mad_u64_u32 v[6:7], s[0:1], v0, s1, v[4:5]
	v_and_b32_e32 v0, 15, v1
	v_cmp_eq_u32_e64 s[0:1], 0, v0
	v_cmp_lt_u32_e64 s[2:3], 1, v0
	v_cmp_lt_u32_e64 s[4:5], 3, v0
	;; [unrolled: 1-line block ×3, first 2 shown]
	v_and_b32_e32 v0, 16, v1
	v_cmp_eq_u32_e64 s[8:9], 0, v0
	v_and_b32_e32 v0, 0x3c0, v4
	v_min_u32_e32 v0, 0xc0, v0
	v_or_b32_e32 v0, 63, v0
	v_lshrrev_b32_e32 v12, 6, v6
	v_cmp_eq_u32_e64 s[12:13], v0, v4
	v_add_u32_e32 v0, -1, v1
	v_and_b32_e32 v6, 64, v1
	v_cmp_lt_i32_e32 vcc, v0, v6
	v_cndmask_b32_e32 v0, v0, v1, vcc
	s_mov_b32 s26, 0
	v_lshlrev_b32_e32 v13, 2, v0
	v_lshrrev_b32_e32 v0, 4, v4
	v_lshlrev_b32_e32 v5, 2, v5
	v_cmp_lt_u32_e64 s[10:11], 31, v1
	v_cmp_eq_u32_e64 s[18:19], 0, v1
	v_and_b32_e32 v14, 60, v0
	v_mul_i32_i24_e32 v0, -12, v4
	v_and_b32_e32 v1, 3, v1
	s_mov_b32 s27, s26
	s_mov_b32 s40, s26
	;; [unrolled: 1-line block ×3, first 2 shown]
	v_xor_b32_e32 v3, 0x7fff7fff, v3
	v_cmp_gt_u32_e64 s[14:15], 4, v4
	v_cmp_lt_u32_e64 s[16:17], 63, v4
	v_cmp_eq_u32_e64 s[20:21], 0, v4
	v_cmp_eq_u32_e64 s[22:23], 0, v1
	v_cmp_lt_u32_e64 s[24:25], 1, v1
	v_add_u32_e32 v15, -4, v14
	v_lshlrev_b32_e32 v16, 1, v16
	v_lshlrev_b32_e32 v17, 1, v8
	;; [unrolled: 1-line block ×4, first 2 shown]
	v_xor_b32_e32 v22, 0x7fff7fff, v2
	v_pk_mov_b32 v[6:7], s[26:27], s[26:27] op_sel:[0,1]
	v_pk_mov_b32 v[8:9], s[40:41], s[40:41] op_sel:[0,1]
	v_add_u32_e32 v20, v5, v0
	s_mov_b32 s40, 0x5040100
	v_mov_b32_e32 v10, 0
	s_branch .LBB1753_14
.LBB1753_13:                            ;   in Loop: Header=BB1753_14 Depth=1
	s_barrier
	ds_write_b16 v0, v22
	ds_write_b16 v1, v24
	;; [unrolled: 1-line block ×4, first 2 shown]
	s_waitcnt lgkmcnt(0)
	s_barrier
	ds_read_u16 v3, v16
	ds_read_u16 v22, v17
	;; [unrolled: 1-line block ×4, first 2 shown]
	s_add_i32 s29, s29, -8
	s_waitcnt lgkmcnt(2)
	v_perm_b32 v22, v22, v3, s40
	s_waitcnt lgkmcnt(0)
	v_perm_b32 v3, v25, v23, s40
	s_barrier
	s_cbranch_execz .LBB1753_30
.LBB1753_14:                            ; =>This Inner Loop Header: Depth=1
	s_waitcnt lgkmcnt(0)
	s_min_u32 s26, s39, s29
	s_lshl_b32 s26, -1, s26
	s_not_b32 s41, s26
	v_lshrrev_b32_sdwa v0, s28, v22 dst_sel:DWORD dst_unused:UNUSED_PAD src0_sel:DWORD src1_sel:WORD_0
	v_and_b32_e32 v0, s41, v0
	v_lshl_add_u32 v1, v0, 2, v12
	v_lshl_add_u32 v23, v1, 2, 16
	v_and_b32_e32 v1, 1, v0
	v_add_co_u32_e32 v2, vcc, -1, v1
	v_mov_b32_e32 v21, v3
	v_addc_co_u32_e64 v3, s[26:27], 0, -1, vcc
	v_cmp_ne_u32_e32 vcc, 0, v1
	v_lshlrev_b32_e32 v11, 30, v0
	v_xor_b32_e32 v1, vcc_hi, v3
	v_not_b32_e32 v3, v11
	v_xor_b32_e32 v2, vcc_lo, v2
	v_cmp_gt_i64_e32 vcc, 0, v[10:11]
	v_ashrrev_i32_e32 v3, 31, v3
	v_and_b32_e32 v1, exec_hi, v1
	v_xor_b32_e32 v11, vcc_hi, v3
	v_and_b32_e32 v2, exec_lo, v2
	v_xor_b32_e32 v3, vcc_lo, v3
	v_and_b32_e32 v1, v1, v11
	v_lshlrev_b32_e32 v11, 29, v0
	v_and_b32_e32 v2, v2, v3
	v_not_b32_e32 v3, v11
	v_cmp_gt_i64_e32 vcc, 0, v[10:11]
	v_ashrrev_i32_e32 v3, 31, v3
	v_xor_b32_e32 v11, vcc_hi, v3
	v_xor_b32_e32 v3, vcc_lo, v3
	v_and_b32_e32 v1, v1, v11
	v_lshlrev_b32_e32 v11, 28, v0
	v_and_b32_e32 v2, v2, v3
	v_not_b32_e32 v3, v11
	v_cmp_gt_i64_e32 vcc, 0, v[10:11]
	v_ashrrev_i32_e32 v3, 31, v3
	v_xor_b32_e32 v11, vcc_hi, v3
	;; [unrolled: 8-line block ×5, first 2 shown]
	v_and_b32_e32 v1, v1, v11
	v_lshlrev_b32_e32 v11, 24, v0
	v_not_b32_e32 v0, v11
	v_xor_b32_e32 v3, vcc_lo, v3
	v_cmp_gt_i64_e32 vcc, 0, v[10:11]
	v_ashrrev_i32_e32 v0, 31, v0
	v_and_b32_e32 v2, v2, v3
	v_xor_b32_e32 v3, vcc_hi, v0
	v_xor_b32_e32 v0, vcc_lo, v0
	v_and_b32_e32 v0, v2, v0
	v_and_b32_e32 v1, v1, v3
	v_mbcnt_lo_u32_b32 v2, v0, 0
	v_mbcnt_hi_u32_b32 v25, v1, v2
	v_cmp_eq_u32_e32 vcc, 0, v25
	v_cmp_ne_u64_e64 s[26:27], 0, v[0:1]
	s_and_b64 s[42:43], s[26:27], vcc
	ds_write2_b64 v5, v[6:7], v[8:9] offset0:2 offset1:3
	s_waitcnt lgkmcnt(0)
	s_barrier
	s_waitcnt lgkmcnt(0)
	; wave barrier
	s_and_saveexec_b64 s[26:27], s[42:43]
	s_cbranch_execz .LBB1753_16
; %bb.15:                               ;   in Loop: Header=BB1753_14 Depth=1
	v_bcnt_u32_b32 v0, v0, 0
	v_bcnt_u32_b32 v0, v1, v0
	ds_write_b32 v23, v0
.LBB1753_16:                            ;   in Loop: Header=BB1753_14 Depth=1
	s_or_b64 exec, exec, s[26:27]
	v_lshrrev_b32_e32 v24, 16, v22
	v_lshrrev_b32_e32 v0, s28, v24
	v_and_b32_e32 v0, s41, v0
	v_lshlrev_b32_e32 v1, 2, v0
	v_add_lshl_u32 v1, v1, v12, 2
	; wave barrier
	v_add_u32_e32 v27, 16, v1
	ds_read_b32 v26, v1 offset:16
	v_and_b32_e32 v1, 1, v0
	v_add_co_u32_e32 v2, vcc, -1, v1
	v_addc_co_u32_e64 v3, s[26:27], 0, -1, vcc
	v_cmp_ne_u32_e32 vcc, 0, v1
	v_lshlrev_b32_e32 v11, 30, v0
	v_xor_b32_e32 v1, vcc_hi, v3
	v_not_b32_e32 v3, v11
	v_xor_b32_e32 v2, vcc_lo, v2
	v_cmp_gt_i64_e32 vcc, 0, v[10:11]
	v_ashrrev_i32_e32 v3, 31, v3
	v_and_b32_e32 v1, exec_hi, v1
	v_xor_b32_e32 v11, vcc_hi, v3
	v_and_b32_e32 v2, exec_lo, v2
	v_xor_b32_e32 v3, vcc_lo, v3
	v_and_b32_e32 v1, v1, v11
	v_lshlrev_b32_e32 v11, 29, v0
	v_and_b32_e32 v2, v2, v3
	v_not_b32_e32 v3, v11
	v_cmp_gt_i64_e32 vcc, 0, v[10:11]
	v_ashrrev_i32_e32 v3, 31, v3
	v_xor_b32_e32 v11, vcc_hi, v3
	v_xor_b32_e32 v3, vcc_lo, v3
	v_and_b32_e32 v1, v1, v11
	v_lshlrev_b32_e32 v11, 28, v0
	v_and_b32_e32 v2, v2, v3
	v_not_b32_e32 v3, v11
	v_cmp_gt_i64_e32 vcc, 0, v[10:11]
	v_ashrrev_i32_e32 v3, 31, v3
	v_xor_b32_e32 v11, vcc_hi, v3
	;; [unrolled: 8-line block ×5, first 2 shown]
	v_and_b32_e32 v1, v1, v11
	v_lshlrev_b32_e32 v11, 24, v0
	v_not_b32_e32 v0, v11
	v_xor_b32_e32 v3, vcc_lo, v3
	v_cmp_gt_i64_e32 vcc, 0, v[10:11]
	v_ashrrev_i32_e32 v0, 31, v0
	v_and_b32_e32 v2, v2, v3
	v_xor_b32_e32 v3, vcc_hi, v0
	v_xor_b32_e32 v0, vcc_lo, v0
	v_and_b32_e32 v0, v2, v0
	v_and_b32_e32 v1, v1, v3
	v_mbcnt_lo_u32_b32 v2, v0, 0
	v_mbcnt_hi_u32_b32 v28, v1, v2
	v_cmp_eq_u32_e32 vcc, 0, v28
	v_cmp_ne_u64_e64 s[26:27], 0, v[0:1]
	s_and_b64 s[42:43], s[26:27], vcc
	; wave barrier
	s_and_saveexec_b64 s[26:27], s[42:43]
	s_cbranch_execz .LBB1753_18
; %bb.17:                               ;   in Loop: Header=BB1753_14 Depth=1
	v_bcnt_u32_b32 v0, v0, 0
	v_bcnt_u32_b32 v0, v1, v0
	s_waitcnt lgkmcnt(0)
	v_add_u32_e32 v0, v26, v0
	ds_write_b32 v27, v0
.LBB1753_18:                            ;   in Loop: Header=BB1753_14 Depth=1
	s_or_b64 exec, exec, s[26:27]
	v_lshrrev_b32_sdwa v0, s28, v21 dst_sel:DWORD dst_unused:UNUSED_PAD src0_sel:DWORD src1_sel:WORD_0
	v_and_b32_e32 v0, s41, v0
	v_lshlrev_b32_e32 v1, 2, v0
	v_add_lshl_u32 v1, v1, v12, 2
	; wave barrier
	v_add_u32_e32 v30, 16, v1
	ds_read_b32 v29, v1 offset:16
	v_and_b32_e32 v1, 1, v0
	v_add_co_u32_e32 v2, vcc, -1, v1
	v_addc_co_u32_e64 v3, s[26:27], 0, -1, vcc
	v_cmp_ne_u32_e32 vcc, 0, v1
	v_lshlrev_b32_e32 v11, 30, v0
	v_xor_b32_e32 v1, vcc_hi, v3
	v_not_b32_e32 v3, v11
	v_xor_b32_e32 v2, vcc_lo, v2
	v_cmp_gt_i64_e32 vcc, 0, v[10:11]
	v_ashrrev_i32_e32 v3, 31, v3
	v_and_b32_e32 v1, exec_hi, v1
	v_xor_b32_e32 v11, vcc_hi, v3
	v_and_b32_e32 v2, exec_lo, v2
	v_xor_b32_e32 v3, vcc_lo, v3
	v_and_b32_e32 v1, v1, v11
	v_lshlrev_b32_e32 v11, 29, v0
	v_and_b32_e32 v2, v2, v3
	v_not_b32_e32 v3, v11
	v_cmp_gt_i64_e32 vcc, 0, v[10:11]
	v_ashrrev_i32_e32 v3, 31, v3
	v_xor_b32_e32 v11, vcc_hi, v3
	v_xor_b32_e32 v3, vcc_lo, v3
	v_and_b32_e32 v1, v1, v11
	v_lshlrev_b32_e32 v11, 28, v0
	v_and_b32_e32 v2, v2, v3
	v_not_b32_e32 v3, v11
	v_cmp_gt_i64_e32 vcc, 0, v[10:11]
	v_ashrrev_i32_e32 v3, 31, v3
	v_xor_b32_e32 v11, vcc_hi, v3
	;; [unrolled: 8-line block ×5, first 2 shown]
	v_and_b32_e32 v1, v1, v11
	v_lshlrev_b32_e32 v11, 24, v0
	v_not_b32_e32 v0, v11
	v_xor_b32_e32 v3, vcc_lo, v3
	v_cmp_gt_i64_e32 vcc, 0, v[10:11]
	v_ashrrev_i32_e32 v0, 31, v0
	v_and_b32_e32 v2, v2, v3
	v_xor_b32_e32 v3, vcc_hi, v0
	v_xor_b32_e32 v0, vcc_lo, v0
	v_and_b32_e32 v0, v2, v0
	v_and_b32_e32 v1, v1, v3
	v_mbcnt_lo_u32_b32 v2, v0, 0
	v_mbcnt_hi_u32_b32 v32, v1, v2
	v_cmp_eq_u32_e32 vcc, 0, v32
	v_cmp_ne_u64_e64 s[26:27], 0, v[0:1]
	s_and_b64 s[42:43], s[26:27], vcc
	; wave barrier
	s_and_saveexec_b64 s[26:27], s[42:43]
	s_cbranch_execz .LBB1753_20
; %bb.19:                               ;   in Loop: Header=BB1753_14 Depth=1
	v_bcnt_u32_b32 v0, v0, 0
	v_bcnt_u32_b32 v0, v1, v0
	s_waitcnt lgkmcnt(0)
	v_add_u32_e32 v0, v29, v0
	ds_write_b32 v30, v0
.LBB1753_20:                            ;   in Loop: Header=BB1753_14 Depth=1
	s_or_b64 exec, exec, s[26:27]
	v_lshrrev_b32_e32 v31, 16, v21
	v_lshrrev_b32_e32 v0, s28, v31
	v_and_b32_e32 v0, s41, v0
	v_lshlrev_b32_e32 v1, 2, v0
	v_add_lshl_u32 v1, v1, v12, 2
	; wave barrier
	v_add_u32_e32 v34, 16, v1
	ds_read_b32 v33, v1 offset:16
	v_and_b32_e32 v1, 1, v0
	v_add_co_u32_e32 v2, vcc, -1, v1
	v_addc_co_u32_e64 v3, s[26:27], 0, -1, vcc
	v_cmp_ne_u32_e32 vcc, 0, v1
	v_lshlrev_b32_e32 v11, 30, v0
	v_xor_b32_e32 v1, vcc_hi, v3
	v_not_b32_e32 v3, v11
	v_xor_b32_e32 v2, vcc_lo, v2
	v_cmp_gt_i64_e32 vcc, 0, v[10:11]
	v_ashrrev_i32_e32 v3, 31, v3
	v_and_b32_e32 v1, exec_hi, v1
	v_xor_b32_e32 v11, vcc_hi, v3
	v_and_b32_e32 v2, exec_lo, v2
	v_xor_b32_e32 v3, vcc_lo, v3
	v_and_b32_e32 v1, v1, v11
	v_lshlrev_b32_e32 v11, 29, v0
	v_and_b32_e32 v2, v2, v3
	v_not_b32_e32 v3, v11
	v_cmp_gt_i64_e32 vcc, 0, v[10:11]
	v_ashrrev_i32_e32 v3, 31, v3
	v_xor_b32_e32 v11, vcc_hi, v3
	v_xor_b32_e32 v3, vcc_lo, v3
	v_and_b32_e32 v1, v1, v11
	v_lshlrev_b32_e32 v11, 28, v0
	v_and_b32_e32 v2, v2, v3
	v_not_b32_e32 v3, v11
	v_cmp_gt_i64_e32 vcc, 0, v[10:11]
	v_ashrrev_i32_e32 v3, 31, v3
	v_xor_b32_e32 v11, vcc_hi, v3
	;; [unrolled: 8-line block ×5, first 2 shown]
	v_and_b32_e32 v1, v1, v11
	v_lshlrev_b32_e32 v11, 24, v0
	v_not_b32_e32 v0, v11
	v_xor_b32_e32 v3, vcc_lo, v3
	v_cmp_gt_i64_e32 vcc, 0, v[10:11]
	v_ashrrev_i32_e32 v0, 31, v0
	v_and_b32_e32 v2, v2, v3
	v_xor_b32_e32 v3, vcc_hi, v0
	v_xor_b32_e32 v0, vcc_lo, v0
	v_and_b32_e32 v0, v2, v0
	v_and_b32_e32 v1, v1, v3
	v_mbcnt_lo_u32_b32 v2, v0, 0
	v_mbcnt_hi_u32_b32 v11, v1, v2
	v_cmp_eq_u32_e32 vcc, 0, v11
	v_cmp_ne_u64_e64 s[26:27], 0, v[0:1]
	s_and_b64 s[42:43], s[26:27], vcc
	; wave barrier
	s_and_saveexec_b64 s[26:27], s[42:43]
	s_cbranch_execz .LBB1753_22
; %bb.21:                               ;   in Loop: Header=BB1753_14 Depth=1
	v_bcnt_u32_b32 v0, v0, 0
	v_bcnt_u32_b32 v0, v1, v0
	s_waitcnt lgkmcnt(0)
	v_add_u32_e32 v0, v33, v0
	ds_write_b32 v34, v0
.LBB1753_22:                            ;   in Loop: Header=BB1753_14 Depth=1
	s_or_b64 exec, exec, s[26:27]
	; wave barrier
	s_waitcnt lgkmcnt(0)
	s_barrier
	ds_read2_b64 v[0:3], v5 offset0:2 offset1:3
	s_waitcnt lgkmcnt(0)
	v_add_u32_e32 v35, v1, v0
	v_add3_u32 v3, v35, v2, v3
	s_nop 1
	v_mov_b32_dpp v35, v3 row_shr:1 row_mask:0xf bank_mask:0xf
	v_cndmask_b32_e64 v35, v35, 0, s[0:1]
	v_add_u32_e32 v3, v35, v3
	s_nop 1
	v_mov_b32_dpp v35, v3 row_shr:2 row_mask:0xf bank_mask:0xf
	v_cndmask_b32_e64 v35, 0, v35, s[2:3]
	v_add_u32_e32 v3, v3, v35
	;; [unrolled: 4-line block ×4, first 2 shown]
	s_nop 1
	v_mov_b32_dpp v35, v3 row_bcast:15 row_mask:0xf bank_mask:0xf
	v_cndmask_b32_e64 v35, v35, 0, s[8:9]
	v_add_u32_e32 v3, v3, v35
	s_nop 1
	v_mov_b32_dpp v35, v3 row_bcast:31 row_mask:0xf bank_mask:0xf
	v_cndmask_b32_e64 v35, 0, v35, s[10:11]
	v_add_u32_e32 v3, v3, v35
	s_and_saveexec_b64 s[26:27], s[12:13]
	s_cbranch_execz .LBB1753_24
; %bb.23:                               ;   in Loop: Header=BB1753_14 Depth=1
	ds_write_b32 v14, v3
.LBB1753_24:                            ;   in Loop: Header=BB1753_14 Depth=1
	s_or_b64 exec, exec, s[26:27]
	s_waitcnt lgkmcnt(0)
	s_barrier
	s_and_saveexec_b64 s[26:27], s[14:15]
	s_cbranch_execz .LBB1753_26
; %bb.25:                               ;   in Loop: Header=BB1753_14 Depth=1
	ds_read_b32 v35, v20
	s_waitcnt lgkmcnt(0)
	s_nop 0
	v_mov_b32_dpp v36, v35 row_shr:1 row_mask:0xf bank_mask:0xf
	v_cndmask_b32_e64 v36, v36, 0, s[22:23]
	v_add_u32_e32 v35, v36, v35
	s_nop 1
	v_mov_b32_dpp v36, v35 row_shr:2 row_mask:0xf bank_mask:0xf
	v_cndmask_b32_e64 v36, 0, v36, s[24:25]
	v_add_u32_e32 v35, v35, v36
	ds_write_b32 v20, v35
.LBB1753_26:                            ;   in Loop: Header=BB1753_14 Depth=1
	s_or_b64 exec, exec, s[26:27]
	v_mov_b32_e32 v36, 0
	s_waitcnt lgkmcnt(0)
	s_barrier
	s_and_saveexec_b64 s[26:27], s[16:17]
	s_cbranch_execz .LBB1753_28
; %bb.27:                               ;   in Loop: Header=BB1753_14 Depth=1
	ds_read_b32 v36, v15
.LBB1753_28:                            ;   in Loop: Header=BB1753_14 Depth=1
	s_or_b64 exec, exec, s[26:27]
	s_waitcnt lgkmcnt(0)
	v_add_u32_e32 v3, v36, v3
	ds_bpermute_b32 v3, v13, v3
	s_add_i32 s28, s28, 8
	v_lshlrev_b32_e32 v11, 1, v11
	v_mov_b32_e32 v35, v22
	s_cmp_ge_u32 s28, s38
	s_waitcnt lgkmcnt(0)
	v_cndmask_b32_e64 v3, v3, v36, s[18:19]
	v_cndmask_b32_e64 v36, v3, 0, s[20:21]
	v_add_u32_e32 v37, v36, v0
	v_add_u32_e32 v0, v37, v1
	;; [unrolled: 1-line block ×3, first 2 shown]
	ds_write2_b64 v5, v[36:37], v[0:1] offset0:2 offset1:3
	s_waitcnt lgkmcnt(0)
	s_barrier
	ds_read_b32 v0, v23
	ds_read_b32 v1, v27
	ds_read_b32 v2, v30
	ds_read_b32 v3, v34
	v_lshlrev_b32_e32 v23, 1, v25
	s_waitcnt lgkmcnt(3)
	v_lshl_add_u32 v0, v0, 1, v23
	v_lshlrev_b32_e32 v23, 1, v28
	v_lshlrev_b32_e32 v25, 1, v26
	s_waitcnt lgkmcnt(2)
	v_lshlrev_b32_e32 v1, 1, v1
	v_add3_u32 v1, v23, v25, v1
	v_lshlrev_b32_e32 v23, 1, v32
	v_lshlrev_b32_e32 v25, 1, v29
	s_waitcnt lgkmcnt(1)
	v_lshlrev_b32_e32 v2, 1, v2
	v_add3_u32 v2, v23, v25, v2
	v_lshlrev_b32_e32 v23, 1, v33
	s_waitcnt lgkmcnt(0)
	v_lshlrev_b32_e32 v3, 1, v3
	v_add3_u32 v11, v11, v23, v3
	s_cbranch_scc0 .LBB1753_13
; %bb.29:
                                        ; implicit-def: $vgpr3
                                        ; implicit-def: $vgpr22
                                        ; implicit-def: $sgpr28
.LBB1753_30:
	s_barrier
	ds_write_b16 v0, v35
	ds_write_b16 v1, v24
	;; [unrolled: 1-line block ×4, first 2 shown]
	v_lshlrev_b32_e32 v0, 1, v4
	s_waitcnt lgkmcnt(0)
	s_barrier
	ds_read_u16 v1, v0
	ds_read_u16 v3, v0 offset:512
	ds_read_u16 v7, v0 offset:1024
	;; [unrolled: 1-line block ×3, first 2 shown]
	s_add_u32 s0, s30, s36
	s_addc_u32 s1, s31, s37
	s_waitcnt lgkmcnt(3)
	v_xor_b32_e32 v6, 0x7fff, v1
	v_mov_b32_e32 v1, s1
	v_add_co_u32_e64 v0, s[0:1], s0, v0
	s_waitcnt lgkmcnt(2)
	v_xor_b32_e32 v5, 0x7fff, v3
	s_waitcnt lgkmcnt(1)
	v_xor_b32_e32 v3, 0x7fff, v7
	s_andn2_b64 vcc, exec, s[34:35]
	v_addc_co_u32_e64 v1, s[0:1], 0, v1, s[0:1]
	s_cbranch_vccnz .LBB1753_32
; %bb.31:
	s_mov_b64 s[0:1], -1
	global_store_short v[0:1], v6, off
	global_store_short v[0:1], v5, off offset:512
	global_store_short v[0:1], v3, off offset:1024
	s_cbranch_execz .LBB1753_33
	s_branch .LBB1753_40
.LBB1753_32:
	s_mov_b64 s[0:1], 0
.LBB1753_33:
	v_cmp_gt_u32_e32 vcc, s33, v4
	s_and_saveexec_b64 s[0:1], vcc
	s_cbranch_execz .LBB1753_35
; %bb.34:
	global_store_short v[0:1], v6, off
.LBB1753_35:
	s_or_b64 exec, exec, s[0:1]
	v_add_u32_e32 v6, 0x100, v4
	v_cmp_gt_u32_e32 vcc, s33, v6
	s_and_saveexec_b64 s[0:1], vcc
	s_cbranch_execz .LBB1753_37
; %bb.36:
	global_store_short v[0:1], v5, off offset:512
.LBB1753_37:
	s_or_b64 exec, exec, s[0:1]
	v_add_u32_e32 v5, 0x200, v4
	v_cmp_gt_u32_e32 vcc, s33, v5
	s_and_saveexec_b64 s[0:1], vcc
	s_cbranch_execz .LBB1753_39
; %bb.38:
	global_store_short v[0:1], v3, off offset:1024
.LBB1753_39:
	s_or_b64 exec, exec, s[0:1]
	v_add_u32_e32 v3, 0x300, v4
	v_cmp_gt_u32_e64 s[0:1], s33, v3
.LBB1753_40:
	s_and_saveexec_b64 s[2:3], s[0:1]
	s_cbranch_execnz .LBB1753_42
; %bb.41:
	s_endpgm
.LBB1753_42:
	s_waitcnt lgkmcnt(0)
	v_xor_b32_e32 v2, 0x7fff, v2
	global_store_short v[0:1], v2, off offset:1536
	s_endpgm
	.section	.rodata,"a",@progbits
	.p2align	6, 0x0
	.amdhsa_kernel _ZN7rocprim17ROCPRIM_400000_NS6detail17trampoline_kernelINS0_13kernel_configILj256ELj4ELj4294967295EEENS1_37radix_sort_block_sort_config_selectorIsNS0_10empty_typeEEEZNS1_21radix_sort_block_sortIS4_Lb1EPsS9_PS6_SA_NS0_19identity_decomposerEEE10hipError_tT1_T2_T3_T4_jRjT5_jjP12ihipStream_tbEUlT_E_NS1_11comp_targetILNS1_3genE4ELNS1_11target_archE910ELNS1_3gpuE8ELNS1_3repE0EEENS1_44radix_sort_block_sort_config_static_selectorELNS0_4arch9wavefront6targetE1EEEvSD_
		.amdhsa_group_segment_fixed_size 4112
		.amdhsa_private_segment_fixed_size 0
		.amdhsa_kernarg_size 304
		.amdhsa_user_sgpr_count 6
		.amdhsa_user_sgpr_private_segment_buffer 1
		.amdhsa_user_sgpr_dispatch_ptr 0
		.amdhsa_user_sgpr_queue_ptr 0
		.amdhsa_user_sgpr_kernarg_segment_ptr 1
		.amdhsa_user_sgpr_dispatch_id 0
		.amdhsa_user_sgpr_flat_scratch_init 0
		.amdhsa_user_sgpr_kernarg_preload_length 0
		.amdhsa_user_sgpr_kernarg_preload_offset 0
		.amdhsa_user_sgpr_private_segment_size 0
		.amdhsa_uses_dynamic_stack 0
		.amdhsa_system_sgpr_private_segment_wavefront_offset 0
		.amdhsa_system_sgpr_workgroup_id_x 1
		.amdhsa_system_sgpr_workgroup_id_y 0
		.amdhsa_system_sgpr_workgroup_id_z 0
		.amdhsa_system_sgpr_workgroup_info 0
		.amdhsa_system_vgpr_workitem_id 2
		.amdhsa_next_free_vgpr 38
		.amdhsa_next_free_sgpr 44
		.amdhsa_accum_offset 40
		.amdhsa_reserve_vcc 1
		.amdhsa_reserve_flat_scratch 0
		.amdhsa_float_round_mode_32 0
		.amdhsa_float_round_mode_16_64 0
		.amdhsa_float_denorm_mode_32 3
		.amdhsa_float_denorm_mode_16_64 3
		.amdhsa_dx10_clamp 1
		.amdhsa_ieee_mode 1
		.amdhsa_fp16_overflow 0
		.amdhsa_tg_split 0
		.amdhsa_exception_fp_ieee_invalid_op 0
		.amdhsa_exception_fp_denorm_src 0
		.amdhsa_exception_fp_ieee_div_zero 0
		.amdhsa_exception_fp_ieee_overflow 0
		.amdhsa_exception_fp_ieee_underflow 0
		.amdhsa_exception_fp_ieee_inexact 0
		.amdhsa_exception_int_div_zero 0
	.end_amdhsa_kernel
	.section	.text._ZN7rocprim17ROCPRIM_400000_NS6detail17trampoline_kernelINS0_13kernel_configILj256ELj4ELj4294967295EEENS1_37radix_sort_block_sort_config_selectorIsNS0_10empty_typeEEEZNS1_21radix_sort_block_sortIS4_Lb1EPsS9_PS6_SA_NS0_19identity_decomposerEEE10hipError_tT1_T2_T3_T4_jRjT5_jjP12ihipStream_tbEUlT_E_NS1_11comp_targetILNS1_3genE4ELNS1_11target_archE910ELNS1_3gpuE8ELNS1_3repE0EEENS1_44radix_sort_block_sort_config_static_selectorELNS0_4arch9wavefront6targetE1EEEvSD_,"axG",@progbits,_ZN7rocprim17ROCPRIM_400000_NS6detail17trampoline_kernelINS0_13kernel_configILj256ELj4ELj4294967295EEENS1_37radix_sort_block_sort_config_selectorIsNS0_10empty_typeEEEZNS1_21radix_sort_block_sortIS4_Lb1EPsS9_PS6_SA_NS0_19identity_decomposerEEE10hipError_tT1_T2_T3_T4_jRjT5_jjP12ihipStream_tbEUlT_E_NS1_11comp_targetILNS1_3genE4ELNS1_11target_archE910ELNS1_3gpuE8ELNS1_3repE0EEENS1_44radix_sort_block_sort_config_static_selectorELNS0_4arch9wavefront6targetE1EEEvSD_,comdat
.Lfunc_end1753:
	.size	_ZN7rocprim17ROCPRIM_400000_NS6detail17trampoline_kernelINS0_13kernel_configILj256ELj4ELj4294967295EEENS1_37radix_sort_block_sort_config_selectorIsNS0_10empty_typeEEEZNS1_21radix_sort_block_sortIS4_Lb1EPsS9_PS6_SA_NS0_19identity_decomposerEEE10hipError_tT1_T2_T3_T4_jRjT5_jjP12ihipStream_tbEUlT_E_NS1_11comp_targetILNS1_3genE4ELNS1_11target_archE910ELNS1_3gpuE8ELNS1_3repE0EEENS1_44radix_sort_block_sort_config_static_selectorELNS0_4arch9wavefront6targetE1EEEvSD_, .Lfunc_end1753-_ZN7rocprim17ROCPRIM_400000_NS6detail17trampoline_kernelINS0_13kernel_configILj256ELj4ELj4294967295EEENS1_37radix_sort_block_sort_config_selectorIsNS0_10empty_typeEEEZNS1_21radix_sort_block_sortIS4_Lb1EPsS9_PS6_SA_NS0_19identity_decomposerEEE10hipError_tT1_T2_T3_T4_jRjT5_jjP12ihipStream_tbEUlT_E_NS1_11comp_targetILNS1_3genE4ELNS1_11target_archE910ELNS1_3gpuE8ELNS1_3repE0EEENS1_44radix_sort_block_sort_config_static_selectorELNS0_4arch9wavefront6targetE1EEEvSD_
                                        ; -- End function
	.section	.AMDGPU.csdata,"",@progbits
; Kernel info:
; codeLenInByte = 3308
; NumSgprs: 48
; NumVgprs: 38
; NumAgprs: 0
; TotalNumVgprs: 38
; ScratchSize: 0
; MemoryBound: 0
; FloatMode: 240
; IeeeMode: 1
; LDSByteSize: 4112 bytes/workgroup (compile time only)
; SGPRBlocks: 5
; VGPRBlocks: 4
; NumSGPRsForWavesPerEU: 48
; NumVGPRsForWavesPerEU: 38
; AccumOffset: 40
; Occupancy: 8
; WaveLimiterHint : 1
; COMPUTE_PGM_RSRC2:SCRATCH_EN: 0
; COMPUTE_PGM_RSRC2:USER_SGPR: 6
; COMPUTE_PGM_RSRC2:TRAP_HANDLER: 0
; COMPUTE_PGM_RSRC2:TGID_X_EN: 1
; COMPUTE_PGM_RSRC2:TGID_Y_EN: 0
; COMPUTE_PGM_RSRC2:TGID_Z_EN: 0
; COMPUTE_PGM_RSRC2:TIDIG_COMP_CNT: 2
; COMPUTE_PGM_RSRC3_GFX90A:ACCUM_OFFSET: 9
; COMPUTE_PGM_RSRC3_GFX90A:TG_SPLIT: 0
	.section	.text._ZN7rocprim17ROCPRIM_400000_NS6detail17trampoline_kernelINS0_13kernel_configILj256ELj4ELj4294967295EEENS1_37radix_sort_block_sort_config_selectorIsNS0_10empty_typeEEEZNS1_21radix_sort_block_sortIS4_Lb1EPsS9_PS6_SA_NS0_19identity_decomposerEEE10hipError_tT1_T2_T3_T4_jRjT5_jjP12ihipStream_tbEUlT_E_NS1_11comp_targetILNS1_3genE3ELNS1_11target_archE908ELNS1_3gpuE7ELNS1_3repE0EEENS1_44radix_sort_block_sort_config_static_selectorELNS0_4arch9wavefront6targetE1EEEvSD_,"axG",@progbits,_ZN7rocprim17ROCPRIM_400000_NS6detail17trampoline_kernelINS0_13kernel_configILj256ELj4ELj4294967295EEENS1_37radix_sort_block_sort_config_selectorIsNS0_10empty_typeEEEZNS1_21radix_sort_block_sortIS4_Lb1EPsS9_PS6_SA_NS0_19identity_decomposerEEE10hipError_tT1_T2_T3_T4_jRjT5_jjP12ihipStream_tbEUlT_E_NS1_11comp_targetILNS1_3genE3ELNS1_11target_archE908ELNS1_3gpuE7ELNS1_3repE0EEENS1_44radix_sort_block_sort_config_static_selectorELNS0_4arch9wavefront6targetE1EEEvSD_,comdat
	.protected	_ZN7rocprim17ROCPRIM_400000_NS6detail17trampoline_kernelINS0_13kernel_configILj256ELj4ELj4294967295EEENS1_37radix_sort_block_sort_config_selectorIsNS0_10empty_typeEEEZNS1_21radix_sort_block_sortIS4_Lb1EPsS9_PS6_SA_NS0_19identity_decomposerEEE10hipError_tT1_T2_T3_T4_jRjT5_jjP12ihipStream_tbEUlT_E_NS1_11comp_targetILNS1_3genE3ELNS1_11target_archE908ELNS1_3gpuE7ELNS1_3repE0EEENS1_44radix_sort_block_sort_config_static_selectorELNS0_4arch9wavefront6targetE1EEEvSD_ ; -- Begin function _ZN7rocprim17ROCPRIM_400000_NS6detail17trampoline_kernelINS0_13kernel_configILj256ELj4ELj4294967295EEENS1_37radix_sort_block_sort_config_selectorIsNS0_10empty_typeEEEZNS1_21radix_sort_block_sortIS4_Lb1EPsS9_PS6_SA_NS0_19identity_decomposerEEE10hipError_tT1_T2_T3_T4_jRjT5_jjP12ihipStream_tbEUlT_E_NS1_11comp_targetILNS1_3genE3ELNS1_11target_archE908ELNS1_3gpuE7ELNS1_3repE0EEENS1_44radix_sort_block_sort_config_static_selectorELNS0_4arch9wavefront6targetE1EEEvSD_
	.globl	_ZN7rocprim17ROCPRIM_400000_NS6detail17trampoline_kernelINS0_13kernel_configILj256ELj4ELj4294967295EEENS1_37radix_sort_block_sort_config_selectorIsNS0_10empty_typeEEEZNS1_21radix_sort_block_sortIS4_Lb1EPsS9_PS6_SA_NS0_19identity_decomposerEEE10hipError_tT1_T2_T3_T4_jRjT5_jjP12ihipStream_tbEUlT_E_NS1_11comp_targetILNS1_3genE3ELNS1_11target_archE908ELNS1_3gpuE7ELNS1_3repE0EEENS1_44radix_sort_block_sort_config_static_selectorELNS0_4arch9wavefront6targetE1EEEvSD_
	.p2align	8
	.type	_ZN7rocprim17ROCPRIM_400000_NS6detail17trampoline_kernelINS0_13kernel_configILj256ELj4ELj4294967295EEENS1_37radix_sort_block_sort_config_selectorIsNS0_10empty_typeEEEZNS1_21radix_sort_block_sortIS4_Lb1EPsS9_PS6_SA_NS0_19identity_decomposerEEE10hipError_tT1_T2_T3_T4_jRjT5_jjP12ihipStream_tbEUlT_E_NS1_11comp_targetILNS1_3genE3ELNS1_11target_archE908ELNS1_3gpuE7ELNS1_3repE0EEENS1_44radix_sort_block_sort_config_static_selectorELNS0_4arch9wavefront6targetE1EEEvSD_,@function
_ZN7rocprim17ROCPRIM_400000_NS6detail17trampoline_kernelINS0_13kernel_configILj256ELj4ELj4294967295EEENS1_37radix_sort_block_sort_config_selectorIsNS0_10empty_typeEEEZNS1_21radix_sort_block_sortIS4_Lb1EPsS9_PS6_SA_NS0_19identity_decomposerEEE10hipError_tT1_T2_T3_T4_jRjT5_jjP12ihipStream_tbEUlT_E_NS1_11comp_targetILNS1_3genE3ELNS1_11target_archE908ELNS1_3gpuE7ELNS1_3repE0EEENS1_44radix_sort_block_sort_config_static_selectorELNS0_4arch9wavefront6targetE1EEEvSD_: ; @_ZN7rocprim17ROCPRIM_400000_NS6detail17trampoline_kernelINS0_13kernel_configILj256ELj4ELj4294967295EEENS1_37radix_sort_block_sort_config_selectorIsNS0_10empty_typeEEEZNS1_21radix_sort_block_sortIS4_Lb1EPsS9_PS6_SA_NS0_19identity_decomposerEEE10hipError_tT1_T2_T3_T4_jRjT5_jjP12ihipStream_tbEUlT_E_NS1_11comp_targetILNS1_3genE3ELNS1_11target_archE908ELNS1_3gpuE7ELNS1_3repE0EEENS1_44radix_sort_block_sort_config_static_selectorELNS0_4arch9wavefront6targetE1EEEvSD_
; %bb.0:
	.section	.rodata,"a",@progbits
	.p2align	6, 0x0
	.amdhsa_kernel _ZN7rocprim17ROCPRIM_400000_NS6detail17trampoline_kernelINS0_13kernel_configILj256ELj4ELj4294967295EEENS1_37radix_sort_block_sort_config_selectorIsNS0_10empty_typeEEEZNS1_21radix_sort_block_sortIS4_Lb1EPsS9_PS6_SA_NS0_19identity_decomposerEEE10hipError_tT1_T2_T3_T4_jRjT5_jjP12ihipStream_tbEUlT_E_NS1_11comp_targetILNS1_3genE3ELNS1_11target_archE908ELNS1_3gpuE7ELNS1_3repE0EEENS1_44radix_sort_block_sort_config_static_selectorELNS0_4arch9wavefront6targetE1EEEvSD_
		.amdhsa_group_segment_fixed_size 0
		.amdhsa_private_segment_fixed_size 0
		.amdhsa_kernarg_size 48
		.amdhsa_user_sgpr_count 6
		.amdhsa_user_sgpr_private_segment_buffer 1
		.amdhsa_user_sgpr_dispatch_ptr 0
		.amdhsa_user_sgpr_queue_ptr 0
		.amdhsa_user_sgpr_kernarg_segment_ptr 1
		.amdhsa_user_sgpr_dispatch_id 0
		.amdhsa_user_sgpr_flat_scratch_init 0
		.amdhsa_user_sgpr_kernarg_preload_length 0
		.amdhsa_user_sgpr_kernarg_preload_offset 0
		.amdhsa_user_sgpr_private_segment_size 0
		.amdhsa_uses_dynamic_stack 0
		.amdhsa_system_sgpr_private_segment_wavefront_offset 0
		.amdhsa_system_sgpr_workgroup_id_x 1
		.amdhsa_system_sgpr_workgroup_id_y 0
		.amdhsa_system_sgpr_workgroup_id_z 0
		.amdhsa_system_sgpr_workgroup_info 0
		.amdhsa_system_vgpr_workitem_id 0
		.amdhsa_next_free_vgpr 1
		.amdhsa_next_free_sgpr 0
		.amdhsa_accum_offset 4
		.amdhsa_reserve_vcc 0
		.amdhsa_reserve_flat_scratch 0
		.amdhsa_float_round_mode_32 0
		.amdhsa_float_round_mode_16_64 0
		.amdhsa_float_denorm_mode_32 3
		.amdhsa_float_denorm_mode_16_64 3
		.amdhsa_dx10_clamp 1
		.amdhsa_ieee_mode 1
		.amdhsa_fp16_overflow 0
		.amdhsa_tg_split 0
		.amdhsa_exception_fp_ieee_invalid_op 0
		.amdhsa_exception_fp_denorm_src 0
		.amdhsa_exception_fp_ieee_div_zero 0
		.amdhsa_exception_fp_ieee_overflow 0
		.amdhsa_exception_fp_ieee_underflow 0
		.amdhsa_exception_fp_ieee_inexact 0
		.amdhsa_exception_int_div_zero 0
	.end_amdhsa_kernel
	.section	.text._ZN7rocprim17ROCPRIM_400000_NS6detail17trampoline_kernelINS0_13kernel_configILj256ELj4ELj4294967295EEENS1_37radix_sort_block_sort_config_selectorIsNS0_10empty_typeEEEZNS1_21radix_sort_block_sortIS4_Lb1EPsS9_PS6_SA_NS0_19identity_decomposerEEE10hipError_tT1_T2_T3_T4_jRjT5_jjP12ihipStream_tbEUlT_E_NS1_11comp_targetILNS1_3genE3ELNS1_11target_archE908ELNS1_3gpuE7ELNS1_3repE0EEENS1_44radix_sort_block_sort_config_static_selectorELNS0_4arch9wavefront6targetE1EEEvSD_,"axG",@progbits,_ZN7rocprim17ROCPRIM_400000_NS6detail17trampoline_kernelINS0_13kernel_configILj256ELj4ELj4294967295EEENS1_37radix_sort_block_sort_config_selectorIsNS0_10empty_typeEEEZNS1_21radix_sort_block_sortIS4_Lb1EPsS9_PS6_SA_NS0_19identity_decomposerEEE10hipError_tT1_T2_T3_T4_jRjT5_jjP12ihipStream_tbEUlT_E_NS1_11comp_targetILNS1_3genE3ELNS1_11target_archE908ELNS1_3gpuE7ELNS1_3repE0EEENS1_44radix_sort_block_sort_config_static_selectorELNS0_4arch9wavefront6targetE1EEEvSD_,comdat
.Lfunc_end1754:
	.size	_ZN7rocprim17ROCPRIM_400000_NS6detail17trampoline_kernelINS0_13kernel_configILj256ELj4ELj4294967295EEENS1_37radix_sort_block_sort_config_selectorIsNS0_10empty_typeEEEZNS1_21radix_sort_block_sortIS4_Lb1EPsS9_PS6_SA_NS0_19identity_decomposerEEE10hipError_tT1_T2_T3_T4_jRjT5_jjP12ihipStream_tbEUlT_E_NS1_11comp_targetILNS1_3genE3ELNS1_11target_archE908ELNS1_3gpuE7ELNS1_3repE0EEENS1_44radix_sort_block_sort_config_static_selectorELNS0_4arch9wavefront6targetE1EEEvSD_, .Lfunc_end1754-_ZN7rocprim17ROCPRIM_400000_NS6detail17trampoline_kernelINS0_13kernel_configILj256ELj4ELj4294967295EEENS1_37radix_sort_block_sort_config_selectorIsNS0_10empty_typeEEEZNS1_21radix_sort_block_sortIS4_Lb1EPsS9_PS6_SA_NS0_19identity_decomposerEEE10hipError_tT1_T2_T3_T4_jRjT5_jjP12ihipStream_tbEUlT_E_NS1_11comp_targetILNS1_3genE3ELNS1_11target_archE908ELNS1_3gpuE7ELNS1_3repE0EEENS1_44radix_sort_block_sort_config_static_selectorELNS0_4arch9wavefront6targetE1EEEvSD_
                                        ; -- End function
	.section	.AMDGPU.csdata,"",@progbits
; Kernel info:
; codeLenInByte = 0
; NumSgprs: 4
; NumVgprs: 0
; NumAgprs: 0
; TotalNumVgprs: 0
; ScratchSize: 0
; MemoryBound: 0
; FloatMode: 240
; IeeeMode: 1
; LDSByteSize: 0 bytes/workgroup (compile time only)
; SGPRBlocks: 0
; VGPRBlocks: 0
; NumSGPRsForWavesPerEU: 4
; NumVGPRsForWavesPerEU: 1
; AccumOffset: 4
; Occupancy: 8
; WaveLimiterHint : 0
; COMPUTE_PGM_RSRC2:SCRATCH_EN: 0
; COMPUTE_PGM_RSRC2:USER_SGPR: 6
; COMPUTE_PGM_RSRC2:TRAP_HANDLER: 0
; COMPUTE_PGM_RSRC2:TGID_X_EN: 1
; COMPUTE_PGM_RSRC2:TGID_Y_EN: 0
; COMPUTE_PGM_RSRC2:TGID_Z_EN: 0
; COMPUTE_PGM_RSRC2:TIDIG_COMP_CNT: 0
; COMPUTE_PGM_RSRC3_GFX90A:ACCUM_OFFSET: 0
; COMPUTE_PGM_RSRC3_GFX90A:TG_SPLIT: 0
	.section	.text._ZN7rocprim17ROCPRIM_400000_NS6detail17trampoline_kernelINS0_13kernel_configILj256ELj4ELj4294967295EEENS1_37radix_sort_block_sort_config_selectorIsNS0_10empty_typeEEEZNS1_21radix_sort_block_sortIS4_Lb1EPsS9_PS6_SA_NS0_19identity_decomposerEEE10hipError_tT1_T2_T3_T4_jRjT5_jjP12ihipStream_tbEUlT_E_NS1_11comp_targetILNS1_3genE2ELNS1_11target_archE906ELNS1_3gpuE6ELNS1_3repE0EEENS1_44radix_sort_block_sort_config_static_selectorELNS0_4arch9wavefront6targetE1EEEvSD_,"axG",@progbits,_ZN7rocprim17ROCPRIM_400000_NS6detail17trampoline_kernelINS0_13kernel_configILj256ELj4ELj4294967295EEENS1_37radix_sort_block_sort_config_selectorIsNS0_10empty_typeEEEZNS1_21radix_sort_block_sortIS4_Lb1EPsS9_PS6_SA_NS0_19identity_decomposerEEE10hipError_tT1_T2_T3_T4_jRjT5_jjP12ihipStream_tbEUlT_E_NS1_11comp_targetILNS1_3genE2ELNS1_11target_archE906ELNS1_3gpuE6ELNS1_3repE0EEENS1_44radix_sort_block_sort_config_static_selectorELNS0_4arch9wavefront6targetE1EEEvSD_,comdat
	.protected	_ZN7rocprim17ROCPRIM_400000_NS6detail17trampoline_kernelINS0_13kernel_configILj256ELj4ELj4294967295EEENS1_37radix_sort_block_sort_config_selectorIsNS0_10empty_typeEEEZNS1_21radix_sort_block_sortIS4_Lb1EPsS9_PS6_SA_NS0_19identity_decomposerEEE10hipError_tT1_T2_T3_T4_jRjT5_jjP12ihipStream_tbEUlT_E_NS1_11comp_targetILNS1_3genE2ELNS1_11target_archE906ELNS1_3gpuE6ELNS1_3repE0EEENS1_44radix_sort_block_sort_config_static_selectorELNS0_4arch9wavefront6targetE1EEEvSD_ ; -- Begin function _ZN7rocprim17ROCPRIM_400000_NS6detail17trampoline_kernelINS0_13kernel_configILj256ELj4ELj4294967295EEENS1_37radix_sort_block_sort_config_selectorIsNS0_10empty_typeEEEZNS1_21radix_sort_block_sortIS4_Lb1EPsS9_PS6_SA_NS0_19identity_decomposerEEE10hipError_tT1_T2_T3_T4_jRjT5_jjP12ihipStream_tbEUlT_E_NS1_11comp_targetILNS1_3genE2ELNS1_11target_archE906ELNS1_3gpuE6ELNS1_3repE0EEENS1_44radix_sort_block_sort_config_static_selectorELNS0_4arch9wavefront6targetE1EEEvSD_
	.globl	_ZN7rocprim17ROCPRIM_400000_NS6detail17trampoline_kernelINS0_13kernel_configILj256ELj4ELj4294967295EEENS1_37radix_sort_block_sort_config_selectorIsNS0_10empty_typeEEEZNS1_21radix_sort_block_sortIS4_Lb1EPsS9_PS6_SA_NS0_19identity_decomposerEEE10hipError_tT1_T2_T3_T4_jRjT5_jjP12ihipStream_tbEUlT_E_NS1_11comp_targetILNS1_3genE2ELNS1_11target_archE906ELNS1_3gpuE6ELNS1_3repE0EEENS1_44radix_sort_block_sort_config_static_selectorELNS0_4arch9wavefront6targetE1EEEvSD_
	.p2align	8
	.type	_ZN7rocprim17ROCPRIM_400000_NS6detail17trampoline_kernelINS0_13kernel_configILj256ELj4ELj4294967295EEENS1_37radix_sort_block_sort_config_selectorIsNS0_10empty_typeEEEZNS1_21radix_sort_block_sortIS4_Lb1EPsS9_PS6_SA_NS0_19identity_decomposerEEE10hipError_tT1_T2_T3_T4_jRjT5_jjP12ihipStream_tbEUlT_E_NS1_11comp_targetILNS1_3genE2ELNS1_11target_archE906ELNS1_3gpuE6ELNS1_3repE0EEENS1_44radix_sort_block_sort_config_static_selectorELNS0_4arch9wavefront6targetE1EEEvSD_,@function
_ZN7rocprim17ROCPRIM_400000_NS6detail17trampoline_kernelINS0_13kernel_configILj256ELj4ELj4294967295EEENS1_37radix_sort_block_sort_config_selectorIsNS0_10empty_typeEEEZNS1_21radix_sort_block_sortIS4_Lb1EPsS9_PS6_SA_NS0_19identity_decomposerEEE10hipError_tT1_T2_T3_T4_jRjT5_jjP12ihipStream_tbEUlT_E_NS1_11comp_targetILNS1_3genE2ELNS1_11target_archE906ELNS1_3gpuE6ELNS1_3repE0EEENS1_44radix_sort_block_sort_config_static_selectorELNS0_4arch9wavefront6targetE1EEEvSD_: ; @_ZN7rocprim17ROCPRIM_400000_NS6detail17trampoline_kernelINS0_13kernel_configILj256ELj4ELj4294967295EEENS1_37radix_sort_block_sort_config_selectorIsNS0_10empty_typeEEEZNS1_21radix_sort_block_sortIS4_Lb1EPsS9_PS6_SA_NS0_19identity_decomposerEEE10hipError_tT1_T2_T3_T4_jRjT5_jjP12ihipStream_tbEUlT_E_NS1_11comp_targetILNS1_3genE2ELNS1_11target_archE906ELNS1_3gpuE6ELNS1_3repE0EEENS1_44radix_sort_block_sort_config_static_selectorELNS0_4arch9wavefront6targetE1EEEvSD_
; %bb.0:
	.section	.rodata,"a",@progbits
	.p2align	6, 0x0
	.amdhsa_kernel _ZN7rocprim17ROCPRIM_400000_NS6detail17trampoline_kernelINS0_13kernel_configILj256ELj4ELj4294967295EEENS1_37radix_sort_block_sort_config_selectorIsNS0_10empty_typeEEEZNS1_21radix_sort_block_sortIS4_Lb1EPsS9_PS6_SA_NS0_19identity_decomposerEEE10hipError_tT1_T2_T3_T4_jRjT5_jjP12ihipStream_tbEUlT_E_NS1_11comp_targetILNS1_3genE2ELNS1_11target_archE906ELNS1_3gpuE6ELNS1_3repE0EEENS1_44radix_sort_block_sort_config_static_selectorELNS0_4arch9wavefront6targetE1EEEvSD_
		.amdhsa_group_segment_fixed_size 0
		.amdhsa_private_segment_fixed_size 0
		.amdhsa_kernarg_size 48
		.amdhsa_user_sgpr_count 6
		.amdhsa_user_sgpr_private_segment_buffer 1
		.amdhsa_user_sgpr_dispatch_ptr 0
		.amdhsa_user_sgpr_queue_ptr 0
		.amdhsa_user_sgpr_kernarg_segment_ptr 1
		.amdhsa_user_sgpr_dispatch_id 0
		.amdhsa_user_sgpr_flat_scratch_init 0
		.amdhsa_user_sgpr_kernarg_preload_length 0
		.amdhsa_user_sgpr_kernarg_preload_offset 0
		.amdhsa_user_sgpr_private_segment_size 0
		.amdhsa_uses_dynamic_stack 0
		.amdhsa_system_sgpr_private_segment_wavefront_offset 0
		.amdhsa_system_sgpr_workgroup_id_x 1
		.amdhsa_system_sgpr_workgroup_id_y 0
		.amdhsa_system_sgpr_workgroup_id_z 0
		.amdhsa_system_sgpr_workgroup_info 0
		.amdhsa_system_vgpr_workitem_id 0
		.amdhsa_next_free_vgpr 1
		.amdhsa_next_free_sgpr 0
		.amdhsa_accum_offset 4
		.amdhsa_reserve_vcc 0
		.amdhsa_reserve_flat_scratch 0
		.amdhsa_float_round_mode_32 0
		.amdhsa_float_round_mode_16_64 0
		.amdhsa_float_denorm_mode_32 3
		.amdhsa_float_denorm_mode_16_64 3
		.amdhsa_dx10_clamp 1
		.amdhsa_ieee_mode 1
		.amdhsa_fp16_overflow 0
		.amdhsa_tg_split 0
		.amdhsa_exception_fp_ieee_invalid_op 0
		.amdhsa_exception_fp_denorm_src 0
		.amdhsa_exception_fp_ieee_div_zero 0
		.amdhsa_exception_fp_ieee_overflow 0
		.amdhsa_exception_fp_ieee_underflow 0
		.amdhsa_exception_fp_ieee_inexact 0
		.amdhsa_exception_int_div_zero 0
	.end_amdhsa_kernel
	.section	.text._ZN7rocprim17ROCPRIM_400000_NS6detail17trampoline_kernelINS0_13kernel_configILj256ELj4ELj4294967295EEENS1_37radix_sort_block_sort_config_selectorIsNS0_10empty_typeEEEZNS1_21radix_sort_block_sortIS4_Lb1EPsS9_PS6_SA_NS0_19identity_decomposerEEE10hipError_tT1_T2_T3_T4_jRjT5_jjP12ihipStream_tbEUlT_E_NS1_11comp_targetILNS1_3genE2ELNS1_11target_archE906ELNS1_3gpuE6ELNS1_3repE0EEENS1_44radix_sort_block_sort_config_static_selectorELNS0_4arch9wavefront6targetE1EEEvSD_,"axG",@progbits,_ZN7rocprim17ROCPRIM_400000_NS6detail17trampoline_kernelINS0_13kernel_configILj256ELj4ELj4294967295EEENS1_37radix_sort_block_sort_config_selectorIsNS0_10empty_typeEEEZNS1_21radix_sort_block_sortIS4_Lb1EPsS9_PS6_SA_NS0_19identity_decomposerEEE10hipError_tT1_T2_T3_T4_jRjT5_jjP12ihipStream_tbEUlT_E_NS1_11comp_targetILNS1_3genE2ELNS1_11target_archE906ELNS1_3gpuE6ELNS1_3repE0EEENS1_44radix_sort_block_sort_config_static_selectorELNS0_4arch9wavefront6targetE1EEEvSD_,comdat
.Lfunc_end1755:
	.size	_ZN7rocprim17ROCPRIM_400000_NS6detail17trampoline_kernelINS0_13kernel_configILj256ELj4ELj4294967295EEENS1_37radix_sort_block_sort_config_selectorIsNS0_10empty_typeEEEZNS1_21radix_sort_block_sortIS4_Lb1EPsS9_PS6_SA_NS0_19identity_decomposerEEE10hipError_tT1_T2_T3_T4_jRjT5_jjP12ihipStream_tbEUlT_E_NS1_11comp_targetILNS1_3genE2ELNS1_11target_archE906ELNS1_3gpuE6ELNS1_3repE0EEENS1_44radix_sort_block_sort_config_static_selectorELNS0_4arch9wavefront6targetE1EEEvSD_, .Lfunc_end1755-_ZN7rocprim17ROCPRIM_400000_NS6detail17trampoline_kernelINS0_13kernel_configILj256ELj4ELj4294967295EEENS1_37radix_sort_block_sort_config_selectorIsNS0_10empty_typeEEEZNS1_21radix_sort_block_sortIS4_Lb1EPsS9_PS6_SA_NS0_19identity_decomposerEEE10hipError_tT1_T2_T3_T4_jRjT5_jjP12ihipStream_tbEUlT_E_NS1_11comp_targetILNS1_3genE2ELNS1_11target_archE906ELNS1_3gpuE6ELNS1_3repE0EEENS1_44radix_sort_block_sort_config_static_selectorELNS0_4arch9wavefront6targetE1EEEvSD_
                                        ; -- End function
	.section	.AMDGPU.csdata,"",@progbits
; Kernel info:
; codeLenInByte = 0
; NumSgprs: 4
; NumVgprs: 0
; NumAgprs: 0
; TotalNumVgprs: 0
; ScratchSize: 0
; MemoryBound: 0
; FloatMode: 240
; IeeeMode: 1
; LDSByteSize: 0 bytes/workgroup (compile time only)
; SGPRBlocks: 0
; VGPRBlocks: 0
; NumSGPRsForWavesPerEU: 4
; NumVGPRsForWavesPerEU: 1
; AccumOffset: 4
; Occupancy: 8
; WaveLimiterHint : 0
; COMPUTE_PGM_RSRC2:SCRATCH_EN: 0
; COMPUTE_PGM_RSRC2:USER_SGPR: 6
; COMPUTE_PGM_RSRC2:TRAP_HANDLER: 0
; COMPUTE_PGM_RSRC2:TGID_X_EN: 1
; COMPUTE_PGM_RSRC2:TGID_Y_EN: 0
; COMPUTE_PGM_RSRC2:TGID_Z_EN: 0
; COMPUTE_PGM_RSRC2:TIDIG_COMP_CNT: 0
; COMPUTE_PGM_RSRC3_GFX90A:ACCUM_OFFSET: 0
; COMPUTE_PGM_RSRC3_GFX90A:TG_SPLIT: 0
	.section	.text._ZN7rocprim17ROCPRIM_400000_NS6detail17trampoline_kernelINS0_13kernel_configILj256ELj4ELj4294967295EEENS1_37radix_sort_block_sort_config_selectorIsNS0_10empty_typeEEEZNS1_21radix_sort_block_sortIS4_Lb1EPsS9_PS6_SA_NS0_19identity_decomposerEEE10hipError_tT1_T2_T3_T4_jRjT5_jjP12ihipStream_tbEUlT_E_NS1_11comp_targetILNS1_3genE10ELNS1_11target_archE1201ELNS1_3gpuE5ELNS1_3repE0EEENS1_44radix_sort_block_sort_config_static_selectorELNS0_4arch9wavefront6targetE1EEEvSD_,"axG",@progbits,_ZN7rocprim17ROCPRIM_400000_NS6detail17trampoline_kernelINS0_13kernel_configILj256ELj4ELj4294967295EEENS1_37radix_sort_block_sort_config_selectorIsNS0_10empty_typeEEEZNS1_21radix_sort_block_sortIS4_Lb1EPsS9_PS6_SA_NS0_19identity_decomposerEEE10hipError_tT1_T2_T3_T4_jRjT5_jjP12ihipStream_tbEUlT_E_NS1_11comp_targetILNS1_3genE10ELNS1_11target_archE1201ELNS1_3gpuE5ELNS1_3repE0EEENS1_44radix_sort_block_sort_config_static_selectorELNS0_4arch9wavefront6targetE1EEEvSD_,comdat
	.protected	_ZN7rocprim17ROCPRIM_400000_NS6detail17trampoline_kernelINS0_13kernel_configILj256ELj4ELj4294967295EEENS1_37radix_sort_block_sort_config_selectorIsNS0_10empty_typeEEEZNS1_21radix_sort_block_sortIS4_Lb1EPsS9_PS6_SA_NS0_19identity_decomposerEEE10hipError_tT1_T2_T3_T4_jRjT5_jjP12ihipStream_tbEUlT_E_NS1_11comp_targetILNS1_3genE10ELNS1_11target_archE1201ELNS1_3gpuE5ELNS1_3repE0EEENS1_44radix_sort_block_sort_config_static_selectorELNS0_4arch9wavefront6targetE1EEEvSD_ ; -- Begin function _ZN7rocprim17ROCPRIM_400000_NS6detail17trampoline_kernelINS0_13kernel_configILj256ELj4ELj4294967295EEENS1_37radix_sort_block_sort_config_selectorIsNS0_10empty_typeEEEZNS1_21radix_sort_block_sortIS4_Lb1EPsS9_PS6_SA_NS0_19identity_decomposerEEE10hipError_tT1_T2_T3_T4_jRjT5_jjP12ihipStream_tbEUlT_E_NS1_11comp_targetILNS1_3genE10ELNS1_11target_archE1201ELNS1_3gpuE5ELNS1_3repE0EEENS1_44radix_sort_block_sort_config_static_selectorELNS0_4arch9wavefront6targetE1EEEvSD_
	.globl	_ZN7rocprim17ROCPRIM_400000_NS6detail17trampoline_kernelINS0_13kernel_configILj256ELj4ELj4294967295EEENS1_37radix_sort_block_sort_config_selectorIsNS0_10empty_typeEEEZNS1_21radix_sort_block_sortIS4_Lb1EPsS9_PS6_SA_NS0_19identity_decomposerEEE10hipError_tT1_T2_T3_T4_jRjT5_jjP12ihipStream_tbEUlT_E_NS1_11comp_targetILNS1_3genE10ELNS1_11target_archE1201ELNS1_3gpuE5ELNS1_3repE0EEENS1_44radix_sort_block_sort_config_static_selectorELNS0_4arch9wavefront6targetE1EEEvSD_
	.p2align	8
	.type	_ZN7rocprim17ROCPRIM_400000_NS6detail17trampoline_kernelINS0_13kernel_configILj256ELj4ELj4294967295EEENS1_37radix_sort_block_sort_config_selectorIsNS0_10empty_typeEEEZNS1_21radix_sort_block_sortIS4_Lb1EPsS9_PS6_SA_NS0_19identity_decomposerEEE10hipError_tT1_T2_T3_T4_jRjT5_jjP12ihipStream_tbEUlT_E_NS1_11comp_targetILNS1_3genE10ELNS1_11target_archE1201ELNS1_3gpuE5ELNS1_3repE0EEENS1_44radix_sort_block_sort_config_static_selectorELNS0_4arch9wavefront6targetE1EEEvSD_,@function
_ZN7rocprim17ROCPRIM_400000_NS6detail17trampoline_kernelINS0_13kernel_configILj256ELj4ELj4294967295EEENS1_37radix_sort_block_sort_config_selectorIsNS0_10empty_typeEEEZNS1_21radix_sort_block_sortIS4_Lb1EPsS9_PS6_SA_NS0_19identity_decomposerEEE10hipError_tT1_T2_T3_T4_jRjT5_jjP12ihipStream_tbEUlT_E_NS1_11comp_targetILNS1_3genE10ELNS1_11target_archE1201ELNS1_3gpuE5ELNS1_3repE0EEENS1_44radix_sort_block_sort_config_static_selectorELNS0_4arch9wavefront6targetE1EEEvSD_: ; @_ZN7rocprim17ROCPRIM_400000_NS6detail17trampoline_kernelINS0_13kernel_configILj256ELj4ELj4294967295EEENS1_37radix_sort_block_sort_config_selectorIsNS0_10empty_typeEEEZNS1_21radix_sort_block_sortIS4_Lb1EPsS9_PS6_SA_NS0_19identity_decomposerEEE10hipError_tT1_T2_T3_T4_jRjT5_jjP12ihipStream_tbEUlT_E_NS1_11comp_targetILNS1_3genE10ELNS1_11target_archE1201ELNS1_3gpuE5ELNS1_3repE0EEENS1_44radix_sort_block_sort_config_static_selectorELNS0_4arch9wavefront6targetE1EEEvSD_
; %bb.0:
	.section	.rodata,"a",@progbits
	.p2align	6, 0x0
	.amdhsa_kernel _ZN7rocprim17ROCPRIM_400000_NS6detail17trampoline_kernelINS0_13kernel_configILj256ELj4ELj4294967295EEENS1_37radix_sort_block_sort_config_selectorIsNS0_10empty_typeEEEZNS1_21radix_sort_block_sortIS4_Lb1EPsS9_PS6_SA_NS0_19identity_decomposerEEE10hipError_tT1_T2_T3_T4_jRjT5_jjP12ihipStream_tbEUlT_E_NS1_11comp_targetILNS1_3genE10ELNS1_11target_archE1201ELNS1_3gpuE5ELNS1_3repE0EEENS1_44radix_sort_block_sort_config_static_selectorELNS0_4arch9wavefront6targetE1EEEvSD_
		.amdhsa_group_segment_fixed_size 0
		.amdhsa_private_segment_fixed_size 0
		.amdhsa_kernarg_size 48
		.amdhsa_user_sgpr_count 6
		.amdhsa_user_sgpr_private_segment_buffer 1
		.amdhsa_user_sgpr_dispatch_ptr 0
		.amdhsa_user_sgpr_queue_ptr 0
		.amdhsa_user_sgpr_kernarg_segment_ptr 1
		.amdhsa_user_sgpr_dispatch_id 0
		.amdhsa_user_sgpr_flat_scratch_init 0
		.amdhsa_user_sgpr_kernarg_preload_length 0
		.amdhsa_user_sgpr_kernarg_preload_offset 0
		.amdhsa_user_sgpr_private_segment_size 0
		.amdhsa_uses_dynamic_stack 0
		.amdhsa_system_sgpr_private_segment_wavefront_offset 0
		.amdhsa_system_sgpr_workgroup_id_x 1
		.amdhsa_system_sgpr_workgroup_id_y 0
		.amdhsa_system_sgpr_workgroup_id_z 0
		.amdhsa_system_sgpr_workgroup_info 0
		.amdhsa_system_vgpr_workitem_id 0
		.amdhsa_next_free_vgpr 1
		.amdhsa_next_free_sgpr 0
		.amdhsa_accum_offset 4
		.amdhsa_reserve_vcc 0
		.amdhsa_reserve_flat_scratch 0
		.amdhsa_float_round_mode_32 0
		.amdhsa_float_round_mode_16_64 0
		.amdhsa_float_denorm_mode_32 3
		.amdhsa_float_denorm_mode_16_64 3
		.amdhsa_dx10_clamp 1
		.amdhsa_ieee_mode 1
		.amdhsa_fp16_overflow 0
		.amdhsa_tg_split 0
		.amdhsa_exception_fp_ieee_invalid_op 0
		.amdhsa_exception_fp_denorm_src 0
		.amdhsa_exception_fp_ieee_div_zero 0
		.amdhsa_exception_fp_ieee_overflow 0
		.amdhsa_exception_fp_ieee_underflow 0
		.amdhsa_exception_fp_ieee_inexact 0
		.amdhsa_exception_int_div_zero 0
	.end_amdhsa_kernel
	.section	.text._ZN7rocprim17ROCPRIM_400000_NS6detail17trampoline_kernelINS0_13kernel_configILj256ELj4ELj4294967295EEENS1_37radix_sort_block_sort_config_selectorIsNS0_10empty_typeEEEZNS1_21radix_sort_block_sortIS4_Lb1EPsS9_PS6_SA_NS0_19identity_decomposerEEE10hipError_tT1_T2_T3_T4_jRjT5_jjP12ihipStream_tbEUlT_E_NS1_11comp_targetILNS1_3genE10ELNS1_11target_archE1201ELNS1_3gpuE5ELNS1_3repE0EEENS1_44radix_sort_block_sort_config_static_selectorELNS0_4arch9wavefront6targetE1EEEvSD_,"axG",@progbits,_ZN7rocprim17ROCPRIM_400000_NS6detail17trampoline_kernelINS0_13kernel_configILj256ELj4ELj4294967295EEENS1_37radix_sort_block_sort_config_selectorIsNS0_10empty_typeEEEZNS1_21radix_sort_block_sortIS4_Lb1EPsS9_PS6_SA_NS0_19identity_decomposerEEE10hipError_tT1_T2_T3_T4_jRjT5_jjP12ihipStream_tbEUlT_E_NS1_11comp_targetILNS1_3genE10ELNS1_11target_archE1201ELNS1_3gpuE5ELNS1_3repE0EEENS1_44radix_sort_block_sort_config_static_selectorELNS0_4arch9wavefront6targetE1EEEvSD_,comdat
.Lfunc_end1756:
	.size	_ZN7rocprim17ROCPRIM_400000_NS6detail17trampoline_kernelINS0_13kernel_configILj256ELj4ELj4294967295EEENS1_37radix_sort_block_sort_config_selectorIsNS0_10empty_typeEEEZNS1_21radix_sort_block_sortIS4_Lb1EPsS9_PS6_SA_NS0_19identity_decomposerEEE10hipError_tT1_T2_T3_T4_jRjT5_jjP12ihipStream_tbEUlT_E_NS1_11comp_targetILNS1_3genE10ELNS1_11target_archE1201ELNS1_3gpuE5ELNS1_3repE0EEENS1_44radix_sort_block_sort_config_static_selectorELNS0_4arch9wavefront6targetE1EEEvSD_, .Lfunc_end1756-_ZN7rocprim17ROCPRIM_400000_NS6detail17trampoline_kernelINS0_13kernel_configILj256ELj4ELj4294967295EEENS1_37radix_sort_block_sort_config_selectorIsNS0_10empty_typeEEEZNS1_21radix_sort_block_sortIS4_Lb1EPsS9_PS6_SA_NS0_19identity_decomposerEEE10hipError_tT1_T2_T3_T4_jRjT5_jjP12ihipStream_tbEUlT_E_NS1_11comp_targetILNS1_3genE10ELNS1_11target_archE1201ELNS1_3gpuE5ELNS1_3repE0EEENS1_44radix_sort_block_sort_config_static_selectorELNS0_4arch9wavefront6targetE1EEEvSD_
                                        ; -- End function
	.section	.AMDGPU.csdata,"",@progbits
; Kernel info:
; codeLenInByte = 0
; NumSgprs: 4
; NumVgprs: 0
; NumAgprs: 0
; TotalNumVgprs: 0
; ScratchSize: 0
; MemoryBound: 0
; FloatMode: 240
; IeeeMode: 1
; LDSByteSize: 0 bytes/workgroup (compile time only)
; SGPRBlocks: 0
; VGPRBlocks: 0
; NumSGPRsForWavesPerEU: 4
; NumVGPRsForWavesPerEU: 1
; AccumOffset: 4
; Occupancy: 8
; WaveLimiterHint : 0
; COMPUTE_PGM_RSRC2:SCRATCH_EN: 0
; COMPUTE_PGM_RSRC2:USER_SGPR: 6
; COMPUTE_PGM_RSRC2:TRAP_HANDLER: 0
; COMPUTE_PGM_RSRC2:TGID_X_EN: 1
; COMPUTE_PGM_RSRC2:TGID_Y_EN: 0
; COMPUTE_PGM_RSRC2:TGID_Z_EN: 0
; COMPUTE_PGM_RSRC2:TIDIG_COMP_CNT: 0
; COMPUTE_PGM_RSRC3_GFX90A:ACCUM_OFFSET: 0
; COMPUTE_PGM_RSRC3_GFX90A:TG_SPLIT: 0
	.section	.text._ZN7rocprim17ROCPRIM_400000_NS6detail17trampoline_kernelINS0_13kernel_configILj256ELj4ELj4294967295EEENS1_37radix_sort_block_sort_config_selectorIsNS0_10empty_typeEEEZNS1_21radix_sort_block_sortIS4_Lb1EPsS9_PS6_SA_NS0_19identity_decomposerEEE10hipError_tT1_T2_T3_T4_jRjT5_jjP12ihipStream_tbEUlT_E_NS1_11comp_targetILNS1_3genE10ELNS1_11target_archE1200ELNS1_3gpuE4ELNS1_3repE0EEENS1_44radix_sort_block_sort_config_static_selectorELNS0_4arch9wavefront6targetE1EEEvSD_,"axG",@progbits,_ZN7rocprim17ROCPRIM_400000_NS6detail17trampoline_kernelINS0_13kernel_configILj256ELj4ELj4294967295EEENS1_37radix_sort_block_sort_config_selectorIsNS0_10empty_typeEEEZNS1_21radix_sort_block_sortIS4_Lb1EPsS9_PS6_SA_NS0_19identity_decomposerEEE10hipError_tT1_T2_T3_T4_jRjT5_jjP12ihipStream_tbEUlT_E_NS1_11comp_targetILNS1_3genE10ELNS1_11target_archE1200ELNS1_3gpuE4ELNS1_3repE0EEENS1_44radix_sort_block_sort_config_static_selectorELNS0_4arch9wavefront6targetE1EEEvSD_,comdat
	.protected	_ZN7rocprim17ROCPRIM_400000_NS6detail17trampoline_kernelINS0_13kernel_configILj256ELj4ELj4294967295EEENS1_37radix_sort_block_sort_config_selectorIsNS0_10empty_typeEEEZNS1_21radix_sort_block_sortIS4_Lb1EPsS9_PS6_SA_NS0_19identity_decomposerEEE10hipError_tT1_T2_T3_T4_jRjT5_jjP12ihipStream_tbEUlT_E_NS1_11comp_targetILNS1_3genE10ELNS1_11target_archE1200ELNS1_3gpuE4ELNS1_3repE0EEENS1_44radix_sort_block_sort_config_static_selectorELNS0_4arch9wavefront6targetE1EEEvSD_ ; -- Begin function _ZN7rocprim17ROCPRIM_400000_NS6detail17trampoline_kernelINS0_13kernel_configILj256ELj4ELj4294967295EEENS1_37radix_sort_block_sort_config_selectorIsNS0_10empty_typeEEEZNS1_21radix_sort_block_sortIS4_Lb1EPsS9_PS6_SA_NS0_19identity_decomposerEEE10hipError_tT1_T2_T3_T4_jRjT5_jjP12ihipStream_tbEUlT_E_NS1_11comp_targetILNS1_3genE10ELNS1_11target_archE1200ELNS1_3gpuE4ELNS1_3repE0EEENS1_44radix_sort_block_sort_config_static_selectorELNS0_4arch9wavefront6targetE1EEEvSD_
	.globl	_ZN7rocprim17ROCPRIM_400000_NS6detail17trampoline_kernelINS0_13kernel_configILj256ELj4ELj4294967295EEENS1_37radix_sort_block_sort_config_selectorIsNS0_10empty_typeEEEZNS1_21radix_sort_block_sortIS4_Lb1EPsS9_PS6_SA_NS0_19identity_decomposerEEE10hipError_tT1_T2_T3_T4_jRjT5_jjP12ihipStream_tbEUlT_E_NS1_11comp_targetILNS1_3genE10ELNS1_11target_archE1200ELNS1_3gpuE4ELNS1_3repE0EEENS1_44radix_sort_block_sort_config_static_selectorELNS0_4arch9wavefront6targetE1EEEvSD_
	.p2align	8
	.type	_ZN7rocprim17ROCPRIM_400000_NS6detail17trampoline_kernelINS0_13kernel_configILj256ELj4ELj4294967295EEENS1_37radix_sort_block_sort_config_selectorIsNS0_10empty_typeEEEZNS1_21radix_sort_block_sortIS4_Lb1EPsS9_PS6_SA_NS0_19identity_decomposerEEE10hipError_tT1_T2_T3_T4_jRjT5_jjP12ihipStream_tbEUlT_E_NS1_11comp_targetILNS1_3genE10ELNS1_11target_archE1200ELNS1_3gpuE4ELNS1_3repE0EEENS1_44radix_sort_block_sort_config_static_selectorELNS0_4arch9wavefront6targetE1EEEvSD_,@function
_ZN7rocprim17ROCPRIM_400000_NS6detail17trampoline_kernelINS0_13kernel_configILj256ELj4ELj4294967295EEENS1_37radix_sort_block_sort_config_selectorIsNS0_10empty_typeEEEZNS1_21radix_sort_block_sortIS4_Lb1EPsS9_PS6_SA_NS0_19identity_decomposerEEE10hipError_tT1_T2_T3_T4_jRjT5_jjP12ihipStream_tbEUlT_E_NS1_11comp_targetILNS1_3genE10ELNS1_11target_archE1200ELNS1_3gpuE4ELNS1_3repE0EEENS1_44radix_sort_block_sort_config_static_selectorELNS0_4arch9wavefront6targetE1EEEvSD_: ; @_ZN7rocprim17ROCPRIM_400000_NS6detail17trampoline_kernelINS0_13kernel_configILj256ELj4ELj4294967295EEENS1_37radix_sort_block_sort_config_selectorIsNS0_10empty_typeEEEZNS1_21radix_sort_block_sortIS4_Lb1EPsS9_PS6_SA_NS0_19identity_decomposerEEE10hipError_tT1_T2_T3_T4_jRjT5_jjP12ihipStream_tbEUlT_E_NS1_11comp_targetILNS1_3genE10ELNS1_11target_archE1200ELNS1_3gpuE4ELNS1_3repE0EEENS1_44radix_sort_block_sort_config_static_selectorELNS0_4arch9wavefront6targetE1EEEvSD_
; %bb.0:
	.section	.rodata,"a",@progbits
	.p2align	6, 0x0
	.amdhsa_kernel _ZN7rocprim17ROCPRIM_400000_NS6detail17trampoline_kernelINS0_13kernel_configILj256ELj4ELj4294967295EEENS1_37radix_sort_block_sort_config_selectorIsNS0_10empty_typeEEEZNS1_21radix_sort_block_sortIS4_Lb1EPsS9_PS6_SA_NS0_19identity_decomposerEEE10hipError_tT1_T2_T3_T4_jRjT5_jjP12ihipStream_tbEUlT_E_NS1_11comp_targetILNS1_3genE10ELNS1_11target_archE1200ELNS1_3gpuE4ELNS1_3repE0EEENS1_44radix_sort_block_sort_config_static_selectorELNS0_4arch9wavefront6targetE1EEEvSD_
		.amdhsa_group_segment_fixed_size 0
		.amdhsa_private_segment_fixed_size 0
		.amdhsa_kernarg_size 48
		.amdhsa_user_sgpr_count 6
		.amdhsa_user_sgpr_private_segment_buffer 1
		.amdhsa_user_sgpr_dispatch_ptr 0
		.amdhsa_user_sgpr_queue_ptr 0
		.amdhsa_user_sgpr_kernarg_segment_ptr 1
		.amdhsa_user_sgpr_dispatch_id 0
		.amdhsa_user_sgpr_flat_scratch_init 0
		.amdhsa_user_sgpr_kernarg_preload_length 0
		.amdhsa_user_sgpr_kernarg_preload_offset 0
		.amdhsa_user_sgpr_private_segment_size 0
		.amdhsa_uses_dynamic_stack 0
		.amdhsa_system_sgpr_private_segment_wavefront_offset 0
		.amdhsa_system_sgpr_workgroup_id_x 1
		.amdhsa_system_sgpr_workgroup_id_y 0
		.amdhsa_system_sgpr_workgroup_id_z 0
		.amdhsa_system_sgpr_workgroup_info 0
		.amdhsa_system_vgpr_workitem_id 0
		.amdhsa_next_free_vgpr 1
		.amdhsa_next_free_sgpr 0
		.amdhsa_accum_offset 4
		.amdhsa_reserve_vcc 0
		.amdhsa_reserve_flat_scratch 0
		.amdhsa_float_round_mode_32 0
		.amdhsa_float_round_mode_16_64 0
		.amdhsa_float_denorm_mode_32 3
		.amdhsa_float_denorm_mode_16_64 3
		.amdhsa_dx10_clamp 1
		.amdhsa_ieee_mode 1
		.amdhsa_fp16_overflow 0
		.amdhsa_tg_split 0
		.amdhsa_exception_fp_ieee_invalid_op 0
		.amdhsa_exception_fp_denorm_src 0
		.amdhsa_exception_fp_ieee_div_zero 0
		.amdhsa_exception_fp_ieee_overflow 0
		.amdhsa_exception_fp_ieee_underflow 0
		.amdhsa_exception_fp_ieee_inexact 0
		.amdhsa_exception_int_div_zero 0
	.end_amdhsa_kernel
	.section	.text._ZN7rocprim17ROCPRIM_400000_NS6detail17trampoline_kernelINS0_13kernel_configILj256ELj4ELj4294967295EEENS1_37radix_sort_block_sort_config_selectorIsNS0_10empty_typeEEEZNS1_21radix_sort_block_sortIS4_Lb1EPsS9_PS6_SA_NS0_19identity_decomposerEEE10hipError_tT1_T2_T3_T4_jRjT5_jjP12ihipStream_tbEUlT_E_NS1_11comp_targetILNS1_3genE10ELNS1_11target_archE1200ELNS1_3gpuE4ELNS1_3repE0EEENS1_44radix_sort_block_sort_config_static_selectorELNS0_4arch9wavefront6targetE1EEEvSD_,"axG",@progbits,_ZN7rocprim17ROCPRIM_400000_NS6detail17trampoline_kernelINS0_13kernel_configILj256ELj4ELj4294967295EEENS1_37radix_sort_block_sort_config_selectorIsNS0_10empty_typeEEEZNS1_21radix_sort_block_sortIS4_Lb1EPsS9_PS6_SA_NS0_19identity_decomposerEEE10hipError_tT1_T2_T3_T4_jRjT5_jjP12ihipStream_tbEUlT_E_NS1_11comp_targetILNS1_3genE10ELNS1_11target_archE1200ELNS1_3gpuE4ELNS1_3repE0EEENS1_44radix_sort_block_sort_config_static_selectorELNS0_4arch9wavefront6targetE1EEEvSD_,comdat
.Lfunc_end1757:
	.size	_ZN7rocprim17ROCPRIM_400000_NS6detail17trampoline_kernelINS0_13kernel_configILj256ELj4ELj4294967295EEENS1_37radix_sort_block_sort_config_selectorIsNS0_10empty_typeEEEZNS1_21radix_sort_block_sortIS4_Lb1EPsS9_PS6_SA_NS0_19identity_decomposerEEE10hipError_tT1_T2_T3_T4_jRjT5_jjP12ihipStream_tbEUlT_E_NS1_11comp_targetILNS1_3genE10ELNS1_11target_archE1200ELNS1_3gpuE4ELNS1_3repE0EEENS1_44radix_sort_block_sort_config_static_selectorELNS0_4arch9wavefront6targetE1EEEvSD_, .Lfunc_end1757-_ZN7rocprim17ROCPRIM_400000_NS6detail17trampoline_kernelINS0_13kernel_configILj256ELj4ELj4294967295EEENS1_37radix_sort_block_sort_config_selectorIsNS0_10empty_typeEEEZNS1_21radix_sort_block_sortIS4_Lb1EPsS9_PS6_SA_NS0_19identity_decomposerEEE10hipError_tT1_T2_T3_T4_jRjT5_jjP12ihipStream_tbEUlT_E_NS1_11comp_targetILNS1_3genE10ELNS1_11target_archE1200ELNS1_3gpuE4ELNS1_3repE0EEENS1_44radix_sort_block_sort_config_static_selectorELNS0_4arch9wavefront6targetE1EEEvSD_
                                        ; -- End function
	.section	.AMDGPU.csdata,"",@progbits
; Kernel info:
; codeLenInByte = 0
; NumSgprs: 4
; NumVgprs: 0
; NumAgprs: 0
; TotalNumVgprs: 0
; ScratchSize: 0
; MemoryBound: 0
; FloatMode: 240
; IeeeMode: 1
; LDSByteSize: 0 bytes/workgroup (compile time only)
; SGPRBlocks: 0
; VGPRBlocks: 0
; NumSGPRsForWavesPerEU: 4
; NumVGPRsForWavesPerEU: 1
; AccumOffset: 4
; Occupancy: 8
; WaveLimiterHint : 0
; COMPUTE_PGM_RSRC2:SCRATCH_EN: 0
; COMPUTE_PGM_RSRC2:USER_SGPR: 6
; COMPUTE_PGM_RSRC2:TRAP_HANDLER: 0
; COMPUTE_PGM_RSRC2:TGID_X_EN: 1
; COMPUTE_PGM_RSRC2:TGID_Y_EN: 0
; COMPUTE_PGM_RSRC2:TGID_Z_EN: 0
; COMPUTE_PGM_RSRC2:TIDIG_COMP_CNT: 0
; COMPUTE_PGM_RSRC3_GFX90A:ACCUM_OFFSET: 0
; COMPUTE_PGM_RSRC3_GFX90A:TG_SPLIT: 0
	.section	.text._ZN7rocprim17ROCPRIM_400000_NS6detail17trampoline_kernelINS0_13kernel_configILj256ELj4ELj4294967295EEENS1_37radix_sort_block_sort_config_selectorIsNS0_10empty_typeEEEZNS1_21radix_sort_block_sortIS4_Lb1EPsS9_PS6_SA_NS0_19identity_decomposerEEE10hipError_tT1_T2_T3_T4_jRjT5_jjP12ihipStream_tbEUlT_E_NS1_11comp_targetILNS1_3genE9ELNS1_11target_archE1100ELNS1_3gpuE3ELNS1_3repE0EEENS1_44radix_sort_block_sort_config_static_selectorELNS0_4arch9wavefront6targetE1EEEvSD_,"axG",@progbits,_ZN7rocprim17ROCPRIM_400000_NS6detail17trampoline_kernelINS0_13kernel_configILj256ELj4ELj4294967295EEENS1_37radix_sort_block_sort_config_selectorIsNS0_10empty_typeEEEZNS1_21radix_sort_block_sortIS4_Lb1EPsS9_PS6_SA_NS0_19identity_decomposerEEE10hipError_tT1_T2_T3_T4_jRjT5_jjP12ihipStream_tbEUlT_E_NS1_11comp_targetILNS1_3genE9ELNS1_11target_archE1100ELNS1_3gpuE3ELNS1_3repE0EEENS1_44radix_sort_block_sort_config_static_selectorELNS0_4arch9wavefront6targetE1EEEvSD_,comdat
	.protected	_ZN7rocprim17ROCPRIM_400000_NS6detail17trampoline_kernelINS0_13kernel_configILj256ELj4ELj4294967295EEENS1_37radix_sort_block_sort_config_selectorIsNS0_10empty_typeEEEZNS1_21radix_sort_block_sortIS4_Lb1EPsS9_PS6_SA_NS0_19identity_decomposerEEE10hipError_tT1_T2_T3_T4_jRjT5_jjP12ihipStream_tbEUlT_E_NS1_11comp_targetILNS1_3genE9ELNS1_11target_archE1100ELNS1_3gpuE3ELNS1_3repE0EEENS1_44radix_sort_block_sort_config_static_selectorELNS0_4arch9wavefront6targetE1EEEvSD_ ; -- Begin function _ZN7rocprim17ROCPRIM_400000_NS6detail17trampoline_kernelINS0_13kernel_configILj256ELj4ELj4294967295EEENS1_37radix_sort_block_sort_config_selectorIsNS0_10empty_typeEEEZNS1_21radix_sort_block_sortIS4_Lb1EPsS9_PS6_SA_NS0_19identity_decomposerEEE10hipError_tT1_T2_T3_T4_jRjT5_jjP12ihipStream_tbEUlT_E_NS1_11comp_targetILNS1_3genE9ELNS1_11target_archE1100ELNS1_3gpuE3ELNS1_3repE0EEENS1_44radix_sort_block_sort_config_static_selectorELNS0_4arch9wavefront6targetE1EEEvSD_
	.globl	_ZN7rocprim17ROCPRIM_400000_NS6detail17trampoline_kernelINS0_13kernel_configILj256ELj4ELj4294967295EEENS1_37radix_sort_block_sort_config_selectorIsNS0_10empty_typeEEEZNS1_21radix_sort_block_sortIS4_Lb1EPsS9_PS6_SA_NS0_19identity_decomposerEEE10hipError_tT1_T2_T3_T4_jRjT5_jjP12ihipStream_tbEUlT_E_NS1_11comp_targetILNS1_3genE9ELNS1_11target_archE1100ELNS1_3gpuE3ELNS1_3repE0EEENS1_44radix_sort_block_sort_config_static_selectorELNS0_4arch9wavefront6targetE1EEEvSD_
	.p2align	8
	.type	_ZN7rocprim17ROCPRIM_400000_NS6detail17trampoline_kernelINS0_13kernel_configILj256ELj4ELj4294967295EEENS1_37radix_sort_block_sort_config_selectorIsNS0_10empty_typeEEEZNS1_21radix_sort_block_sortIS4_Lb1EPsS9_PS6_SA_NS0_19identity_decomposerEEE10hipError_tT1_T2_T3_T4_jRjT5_jjP12ihipStream_tbEUlT_E_NS1_11comp_targetILNS1_3genE9ELNS1_11target_archE1100ELNS1_3gpuE3ELNS1_3repE0EEENS1_44radix_sort_block_sort_config_static_selectorELNS0_4arch9wavefront6targetE1EEEvSD_,@function
_ZN7rocprim17ROCPRIM_400000_NS6detail17trampoline_kernelINS0_13kernel_configILj256ELj4ELj4294967295EEENS1_37radix_sort_block_sort_config_selectorIsNS0_10empty_typeEEEZNS1_21radix_sort_block_sortIS4_Lb1EPsS9_PS6_SA_NS0_19identity_decomposerEEE10hipError_tT1_T2_T3_T4_jRjT5_jjP12ihipStream_tbEUlT_E_NS1_11comp_targetILNS1_3genE9ELNS1_11target_archE1100ELNS1_3gpuE3ELNS1_3repE0EEENS1_44radix_sort_block_sort_config_static_selectorELNS0_4arch9wavefront6targetE1EEEvSD_: ; @_ZN7rocprim17ROCPRIM_400000_NS6detail17trampoline_kernelINS0_13kernel_configILj256ELj4ELj4294967295EEENS1_37radix_sort_block_sort_config_selectorIsNS0_10empty_typeEEEZNS1_21radix_sort_block_sortIS4_Lb1EPsS9_PS6_SA_NS0_19identity_decomposerEEE10hipError_tT1_T2_T3_T4_jRjT5_jjP12ihipStream_tbEUlT_E_NS1_11comp_targetILNS1_3genE9ELNS1_11target_archE1100ELNS1_3gpuE3ELNS1_3repE0EEENS1_44radix_sort_block_sort_config_static_selectorELNS0_4arch9wavefront6targetE1EEEvSD_
; %bb.0:
	.section	.rodata,"a",@progbits
	.p2align	6, 0x0
	.amdhsa_kernel _ZN7rocprim17ROCPRIM_400000_NS6detail17trampoline_kernelINS0_13kernel_configILj256ELj4ELj4294967295EEENS1_37radix_sort_block_sort_config_selectorIsNS0_10empty_typeEEEZNS1_21radix_sort_block_sortIS4_Lb1EPsS9_PS6_SA_NS0_19identity_decomposerEEE10hipError_tT1_T2_T3_T4_jRjT5_jjP12ihipStream_tbEUlT_E_NS1_11comp_targetILNS1_3genE9ELNS1_11target_archE1100ELNS1_3gpuE3ELNS1_3repE0EEENS1_44radix_sort_block_sort_config_static_selectorELNS0_4arch9wavefront6targetE1EEEvSD_
		.amdhsa_group_segment_fixed_size 0
		.amdhsa_private_segment_fixed_size 0
		.amdhsa_kernarg_size 48
		.amdhsa_user_sgpr_count 6
		.amdhsa_user_sgpr_private_segment_buffer 1
		.amdhsa_user_sgpr_dispatch_ptr 0
		.amdhsa_user_sgpr_queue_ptr 0
		.amdhsa_user_sgpr_kernarg_segment_ptr 1
		.amdhsa_user_sgpr_dispatch_id 0
		.amdhsa_user_sgpr_flat_scratch_init 0
		.amdhsa_user_sgpr_kernarg_preload_length 0
		.amdhsa_user_sgpr_kernarg_preload_offset 0
		.amdhsa_user_sgpr_private_segment_size 0
		.amdhsa_uses_dynamic_stack 0
		.amdhsa_system_sgpr_private_segment_wavefront_offset 0
		.amdhsa_system_sgpr_workgroup_id_x 1
		.amdhsa_system_sgpr_workgroup_id_y 0
		.amdhsa_system_sgpr_workgroup_id_z 0
		.amdhsa_system_sgpr_workgroup_info 0
		.amdhsa_system_vgpr_workitem_id 0
		.amdhsa_next_free_vgpr 1
		.amdhsa_next_free_sgpr 0
		.amdhsa_accum_offset 4
		.amdhsa_reserve_vcc 0
		.amdhsa_reserve_flat_scratch 0
		.amdhsa_float_round_mode_32 0
		.amdhsa_float_round_mode_16_64 0
		.amdhsa_float_denorm_mode_32 3
		.amdhsa_float_denorm_mode_16_64 3
		.amdhsa_dx10_clamp 1
		.amdhsa_ieee_mode 1
		.amdhsa_fp16_overflow 0
		.amdhsa_tg_split 0
		.amdhsa_exception_fp_ieee_invalid_op 0
		.amdhsa_exception_fp_denorm_src 0
		.amdhsa_exception_fp_ieee_div_zero 0
		.amdhsa_exception_fp_ieee_overflow 0
		.amdhsa_exception_fp_ieee_underflow 0
		.amdhsa_exception_fp_ieee_inexact 0
		.amdhsa_exception_int_div_zero 0
	.end_amdhsa_kernel
	.section	.text._ZN7rocprim17ROCPRIM_400000_NS6detail17trampoline_kernelINS0_13kernel_configILj256ELj4ELj4294967295EEENS1_37radix_sort_block_sort_config_selectorIsNS0_10empty_typeEEEZNS1_21radix_sort_block_sortIS4_Lb1EPsS9_PS6_SA_NS0_19identity_decomposerEEE10hipError_tT1_T2_T3_T4_jRjT5_jjP12ihipStream_tbEUlT_E_NS1_11comp_targetILNS1_3genE9ELNS1_11target_archE1100ELNS1_3gpuE3ELNS1_3repE0EEENS1_44radix_sort_block_sort_config_static_selectorELNS0_4arch9wavefront6targetE1EEEvSD_,"axG",@progbits,_ZN7rocprim17ROCPRIM_400000_NS6detail17trampoline_kernelINS0_13kernel_configILj256ELj4ELj4294967295EEENS1_37radix_sort_block_sort_config_selectorIsNS0_10empty_typeEEEZNS1_21radix_sort_block_sortIS4_Lb1EPsS9_PS6_SA_NS0_19identity_decomposerEEE10hipError_tT1_T2_T3_T4_jRjT5_jjP12ihipStream_tbEUlT_E_NS1_11comp_targetILNS1_3genE9ELNS1_11target_archE1100ELNS1_3gpuE3ELNS1_3repE0EEENS1_44radix_sort_block_sort_config_static_selectorELNS0_4arch9wavefront6targetE1EEEvSD_,comdat
.Lfunc_end1758:
	.size	_ZN7rocprim17ROCPRIM_400000_NS6detail17trampoline_kernelINS0_13kernel_configILj256ELj4ELj4294967295EEENS1_37radix_sort_block_sort_config_selectorIsNS0_10empty_typeEEEZNS1_21radix_sort_block_sortIS4_Lb1EPsS9_PS6_SA_NS0_19identity_decomposerEEE10hipError_tT1_T2_T3_T4_jRjT5_jjP12ihipStream_tbEUlT_E_NS1_11comp_targetILNS1_3genE9ELNS1_11target_archE1100ELNS1_3gpuE3ELNS1_3repE0EEENS1_44radix_sort_block_sort_config_static_selectorELNS0_4arch9wavefront6targetE1EEEvSD_, .Lfunc_end1758-_ZN7rocprim17ROCPRIM_400000_NS6detail17trampoline_kernelINS0_13kernel_configILj256ELj4ELj4294967295EEENS1_37radix_sort_block_sort_config_selectorIsNS0_10empty_typeEEEZNS1_21radix_sort_block_sortIS4_Lb1EPsS9_PS6_SA_NS0_19identity_decomposerEEE10hipError_tT1_T2_T3_T4_jRjT5_jjP12ihipStream_tbEUlT_E_NS1_11comp_targetILNS1_3genE9ELNS1_11target_archE1100ELNS1_3gpuE3ELNS1_3repE0EEENS1_44radix_sort_block_sort_config_static_selectorELNS0_4arch9wavefront6targetE1EEEvSD_
                                        ; -- End function
	.section	.AMDGPU.csdata,"",@progbits
; Kernel info:
; codeLenInByte = 0
; NumSgprs: 4
; NumVgprs: 0
; NumAgprs: 0
; TotalNumVgprs: 0
; ScratchSize: 0
; MemoryBound: 0
; FloatMode: 240
; IeeeMode: 1
; LDSByteSize: 0 bytes/workgroup (compile time only)
; SGPRBlocks: 0
; VGPRBlocks: 0
; NumSGPRsForWavesPerEU: 4
; NumVGPRsForWavesPerEU: 1
; AccumOffset: 4
; Occupancy: 8
; WaveLimiterHint : 0
; COMPUTE_PGM_RSRC2:SCRATCH_EN: 0
; COMPUTE_PGM_RSRC2:USER_SGPR: 6
; COMPUTE_PGM_RSRC2:TRAP_HANDLER: 0
; COMPUTE_PGM_RSRC2:TGID_X_EN: 1
; COMPUTE_PGM_RSRC2:TGID_Y_EN: 0
; COMPUTE_PGM_RSRC2:TGID_Z_EN: 0
; COMPUTE_PGM_RSRC2:TIDIG_COMP_CNT: 0
; COMPUTE_PGM_RSRC3_GFX90A:ACCUM_OFFSET: 0
; COMPUTE_PGM_RSRC3_GFX90A:TG_SPLIT: 0
	.section	.text._ZN7rocprim17ROCPRIM_400000_NS6detail17trampoline_kernelINS0_13kernel_configILj256ELj4ELj4294967295EEENS1_37radix_sort_block_sort_config_selectorIsNS0_10empty_typeEEEZNS1_21radix_sort_block_sortIS4_Lb1EPsS9_PS6_SA_NS0_19identity_decomposerEEE10hipError_tT1_T2_T3_T4_jRjT5_jjP12ihipStream_tbEUlT_E_NS1_11comp_targetILNS1_3genE8ELNS1_11target_archE1030ELNS1_3gpuE2ELNS1_3repE0EEENS1_44radix_sort_block_sort_config_static_selectorELNS0_4arch9wavefront6targetE1EEEvSD_,"axG",@progbits,_ZN7rocprim17ROCPRIM_400000_NS6detail17trampoline_kernelINS0_13kernel_configILj256ELj4ELj4294967295EEENS1_37radix_sort_block_sort_config_selectorIsNS0_10empty_typeEEEZNS1_21radix_sort_block_sortIS4_Lb1EPsS9_PS6_SA_NS0_19identity_decomposerEEE10hipError_tT1_T2_T3_T4_jRjT5_jjP12ihipStream_tbEUlT_E_NS1_11comp_targetILNS1_3genE8ELNS1_11target_archE1030ELNS1_3gpuE2ELNS1_3repE0EEENS1_44radix_sort_block_sort_config_static_selectorELNS0_4arch9wavefront6targetE1EEEvSD_,comdat
	.protected	_ZN7rocprim17ROCPRIM_400000_NS6detail17trampoline_kernelINS0_13kernel_configILj256ELj4ELj4294967295EEENS1_37radix_sort_block_sort_config_selectorIsNS0_10empty_typeEEEZNS1_21radix_sort_block_sortIS4_Lb1EPsS9_PS6_SA_NS0_19identity_decomposerEEE10hipError_tT1_T2_T3_T4_jRjT5_jjP12ihipStream_tbEUlT_E_NS1_11comp_targetILNS1_3genE8ELNS1_11target_archE1030ELNS1_3gpuE2ELNS1_3repE0EEENS1_44radix_sort_block_sort_config_static_selectorELNS0_4arch9wavefront6targetE1EEEvSD_ ; -- Begin function _ZN7rocprim17ROCPRIM_400000_NS6detail17trampoline_kernelINS0_13kernel_configILj256ELj4ELj4294967295EEENS1_37radix_sort_block_sort_config_selectorIsNS0_10empty_typeEEEZNS1_21radix_sort_block_sortIS4_Lb1EPsS9_PS6_SA_NS0_19identity_decomposerEEE10hipError_tT1_T2_T3_T4_jRjT5_jjP12ihipStream_tbEUlT_E_NS1_11comp_targetILNS1_3genE8ELNS1_11target_archE1030ELNS1_3gpuE2ELNS1_3repE0EEENS1_44radix_sort_block_sort_config_static_selectorELNS0_4arch9wavefront6targetE1EEEvSD_
	.globl	_ZN7rocprim17ROCPRIM_400000_NS6detail17trampoline_kernelINS0_13kernel_configILj256ELj4ELj4294967295EEENS1_37radix_sort_block_sort_config_selectorIsNS0_10empty_typeEEEZNS1_21radix_sort_block_sortIS4_Lb1EPsS9_PS6_SA_NS0_19identity_decomposerEEE10hipError_tT1_T2_T3_T4_jRjT5_jjP12ihipStream_tbEUlT_E_NS1_11comp_targetILNS1_3genE8ELNS1_11target_archE1030ELNS1_3gpuE2ELNS1_3repE0EEENS1_44radix_sort_block_sort_config_static_selectorELNS0_4arch9wavefront6targetE1EEEvSD_
	.p2align	8
	.type	_ZN7rocprim17ROCPRIM_400000_NS6detail17trampoline_kernelINS0_13kernel_configILj256ELj4ELj4294967295EEENS1_37radix_sort_block_sort_config_selectorIsNS0_10empty_typeEEEZNS1_21radix_sort_block_sortIS4_Lb1EPsS9_PS6_SA_NS0_19identity_decomposerEEE10hipError_tT1_T2_T3_T4_jRjT5_jjP12ihipStream_tbEUlT_E_NS1_11comp_targetILNS1_3genE8ELNS1_11target_archE1030ELNS1_3gpuE2ELNS1_3repE0EEENS1_44radix_sort_block_sort_config_static_selectorELNS0_4arch9wavefront6targetE1EEEvSD_,@function
_ZN7rocprim17ROCPRIM_400000_NS6detail17trampoline_kernelINS0_13kernel_configILj256ELj4ELj4294967295EEENS1_37radix_sort_block_sort_config_selectorIsNS0_10empty_typeEEEZNS1_21radix_sort_block_sortIS4_Lb1EPsS9_PS6_SA_NS0_19identity_decomposerEEE10hipError_tT1_T2_T3_T4_jRjT5_jjP12ihipStream_tbEUlT_E_NS1_11comp_targetILNS1_3genE8ELNS1_11target_archE1030ELNS1_3gpuE2ELNS1_3repE0EEENS1_44radix_sort_block_sort_config_static_selectorELNS0_4arch9wavefront6targetE1EEEvSD_: ; @_ZN7rocprim17ROCPRIM_400000_NS6detail17trampoline_kernelINS0_13kernel_configILj256ELj4ELj4294967295EEENS1_37radix_sort_block_sort_config_selectorIsNS0_10empty_typeEEEZNS1_21radix_sort_block_sortIS4_Lb1EPsS9_PS6_SA_NS0_19identity_decomposerEEE10hipError_tT1_T2_T3_T4_jRjT5_jjP12ihipStream_tbEUlT_E_NS1_11comp_targetILNS1_3genE8ELNS1_11target_archE1030ELNS1_3gpuE2ELNS1_3repE0EEENS1_44radix_sort_block_sort_config_static_selectorELNS0_4arch9wavefront6targetE1EEEvSD_
; %bb.0:
	.section	.rodata,"a",@progbits
	.p2align	6, 0x0
	.amdhsa_kernel _ZN7rocprim17ROCPRIM_400000_NS6detail17trampoline_kernelINS0_13kernel_configILj256ELj4ELj4294967295EEENS1_37radix_sort_block_sort_config_selectorIsNS0_10empty_typeEEEZNS1_21radix_sort_block_sortIS4_Lb1EPsS9_PS6_SA_NS0_19identity_decomposerEEE10hipError_tT1_T2_T3_T4_jRjT5_jjP12ihipStream_tbEUlT_E_NS1_11comp_targetILNS1_3genE8ELNS1_11target_archE1030ELNS1_3gpuE2ELNS1_3repE0EEENS1_44radix_sort_block_sort_config_static_selectorELNS0_4arch9wavefront6targetE1EEEvSD_
		.amdhsa_group_segment_fixed_size 0
		.amdhsa_private_segment_fixed_size 0
		.amdhsa_kernarg_size 48
		.amdhsa_user_sgpr_count 6
		.amdhsa_user_sgpr_private_segment_buffer 1
		.amdhsa_user_sgpr_dispatch_ptr 0
		.amdhsa_user_sgpr_queue_ptr 0
		.amdhsa_user_sgpr_kernarg_segment_ptr 1
		.amdhsa_user_sgpr_dispatch_id 0
		.amdhsa_user_sgpr_flat_scratch_init 0
		.amdhsa_user_sgpr_kernarg_preload_length 0
		.amdhsa_user_sgpr_kernarg_preload_offset 0
		.amdhsa_user_sgpr_private_segment_size 0
		.amdhsa_uses_dynamic_stack 0
		.amdhsa_system_sgpr_private_segment_wavefront_offset 0
		.amdhsa_system_sgpr_workgroup_id_x 1
		.amdhsa_system_sgpr_workgroup_id_y 0
		.amdhsa_system_sgpr_workgroup_id_z 0
		.amdhsa_system_sgpr_workgroup_info 0
		.amdhsa_system_vgpr_workitem_id 0
		.amdhsa_next_free_vgpr 1
		.amdhsa_next_free_sgpr 0
		.amdhsa_accum_offset 4
		.amdhsa_reserve_vcc 0
		.amdhsa_reserve_flat_scratch 0
		.amdhsa_float_round_mode_32 0
		.amdhsa_float_round_mode_16_64 0
		.amdhsa_float_denorm_mode_32 3
		.amdhsa_float_denorm_mode_16_64 3
		.amdhsa_dx10_clamp 1
		.amdhsa_ieee_mode 1
		.amdhsa_fp16_overflow 0
		.amdhsa_tg_split 0
		.amdhsa_exception_fp_ieee_invalid_op 0
		.amdhsa_exception_fp_denorm_src 0
		.amdhsa_exception_fp_ieee_div_zero 0
		.amdhsa_exception_fp_ieee_overflow 0
		.amdhsa_exception_fp_ieee_underflow 0
		.amdhsa_exception_fp_ieee_inexact 0
		.amdhsa_exception_int_div_zero 0
	.end_amdhsa_kernel
	.section	.text._ZN7rocprim17ROCPRIM_400000_NS6detail17trampoline_kernelINS0_13kernel_configILj256ELj4ELj4294967295EEENS1_37radix_sort_block_sort_config_selectorIsNS0_10empty_typeEEEZNS1_21radix_sort_block_sortIS4_Lb1EPsS9_PS6_SA_NS0_19identity_decomposerEEE10hipError_tT1_T2_T3_T4_jRjT5_jjP12ihipStream_tbEUlT_E_NS1_11comp_targetILNS1_3genE8ELNS1_11target_archE1030ELNS1_3gpuE2ELNS1_3repE0EEENS1_44radix_sort_block_sort_config_static_selectorELNS0_4arch9wavefront6targetE1EEEvSD_,"axG",@progbits,_ZN7rocprim17ROCPRIM_400000_NS6detail17trampoline_kernelINS0_13kernel_configILj256ELj4ELj4294967295EEENS1_37radix_sort_block_sort_config_selectorIsNS0_10empty_typeEEEZNS1_21radix_sort_block_sortIS4_Lb1EPsS9_PS6_SA_NS0_19identity_decomposerEEE10hipError_tT1_T2_T3_T4_jRjT5_jjP12ihipStream_tbEUlT_E_NS1_11comp_targetILNS1_3genE8ELNS1_11target_archE1030ELNS1_3gpuE2ELNS1_3repE0EEENS1_44radix_sort_block_sort_config_static_selectorELNS0_4arch9wavefront6targetE1EEEvSD_,comdat
.Lfunc_end1759:
	.size	_ZN7rocprim17ROCPRIM_400000_NS6detail17trampoline_kernelINS0_13kernel_configILj256ELj4ELj4294967295EEENS1_37radix_sort_block_sort_config_selectorIsNS0_10empty_typeEEEZNS1_21radix_sort_block_sortIS4_Lb1EPsS9_PS6_SA_NS0_19identity_decomposerEEE10hipError_tT1_T2_T3_T4_jRjT5_jjP12ihipStream_tbEUlT_E_NS1_11comp_targetILNS1_3genE8ELNS1_11target_archE1030ELNS1_3gpuE2ELNS1_3repE0EEENS1_44radix_sort_block_sort_config_static_selectorELNS0_4arch9wavefront6targetE1EEEvSD_, .Lfunc_end1759-_ZN7rocprim17ROCPRIM_400000_NS6detail17trampoline_kernelINS0_13kernel_configILj256ELj4ELj4294967295EEENS1_37radix_sort_block_sort_config_selectorIsNS0_10empty_typeEEEZNS1_21radix_sort_block_sortIS4_Lb1EPsS9_PS6_SA_NS0_19identity_decomposerEEE10hipError_tT1_T2_T3_T4_jRjT5_jjP12ihipStream_tbEUlT_E_NS1_11comp_targetILNS1_3genE8ELNS1_11target_archE1030ELNS1_3gpuE2ELNS1_3repE0EEENS1_44radix_sort_block_sort_config_static_selectorELNS0_4arch9wavefront6targetE1EEEvSD_
                                        ; -- End function
	.section	.AMDGPU.csdata,"",@progbits
; Kernel info:
; codeLenInByte = 0
; NumSgprs: 4
; NumVgprs: 0
; NumAgprs: 0
; TotalNumVgprs: 0
; ScratchSize: 0
; MemoryBound: 0
; FloatMode: 240
; IeeeMode: 1
; LDSByteSize: 0 bytes/workgroup (compile time only)
; SGPRBlocks: 0
; VGPRBlocks: 0
; NumSGPRsForWavesPerEU: 4
; NumVGPRsForWavesPerEU: 1
; AccumOffset: 4
; Occupancy: 8
; WaveLimiterHint : 0
; COMPUTE_PGM_RSRC2:SCRATCH_EN: 0
; COMPUTE_PGM_RSRC2:USER_SGPR: 6
; COMPUTE_PGM_RSRC2:TRAP_HANDLER: 0
; COMPUTE_PGM_RSRC2:TGID_X_EN: 1
; COMPUTE_PGM_RSRC2:TGID_Y_EN: 0
; COMPUTE_PGM_RSRC2:TGID_Z_EN: 0
; COMPUTE_PGM_RSRC2:TIDIG_COMP_CNT: 0
; COMPUTE_PGM_RSRC3_GFX90A:ACCUM_OFFSET: 0
; COMPUTE_PGM_RSRC3_GFX90A:TG_SPLIT: 0
	.section	.text._ZN7rocprim17ROCPRIM_400000_NS6detail17trampoline_kernelINS0_14default_configENS1_38merge_sort_block_merge_config_selectorIsNS0_10empty_typeEEEZZNS1_27merge_sort_block_merge_implIS3_PsPS5_jNS1_19radix_merge_compareILb1ELb0EsNS0_19identity_decomposerEEEEE10hipError_tT0_T1_T2_jT3_P12ihipStream_tbPNSt15iterator_traitsISE_E10value_typeEPNSK_ISF_E10value_typeEPSG_NS1_7vsmem_tEENKUlT_SE_SF_SG_E_clIS8_S8_S9_S9_EESD_ST_SE_SF_SG_EUlST_E_NS1_11comp_targetILNS1_3genE0ELNS1_11target_archE4294967295ELNS1_3gpuE0ELNS1_3repE0EEENS1_48merge_mergepath_partition_config_static_selectorELNS0_4arch9wavefront6targetE1EEEvSF_,"axG",@progbits,_ZN7rocprim17ROCPRIM_400000_NS6detail17trampoline_kernelINS0_14default_configENS1_38merge_sort_block_merge_config_selectorIsNS0_10empty_typeEEEZZNS1_27merge_sort_block_merge_implIS3_PsPS5_jNS1_19radix_merge_compareILb1ELb0EsNS0_19identity_decomposerEEEEE10hipError_tT0_T1_T2_jT3_P12ihipStream_tbPNSt15iterator_traitsISE_E10value_typeEPNSK_ISF_E10value_typeEPSG_NS1_7vsmem_tEENKUlT_SE_SF_SG_E_clIS8_S8_S9_S9_EESD_ST_SE_SF_SG_EUlST_E_NS1_11comp_targetILNS1_3genE0ELNS1_11target_archE4294967295ELNS1_3gpuE0ELNS1_3repE0EEENS1_48merge_mergepath_partition_config_static_selectorELNS0_4arch9wavefront6targetE1EEEvSF_,comdat
	.protected	_ZN7rocprim17ROCPRIM_400000_NS6detail17trampoline_kernelINS0_14default_configENS1_38merge_sort_block_merge_config_selectorIsNS0_10empty_typeEEEZZNS1_27merge_sort_block_merge_implIS3_PsPS5_jNS1_19radix_merge_compareILb1ELb0EsNS0_19identity_decomposerEEEEE10hipError_tT0_T1_T2_jT3_P12ihipStream_tbPNSt15iterator_traitsISE_E10value_typeEPNSK_ISF_E10value_typeEPSG_NS1_7vsmem_tEENKUlT_SE_SF_SG_E_clIS8_S8_S9_S9_EESD_ST_SE_SF_SG_EUlST_E_NS1_11comp_targetILNS1_3genE0ELNS1_11target_archE4294967295ELNS1_3gpuE0ELNS1_3repE0EEENS1_48merge_mergepath_partition_config_static_selectorELNS0_4arch9wavefront6targetE1EEEvSF_ ; -- Begin function _ZN7rocprim17ROCPRIM_400000_NS6detail17trampoline_kernelINS0_14default_configENS1_38merge_sort_block_merge_config_selectorIsNS0_10empty_typeEEEZZNS1_27merge_sort_block_merge_implIS3_PsPS5_jNS1_19radix_merge_compareILb1ELb0EsNS0_19identity_decomposerEEEEE10hipError_tT0_T1_T2_jT3_P12ihipStream_tbPNSt15iterator_traitsISE_E10value_typeEPNSK_ISF_E10value_typeEPSG_NS1_7vsmem_tEENKUlT_SE_SF_SG_E_clIS8_S8_S9_S9_EESD_ST_SE_SF_SG_EUlST_E_NS1_11comp_targetILNS1_3genE0ELNS1_11target_archE4294967295ELNS1_3gpuE0ELNS1_3repE0EEENS1_48merge_mergepath_partition_config_static_selectorELNS0_4arch9wavefront6targetE1EEEvSF_
	.globl	_ZN7rocprim17ROCPRIM_400000_NS6detail17trampoline_kernelINS0_14default_configENS1_38merge_sort_block_merge_config_selectorIsNS0_10empty_typeEEEZZNS1_27merge_sort_block_merge_implIS3_PsPS5_jNS1_19radix_merge_compareILb1ELb0EsNS0_19identity_decomposerEEEEE10hipError_tT0_T1_T2_jT3_P12ihipStream_tbPNSt15iterator_traitsISE_E10value_typeEPNSK_ISF_E10value_typeEPSG_NS1_7vsmem_tEENKUlT_SE_SF_SG_E_clIS8_S8_S9_S9_EESD_ST_SE_SF_SG_EUlST_E_NS1_11comp_targetILNS1_3genE0ELNS1_11target_archE4294967295ELNS1_3gpuE0ELNS1_3repE0EEENS1_48merge_mergepath_partition_config_static_selectorELNS0_4arch9wavefront6targetE1EEEvSF_
	.p2align	8
	.type	_ZN7rocprim17ROCPRIM_400000_NS6detail17trampoline_kernelINS0_14default_configENS1_38merge_sort_block_merge_config_selectorIsNS0_10empty_typeEEEZZNS1_27merge_sort_block_merge_implIS3_PsPS5_jNS1_19radix_merge_compareILb1ELb0EsNS0_19identity_decomposerEEEEE10hipError_tT0_T1_T2_jT3_P12ihipStream_tbPNSt15iterator_traitsISE_E10value_typeEPNSK_ISF_E10value_typeEPSG_NS1_7vsmem_tEENKUlT_SE_SF_SG_E_clIS8_S8_S9_S9_EESD_ST_SE_SF_SG_EUlST_E_NS1_11comp_targetILNS1_3genE0ELNS1_11target_archE4294967295ELNS1_3gpuE0ELNS1_3repE0EEENS1_48merge_mergepath_partition_config_static_selectorELNS0_4arch9wavefront6targetE1EEEvSF_,@function
_ZN7rocprim17ROCPRIM_400000_NS6detail17trampoline_kernelINS0_14default_configENS1_38merge_sort_block_merge_config_selectorIsNS0_10empty_typeEEEZZNS1_27merge_sort_block_merge_implIS3_PsPS5_jNS1_19radix_merge_compareILb1ELb0EsNS0_19identity_decomposerEEEEE10hipError_tT0_T1_T2_jT3_P12ihipStream_tbPNSt15iterator_traitsISE_E10value_typeEPNSK_ISF_E10value_typeEPSG_NS1_7vsmem_tEENKUlT_SE_SF_SG_E_clIS8_S8_S9_S9_EESD_ST_SE_SF_SG_EUlST_E_NS1_11comp_targetILNS1_3genE0ELNS1_11target_archE4294967295ELNS1_3gpuE0ELNS1_3repE0EEENS1_48merge_mergepath_partition_config_static_selectorELNS0_4arch9wavefront6targetE1EEEvSF_: ; @_ZN7rocprim17ROCPRIM_400000_NS6detail17trampoline_kernelINS0_14default_configENS1_38merge_sort_block_merge_config_selectorIsNS0_10empty_typeEEEZZNS1_27merge_sort_block_merge_implIS3_PsPS5_jNS1_19radix_merge_compareILb1ELb0EsNS0_19identity_decomposerEEEEE10hipError_tT0_T1_T2_jT3_P12ihipStream_tbPNSt15iterator_traitsISE_E10value_typeEPNSK_ISF_E10value_typeEPSG_NS1_7vsmem_tEENKUlT_SE_SF_SG_E_clIS8_S8_S9_S9_EESD_ST_SE_SF_SG_EUlST_E_NS1_11comp_targetILNS1_3genE0ELNS1_11target_archE4294967295ELNS1_3gpuE0ELNS1_3repE0EEENS1_48merge_mergepath_partition_config_static_selectorELNS0_4arch9wavefront6targetE1EEEvSF_
; %bb.0:
	.section	.rodata,"a",@progbits
	.p2align	6, 0x0
	.amdhsa_kernel _ZN7rocprim17ROCPRIM_400000_NS6detail17trampoline_kernelINS0_14default_configENS1_38merge_sort_block_merge_config_selectorIsNS0_10empty_typeEEEZZNS1_27merge_sort_block_merge_implIS3_PsPS5_jNS1_19radix_merge_compareILb1ELb0EsNS0_19identity_decomposerEEEEE10hipError_tT0_T1_T2_jT3_P12ihipStream_tbPNSt15iterator_traitsISE_E10value_typeEPNSK_ISF_E10value_typeEPSG_NS1_7vsmem_tEENKUlT_SE_SF_SG_E_clIS8_S8_S9_S9_EESD_ST_SE_SF_SG_EUlST_E_NS1_11comp_targetILNS1_3genE0ELNS1_11target_archE4294967295ELNS1_3gpuE0ELNS1_3repE0EEENS1_48merge_mergepath_partition_config_static_selectorELNS0_4arch9wavefront6targetE1EEEvSF_
		.amdhsa_group_segment_fixed_size 0
		.amdhsa_private_segment_fixed_size 0
		.amdhsa_kernarg_size 40
		.amdhsa_user_sgpr_count 6
		.amdhsa_user_sgpr_private_segment_buffer 1
		.amdhsa_user_sgpr_dispatch_ptr 0
		.amdhsa_user_sgpr_queue_ptr 0
		.amdhsa_user_sgpr_kernarg_segment_ptr 1
		.amdhsa_user_sgpr_dispatch_id 0
		.amdhsa_user_sgpr_flat_scratch_init 0
		.amdhsa_user_sgpr_kernarg_preload_length 0
		.amdhsa_user_sgpr_kernarg_preload_offset 0
		.amdhsa_user_sgpr_private_segment_size 0
		.amdhsa_uses_dynamic_stack 0
		.amdhsa_system_sgpr_private_segment_wavefront_offset 0
		.amdhsa_system_sgpr_workgroup_id_x 1
		.amdhsa_system_sgpr_workgroup_id_y 0
		.amdhsa_system_sgpr_workgroup_id_z 0
		.amdhsa_system_sgpr_workgroup_info 0
		.amdhsa_system_vgpr_workitem_id 0
		.amdhsa_next_free_vgpr 1
		.amdhsa_next_free_sgpr 0
		.amdhsa_accum_offset 4
		.amdhsa_reserve_vcc 0
		.amdhsa_reserve_flat_scratch 0
		.amdhsa_float_round_mode_32 0
		.amdhsa_float_round_mode_16_64 0
		.amdhsa_float_denorm_mode_32 3
		.amdhsa_float_denorm_mode_16_64 3
		.amdhsa_dx10_clamp 1
		.amdhsa_ieee_mode 1
		.amdhsa_fp16_overflow 0
		.amdhsa_tg_split 0
		.amdhsa_exception_fp_ieee_invalid_op 0
		.amdhsa_exception_fp_denorm_src 0
		.amdhsa_exception_fp_ieee_div_zero 0
		.amdhsa_exception_fp_ieee_overflow 0
		.amdhsa_exception_fp_ieee_underflow 0
		.amdhsa_exception_fp_ieee_inexact 0
		.amdhsa_exception_int_div_zero 0
	.end_amdhsa_kernel
	.section	.text._ZN7rocprim17ROCPRIM_400000_NS6detail17trampoline_kernelINS0_14default_configENS1_38merge_sort_block_merge_config_selectorIsNS0_10empty_typeEEEZZNS1_27merge_sort_block_merge_implIS3_PsPS5_jNS1_19radix_merge_compareILb1ELb0EsNS0_19identity_decomposerEEEEE10hipError_tT0_T1_T2_jT3_P12ihipStream_tbPNSt15iterator_traitsISE_E10value_typeEPNSK_ISF_E10value_typeEPSG_NS1_7vsmem_tEENKUlT_SE_SF_SG_E_clIS8_S8_S9_S9_EESD_ST_SE_SF_SG_EUlST_E_NS1_11comp_targetILNS1_3genE0ELNS1_11target_archE4294967295ELNS1_3gpuE0ELNS1_3repE0EEENS1_48merge_mergepath_partition_config_static_selectorELNS0_4arch9wavefront6targetE1EEEvSF_,"axG",@progbits,_ZN7rocprim17ROCPRIM_400000_NS6detail17trampoline_kernelINS0_14default_configENS1_38merge_sort_block_merge_config_selectorIsNS0_10empty_typeEEEZZNS1_27merge_sort_block_merge_implIS3_PsPS5_jNS1_19radix_merge_compareILb1ELb0EsNS0_19identity_decomposerEEEEE10hipError_tT0_T1_T2_jT3_P12ihipStream_tbPNSt15iterator_traitsISE_E10value_typeEPNSK_ISF_E10value_typeEPSG_NS1_7vsmem_tEENKUlT_SE_SF_SG_E_clIS8_S8_S9_S9_EESD_ST_SE_SF_SG_EUlST_E_NS1_11comp_targetILNS1_3genE0ELNS1_11target_archE4294967295ELNS1_3gpuE0ELNS1_3repE0EEENS1_48merge_mergepath_partition_config_static_selectorELNS0_4arch9wavefront6targetE1EEEvSF_,comdat
.Lfunc_end1760:
	.size	_ZN7rocprim17ROCPRIM_400000_NS6detail17trampoline_kernelINS0_14default_configENS1_38merge_sort_block_merge_config_selectorIsNS0_10empty_typeEEEZZNS1_27merge_sort_block_merge_implIS3_PsPS5_jNS1_19radix_merge_compareILb1ELb0EsNS0_19identity_decomposerEEEEE10hipError_tT0_T1_T2_jT3_P12ihipStream_tbPNSt15iterator_traitsISE_E10value_typeEPNSK_ISF_E10value_typeEPSG_NS1_7vsmem_tEENKUlT_SE_SF_SG_E_clIS8_S8_S9_S9_EESD_ST_SE_SF_SG_EUlST_E_NS1_11comp_targetILNS1_3genE0ELNS1_11target_archE4294967295ELNS1_3gpuE0ELNS1_3repE0EEENS1_48merge_mergepath_partition_config_static_selectorELNS0_4arch9wavefront6targetE1EEEvSF_, .Lfunc_end1760-_ZN7rocprim17ROCPRIM_400000_NS6detail17trampoline_kernelINS0_14default_configENS1_38merge_sort_block_merge_config_selectorIsNS0_10empty_typeEEEZZNS1_27merge_sort_block_merge_implIS3_PsPS5_jNS1_19radix_merge_compareILb1ELb0EsNS0_19identity_decomposerEEEEE10hipError_tT0_T1_T2_jT3_P12ihipStream_tbPNSt15iterator_traitsISE_E10value_typeEPNSK_ISF_E10value_typeEPSG_NS1_7vsmem_tEENKUlT_SE_SF_SG_E_clIS8_S8_S9_S9_EESD_ST_SE_SF_SG_EUlST_E_NS1_11comp_targetILNS1_3genE0ELNS1_11target_archE4294967295ELNS1_3gpuE0ELNS1_3repE0EEENS1_48merge_mergepath_partition_config_static_selectorELNS0_4arch9wavefront6targetE1EEEvSF_
                                        ; -- End function
	.section	.AMDGPU.csdata,"",@progbits
; Kernel info:
; codeLenInByte = 0
; NumSgprs: 4
; NumVgprs: 0
; NumAgprs: 0
; TotalNumVgprs: 0
; ScratchSize: 0
; MemoryBound: 0
; FloatMode: 240
; IeeeMode: 1
; LDSByteSize: 0 bytes/workgroup (compile time only)
; SGPRBlocks: 0
; VGPRBlocks: 0
; NumSGPRsForWavesPerEU: 4
; NumVGPRsForWavesPerEU: 1
; AccumOffset: 4
; Occupancy: 8
; WaveLimiterHint : 0
; COMPUTE_PGM_RSRC2:SCRATCH_EN: 0
; COMPUTE_PGM_RSRC2:USER_SGPR: 6
; COMPUTE_PGM_RSRC2:TRAP_HANDLER: 0
; COMPUTE_PGM_RSRC2:TGID_X_EN: 1
; COMPUTE_PGM_RSRC2:TGID_Y_EN: 0
; COMPUTE_PGM_RSRC2:TGID_Z_EN: 0
; COMPUTE_PGM_RSRC2:TIDIG_COMP_CNT: 0
; COMPUTE_PGM_RSRC3_GFX90A:ACCUM_OFFSET: 0
; COMPUTE_PGM_RSRC3_GFX90A:TG_SPLIT: 0
	.section	.text._ZN7rocprim17ROCPRIM_400000_NS6detail17trampoline_kernelINS0_14default_configENS1_38merge_sort_block_merge_config_selectorIsNS0_10empty_typeEEEZZNS1_27merge_sort_block_merge_implIS3_PsPS5_jNS1_19radix_merge_compareILb1ELb0EsNS0_19identity_decomposerEEEEE10hipError_tT0_T1_T2_jT3_P12ihipStream_tbPNSt15iterator_traitsISE_E10value_typeEPNSK_ISF_E10value_typeEPSG_NS1_7vsmem_tEENKUlT_SE_SF_SG_E_clIS8_S8_S9_S9_EESD_ST_SE_SF_SG_EUlST_E_NS1_11comp_targetILNS1_3genE10ELNS1_11target_archE1201ELNS1_3gpuE5ELNS1_3repE0EEENS1_48merge_mergepath_partition_config_static_selectorELNS0_4arch9wavefront6targetE1EEEvSF_,"axG",@progbits,_ZN7rocprim17ROCPRIM_400000_NS6detail17trampoline_kernelINS0_14default_configENS1_38merge_sort_block_merge_config_selectorIsNS0_10empty_typeEEEZZNS1_27merge_sort_block_merge_implIS3_PsPS5_jNS1_19radix_merge_compareILb1ELb0EsNS0_19identity_decomposerEEEEE10hipError_tT0_T1_T2_jT3_P12ihipStream_tbPNSt15iterator_traitsISE_E10value_typeEPNSK_ISF_E10value_typeEPSG_NS1_7vsmem_tEENKUlT_SE_SF_SG_E_clIS8_S8_S9_S9_EESD_ST_SE_SF_SG_EUlST_E_NS1_11comp_targetILNS1_3genE10ELNS1_11target_archE1201ELNS1_3gpuE5ELNS1_3repE0EEENS1_48merge_mergepath_partition_config_static_selectorELNS0_4arch9wavefront6targetE1EEEvSF_,comdat
	.protected	_ZN7rocprim17ROCPRIM_400000_NS6detail17trampoline_kernelINS0_14default_configENS1_38merge_sort_block_merge_config_selectorIsNS0_10empty_typeEEEZZNS1_27merge_sort_block_merge_implIS3_PsPS5_jNS1_19radix_merge_compareILb1ELb0EsNS0_19identity_decomposerEEEEE10hipError_tT0_T1_T2_jT3_P12ihipStream_tbPNSt15iterator_traitsISE_E10value_typeEPNSK_ISF_E10value_typeEPSG_NS1_7vsmem_tEENKUlT_SE_SF_SG_E_clIS8_S8_S9_S9_EESD_ST_SE_SF_SG_EUlST_E_NS1_11comp_targetILNS1_3genE10ELNS1_11target_archE1201ELNS1_3gpuE5ELNS1_3repE0EEENS1_48merge_mergepath_partition_config_static_selectorELNS0_4arch9wavefront6targetE1EEEvSF_ ; -- Begin function _ZN7rocprim17ROCPRIM_400000_NS6detail17trampoline_kernelINS0_14default_configENS1_38merge_sort_block_merge_config_selectorIsNS0_10empty_typeEEEZZNS1_27merge_sort_block_merge_implIS3_PsPS5_jNS1_19radix_merge_compareILb1ELb0EsNS0_19identity_decomposerEEEEE10hipError_tT0_T1_T2_jT3_P12ihipStream_tbPNSt15iterator_traitsISE_E10value_typeEPNSK_ISF_E10value_typeEPSG_NS1_7vsmem_tEENKUlT_SE_SF_SG_E_clIS8_S8_S9_S9_EESD_ST_SE_SF_SG_EUlST_E_NS1_11comp_targetILNS1_3genE10ELNS1_11target_archE1201ELNS1_3gpuE5ELNS1_3repE0EEENS1_48merge_mergepath_partition_config_static_selectorELNS0_4arch9wavefront6targetE1EEEvSF_
	.globl	_ZN7rocprim17ROCPRIM_400000_NS6detail17trampoline_kernelINS0_14default_configENS1_38merge_sort_block_merge_config_selectorIsNS0_10empty_typeEEEZZNS1_27merge_sort_block_merge_implIS3_PsPS5_jNS1_19radix_merge_compareILb1ELb0EsNS0_19identity_decomposerEEEEE10hipError_tT0_T1_T2_jT3_P12ihipStream_tbPNSt15iterator_traitsISE_E10value_typeEPNSK_ISF_E10value_typeEPSG_NS1_7vsmem_tEENKUlT_SE_SF_SG_E_clIS8_S8_S9_S9_EESD_ST_SE_SF_SG_EUlST_E_NS1_11comp_targetILNS1_3genE10ELNS1_11target_archE1201ELNS1_3gpuE5ELNS1_3repE0EEENS1_48merge_mergepath_partition_config_static_selectorELNS0_4arch9wavefront6targetE1EEEvSF_
	.p2align	8
	.type	_ZN7rocprim17ROCPRIM_400000_NS6detail17trampoline_kernelINS0_14default_configENS1_38merge_sort_block_merge_config_selectorIsNS0_10empty_typeEEEZZNS1_27merge_sort_block_merge_implIS3_PsPS5_jNS1_19radix_merge_compareILb1ELb0EsNS0_19identity_decomposerEEEEE10hipError_tT0_T1_T2_jT3_P12ihipStream_tbPNSt15iterator_traitsISE_E10value_typeEPNSK_ISF_E10value_typeEPSG_NS1_7vsmem_tEENKUlT_SE_SF_SG_E_clIS8_S8_S9_S9_EESD_ST_SE_SF_SG_EUlST_E_NS1_11comp_targetILNS1_3genE10ELNS1_11target_archE1201ELNS1_3gpuE5ELNS1_3repE0EEENS1_48merge_mergepath_partition_config_static_selectorELNS0_4arch9wavefront6targetE1EEEvSF_,@function
_ZN7rocprim17ROCPRIM_400000_NS6detail17trampoline_kernelINS0_14default_configENS1_38merge_sort_block_merge_config_selectorIsNS0_10empty_typeEEEZZNS1_27merge_sort_block_merge_implIS3_PsPS5_jNS1_19radix_merge_compareILb1ELb0EsNS0_19identity_decomposerEEEEE10hipError_tT0_T1_T2_jT3_P12ihipStream_tbPNSt15iterator_traitsISE_E10value_typeEPNSK_ISF_E10value_typeEPSG_NS1_7vsmem_tEENKUlT_SE_SF_SG_E_clIS8_S8_S9_S9_EESD_ST_SE_SF_SG_EUlST_E_NS1_11comp_targetILNS1_3genE10ELNS1_11target_archE1201ELNS1_3gpuE5ELNS1_3repE0EEENS1_48merge_mergepath_partition_config_static_selectorELNS0_4arch9wavefront6targetE1EEEvSF_: ; @_ZN7rocprim17ROCPRIM_400000_NS6detail17trampoline_kernelINS0_14default_configENS1_38merge_sort_block_merge_config_selectorIsNS0_10empty_typeEEEZZNS1_27merge_sort_block_merge_implIS3_PsPS5_jNS1_19radix_merge_compareILb1ELb0EsNS0_19identity_decomposerEEEEE10hipError_tT0_T1_T2_jT3_P12ihipStream_tbPNSt15iterator_traitsISE_E10value_typeEPNSK_ISF_E10value_typeEPSG_NS1_7vsmem_tEENKUlT_SE_SF_SG_E_clIS8_S8_S9_S9_EESD_ST_SE_SF_SG_EUlST_E_NS1_11comp_targetILNS1_3genE10ELNS1_11target_archE1201ELNS1_3gpuE5ELNS1_3repE0EEENS1_48merge_mergepath_partition_config_static_selectorELNS0_4arch9wavefront6targetE1EEEvSF_
; %bb.0:
	.section	.rodata,"a",@progbits
	.p2align	6, 0x0
	.amdhsa_kernel _ZN7rocprim17ROCPRIM_400000_NS6detail17trampoline_kernelINS0_14default_configENS1_38merge_sort_block_merge_config_selectorIsNS0_10empty_typeEEEZZNS1_27merge_sort_block_merge_implIS3_PsPS5_jNS1_19radix_merge_compareILb1ELb0EsNS0_19identity_decomposerEEEEE10hipError_tT0_T1_T2_jT3_P12ihipStream_tbPNSt15iterator_traitsISE_E10value_typeEPNSK_ISF_E10value_typeEPSG_NS1_7vsmem_tEENKUlT_SE_SF_SG_E_clIS8_S8_S9_S9_EESD_ST_SE_SF_SG_EUlST_E_NS1_11comp_targetILNS1_3genE10ELNS1_11target_archE1201ELNS1_3gpuE5ELNS1_3repE0EEENS1_48merge_mergepath_partition_config_static_selectorELNS0_4arch9wavefront6targetE1EEEvSF_
		.amdhsa_group_segment_fixed_size 0
		.amdhsa_private_segment_fixed_size 0
		.amdhsa_kernarg_size 40
		.amdhsa_user_sgpr_count 6
		.amdhsa_user_sgpr_private_segment_buffer 1
		.amdhsa_user_sgpr_dispatch_ptr 0
		.amdhsa_user_sgpr_queue_ptr 0
		.amdhsa_user_sgpr_kernarg_segment_ptr 1
		.amdhsa_user_sgpr_dispatch_id 0
		.amdhsa_user_sgpr_flat_scratch_init 0
		.amdhsa_user_sgpr_kernarg_preload_length 0
		.amdhsa_user_sgpr_kernarg_preload_offset 0
		.amdhsa_user_sgpr_private_segment_size 0
		.amdhsa_uses_dynamic_stack 0
		.amdhsa_system_sgpr_private_segment_wavefront_offset 0
		.amdhsa_system_sgpr_workgroup_id_x 1
		.amdhsa_system_sgpr_workgroup_id_y 0
		.amdhsa_system_sgpr_workgroup_id_z 0
		.amdhsa_system_sgpr_workgroup_info 0
		.amdhsa_system_vgpr_workitem_id 0
		.amdhsa_next_free_vgpr 1
		.amdhsa_next_free_sgpr 0
		.amdhsa_accum_offset 4
		.amdhsa_reserve_vcc 0
		.amdhsa_reserve_flat_scratch 0
		.amdhsa_float_round_mode_32 0
		.amdhsa_float_round_mode_16_64 0
		.amdhsa_float_denorm_mode_32 3
		.amdhsa_float_denorm_mode_16_64 3
		.amdhsa_dx10_clamp 1
		.amdhsa_ieee_mode 1
		.amdhsa_fp16_overflow 0
		.amdhsa_tg_split 0
		.amdhsa_exception_fp_ieee_invalid_op 0
		.amdhsa_exception_fp_denorm_src 0
		.amdhsa_exception_fp_ieee_div_zero 0
		.amdhsa_exception_fp_ieee_overflow 0
		.amdhsa_exception_fp_ieee_underflow 0
		.amdhsa_exception_fp_ieee_inexact 0
		.amdhsa_exception_int_div_zero 0
	.end_amdhsa_kernel
	.section	.text._ZN7rocprim17ROCPRIM_400000_NS6detail17trampoline_kernelINS0_14default_configENS1_38merge_sort_block_merge_config_selectorIsNS0_10empty_typeEEEZZNS1_27merge_sort_block_merge_implIS3_PsPS5_jNS1_19radix_merge_compareILb1ELb0EsNS0_19identity_decomposerEEEEE10hipError_tT0_T1_T2_jT3_P12ihipStream_tbPNSt15iterator_traitsISE_E10value_typeEPNSK_ISF_E10value_typeEPSG_NS1_7vsmem_tEENKUlT_SE_SF_SG_E_clIS8_S8_S9_S9_EESD_ST_SE_SF_SG_EUlST_E_NS1_11comp_targetILNS1_3genE10ELNS1_11target_archE1201ELNS1_3gpuE5ELNS1_3repE0EEENS1_48merge_mergepath_partition_config_static_selectorELNS0_4arch9wavefront6targetE1EEEvSF_,"axG",@progbits,_ZN7rocprim17ROCPRIM_400000_NS6detail17trampoline_kernelINS0_14default_configENS1_38merge_sort_block_merge_config_selectorIsNS0_10empty_typeEEEZZNS1_27merge_sort_block_merge_implIS3_PsPS5_jNS1_19radix_merge_compareILb1ELb0EsNS0_19identity_decomposerEEEEE10hipError_tT0_T1_T2_jT3_P12ihipStream_tbPNSt15iterator_traitsISE_E10value_typeEPNSK_ISF_E10value_typeEPSG_NS1_7vsmem_tEENKUlT_SE_SF_SG_E_clIS8_S8_S9_S9_EESD_ST_SE_SF_SG_EUlST_E_NS1_11comp_targetILNS1_3genE10ELNS1_11target_archE1201ELNS1_3gpuE5ELNS1_3repE0EEENS1_48merge_mergepath_partition_config_static_selectorELNS0_4arch9wavefront6targetE1EEEvSF_,comdat
.Lfunc_end1761:
	.size	_ZN7rocprim17ROCPRIM_400000_NS6detail17trampoline_kernelINS0_14default_configENS1_38merge_sort_block_merge_config_selectorIsNS0_10empty_typeEEEZZNS1_27merge_sort_block_merge_implIS3_PsPS5_jNS1_19radix_merge_compareILb1ELb0EsNS0_19identity_decomposerEEEEE10hipError_tT0_T1_T2_jT3_P12ihipStream_tbPNSt15iterator_traitsISE_E10value_typeEPNSK_ISF_E10value_typeEPSG_NS1_7vsmem_tEENKUlT_SE_SF_SG_E_clIS8_S8_S9_S9_EESD_ST_SE_SF_SG_EUlST_E_NS1_11comp_targetILNS1_3genE10ELNS1_11target_archE1201ELNS1_3gpuE5ELNS1_3repE0EEENS1_48merge_mergepath_partition_config_static_selectorELNS0_4arch9wavefront6targetE1EEEvSF_, .Lfunc_end1761-_ZN7rocprim17ROCPRIM_400000_NS6detail17trampoline_kernelINS0_14default_configENS1_38merge_sort_block_merge_config_selectorIsNS0_10empty_typeEEEZZNS1_27merge_sort_block_merge_implIS3_PsPS5_jNS1_19radix_merge_compareILb1ELb0EsNS0_19identity_decomposerEEEEE10hipError_tT0_T1_T2_jT3_P12ihipStream_tbPNSt15iterator_traitsISE_E10value_typeEPNSK_ISF_E10value_typeEPSG_NS1_7vsmem_tEENKUlT_SE_SF_SG_E_clIS8_S8_S9_S9_EESD_ST_SE_SF_SG_EUlST_E_NS1_11comp_targetILNS1_3genE10ELNS1_11target_archE1201ELNS1_3gpuE5ELNS1_3repE0EEENS1_48merge_mergepath_partition_config_static_selectorELNS0_4arch9wavefront6targetE1EEEvSF_
                                        ; -- End function
	.section	.AMDGPU.csdata,"",@progbits
; Kernel info:
; codeLenInByte = 0
; NumSgprs: 4
; NumVgprs: 0
; NumAgprs: 0
; TotalNumVgprs: 0
; ScratchSize: 0
; MemoryBound: 0
; FloatMode: 240
; IeeeMode: 1
; LDSByteSize: 0 bytes/workgroup (compile time only)
; SGPRBlocks: 0
; VGPRBlocks: 0
; NumSGPRsForWavesPerEU: 4
; NumVGPRsForWavesPerEU: 1
; AccumOffset: 4
; Occupancy: 8
; WaveLimiterHint : 0
; COMPUTE_PGM_RSRC2:SCRATCH_EN: 0
; COMPUTE_PGM_RSRC2:USER_SGPR: 6
; COMPUTE_PGM_RSRC2:TRAP_HANDLER: 0
; COMPUTE_PGM_RSRC2:TGID_X_EN: 1
; COMPUTE_PGM_RSRC2:TGID_Y_EN: 0
; COMPUTE_PGM_RSRC2:TGID_Z_EN: 0
; COMPUTE_PGM_RSRC2:TIDIG_COMP_CNT: 0
; COMPUTE_PGM_RSRC3_GFX90A:ACCUM_OFFSET: 0
; COMPUTE_PGM_RSRC3_GFX90A:TG_SPLIT: 0
	.section	.text._ZN7rocprim17ROCPRIM_400000_NS6detail17trampoline_kernelINS0_14default_configENS1_38merge_sort_block_merge_config_selectorIsNS0_10empty_typeEEEZZNS1_27merge_sort_block_merge_implIS3_PsPS5_jNS1_19radix_merge_compareILb1ELb0EsNS0_19identity_decomposerEEEEE10hipError_tT0_T1_T2_jT3_P12ihipStream_tbPNSt15iterator_traitsISE_E10value_typeEPNSK_ISF_E10value_typeEPSG_NS1_7vsmem_tEENKUlT_SE_SF_SG_E_clIS8_S8_S9_S9_EESD_ST_SE_SF_SG_EUlST_E_NS1_11comp_targetILNS1_3genE5ELNS1_11target_archE942ELNS1_3gpuE9ELNS1_3repE0EEENS1_48merge_mergepath_partition_config_static_selectorELNS0_4arch9wavefront6targetE1EEEvSF_,"axG",@progbits,_ZN7rocprim17ROCPRIM_400000_NS6detail17trampoline_kernelINS0_14default_configENS1_38merge_sort_block_merge_config_selectorIsNS0_10empty_typeEEEZZNS1_27merge_sort_block_merge_implIS3_PsPS5_jNS1_19radix_merge_compareILb1ELb0EsNS0_19identity_decomposerEEEEE10hipError_tT0_T1_T2_jT3_P12ihipStream_tbPNSt15iterator_traitsISE_E10value_typeEPNSK_ISF_E10value_typeEPSG_NS1_7vsmem_tEENKUlT_SE_SF_SG_E_clIS8_S8_S9_S9_EESD_ST_SE_SF_SG_EUlST_E_NS1_11comp_targetILNS1_3genE5ELNS1_11target_archE942ELNS1_3gpuE9ELNS1_3repE0EEENS1_48merge_mergepath_partition_config_static_selectorELNS0_4arch9wavefront6targetE1EEEvSF_,comdat
	.protected	_ZN7rocprim17ROCPRIM_400000_NS6detail17trampoline_kernelINS0_14default_configENS1_38merge_sort_block_merge_config_selectorIsNS0_10empty_typeEEEZZNS1_27merge_sort_block_merge_implIS3_PsPS5_jNS1_19radix_merge_compareILb1ELb0EsNS0_19identity_decomposerEEEEE10hipError_tT0_T1_T2_jT3_P12ihipStream_tbPNSt15iterator_traitsISE_E10value_typeEPNSK_ISF_E10value_typeEPSG_NS1_7vsmem_tEENKUlT_SE_SF_SG_E_clIS8_S8_S9_S9_EESD_ST_SE_SF_SG_EUlST_E_NS1_11comp_targetILNS1_3genE5ELNS1_11target_archE942ELNS1_3gpuE9ELNS1_3repE0EEENS1_48merge_mergepath_partition_config_static_selectorELNS0_4arch9wavefront6targetE1EEEvSF_ ; -- Begin function _ZN7rocprim17ROCPRIM_400000_NS6detail17trampoline_kernelINS0_14default_configENS1_38merge_sort_block_merge_config_selectorIsNS0_10empty_typeEEEZZNS1_27merge_sort_block_merge_implIS3_PsPS5_jNS1_19radix_merge_compareILb1ELb0EsNS0_19identity_decomposerEEEEE10hipError_tT0_T1_T2_jT3_P12ihipStream_tbPNSt15iterator_traitsISE_E10value_typeEPNSK_ISF_E10value_typeEPSG_NS1_7vsmem_tEENKUlT_SE_SF_SG_E_clIS8_S8_S9_S9_EESD_ST_SE_SF_SG_EUlST_E_NS1_11comp_targetILNS1_3genE5ELNS1_11target_archE942ELNS1_3gpuE9ELNS1_3repE0EEENS1_48merge_mergepath_partition_config_static_selectorELNS0_4arch9wavefront6targetE1EEEvSF_
	.globl	_ZN7rocprim17ROCPRIM_400000_NS6detail17trampoline_kernelINS0_14default_configENS1_38merge_sort_block_merge_config_selectorIsNS0_10empty_typeEEEZZNS1_27merge_sort_block_merge_implIS3_PsPS5_jNS1_19radix_merge_compareILb1ELb0EsNS0_19identity_decomposerEEEEE10hipError_tT0_T1_T2_jT3_P12ihipStream_tbPNSt15iterator_traitsISE_E10value_typeEPNSK_ISF_E10value_typeEPSG_NS1_7vsmem_tEENKUlT_SE_SF_SG_E_clIS8_S8_S9_S9_EESD_ST_SE_SF_SG_EUlST_E_NS1_11comp_targetILNS1_3genE5ELNS1_11target_archE942ELNS1_3gpuE9ELNS1_3repE0EEENS1_48merge_mergepath_partition_config_static_selectorELNS0_4arch9wavefront6targetE1EEEvSF_
	.p2align	8
	.type	_ZN7rocprim17ROCPRIM_400000_NS6detail17trampoline_kernelINS0_14default_configENS1_38merge_sort_block_merge_config_selectorIsNS0_10empty_typeEEEZZNS1_27merge_sort_block_merge_implIS3_PsPS5_jNS1_19radix_merge_compareILb1ELb0EsNS0_19identity_decomposerEEEEE10hipError_tT0_T1_T2_jT3_P12ihipStream_tbPNSt15iterator_traitsISE_E10value_typeEPNSK_ISF_E10value_typeEPSG_NS1_7vsmem_tEENKUlT_SE_SF_SG_E_clIS8_S8_S9_S9_EESD_ST_SE_SF_SG_EUlST_E_NS1_11comp_targetILNS1_3genE5ELNS1_11target_archE942ELNS1_3gpuE9ELNS1_3repE0EEENS1_48merge_mergepath_partition_config_static_selectorELNS0_4arch9wavefront6targetE1EEEvSF_,@function
_ZN7rocprim17ROCPRIM_400000_NS6detail17trampoline_kernelINS0_14default_configENS1_38merge_sort_block_merge_config_selectorIsNS0_10empty_typeEEEZZNS1_27merge_sort_block_merge_implIS3_PsPS5_jNS1_19radix_merge_compareILb1ELb0EsNS0_19identity_decomposerEEEEE10hipError_tT0_T1_T2_jT3_P12ihipStream_tbPNSt15iterator_traitsISE_E10value_typeEPNSK_ISF_E10value_typeEPSG_NS1_7vsmem_tEENKUlT_SE_SF_SG_E_clIS8_S8_S9_S9_EESD_ST_SE_SF_SG_EUlST_E_NS1_11comp_targetILNS1_3genE5ELNS1_11target_archE942ELNS1_3gpuE9ELNS1_3repE0EEENS1_48merge_mergepath_partition_config_static_selectorELNS0_4arch9wavefront6targetE1EEEvSF_: ; @_ZN7rocprim17ROCPRIM_400000_NS6detail17trampoline_kernelINS0_14default_configENS1_38merge_sort_block_merge_config_selectorIsNS0_10empty_typeEEEZZNS1_27merge_sort_block_merge_implIS3_PsPS5_jNS1_19radix_merge_compareILb1ELb0EsNS0_19identity_decomposerEEEEE10hipError_tT0_T1_T2_jT3_P12ihipStream_tbPNSt15iterator_traitsISE_E10value_typeEPNSK_ISF_E10value_typeEPSG_NS1_7vsmem_tEENKUlT_SE_SF_SG_E_clIS8_S8_S9_S9_EESD_ST_SE_SF_SG_EUlST_E_NS1_11comp_targetILNS1_3genE5ELNS1_11target_archE942ELNS1_3gpuE9ELNS1_3repE0EEENS1_48merge_mergepath_partition_config_static_selectorELNS0_4arch9wavefront6targetE1EEEvSF_
; %bb.0:
	.section	.rodata,"a",@progbits
	.p2align	6, 0x0
	.amdhsa_kernel _ZN7rocprim17ROCPRIM_400000_NS6detail17trampoline_kernelINS0_14default_configENS1_38merge_sort_block_merge_config_selectorIsNS0_10empty_typeEEEZZNS1_27merge_sort_block_merge_implIS3_PsPS5_jNS1_19radix_merge_compareILb1ELb0EsNS0_19identity_decomposerEEEEE10hipError_tT0_T1_T2_jT3_P12ihipStream_tbPNSt15iterator_traitsISE_E10value_typeEPNSK_ISF_E10value_typeEPSG_NS1_7vsmem_tEENKUlT_SE_SF_SG_E_clIS8_S8_S9_S9_EESD_ST_SE_SF_SG_EUlST_E_NS1_11comp_targetILNS1_3genE5ELNS1_11target_archE942ELNS1_3gpuE9ELNS1_3repE0EEENS1_48merge_mergepath_partition_config_static_selectorELNS0_4arch9wavefront6targetE1EEEvSF_
		.amdhsa_group_segment_fixed_size 0
		.amdhsa_private_segment_fixed_size 0
		.amdhsa_kernarg_size 40
		.amdhsa_user_sgpr_count 6
		.amdhsa_user_sgpr_private_segment_buffer 1
		.amdhsa_user_sgpr_dispatch_ptr 0
		.amdhsa_user_sgpr_queue_ptr 0
		.amdhsa_user_sgpr_kernarg_segment_ptr 1
		.amdhsa_user_sgpr_dispatch_id 0
		.amdhsa_user_sgpr_flat_scratch_init 0
		.amdhsa_user_sgpr_kernarg_preload_length 0
		.amdhsa_user_sgpr_kernarg_preload_offset 0
		.amdhsa_user_sgpr_private_segment_size 0
		.amdhsa_uses_dynamic_stack 0
		.amdhsa_system_sgpr_private_segment_wavefront_offset 0
		.amdhsa_system_sgpr_workgroup_id_x 1
		.amdhsa_system_sgpr_workgroup_id_y 0
		.amdhsa_system_sgpr_workgroup_id_z 0
		.amdhsa_system_sgpr_workgroup_info 0
		.amdhsa_system_vgpr_workitem_id 0
		.amdhsa_next_free_vgpr 1
		.amdhsa_next_free_sgpr 0
		.amdhsa_accum_offset 4
		.amdhsa_reserve_vcc 0
		.amdhsa_reserve_flat_scratch 0
		.amdhsa_float_round_mode_32 0
		.amdhsa_float_round_mode_16_64 0
		.amdhsa_float_denorm_mode_32 3
		.amdhsa_float_denorm_mode_16_64 3
		.amdhsa_dx10_clamp 1
		.amdhsa_ieee_mode 1
		.amdhsa_fp16_overflow 0
		.amdhsa_tg_split 0
		.amdhsa_exception_fp_ieee_invalid_op 0
		.amdhsa_exception_fp_denorm_src 0
		.amdhsa_exception_fp_ieee_div_zero 0
		.amdhsa_exception_fp_ieee_overflow 0
		.amdhsa_exception_fp_ieee_underflow 0
		.amdhsa_exception_fp_ieee_inexact 0
		.amdhsa_exception_int_div_zero 0
	.end_amdhsa_kernel
	.section	.text._ZN7rocprim17ROCPRIM_400000_NS6detail17trampoline_kernelINS0_14default_configENS1_38merge_sort_block_merge_config_selectorIsNS0_10empty_typeEEEZZNS1_27merge_sort_block_merge_implIS3_PsPS5_jNS1_19radix_merge_compareILb1ELb0EsNS0_19identity_decomposerEEEEE10hipError_tT0_T1_T2_jT3_P12ihipStream_tbPNSt15iterator_traitsISE_E10value_typeEPNSK_ISF_E10value_typeEPSG_NS1_7vsmem_tEENKUlT_SE_SF_SG_E_clIS8_S8_S9_S9_EESD_ST_SE_SF_SG_EUlST_E_NS1_11comp_targetILNS1_3genE5ELNS1_11target_archE942ELNS1_3gpuE9ELNS1_3repE0EEENS1_48merge_mergepath_partition_config_static_selectorELNS0_4arch9wavefront6targetE1EEEvSF_,"axG",@progbits,_ZN7rocprim17ROCPRIM_400000_NS6detail17trampoline_kernelINS0_14default_configENS1_38merge_sort_block_merge_config_selectorIsNS0_10empty_typeEEEZZNS1_27merge_sort_block_merge_implIS3_PsPS5_jNS1_19radix_merge_compareILb1ELb0EsNS0_19identity_decomposerEEEEE10hipError_tT0_T1_T2_jT3_P12ihipStream_tbPNSt15iterator_traitsISE_E10value_typeEPNSK_ISF_E10value_typeEPSG_NS1_7vsmem_tEENKUlT_SE_SF_SG_E_clIS8_S8_S9_S9_EESD_ST_SE_SF_SG_EUlST_E_NS1_11comp_targetILNS1_3genE5ELNS1_11target_archE942ELNS1_3gpuE9ELNS1_3repE0EEENS1_48merge_mergepath_partition_config_static_selectorELNS0_4arch9wavefront6targetE1EEEvSF_,comdat
.Lfunc_end1762:
	.size	_ZN7rocprim17ROCPRIM_400000_NS6detail17trampoline_kernelINS0_14default_configENS1_38merge_sort_block_merge_config_selectorIsNS0_10empty_typeEEEZZNS1_27merge_sort_block_merge_implIS3_PsPS5_jNS1_19radix_merge_compareILb1ELb0EsNS0_19identity_decomposerEEEEE10hipError_tT0_T1_T2_jT3_P12ihipStream_tbPNSt15iterator_traitsISE_E10value_typeEPNSK_ISF_E10value_typeEPSG_NS1_7vsmem_tEENKUlT_SE_SF_SG_E_clIS8_S8_S9_S9_EESD_ST_SE_SF_SG_EUlST_E_NS1_11comp_targetILNS1_3genE5ELNS1_11target_archE942ELNS1_3gpuE9ELNS1_3repE0EEENS1_48merge_mergepath_partition_config_static_selectorELNS0_4arch9wavefront6targetE1EEEvSF_, .Lfunc_end1762-_ZN7rocprim17ROCPRIM_400000_NS6detail17trampoline_kernelINS0_14default_configENS1_38merge_sort_block_merge_config_selectorIsNS0_10empty_typeEEEZZNS1_27merge_sort_block_merge_implIS3_PsPS5_jNS1_19radix_merge_compareILb1ELb0EsNS0_19identity_decomposerEEEEE10hipError_tT0_T1_T2_jT3_P12ihipStream_tbPNSt15iterator_traitsISE_E10value_typeEPNSK_ISF_E10value_typeEPSG_NS1_7vsmem_tEENKUlT_SE_SF_SG_E_clIS8_S8_S9_S9_EESD_ST_SE_SF_SG_EUlST_E_NS1_11comp_targetILNS1_3genE5ELNS1_11target_archE942ELNS1_3gpuE9ELNS1_3repE0EEENS1_48merge_mergepath_partition_config_static_selectorELNS0_4arch9wavefront6targetE1EEEvSF_
                                        ; -- End function
	.section	.AMDGPU.csdata,"",@progbits
; Kernel info:
; codeLenInByte = 0
; NumSgprs: 4
; NumVgprs: 0
; NumAgprs: 0
; TotalNumVgprs: 0
; ScratchSize: 0
; MemoryBound: 0
; FloatMode: 240
; IeeeMode: 1
; LDSByteSize: 0 bytes/workgroup (compile time only)
; SGPRBlocks: 0
; VGPRBlocks: 0
; NumSGPRsForWavesPerEU: 4
; NumVGPRsForWavesPerEU: 1
; AccumOffset: 4
; Occupancy: 8
; WaveLimiterHint : 0
; COMPUTE_PGM_RSRC2:SCRATCH_EN: 0
; COMPUTE_PGM_RSRC2:USER_SGPR: 6
; COMPUTE_PGM_RSRC2:TRAP_HANDLER: 0
; COMPUTE_PGM_RSRC2:TGID_X_EN: 1
; COMPUTE_PGM_RSRC2:TGID_Y_EN: 0
; COMPUTE_PGM_RSRC2:TGID_Z_EN: 0
; COMPUTE_PGM_RSRC2:TIDIG_COMP_CNT: 0
; COMPUTE_PGM_RSRC3_GFX90A:ACCUM_OFFSET: 0
; COMPUTE_PGM_RSRC3_GFX90A:TG_SPLIT: 0
	.section	.text._ZN7rocprim17ROCPRIM_400000_NS6detail17trampoline_kernelINS0_14default_configENS1_38merge_sort_block_merge_config_selectorIsNS0_10empty_typeEEEZZNS1_27merge_sort_block_merge_implIS3_PsPS5_jNS1_19radix_merge_compareILb1ELb0EsNS0_19identity_decomposerEEEEE10hipError_tT0_T1_T2_jT3_P12ihipStream_tbPNSt15iterator_traitsISE_E10value_typeEPNSK_ISF_E10value_typeEPSG_NS1_7vsmem_tEENKUlT_SE_SF_SG_E_clIS8_S8_S9_S9_EESD_ST_SE_SF_SG_EUlST_E_NS1_11comp_targetILNS1_3genE4ELNS1_11target_archE910ELNS1_3gpuE8ELNS1_3repE0EEENS1_48merge_mergepath_partition_config_static_selectorELNS0_4arch9wavefront6targetE1EEEvSF_,"axG",@progbits,_ZN7rocprim17ROCPRIM_400000_NS6detail17trampoline_kernelINS0_14default_configENS1_38merge_sort_block_merge_config_selectorIsNS0_10empty_typeEEEZZNS1_27merge_sort_block_merge_implIS3_PsPS5_jNS1_19radix_merge_compareILb1ELb0EsNS0_19identity_decomposerEEEEE10hipError_tT0_T1_T2_jT3_P12ihipStream_tbPNSt15iterator_traitsISE_E10value_typeEPNSK_ISF_E10value_typeEPSG_NS1_7vsmem_tEENKUlT_SE_SF_SG_E_clIS8_S8_S9_S9_EESD_ST_SE_SF_SG_EUlST_E_NS1_11comp_targetILNS1_3genE4ELNS1_11target_archE910ELNS1_3gpuE8ELNS1_3repE0EEENS1_48merge_mergepath_partition_config_static_selectorELNS0_4arch9wavefront6targetE1EEEvSF_,comdat
	.protected	_ZN7rocprim17ROCPRIM_400000_NS6detail17trampoline_kernelINS0_14default_configENS1_38merge_sort_block_merge_config_selectorIsNS0_10empty_typeEEEZZNS1_27merge_sort_block_merge_implIS3_PsPS5_jNS1_19radix_merge_compareILb1ELb0EsNS0_19identity_decomposerEEEEE10hipError_tT0_T1_T2_jT3_P12ihipStream_tbPNSt15iterator_traitsISE_E10value_typeEPNSK_ISF_E10value_typeEPSG_NS1_7vsmem_tEENKUlT_SE_SF_SG_E_clIS8_S8_S9_S9_EESD_ST_SE_SF_SG_EUlST_E_NS1_11comp_targetILNS1_3genE4ELNS1_11target_archE910ELNS1_3gpuE8ELNS1_3repE0EEENS1_48merge_mergepath_partition_config_static_selectorELNS0_4arch9wavefront6targetE1EEEvSF_ ; -- Begin function _ZN7rocprim17ROCPRIM_400000_NS6detail17trampoline_kernelINS0_14default_configENS1_38merge_sort_block_merge_config_selectorIsNS0_10empty_typeEEEZZNS1_27merge_sort_block_merge_implIS3_PsPS5_jNS1_19radix_merge_compareILb1ELb0EsNS0_19identity_decomposerEEEEE10hipError_tT0_T1_T2_jT3_P12ihipStream_tbPNSt15iterator_traitsISE_E10value_typeEPNSK_ISF_E10value_typeEPSG_NS1_7vsmem_tEENKUlT_SE_SF_SG_E_clIS8_S8_S9_S9_EESD_ST_SE_SF_SG_EUlST_E_NS1_11comp_targetILNS1_3genE4ELNS1_11target_archE910ELNS1_3gpuE8ELNS1_3repE0EEENS1_48merge_mergepath_partition_config_static_selectorELNS0_4arch9wavefront6targetE1EEEvSF_
	.globl	_ZN7rocprim17ROCPRIM_400000_NS6detail17trampoline_kernelINS0_14default_configENS1_38merge_sort_block_merge_config_selectorIsNS0_10empty_typeEEEZZNS1_27merge_sort_block_merge_implIS3_PsPS5_jNS1_19radix_merge_compareILb1ELb0EsNS0_19identity_decomposerEEEEE10hipError_tT0_T1_T2_jT3_P12ihipStream_tbPNSt15iterator_traitsISE_E10value_typeEPNSK_ISF_E10value_typeEPSG_NS1_7vsmem_tEENKUlT_SE_SF_SG_E_clIS8_S8_S9_S9_EESD_ST_SE_SF_SG_EUlST_E_NS1_11comp_targetILNS1_3genE4ELNS1_11target_archE910ELNS1_3gpuE8ELNS1_3repE0EEENS1_48merge_mergepath_partition_config_static_selectorELNS0_4arch9wavefront6targetE1EEEvSF_
	.p2align	8
	.type	_ZN7rocprim17ROCPRIM_400000_NS6detail17trampoline_kernelINS0_14default_configENS1_38merge_sort_block_merge_config_selectorIsNS0_10empty_typeEEEZZNS1_27merge_sort_block_merge_implIS3_PsPS5_jNS1_19radix_merge_compareILb1ELb0EsNS0_19identity_decomposerEEEEE10hipError_tT0_T1_T2_jT3_P12ihipStream_tbPNSt15iterator_traitsISE_E10value_typeEPNSK_ISF_E10value_typeEPSG_NS1_7vsmem_tEENKUlT_SE_SF_SG_E_clIS8_S8_S9_S9_EESD_ST_SE_SF_SG_EUlST_E_NS1_11comp_targetILNS1_3genE4ELNS1_11target_archE910ELNS1_3gpuE8ELNS1_3repE0EEENS1_48merge_mergepath_partition_config_static_selectorELNS0_4arch9wavefront6targetE1EEEvSF_,@function
_ZN7rocprim17ROCPRIM_400000_NS6detail17trampoline_kernelINS0_14default_configENS1_38merge_sort_block_merge_config_selectorIsNS0_10empty_typeEEEZZNS1_27merge_sort_block_merge_implIS3_PsPS5_jNS1_19radix_merge_compareILb1ELb0EsNS0_19identity_decomposerEEEEE10hipError_tT0_T1_T2_jT3_P12ihipStream_tbPNSt15iterator_traitsISE_E10value_typeEPNSK_ISF_E10value_typeEPSG_NS1_7vsmem_tEENKUlT_SE_SF_SG_E_clIS8_S8_S9_S9_EESD_ST_SE_SF_SG_EUlST_E_NS1_11comp_targetILNS1_3genE4ELNS1_11target_archE910ELNS1_3gpuE8ELNS1_3repE0EEENS1_48merge_mergepath_partition_config_static_selectorELNS0_4arch9wavefront6targetE1EEEvSF_: ; @_ZN7rocprim17ROCPRIM_400000_NS6detail17trampoline_kernelINS0_14default_configENS1_38merge_sort_block_merge_config_selectorIsNS0_10empty_typeEEEZZNS1_27merge_sort_block_merge_implIS3_PsPS5_jNS1_19radix_merge_compareILb1ELb0EsNS0_19identity_decomposerEEEEE10hipError_tT0_T1_T2_jT3_P12ihipStream_tbPNSt15iterator_traitsISE_E10value_typeEPNSK_ISF_E10value_typeEPSG_NS1_7vsmem_tEENKUlT_SE_SF_SG_E_clIS8_S8_S9_S9_EESD_ST_SE_SF_SG_EUlST_E_NS1_11comp_targetILNS1_3genE4ELNS1_11target_archE910ELNS1_3gpuE8ELNS1_3repE0EEENS1_48merge_mergepath_partition_config_static_selectorELNS0_4arch9wavefront6targetE1EEEvSF_
; %bb.0:
	s_load_dword s0, s[4:5], 0x0
	v_lshl_or_b32 v0, s6, 7, v0
	s_waitcnt lgkmcnt(0)
	v_cmp_gt_u32_e32 vcc, s0, v0
	s_and_saveexec_b64 s[0:1], vcc
	s_cbranch_execz .LBB1763_6
; %bb.1:
	s_load_dwordx2 s[2:3], s[4:5], 0x4
	s_load_dwordx2 s[0:1], s[4:5], 0x20
	s_waitcnt lgkmcnt(0)
	s_lshr_b32 s6, s2, 9
	s_and_b32 s6, s6, 0x7ffffe
	s_add_i32 s7, s6, -1
	s_sub_i32 s6, 0, s6
	v_and_b32_e32 v1, s6, v0
	v_lshlrev_b32_e32 v1, 10, v1
	v_min_u32_e32 v2, s3, v1
	v_add_u32_e32 v1, s2, v1
	v_min_u32_e32 v4, s3, v1
	v_add_u32_e32 v1, s2, v4
	v_and_b32_e32 v3, s7, v0
	v_min_u32_e32 v1, s3, v1
	v_sub_u32_e32 v5, v1, v2
	v_lshlrev_b32_e32 v3, 10, v3
	v_min_u32_e32 v6, v5, v3
	v_sub_u32_e32 v3, v4, v2
	v_sub_u32_e32 v1, v1, v4
	v_sub_u32_e64 v1, v6, v1 clamp
	v_min_u32_e32 v7, v6, v3
	v_cmp_lt_u32_e32 vcc, v1, v7
	s_and_saveexec_b64 s[2:3], vcc
	s_cbranch_execz .LBB1763_5
; %bb.2:
	s_load_dwordx2 s[4:5], s[4:5], 0x10
	v_mov_b32_e32 v5, 0
	v_mov_b32_e32 v3, v5
	v_lshlrev_b64 v[8:9], 1, v[2:3]
	v_lshlrev_b64 v[10:11], 1, v[4:5]
	s_waitcnt lgkmcnt(0)
	v_mov_b32_e32 v12, s5
	v_add_co_u32_e32 v3, vcc, s4, v8
	v_addc_co_u32_e32 v8, vcc, v12, v9, vcc
	v_add_co_u32_e32 v9, vcc, s4, v10
	v_addc_co_u32_e32 v10, vcc, v12, v11, vcc
	s_mov_b64 s[4:5], 0
.LBB1763_3:                             ; =>This Inner Loop Header: Depth=1
	v_add_u32_e32 v4, v7, v1
	v_and_b32_e32 v12, -2, v4
	v_lshrrev_b32_e32 v11, 1, v4
	v_add_co_u32_e32 v12, vcc, v3, v12
	v_xad_u32 v4, v11, -1, v6
	v_addc_co_u32_e32 v13, vcc, 0, v8, vcc
	global_load_ushort v14, v[12:13], off
	v_lshlrev_b64 v[12:13], 1, v[4:5]
	v_add_co_u32_e32 v12, vcc, v9, v12
	v_addc_co_u32_e32 v13, vcc, v10, v13, vcc
	global_load_ushort v4, v[12:13], off
	v_add_u32_e32 v12, 1, v11
	s_waitcnt vmcnt(0)
	v_cmp_gt_i16_e32 vcc, v4, v14
	v_cndmask_b32_e32 v7, v7, v11, vcc
	v_cndmask_b32_e32 v1, v12, v1, vcc
	v_cmp_ge_u32_e32 vcc, v1, v7
	s_or_b64 s[4:5], vcc, s[4:5]
	s_andn2_b64 exec, exec, s[4:5]
	s_cbranch_execnz .LBB1763_3
; %bb.4:
	s_or_b64 exec, exec, s[4:5]
.LBB1763_5:
	s_or_b64 exec, exec, s[2:3]
	v_add_u32_e32 v2, v1, v2
	v_mov_b32_e32 v1, 0
	v_lshlrev_b64 v[0:1], 2, v[0:1]
	v_mov_b32_e32 v3, s1
	v_add_co_u32_e32 v0, vcc, s0, v0
	v_addc_co_u32_e32 v1, vcc, v3, v1, vcc
	global_store_dword v[0:1], v2, off
.LBB1763_6:
	s_endpgm
	.section	.rodata,"a",@progbits
	.p2align	6, 0x0
	.amdhsa_kernel _ZN7rocprim17ROCPRIM_400000_NS6detail17trampoline_kernelINS0_14default_configENS1_38merge_sort_block_merge_config_selectorIsNS0_10empty_typeEEEZZNS1_27merge_sort_block_merge_implIS3_PsPS5_jNS1_19radix_merge_compareILb1ELb0EsNS0_19identity_decomposerEEEEE10hipError_tT0_T1_T2_jT3_P12ihipStream_tbPNSt15iterator_traitsISE_E10value_typeEPNSK_ISF_E10value_typeEPSG_NS1_7vsmem_tEENKUlT_SE_SF_SG_E_clIS8_S8_S9_S9_EESD_ST_SE_SF_SG_EUlST_E_NS1_11comp_targetILNS1_3genE4ELNS1_11target_archE910ELNS1_3gpuE8ELNS1_3repE0EEENS1_48merge_mergepath_partition_config_static_selectorELNS0_4arch9wavefront6targetE1EEEvSF_
		.amdhsa_group_segment_fixed_size 0
		.amdhsa_private_segment_fixed_size 0
		.amdhsa_kernarg_size 40
		.amdhsa_user_sgpr_count 6
		.amdhsa_user_sgpr_private_segment_buffer 1
		.amdhsa_user_sgpr_dispatch_ptr 0
		.amdhsa_user_sgpr_queue_ptr 0
		.amdhsa_user_sgpr_kernarg_segment_ptr 1
		.amdhsa_user_sgpr_dispatch_id 0
		.amdhsa_user_sgpr_flat_scratch_init 0
		.amdhsa_user_sgpr_kernarg_preload_length 0
		.amdhsa_user_sgpr_kernarg_preload_offset 0
		.amdhsa_user_sgpr_private_segment_size 0
		.amdhsa_uses_dynamic_stack 0
		.amdhsa_system_sgpr_private_segment_wavefront_offset 0
		.amdhsa_system_sgpr_workgroup_id_x 1
		.amdhsa_system_sgpr_workgroup_id_y 0
		.amdhsa_system_sgpr_workgroup_id_z 0
		.amdhsa_system_sgpr_workgroup_info 0
		.amdhsa_system_vgpr_workitem_id 0
		.amdhsa_next_free_vgpr 15
		.amdhsa_next_free_sgpr 8
		.amdhsa_accum_offset 16
		.amdhsa_reserve_vcc 1
		.amdhsa_reserve_flat_scratch 0
		.amdhsa_float_round_mode_32 0
		.amdhsa_float_round_mode_16_64 0
		.amdhsa_float_denorm_mode_32 3
		.amdhsa_float_denorm_mode_16_64 3
		.amdhsa_dx10_clamp 1
		.amdhsa_ieee_mode 1
		.amdhsa_fp16_overflow 0
		.amdhsa_tg_split 0
		.amdhsa_exception_fp_ieee_invalid_op 0
		.amdhsa_exception_fp_denorm_src 0
		.amdhsa_exception_fp_ieee_div_zero 0
		.amdhsa_exception_fp_ieee_overflow 0
		.amdhsa_exception_fp_ieee_underflow 0
		.amdhsa_exception_fp_ieee_inexact 0
		.amdhsa_exception_int_div_zero 0
	.end_amdhsa_kernel
	.section	.text._ZN7rocprim17ROCPRIM_400000_NS6detail17trampoline_kernelINS0_14default_configENS1_38merge_sort_block_merge_config_selectorIsNS0_10empty_typeEEEZZNS1_27merge_sort_block_merge_implIS3_PsPS5_jNS1_19radix_merge_compareILb1ELb0EsNS0_19identity_decomposerEEEEE10hipError_tT0_T1_T2_jT3_P12ihipStream_tbPNSt15iterator_traitsISE_E10value_typeEPNSK_ISF_E10value_typeEPSG_NS1_7vsmem_tEENKUlT_SE_SF_SG_E_clIS8_S8_S9_S9_EESD_ST_SE_SF_SG_EUlST_E_NS1_11comp_targetILNS1_3genE4ELNS1_11target_archE910ELNS1_3gpuE8ELNS1_3repE0EEENS1_48merge_mergepath_partition_config_static_selectorELNS0_4arch9wavefront6targetE1EEEvSF_,"axG",@progbits,_ZN7rocprim17ROCPRIM_400000_NS6detail17trampoline_kernelINS0_14default_configENS1_38merge_sort_block_merge_config_selectorIsNS0_10empty_typeEEEZZNS1_27merge_sort_block_merge_implIS3_PsPS5_jNS1_19radix_merge_compareILb1ELb0EsNS0_19identity_decomposerEEEEE10hipError_tT0_T1_T2_jT3_P12ihipStream_tbPNSt15iterator_traitsISE_E10value_typeEPNSK_ISF_E10value_typeEPSG_NS1_7vsmem_tEENKUlT_SE_SF_SG_E_clIS8_S8_S9_S9_EESD_ST_SE_SF_SG_EUlST_E_NS1_11comp_targetILNS1_3genE4ELNS1_11target_archE910ELNS1_3gpuE8ELNS1_3repE0EEENS1_48merge_mergepath_partition_config_static_selectorELNS0_4arch9wavefront6targetE1EEEvSF_,comdat
.Lfunc_end1763:
	.size	_ZN7rocprim17ROCPRIM_400000_NS6detail17trampoline_kernelINS0_14default_configENS1_38merge_sort_block_merge_config_selectorIsNS0_10empty_typeEEEZZNS1_27merge_sort_block_merge_implIS3_PsPS5_jNS1_19radix_merge_compareILb1ELb0EsNS0_19identity_decomposerEEEEE10hipError_tT0_T1_T2_jT3_P12ihipStream_tbPNSt15iterator_traitsISE_E10value_typeEPNSK_ISF_E10value_typeEPSG_NS1_7vsmem_tEENKUlT_SE_SF_SG_E_clIS8_S8_S9_S9_EESD_ST_SE_SF_SG_EUlST_E_NS1_11comp_targetILNS1_3genE4ELNS1_11target_archE910ELNS1_3gpuE8ELNS1_3repE0EEENS1_48merge_mergepath_partition_config_static_selectorELNS0_4arch9wavefront6targetE1EEEvSF_, .Lfunc_end1763-_ZN7rocprim17ROCPRIM_400000_NS6detail17trampoline_kernelINS0_14default_configENS1_38merge_sort_block_merge_config_selectorIsNS0_10empty_typeEEEZZNS1_27merge_sort_block_merge_implIS3_PsPS5_jNS1_19radix_merge_compareILb1ELb0EsNS0_19identity_decomposerEEEEE10hipError_tT0_T1_T2_jT3_P12ihipStream_tbPNSt15iterator_traitsISE_E10value_typeEPNSK_ISF_E10value_typeEPSG_NS1_7vsmem_tEENKUlT_SE_SF_SG_E_clIS8_S8_S9_S9_EESD_ST_SE_SF_SG_EUlST_E_NS1_11comp_targetILNS1_3genE4ELNS1_11target_archE910ELNS1_3gpuE8ELNS1_3repE0EEENS1_48merge_mergepath_partition_config_static_selectorELNS0_4arch9wavefront6targetE1EEEvSF_
                                        ; -- End function
	.section	.AMDGPU.csdata,"",@progbits
; Kernel info:
; codeLenInByte = 352
; NumSgprs: 12
; NumVgprs: 15
; NumAgprs: 0
; TotalNumVgprs: 15
; ScratchSize: 0
; MemoryBound: 0
; FloatMode: 240
; IeeeMode: 1
; LDSByteSize: 0 bytes/workgroup (compile time only)
; SGPRBlocks: 1
; VGPRBlocks: 1
; NumSGPRsForWavesPerEU: 12
; NumVGPRsForWavesPerEU: 15
; AccumOffset: 16
; Occupancy: 8
; WaveLimiterHint : 0
; COMPUTE_PGM_RSRC2:SCRATCH_EN: 0
; COMPUTE_PGM_RSRC2:USER_SGPR: 6
; COMPUTE_PGM_RSRC2:TRAP_HANDLER: 0
; COMPUTE_PGM_RSRC2:TGID_X_EN: 1
; COMPUTE_PGM_RSRC2:TGID_Y_EN: 0
; COMPUTE_PGM_RSRC2:TGID_Z_EN: 0
; COMPUTE_PGM_RSRC2:TIDIG_COMP_CNT: 0
; COMPUTE_PGM_RSRC3_GFX90A:ACCUM_OFFSET: 3
; COMPUTE_PGM_RSRC3_GFX90A:TG_SPLIT: 0
	.section	.text._ZN7rocprim17ROCPRIM_400000_NS6detail17trampoline_kernelINS0_14default_configENS1_38merge_sort_block_merge_config_selectorIsNS0_10empty_typeEEEZZNS1_27merge_sort_block_merge_implIS3_PsPS5_jNS1_19radix_merge_compareILb1ELb0EsNS0_19identity_decomposerEEEEE10hipError_tT0_T1_T2_jT3_P12ihipStream_tbPNSt15iterator_traitsISE_E10value_typeEPNSK_ISF_E10value_typeEPSG_NS1_7vsmem_tEENKUlT_SE_SF_SG_E_clIS8_S8_S9_S9_EESD_ST_SE_SF_SG_EUlST_E_NS1_11comp_targetILNS1_3genE3ELNS1_11target_archE908ELNS1_3gpuE7ELNS1_3repE0EEENS1_48merge_mergepath_partition_config_static_selectorELNS0_4arch9wavefront6targetE1EEEvSF_,"axG",@progbits,_ZN7rocprim17ROCPRIM_400000_NS6detail17trampoline_kernelINS0_14default_configENS1_38merge_sort_block_merge_config_selectorIsNS0_10empty_typeEEEZZNS1_27merge_sort_block_merge_implIS3_PsPS5_jNS1_19radix_merge_compareILb1ELb0EsNS0_19identity_decomposerEEEEE10hipError_tT0_T1_T2_jT3_P12ihipStream_tbPNSt15iterator_traitsISE_E10value_typeEPNSK_ISF_E10value_typeEPSG_NS1_7vsmem_tEENKUlT_SE_SF_SG_E_clIS8_S8_S9_S9_EESD_ST_SE_SF_SG_EUlST_E_NS1_11comp_targetILNS1_3genE3ELNS1_11target_archE908ELNS1_3gpuE7ELNS1_3repE0EEENS1_48merge_mergepath_partition_config_static_selectorELNS0_4arch9wavefront6targetE1EEEvSF_,comdat
	.protected	_ZN7rocprim17ROCPRIM_400000_NS6detail17trampoline_kernelINS0_14default_configENS1_38merge_sort_block_merge_config_selectorIsNS0_10empty_typeEEEZZNS1_27merge_sort_block_merge_implIS3_PsPS5_jNS1_19radix_merge_compareILb1ELb0EsNS0_19identity_decomposerEEEEE10hipError_tT0_T1_T2_jT3_P12ihipStream_tbPNSt15iterator_traitsISE_E10value_typeEPNSK_ISF_E10value_typeEPSG_NS1_7vsmem_tEENKUlT_SE_SF_SG_E_clIS8_S8_S9_S9_EESD_ST_SE_SF_SG_EUlST_E_NS1_11comp_targetILNS1_3genE3ELNS1_11target_archE908ELNS1_3gpuE7ELNS1_3repE0EEENS1_48merge_mergepath_partition_config_static_selectorELNS0_4arch9wavefront6targetE1EEEvSF_ ; -- Begin function _ZN7rocprim17ROCPRIM_400000_NS6detail17trampoline_kernelINS0_14default_configENS1_38merge_sort_block_merge_config_selectorIsNS0_10empty_typeEEEZZNS1_27merge_sort_block_merge_implIS3_PsPS5_jNS1_19radix_merge_compareILb1ELb0EsNS0_19identity_decomposerEEEEE10hipError_tT0_T1_T2_jT3_P12ihipStream_tbPNSt15iterator_traitsISE_E10value_typeEPNSK_ISF_E10value_typeEPSG_NS1_7vsmem_tEENKUlT_SE_SF_SG_E_clIS8_S8_S9_S9_EESD_ST_SE_SF_SG_EUlST_E_NS1_11comp_targetILNS1_3genE3ELNS1_11target_archE908ELNS1_3gpuE7ELNS1_3repE0EEENS1_48merge_mergepath_partition_config_static_selectorELNS0_4arch9wavefront6targetE1EEEvSF_
	.globl	_ZN7rocprim17ROCPRIM_400000_NS6detail17trampoline_kernelINS0_14default_configENS1_38merge_sort_block_merge_config_selectorIsNS0_10empty_typeEEEZZNS1_27merge_sort_block_merge_implIS3_PsPS5_jNS1_19radix_merge_compareILb1ELb0EsNS0_19identity_decomposerEEEEE10hipError_tT0_T1_T2_jT3_P12ihipStream_tbPNSt15iterator_traitsISE_E10value_typeEPNSK_ISF_E10value_typeEPSG_NS1_7vsmem_tEENKUlT_SE_SF_SG_E_clIS8_S8_S9_S9_EESD_ST_SE_SF_SG_EUlST_E_NS1_11comp_targetILNS1_3genE3ELNS1_11target_archE908ELNS1_3gpuE7ELNS1_3repE0EEENS1_48merge_mergepath_partition_config_static_selectorELNS0_4arch9wavefront6targetE1EEEvSF_
	.p2align	8
	.type	_ZN7rocprim17ROCPRIM_400000_NS6detail17trampoline_kernelINS0_14default_configENS1_38merge_sort_block_merge_config_selectorIsNS0_10empty_typeEEEZZNS1_27merge_sort_block_merge_implIS3_PsPS5_jNS1_19radix_merge_compareILb1ELb0EsNS0_19identity_decomposerEEEEE10hipError_tT0_T1_T2_jT3_P12ihipStream_tbPNSt15iterator_traitsISE_E10value_typeEPNSK_ISF_E10value_typeEPSG_NS1_7vsmem_tEENKUlT_SE_SF_SG_E_clIS8_S8_S9_S9_EESD_ST_SE_SF_SG_EUlST_E_NS1_11comp_targetILNS1_3genE3ELNS1_11target_archE908ELNS1_3gpuE7ELNS1_3repE0EEENS1_48merge_mergepath_partition_config_static_selectorELNS0_4arch9wavefront6targetE1EEEvSF_,@function
_ZN7rocprim17ROCPRIM_400000_NS6detail17trampoline_kernelINS0_14default_configENS1_38merge_sort_block_merge_config_selectorIsNS0_10empty_typeEEEZZNS1_27merge_sort_block_merge_implIS3_PsPS5_jNS1_19radix_merge_compareILb1ELb0EsNS0_19identity_decomposerEEEEE10hipError_tT0_T1_T2_jT3_P12ihipStream_tbPNSt15iterator_traitsISE_E10value_typeEPNSK_ISF_E10value_typeEPSG_NS1_7vsmem_tEENKUlT_SE_SF_SG_E_clIS8_S8_S9_S9_EESD_ST_SE_SF_SG_EUlST_E_NS1_11comp_targetILNS1_3genE3ELNS1_11target_archE908ELNS1_3gpuE7ELNS1_3repE0EEENS1_48merge_mergepath_partition_config_static_selectorELNS0_4arch9wavefront6targetE1EEEvSF_: ; @_ZN7rocprim17ROCPRIM_400000_NS6detail17trampoline_kernelINS0_14default_configENS1_38merge_sort_block_merge_config_selectorIsNS0_10empty_typeEEEZZNS1_27merge_sort_block_merge_implIS3_PsPS5_jNS1_19radix_merge_compareILb1ELb0EsNS0_19identity_decomposerEEEEE10hipError_tT0_T1_T2_jT3_P12ihipStream_tbPNSt15iterator_traitsISE_E10value_typeEPNSK_ISF_E10value_typeEPSG_NS1_7vsmem_tEENKUlT_SE_SF_SG_E_clIS8_S8_S9_S9_EESD_ST_SE_SF_SG_EUlST_E_NS1_11comp_targetILNS1_3genE3ELNS1_11target_archE908ELNS1_3gpuE7ELNS1_3repE0EEENS1_48merge_mergepath_partition_config_static_selectorELNS0_4arch9wavefront6targetE1EEEvSF_
; %bb.0:
	.section	.rodata,"a",@progbits
	.p2align	6, 0x0
	.amdhsa_kernel _ZN7rocprim17ROCPRIM_400000_NS6detail17trampoline_kernelINS0_14default_configENS1_38merge_sort_block_merge_config_selectorIsNS0_10empty_typeEEEZZNS1_27merge_sort_block_merge_implIS3_PsPS5_jNS1_19radix_merge_compareILb1ELb0EsNS0_19identity_decomposerEEEEE10hipError_tT0_T1_T2_jT3_P12ihipStream_tbPNSt15iterator_traitsISE_E10value_typeEPNSK_ISF_E10value_typeEPSG_NS1_7vsmem_tEENKUlT_SE_SF_SG_E_clIS8_S8_S9_S9_EESD_ST_SE_SF_SG_EUlST_E_NS1_11comp_targetILNS1_3genE3ELNS1_11target_archE908ELNS1_3gpuE7ELNS1_3repE0EEENS1_48merge_mergepath_partition_config_static_selectorELNS0_4arch9wavefront6targetE1EEEvSF_
		.amdhsa_group_segment_fixed_size 0
		.amdhsa_private_segment_fixed_size 0
		.amdhsa_kernarg_size 40
		.amdhsa_user_sgpr_count 6
		.amdhsa_user_sgpr_private_segment_buffer 1
		.amdhsa_user_sgpr_dispatch_ptr 0
		.amdhsa_user_sgpr_queue_ptr 0
		.amdhsa_user_sgpr_kernarg_segment_ptr 1
		.amdhsa_user_sgpr_dispatch_id 0
		.amdhsa_user_sgpr_flat_scratch_init 0
		.amdhsa_user_sgpr_kernarg_preload_length 0
		.amdhsa_user_sgpr_kernarg_preload_offset 0
		.amdhsa_user_sgpr_private_segment_size 0
		.amdhsa_uses_dynamic_stack 0
		.amdhsa_system_sgpr_private_segment_wavefront_offset 0
		.amdhsa_system_sgpr_workgroup_id_x 1
		.amdhsa_system_sgpr_workgroup_id_y 0
		.amdhsa_system_sgpr_workgroup_id_z 0
		.amdhsa_system_sgpr_workgroup_info 0
		.amdhsa_system_vgpr_workitem_id 0
		.amdhsa_next_free_vgpr 1
		.amdhsa_next_free_sgpr 0
		.amdhsa_accum_offset 4
		.amdhsa_reserve_vcc 0
		.amdhsa_reserve_flat_scratch 0
		.amdhsa_float_round_mode_32 0
		.amdhsa_float_round_mode_16_64 0
		.amdhsa_float_denorm_mode_32 3
		.amdhsa_float_denorm_mode_16_64 3
		.amdhsa_dx10_clamp 1
		.amdhsa_ieee_mode 1
		.amdhsa_fp16_overflow 0
		.amdhsa_tg_split 0
		.amdhsa_exception_fp_ieee_invalid_op 0
		.amdhsa_exception_fp_denorm_src 0
		.amdhsa_exception_fp_ieee_div_zero 0
		.amdhsa_exception_fp_ieee_overflow 0
		.amdhsa_exception_fp_ieee_underflow 0
		.amdhsa_exception_fp_ieee_inexact 0
		.amdhsa_exception_int_div_zero 0
	.end_amdhsa_kernel
	.section	.text._ZN7rocprim17ROCPRIM_400000_NS6detail17trampoline_kernelINS0_14default_configENS1_38merge_sort_block_merge_config_selectorIsNS0_10empty_typeEEEZZNS1_27merge_sort_block_merge_implIS3_PsPS5_jNS1_19radix_merge_compareILb1ELb0EsNS0_19identity_decomposerEEEEE10hipError_tT0_T1_T2_jT3_P12ihipStream_tbPNSt15iterator_traitsISE_E10value_typeEPNSK_ISF_E10value_typeEPSG_NS1_7vsmem_tEENKUlT_SE_SF_SG_E_clIS8_S8_S9_S9_EESD_ST_SE_SF_SG_EUlST_E_NS1_11comp_targetILNS1_3genE3ELNS1_11target_archE908ELNS1_3gpuE7ELNS1_3repE0EEENS1_48merge_mergepath_partition_config_static_selectorELNS0_4arch9wavefront6targetE1EEEvSF_,"axG",@progbits,_ZN7rocprim17ROCPRIM_400000_NS6detail17trampoline_kernelINS0_14default_configENS1_38merge_sort_block_merge_config_selectorIsNS0_10empty_typeEEEZZNS1_27merge_sort_block_merge_implIS3_PsPS5_jNS1_19radix_merge_compareILb1ELb0EsNS0_19identity_decomposerEEEEE10hipError_tT0_T1_T2_jT3_P12ihipStream_tbPNSt15iterator_traitsISE_E10value_typeEPNSK_ISF_E10value_typeEPSG_NS1_7vsmem_tEENKUlT_SE_SF_SG_E_clIS8_S8_S9_S9_EESD_ST_SE_SF_SG_EUlST_E_NS1_11comp_targetILNS1_3genE3ELNS1_11target_archE908ELNS1_3gpuE7ELNS1_3repE0EEENS1_48merge_mergepath_partition_config_static_selectorELNS0_4arch9wavefront6targetE1EEEvSF_,comdat
.Lfunc_end1764:
	.size	_ZN7rocprim17ROCPRIM_400000_NS6detail17trampoline_kernelINS0_14default_configENS1_38merge_sort_block_merge_config_selectorIsNS0_10empty_typeEEEZZNS1_27merge_sort_block_merge_implIS3_PsPS5_jNS1_19radix_merge_compareILb1ELb0EsNS0_19identity_decomposerEEEEE10hipError_tT0_T1_T2_jT3_P12ihipStream_tbPNSt15iterator_traitsISE_E10value_typeEPNSK_ISF_E10value_typeEPSG_NS1_7vsmem_tEENKUlT_SE_SF_SG_E_clIS8_S8_S9_S9_EESD_ST_SE_SF_SG_EUlST_E_NS1_11comp_targetILNS1_3genE3ELNS1_11target_archE908ELNS1_3gpuE7ELNS1_3repE0EEENS1_48merge_mergepath_partition_config_static_selectorELNS0_4arch9wavefront6targetE1EEEvSF_, .Lfunc_end1764-_ZN7rocprim17ROCPRIM_400000_NS6detail17trampoline_kernelINS0_14default_configENS1_38merge_sort_block_merge_config_selectorIsNS0_10empty_typeEEEZZNS1_27merge_sort_block_merge_implIS3_PsPS5_jNS1_19radix_merge_compareILb1ELb0EsNS0_19identity_decomposerEEEEE10hipError_tT0_T1_T2_jT3_P12ihipStream_tbPNSt15iterator_traitsISE_E10value_typeEPNSK_ISF_E10value_typeEPSG_NS1_7vsmem_tEENKUlT_SE_SF_SG_E_clIS8_S8_S9_S9_EESD_ST_SE_SF_SG_EUlST_E_NS1_11comp_targetILNS1_3genE3ELNS1_11target_archE908ELNS1_3gpuE7ELNS1_3repE0EEENS1_48merge_mergepath_partition_config_static_selectorELNS0_4arch9wavefront6targetE1EEEvSF_
                                        ; -- End function
	.section	.AMDGPU.csdata,"",@progbits
; Kernel info:
; codeLenInByte = 0
; NumSgprs: 4
; NumVgprs: 0
; NumAgprs: 0
; TotalNumVgprs: 0
; ScratchSize: 0
; MemoryBound: 0
; FloatMode: 240
; IeeeMode: 1
; LDSByteSize: 0 bytes/workgroup (compile time only)
; SGPRBlocks: 0
; VGPRBlocks: 0
; NumSGPRsForWavesPerEU: 4
; NumVGPRsForWavesPerEU: 1
; AccumOffset: 4
; Occupancy: 8
; WaveLimiterHint : 0
; COMPUTE_PGM_RSRC2:SCRATCH_EN: 0
; COMPUTE_PGM_RSRC2:USER_SGPR: 6
; COMPUTE_PGM_RSRC2:TRAP_HANDLER: 0
; COMPUTE_PGM_RSRC2:TGID_X_EN: 1
; COMPUTE_PGM_RSRC2:TGID_Y_EN: 0
; COMPUTE_PGM_RSRC2:TGID_Z_EN: 0
; COMPUTE_PGM_RSRC2:TIDIG_COMP_CNT: 0
; COMPUTE_PGM_RSRC3_GFX90A:ACCUM_OFFSET: 0
; COMPUTE_PGM_RSRC3_GFX90A:TG_SPLIT: 0
	.section	.text._ZN7rocprim17ROCPRIM_400000_NS6detail17trampoline_kernelINS0_14default_configENS1_38merge_sort_block_merge_config_selectorIsNS0_10empty_typeEEEZZNS1_27merge_sort_block_merge_implIS3_PsPS5_jNS1_19radix_merge_compareILb1ELb0EsNS0_19identity_decomposerEEEEE10hipError_tT0_T1_T2_jT3_P12ihipStream_tbPNSt15iterator_traitsISE_E10value_typeEPNSK_ISF_E10value_typeEPSG_NS1_7vsmem_tEENKUlT_SE_SF_SG_E_clIS8_S8_S9_S9_EESD_ST_SE_SF_SG_EUlST_E_NS1_11comp_targetILNS1_3genE2ELNS1_11target_archE906ELNS1_3gpuE6ELNS1_3repE0EEENS1_48merge_mergepath_partition_config_static_selectorELNS0_4arch9wavefront6targetE1EEEvSF_,"axG",@progbits,_ZN7rocprim17ROCPRIM_400000_NS6detail17trampoline_kernelINS0_14default_configENS1_38merge_sort_block_merge_config_selectorIsNS0_10empty_typeEEEZZNS1_27merge_sort_block_merge_implIS3_PsPS5_jNS1_19radix_merge_compareILb1ELb0EsNS0_19identity_decomposerEEEEE10hipError_tT0_T1_T2_jT3_P12ihipStream_tbPNSt15iterator_traitsISE_E10value_typeEPNSK_ISF_E10value_typeEPSG_NS1_7vsmem_tEENKUlT_SE_SF_SG_E_clIS8_S8_S9_S9_EESD_ST_SE_SF_SG_EUlST_E_NS1_11comp_targetILNS1_3genE2ELNS1_11target_archE906ELNS1_3gpuE6ELNS1_3repE0EEENS1_48merge_mergepath_partition_config_static_selectorELNS0_4arch9wavefront6targetE1EEEvSF_,comdat
	.protected	_ZN7rocprim17ROCPRIM_400000_NS6detail17trampoline_kernelINS0_14default_configENS1_38merge_sort_block_merge_config_selectorIsNS0_10empty_typeEEEZZNS1_27merge_sort_block_merge_implIS3_PsPS5_jNS1_19radix_merge_compareILb1ELb0EsNS0_19identity_decomposerEEEEE10hipError_tT0_T1_T2_jT3_P12ihipStream_tbPNSt15iterator_traitsISE_E10value_typeEPNSK_ISF_E10value_typeEPSG_NS1_7vsmem_tEENKUlT_SE_SF_SG_E_clIS8_S8_S9_S9_EESD_ST_SE_SF_SG_EUlST_E_NS1_11comp_targetILNS1_3genE2ELNS1_11target_archE906ELNS1_3gpuE6ELNS1_3repE0EEENS1_48merge_mergepath_partition_config_static_selectorELNS0_4arch9wavefront6targetE1EEEvSF_ ; -- Begin function _ZN7rocprim17ROCPRIM_400000_NS6detail17trampoline_kernelINS0_14default_configENS1_38merge_sort_block_merge_config_selectorIsNS0_10empty_typeEEEZZNS1_27merge_sort_block_merge_implIS3_PsPS5_jNS1_19radix_merge_compareILb1ELb0EsNS0_19identity_decomposerEEEEE10hipError_tT0_T1_T2_jT3_P12ihipStream_tbPNSt15iterator_traitsISE_E10value_typeEPNSK_ISF_E10value_typeEPSG_NS1_7vsmem_tEENKUlT_SE_SF_SG_E_clIS8_S8_S9_S9_EESD_ST_SE_SF_SG_EUlST_E_NS1_11comp_targetILNS1_3genE2ELNS1_11target_archE906ELNS1_3gpuE6ELNS1_3repE0EEENS1_48merge_mergepath_partition_config_static_selectorELNS0_4arch9wavefront6targetE1EEEvSF_
	.globl	_ZN7rocprim17ROCPRIM_400000_NS6detail17trampoline_kernelINS0_14default_configENS1_38merge_sort_block_merge_config_selectorIsNS0_10empty_typeEEEZZNS1_27merge_sort_block_merge_implIS3_PsPS5_jNS1_19radix_merge_compareILb1ELb0EsNS0_19identity_decomposerEEEEE10hipError_tT0_T1_T2_jT3_P12ihipStream_tbPNSt15iterator_traitsISE_E10value_typeEPNSK_ISF_E10value_typeEPSG_NS1_7vsmem_tEENKUlT_SE_SF_SG_E_clIS8_S8_S9_S9_EESD_ST_SE_SF_SG_EUlST_E_NS1_11comp_targetILNS1_3genE2ELNS1_11target_archE906ELNS1_3gpuE6ELNS1_3repE0EEENS1_48merge_mergepath_partition_config_static_selectorELNS0_4arch9wavefront6targetE1EEEvSF_
	.p2align	8
	.type	_ZN7rocprim17ROCPRIM_400000_NS6detail17trampoline_kernelINS0_14default_configENS1_38merge_sort_block_merge_config_selectorIsNS0_10empty_typeEEEZZNS1_27merge_sort_block_merge_implIS3_PsPS5_jNS1_19radix_merge_compareILb1ELb0EsNS0_19identity_decomposerEEEEE10hipError_tT0_T1_T2_jT3_P12ihipStream_tbPNSt15iterator_traitsISE_E10value_typeEPNSK_ISF_E10value_typeEPSG_NS1_7vsmem_tEENKUlT_SE_SF_SG_E_clIS8_S8_S9_S9_EESD_ST_SE_SF_SG_EUlST_E_NS1_11comp_targetILNS1_3genE2ELNS1_11target_archE906ELNS1_3gpuE6ELNS1_3repE0EEENS1_48merge_mergepath_partition_config_static_selectorELNS0_4arch9wavefront6targetE1EEEvSF_,@function
_ZN7rocprim17ROCPRIM_400000_NS6detail17trampoline_kernelINS0_14default_configENS1_38merge_sort_block_merge_config_selectorIsNS0_10empty_typeEEEZZNS1_27merge_sort_block_merge_implIS3_PsPS5_jNS1_19radix_merge_compareILb1ELb0EsNS0_19identity_decomposerEEEEE10hipError_tT0_T1_T2_jT3_P12ihipStream_tbPNSt15iterator_traitsISE_E10value_typeEPNSK_ISF_E10value_typeEPSG_NS1_7vsmem_tEENKUlT_SE_SF_SG_E_clIS8_S8_S9_S9_EESD_ST_SE_SF_SG_EUlST_E_NS1_11comp_targetILNS1_3genE2ELNS1_11target_archE906ELNS1_3gpuE6ELNS1_3repE0EEENS1_48merge_mergepath_partition_config_static_selectorELNS0_4arch9wavefront6targetE1EEEvSF_: ; @_ZN7rocprim17ROCPRIM_400000_NS6detail17trampoline_kernelINS0_14default_configENS1_38merge_sort_block_merge_config_selectorIsNS0_10empty_typeEEEZZNS1_27merge_sort_block_merge_implIS3_PsPS5_jNS1_19radix_merge_compareILb1ELb0EsNS0_19identity_decomposerEEEEE10hipError_tT0_T1_T2_jT3_P12ihipStream_tbPNSt15iterator_traitsISE_E10value_typeEPNSK_ISF_E10value_typeEPSG_NS1_7vsmem_tEENKUlT_SE_SF_SG_E_clIS8_S8_S9_S9_EESD_ST_SE_SF_SG_EUlST_E_NS1_11comp_targetILNS1_3genE2ELNS1_11target_archE906ELNS1_3gpuE6ELNS1_3repE0EEENS1_48merge_mergepath_partition_config_static_selectorELNS0_4arch9wavefront6targetE1EEEvSF_
; %bb.0:
	.section	.rodata,"a",@progbits
	.p2align	6, 0x0
	.amdhsa_kernel _ZN7rocprim17ROCPRIM_400000_NS6detail17trampoline_kernelINS0_14default_configENS1_38merge_sort_block_merge_config_selectorIsNS0_10empty_typeEEEZZNS1_27merge_sort_block_merge_implIS3_PsPS5_jNS1_19radix_merge_compareILb1ELb0EsNS0_19identity_decomposerEEEEE10hipError_tT0_T1_T2_jT3_P12ihipStream_tbPNSt15iterator_traitsISE_E10value_typeEPNSK_ISF_E10value_typeEPSG_NS1_7vsmem_tEENKUlT_SE_SF_SG_E_clIS8_S8_S9_S9_EESD_ST_SE_SF_SG_EUlST_E_NS1_11comp_targetILNS1_3genE2ELNS1_11target_archE906ELNS1_3gpuE6ELNS1_3repE0EEENS1_48merge_mergepath_partition_config_static_selectorELNS0_4arch9wavefront6targetE1EEEvSF_
		.amdhsa_group_segment_fixed_size 0
		.amdhsa_private_segment_fixed_size 0
		.amdhsa_kernarg_size 40
		.amdhsa_user_sgpr_count 6
		.amdhsa_user_sgpr_private_segment_buffer 1
		.amdhsa_user_sgpr_dispatch_ptr 0
		.amdhsa_user_sgpr_queue_ptr 0
		.amdhsa_user_sgpr_kernarg_segment_ptr 1
		.amdhsa_user_sgpr_dispatch_id 0
		.amdhsa_user_sgpr_flat_scratch_init 0
		.amdhsa_user_sgpr_kernarg_preload_length 0
		.amdhsa_user_sgpr_kernarg_preload_offset 0
		.amdhsa_user_sgpr_private_segment_size 0
		.amdhsa_uses_dynamic_stack 0
		.amdhsa_system_sgpr_private_segment_wavefront_offset 0
		.amdhsa_system_sgpr_workgroup_id_x 1
		.amdhsa_system_sgpr_workgroup_id_y 0
		.amdhsa_system_sgpr_workgroup_id_z 0
		.amdhsa_system_sgpr_workgroup_info 0
		.amdhsa_system_vgpr_workitem_id 0
		.amdhsa_next_free_vgpr 1
		.amdhsa_next_free_sgpr 0
		.amdhsa_accum_offset 4
		.amdhsa_reserve_vcc 0
		.amdhsa_reserve_flat_scratch 0
		.amdhsa_float_round_mode_32 0
		.amdhsa_float_round_mode_16_64 0
		.amdhsa_float_denorm_mode_32 3
		.amdhsa_float_denorm_mode_16_64 3
		.amdhsa_dx10_clamp 1
		.amdhsa_ieee_mode 1
		.amdhsa_fp16_overflow 0
		.amdhsa_tg_split 0
		.amdhsa_exception_fp_ieee_invalid_op 0
		.amdhsa_exception_fp_denorm_src 0
		.amdhsa_exception_fp_ieee_div_zero 0
		.amdhsa_exception_fp_ieee_overflow 0
		.amdhsa_exception_fp_ieee_underflow 0
		.amdhsa_exception_fp_ieee_inexact 0
		.amdhsa_exception_int_div_zero 0
	.end_amdhsa_kernel
	.section	.text._ZN7rocprim17ROCPRIM_400000_NS6detail17trampoline_kernelINS0_14default_configENS1_38merge_sort_block_merge_config_selectorIsNS0_10empty_typeEEEZZNS1_27merge_sort_block_merge_implIS3_PsPS5_jNS1_19radix_merge_compareILb1ELb0EsNS0_19identity_decomposerEEEEE10hipError_tT0_T1_T2_jT3_P12ihipStream_tbPNSt15iterator_traitsISE_E10value_typeEPNSK_ISF_E10value_typeEPSG_NS1_7vsmem_tEENKUlT_SE_SF_SG_E_clIS8_S8_S9_S9_EESD_ST_SE_SF_SG_EUlST_E_NS1_11comp_targetILNS1_3genE2ELNS1_11target_archE906ELNS1_3gpuE6ELNS1_3repE0EEENS1_48merge_mergepath_partition_config_static_selectorELNS0_4arch9wavefront6targetE1EEEvSF_,"axG",@progbits,_ZN7rocprim17ROCPRIM_400000_NS6detail17trampoline_kernelINS0_14default_configENS1_38merge_sort_block_merge_config_selectorIsNS0_10empty_typeEEEZZNS1_27merge_sort_block_merge_implIS3_PsPS5_jNS1_19radix_merge_compareILb1ELb0EsNS0_19identity_decomposerEEEEE10hipError_tT0_T1_T2_jT3_P12ihipStream_tbPNSt15iterator_traitsISE_E10value_typeEPNSK_ISF_E10value_typeEPSG_NS1_7vsmem_tEENKUlT_SE_SF_SG_E_clIS8_S8_S9_S9_EESD_ST_SE_SF_SG_EUlST_E_NS1_11comp_targetILNS1_3genE2ELNS1_11target_archE906ELNS1_3gpuE6ELNS1_3repE0EEENS1_48merge_mergepath_partition_config_static_selectorELNS0_4arch9wavefront6targetE1EEEvSF_,comdat
.Lfunc_end1765:
	.size	_ZN7rocprim17ROCPRIM_400000_NS6detail17trampoline_kernelINS0_14default_configENS1_38merge_sort_block_merge_config_selectorIsNS0_10empty_typeEEEZZNS1_27merge_sort_block_merge_implIS3_PsPS5_jNS1_19radix_merge_compareILb1ELb0EsNS0_19identity_decomposerEEEEE10hipError_tT0_T1_T2_jT3_P12ihipStream_tbPNSt15iterator_traitsISE_E10value_typeEPNSK_ISF_E10value_typeEPSG_NS1_7vsmem_tEENKUlT_SE_SF_SG_E_clIS8_S8_S9_S9_EESD_ST_SE_SF_SG_EUlST_E_NS1_11comp_targetILNS1_3genE2ELNS1_11target_archE906ELNS1_3gpuE6ELNS1_3repE0EEENS1_48merge_mergepath_partition_config_static_selectorELNS0_4arch9wavefront6targetE1EEEvSF_, .Lfunc_end1765-_ZN7rocprim17ROCPRIM_400000_NS6detail17trampoline_kernelINS0_14default_configENS1_38merge_sort_block_merge_config_selectorIsNS0_10empty_typeEEEZZNS1_27merge_sort_block_merge_implIS3_PsPS5_jNS1_19radix_merge_compareILb1ELb0EsNS0_19identity_decomposerEEEEE10hipError_tT0_T1_T2_jT3_P12ihipStream_tbPNSt15iterator_traitsISE_E10value_typeEPNSK_ISF_E10value_typeEPSG_NS1_7vsmem_tEENKUlT_SE_SF_SG_E_clIS8_S8_S9_S9_EESD_ST_SE_SF_SG_EUlST_E_NS1_11comp_targetILNS1_3genE2ELNS1_11target_archE906ELNS1_3gpuE6ELNS1_3repE0EEENS1_48merge_mergepath_partition_config_static_selectorELNS0_4arch9wavefront6targetE1EEEvSF_
                                        ; -- End function
	.section	.AMDGPU.csdata,"",@progbits
; Kernel info:
; codeLenInByte = 0
; NumSgprs: 4
; NumVgprs: 0
; NumAgprs: 0
; TotalNumVgprs: 0
; ScratchSize: 0
; MemoryBound: 0
; FloatMode: 240
; IeeeMode: 1
; LDSByteSize: 0 bytes/workgroup (compile time only)
; SGPRBlocks: 0
; VGPRBlocks: 0
; NumSGPRsForWavesPerEU: 4
; NumVGPRsForWavesPerEU: 1
; AccumOffset: 4
; Occupancy: 8
; WaveLimiterHint : 0
; COMPUTE_PGM_RSRC2:SCRATCH_EN: 0
; COMPUTE_PGM_RSRC2:USER_SGPR: 6
; COMPUTE_PGM_RSRC2:TRAP_HANDLER: 0
; COMPUTE_PGM_RSRC2:TGID_X_EN: 1
; COMPUTE_PGM_RSRC2:TGID_Y_EN: 0
; COMPUTE_PGM_RSRC2:TGID_Z_EN: 0
; COMPUTE_PGM_RSRC2:TIDIG_COMP_CNT: 0
; COMPUTE_PGM_RSRC3_GFX90A:ACCUM_OFFSET: 0
; COMPUTE_PGM_RSRC3_GFX90A:TG_SPLIT: 0
	.section	.text._ZN7rocprim17ROCPRIM_400000_NS6detail17trampoline_kernelINS0_14default_configENS1_38merge_sort_block_merge_config_selectorIsNS0_10empty_typeEEEZZNS1_27merge_sort_block_merge_implIS3_PsPS5_jNS1_19radix_merge_compareILb1ELb0EsNS0_19identity_decomposerEEEEE10hipError_tT0_T1_T2_jT3_P12ihipStream_tbPNSt15iterator_traitsISE_E10value_typeEPNSK_ISF_E10value_typeEPSG_NS1_7vsmem_tEENKUlT_SE_SF_SG_E_clIS8_S8_S9_S9_EESD_ST_SE_SF_SG_EUlST_E_NS1_11comp_targetILNS1_3genE9ELNS1_11target_archE1100ELNS1_3gpuE3ELNS1_3repE0EEENS1_48merge_mergepath_partition_config_static_selectorELNS0_4arch9wavefront6targetE1EEEvSF_,"axG",@progbits,_ZN7rocprim17ROCPRIM_400000_NS6detail17trampoline_kernelINS0_14default_configENS1_38merge_sort_block_merge_config_selectorIsNS0_10empty_typeEEEZZNS1_27merge_sort_block_merge_implIS3_PsPS5_jNS1_19radix_merge_compareILb1ELb0EsNS0_19identity_decomposerEEEEE10hipError_tT0_T1_T2_jT3_P12ihipStream_tbPNSt15iterator_traitsISE_E10value_typeEPNSK_ISF_E10value_typeEPSG_NS1_7vsmem_tEENKUlT_SE_SF_SG_E_clIS8_S8_S9_S9_EESD_ST_SE_SF_SG_EUlST_E_NS1_11comp_targetILNS1_3genE9ELNS1_11target_archE1100ELNS1_3gpuE3ELNS1_3repE0EEENS1_48merge_mergepath_partition_config_static_selectorELNS0_4arch9wavefront6targetE1EEEvSF_,comdat
	.protected	_ZN7rocprim17ROCPRIM_400000_NS6detail17trampoline_kernelINS0_14default_configENS1_38merge_sort_block_merge_config_selectorIsNS0_10empty_typeEEEZZNS1_27merge_sort_block_merge_implIS3_PsPS5_jNS1_19radix_merge_compareILb1ELb0EsNS0_19identity_decomposerEEEEE10hipError_tT0_T1_T2_jT3_P12ihipStream_tbPNSt15iterator_traitsISE_E10value_typeEPNSK_ISF_E10value_typeEPSG_NS1_7vsmem_tEENKUlT_SE_SF_SG_E_clIS8_S8_S9_S9_EESD_ST_SE_SF_SG_EUlST_E_NS1_11comp_targetILNS1_3genE9ELNS1_11target_archE1100ELNS1_3gpuE3ELNS1_3repE0EEENS1_48merge_mergepath_partition_config_static_selectorELNS0_4arch9wavefront6targetE1EEEvSF_ ; -- Begin function _ZN7rocprim17ROCPRIM_400000_NS6detail17trampoline_kernelINS0_14default_configENS1_38merge_sort_block_merge_config_selectorIsNS0_10empty_typeEEEZZNS1_27merge_sort_block_merge_implIS3_PsPS5_jNS1_19radix_merge_compareILb1ELb0EsNS0_19identity_decomposerEEEEE10hipError_tT0_T1_T2_jT3_P12ihipStream_tbPNSt15iterator_traitsISE_E10value_typeEPNSK_ISF_E10value_typeEPSG_NS1_7vsmem_tEENKUlT_SE_SF_SG_E_clIS8_S8_S9_S9_EESD_ST_SE_SF_SG_EUlST_E_NS1_11comp_targetILNS1_3genE9ELNS1_11target_archE1100ELNS1_3gpuE3ELNS1_3repE0EEENS1_48merge_mergepath_partition_config_static_selectorELNS0_4arch9wavefront6targetE1EEEvSF_
	.globl	_ZN7rocprim17ROCPRIM_400000_NS6detail17trampoline_kernelINS0_14default_configENS1_38merge_sort_block_merge_config_selectorIsNS0_10empty_typeEEEZZNS1_27merge_sort_block_merge_implIS3_PsPS5_jNS1_19radix_merge_compareILb1ELb0EsNS0_19identity_decomposerEEEEE10hipError_tT0_T1_T2_jT3_P12ihipStream_tbPNSt15iterator_traitsISE_E10value_typeEPNSK_ISF_E10value_typeEPSG_NS1_7vsmem_tEENKUlT_SE_SF_SG_E_clIS8_S8_S9_S9_EESD_ST_SE_SF_SG_EUlST_E_NS1_11comp_targetILNS1_3genE9ELNS1_11target_archE1100ELNS1_3gpuE3ELNS1_3repE0EEENS1_48merge_mergepath_partition_config_static_selectorELNS0_4arch9wavefront6targetE1EEEvSF_
	.p2align	8
	.type	_ZN7rocprim17ROCPRIM_400000_NS6detail17trampoline_kernelINS0_14default_configENS1_38merge_sort_block_merge_config_selectorIsNS0_10empty_typeEEEZZNS1_27merge_sort_block_merge_implIS3_PsPS5_jNS1_19radix_merge_compareILb1ELb0EsNS0_19identity_decomposerEEEEE10hipError_tT0_T1_T2_jT3_P12ihipStream_tbPNSt15iterator_traitsISE_E10value_typeEPNSK_ISF_E10value_typeEPSG_NS1_7vsmem_tEENKUlT_SE_SF_SG_E_clIS8_S8_S9_S9_EESD_ST_SE_SF_SG_EUlST_E_NS1_11comp_targetILNS1_3genE9ELNS1_11target_archE1100ELNS1_3gpuE3ELNS1_3repE0EEENS1_48merge_mergepath_partition_config_static_selectorELNS0_4arch9wavefront6targetE1EEEvSF_,@function
_ZN7rocprim17ROCPRIM_400000_NS6detail17trampoline_kernelINS0_14default_configENS1_38merge_sort_block_merge_config_selectorIsNS0_10empty_typeEEEZZNS1_27merge_sort_block_merge_implIS3_PsPS5_jNS1_19radix_merge_compareILb1ELb0EsNS0_19identity_decomposerEEEEE10hipError_tT0_T1_T2_jT3_P12ihipStream_tbPNSt15iterator_traitsISE_E10value_typeEPNSK_ISF_E10value_typeEPSG_NS1_7vsmem_tEENKUlT_SE_SF_SG_E_clIS8_S8_S9_S9_EESD_ST_SE_SF_SG_EUlST_E_NS1_11comp_targetILNS1_3genE9ELNS1_11target_archE1100ELNS1_3gpuE3ELNS1_3repE0EEENS1_48merge_mergepath_partition_config_static_selectorELNS0_4arch9wavefront6targetE1EEEvSF_: ; @_ZN7rocprim17ROCPRIM_400000_NS6detail17trampoline_kernelINS0_14default_configENS1_38merge_sort_block_merge_config_selectorIsNS0_10empty_typeEEEZZNS1_27merge_sort_block_merge_implIS3_PsPS5_jNS1_19radix_merge_compareILb1ELb0EsNS0_19identity_decomposerEEEEE10hipError_tT0_T1_T2_jT3_P12ihipStream_tbPNSt15iterator_traitsISE_E10value_typeEPNSK_ISF_E10value_typeEPSG_NS1_7vsmem_tEENKUlT_SE_SF_SG_E_clIS8_S8_S9_S9_EESD_ST_SE_SF_SG_EUlST_E_NS1_11comp_targetILNS1_3genE9ELNS1_11target_archE1100ELNS1_3gpuE3ELNS1_3repE0EEENS1_48merge_mergepath_partition_config_static_selectorELNS0_4arch9wavefront6targetE1EEEvSF_
; %bb.0:
	.section	.rodata,"a",@progbits
	.p2align	6, 0x0
	.amdhsa_kernel _ZN7rocprim17ROCPRIM_400000_NS6detail17trampoline_kernelINS0_14default_configENS1_38merge_sort_block_merge_config_selectorIsNS0_10empty_typeEEEZZNS1_27merge_sort_block_merge_implIS3_PsPS5_jNS1_19radix_merge_compareILb1ELb0EsNS0_19identity_decomposerEEEEE10hipError_tT0_T1_T2_jT3_P12ihipStream_tbPNSt15iterator_traitsISE_E10value_typeEPNSK_ISF_E10value_typeEPSG_NS1_7vsmem_tEENKUlT_SE_SF_SG_E_clIS8_S8_S9_S9_EESD_ST_SE_SF_SG_EUlST_E_NS1_11comp_targetILNS1_3genE9ELNS1_11target_archE1100ELNS1_3gpuE3ELNS1_3repE0EEENS1_48merge_mergepath_partition_config_static_selectorELNS0_4arch9wavefront6targetE1EEEvSF_
		.amdhsa_group_segment_fixed_size 0
		.amdhsa_private_segment_fixed_size 0
		.amdhsa_kernarg_size 40
		.amdhsa_user_sgpr_count 6
		.amdhsa_user_sgpr_private_segment_buffer 1
		.amdhsa_user_sgpr_dispatch_ptr 0
		.amdhsa_user_sgpr_queue_ptr 0
		.amdhsa_user_sgpr_kernarg_segment_ptr 1
		.amdhsa_user_sgpr_dispatch_id 0
		.amdhsa_user_sgpr_flat_scratch_init 0
		.amdhsa_user_sgpr_kernarg_preload_length 0
		.amdhsa_user_sgpr_kernarg_preload_offset 0
		.amdhsa_user_sgpr_private_segment_size 0
		.amdhsa_uses_dynamic_stack 0
		.amdhsa_system_sgpr_private_segment_wavefront_offset 0
		.amdhsa_system_sgpr_workgroup_id_x 1
		.amdhsa_system_sgpr_workgroup_id_y 0
		.amdhsa_system_sgpr_workgroup_id_z 0
		.amdhsa_system_sgpr_workgroup_info 0
		.amdhsa_system_vgpr_workitem_id 0
		.amdhsa_next_free_vgpr 1
		.amdhsa_next_free_sgpr 0
		.amdhsa_accum_offset 4
		.amdhsa_reserve_vcc 0
		.amdhsa_reserve_flat_scratch 0
		.amdhsa_float_round_mode_32 0
		.amdhsa_float_round_mode_16_64 0
		.amdhsa_float_denorm_mode_32 3
		.amdhsa_float_denorm_mode_16_64 3
		.amdhsa_dx10_clamp 1
		.amdhsa_ieee_mode 1
		.amdhsa_fp16_overflow 0
		.amdhsa_tg_split 0
		.amdhsa_exception_fp_ieee_invalid_op 0
		.amdhsa_exception_fp_denorm_src 0
		.amdhsa_exception_fp_ieee_div_zero 0
		.amdhsa_exception_fp_ieee_overflow 0
		.amdhsa_exception_fp_ieee_underflow 0
		.amdhsa_exception_fp_ieee_inexact 0
		.amdhsa_exception_int_div_zero 0
	.end_amdhsa_kernel
	.section	.text._ZN7rocprim17ROCPRIM_400000_NS6detail17trampoline_kernelINS0_14default_configENS1_38merge_sort_block_merge_config_selectorIsNS0_10empty_typeEEEZZNS1_27merge_sort_block_merge_implIS3_PsPS5_jNS1_19radix_merge_compareILb1ELb0EsNS0_19identity_decomposerEEEEE10hipError_tT0_T1_T2_jT3_P12ihipStream_tbPNSt15iterator_traitsISE_E10value_typeEPNSK_ISF_E10value_typeEPSG_NS1_7vsmem_tEENKUlT_SE_SF_SG_E_clIS8_S8_S9_S9_EESD_ST_SE_SF_SG_EUlST_E_NS1_11comp_targetILNS1_3genE9ELNS1_11target_archE1100ELNS1_3gpuE3ELNS1_3repE0EEENS1_48merge_mergepath_partition_config_static_selectorELNS0_4arch9wavefront6targetE1EEEvSF_,"axG",@progbits,_ZN7rocprim17ROCPRIM_400000_NS6detail17trampoline_kernelINS0_14default_configENS1_38merge_sort_block_merge_config_selectorIsNS0_10empty_typeEEEZZNS1_27merge_sort_block_merge_implIS3_PsPS5_jNS1_19radix_merge_compareILb1ELb0EsNS0_19identity_decomposerEEEEE10hipError_tT0_T1_T2_jT3_P12ihipStream_tbPNSt15iterator_traitsISE_E10value_typeEPNSK_ISF_E10value_typeEPSG_NS1_7vsmem_tEENKUlT_SE_SF_SG_E_clIS8_S8_S9_S9_EESD_ST_SE_SF_SG_EUlST_E_NS1_11comp_targetILNS1_3genE9ELNS1_11target_archE1100ELNS1_3gpuE3ELNS1_3repE0EEENS1_48merge_mergepath_partition_config_static_selectorELNS0_4arch9wavefront6targetE1EEEvSF_,comdat
.Lfunc_end1766:
	.size	_ZN7rocprim17ROCPRIM_400000_NS6detail17trampoline_kernelINS0_14default_configENS1_38merge_sort_block_merge_config_selectorIsNS0_10empty_typeEEEZZNS1_27merge_sort_block_merge_implIS3_PsPS5_jNS1_19radix_merge_compareILb1ELb0EsNS0_19identity_decomposerEEEEE10hipError_tT0_T1_T2_jT3_P12ihipStream_tbPNSt15iterator_traitsISE_E10value_typeEPNSK_ISF_E10value_typeEPSG_NS1_7vsmem_tEENKUlT_SE_SF_SG_E_clIS8_S8_S9_S9_EESD_ST_SE_SF_SG_EUlST_E_NS1_11comp_targetILNS1_3genE9ELNS1_11target_archE1100ELNS1_3gpuE3ELNS1_3repE0EEENS1_48merge_mergepath_partition_config_static_selectorELNS0_4arch9wavefront6targetE1EEEvSF_, .Lfunc_end1766-_ZN7rocprim17ROCPRIM_400000_NS6detail17trampoline_kernelINS0_14default_configENS1_38merge_sort_block_merge_config_selectorIsNS0_10empty_typeEEEZZNS1_27merge_sort_block_merge_implIS3_PsPS5_jNS1_19radix_merge_compareILb1ELb0EsNS0_19identity_decomposerEEEEE10hipError_tT0_T1_T2_jT3_P12ihipStream_tbPNSt15iterator_traitsISE_E10value_typeEPNSK_ISF_E10value_typeEPSG_NS1_7vsmem_tEENKUlT_SE_SF_SG_E_clIS8_S8_S9_S9_EESD_ST_SE_SF_SG_EUlST_E_NS1_11comp_targetILNS1_3genE9ELNS1_11target_archE1100ELNS1_3gpuE3ELNS1_3repE0EEENS1_48merge_mergepath_partition_config_static_selectorELNS0_4arch9wavefront6targetE1EEEvSF_
                                        ; -- End function
	.section	.AMDGPU.csdata,"",@progbits
; Kernel info:
; codeLenInByte = 0
; NumSgprs: 4
; NumVgprs: 0
; NumAgprs: 0
; TotalNumVgprs: 0
; ScratchSize: 0
; MemoryBound: 0
; FloatMode: 240
; IeeeMode: 1
; LDSByteSize: 0 bytes/workgroup (compile time only)
; SGPRBlocks: 0
; VGPRBlocks: 0
; NumSGPRsForWavesPerEU: 4
; NumVGPRsForWavesPerEU: 1
; AccumOffset: 4
; Occupancy: 8
; WaveLimiterHint : 0
; COMPUTE_PGM_RSRC2:SCRATCH_EN: 0
; COMPUTE_PGM_RSRC2:USER_SGPR: 6
; COMPUTE_PGM_RSRC2:TRAP_HANDLER: 0
; COMPUTE_PGM_RSRC2:TGID_X_EN: 1
; COMPUTE_PGM_RSRC2:TGID_Y_EN: 0
; COMPUTE_PGM_RSRC2:TGID_Z_EN: 0
; COMPUTE_PGM_RSRC2:TIDIG_COMP_CNT: 0
; COMPUTE_PGM_RSRC3_GFX90A:ACCUM_OFFSET: 0
; COMPUTE_PGM_RSRC3_GFX90A:TG_SPLIT: 0
	.section	.text._ZN7rocprim17ROCPRIM_400000_NS6detail17trampoline_kernelINS0_14default_configENS1_38merge_sort_block_merge_config_selectorIsNS0_10empty_typeEEEZZNS1_27merge_sort_block_merge_implIS3_PsPS5_jNS1_19radix_merge_compareILb1ELb0EsNS0_19identity_decomposerEEEEE10hipError_tT0_T1_T2_jT3_P12ihipStream_tbPNSt15iterator_traitsISE_E10value_typeEPNSK_ISF_E10value_typeEPSG_NS1_7vsmem_tEENKUlT_SE_SF_SG_E_clIS8_S8_S9_S9_EESD_ST_SE_SF_SG_EUlST_E_NS1_11comp_targetILNS1_3genE8ELNS1_11target_archE1030ELNS1_3gpuE2ELNS1_3repE0EEENS1_48merge_mergepath_partition_config_static_selectorELNS0_4arch9wavefront6targetE1EEEvSF_,"axG",@progbits,_ZN7rocprim17ROCPRIM_400000_NS6detail17trampoline_kernelINS0_14default_configENS1_38merge_sort_block_merge_config_selectorIsNS0_10empty_typeEEEZZNS1_27merge_sort_block_merge_implIS3_PsPS5_jNS1_19radix_merge_compareILb1ELb0EsNS0_19identity_decomposerEEEEE10hipError_tT0_T1_T2_jT3_P12ihipStream_tbPNSt15iterator_traitsISE_E10value_typeEPNSK_ISF_E10value_typeEPSG_NS1_7vsmem_tEENKUlT_SE_SF_SG_E_clIS8_S8_S9_S9_EESD_ST_SE_SF_SG_EUlST_E_NS1_11comp_targetILNS1_3genE8ELNS1_11target_archE1030ELNS1_3gpuE2ELNS1_3repE0EEENS1_48merge_mergepath_partition_config_static_selectorELNS0_4arch9wavefront6targetE1EEEvSF_,comdat
	.protected	_ZN7rocprim17ROCPRIM_400000_NS6detail17trampoline_kernelINS0_14default_configENS1_38merge_sort_block_merge_config_selectorIsNS0_10empty_typeEEEZZNS1_27merge_sort_block_merge_implIS3_PsPS5_jNS1_19radix_merge_compareILb1ELb0EsNS0_19identity_decomposerEEEEE10hipError_tT0_T1_T2_jT3_P12ihipStream_tbPNSt15iterator_traitsISE_E10value_typeEPNSK_ISF_E10value_typeEPSG_NS1_7vsmem_tEENKUlT_SE_SF_SG_E_clIS8_S8_S9_S9_EESD_ST_SE_SF_SG_EUlST_E_NS1_11comp_targetILNS1_3genE8ELNS1_11target_archE1030ELNS1_3gpuE2ELNS1_3repE0EEENS1_48merge_mergepath_partition_config_static_selectorELNS0_4arch9wavefront6targetE1EEEvSF_ ; -- Begin function _ZN7rocprim17ROCPRIM_400000_NS6detail17trampoline_kernelINS0_14default_configENS1_38merge_sort_block_merge_config_selectorIsNS0_10empty_typeEEEZZNS1_27merge_sort_block_merge_implIS3_PsPS5_jNS1_19radix_merge_compareILb1ELb0EsNS0_19identity_decomposerEEEEE10hipError_tT0_T1_T2_jT3_P12ihipStream_tbPNSt15iterator_traitsISE_E10value_typeEPNSK_ISF_E10value_typeEPSG_NS1_7vsmem_tEENKUlT_SE_SF_SG_E_clIS8_S8_S9_S9_EESD_ST_SE_SF_SG_EUlST_E_NS1_11comp_targetILNS1_3genE8ELNS1_11target_archE1030ELNS1_3gpuE2ELNS1_3repE0EEENS1_48merge_mergepath_partition_config_static_selectorELNS0_4arch9wavefront6targetE1EEEvSF_
	.globl	_ZN7rocprim17ROCPRIM_400000_NS6detail17trampoline_kernelINS0_14default_configENS1_38merge_sort_block_merge_config_selectorIsNS0_10empty_typeEEEZZNS1_27merge_sort_block_merge_implIS3_PsPS5_jNS1_19radix_merge_compareILb1ELb0EsNS0_19identity_decomposerEEEEE10hipError_tT0_T1_T2_jT3_P12ihipStream_tbPNSt15iterator_traitsISE_E10value_typeEPNSK_ISF_E10value_typeEPSG_NS1_7vsmem_tEENKUlT_SE_SF_SG_E_clIS8_S8_S9_S9_EESD_ST_SE_SF_SG_EUlST_E_NS1_11comp_targetILNS1_3genE8ELNS1_11target_archE1030ELNS1_3gpuE2ELNS1_3repE0EEENS1_48merge_mergepath_partition_config_static_selectorELNS0_4arch9wavefront6targetE1EEEvSF_
	.p2align	8
	.type	_ZN7rocprim17ROCPRIM_400000_NS6detail17trampoline_kernelINS0_14default_configENS1_38merge_sort_block_merge_config_selectorIsNS0_10empty_typeEEEZZNS1_27merge_sort_block_merge_implIS3_PsPS5_jNS1_19radix_merge_compareILb1ELb0EsNS0_19identity_decomposerEEEEE10hipError_tT0_T1_T2_jT3_P12ihipStream_tbPNSt15iterator_traitsISE_E10value_typeEPNSK_ISF_E10value_typeEPSG_NS1_7vsmem_tEENKUlT_SE_SF_SG_E_clIS8_S8_S9_S9_EESD_ST_SE_SF_SG_EUlST_E_NS1_11comp_targetILNS1_3genE8ELNS1_11target_archE1030ELNS1_3gpuE2ELNS1_3repE0EEENS1_48merge_mergepath_partition_config_static_selectorELNS0_4arch9wavefront6targetE1EEEvSF_,@function
_ZN7rocprim17ROCPRIM_400000_NS6detail17trampoline_kernelINS0_14default_configENS1_38merge_sort_block_merge_config_selectorIsNS0_10empty_typeEEEZZNS1_27merge_sort_block_merge_implIS3_PsPS5_jNS1_19radix_merge_compareILb1ELb0EsNS0_19identity_decomposerEEEEE10hipError_tT0_T1_T2_jT3_P12ihipStream_tbPNSt15iterator_traitsISE_E10value_typeEPNSK_ISF_E10value_typeEPSG_NS1_7vsmem_tEENKUlT_SE_SF_SG_E_clIS8_S8_S9_S9_EESD_ST_SE_SF_SG_EUlST_E_NS1_11comp_targetILNS1_3genE8ELNS1_11target_archE1030ELNS1_3gpuE2ELNS1_3repE0EEENS1_48merge_mergepath_partition_config_static_selectorELNS0_4arch9wavefront6targetE1EEEvSF_: ; @_ZN7rocprim17ROCPRIM_400000_NS6detail17trampoline_kernelINS0_14default_configENS1_38merge_sort_block_merge_config_selectorIsNS0_10empty_typeEEEZZNS1_27merge_sort_block_merge_implIS3_PsPS5_jNS1_19radix_merge_compareILb1ELb0EsNS0_19identity_decomposerEEEEE10hipError_tT0_T1_T2_jT3_P12ihipStream_tbPNSt15iterator_traitsISE_E10value_typeEPNSK_ISF_E10value_typeEPSG_NS1_7vsmem_tEENKUlT_SE_SF_SG_E_clIS8_S8_S9_S9_EESD_ST_SE_SF_SG_EUlST_E_NS1_11comp_targetILNS1_3genE8ELNS1_11target_archE1030ELNS1_3gpuE2ELNS1_3repE0EEENS1_48merge_mergepath_partition_config_static_selectorELNS0_4arch9wavefront6targetE1EEEvSF_
; %bb.0:
	.section	.rodata,"a",@progbits
	.p2align	6, 0x0
	.amdhsa_kernel _ZN7rocprim17ROCPRIM_400000_NS6detail17trampoline_kernelINS0_14default_configENS1_38merge_sort_block_merge_config_selectorIsNS0_10empty_typeEEEZZNS1_27merge_sort_block_merge_implIS3_PsPS5_jNS1_19radix_merge_compareILb1ELb0EsNS0_19identity_decomposerEEEEE10hipError_tT0_T1_T2_jT3_P12ihipStream_tbPNSt15iterator_traitsISE_E10value_typeEPNSK_ISF_E10value_typeEPSG_NS1_7vsmem_tEENKUlT_SE_SF_SG_E_clIS8_S8_S9_S9_EESD_ST_SE_SF_SG_EUlST_E_NS1_11comp_targetILNS1_3genE8ELNS1_11target_archE1030ELNS1_3gpuE2ELNS1_3repE0EEENS1_48merge_mergepath_partition_config_static_selectorELNS0_4arch9wavefront6targetE1EEEvSF_
		.amdhsa_group_segment_fixed_size 0
		.amdhsa_private_segment_fixed_size 0
		.amdhsa_kernarg_size 40
		.amdhsa_user_sgpr_count 6
		.amdhsa_user_sgpr_private_segment_buffer 1
		.amdhsa_user_sgpr_dispatch_ptr 0
		.amdhsa_user_sgpr_queue_ptr 0
		.amdhsa_user_sgpr_kernarg_segment_ptr 1
		.amdhsa_user_sgpr_dispatch_id 0
		.amdhsa_user_sgpr_flat_scratch_init 0
		.amdhsa_user_sgpr_kernarg_preload_length 0
		.amdhsa_user_sgpr_kernarg_preload_offset 0
		.amdhsa_user_sgpr_private_segment_size 0
		.amdhsa_uses_dynamic_stack 0
		.amdhsa_system_sgpr_private_segment_wavefront_offset 0
		.amdhsa_system_sgpr_workgroup_id_x 1
		.amdhsa_system_sgpr_workgroup_id_y 0
		.amdhsa_system_sgpr_workgroup_id_z 0
		.amdhsa_system_sgpr_workgroup_info 0
		.amdhsa_system_vgpr_workitem_id 0
		.amdhsa_next_free_vgpr 1
		.amdhsa_next_free_sgpr 0
		.amdhsa_accum_offset 4
		.amdhsa_reserve_vcc 0
		.amdhsa_reserve_flat_scratch 0
		.amdhsa_float_round_mode_32 0
		.amdhsa_float_round_mode_16_64 0
		.amdhsa_float_denorm_mode_32 3
		.amdhsa_float_denorm_mode_16_64 3
		.amdhsa_dx10_clamp 1
		.amdhsa_ieee_mode 1
		.amdhsa_fp16_overflow 0
		.amdhsa_tg_split 0
		.amdhsa_exception_fp_ieee_invalid_op 0
		.amdhsa_exception_fp_denorm_src 0
		.amdhsa_exception_fp_ieee_div_zero 0
		.amdhsa_exception_fp_ieee_overflow 0
		.amdhsa_exception_fp_ieee_underflow 0
		.amdhsa_exception_fp_ieee_inexact 0
		.amdhsa_exception_int_div_zero 0
	.end_amdhsa_kernel
	.section	.text._ZN7rocprim17ROCPRIM_400000_NS6detail17trampoline_kernelINS0_14default_configENS1_38merge_sort_block_merge_config_selectorIsNS0_10empty_typeEEEZZNS1_27merge_sort_block_merge_implIS3_PsPS5_jNS1_19radix_merge_compareILb1ELb0EsNS0_19identity_decomposerEEEEE10hipError_tT0_T1_T2_jT3_P12ihipStream_tbPNSt15iterator_traitsISE_E10value_typeEPNSK_ISF_E10value_typeEPSG_NS1_7vsmem_tEENKUlT_SE_SF_SG_E_clIS8_S8_S9_S9_EESD_ST_SE_SF_SG_EUlST_E_NS1_11comp_targetILNS1_3genE8ELNS1_11target_archE1030ELNS1_3gpuE2ELNS1_3repE0EEENS1_48merge_mergepath_partition_config_static_selectorELNS0_4arch9wavefront6targetE1EEEvSF_,"axG",@progbits,_ZN7rocprim17ROCPRIM_400000_NS6detail17trampoline_kernelINS0_14default_configENS1_38merge_sort_block_merge_config_selectorIsNS0_10empty_typeEEEZZNS1_27merge_sort_block_merge_implIS3_PsPS5_jNS1_19radix_merge_compareILb1ELb0EsNS0_19identity_decomposerEEEEE10hipError_tT0_T1_T2_jT3_P12ihipStream_tbPNSt15iterator_traitsISE_E10value_typeEPNSK_ISF_E10value_typeEPSG_NS1_7vsmem_tEENKUlT_SE_SF_SG_E_clIS8_S8_S9_S9_EESD_ST_SE_SF_SG_EUlST_E_NS1_11comp_targetILNS1_3genE8ELNS1_11target_archE1030ELNS1_3gpuE2ELNS1_3repE0EEENS1_48merge_mergepath_partition_config_static_selectorELNS0_4arch9wavefront6targetE1EEEvSF_,comdat
.Lfunc_end1767:
	.size	_ZN7rocprim17ROCPRIM_400000_NS6detail17trampoline_kernelINS0_14default_configENS1_38merge_sort_block_merge_config_selectorIsNS0_10empty_typeEEEZZNS1_27merge_sort_block_merge_implIS3_PsPS5_jNS1_19radix_merge_compareILb1ELb0EsNS0_19identity_decomposerEEEEE10hipError_tT0_T1_T2_jT3_P12ihipStream_tbPNSt15iterator_traitsISE_E10value_typeEPNSK_ISF_E10value_typeEPSG_NS1_7vsmem_tEENKUlT_SE_SF_SG_E_clIS8_S8_S9_S9_EESD_ST_SE_SF_SG_EUlST_E_NS1_11comp_targetILNS1_3genE8ELNS1_11target_archE1030ELNS1_3gpuE2ELNS1_3repE0EEENS1_48merge_mergepath_partition_config_static_selectorELNS0_4arch9wavefront6targetE1EEEvSF_, .Lfunc_end1767-_ZN7rocprim17ROCPRIM_400000_NS6detail17trampoline_kernelINS0_14default_configENS1_38merge_sort_block_merge_config_selectorIsNS0_10empty_typeEEEZZNS1_27merge_sort_block_merge_implIS3_PsPS5_jNS1_19radix_merge_compareILb1ELb0EsNS0_19identity_decomposerEEEEE10hipError_tT0_T1_T2_jT3_P12ihipStream_tbPNSt15iterator_traitsISE_E10value_typeEPNSK_ISF_E10value_typeEPSG_NS1_7vsmem_tEENKUlT_SE_SF_SG_E_clIS8_S8_S9_S9_EESD_ST_SE_SF_SG_EUlST_E_NS1_11comp_targetILNS1_3genE8ELNS1_11target_archE1030ELNS1_3gpuE2ELNS1_3repE0EEENS1_48merge_mergepath_partition_config_static_selectorELNS0_4arch9wavefront6targetE1EEEvSF_
                                        ; -- End function
	.section	.AMDGPU.csdata,"",@progbits
; Kernel info:
; codeLenInByte = 0
; NumSgprs: 4
; NumVgprs: 0
; NumAgprs: 0
; TotalNumVgprs: 0
; ScratchSize: 0
; MemoryBound: 0
; FloatMode: 240
; IeeeMode: 1
; LDSByteSize: 0 bytes/workgroup (compile time only)
; SGPRBlocks: 0
; VGPRBlocks: 0
; NumSGPRsForWavesPerEU: 4
; NumVGPRsForWavesPerEU: 1
; AccumOffset: 4
; Occupancy: 8
; WaveLimiterHint : 0
; COMPUTE_PGM_RSRC2:SCRATCH_EN: 0
; COMPUTE_PGM_RSRC2:USER_SGPR: 6
; COMPUTE_PGM_RSRC2:TRAP_HANDLER: 0
; COMPUTE_PGM_RSRC2:TGID_X_EN: 1
; COMPUTE_PGM_RSRC2:TGID_Y_EN: 0
; COMPUTE_PGM_RSRC2:TGID_Z_EN: 0
; COMPUTE_PGM_RSRC2:TIDIG_COMP_CNT: 0
; COMPUTE_PGM_RSRC3_GFX90A:ACCUM_OFFSET: 0
; COMPUTE_PGM_RSRC3_GFX90A:TG_SPLIT: 0
	.section	.text._ZN7rocprim17ROCPRIM_400000_NS6detail17trampoline_kernelINS0_14default_configENS1_38merge_sort_block_merge_config_selectorIsNS0_10empty_typeEEEZZNS1_27merge_sort_block_merge_implIS3_PsPS5_jNS1_19radix_merge_compareILb1ELb0EsNS0_19identity_decomposerEEEEE10hipError_tT0_T1_T2_jT3_P12ihipStream_tbPNSt15iterator_traitsISE_E10value_typeEPNSK_ISF_E10value_typeEPSG_NS1_7vsmem_tEENKUlT_SE_SF_SG_E_clIS8_S8_S9_S9_EESD_ST_SE_SF_SG_EUlST_E0_NS1_11comp_targetILNS1_3genE0ELNS1_11target_archE4294967295ELNS1_3gpuE0ELNS1_3repE0EEENS1_38merge_mergepath_config_static_selectorELNS0_4arch9wavefront6targetE1EEEvSF_,"axG",@progbits,_ZN7rocprim17ROCPRIM_400000_NS6detail17trampoline_kernelINS0_14default_configENS1_38merge_sort_block_merge_config_selectorIsNS0_10empty_typeEEEZZNS1_27merge_sort_block_merge_implIS3_PsPS5_jNS1_19radix_merge_compareILb1ELb0EsNS0_19identity_decomposerEEEEE10hipError_tT0_T1_T2_jT3_P12ihipStream_tbPNSt15iterator_traitsISE_E10value_typeEPNSK_ISF_E10value_typeEPSG_NS1_7vsmem_tEENKUlT_SE_SF_SG_E_clIS8_S8_S9_S9_EESD_ST_SE_SF_SG_EUlST_E0_NS1_11comp_targetILNS1_3genE0ELNS1_11target_archE4294967295ELNS1_3gpuE0ELNS1_3repE0EEENS1_38merge_mergepath_config_static_selectorELNS0_4arch9wavefront6targetE1EEEvSF_,comdat
	.protected	_ZN7rocprim17ROCPRIM_400000_NS6detail17trampoline_kernelINS0_14default_configENS1_38merge_sort_block_merge_config_selectorIsNS0_10empty_typeEEEZZNS1_27merge_sort_block_merge_implIS3_PsPS5_jNS1_19radix_merge_compareILb1ELb0EsNS0_19identity_decomposerEEEEE10hipError_tT0_T1_T2_jT3_P12ihipStream_tbPNSt15iterator_traitsISE_E10value_typeEPNSK_ISF_E10value_typeEPSG_NS1_7vsmem_tEENKUlT_SE_SF_SG_E_clIS8_S8_S9_S9_EESD_ST_SE_SF_SG_EUlST_E0_NS1_11comp_targetILNS1_3genE0ELNS1_11target_archE4294967295ELNS1_3gpuE0ELNS1_3repE0EEENS1_38merge_mergepath_config_static_selectorELNS0_4arch9wavefront6targetE1EEEvSF_ ; -- Begin function _ZN7rocprim17ROCPRIM_400000_NS6detail17trampoline_kernelINS0_14default_configENS1_38merge_sort_block_merge_config_selectorIsNS0_10empty_typeEEEZZNS1_27merge_sort_block_merge_implIS3_PsPS5_jNS1_19radix_merge_compareILb1ELb0EsNS0_19identity_decomposerEEEEE10hipError_tT0_T1_T2_jT3_P12ihipStream_tbPNSt15iterator_traitsISE_E10value_typeEPNSK_ISF_E10value_typeEPSG_NS1_7vsmem_tEENKUlT_SE_SF_SG_E_clIS8_S8_S9_S9_EESD_ST_SE_SF_SG_EUlST_E0_NS1_11comp_targetILNS1_3genE0ELNS1_11target_archE4294967295ELNS1_3gpuE0ELNS1_3repE0EEENS1_38merge_mergepath_config_static_selectorELNS0_4arch9wavefront6targetE1EEEvSF_
	.globl	_ZN7rocprim17ROCPRIM_400000_NS6detail17trampoline_kernelINS0_14default_configENS1_38merge_sort_block_merge_config_selectorIsNS0_10empty_typeEEEZZNS1_27merge_sort_block_merge_implIS3_PsPS5_jNS1_19radix_merge_compareILb1ELb0EsNS0_19identity_decomposerEEEEE10hipError_tT0_T1_T2_jT3_P12ihipStream_tbPNSt15iterator_traitsISE_E10value_typeEPNSK_ISF_E10value_typeEPSG_NS1_7vsmem_tEENKUlT_SE_SF_SG_E_clIS8_S8_S9_S9_EESD_ST_SE_SF_SG_EUlST_E0_NS1_11comp_targetILNS1_3genE0ELNS1_11target_archE4294967295ELNS1_3gpuE0ELNS1_3repE0EEENS1_38merge_mergepath_config_static_selectorELNS0_4arch9wavefront6targetE1EEEvSF_
	.p2align	8
	.type	_ZN7rocprim17ROCPRIM_400000_NS6detail17trampoline_kernelINS0_14default_configENS1_38merge_sort_block_merge_config_selectorIsNS0_10empty_typeEEEZZNS1_27merge_sort_block_merge_implIS3_PsPS5_jNS1_19radix_merge_compareILb1ELb0EsNS0_19identity_decomposerEEEEE10hipError_tT0_T1_T2_jT3_P12ihipStream_tbPNSt15iterator_traitsISE_E10value_typeEPNSK_ISF_E10value_typeEPSG_NS1_7vsmem_tEENKUlT_SE_SF_SG_E_clIS8_S8_S9_S9_EESD_ST_SE_SF_SG_EUlST_E0_NS1_11comp_targetILNS1_3genE0ELNS1_11target_archE4294967295ELNS1_3gpuE0ELNS1_3repE0EEENS1_38merge_mergepath_config_static_selectorELNS0_4arch9wavefront6targetE1EEEvSF_,@function
_ZN7rocprim17ROCPRIM_400000_NS6detail17trampoline_kernelINS0_14default_configENS1_38merge_sort_block_merge_config_selectorIsNS0_10empty_typeEEEZZNS1_27merge_sort_block_merge_implIS3_PsPS5_jNS1_19radix_merge_compareILb1ELb0EsNS0_19identity_decomposerEEEEE10hipError_tT0_T1_T2_jT3_P12ihipStream_tbPNSt15iterator_traitsISE_E10value_typeEPNSK_ISF_E10value_typeEPSG_NS1_7vsmem_tEENKUlT_SE_SF_SG_E_clIS8_S8_S9_S9_EESD_ST_SE_SF_SG_EUlST_E0_NS1_11comp_targetILNS1_3genE0ELNS1_11target_archE4294967295ELNS1_3gpuE0ELNS1_3repE0EEENS1_38merge_mergepath_config_static_selectorELNS0_4arch9wavefront6targetE1EEEvSF_: ; @_ZN7rocprim17ROCPRIM_400000_NS6detail17trampoline_kernelINS0_14default_configENS1_38merge_sort_block_merge_config_selectorIsNS0_10empty_typeEEEZZNS1_27merge_sort_block_merge_implIS3_PsPS5_jNS1_19radix_merge_compareILb1ELb0EsNS0_19identity_decomposerEEEEE10hipError_tT0_T1_T2_jT3_P12ihipStream_tbPNSt15iterator_traitsISE_E10value_typeEPNSK_ISF_E10value_typeEPSG_NS1_7vsmem_tEENKUlT_SE_SF_SG_E_clIS8_S8_S9_S9_EESD_ST_SE_SF_SG_EUlST_E0_NS1_11comp_targetILNS1_3genE0ELNS1_11target_archE4294967295ELNS1_3gpuE0ELNS1_3repE0EEENS1_38merge_mergepath_config_static_selectorELNS0_4arch9wavefront6targetE1EEEvSF_
; %bb.0:
	.section	.rodata,"a",@progbits
	.p2align	6, 0x0
	.amdhsa_kernel _ZN7rocprim17ROCPRIM_400000_NS6detail17trampoline_kernelINS0_14default_configENS1_38merge_sort_block_merge_config_selectorIsNS0_10empty_typeEEEZZNS1_27merge_sort_block_merge_implIS3_PsPS5_jNS1_19radix_merge_compareILb1ELb0EsNS0_19identity_decomposerEEEEE10hipError_tT0_T1_T2_jT3_P12ihipStream_tbPNSt15iterator_traitsISE_E10value_typeEPNSK_ISF_E10value_typeEPSG_NS1_7vsmem_tEENKUlT_SE_SF_SG_E_clIS8_S8_S9_S9_EESD_ST_SE_SF_SG_EUlST_E0_NS1_11comp_targetILNS1_3genE0ELNS1_11target_archE4294967295ELNS1_3gpuE0ELNS1_3repE0EEENS1_38merge_mergepath_config_static_selectorELNS0_4arch9wavefront6targetE1EEEvSF_
		.amdhsa_group_segment_fixed_size 0
		.amdhsa_private_segment_fixed_size 0
		.amdhsa_kernarg_size 64
		.amdhsa_user_sgpr_count 6
		.amdhsa_user_sgpr_private_segment_buffer 1
		.amdhsa_user_sgpr_dispatch_ptr 0
		.amdhsa_user_sgpr_queue_ptr 0
		.amdhsa_user_sgpr_kernarg_segment_ptr 1
		.amdhsa_user_sgpr_dispatch_id 0
		.amdhsa_user_sgpr_flat_scratch_init 0
		.amdhsa_user_sgpr_kernarg_preload_length 0
		.amdhsa_user_sgpr_kernarg_preload_offset 0
		.amdhsa_user_sgpr_private_segment_size 0
		.amdhsa_uses_dynamic_stack 0
		.amdhsa_system_sgpr_private_segment_wavefront_offset 0
		.amdhsa_system_sgpr_workgroup_id_x 1
		.amdhsa_system_sgpr_workgroup_id_y 0
		.amdhsa_system_sgpr_workgroup_id_z 0
		.amdhsa_system_sgpr_workgroup_info 0
		.amdhsa_system_vgpr_workitem_id 0
		.amdhsa_next_free_vgpr 1
		.amdhsa_next_free_sgpr 0
		.amdhsa_accum_offset 4
		.amdhsa_reserve_vcc 0
		.amdhsa_reserve_flat_scratch 0
		.amdhsa_float_round_mode_32 0
		.amdhsa_float_round_mode_16_64 0
		.amdhsa_float_denorm_mode_32 3
		.amdhsa_float_denorm_mode_16_64 3
		.amdhsa_dx10_clamp 1
		.amdhsa_ieee_mode 1
		.amdhsa_fp16_overflow 0
		.amdhsa_tg_split 0
		.amdhsa_exception_fp_ieee_invalid_op 0
		.amdhsa_exception_fp_denorm_src 0
		.amdhsa_exception_fp_ieee_div_zero 0
		.amdhsa_exception_fp_ieee_overflow 0
		.amdhsa_exception_fp_ieee_underflow 0
		.amdhsa_exception_fp_ieee_inexact 0
		.amdhsa_exception_int_div_zero 0
	.end_amdhsa_kernel
	.section	.text._ZN7rocprim17ROCPRIM_400000_NS6detail17trampoline_kernelINS0_14default_configENS1_38merge_sort_block_merge_config_selectorIsNS0_10empty_typeEEEZZNS1_27merge_sort_block_merge_implIS3_PsPS5_jNS1_19radix_merge_compareILb1ELb0EsNS0_19identity_decomposerEEEEE10hipError_tT0_T1_T2_jT3_P12ihipStream_tbPNSt15iterator_traitsISE_E10value_typeEPNSK_ISF_E10value_typeEPSG_NS1_7vsmem_tEENKUlT_SE_SF_SG_E_clIS8_S8_S9_S9_EESD_ST_SE_SF_SG_EUlST_E0_NS1_11comp_targetILNS1_3genE0ELNS1_11target_archE4294967295ELNS1_3gpuE0ELNS1_3repE0EEENS1_38merge_mergepath_config_static_selectorELNS0_4arch9wavefront6targetE1EEEvSF_,"axG",@progbits,_ZN7rocprim17ROCPRIM_400000_NS6detail17trampoline_kernelINS0_14default_configENS1_38merge_sort_block_merge_config_selectorIsNS0_10empty_typeEEEZZNS1_27merge_sort_block_merge_implIS3_PsPS5_jNS1_19radix_merge_compareILb1ELb0EsNS0_19identity_decomposerEEEEE10hipError_tT0_T1_T2_jT3_P12ihipStream_tbPNSt15iterator_traitsISE_E10value_typeEPNSK_ISF_E10value_typeEPSG_NS1_7vsmem_tEENKUlT_SE_SF_SG_E_clIS8_S8_S9_S9_EESD_ST_SE_SF_SG_EUlST_E0_NS1_11comp_targetILNS1_3genE0ELNS1_11target_archE4294967295ELNS1_3gpuE0ELNS1_3repE0EEENS1_38merge_mergepath_config_static_selectorELNS0_4arch9wavefront6targetE1EEEvSF_,comdat
.Lfunc_end1768:
	.size	_ZN7rocprim17ROCPRIM_400000_NS6detail17trampoline_kernelINS0_14default_configENS1_38merge_sort_block_merge_config_selectorIsNS0_10empty_typeEEEZZNS1_27merge_sort_block_merge_implIS3_PsPS5_jNS1_19radix_merge_compareILb1ELb0EsNS0_19identity_decomposerEEEEE10hipError_tT0_T1_T2_jT3_P12ihipStream_tbPNSt15iterator_traitsISE_E10value_typeEPNSK_ISF_E10value_typeEPSG_NS1_7vsmem_tEENKUlT_SE_SF_SG_E_clIS8_S8_S9_S9_EESD_ST_SE_SF_SG_EUlST_E0_NS1_11comp_targetILNS1_3genE0ELNS1_11target_archE4294967295ELNS1_3gpuE0ELNS1_3repE0EEENS1_38merge_mergepath_config_static_selectorELNS0_4arch9wavefront6targetE1EEEvSF_, .Lfunc_end1768-_ZN7rocprim17ROCPRIM_400000_NS6detail17trampoline_kernelINS0_14default_configENS1_38merge_sort_block_merge_config_selectorIsNS0_10empty_typeEEEZZNS1_27merge_sort_block_merge_implIS3_PsPS5_jNS1_19radix_merge_compareILb1ELb0EsNS0_19identity_decomposerEEEEE10hipError_tT0_T1_T2_jT3_P12ihipStream_tbPNSt15iterator_traitsISE_E10value_typeEPNSK_ISF_E10value_typeEPSG_NS1_7vsmem_tEENKUlT_SE_SF_SG_E_clIS8_S8_S9_S9_EESD_ST_SE_SF_SG_EUlST_E0_NS1_11comp_targetILNS1_3genE0ELNS1_11target_archE4294967295ELNS1_3gpuE0ELNS1_3repE0EEENS1_38merge_mergepath_config_static_selectorELNS0_4arch9wavefront6targetE1EEEvSF_
                                        ; -- End function
	.section	.AMDGPU.csdata,"",@progbits
; Kernel info:
; codeLenInByte = 0
; NumSgprs: 4
; NumVgprs: 0
; NumAgprs: 0
; TotalNumVgprs: 0
; ScratchSize: 0
; MemoryBound: 0
; FloatMode: 240
; IeeeMode: 1
; LDSByteSize: 0 bytes/workgroup (compile time only)
; SGPRBlocks: 0
; VGPRBlocks: 0
; NumSGPRsForWavesPerEU: 4
; NumVGPRsForWavesPerEU: 1
; AccumOffset: 4
; Occupancy: 8
; WaveLimiterHint : 0
; COMPUTE_PGM_RSRC2:SCRATCH_EN: 0
; COMPUTE_PGM_RSRC2:USER_SGPR: 6
; COMPUTE_PGM_RSRC2:TRAP_HANDLER: 0
; COMPUTE_PGM_RSRC2:TGID_X_EN: 1
; COMPUTE_PGM_RSRC2:TGID_Y_EN: 0
; COMPUTE_PGM_RSRC2:TGID_Z_EN: 0
; COMPUTE_PGM_RSRC2:TIDIG_COMP_CNT: 0
; COMPUTE_PGM_RSRC3_GFX90A:ACCUM_OFFSET: 0
; COMPUTE_PGM_RSRC3_GFX90A:TG_SPLIT: 0
	.section	.text._ZN7rocprim17ROCPRIM_400000_NS6detail17trampoline_kernelINS0_14default_configENS1_38merge_sort_block_merge_config_selectorIsNS0_10empty_typeEEEZZNS1_27merge_sort_block_merge_implIS3_PsPS5_jNS1_19radix_merge_compareILb1ELb0EsNS0_19identity_decomposerEEEEE10hipError_tT0_T1_T2_jT3_P12ihipStream_tbPNSt15iterator_traitsISE_E10value_typeEPNSK_ISF_E10value_typeEPSG_NS1_7vsmem_tEENKUlT_SE_SF_SG_E_clIS8_S8_S9_S9_EESD_ST_SE_SF_SG_EUlST_E0_NS1_11comp_targetILNS1_3genE10ELNS1_11target_archE1201ELNS1_3gpuE5ELNS1_3repE0EEENS1_38merge_mergepath_config_static_selectorELNS0_4arch9wavefront6targetE1EEEvSF_,"axG",@progbits,_ZN7rocprim17ROCPRIM_400000_NS6detail17trampoline_kernelINS0_14default_configENS1_38merge_sort_block_merge_config_selectorIsNS0_10empty_typeEEEZZNS1_27merge_sort_block_merge_implIS3_PsPS5_jNS1_19radix_merge_compareILb1ELb0EsNS0_19identity_decomposerEEEEE10hipError_tT0_T1_T2_jT3_P12ihipStream_tbPNSt15iterator_traitsISE_E10value_typeEPNSK_ISF_E10value_typeEPSG_NS1_7vsmem_tEENKUlT_SE_SF_SG_E_clIS8_S8_S9_S9_EESD_ST_SE_SF_SG_EUlST_E0_NS1_11comp_targetILNS1_3genE10ELNS1_11target_archE1201ELNS1_3gpuE5ELNS1_3repE0EEENS1_38merge_mergepath_config_static_selectorELNS0_4arch9wavefront6targetE1EEEvSF_,comdat
	.protected	_ZN7rocprim17ROCPRIM_400000_NS6detail17trampoline_kernelINS0_14default_configENS1_38merge_sort_block_merge_config_selectorIsNS0_10empty_typeEEEZZNS1_27merge_sort_block_merge_implIS3_PsPS5_jNS1_19radix_merge_compareILb1ELb0EsNS0_19identity_decomposerEEEEE10hipError_tT0_T1_T2_jT3_P12ihipStream_tbPNSt15iterator_traitsISE_E10value_typeEPNSK_ISF_E10value_typeEPSG_NS1_7vsmem_tEENKUlT_SE_SF_SG_E_clIS8_S8_S9_S9_EESD_ST_SE_SF_SG_EUlST_E0_NS1_11comp_targetILNS1_3genE10ELNS1_11target_archE1201ELNS1_3gpuE5ELNS1_3repE0EEENS1_38merge_mergepath_config_static_selectorELNS0_4arch9wavefront6targetE1EEEvSF_ ; -- Begin function _ZN7rocprim17ROCPRIM_400000_NS6detail17trampoline_kernelINS0_14default_configENS1_38merge_sort_block_merge_config_selectorIsNS0_10empty_typeEEEZZNS1_27merge_sort_block_merge_implIS3_PsPS5_jNS1_19radix_merge_compareILb1ELb0EsNS0_19identity_decomposerEEEEE10hipError_tT0_T1_T2_jT3_P12ihipStream_tbPNSt15iterator_traitsISE_E10value_typeEPNSK_ISF_E10value_typeEPSG_NS1_7vsmem_tEENKUlT_SE_SF_SG_E_clIS8_S8_S9_S9_EESD_ST_SE_SF_SG_EUlST_E0_NS1_11comp_targetILNS1_3genE10ELNS1_11target_archE1201ELNS1_3gpuE5ELNS1_3repE0EEENS1_38merge_mergepath_config_static_selectorELNS0_4arch9wavefront6targetE1EEEvSF_
	.globl	_ZN7rocprim17ROCPRIM_400000_NS6detail17trampoline_kernelINS0_14default_configENS1_38merge_sort_block_merge_config_selectorIsNS0_10empty_typeEEEZZNS1_27merge_sort_block_merge_implIS3_PsPS5_jNS1_19radix_merge_compareILb1ELb0EsNS0_19identity_decomposerEEEEE10hipError_tT0_T1_T2_jT3_P12ihipStream_tbPNSt15iterator_traitsISE_E10value_typeEPNSK_ISF_E10value_typeEPSG_NS1_7vsmem_tEENKUlT_SE_SF_SG_E_clIS8_S8_S9_S9_EESD_ST_SE_SF_SG_EUlST_E0_NS1_11comp_targetILNS1_3genE10ELNS1_11target_archE1201ELNS1_3gpuE5ELNS1_3repE0EEENS1_38merge_mergepath_config_static_selectorELNS0_4arch9wavefront6targetE1EEEvSF_
	.p2align	8
	.type	_ZN7rocprim17ROCPRIM_400000_NS6detail17trampoline_kernelINS0_14default_configENS1_38merge_sort_block_merge_config_selectorIsNS0_10empty_typeEEEZZNS1_27merge_sort_block_merge_implIS3_PsPS5_jNS1_19radix_merge_compareILb1ELb0EsNS0_19identity_decomposerEEEEE10hipError_tT0_T1_T2_jT3_P12ihipStream_tbPNSt15iterator_traitsISE_E10value_typeEPNSK_ISF_E10value_typeEPSG_NS1_7vsmem_tEENKUlT_SE_SF_SG_E_clIS8_S8_S9_S9_EESD_ST_SE_SF_SG_EUlST_E0_NS1_11comp_targetILNS1_3genE10ELNS1_11target_archE1201ELNS1_3gpuE5ELNS1_3repE0EEENS1_38merge_mergepath_config_static_selectorELNS0_4arch9wavefront6targetE1EEEvSF_,@function
_ZN7rocprim17ROCPRIM_400000_NS6detail17trampoline_kernelINS0_14default_configENS1_38merge_sort_block_merge_config_selectorIsNS0_10empty_typeEEEZZNS1_27merge_sort_block_merge_implIS3_PsPS5_jNS1_19radix_merge_compareILb1ELb0EsNS0_19identity_decomposerEEEEE10hipError_tT0_T1_T2_jT3_P12ihipStream_tbPNSt15iterator_traitsISE_E10value_typeEPNSK_ISF_E10value_typeEPSG_NS1_7vsmem_tEENKUlT_SE_SF_SG_E_clIS8_S8_S9_S9_EESD_ST_SE_SF_SG_EUlST_E0_NS1_11comp_targetILNS1_3genE10ELNS1_11target_archE1201ELNS1_3gpuE5ELNS1_3repE0EEENS1_38merge_mergepath_config_static_selectorELNS0_4arch9wavefront6targetE1EEEvSF_: ; @_ZN7rocprim17ROCPRIM_400000_NS6detail17trampoline_kernelINS0_14default_configENS1_38merge_sort_block_merge_config_selectorIsNS0_10empty_typeEEEZZNS1_27merge_sort_block_merge_implIS3_PsPS5_jNS1_19radix_merge_compareILb1ELb0EsNS0_19identity_decomposerEEEEE10hipError_tT0_T1_T2_jT3_P12ihipStream_tbPNSt15iterator_traitsISE_E10value_typeEPNSK_ISF_E10value_typeEPSG_NS1_7vsmem_tEENKUlT_SE_SF_SG_E_clIS8_S8_S9_S9_EESD_ST_SE_SF_SG_EUlST_E0_NS1_11comp_targetILNS1_3genE10ELNS1_11target_archE1201ELNS1_3gpuE5ELNS1_3repE0EEENS1_38merge_mergepath_config_static_selectorELNS0_4arch9wavefront6targetE1EEEvSF_
; %bb.0:
	.section	.rodata,"a",@progbits
	.p2align	6, 0x0
	.amdhsa_kernel _ZN7rocprim17ROCPRIM_400000_NS6detail17trampoline_kernelINS0_14default_configENS1_38merge_sort_block_merge_config_selectorIsNS0_10empty_typeEEEZZNS1_27merge_sort_block_merge_implIS3_PsPS5_jNS1_19radix_merge_compareILb1ELb0EsNS0_19identity_decomposerEEEEE10hipError_tT0_T1_T2_jT3_P12ihipStream_tbPNSt15iterator_traitsISE_E10value_typeEPNSK_ISF_E10value_typeEPSG_NS1_7vsmem_tEENKUlT_SE_SF_SG_E_clIS8_S8_S9_S9_EESD_ST_SE_SF_SG_EUlST_E0_NS1_11comp_targetILNS1_3genE10ELNS1_11target_archE1201ELNS1_3gpuE5ELNS1_3repE0EEENS1_38merge_mergepath_config_static_selectorELNS0_4arch9wavefront6targetE1EEEvSF_
		.amdhsa_group_segment_fixed_size 0
		.amdhsa_private_segment_fixed_size 0
		.amdhsa_kernarg_size 64
		.amdhsa_user_sgpr_count 6
		.amdhsa_user_sgpr_private_segment_buffer 1
		.amdhsa_user_sgpr_dispatch_ptr 0
		.amdhsa_user_sgpr_queue_ptr 0
		.amdhsa_user_sgpr_kernarg_segment_ptr 1
		.amdhsa_user_sgpr_dispatch_id 0
		.amdhsa_user_sgpr_flat_scratch_init 0
		.amdhsa_user_sgpr_kernarg_preload_length 0
		.amdhsa_user_sgpr_kernarg_preload_offset 0
		.amdhsa_user_sgpr_private_segment_size 0
		.amdhsa_uses_dynamic_stack 0
		.amdhsa_system_sgpr_private_segment_wavefront_offset 0
		.amdhsa_system_sgpr_workgroup_id_x 1
		.amdhsa_system_sgpr_workgroup_id_y 0
		.amdhsa_system_sgpr_workgroup_id_z 0
		.amdhsa_system_sgpr_workgroup_info 0
		.amdhsa_system_vgpr_workitem_id 0
		.amdhsa_next_free_vgpr 1
		.amdhsa_next_free_sgpr 0
		.amdhsa_accum_offset 4
		.amdhsa_reserve_vcc 0
		.amdhsa_reserve_flat_scratch 0
		.amdhsa_float_round_mode_32 0
		.amdhsa_float_round_mode_16_64 0
		.amdhsa_float_denorm_mode_32 3
		.amdhsa_float_denorm_mode_16_64 3
		.amdhsa_dx10_clamp 1
		.amdhsa_ieee_mode 1
		.amdhsa_fp16_overflow 0
		.amdhsa_tg_split 0
		.amdhsa_exception_fp_ieee_invalid_op 0
		.amdhsa_exception_fp_denorm_src 0
		.amdhsa_exception_fp_ieee_div_zero 0
		.amdhsa_exception_fp_ieee_overflow 0
		.amdhsa_exception_fp_ieee_underflow 0
		.amdhsa_exception_fp_ieee_inexact 0
		.amdhsa_exception_int_div_zero 0
	.end_amdhsa_kernel
	.section	.text._ZN7rocprim17ROCPRIM_400000_NS6detail17trampoline_kernelINS0_14default_configENS1_38merge_sort_block_merge_config_selectorIsNS0_10empty_typeEEEZZNS1_27merge_sort_block_merge_implIS3_PsPS5_jNS1_19radix_merge_compareILb1ELb0EsNS0_19identity_decomposerEEEEE10hipError_tT0_T1_T2_jT3_P12ihipStream_tbPNSt15iterator_traitsISE_E10value_typeEPNSK_ISF_E10value_typeEPSG_NS1_7vsmem_tEENKUlT_SE_SF_SG_E_clIS8_S8_S9_S9_EESD_ST_SE_SF_SG_EUlST_E0_NS1_11comp_targetILNS1_3genE10ELNS1_11target_archE1201ELNS1_3gpuE5ELNS1_3repE0EEENS1_38merge_mergepath_config_static_selectorELNS0_4arch9wavefront6targetE1EEEvSF_,"axG",@progbits,_ZN7rocprim17ROCPRIM_400000_NS6detail17trampoline_kernelINS0_14default_configENS1_38merge_sort_block_merge_config_selectorIsNS0_10empty_typeEEEZZNS1_27merge_sort_block_merge_implIS3_PsPS5_jNS1_19radix_merge_compareILb1ELb0EsNS0_19identity_decomposerEEEEE10hipError_tT0_T1_T2_jT3_P12ihipStream_tbPNSt15iterator_traitsISE_E10value_typeEPNSK_ISF_E10value_typeEPSG_NS1_7vsmem_tEENKUlT_SE_SF_SG_E_clIS8_S8_S9_S9_EESD_ST_SE_SF_SG_EUlST_E0_NS1_11comp_targetILNS1_3genE10ELNS1_11target_archE1201ELNS1_3gpuE5ELNS1_3repE0EEENS1_38merge_mergepath_config_static_selectorELNS0_4arch9wavefront6targetE1EEEvSF_,comdat
.Lfunc_end1769:
	.size	_ZN7rocprim17ROCPRIM_400000_NS6detail17trampoline_kernelINS0_14default_configENS1_38merge_sort_block_merge_config_selectorIsNS0_10empty_typeEEEZZNS1_27merge_sort_block_merge_implIS3_PsPS5_jNS1_19radix_merge_compareILb1ELb0EsNS0_19identity_decomposerEEEEE10hipError_tT0_T1_T2_jT3_P12ihipStream_tbPNSt15iterator_traitsISE_E10value_typeEPNSK_ISF_E10value_typeEPSG_NS1_7vsmem_tEENKUlT_SE_SF_SG_E_clIS8_S8_S9_S9_EESD_ST_SE_SF_SG_EUlST_E0_NS1_11comp_targetILNS1_3genE10ELNS1_11target_archE1201ELNS1_3gpuE5ELNS1_3repE0EEENS1_38merge_mergepath_config_static_selectorELNS0_4arch9wavefront6targetE1EEEvSF_, .Lfunc_end1769-_ZN7rocprim17ROCPRIM_400000_NS6detail17trampoline_kernelINS0_14default_configENS1_38merge_sort_block_merge_config_selectorIsNS0_10empty_typeEEEZZNS1_27merge_sort_block_merge_implIS3_PsPS5_jNS1_19radix_merge_compareILb1ELb0EsNS0_19identity_decomposerEEEEE10hipError_tT0_T1_T2_jT3_P12ihipStream_tbPNSt15iterator_traitsISE_E10value_typeEPNSK_ISF_E10value_typeEPSG_NS1_7vsmem_tEENKUlT_SE_SF_SG_E_clIS8_S8_S9_S9_EESD_ST_SE_SF_SG_EUlST_E0_NS1_11comp_targetILNS1_3genE10ELNS1_11target_archE1201ELNS1_3gpuE5ELNS1_3repE0EEENS1_38merge_mergepath_config_static_selectorELNS0_4arch9wavefront6targetE1EEEvSF_
                                        ; -- End function
	.section	.AMDGPU.csdata,"",@progbits
; Kernel info:
; codeLenInByte = 0
; NumSgprs: 4
; NumVgprs: 0
; NumAgprs: 0
; TotalNumVgprs: 0
; ScratchSize: 0
; MemoryBound: 0
; FloatMode: 240
; IeeeMode: 1
; LDSByteSize: 0 bytes/workgroup (compile time only)
; SGPRBlocks: 0
; VGPRBlocks: 0
; NumSGPRsForWavesPerEU: 4
; NumVGPRsForWavesPerEU: 1
; AccumOffset: 4
; Occupancy: 8
; WaveLimiterHint : 0
; COMPUTE_PGM_RSRC2:SCRATCH_EN: 0
; COMPUTE_PGM_RSRC2:USER_SGPR: 6
; COMPUTE_PGM_RSRC2:TRAP_HANDLER: 0
; COMPUTE_PGM_RSRC2:TGID_X_EN: 1
; COMPUTE_PGM_RSRC2:TGID_Y_EN: 0
; COMPUTE_PGM_RSRC2:TGID_Z_EN: 0
; COMPUTE_PGM_RSRC2:TIDIG_COMP_CNT: 0
; COMPUTE_PGM_RSRC3_GFX90A:ACCUM_OFFSET: 0
; COMPUTE_PGM_RSRC3_GFX90A:TG_SPLIT: 0
	.section	.text._ZN7rocprim17ROCPRIM_400000_NS6detail17trampoline_kernelINS0_14default_configENS1_38merge_sort_block_merge_config_selectorIsNS0_10empty_typeEEEZZNS1_27merge_sort_block_merge_implIS3_PsPS5_jNS1_19radix_merge_compareILb1ELb0EsNS0_19identity_decomposerEEEEE10hipError_tT0_T1_T2_jT3_P12ihipStream_tbPNSt15iterator_traitsISE_E10value_typeEPNSK_ISF_E10value_typeEPSG_NS1_7vsmem_tEENKUlT_SE_SF_SG_E_clIS8_S8_S9_S9_EESD_ST_SE_SF_SG_EUlST_E0_NS1_11comp_targetILNS1_3genE5ELNS1_11target_archE942ELNS1_3gpuE9ELNS1_3repE0EEENS1_38merge_mergepath_config_static_selectorELNS0_4arch9wavefront6targetE1EEEvSF_,"axG",@progbits,_ZN7rocprim17ROCPRIM_400000_NS6detail17trampoline_kernelINS0_14default_configENS1_38merge_sort_block_merge_config_selectorIsNS0_10empty_typeEEEZZNS1_27merge_sort_block_merge_implIS3_PsPS5_jNS1_19radix_merge_compareILb1ELb0EsNS0_19identity_decomposerEEEEE10hipError_tT0_T1_T2_jT3_P12ihipStream_tbPNSt15iterator_traitsISE_E10value_typeEPNSK_ISF_E10value_typeEPSG_NS1_7vsmem_tEENKUlT_SE_SF_SG_E_clIS8_S8_S9_S9_EESD_ST_SE_SF_SG_EUlST_E0_NS1_11comp_targetILNS1_3genE5ELNS1_11target_archE942ELNS1_3gpuE9ELNS1_3repE0EEENS1_38merge_mergepath_config_static_selectorELNS0_4arch9wavefront6targetE1EEEvSF_,comdat
	.protected	_ZN7rocprim17ROCPRIM_400000_NS6detail17trampoline_kernelINS0_14default_configENS1_38merge_sort_block_merge_config_selectorIsNS0_10empty_typeEEEZZNS1_27merge_sort_block_merge_implIS3_PsPS5_jNS1_19radix_merge_compareILb1ELb0EsNS0_19identity_decomposerEEEEE10hipError_tT0_T1_T2_jT3_P12ihipStream_tbPNSt15iterator_traitsISE_E10value_typeEPNSK_ISF_E10value_typeEPSG_NS1_7vsmem_tEENKUlT_SE_SF_SG_E_clIS8_S8_S9_S9_EESD_ST_SE_SF_SG_EUlST_E0_NS1_11comp_targetILNS1_3genE5ELNS1_11target_archE942ELNS1_3gpuE9ELNS1_3repE0EEENS1_38merge_mergepath_config_static_selectorELNS0_4arch9wavefront6targetE1EEEvSF_ ; -- Begin function _ZN7rocprim17ROCPRIM_400000_NS6detail17trampoline_kernelINS0_14default_configENS1_38merge_sort_block_merge_config_selectorIsNS0_10empty_typeEEEZZNS1_27merge_sort_block_merge_implIS3_PsPS5_jNS1_19radix_merge_compareILb1ELb0EsNS0_19identity_decomposerEEEEE10hipError_tT0_T1_T2_jT3_P12ihipStream_tbPNSt15iterator_traitsISE_E10value_typeEPNSK_ISF_E10value_typeEPSG_NS1_7vsmem_tEENKUlT_SE_SF_SG_E_clIS8_S8_S9_S9_EESD_ST_SE_SF_SG_EUlST_E0_NS1_11comp_targetILNS1_3genE5ELNS1_11target_archE942ELNS1_3gpuE9ELNS1_3repE0EEENS1_38merge_mergepath_config_static_selectorELNS0_4arch9wavefront6targetE1EEEvSF_
	.globl	_ZN7rocprim17ROCPRIM_400000_NS6detail17trampoline_kernelINS0_14default_configENS1_38merge_sort_block_merge_config_selectorIsNS0_10empty_typeEEEZZNS1_27merge_sort_block_merge_implIS3_PsPS5_jNS1_19radix_merge_compareILb1ELb0EsNS0_19identity_decomposerEEEEE10hipError_tT0_T1_T2_jT3_P12ihipStream_tbPNSt15iterator_traitsISE_E10value_typeEPNSK_ISF_E10value_typeEPSG_NS1_7vsmem_tEENKUlT_SE_SF_SG_E_clIS8_S8_S9_S9_EESD_ST_SE_SF_SG_EUlST_E0_NS1_11comp_targetILNS1_3genE5ELNS1_11target_archE942ELNS1_3gpuE9ELNS1_3repE0EEENS1_38merge_mergepath_config_static_selectorELNS0_4arch9wavefront6targetE1EEEvSF_
	.p2align	8
	.type	_ZN7rocprim17ROCPRIM_400000_NS6detail17trampoline_kernelINS0_14default_configENS1_38merge_sort_block_merge_config_selectorIsNS0_10empty_typeEEEZZNS1_27merge_sort_block_merge_implIS3_PsPS5_jNS1_19radix_merge_compareILb1ELb0EsNS0_19identity_decomposerEEEEE10hipError_tT0_T1_T2_jT3_P12ihipStream_tbPNSt15iterator_traitsISE_E10value_typeEPNSK_ISF_E10value_typeEPSG_NS1_7vsmem_tEENKUlT_SE_SF_SG_E_clIS8_S8_S9_S9_EESD_ST_SE_SF_SG_EUlST_E0_NS1_11comp_targetILNS1_3genE5ELNS1_11target_archE942ELNS1_3gpuE9ELNS1_3repE0EEENS1_38merge_mergepath_config_static_selectorELNS0_4arch9wavefront6targetE1EEEvSF_,@function
_ZN7rocprim17ROCPRIM_400000_NS6detail17trampoline_kernelINS0_14default_configENS1_38merge_sort_block_merge_config_selectorIsNS0_10empty_typeEEEZZNS1_27merge_sort_block_merge_implIS3_PsPS5_jNS1_19radix_merge_compareILb1ELb0EsNS0_19identity_decomposerEEEEE10hipError_tT0_T1_T2_jT3_P12ihipStream_tbPNSt15iterator_traitsISE_E10value_typeEPNSK_ISF_E10value_typeEPSG_NS1_7vsmem_tEENKUlT_SE_SF_SG_E_clIS8_S8_S9_S9_EESD_ST_SE_SF_SG_EUlST_E0_NS1_11comp_targetILNS1_3genE5ELNS1_11target_archE942ELNS1_3gpuE9ELNS1_3repE0EEENS1_38merge_mergepath_config_static_selectorELNS0_4arch9wavefront6targetE1EEEvSF_: ; @_ZN7rocprim17ROCPRIM_400000_NS6detail17trampoline_kernelINS0_14default_configENS1_38merge_sort_block_merge_config_selectorIsNS0_10empty_typeEEEZZNS1_27merge_sort_block_merge_implIS3_PsPS5_jNS1_19radix_merge_compareILb1ELb0EsNS0_19identity_decomposerEEEEE10hipError_tT0_T1_T2_jT3_P12ihipStream_tbPNSt15iterator_traitsISE_E10value_typeEPNSK_ISF_E10value_typeEPSG_NS1_7vsmem_tEENKUlT_SE_SF_SG_E_clIS8_S8_S9_S9_EESD_ST_SE_SF_SG_EUlST_E0_NS1_11comp_targetILNS1_3genE5ELNS1_11target_archE942ELNS1_3gpuE9ELNS1_3repE0EEENS1_38merge_mergepath_config_static_selectorELNS0_4arch9wavefront6targetE1EEEvSF_
; %bb.0:
	.section	.rodata,"a",@progbits
	.p2align	6, 0x0
	.amdhsa_kernel _ZN7rocprim17ROCPRIM_400000_NS6detail17trampoline_kernelINS0_14default_configENS1_38merge_sort_block_merge_config_selectorIsNS0_10empty_typeEEEZZNS1_27merge_sort_block_merge_implIS3_PsPS5_jNS1_19radix_merge_compareILb1ELb0EsNS0_19identity_decomposerEEEEE10hipError_tT0_T1_T2_jT3_P12ihipStream_tbPNSt15iterator_traitsISE_E10value_typeEPNSK_ISF_E10value_typeEPSG_NS1_7vsmem_tEENKUlT_SE_SF_SG_E_clIS8_S8_S9_S9_EESD_ST_SE_SF_SG_EUlST_E0_NS1_11comp_targetILNS1_3genE5ELNS1_11target_archE942ELNS1_3gpuE9ELNS1_3repE0EEENS1_38merge_mergepath_config_static_selectorELNS0_4arch9wavefront6targetE1EEEvSF_
		.amdhsa_group_segment_fixed_size 0
		.amdhsa_private_segment_fixed_size 0
		.amdhsa_kernarg_size 64
		.amdhsa_user_sgpr_count 6
		.amdhsa_user_sgpr_private_segment_buffer 1
		.amdhsa_user_sgpr_dispatch_ptr 0
		.amdhsa_user_sgpr_queue_ptr 0
		.amdhsa_user_sgpr_kernarg_segment_ptr 1
		.amdhsa_user_sgpr_dispatch_id 0
		.amdhsa_user_sgpr_flat_scratch_init 0
		.amdhsa_user_sgpr_kernarg_preload_length 0
		.amdhsa_user_sgpr_kernarg_preload_offset 0
		.amdhsa_user_sgpr_private_segment_size 0
		.amdhsa_uses_dynamic_stack 0
		.amdhsa_system_sgpr_private_segment_wavefront_offset 0
		.amdhsa_system_sgpr_workgroup_id_x 1
		.amdhsa_system_sgpr_workgroup_id_y 0
		.amdhsa_system_sgpr_workgroup_id_z 0
		.amdhsa_system_sgpr_workgroup_info 0
		.amdhsa_system_vgpr_workitem_id 0
		.amdhsa_next_free_vgpr 1
		.amdhsa_next_free_sgpr 0
		.amdhsa_accum_offset 4
		.amdhsa_reserve_vcc 0
		.amdhsa_reserve_flat_scratch 0
		.amdhsa_float_round_mode_32 0
		.amdhsa_float_round_mode_16_64 0
		.amdhsa_float_denorm_mode_32 3
		.amdhsa_float_denorm_mode_16_64 3
		.amdhsa_dx10_clamp 1
		.amdhsa_ieee_mode 1
		.amdhsa_fp16_overflow 0
		.amdhsa_tg_split 0
		.amdhsa_exception_fp_ieee_invalid_op 0
		.amdhsa_exception_fp_denorm_src 0
		.amdhsa_exception_fp_ieee_div_zero 0
		.amdhsa_exception_fp_ieee_overflow 0
		.amdhsa_exception_fp_ieee_underflow 0
		.amdhsa_exception_fp_ieee_inexact 0
		.amdhsa_exception_int_div_zero 0
	.end_amdhsa_kernel
	.section	.text._ZN7rocprim17ROCPRIM_400000_NS6detail17trampoline_kernelINS0_14default_configENS1_38merge_sort_block_merge_config_selectorIsNS0_10empty_typeEEEZZNS1_27merge_sort_block_merge_implIS3_PsPS5_jNS1_19radix_merge_compareILb1ELb0EsNS0_19identity_decomposerEEEEE10hipError_tT0_T1_T2_jT3_P12ihipStream_tbPNSt15iterator_traitsISE_E10value_typeEPNSK_ISF_E10value_typeEPSG_NS1_7vsmem_tEENKUlT_SE_SF_SG_E_clIS8_S8_S9_S9_EESD_ST_SE_SF_SG_EUlST_E0_NS1_11comp_targetILNS1_3genE5ELNS1_11target_archE942ELNS1_3gpuE9ELNS1_3repE0EEENS1_38merge_mergepath_config_static_selectorELNS0_4arch9wavefront6targetE1EEEvSF_,"axG",@progbits,_ZN7rocprim17ROCPRIM_400000_NS6detail17trampoline_kernelINS0_14default_configENS1_38merge_sort_block_merge_config_selectorIsNS0_10empty_typeEEEZZNS1_27merge_sort_block_merge_implIS3_PsPS5_jNS1_19radix_merge_compareILb1ELb0EsNS0_19identity_decomposerEEEEE10hipError_tT0_T1_T2_jT3_P12ihipStream_tbPNSt15iterator_traitsISE_E10value_typeEPNSK_ISF_E10value_typeEPSG_NS1_7vsmem_tEENKUlT_SE_SF_SG_E_clIS8_S8_S9_S9_EESD_ST_SE_SF_SG_EUlST_E0_NS1_11comp_targetILNS1_3genE5ELNS1_11target_archE942ELNS1_3gpuE9ELNS1_3repE0EEENS1_38merge_mergepath_config_static_selectorELNS0_4arch9wavefront6targetE1EEEvSF_,comdat
.Lfunc_end1770:
	.size	_ZN7rocprim17ROCPRIM_400000_NS6detail17trampoline_kernelINS0_14default_configENS1_38merge_sort_block_merge_config_selectorIsNS0_10empty_typeEEEZZNS1_27merge_sort_block_merge_implIS3_PsPS5_jNS1_19radix_merge_compareILb1ELb0EsNS0_19identity_decomposerEEEEE10hipError_tT0_T1_T2_jT3_P12ihipStream_tbPNSt15iterator_traitsISE_E10value_typeEPNSK_ISF_E10value_typeEPSG_NS1_7vsmem_tEENKUlT_SE_SF_SG_E_clIS8_S8_S9_S9_EESD_ST_SE_SF_SG_EUlST_E0_NS1_11comp_targetILNS1_3genE5ELNS1_11target_archE942ELNS1_3gpuE9ELNS1_3repE0EEENS1_38merge_mergepath_config_static_selectorELNS0_4arch9wavefront6targetE1EEEvSF_, .Lfunc_end1770-_ZN7rocprim17ROCPRIM_400000_NS6detail17trampoline_kernelINS0_14default_configENS1_38merge_sort_block_merge_config_selectorIsNS0_10empty_typeEEEZZNS1_27merge_sort_block_merge_implIS3_PsPS5_jNS1_19radix_merge_compareILb1ELb0EsNS0_19identity_decomposerEEEEE10hipError_tT0_T1_T2_jT3_P12ihipStream_tbPNSt15iterator_traitsISE_E10value_typeEPNSK_ISF_E10value_typeEPSG_NS1_7vsmem_tEENKUlT_SE_SF_SG_E_clIS8_S8_S9_S9_EESD_ST_SE_SF_SG_EUlST_E0_NS1_11comp_targetILNS1_3genE5ELNS1_11target_archE942ELNS1_3gpuE9ELNS1_3repE0EEENS1_38merge_mergepath_config_static_selectorELNS0_4arch9wavefront6targetE1EEEvSF_
                                        ; -- End function
	.section	.AMDGPU.csdata,"",@progbits
; Kernel info:
; codeLenInByte = 0
; NumSgprs: 4
; NumVgprs: 0
; NumAgprs: 0
; TotalNumVgprs: 0
; ScratchSize: 0
; MemoryBound: 0
; FloatMode: 240
; IeeeMode: 1
; LDSByteSize: 0 bytes/workgroup (compile time only)
; SGPRBlocks: 0
; VGPRBlocks: 0
; NumSGPRsForWavesPerEU: 4
; NumVGPRsForWavesPerEU: 1
; AccumOffset: 4
; Occupancy: 8
; WaveLimiterHint : 0
; COMPUTE_PGM_RSRC2:SCRATCH_EN: 0
; COMPUTE_PGM_RSRC2:USER_SGPR: 6
; COMPUTE_PGM_RSRC2:TRAP_HANDLER: 0
; COMPUTE_PGM_RSRC2:TGID_X_EN: 1
; COMPUTE_PGM_RSRC2:TGID_Y_EN: 0
; COMPUTE_PGM_RSRC2:TGID_Z_EN: 0
; COMPUTE_PGM_RSRC2:TIDIG_COMP_CNT: 0
; COMPUTE_PGM_RSRC3_GFX90A:ACCUM_OFFSET: 0
; COMPUTE_PGM_RSRC3_GFX90A:TG_SPLIT: 0
	.section	.text._ZN7rocprim17ROCPRIM_400000_NS6detail17trampoline_kernelINS0_14default_configENS1_38merge_sort_block_merge_config_selectorIsNS0_10empty_typeEEEZZNS1_27merge_sort_block_merge_implIS3_PsPS5_jNS1_19radix_merge_compareILb1ELb0EsNS0_19identity_decomposerEEEEE10hipError_tT0_T1_T2_jT3_P12ihipStream_tbPNSt15iterator_traitsISE_E10value_typeEPNSK_ISF_E10value_typeEPSG_NS1_7vsmem_tEENKUlT_SE_SF_SG_E_clIS8_S8_S9_S9_EESD_ST_SE_SF_SG_EUlST_E0_NS1_11comp_targetILNS1_3genE4ELNS1_11target_archE910ELNS1_3gpuE8ELNS1_3repE0EEENS1_38merge_mergepath_config_static_selectorELNS0_4arch9wavefront6targetE1EEEvSF_,"axG",@progbits,_ZN7rocprim17ROCPRIM_400000_NS6detail17trampoline_kernelINS0_14default_configENS1_38merge_sort_block_merge_config_selectorIsNS0_10empty_typeEEEZZNS1_27merge_sort_block_merge_implIS3_PsPS5_jNS1_19radix_merge_compareILb1ELb0EsNS0_19identity_decomposerEEEEE10hipError_tT0_T1_T2_jT3_P12ihipStream_tbPNSt15iterator_traitsISE_E10value_typeEPNSK_ISF_E10value_typeEPSG_NS1_7vsmem_tEENKUlT_SE_SF_SG_E_clIS8_S8_S9_S9_EESD_ST_SE_SF_SG_EUlST_E0_NS1_11comp_targetILNS1_3genE4ELNS1_11target_archE910ELNS1_3gpuE8ELNS1_3repE0EEENS1_38merge_mergepath_config_static_selectorELNS0_4arch9wavefront6targetE1EEEvSF_,comdat
	.protected	_ZN7rocprim17ROCPRIM_400000_NS6detail17trampoline_kernelINS0_14default_configENS1_38merge_sort_block_merge_config_selectorIsNS0_10empty_typeEEEZZNS1_27merge_sort_block_merge_implIS3_PsPS5_jNS1_19radix_merge_compareILb1ELb0EsNS0_19identity_decomposerEEEEE10hipError_tT0_T1_T2_jT3_P12ihipStream_tbPNSt15iterator_traitsISE_E10value_typeEPNSK_ISF_E10value_typeEPSG_NS1_7vsmem_tEENKUlT_SE_SF_SG_E_clIS8_S8_S9_S9_EESD_ST_SE_SF_SG_EUlST_E0_NS1_11comp_targetILNS1_3genE4ELNS1_11target_archE910ELNS1_3gpuE8ELNS1_3repE0EEENS1_38merge_mergepath_config_static_selectorELNS0_4arch9wavefront6targetE1EEEvSF_ ; -- Begin function _ZN7rocprim17ROCPRIM_400000_NS6detail17trampoline_kernelINS0_14default_configENS1_38merge_sort_block_merge_config_selectorIsNS0_10empty_typeEEEZZNS1_27merge_sort_block_merge_implIS3_PsPS5_jNS1_19radix_merge_compareILb1ELb0EsNS0_19identity_decomposerEEEEE10hipError_tT0_T1_T2_jT3_P12ihipStream_tbPNSt15iterator_traitsISE_E10value_typeEPNSK_ISF_E10value_typeEPSG_NS1_7vsmem_tEENKUlT_SE_SF_SG_E_clIS8_S8_S9_S9_EESD_ST_SE_SF_SG_EUlST_E0_NS1_11comp_targetILNS1_3genE4ELNS1_11target_archE910ELNS1_3gpuE8ELNS1_3repE0EEENS1_38merge_mergepath_config_static_selectorELNS0_4arch9wavefront6targetE1EEEvSF_
	.globl	_ZN7rocprim17ROCPRIM_400000_NS6detail17trampoline_kernelINS0_14default_configENS1_38merge_sort_block_merge_config_selectorIsNS0_10empty_typeEEEZZNS1_27merge_sort_block_merge_implIS3_PsPS5_jNS1_19radix_merge_compareILb1ELb0EsNS0_19identity_decomposerEEEEE10hipError_tT0_T1_T2_jT3_P12ihipStream_tbPNSt15iterator_traitsISE_E10value_typeEPNSK_ISF_E10value_typeEPSG_NS1_7vsmem_tEENKUlT_SE_SF_SG_E_clIS8_S8_S9_S9_EESD_ST_SE_SF_SG_EUlST_E0_NS1_11comp_targetILNS1_3genE4ELNS1_11target_archE910ELNS1_3gpuE8ELNS1_3repE0EEENS1_38merge_mergepath_config_static_selectorELNS0_4arch9wavefront6targetE1EEEvSF_
	.p2align	8
	.type	_ZN7rocprim17ROCPRIM_400000_NS6detail17trampoline_kernelINS0_14default_configENS1_38merge_sort_block_merge_config_selectorIsNS0_10empty_typeEEEZZNS1_27merge_sort_block_merge_implIS3_PsPS5_jNS1_19radix_merge_compareILb1ELb0EsNS0_19identity_decomposerEEEEE10hipError_tT0_T1_T2_jT3_P12ihipStream_tbPNSt15iterator_traitsISE_E10value_typeEPNSK_ISF_E10value_typeEPSG_NS1_7vsmem_tEENKUlT_SE_SF_SG_E_clIS8_S8_S9_S9_EESD_ST_SE_SF_SG_EUlST_E0_NS1_11comp_targetILNS1_3genE4ELNS1_11target_archE910ELNS1_3gpuE8ELNS1_3repE0EEENS1_38merge_mergepath_config_static_selectorELNS0_4arch9wavefront6targetE1EEEvSF_,@function
_ZN7rocprim17ROCPRIM_400000_NS6detail17trampoline_kernelINS0_14default_configENS1_38merge_sort_block_merge_config_selectorIsNS0_10empty_typeEEEZZNS1_27merge_sort_block_merge_implIS3_PsPS5_jNS1_19radix_merge_compareILb1ELb0EsNS0_19identity_decomposerEEEEE10hipError_tT0_T1_T2_jT3_P12ihipStream_tbPNSt15iterator_traitsISE_E10value_typeEPNSK_ISF_E10value_typeEPSG_NS1_7vsmem_tEENKUlT_SE_SF_SG_E_clIS8_S8_S9_S9_EESD_ST_SE_SF_SG_EUlST_E0_NS1_11comp_targetILNS1_3genE4ELNS1_11target_archE910ELNS1_3gpuE8ELNS1_3repE0EEENS1_38merge_mergepath_config_static_selectorELNS0_4arch9wavefront6targetE1EEEvSF_: ; @_ZN7rocprim17ROCPRIM_400000_NS6detail17trampoline_kernelINS0_14default_configENS1_38merge_sort_block_merge_config_selectorIsNS0_10empty_typeEEEZZNS1_27merge_sort_block_merge_implIS3_PsPS5_jNS1_19radix_merge_compareILb1ELb0EsNS0_19identity_decomposerEEEEE10hipError_tT0_T1_T2_jT3_P12ihipStream_tbPNSt15iterator_traitsISE_E10value_typeEPNSK_ISF_E10value_typeEPSG_NS1_7vsmem_tEENKUlT_SE_SF_SG_E_clIS8_S8_S9_S9_EESD_ST_SE_SF_SG_EUlST_E0_NS1_11comp_targetILNS1_3genE4ELNS1_11target_archE910ELNS1_3gpuE8ELNS1_3repE0EEENS1_38merge_mergepath_config_static_selectorELNS0_4arch9wavefront6targetE1EEEvSF_
; %bb.0:
	s_load_dwordx2 s[10:11], s[4:5], 0x40
	s_load_dword s3, s[4:5], 0x30
	s_add_u32 s0, s4, 64
	s_addc_u32 s1, s5, 0
	s_waitcnt lgkmcnt(0)
	s_mul_i32 s2, s11, s8
	s_add_i32 s2, s2, s7
	s_mul_i32 s2, s2, s10
	s_add_i32 s2, s2, s6
	s_cmp_ge_u32 s2, s3
	s_cbranch_scc1 .LBB1771_43
; %bb.1:
	s_load_dwordx2 s[14:15], s[4:5], 0x28
	s_load_dwordx2 s[8:9], s[4:5], 0x38
	;; [unrolled: 1-line block ×3, first 2 shown]
	s_mov_b32 s3, 0
	s_mov_b32 s23, s3
	s_waitcnt lgkmcnt(0)
	s_lshr_b32 s17, s14, 10
	s_cmp_lg_u32 s2, s17
	s_cselect_b64 s[18:19], -1, 0
	s_lshl_b64 s[12:13], s[2:3], 2
	s_add_u32 s8, s8, s12
	s_addc_u32 s9, s9, s13
	s_lshr_b32 s7, s15, 9
	s_and_b32 s7, s7, 0x7ffffe
	s_load_dwordx2 s[8:9], s[8:9], 0x0
	s_sub_i32 s7, 0, s7
	s_and_b32 s11, s2, s7
	s_lshl_b32 s12, s11, 10
	s_lshl_b32 s16, s2, 10
	;; [unrolled: 1-line block ×3, first 2 shown]
	s_sub_i32 s13, s16, s12
	s_add_i32 s11, s11, s15
	s_add_i32 s13, s11, s13
	s_waitcnt lgkmcnt(0)
	s_sub_i32 s22, s13, s8
	s_sub_i32 s13, s13, s9
	;; [unrolled: 1-line block ×3, first 2 shown]
	s_min_u32 s22, s14, s22
	s_addk_i32 s13, 0x400
	s_or_b32 s7, s2, s7
	s_min_u32 s12, s14, s11
	s_add_i32 s11, s11, s15
	s_cmp_eq_u32 s7, -1
	s_cselect_b32 s7, s11, s13
	s_cselect_b32 s9, s12, s9
	s_min_u32 s7, s7, s14
	s_sub_i32 s15, s9, s8
	s_mov_b32 s9, s3
	s_sub_i32 s7, s7, s22
	s_lshl_b64 s[8:9], s[8:9], 1
	s_add_u32 s11, s20, s8
	s_addc_u32 s12, s21, s9
	s_lshl_b64 s[8:9], s[22:23], 1
	s_add_u32 s8, s20, s8
	s_addc_u32 s9, s21, s9
	s_cmp_lt_u32 s6, s10
	v_mov_b32_e32 v3, 0
	s_cselect_b32 s3, 12, 18
	global_load_dword v1, v3, s[0:1] offset:14
	s_add_u32 s0, s0, s3
	s_addc_u32 s1, s1, 0
	global_load_ushort v2, v3, s[0:1]
	s_cmp_eq_u32 s2, s17
	s_waitcnt vmcnt(1)
	v_lshrrev_b32_e32 v4, 16, v1
	v_and_b32_e32 v1, 0xffff, v1
	v_mul_lo_u32 v1, v1, v4
	s_waitcnt vmcnt(0)
	v_mul_lo_u32 v10, v1, v2
	v_add_u32_e32 v8, v10, v0
	v_lshlrev_b32_e32 v1, 1, v0
	v_add_u32_e32 v6, v8, v10
	s_cbranch_scc1 .LBB1771_3
; %bb.2:
	v_mov_b32_e32 v2, s12
	v_add_co_u32_e32 v7, vcc, s11, v1
	v_addc_co_u32_e32 v9, vcc, 0, v2, vcc
	v_subrev_u32_e32 v2, s15, v0
	v_lshlrev_b64 v[4:5], 1, v[2:3]
	v_mov_b32_e32 v2, s9
	v_add_co_u32_e32 v4, vcc, s8, v4
	v_addc_co_u32_e32 v2, vcc, v2, v5, vcc
	v_cmp_gt_u32_e32 vcc, s15, v0
	v_cndmask_b32_e32 v5, v2, v9, vcc
	v_cndmask_b32_e32 v4, v4, v7, vcc
	v_mov_b32_e32 v9, v3
	global_load_ushort v11, v[4:5], off
	v_lshlrev_b64 v[4:5], 1, v[8:9]
	v_mov_b32_e32 v2, s12
	v_add_co_u32_e32 v7, vcc, s11, v4
	v_addc_co_u32_e32 v9, vcc, v2, v5, vcc
	v_subrev_u32_e32 v2, s15, v8
	v_lshlrev_b64 v[4:5], 1, v[2:3]
	v_mov_b32_e32 v2, s9
	v_add_co_u32_e32 v4, vcc, s8, v4
	v_addc_co_u32_e32 v2, vcc, v2, v5, vcc
	v_cmp_gt_u32_e32 vcc, s15, v8
	v_cndmask_b32_e32 v5, v2, v9, vcc
	v_cndmask_b32_e32 v4, v4, v7, vcc
	v_mov_b32_e32 v7, v3
	global_load_ushort v9, v[4:5], off
	v_lshlrev_b64 v[4:5], 1, v[6:7]
	v_mov_b32_e32 v2, s12
	v_add_co_u32_e32 v7, vcc, s11, v4
	v_addc_co_u32_e32 v12, vcc, v2, v5, vcc
	v_subrev_u32_e32 v2, s15, v6
	v_lshlrev_b64 v[4:5], 1, v[2:3]
	v_mov_b32_e32 v2, s9
	v_add_co_u32_e32 v4, vcc, s8, v4
	v_addc_co_u32_e32 v2, vcc, v2, v5, vcc
	v_cmp_gt_u32_e32 vcc, s15, v6
	v_cndmask_b32_e32 v5, v2, v12, vcc
	v_cndmask_b32_e32 v4, v4, v7, vcc
	v_add_u32_e32 v2, v6, v10
	global_load_ushort v7, v[4:5], off
	v_lshlrev_b64 v[4:5], 1, v[2:3]
	v_mov_b32_e32 v12, s12
	v_add_co_u32_e32 v13, vcc, s11, v4
	v_addc_co_u32_e32 v12, vcc, v12, v5, vcc
	v_subrev_u32_e32 v4, s15, v2
	v_mov_b32_e32 v5, v3
	v_lshlrev_b64 v[4:5], 1, v[4:5]
	v_mov_b32_e32 v14, s9
	v_add_co_u32_e32 v4, vcc, s8, v4
	v_addc_co_u32_e32 v5, vcc, v14, v5, vcc
	v_cmp_gt_u32_e32 vcc, s15, v2
	v_cndmask_b32_e32 v5, v5, v12, vcc
	v_cndmask_b32_e32 v4, v4, v13, vcc
	v_add_u32_e32 v2, v2, v10
	global_load_ushort v12, v[4:5], off
	v_lshlrev_b64 v[4:5], 1, v[2:3]
	v_mov_b32_e32 v13, s12
	v_add_co_u32_e32 v14, vcc, s11, v4
	v_addc_co_u32_e32 v13, vcc, v13, v5, vcc
	v_subrev_u32_e32 v4, s15, v2
	v_mov_b32_e32 v5, v3
	;; [unrolled: 15-line block ×4, first 2 shown]
	v_lshlrev_b64 v[4:5], 1, v[4:5]
	v_mov_b32_e32 v17, s9
	v_add_co_u32_e32 v4, vcc, s8, v4
	v_addc_co_u32_e32 v5, vcc, v17, v5, vcc
	v_cmp_gt_u32_e32 vcc, s15, v2
	v_cndmask_b32_e32 v5, v5, v15, vcc
	v_cndmask_b32_e32 v4, v4, v16, vcc
	v_add_u32_e32 v2, v2, v10
	global_load_ushort v15, v[4:5], off
	v_lshlrev_b64 v[4:5], 1, v[2:3]
	v_mov_b32_e32 v16, s12
	v_add_co_u32_e32 v4, vcc, s11, v4
	v_addc_co_u32_e32 v5, vcc, v16, v5, vcc
	v_cmp_gt_u32_e32 vcc, s15, v2
	v_subrev_u32_e32 v2, s15, v2
	v_lshlrev_b64 v[2:3], 1, v[2:3]
	v_mov_b32_e32 v16, s9
	v_add_co_u32_e64 v2, s[0:1], s8, v2
	v_addc_co_u32_e64 v3, s[0:1], v16, v3, s[0:1]
	v_cndmask_b32_e32 v3, v3, v5, vcc
	v_cndmask_b32_e32 v2, v2, v4, vcc
	global_load_ushort v5, v[2:3], off
	s_mov_b32 s0, 0x5040100
	s_waitcnt vmcnt(6)
	v_perm_b32 v2, v9, v11, s0
	s_add_i32 s17, s7, s15
	s_waitcnt vmcnt(4)
	v_perm_b32 v3, v12, v7, s0
	s_waitcnt vmcnt(2)
	v_perm_b32 v4, v14, v13, s0
	;; [unrolled: 2-line block ×3, first 2 shown]
	s_load_dwordx2 s[20:21], s[4:5], 0x10
	s_cbranch_execz .LBB1771_4
	s_branch .LBB1771_19
.LBB1771_3:
                                        ; implicit-def: $vgpr2_vgpr3_vgpr4_vgpr5
                                        ; implicit-def: $sgpr17
	s_load_dwordx2 s[20:21], s[4:5], 0x10
.LBB1771_4:
	s_add_i32 s17, s7, s15
	v_cmp_gt_u32_e32 vcc, s17, v0
                                        ; implicit-def: $vgpr2_vgpr3_vgpr4_vgpr5
	s_and_saveexec_b64 s[0:1], vcc
	s_cbranch_execnz .LBB1771_44
; %bb.5:
	s_or_b64 exec, exec, s[0:1]
	v_cmp_gt_u32_e32 vcc, s17, v8
	s_and_saveexec_b64 s[2:3], vcc
	s_cbranch_execnz .LBB1771_45
.LBB1771_6:
	s_or_b64 exec, exec, s[2:3]
	v_cmp_gt_u32_e32 vcc, s17, v6
	s_and_saveexec_b64 s[0:1], vcc
	s_cbranch_execz .LBB1771_8
.LBB1771_7:
	v_mov_b32_e32 v7, 0
	v_lshlrev_b64 v[8:9], 1, v[6:7]
	v_mov_b32_e32 v11, s12
	v_add_co_u32_e32 v12, vcc, s11, v8
	v_addc_co_u32_e32 v11, vcc, v11, v9, vcc
	v_subrev_u32_e32 v8, s15, v6
	v_mov_b32_e32 v9, v7
	v_lshlrev_b64 v[8:9], 1, v[8:9]
	v_mov_b32_e32 v7, s9
	v_add_co_u32_e32 v8, vcc, s8, v8
	v_addc_co_u32_e32 v7, vcc, v7, v9, vcc
	v_cmp_gt_u32_e32 vcc, s15, v6
	v_cndmask_b32_e32 v9, v7, v11, vcc
	v_cndmask_b32_e32 v8, v8, v12, vcc
	global_load_ushort v7, v[8:9], off
	s_mov_b32 s2, 0xffff
	s_waitcnt vmcnt(0)
	v_bfi_b32 v3, s2, v7, v3
.LBB1771_8:
	s_or_b64 exec, exec, s[0:1]
	v_add_u32_e32 v6, v6, v10
	v_cmp_gt_u32_e32 vcc, s17, v6
	s_and_saveexec_b64 s[0:1], vcc
	s_cbranch_execz .LBB1771_10
; %bb.9:
	v_mov_b32_e32 v7, 0
	v_lshlrev_b64 v[8:9], 1, v[6:7]
	v_mov_b32_e32 v11, s12
	v_add_co_u32_e32 v12, vcc, s11, v8
	v_addc_co_u32_e32 v11, vcc, v11, v9, vcc
	v_subrev_u32_e32 v8, s15, v6
	v_mov_b32_e32 v9, v7
	v_lshlrev_b64 v[8:9], 1, v[8:9]
	v_mov_b32_e32 v7, s9
	v_add_co_u32_e32 v8, vcc, s8, v8
	v_addc_co_u32_e32 v7, vcc, v7, v9, vcc
	v_cmp_gt_u32_e32 vcc, s15, v6
	v_cndmask_b32_e32 v9, v7, v11, vcc
	v_cndmask_b32_e32 v8, v8, v12, vcc
	global_load_ushort v7, v[8:9], off
	s_mov_b32 s2, 0x5040100
	s_waitcnt vmcnt(0)
	v_perm_b32 v3, v7, v3, s2
.LBB1771_10:
	s_or_b64 exec, exec, s[0:1]
	v_add_u32_e32 v6, v6, v10
	v_cmp_gt_u32_e32 vcc, s17, v6
	s_and_saveexec_b64 s[0:1], vcc
	s_cbranch_execz .LBB1771_12
; %bb.11:
	v_mov_b32_e32 v7, 0
	v_lshlrev_b64 v[8:9], 1, v[6:7]
	v_mov_b32_e32 v11, s12
	v_add_co_u32_e32 v12, vcc, s11, v8
	v_addc_co_u32_e32 v11, vcc, v11, v9, vcc
	v_subrev_u32_e32 v8, s15, v6
	v_mov_b32_e32 v9, v7
	v_lshlrev_b64 v[8:9], 1, v[8:9]
	v_mov_b32_e32 v7, s9
	v_add_co_u32_e32 v8, vcc, s8, v8
	v_addc_co_u32_e32 v7, vcc, v7, v9, vcc
	v_cmp_gt_u32_e32 vcc, s15, v6
	v_cndmask_b32_e32 v9, v7, v11, vcc
	v_cndmask_b32_e32 v8, v8, v12, vcc
	global_load_ushort v7, v[8:9], off
	s_mov_b32 s2, 0xffff
	s_waitcnt vmcnt(0)
	v_bfi_b32 v4, s2, v7, v4
.LBB1771_12:
	s_or_b64 exec, exec, s[0:1]
	v_add_u32_e32 v6, v6, v10
	v_cmp_gt_u32_e32 vcc, s17, v6
	s_and_saveexec_b64 s[0:1], vcc
	s_cbranch_execz .LBB1771_14
; %bb.13:
	v_mov_b32_e32 v7, 0
	v_lshlrev_b64 v[8:9], 1, v[6:7]
	v_mov_b32_e32 v11, s12
	v_add_co_u32_e32 v12, vcc, s11, v8
	v_addc_co_u32_e32 v11, vcc, v11, v9, vcc
	v_subrev_u32_e32 v8, s15, v6
	v_mov_b32_e32 v9, v7
	v_lshlrev_b64 v[8:9], 1, v[8:9]
	v_mov_b32_e32 v7, s9
	v_add_co_u32_e32 v8, vcc, s8, v8
	v_addc_co_u32_e32 v7, vcc, v7, v9, vcc
	v_cmp_gt_u32_e32 vcc, s15, v6
	v_cndmask_b32_e32 v9, v7, v11, vcc
	v_cndmask_b32_e32 v8, v8, v12, vcc
	global_load_ushort v7, v[8:9], off
	s_mov_b32 s2, 0x5040100
	s_waitcnt vmcnt(0)
	v_perm_b32 v4, v7, v4, s2
.LBB1771_14:
	s_or_b64 exec, exec, s[0:1]
	v_add_u32_e32 v6, v6, v10
	v_cmp_gt_u32_e32 vcc, s17, v6
	s_and_saveexec_b64 s[0:1], vcc
	s_cbranch_execz .LBB1771_16
; %bb.15:
	v_mov_b32_e32 v7, 0
	v_lshlrev_b64 v[8:9], 1, v[6:7]
	v_mov_b32_e32 v11, s12
	v_add_co_u32_e32 v12, vcc, s11, v8
	v_addc_co_u32_e32 v11, vcc, v11, v9, vcc
	v_subrev_u32_e32 v8, s15, v6
	v_mov_b32_e32 v9, v7
	v_lshlrev_b64 v[8:9], 1, v[8:9]
	v_mov_b32_e32 v7, s9
	v_add_co_u32_e32 v8, vcc, s8, v8
	v_addc_co_u32_e32 v7, vcc, v7, v9, vcc
	v_cmp_gt_u32_e32 vcc, s15, v6
	v_cndmask_b32_e32 v9, v7, v11, vcc
	v_cndmask_b32_e32 v8, v8, v12, vcc
	global_load_ushort v7, v[8:9], off
	s_mov_b32 s2, 0xffff
	s_waitcnt vmcnt(0)
	v_bfi_b32 v5, s2, v7, v5
.LBB1771_16:
	s_or_b64 exec, exec, s[0:1]
	v_add_u32_e32 v6, v6, v10
	v_cmp_gt_u32_e32 vcc, s17, v6
	s_and_saveexec_b64 s[2:3], vcc
	s_cbranch_execz .LBB1771_18
; %bb.17:
	v_mov_b32_e32 v7, 0
	v_lshlrev_b64 v[8:9], 1, v[6:7]
	v_mov_b32_e32 v10, s12
	v_add_co_u32_e32 v8, vcc, s11, v8
	v_addc_co_u32_e32 v9, vcc, v10, v9, vcc
	v_cmp_gt_u32_e32 vcc, s15, v6
	v_subrev_u32_e32 v6, s15, v6
	v_lshlrev_b64 v[6:7], 1, v[6:7]
	v_mov_b32_e32 v10, s9
	v_add_co_u32_e64 v6, s[0:1], s8, v6
	v_addc_co_u32_e64 v7, s[0:1], v10, v7, s[0:1]
	v_cndmask_b32_e32 v7, v7, v9, vcc
	v_cndmask_b32_e32 v6, v6, v8, vcc
	global_load_ushort v6, v[6:7], off
	s_mov_b32 s0, 0x5040100
	s_waitcnt vmcnt(0)
	v_perm_b32 v5, v6, v5, s0
.LBB1771_18:
	s_or_b64 exec, exec, s[2:3]
.LBB1771_19:
	v_lshlrev_b32_e32 v6, 3, v0
	v_min_u32_e32 v12, s17, v6
	v_sub_u32_e64 v11, v12, s7 clamp
	v_min_u32_e32 v13, s15, v12
	s_waitcnt vmcnt(0)
	v_lshrrev_b32_e32 v7, 16, v2
	v_lshrrev_b32_e32 v8, 16, v3
	;; [unrolled: 1-line block ×4, first 2 shown]
	v_cmp_lt_u32_e32 vcc, v11, v13
	ds_write_b16 v1, v2
	ds_write_b16 v1, v7 offset:256
	ds_write_b16 v1, v3 offset:512
	;; [unrolled: 1-line block ×7, first 2 shown]
	s_waitcnt lgkmcnt(0)
	s_barrier
	s_and_saveexec_b64 s[0:1], vcc
	s_cbranch_execz .LBB1771_23
; %bb.20:
	v_lshlrev_b32_e32 v14, 1, v12
	v_lshl_add_u32 v14, s15, 1, v14
	s_mov_b64 s[2:3], 0
.LBB1771_21:                            ; =>This Inner Loop Header: Depth=1
	v_add_u32_e32 v15, v13, v11
	v_lshrrev_b32_e32 v16, 1, v15
	v_not_b32_e32 v17, v16
	v_and_b32_e32 v15, -2, v15
	v_lshl_add_u32 v17, v17, 1, v14
	ds_read_u16 v15, v15
	ds_read_u16 v17, v17
	v_add_u32_e32 v18, 1, v16
	s_waitcnt lgkmcnt(0)
	v_cmp_gt_i16_e32 vcc, v17, v15
	v_cndmask_b32_e32 v13, v13, v16, vcc
	v_cndmask_b32_e32 v11, v18, v11, vcc
	v_cmp_ge_u32_e32 vcc, v11, v13
	s_or_b64 s[2:3], vcc, s[2:3]
	s_andn2_b64 exec, exec, s[2:3]
	s_cbranch_execnz .LBB1771_21
; %bb.22:
	s_or_b64 exec, exec, s[2:3]
.LBB1771_23:
	s_or_b64 exec, exec, s[0:1]
	v_sub_u32_e32 v12, v12, v11
	v_add_u32_e32 v12, s15, v12
	v_cmp_ge_u32_e32 vcc, s15, v11
	v_cmp_ge_u32_e64 s[0:1], s17, v12
	s_or_b64 s[0:1], vcc, s[0:1]
	s_and_saveexec_b64 s[22:23], s[0:1]
	s_cbranch_execz .LBB1771_29
; %bb.24:
	v_cmp_gt_u32_e32 vcc, s15, v11
                                        ; implicit-def: $vgpr2
	s_and_saveexec_b64 s[0:1], vcc
	s_cbranch_execz .LBB1771_26
; %bb.25:
	v_lshlrev_b32_e32 v2, 1, v11
	ds_read_u16 v2, v2
.LBB1771_26:
	s_or_b64 exec, exec, s[0:1]
	v_cmp_le_u32_e64 s[0:1], s17, v12
	v_cmp_gt_u32_e64 s[2:3], s17, v12
                                        ; implicit-def: $vgpr3
	s_and_saveexec_b64 s[4:5], s[2:3]
	s_cbranch_execz .LBB1771_28
; %bb.27:
	v_lshlrev_b32_e32 v3, 1, v12
	ds_read_u16 v3, v3
.LBB1771_28:
	s_or_b64 exec, exec, s[4:5]
	s_waitcnt lgkmcnt(0)
	v_cmp_le_i16_e64 s[2:3], v3, v2
	s_and_b64 s[2:3], vcc, s[2:3]
	s_or_b64 vcc, s[0:1], s[2:3]
	v_mov_b32_e32 v5, s17
	v_mov_b32_e32 v8, s15
	v_cndmask_b32_e32 v4, v12, v11, vcc
	v_cndmask_b32_e32 v7, v5, v8, vcc
	v_add_u32_e32 v4, 1, v4
	v_add_u32_e32 v7, -1, v7
	v_min_u32_e32 v7, v4, v7
	v_lshlrev_b32_e32 v7, 1, v7
	ds_read_u16 v7, v7
	v_cndmask_b32_e32 v10, v4, v12, vcc
	v_cndmask_b32_e32 v4, v11, v4, vcc
	v_cmp_gt_u32_e64 s[2:3], s15, v4
	v_cmp_le_u32_e64 s[0:1], s17, v10
	s_waitcnt lgkmcnt(0)
	v_cndmask_b32_e32 v9, v7, v3, vcc
	v_cndmask_b32_e32 v7, v2, v7, vcc
	v_cmp_le_i16_e64 s[4:5], v9, v7
	s_and_b64 s[2:3], s[2:3], s[4:5]
	s_or_b64 s[0:1], s[0:1], s[2:3]
	v_cndmask_b32_e64 v11, v10, v4, s[0:1]
	v_cndmask_b32_e64 v12, v5, v8, s[0:1]
	v_add_u32_e32 v11, 1, v11
	v_add_u32_e32 v12, -1, v12
	v_min_u32_e32 v12, v11, v12
	v_lshlrev_b32_e32 v12, 1, v12
	ds_read_u16 v12, v12
	v_cndmask_b32_e64 v4, v4, v11, s[0:1]
	v_cndmask_b32_e64 v10, v11, v10, s[0:1]
	v_cmp_gt_u32_e64 s[4:5], s15, v4
	v_cmp_le_u32_e64 s[2:3], s17, v10
	s_waitcnt lgkmcnt(0)
	v_cndmask_b32_e64 v13, v12, v9, s[0:1]
	v_cndmask_b32_e64 v12, v7, v12, s[0:1]
	v_cmp_le_i16_e64 s[6:7], v13, v12
	s_and_b64 s[4:5], s[4:5], s[6:7]
	s_or_b64 s[2:3], s[2:3], s[4:5]
	v_cndmask_b32_e64 v11, v10, v4, s[2:3]
	v_cndmask_b32_e64 v14, v5, v8, s[2:3]
	v_add_u32_e32 v11, 1, v11
	v_add_u32_e32 v14, -1, v14
	v_min_u32_e32 v14, v11, v14
	v_lshlrev_b32_e32 v14, 1, v14
	ds_read_u16 v14, v14
	v_cndmask_b32_e64 v4, v4, v11, s[2:3]
	v_cndmask_b32_e64 v10, v11, v10, s[2:3]
	v_cmp_gt_u32_e64 s[6:7], s15, v4
	v_cmp_le_u32_e64 s[4:5], s17, v10
	s_waitcnt lgkmcnt(0)
	v_cndmask_b32_e64 v15, v14, v13, s[2:3]
	v_cndmask_b32_e64 v14, v12, v14, s[2:3]
	;; [unrolled: 17-line block ×4, first 2 shown]
	v_cmp_le_i16_e64 s[12:13], v19, v18
	s_and_b64 s[10:11], s[10:11], s[12:13]
	s_or_b64 s[8:9], s[8:9], s[10:11]
	v_cndmask_b32_e64 v11, v10, v4, s[8:9]
	v_cndmask_b32_e64 v20, v5, v8, s[8:9]
	v_add_u32_e32 v11, 1, v11
	v_add_u32_e32 v20, -1, v20
	v_min_u32_e32 v20, v11, v20
	v_lshlrev_b32_e32 v20, 1, v20
	ds_read_u16 v20, v20
	v_cndmask_b32_e32 v2, v3, v2, vcc
	v_cndmask_b32_e64 v3, v13, v12, s[2:3]
	v_cndmask_b32_e64 v10, v11, v10, s[8:9]
	;; [unrolled: 1-line block ×3, first 2 shown]
	s_waitcnt lgkmcnt(0)
	v_cndmask_b32_e64 v12, v20, v19, s[8:9]
	v_cndmask_b32_e64 v13, v18, v20, s[8:9]
	;; [unrolled: 1-line block ×3, first 2 shown]
	v_cmp_gt_u32_e64 s[0:1], s15, v11
	v_cmp_le_i16_e64 s[2:3], v12, v13
	v_cmp_le_u32_e32 vcc, s17, v10
	s_and_b64 s[0:1], s[0:1], s[2:3]
	s_or_b64 vcc, vcc, s[0:1]
	v_cndmask_b32_e32 v4, v10, v11, vcc
	v_cndmask_b32_e32 v5, v5, v8, vcc
	v_add_u32_e32 v20, 1, v4
	v_add_u32_e32 v4, -1, v5
	v_min_u32_e32 v4, v20, v4
	v_lshlrev_b32_e32 v4, 1, v4
	ds_read_u16 v21, v4
	v_cndmask_b32_e32 v5, v12, v13, vcc
	v_cndmask_b32_e32 v11, v11, v20, vcc
	;; [unrolled: 1-line block ×3, first 2 shown]
	v_cmp_gt_u32_e64 s[0:1], s15, v11
	s_waitcnt lgkmcnt(0)
	v_cndmask_b32_e32 v12, v21, v12, vcc
	v_cndmask_b32_e32 v13, v13, v21, vcc
	v_cmp_le_i16_e64 s[2:3], v12, v13
	v_cmp_le_u32_e32 vcc, s17, v10
	s_and_b64 s[0:1], s[0:1], s[2:3]
	s_or_b64 vcc, vcc, s[0:1]
	v_cndmask_b32_e64 v8, v15, v14, s[4:5]
	v_cndmask_b32_e64 v4, v17, v16, s[6:7]
	;; [unrolled: 1-line block ×3, first 2 shown]
	v_cndmask_b32_e32 v10, v12, v13, vcc
.LBB1771_29:
	s_or_b64 exec, exec, s[22:23]
	v_lshrrev_b32_e32 v11, 2, v0
	v_and_b32_e32 v11, 30, v11
	s_mov_b32 s2, 0x5040100
	v_add_lshl_u32 v6, v11, v6, 1
	v_perm_b32 v3, v8, v3, s2
	v_perm_b32 v2, v7, v2, s2
	s_barrier
	s_barrier
	ds_write2_b32 v6, v2, v3 offset1:1
	v_perm_b32 v2, v10, v5, s2
	v_perm_b32 v3, v9, v4, s2
	ds_write2_b32 v6, v3, v2 offset0:2 offset1:3
	v_lshrrev_b32_e32 v2, 4, v0
	v_and_b32_e32 v2, 4, v2
	v_or_b32_e32 v10, 0x80, v0
	v_add_u32_e32 v11, v1, v2
	v_lshrrev_b32_e32 v2, 4, v10
	v_and_b32_e32 v2, 12, v2
	v_or_b32_e32 v9, 0x100, v0
	v_add_u32_e32 v12, v1, v2
	;; [unrolled: 4-line block ×5, first 2 shown]
	v_lshrrev_b32_e32 v2, 4, v6
	v_and_b32_e32 v2, 44, v2
	v_or_b32_e32 v5, 0x300, v0
	s_mov_b32 s17, 0
	v_add_u32_e32 v16, v1, v2
	v_lshrrev_b32_e32 v2, 4, v5
	s_lshl_b64 s[0:1], s[16:17], 1
	v_and_b32_e32 v2, 52, v2
	v_or_b32_e32 v4, 0x380, v0
	s_add_u32 s0, s20, s0
	v_add_u32_e32 v17, v1, v2
	v_lshrrev_b32_e32 v2, 4, v4
	s_addc_u32 s1, s21, s1
	v_and_b32_e32 v2, 60, v2
	v_add_u32_e32 v18, v1, v2
	v_mov_b32_e32 v3, s1
	v_add_co_u32_e32 v2, vcc, s0, v1
	v_addc_co_u32_e32 v3, vcc, 0, v3, vcc
	s_and_b64 vcc, exec, s[18:19]
	s_waitcnt lgkmcnt(0)
	s_cbranch_vccz .LBB1771_31
; %bb.30:
	s_barrier
	ds_read_u16 v19, v11
	ds_read_u16 v20, v12 offset:256
	ds_read_u16 v21, v13 offset:512
	;; [unrolled: 1-line block ×7, first 2 shown]
	s_waitcnt lgkmcnt(7)
	global_store_short v[2:3], v19, off
	s_waitcnt lgkmcnt(6)
	global_store_short v[2:3], v20, off offset:256
	s_waitcnt lgkmcnt(5)
	global_store_short v[2:3], v21, off offset:512
	;; [unrolled: 2-line block ×6, first 2 shown]
	s_mov_b64 s[0:1], -1
	s_cbranch_execz .LBB1771_32
	s_branch .LBB1771_41
.LBB1771_31:
	s_mov_b64 s[0:1], 0
                                        ; implicit-def: $vgpr1
.LBB1771_32:
	s_barrier
	s_waitcnt lgkmcnt(0)
	ds_read_u16 v21, v12 offset:256
	ds_read_u16 v20, v13 offset:512
	;; [unrolled: 1-line block ×7, first 2 shown]
	s_sub_i32 s2, s14, s16
	v_cmp_gt_u32_e32 vcc, s2, v0
	s_and_saveexec_b64 s[0:1], vcc
	s_cbranch_execnz .LBB1771_46
; %bb.33:
	s_or_b64 exec, exec, s[0:1]
	v_cmp_gt_u32_e32 vcc, s2, v10
	s_and_saveexec_b64 s[0:1], vcc
	s_cbranch_execnz .LBB1771_47
.LBB1771_34:
	s_or_b64 exec, exec, s[0:1]
	v_cmp_gt_u32_e32 vcc, s2, v9
	s_and_saveexec_b64 s[0:1], vcc
	s_cbranch_execnz .LBB1771_48
.LBB1771_35:
	s_or_b64 exec, exec, s[0:1]
	v_cmp_gt_u32_e32 vcc, s2, v8
	s_and_saveexec_b64 s[0:1], vcc
	s_cbranch_execnz .LBB1771_49
.LBB1771_36:
	s_or_b64 exec, exec, s[0:1]
	v_cmp_gt_u32_e32 vcc, s2, v7
	s_and_saveexec_b64 s[0:1], vcc
	s_cbranch_execnz .LBB1771_50
.LBB1771_37:
	s_or_b64 exec, exec, s[0:1]
	v_cmp_gt_u32_e32 vcc, s2, v6
	s_and_saveexec_b64 s[0:1], vcc
	s_cbranch_execnz .LBB1771_51
.LBB1771_38:
	s_or_b64 exec, exec, s[0:1]
	v_cmp_gt_u32_e32 vcc, s2, v5
	s_and_saveexec_b64 s[0:1], vcc
	s_cbranch_execz .LBB1771_40
.LBB1771_39:
	s_waitcnt lgkmcnt(1)
	global_store_short v[2:3], v12, off offset:1536
.LBB1771_40:
	s_or_b64 exec, exec, s[0:1]
	v_cmp_gt_u32_e64 s[0:1], s2, v4
.LBB1771_41:
	s_and_saveexec_b64 s[2:3], s[0:1]
	s_cbranch_execz .LBB1771_43
; %bb.42:
	s_waitcnt lgkmcnt(0)
	global_store_short v[2:3], v1, off offset:1792
.LBB1771_43:
	s_endpgm
.LBB1771_44:
	v_mov_b32_e32 v2, s12
	v_add_co_u32_e32 v4, vcc, s11, v1
	v_mov_b32_e32 v3, 0
	v_addc_co_u32_e32 v5, vcc, 0, v2, vcc
	v_subrev_u32_e32 v2, s15, v0
	v_lshlrev_b64 v[2:3], 1, v[2:3]
	v_mov_b32_e32 v7, s9
	v_add_co_u32_e32 v2, vcc, s8, v2
	v_addc_co_u32_e32 v3, vcc, v7, v3, vcc
	v_cmp_gt_u32_e32 vcc, s15, v0
	v_cndmask_b32_e32 v3, v3, v5, vcc
	v_cndmask_b32_e32 v2, v2, v4, vcc
	global_load_ushort v2, v[2:3], off
	s_or_b64 exec, exec, s[0:1]
	v_cmp_gt_u32_e32 vcc, s17, v8
	s_and_saveexec_b64 s[2:3], vcc
	s_cbranch_execz .LBB1771_6
.LBB1771_45:
	v_mov_b32_e32 v9, 0
	v_lshlrev_b64 v[12:13], 1, v[8:9]
	v_mov_b32_e32 v7, s12
	v_add_co_u32_e32 v11, vcc, s11, v12
	v_addc_co_u32_e32 v7, vcc, v7, v13, vcc
	v_cmp_gt_u32_e32 vcc, s15, v8
	v_subrev_u32_e32 v8, s15, v8
	v_lshlrev_b64 v[8:9], 1, v[8:9]
	v_mov_b32_e32 v12, s9
	v_add_co_u32_e64 v8, s[0:1], s8, v8
	v_addc_co_u32_e64 v9, s[0:1], v12, v9, s[0:1]
	v_cndmask_b32_e32 v9, v9, v7, vcc
	v_cndmask_b32_e32 v8, v8, v11, vcc
	global_load_ushort v7, v[8:9], off
	s_mov_b32 s0, 0x5040100
	s_waitcnt vmcnt(0)
	v_perm_b32 v2, v7, v2, s0
	s_or_b64 exec, exec, s[2:3]
	v_cmp_gt_u32_e32 vcc, s17, v6
	s_and_saveexec_b64 s[0:1], vcc
	s_cbranch_execnz .LBB1771_7
	s_branch .LBB1771_8
.LBB1771_46:
	ds_read_u16 v0, v11
	s_waitcnt lgkmcnt(0)
	global_store_short v[2:3], v0, off
	s_or_b64 exec, exec, s[0:1]
	v_cmp_gt_u32_e32 vcc, s2, v10
	s_and_saveexec_b64 s[0:1], vcc
	s_cbranch_execz .LBB1771_34
.LBB1771_47:
	s_waitcnt lgkmcnt(6)
	global_store_short v[2:3], v21, off offset:256
	s_or_b64 exec, exec, s[0:1]
	v_cmp_gt_u32_e32 vcc, s2, v9
	s_and_saveexec_b64 s[0:1], vcc
	s_cbranch_execz .LBB1771_35
.LBB1771_48:
	s_waitcnt lgkmcnt(5)
	global_store_short v[2:3], v20, off offset:512
	s_or_b64 exec, exec, s[0:1]
	v_cmp_gt_u32_e32 vcc, s2, v8
	s_and_saveexec_b64 s[0:1], vcc
	s_cbranch_execz .LBB1771_36
.LBB1771_49:
	s_waitcnt lgkmcnt(4)
	global_store_short v[2:3], v19, off offset:768
	s_or_b64 exec, exec, s[0:1]
	v_cmp_gt_u32_e32 vcc, s2, v7
	s_and_saveexec_b64 s[0:1], vcc
	s_cbranch_execz .LBB1771_37
.LBB1771_50:
	s_waitcnt lgkmcnt(3)
	global_store_short v[2:3], v14, off offset:1024
	s_or_b64 exec, exec, s[0:1]
	v_cmp_gt_u32_e32 vcc, s2, v6
	s_and_saveexec_b64 s[0:1], vcc
	s_cbranch_execz .LBB1771_38
.LBB1771_51:
	s_waitcnt lgkmcnt(2)
	global_store_short v[2:3], v13, off offset:1280
	s_or_b64 exec, exec, s[0:1]
	v_cmp_gt_u32_e32 vcc, s2, v5
	s_and_saveexec_b64 s[0:1], vcc
	s_cbranch_execnz .LBB1771_39
	s_branch .LBB1771_40
	.section	.rodata,"a",@progbits
	.p2align	6, 0x0
	.amdhsa_kernel _ZN7rocprim17ROCPRIM_400000_NS6detail17trampoline_kernelINS0_14default_configENS1_38merge_sort_block_merge_config_selectorIsNS0_10empty_typeEEEZZNS1_27merge_sort_block_merge_implIS3_PsPS5_jNS1_19radix_merge_compareILb1ELb0EsNS0_19identity_decomposerEEEEE10hipError_tT0_T1_T2_jT3_P12ihipStream_tbPNSt15iterator_traitsISE_E10value_typeEPNSK_ISF_E10value_typeEPSG_NS1_7vsmem_tEENKUlT_SE_SF_SG_E_clIS8_S8_S9_S9_EESD_ST_SE_SF_SG_EUlST_E0_NS1_11comp_targetILNS1_3genE4ELNS1_11target_archE910ELNS1_3gpuE8ELNS1_3repE0EEENS1_38merge_mergepath_config_static_selectorELNS0_4arch9wavefront6targetE1EEEvSF_
		.amdhsa_group_segment_fixed_size 2112
		.amdhsa_private_segment_fixed_size 0
		.amdhsa_kernarg_size 320
		.amdhsa_user_sgpr_count 6
		.amdhsa_user_sgpr_private_segment_buffer 1
		.amdhsa_user_sgpr_dispatch_ptr 0
		.amdhsa_user_sgpr_queue_ptr 0
		.amdhsa_user_sgpr_kernarg_segment_ptr 1
		.amdhsa_user_sgpr_dispatch_id 0
		.amdhsa_user_sgpr_flat_scratch_init 0
		.amdhsa_user_sgpr_kernarg_preload_length 0
		.amdhsa_user_sgpr_kernarg_preload_offset 0
		.amdhsa_user_sgpr_private_segment_size 0
		.amdhsa_uses_dynamic_stack 0
		.amdhsa_system_sgpr_private_segment_wavefront_offset 0
		.amdhsa_system_sgpr_workgroup_id_x 1
		.amdhsa_system_sgpr_workgroup_id_y 1
		.amdhsa_system_sgpr_workgroup_id_z 1
		.amdhsa_system_sgpr_workgroup_info 0
		.amdhsa_system_vgpr_workitem_id 0
		.amdhsa_next_free_vgpr 26
		.amdhsa_next_free_sgpr 24
		.amdhsa_accum_offset 28
		.amdhsa_reserve_vcc 1
		.amdhsa_reserve_flat_scratch 0
		.amdhsa_float_round_mode_32 0
		.amdhsa_float_round_mode_16_64 0
		.amdhsa_float_denorm_mode_32 3
		.amdhsa_float_denorm_mode_16_64 3
		.amdhsa_dx10_clamp 1
		.amdhsa_ieee_mode 1
		.amdhsa_fp16_overflow 0
		.amdhsa_tg_split 0
		.amdhsa_exception_fp_ieee_invalid_op 0
		.amdhsa_exception_fp_denorm_src 0
		.amdhsa_exception_fp_ieee_div_zero 0
		.amdhsa_exception_fp_ieee_overflow 0
		.amdhsa_exception_fp_ieee_underflow 0
		.amdhsa_exception_fp_ieee_inexact 0
		.amdhsa_exception_int_div_zero 0
	.end_amdhsa_kernel
	.section	.text._ZN7rocprim17ROCPRIM_400000_NS6detail17trampoline_kernelINS0_14default_configENS1_38merge_sort_block_merge_config_selectorIsNS0_10empty_typeEEEZZNS1_27merge_sort_block_merge_implIS3_PsPS5_jNS1_19radix_merge_compareILb1ELb0EsNS0_19identity_decomposerEEEEE10hipError_tT0_T1_T2_jT3_P12ihipStream_tbPNSt15iterator_traitsISE_E10value_typeEPNSK_ISF_E10value_typeEPSG_NS1_7vsmem_tEENKUlT_SE_SF_SG_E_clIS8_S8_S9_S9_EESD_ST_SE_SF_SG_EUlST_E0_NS1_11comp_targetILNS1_3genE4ELNS1_11target_archE910ELNS1_3gpuE8ELNS1_3repE0EEENS1_38merge_mergepath_config_static_selectorELNS0_4arch9wavefront6targetE1EEEvSF_,"axG",@progbits,_ZN7rocprim17ROCPRIM_400000_NS6detail17trampoline_kernelINS0_14default_configENS1_38merge_sort_block_merge_config_selectorIsNS0_10empty_typeEEEZZNS1_27merge_sort_block_merge_implIS3_PsPS5_jNS1_19radix_merge_compareILb1ELb0EsNS0_19identity_decomposerEEEEE10hipError_tT0_T1_T2_jT3_P12ihipStream_tbPNSt15iterator_traitsISE_E10value_typeEPNSK_ISF_E10value_typeEPSG_NS1_7vsmem_tEENKUlT_SE_SF_SG_E_clIS8_S8_S9_S9_EESD_ST_SE_SF_SG_EUlST_E0_NS1_11comp_targetILNS1_3genE4ELNS1_11target_archE910ELNS1_3gpuE8ELNS1_3repE0EEENS1_38merge_mergepath_config_static_selectorELNS0_4arch9wavefront6targetE1EEEvSF_,comdat
.Lfunc_end1771:
	.size	_ZN7rocprim17ROCPRIM_400000_NS6detail17trampoline_kernelINS0_14default_configENS1_38merge_sort_block_merge_config_selectorIsNS0_10empty_typeEEEZZNS1_27merge_sort_block_merge_implIS3_PsPS5_jNS1_19radix_merge_compareILb1ELb0EsNS0_19identity_decomposerEEEEE10hipError_tT0_T1_T2_jT3_P12ihipStream_tbPNSt15iterator_traitsISE_E10value_typeEPNSK_ISF_E10value_typeEPSG_NS1_7vsmem_tEENKUlT_SE_SF_SG_E_clIS8_S8_S9_S9_EESD_ST_SE_SF_SG_EUlST_E0_NS1_11comp_targetILNS1_3genE4ELNS1_11target_archE910ELNS1_3gpuE8ELNS1_3repE0EEENS1_38merge_mergepath_config_static_selectorELNS0_4arch9wavefront6targetE1EEEvSF_, .Lfunc_end1771-_ZN7rocprim17ROCPRIM_400000_NS6detail17trampoline_kernelINS0_14default_configENS1_38merge_sort_block_merge_config_selectorIsNS0_10empty_typeEEEZZNS1_27merge_sort_block_merge_implIS3_PsPS5_jNS1_19radix_merge_compareILb1ELb0EsNS0_19identity_decomposerEEEEE10hipError_tT0_T1_T2_jT3_P12ihipStream_tbPNSt15iterator_traitsISE_E10value_typeEPNSK_ISF_E10value_typeEPSG_NS1_7vsmem_tEENKUlT_SE_SF_SG_E_clIS8_S8_S9_S9_EESD_ST_SE_SF_SG_EUlST_E0_NS1_11comp_targetILNS1_3genE4ELNS1_11target_archE910ELNS1_3gpuE8ELNS1_3repE0EEENS1_38merge_mergepath_config_static_selectorELNS0_4arch9wavefront6targetE1EEEvSF_
                                        ; -- End function
	.section	.AMDGPU.csdata,"",@progbits
; Kernel info:
; codeLenInByte = 3836
; NumSgprs: 28
; NumVgprs: 26
; NumAgprs: 0
; TotalNumVgprs: 26
; ScratchSize: 0
; MemoryBound: 0
; FloatMode: 240
; IeeeMode: 1
; LDSByteSize: 2112 bytes/workgroup (compile time only)
; SGPRBlocks: 3
; VGPRBlocks: 3
; NumSGPRsForWavesPerEU: 28
; NumVGPRsForWavesPerEU: 26
; AccumOffset: 28
; Occupancy: 8
; WaveLimiterHint : 1
; COMPUTE_PGM_RSRC2:SCRATCH_EN: 0
; COMPUTE_PGM_RSRC2:USER_SGPR: 6
; COMPUTE_PGM_RSRC2:TRAP_HANDLER: 0
; COMPUTE_PGM_RSRC2:TGID_X_EN: 1
; COMPUTE_PGM_RSRC2:TGID_Y_EN: 1
; COMPUTE_PGM_RSRC2:TGID_Z_EN: 1
; COMPUTE_PGM_RSRC2:TIDIG_COMP_CNT: 0
; COMPUTE_PGM_RSRC3_GFX90A:ACCUM_OFFSET: 6
; COMPUTE_PGM_RSRC3_GFX90A:TG_SPLIT: 0
	.section	.text._ZN7rocprim17ROCPRIM_400000_NS6detail17trampoline_kernelINS0_14default_configENS1_38merge_sort_block_merge_config_selectorIsNS0_10empty_typeEEEZZNS1_27merge_sort_block_merge_implIS3_PsPS5_jNS1_19radix_merge_compareILb1ELb0EsNS0_19identity_decomposerEEEEE10hipError_tT0_T1_T2_jT3_P12ihipStream_tbPNSt15iterator_traitsISE_E10value_typeEPNSK_ISF_E10value_typeEPSG_NS1_7vsmem_tEENKUlT_SE_SF_SG_E_clIS8_S8_S9_S9_EESD_ST_SE_SF_SG_EUlST_E0_NS1_11comp_targetILNS1_3genE3ELNS1_11target_archE908ELNS1_3gpuE7ELNS1_3repE0EEENS1_38merge_mergepath_config_static_selectorELNS0_4arch9wavefront6targetE1EEEvSF_,"axG",@progbits,_ZN7rocprim17ROCPRIM_400000_NS6detail17trampoline_kernelINS0_14default_configENS1_38merge_sort_block_merge_config_selectorIsNS0_10empty_typeEEEZZNS1_27merge_sort_block_merge_implIS3_PsPS5_jNS1_19radix_merge_compareILb1ELb0EsNS0_19identity_decomposerEEEEE10hipError_tT0_T1_T2_jT3_P12ihipStream_tbPNSt15iterator_traitsISE_E10value_typeEPNSK_ISF_E10value_typeEPSG_NS1_7vsmem_tEENKUlT_SE_SF_SG_E_clIS8_S8_S9_S9_EESD_ST_SE_SF_SG_EUlST_E0_NS1_11comp_targetILNS1_3genE3ELNS1_11target_archE908ELNS1_3gpuE7ELNS1_3repE0EEENS1_38merge_mergepath_config_static_selectorELNS0_4arch9wavefront6targetE1EEEvSF_,comdat
	.protected	_ZN7rocprim17ROCPRIM_400000_NS6detail17trampoline_kernelINS0_14default_configENS1_38merge_sort_block_merge_config_selectorIsNS0_10empty_typeEEEZZNS1_27merge_sort_block_merge_implIS3_PsPS5_jNS1_19radix_merge_compareILb1ELb0EsNS0_19identity_decomposerEEEEE10hipError_tT0_T1_T2_jT3_P12ihipStream_tbPNSt15iterator_traitsISE_E10value_typeEPNSK_ISF_E10value_typeEPSG_NS1_7vsmem_tEENKUlT_SE_SF_SG_E_clIS8_S8_S9_S9_EESD_ST_SE_SF_SG_EUlST_E0_NS1_11comp_targetILNS1_3genE3ELNS1_11target_archE908ELNS1_3gpuE7ELNS1_3repE0EEENS1_38merge_mergepath_config_static_selectorELNS0_4arch9wavefront6targetE1EEEvSF_ ; -- Begin function _ZN7rocprim17ROCPRIM_400000_NS6detail17trampoline_kernelINS0_14default_configENS1_38merge_sort_block_merge_config_selectorIsNS0_10empty_typeEEEZZNS1_27merge_sort_block_merge_implIS3_PsPS5_jNS1_19radix_merge_compareILb1ELb0EsNS0_19identity_decomposerEEEEE10hipError_tT0_T1_T2_jT3_P12ihipStream_tbPNSt15iterator_traitsISE_E10value_typeEPNSK_ISF_E10value_typeEPSG_NS1_7vsmem_tEENKUlT_SE_SF_SG_E_clIS8_S8_S9_S9_EESD_ST_SE_SF_SG_EUlST_E0_NS1_11comp_targetILNS1_3genE3ELNS1_11target_archE908ELNS1_3gpuE7ELNS1_3repE0EEENS1_38merge_mergepath_config_static_selectorELNS0_4arch9wavefront6targetE1EEEvSF_
	.globl	_ZN7rocprim17ROCPRIM_400000_NS6detail17trampoline_kernelINS0_14default_configENS1_38merge_sort_block_merge_config_selectorIsNS0_10empty_typeEEEZZNS1_27merge_sort_block_merge_implIS3_PsPS5_jNS1_19radix_merge_compareILb1ELb0EsNS0_19identity_decomposerEEEEE10hipError_tT0_T1_T2_jT3_P12ihipStream_tbPNSt15iterator_traitsISE_E10value_typeEPNSK_ISF_E10value_typeEPSG_NS1_7vsmem_tEENKUlT_SE_SF_SG_E_clIS8_S8_S9_S9_EESD_ST_SE_SF_SG_EUlST_E0_NS1_11comp_targetILNS1_3genE3ELNS1_11target_archE908ELNS1_3gpuE7ELNS1_3repE0EEENS1_38merge_mergepath_config_static_selectorELNS0_4arch9wavefront6targetE1EEEvSF_
	.p2align	8
	.type	_ZN7rocprim17ROCPRIM_400000_NS6detail17trampoline_kernelINS0_14default_configENS1_38merge_sort_block_merge_config_selectorIsNS0_10empty_typeEEEZZNS1_27merge_sort_block_merge_implIS3_PsPS5_jNS1_19radix_merge_compareILb1ELb0EsNS0_19identity_decomposerEEEEE10hipError_tT0_T1_T2_jT3_P12ihipStream_tbPNSt15iterator_traitsISE_E10value_typeEPNSK_ISF_E10value_typeEPSG_NS1_7vsmem_tEENKUlT_SE_SF_SG_E_clIS8_S8_S9_S9_EESD_ST_SE_SF_SG_EUlST_E0_NS1_11comp_targetILNS1_3genE3ELNS1_11target_archE908ELNS1_3gpuE7ELNS1_3repE0EEENS1_38merge_mergepath_config_static_selectorELNS0_4arch9wavefront6targetE1EEEvSF_,@function
_ZN7rocprim17ROCPRIM_400000_NS6detail17trampoline_kernelINS0_14default_configENS1_38merge_sort_block_merge_config_selectorIsNS0_10empty_typeEEEZZNS1_27merge_sort_block_merge_implIS3_PsPS5_jNS1_19radix_merge_compareILb1ELb0EsNS0_19identity_decomposerEEEEE10hipError_tT0_T1_T2_jT3_P12ihipStream_tbPNSt15iterator_traitsISE_E10value_typeEPNSK_ISF_E10value_typeEPSG_NS1_7vsmem_tEENKUlT_SE_SF_SG_E_clIS8_S8_S9_S9_EESD_ST_SE_SF_SG_EUlST_E0_NS1_11comp_targetILNS1_3genE3ELNS1_11target_archE908ELNS1_3gpuE7ELNS1_3repE0EEENS1_38merge_mergepath_config_static_selectorELNS0_4arch9wavefront6targetE1EEEvSF_: ; @_ZN7rocprim17ROCPRIM_400000_NS6detail17trampoline_kernelINS0_14default_configENS1_38merge_sort_block_merge_config_selectorIsNS0_10empty_typeEEEZZNS1_27merge_sort_block_merge_implIS3_PsPS5_jNS1_19radix_merge_compareILb1ELb0EsNS0_19identity_decomposerEEEEE10hipError_tT0_T1_T2_jT3_P12ihipStream_tbPNSt15iterator_traitsISE_E10value_typeEPNSK_ISF_E10value_typeEPSG_NS1_7vsmem_tEENKUlT_SE_SF_SG_E_clIS8_S8_S9_S9_EESD_ST_SE_SF_SG_EUlST_E0_NS1_11comp_targetILNS1_3genE3ELNS1_11target_archE908ELNS1_3gpuE7ELNS1_3repE0EEENS1_38merge_mergepath_config_static_selectorELNS0_4arch9wavefront6targetE1EEEvSF_
; %bb.0:
	.section	.rodata,"a",@progbits
	.p2align	6, 0x0
	.amdhsa_kernel _ZN7rocprim17ROCPRIM_400000_NS6detail17trampoline_kernelINS0_14default_configENS1_38merge_sort_block_merge_config_selectorIsNS0_10empty_typeEEEZZNS1_27merge_sort_block_merge_implIS3_PsPS5_jNS1_19radix_merge_compareILb1ELb0EsNS0_19identity_decomposerEEEEE10hipError_tT0_T1_T2_jT3_P12ihipStream_tbPNSt15iterator_traitsISE_E10value_typeEPNSK_ISF_E10value_typeEPSG_NS1_7vsmem_tEENKUlT_SE_SF_SG_E_clIS8_S8_S9_S9_EESD_ST_SE_SF_SG_EUlST_E0_NS1_11comp_targetILNS1_3genE3ELNS1_11target_archE908ELNS1_3gpuE7ELNS1_3repE0EEENS1_38merge_mergepath_config_static_selectorELNS0_4arch9wavefront6targetE1EEEvSF_
		.amdhsa_group_segment_fixed_size 0
		.amdhsa_private_segment_fixed_size 0
		.amdhsa_kernarg_size 64
		.amdhsa_user_sgpr_count 6
		.amdhsa_user_sgpr_private_segment_buffer 1
		.amdhsa_user_sgpr_dispatch_ptr 0
		.amdhsa_user_sgpr_queue_ptr 0
		.amdhsa_user_sgpr_kernarg_segment_ptr 1
		.amdhsa_user_sgpr_dispatch_id 0
		.amdhsa_user_sgpr_flat_scratch_init 0
		.amdhsa_user_sgpr_kernarg_preload_length 0
		.amdhsa_user_sgpr_kernarg_preload_offset 0
		.amdhsa_user_sgpr_private_segment_size 0
		.amdhsa_uses_dynamic_stack 0
		.amdhsa_system_sgpr_private_segment_wavefront_offset 0
		.amdhsa_system_sgpr_workgroup_id_x 1
		.amdhsa_system_sgpr_workgroup_id_y 0
		.amdhsa_system_sgpr_workgroup_id_z 0
		.amdhsa_system_sgpr_workgroup_info 0
		.amdhsa_system_vgpr_workitem_id 0
		.amdhsa_next_free_vgpr 1
		.amdhsa_next_free_sgpr 0
		.amdhsa_accum_offset 4
		.amdhsa_reserve_vcc 0
		.amdhsa_reserve_flat_scratch 0
		.amdhsa_float_round_mode_32 0
		.amdhsa_float_round_mode_16_64 0
		.amdhsa_float_denorm_mode_32 3
		.amdhsa_float_denorm_mode_16_64 3
		.amdhsa_dx10_clamp 1
		.amdhsa_ieee_mode 1
		.amdhsa_fp16_overflow 0
		.amdhsa_tg_split 0
		.amdhsa_exception_fp_ieee_invalid_op 0
		.amdhsa_exception_fp_denorm_src 0
		.amdhsa_exception_fp_ieee_div_zero 0
		.amdhsa_exception_fp_ieee_overflow 0
		.amdhsa_exception_fp_ieee_underflow 0
		.amdhsa_exception_fp_ieee_inexact 0
		.amdhsa_exception_int_div_zero 0
	.end_amdhsa_kernel
	.section	.text._ZN7rocprim17ROCPRIM_400000_NS6detail17trampoline_kernelINS0_14default_configENS1_38merge_sort_block_merge_config_selectorIsNS0_10empty_typeEEEZZNS1_27merge_sort_block_merge_implIS3_PsPS5_jNS1_19radix_merge_compareILb1ELb0EsNS0_19identity_decomposerEEEEE10hipError_tT0_T1_T2_jT3_P12ihipStream_tbPNSt15iterator_traitsISE_E10value_typeEPNSK_ISF_E10value_typeEPSG_NS1_7vsmem_tEENKUlT_SE_SF_SG_E_clIS8_S8_S9_S9_EESD_ST_SE_SF_SG_EUlST_E0_NS1_11comp_targetILNS1_3genE3ELNS1_11target_archE908ELNS1_3gpuE7ELNS1_3repE0EEENS1_38merge_mergepath_config_static_selectorELNS0_4arch9wavefront6targetE1EEEvSF_,"axG",@progbits,_ZN7rocprim17ROCPRIM_400000_NS6detail17trampoline_kernelINS0_14default_configENS1_38merge_sort_block_merge_config_selectorIsNS0_10empty_typeEEEZZNS1_27merge_sort_block_merge_implIS3_PsPS5_jNS1_19radix_merge_compareILb1ELb0EsNS0_19identity_decomposerEEEEE10hipError_tT0_T1_T2_jT3_P12ihipStream_tbPNSt15iterator_traitsISE_E10value_typeEPNSK_ISF_E10value_typeEPSG_NS1_7vsmem_tEENKUlT_SE_SF_SG_E_clIS8_S8_S9_S9_EESD_ST_SE_SF_SG_EUlST_E0_NS1_11comp_targetILNS1_3genE3ELNS1_11target_archE908ELNS1_3gpuE7ELNS1_3repE0EEENS1_38merge_mergepath_config_static_selectorELNS0_4arch9wavefront6targetE1EEEvSF_,comdat
.Lfunc_end1772:
	.size	_ZN7rocprim17ROCPRIM_400000_NS6detail17trampoline_kernelINS0_14default_configENS1_38merge_sort_block_merge_config_selectorIsNS0_10empty_typeEEEZZNS1_27merge_sort_block_merge_implIS3_PsPS5_jNS1_19radix_merge_compareILb1ELb0EsNS0_19identity_decomposerEEEEE10hipError_tT0_T1_T2_jT3_P12ihipStream_tbPNSt15iterator_traitsISE_E10value_typeEPNSK_ISF_E10value_typeEPSG_NS1_7vsmem_tEENKUlT_SE_SF_SG_E_clIS8_S8_S9_S9_EESD_ST_SE_SF_SG_EUlST_E0_NS1_11comp_targetILNS1_3genE3ELNS1_11target_archE908ELNS1_3gpuE7ELNS1_3repE0EEENS1_38merge_mergepath_config_static_selectorELNS0_4arch9wavefront6targetE1EEEvSF_, .Lfunc_end1772-_ZN7rocprim17ROCPRIM_400000_NS6detail17trampoline_kernelINS0_14default_configENS1_38merge_sort_block_merge_config_selectorIsNS0_10empty_typeEEEZZNS1_27merge_sort_block_merge_implIS3_PsPS5_jNS1_19radix_merge_compareILb1ELb0EsNS0_19identity_decomposerEEEEE10hipError_tT0_T1_T2_jT3_P12ihipStream_tbPNSt15iterator_traitsISE_E10value_typeEPNSK_ISF_E10value_typeEPSG_NS1_7vsmem_tEENKUlT_SE_SF_SG_E_clIS8_S8_S9_S9_EESD_ST_SE_SF_SG_EUlST_E0_NS1_11comp_targetILNS1_3genE3ELNS1_11target_archE908ELNS1_3gpuE7ELNS1_3repE0EEENS1_38merge_mergepath_config_static_selectorELNS0_4arch9wavefront6targetE1EEEvSF_
                                        ; -- End function
	.section	.AMDGPU.csdata,"",@progbits
; Kernel info:
; codeLenInByte = 0
; NumSgprs: 4
; NumVgprs: 0
; NumAgprs: 0
; TotalNumVgprs: 0
; ScratchSize: 0
; MemoryBound: 0
; FloatMode: 240
; IeeeMode: 1
; LDSByteSize: 0 bytes/workgroup (compile time only)
; SGPRBlocks: 0
; VGPRBlocks: 0
; NumSGPRsForWavesPerEU: 4
; NumVGPRsForWavesPerEU: 1
; AccumOffset: 4
; Occupancy: 8
; WaveLimiterHint : 0
; COMPUTE_PGM_RSRC2:SCRATCH_EN: 0
; COMPUTE_PGM_RSRC2:USER_SGPR: 6
; COMPUTE_PGM_RSRC2:TRAP_HANDLER: 0
; COMPUTE_PGM_RSRC2:TGID_X_EN: 1
; COMPUTE_PGM_RSRC2:TGID_Y_EN: 0
; COMPUTE_PGM_RSRC2:TGID_Z_EN: 0
; COMPUTE_PGM_RSRC2:TIDIG_COMP_CNT: 0
; COMPUTE_PGM_RSRC3_GFX90A:ACCUM_OFFSET: 0
; COMPUTE_PGM_RSRC3_GFX90A:TG_SPLIT: 0
	.section	.text._ZN7rocprim17ROCPRIM_400000_NS6detail17trampoline_kernelINS0_14default_configENS1_38merge_sort_block_merge_config_selectorIsNS0_10empty_typeEEEZZNS1_27merge_sort_block_merge_implIS3_PsPS5_jNS1_19radix_merge_compareILb1ELb0EsNS0_19identity_decomposerEEEEE10hipError_tT0_T1_T2_jT3_P12ihipStream_tbPNSt15iterator_traitsISE_E10value_typeEPNSK_ISF_E10value_typeEPSG_NS1_7vsmem_tEENKUlT_SE_SF_SG_E_clIS8_S8_S9_S9_EESD_ST_SE_SF_SG_EUlST_E0_NS1_11comp_targetILNS1_3genE2ELNS1_11target_archE906ELNS1_3gpuE6ELNS1_3repE0EEENS1_38merge_mergepath_config_static_selectorELNS0_4arch9wavefront6targetE1EEEvSF_,"axG",@progbits,_ZN7rocprim17ROCPRIM_400000_NS6detail17trampoline_kernelINS0_14default_configENS1_38merge_sort_block_merge_config_selectorIsNS0_10empty_typeEEEZZNS1_27merge_sort_block_merge_implIS3_PsPS5_jNS1_19radix_merge_compareILb1ELb0EsNS0_19identity_decomposerEEEEE10hipError_tT0_T1_T2_jT3_P12ihipStream_tbPNSt15iterator_traitsISE_E10value_typeEPNSK_ISF_E10value_typeEPSG_NS1_7vsmem_tEENKUlT_SE_SF_SG_E_clIS8_S8_S9_S9_EESD_ST_SE_SF_SG_EUlST_E0_NS1_11comp_targetILNS1_3genE2ELNS1_11target_archE906ELNS1_3gpuE6ELNS1_3repE0EEENS1_38merge_mergepath_config_static_selectorELNS0_4arch9wavefront6targetE1EEEvSF_,comdat
	.protected	_ZN7rocprim17ROCPRIM_400000_NS6detail17trampoline_kernelINS0_14default_configENS1_38merge_sort_block_merge_config_selectorIsNS0_10empty_typeEEEZZNS1_27merge_sort_block_merge_implIS3_PsPS5_jNS1_19radix_merge_compareILb1ELb0EsNS0_19identity_decomposerEEEEE10hipError_tT0_T1_T2_jT3_P12ihipStream_tbPNSt15iterator_traitsISE_E10value_typeEPNSK_ISF_E10value_typeEPSG_NS1_7vsmem_tEENKUlT_SE_SF_SG_E_clIS8_S8_S9_S9_EESD_ST_SE_SF_SG_EUlST_E0_NS1_11comp_targetILNS1_3genE2ELNS1_11target_archE906ELNS1_3gpuE6ELNS1_3repE0EEENS1_38merge_mergepath_config_static_selectorELNS0_4arch9wavefront6targetE1EEEvSF_ ; -- Begin function _ZN7rocprim17ROCPRIM_400000_NS6detail17trampoline_kernelINS0_14default_configENS1_38merge_sort_block_merge_config_selectorIsNS0_10empty_typeEEEZZNS1_27merge_sort_block_merge_implIS3_PsPS5_jNS1_19radix_merge_compareILb1ELb0EsNS0_19identity_decomposerEEEEE10hipError_tT0_T1_T2_jT3_P12ihipStream_tbPNSt15iterator_traitsISE_E10value_typeEPNSK_ISF_E10value_typeEPSG_NS1_7vsmem_tEENKUlT_SE_SF_SG_E_clIS8_S8_S9_S9_EESD_ST_SE_SF_SG_EUlST_E0_NS1_11comp_targetILNS1_3genE2ELNS1_11target_archE906ELNS1_3gpuE6ELNS1_3repE0EEENS1_38merge_mergepath_config_static_selectorELNS0_4arch9wavefront6targetE1EEEvSF_
	.globl	_ZN7rocprim17ROCPRIM_400000_NS6detail17trampoline_kernelINS0_14default_configENS1_38merge_sort_block_merge_config_selectorIsNS0_10empty_typeEEEZZNS1_27merge_sort_block_merge_implIS3_PsPS5_jNS1_19radix_merge_compareILb1ELb0EsNS0_19identity_decomposerEEEEE10hipError_tT0_T1_T2_jT3_P12ihipStream_tbPNSt15iterator_traitsISE_E10value_typeEPNSK_ISF_E10value_typeEPSG_NS1_7vsmem_tEENKUlT_SE_SF_SG_E_clIS8_S8_S9_S9_EESD_ST_SE_SF_SG_EUlST_E0_NS1_11comp_targetILNS1_3genE2ELNS1_11target_archE906ELNS1_3gpuE6ELNS1_3repE0EEENS1_38merge_mergepath_config_static_selectorELNS0_4arch9wavefront6targetE1EEEvSF_
	.p2align	8
	.type	_ZN7rocprim17ROCPRIM_400000_NS6detail17trampoline_kernelINS0_14default_configENS1_38merge_sort_block_merge_config_selectorIsNS0_10empty_typeEEEZZNS1_27merge_sort_block_merge_implIS3_PsPS5_jNS1_19radix_merge_compareILb1ELb0EsNS0_19identity_decomposerEEEEE10hipError_tT0_T1_T2_jT3_P12ihipStream_tbPNSt15iterator_traitsISE_E10value_typeEPNSK_ISF_E10value_typeEPSG_NS1_7vsmem_tEENKUlT_SE_SF_SG_E_clIS8_S8_S9_S9_EESD_ST_SE_SF_SG_EUlST_E0_NS1_11comp_targetILNS1_3genE2ELNS1_11target_archE906ELNS1_3gpuE6ELNS1_3repE0EEENS1_38merge_mergepath_config_static_selectorELNS0_4arch9wavefront6targetE1EEEvSF_,@function
_ZN7rocprim17ROCPRIM_400000_NS6detail17trampoline_kernelINS0_14default_configENS1_38merge_sort_block_merge_config_selectorIsNS0_10empty_typeEEEZZNS1_27merge_sort_block_merge_implIS3_PsPS5_jNS1_19radix_merge_compareILb1ELb0EsNS0_19identity_decomposerEEEEE10hipError_tT0_T1_T2_jT3_P12ihipStream_tbPNSt15iterator_traitsISE_E10value_typeEPNSK_ISF_E10value_typeEPSG_NS1_7vsmem_tEENKUlT_SE_SF_SG_E_clIS8_S8_S9_S9_EESD_ST_SE_SF_SG_EUlST_E0_NS1_11comp_targetILNS1_3genE2ELNS1_11target_archE906ELNS1_3gpuE6ELNS1_3repE0EEENS1_38merge_mergepath_config_static_selectorELNS0_4arch9wavefront6targetE1EEEvSF_: ; @_ZN7rocprim17ROCPRIM_400000_NS6detail17trampoline_kernelINS0_14default_configENS1_38merge_sort_block_merge_config_selectorIsNS0_10empty_typeEEEZZNS1_27merge_sort_block_merge_implIS3_PsPS5_jNS1_19radix_merge_compareILb1ELb0EsNS0_19identity_decomposerEEEEE10hipError_tT0_T1_T2_jT3_P12ihipStream_tbPNSt15iterator_traitsISE_E10value_typeEPNSK_ISF_E10value_typeEPSG_NS1_7vsmem_tEENKUlT_SE_SF_SG_E_clIS8_S8_S9_S9_EESD_ST_SE_SF_SG_EUlST_E0_NS1_11comp_targetILNS1_3genE2ELNS1_11target_archE906ELNS1_3gpuE6ELNS1_3repE0EEENS1_38merge_mergepath_config_static_selectorELNS0_4arch9wavefront6targetE1EEEvSF_
; %bb.0:
	.section	.rodata,"a",@progbits
	.p2align	6, 0x0
	.amdhsa_kernel _ZN7rocprim17ROCPRIM_400000_NS6detail17trampoline_kernelINS0_14default_configENS1_38merge_sort_block_merge_config_selectorIsNS0_10empty_typeEEEZZNS1_27merge_sort_block_merge_implIS3_PsPS5_jNS1_19radix_merge_compareILb1ELb0EsNS0_19identity_decomposerEEEEE10hipError_tT0_T1_T2_jT3_P12ihipStream_tbPNSt15iterator_traitsISE_E10value_typeEPNSK_ISF_E10value_typeEPSG_NS1_7vsmem_tEENKUlT_SE_SF_SG_E_clIS8_S8_S9_S9_EESD_ST_SE_SF_SG_EUlST_E0_NS1_11comp_targetILNS1_3genE2ELNS1_11target_archE906ELNS1_3gpuE6ELNS1_3repE0EEENS1_38merge_mergepath_config_static_selectorELNS0_4arch9wavefront6targetE1EEEvSF_
		.amdhsa_group_segment_fixed_size 0
		.amdhsa_private_segment_fixed_size 0
		.amdhsa_kernarg_size 64
		.amdhsa_user_sgpr_count 6
		.amdhsa_user_sgpr_private_segment_buffer 1
		.amdhsa_user_sgpr_dispatch_ptr 0
		.amdhsa_user_sgpr_queue_ptr 0
		.amdhsa_user_sgpr_kernarg_segment_ptr 1
		.amdhsa_user_sgpr_dispatch_id 0
		.amdhsa_user_sgpr_flat_scratch_init 0
		.amdhsa_user_sgpr_kernarg_preload_length 0
		.amdhsa_user_sgpr_kernarg_preload_offset 0
		.amdhsa_user_sgpr_private_segment_size 0
		.amdhsa_uses_dynamic_stack 0
		.amdhsa_system_sgpr_private_segment_wavefront_offset 0
		.amdhsa_system_sgpr_workgroup_id_x 1
		.amdhsa_system_sgpr_workgroup_id_y 0
		.amdhsa_system_sgpr_workgroup_id_z 0
		.amdhsa_system_sgpr_workgroup_info 0
		.amdhsa_system_vgpr_workitem_id 0
		.amdhsa_next_free_vgpr 1
		.amdhsa_next_free_sgpr 0
		.amdhsa_accum_offset 4
		.amdhsa_reserve_vcc 0
		.amdhsa_reserve_flat_scratch 0
		.amdhsa_float_round_mode_32 0
		.amdhsa_float_round_mode_16_64 0
		.amdhsa_float_denorm_mode_32 3
		.amdhsa_float_denorm_mode_16_64 3
		.amdhsa_dx10_clamp 1
		.amdhsa_ieee_mode 1
		.amdhsa_fp16_overflow 0
		.amdhsa_tg_split 0
		.amdhsa_exception_fp_ieee_invalid_op 0
		.amdhsa_exception_fp_denorm_src 0
		.amdhsa_exception_fp_ieee_div_zero 0
		.amdhsa_exception_fp_ieee_overflow 0
		.amdhsa_exception_fp_ieee_underflow 0
		.amdhsa_exception_fp_ieee_inexact 0
		.amdhsa_exception_int_div_zero 0
	.end_amdhsa_kernel
	.section	.text._ZN7rocprim17ROCPRIM_400000_NS6detail17trampoline_kernelINS0_14default_configENS1_38merge_sort_block_merge_config_selectorIsNS0_10empty_typeEEEZZNS1_27merge_sort_block_merge_implIS3_PsPS5_jNS1_19radix_merge_compareILb1ELb0EsNS0_19identity_decomposerEEEEE10hipError_tT0_T1_T2_jT3_P12ihipStream_tbPNSt15iterator_traitsISE_E10value_typeEPNSK_ISF_E10value_typeEPSG_NS1_7vsmem_tEENKUlT_SE_SF_SG_E_clIS8_S8_S9_S9_EESD_ST_SE_SF_SG_EUlST_E0_NS1_11comp_targetILNS1_3genE2ELNS1_11target_archE906ELNS1_3gpuE6ELNS1_3repE0EEENS1_38merge_mergepath_config_static_selectorELNS0_4arch9wavefront6targetE1EEEvSF_,"axG",@progbits,_ZN7rocprim17ROCPRIM_400000_NS6detail17trampoline_kernelINS0_14default_configENS1_38merge_sort_block_merge_config_selectorIsNS0_10empty_typeEEEZZNS1_27merge_sort_block_merge_implIS3_PsPS5_jNS1_19radix_merge_compareILb1ELb0EsNS0_19identity_decomposerEEEEE10hipError_tT0_T1_T2_jT3_P12ihipStream_tbPNSt15iterator_traitsISE_E10value_typeEPNSK_ISF_E10value_typeEPSG_NS1_7vsmem_tEENKUlT_SE_SF_SG_E_clIS8_S8_S9_S9_EESD_ST_SE_SF_SG_EUlST_E0_NS1_11comp_targetILNS1_3genE2ELNS1_11target_archE906ELNS1_3gpuE6ELNS1_3repE0EEENS1_38merge_mergepath_config_static_selectorELNS0_4arch9wavefront6targetE1EEEvSF_,comdat
.Lfunc_end1773:
	.size	_ZN7rocprim17ROCPRIM_400000_NS6detail17trampoline_kernelINS0_14default_configENS1_38merge_sort_block_merge_config_selectorIsNS0_10empty_typeEEEZZNS1_27merge_sort_block_merge_implIS3_PsPS5_jNS1_19radix_merge_compareILb1ELb0EsNS0_19identity_decomposerEEEEE10hipError_tT0_T1_T2_jT3_P12ihipStream_tbPNSt15iterator_traitsISE_E10value_typeEPNSK_ISF_E10value_typeEPSG_NS1_7vsmem_tEENKUlT_SE_SF_SG_E_clIS8_S8_S9_S9_EESD_ST_SE_SF_SG_EUlST_E0_NS1_11comp_targetILNS1_3genE2ELNS1_11target_archE906ELNS1_3gpuE6ELNS1_3repE0EEENS1_38merge_mergepath_config_static_selectorELNS0_4arch9wavefront6targetE1EEEvSF_, .Lfunc_end1773-_ZN7rocprim17ROCPRIM_400000_NS6detail17trampoline_kernelINS0_14default_configENS1_38merge_sort_block_merge_config_selectorIsNS0_10empty_typeEEEZZNS1_27merge_sort_block_merge_implIS3_PsPS5_jNS1_19radix_merge_compareILb1ELb0EsNS0_19identity_decomposerEEEEE10hipError_tT0_T1_T2_jT3_P12ihipStream_tbPNSt15iterator_traitsISE_E10value_typeEPNSK_ISF_E10value_typeEPSG_NS1_7vsmem_tEENKUlT_SE_SF_SG_E_clIS8_S8_S9_S9_EESD_ST_SE_SF_SG_EUlST_E0_NS1_11comp_targetILNS1_3genE2ELNS1_11target_archE906ELNS1_3gpuE6ELNS1_3repE0EEENS1_38merge_mergepath_config_static_selectorELNS0_4arch9wavefront6targetE1EEEvSF_
                                        ; -- End function
	.section	.AMDGPU.csdata,"",@progbits
; Kernel info:
; codeLenInByte = 0
; NumSgprs: 4
; NumVgprs: 0
; NumAgprs: 0
; TotalNumVgprs: 0
; ScratchSize: 0
; MemoryBound: 0
; FloatMode: 240
; IeeeMode: 1
; LDSByteSize: 0 bytes/workgroup (compile time only)
; SGPRBlocks: 0
; VGPRBlocks: 0
; NumSGPRsForWavesPerEU: 4
; NumVGPRsForWavesPerEU: 1
; AccumOffset: 4
; Occupancy: 8
; WaveLimiterHint : 0
; COMPUTE_PGM_RSRC2:SCRATCH_EN: 0
; COMPUTE_PGM_RSRC2:USER_SGPR: 6
; COMPUTE_PGM_RSRC2:TRAP_HANDLER: 0
; COMPUTE_PGM_RSRC2:TGID_X_EN: 1
; COMPUTE_PGM_RSRC2:TGID_Y_EN: 0
; COMPUTE_PGM_RSRC2:TGID_Z_EN: 0
; COMPUTE_PGM_RSRC2:TIDIG_COMP_CNT: 0
; COMPUTE_PGM_RSRC3_GFX90A:ACCUM_OFFSET: 0
; COMPUTE_PGM_RSRC3_GFX90A:TG_SPLIT: 0
	.section	.text._ZN7rocprim17ROCPRIM_400000_NS6detail17trampoline_kernelINS0_14default_configENS1_38merge_sort_block_merge_config_selectorIsNS0_10empty_typeEEEZZNS1_27merge_sort_block_merge_implIS3_PsPS5_jNS1_19radix_merge_compareILb1ELb0EsNS0_19identity_decomposerEEEEE10hipError_tT0_T1_T2_jT3_P12ihipStream_tbPNSt15iterator_traitsISE_E10value_typeEPNSK_ISF_E10value_typeEPSG_NS1_7vsmem_tEENKUlT_SE_SF_SG_E_clIS8_S8_S9_S9_EESD_ST_SE_SF_SG_EUlST_E0_NS1_11comp_targetILNS1_3genE9ELNS1_11target_archE1100ELNS1_3gpuE3ELNS1_3repE0EEENS1_38merge_mergepath_config_static_selectorELNS0_4arch9wavefront6targetE1EEEvSF_,"axG",@progbits,_ZN7rocprim17ROCPRIM_400000_NS6detail17trampoline_kernelINS0_14default_configENS1_38merge_sort_block_merge_config_selectorIsNS0_10empty_typeEEEZZNS1_27merge_sort_block_merge_implIS3_PsPS5_jNS1_19radix_merge_compareILb1ELb0EsNS0_19identity_decomposerEEEEE10hipError_tT0_T1_T2_jT3_P12ihipStream_tbPNSt15iterator_traitsISE_E10value_typeEPNSK_ISF_E10value_typeEPSG_NS1_7vsmem_tEENKUlT_SE_SF_SG_E_clIS8_S8_S9_S9_EESD_ST_SE_SF_SG_EUlST_E0_NS1_11comp_targetILNS1_3genE9ELNS1_11target_archE1100ELNS1_3gpuE3ELNS1_3repE0EEENS1_38merge_mergepath_config_static_selectorELNS0_4arch9wavefront6targetE1EEEvSF_,comdat
	.protected	_ZN7rocprim17ROCPRIM_400000_NS6detail17trampoline_kernelINS0_14default_configENS1_38merge_sort_block_merge_config_selectorIsNS0_10empty_typeEEEZZNS1_27merge_sort_block_merge_implIS3_PsPS5_jNS1_19radix_merge_compareILb1ELb0EsNS0_19identity_decomposerEEEEE10hipError_tT0_T1_T2_jT3_P12ihipStream_tbPNSt15iterator_traitsISE_E10value_typeEPNSK_ISF_E10value_typeEPSG_NS1_7vsmem_tEENKUlT_SE_SF_SG_E_clIS8_S8_S9_S9_EESD_ST_SE_SF_SG_EUlST_E0_NS1_11comp_targetILNS1_3genE9ELNS1_11target_archE1100ELNS1_3gpuE3ELNS1_3repE0EEENS1_38merge_mergepath_config_static_selectorELNS0_4arch9wavefront6targetE1EEEvSF_ ; -- Begin function _ZN7rocprim17ROCPRIM_400000_NS6detail17trampoline_kernelINS0_14default_configENS1_38merge_sort_block_merge_config_selectorIsNS0_10empty_typeEEEZZNS1_27merge_sort_block_merge_implIS3_PsPS5_jNS1_19radix_merge_compareILb1ELb0EsNS0_19identity_decomposerEEEEE10hipError_tT0_T1_T2_jT3_P12ihipStream_tbPNSt15iterator_traitsISE_E10value_typeEPNSK_ISF_E10value_typeEPSG_NS1_7vsmem_tEENKUlT_SE_SF_SG_E_clIS8_S8_S9_S9_EESD_ST_SE_SF_SG_EUlST_E0_NS1_11comp_targetILNS1_3genE9ELNS1_11target_archE1100ELNS1_3gpuE3ELNS1_3repE0EEENS1_38merge_mergepath_config_static_selectorELNS0_4arch9wavefront6targetE1EEEvSF_
	.globl	_ZN7rocprim17ROCPRIM_400000_NS6detail17trampoline_kernelINS0_14default_configENS1_38merge_sort_block_merge_config_selectorIsNS0_10empty_typeEEEZZNS1_27merge_sort_block_merge_implIS3_PsPS5_jNS1_19radix_merge_compareILb1ELb0EsNS0_19identity_decomposerEEEEE10hipError_tT0_T1_T2_jT3_P12ihipStream_tbPNSt15iterator_traitsISE_E10value_typeEPNSK_ISF_E10value_typeEPSG_NS1_7vsmem_tEENKUlT_SE_SF_SG_E_clIS8_S8_S9_S9_EESD_ST_SE_SF_SG_EUlST_E0_NS1_11comp_targetILNS1_3genE9ELNS1_11target_archE1100ELNS1_3gpuE3ELNS1_3repE0EEENS1_38merge_mergepath_config_static_selectorELNS0_4arch9wavefront6targetE1EEEvSF_
	.p2align	8
	.type	_ZN7rocprim17ROCPRIM_400000_NS6detail17trampoline_kernelINS0_14default_configENS1_38merge_sort_block_merge_config_selectorIsNS0_10empty_typeEEEZZNS1_27merge_sort_block_merge_implIS3_PsPS5_jNS1_19radix_merge_compareILb1ELb0EsNS0_19identity_decomposerEEEEE10hipError_tT0_T1_T2_jT3_P12ihipStream_tbPNSt15iterator_traitsISE_E10value_typeEPNSK_ISF_E10value_typeEPSG_NS1_7vsmem_tEENKUlT_SE_SF_SG_E_clIS8_S8_S9_S9_EESD_ST_SE_SF_SG_EUlST_E0_NS1_11comp_targetILNS1_3genE9ELNS1_11target_archE1100ELNS1_3gpuE3ELNS1_3repE0EEENS1_38merge_mergepath_config_static_selectorELNS0_4arch9wavefront6targetE1EEEvSF_,@function
_ZN7rocprim17ROCPRIM_400000_NS6detail17trampoline_kernelINS0_14default_configENS1_38merge_sort_block_merge_config_selectorIsNS0_10empty_typeEEEZZNS1_27merge_sort_block_merge_implIS3_PsPS5_jNS1_19radix_merge_compareILb1ELb0EsNS0_19identity_decomposerEEEEE10hipError_tT0_T1_T2_jT3_P12ihipStream_tbPNSt15iterator_traitsISE_E10value_typeEPNSK_ISF_E10value_typeEPSG_NS1_7vsmem_tEENKUlT_SE_SF_SG_E_clIS8_S8_S9_S9_EESD_ST_SE_SF_SG_EUlST_E0_NS1_11comp_targetILNS1_3genE9ELNS1_11target_archE1100ELNS1_3gpuE3ELNS1_3repE0EEENS1_38merge_mergepath_config_static_selectorELNS0_4arch9wavefront6targetE1EEEvSF_: ; @_ZN7rocprim17ROCPRIM_400000_NS6detail17trampoline_kernelINS0_14default_configENS1_38merge_sort_block_merge_config_selectorIsNS0_10empty_typeEEEZZNS1_27merge_sort_block_merge_implIS3_PsPS5_jNS1_19radix_merge_compareILb1ELb0EsNS0_19identity_decomposerEEEEE10hipError_tT0_T1_T2_jT3_P12ihipStream_tbPNSt15iterator_traitsISE_E10value_typeEPNSK_ISF_E10value_typeEPSG_NS1_7vsmem_tEENKUlT_SE_SF_SG_E_clIS8_S8_S9_S9_EESD_ST_SE_SF_SG_EUlST_E0_NS1_11comp_targetILNS1_3genE9ELNS1_11target_archE1100ELNS1_3gpuE3ELNS1_3repE0EEENS1_38merge_mergepath_config_static_selectorELNS0_4arch9wavefront6targetE1EEEvSF_
; %bb.0:
	.section	.rodata,"a",@progbits
	.p2align	6, 0x0
	.amdhsa_kernel _ZN7rocprim17ROCPRIM_400000_NS6detail17trampoline_kernelINS0_14default_configENS1_38merge_sort_block_merge_config_selectorIsNS0_10empty_typeEEEZZNS1_27merge_sort_block_merge_implIS3_PsPS5_jNS1_19radix_merge_compareILb1ELb0EsNS0_19identity_decomposerEEEEE10hipError_tT0_T1_T2_jT3_P12ihipStream_tbPNSt15iterator_traitsISE_E10value_typeEPNSK_ISF_E10value_typeEPSG_NS1_7vsmem_tEENKUlT_SE_SF_SG_E_clIS8_S8_S9_S9_EESD_ST_SE_SF_SG_EUlST_E0_NS1_11comp_targetILNS1_3genE9ELNS1_11target_archE1100ELNS1_3gpuE3ELNS1_3repE0EEENS1_38merge_mergepath_config_static_selectorELNS0_4arch9wavefront6targetE1EEEvSF_
		.amdhsa_group_segment_fixed_size 0
		.amdhsa_private_segment_fixed_size 0
		.amdhsa_kernarg_size 64
		.amdhsa_user_sgpr_count 6
		.amdhsa_user_sgpr_private_segment_buffer 1
		.amdhsa_user_sgpr_dispatch_ptr 0
		.amdhsa_user_sgpr_queue_ptr 0
		.amdhsa_user_sgpr_kernarg_segment_ptr 1
		.amdhsa_user_sgpr_dispatch_id 0
		.amdhsa_user_sgpr_flat_scratch_init 0
		.amdhsa_user_sgpr_kernarg_preload_length 0
		.amdhsa_user_sgpr_kernarg_preload_offset 0
		.amdhsa_user_sgpr_private_segment_size 0
		.amdhsa_uses_dynamic_stack 0
		.amdhsa_system_sgpr_private_segment_wavefront_offset 0
		.amdhsa_system_sgpr_workgroup_id_x 1
		.amdhsa_system_sgpr_workgroup_id_y 0
		.amdhsa_system_sgpr_workgroup_id_z 0
		.amdhsa_system_sgpr_workgroup_info 0
		.amdhsa_system_vgpr_workitem_id 0
		.amdhsa_next_free_vgpr 1
		.amdhsa_next_free_sgpr 0
		.amdhsa_accum_offset 4
		.amdhsa_reserve_vcc 0
		.amdhsa_reserve_flat_scratch 0
		.amdhsa_float_round_mode_32 0
		.amdhsa_float_round_mode_16_64 0
		.amdhsa_float_denorm_mode_32 3
		.amdhsa_float_denorm_mode_16_64 3
		.amdhsa_dx10_clamp 1
		.amdhsa_ieee_mode 1
		.amdhsa_fp16_overflow 0
		.amdhsa_tg_split 0
		.amdhsa_exception_fp_ieee_invalid_op 0
		.amdhsa_exception_fp_denorm_src 0
		.amdhsa_exception_fp_ieee_div_zero 0
		.amdhsa_exception_fp_ieee_overflow 0
		.amdhsa_exception_fp_ieee_underflow 0
		.amdhsa_exception_fp_ieee_inexact 0
		.amdhsa_exception_int_div_zero 0
	.end_amdhsa_kernel
	.section	.text._ZN7rocprim17ROCPRIM_400000_NS6detail17trampoline_kernelINS0_14default_configENS1_38merge_sort_block_merge_config_selectorIsNS0_10empty_typeEEEZZNS1_27merge_sort_block_merge_implIS3_PsPS5_jNS1_19radix_merge_compareILb1ELb0EsNS0_19identity_decomposerEEEEE10hipError_tT0_T1_T2_jT3_P12ihipStream_tbPNSt15iterator_traitsISE_E10value_typeEPNSK_ISF_E10value_typeEPSG_NS1_7vsmem_tEENKUlT_SE_SF_SG_E_clIS8_S8_S9_S9_EESD_ST_SE_SF_SG_EUlST_E0_NS1_11comp_targetILNS1_3genE9ELNS1_11target_archE1100ELNS1_3gpuE3ELNS1_3repE0EEENS1_38merge_mergepath_config_static_selectorELNS0_4arch9wavefront6targetE1EEEvSF_,"axG",@progbits,_ZN7rocprim17ROCPRIM_400000_NS6detail17trampoline_kernelINS0_14default_configENS1_38merge_sort_block_merge_config_selectorIsNS0_10empty_typeEEEZZNS1_27merge_sort_block_merge_implIS3_PsPS5_jNS1_19radix_merge_compareILb1ELb0EsNS0_19identity_decomposerEEEEE10hipError_tT0_T1_T2_jT3_P12ihipStream_tbPNSt15iterator_traitsISE_E10value_typeEPNSK_ISF_E10value_typeEPSG_NS1_7vsmem_tEENKUlT_SE_SF_SG_E_clIS8_S8_S9_S9_EESD_ST_SE_SF_SG_EUlST_E0_NS1_11comp_targetILNS1_3genE9ELNS1_11target_archE1100ELNS1_3gpuE3ELNS1_3repE0EEENS1_38merge_mergepath_config_static_selectorELNS0_4arch9wavefront6targetE1EEEvSF_,comdat
.Lfunc_end1774:
	.size	_ZN7rocprim17ROCPRIM_400000_NS6detail17trampoline_kernelINS0_14default_configENS1_38merge_sort_block_merge_config_selectorIsNS0_10empty_typeEEEZZNS1_27merge_sort_block_merge_implIS3_PsPS5_jNS1_19radix_merge_compareILb1ELb0EsNS0_19identity_decomposerEEEEE10hipError_tT0_T1_T2_jT3_P12ihipStream_tbPNSt15iterator_traitsISE_E10value_typeEPNSK_ISF_E10value_typeEPSG_NS1_7vsmem_tEENKUlT_SE_SF_SG_E_clIS8_S8_S9_S9_EESD_ST_SE_SF_SG_EUlST_E0_NS1_11comp_targetILNS1_3genE9ELNS1_11target_archE1100ELNS1_3gpuE3ELNS1_3repE0EEENS1_38merge_mergepath_config_static_selectorELNS0_4arch9wavefront6targetE1EEEvSF_, .Lfunc_end1774-_ZN7rocprim17ROCPRIM_400000_NS6detail17trampoline_kernelINS0_14default_configENS1_38merge_sort_block_merge_config_selectorIsNS0_10empty_typeEEEZZNS1_27merge_sort_block_merge_implIS3_PsPS5_jNS1_19radix_merge_compareILb1ELb0EsNS0_19identity_decomposerEEEEE10hipError_tT0_T1_T2_jT3_P12ihipStream_tbPNSt15iterator_traitsISE_E10value_typeEPNSK_ISF_E10value_typeEPSG_NS1_7vsmem_tEENKUlT_SE_SF_SG_E_clIS8_S8_S9_S9_EESD_ST_SE_SF_SG_EUlST_E0_NS1_11comp_targetILNS1_3genE9ELNS1_11target_archE1100ELNS1_3gpuE3ELNS1_3repE0EEENS1_38merge_mergepath_config_static_selectorELNS0_4arch9wavefront6targetE1EEEvSF_
                                        ; -- End function
	.section	.AMDGPU.csdata,"",@progbits
; Kernel info:
; codeLenInByte = 0
; NumSgprs: 4
; NumVgprs: 0
; NumAgprs: 0
; TotalNumVgprs: 0
; ScratchSize: 0
; MemoryBound: 0
; FloatMode: 240
; IeeeMode: 1
; LDSByteSize: 0 bytes/workgroup (compile time only)
; SGPRBlocks: 0
; VGPRBlocks: 0
; NumSGPRsForWavesPerEU: 4
; NumVGPRsForWavesPerEU: 1
; AccumOffset: 4
; Occupancy: 8
; WaveLimiterHint : 0
; COMPUTE_PGM_RSRC2:SCRATCH_EN: 0
; COMPUTE_PGM_RSRC2:USER_SGPR: 6
; COMPUTE_PGM_RSRC2:TRAP_HANDLER: 0
; COMPUTE_PGM_RSRC2:TGID_X_EN: 1
; COMPUTE_PGM_RSRC2:TGID_Y_EN: 0
; COMPUTE_PGM_RSRC2:TGID_Z_EN: 0
; COMPUTE_PGM_RSRC2:TIDIG_COMP_CNT: 0
; COMPUTE_PGM_RSRC3_GFX90A:ACCUM_OFFSET: 0
; COMPUTE_PGM_RSRC3_GFX90A:TG_SPLIT: 0
	.section	.text._ZN7rocprim17ROCPRIM_400000_NS6detail17trampoline_kernelINS0_14default_configENS1_38merge_sort_block_merge_config_selectorIsNS0_10empty_typeEEEZZNS1_27merge_sort_block_merge_implIS3_PsPS5_jNS1_19radix_merge_compareILb1ELb0EsNS0_19identity_decomposerEEEEE10hipError_tT0_T1_T2_jT3_P12ihipStream_tbPNSt15iterator_traitsISE_E10value_typeEPNSK_ISF_E10value_typeEPSG_NS1_7vsmem_tEENKUlT_SE_SF_SG_E_clIS8_S8_S9_S9_EESD_ST_SE_SF_SG_EUlST_E0_NS1_11comp_targetILNS1_3genE8ELNS1_11target_archE1030ELNS1_3gpuE2ELNS1_3repE0EEENS1_38merge_mergepath_config_static_selectorELNS0_4arch9wavefront6targetE1EEEvSF_,"axG",@progbits,_ZN7rocprim17ROCPRIM_400000_NS6detail17trampoline_kernelINS0_14default_configENS1_38merge_sort_block_merge_config_selectorIsNS0_10empty_typeEEEZZNS1_27merge_sort_block_merge_implIS3_PsPS5_jNS1_19radix_merge_compareILb1ELb0EsNS0_19identity_decomposerEEEEE10hipError_tT0_T1_T2_jT3_P12ihipStream_tbPNSt15iterator_traitsISE_E10value_typeEPNSK_ISF_E10value_typeEPSG_NS1_7vsmem_tEENKUlT_SE_SF_SG_E_clIS8_S8_S9_S9_EESD_ST_SE_SF_SG_EUlST_E0_NS1_11comp_targetILNS1_3genE8ELNS1_11target_archE1030ELNS1_3gpuE2ELNS1_3repE0EEENS1_38merge_mergepath_config_static_selectorELNS0_4arch9wavefront6targetE1EEEvSF_,comdat
	.protected	_ZN7rocprim17ROCPRIM_400000_NS6detail17trampoline_kernelINS0_14default_configENS1_38merge_sort_block_merge_config_selectorIsNS0_10empty_typeEEEZZNS1_27merge_sort_block_merge_implIS3_PsPS5_jNS1_19radix_merge_compareILb1ELb0EsNS0_19identity_decomposerEEEEE10hipError_tT0_T1_T2_jT3_P12ihipStream_tbPNSt15iterator_traitsISE_E10value_typeEPNSK_ISF_E10value_typeEPSG_NS1_7vsmem_tEENKUlT_SE_SF_SG_E_clIS8_S8_S9_S9_EESD_ST_SE_SF_SG_EUlST_E0_NS1_11comp_targetILNS1_3genE8ELNS1_11target_archE1030ELNS1_3gpuE2ELNS1_3repE0EEENS1_38merge_mergepath_config_static_selectorELNS0_4arch9wavefront6targetE1EEEvSF_ ; -- Begin function _ZN7rocprim17ROCPRIM_400000_NS6detail17trampoline_kernelINS0_14default_configENS1_38merge_sort_block_merge_config_selectorIsNS0_10empty_typeEEEZZNS1_27merge_sort_block_merge_implIS3_PsPS5_jNS1_19radix_merge_compareILb1ELb0EsNS0_19identity_decomposerEEEEE10hipError_tT0_T1_T2_jT3_P12ihipStream_tbPNSt15iterator_traitsISE_E10value_typeEPNSK_ISF_E10value_typeEPSG_NS1_7vsmem_tEENKUlT_SE_SF_SG_E_clIS8_S8_S9_S9_EESD_ST_SE_SF_SG_EUlST_E0_NS1_11comp_targetILNS1_3genE8ELNS1_11target_archE1030ELNS1_3gpuE2ELNS1_3repE0EEENS1_38merge_mergepath_config_static_selectorELNS0_4arch9wavefront6targetE1EEEvSF_
	.globl	_ZN7rocprim17ROCPRIM_400000_NS6detail17trampoline_kernelINS0_14default_configENS1_38merge_sort_block_merge_config_selectorIsNS0_10empty_typeEEEZZNS1_27merge_sort_block_merge_implIS3_PsPS5_jNS1_19radix_merge_compareILb1ELb0EsNS0_19identity_decomposerEEEEE10hipError_tT0_T1_T2_jT3_P12ihipStream_tbPNSt15iterator_traitsISE_E10value_typeEPNSK_ISF_E10value_typeEPSG_NS1_7vsmem_tEENKUlT_SE_SF_SG_E_clIS8_S8_S9_S9_EESD_ST_SE_SF_SG_EUlST_E0_NS1_11comp_targetILNS1_3genE8ELNS1_11target_archE1030ELNS1_3gpuE2ELNS1_3repE0EEENS1_38merge_mergepath_config_static_selectorELNS0_4arch9wavefront6targetE1EEEvSF_
	.p2align	8
	.type	_ZN7rocprim17ROCPRIM_400000_NS6detail17trampoline_kernelINS0_14default_configENS1_38merge_sort_block_merge_config_selectorIsNS0_10empty_typeEEEZZNS1_27merge_sort_block_merge_implIS3_PsPS5_jNS1_19radix_merge_compareILb1ELb0EsNS0_19identity_decomposerEEEEE10hipError_tT0_T1_T2_jT3_P12ihipStream_tbPNSt15iterator_traitsISE_E10value_typeEPNSK_ISF_E10value_typeEPSG_NS1_7vsmem_tEENKUlT_SE_SF_SG_E_clIS8_S8_S9_S9_EESD_ST_SE_SF_SG_EUlST_E0_NS1_11comp_targetILNS1_3genE8ELNS1_11target_archE1030ELNS1_3gpuE2ELNS1_3repE0EEENS1_38merge_mergepath_config_static_selectorELNS0_4arch9wavefront6targetE1EEEvSF_,@function
_ZN7rocprim17ROCPRIM_400000_NS6detail17trampoline_kernelINS0_14default_configENS1_38merge_sort_block_merge_config_selectorIsNS0_10empty_typeEEEZZNS1_27merge_sort_block_merge_implIS3_PsPS5_jNS1_19radix_merge_compareILb1ELb0EsNS0_19identity_decomposerEEEEE10hipError_tT0_T1_T2_jT3_P12ihipStream_tbPNSt15iterator_traitsISE_E10value_typeEPNSK_ISF_E10value_typeEPSG_NS1_7vsmem_tEENKUlT_SE_SF_SG_E_clIS8_S8_S9_S9_EESD_ST_SE_SF_SG_EUlST_E0_NS1_11comp_targetILNS1_3genE8ELNS1_11target_archE1030ELNS1_3gpuE2ELNS1_3repE0EEENS1_38merge_mergepath_config_static_selectorELNS0_4arch9wavefront6targetE1EEEvSF_: ; @_ZN7rocprim17ROCPRIM_400000_NS6detail17trampoline_kernelINS0_14default_configENS1_38merge_sort_block_merge_config_selectorIsNS0_10empty_typeEEEZZNS1_27merge_sort_block_merge_implIS3_PsPS5_jNS1_19radix_merge_compareILb1ELb0EsNS0_19identity_decomposerEEEEE10hipError_tT0_T1_T2_jT3_P12ihipStream_tbPNSt15iterator_traitsISE_E10value_typeEPNSK_ISF_E10value_typeEPSG_NS1_7vsmem_tEENKUlT_SE_SF_SG_E_clIS8_S8_S9_S9_EESD_ST_SE_SF_SG_EUlST_E0_NS1_11comp_targetILNS1_3genE8ELNS1_11target_archE1030ELNS1_3gpuE2ELNS1_3repE0EEENS1_38merge_mergepath_config_static_selectorELNS0_4arch9wavefront6targetE1EEEvSF_
; %bb.0:
	.section	.rodata,"a",@progbits
	.p2align	6, 0x0
	.amdhsa_kernel _ZN7rocprim17ROCPRIM_400000_NS6detail17trampoline_kernelINS0_14default_configENS1_38merge_sort_block_merge_config_selectorIsNS0_10empty_typeEEEZZNS1_27merge_sort_block_merge_implIS3_PsPS5_jNS1_19radix_merge_compareILb1ELb0EsNS0_19identity_decomposerEEEEE10hipError_tT0_T1_T2_jT3_P12ihipStream_tbPNSt15iterator_traitsISE_E10value_typeEPNSK_ISF_E10value_typeEPSG_NS1_7vsmem_tEENKUlT_SE_SF_SG_E_clIS8_S8_S9_S9_EESD_ST_SE_SF_SG_EUlST_E0_NS1_11comp_targetILNS1_3genE8ELNS1_11target_archE1030ELNS1_3gpuE2ELNS1_3repE0EEENS1_38merge_mergepath_config_static_selectorELNS0_4arch9wavefront6targetE1EEEvSF_
		.amdhsa_group_segment_fixed_size 0
		.amdhsa_private_segment_fixed_size 0
		.amdhsa_kernarg_size 64
		.amdhsa_user_sgpr_count 6
		.amdhsa_user_sgpr_private_segment_buffer 1
		.amdhsa_user_sgpr_dispatch_ptr 0
		.amdhsa_user_sgpr_queue_ptr 0
		.amdhsa_user_sgpr_kernarg_segment_ptr 1
		.amdhsa_user_sgpr_dispatch_id 0
		.amdhsa_user_sgpr_flat_scratch_init 0
		.amdhsa_user_sgpr_kernarg_preload_length 0
		.amdhsa_user_sgpr_kernarg_preload_offset 0
		.amdhsa_user_sgpr_private_segment_size 0
		.amdhsa_uses_dynamic_stack 0
		.amdhsa_system_sgpr_private_segment_wavefront_offset 0
		.amdhsa_system_sgpr_workgroup_id_x 1
		.amdhsa_system_sgpr_workgroup_id_y 0
		.amdhsa_system_sgpr_workgroup_id_z 0
		.amdhsa_system_sgpr_workgroup_info 0
		.amdhsa_system_vgpr_workitem_id 0
		.amdhsa_next_free_vgpr 1
		.amdhsa_next_free_sgpr 0
		.amdhsa_accum_offset 4
		.amdhsa_reserve_vcc 0
		.amdhsa_reserve_flat_scratch 0
		.amdhsa_float_round_mode_32 0
		.amdhsa_float_round_mode_16_64 0
		.amdhsa_float_denorm_mode_32 3
		.amdhsa_float_denorm_mode_16_64 3
		.amdhsa_dx10_clamp 1
		.amdhsa_ieee_mode 1
		.amdhsa_fp16_overflow 0
		.amdhsa_tg_split 0
		.amdhsa_exception_fp_ieee_invalid_op 0
		.amdhsa_exception_fp_denorm_src 0
		.amdhsa_exception_fp_ieee_div_zero 0
		.amdhsa_exception_fp_ieee_overflow 0
		.amdhsa_exception_fp_ieee_underflow 0
		.amdhsa_exception_fp_ieee_inexact 0
		.amdhsa_exception_int_div_zero 0
	.end_amdhsa_kernel
	.section	.text._ZN7rocprim17ROCPRIM_400000_NS6detail17trampoline_kernelINS0_14default_configENS1_38merge_sort_block_merge_config_selectorIsNS0_10empty_typeEEEZZNS1_27merge_sort_block_merge_implIS3_PsPS5_jNS1_19radix_merge_compareILb1ELb0EsNS0_19identity_decomposerEEEEE10hipError_tT0_T1_T2_jT3_P12ihipStream_tbPNSt15iterator_traitsISE_E10value_typeEPNSK_ISF_E10value_typeEPSG_NS1_7vsmem_tEENKUlT_SE_SF_SG_E_clIS8_S8_S9_S9_EESD_ST_SE_SF_SG_EUlST_E0_NS1_11comp_targetILNS1_3genE8ELNS1_11target_archE1030ELNS1_3gpuE2ELNS1_3repE0EEENS1_38merge_mergepath_config_static_selectorELNS0_4arch9wavefront6targetE1EEEvSF_,"axG",@progbits,_ZN7rocprim17ROCPRIM_400000_NS6detail17trampoline_kernelINS0_14default_configENS1_38merge_sort_block_merge_config_selectorIsNS0_10empty_typeEEEZZNS1_27merge_sort_block_merge_implIS3_PsPS5_jNS1_19radix_merge_compareILb1ELb0EsNS0_19identity_decomposerEEEEE10hipError_tT0_T1_T2_jT3_P12ihipStream_tbPNSt15iterator_traitsISE_E10value_typeEPNSK_ISF_E10value_typeEPSG_NS1_7vsmem_tEENKUlT_SE_SF_SG_E_clIS8_S8_S9_S9_EESD_ST_SE_SF_SG_EUlST_E0_NS1_11comp_targetILNS1_3genE8ELNS1_11target_archE1030ELNS1_3gpuE2ELNS1_3repE0EEENS1_38merge_mergepath_config_static_selectorELNS0_4arch9wavefront6targetE1EEEvSF_,comdat
.Lfunc_end1775:
	.size	_ZN7rocprim17ROCPRIM_400000_NS6detail17trampoline_kernelINS0_14default_configENS1_38merge_sort_block_merge_config_selectorIsNS0_10empty_typeEEEZZNS1_27merge_sort_block_merge_implIS3_PsPS5_jNS1_19radix_merge_compareILb1ELb0EsNS0_19identity_decomposerEEEEE10hipError_tT0_T1_T2_jT3_P12ihipStream_tbPNSt15iterator_traitsISE_E10value_typeEPNSK_ISF_E10value_typeEPSG_NS1_7vsmem_tEENKUlT_SE_SF_SG_E_clIS8_S8_S9_S9_EESD_ST_SE_SF_SG_EUlST_E0_NS1_11comp_targetILNS1_3genE8ELNS1_11target_archE1030ELNS1_3gpuE2ELNS1_3repE0EEENS1_38merge_mergepath_config_static_selectorELNS0_4arch9wavefront6targetE1EEEvSF_, .Lfunc_end1775-_ZN7rocprim17ROCPRIM_400000_NS6detail17trampoline_kernelINS0_14default_configENS1_38merge_sort_block_merge_config_selectorIsNS0_10empty_typeEEEZZNS1_27merge_sort_block_merge_implIS3_PsPS5_jNS1_19radix_merge_compareILb1ELb0EsNS0_19identity_decomposerEEEEE10hipError_tT0_T1_T2_jT3_P12ihipStream_tbPNSt15iterator_traitsISE_E10value_typeEPNSK_ISF_E10value_typeEPSG_NS1_7vsmem_tEENKUlT_SE_SF_SG_E_clIS8_S8_S9_S9_EESD_ST_SE_SF_SG_EUlST_E0_NS1_11comp_targetILNS1_3genE8ELNS1_11target_archE1030ELNS1_3gpuE2ELNS1_3repE0EEENS1_38merge_mergepath_config_static_selectorELNS0_4arch9wavefront6targetE1EEEvSF_
                                        ; -- End function
	.section	.AMDGPU.csdata,"",@progbits
; Kernel info:
; codeLenInByte = 0
; NumSgprs: 4
; NumVgprs: 0
; NumAgprs: 0
; TotalNumVgprs: 0
; ScratchSize: 0
; MemoryBound: 0
; FloatMode: 240
; IeeeMode: 1
; LDSByteSize: 0 bytes/workgroup (compile time only)
; SGPRBlocks: 0
; VGPRBlocks: 0
; NumSGPRsForWavesPerEU: 4
; NumVGPRsForWavesPerEU: 1
; AccumOffset: 4
; Occupancy: 8
; WaveLimiterHint : 0
; COMPUTE_PGM_RSRC2:SCRATCH_EN: 0
; COMPUTE_PGM_RSRC2:USER_SGPR: 6
; COMPUTE_PGM_RSRC2:TRAP_HANDLER: 0
; COMPUTE_PGM_RSRC2:TGID_X_EN: 1
; COMPUTE_PGM_RSRC2:TGID_Y_EN: 0
; COMPUTE_PGM_RSRC2:TGID_Z_EN: 0
; COMPUTE_PGM_RSRC2:TIDIG_COMP_CNT: 0
; COMPUTE_PGM_RSRC3_GFX90A:ACCUM_OFFSET: 0
; COMPUTE_PGM_RSRC3_GFX90A:TG_SPLIT: 0
	.section	.text._ZN7rocprim17ROCPRIM_400000_NS6detail17trampoline_kernelINS0_14default_configENS1_38merge_sort_block_merge_config_selectorIsNS0_10empty_typeEEEZZNS1_27merge_sort_block_merge_implIS3_PsPS5_jNS1_19radix_merge_compareILb1ELb0EsNS0_19identity_decomposerEEEEE10hipError_tT0_T1_T2_jT3_P12ihipStream_tbPNSt15iterator_traitsISE_E10value_typeEPNSK_ISF_E10value_typeEPSG_NS1_7vsmem_tEENKUlT_SE_SF_SG_E_clIS8_S8_S9_S9_EESD_ST_SE_SF_SG_EUlST_E1_NS1_11comp_targetILNS1_3genE0ELNS1_11target_archE4294967295ELNS1_3gpuE0ELNS1_3repE0EEENS1_36merge_oddeven_config_static_selectorELNS0_4arch9wavefront6targetE1EEEvSF_,"axG",@progbits,_ZN7rocprim17ROCPRIM_400000_NS6detail17trampoline_kernelINS0_14default_configENS1_38merge_sort_block_merge_config_selectorIsNS0_10empty_typeEEEZZNS1_27merge_sort_block_merge_implIS3_PsPS5_jNS1_19radix_merge_compareILb1ELb0EsNS0_19identity_decomposerEEEEE10hipError_tT0_T1_T2_jT3_P12ihipStream_tbPNSt15iterator_traitsISE_E10value_typeEPNSK_ISF_E10value_typeEPSG_NS1_7vsmem_tEENKUlT_SE_SF_SG_E_clIS8_S8_S9_S9_EESD_ST_SE_SF_SG_EUlST_E1_NS1_11comp_targetILNS1_3genE0ELNS1_11target_archE4294967295ELNS1_3gpuE0ELNS1_3repE0EEENS1_36merge_oddeven_config_static_selectorELNS0_4arch9wavefront6targetE1EEEvSF_,comdat
	.protected	_ZN7rocprim17ROCPRIM_400000_NS6detail17trampoline_kernelINS0_14default_configENS1_38merge_sort_block_merge_config_selectorIsNS0_10empty_typeEEEZZNS1_27merge_sort_block_merge_implIS3_PsPS5_jNS1_19radix_merge_compareILb1ELb0EsNS0_19identity_decomposerEEEEE10hipError_tT0_T1_T2_jT3_P12ihipStream_tbPNSt15iterator_traitsISE_E10value_typeEPNSK_ISF_E10value_typeEPSG_NS1_7vsmem_tEENKUlT_SE_SF_SG_E_clIS8_S8_S9_S9_EESD_ST_SE_SF_SG_EUlST_E1_NS1_11comp_targetILNS1_3genE0ELNS1_11target_archE4294967295ELNS1_3gpuE0ELNS1_3repE0EEENS1_36merge_oddeven_config_static_selectorELNS0_4arch9wavefront6targetE1EEEvSF_ ; -- Begin function _ZN7rocprim17ROCPRIM_400000_NS6detail17trampoline_kernelINS0_14default_configENS1_38merge_sort_block_merge_config_selectorIsNS0_10empty_typeEEEZZNS1_27merge_sort_block_merge_implIS3_PsPS5_jNS1_19radix_merge_compareILb1ELb0EsNS0_19identity_decomposerEEEEE10hipError_tT0_T1_T2_jT3_P12ihipStream_tbPNSt15iterator_traitsISE_E10value_typeEPNSK_ISF_E10value_typeEPSG_NS1_7vsmem_tEENKUlT_SE_SF_SG_E_clIS8_S8_S9_S9_EESD_ST_SE_SF_SG_EUlST_E1_NS1_11comp_targetILNS1_3genE0ELNS1_11target_archE4294967295ELNS1_3gpuE0ELNS1_3repE0EEENS1_36merge_oddeven_config_static_selectorELNS0_4arch9wavefront6targetE1EEEvSF_
	.globl	_ZN7rocprim17ROCPRIM_400000_NS6detail17trampoline_kernelINS0_14default_configENS1_38merge_sort_block_merge_config_selectorIsNS0_10empty_typeEEEZZNS1_27merge_sort_block_merge_implIS3_PsPS5_jNS1_19radix_merge_compareILb1ELb0EsNS0_19identity_decomposerEEEEE10hipError_tT0_T1_T2_jT3_P12ihipStream_tbPNSt15iterator_traitsISE_E10value_typeEPNSK_ISF_E10value_typeEPSG_NS1_7vsmem_tEENKUlT_SE_SF_SG_E_clIS8_S8_S9_S9_EESD_ST_SE_SF_SG_EUlST_E1_NS1_11comp_targetILNS1_3genE0ELNS1_11target_archE4294967295ELNS1_3gpuE0ELNS1_3repE0EEENS1_36merge_oddeven_config_static_selectorELNS0_4arch9wavefront6targetE1EEEvSF_
	.p2align	8
	.type	_ZN7rocprim17ROCPRIM_400000_NS6detail17trampoline_kernelINS0_14default_configENS1_38merge_sort_block_merge_config_selectorIsNS0_10empty_typeEEEZZNS1_27merge_sort_block_merge_implIS3_PsPS5_jNS1_19radix_merge_compareILb1ELb0EsNS0_19identity_decomposerEEEEE10hipError_tT0_T1_T2_jT3_P12ihipStream_tbPNSt15iterator_traitsISE_E10value_typeEPNSK_ISF_E10value_typeEPSG_NS1_7vsmem_tEENKUlT_SE_SF_SG_E_clIS8_S8_S9_S9_EESD_ST_SE_SF_SG_EUlST_E1_NS1_11comp_targetILNS1_3genE0ELNS1_11target_archE4294967295ELNS1_3gpuE0ELNS1_3repE0EEENS1_36merge_oddeven_config_static_selectorELNS0_4arch9wavefront6targetE1EEEvSF_,@function
_ZN7rocprim17ROCPRIM_400000_NS6detail17trampoline_kernelINS0_14default_configENS1_38merge_sort_block_merge_config_selectorIsNS0_10empty_typeEEEZZNS1_27merge_sort_block_merge_implIS3_PsPS5_jNS1_19radix_merge_compareILb1ELb0EsNS0_19identity_decomposerEEEEE10hipError_tT0_T1_T2_jT3_P12ihipStream_tbPNSt15iterator_traitsISE_E10value_typeEPNSK_ISF_E10value_typeEPSG_NS1_7vsmem_tEENKUlT_SE_SF_SG_E_clIS8_S8_S9_S9_EESD_ST_SE_SF_SG_EUlST_E1_NS1_11comp_targetILNS1_3genE0ELNS1_11target_archE4294967295ELNS1_3gpuE0ELNS1_3repE0EEENS1_36merge_oddeven_config_static_selectorELNS0_4arch9wavefront6targetE1EEEvSF_: ; @_ZN7rocprim17ROCPRIM_400000_NS6detail17trampoline_kernelINS0_14default_configENS1_38merge_sort_block_merge_config_selectorIsNS0_10empty_typeEEEZZNS1_27merge_sort_block_merge_implIS3_PsPS5_jNS1_19radix_merge_compareILb1ELb0EsNS0_19identity_decomposerEEEEE10hipError_tT0_T1_T2_jT3_P12ihipStream_tbPNSt15iterator_traitsISE_E10value_typeEPNSK_ISF_E10value_typeEPSG_NS1_7vsmem_tEENKUlT_SE_SF_SG_E_clIS8_S8_S9_S9_EESD_ST_SE_SF_SG_EUlST_E1_NS1_11comp_targetILNS1_3genE0ELNS1_11target_archE4294967295ELNS1_3gpuE0ELNS1_3repE0EEENS1_36merge_oddeven_config_static_selectorELNS0_4arch9wavefront6targetE1EEEvSF_
; %bb.0:
	.section	.rodata,"a",@progbits
	.p2align	6, 0x0
	.amdhsa_kernel _ZN7rocprim17ROCPRIM_400000_NS6detail17trampoline_kernelINS0_14default_configENS1_38merge_sort_block_merge_config_selectorIsNS0_10empty_typeEEEZZNS1_27merge_sort_block_merge_implIS3_PsPS5_jNS1_19radix_merge_compareILb1ELb0EsNS0_19identity_decomposerEEEEE10hipError_tT0_T1_T2_jT3_P12ihipStream_tbPNSt15iterator_traitsISE_E10value_typeEPNSK_ISF_E10value_typeEPSG_NS1_7vsmem_tEENKUlT_SE_SF_SG_E_clIS8_S8_S9_S9_EESD_ST_SE_SF_SG_EUlST_E1_NS1_11comp_targetILNS1_3genE0ELNS1_11target_archE4294967295ELNS1_3gpuE0ELNS1_3repE0EEENS1_36merge_oddeven_config_static_selectorELNS0_4arch9wavefront6targetE1EEEvSF_
		.amdhsa_group_segment_fixed_size 0
		.amdhsa_private_segment_fixed_size 0
		.amdhsa_kernarg_size 48
		.amdhsa_user_sgpr_count 6
		.amdhsa_user_sgpr_private_segment_buffer 1
		.amdhsa_user_sgpr_dispatch_ptr 0
		.amdhsa_user_sgpr_queue_ptr 0
		.amdhsa_user_sgpr_kernarg_segment_ptr 1
		.amdhsa_user_sgpr_dispatch_id 0
		.amdhsa_user_sgpr_flat_scratch_init 0
		.amdhsa_user_sgpr_kernarg_preload_length 0
		.amdhsa_user_sgpr_kernarg_preload_offset 0
		.amdhsa_user_sgpr_private_segment_size 0
		.amdhsa_uses_dynamic_stack 0
		.amdhsa_system_sgpr_private_segment_wavefront_offset 0
		.amdhsa_system_sgpr_workgroup_id_x 1
		.amdhsa_system_sgpr_workgroup_id_y 0
		.amdhsa_system_sgpr_workgroup_id_z 0
		.amdhsa_system_sgpr_workgroup_info 0
		.amdhsa_system_vgpr_workitem_id 0
		.amdhsa_next_free_vgpr 1
		.amdhsa_next_free_sgpr 0
		.amdhsa_accum_offset 4
		.amdhsa_reserve_vcc 0
		.amdhsa_reserve_flat_scratch 0
		.amdhsa_float_round_mode_32 0
		.amdhsa_float_round_mode_16_64 0
		.amdhsa_float_denorm_mode_32 3
		.amdhsa_float_denorm_mode_16_64 3
		.amdhsa_dx10_clamp 1
		.amdhsa_ieee_mode 1
		.amdhsa_fp16_overflow 0
		.amdhsa_tg_split 0
		.amdhsa_exception_fp_ieee_invalid_op 0
		.amdhsa_exception_fp_denorm_src 0
		.amdhsa_exception_fp_ieee_div_zero 0
		.amdhsa_exception_fp_ieee_overflow 0
		.amdhsa_exception_fp_ieee_underflow 0
		.amdhsa_exception_fp_ieee_inexact 0
		.amdhsa_exception_int_div_zero 0
	.end_amdhsa_kernel
	.section	.text._ZN7rocprim17ROCPRIM_400000_NS6detail17trampoline_kernelINS0_14default_configENS1_38merge_sort_block_merge_config_selectorIsNS0_10empty_typeEEEZZNS1_27merge_sort_block_merge_implIS3_PsPS5_jNS1_19radix_merge_compareILb1ELb0EsNS0_19identity_decomposerEEEEE10hipError_tT0_T1_T2_jT3_P12ihipStream_tbPNSt15iterator_traitsISE_E10value_typeEPNSK_ISF_E10value_typeEPSG_NS1_7vsmem_tEENKUlT_SE_SF_SG_E_clIS8_S8_S9_S9_EESD_ST_SE_SF_SG_EUlST_E1_NS1_11comp_targetILNS1_3genE0ELNS1_11target_archE4294967295ELNS1_3gpuE0ELNS1_3repE0EEENS1_36merge_oddeven_config_static_selectorELNS0_4arch9wavefront6targetE1EEEvSF_,"axG",@progbits,_ZN7rocprim17ROCPRIM_400000_NS6detail17trampoline_kernelINS0_14default_configENS1_38merge_sort_block_merge_config_selectorIsNS0_10empty_typeEEEZZNS1_27merge_sort_block_merge_implIS3_PsPS5_jNS1_19radix_merge_compareILb1ELb0EsNS0_19identity_decomposerEEEEE10hipError_tT0_T1_T2_jT3_P12ihipStream_tbPNSt15iterator_traitsISE_E10value_typeEPNSK_ISF_E10value_typeEPSG_NS1_7vsmem_tEENKUlT_SE_SF_SG_E_clIS8_S8_S9_S9_EESD_ST_SE_SF_SG_EUlST_E1_NS1_11comp_targetILNS1_3genE0ELNS1_11target_archE4294967295ELNS1_3gpuE0ELNS1_3repE0EEENS1_36merge_oddeven_config_static_selectorELNS0_4arch9wavefront6targetE1EEEvSF_,comdat
.Lfunc_end1776:
	.size	_ZN7rocprim17ROCPRIM_400000_NS6detail17trampoline_kernelINS0_14default_configENS1_38merge_sort_block_merge_config_selectorIsNS0_10empty_typeEEEZZNS1_27merge_sort_block_merge_implIS3_PsPS5_jNS1_19radix_merge_compareILb1ELb0EsNS0_19identity_decomposerEEEEE10hipError_tT0_T1_T2_jT3_P12ihipStream_tbPNSt15iterator_traitsISE_E10value_typeEPNSK_ISF_E10value_typeEPSG_NS1_7vsmem_tEENKUlT_SE_SF_SG_E_clIS8_S8_S9_S9_EESD_ST_SE_SF_SG_EUlST_E1_NS1_11comp_targetILNS1_3genE0ELNS1_11target_archE4294967295ELNS1_3gpuE0ELNS1_3repE0EEENS1_36merge_oddeven_config_static_selectorELNS0_4arch9wavefront6targetE1EEEvSF_, .Lfunc_end1776-_ZN7rocprim17ROCPRIM_400000_NS6detail17trampoline_kernelINS0_14default_configENS1_38merge_sort_block_merge_config_selectorIsNS0_10empty_typeEEEZZNS1_27merge_sort_block_merge_implIS3_PsPS5_jNS1_19radix_merge_compareILb1ELb0EsNS0_19identity_decomposerEEEEE10hipError_tT0_T1_T2_jT3_P12ihipStream_tbPNSt15iterator_traitsISE_E10value_typeEPNSK_ISF_E10value_typeEPSG_NS1_7vsmem_tEENKUlT_SE_SF_SG_E_clIS8_S8_S9_S9_EESD_ST_SE_SF_SG_EUlST_E1_NS1_11comp_targetILNS1_3genE0ELNS1_11target_archE4294967295ELNS1_3gpuE0ELNS1_3repE0EEENS1_36merge_oddeven_config_static_selectorELNS0_4arch9wavefront6targetE1EEEvSF_
                                        ; -- End function
	.section	.AMDGPU.csdata,"",@progbits
; Kernel info:
; codeLenInByte = 0
; NumSgprs: 4
; NumVgprs: 0
; NumAgprs: 0
; TotalNumVgprs: 0
; ScratchSize: 0
; MemoryBound: 0
; FloatMode: 240
; IeeeMode: 1
; LDSByteSize: 0 bytes/workgroup (compile time only)
; SGPRBlocks: 0
; VGPRBlocks: 0
; NumSGPRsForWavesPerEU: 4
; NumVGPRsForWavesPerEU: 1
; AccumOffset: 4
; Occupancy: 8
; WaveLimiterHint : 0
; COMPUTE_PGM_RSRC2:SCRATCH_EN: 0
; COMPUTE_PGM_RSRC2:USER_SGPR: 6
; COMPUTE_PGM_RSRC2:TRAP_HANDLER: 0
; COMPUTE_PGM_RSRC2:TGID_X_EN: 1
; COMPUTE_PGM_RSRC2:TGID_Y_EN: 0
; COMPUTE_PGM_RSRC2:TGID_Z_EN: 0
; COMPUTE_PGM_RSRC2:TIDIG_COMP_CNT: 0
; COMPUTE_PGM_RSRC3_GFX90A:ACCUM_OFFSET: 0
; COMPUTE_PGM_RSRC3_GFX90A:TG_SPLIT: 0
	.section	.text._ZN7rocprim17ROCPRIM_400000_NS6detail17trampoline_kernelINS0_14default_configENS1_38merge_sort_block_merge_config_selectorIsNS0_10empty_typeEEEZZNS1_27merge_sort_block_merge_implIS3_PsPS5_jNS1_19radix_merge_compareILb1ELb0EsNS0_19identity_decomposerEEEEE10hipError_tT0_T1_T2_jT3_P12ihipStream_tbPNSt15iterator_traitsISE_E10value_typeEPNSK_ISF_E10value_typeEPSG_NS1_7vsmem_tEENKUlT_SE_SF_SG_E_clIS8_S8_S9_S9_EESD_ST_SE_SF_SG_EUlST_E1_NS1_11comp_targetILNS1_3genE10ELNS1_11target_archE1201ELNS1_3gpuE5ELNS1_3repE0EEENS1_36merge_oddeven_config_static_selectorELNS0_4arch9wavefront6targetE1EEEvSF_,"axG",@progbits,_ZN7rocprim17ROCPRIM_400000_NS6detail17trampoline_kernelINS0_14default_configENS1_38merge_sort_block_merge_config_selectorIsNS0_10empty_typeEEEZZNS1_27merge_sort_block_merge_implIS3_PsPS5_jNS1_19radix_merge_compareILb1ELb0EsNS0_19identity_decomposerEEEEE10hipError_tT0_T1_T2_jT3_P12ihipStream_tbPNSt15iterator_traitsISE_E10value_typeEPNSK_ISF_E10value_typeEPSG_NS1_7vsmem_tEENKUlT_SE_SF_SG_E_clIS8_S8_S9_S9_EESD_ST_SE_SF_SG_EUlST_E1_NS1_11comp_targetILNS1_3genE10ELNS1_11target_archE1201ELNS1_3gpuE5ELNS1_3repE0EEENS1_36merge_oddeven_config_static_selectorELNS0_4arch9wavefront6targetE1EEEvSF_,comdat
	.protected	_ZN7rocprim17ROCPRIM_400000_NS6detail17trampoline_kernelINS0_14default_configENS1_38merge_sort_block_merge_config_selectorIsNS0_10empty_typeEEEZZNS1_27merge_sort_block_merge_implIS3_PsPS5_jNS1_19radix_merge_compareILb1ELb0EsNS0_19identity_decomposerEEEEE10hipError_tT0_T1_T2_jT3_P12ihipStream_tbPNSt15iterator_traitsISE_E10value_typeEPNSK_ISF_E10value_typeEPSG_NS1_7vsmem_tEENKUlT_SE_SF_SG_E_clIS8_S8_S9_S9_EESD_ST_SE_SF_SG_EUlST_E1_NS1_11comp_targetILNS1_3genE10ELNS1_11target_archE1201ELNS1_3gpuE5ELNS1_3repE0EEENS1_36merge_oddeven_config_static_selectorELNS0_4arch9wavefront6targetE1EEEvSF_ ; -- Begin function _ZN7rocprim17ROCPRIM_400000_NS6detail17trampoline_kernelINS0_14default_configENS1_38merge_sort_block_merge_config_selectorIsNS0_10empty_typeEEEZZNS1_27merge_sort_block_merge_implIS3_PsPS5_jNS1_19radix_merge_compareILb1ELb0EsNS0_19identity_decomposerEEEEE10hipError_tT0_T1_T2_jT3_P12ihipStream_tbPNSt15iterator_traitsISE_E10value_typeEPNSK_ISF_E10value_typeEPSG_NS1_7vsmem_tEENKUlT_SE_SF_SG_E_clIS8_S8_S9_S9_EESD_ST_SE_SF_SG_EUlST_E1_NS1_11comp_targetILNS1_3genE10ELNS1_11target_archE1201ELNS1_3gpuE5ELNS1_3repE0EEENS1_36merge_oddeven_config_static_selectorELNS0_4arch9wavefront6targetE1EEEvSF_
	.globl	_ZN7rocprim17ROCPRIM_400000_NS6detail17trampoline_kernelINS0_14default_configENS1_38merge_sort_block_merge_config_selectorIsNS0_10empty_typeEEEZZNS1_27merge_sort_block_merge_implIS3_PsPS5_jNS1_19radix_merge_compareILb1ELb0EsNS0_19identity_decomposerEEEEE10hipError_tT0_T1_T2_jT3_P12ihipStream_tbPNSt15iterator_traitsISE_E10value_typeEPNSK_ISF_E10value_typeEPSG_NS1_7vsmem_tEENKUlT_SE_SF_SG_E_clIS8_S8_S9_S9_EESD_ST_SE_SF_SG_EUlST_E1_NS1_11comp_targetILNS1_3genE10ELNS1_11target_archE1201ELNS1_3gpuE5ELNS1_3repE0EEENS1_36merge_oddeven_config_static_selectorELNS0_4arch9wavefront6targetE1EEEvSF_
	.p2align	8
	.type	_ZN7rocprim17ROCPRIM_400000_NS6detail17trampoline_kernelINS0_14default_configENS1_38merge_sort_block_merge_config_selectorIsNS0_10empty_typeEEEZZNS1_27merge_sort_block_merge_implIS3_PsPS5_jNS1_19radix_merge_compareILb1ELb0EsNS0_19identity_decomposerEEEEE10hipError_tT0_T1_T2_jT3_P12ihipStream_tbPNSt15iterator_traitsISE_E10value_typeEPNSK_ISF_E10value_typeEPSG_NS1_7vsmem_tEENKUlT_SE_SF_SG_E_clIS8_S8_S9_S9_EESD_ST_SE_SF_SG_EUlST_E1_NS1_11comp_targetILNS1_3genE10ELNS1_11target_archE1201ELNS1_3gpuE5ELNS1_3repE0EEENS1_36merge_oddeven_config_static_selectorELNS0_4arch9wavefront6targetE1EEEvSF_,@function
_ZN7rocprim17ROCPRIM_400000_NS6detail17trampoline_kernelINS0_14default_configENS1_38merge_sort_block_merge_config_selectorIsNS0_10empty_typeEEEZZNS1_27merge_sort_block_merge_implIS3_PsPS5_jNS1_19radix_merge_compareILb1ELb0EsNS0_19identity_decomposerEEEEE10hipError_tT0_T1_T2_jT3_P12ihipStream_tbPNSt15iterator_traitsISE_E10value_typeEPNSK_ISF_E10value_typeEPSG_NS1_7vsmem_tEENKUlT_SE_SF_SG_E_clIS8_S8_S9_S9_EESD_ST_SE_SF_SG_EUlST_E1_NS1_11comp_targetILNS1_3genE10ELNS1_11target_archE1201ELNS1_3gpuE5ELNS1_3repE0EEENS1_36merge_oddeven_config_static_selectorELNS0_4arch9wavefront6targetE1EEEvSF_: ; @_ZN7rocprim17ROCPRIM_400000_NS6detail17trampoline_kernelINS0_14default_configENS1_38merge_sort_block_merge_config_selectorIsNS0_10empty_typeEEEZZNS1_27merge_sort_block_merge_implIS3_PsPS5_jNS1_19radix_merge_compareILb1ELb0EsNS0_19identity_decomposerEEEEE10hipError_tT0_T1_T2_jT3_P12ihipStream_tbPNSt15iterator_traitsISE_E10value_typeEPNSK_ISF_E10value_typeEPSG_NS1_7vsmem_tEENKUlT_SE_SF_SG_E_clIS8_S8_S9_S9_EESD_ST_SE_SF_SG_EUlST_E1_NS1_11comp_targetILNS1_3genE10ELNS1_11target_archE1201ELNS1_3gpuE5ELNS1_3repE0EEENS1_36merge_oddeven_config_static_selectorELNS0_4arch9wavefront6targetE1EEEvSF_
; %bb.0:
	.section	.rodata,"a",@progbits
	.p2align	6, 0x0
	.amdhsa_kernel _ZN7rocprim17ROCPRIM_400000_NS6detail17trampoline_kernelINS0_14default_configENS1_38merge_sort_block_merge_config_selectorIsNS0_10empty_typeEEEZZNS1_27merge_sort_block_merge_implIS3_PsPS5_jNS1_19radix_merge_compareILb1ELb0EsNS0_19identity_decomposerEEEEE10hipError_tT0_T1_T2_jT3_P12ihipStream_tbPNSt15iterator_traitsISE_E10value_typeEPNSK_ISF_E10value_typeEPSG_NS1_7vsmem_tEENKUlT_SE_SF_SG_E_clIS8_S8_S9_S9_EESD_ST_SE_SF_SG_EUlST_E1_NS1_11comp_targetILNS1_3genE10ELNS1_11target_archE1201ELNS1_3gpuE5ELNS1_3repE0EEENS1_36merge_oddeven_config_static_selectorELNS0_4arch9wavefront6targetE1EEEvSF_
		.amdhsa_group_segment_fixed_size 0
		.amdhsa_private_segment_fixed_size 0
		.amdhsa_kernarg_size 48
		.amdhsa_user_sgpr_count 6
		.amdhsa_user_sgpr_private_segment_buffer 1
		.amdhsa_user_sgpr_dispatch_ptr 0
		.amdhsa_user_sgpr_queue_ptr 0
		.amdhsa_user_sgpr_kernarg_segment_ptr 1
		.amdhsa_user_sgpr_dispatch_id 0
		.amdhsa_user_sgpr_flat_scratch_init 0
		.amdhsa_user_sgpr_kernarg_preload_length 0
		.amdhsa_user_sgpr_kernarg_preload_offset 0
		.amdhsa_user_sgpr_private_segment_size 0
		.amdhsa_uses_dynamic_stack 0
		.amdhsa_system_sgpr_private_segment_wavefront_offset 0
		.amdhsa_system_sgpr_workgroup_id_x 1
		.amdhsa_system_sgpr_workgroup_id_y 0
		.amdhsa_system_sgpr_workgroup_id_z 0
		.amdhsa_system_sgpr_workgroup_info 0
		.amdhsa_system_vgpr_workitem_id 0
		.amdhsa_next_free_vgpr 1
		.amdhsa_next_free_sgpr 0
		.amdhsa_accum_offset 4
		.amdhsa_reserve_vcc 0
		.amdhsa_reserve_flat_scratch 0
		.amdhsa_float_round_mode_32 0
		.amdhsa_float_round_mode_16_64 0
		.amdhsa_float_denorm_mode_32 3
		.amdhsa_float_denorm_mode_16_64 3
		.amdhsa_dx10_clamp 1
		.amdhsa_ieee_mode 1
		.amdhsa_fp16_overflow 0
		.amdhsa_tg_split 0
		.amdhsa_exception_fp_ieee_invalid_op 0
		.amdhsa_exception_fp_denorm_src 0
		.amdhsa_exception_fp_ieee_div_zero 0
		.amdhsa_exception_fp_ieee_overflow 0
		.amdhsa_exception_fp_ieee_underflow 0
		.amdhsa_exception_fp_ieee_inexact 0
		.amdhsa_exception_int_div_zero 0
	.end_amdhsa_kernel
	.section	.text._ZN7rocprim17ROCPRIM_400000_NS6detail17trampoline_kernelINS0_14default_configENS1_38merge_sort_block_merge_config_selectorIsNS0_10empty_typeEEEZZNS1_27merge_sort_block_merge_implIS3_PsPS5_jNS1_19radix_merge_compareILb1ELb0EsNS0_19identity_decomposerEEEEE10hipError_tT0_T1_T2_jT3_P12ihipStream_tbPNSt15iterator_traitsISE_E10value_typeEPNSK_ISF_E10value_typeEPSG_NS1_7vsmem_tEENKUlT_SE_SF_SG_E_clIS8_S8_S9_S9_EESD_ST_SE_SF_SG_EUlST_E1_NS1_11comp_targetILNS1_3genE10ELNS1_11target_archE1201ELNS1_3gpuE5ELNS1_3repE0EEENS1_36merge_oddeven_config_static_selectorELNS0_4arch9wavefront6targetE1EEEvSF_,"axG",@progbits,_ZN7rocprim17ROCPRIM_400000_NS6detail17trampoline_kernelINS0_14default_configENS1_38merge_sort_block_merge_config_selectorIsNS0_10empty_typeEEEZZNS1_27merge_sort_block_merge_implIS3_PsPS5_jNS1_19radix_merge_compareILb1ELb0EsNS0_19identity_decomposerEEEEE10hipError_tT0_T1_T2_jT3_P12ihipStream_tbPNSt15iterator_traitsISE_E10value_typeEPNSK_ISF_E10value_typeEPSG_NS1_7vsmem_tEENKUlT_SE_SF_SG_E_clIS8_S8_S9_S9_EESD_ST_SE_SF_SG_EUlST_E1_NS1_11comp_targetILNS1_3genE10ELNS1_11target_archE1201ELNS1_3gpuE5ELNS1_3repE0EEENS1_36merge_oddeven_config_static_selectorELNS0_4arch9wavefront6targetE1EEEvSF_,comdat
.Lfunc_end1777:
	.size	_ZN7rocprim17ROCPRIM_400000_NS6detail17trampoline_kernelINS0_14default_configENS1_38merge_sort_block_merge_config_selectorIsNS0_10empty_typeEEEZZNS1_27merge_sort_block_merge_implIS3_PsPS5_jNS1_19radix_merge_compareILb1ELb0EsNS0_19identity_decomposerEEEEE10hipError_tT0_T1_T2_jT3_P12ihipStream_tbPNSt15iterator_traitsISE_E10value_typeEPNSK_ISF_E10value_typeEPSG_NS1_7vsmem_tEENKUlT_SE_SF_SG_E_clIS8_S8_S9_S9_EESD_ST_SE_SF_SG_EUlST_E1_NS1_11comp_targetILNS1_3genE10ELNS1_11target_archE1201ELNS1_3gpuE5ELNS1_3repE0EEENS1_36merge_oddeven_config_static_selectorELNS0_4arch9wavefront6targetE1EEEvSF_, .Lfunc_end1777-_ZN7rocprim17ROCPRIM_400000_NS6detail17trampoline_kernelINS0_14default_configENS1_38merge_sort_block_merge_config_selectorIsNS0_10empty_typeEEEZZNS1_27merge_sort_block_merge_implIS3_PsPS5_jNS1_19radix_merge_compareILb1ELb0EsNS0_19identity_decomposerEEEEE10hipError_tT0_T1_T2_jT3_P12ihipStream_tbPNSt15iterator_traitsISE_E10value_typeEPNSK_ISF_E10value_typeEPSG_NS1_7vsmem_tEENKUlT_SE_SF_SG_E_clIS8_S8_S9_S9_EESD_ST_SE_SF_SG_EUlST_E1_NS1_11comp_targetILNS1_3genE10ELNS1_11target_archE1201ELNS1_3gpuE5ELNS1_3repE0EEENS1_36merge_oddeven_config_static_selectorELNS0_4arch9wavefront6targetE1EEEvSF_
                                        ; -- End function
	.section	.AMDGPU.csdata,"",@progbits
; Kernel info:
; codeLenInByte = 0
; NumSgprs: 4
; NumVgprs: 0
; NumAgprs: 0
; TotalNumVgprs: 0
; ScratchSize: 0
; MemoryBound: 0
; FloatMode: 240
; IeeeMode: 1
; LDSByteSize: 0 bytes/workgroup (compile time only)
; SGPRBlocks: 0
; VGPRBlocks: 0
; NumSGPRsForWavesPerEU: 4
; NumVGPRsForWavesPerEU: 1
; AccumOffset: 4
; Occupancy: 8
; WaveLimiterHint : 0
; COMPUTE_PGM_RSRC2:SCRATCH_EN: 0
; COMPUTE_PGM_RSRC2:USER_SGPR: 6
; COMPUTE_PGM_RSRC2:TRAP_HANDLER: 0
; COMPUTE_PGM_RSRC2:TGID_X_EN: 1
; COMPUTE_PGM_RSRC2:TGID_Y_EN: 0
; COMPUTE_PGM_RSRC2:TGID_Z_EN: 0
; COMPUTE_PGM_RSRC2:TIDIG_COMP_CNT: 0
; COMPUTE_PGM_RSRC3_GFX90A:ACCUM_OFFSET: 0
; COMPUTE_PGM_RSRC3_GFX90A:TG_SPLIT: 0
	.section	.text._ZN7rocprim17ROCPRIM_400000_NS6detail17trampoline_kernelINS0_14default_configENS1_38merge_sort_block_merge_config_selectorIsNS0_10empty_typeEEEZZNS1_27merge_sort_block_merge_implIS3_PsPS5_jNS1_19radix_merge_compareILb1ELb0EsNS0_19identity_decomposerEEEEE10hipError_tT0_T1_T2_jT3_P12ihipStream_tbPNSt15iterator_traitsISE_E10value_typeEPNSK_ISF_E10value_typeEPSG_NS1_7vsmem_tEENKUlT_SE_SF_SG_E_clIS8_S8_S9_S9_EESD_ST_SE_SF_SG_EUlST_E1_NS1_11comp_targetILNS1_3genE5ELNS1_11target_archE942ELNS1_3gpuE9ELNS1_3repE0EEENS1_36merge_oddeven_config_static_selectorELNS0_4arch9wavefront6targetE1EEEvSF_,"axG",@progbits,_ZN7rocprim17ROCPRIM_400000_NS6detail17trampoline_kernelINS0_14default_configENS1_38merge_sort_block_merge_config_selectorIsNS0_10empty_typeEEEZZNS1_27merge_sort_block_merge_implIS3_PsPS5_jNS1_19radix_merge_compareILb1ELb0EsNS0_19identity_decomposerEEEEE10hipError_tT0_T1_T2_jT3_P12ihipStream_tbPNSt15iterator_traitsISE_E10value_typeEPNSK_ISF_E10value_typeEPSG_NS1_7vsmem_tEENKUlT_SE_SF_SG_E_clIS8_S8_S9_S9_EESD_ST_SE_SF_SG_EUlST_E1_NS1_11comp_targetILNS1_3genE5ELNS1_11target_archE942ELNS1_3gpuE9ELNS1_3repE0EEENS1_36merge_oddeven_config_static_selectorELNS0_4arch9wavefront6targetE1EEEvSF_,comdat
	.protected	_ZN7rocprim17ROCPRIM_400000_NS6detail17trampoline_kernelINS0_14default_configENS1_38merge_sort_block_merge_config_selectorIsNS0_10empty_typeEEEZZNS1_27merge_sort_block_merge_implIS3_PsPS5_jNS1_19radix_merge_compareILb1ELb0EsNS0_19identity_decomposerEEEEE10hipError_tT0_T1_T2_jT3_P12ihipStream_tbPNSt15iterator_traitsISE_E10value_typeEPNSK_ISF_E10value_typeEPSG_NS1_7vsmem_tEENKUlT_SE_SF_SG_E_clIS8_S8_S9_S9_EESD_ST_SE_SF_SG_EUlST_E1_NS1_11comp_targetILNS1_3genE5ELNS1_11target_archE942ELNS1_3gpuE9ELNS1_3repE0EEENS1_36merge_oddeven_config_static_selectorELNS0_4arch9wavefront6targetE1EEEvSF_ ; -- Begin function _ZN7rocprim17ROCPRIM_400000_NS6detail17trampoline_kernelINS0_14default_configENS1_38merge_sort_block_merge_config_selectorIsNS0_10empty_typeEEEZZNS1_27merge_sort_block_merge_implIS3_PsPS5_jNS1_19radix_merge_compareILb1ELb0EsNS0_19identity_decomposerEEEEE10hipError_tT0_T1_T2_jT3_P12ihipStream_tbPNSt15iterator_traitsISE_E10value_typeEPNSK_ISF_E10value_typeEPSG_NS1_7vsmem_tEENKUlT_SE_SF_SG_E_clIS8_S8_S9_S9_EESD_ST_SE_SF_SG_EUlST_E1_NS1_11comp_targetILNS1_3genE5ELNS1_11target_archE942ELNS1_3gpuE9ELNS1_3repE0EEENS1_36merge_oddeven_config_static_selectorELNS0_4arch9wavefront6targetE1EEEvSF_
	.globl	_ZN7rocprim17ROCPRIM_400000_NS6detail17trampoline_kernelINS0_14default_configENS1_38merge_sort_block_merge_config_selectorIsNS0_10empty_typeEEEZZNS1_27merge_sort_block_merge_implIS3_PsPS5_jNS1_19radix_merge_compareILb1ELb0EsNS0_19identity_decomposerEEEEE10hipError_tT0_T1_T2_jT3_P12ihipStream_tbPNSt15iterator_traitsISE_E10value_typeEPNSK_ISF_E10value_typeEPSG_NS1_7vsmem_tEENKUlT_SE_SF_SG_E_clIS8_S8_S9_S9_EESD_ST_SE_SF_SG_EUlST_E1_NS1_11comp_targetILNS1_3genE5ELNS1_11target_archE942ELNS1_3gpuE9ELNS1_3repE0EEENS1_36merge_oddeven_config_static_selectorELNS0_4arch9wavefront6targetE1EEEvSF_
	.p2align	8
	.type	_ZN7rocprim17ROCPRIM_400000_NS6detail17trampoline_kernelINS0_14default_configENS1_38merge_sort_block_merge_config_selectorIsNS0_10empty_typeEEEZZNS1_27merge_sort_block_merge_implIS3_PsPS5_jNS1_19radix_merge_compareILb1ELb0EsNS0_19identity_decomposerEEEEE10hipError_tT0_T1_T2_jT3_P12ihipStream_tbPNSt15iterator_traitsISE_E10value_typeEPNSK_ISF_E10value_typeEPSG_NS1_7vsmem_tEENKUlT_SE_SF_SG_E_clIS8_S8_S9_S9_EESD_ST_SE_SF_SG_EUlST_E1_NS1_11comp_targetILNS1_3genE5ELNS1_11target_archE942ELNS1_3gpuE9ELNS1_3repE0EEENS1_36merge_oddeven_config_static_selectorELNS0_4arch9wavefront6targetE1EEEvSF_,@function
_ZN7rocprim17ROCPRIM_400000_NS6detail17trampoline_kernelINS0_14default_configENS1_38merge_sort_block_merge_config_selectorIsNS0_10empty_typeEEEZZNS1_27merge_sort_block_merge_implIS3_PsPS5_jNS1_19radix_merge_compareILb1ELb0EsNS0_19identity_decomposerEEEEE10hipError_tT0_T1_T2_jT3_P12ihipStream_tbPNSt15iterator_traitsISE_E10value_typeEPNSK_ISF_E10value_typeEPSG_NS1_7vsmem_tEENKUlT_SE_SF_SG_E_clIS8_S8_S9_S9_EESD_ST_SE_SF_SG_EUlST_E1_NS1_11comp_targetILNS1_3genE5ELNS1_11target_archE942ELNS1_3gpuE9ELNS1_3repE0EEENS1_36merge_oddeven_config_static_selectorELNS0_4arch9wavefront6targetE1EEEvSF_: ; @_ZN7rocprim17ROCPRIM_400000_NS6detail17trampoline_kernelINS0_14default_configENS1_38merge_sort_block_merge_config_selectorIsNS0_10empty_typeEEEZZNS1_27merge_sort_block_merge_implIS3_PsPS5_jNS1_19radix_merge_compareILb1ELb0EsNS0_19identity_decomposerEEEEE10hipError_tT0_T1_T2_jT3_P12ihipStream_tbPNSt15iterator_traitsISE_E10value_typeEPNSK_ISF_E10value_typeEPSG_NS1_7vsmem_tEENKUlT_SE_SF_SG_E_clIS8_S8_S9_S9_EESD_ST_SE_SF_SG_EUlST_E1_NS1_11comp_targetILNS1_3genE5ELNS1_11target_archE942ELNS1_3gpuE9ELNS1_3repE0EEENS1_36merge_oddeven_config_static_selectorELNS0_4arch9wavefront6targetE1EEEvSF_
; %bb.0:
	.section	.rodata,"a",@progbits
	.p2align	6, 0x0
	.amdhsa_kernel _ZN7rocprim17ROCPRIM_400000_NS6detail17trampoline_kernelINS0_14default_configENS1_38merge_sort_block_merge_config_selectorIsNS0_10empty_typeEEEZZNS1_27merge_sort_block_merge_implIS3_PsPS5_jNS1_19radix_merge_compareILb1ELb0EsNS0_19identity_decomposerEEEEE10hipError_tT0_T1_T2_jT3_P12ihipStream_tbPNSt15iterator_traitsISE_E10value_typeEPNSK_ISF_E10value_typeEPSG_NS1_7vsmem_tEENKUlT_SE_SF_SG_E_clIS8_S8_S9_S9_EESD_ST_SE_SF_SG_EUlST_E1_NS1_11comp_targetILNS1_3genE5ELNS1_11target_archE942ELNS1_3gpuE9ELNS1_3repE0EEENS1_36merge_oddeven_config_static_selectorELNS0_4arch9wavefront6targetE1EEEvSF_
		.amdhsa_group_segment_fixed_size 0
		.amdhsa_private_segment_fixed_size 0
		.amdhsa_kernarg_size 48
		.amdhsa_user_sgpr_count 6
		.amdhsa_user_sgpr_private_segment_buffer 1
		.amdhsa_user_sgpr_dispatch_ptr 0
		.amdhsa_user_sgpr_queue_ptr 0
		.amdhsa_user_sgpr_kernarg_segment_ptr 1
		.amdhsa_user_sgpr_dispatch_id 0
		.amdhsa_user_sgpr_flat_scratch_init 0
		.amdhsa_user_sgpr_kernarg_preload_length 0
		.amdhsa_user_sgpr_kernarg_preload_offset 0
		.amdhsa_user_sgpr_private_segment_size 0
		.amdhsa_uses_dynamic_stack 0
		.amdhsa_system_sgpr_private_segment_wavefront_offset 0
		.amdhsa_system_sgpr_workgroup_id_x 1
		.amdhsa_system_sgpr_workgroup_id_y 0
		.amdhsa_system_sgpr_workgroup_id_z 0
		.amdhsa_system_sgpr_workgroup_info 0
		.amdhsa_system_vgpr_workitem_id 0
		.amdhsa_next_free_vgpr 1
		.amdhsa_next_free_sgpr 0
		.amdhsa_accum_offset 4
		.amdhsa_reserve_vcc 0
		.amdhsa_reserve_flat_scratch 0
		.amdhsa_float_round_mode_32 0
		.amdhsa_float_round_mode_16_64 0
		.amdhsa_float_denorm_mode_32 3
		.amdhsa_float_denorm_mode_16_64 3
		.amdhsa_dx10_clamp 1
		.amdhsa_ieee_mode 1
		.amdhsa_fp16_overflow 0
		.amdhsa_tg_split 0
		.amdhsa_exception_fp_ieee_invalid_op 0
		.amdhsa_exception_fp_denorm_src 0
		.amdhsa_exception_fp_ieee_div_zero 0
		.amdhsa_exception_fp_ieee_overflow 0
		.amdhsa_exception_fp_ieee_underflow 0
		.amdhsa_exception_fp_ieee_inexact 0
		.amdhsa_exception_int_div_zero 0
	.end_amdhsa_kernel
	.section	.text._ZN7rocprim17ROCPRIM_400000_NS6detail17trampoline_kernelINS0_14default_configENS1_38merge_sort_block_merge_config_selectorIsNS0_10empty_typeEEEZZNS1_27merge_sort_block_merge_implIS3_PsPS5_jNS1_19radix_merge_compareILb1ELb0EsNS0_19identity_decomposerEEEEE10hipError_tT0_T1_T2_jT3_P12ihipStream_tbPNSt15iterator_traitsISE_E10value_typeEPNSK_ISF_E10value_typeEPSG_NS1_7vsmem_tEENKUlT_SE_SF_SG_E_clIS8_S8_S9_S9_EESD_ST_SE_SF_SG_EUlST_E1_NS1_11comp_targetILNS1_3genE5ELNS1_11target_archE942ELNS1_3gpuE9ELNS1_3repE0EEENS1_36merge_oddeven_config_static_selectorELNS0_4arch9wavefront6targetE1EEEvSF_,"axG",@progbits,_ZN7rocprim17ROCPRIM_400000_NS6detail17trampoline_kernelINS0_14default_configENS1_38merge_sort_block_merge_config_selectorIsNS0_10empty_typeEEEZZNS1_27merge_sort_block_merge_implIS3_PsPS5_jNS1_19radix_merge_compareILb1ELb0EsNS0_19identity_decomposerEEEEE10hipError_tT0_T1_T2_jT3_P12ihipStream_tbPNSt15iterator_traitsISE_E10value_typeEPNSK_ISF_E10value_typeEPSG_NS1_7vsmem_tEENKUlT_SE_SF_SG_E_clIS8_S8_S9_S9_EESD_ST_SE_SF_SG_EUlST_E1_NS1_11comp_targetILNS1_3genE5ELNS1_11target_archE942ELNS1_3gpuE9ELNS1_3repE0EEENS1_36merge_oddeven_config_static_selectorELNS0_4arch9wavefront6targetE1EEEvSF_,comdat
.Lfunc_end1778:
	.size	_ZN7rocprim17ROCPRIM_400000_NS6detail17trampoline_kernelINS0_14default_configENS1_38merge_sort_block_merge_config_selectorIsNS0_10empty_typeEEEZZNS1_27merge_sort_block_merge_implIS3_PsPS5_jNS1_19radix_merge_compareILb1ELb0EsNS0_19identity_decomposerEEEEE10hipError_tT0_T1_T2_jT3_P12ihipStream_tbPNSt15iterator_traitsISE_E10value_typeEPNSK_ISF_E10value_typeEPSG_NS1_7vsmem_tEENKUlT_SE_SF_SG_E_clIS8_S8_S9_S9_EESD_ST_SE_SF_SG_EUlST_E1_NS1_11comp_targetILNS1_3genE5ELNS1_11target_archE942ELNS1_3gpuE9ELNS1_3repE0EEENS1_36merge_oddeven_config_static_selectorELNS0_4arch9wavefront6targetE1EEEvSF_, .Lfunc_end1778-_ZN7rocprim17ROCPRIM_400000_NS6detail17trampoline_kernelINS0_14default_configENS1_38merge_sort_block_merge_config_selectorIsNS0_10empty_typeEEEZZNS1_27merge_sort_block_merge_implIS3_PsPS5_jNS1_19radix_merge_compareILb1ELb0EsNS0_19identity_decomposerEEEEE10hipError_tT0_T1_T2_jT3_P12ihipStream_tbPNSt15iterator_traitsISE_E10value_typeEPNSK_ISF_E10value_typeEPSG_NS1_7vsmem_tEENKUlT_SE_SF_SG_E_clIS8_S8_S9_S9_EESD_ST_SE_SF_SG_EUlST_E1_NS1_11comp_targetILNS1_3genE5ELNS1_11target_archE942ELNS1_3gpuE9ELNS1_3repE0EEENS1_36merge_oddeven_config_static_selectorELNS0_4arch9wavefront6targetE1EEEvSF_
                                        ; -- End function
	.section	.AMDGPU.csdata,"",@progbits
; Kernel info:
; codeLenInByte = 0
; NumSgprs: 4
; NumVgprs: 0
; NumAgprs: 0
; TotalNumVgprs: 0
; ScratchSize: 0
; MemoryBound: 0
; FloatMode: 240
; IeeeMode: 1
; LDSByteSize: 0 bytes/workgroup (compile time only)
; SGPRBlocks: 0
; VGPRBlocks: 0
; NumSGPRsForWavesPerEU: 4
; NumVGPRsForWavesPerEU: 1
; AccumOffset: 4
; Occupancy: 8
; WaveLimiterHint : 0
; COMPUTE_PGM_RSRC2:SCRATCH_EN: 0
; COMPUTE_PGM_RSRC2:USER_SGPR: 6
; COMPUTE_PGM_RSRC2:TRAP_HANDLER: 0
; COMPUTE_PGM_RSRC2:TGID_X_EN: 1
; COMPUTE_PGM_RSRC2:TGID_Y_EN: 0
; COMPUTE_PGM_RSRC2:TGID_Z_EN: 0
; COMPUTE_PGM_RSRC2:TIDIG_COMP_CNT: 0
; COMPUTE_PGM_RSRC3_GFX90A:ACCUM_OFFSET: 0
; COMPUTE_PGM_RSRC3_GFX90A:TG_SPLIT: 0
	.section	.text._ZN7rocprim17ROCPRIM_400000_NS6detail17trampoline_kernelINS0_14default_configENS1_38merge_sort_block_merge_config_selectorIsNS0_10empty_typeEEEZZNS1_27merge_sort_block_merge_implIS3_PsPS5_jNS1_19radix_merge_compareILb1ELb0EsNS0_19identity_decomposerEEEEE10hipError_tT0_T1_T2_jT3_P12ihipStream_tbPNSt15iterator_traitsISE_E10value_typeEPNSK_ISF_E10value_typeEPSG_NS1_7vsmem_tEENKUlT_SE_SF_SG_E_clIS8_S8_S9_S9_EESD_ST_SE_SF_SG_EUlST_E1_NS1_11comp_targetILNS1_3genE4ELNS1_11target_archE910ELNS1_3gpuE8ELNS1_3repE0EEENS1_36merge_oddeven_config_static_selectorELNS0_4arch9wavefront6targetE1EEEvSF_,"axG",@progbits,_ZN7rocprim17ROCPRIM_400000_NS6detail17trampoline_kernelINS0_14default_configENS1_38merge_sort_block_merge_config_selectorIsNS0_10empty_typeEEEZZNS1_27merge_sort_block_merge_implIS3_PsPS5_jNS1_19radix_merge_compareILb1ELb0EsNS0_19identity_decomposerEEEEE10hipError_tT0_T1_T2_jT3_P12ihipStream_tbPNSt15iterator_traitsISE_E10value_typeEPNSK_ISF_E10value_typeEPSG_NS1_7vsmem_tEENKUlT_SE_SF_SG_E_clIS8_S8_S9_S9_EESD_ST_SE_SF_SG_EUlST_E1_NS1_11comp_targetILNS1_3genE4ELNS1_11target_archE910ELNS1_3gpuE8ELNS1_3repE0EEENS1_36merge_oddeven_config_static_selectorELNS0_4arch9wavefront6targetE1EEEvSF_,comdat
	.protected	_ZN7rocprim17ROCPRIM_400000_NS6detail17trampoline_kernelINS0_14default_configENS1_38merge_sort_block_merge_config_selectorIsNS0_10empty_typeEEEZZNS1_27merge_sort_block_merge_implIS3_PsPS5_jNS1_19radix_merge_compareILb1ELb0EsNS0_19identity_decomposerEEEEE10hipError_tT0_T1_T2_jT3_P12ihipStream_tbPNSt15iterator_traitsISE_E10value_typeEPNSK_ISF_E10value_typeEPSG_NS1_7vsmem_tEENKUlT_SE_SF_SG_E_clIS8_S8_S9_S9_EESD_ST_SE_SF_SG_EUlST_E1_NS1_11comp_targetILNS1_3genE4ELNS1_11target_archE910ELNS1_3gpuE8ELNS1_3repE0EEENS1_36merge_oddeven_config_static_selectorELNS0_4arch9wavefront6targetE1EEEvSF_ ; -- Begin function _ZN7rocprim17ROCPRIM_400000_NS6detail17trampoline_kernelINS0_14default_configENS1_38merge_sort_block_merge_config_selectorIsNS0_10empty_typeEEEZZNS1_27merge_sort_block_merge_implIS3_PsPS5_jNS1_19radix_merge_compareILb1ELb0EsNS0_19identity_decomposerEEEEE10hipError_tT0_T1_T2_jT3_P12ihipStream_tbPNSt15iterator_traitsISE_E10value_typeEPNSK_ISF_E10value_typeEPSG_NS1_7vsmem_tEENKUlT_SE_SF_SG_E_clIS8_S8_S9_S9_EESD_ST_SE_SF_SG_EUlST_E1_NS1_11comp_targetILNS1_3genE4ELNS1_11target_archE910ELNS1_3gpuE8ELNS1_3repE0EEENS1_36merge_oddeven_config_static_selectorELNS0_4arch9wavefront6targetE1EEEvSF_
	.globl	_ZN7rocprim17ROCPRIM_400000_NS6detail17trampoline_kernelINS0_14default_configENS1_38merge_sort_block_merge_config_selectorIsNS0_10empty_typeEEEZZNS1_27merge_sort_block_merge_implIS3_PsPS5_jNS1_19radix_merge_compareILb1ELb0EsNS0_19identity_decomposerEEEEE10hipError_tT0_T1_T2_jT3_P12ihipStream_tbPNSt15iterator_traitsISE_E10value_typeEPNSK_ISF_E10value_typeEPSG_NS1_7vsmem_tEENKUlT_SE_SF_SG_E_clIS8_S8_S9_S9_EESD_ST_SE_SF_SG_EUlST_E1_NS1_11comp_targetILNS1_3genE4ELNS1_11target_archE910ELNS1_3gpuE8ELNS1_3repE0EEENS1_36merge_oddeven_config_static_selectorELNS0_4arch9wavefront6targetE1EEEvSF_
	.p2align	8
	.type	_ZN7rocprim17ROCPRIM_400000_NS6detail17trampoline_kernelINS0_14default_configENS1_38merge_sort_block_merge_config_selectorIsNS0_10empty_typeEEEZZNS1_27merge_sort_block_merge_implIS3_PsPS5_jNS1_19radix_merge_compareILb1ELb0EsNS0_19identity_decomposerEEEEE10hipError_tT0_T1_T2_jT3_P12ihipStream_tbPNSt15iterator_traitsISE_E10value_typeEPNSK_ISF_E10value_typeEPSG_NS1_7vsmem_tEENKUlT_SE_SF_SG_E_clIS8_S8_S9_S9_EESD_ST_SE_SF_SG_EUlST_E1_NS1_11comp_targetILNS1_3genE4ELNS1_11target_archE910ELNS1_3gpuE8ELNS1_3repE0EEENS1_36merge_oddeven_config_static_selectorELNS0_4arch9wavefront6targetE1EEEvSF_,@function
_ZN7rocprim17ROCPRIM_400000_NS6detail17trampoline_kernelINS0_14default_configENS1_38merge_sort_block_merge_config_selectorIsNS0_10empty_typeEEEZZNS1_27merge_sort_block_merge_implIS3_PsPS5_jNS1_19radix_merge_compareILb1ELb0EsNS0_19identity_decomposerEEEEE10hipError_tT0_T1_T2_jT3_P12ihipStream_tbPNSt15iterator_traitsISE_E10value_typeEPNSK_ISF_E10value_typeEPSG_NS1_7vsmem_tEENKUlT_SE_SF_SG_E_clIS8_S8_S9_S9_EESD_ST_SE_SF_SG_EUlST_E1_NS1_11comp_targetILNS1_3genE4ELNS1_11target_archE910ELNS1_3gpuE8ELNS1_3repE0EEENS1_36merge_oddeven_config_static_selectorELNS0_4arch9wavefront6targetE1EEEvSF_: ; @_ZN7rocprim17ROCPRIM_400000_NS6detail17trampoline_kernelINS0_14default_configENS1_38merge_sort_block_merge_config_selectorIsNS0_10empty_typeEEEZZNS1_27merge_sort_block_merge_implIS3_PsPS5_jNS1_19radix_merge_compareILb1ELb0EsNS0_19identity_decomposerEEEEE10hipError_tT0_T1_T2_jT3_P12ihipStream_tbPNSt15iterator_traitsISE_E10value_typeEPNSK_ISF_E10value_typeEPSG_NS1_7vsmem_tEENKUlT_SE_SF_SG_E_clIS8_S8_S9_S9_EESD_ST_SE_SF_SG_EUlST_E1_NS1_11comp_targetILNS1_3genE4ELNS1_11target_archE910ELNS1_3gpuE8ELNS1_3repE0EEENS1_36merge_oddeven_config_static_selectorELNS0_4arch9wavefront6targetE1EEEvSF_
; %bb.0:
	s_load_dword s18, s[4:5], 0x20
	s_waitcnt lgkmcnt(0)
	s_lshr_b32 s0, s18, 8
	s_cmp_lg_u32 s6, s0
	s_cselect_b64 s[14:15], -1, 0
	s_cmp_eq_u32 s6, s0
	s_cselect_b64 s[12:13], -1, 0
	s_lshl_b32 s16, s6, 8
	s_sub_i32 s0, s18, s16
	v_cmp_gt_u32_e64 s[2:3], s0, v0
	s_or_b64 s[0:1], s[14:15], s[2:3]
	s_and_saveexec_b64 s[8:9], s[0:1]
	s_cbranch_execz .LBB1779_20
; %bb.1:
	s_load_dwordx4 s[8:11], s[4:5], 0x0
	s_load_dword s19, s[4:5], 0x24
	s_mov_b32 s17, 0
	s_lshl_b64 s[0:1], s[16:17], 1
	v_lshlrev_b32_e32 v1, 1, v0
	s_waitcnt lgkmcnt(0)
	s_add_u32 s0, s8, s0
	s_addc_u32 s1, s9, s1
	global_load_ushort v2, v1, s[0:1]
	s_lshr_b32 s0, s19, 8
	s_sub_i32 s1, 0, s0
	s_and_b32 s1, s6, s1
	s_and_b32 s0, s1, s0
	s_lshl_b32 s20, s1, 8
	s_sub_i32 s6, 0, s19
	s_cmp_eq_u32 s0, 0
	s_cselect_b64 s[0:1], -1, 0
	s_and_b64 s[4:5], s[0:1], exec
	s_cselect_b32 s17, s19, s6
	s_add_i32 s17, s17, s20
	s_cmp_lt_u32 s17, s18
	v_add_u32_e32 v0, s16, v0
	s_cbranch_scc1 .LBB1779_3
; %bb.2:
	v_cmp_gt_u32_e32 vcc, s18, v0
	s_or_b64 s[4:5], vcc, s[14:15]
	s_and_b64 s[4:5], s[4:5], exec
	s_cbranch_execz .LBB1779_4
	s_branch .LBB1779_18
.LBB1779_3:
	s_mov_b64 s[4:5], 0
.LBB1779_4:
	s_min_u32 s14, s17, s18
	s_add_i32 s6, s14, s19
	s_min_u32 s15, s6, s18
	s_min_u32 s6, s20, s14
	s_add_i32 s20, s20, s14
	v_subrev_u32_e32 v0, s20, v0
	v_add_u32_e32 v1, s6, v0
	s_and_b64 vcc, exec, s[12:13]
	s_cbranch_vccz .LBB1779_12
; %bb.5:
                                        ; implicit-def: $vgpr0
	s_and_saveexec_b64 s[6:7], s[2:3]
	s_cbranch_execz .LBB1779_11
; %bb.6:
	s_cmp_ge_u32 s17, s15
	v_mov_b32_e32 v0, s14
	s_cbranch_scc1 .LBB1779_10
; %bb.7:
	s_mov_b64 s[2:3], 0
	v_mov_b32_e32 v3, s15
	v_mov_b32_e32 v0, s14
.LBB1779_8:                             ; =>This Inner Loop Header: Depth=1
	v_add_u32_e32 v4, v0, v3
	v_and_b32_e32 v5, -2, v4
	global_load_ushort v5, v5, s[8:9]
	v_lshrrev_b32_e32 v4, 1, v4
	v_add_u32_e32 v6, 1, v4
	s_waitcnt vmcnt(0)
	v_cmp_gt_i16_e32 vcc, v5, v2
	v_cndmask_b32_e64 v7, 0, 1, vcc
	v_cmp_le_i16_e32 vcc, v2, v5
	v_cndmask_b32_e64 v5, 0, 1, vcc
	v_cndmask_b32_e64 v5, v5, v7, s[0:1]
	v_and_b32_e32 v5, 1, v5
	v_cmp_eq_u32_e32 vcc, 1, v5
	v_cndmask_b32_e32 v3, v4, v3, vcc
	v_cndmask_b32_e32 v0, v0, v6, vcc
	v_cmp_ge_u32_e32 vcc, v0, v3
	s_or_b64 s[2:3], vcc, s[2:3]
	s_andn2_b64 exec, exec, s[2:3]
	s_cbranch_execnz .LBB1779_8
; %bb.9:
	s_or_b64 exec, exec, s[2:3]
.LBB1779_10:
	v_add_u32_e32 v0, v0, v1
	s_or_b64 s[4:5], s[4:5], exec
.LBB1779_11:
	s_or_b64 exec, exec, s[6:7]
	s_branch .LBB1779_18
.LBB1779_12:
                                        ; implicit-def: $vgpr0
	s_cbranch_execz .LBB1779_18
; %bb.13:
	s_cmp_ge_u32 s17, s15
	v_mov_b32_e32 v0, s14
	s_cbranch_scc1 .LBB1779_17
; %bb.14:
	s_mov_b64 s[2:3], 0
	v_mov_b32_e32 v3, s15
	v_mov_b32_e32 v0, s14
.LBB1779_15:                            ; =>This Inner Loop Header: Depth=1
	v_add_u32_e32 v4, v0, v3
	v_and_b32_e32 v5, -2, v4
	global_load_ushort v5, v5, s[8:9]
	v_lshrrev_b32_e32 v4, 1, v4
	v_add_u32_e32 v6, 1, v4
	s_waitcnt vmcnt(0)
	v_cmp_gt_i16_e32 vcc, v5, v2
	v_cndmask_b32_e64 v7, 0, 1, vcc
	v_cmp_le_i16_e32 vcc, v2, v5
	v_cndmask_b32_e64 v5, 0, 1, vcc
	v_cndmask_b32_e64 v5, v5, v7, s[0:1]
	v_and_b32_e32 v5, 1, v5
	v_cmp_eq_u32_e32 vcc, 1, v5
	v_cndmask_b32_e32 v3, v4, v3, vcc
	v_cndmask_b32_e32 v0, v0, v6, vcc
	v_cmp_ge_u32_e32 vcc, v0, v3
	s_or_b64 s[2:3], vcc, s[2:3]
	s_andn2_b64 exec, exec, s[2:3]
	s_cbranch_execnz .LBB1779_15
; %bb.16:
	s_or_b64 exec, exec, s[2:3]
.LBB1779_17:
	v_add_u32_e32 v0, v0, v1
	s_mov_b64 s[4:5], -1
.LBB1779_18:
	s_and_b64 exec, exec, s[4:5]
	s_cbranch_execz .LBB1779_20
; %bb.19:
	v_mov_b32_e32 v1, 0
	v_lshlrev_b64 v[0:1], 1, v[0:1]
	v_mov_b32_e32 v3, s11
	v_add_co_u32_e32 v0, vcc, s10, v0
	v_addc_co_u32_e32 v1, vcc, v3, v1, vcc
	s_waitcnt vmcnt(0)
	global_store_short v[0:1], v2, off
.LBB1779_20:
	s_endpgm
	.section	.rodata,"a",@progbits
	.p2align	6, 0x0
	.amdhsa_kernel _ZN7rocprim17ROCPRIM_400000_NS6detail17trampoline_kernelINS0_14default_configENS1_38merge_sort_block_merge_config_selectorIsNS0_10empty_typeEEEZZNS1_27merge_sort_block_merge_implIS3_PsPS5_jNS1_19radix_merge_compareILb1ELb0EsNS0_19identity_decomposerEEEEE10hipError_tT0_T1_T2_jT3_P12ihipStream_tbPNSt15iterator_traitsISE_E10value_typeEPNSK_ISF_E10value_typeEPSG_NS1_7vsmem_tEENKUlT_SE_SF_SG_E_clIS8_S8_S9_S9_EESD_ST_SE_SF_SG_EUlST_E1_NS1_11comp_targetILNS1_3genE4ELNS1_11target_archE910ELNS1_3gpuE8ELNS1_3repE0EEENS1_36merge_oddeven_config_static_selectorELNS0_4arch9wavefront6targetE1EEEvSF_
		.amdhsa_group_segment_fixed_size 0
		.amdhsa_private_segment_fixed_size 0
		.amdhsa_kernarg_size 48
		.amdhsa_user_sgpr_count 6
		.amdhsa_user_sgpr_private_segment_buffer 1
		.amdhsa_user_sgpr_dispatch_ptr 0
		.amdhsa_user_sgpr_queue_ptr 0
		.amdhsa_user_sgpr_kernarg_segment_ptr 1
		.amdhsa_user_sgpr_dispatch_id 0
		.amdhsa_user_sgpr_flat_scratch_init 0
		.amdhsa_user_sgpr_kernarg_preload_length 0
		.amdhsa_user_sgpr_kernarg_preload_offset 0
		.amdhsa_user_sgpr_private_segment_size 0
		.amdhsa_uses_dynamic_stack 0
		.amdhsa_system_sgpr_private_segment_wavefront_offset 0
		.amdhsa_system_sgpr_workgroup_id_x 1
		.amdhsa_system_sgpr_workgroup_id_y 0
		.amdhsa_system_sgpr_workgroup_id_z 0
		.amdhsa_system_sgpr_workgroup_info 0
		.amdhsa_system_vgpr_workitem_id 0
		.amdhsa_next_free_vgpr 8
		.amdhsa_next_free_sgpr 21
		.amdhsa_accum_offset 8
		.amdhsa_reserve_vcc 1
		.amdhsa_reserve_flat_scratch 0
		.amdhsa_float_round_mode_32 0
		.amdhsa_float_round_mode_16_64 0
		.amdhsa_float_denorm_mode_32 3
		.amdhsa_float_denorm_mode_16_64 3
		.amdhsa_dx10_clamp 1
		.amdhsa_ieee_mode 1
		.amdhsa_fp16_overflow 0
		.amdhsa_tg_split 0
		.amdhsa_exception_fp_ieee_invalid_op 0
		.amdhsa_exception_fp_denorm_src 0
		.amdhsa_exception_fp_ieee_div_zero 0
		.amdhsa_exception_fp_ieee_overflow 0
		.amdhsa_exception_fp_ieee_underflow 0
		.amdhsa_exception_fp_ieee_inexact 0
		.amdhsa_exception_int_div_zero 0
	.end_amdhsa_kernel
	.section	.text._ZN7rocprim17ROCPRIM_400000_NS6detail17trampoline_kernelINS0_14default_configENS1_38merge_sort_block_merge_config_selectorIsNS0_10empty_typeEEEZZNS1_27merge_sort_block_merge_implIS3_PsPS5_jNS1_19radix_merge_compareILb1ELb0EsNS0_19identity_decomposerEEEEE10hipError_tT0_T1_T2_jT3_P12ihipStream_tbPNSt15iterator_traitsISE_E10value_typeEPNSK_ISF_E10value_typeEPSG_NS1_7vsmem_tEENKUlT_SE_SF_SG_E_clIS8_S8_S9_S9_EESD_ST_SE_SF_SG_EUlST_E1_NS1_11comp_targetILNS1_3genE4ELNS1_11target_archE910ELNS1_3gpuE8ELNS1_3repE0EEENS1_36merge_oddeven_config_static_selectorELNS0_4arch9wavefront6targetE1EEEvSF_,"axG",@progbits,_ZN7rocprim17ROCPRIM_400000_NS6detail17trampoline_kernelINS0_14default_configENS1_38merge_sort_block_merge_config_selectorIsNS0_10empty_typeEEEZZNS1_27merge_sort_block_merge_implIS3_PsPS5_jNS1_19radix_merge_compareILb1ELb0EsNS0_19identity_decomposerEEEEE10hipError_tT0_T1_T2_jT3_P12ihipStream_tbPNSt15iterator_traitsISE_E10value_typeEPNSK_ISF_E10value_typeEPSG_NS1_7vsmem_tEENKUlT_SE_SF_SG_E_clIS8_S8_S9_S9_EESD_ST_SE_SF_SG_EUlST_E1_NS1_11comp_targetILNS1_3genE4ELNS1_11target_archE910ELNS1_3gpuE8ELNS1_3repE0EEENS1_36merge_oddeven_config_static_selectorELNS0_4arch9wavefront6targetE1EEEvSF_,comdat
.Lfunc_end1779:
	.size	_ZN7rocprim17ROCPRIM_400000_NS6detail17trampoline_kernelINS0_14default_configENS1_38merge_sort_block_merge_config_selectorIsNS0_10empty_typeEEEZZNS1_27merge_sort_block_merge_implIS3_PsPS5_jNS1_19radix_merge_compareILb1ELb0EsNS0_19identity_decomposerEEEEE10hipError_tT0_T1_T2_jT3_P12ihipStream_tbPNSt15iterator_traitsISE_E10value_typeEPNSK_ISF_E10value_typeEPSG_NS1_7vsmem_tEENKUlT_SE_SF_SG_E_clIS8_S8_S9_S9_EESD_ST_SE_SF_SG_EUlST_E1_NS1_11comp_targetILNS1_3genE4ELNS1_11target_archE910ELNS1_3gpuE8ELNS1_3repE0EEENS1_36merge_oddeven_config_static_selectorELNS0_4arch9wavefront6targetE1EEEvSF_, .Lfunc_end1779-_ZN7rocprim17ROCPRIM_400000_NS6detail17trampoline_kernelINS0_14default_configENS1_38merge_sort_block_merge_config_selectorIsNS0_10empty_typeEEEZZNS1_27merge_sort_block_merge_implIS3_PsPS5_jNS1_19radix_merge_compareILb1ELb0EsNS0_19identity_decomposerEEEEE10hipError_tT0_T1_T2_jT3_P12ihipStream_tbPNSt15iterator_traitsISE_E10value_typeEPNSK_ISF_E10value_typeEPSG_NS1_7vsmem_tEENKUlT_SE_SF_SG_E_clIS8_S8_S9_S9_EESD_ST_SE_SF_SG_EUlST_E1_NS1_11comp_targetILNS1_3genE4ELNS1_11target_archE910ELNS1_3gpuE8ELNS1_3repE0EEENS1_36merge_oddeven_config_static_selectorELNS0_4arch9wavefront6targetE1EEEvSF_
                                        ; -- End function
	.section	.AMDGPU.csdata,"",@progbits
; Kernel info:
; codeLenInByte = 548
; NumSgprs: 25
; NumVgprs: 8
; NumAgprs: 0
; TotalNumVgprs: 8
; ScratchSize: 0
; MemoryBound: 0
; FloatMode: 240
; IeeeMode: 1
; LDSByteSize: 0 bytes/workgroup (compile time only)
; SGPRBlocks: 3
; VGPRBlocks: 0
; NumSGPRsForWavesPerEU: 25
; NumVGPRsForWavesPerEU: 8
; AccumOffset: 8
; Occupancy: 8
; WaveLimiterHint : 0
; COMPUTE_PGM_RSRC2:SCRATCH_EN: 0
; COMPUTE_PGM_RSRC2:USER_SGPR: 6
; COMPUTE_PGM_RSRC2:TRAP_HANDLER: 0
; COMPUTE_PGM_RSRC2:TGID_X_EN: 1
; COMPUTE_PGM_RSRC2:TGID_Y_EN: 0
; COMPUTE_PGM_RSRC2:TGID_Z_EN: 0
; COMPUTE_PGM_RSRC2:TIDIG_COMP_CNT: 0
; COMPUTE_PGM_RSRC3_GFX90A:ACCUM_OFFSET: 1
; COMPUTE_PGM_RSRC3_GFX90A:TG_SPLIT: 0
	.section	.text._ZN7rocprim17ROCPRIM_400000_NS6detail17trampoline_kernelINS0_14default_configENS1_38merge_sort_block_merge_config_selectorIsNS0_10empty_typeEEEZZNS1_27merge_sort_block_merge_implIS3_PsPS5_jNS1_19radix_merge_compareILb1ELb0EsNS0_19identity_decomposerEEEEE10hipError_tT0_T1_T2_jT3_P12ihipStream_tbPNSt15iterator_traitsISE_E10value_typeEPNSK_ISF_E10value_typeEPSG_NS1_7vsmem_tEENKUlT_SE_SF_SG_E_clIS8_S8_S9_S9_EESD_ST_SE_SF_SG_EUlST_E1_NS1_11comp_targetILNS1_3genE3ELNS1_11target_archE908ELNS1_3gpuE7ELNS1_3repE0EEENS1_36merge_oddeven_config_static_selectorELNS0_4arch9wavefront6targetE1EEEvSF_,"axG",@progbits,_ZN7rocprim17ROCPRIM_400000_NS6detail17trampoline_kernelINS0_14default_configENS1_38merge_sort_block_merge_config_selectorIsNS0_10empty_typeEEEZZNS1_27merge_sort_block_merge_implIS3_PsPS5_jNS1_19radix_merge_compareILb1ELb0EsNS0_19identity_decomposerEEEEE10hipError_tT0_T1_T2_jT3_P12ihipStream_tbPNSt15iterator_traitsISE_E10value_typeEPNSK_ISF_E10value_typeEPSG_NS1_7vsmem_tEENKUlT_SE_SF_SG_E_clIS8_S8_S9_S9_EESD_ST_SE_SF_SG_EUlST_E1_NS1_11comp_targetILNS1_3genE3ELNS1_11target_archE908ELNS1_3gpuE7ELNS1_3repE0EEENS1_36merge_oddeven_config_static_selectorELNS0_4arch9wavefront6targetE1EEEvSF_,comdat
	.protected	_ZN7rocprim17ROCPRIM_400000_NS6detail17trampoline_kernelINS0_14default_configENS1_38merge_sort_block_merge_config_selectorIsNS0_10empty_typeEEEZZNS1_27merge_sort_block_merge_implIS3_PsPS5_jNS1_19radix_merge_compareILb1ELb0EsNS0_19identity_decomposerEEEEE10hipError_tT0_T1_T2_jT3_P12ihipStream_tbPNSt15iterator_traitsISE_E10value_typeEPNSK_ISF_E10value_typeEPSG_NS1_7vsmem_tEENKUlT_SE_SF_SG_E_clIS8_S8_S9_S9_EESD_ST_SE_SF_SG_EUlST_E1_NS1_11comp_targetILNS1_3genE3ELNS1_11target_archE908ELNS1_3gpuE7ELNS1_3repE0EEENS1_36merge_oddeven_config_static_selectorELNS0_4arch9wavefront6targetE1EEEvSF_ ; -- Begin function _ZN7rocprim17ROCPRIM_400000_NS6detail17trampoline_kernelINS0_14default_configENS1_38merge_sort_block_merge_config_selectorIsNS0_10empty_typeEEEZZNS1_27merge_sort_block_merge_implIS3_PsPS5_jNS1_19radix_merge_compareILb1ELb0EsNS0_19identity_decomposerEEEEE10hipError_tT0_T1_T2_jT3_P12ihipStream_tbPNSt15iterator_traitsISE_E10value_typeEPNSK_ISF_E10value_typeEPSG_NS1_7vsmem_tEENKUlT_SE_SF_SG_E_clIS8_S8_S9_S9_EESD_ST_SE_SF_SG_EUlST_E1_NS1_11comp_targetILNS1_3genE3ELNS1_11target_archE908ELNS1_3gpuE7ELNS1_3repE0EEENS1_36merge_oddeven_config_static_selectorELNS0_4arch9wavefront6targetE1EEEvSF_
	.globl	_ZN7rocprim17ROCPRIM_400000_NS6detail17trampoline_kernelINS0_14default_configENS1_38merge_sort_block_merge_config_selectorIsNS0_10empty_typeEEEZZNS1_27merge_sort_block_merge_implIS3_PsPS5_jNS1_19radix_merge_compareILb1ELb0EsNS0_19identity_decomposerEEEEE10hipError_tT0_T1_T2_jT3_P12ihipStream_tbPNSt15iterator_traitsISE_E10value_typeEPNSK_ISF_E10value_typeEPSG_NS1_7vsmem_tEENKUlT_SE_SF_SG_E_clIS8_S8_S9_S9_EESD_ST_SE_SF_SG_EUlST_E1_NS1_11comp_targetILNS1_3genE3ELNS1_11target_archE908ELNS1_3gpuE7ELNS1_3repE0EEENS1_36merge_oddeven_config_static_selectorELNS0_4arch9wavefront6targetE1EEEvSF_
	.p2align	8
	.type	_ZN7rocprim17ROCPRIM_400000_NS6detail17trampoline_kernelINS0_14default_configENS1_38merge_sort_block_merge_config_selectorIsNS0_10empty_typeEEEZZNS1_27merge_sort_block_merge_implIS3_PsPS5_jNS1_19radix_merge_compareILb1ELb0EsNS0_19identity_decomposerEEEEE10hipError_tT0_T1_T2_jT3_P12ihipStream_tbPNSt15iterator_traitsISE_E10value_typeEPNSK_ISF_E10value_typeEPSG_NS1_7vsmem_tEENKUlT_SE_SF_SG_E_clIS8_S8_S9_S9_EESD_ST_SE_SF_SG_EUlST_E1_NS1_11comp_targetILNS1_3genE3ELNS1_11target_archE908ELNS1_3gpuE7ELNS1_3repE0EEENS1_36merge_oddeven_config_static_selectorELNS0_4arch9wavefront6targetE1EEEvSF_,@function
_ZN7rocprim17ROCPRIM_400000_NS6detail17trampoline_kernelINS0_14default_configENS1_38merge_sort_block_merge_config_selectorIsNS0_10empty_typeEEEZZNS1_27merge_sort_block_merge_implIS3_PsPS5_jNS1_19radix_merge_compareILb1ELb0EsNS0_19identity_decomposerEEEEE10hipError_tT0_T1_T2_jT3_P12ihipStream_tbPNSt15iterator_traitsISE_E10value_typeEPNSK_ISF_E10value_typeEPSG_NS1_7vsmem_tEENKUlT_SE_SF_SG_E_clIS8_S8_S9_S9_EESD_ST_SE_SF_SG_EUlST_E1_NS1_11comp_targetILNS1_3genE3ELNS1_11target_archE908ELNS1_3gpuE7ELNS1_3repE0EEENS1_36merge_oddeven_config_static_selectorELNS0_4arch9wavefront6targetE1EEEvSF_: ; @_ZN7rocprim17ROCPRIM_400000_NS6detail17trampoline_kernelINS0_14default_configENS1_38merge_sort_block_merge_config_selectorIsNS0_10empty_typeEEEZZNS1_27merge_sort_block_merge_implIS3_PsPS5_jNS1_19radix_merge_compareILb1ELb0EsNS0_19identity_decomposerEEEEE10hipError_tT0_T1_T2_jT3_P12ihipStream_tbPNSt15iterator_traitsISE_E10value_typeEPNSK_ISF_E10value_typeEPSG_NS1_7vsmem_tEENKUlT_SE_SF_SG_E_clIS8_S8_S9_S9_EESD_ST_SE_SF_SG_EUlST_E1_NS1_11comp_targetILNS1_3genE3ELNS1_11target_archE908ELNS1_3gpuE7ELNS1_3repE0EEENS1_36merge_oddeven_config_static_selectorELNS0_4arch9wavefront6targetE1EEEvSF_
; %bb.0:
	.section	.rodata,"a",@progbits
	.p2align	6, 0x0
	.amdhsa_kernel _ZN7rocprim17ROCPRIM_400000_NS6detail17trampoline_kernelINS0_14default_configENS1_38merge_sort_block_merge_config_selectorIsNS0_10empty_typeEEEZZNS1_27merge_sort_block_merge_implIS3_PsPS5_jNS1_19radix_merge_compareILb1ELb0EsNS0_19identity_decomposerEEEEE10hipError_tT0_T1_T2_jT3_P12ihipStream_tbPNSt15iterator_traitsISE_E10value_typeEPNSK_ISF_E10value_typeEPSG_NS1_7vsmem_tEENKUlT_SE_SF_SG_E_clIS8_S8_S9_S9_EESD_ST_SE_SF_SG_EUlST_E1_NS1_11comp_targetILNS1_3genE3ELNS1_11target_archE908ELNS1_3gpuE7ELNS1_3repE0EEENS1_36merge_oddeven_config_static_selectorELNS0_4arch9wavefront6targetE1EEEvSF_
		.amdhsa_group_segment_fixed_size 0
		.amdhsa_private_segment_fixed_size 0
		.amdhsa_kernarg_size 48
		.amdhsa_user_sgpr_count 6
		.amdhsa_user_sgpr_private_segment_buffer 1
		.amdhsa_user_sgpr_dispatch_ptr 0
		.amdhsa_user_sgpr_queue_ptr 0
		.amdhsa_user_sgpr_kernarg_segment_ptr 1
		.amdhsa_user_sgpr_dispatch_id 0
		.amdhsa_user_sgpr_flat_scratch_init 0
		.amdhsa_user_sgpr_kernarg_preload_length 0
		.amdhsa_user_sgpr_kernarg_preload_offset 0
		.amdhsa_user_sgpr_private_segment_size 0
		.amdhsa_uses_dynamic_stack 0
		.amdhsa_system_sgpr_private_segment_wavefront_offset 0
		.amdhsa_system_sgpr_workgroup_id_x 1
		.amdhsa_system_sgpr_workgroup_id_y 0
		.amdhsa_system_sgpr_workgroup_id_z 0
		.amdhsa_system_sgpr_workgroup_info 0
		.amdhsa_system_vgpr_workitem_id 0
		.amdhsa_next_free_vgpr 1
		.amdhsa_next_free_sgpr 0
		.amdhsa_accum_offset 4
		.amdhsa_reserve_vcc 0
		.amdhsa_reserve_flat_scratch 0
		.amdhsa_float_round_mode_32 0
		.amdhsa_float_round_mode_16_64 0
		.amdhsa_float_denorm_mode_32 3
		.amdhsa_float_denorm_mode_16_64 3
		.amdhsa_dx10_clamp 1
		.amdhsa_ieee_mode 1
		.amdhsa_fp16_overflow 0
		.amdhsa_tg_split 0
		.amdhsa_exception_fp_ieee_invalid_op 0
		.amdhsa_exception_fp_denorm_src 0
		.amdhsa_exception_fp_ieee_div_zero 0
		.amdhsa_exception_fp_ieee_overflow 0
		.amdhsa_exception_fp_ieee_underflow 0
		.amdhsa_exception_fp_ieee_inexact 0
		.amdhsa_exception_int_div_zero 0
	.end_amdhsa_kernel
	.section	.text._ZN7rocprim17ROCPRIM_400000_NS6detail17trampoline_kernelINS0_14default_configENS1_38merge_sort_block_merge_config_selectorIsNS0_10empty_typeEEEZZNS1_27merge_sort_block_merge_implIS3_PsPS5_jNS1_19radix_merge_compareILb1ELb0EsNS0_19identity_decomposerEEEEE10hipError_tT0_T1_T2_jT3_P12ihipStream_tbPNSt15iterator_traitsISE_E10value_typeEPNSK_ISF_E10value_typeEPSG_NS1_7vsmem_tEENKUlT_SE_SF_SG_E_clIS8_S8_S9_S9_EESD_ST_SE_SF_SG_EUlST_E1_NS1_11comp_targetILNS1_3genE3ELNS1_11target_archE908ELNS1_3gpuE7ELNS1_3repE0EEENS1_36merge_oddeven_config_static_selectorELNS0_4arch9wavefront6targetE1EEEvSF_,"axG",@progbits,_ZN7rocprim17ROCPRIM_400000_NS6detail17trampoline_kernelINS0_14default_configENS1_38merge_sort_block_merge_config_selectorIsNS0_10empty_typeEEEZZNS1_27merge_sort_block_merge_implIS3_PsPS5_jNS1_19radix_merge_compareILb1ELb0EsNS0_19identity_decomposerEEEEE10hipError_tT0_T1_T2_jT3_P12ihipStream_tbPNSt15iterator_traitsISE_E10value_typeEPNSK_ISF_E10value_typeEPSG_NS1_7vsmem_tEENKUlT_SE_SF_SG_E_clIS8_S8_S9_S9_EESD_ST_SE_SF_SG_EUlST_E1_NS1_11comp_targetILNS1_3genE3ELNS1_11target_archE908ELNS1_3gpuE7ELNS1_3repE0EEENS1_36merge_oddeven_config_static_selectorELNS0_4arch9wavefront6targetE1EEEvSF_,comdat
.Lfunc_end1780:
	.size	_ZN7rocprim17ROCPRIM_400000_NS6detail17trampoline_kernelINS0_14default_configENS1_38merge_sort_block_merge_config_selectorIsNS0_10empty_typeEEEZZNS1_27merge_sort_block_merge_implIS3_PsPS5_jNS1_19radix_merge_compareILb1ELb0EsNS0_19identity_decomposerEEEEE10hipError_tT0_T1_T2_jT3_P12ihipStream_tbPNSt15iterator_traitsISE_E10value_typeEPNSK_ISF_E10value_typeEPSG_NS1_7vsmem_tEENKUlT_SE_SF_SG_E_clIS8_S8_S9_S9_EESD_ST_SE_SF_SG_EUlST_E1_NS1_11comp_targetILNS1_3genE3ELNS1_11target_archE908ELNS1_3gpuE7ELNS1_3repE0EEENS1_36merge_oddeven_config_static_selectorELNS0_4arch9wavefront6targetE1EEEvSF_, .Lfunc_end1780-_ZN7rocprim17ROCPRIM_400000_NS6detail17trampoline_kernelINS0_14default_configENS1_38merge_sort_block_merge_config_selectorIsNS0_10empty_typeEEEZZNS1_27merge_sort_block_merge_implIS3_PsPS5_jNS1_19radix_merge_compareILb1ELb0EsNS0_19identity_decomposerEEEEE10hipError_tT0_T1_T2_jT3_P12ihipStream_tbPNSt15iterator_traitsISE_E10value_typeEPNSK_ISF_E10value_typeEPSG_NS1_7vsmem_tEENKUlT_SE_SF_SG_E_clIS8_S8_S9_S9_EESD_ST_SE_SF_SG_EUlST_E1_NS1_11comp_targetILNS1_3genE3ELNS1_11target_archE908ELNS1_3gpuE7ELNS1_3repE0EEENS1_36merge_oddeven_config_static_selectorELNS0_4arch9wavefront6targetE1EEEvSF_
                                        ; -- End function
	.section	.AMDGPU.csdata,"",@progbits
; Kernel info:
; codeLenInByte = 0
; NumSgprs: 4
; NumVgprs: 0
; NumAgprs: 0
; TotalNumVgprs: 0
; ScratchSize: 0
; MemoryBound: 0
; FloatMode: 240
; IeeeMode: 1
; LDSByteSize: 0 bytes/workgroup (compile time only)
; SGPRBlocks: 0
; VGPRBlocks: 0
; NumSGPRsForWavesPerEU: 4
; NumVGPRsForWavesPerEU: 1
; AccumOffset: 4
; Occupancy: 8
; WaveLimiterHint : 0
; COMPUTE_PGM_RSRC2:SCRATCH_EN: 0
; COMPUTE_PGM_RSRC2:USER_SGPR: 6
; COMPUTE_PGM_RSRC2:TRAP_HANDLER: 0
; COMPUTE_PGM_RSRC2:TGID_X_EN: 1
; COMPUTE_PGM_RSRC2:TGID_Y_EN: 0
; COMPUTE_PGM_RSRC2:TGID_Z_EN: 0
; COMPUTE_PGM_RSRC2:TIDIG_COMP_CNT: 0
; COMPUTE_PGM_RSRC3_GFX90A:ACCUM_OFFSET: 0
; COMPUTE_PGM_RSRC3_GFX90A:TG_SPLIT: 0
	.section	.text._ZN7rocprim17ROCPRIM_400000_NS6detail17trampoline_kernelINS0_14default_configENS1_38merge_sort_block_merge_config_selectorIsNS0_10empty_typeEEEZZNS1_27merge_sort_block_merge_implIS3_PsPS5_jNS1_19radix_merge_compareILb1ELb0EsNS0_19identity_decomposerEEEEE10hipError_tT0_T1_T2_jT3_P12ihipStream_tbPNSt15iterator_traitsISE_E10value_typeEPNSK_ISF_E10value_typeEPSG_NS1_7vsmem_tEENKUlT_SE_SF_SG_E_clIS8_S8_S9_S9_EESD_ST_SE_SF_SG_EUlST_E1_NS1_11comp_targetILNS1_3genE2ELNS1_11target_archE906ELNS1_3gpuE6ELNS1_3repE0EEENS1_36merge_oddeven_config_static_selectorELNS0_4arch9wavefront6targetE1EEEvSF_,"axG",@progbits,_ZN7rocprim17ROCPRIM_400000_NS6detail17trampoline_kernelINS0_14default_configENS1_38merge_sort_block_merge_config_selectorIsNS0_10empty_typeEEEZZNS1_27merge_sort_block_merge_implIS3_PsPS5_jNS1_19radix_merge_compareILb1ELb0EsNS0_19identity_decomposerEEEEE10hipError_tT0_T1_T2_jT3_P12ihipStream_tbPNSt15iterator_traitsISE_E10value_typeEPNSK_ISF_E10value_typeEPSG_NS1_7vsmem_tEENKUlT_SE_SF_SG_E_clIS8_S8_S9_S9_EESD_ST_SE_SF_SG_EUlST_E1_NS1_11comp_targetILNS1_3genE2ELNS1_11target_archE906ELNS1_3gpuE6ELNS1_3repE0EEENS1_36merge_oddeven_config_static_selectorELNS0_4arch9wavefront6targetE1EEEvSF_,comdat
	.protected	_ZN7rocprim17ROCPRIM_400000_NS6detail17trampoline_kernelINS0_14default_configENS1_38merge_sort_block_merge_config_selectorIsNS0_10empty_typeEEEZZNS1_27merge_sort_block_merge_implIS3_PsPS5_jNS1_19radix_merge_compareILb1ELb0EsNS0_19identity_decomposerEEEEE10hipError_tT0_T1_T2_jT3_P12ihipStream_tbPNSt15iterator_traitsISE_E10value_typeEPNSK_ISF_E10value_typeEPSG_NS1_7vsmem_tEENKUlT_SE_SF_SG_E_clIS8_S8_S9_S9_EESD_ST_SE_SF_SG_EUlST_E1_NS1_11comp_targetILNS1_3genE2ELNS1_11target_archE906ELNS1_3gpuE6ELNS1_3repE0EEENS1_36merge_oddeven_config_static_selectorELNS0_4arch9wavefront6targetE1EEEvSF_ ; -- Begin function _ZN7rocprim17ROCPRIM_400000_NS6detail17trampoline_kernelINS0_14default_configENS1_38merge_sort_block_merge_config_selectorIsNS0_10empty_typeEEEZZNS1_27merge_sort_block_merge_implIS3_PsPS5_jNS1_19radix_merge_compareILb1ELb0EsNS0_19identity_decomposerEEEEE10hipError_tT0_T1_T2_jT3_P12ihipStream_tbPNSt15iterator_traitsISE_E10value_typeEPNSK_ISF_E10value_typeEPSG_NS1_7vsmem_tEENKUlT_SE_SF_SG_E_clIS8_S8_S9_S9_EESD_ST_SE_SF_SG_EUlST_E1_NS1_11comp_targetILNS1_3genE2ELNS1_11target_archE906ELNS1_3gpuE6ELNS1_3repE0EEENS1_36merge_oddeven_config_static_selectorELNS0_4arch9wavefront6targetE1EEEvSF_
	.globl	_ZN7rocprim17ROCPRIM_400000_NS6detail17trampoline_kernelINS0_14default_configENS1_38merge_sort_block_merge_config_selectorIsNS0_10empty_typeEEEZZNS1_27merge_sort_block_merge_implIS3_PsPS5_jNS1_19radix_merge_compareILb1ELb0EsNS0_19identity_decomposerEEEEE10hipError_tT0_T1_T2_jT3_P12ihipStream_tbPNSt15iterator_traitsISE_E10value_typeEPNSK_ISF_E10value_typeEPSG_NS1_7vsmem_tEENKUlT_SE_SF_SG_E_clIS8_S8_S9_S9_EESD_ST_SE_SF_SG_EUlST_E1_NS1_11comp_targetILNS1_3genE2ELNS1_11target_archE906ELNS1_3gpuE6ELNS1_3repE0EEENS1_36merge_oddeven_config_static_selectorELNS0_4arch9wavefront6targetE1EEEvSF_
	.p2align	8
	.type	_ZN7rocprim17ROCPRIM_400000_NS6detail17trampoline_kernelINS0_14default_configENS1_38merge_sort_block_merge_config_selectorIsNS0_10empty_typeEEEZZNS1_27merge_sort_block_merge_implIS3_PsPS5_jNS1_19radix_merge_compareILb1ELb0EsNS0_19identity_decomposerEEEEE10hipError_tT0_T1_T2_jT3_P12ihipStream_tbPNSt15iterator_traitsISE_E10value_typeEPNSK_ISF_E10value_typeEPSG_NS1_7vsmem_tEENKUlT_SE_SF_SG_E_clIS8_S8_S9_S9_EESD_ST_SE_SF_SG_EUlST_E1_NS1_11comp_targetILNS1_3genE2ELNS1_11target_archE906ELNS1_3gpuE6ELNS1_3repE0EEENS1_36merge_oddeven_config_static_selectorELNS0_4arch9wavefront6targetE1EEEvSF_,@function
_ZN7rocprim17ROCPRIM_400000_NS6detail17trampoline_kernelINS0_14default_configENS1_38merge_sort_block_merge_config_selectorIsNS0_10empty_typeEEEZZNS1_27merge_sort_block_merge_implIS3_PsPS5_jNS1_19radix_merge_compareILb1ELb0EsNS0_19identity_decomposerEEEEE10hipError_tT0_T1_T2_jT3_P12ihipStream_tbPNSt15iterator_traitsISE_E10value_typeEPNSK_ISF_E10value_typeEPSG_NS1_7vsmem_tEENKUlT_SE_SF_SG_E_clIS8_S8_S9_S9_EESD_ST_SE_SF_SG_EUlST_E1_NS1_11comp_targetILNS1_3genE2ELNS1_11target_archE906ELNS1_3gpuE6ELNS1_3repE0EEENS1_36merge_oddeven_config_static_selectorELNS0_4arch9wavefront6targetE1EEEvSF_: ; @_ZN7rocprim17ROCPRIM_400000_NS6detail17trampoline_kernelINS0_14default_configENS1_38merge_sort_block_merge_config_selectorIsNS0_10empty_typeEEEZZNS1_27merge_sort_block_merge_implIS3_PsPS5_jNS1_19radix_merge_compareILb1ELb0EsNS0_19identity_decomposerEEEEE10hipError_tT0_T1_T2_jT3_P12ihipStream_tbPNSt15iterator_traitsISE_E10value_typeEPNSK_ISF_E10value_typeEPSG_NS1_7vsmem_tEENKUlT_SE_SF_SG_E_clIS8_S8_S9_S9_EESD_ST_SE_SF_SG_EUlST_E1_NS1_11comp_targetILNS1_3genE2ELNS1_11target_archE906ELNS1_3gpuE6ELNS1_3repE0EEENS1_36merge_oddeven_config_static_selectorELNS0_4arch9wavefront6targetE1EEEvSF_
; %bb.0:
	.section	.rodata,"a",@progbits
	.p2align	6, 0x0
	.amdhsa_kernel _ZN7rocprim17ROCPRIM_400000_NS6detail17trampoline_kernelINS0_14default_configENS1_38merge_sort_block_merge_config_selectorIsNS0_10empty_typeEEEZZNS1_27merge_sort_block_merge_implIS3_PsPS5_jNS1_19radix_merge_compareILb1ELb0EsNS0_19identity_decomposerEEEEE10hipError_tT0_T1_T2_jT3_P12ihipStream_tbPNSt15iterator_traitsISE_E10value_typeEPNSK_ISF_E10value_typeEPSG_NS1_7vsmem_tEENKUlT_SE_SF_SG_E_clIS8_S8_S9_S9_EESD_ST_SE_SF_SG_EUlST_E1_NS1_11comp_targetILNS1_3genE2ELNS1_11target_archE906ELNS1_3gpuE6ELNS1_3repE0EEENS1_36merge_oddeven_config_static_selectorELNS0_4arch9wavefront6targetE1EEEvSF_
		.amdhsa_group_segment_fixed_size 0
		.amdhsa_private_segment_fixed_size 0
		.amdhsa_kernarg_size 48
		.amdhsa_user_sgpr_count 6
		.amdhsa_user_sgpr_private_segment_buffer 1
		.amdhsa_user_sgpr_dispatch_ptr 0
		.amdhsa_user_sgpr_queue_ptr 0
		.amdhsa_user_sgpr_kernarg_segment_ptr 1
		.amdhsa_user_sgpr_dispatch_id 0
		.amdhsa_user_sgpr_flat_scratch_init 0
		.amdhsa_user_sgpr_kernarg_preload_length 0
		.amdhsa_user_sgpr_kernarg_preload_offset 0
		.amdhsa_user_sgpr_private_segment_size 0
		.amdhsa_uses_dynamic_stack 0
		.amdhsa_system_sgpr_private_segment_wavefront_offset 0
		.amdhsa_system_sgpr_workgroup_id_x 1
		.amdhsa_system_sgpr_workgroup_id_y 0
		.amdhsa_system_sgpr_workgroup_id_z 0
		.amdhsa_system_sgpr_workgroup_info 0
		.amdhsa_system_vgpr_workitem_id 0
		.amdhsa_next_free_vgpr 1
		.amdhsa_next_free_sgpr 0
		.amdhsa_accum_offset 4
		.amdhsa_reserve_vcc 0
		.amdhsa_reserve_flat_scratch 0
		.amdhsa_float_round_mode_32 0
		.amdhsa_float_round_mode_16_64 0
		.amdhsa_float_denorm_mode_32 3
		.amdhsa_float_denorm_mode_16_64 3
		.amdhsa_dx10_clamp 1
		.amdhsa_ieee_mode 1
		.amdhsa_fp16_overflow 0
		.amdhsa_tg_split 0
		.amdhsa_exception_fp_ieee_invalid_op 0
		.amdhsa_exception_fp_denorm_src 0
		.amdhsa_exception_fp_ieee_div_zero 0
		.amdhsa_exception_fp_ieee_overflow 0
		.amdhsa_exception_fp_ieee_underflow 0
		.amdhsa_exception_fp_ieee_inexact 0
		.amdhsa_exception_int_div_zero 0
	.end_amdhsa_kernel
	.section	.text._ZN7rocprim17ROCPRIM_400000_NS6detail17trampoline_kernelINS0_14default_configENS1_38merge_sort_block_merge_config_selectorIsNS0_10empty_typeEEEZZNS1_27merge_sort_block_merge_implIS3_PsPS5_jNS1_19radix_merge_compareILb1ELb0EsNS0_19identity_decomposerEEEEE10hipError_tT0_T1_T2_jT3_P12ihipStream_tbPNSt15iterator_traitsISE_E10value_typeEPNSK_ISF_E10value_typeEPSG_NS1_7vsmem_tEENKUlT_SE_SF_SG_E_clIS8_S8_S9_S9_EESD_ST_SE_SF_SG_EUlST_E1_NS1_11comp_targetILNS1_3genE2ELNS1_11target_archE906ELNS1_3gpuE6ELNS1_3repE0EEENS1_36merge_oddeven_config_static_selectorELNS0_4arch9wavefront6targetE1EEEvSF_,"axG",@progbits,_ZN7rocprim17ROCPRIM_400000_NS6detail17trampoline_kernelINS0_14default_configENS1_38merge_sort_block_merge_config_selectorIsNS0_10empty_typeEEEZZNS1_27merge_sort_block_merge_implIS3_PsPS5_jNS1_19radix_merge_compareILb1ELb0EsNS0_19identity_decomposerEEEEE10hipError_tT0_T1_T2_jT3_P12ihipStream_tbPNSt15iterator_traitsISE_E10value_typeEPNSK_ISF_E10value_typeEPSG_NS1_7vsmem_tEENKUlT_SE_SF_SG_E_clIS8_S8_S9_S9_EESD_ST_SE_SF_SG_EUlST_E1_NS1_11comp_targetILNS1_3genE2ELNS1_11target_archE906ELNS1_3gpuE6ELNS1_3repE0EEENS1_36merge_oddeven_config_static_selectorELNS0_4arch9wavefront6targetE1EEEvSF_,comdat
.Lfunc_end1781:
	.size	_ZN7rocprim17ROCPRIM_400000_NS6detail17trampoline_kernelINS0_14default_configENS1_38merge_sort_block_merge_config_selectorIsNS0_10empty_typeEEEZZNS1_27merge_sort_block_merge_implIS3_PsPS5_jNS1_19radix_merge_compareILb1ELb0EsNS0_19identity_decomposerEEEEE10hipError_tT0_T1_T2_jT3_P12ihipStream_tbPNSt15iterator_traitsISE_E10value_typeEPNSK_ISF_E10value_typeEPSG_NS1_7vsmem_tEENKUlT_SE_SF_SG_E_clIS8_S8_S9_S9_EESD_ST_SE_SF_SG_EUlST_E1_NS1_11comp_targetILNS1_3genE2ELNS1_11target_archE906ELNS1_3gpuE6ELNS1_3repE0EEENS1_36merge_oddeven_config_static_selectorELNS0_4arch9wavefront6targetE1EEEvSF_, .Lfunc_end1781-_ZN7rocprim17ROCPRIM_400000_NS6detail17trampoline_kernelINS0_14default_configENS1_38merge_sort_block_merge_config_selectorIsNS0_10empty_typeEEEZZNS1_27merge_sort_block_merge_implIS3_PsPS5_jNS1_19radix_merge_compareILb1ELb0EsNS0_19identity_decomposerEEEEE10hipError_tT0_T1_T2_jT3_P12ihipStream_tbPNSt15iterator_traitsISE_E10value_typeEPNSK_ISF_E10value_typeEPSG_NS1_7vsmem_tEENKUlT_SE_SF_SG_E_clIS8_S8_S9_S9_EESD_ST_SE_SF_SG_EUlST_E1_NS1_11comp_targetILNS1_3genE2ELNS1_11target_archE906ELNS1_3gpuE6ELNS1_3repE0EEENS1_36merge_oddeven_config_static_selectorELNS0_4arch9wavefront6targetE1EEEvSF_
                                        ; -- End function
	.section	.AMDGPU.csdata,"",@progbits
; Kernel info:
; codeLenInByte = 0
; NumSgprs: 4
; NumVgprs: 0
; NumAgprs: 0
; TotalNumVgprs: 0
; ScratchSize: 0
; MemoryBound: 0
; FloatMode: 240
; IeeeMode: 1
; LDSByteSize: 0 bytes/workgroup (compile time only)
; SGPRBlocks: 0
; VGPRBlocks: 0
; NumSGPRsForWavesPerEU: 4
; NumVGPRsForWavesPerEU: 1
; AccumOffset: 4
; Occupancy: 8
; WaveLimiterHint : 0
; COMPUTE_PGM_RSRC2:SCRATCH_EN: 0
; COMPUTE_PGM_RSRC2:USER_SGPR: 6
; COMPUTE_PGM_RSRC2:TRAP_HANDLER: 0
; COMPUTE_PGM_RSRC2:TGID_X_EN: 1
; COMPUTE_PGM_RSRC2:TGID_Y_EN: 0
; COMPUTE_PGM_RSRC2:TGID_Z_EN: 0
; COMPUTE_PGM_RSRC2:TIDIG_COMP_CNT: 0
; COMPUTE_PGM_RSRC3_GFX90A:ACCUM_OFFSET: 0
; COMPUTE_PGM_RSRC3_GFX90A:TG_SPLIT: 0
	.section	.text._ZN7rocprim17ROCPRIM_400000_NS6detail17trampoline_kernelINS0_14default_configENS1_38merge_sort_block_merge_config_selectorIsNS0_10empty_typeEEEZZNS1_27merge_sort_block_merge_implIS3_PsPS5_jNS1_19radix_merge_compareILb1ELb0EsNS0_19identity_decomposerEEEEE10hipError_tT0_T1_T2_jT3_P12ihipStream_tbPNSt15iterator_traitsISE_E10value_typeEPNSK_ISF_E10value_typeEPSG_NS1_7vsmem_tEENKUlT_SE_SF_SG_E_clIS8_S8_S9_S9_EESD_ST_SE_SF_SG_EUlST_E1_NS1_11comp_targetILNS1_3genE9ELNS1_11target_archE1100ELNS1_3gpuE3ELNS1_3repE0EEENS1_36merge_oddeven_config_static_selectorELNS0_4arch9wavefront6targetE1EEEvSF_,"axG",@progbits,_ZN7rocprim17ROCPRIM_400000_NS6detail17trampoline_kernelINS0_14default_configENS1_38merge_sort_block_merge_config_selectorIsNS0_10empty_typeEEEZZNS1_27merge_sort_block_merge_implIS3_PsPS5_jNS1_19radix_merge_compareILb1ELb0EsNS0_19identity_decomposerEEEEE10hipError_tT0_T1_T2_jT3_P12ihipStream_tbPNSt15iterator_traitsISE_E10value_typeEPNSK_ISF_E10value_typeEPSG_NS1_7vsmem_tEENKUlT_SE_SF_SG_E_clIS8_S8_S9_S9_EESD_ST_SE_SF_SG_EUlST_E1_NS1_11comp_targetILNS1_3genE9ELNS1_11target_archE1100ELNS1_3gpuE3ELNS1_3repE0EEENS1_36merge_oddeven_config_static_selectorELNS0_4arch9wavefront6targetE1EEEvSF_,comdat
	.protected	_ZN7rocprim17ROCPRIM_400000_NS6detail17trampoline_kernelINS0_14default_configENS1_38merge_sort_block_merge_config_selectorIsNS0_10empty_typeEEEZZNS1_27merge_sort_block_merge_implIS3_PsPS5_jNS1_19radix_merge_compareILb1ELb0EsNS0_19identity_decomposerEEEEE10hipError_tT0_T1_T2_jT3_P12ihipStream_tbPNSt15iterator_traitsISE_E10value_typeEPNSK_ISF_E10value_typeEPSG_NS1_7vsmem_tEENKUlT_SE_SF_SG_E_clIS8_S8_S9_S9_EESD_ST_SE_SF_SG_EUlST_E1_NS1_11comp_targetILNS1_3genE9ELNS1_11target_archE1100ELNS1_3gpuE3ELNS1_3repE0EEENS1_36merge_oddeven_config_static_selectorELNS0_4arch9wavefront6targetE1EEEvSF_ ; -- Begin function _ZN7rocprim17ROCPRIM_400000_NS6detail17trampoline_kernelINS0_14default_configENS1_38merge_sort_block_merge_config_selectorIsNS0_10empty_typeEEEZZNS1_27merge_sort_block_merge_implIS3_PsPS5_jNS1_19radix_merge_compareILb1ELb0EsNS0_19identity_decomposerEEEEE10hipError_tT0_T1_T2_jT3_P12ihipStream_tbPNSt15iterator_traitsISE_E10value_typeEPNSK_ISF_E10value_typeEPSG_NS1_7vsmem_tEENKUlT_SE_SF_SG_E_clIS8_S8_S9_S9_EESD_ST_SE_SF_SG_EUlST_E1_NS1_11comp_targetILNS1_3genE9ELNS1_11target_archE1100ELNS1_3gpuE3ELNS1_3repE0EEENS1_36merge_oddeven_config_static_selectorELNS0_4arch9wavefront6targetE1EEEvSF_
	.globl	_ZN7rocprim17ROCPRIM_400000_NS6detail17trampoline_kernelINS0_14default_configENS1_38merge_sort_block_merge_config_selectorIsNS0_10empty_typeEEEZZNS1_27merge_sort_block_merge_implIS3_PsPS5_jNS1_19radix_merge_compareILb1ELb0EsNS0_19identity_decomposerEEEEE10hipError_tT0_T1_T2_jT3_P12ihipStream_tbPNSt15iterator_traitsISE_E10value_typeEPNSK_ISF_E10value_typeEPSG_NS1_7vsmem_tEENKUlT_SE_SF_SG_E_clIS8_S8_S9_S9_EESD_ST_SE_SF_SG_EUlST_E1_NS1_11comp_targetILNS1_3genE9ELNS1_11target_archE1100ELNS1_3gpuE3ELNS1_3repE0EEENS1_36merge_oddeven_config_static_selectorELNS0_4arch9wavefront6targetE1EEEvSF_
	.p2align	8
	.type	_ZN7rocprim17ROCPRIM_400000_NS6detail17trampoline_kernelINS0_14default_configENS1_38merge_sort_block_merge_config_selectorIsNS0_10empty_typeEEEZZNS1_27merge_sort_block_merge_implIS3_PsPS5_jNS1_19radix_merge_compareILb1ELb0EsNS0_19identity_decomposerEEEEE10hipError_tT0_T1_T2_jT3_P12ihipStream_tbPNSt15iterator_traitsISE_E10value_typeEPNSK_ISF_E10value_typeEPSG_NS1_7vsmem_tEENKUlT_SE_SF_SG_E_clIS8_S8_S9_S9_EESD_ST_SE_SF_SG_EUlST_E1_NS1_11comp_targetILNS1_3genE9ELNS1_11target_archE1100ELNS1_3gpuE3ELNS1_3repE0EEENS1_36merge_oddeven_config_static_selectorELNS0_4arch9wavefront6targetE1EEEvSF_,@function
_ZN7rocprim17ROCPRIM_400000_NS6detail17trampoline_kernelINS0_14default_configENS1_38merge_sort_block_merge_config_selectorIsNS0_10empty_typeEEEZZNS1_27merge_sort_block_merge_implIS3_PsPS5_jNS1_19radix_merge_compareILb1ELb0EsNS0_19identity_decomposerEEEEE10hipError_tT0_T1_T2_jT3_P12ihipStream_tbPNSt15iterator_traitsISE_E10value_typeEPNSK_ISF_E10value_typeEPSG_NS1_7vsmem_tEENKUlT_SE_SF_SG_E_clIS8_S8_S9_S9_EESD_ST_SE_SF_SG_EUlST_E1_NS1_11comp_targetILNS1_3genE9ELNS1_11target_archE1100ELNS1_3gpuE3ELNS1_3repE0EEENS1_36merge_oddeven_config_static_selectorELNS0_4arch9wavefront6targetE1EEEvSF_: ; @_ZN7rocprim17ROCPRIM_400000_NS6detail17trampoline_kernelINS0_14default_configENS1_38merge_sort_block_merge_config_selectorIsNS0_10empty_typeEEEZZNS1_27merge_sort_block_merge_implIS3_PsPS5_jNS1_19radix_merge_compareILb1ELb0EsNS0_19identity_decomposerEEEEE10hipError_tT0_T1_T2_jT3_P12ihipStream_tbPNSt15iterator_traitsISE_E10value_typeEPNSK_ISF_E10value_typeEPSG_NS1_7vsmem_tEENKUlT_SE_SF_SG_E_clIS8_S8_S9_S9_EESD_ST_SE_SF_SG_EUlST_E1_NS1_11comp_targetILNS1_3genE9ELNS1_11target_archE1100ELNS1_3gpuE3ELNS1_3repE0EEENS1_36merge_oddeven_config_static_selectorELNS0_4arch9wavefront6targetE1EEEvSF_
; %bb.0:
	.section	.rodata,"a",@progbits
	.p2align	6, 0x0
	.amdhsa_kernel _ZN7rocprim17ROCPRIM_400000_NS6detail17trampoline_kernelINS0_14default_configENS1_38merge_sort_block_merge_config_selectorIsNS0_10empty_typeEEEZZNS1_27merge_sort_block_merge_implIS3_PsPS5_jNS1_19radix_merge_compareILb1ELb0EsNS0_19identity_decomposerEEEEE10hipError_tT0_T1_T2_jT3_P12ihipStream_tbPNSt15iterator_traitsISE_E10value_typeEPNSK_ISF_E10value_typeEPSG_NS1_7vsmem_tEENKUlT_SE_SF_SG_E_clIS8_S8_S9_S9_EESD_ST_SE_SF_SG_EUlST_E1_NS1_11comp_targetILNS1_3genE9ELNS1_11target_archE1100ELNS1_3gpuE3ELNS1_3repE0EEENS1_36merge_oddeven_config_static_selectorELNS0_4arch9wavefront6targetE1EEEvSF_
		.amdhsa_group_segment_fixed_size 0
		.amdhsa_private_segment_fixed_size 0
		.amdhsa_kernarg_size 48
		.amdhsa_user_sgpr_count 6
		.amdhsa_user_sgpr_private_segment_buffer 1
		.amdhsa_user_sgpr_dispatch_ptr 0
		.amdhsa_user_sgpr_queue_ptr 0
		.amdhsa_user_sgpr_kernarg_segment_ptr 1
		.amdhsa_user_sgpr_dispatch_id 0
		.amdhsa_user_sgpr_flat_scratch_init 0
		.amdhsa_user_sgpr_kernarg_preload_length 0
		.amdhsa_user_sgpr_kernarg_preload_offset 0
		.amdhsa_user_sgpr_private_segment_size 0
		.amdhsa_uses_dynamic_stack 0
		.amdhsa_system_sgpr_private_segment_wavefront_offset 0
		.amdhsa_system_sgpr_workgroup_id_x 1
		.amdhsa_system_sgpr_workgroup_id_y 0
		.amdhsa_system_sgpr_workgroup_id_z 0
		.amdhsa_system_sgpr_workgroup_info 0
		.amdhsa_system_vgpr_workitem_id 0
		.amdhsa_next_free_vgpr 1
		.amdhsa_next_free_sgpr 0
		.amdhsa_accum_offset 4
		.amdhsa_reserve_vcc 0
		.amdhsa_reserve_flat_scratch 0
		.amdhsa_float_round_mode_32 0
		.amdhsa_float_round_mode_16_64 0
		.amdhsa_float_denorm_mode_32 3
		.amdhsa_float_denorm_mode_16_64 3
		.amdhsa_dx10_clamp 1
		.amdhsa_ieee_mode 1
		.amdhsa_fp16_overflow 0
		.amdhsa_tg_split 0
		.amdhsa_exception_fp_ieee_invalid_op 0
		.amdhsa_exception_fp_denorm_src 0
		.amdhsa_exception_fp_ieee_div_zero 0
		.amdhsa_exception_fp_ieee_overflow 0
		.amdhsa_exception_fp_ieee_underflow 0
		.amdhsa_exception_fp_ieee_inexact 0
		.amdhsa_exception_int_div_zero 0
	.end_amdhsa_kernel
	.section	.text._ZN7rocprim17ROCPRIM_400000_NS6detail17trampoline_kernelINS0_14default_configENS1_38merge_sort_block_merge_config_selectorIsNS0_10empty_typeEEEZZNS1_27merge_sort_block_merge_implIS3_PsPS5_jNS1_19radix_merge_compareILb1ELb0EsNS0_19identity_decomposerEEEEE10hipError_tT0_T1_T2_jT3_P12ihipStream_tbPNSt15iterator_traitsISE_E10value_typeEPNSK_ISF_E10value_typeEPSG_NS1_7vsmem_tEENKUlT_SE_SF_SG_E_clIS8_S8_S9_S9_EESD_ST_SE_SF_SG_EUlST_E1_NS1_11comp_targetILNS1_3genE9ELNS1_11target_archE1100ELNS1_3gpuE3ELNS1_3repE0EEENS1_36merge_oddeven_config_static_selectorELNS0_4arch9wavefront6targetE1EEEvSF_,"axG",@progbits,_ZN7rocprim17ROCPRIM_400000_NS6detail17trampoline_kernelINS0_14default_configENS1_38merge_sort_block_merge_config_selectorIsNS0_10empty_typeEEEZZNS1_27merge_sort_block_merge_implIS3_PsPS5_jNS1_19radix_merge_compareILb1ELb0EsNS0_19identity_decomposerEEEEE10hipError_tT0_T1_T2_jT3_P12ihipStream_tbPNSt15iterator_traitsISE_E10value_typeEPNSK_ISF_E10value_typeEPSG_NS1_7vsmem_tEENKUlT_SE_SF_SG_E_clIS8_S8_S9_S9_EESD_ST_SE_SF_SG_EUlST_E1_NS1_11comp_targetILNS1_3genE9ELNS1_11target_archE1100ELNS1_3gpuE3ELNS1_3repE0EEENS1_36merge_oddeven_config_static_selectorELNS0_4arch9wavefront6targetE1EEEvSF_,comdat
.Lfunc_end1782:
	.size	_ZN7rocprim17ROCPRIM_400000_NS6detail17trampoline_kernelINS0_14default_configENS1_38merge_sort_block_merge_config_selectorIsNS0_10empty_typeEEEZZNS1_27merge_sort_block_merge_implIS3_PsPS5_jNS1_19radix_merge_compareILb1ELb0EsNS0_19identity_decomposerEEEEE10hipError_tT0_T1_T2_jT3_P12ihipStream_tbPNSt15iterator_traitsISE_E10value_typeEPNSK_ISF_E10value_typeEPSG_NS1_7vsmem_tEENKUlT_SE_SF_SG_E_clIS8_S8_S9_S9_EESD_ST_SE_SF_SG_EUlST_E1_NS1_11comp_targetILNS1_3genE9ELNS1_11target_archE1100ELNS1_3gpuE3ELNS1_3repE0EEENS1_36merge_oddeven_config_static_selectorELNS0_4arch9wavefront6targetE1EEEvSF_, .Lfunc_end1782-_ZN7rocprim17ROCPRIM_400000_NS6detail17trampoline_kernelINS0_14default_configENS1_38merge_sort_block_merge_config_selectorIsNS0_10empty_typeEEEZZNS1_27merge_sort_block_merge_implIS3_PsPS5_jNS1_19radix_merge_compareILb1ELb0EsNS0_19identity_decomposerEEEEE10hipError_tT0_T1_T2_jT3_P12ihipStream_tbPNSt15iterator_traitsISE_E10value_typeEPNSK_ISF_E10value_typeEPSG_NS1_7vsmem_tEENKUlT_SE_SF_SG_E_clIS8_S8_S9_S9_EESD_ST_SE_SF_SG_EUlST_E1_NS1_11comp_targetILNS1_3genE9ELNS1_11target_archE1100ELNS1_3gpuE3ELNS1_3repE0EEENS1_36merge_oddeven_config_static_selectorELNS0_4arch9wavefront6targetE1EEEvSF_
                                        ; -- End function
	.section	.AMDGPU.csdata,"",@progbits
; Kernel info:
; codeLenInByte = 0
; NumSgprs: 4
; NumVgprs: 0
; NumAgprs: 0
; TotalNumVgprs: 0
; ScratchSize: 0
; MemoryBound: 0
; FloatMode: 240
; IeeeMode: 1
; LDSByteSize: 0 bytes/workgroup (compile time only)
; SGPRBlocks: 0
; VGPRBlocks: 0
; NumSGPRsForWavesPerEU: 4
; NumVGPRsForWavesPerEU: 1
; AccumOffset: 4
; Occupancy: 8
; WaveLimiterHint : 0
; COMPUTE_PGM_RSRC2:SCRATCH_EN: 0
; COMPUTE_PGM_RSRC2:USER_SGPR: 6
; COMPUTE_PGM_RSRC2:TRAP_HANDLER: 0
; COMPUTE_PGM_RSRC2:TGID_X_EN: 1
; COMPUTE_PGM_RSRC2:TGID_Y_EN: 0
; COMPUTE_PGM_RSRC2:TGID_Z_EN: 0
; COMPUTE_PGM_RSRC2:TIDIG_COMP_CNT: 0
; COMPUTE_PGM_RSRC3_GFX90A:ACCUM_OFFSET: 0
; COMPUTE_PGM_RSRC3_GFX90A:TG_SPLIT: 0
	.section	.text._ZN7rocprim17ROCPRIM_400000_NS6detail17trampoline_kernelINS0_14default_configENS1_38merge_sort_block_merge_config_selectorIsNS0_10empty_typeEEEZZNS1_27merge_sort_block_merge_implIS3_PsPS5_jNS1_19radix_merge_compareILb1ELb0EsNS0_19identity_decomposerEEEEE10hipError_tT0_T1_T2_jT3_P12ihipStream_tbPNSt15iterator_traitsISE_E10value_typeEPNSK_ISF_E10value_typeEPSG_NS1_7vsmem_tEENKUlT_SE_SF_SG_E_clIS8_S8_S9_S9_EESD_ST_SE_SF_SG_EUlST_E1_NS1_11comp_targetILNS1_3genE8ELNS1_11target_archE1030ELNS1_3gpuE2ELNS1_3repE0EEENS1_36merge_oddeven_config_static_selectorELNS0_4arch9wavefront6targetE1EEEvSF_,"axG",@progbits,_ZN7rocprim17ROCPRIM_400000_NS6detail17trampoline_kernelINS0_14default_configENS1_38merge_sort_block_merge_config_selectorIsNS0_10empty_typeEEEZZNS1_27merge_sort_block_merge_implIS3_PsPS5_jNS1_19radix_merge_compareILb1ELb0EsNS0_19identity_decomposerEEEEE10hipError_tT0_T1_T2_jT3_P12ihipStream_tbPNSt15iterator_traitsISE_E10value_typeEPNSK_ISF_E10value_typeEPSG_NS1_7vsmem_tEENKUlT_SE_SF_SG_E_clIS8_S8_S9_S9_EESD_ST_SE_SF_SG_EUlST_E1_NS1_11comp_targetILNS1_3genE8ELNS1_11target_archE1030ELNS1_3gpuE2ELNS1_3repE0EEENS1_36merge_oddeven_config_static_selectorELNS0_4arch9wavefront6targetE1EEEvSF_,comdat
	.protected	_ZN7rocprim17ROCPRIM_400000_NS6detail17trampoline_kernelINS0_14default_configENS1_38merge_sort_block_merge_config_selectorIsNS0_10empty_typeEEEZZNS1_27merge_sort_block_merge_implIS3_PsPS5_jNS1_19radix_merge_compareILb1ELb0EsNS0_19identity_decomposerEEEEE10hipError_tT0_T1_T2_jT3_P12ihipStream_tbPNSt15iterator_traitsISE_E10value_typeEPNSK_ISF_E10value_typeEPSG_NS1_7vsmem_tEENKUlT_SE_SF_SG_E_clIS8_S8_S9_S9_EESD_ST_SE_SF_SG_EUlST_E1_NS1_11comp_targetILNS1_3genE8ELNS1_11target_archE1030ELNS1_3gpuE2ELNS1_3repE0EEENS1_36merge_oddeven_config_static_selectorELNS0_4arch9wavefront6targetE1EEEvSF_ ; -- Begin function _ZN7rocprim17ROCPRIM_400000_NS6detail17trampoline_kernelINS0_14default_configENS1_38merge_sort_block_merge_config_selectorIsNS0_10empty_typeEEEZZNS1_27merge_sort_block_merge_implIS3_PsPS5_jNS1_19radix_merge_compareILb1ELb0EsNS0_19identity_decomposerEEEEE10hipError_tT0_T1_T2_jT3_P12ihipStream_tbPNSt15iterator_traitsISE_E10value_typeEPNSK_ISF_E10value_typeEPSG_NS1_7vsmem_tEENKUlT_SE_SF_SG_E_clIS8_S8_S9_S9_EESD_ST_SE_SF_SG_EUlST_E1_NS1_11comp_targetILNS1_3genE8ELNS1_11target_archE1030ELNS1_3gpuE2ELNS1_3repE0EEENS1_36merge_oddeven_config_static_selectorELNS0_4arch9wavefront6targetE1EEEvSF_
	.globl	_ZN7rocprim17ROCPRIM_400000_NS6detail17trampoline_kernelINS0_14default_configENS1_38merge_sort_block_merge_config_selectorIsNS0_10empty_typeEEEZZNS1_27merge_sort_block_merge_implIS3_PsPS5_jNS1_19radix_merge_compareILb1ELb0EsNS0_19identity_decomposerEEEEE10hipError_tT0_T1_T2_jT3_P12ihipStream_tbPNSt15iterator_traitsISE_E10value_typeEPNSK_ISF_E10value_typeEPSG_NS1_7vsmem_tEENKUlT_SE_SF_SG_E_clIS8_S8_S9_S9_EESD_ST_SE_SF_SG_EUlST_E1_NS1_11comp_targetILNS1_3genE8ELNS1_11target_archE1030ELNS1_3gpuE2ELNS1_3repE0EEENS1_36merge_oddeven_config_static_selectorELNS0_4arch9wavefront6targetE1EEEvSF_
	.p2align	8
	.type	_ZN7rocprim17ROCPRIM_400000_NS6detail17trampoline_kernelINS0_14default_configENS1_38merge_sort_block_merge_config_selectorIsNS0_10empty_typeEEEZZNS1_27merge_sort_block_merge_implIS3_PsPS5_jNS1_19radix_merge_compareILb1ELb0EsNS0_19identity_decomposerEEEEE10hipError_tT0_T1_T2_jT3_P12ihipStream_tbPNSt15iterator_traitsISE_E10value_typeEPNSK_ISF_E10value_typeEPSG_NS1_7vsmem_tEENKUlT_SE_SF_SG_E_clIS8_S8_S9_S9_EESD_ST_SE_SF_SG_EUlST_E1_NS1_11comp_targetILNS1_3genE8ELNS1_11target_archE1030ELNS1_3gpuE2ELNS1_3repE0EEENS1_36merge_oddeven_config_static_selectorELNS0_4arch9wavefront6targetE1EEEvSF_,@function
_ZN7rocprim17ROCPRIM_400000_NS6detail17trampoline_kernelINS0_14default_configENS1_38merge_sort_block_merge_config_selectorIsNS0_10empty_typeEEEZZNS1_27merge_sort_block_merge_implIS3_PsPS5_jNS1_19radix_merge_compareILb1ELb0EsNS0_19identity_decomposerEEEEE10hipError_tT0_T1_T2_jT3_P12ihipStream_tbPNSt15iterator_traitsISE_E10value_typeEPNSK_ISF_E10value_typeEPSG_NS1_7vsmem_tEENKUlT_SE_SF_SG_E_clIS8_S8_S9_S9_EESD_ST_SE_SF_SG_EUlST_E1_NS1_11comp_targetILNS1_3genE8ELNS1_11target_archE1030ELNS1_3gpuE2ELNS1_3repE0EEENS1_36merge_oddeven_config_static_selectorELNS0_4arch9wavefront6targetE1EEEvSF_: ; @_ZN7rocprim17ROCPRIM_400000_NS6detail17trampoline_kernelINS0_14default_configENS1_38merge_sort_block_merge_config_selectorIsNS0_10empty_typeEEEZZNS1_27merge_sort_block_merge_implIS3_PsPS5_jNS1_19radix_merge_compareILb1ELb0EsNS0_19identity_decomposerEEEEE10hipError_tT0_T1_T2_jT3_P12ihipStream_tbPNSt15iterator_traitsISE_E10value_typeEPNSK_ISF_E10value_typeEPSG_NS1_7vsmem_tEENKUlT_SE_SF_SG_E_clIS8_S8_S9_S9_EESD_ST_SE_SF_SG_EUlST_E1_NS1_11comp_targetILNS1_3genE8ELNS1_11target_archE1030ELNS1_3gpuE2ELNS1_3repE0EEENS1_36merge_oddeven_config_static_selectorELNS0_4arch9wavefront6targetE1EEEvSF_
; %bb.0:
	.section	.rodata,"a",@progbits
	.p2align	6, 0x0
	.amdhsa_kernel _ZN7rocprim17ROCPRIM_400000_NS6detail17trampoline_kernelINS0_14default_configENS1_38merge_sort_block_merge_config_selectorIsNS0_10empty_typeEEEZZNS1_27merge_sort_block_merge_implIS3_PsPS5_jNS1_19radix_merge_compareILb1ELb0EsNS0_19identity_decomposerEEEEE10hipError_tT0_T1_T2_jT3_P12ihipStream_tbPNSt15iterator_traitsISE_E10value_typeEPNSK_ISF_E10value_typeEPSG_NS1_7vsmem_tEENKUlT_SE_SF_SG_E_clIS8_S8_S9_S9_EESD_ST_SE_SF_SG_EUlST_E1_NS1_11comp_targetILNS1_3genE8ELNS1_11target_archE1030ELNS1_3gpuE2ELNS1_3repE0EEENS1_36merge_oddeven_config_static_selectorELNS0_4arch9wavefront6targetE1EEEvSF_
		.amdhsa_group_segment_fixed_size 0
		.amdhsa_private_segment_fixed_size 0
		.amdhsa_kernarg_size 48
		.amdhsa_user_sgpr_count 6
		.amdhsa_user_sgpr_private_segment_buffer 1
		.amdhsa_user_sgpr_dispatch_ptr 0
		.amdhsa_user_sgpr_queue_ptr 0
		.amdhsa_user_sgpr_kernarg_segment_ptr 1
		.amdhsa_user_sgpr_dispatch_id 0
		.amdhsa_user_sgpr_flat_scratch_init 0
		.amdhsa_user_sgpr_kernarg_preload_length 0
		.amdhsa_user_sgpr_kernarg_preload_offset 0
		.amdhsa_user_sgpr_private_segment_size 0
		.amdhsa_uses_dynamic_stack 0
		.amdhsa_system_sgpr_private_segment_wavefront_offset 0
		.amdhsa_system_sgpr_workgroup_id_x 1
		.amdhsa_system_sgpr_workgroup_id_y 0
		.amdhsa_system_sgpr_workgroup_id_z 0
		.amdhsa_system_sgpr_workgroup_info 0
		.amdhsa_system_vgpr_workitem_id 0
		.amdhsa_next_free_vgpr 1
		.amdhsa_next_free_sgpr 0
		.amdhsa_accum_offset 4
		.amdhsa_reserve_vcc 0
		.amdhsa_reserve_flat_scratch 0
		.amdhsa_float_round_mode_32 0
		.amdhsa_float_round_mode_16_64 0
		.amdhsa_float_denorm_mode_32 3
		.amdhsa_float_denorm_mode_16_64 3
		.amdhsa_dx10_clamp 1
		.amdhsa_ieee_mode 1
		.amdhsa_fp16_overflow 0
		.amdhsa_tg_split 0
		.amdhsa_exception_fp_ieee_invalid_op 0
		.amdhsa_exception_fp_denorm_src 0
		.amdhsa_exception_fp_ieee_div_zero 0
		.amdhsa_exception_fp_ieee_overflow 0
		.amdhsa_exception_fp_ieee_underflow 0
		.amdhsa_exception_fp_ieee_inexact 0
		.amdhsa_exception_int_div_zero 0
	.end_amdhsa_kernel
	.section	.text._ZN7rocprim17ROCPRIM_400000_NS6detail17trampoline_kernelINS0_14default_configENS1_38merge_sort_block_merge_config_selectorIsNS0_10empty_typeEEEZZNS1_27merge_sort_block_merge_implIS3_PsPS5_jNS1_19radix_merge_compareILb1ELb0EsNS0_19identity_decomposerEEEEE10hipError_tT0_T1_T2_jT3_P12ihipStream_tbPNSt15iterator_traitsISE_E10value_typeEPNSK_ISF_E10value_typeEPSG_NS1_7vsmem_tEENKUlT_SE_SF_SG_E_clIS8_S8_S9_S9_EESD_ST_SE_SF_SG_EUlST_E1_NS1_11comp_targetILNS1_3genE8ELNS1_11target_archE1030ELNS1_3gpuE2ELNS1_3repE0EEENS1_36merge_oddeven_config_static_selectorELNS0_4arch9wavefront6targetE1EEEvSF_,"axG",@progbits,_ZN7rocprim17ROCPRIM_400000_NS6detail17trampoline_kernelINS0_14default_configENS1_38merge_sort_block_merge_config_selectorIsNS0_10empty_typeEEEZZNS1_27merge_sort_block_merge_implIS3_PsPS5_jNS1_19radix_merge_compareILb1ELb0EsNS0_19identity_decomposerEEEEE10hipError_tT0_T1_T2_jT3_P12ihipStream_tbPNSt15iterator_traitsISE_E10value_typeEPNSK_ISF_E10value_typeEPSG_NS1_7vsmem_tEENKUlT_SE_SF_SG_E_clIS8_S8_S9_S9_EESD_ST_SE_SF_SG_EUlST_E1_NS1_11comp_targetILNS1_3genE8ELNS1_11target_archE1030ELNS1_3gpuE2ELNS1_3repE0EEENS1_36merge_oddeven_config_static_selectorELNS0_4arch9wavefront6targetE1EEEvSF_,comdat
.Lfunc_end1783:
	.size	_ZN7rocprim17ROCPRIM_400000_NS6detail17trampoline_kernelINS0_14default_configENS1_38merge_sort_block_merge_config_selectorIsNS0_10empty_typeEEEZZNS1_27merge_sort_block_merge_implIS3_PsPS5_jNS1_19radix_merge_compareILb1ELb0EsNS0_19identity_decomposerEEEEE10hipError_tT0_T1_T2_jT3_P12ihipStream_tbPNSt15iterator_traitsISE_E10value_typeEPNSK_ISF_E10value_typeEPSG_NS1_7vsmem_tEENKUlT_SE_SF_SG_E_clIS8_S8_S9_S9_EESD_ST_SE_SF_SG_EUlST_E1_NS1_11comp_targetILNS1_3genE8ELNS1_11target_archE1030ELNS1_3gpuE2ELNS1_3repE0EEENS1_36merge_oddeven_config_static_selectorELNS0_4arch9wavefront6targetE1EEEvSF_, .Lfunc_end1783-_ZN7rocprim17ROCPRIM_400000_NS6detail17trampoline_kernelINS0_14default_configENS1_38merge_sort_block_merge_config_selectorIsNS0_10empty_typeEEEZZNS1_27merge_sort_block_merge_implIS3_PsPS5_jNS1_19radix_merge_compareILb1ELb0EsNS0_19identity_decomposerEEEEE10hipError_tT0_T1_T2_jT3_P12ihipStream_tbPNSt15iterator_traitsISE_E10value_typeEPNSK_ISF_E10value_typeEPSG_NS1_7vsmem_tEENKUlT_SE_SF_SG_E_clIS8_S8_S9_S9_EESD_ST_SE_SF_SG_EUlST_E1_NS1_11comp_targetILNS1_3genE8ELNS1_11target_archE1030ELNS1_3gpuE2ELNS1_3repE0EEENS1_36merge_oddeven_config_static_selectorELNS0_4arch9wavefront6targetE1EEEvSF_
                                        ; -- End function
	.section	.AMDGPU.csdata,"",@progbits
; Kernel info:
; codeLenInByte = 0
; NumSgprs: 4
; NumVgprs: 0
; NumAgprs: 0
; TotalNumVgprs: 0
; ScratchSize: 0
; MemoryBound: 0
; FloatMode: 240
; IeeeMode: 1
; LDSByteSize: 0 bytes/workgroup (compile time only)
; SGPRBlocks: 0
; VGPRBlocks: 0
; NumSGPRsForWavesPerEU: 4
; NumVGPRsForWavesPerEU: 1
; AccumOffset: 4
; Occupancy: 8
; WaveLimiterHint : 0
; COMPUTE_PGM_RSRC2:SCRATCH_EN: 0
; COMPUTE_PGM_RSRC2:USER_SGPR: 6
; COMPUTE_PGM_RSRC2:TRAP_HANDLER: 0
; COMPUTE_PGM_RSRC2:TGID_X_EN: 1
; COMPUTE_PGM_RSRC2:TGID_Y_EN: 0
; COMPUTE_PGM_RSRC2:TGID_Z_EN: 0
; COMPUTE_PGM_RSRC2:TIDIG_COMP_CNT: 0
; COMPUTE_PGM_RSRC3_GFX90A:ACCUM_OFFSET: 0
; COMPUTE_PGM_RSRC3_GFX90A:TG_SPLIT: 0
	.section	.text._ZN7rocprim17ROCPRIM_400000_NS6detail17trampoline_kernelINS0_14default_configENS1_38merge_sort_block_merge_config_selectorIsNS0_10empty_typeEEEZZNS1_27merge_sort_block_merge_implIS3_PsPS5_jNS1_19radix_merge_compareILb1ELb1EsNS0_19identity_decomposerEEEEE10hipError_tT0_T1_T2_jT3_P12ihipStream_tbPNSt15iterator_traitsISE_E10value_typeEPNSK_ISF_E10value_typeEPSG_NS1_7vsmem_tEENKUlT_SE_SF_SG_E_clIS8_S8_S9_S9_EESD_ST_SE_SF_SG_EUlST_E_NS1_11comp_targetILNS1_3genE0ELNS1_11target_archE4294967295ELNS1_3gpuE0ELNS1_3repE0EEENS1_48merge_mergepath_partition_config_static_selectorELNS0_4arch9wavefront6targetE1EEEvSF_,"axG",@progbits,_ZN7rocprim17ROCPRIM_400000_NS6detail17trampoline_kernelINS0_14default_configENS1_38merge_sort_block_merge_config_selectorIsNS0_10empty_typeEEEZZNS1_27merge_sort_block_merge_implIS3_PsPS5_jNS1_19radix_merge_compareILb1ELb1EsNS0_19identity_decomposerEEEEE10hipError_tT0_T1_T2_jT3_P12ihipStream_tbPNSt15iterator_traitsISE_E10value_typeEPNSK_ISF_E10value_typeEPSG_NS1_7vsmem_tEENKUlT_SE_SF_SG_E_clIS8_S8_S9_S9_EESD_ST_SE_SF_SG_EUlST_E_NS1_11comp_targetILNS1_3genE0ELNS1_11target_archE4294967295ELNS1_3gpuE0ELNS1_3repE0EEENS1_48merge_mergepath_partition_config_static_selectorELNS0_4arch9wavefront6targetE1EEEvSF_,comdat
	.protected	_ZN7rocprim17ROCPRIM_400000_NS6detail17trampoline_kernelINS0_14default_configENS1_38merge_sort_block_merge_config_selectorIsNS0_10empty_typeEEEZZNS1_27merge_sort_block_merge_implIS3_PsPS5_jNS1_19radix_merge_compareILb1ELb1EsNS0_19identity_decomposerEEEEE10hipError_tT0_T1_T2_jT3_P12ihipStream_tbPNSt15iterator_traitsISE_E10value_typeEPNSK_ISF_E10value_typeEPSG_NS1_7vsmem_tEENKUlT_SE_SF_SG_E_clIS8_S8_S9_S9_EESD_ST_SE_SF_SG_EUlST_E_NS1_11comp_targetILNS1_3genE0ELNS1_11target_archE4294967295ELNS1_3gpuE0ELNS1_3repE0EEENS1_48merge_mergepath_partition_config_static_selectorELNS0_4arch9wavefront6targetE1EEEvSF_ ; -- Begin function _ZN7rocprim17ROCPRIM_400000_NS6detail17trampoline_kernelINS0_14default_configENS1_38merge_sort_block_merge_config_selectorIsNS0_10empty_typeEEEZZNS1_27merge_sort_block_merge_implIS3_PsPS5_jNS1_19radix_merge_compareILb1ELb1EsNS0_19identity_decomposerEEEEE10hipError_tT0_T1_T2_jT3_P12ihipStream_tbPNSt15iterator_traitsISE_E10value_typeEPNSK_ISF_E10value_typeEPSG_NS1_7vsmem_tEENKUlT_SE_SF_SG_E_clIS8_S8_S9_S9_EESD_ST_SE_SF_SG_EUlST_E_NS1_11comp_targetILNS1_3genE0ELNS1_11target_archE4294967295ELNS1_3gpuE0ELNS1_3repE0EEENS1_48merge_mergepath_partition_config_static_selectorELNS0_4arch9wavefront6targetE1EEEvSF_
	.globl	_ZN7rocprim17ROCPRIM_400000_NS6detail17trampoline_kernelINS0_14default_configENS1_38merge_sort_block_merge_config_selectorIsNS0_10empty_typeEEEZZNS1_27merge_sort_block_merge_implIS3_PsPS5_jNS1_19radix_merge_compareILb1ELb1EsNS0_19identity_decomposerEEEEE10hipError_tT0_T1_T2_jT3_P12ihipStream_tbPNSt15iterator_traitsISE_E10value_typeEPNSK_ISF_E10value_typeEPSG_NS1_7vsmem_tEENKUlT_SE_SF_SG_E_clIS8_S8_S9_S9_EESD_ST_SE_SF_SG_EUlST_E_NS1_11comp_targetILNS1_3genE0ELNS1_11target_archE4294967295ELNS1_3gpuE0ELNS1_3repE0EEENS1_48merge_mergepath_partition_config_static_selectorELNS0_4arch9wavefront6targetE1EEEvSF_
	.p2align	8
	.type	_ZN7rocprim17ROCPRIM_400000_NS6detail17trampoline_kernelINS0_14default_configENS1_38merge_sort_block_merge_config_selectorIsNS0_10empty_typeEEEZZNS1_27merge_sort_block_merge_implIS3_PsPS5_jNS1_19radix_merge_compareILb1ELb1EsNS0_19identity_decomposerEEEEE10hipError_tT0_T1_T2_jT3_P12ihipStream_tbPNSt15iterator_traitsISE_E10value_typeEPNSK_ISF_E10value_typeEPSG_NS1_7vsmem_tEENKUlT_SE_SF_SG_E_clIS8_S8_S9_S9_EESD_ST_SE_SF_SG_EUlST_E_NS1_11comp_targetILNS1_3genE0ELNS1_11target_archE4294967295ELNS1_3gpuE0ELNS1_3repE0EEENS1_48merge_mergepath_partition_config_static_selectorELNS0_4arch9wavefront6targetE1EEEvSF_,@function
_ZN7rocprim17ROCPRIM_400000_NS6detail17trampoline_kernelINS0_14default_configENS1_38merge_sort_block_merge_config_selectorIsNS0_10empty_typeEEEZZNS1_27merge_sort_block_merge_implIS3_PsPS5_jNS1_19radix_merge_compareILb1ELb1EsNS0_19identity_decomposerEEEEE10hipError_tT0_T1_T2_jT3_P12ihipStream_tbPNSt15iterator_traitsISE_E10value_typeEPNSK_ISF_E10value_typeEPSG_NS1_7vsmem_tEENKUlT_SE_SF_SG_E_clIS8_S8_S9_S9_EESD_ST_SE_SF_SG_EUlST_E_NS1_11comp_targetILNS1_3genE0ELNS1_11target_archE4294967295ELNS1_3gpuE0ELNS1_3repE0EEENS1_48merge_mergepath_partition_config_static_selectorELNS0_4arch9wavefront6targetE1EEEvSF_: ; @_ZN7rocprim17ROCPRIM_400000_NS6detail17trampoline_kernelINS0_14default_configENS1_38merge_sort_block_merge_config_selectorIsNS0_10empty_typeEEEZZNS1_27merge_sort_block_merge_implIS3_PsPS5_jNS1_19radix_merge_compareILb1ELb1EsNS0_19identity_decomposerEEEEE10hipError_tT0_T1_T2_jT3_P12ihipStream_tbPNSt15iterator_traitsISE_E10value_typeEPNSK_ISF_E10value_typeEPSG_NS1_7vsmem_tEENKUlT_SE_SF_SG_E_clIS8_S8_S9_S9_EESD_ST_SE_SF_SG_EUlST_E_NS1_11comp_targetILNS1_3genE0ELNS1_11target_archE4294967295ELNS1_3gpuE0ELNS1_3repE0EEENS1_48merge_mergepath_partition_config_static_selectorELNS0_4arch9wavefront6targetE1EEEvSF_
; %bb.0:
	.section	.rodata,"a",@progbits
	.p2align	6, 0x0
	.amdhsa_kernel _ZN7rocprim17ROCPRIM_400000_NS6detail17trampoline_kernelINS0_14default_configENS1_38merge_sort_block_merge_config_selectorIsNS0_10empty_typeEEEZZNS1_27merge_sort_block_merge_implIS3_PsPS5_jNS1_19radix_merge_compareILb1ELb1EsNS0_19identity_decomposerEEEEE10hipError_tT0_T1_T2_jT3_P12ihipStream_tbPNSt15iterator_traitsISE_E10value_typeEPNSK_ISF_E10value_typeEPSG_NS1_7vsmem_tEENKUlT_SE_SF_SG_E_clIS8_S8_S9_S9_EESD_ST_SE_SF_SG_EUlST_E_NS1_11comp_targetILNS1_3genE0ELNS1_11target_archE4294967295ELNS1_3gpuE0ELNS1_3repE0EEENS1_48merge_mergepath_partition_config_static_selectorELNS0_4arch9wavefront6targetE1EEEvSF_
		.amdhsa_group_segment_fixed_size 0
		.amdhsa_private_segment_fixed_size 0
		.amdhsa_kernarg_size 40
		.amdhsa_user_sgpr_count 6
		.amdhsa_user_sgpr_private_segment_buffer 1
		.amdhsa_user_sgpr_dispatch_ptr 0
		.amdhsa_user_sgpr_queue_ptr 0
		.amdhsa_user_sgpr_kernarg_segment_ptr 1
		.amdhsa_user_sgpr_dispatch_id 0
		.amdhsa_user_sgpr_flat_scratch_init 0
		.amdhsa_user_sgpr_kernarg_preload_length 0
		.amdhsa_user_sgpr_kernarg_preload_offset 0
		.amdhsa_user_sgpr_private_segment_size 0
		.amdhsa_uses_dynamic_stack 0
		.amdhsa_system_sgpr_private_segment_wavefront_offset 0
		.amdhsa_system_sgpr_workgroup_id_x 1
		.amdhsa_system_sgpr_workgroup_id_y 0
		.amdhsa_system_sgpr_workgroup_id_z 0
		.amdhsa_system_sgpr_workgroup_info 0
		.amdhsa_system_vgpr_workitem_id 0
		.amdhsa_next_free_vgpr 1
		.amdhsa_next_free_sgpr 0
		.amdhsa_accum_offset 4
		.amdhsa_reserve_vcc 0
		.amdhsa_reserve_flat_scratch 0
		.amdhsa_float_round_mode_32 0
		.amdhsa_float_round_mode_16_64 0
		.amdhsa_float_denorm_mode_32 3
		.amdhsa_float_denorm_mode_16_64 3
		.amdhsa_dx10_clamp 1
		.amdhsa_ieee_mode 1
		.amdhsa_fp16_overflow 0
		.amdhsa_tg_split 0
		.amdhsa_exception_fp_ieee_invalid_op 0
		.amdhsa_exception_fp_denorm_src 0
		.amdhsa_exception_fp_ieee_div_zero 0
		.amdhsa_exception_fp_ieee_overflow 0
		.amdhsa_exception_fp_ieee_underflow 0
		.amdhsa_exception_fp_ieee_inexact 0
		.amdhsa_exception_int_div_zero 0
	.end_amdhsa_kernel
	.section	.text._ZN7rocprim17ROCPRIM_400000_NS6detail17trampoline_kernelINS0_14default_configENS1_38merge_sort_block_merge_config_selectorIsNS0_10empty_typeEEEZZNS1_27merge_sort_block_merge_implIS3_PsPS5_jNS1_19radix_merge_compareILb1ELb1EsNS0_19identity_decomposerEEEEE10hipError_tT0_T1_T2_jT3_P12ihipStream_tbPNSt15iterator_traitsISE_E10value_typeEPNSK_ISF_E10value_typeEPSG_NS1_7vsmem_tEENKUlT_SE_SF_SG_E_clIS8_S8_S9_S9_EESD_ST_SE_SF_SG_EUlST_E_NS1_11comp_targetILNS1_3genE0ELNS1_11target_archE4294967295ELNS1_3gpuE0ELNS1_3repE0EEENS1_48merge_mergepath_partition_config_static_selectorELNS0_4arch9wavefront6targetE1EEEvSF_,"axG",@progbits,_ZN7rocprim17ROCPRIM_400000_NS6detail17trampoline_kernelINS0_14default_configENS1_38merge_sort_block_merge_config_selectorIsNS0_10empty_typeEEEZZNS1_27merge_sort_block_merge_implIS3_PsPS5_jNS1_19radix_merge_compareILb1ELb1EsNS0_19identity_decomposerEEEEE10hipError_tT0_T1_T2_jT3_P12ihipStream_tbPNSt15iterator_traitsISE_E10value_typeEPNSK_ISF_E10value_typeEPSG_NS1_7vsmem_tEENKUlT_SE_SF_SG_E_clIS8_S8_S9_S9_EESD_ST_SE_SF_SG_EUlST_E_NS1_11comp_targetILNS1_3genE0ELNS1_11target_archE4294967295ELNS1_3gpuE0ELNS1_3repE0EEENS1_48merge_mergepath_partition_config_static_selectorELNS0_4arch9wavefront6targetE1EEEvSF_,comdat
.Lfunc_end1784:
	.size	_ZN7rocprim17ROCPRIM_400000_NS6detail17trampoline_kernelINS0_14default_configENS1_38merge_sort_block_merge_config_selectorIsNS0_10empty_typeEEEZZNS1_27merge_sort_block_merge_implIS3_PsPS5_jNS1_19radix_merge_compareILb1ELb1EsNS0_19identity_decomposerEEEEE10hipError_tT0_T1_T2_jT3_P12ihipStream_tbPNSt15iterator_traitsISE_E10value_typeEPNSK_ISF_E10value_typeEPSG_NS1_7vsmem_tEENKUlT_SE_SF_SG_E_clIS8_S8_S9_S9_EESD_ST_SE_SF_SG_EUlST_E_NS1_11comp_targetILNS1_3genE0ELNS1_11target_archE4294967295ELNS1_3gpuE0ELNS1_3repE0EEENS1_48merge_mergepath_partition_config_static_selectorELNS0_4arch9wavefront6targetE1EEEvSF_, .Lfunc_end1784-_ZN7rocprim17ROCPRIM_400000_NS6detail17trampoline_kernelINS0_14default_configENS1_38merge_sort_block_merge_config_selectorIsNS0_10empty_typeEEEZZNS1_27merge_sort_block_merge_implIS3_PsPS5_jNS1_19radix_merge_compareILb1ELb1EsNS0_19identity_decomposerEEEEE10hipError_tT0_T1_T2_jT3_P12ihipStream_tbPNSt15iterator_traitsISE_E10value_typeEPNSK_ISF_E10value_typeEPSG_NS1_7vsmem_tEENKUlT_SE_SF_SG_E_clIS8_S8_S9_S9_EESD_ST_SE_SF_SG_EUlST_E_NS1_11comp_targetILNS1_3genE0ELNS1_11target_archE4294967295ELNS1_3gpuE0ELNS1_3repE0EEENS1_48merge_mergepath_partition_config_static_selectorELNS0_4arch9wavefront6targetE1EEEvSF_
                                        ; -- End function
	.section	.AMDGPU.csdata,"",@progbits
; Kernel info:
; codeLenInByte = 0
; NumSgprs: 4
; NumVgprs: 0
; NumAgprs: 0
; TotalNumVgprs: 0
; ScratchSize: 0
; MemoryBound: 0
; FloatMode: 240
; IeeeMode: 1
; LDSByteSize: 0 bytes/workgroup (compile time only)
; SGPRBlocks: 0
; VGPRBlocks: 0
; NumSGPRsForWavesPerEU: 4
; NumVGPRsForWavesPerEU: 1
; AccumOffset: 4
; Occupancy: 8
; WaveLimiterHint : 0
; COMPUTE_PGM_RSRC2:SCRATCH_EN: 0
; COMPUTE_PGM_RSRC2:USER_SGPR: 6
; COMPUTE_PGM_RSRC2:TRAP_HANDLER: 0
; COMPUTE_PGM_RSRC2:TGID_X_EN: 1
; COMPUTE_PGM_RSRC2:TGID_Y_EN: 0
; COMPUTE_PGM_RSRC2:TGID_Z_EN: 0
; COMPUTE_PGM_RSRC2:TIDIG_COMP_CNT: 0
; COMPUTE_PGM_RSRC3_GFX90A:ACCUM_OFFSET: 0
; COMPUTE_PGM_RSRC3_GFX90A:TG_SPLIT: 0
	.section	.text._ZN7rocprim17ROCPRIM_400000_NS6detail17trampoline_kernelINS0_14default_configENS1_38merge_sort_block_merge_config_selectorIsNS0_10empty_typeEEEZZNS1_27merge_sort_block_merge_implIS3_PsPS5_jNS1_19radix_merge_compareILb1ELb1EsNS0_19identity_decomposerEEEEE10hipError_tT0_T1_T2_jT3_P12ihipStream_tbPNSt15iterator_traitsISE_E10value_typeEPNSK_ISF_E10value_typeEPSG_NS1_7vsmem_tEENKUlT_SE_SF_SG_E_clIS8_S8_S9_S9_EESD_ST_SE_SF_SG_EUlST_E_NS1_11comp_targetILNS1_3genE10ELNS1_11target_archE1201ELNS1_3gpuE5ELNS1_3repE0EEENS1_48merge_mergepath_partition_config_static_selectorELNS0_4arch9wavefront6targetE1EEEvSF_,"axG",@progbits,_ZN7rocprim17ROCPRIM_400000_NS6detail17trampoline_kernelINS0_14default_configENS1_38merge_sort_block_merge_config_selectorIsNS0_10empty_typeEEEZZNS1_27merge_sort_block_merge_implIS3_PsPS5_jNS1_19radix_merge_compareILb1ELb1EsNS0_19identity_decomposerEEEEE10hipError_tT0_T1_T2_jT3_P12ihipStream_tbPNSt15iterator_traitsISE_E10value_typeEPNSK_ISF_E10value_typeEPSG_NS1_7vsmem_tEENKUlT_SE_SF_SG_E_clIS8_S8_S9_S9_EESD_ST_SE_SF_SG_EUlST_E_NS1_11comp_targetILNS1_3genE10ELNS1_11target_archE1201ELNS1_3gpuE5ELNS1_3repE0EEENS1_48merge_mergepath_partition_config_static_selectorELNS0_4arch9wavefront6targetE1EEEvSF_,comdat
	.protected	_ZN7rocprim17ROCPRIM_400000_NS6detail17trampoline_kernelINS0_14default_configENS1_38merge_sort_block_merge_config_selectorIsNS0_10empty_typeEEEZZNS1_27merge_sort_block_merge_implIS3_PsPS5_jNS1_19radix_merge_compareILb1ELb1EsNS0_19identity_decomposerEEEEE10hipError_tT0_T1_T2_jT3_P12ihipStream_tbPNSt15iterator_traitsISE_E10value_typeEPNSK_ISF_E10value_typeEPSG_NS1_7vsmem_tEENKUlT_SE_SF_SG_E_clIS8_S8_S9_S9_EESD_ST_SE_SF_SG_EUlST_E_NS1_11comp_targetILNS1_3genE10ELNS1_11target_archE1201ELNS1_3gpuE5ELNS1_3repE0EEENS1_48merge_mergepath_partition_config_static_selectorELNS0_4arch9wavefront6targetE1EEEvSF_ ; -- Begin function _ZN7rocprim17ROCPRIM_400000_NS6detail17trampoline_kernelINS0_14default_configENS1_38merge_sort_block_merge_config_selectorIsNS0_10empty_typeEEEZZNS1_27merge_sort_block_merge_implIS3_PsPS5_jNS1_19radix_merge_compareILb1ELb1EsNS0_19identity_decomposerEEEEE10hipError_tT0_T1_T2_jT3_P12ihipStream_tbPNSt15iterator_traitsISE_E10value_typeEPNSK_ISF_E10value_typeEPSG_NS1_7vsmem_tEENKUlT_SE_SF_SG_E_clIS8_S8_S9_S9_EESD_ST_SE_SF_SG_EUlST_E_NS1_11comp_targetILNS1_3genE10ELNS1_11target_archE1201ELNS1_3gpuE5ELNS1_3repE0EEENS1_48merge_mergepath_partition_config_static_selectorELNS0_4arch9wavefront6targetE1EEEvSF_
	.globl	_ZN7rocprim17ROCPRIM_400000_NS6detail17trampoline_kernelINS0_14default_configENS1_38merge_sort_block_merge_config_selectorIsNS0_10empty_typeEEEZZNS1_27merge_sort_block_merge_implIS3_PsPS5_jNS1_19radix_merge_compareILb1ELb1EsNS0_19identity_decomposerEEEEE10hipError_tT0_T1_T2_jT3_P12ihipStream_tbPNSt15iterator_traitsISE_E10value_typeEPNSK_ISF_E10value_typeEPSG_NS1_7vsmem_tEENKUlT_SE_SF_SG_E_clIS8_S8_S9_S9_EESD_ST_SE_SF_SG_EUlST_E_NS1_11comp_targetILNS1_3genE10ELNS1_11target_archE1201ELNS1_3gpuE5ELNS1_3repE0EEENS1_48merge_mergepath_partition_config_static_selectorELNS0_4arch9wavefront6targetE1EEEvSF_
	.p2align	8
	.type	_ZN7rocprim17ROCPRIM_400000_NS6detail17trampoline_kernelINS0_14default_configENS1_38merge_sort_block_merge_config_selectorIsNS0_10empty_typeEEEZZNS1_27merge_sort_block_merge_implIS3_PsPS5_jNS1_19radix_merge_compareILb1ELb1EsNS0_19identity_decomposerEEEEE10hipError_tT0_T1_T2_jT3_P12ihipStream_tbPNSt15iterator_traitsISE_E10value_typeEPNSK_ISF_E10value_typeEPSG_NS1_7vsmem_tEENKUlT_SE_SF_SG_E_clIS8_S8_S9_S9_EESD_ST_SE_SF_SG_EUlST_E_NS1_11comp_targetILNS1_3genE10ELNS1_11target_archE1201ELNS1_3gpuE5ELNS1_3repE0EEENS1_48merge_mergepath_partition_config_static_selectorELNS0_4arch9wavefront6targetE1EEEvSF_,@function
_ZN7rocprim17ROCPRIM_400000_NS6detail17trampoline_kernelINS0_14default_configENS1_38merge_sort_block_merge_config_selectorIsNS0_10empty_typeEEEZZNS1_27merge_sort_block_merge_implIS3_PsPS5_jNS1_19radix_merge_compareILb1ELb1EsNS0_19identity_decomposerEEEEE10hipError_tT0_T1_T2_jT3_P12ihipStream_tbPNSt15iterator_traitsISE_E10value_typeEPNSK_ISF_E10value_typeEPSG_NS1_7vsmem_tEENKUlT_SE_SF_SG_E_clIS8_S8_S9_S9_EESD_ST_SE_SF_SG_EUlST_E_NS1_11comp_targetILNS1_3genE10ELNS1_11target_archE1201ELNS1_3gpuE5ELNS1_3repE0EEENS1_48merge_mergepath_partition_config_static_selectorELNS0_4arch9wavefront6targetE1EEEvSF_: ; @_ZN7rocprim17ROCPRIM_400000_NS6detail17trampoline_kernelINS0_14default_configENS1_38merge_sort_block_merge_config_selectorIsNS0_10empty_typeEEEZZNS1_27merge_sort_block_merge_implIS3_PsPS5_jNS1_19radix_merge_compareILb1ELb1EsNS0_19identity_decomposerEEEEE10hipError_tT0_T1_T2_jT3_P12ihipStream_tbPNSt15iterator_traitsISE_E10value_typeEPNSK_ISF_E10value_typeEPSG_NS1_7vsmem_tEENKUlT_SE_SF_SG_E_clIS8_S8_S9_S9_EESD_ST_SE_SF_SG_EUlST_E_NS1_11comp_targetILNS1_3genE10ELNS1_11target_archE1201ELNS1_3gpuE5ELNS1_3repE0EEENS1_48merge_mergepath_partition_config_static_selectorELNS0_4arch9wavefront6targetE1EEEvSF_
; %bb.0:
	.section	.rodata,"a",@progbits
	.p2align	6, 0x0
	.amdhsa_kernel _ZN7rocprim17ROCPRIM_400000_NS6detail17trampoline_kernelINS0_14default_configENS1_38merge_sort_block_merge_config_selectorIsNS0_10empty_typeEEEZZNS1_27merge_sort_block_merge_implIS3_PsPS5_jNS1_19radix_merge_compareILb1ELb1EsNS0_19identity_decomposerEEEEE10hipError_tT0_T1_T2_jT3_P12ihipStream_tbPNSt15iterator_traitsISE_E10value_typeEPNSK_ISF_E10value_typeEPSG_NS1_7vsmem_tEENKUlT_SE_SF_SG_E_clIS8_S8_S9_S9_EESD_ST_SE_SF_SG_EUlST_E_NS1_11comp_targetILNS1_3genE10ELNS1_11target_archE1201ELNS1_3gpuE5ELNS1_3repE0EEENS1_48merge_mergepath_partition_config_static_selectorELNS0_4arch9wavefront6targetE1EEEvSF_
		.amdhsa_group_segment_fixed_size 0
		.amdhsa_private_segment_fixed_size 0
		.amdhsa_kernarg_size 40
		.amdhsa_user_sgpr_count 6
		.amdhsa_user_sgpr_private_segment_buffer 1
		.amdhsa_user_sgpr_dispatch_ptr 0
		.amdhsa_user_sgpr_queue_ptr 0
		.amdhsa_user_sgpr_kernarg_segment_ptr 1
		.amdhsa_user_sgpr_dispatch_id 0
		.amdhsa_user_sgpr_flat_scratch_init 0
		.amdhsa_user_sgpr_kernarg_preload_length 0
		.amdhsa_user_sgpr_kernarg_preload_offset 0
		.amdhsa_user_sgpr_private_segment_size 0
		.amdhsa_uses_dynamic_stack 0
		.amdhsa_system_sgpr_private_segment_wavefront_offset 0
		.amdhsa_system_sgpr_workgroup_id_x 1
		.amdhsa_system_sgpr_workgroup_id_y 0
		.amdhsa_system_sgpr_workgroup_id_z 0
		.amdhsa_system_sgpr_workgroup_info 0
		.amdhsa_system_vgpr_workitem_id 0
		.amdhsa_next_free_vgpr 1
		.amdhsa_next_free_sgpr 0
		.amdhsa_accum_offset 4
		.amdhsa_reserve_vcc 0
		.amdhsa_reserve_flat_scratch 0
		.amdhsa_float_round_mode_32 0
		.amdhsa_float_round_mode_16_64 0
		.amdhsa_float_denorm_mode_32 3
		.amdhsa_float_denorm_mode_16_64 3
		.amdhsa_dx10_clamp 1
		.amdhsa_ieee_mode 1
		.amdhsa_fp16_overflow 0
		.amdhsa_tg_split 0
		.amdhsa_exception_fp_ieee_invalid_op 0
		.amdhsa_exception_fp_denorm_src 0
		.amdhsa_exception_fp_ieee_div_zero 0
		.amdhsa_exception_fp_ieee_overflow 0
		.amdhsa_exception_fp_ieee_underflow 0
		.amdhsa_exception_fp_ieee_inexact 0
		.amdhsa_exception_int_div_zero 0
	.end_amdhsa_kernel
	.section	.text._ZN7rocprim17ROCPRIM_400000_NS6detail17trampoline_kernelINS0_14default_configENS1_38merge_sort_block_merge_config_selectorIsNS0_10empty_typeEEEZZNS1_27merge_sort_block_merge_implIS3_PsPS5_jNS1_19radix_merge_compareILb1ELb1EsNS0_19identity_decomposerEEEEE10hipError_tT0_T1_T2_jT3_P12ihipStream_tbPNSt15iterator_traitsISE_E10value_typeEPNSK_ISF_E10value_typeEPSG_NS1_7vsmem_tEENKUlT_SE_SF_SG_E_clIS8_S8_S9_S9_EESD_ST_SE_SF_SG_EUlST_E_NS1_11comp_targetILNS1_3genE10ELNS1_11target_archE1201ELNS1_3gpuE5ELNS1_3repE0EEENS1_48merge_mergepath_partition_config_static_selectorELNS0_4arch9wavefront6targetE1EEEvSF_,"axG",@progbits,_ZN7rocprim17ROCPRIM_400000_NS6detail17trampoline_kernelINS0_14default_configENS1_38merge_sort_block_merge_config_selectorIsNS0_10empty_typeEEEZZNS1_27merge_sort_block_merge_implIS3_PsPS5_jNS1_19radix_merge_compareILb1ELb1EsNS0_19identity_decomposerEEEEE10hipError_tT0_T1_T2_jT3_P12ihipStream_tbPNSt15iterator_traitsISE_E10value_typeEPNSK_ISF_E10value_typeEPSG_NS1_7vsmem_tEENKUlT_SE_SF_SG_E_clIS8_S8_S9_S9_EESD_ST_SE_SF_SG_EUlST_E_NS1_11comp_targetILNS1_3genE10ELNS1_11target_archE1201ELNS1_3gpuE5ELNS1_3repE0EEENS1_48merge_mergepath_partition_config_static_selectorELNS0_4arch9wavefront6targetE1EEEvSF_,comdat
.Lfunc_end1785:
	.size	_ZN7rocprim17ROCPRIM_400000_NS6detail17trampoline_kernelINS0_14default_configENS1_38merge_sort_block_merge_config_selectorIsNS0_10empty_typeEEEZZNS1_27merge_sort_block_merge_implIS3_PsPS5_jNS1_19radix_merge_compareILb1ELb1EsNS0_19identity_decomposerEEEEE10hipError_tT0_T1_T2_jT3_P12ihipStream_tbPNSt15iterator_traitsISE_E10value_typeEPNSK_ISF_E10value_typeEPSG_NS1_7vsmem_tEENKUlT_SE_SF_SG_E_clIS8_S8_S9_S9_EESD_ST_SE_SF_SG_EUlST_E_NS1_11comp_targetILNS1_3genE10ELNS1_11target_archE1201ELNS1_3gpuE5ELNS1_3repE0EEENS1_48merge_mergepath_partition_config_static_selectorELNS0_4arch9wavefront6targetE1EEEvSF_, .Lfunc_end1785-_ZN7rocprim17ROCPRIM_400000_NS6detail17trampoline_kernelINS0_14default_configENS1_38merge_sort_block_merge_config_selectorIsNS0_10empty_typeEEEZZNS1_27merge_sort_block_merge_implIS3_PsPS5_jNS1_19radix_merge_compareILb1ELb1EsNS0_19identity_decomposerEEEEE10hipError_tT0_T1_T2_jT3_P12ihipStream_tbPNSt15iterator_traitsISE_E10value_typeEPNSK_ISF_E10value_typeEPSG_NS1_7vsmem_tEENKUlT_SE_SF_SG_E_clIS8_S8_S9_S9_EESD_ST_SE_SF_SG_EUlST_E_NS1_11comp_targetILNS1_3genE10ELNS1_11target_archE1201ELNS1_3gpuE5ELNS1_3repE0EEENS1_48merge_mergepath_partition_config_static_selectorELNS0_4arch9wavefront6targetE1EEEvSF_
                                        ; -- End function
	.section	.AMDGPU.csdata,"",@progbits
; Kernel info:
; codeLenInByte = 0
; NumSgprs: 4
; NumVgprs: 0
; NumAgprs: 0
; TotalNumVgprs: 0
; ScratchSize: 0
; MemoryBound: 0
; FloatMode: 240
; IeeeMode: 1
; LDSByteSize: 0 bytes/workgroup (compile time only)
; SGPRBlocks: 0
; VGPRBlocks: 0
; NumSGPRsForWavesPerEU: 4
; NumVGPRsForWavesPerEU: 1
; AccumOffset: 4
; Occupancy: 8
; WaveLimiterHint : 0
; COMPUTE_PGM_RSRC2:SCRATCH_EN: 0
; COMPUTE_PGM_RSRC2:USER_SGPR: 6
; COMPUTE_PGM_RSRC2:TRAP_HANDLER: 0
; COMPUTE_PGM_RSRC2:TGID_X_EN: 1
; COMPUTE_PGM_RSRC2:TGID_Y_EN: 0
; COMPUTE_PGM_RSRC2:TGID_Z_EN: 0
; COMPUTE_PGM_RSRC2:TIDIG_COMP_CNT: 0
; COMPUTE_PGM_RSRC3_GFX90A:ACCUM_OFFSET: 0
; COMPUTE_PGM_RSRC3_GFX90A:TG_SPLIT: 0
	.section	.text._ZN7rocprim17ROCPRIM_400000_NS6detail17trampoline_kernelINS0_14default_configENS1_38merge_sort_block_merge_config_selectorIsNS0_10empty_typeEEEZZNS1_27merge_sort_block_merge_implIS3_PsPS5_jNS1_19radix_merge_compareILb1ELb1EsNS0_19identity_decomposerEEEEE10hipError_tT0_T1_T2_jT3_P12ihipStream_tbPNSt15iterator_traitsISE_E10value_typeEPNSK_ISF_E10value_typeEPSG_NS1_7vsmem_tEENKUlT_SE_SF_SG_E_clIS8_S8_S9_S9_EESD_ST_SE_SF_SG_EUlST_E_NS1_11comp_targetILNS1_3genE5ELNS1_11target_archE942ELNS1_3gpuE9ELNS1_3repE0EEENS1_48merge_mergepath_partition_config_static_selectorELNS0_4arch9wavefront6targetE1EEEvSF_,"axG",@progbits,_ZN7rocprim17ROCPRIM_400000_NS6detail17trampoline_kernelINS0_14default_configENS1_38merge_sort_block_merge_config_selectorIsNS0_10empty_typeEEEZZNS1_27merge_sort_block_merge_implIS3_PsPS5_jNS1_19radix_merge_compareILb1ELb1EsNS0_19identity_decomposerEEEEE10hipError_tT0_T1_T2_jT3_P12ihipStream_tbPNSt15iterator_traitsISE_E10value_typeEPNSK_ISF_E10value_typeEPSG_NS1_7vsmem_tEENKUlT_SE_SF_SG_E_clIS8_S8_S9_S9_EESD_ST_SE_SF_SG_EUlST_E_NS1_11comp_targetILNS1_3genE5ELNS1_11target_archE942ELNS1_3gpuE9ELNS1_3repE0EEENS1_48merge_mergepath_partition_config_static_selectorELNS0_4arch9wavefront6targetE1EEEvSF_,comdat
	.protected	_ZN7rocprim17ROCPRIM_400000_NS6detail17trampoline_kernelINS0_14default_configENS1_38merge_sort_block_merge_config_selectorIsNS0_10empty_typeEEEZZNS1_27merge_sort_block_merge_implIS3_PsPS5_jNS1_19radix_merge_compareILb1ELb1EsNS0_19identity_decomposerEEEEE10hipError_tT0_T1_T2_jT3_P12ihipStream_tbPNSt15iterator_traitsISE_E10value_typeEPNSK_ISF_E10value_typeEPSG_NS1_7vsmem_tEENKUlT_SE_SF_SG_E_clIS8_S8_S9_S9_EESD_ST_SE_SF_SG_EUlST_E_NS1_11comp_targetILNS1_3genE5ELNS1_11target_archE942ELNS1_3gpuE9ELNS1_3repE0EEENS1_48merge_mergepath_partition_config_static_selectorELNS0_4arch9wavefront6targetE1EEEvSF_ ; -- Begin function _ZN7rocprim17ROCPRIM_400000_NS6detail17trampoline_kernelINS0_14default_configENS1_38merge_sort_block_merge_config_selectorIsNS0_10empty_typeEEEZZNS1_27merge_sort_block_merge_implIS3_PsPS5_jNS1_19radix_merge_compareILb1ELb1EsNS0_19identity_decomposerEEEEE10hipError_tT0_T1_T2_jT3_P12ihipStream_tbPNSt15iterator_traitsISE_E10value_typeEPNSK_ISF_E10value_typeEPSG_NS1_7vsmem_tEENKUlT_SE_SF_SG_E_clIS8_S8_S9_S9_EESD_ST_SE_SF_SG_EUlST_E_NS1_11comp_targetILNS1_3genE5ELNS1_11target_archE942ELNS1_3gpuE9ELNS1_3repE0EEENS1_48merge_mergepath_partition_config_static_selectorELNS0_4arch9wavefront6targetE1EEEvSF_
	.globl	_ZN7rocprim17ROCPRIM_400000_NS6detail17trampoline_kernelINS0_14default_configENS1_38merge_sort_block_merge_config_selectorIsNS0_10empty_typeEEEZZNS1_27merge_sort_block_merge_implIS3_PsPS5_jNS1_19radix_merge_compareILb1ELb1EsNS0_19identity_decomposerEEEEE10hipError_tT0_T1_T2_jT3_P12ihipStream_tbPNSt15iterator_traitsISE_E10value_typeEPNSK_ISF_E10value_typeEPSG_NS1_7vsmem_tEENKUlT_SE_SF_SG_E_clIS8_S8_S9_S9_EESD_ST_SE_SF_SG_EUlST_E_NS1_11comp_targetILNS1_3genE5ELNS1_11target_archE942ELNS1_3gpuE9ELNS1_3repE0EEENS1_48merge_mergepath_partition_config_static_selectorELNS0_4arch9wavefront6targetE1EEEvSF_
	.p2align	8
	.type	_ZN7rocprim17ROCPRIM_400000_NS6detail17trampoline_kernelINS0_14default_configENS1_38merge_sort_block_merge_config_selectorIsNS0_10empty_typeEEEZZNS1_27merge_sort_block_merge_implIS3_PsPS5_jNS1_19radix_merge_compareILb1ELb1EsNS0_19identity_decomposerEEEEE10hipError_tT0_T1_T2_jT3_P12ihipStream_tbPNSt15iterator_traitsISE_E10value_typeEPNSK_ISF_E10value_typeEPSG_NS1_7vsmem_tEENKUlT_SE_SF_SG_E_clIS8_S8_S9_S9_EESD_ST_SE_SF_SG_EUlST_E_NS1_11comp_targetILNS1_3genE5ELNS1_11target_archE942ELNS1_3gpuE9ELNS1_3repE0EEENS1_48merge_mergepath_partition_config_static_selectorELNS0_4arch9wavefront6targetE1EEEvSF_,@function
_ZN7rocprim17ROCPRIM_400000_NS6detail17trampoline_kernelINS0_14default_configENS1_38merge_sort_block_merge_config_selectorIsNS0_10empty_typeEEEZZNS1_27merge_sort_block_merge_implIS3_PsPS5_jNS1_19radix_merge_compareILb1ELb1EsNS0_19identity_decomposerEEEEE10hipError_tT0_T1_T2_jT3_P12ihipStream_tbPNSt15iterator_traitsISE_E10value_typeEPNSK_ISF_E10value_typeEPSG_NS1_7vsmem_tEENKUlT_SE_SF_SG_E_clIS8_S8_S9_S9_EESD_ST_SE_SF_SG_EUlST_E_NS1_11comp_targetILNS1_3genE5ELNS1_11target_archE942ELNS1_3gpuE9ELNS1_3repE0EEENS1_48merge_mergepath_partition_config_static_selectorELNS0_4arch9wavefront6targetE1EEEvSF_: ; @_ZN7rocprim17ROCPRIM_400000_NS6detail17trampoline_kernelINS0_14default_configENS1_38merge_sort_block_merge_config_selectorIsNS0_10empty_typeEEEZZNS1_27merge_sort_block_merge_implIS3_PsPS5_jNS1_19radix_merge_compareILb1ELb1EsNS0_19identity_decomposerEEEEE10hipError_tT0_T1_T2_jT3_P12ihipStream_tbPNSt15iterator_traitsISE_E10value_typeEPNSK_ISF_E10value_typeEPSG_NS1_7vsmem_tEENKUlT_SE_SF_SG_E_clIS8_S8_S9_S9_EESD_ST_SE_SF_SG_EUlST_E_NS1_11comp_targetILNS1_3genE5ELNS1_11target_archE942ELNS1_3gpuE9ELNS1_3repE0EEENS1_48merge_mergepath_partition_config_static_selectorELNS0_4arch9wavefront6targetE1EEEvSF_
; %bb.0:
	.section	.rodata,"a",@progbits
	.p2align	6, 0x0
	.amdhsa_kernel _ZN7rocprim17ROCPRIM_400000_NS6detail17trampoline_kernelINS0_14default_configENS1_38merge_sort_block_merge_config_selectorIsNS0_10empty_typeEEEZZNS1_27merge_sort_block_merge_implIS3_PsPS5_jNS1_19radix_merge_compareILb1ELb1EsNS0_19identity_decomposerEEEEE10hipError_tT0_T1_T2_jT3_P12ihipStream_tbPNSt15iterator_traitsISE_E10value_typeEPNSK_ISF_E10value_typeEPSG_NS1_7vsmem_tEENKUlT_SE_SF_SG_E_clIS8_S8_S9_S9_EESD_ST_SE_SF_SG_EUlST_E_NS1_11comp_targetILNS1_3genE5ELNS1_11target_archE942ELNS1_3gpuE9ELNS1_3repE0EEENS1_48merge_mergepath_partition_config_static_selectorELNS0_4arch9wavefront6targetE1EEEvSF_
		.amdhsa_group_segment_fixed_size 0
		.amdhsa_private_segment_fixed_size 0
		.amdhsa_kernarg_size 40
		.amdhsa_user_sgpr_count 6
		.amdhsa_user_sgpr_private_segment_buffer 1
		.amdhsa_user_sgpr_dispatch_ptr 0
		.amdhsa_user_sgpr_queue_ptr 0
		.amdhsa_user_sgpr_kernarg_segment_ptr 1
		.amdhsa_user_sgpr_dispatch_id 0
		.amdhsa_user_sgpr_flat_scratch_init 0
		.amdhsa_user_sgpr_kernarg_preload_length 0
		.amdhsa_user_sgpr_kernarg_preload_offset 0
		.amdhsa_user_sgpr_private_segment_size 0
		.amdhsa_uses_dynamic_stack 0
		.amdhsa_system_sgpr_private_segment_wavefront_offset 0
		.amdhsa_system_sgpr_workgroup_id_x 1
		.amdhsa_system_sgpr_workgroup_id_y 0
		.amdhsa_system_sgpr_workgroup_id_z 0
		.amdhsa_system_sgpr_workgroup_info 0
		.amdhsa_system_vgpr_workitem_id 0
		.amdhsa_next_free_vgpr 1
		.amdhsa_next_free_sgpr 0
		.amdhsa_accum_offset 4
		.amdhsa_reserve_vcc 0
		.amdhsa_reserve_flat_scratch 0
		.amdhsa_float_round_mode_32 0
		.amdhsa_float_round_mode_16_64 0
		.amdhsa_float_denorm_mode_32 3
		.amdhsa_float_denorm_mode_16_64 3
		.amdhsa_dx10_clamp 1
		.amdhsa_ieee_mode 1
		.amdhsa_fp16_overflow 0
		.amdhsa_tg_split 0
		.amdhsa_exception_fp_ieee_invalid_op 0
		.amdhsa_exception_fp_denorm_src 0
		.amdhsa_exception_fp_ieee_div_zero 0
		.amdhsa_exception_fp_ieee_overflow 0
		.amdhsa_exception_fp_ieee_underflow 0
		.amdhsa_exception_fp_ieee_inexact 0
		.amdhsa_exception_int_div_zero 0
	.end_amdhsa_kernel
	.section	.text._ZN7rocprim17ROCPRIM_400000_NS6detail17trampoline_kernelINS0_14default_configENS1_38merge_sort_block_merge_config_selectorIsNS0_10empty_typeEEEZZNS1_27merge_sort_block_merge_implIS3_PsPS5_jNS1_19radix_merge_compareILb1ELb1EsNS0_19identity_decomposerEEEEE10hipError_tT0_T1_T2_jT3_P12ihipStream_tbPNSt15iterator_traitsISE_E10value_typeEPNSK_ISF_E10value_typeEPSG_NS1_7vsmem_tEENKUlT_SE_SF_SG_E_clIS8_S8_S9_S9_EESD_ST_SE_SF_SG_EUlST_E_NS1_11comp_targetILNS1_3genE5ELNS1_11target_archE942ELNS1_3gpuE9ELNS1_3repE0EEENS1_48merge_mergepath_partition_config_static_selectorELNS0_4arch9wavefront6targetE1EEEvSF_,"axG",@progbits,_ZN7rocprim17ROCPRIM_400000_NS6detail17trampoline_kernelINS0_14default_configENS1_38merge_sort_block_merge_config_selectorIsNS0_10empty_typeEEEZZNS1_27merge_sort_block_merge_implIS3_PsPS5_jNS1_19radix_merge_compareILb1ELb1EsNS0_19identity_decomposerEEEEE10hipError_tT0_T1_T2_jT3_P12ihipStream_tbPNSt15iterator_traitsISE_E10value_typeEPNSK_ISF_E10value_typeEPSG_NS1_7vsmem_tEENKUlT_SE_SF_SG_E_clIS8_S8_S9_S9_EESD_ST_SE_SF_SG_EUlST_E_NS1_11comp_targetILNS1_3genE5ELNS1_11target_archE942ELNS1_3gpuE9ELNS1_3repE0EEENS1_48merge_mergepath_partition_config_static_selectorELNS0_4arch9wavefront6targetE1EEEvSF_,comdat
.Lfunc_end1786:
	.size	_ZN7rocprim17ROCPRIM_400000_NS6detail17trampoline_kernelINS0_14default_configENS1_38merge_sort_block_merge_config_selectorIsNS0_10empty_typeEEEZZNS1_27merge_sort_block_merge_implIS3_PsPS5_jNS1_19radix_merge_compareILb1ELb1EsNS0_19identity_decomposerEEEEE10hipError_tT0_T1_T2_jT3_P12ihipStream_tbPNSt15iterator_traitsISE_E10value_typeEPNSK_ISF_E10value_typeEPSG_NS1_7vsmem_tEENKUlT_SE_SF_SG_E_clIS8_S8_S9_S9_EESD_ST_SE_SF_SG_EUlST_E_NS1_11comp_targetILNS1_3genE5ELNS1_11target_archE942ELNS1_3gpuE9ELNS1_3repE0EEENS1_48merge_mergepath_partition_config_static_selectorELNS0_4arch9wavefront6targetE1EEEvSF_, .Lfunc_end1786-_ZN7rocprim17ROCPRIM_400000_NS6detail17trampoline_kernelINS0_14default_configENS1_38merge_sort_block_merge_config_selectorIsNS0_10empty_typeEEEZZNS1_27merge_sort_block_merge_implIS3_PsPS5_jNS1_19radix_merge_compareILb1ELb1EsNS0_19identity_decomposerEEEEE10hipError_tT0_T1_T2_jT3_P12ihipStream_tbPNSt15iterator_traitsISE_E10value_typeEPNSK_ISF_E10value_typeEPSG_NS1_7vsmem_tEENKUlT_SE_SF_SG_E_clIS8_S8_S9_S9_EESD_ST_SE_SF_SG_EUlST_E_NS1_11comp_targetILNS1_3genE5ELNS1_11target_archE942ELNS1_3gpuE9ELNS1_3repE0EEENS1_48merge_mergepath_partition_config_static_selectorELNS0_4arch9wavefront6targetE1EEEvSF_
                                        ; -- End function
	.section	.AMDGPU.csdata,"",@progbits
; Kernel info:
; codeLenInByte = 0
; NumSgprs: 4
; NumVgprs: 0
; NumAgprs: 0
; TotalNumVgprs: 0
; ScratchSize: 0
; MemoryBound: 0
; FloatMode: 240
; IeeeMode: 1
; LDSByteSize: 0 bytes/workgroup (compile time only)
; SGPRBlocks: 0
; VGPRBlocks: 0
; NumSGPRsForWavesPerEU: 4
; NumVGPRsForWavesPerEU: 1
; AccumOffset: 4
; Occupancy: 8
; WaveLimiterHint : 0
; COMPUTE_PGM_RSRC2:SCRATCH_EN: 0
; COMPUTE_PGM_RSRC2:USER_SGPR: 6
; COMPUTE_PGM_RSRC2:TRAP_HANDLER: 0
; COMPUTE_PGM_RSRC2:TGID_X_EN: 1
; COMPUTE_PGM_RSRC2:TGID_Y_EN: 0
; COMPUTE_PGM_RSRC2:TGID_Z_EN: 0
; COMPUTE_PGM_RSRC2:TIDIG_COMP_CNT: 0
; COMPUTE_PGM_RSRC3_GFX90A:ACCUM_OFFSET: 0
; COMPUTE_PGM_RSRC3_GFX90A:TG_SPLIT: 0
	.section	.text._ZN7rocprim17ROCPRIM_400000_NS6detail17trampoline_kernelINS0_14default_configENS1_38merge_sort_block_merge_config_selectorIsNS0_10empty_typeEEEZZNS1_27merge_sort_block_merge_implIS3_PsPS5_jNS1_19radix_merge_compareILb1ELb1EsNS0_19identity_decomposerEEEEE10hipError_tT0_T1_T2_jT3_P12ihipStream_tbPNSt15iterator_traitsISE_E10value_typeEPNSK_ISF_E10value_typeEPSG_NS1_7vsmem_tEENKUlT_SE_SF_SG_E_clIS8_S8_S9_S9_EESD_ST_SE_SF_SG_EUlST_E_NS1_11comp_targetILNS1_3genE4ELNS1_11target_archE910ELNS1_3gpuE8ELNS1_3repE0EEENS1_48merge_mergepath_partition_config_static_selectorELNS0_4arch9wavefront6targetE1EEEvSF_,"axG",@progbits,_ZN7rocprim17ROCPRIM_400000_NS6detail17trampoline_kernelINS0_14default_configENS1_38merge_sort_block_merge_config_selectorIsNS0_10empty_typeEEEZZNS1_27merge_sort_block_merge_implIS3_PsPS5_jNS1_19radix_merge_compareILb1ELb1EsNS0_19identity_decomposerEEEEE10hipError_tT0_T1_T2_jT3_P12ihipStream_tbPNSt15iterator_traitsISE_E10value_typeEPNSK_ISF_E10value_typeEPSG_NS1_7vsmem_tEENKUlT_SE_SF_SG_E_clIS8_S8_S9_S9_EESD_ST_SE_SF_SG_EUlST_E_NS1_11comp_targetILNS1_3genE4ELNS1_11target_archE910ELNS1_3gpuE8ELNS1_3repE0EEENS1_48merge_mergepath_partition_config_static_selectorELNS0_4arch9wavefront6targetE1EEEvSF_,comdat
	.protected	_ZN7rocprim17ROCPRIM_400000_NS6detail17trampoline_kernelINS0_14default_configENS1_38merge_sort_block_merge_config_selectorIsNS0_10empty_typeEEEZZNS1_27merge_sort_block_merge_implIS3_PsPS5_jNS1_19radix_merge_compareILb1ELb1EsNS0_19identity_decomposerEEEEE10hipError_tT0_T1_T2_jT3_P12ihipStream_tbPNSt15iterator_traitsISE_E10value_typeEPNSK_ISF_E10value_typeEPSG_NS1_7vsmem_tEENKUlT_SE_SF_SG_E_clIS8_S8_S9_S9_EESD_ST_SE_SF_SG_EUlST_E_NS1_11comp_targetILNS1_3genE4ELNS1_11target_archE910ELNS1_3gpuE8ELNS1_3repE0EEENS1_48merge_mergepath_partition_config_static_selectorELNS0_4arch9wavefront6targetE1EEEvSF_ ; -- Begin function _ZN7rocprim17ROCPRIM_400000_NS6detail17trampoline_kernelINS0_14default_configENS1_38merge_sort_block_merge_config_selectorIsNS0_10empty_typeEEEZZNS1_27merge_sort_block_merge_implIS3_PsPS5_jNS1_19radix_merge_compareILb1ELb1EsNS0_19identity_decomposerEEEEE10hipError_tT0_T1_T2_jT3_P12ihipStream_tbPNSt15iterator_traitsISE_E10value_typeEPNSK_ISF_E10value_typeEPSG_NS1_7vsmem_tEENKUlT_SE_SF_SG_E_clIS8_S8_S9_S9_EESD_ST_SE_SF_SG_EUlST_E_NS1_11comp_targetILNS1_3genE4ELNS1_11target_archE910ELNS1_3gpuE8ELNS1_3repE0EEENS1_48merge_mergepath_partition_config_static_selectorELNS0_4arch9wavefront6targetE1EEEvSF_
	.globl	_ZN7rocprim17ROCPRIM_400000_NS6detail17trampoline_kernelINS0_14default_configENS1_38merge_sort_block_merge_config_selectorIsNS0_10empty_typeEEEZZNS1_27merge_sort_block_merge_implIS3_PsPS5_jNS1_19radix_merge_compareILb1ELb1EsNS0_19identity_decomposerEEEEE10hipError_tT0_T1_T2_jT3_P12ihipStream_tbPNSt15iterator_traitsISE_E10value_typeEPNSK_ISF_E10value_typeEPSG_NS1_7vsmem_tEENKUlT_SE_SF_SG_E_clIS8_S8_S9_S9_EESD_ST_SE_SF_SG_EUlST_E_NS1_11comp_targetILNS1_3genE4ELNS1_11target_archE910ELNS1_3gpuE8ELNS1_3repE0EEENS1_48merge_mergepath_partition_config_static_selectorELNS0_4arch9wavefront6targetE1EEEvSF_
	.p2align	8
	.type	_ZN7rocprim17ROCPRIM_400000_NS6detail17trampoline_kernelINS0_14default_configENS1_38merge_sort_block_merge_config_selectorIsNS0_10empty_typeEEEZZNS1_27merge_sort_block_merge_implIS3_PsPS5_jNS1_19radix_merge_compareILb1ELb1EsNS0_19identity_decomposerEEEEE10hipError_tT0_T1_T2_jT3_P12ihipStream_tbPNSt15iterator_traitsISE_E10value_typeEPNSK_ISF_E10value_typeEPSG_NS1_7vsmem_tEENKUlT_SE_SF_SG_E_clIS8_S8_S9_S9_EESD_ST_SE_SF_SG_EUlST_E_NS1_11comp_targetILNS1_3genE4ELNS1_11target_archE910ELNS1_3gpuE8ELNS1_3repE0EEENS1_48merge_mergepath_partition_config_static_selectorELNS0_4arch9wavefront6targetE1EEEvSF_,@function
_ZN7rocprim17ROCPRIM_400000_NS6detail17trampoline_kernelINS0_14default_configENS1_38merge_sort_block_merge_config_selectorIsNS0_10empty_typeEEEZZNS1_27merge_sort_block_merge_implIS3_PsPS5_jNS1_19radix_merge_compareILb1ELb1EsNS0_19identity_decomposerEEEEE10hipError_tT0_T1_T2_jT3_P12ihipStream_tbPNSt15iterator_traitsISE_E10value_typeEPNSK_ISF_E10value_typeEPSG_NS1_7vsmem_tEENKUlT_SE_SF_SG_E_clIS8_S8_S9_S9_EESD_ST_SE_SF_SG_EUlST_E_NS1_11comp_targetILNS1_3genE4ELNS1_11target_archE910ELNS1_3gpuE8ELNS1_3repE0EEENS1_48merge_mergepath_partition_config_static_selectorELNS0_4arch9wavefront6targetE1EEEvSF_: ; @_ZN7rocprim17ROCPRIM_400000_NS6detail17trampoline_kernelINS0_14default_configENS1_38merge_sort_block_merge_config_selectorIsNS0_10empty_typeEEEZZNS1_27merge_sort_block_merge_implIS3_PsPS5_jNS1_19radix_merge_compareILb1ELb1EsNS0_19identity_decomposerEEEEE10hipError_tT0_T1_T2_jT3_P12ihipStream_tbPNSt15iterator_traitsISE_E10value_typeEPNSK_ISF_E10value_typeEPSG_NS1_7vsmem_tEENKUlT_SE_SF_SG_E_clIS8_S8_S9_S9_EESD_ST_SE_SF_SG_EUlST_E_NS1_11comp_targetILNS1_3genE4ELNS1_11target_archE910ELNS1_3gpuE8ELNS1_3repE0EEENS1_48merge_mergepath_partition_config_static_selectorELNS0_4arch9wavefront6targetE1EEEvSF_
; %bb.0:
	s_load_dword s0, s[4:5], 0x0
	v_lshl_or_b32 v0, s6, 7, v0
	s_waitcnt lgkmcnt(0)
	v_cmp_gt_u32_e32 vcc, s0, v0
	s_and_saveexec_b64 s[0:1], vcc
	s_cbranch_execz .LBB1787_6
; %bb.1:
	s_load_dwordx2 s[2:3], s[4:5], 0x4
	s_load_dwordx2 s[0:1], s[4:5], 0x20
	s_waitcnt lgkmcnt(0)
	s_lshr_b32 s6, s2, 9
	s_and_b32 s6, s6, 0x7ffffe
	s_add_i32 s7, s6, -1
	s_sub_i32 s6, 0, s6
	v_and_b32_e32 v1, s6, v0
	v_lshlrev_b32_e32 v1, 10, v1
	v_min_u32_e32 v2, s3, v1
	v_add_u32_e32 v1, s2, v1
	v_min_u32_e32 v4, s3, v1
	v_add_u32_e32 v1, s2, v4
	v_and_b32_e32 v3, s7, v0
	v_min_u32_e32 v1, s3, v1
	v_sub_u32_e32 v5, v1, v2
	v_lshlrev_b32_e32 v3, 10, v3
	v_min_u32_e32 v6, v5, v3
	v_sub_u32_e32 v3, v4, v2
	v_sub_u32_e32 v1, v1, v4
	v_sub_u32_e64 v1, v6, v1 clamp
	v_min_u32_e32 v7, v6, v3
	v_cmp_lt_u32_e32 vcc, v1, v7
	s_and_saveexec_b64 s[2:3], vcc
	s_cbranch_execz .LBB1787_5
; %bb.2:
	s_load_dwordx2 s[8:9], s[4:5], 0x10
	s_load_dword s6, s[4:5], 0x18
	v_mov_b32_e32 v5, 0
	v_mov_b32_e32 v3, v5
	v_lshlrev_b64 v[8:9], 1, v[2:3]
	s_waitcnt lgkmcnt(0)
	v_mov_b32_e32 v12, s9
	v_add_co_u32_e32 v3, vcc, s8, v8
	v_addc_co_u32_e32 v8, vcc, v12, v9, vcc
	v_lshlrev_b64 v[10:11], 1, v[4:5]
	v_add_co_u32_e32 v9, vcc, s8, v10
	v_addc_co_u32_e32 v10, vcc, v12, v11, vcc
	s_mov_b64 s[4:5], 0
.LBB1787_3:                             ; =>This Inner Loop Header: Depth=1
	v_add_u32_e32 v4, v7, v1
	v_and_b32_e32 v12, -2, v4
	v_lshrrev_b32_e32 v11, 1, v4
	v_add_co_u32_e32 v12, vcc, v3, v12
	v_xad_u32 v4, v11, -1, v6
	v_addc_co_u32_e32 v13, vcc, 0, v8, vcc
	global_load_ushort v14, v[12:13], off
	v_lshlrev_b64 v[12:13], 1, v[4:5]
	v_add_co_u32_e32 v12, vcc, v9, v12
	v_addc_co_u32_e32 v13, vcc, v10, v13, vcc
	global_load_ushort v4, v[12:13], off
	v_add_u32_e32 v12, 1, v11
	s_waitcnt vmcnt(1)
	v_and_b32_e32 v13, s6, v14
	s_waitcnt vmcnt(0)
	v_and_b32_e32 v4, s6, v4
	v_cmp_gt_i16_e32 vcc, v4, v13
	v_cndmask_b32_e32 v7, v7, v11, vcc
	v_cndmask_b32_e32 v1, v12, v1, vcc
	v_cmp_ge_u32_e32 vcc, v1, v7
	s_or_b64 s[4:5], vcc, s[4:5]
	s_andn2_b64 exec, exec, s[4:5]
	s_cbranch_execnz .LBB1787_3
; %bb.4:
	s_or_b64 exec, exec, s[4:5]
.LBB1787_5:
	s_or_b64 exec, exec, s[2:3]
	v_add_u32_e32 v2, v1, v2
	v_mov_b32_e32 v1, 0
	v_lshlrev_b64 v[0:1], 2, v[0:1]
	v_mov_b32_e32 v3, s1
	v_add_co_u32_e32 v0, vcc, s0, v0
	v_addc_co_u32_e32 v1, vcc, v3, v1, vcc
	global_store_dword v[0:1], v2, off
.LBB1787_6:
	s_endpgm
	.section	.rodata,"a",@progbits
	.p2align	6, 0x0
	.amdhsa_kernel _ZN7rocprim17ROCPRIM_400000_NS6detail17trampoline_kernelINS0_14default_configENS1_38merge_sort_block_merge_config_selectorIsNS0_10empty_typeEEEZZNS1_27merge_sort_block_merge_implIS3_PsPS5_jNS1_19radix_merge_compareILb1ELb1EsNS0_19identity_decomposerEEEEE10hipError_tT0_T1_T2_jT3_P12ihipStream_tbPNSt15iterator_traitsISE_E10value_typeEPNSK_ISF_E10value_typeEPSG_NS1_7vsmem_tEENKUlT_SE_SF_SG_E_clIS8_S8_S9_S9_EESD_ST_SE_SF_SG_EUlST_E_NS1_11comp_targetILNS1_3genE4ELNS1_11target_archE910ELNS1_3gpuE8ELNS1_3repE0EEENS1_48merge_mergepath_partition_config_static_selectorELNS0_4arch9wavefront6targetE1EEEvSF_
		.amdhsa_group_segment_fixed_size 0
		.amdhsa_private_segment_fixed_size 0
		.amdhsa_kernarg_size 40
		.amdhsa_user_sgpr_count 6
		.amdhsa_user_sgpr_private_segment_buffer 1
		.amdhsa_user_sgpr_dispatch_ptr 0
		.amdhsa_user_sgpr_queue_ptr 0
		.amdhsa_user_sgpr_kernarg_segment_ptr 1
		.amdhsa_user_sgpr_dispatch_id 0
		.amdhsa_user_sgpr_flat_scratch_init 0
		.amdhsa_user_sgpr_kernarg_preload_length 0
		.amdhsa_user_sgpr_kernarg_preload_offset 0
		.amdhsa_user_sgpr_private_segment_size 0
		.amdhsa_uses_dynamic_stack 0
		.amdhsa_system_sgpr_private_segment_wavefront_offset 0
		.amdhsa_system_sgpr_workgroup_id_x 1
		.amdhsa_system_sgpr_workgroup_id_y 0
		.amdhsa_system_sgpr_workgroup_id_z 0
		.amdhsa_system_sgpr_workgroup_info 0
		.amdhsa_system_vgpr_workitem_id 0
		.amdhsa_next_free_vgpr 15
		.amdhsa_next_free_sgpr 10
		.amdhsa_accum_offset 16
		.amdhsa_reserve_vcc 1
		.amdhsa_reserve_flat_scratch 0
		.amdhsa_float_round_mode_32 0
		.amdhsa_float_round_mode_16_64 0
		.amdhsa_float_denorm_mode_32 3
		.amdhsa_float_denorm_mode_16_64 3
		.amdhsa_dx10_clamp 1
		.amdhsa_ieee_mode 1
		.amdhsa_fp16_overflow 0
		.amdhsa_tg_split 0
		.amdhsa_exception_fp_ieee_invalid_op 0
		.amdhsa_exception_fp_denorm_src 0
		.amdhsa_exception_fp_ieee_div_zero 0
		.amdhsa_exception_fp_ieee_overflow 0
		.amdhsa_exception_fp_ieee_underflow 0
		.amdhsa_exception_fp_ieee_inexact 0
		.amdhsa_exception_int_div_zero 0
	.end_amdhsa_kernel
	.section	.text._ZN7rocprim17ROCPRIM_400000_NS6detail17trampoline_kernelINS0_14default_configENS1_38merge_sort_block_merge_config_selectorIsNS0_10empty_typeEEEZZNS1_27merge_sort_block_merge_implIS3_PsPS5_jNS1_19radix_merge_compareILb1ELb1EsNS0_19identity_decomposerEEEEE10hipError_tT0_T1_T2_jT3_P12ihipStream_tbPNSt15iterator_traitsISE_E10value_typeEPNSK_ISF_E10value_typeEPSG_NS1_7vsmem_tEENKUlT_SE_SF_SG_E_clIS8_S8_S9_S9_EESD_ST_SE_SF_SG_EUlST_E_NS1_11comp_targetILNS1_3genE4ELNS1_11target_archE910ELNS1_3gpuE8ELNS1_3repE0EEENS1_48merge_mergepath_partition_config_static_selectorELNS0_4arch9wavefront6targetE1EEEvSF_,"axG",@progbits,_ZN7rocprim17ROCPRIM_400000_NS6detail17trampoline_kernelINS0_14default_configENS1_38merge_sort_block_merge_config_selectorIsNS0_10empty_typeEEEZZNS1_27merge_sort_block_merge_implIS3_PsPS5_jNS1_19radix_merge_compareILb1ELb1EsNS0_19identity_decomposerEEEEE10hipError_tT0_T1_T2_jT3_P12ihipStream_tbPNSt15iterator_traitsISE_E10value_typeEPNSK_ISF_E10value_typeEPSG_NS1_7vsmem_tEENKUlT_SE_SF_SG_E_clIS8_S8_S9_S9_EESD_ST_SE_SF_SG_EUlST_E_NS1_11comp_targetILNS1_3genE4ELNS1_11target_archE910ELNS1_3gpuE8ELNS1_3repE0EEENS1_48merge_mergepath_partition_config_static_selectorELNS0_4arch9wavefront6targetE1EEEvSF_,comdat
.Lfunc_end1787:
	.size	_ZN7rocprim17ROCPRIM_400000_NS6detail17trampoline_kernelINS0_14default_configENS1_38merge_sort_block_merge_config_selectorIsNS0_10empty_typeEEEZZNS1_27merge_sort_block_merge_implIS3_PsPS5_jNS1_19radix_merge_compareILb1ELb1EsNS0_19identity_decomposerEEEEE10hipError_tT0_T1_T2_jT3_P12ihipStream_tbPNSt15iterator_traitsISE_E10value_typeEPNSK_ISF_E10value_typeEPSG_NS1_7vsmem_tEENKUlT_SE_SF_SG_E_clIS8_S8_S9_S9_EESD_ST_SE_SF_SG_EUlST_E_NS1_11comp_targetILNS1_3genE4ELNS1_11target_archE910ELNS1_3gpuE8ELNS1_3repE0EEENS1_48merge_mergepath_partition_config_static_selectorELNS0_4arch9wavefront6targetE1EEEvSF_, .Lfunc_end1787-_ZN7rocprim17ROCPRIM_400000_NS6detail17trampoline_kernelINS0_14default_configENS1_38merge_sort_block_merge_config_selectorIsNS0_10empty_typeEEEZZNS1_27merge_sort_block_merge_implIS3_PsPS5_jNS1_19radix_merge_compareILb1ELb1EsNS0_19identity_decomposerEEEEE10hipError_tT0_T1_T2_jT3_P12ihipStream_tbPNSt15iterator_traitsISE_E10value_typeEPNSK_ISF_E10value_typeEPSG_NS1_7vsmem_tEENKUlT_SE_SF_SG_E_clIS8_S8_S9_S9_EESD_ST_SE_SF_SG_EUlST_E_NS1_11comp_targetILNS1_3genE4ELNS1_11target_archE910ELNS1_3gpuE8ELNS1_3repE0EEENS1_48merge_mergepath_partition_config_static_selectorELNS0_4arch9wavefront6targetE1EEEvSF_
                                        ; -- End function
	.section	.AMDGPU.csdata,"",@progbits
; Kernel info:
; codeLenInByte = 372
; NumSgprs: 14
; NumVgprs: 15
; NumAgprs: 0
; TotalNumVgprs: 15
; ScratchSize: 0
; MemoryBound: 0
; FloatMode: 240
; IeeeMode: 1
; LDSByteSize: 0 bytes/workgroup (compile time only)
; SGPRBlocks: 1
; VGPRBlocks: 1
; NumSGPRsForWavesPerEU: 14
; NumVGPRsForWavesPerEU: 15
; AccumOffset: 16
; Occupancy: 8
; WaveLimiterHint : 0
; COMPUTE_PGM_RSRC2:SCRATCH_EN: 0
; COMPUTE_PGM_RSRC2:USER_SGPR: 6
; COMPUTE_PGM_RSRC2:TRAP_HANDLER: 0
; COMPUTE_PGM_RSRC2:TGID_X_EN: 1
; COMPUTE_PGM_RSRC2:TGID_Y_EN: 0
; COMPUTE_PGM_RSRC2:TGID_Z_EN: 0
; COMPUTE_PGM_RSRC2:TIDIG_COMP_CNT: 0
; COMPUTE_PGM_RSRC3_GFX90A:ACCUM_OFFSET: 3
; COMPUTE_PGM_RSRC3_GFX90A:TG_SPLIT: 0
	.section	.text._ZN7rocprim17ROCPRIM_400000_NS6detail17trampoline_kernelINS0_14default_configENS1_38merge_sort_block_merge_config_selectorIsNS0_10empty_typeEEEZZNS1_27merge_sort_block_merge_implIS3_PsPS5_jNS1_19radix_merge_compareILb1ELb1EsNS0_19identity_decomposerEEEEE10hipError_tT0_T1_T2_jT3_P12ihipStream_tbPNSt15iterator_traitsISE_E10value_typeEPNSK_ISF_E10value_typeEPSG_NS1_7vsmem_tEENKUlT_SE_SF_SG_E_clIS8_S8_S9_S9_EESD_ST_SE_SF_SG_EUlST_E_NS1_11comp_targetILNS1_3genE3ELNS1_11target_archE908ELNS1_3gpuE7ELNS1_3repE0EEENS1_48merge_mergepath_partition_config_static_selectorELNS0_4arch9wavefront6targetE1EEEvSF_,"axG",@progbits,_ZN7rocprim17ROCPRIM_400000_NS6detail17trampoline_kernelINS0_14default_configENS1_38merge_sort_block_merge_config_selectorIsNS0_10empty_typeEEEZZNS1_27merge_sort_block_merge_implIS3_PsPS5_jNS1_19radix_merge_compareILb1ELb1EsNS0_19identity_decomposerEEEEE10hipError_tT0_T1_T2_jT3_P12ihipStream_tbPNSt15iterator_traitsISE_E10value_typeEPNSK_ISF_E10value_typeEPSG_NS1_7vsmem_tEENKUlT_SE_SF_SG_E_clIS8_S8_S9_S9_EESD_ST_SE_SF_SG_EUlST_E_NS1_11comp_targetILNS1_3genE3ELNS1_11target_archE908ELNS1_3gpuE7ELNS1_3repE0EEENS1_48merge_mergepath_partition_config_static_selectorELNS0_4arch9wavefront6targetE1EEEvSF_,comdat
	.protected	_ZN7rocprim17ROCPRIM_400000_NS6detail17trampoline_kernelINS0_14default_configENS1_38merge_sort_block_merge_config_selectorIsNS0_10empty_typeEEEZZNS1_27merge_sort_block_merge_implIS3_PsPS5_jNS1_19radix_merge_compareILb1ELb1EsNS0_19identity_decomposerEEEEE10hipError_tT0_T1_T2_jT3_P12ihipStream_tbPNSt15iterator_traitsISE_E10value_typeEPNSK_ISF_E10value_typeEPSG_NS1_7vsmem_tEENKUlT_SE_SF_SG_E_clIS8_S8_S9_S9_EESD_ST_SE_SF_SG_EUlST_E_NS1_11comp_targetILNS1_3genE3ELNS1_11target_archE908ELNS1_3gpuE7ELNS1_3repE0EEENS1_48merge_mergepath_partition_config_static_selectorELNS0_4arch9wavefront6targetE1EEEvSF_ ; -- Begin function _ZN7rocprim17ROCPRIM_400000_NS6detail17trampoline_kernelINS0_14default_configENS1_38merge_sort_block_merge_config_selectorIsNS0_10empty_typeEEEZZNS1_27merge_sort_block_merge_implIS3_PsPS5_jNS1_19radix_merge_compareILb1ELb1EsNS0_19identity_decomposerEEEEE10hipError_tT0_T1_T2_jT3_P12ihipStream_tbPNSt15iterator_traitsISE_E10value_typeEPNSK_ISF_E10value_typeEPSG_NS1_7vsmem_tEENKUlT_SE_SF_SG_E_clIS8_S8_S9_S9_EESD_ST_SE_SF_SG_EUlST_E_NS1_11comp_targetILNS1_3genE3ELNS1_11target_archE908ELNS1_3gpuE7ELNS1_3repE0EEENS1_48merge_mergepath_partition_config_static_selectorELNS0_4arch9wavefront6targetE1EEEvSF_
	.globl	_ZN7rocprim17ROCPRIM_400000_NS6detail17trampoline_kernelINS0_14default_configENS1_38merge_sort_block_merge_config_selectorIsNS0_10empty_typeEEEZZNS1_27merge_sort_block_merge_implIS3_PsPS5_jNS1_19radix_merge_compareILb1ELb1EsNS0_19identity_decomposerEEEEE10hipError_tT0_T1_T2_jT3_P12ihipStream_tbPNSt15iterator_traitsISE_E10value_typeEPNSK_ISF_E10value_typeEPSG_NS1_7vsmem_tEENKUlT_SE_SF_SG_E_clIS8_S8_S9_S9_EESD_ST_SE_SF_SG_EUlST_E_NS1_11comp_targetILNS1_3genE3ELNS1_11target_archE908ELNS1_3gpuE7ELNS1_3repE0EEENS1_48merge_mergepath_partition_config_static_selectorELNS0_4arch9wavefront6targetE1EEEvSF_
	.p2align	8
	.type	_ZN7rocprim17ROCPRIM_400000_NS6detail17trampoline_kernelINS0_14default_configENS1_38merge_sort_block_merge_config_selectorIsNS0_10empty_typeEEEZZNS1_27merge_sort_block_merge_implIS3_PsPS5_jNS1_19radix_merge_compareILb1ELb1EsNS0_19identity_decomposerEEEEE10hipError_tT0_T1_T2_jT3_P12ihipStream_tbPNSt15iterator_traitsISE_E10value_typeEPNSK_ISF_E10value_typeEPSG_NS1_7vsmem_tEENKUlT_SE_SF_SG_E_clIS8_S8_S9_S9_EESD_ST_SE_SF_SG_EUlST_E_NS1_11comp_targetILNS1_3genE3ELNS1_11target_archE908ELNS1_3gpuE7ELNS1_3repE0EEENS1_48merge_mergepath_partition_config_static_selectorELNS0_4arch9wavefront6targetE1EEEvSF_,@function
_ZN7rocprim17ROCPRIM_400000_NS6detail17trampoline_kernelINS0_14default_configENS1_38merge_sort_block_merge_config_selectorIsNS0_10empty_typeEEEZZNS1_27merge_sort_block_merge_implIS3_PsPS5_jNS1_19radix_merge_compareILb1ELb1EsNS0_19identity_decomposerEEEEE10hipError_tT0_T1_T2_jT3_P12ihipStream_tbPNSt15iterator_traitsISE_E10value_typeEPNSK_ISF_E10value_typeEPSG_NS1_7vsmem_tEENKUlT_SE_SF_SG_E_clIS8_S8_S9_S9_EESD_ST_SE_SF_SG_EUlST_E_NS1_11comp_targetILNS1_3genE3ELNS1_11target_archE908ELNS1_3gpuE7ELNS1_3repE0EEENS1_48merge_mergepath_partition_config_static_selectorELNS0_4arch9wavefront6targetE1EEEvSF_: ; @_ZN7rocprim17ROCPRIM_400000_NS6detail17trampoline_kernelINS0_14default_configENS1_38merge_sort_block_merge_config_selectorIsNS0_10empty_typeEEEZZNS1_27merge_sort_block_merge_implIS3_PsPS5_jNS1_19radix_merge_compareILb1ELb1EsNS0_19identity_decomposerEEEEE10hipError_tT0_T1_T2_jT3_P12ihipStream_tbPNSt15iterator_traitsISE_E10value_typeEPNSK_ISF_E10value_typeEPSG_NS1_7vsmem_tEENKUlT_SE_SF_SG_E_clIS8_S8_S9_S9_EESD_ST_SE_SF_SG_EUlST_E_NS1_11comp_targetILNS1_3genE3ELNS1_11target_archE908ELNS1_3gpuE7ELNS1_3repE0EEENS1_48merge_mergepath_partition_config_static_selectorELNS0_4arch9wavefront6targetE1EEEvSF_
; %bb.0:
	.section	.rodata,"a",@progbits
	.p2align	6, 0x0
	.amdhsa_kernel _ZN7rocprim17ROCPRIM_400000_NS6detail17trampoline_kernelINS0_14default_configENS1_38merge_sort_block_merge_config_selectorIsNS0_10empty_typeEEEZZNS1_27merge_sort_block_merge_implIS3_PsPS5_jNS1_19radix_merge_compareILb1ELb1EsNS0_19identity_decomposerEEEEE10hipError_tT0_T1_T2_jT3_P12ihipStream_tbPNSt15iterator_traitsISE_E10value_typeEPNSK_ISF_E10value_typeEPSG_NS1_7vsmem_tEENKUlT_SE_SF_SG_E_clIS8_S8_S9_S9_EESD_ST_SE_SF_SG_EUlST_E_NS1_11comp_targetILNS1_3genE3ELNS1_11target_archE908ELNS1_3gpuE7ELNS1_3repE0EEENS1_48merge_mergepath_partition_config_static_selectorELNS0_4arch9wavefront6targetE1EEEvSF_
		.amdhsa_group_segment_fixed_size 0
		.amdhsa_private_segment_fixed_size 0
		.amdhsa_kernarg_size 40
		.amdhsa_user_sgpr_count 6
		.amdhsa_user_sgpr_private_segment_buffer 1
		.amdhsa_user_sgpr_dispatch_ptr 0
		.amdhsa_user_sgpr_queue_ptr 0
		.amdhsa_user_sgpr_kernarg_segment_ptr 1
		.amdhsa_user_sgpr_dispatch_id 0
		.amdhsa_user_sgpr_flat_scratch_init 0
		.amdhsa_user_sgpr_kernarg_preload_length 0
		.amdhsa_user_sgpr_kernarg_preload_offset 0
		.amdhsa_user_sgpr_private_segment_size 0
		.amdhsa_uses_dynamic_stack 0
		.amdhsa_system_sgpr_private_segment_wavefront_offset 0
		.amdhsa_system_sgpr_workgroup_id_x 1
		.amdhsa_system_sgpr_workgroup_id_y 0
		.amdhsa_system_sgpr_workgroup_id_z 0
		.amdhsa_system_sgpr_workgroup_info 0
		.amdhsa_system_vgpr_workitem_id 0
		.amdhsa_next_free_vgpr 1
		.amdhsa_next_free_sgpr 0
		.amdhsa_accum_offset 4
		.amdhsa_reserve_vcc 0
		.amdhsa_reserve_flat_scratch 0
		.amdhsa_float_round_mode_32 0
		.amdhsa_float_round_mode_16_64 0
		.amdhsa_float_denorm_mode_32 3
		.amdhsa_float_denorm_mode_16_64 3
		.amdhsa_dx10_clamp 1
		.amdhsa_ieee_mode 1
		.amdhsa_fp16_overflow 0
		.amdhsa_tg_split 0
		.amdhsa_exception_fp_ieee_invalid_op 0
		.amdhsa_exception_fp_denorm_src 0
		.amdhsa_exception_fp_ieee_div_zero 0
		.amdhsa_exception_fp_ieee_overflow 0
		.amdhsa_exception_fp_ieee_underflow 0
		.amdhsa_exception_fp_ieee_inexact 0
		.amdhsa_exception_int_div_zero 0
	.end_amdhsa_kernel
	.section	.text._ZN7rocprim17ROCPRIM_400000_NS6detail17trampoline_kernelINS0_14default_configENS1_38merge_sort_block_merge_config_selectorIsNS0_10empty_typeEEEZZNS1_27merge_sort_block_merge_implIS3_PsPS5_jNS1_19radix_merge_compareILb1ELb1EsNS0_19identity_decomposerEEEEE10hipError_tT0_T1_T2_jT3_P12ihipStream_tbPNSt15iterator_traitsISE_E10value_typeEPNSK_ISF_E10value_typeEPSG_NS1_7vsmem_tEENKUlT_SE_SF_SG_E_clIS8_S8_S9_S9_EESD_ST_SE_SF_SG_EUlST_E_NS1_11comp_targetILNS1_3genE3ELNS1_11target_archE908ELNS1_3gpuE7ELNS1_3repE0EEENS1_48merge_mergepath_partition_config_static_selectorELNS0_4arch9wavefront6targetE1EEEvSF_,"axG",@progbits,_ZN7rocprim17ROCPRIM_400000_NS6detail17trampoline_kernelINS0_14default_configENS1_38merge_sort_block_merge_config_selectorIsNS0_10empty_typeEEEZZNS1_27merge_sort_block_merge_implIS3_PsPS5_jNS1_19radix_merge_compareILb1ELb1EsNS0_19identity_decomposerEEEEE10hipError_tT0_T1_T2_jT3_P12ihipStream_tbPNSt15iterator_traitsISE_E10value_typeEPNSK_ISF_E10value_typeEPSG_NS1_7vsmem_tEENKUlT_SE_SF_SG_E_clIS8_S8_S9_S9_EESD_ST_SE_SF_SG_EUlST_E_NS1_11comp_targetILNS1_3genE3ELNS1_11target_archE908ELNS1_3gpuE7ELNS1_3repE0EEENS1_48merge_mergepath_partition_config_static_selectorELNS0_4arch9wavefront6targetE1EEEvSF_,comdat
.Lfunc_end1788:
	.size	_ZN7rocprim17ROCPRIM_400000_NS6detail17trampoline_kernelINS0_14default_configENS1_38merge_sort_block_merge_config_selectorIsNS0_10empty_typeEEEZZNS1_27merge_sort_block_merge_implIS3_PsPS5_jNS1_19radix_merge_compareILb1ELb1EsNS0_19identity_decomposerEEEEE10hipError_tT0_T1_T2_jT3_P12ihipStream_tbPNSt15iterator_traitsISE_E10value_typeEPNSK_ISF_E10value_typeEPSG_NS1_7vsmem_tEENKUlT_SE_SF_SG_E_clIS8_S8_S9_S9_EESD_ST_SE_SF_SG_EUlST_E_NS1_11comp_targetILNS1_3genE3ELNS1_11target_archE908ELNS1_3gpuE7ELNS1_3repE0EEENS1_48merge_mergepath_partition_config_static_selectorELNS0_4arch9wavefront6targetE1EEEvSF_, .Lfunc_end1788-_ZN7rocprim17ROCPRIM_400000_NS6detail17trampoline_kernelINS0_14default_configENS1_38merge_sort_block_merge_config_selectorIsNS0_10empty_typeEEEZZNS1_27merge_sort_block_merge_implIS3_PsPS5_jNS1_19radix_merge_compareILb1ELb1EsNS0_19identity_decomposerEEEEE10hipError_tT0_T1_T2_jT3_P12ihipStream_tbPNSt15iterator_traitsISE_E10value_typeEPNSK_ISF_E10value_typeEPSG_NS1_7vsmem_tEENKUlT_SE_SF_SG_E_clIS8_S8_S9_S9_EESD_ST_SE_SF_SG_EUlST_E_NS1_11comp_targetILNS1_3genE3ELNS1_11target_archE908ELNS1_3gpuE7ELNS1_3repE0EEENS1_48merge_mergepath_partition_config_static_selectorELNS0_4arch9wavefront6targetE1EEEvSF_
                                        ; -- End function
	.section	.AMDGPU.csdata,"",@progbits
; Kernel info:
; codeLenInByte = 0
; NumSgprs: 4
; NumVgprs: 0
; NumAgprs: 0
; TotalNumVgprs: 0
; ScratchSize: 0
; MemoryBound: 0
; FloatMode: 240
; IeeeMode: 1
; LDSByteSize: 0 bytes/workgroup (compile time only)
; SGPRBlocks: 0
; VGPRBlocks: 0
; NumSGPRsForWavesPerEU: 4
; NumVGPRsForWavesPerEU: 1
; AccumOffset: 4
; Occupancy: 8
; WaveLimiterHint : 0
; COMPUTE_PGM_RSRC2:SCRATCH_EN: 0
; COMPUTE_PGM_RSRC2:USER_SGPR: 6
; COMPUTE_PGM_RSRC2:TRAP_HANDLER: 0
; COMPUTE_PGM_RSRC2:TGID_X_EN: 1
; COMPUTE_PGM_RSRC2:TGID_Y_EN: 0
; COMPUTE_PGM_RSRC2:TGID_Z_EN: 0
; COMPUTE_PGM_RSRC2:TIDIG_COMP_CNT: 0
; COMPUTE_PGM_RSRC3_GFX90A:ACCUM_OFFSET: 0
; COMPUTE_PGM_RSRC3_GFX90A:TG_SPLIT: 0
	.section	.text._ZN7rocprim17ROCPRIM_400000_NS6detail17trampoline_kernelINS0_14default_configENS1_38merge_sort_block_merge_config_selectorIsNS0_10empty_typeEEEZZNS1_27merge_sort_block_merge_implIS3_PsPS5_jNS1_19radix_merge_compareILb1ELb1EsNS0_19identity_decomposerEEEEE10hipError_tT0_T1_T2_jT3_P12ihipStream_tbPNSt15iterator_traitsISE_E10value_typeEPNSK_ISF_E10value_typeEPSG_NS1_7vsmem_tEENKUlT_SE_SF_SG_E_clIS8_S8_S9_S9_EESD_ST_SE_SF_SG_EUlST_E_NS1_11comp_targetILNS1_3genE2ELNS1_11target_archE906ELNS1_3gpuE6ELNS1_3repE0EEENS1_48merge_mergepath_partition_config_static_selectorELNS0_4arch9wavefront6targetE1EEEvSF_,"axG",@progbits,_ZN7rocprim17ROCPRIM_400000_NS6detail17trampoline_kernelINS0_14default_configENS1_38merge_sort_block_merge_config_selectorIsNS0_10empty_typeEEEZZNS1_27merge_sort_block_merge_implIS3_PsPS5_jNS1_19radix_merge_compareILb1ELb1EsNS0_19identity_decomposerEEEEE10hipError_tT0_T1_T2_jT3_P12ihipStream_tbPNSt15iterator_traitsISE_E10value_typeEPNSK_ISF_E10value_typeEPSG_NS1_7vsmem_tEENKUlT_SE_SF_SG_E_clIS8_S8_S9_S9_EESD_ST_SE_SF_SG_EUlST_E_NS1_11comp_targetILNS1_3genE2ELNS1_11target_archE906ELNS1_3gpuE6ELNS1_3repE0EEENS1_48merge_mergepath_partition_config_static_selectorELNS0_4arch9wavefront6targetE1EEEvSF_,comdat
	.protected	_ZN7rocprim17ROCPRIM_400000_NS6detail17trampoline_kernelINS0_14default_configENS1_38merge_sort_block_merge_config_selectorIsNS0_10empty_typeEEEZZNS1_27merge_sort_block_merge_implIS3_PsPS5_jNS1_19radix_merge_compareILb1ELb1EsNS0_19identity_decomposerEEEEE10hipError_tT0_T1_T2_jT3_P12ihipStream_tbPNSt15iterator_traitsISE_E10value_typeEPNSK_ISF_E10value_typeEPSG_NS1_7vsmem_tEENKUlT_SE_SF_SG_E_clIS8_S8_S9_S9_EESD_ST_SE_SF_SG_EUlST_E_NS1_11comp_targetILNS1_3genE2ELNS1_11target_archE906ELNS1_3gpuE6ELNS1_3repE0EEENS1_48merge_mergepath_partition_config_static_selectorELNS0_4arch9wavefront6targetE1EEEvSF_ ; -- Begin function _ZN7rocprim17ROCPRIM_400000_NS6detail17trampoline_kernelINS0_14default_configENS1_38merge_sort_block_merge_config_selectorIsNS0_10empty_typeEEEZZNS1_27merge_sort_block_merge_implIS3_PsPS5_jNS1_19radix_merge_compareILb1ELb1EsNS0_19identity_decomposerEEEEE10hipError_tT0_T1_T2_jT3_P12ihipStream_tbPNSt15iterator_traitsISE_E10value_typeEPNSK_ISF_E10value_typeEPSG_NS1_7vsmem_tEENKUlT_SE_SF_SG_E_clIS8_S8_S9_S9_EESD_ST_SE_SF_SG_EUlST_E_NS1_11comp_targetILNS1_3genE2ELNS1_11target_archE906ELNS1_3gpuE6ELNS1_3repE0EEENS1_48merge_mergepath_partition_config_static_selectorELNS0_4arch9wavefront6targetE1EEEvSF_
	.globl	_ZN7rocprim17ROCPRIM_400000_NS6detail17trampoline_kernelINS0_14default_configENS1_38merge_sort_block_merge_config_selectorIsNS0_10empty_typeEEEZZNS1_27merge_sort_block_merge_implIS3_PsPS5_jNS1_19radix_merge_compareILb1ELb1EsNS0_19identity_decomposerEEEEE10hipError_tT0_T1_T2_jT3_P12ihipStream_tbPNSt15iterator_traitsISE_E10value_typeEPNSK_ISF_E10value_typeEPSG_NS1_7vsmem_tEENKUlT_SE_SF_SG_E_clIS8_S8_S9_S9_EESD_ST_SE_SF_SG_EUlST_E_NS1_11comp_targetILNS1_3genE2ELNS1_11target_archE906ELNS1_3gpuE6ELNS1_3repE0EEENS1_48merge_mergepath_partition_config_static_selectorELNS0_4arch9wavefront6targetE1EEEvSF_
	.p2align	8
	.type	_ZN7rocprim17ROCPRIM_400000_NS6detail17trampoline_kernelINS0_14default_configENS1_38merge_sort_block_merge_config_selectorIsNS0_10empty_typeEEEZZNS1_27merge_sort_block_merge_implIS3_PsPS5_jNS1_19radix_merge_compareILb1ELb1EsNS0_19identity_decomposerEEEEE10hipError_tT0_T1_T2_jT3_P12ihipStream_tbPNSt15iterator_traitsISE_E10value_typeEPNSK_ISF_E10value_typeEPSG_NS1_7vsmem_tEENKUlT_SE_SF_SG_E_clIS8_S8_S9_S9_EESD_ST_SE_SF_SG_EUlST_E_NS1_11comp_targetILNS1_3genE2ELNS1_11target_archE906ELNS1_3gpuE6ELNS1_3repE0EEENS1_48merge_mergepath_partition_config_static_selectorELNS0_4arch9wavefront6targetE1EEEvSF_,@function
_ZN7rocprim17ROCPRIM_400000_NS6detail17trampoline_kernelINS0_14default_configENS1_38merge_sort_block_merge_config_selectorIsNS0_10empty_typeEEEZZNS1_27merge_sort_block_merge_implIS3_PsPS5_jNS1_19radix_merge_compareILb1ELb1EsNS0_19identity_decomposerEEEEE10hipError_tT0_T1_T2_jT3_P12ihipStream_tbPNSt15iterator_traitsISE_E10value_typeEPNSK_ISF_E10value_typeEPSG_NS1_7vsmem_tEENKUlT_SE_SF_SG_E_clIS8_S8_S9_S9_EESD_ST_SE_SF_SG_EUlST_E_NS1_11comp_targetILNS1_3genE2ELNS1_11target_archE906ELNS1_3gpuE6ELNS1_3repE0EEENS1_48merge_mergepath_partition_config_static_selectorELNS0_4arch9wavefront6targetE1EEEvSF_: ; @_ZN7rocprim17ROCPRIM_400000_NS6detail17trampoline_kernelINS0_14default_configENS1_38merge_sort_block_merge_config_selectorIsNS0_10empty_typeEEEZZNS1_27merge_sort_block_merge_implIS3_PsPS5_jNS1_19radix_merge_compareILb1ELb1EsNS0_19identity_decomposerEEEEE10hipError_tT0_T1_T2_jT3_P12ihipStream_tbPNSt15iterator_traitsISE_E10value_typeEPNSK_ISF_E10value_typeEPSG_NS1_7vsmem_tEENKUlT_SE_SF_SG_E_clIS8_S8_S9_S9_EESD_ST_SE_SF_SG_EUlST_E_NS1_11comp_targetILNS1_3genE2ELNS1_11target_archE906ELNS1_3gpuE6ELNS1_3repE0EEENS1_48merge_mergepath_partition_config_static_selectorELNS0_4arch9wavefront6targetE1EEEvSF_
; %bb.0:
	.section	.rodata,"a",@progbits
	.p2align	6, 0x0
	.amdhsa_kernel _ZN7rocprim17ROCPRIM_400000_NS6detail17trampoline_kernelINS0_14default_configENS1_38merge_sort_block_merge_config_selectorIsNS0_10empty_typeEEEZZNS1_27merge_sort_block_merge_implIS3_PsPS5_jNS1_19radix_merge_compareILb1ELb1EsNS0_19identity_decomposerEEEEE10hipError_tT0_T1_T2_jT3_P12ihipStream_tbPNSt15iterator_traitsISE_E10value_typeEPNSK_ISF_E10value_typeEPSG_NS1_7vsmem_tEENKUlT_SE_SF_SG_E_clIS8_S8_S9_S9_EESD_ST_SE_SF_SG_EUlST_E_NS1_11comp_targetILNS1_3genE2ELNS1_11target_archE906ELNS1_3gpuE6ELNS1_3repE0EEENS1_48merge_mergepath_partition_config_static_selectorELNS0_4arch9wavefront6targetE1EEEvSF_
		.amdhsa_group_segment_fixed_size 0
		.amdhsa_private_segment_fixed_size 0
		.amdhsa_kernarg_size 40
		.amdhsa_user_sgpr_count 6
		.amdhsa_user_sgpr_private_segment_buffer 1
		.amdhsa_user_sgpr_dispatch_ptr 0
		.amdhsa_user_sgpr_queue_ptr 0
		.amdhsa_user_sgpr_kernarg_segment_ptr 1
		.amdhsa_user_sgpr_dispatch_id 0
		.amdhsa_user_sgpr_flat_scratch_init 0
		.amdhsa_user_sgpr_kernarg_preload_length 0
		.amdhsa_user_sgpr_kernarg_preload_offset 0
		.amdhsa_user_sgpr_private_segment_size 0
		.amdhsa_uses_dynamic_stack 0
		.amdhsa_system_sgpr_private_segment_wavefront_offset 0
		.amdhsa_system_sgpr_workgroup_id_x 1
		.amdhsa_system_sgpr_workgroup_id_y 0
		.amdhsa_system_sgpr_workgroup_id_z 0
		.amdhsa_system_sgpr_workgroup_info 0
		.amdhsa_system_vgpr_workitem_id 0
		.amdhsa_next_free_vgpr 1
		.amdhsa_next_free_sgpr 0
		.amdhsa_accum_offset 4
		.amdhsa_reserve_vcc 0
		.amdhsa_reserve_flat_scratch 0
		.amdhsa_float_round_mode_32 0
		.amdhsa_float_round_mode_16_64 0
		.amdhsa_float_denorm_mode_32 3
		.amdhsa_float_denorm_mode_16_64 3
		.amdhsa_dx10_clamp 1
		.amdhsa_ieee_mode 1
		.amdhsa_fp16_overflow 0
		.amdhsa_tg_split 0
		.amdhsa_exception_fp_ieee_invalid_op 0
		.amdhsa_exception_fp_denorm_src 0
		.amdhsa_exception_fp_ieee_div_zero 0
		.amdhsa_exception_fp_ieee_overflow 0
		.amdhsa_exception_fp_ieee_underflow 0
		.amdhsa_exception_fp_ieee_inexact 0
		.amdhsa_exception_int_div_zero 0
	.end_amdhsa_kernel
	.section	.text._ZN7rocprim17ROCPRIM_400000_NS6detail17trampoline_kernelINS0_14default_configENS1_38merge_sort_block_merge_config_selectorIsNS0_10empty_typeEEEZZNS1_27merge_sort_block_merge_implIS3_PsPS5_jNS1_19radix_merge_compareILb1ELb1EsNS0_19identity_decomposerEEEEE10hipError_tT0_T1_T2_jT3_P12ihipStream_tbPNSt15iterator_traitsISE_E10value_typeEPNSK_ISF_E10value_typeEPSG_NS1_7vsmem_tEENKUlT_SE_SF_SG_E_clIS8_S8_S9_S9_EESD_ST_SE_SF_SG_EUlST_E_NS1_11comp_targetILNS1_3genE2ELNS1_11target_archE906ELNS1_3gpuE6ELNS1_3repE0EEENS1_48merge_mergepath_partition_config_static_selectorELNS0_4arch9wavefront6targetE1EEEvSF_,"axG",@progbits,_ZN7rocprim17ROCPRIM_400000_NS6detail17trampoline_kernelINS0_14default_configENS1_38merge_sort_block_merge_config_selectorIsNS0_10empty_typeEEEZZNS1_27merge_sort_block_merge_implIS3_PsPS5_jNS1_19radix_merge_compareILb1ELb1EsNS0_19identity_decomposerEEEEE10hipError_tT0_T1_T2_jT3_P12ihipStream_tbPNSt15iterator_traitsISE_E10value_typeEPNSK_ISF_E10value_typeEPSG_NS1_7vsmem_tEENKUlT_SE_SF_SG_E_clIS8_S8_S9_S9_EESD_ST_SE_SF_SG_EUlST_E_NS1_11comp_targetILNS1_3genE2ELNS1_11target_archE906ELNS1_3gpuE6ELNS1_3repE0EEENS1_48merge_mergepath_partition_config_static_selectorELNS0_4arch9wavefront6targetE1EEEvSF_,comdat
.Lfunc_end1789:
	.size	_ZN7rocprim17ROCPRIM_400000_NS6detail17trampoline_kernelINS0_14default_configENS1_38merge_sort_block_merge_config_selectorIsNS0_10empty_typeEEEZZNS1_27merge_sort_block_merge_implIS3_PsPS5_jNS1_19radix_merge_compareILb1ELb1EsNS0_19identity_decomposerEEEEE10hipError_tT0_T1_T2_jT3_P12ihipStream_tbPNSt15iterator_traitsISE_E10value_typeEPNSK_ISF_E10value_typeEPSG_NS1_7vsmem_tEENKUlT_SE_SF_SG_E_clIS8_S8_S9_S9_EESD_ST_SE_SF_SG_EUlST_E_NS1_11comp_targetILNS1_3genE2ELNS1_11target_archE906ELNS1_3gpuE6ELNS1_3repE0EEENS1_48merge_mergepath_partition_config_static_selectorELNS0_4arch9wavefront6targetE1EEEvSF_, .Lfunc_end1789-_ZN7rocprim17ROCPRIM_400000_NS6detail17trampoline_kernelINS0_14default_configENS1_38merge_sort_block_merge_config_selectorIsNS0_10empty_typeEEEZZNS1_27merge_sort_block_merge_implIS3_PsPS5_jNS1_19radix_merge_compareILb1ELb1EsNS0_19identity_decomposerEEEEE10hipError_tT0_T1_T2_jT3_P12ihipStream_tbPNSt15iterator_traitsISE_E10value_typeEPNSK_ISF_E10value_typeEPSG_NS1_7vsmem_tEENKUlT_SE_SF_SG_E_clIS8_S8_S9_S9_EESD_ST_SE_SF_SG_EUlST_E_NS1_11comp_targetILNS1_3genE2ELNS1_11target_archE906ELNS1_3gpuE6ELNS1_3repE0EEENS1_48merge_mergepath_partition_config_static_selectorELNS0_4arch9wavefront6targetE1EEEvSF_
                                        ; -- End function
	.section	.AMDGPU.csdata,"",@progbits
; Kernel info:
; codeLenInByte = 0
; NumSgprs: 4
; NumVgprs: 0
; NumAgprs: 0
; TotalNumVgprs: 0
; ScratchSize: 0
; MemoryBound: 0
; FloatMode: 240
; IeeeMode: 1
; LDSByteSize: 0 bytes/workgroup (compile time only)
; SGPRBlocks: 0
; VGPRBlocks: 0
; NumSGPRsForWavesPerEU: 4
; NumVGPRsForWavesPerEU: 1
; AccumOffset: 4
; Occupancy: 8
; WaveLimiterHint : 0
; COMPUTE_PGM_RSRC2:SCRATCH_EN: 0
; COMPUTE_PGM_RSRC2:USER_SGPR: 6
; COMPUTE_PGM_RSRC2:TRAP_HANDLER: 0
; COMPUTE_PGM_RSRC2:TGID_X_EN: 1
; COMPUTE_PGM_RSRC2:TGID_Y_EN: 0
; COMPUTE_PGM_RSRC2:TGID_Z_EN: 0
; COMPUTE_PGM_RSRC2:TIDIG_COMP_CNT: 0
; COMPUTE_PGM_RSRC3_GFX90A:ACCUM_OFFSET: 0
; COMPUTE_PGM_RSRC3_GFX90A:TG_SPLIT: 0
	.section	.text._ZN7rocprim17ROCPRIM_400000_NS6detail17trampoline_kernelINS0_14default_configENS1_38merge_sort_block_merge_config_selectorIsNS0_10empty_typeEEEZZNS1_27merge_sort_block_merge_implIS3_PsPS5_jNS1_19radix_merge_compareILb1ELb1EsNS0_19identity_decomposerEEEEE10hipError_tT0_T1_T2_jT3_P12ihipStream_tbPNSt15iterator_traitsISE_E10value_typeEPNSK_ISF_E10value_typeEPSG_NS1_7vsmem_tEENKUlT_SE_SF_SG_E_clIS8_S8_S9_S9_EESD_ST_SE_SF_SG_EUlST_E_NS1_11comp_targetILNS1_3genE9ELNS1_11target_archE1100ELNS1_3gpuE3ELNS1_3repE0EEENS1_48merge_mergepath_partition_config_static_selectorELNS0_4arch9wavefront6targetE1EEEvSF_,"axG",@progbits,_ZN7rocprim17ROCPRIM_400000_NS6detail17trampoline_kernelINS0_14default_configENS1_38merge_sort_block_merge_config_selectorIsNS0_10empty_typeEEEZZNS1_27merge_sort_block_merge_implIS3_PsPS5_jNS1_19radix_merge_compareILb1ELb1EsNS0_19identity_decomposerEEEEE10hipError_tT0_T1_T2_jT3_P12ihipStream_tbPNSt15iterator_traitsISE_E10value_typeEPNSK_ISF_E10value_typeEPSG_NS1_7vsmem_tEENKUlT_SE_SF_SG_E_clIS8_S8_S9_S9_EESD_ST_SE_SF_SG_EUlST_E_NS1_11comp_targetILNS1_3genE9ELNS1_11target_archE1100ELNS1_3gpuE3ELNS1_3repE0EEENS1_48merge_mergepath_partition_config_static_selectorELNS0_4arch9wavefront6targetE1EEEvSF_,comdat
	.protected	_ZN7rocprim17ROCPRIM_400000_NS6detail17trampoline_kernelINS0_14default_configENS1_38merge_sort_block_merge_config_selectorIsNS0_10empty_typeEEEZZNS1_27merge_sort_block_merge_implIS3_PsPS5_jNS1_19radix_merge_compareILb1ELb1EsNS0_19identity_decomposerEEEEE10hipError_tT0_T1_T2_jT3_P12ihipStream_tbPNSt15iterator_traitsISE_E10value_typeEPNSK_ISF_E10value_typeEPSG_NS1_7vsmem_tEENKUlT_SE_SF_SG_E_clIS8_S8_S9_S9_EESD_ST_SE_SF_SG_EUlST_E_NS1_11comp_targetILNS1_3genE9ELNS1_11target_archE1100ELNS1_3gpuE3ELNS1_3repE0EEENS1_48merge_mergepath_partition_config_static_selectorELNS0_4arch9wavefront6targetE1EEEvSF_ ; -- Begin function _ZN7rocprim17ROCPRIM_400000_NS6detail17trampoline_kernelINS0_14default_configENS1_38merge_sort_block_merge_config_selectorIsNS0_10empty_typeEEEZZNS1_27merge_sort_block_merge_implIS3_PsPS5_jNS1_19radix_merge_compareILb1ELb1EsNS0_19identity_decomposerEEEEE10hipError_tT0_T1_T2_jT3_P12ihipStream_tbPNSt15iterator_traitsISE_E10value_typeEPNSK_ISF_E10value_typeEPSG_NS1_7vsmem_tEENKUlT_SE_SF_SG_E_clIS8_S8_S9_S9_EESD_ST_SE_SF_SG_EUlST_E_NS1_11comp_targetILNS1_3genE9ELNS1_11target_archE1100ELNS1_3gpuE3ELNS1_3repE0EEENS1_48merge_mergepath_partition_config_static_selectorELNS0_4arch9wavefront6targetE1EEEvSF_
	.globl	_ZN7rocprim17ROCPRIM_400000_NS6detail17trampoline_kernelINS0_14default_configENS1_38merge_sort_block_merge_config_selectorIsNS0_10empty_typeEEEZZNS1_27merge_sort_block_merge_implIS3_PsPS5_jNS1_19radix_merge_compareILb1ELb1EsNS0_19identity_decomposerEEEEE10hipError_tT0_T1_T2_jT3_P12ihipStream_tbPNSt15iterator_traitsISE_E10value_typeEPNSK_ISF_E10value_typeEPSG_NS1_7vsmem_tEENKUlT_SE_SF_SG_E_clIS8_S8_S9_S9_EESD_ST_SE_SF_SG_EUlST_E_NS1_11comp_targetILNS1_3genE9ELNS1_11target_archE1100ELNS1_3gpuE3ELNS1_3repE0EEENS1_48merge_mergepath_partition_config_static_selectorELNS0_4arch9wavefront6targetE1EEEvSF_
	.p2align	8
	.type	_ZN7rocprim17ROCPRIM_400000_NS6detail17trampoline_kernelINS0_14default_configENS1_38merge_sort_block_merge_config_selectorIsNS0_10empty_typeEEEZZNS1_27merge_sort_block_merge_implIS3_PsPS5_jNS1_19radix_merge_compareILb1ELb1EsNS0_19identity_decomposerEEEEE10hipError_tT0_T1_T2_jT3_P12ihipStream_tbPNSt15iterator_traitsISE_E10value_typeEPNSK_ISF_E10value_typeEPSG_NS1_7vsmem_tEENKUlT_SE_SF_SG_E_clIS8_S8_S9_S9_EESD_ST_SE_SF_SG_EUlST_E_NS1_11comp_targetILNS1_3genE9ELNS1_11target_archE1100ELNS1_3gpuE3ELNS1_3repE0EEENS1_48merge_mergepath_partition_config_static_selectorELNS0_4arch9wavefront6targetE1EEEvSF_,@function
_ZN7rocprim17ROCPRIM_400000_NS6detail17trampoline_kernelINS0_14default_configENS1_38merge_sort_block_merge_config_selectorIsNS0_10empty_typeEEEZZNS1_27merge_sort_block_merge_implIS3_PsPS5_jNS1_19radix_merge_compareILb1ELb1EsNS0_19identity_decomposerEEEEE10hipError_tT0_T1_T2_jT3_P12ihipStream_tbPNSt15iterator_traitsISE_E10value_typeEPNSK_ISF_E10value_typeEPSG_NS1_7vsmem_tEENKUlT_SE_SF_SG_E_clIS8_S8_S9_S9_EESD_ST_SE_SF_SG_EUlST_E_NS1_11comp_targetILNS1_3genE9ELNS1_11target_archE1100ELNS1_3gpuE3ELNS1_3repE0EEENS1_48merge_mergepath_partition_config_static_selectorELNS0_4arch9wavefront6targetE1EEEvSF_: ; @_ZN7rocprim17ROCPRIM_400000_NS6detail17trampoline_kernelINS0_14default_configENS1_38merge_sort_block_merge_config_selectorIsNS0_10empty_typeEEEZZNS1_27merge_sort_block_merge_implIS3_PsPS5_jNS1_19radix_merge_compareILb1ELb1EsNS0_19identity_decomposerEEEEE10hipError_tT0_T1_T2_jT3_P12ihipStream_tbPNSt15iterator_traitsISE_E10value_typeEPNSK_ISF_E10value_typeEPSG_NS1_7vsmem_tEENKUlT_SE_SF_SG_E_clIS8_S8_S9_S9_EESD_ST_SE_SF_SG_EUlST_E_NS1_11comp_targetILNS1_3genE9ELNS1_11target_archE1100ELNS1_3gpuE3ELNS1_3repE0EEENS1_48merge_mergepath_partition_config_static_selectorELNS0_4arch9wavefront6targetE1EEEvSF_
; %bb.0:
	.section	.rodata,"a",@progbits
	.p2align	6, 0x0
	.amdhsa_kernel _ZN7rocprim17ROCPRIM_400000_NS6detail17trampoline_kernelINS0_14default_configENS1_38merge_sort_block_merge_config_selectorIsNS0_10empty_typeEEEZZNS1_27merge_sort_block_merge_implIS3_PsPS5_jNS1_19radix_merge_compareILb1ELb1EsNS0_19identity_decomposerEEEEE10hipError_tT0_T1_T2_jT3_P12ihipStream_tbPNSt15iterator_traitsISE_E10value_typeEPNSK_ISF_E10value_typeEPSG_NS1_7vsmem_tEENKUlT_SE_SF_SG_E_clIS8_S8_S9_S9_EESD_ST_SE_SF_SG_EUlST_E_NS1_11comp_targetILNS1_3genE9ELNS1_11target_archE1100ELNS1_3gpuE3ELNS1_3repE0EEENS1_48merge_mergepath_partition_config_static_selectorELNS0_4arch9wavefront6targetE1EEEvSF_
		.amdhsa_group_segment_fixed_size 0
		.amdhsa_private_segment_fixed_size 0
		.amdhsa_kernarg_size 40
		.amdhsa_user_sgpr_count 6
		.amdhsa_user_sgpr_private_segment_buffer 1
		.amdhsa_user_sgpr_dispatch_ptr 0
		.amdhsa_user_sgpr_queue_ptr 0
		.amdhsa_user_sgpr_kernarg_segment_ptr 1
		.amdhsa_user_sgpr_dispatch_id 0
		.amdhsa_user_sgpr_flat_scratch_init 0
		.amdhsa_user_sgpr_kernarg_preload_length 0
		.amdhsa_user_sgpr_kernarg_preload_offset 0
		.amdhsa_user_sgpr_private_segment_size 0
		.amdhsa_uses_dynamic_stack 0
		.amdhsa_system_sgpr_private_segment_wavefront_offset 0
		.amdhsa_system_sgpr_workgroup_id_x 1
		.amdhsa_system_sgpr_workgroup_id_y 0
		.amdhsa_system_sgpr_workgroup_id_z 0
		.amdhsa_system_sgpr_workgroup_info 0
		.amdhsa_system_vgpr_workitem_id 0
		.amdhsa_next_free_vgpr 1
		.amdhsa_next_free_sgpr 0
		.amdhsa_accum_offset 4
		.amdhsa_reserve_vcc 0
		.amdhsa_reserve_flat_scratch 0
		.amdhsa_float_round_mode_32 0
		.amdhsa_float_round_mode_16_64 0
		.amdhsa_float_denorm_mode_32 3
		.amdhsa_float_denorm_mode_16_64 3
		.amdhsa_dx10_clamp 1
		.amdhsa_ieee_mode 1
		.amdhsa_fp16_overflow 0
		.amdhsa_tg_split 0
		.amdhsa_exception_fp_ieee_invalid_op 0
		.amdhsa_exception_fp_denorm_src 0
		.amdhsa_exception_fp_ieee_div_zero 0
		.amdhsa_exception_fp_ieee_overflow 0
		.amdhsa_exception_fp_ieee_underflow 0
		.amdhsa_exception_fp_ieee_inexact 0
		.amdhsa_exception_int_div_zero 0
	.end_amdhsa_kernel
	.section	.text._ZN7rocprim17ROCPRIM_400000_NS6detail17trampoline_kernelINS0_14default_configENS1_38merge_sort_block_merge_config_selectorIsNS0_10empty_typeEEEZZNS1_27merge_sort_block_merge_implIS3_PsPS5_jNS1_19radix_merge_compareILb1ELb1EsNS0_19identity_decomposerEEEEE10hipError_tT0_T1_T2_jT3_P12ihipStream_tbPNSt15iterator_traitsISE_E10value_typeEPNSK_ISF_E10value_typeEPSG_NS1_7vsmem_tEENKUlT_SE_SF_SG_E_clIS8_S8_S9_S9_EESD_ST_SE_SF_SG_EUlST_E_NS1_11comp_targetILNS1_3genE9ELNS1_11target_archE1100ELNS1_3gpuE3ELNS1_3repE0EEENS1_48merge_mergepath_partition_config_static_selectorELNS0_4arch9wavefront6targetE1EEEvSF_,"axG",@progbits,_ZN7rocprim17ROCPRIM_400000_NS6detail17trampoline_kernelINS0_14default_configENS1_38merge_sort_block_merge_config_selectorIsNS0_10empty_typeEEEZZNS1_27merge_sort_block_merge_implIS3_PsPS5_jNS1_19radix_merge_compareILb1ELb1EsNS0_19identity_decomposerEEEEE10hipError_tT0_T1_T2_jT3_P12ihipStream_tbPNSt15iterator_traitsISE_E10value_typeEPNSK_ISF_E10value_typeEPSG_NS1_7vsmem_tEENKUlT_SE_SF_SG_E_clIS8_S8_S9_S9_EESD_ST_SE_SF_SG_EUlST_E_NS1_11comp_targetILNS1_3genE9ELNS1_11target_archE1100ELNS1_3gpuE3ELNS1_3repE0EEENS1_48merge_mergepath_partition_config_static_selectorELNS0_4arch9wavefront6targetE1EEEvSF_,comdat
.Lfunc_end1790:
	.size	_ZN7rocprim17ROCPRIM_400000_NS6detail17trampoline_kernelINS0_14default_configENS1_38merge_sort_block_merge_config_selectorIsNS0_10empty_typeEEEZZNS1_27merge_sort_block_merge_implIS3_PsPS5_jNS1_19radix_merge_compareILb1ELb1EsNS0_19identity_decomposerEEEEE10hipError_tT0_T1_T2_jT3_P12ihipStream_tbPNSt15iterator_traitsISE_E10value_typeEPNSK_ISF_E10value_typeEPSG_NS1_7vsmem_tEENKUlT_SE_SF_SG_E_clIS8_S8_S9_S9_EESD_ST_SE_SF_SG_EUlST_E_NS1_11comp_targetILNS1_3genE9ELNS1_11target_archE1100ELNS1_3gpuE3ELNS1_3repE0EEENS1_48merge_mergepath_partition_config_static_selectorELNS0_4arch9wavefront6targetE1EEEvSF_, .Lfunc_end1790-_ZN7rocprim17ROCPRIM_400000_NS6detail17trampoline_kernelINS0_14default_configENS1_38merge_sort_block_merge_config_selectorIsNS0_10empty_typeEEEZZNS1_27merge_sort_block_merge_implIS3_PsPS5_jNS1_19radix_merge_compareILb1ELb1EsNS0_19identity_decomposerEEEEE10hipError_tT0_T1_T2_jT3_P12ihipStream_tbPNSt15iterator_traitsISE_E10value_typeEPNSK_ISF_E10value_typeEPSG_NS1_7vsmem_tEENKUlT_SE_SF_SG_E_clIS8_S8_S9_S9_EESD_ST_SE_SF_SG_EUlST_E_NS1_11comp_targetILNS1_3genE9ELNS1_11target_archE1100ELNS1_3gpuE3ELNS1_3repE0EEENS1_48merge_mergepath_partition_config_static_selectorELNS0_4arch9wavefront6targetE1EEEvSF_
                                        ; -- End function
	.section	.AMDGPU.csdata,"",@progbits
; Kernel info:
; codeLenInByte = 0
; NumSgprs: 4
; NumVgprs: 0
; NumAgprs: 0
; TotalNumVgprs: 0
; ScratchSize: 0
; MemoryBound: 0
; FloatMode: 240
; IeeeMode: 1
; LDSByteSize: 0 bytes/workgroup (compile time only)
; SGPRBlocks: 0
; VGPRBlocks: 0
; NumSGPRsForWavesPerEU: 4
; NumVGPRsForWavesPerEU: 1
; AccumOffset: 4
; Occupancy: 8
; WaveLimiterHint : 0
; COMPUTE_PGM_RSRC2:SCRATCH_EN: 0
; COMPUTE_PGM_RSRC2:USER_SGPR: 6
; COMPUTE_PGM_RSRC2:TRAP_HANDLER: 0
; COMPUTE_PGM_RSRC2:TGID_X_EN: 1
; COMPUTE_PGM_RSRC2:TGID_Y_EN: 0
; COMPUTE_PGM_RSRC2:TGID_Z_EN: 0
; COMPUTE_PGM_RSRC2:TIDIG_COMP_CNT: 0
; COMPUTE_PGM_RSRC3_GFX90A:ACCUM_OFFSET: 0
; COMPUTE_PGM_RSRC3_GFX90A:TG_SPLIT: 0
	.section	.text._ZN7rocprim17ROCPRIM_400000_NS6detail17trampoline_kernelINS0_14default_configENS1_38merge_sort_block_merge_config_selectorIsNS0_10empty_typeEEEZZNS1_27merge_sort_block_merge_implIS3_PsPS5_jNS1_19radix_merge_compareILb1ELb1EsNS0_19identity_decomposerEEEEE10hipError_tT0_T1_T2_jT3_P12ihipStream_tbPNSt15iterator_traitsISE_E10value_typeEPNSK_ISF_E10value_typeEPSG_NS1_7vsmem_tEENKUlT_SE_SF_SG_E_clIS8_S8_S9_S9_EESD_ST_SE_SF_SG_EUlST_E_NS1_11comp_targetILNS1_3genE8ELNS1_11target_archE1030ELNS1_3gpuE2ELNS1_3repE0EEENS1_48merge_mergepath_partition_config_static_selectorELNS0_4arch9wavefront6targetE1EEEvSF_,"axG",@progbits,_ZN7rocprim17ROCPRIM_400000_NS6detail17trampoline_kernelINS0_14default_configENS1_38merge_sort_block_merge_config_selectorIsNS0_10empty_typeEEEZZNS1_27merge_sort_block_merge_implIS3_PsPS5_jNS1_19radix_merge_compareILb1ELb1EsNS0_19identity_decomposerEEEEE10hipError_tT0_T1_T2_jT3_P12ihipStream_tbPNSt15iterator_traitsISE_E10value_typeEPNSK_ISF_E10value_typeEPSG_NS1_7vsmem_tEENKUlT_SE_SF_SG_E_clIS8_S8_S9_S9_EESD_ST_SE_SF_SG_EUlST_E_NS1_11comp_targetILNS1_3genE8ELNS1_11target_archE1030ELNS1_3gpuE2ELNS1_3repE0EEENS1_48merge_mergepath_partition_config_static_selectorELNS0_4arch9wavefront6targetE1EEEvSF_,comdat
	.protected	_ZN7rocprim17ROCPRIM_400000_NS6detail17trampoline_kernelINS0_14default_configENS1_38merge_sort_block_merge_config_selectorIsNS0_10empty_typeEEEZZNS1_27merge_sort_block_merge_implIS3_PsPS5_jNS1_19radix_merge_compareILb1ELb1EsNS0_19identity_decomposerEEEEE10hipError_tT0_T1_T2_jT3_P12ihipStream_tbPNSt15iterator_traitsISE_E10value_typeEPNSK_ISF_E10value_typeEPSG_NS1_7vsmem_tEENKUlT_SE_SF_SG_E_clIS8_S8_S9_S9_EESD_ST_SE_SF_SG_EUlST_E_NS1_11comp_targetILNS1_3genE8ELNS1_11target_archE1030ELNS1_3gpuE2ELNS1_3repE0EEENS1_48merge_mergepath_partition_config_static_selectorELNS0_4arch9wavefront6targetE1EEEvSF_ ; -- Begin function _ZN7rocprim17ROCPRIM_400000_NS6detail17trampoline_kernelINS0_14default_configENS1_38merge_sort_block_merge_config_selectorIsNS0_10empty_typeEEEZZNS1_27merge_sort_block_merge_implIS3_PsPS5_jNS1_19radix_merge_compareILb1ELb1EsNS0_19identity_decomposerEEEEE10hipError_tT0_T1_T2_jT3_P12ihipStream_tbPNSt15iterator_traitsISE_E10value_typeEPNSK_ISF_E10value_typeEPSG_NS1_7vsmem_tEENKUlT_SE_SF_SG_E_clIS8_S8_S9_S9_EESD_ST_SE_SF_SG_EUlST_E_NS1_11comp_targetILNS1_3genE8ELNS1_11target_archE1030ELNS1_3gpuE2ELNS1_3repE0EEENS1_48merge_mergepath_partition_config_static_selectorELNS0_4arch9wavefront6targetE1EEEvSF_
	.globl	_ZN7rocprim17ROCPRIM_400000_NS6detail17trampoline_kernelINS0_14default_configENS1_38merge_sort_block_merge_config_selectorIsNS0_10empty_typeEEEZZNS1_27merge_sort_block_merge_implIS3_PsPS5_jNS1_19radix_merge_compareILb1ELb1EsNS0_19identity_decomposerEEEEE10hipError_tT0_T1_T2_jT3_P12ihipStream_tbPNSt15iterator_traitsISE_E10value_typeEPNSK_ISF_E10value_typeEPSG_NS1_7vsmem_tEENKUlT_SE_SF_SG_E_clIS8_S8_S9_S9_EESD_ST_SE_SF_SG_EUlST_E_NS1_11comp_targetILNS1_3genE8ELNS1_11target_archE1030ELNS1_3gpuE2ELNS1_3repE0EEENS1_48merge_mergepath_partition_config_static_selectorELNS0_4arch9wavefront6targetE1EEEvSF_
	.p2align	8
	.type	_ZN7rocprim17ROCPRIM_400000_NS6detail17trampoline_kernelINS0_14default_configENS1_38merge_sort_block_merge_config_selectorIsNS0_10empty_typeEEEZZNS1_27merge_sort_block_merge_implIS3_PsPS5_jNS1_19radix_merge_compareILb1ELb1EsNS0_19identity_decomposerEEEEE10hipError_tT0_T1_T2_jT3_P12ihipStream_tbPNSt15iterator_traitsISE_E10value_typeEPNSK_ISF_E10value_typeEPSG_NS1_7vsmem_tEENKUlT_SE_SF_SG_E_clIS8_S8_S9_S9_EESD_ST_SE_SF_SG_EUlST_E_NS1_11comp_targetILNS1_3genE8ELNS1_11target_archE1030ELNS1_3gpuE2ELNS1_3repE0EEENS1_48merge_mergepath_partition_config_static_selectorELNS0_4arch9wavefront6targetE1EEEvSF_,@function
_ZN7rocprim17ROCPRIM_400000_NS6detail17trampoline_kernelINS0_14default_configENS1_38merge_sort_block_merge_config_selectorIsNS0_10empty_typeEEEZZNS1_27merge_sort_block_merge_implIS3_PsPS5_jNS1_19radix_merge_compareILb1ELb1EsNS0_19identity_decomposerEEEEE10hipError_tT0_T1_T2_jT3_P12ihipStream_tbPNSt15iterator_traitsISE_E10value_typeEPNSK_ISF_E10value_typeEPSG_NS1_7vsmem_tEENKUlT_SE_SF_SG_E_clIS8_S8_S9_S9_EESD_ST_SE_SF_SG_EUlST_E_NS1_11comp_targetILNS1_3genE8ELNS1_11target_archE1030ELNS1_3gpuE2ELNS1_3repE0EEENS1_48merge_mergepath_partition_config_static_selectorELNS0_4arch9wavefront6targetE1EEEvSF_: ; @_ZN7rocprim17ROCPRIM_400000_NS6detail17trampoline_kernelINS0_14default_configENS1_38merge_sort_block_merge_config_selectorIsNS0_10empty_typeEEEZZNS1_27merge_sort_block_merge_implIS3_PsPS5_jNS1_19radix_merge_compareILb1ELb1EsNS0_19identity_decomposerEEEEE10hipError_tT0_T1_T2_jT3_P12ihipStream_tbPNSt15iterator_traitsISE_E10value_typeEPNSK_ISF_E10value_typeEPSG_NS1_7vsmem_tEENKUlT_SE_SF_SG_E_clIS8_S8_S9_S9_EESD_ST_SE_SF_SG_EUlST_E_NS1_11comp_targetILNS1_3genE8ELNS1_11target_archE1030ELNS1_3gpuE2ELNS1_3repE0EEENS1_48merge_mergepath_partition_config_static_selectorELNS0_4arch9wavefront6targetE1EEEvSF_
; %bb.0:
	.section	.rodata,"a",@progbits
	.p2align	6, 0x0
	.amdhsa_kernel _ZN7rocprim17ROCPRIM_400000_NS6detail17trampoline_kernelINS0_14default_configENS1_38merge_sort_block_merge_config_selectorIsNS0_10empty_typeEEEZZNS1_27merge_sort_block_merge_implIS3_PsPS5_jNS1_19radix_merge_compareILb1ELb1EsNS0_19identity_decomposerEEEEE10hipError_tT0_T1_T2_jT3_P12ihipStream_tbPNSt15iterator_traitsISE_E10value_typeEPNSK_ISF_E10value_typeEPSG_NS1_7vsmem_tEENKUlT_SE_SF_SG_E_clIS8_S8_S9_S9_EESD_ST_SE_SF_SG_EUlST_E_NS1_11comp_targetILNS1_3genE8ELNS1_11target_archE1030ELNS1_3gpuE2ELNS1_3repE0EEENS1_48merge_mergepath_partition_config_static_selectorELNS0_4arch9wavefront6targetE1EEEvSF_
		.amdhsa_group_segment_fixed_size 0
		.amdhsa_private_segment_fixed_size 0
		.amdhsa_kernarg_size 40
		.amdhsa_user_sgpr_count 6
		.amdhsa_user_sgpr_private_segment_buffer 1
		.amdhsa_user_sgpr_dispatch_ptr 0
		.amdhsa_user_sgpr_queue_ptr 0
		.amdhsa_user_sgpr_kernarg_segment_ptr 1
		.amdhsa_user_sgpr_dispatch_id 0
		.amdhsa_user_sgpr_flat_scratch_init 0
		.amdhsa_user_sgpr_kernarg_preload_length 0
		.amdhsa_user_sgpr_kernarg_preload_offset 0
		.amdhsa_user_sgpr_private_segment_size 0
		.amdhsa_uses_dynamic_stack 0
		.amdhsa_system_sgpr_private_segment_wavefront_offset 0
		.amdhsa_system_sgpr_workgroup_id_x 1
		.amdhsa_system_sgpr_workgroup_id_y 0
		.amdhsa_system_sgpr_workgroup_id_z 0
		.amdhsa_system_sgpr_workgroup_info 0
		.amdhsa_system_vgpr_workitem_id 0
		.amdhsa_next_free_vgpr 1
		.amdhsa_next_free_sgpr 0
		.amdhsa_accum_offset 4
		.amdhsa_reserve_vcc 0
		.amdhsa_reserve_flat_scratch 0
		.amdhsa_float_round_mode_32 0
		.amdhsa_float_round_mode_16_64 0
		.amdhsa_float_denorm_mode_32 3
		.amdhsa_float_denorm_mode_16_64 3
		.amdhsa_dx10_clamp 1
		.amdhsa_ieee_mode 1
		.amdhsa_fp16_overflow 0
		.amdhsa_tg_split 0
		.amdhsa_exception_fp_ieee_invalid_op 0
		.amdhsa_exception_fp_denorm_src 0
		.amdhsa_exception_fp_ieee_div_zero 0
		.amdhsa_exception_fp_ieee_overflow 0
		.amdhsa_exception_fp_ieee_underflow 0
		.amdhsa_exception_fp_ieee_inexact 0
		.amdhsa_exception_int_div_zero 0
	.end_amdhsa_kernel
	.section	.text._ZN7rocprim17ROCPRIM_400000_NS6detail17trampoline_kernelINS0_14default_configENS1_38merge_sort_block_merge_config_selectorIsNS0_10empty_typeEEEZZNS1_27merge_sort_block_merge_implIS3_PsPS5_jNS1_19radix_merge_compareILb1ELb1EsNS0_19identity_decomposerEEEEE10hipError_tT0_T1_T2_jT3_P12ihipStream_tbPNSt15iterator_traitsISE_E10value_typeEPNSK_ISF_E10value_typeEPSG_NS1_7vsmem_tEENKUlT_SE_SF_SG_E_clIS8_S8_S9_S9_EESD_ST_SE_SF_SG_EUlST_E_NS1_11comp_targetILNS1_3genE8ELNS1_11target_archE1030ELNS1_3gpuE2ELNS1_3repE0EEENS1_48merge_mergepath_partition_config_static_selectorELNS0_4arch9wavefront6targetE1EEEvSF_,"axG",@progbits,_ZN7rocprim17ROCPRIM_400000_NS6detail17trampoline_kernelINS0_14default_configENS1_38merge_sort_block_merge_config_selectorIsNS0_10empty_typeEEEZZNS1_27merge_sort_block_merge_implIS3_PsPS5_jNS1_19radix_merge_compareILb1ELb1EsNS0_19identity_decomposerEEEEE10hipError_tT0_T1_T2_jT3_P12ihipStream_tbPNSt15iterator_traitsISE_E10value_typeEPNSK_ISF_E10value_typeEPSG_NS1_7vsmem_tEENKUlT_SE_SF_SG_E_clIS8_S8_S9_S9_EESD_ST_SE_SF_SG_EUlST_E_NS1_11comp_targetILNS1_3genE8ELNS1_11target_archE1030ELNS1_3gpuE2ELNS1_3repE0EEENS1_48merge_mergepath_partition_config_static_selectorELNS0_4arch9wavefront6targetE1EEEvSF_,comdat
.Lfunc_end1791:
	.size	_ZN7rocprim17ROCPRIM_400000_NS6detail17trampoline_kernelINS0_14default_configENS1_38merge_sort_block_merge_config_selectorIsNS0_10empty_typeEEEZZNS1_27merge_sort_block_merge_implIS3_PsPS5_jNS1_19radix_merge_compareILb1ELb1EsNS0_19identity_decomposerEEEEE10hipError_tT0_T1_T2_jT3_P12ihipStream_tbPNSt15iterator_traitsISE_E10value_typeEPNSK_ISF_E10value_typeEPSG_NS1_7vsmem_tEENKUlT_SE_SF_SG_E_clIS8_S8_S9_S9_EESD_ST_SE_SF_SG_EUlST_E_NS1_11comp_targetILNS1_3genE8ELNS1_11target_archE1030ELNS1_3gpuE2ELNS1_3repE0EEENS1_48merge_mergepath_partition_config_static_selectorELNS0_4arch9wavefront6targetE1EEEvSF_, .Lfunc_end1791-_ZN7rocprim17ROCPRIM_400000_NS6detail17trampoline_kernelINS0_14default_configENS1_38merge_sort_block_merge_config_selectorIsNS0_10empty_typeEEEZZNS1_27merge_sort_block_merge_implIS3_PsPS5_jNS1_19radix_merge_compareILb1ELb1EsNS0_19identity_decomposerEEEEE10hipError_tT0_T1_T2_jT3_P12ihipStream_tbPNSt15iterator_traitsISE_E10value_typeEPNSK_ISF_E10value_typeEPSG_NS1_7vsmem_tEENKUlT_SE_SF_SG_E_clIS8_S8_S9_S9_EESD_ST_SE_SF_SG_EUlST_E_NS1_11comp_targetILNS1_3genE8ELNS1_11target_archE1030ELNS1_3gpuE2ELNS1_3repE0EEENS1_48merge_mergepath_partition_config_static_selectorELNS0_4arch9wavefront6targetE1EEEvSF_
                                        ; -- End function
	.section	.AMDGPU.csdata,"",@progbits
; Kernel info:
; codeLenInByte = 0
; NumSgprs: 4
; NumVgprs: 0
; NumAgprs: 0
; TotalNumVgprs: 0
; ScratchSize: 0
; MemoryBound: 0
; FloatMode: 240
; IeeeMode: 1
; LDSByteSize: 0 bytes/workgroup (compile time only)
; SGPRBlocks: 0
; VGPRBlocks: 0
; NumSGPRsForWavesPerEU: 4
; NumVGPRsForWavesPerEU: 1
; AccumOffset: 4
; Occupancy: 8
; WaveLimiterHint : 0
; COMPUTE_PGM_RSRC2:SCRATCH_EN: 0
; COMPUTE_PGM_RSRC2:USER_SGPR: 6
; COMPUTE_PGM_RSRC2:TRAP_HANDLER: 0
; COMPUTE_PGM_RSRC2:TGID_X_EN: 1
; COMPUTE_PGM_RSRC2:TGID_Y_EN: 0
; COMPUTE_PGM_RSRC2:TGID_Z_EN: 0
; COMPUTE_PGM_RSRC2:TIDIG_COMP_CNT: 0
; COMPUTE_PGM_RSRC3_GFX90A:ACCUM_OFFSET: 0
; COMPUTE_PGM_RSRC3_GFX90A:TG_SPLIT: 0
	.section	.text._ZN7rocprim17ROCPRIM_400000_NS6detail17trampoline_kernelINS0_14default_configENS1_38merge_sort_block_merge_config_selectorIsNS0_10empty_typeEEEZZNS1_27merge_sort_block_merge_implIS3_PsPS5_jNS1_19radix_merge_compareILb1ELb1EsNS0_19identity_decomposerEEEEE10hipError_tT0_T1_T2_jT3_P12ihipStream_tbPNSt15iterator_traitsISE_E10value_typeEPNSK_ISF_E10value_typeEPSG_NS1_7vsmem_tEENKUlT_SE_SF_SG_E_clIS8_S8_S9_S9_EESD_ST_SE_SF_SG_EUlST_E0_NS1_11comp_targetILNS1_3genE0ELNS1_11target_archE4294967295ELNS1_3gpuE0ELNS1_3repE0EEENS1_38merge_mergepath_config_static_selectorELNS0_4arch9wavefront6targetE1EEEvSF_,"axG",@progbits,_ZN7rocprim17ROCPRIM_400000_NS6detail17trampoline_kernelINS0_14default_configENS1_38merge_sort_block_merge_config_selectorIsNS0_10empty_typeEEEZZNS1_27merge_sort_block_merge_implIS3_PsPS5_jNS1_19radix_merge_compareILb1ELb1EsNS0_19identity_decomposerEEEEE10hipError_tT0_T1_T2_jT3_P12ihipStream_tbPNSt15iterator_traitsISE_E10value_typeEPNSK_ISF_E10value_typeEPSG_NS1_7vsmem_tEENKUlT_SE_SF_SG_E_clIS8_S8_S9_S9_EESD_ST_SE_SF_SG_EUlST_E0_NS1_11comp_targetILNS1_3genE0ELNS1_11target_archE4294967295ELNS1_3gpuE0ELNS1_3repE0EEENS1_38merge_mergepath_config_static_selectorELNS0_4arch9wavefront6targetE1EEEvSF_,comdat
	.protected	_ZN7rocprim17ROCPRIM_400000_NS6detail17trampoline_kernelINS0_14default_configENS1_38merge_sort_block_merge_config_selectorIsNS0_10empty_typeEEEZZNS1_27merge_sort_block_merge_implIS3_PsPS5_jNS1_19radix_merge_compareILb1ELb1EsNS0_19identity_decomposerEEEEE10hipError_tT0_T1_T2_jT3_P12ihipStream_tbPNSt15iterator_traitsISE_E10value_typeEPNSK_ISF_E10value_typeEPSG_NS1_7vsmem_tEENKUlT_SE_SF_SG_E_clIS8_S8_S9_S9_EESD_ST_SE_SF_SG_EUlST_E0_NS1_11comp_targetILNS1_3genE0ELNS1_11target_archE4294967295ELNS1_3gpuE0ELNS1_3repE0EEENS1_38merge_mergepath_config_static_selectorELNS0_4arch9wavefront6targetE1EEEvSF_ ; -- Begin function _ZN7rocprim17ROCPRIM_400000_NS6detail17trampoline_kernelINS0_14default_configENS1_38merge_sort_block_merge_config_selectorIsNS0_10empty_typeEEEZZNS1_27merge_sort_block_merge_implIS3_PsPS5_jNS1_19radix_merge_compareILb1ELb1EsNS0_19identity_decomposerEEEEE10hipError_tT0_T1_T2_jT3_P12ihipStream_tbPNSt15iterator_traitsISE_E10value_typeEPNSK_ISF_E10value_typeEPSG_NS1_7vsmem_tEENKUlT_SE_SF_SG_E_clIS8_S8_S9_S9_EESD_ST_SE_SF_SG_EUlST_E0_NS1_11comp_targetILNS1_3genE0ELNS1_11target_archE4294967295ELNS1_3gpuE0ELNS1_3repE0EEENS1_38merge_mergepath_config_static_selectorELNS0_4arch9wavefront6targetE1EEEvSF_
	.globl	_ZN7rocprim17ROCPRIM_400000_NS6detail17trampoline_kernelINS0_14default_configENS1_38merge_sort_block_merge_config_selectorIsNS0_10empty_typeEEEZZNS1_27merge_sort_block_merge_implIS3_PsPS5_jNS1_19radix_merge_compareILb1ELb1EsNS0_19identity_decomposerEEEEE10hipError_tT0_T1_T2_jT3_P12ihipStream_tbPNSt15iterator_traitsISE_E10value_typeEPNSK_ISF_E10value_typeEPSG_NS1_7vsmem_tEENKUlT_SE_SF_SG_E_clIS8_S8_S9_S9_EESD_ST_SE_SF_SG_EUlST_E0_NS1_11comp_targetILNS1_3genE0ELNS1_11target_archE4294967295ELNS1_3gpuE0ELNS1_3repE0EEENS1_38merge_mergepath_config_static_selectorELNS0_4arch9wavefront6targetE1EEEvSF_
	.p2align	8
	.type	_ZN7rocprim17ROCPRIM_400000_NS6detail17trampoline_kernelINS0_14default_configENS1_38merge_sort_block_merge_config_selectorIsNS0_10empty_typeEEEZZNS1_27merge_sort_block_merge_implIS3_PsPS5_jNS1_19radix_merge_compareILb1ELb1EsNS0_19identity_decomposerEEEEE10hipError_tT0_T1_T2_jT3_P12ihipStream_tbPNSt15iterator_traitsISE_E10value_typeEPNSK_ISF_E10value_typeEPSG_NS1_7vsmem_tEENKUlT_SE_SF_SG_E_clIS8_S8_S9_S9_EESD_ST_SE_SF_SG_EUlST_E0_NS1_11comp_targetILNS1_3genE0ELNS1_11target_archE4294967295ELNS1_3gpuE0ELNS1_3repE0EEENS1_38merge_mergepath_config_static_selectorELNS0_4arch9wavefront6targetE1EEEvSF_,@function
_ZN7rocprim17ROCPRIM_400000_NS6detail17trampoline_kernelINS0_14default_configENS1_38merge_sort_block_merge_config_selectorIsNS0_10empty_typeEEEZZNS1_27merge_sort_block_merge_implIS3_PsPS5_jNS1_19radix_merge_compareILb1ELb1EsNS0_19identity_decomposerEEEEE10hipError_tT0_T1_T2_jT3_P12ihipStream_tbPNSt15iterator_traitsISE_E10value_typeEPNSK_ISF_E10value_typeEPSG_NS1_7vsmem_tEENKUlT_SE_SF_SG_E_clIS8_S8_S9_S9_EESD_ST_SE_SF_SG_EUlST_E0_NS1_11comp_targetILNS1_3genE0ELNS1_11target_archE4294967295ELNS1_3gpuE0ELNS1_3repE0EEENS1_38merge_mergepath_config_static_selectorELNS0_4arch9wavefront6targetE1EEEvSF_: ; @_ZN7rocprim17ROCPRIM_400000_NS6detail17trampoline_kernelINS0_14default_configENS1_38merge_sort_block_merge_config_selectorIsNS0_10empty_typeEEEZZNS1_27merge_sort_block_merge_implIS3_PsPS5_jNS1_19radix_merge_compareILb1ELb1EsNS0_19identity_decomposerEEEEE10hipError_tT0_T1_T2_jT3_P12ihipStream_tbPNSt15iterator_traitsISE_E10value_typeEPNSK_ISF_E10value_typeEPSG_NS1_7vsmem_tEENKUlT_SE_SF_SG_E_clIS8_S8_S9_S9_EESD_ST_SE_SF_SG_EUlST_E0_NS1_11comp_targetILNS1_3genE0ELNS1_11target_archE4294967295ELNS1_3gpuE0ELNS1_3repE0EEENS1_38merge_mergepath_config_static_selectorELNS0_4arch9wavefront6targetE1EEEvSF_
; %bb.0:
	.section	.rodata,"a",@progbits
	.p2align	6, 0x0
	.amdhsa_kernel _ZN7rocprim17ROCPRIM_400000_NS6detail17trampoline_kernelINS0_14default_configENS1_38merge_sort_block_merge_config_selectorIsNS0_10empty_typeEEEZZNS1_27merge_sort_block_merge_implIS3_PsPS5_jNS1_19radix_merge_compareILb1ELb1EsNS0_19identity_decomposerEEEEE10hipError_tT0_T1_T2_jT3_P12ihipStream_tbPNSt15iterator_traitsISE_E10value_typeEPNSK_ISF_E10value_typeEPSG_NS1_7vsmem_tEENKUlT_SE_SF_SG_E_clIS8_S8_S9_S9_EESD_ST_SE_SF_SG_EUlST_E0_NS1_11comp_targetILNS1_3genE0ELNS1_11target_archE4294967295ELNS1_3gpuE0ELNS1_3repE0EEENS1_38merge_mergepath_config_static_selectorELNS0_4arch9wavefront6targetE1EEEvSF_
		.amdhsa_group_segment_fixed_size 0
		.amdhsa_private_segment_fixed_size 0
		.amdhsa_kernarg_size 64
		.amdhsa_user_sgpr_count 6
		.amdhsa_user_sgpr_private_segment_buffer 1
		.amdhsa_user_sgpr_dispatch_ptr 0
		.amdhsa_user_sgpr_queue_ptr 0
		.amdhsa_user_sgpr_kernarg_segment_ptr 1
		.amdhsa_user_sgpr_dispatch_id 0
		.amdhsa_user_sgpr_flat_scratch_init 0
		.amdhsa_user_sgpr_kernarg_preload_length 0
		.amdhsa_user_sgpr_kernarg_preload_offset 0
		.amdhsa_user_sgpr_private_segment_size 0
		.amdhsa_uses_dynamic_stack 0
		.amdhsa_system_sgpr_private_segment_wavefront_offset 0
		.amdhsa_system_sgpr_workgroup_id_x 1
		.amdhsa_system_sgpr_workgroup_id_y 0
		.amdhsa_system_sgpr_workgroup_id_z 0
		.amdhsa_system_sgpr_workgroup_info 0
		.amdhsa_system_vgpr_workitem_id 0
		.amdhsa_next_free_vgpr 1
		.amdhsa_next_free_sgpr 0
		.amdhsa_accum_offset 4
		.amdhsa_reserve_vcc 0
		.amdhsa_reserve_flat_scratch 0
		.amdhsa_float_round_mode_32 0
		.amdhsa_float_round_mode_16_64 0
		.amdhsa_float_denorm_mode_32 3
		.amdhsa_float_denorm_mode_16_64 3
		.amdhsa_dx10_clamp 1
		.amdhsa_ieee_mode 1
		.amdhsa_fp16_overflow 0
		.amdhsa_tg_split 0
		.amdhsa_exception_fp_ieee_invalid_op 0
		.amdhsa_exception_fp_denorm_src 0
		.amdhsa_exception_fp_ieee_div_zero 0
		.amdhsa_exception_fp_ieee_overflow 0
		.amdhsa_exception_fp_ieee_underflow 0
		.amdhsa_exception_fp_ieee_inexact 0
		.amdhsa_exception_int_div_zero 0
	.end_amdhsa_kernel
	.section	.text._ZN7rocprim17ROCPRIM_400000_NS6detail17trampoline_kernelINS0_14default_configENS1_38merge_sort_block_merge_config_selectorIsNS0_10empty_typeEEEZZNS1_27merge_sort_block_merge_implIS3_PsPS5_jNS1_19radix_merge_compareILb1ELb1EsNS0_19identity_decomposerEEEEE10hipError_tT0_T1_T2_jT3_P12ihipStream_tbPNSt15iterator_traitsISE_E10value_typeEPNSK_ISF_E10value_typeEPSG_NS1_7vsmem_tEENKUlT_SE_SF_SG_E_clIS8_S8_S9_S9_EESD_ST_SE_SF_SG_EUlST_E0_NS1_11comp_targetILNS1_3genE0ELNS1_11target_archE4294967295ELNS1_3gpuE0ELNS1_3repE0EEENS1_38merge_mergepath_config_static_selectorELNS0_4arch9wavefront6targetE1EEEvSF_,"axG",@progbits,_ZN7rocprim17ROCPRIM_400000_NS6detail17trampoline_kernelINS0_14default_configENS1_38merge_sort_block_merge_config_selectorIsNS0_10empty_typeEEEZZNS1_27merge_sort_block_merge_implIS3_PsPS5_jNS1_19radix_merge_compareILb1ELb1EsNS0_19identity_decomposerEEEEE10hipError_tT0_T1_T2_jT3_P12ihipStream_tbPNSt15iterator_traitsISE_E10value_typeEPNSK_ISF_E10value_typeEPSG_NS1_7vsmem_tEENKUlT_SE_SF_SG_E_clIS8_S8_S9_S9_EESD_ST_SE_SF_SG_EUlST_E0_NS1_11comp_targetILNS1_3genE0ELNS1_11target_archE4294967295ELNS1_3gpuE0ELNS1_3repE0EEENS1_38merge_mergepath_config_static_selectorELNS0_4arch9wavefront6targetE1EEEvSF_,comdat
.Lfunc_end1792:
	.size	_ZN7rocprim17ROCPRIM_400000_NS6detail17trampoline_kernelINS0_14default_configENS1_38merge_sort_block_merge_config_selectorIsNS0_10empty_typeEEEZZNS1_27merge_sort_block_merge_implIS3_PsPS5_jNS1_19radix_merge_compareILb1ELb1EsNS0_19identity_decomposerEEEEE10hipError_tT0_T1_T2_jT3_P12ihipStream_tbPNSt15iterator_traitsISE_E10value_typeEPNSK_ISF_E10value_typeEPSG_NS1_7vsmem_tEENKUlT_SE_SF_SG_E_clIS8_S8_S9_S9_EESD_ST_SE_SF_SG_EUlST_E0_NS1_11comp_targetILNS1_3genE0ELNS1_11target_archE4294967295ELNS1_3gpuE0ELNS1_3repE0EEENS1_38merge_mergepath_config_static_selectorELNS0_4arch9wavefront6targetE1EEEvSF_, .Lfunc_end1792-_ZN7rocprim17ROCPRIM_400000_NS6detail17trampoline_kernelINS0_14default_configENS1_38merge_sort_block_merge_config_selectorIsNS0_10empty_typeEEEZZNS1_27merge_sort_block_merge_implIS3_PsPS5_jNS1_19radix_merge_compareILb1ELb1EsNS0_19identity_decomposerEEEEE10hipError_tT0_T1_T2_jT3_P12ihipStream_tbPNSt15iterator_traitsISE_E10value_typeEPNSK_ISF_E10value_typeEPSG_NS1_7vsmem_tEENKUlT_SE_SF_SG_E_clIS8_S8_S9_S9_EESD_ST_SE_SF_SG_EUlST_E0_NS1_11comp_targetILNS1_3genE0ELNS1_11target_archE4294967295ELNS1_3gpuE0ELNS1_3repE0EEENS1_38merge_mergepath_config_static_selectorELNS0_4arch9wavefront6targetE1EEEvSF_
                                        ; -- End function
	.section	.AMDGPU.csdata,"",@progbits
; Kernel info:
; codeLenInByte = 0
; NumSgprs: 4
; NumVgprs: 0
; NumAgprs: 0
; TotalNumVgprs: 0
; ScratchSize: 0
; MemoryBound: 0
; FloatMode: 240
; IeeeMode: 1
; LDSByteSize: 0 bytes/workgroup (compile time only)
; SGPRBlocks: 0
; VGPRBlocks: 0
; NumSGPRsForWavesPerEU: 4
; NumVGPRsForWavesPerEU: 1
; AccumOffset: 4
; Occupancy: 8
; WaveLimiterHint : 0
; COMPUTE_PGM_RSRC2:SCRATCH_EN: 0
; COMPUTE_PGM_RSRC2:USER_SGPR: 6
; COMPUTE_PGM_RSRC2:TRAP_HANDLER: 0
; COMPUTE_PGM_RSRC2:TGID_X_EN: 1
; COMPUTE_PGM_RSRC2:TGID_Y_EN: 0
; COMPUTE_PGM_RSRC2:TGID_Z_EN: 0
; COMPUTE_PGM_RSRC2:TIDIG_COMP_CNT: 0
; COMPUTE_PGM_RSRC3_GFX90A:ACCUM_OFFSET: 0
; COMPUTE_PGM_RSRC3_GFX90A:TG_SPLIT: 0
	.section	.text._ZN7rocprim17ROCPRIM_400000_NS6detail17trampoline_kernelINS0_14default_configENS1_38merge_sort_block_merge_config_selectorIsNS0_10empty_typeEEEZZNS1_27merge_sort_block_merge_implIS3_PsPS5_jNS1_19radix_merge_compareILb1ELb1EsNS0_19identity_decomposerEEEEE10hipError_tT0_T1_T2_jT3_P12ihipStream_tbPNSt15iterator_traitsISE_E10value_typeEPNSK_ISF_E10value_typeEPSG_NS1_7vsmem_tEENKUlT_SE_SF_SG_E_clIS8_S8_S9_S9_EESD_ST_SE_SF_SG_EUlST_E0_NS1_11comp_targetILNS1_3genE10ELNS1_11target_archE1201ELNS1_3gpuE5ELNS1_3repE0EEENS1_38merge_mergepath_config_static_selectorELNS0_4arch9wavefront6targetE1EEEvSF_,"axG",@progbits,_ZN7rocprim17ROCPRIM_400000_NS6detail17trampoline_kernelINS0_14default_configENS1_38merge_sort_block_merge_config_selectorIsNS0_10empty_typeEEEZZNS1_27merge_sort_block_merge_implIS3_PsPS5_jNS1_19radix_merge_compareILb1ELb1EsNS0_19identity_decomposerEEEEE10hipError_tT0_T1_T2_jT3_P12ihipStream_tbPNSt15iterator_traitsISE_E10value_typeEPNSK_ISF_E10value_typeEPSG_NS1_7vsmem_tEENKUlT_SE_SF_SG_E_clIS8_S8_S9_S9_EESD_ST_SE_SF_SG_EUlST_E0_NS1_11comp_targetILNS1_3genE10ELNS1_11target_archE1201ELNS1_3gpuE5ELNS1_3repE0EEENS1_38merge_mergepath_config_static_selectorELNS0_4arch9wavefront6targetE1EEEvSF_,comdat
	.protected	_ZN7rocprim17ROCPRIM_400000_NS6detail17trampoline_kernelINS0_14default_configENS1_38merge_sort_block_merge_config_selectorIsNS0_10empty_typeEEEZZNS1_27merge_sort_block_merge_implIS3_PsPS5_jNS1_19radix_merge_compareILb1ELb1EsNS0_19identity_decomposerEEEEE10hipError_tT0_T1_T2_jT3_P12ihipStream_tbPNSt15iterator_traitsISE_E10value_typeEPNSK_ISF_E10value_typeEPSG_NS1_7vsmem_tEENKUlT_SE_SF_SG_E_clIS8_S8_S9_S9_EESD_ST_SE_SF_SG_EUlST_E0_NS1_11comp_targetILNS1_3genE10ELNS1_11target_archE1201ELNS1_3gpuE5ELNS1_3repE0EEENS1_38merge_mergepath_config_static_selectorELNS0_4arch9wavefront6targetE1EEEvSF_ ; -- Begin function _ZN7rocprim17ROCPRIM_400000_NS6detail17trampoline_kernelINS0_14default_configENS1_38merge_sort_block_merge_config_selectorIsNS0_10empty_typeEEEZZNS1_27merge_sort_block_merge_implIS3_PsPS5_jNS1_19radix_merge_compareILb1ELb1EsNS0_19identity_decomposerEEEEE10hipError_tT0_T1_T2_jT3_P12ihipStream_tbPNSt15iterator_traitsISE_E10value_typeEPNSK_ISF_E10value_typeEPSG_NS1_7vsmem_tEENKUlT_SE_SF_SG_E_clIS8_S8_S9_S9_EESD_ST_SE_SF_SG_EUlST_E0_NS1_11comp_targetILNS1_3genE10ELNS1_11target_archE1201ELNS1_3gpuE5ELNS1_3repE0EEENS1_38merge_mergepath_config_static_selectorELNS0_4arch9wavefront6targetE1EEEvSF_
	.globl	_ZN7rocprim17ROCPRIM_400000_NS6detail17trampoline_kernelINS0_14default_configENS1_38merge_sort_block_merge_config_selectorIsNS0_10empty_typeEEEZZNS1_27merge_sort_block_merge_implIS3_PsPS5_jNS1_19radix_merge_compareILb1ELb1EsNS0_19identity_decomposerEEEEE10hipError_tT0_T1_T2_jT3_P12ihipStream_tbPNSt15iterator_traitsISE_E10value_typeEPNSK_ISF_E10value_typeEPSG_NS1_7vsmem_tEENKUlT_SE_SF_SG_E_clIS8_S8_S9_S9_EESD_ST_SE_SF_SG_EUlST_E0_NS1_11comp_targetILNS1_3genE10ELNS1_11target_archE1201ELNS1_3gpuE5ELNS1_3repE0EEENS1_38merge_mergepath_config_static_selectorELNS0_4arch9wavefront6targetE1EEEvSF_
	.p2align	8
	.type	_ZN7rocprim17ROCPRIM_400000_NS6detail17trampoline_kernelINS0_14default_configENS1_38merge_sort_block_merge_config_selectorIsNS0_10empty_typeEEEZZNS1_27merge_sort_block_merge_implIS3_PsPS5_jNS1_19radix_merge_compareILb1ELb1EsNS0_19identity_decomposerEEEEE10hipError_tT0_T1_T2_jT3_P12ihipStream_tbPNSt15iterator_traitsISE_E10value_typeEPNSK_ISF_E10value_typeEPSG_NS1_7vsmem_tEENKUlT_SE_SF_SG_E_clIS8_S8_S9_S9_EESD_ST_SE_SF_SG_EUlST_E0_NS1_11comp_targetILNS1_3genE10ELNS1_11target_archE1201ELNS1_3gpuE5ELNS1_3repE0EEENS1_38merge_mergepath_config_static_selectorELNS0_4arch9wavefront6targetE1EEEvSF_,@function
_ZN7rocprim17ROCPRIM_400000_NS6detail17trampoline_kernelINS0_14default_configENS1_38merge_sort_block_merge_config_selectorIsNS0_10empty_typeEEEZZNS1_27merge_sort_block_merge_implIS3_PsPS5_jNS1_19radix_merge_compareILb1ELb1EsNS0_19identity_decomposerEEEEE10hipError_tT0_T1_T2_jT3_P12ihipStream_tbPNSt15iterator_traitsISE_E10value_typeEPNSK_ISF_E10value_typeEPSG_NS1_7vsmem_tEENKUlT_SE_SF_SG_E_clIS8_S8_S9_S9_EESD_ST_SE_SF_SG_EUlST_E0_NS1_11comp_targetILNS1_3genE10ELNS1_11target_archE1201ELNS1_3gpuE5ELNS1_3repE0EEENS1_38merge_mergepath_config_static_selectorELNS0_4arch9wavefront6targetE1EEEvSF_: ; @_ZN7rocprim17ROCPRIM_400000_NS6detail17trampoline_kernelINS0_14default_configENS1_38merge_sort_block_merge_config_selectorIsNS0_10empty_typeEEEZZNS1_27merge_sort_block_merge_implIS3_PsPS5_jNS1_19radix_merge_compareILb1ELb1EsNS0_19identity_decomposerEEEEE10hipError_tT0_T1_T2_jT3_P12ihipStream_tbPNSt15iterator_traitsISE_E10value_typeEPNSK_ISF_E10value_typeEPSG_NS1_7vsmem_tEENKUlT_SE_SF_SG_E_clIS8_S8_S9_S9_EESD_ST_SE_SF_SG_EUlST_E0_NS1_11comp_targetILNS1_3genE10ELNS1_11target_archE1201ELNS1_3gpuE5ELNS1_3repE0EEENS1_38merge_mergepath_config_static_selectorELNS0_4arch9wavefront6targetE1EEEvSF_
; %bb.0:
	.section	.rodata,"a",@progbits
	.p2align	6, 0x0
	.amdhsa_kernel _ZN7rocprim17ROCPRIM_400000_NS6detail17trampoline_kernelINS0_14default_configENS1_38merge_sort_block_merge_config_selectorIsNS0_10empty_typeEEEZZNS1_27merge_sort_block_merge_implIS3_PsPS5_jNS1_19radix_merge_compareILb1ELb1EsNS0_19identity_decomposerEEEEE10hipError_tT0_T1_T2_jT3_P12ihipStream_tbPNSt15iterator_traitsISE_E10value_typeEPNSK_ISF_E10value_typeEPSG_NS1_7vsmem_tEENKUlT_SE_SF_SG_E_clIS8_S8_S9_S9_EESD_ST_SE_SF_SG_EUlST_E0_NS1_11comp_targetILNS1_3genE10ELNS1_11target_archE1201ELNS1_3gpuE5ELNS1_3repE0EEENS1_38merge_mergepath_config_static_selectorELNS0_4arch9wavefront6targetE1EEEvSF_
		.amdhsa_group_segment_fixed_size 0
		.amdhsa_private_segment_fixed_size 0
		.amdhsa_kernarg_size 64
		.amdhsa_user_sgpr_count 6
		.amdhsa_user_sgpr_private_segment_buffer 1
		.amdhsa_user_sgpr_dispatch_ptr 0
		.amdhsa_user_sgpr_queue_ptr 0
		.amdhsa_user_sgpr_kernarg_segment_ptr 1
		.amdhsa_user_sgpr_dispatch_id 0
		.amdhsa_user_sgpr_flat_scratch_init 0
		.amdhsa_user_sgpr_kernarg_preload_length 0
		.amdhsa_user_sgpr_kernarg_preload_offset 0
		.amdhsa_user_sgpr_private_segment_size 0
		.amdhsa_uses_dynamic_stack 0
		.amdhsa_system_sgpr_private_segment_wavefront_offset 0
		.amdhsa_system_sgpr_workgroup_id_x 1
		.amdhsa_system_sgpr_workgroup_id_y 0
		.amdhsa_system_sgpr_workgroup_id_z 0
		.amdhsa_system_sgpr_workgroup_info 0
		.amdhsa_system_vgpr_workitem_id 0
		.amdhsa_next_free_vgpr 1
		.amdhsa_next_free_sgpr 0
		.amdhsa_accum_offset 4
		.amdhsa_reserve_vcc 0
		.amdhsa_reserve_flat_scratch 0
		.amdhsa_float_round_mode_32 0
		.amdhsa_float_round_mode_16_64 0
		.amdhsa_float_denorm_mode_32 3
		.amdhsa_float_denorm_mode_16_64 3
		.amdhsa_dx10_clamp 1
		.amdhsa_ieee_mode 1
		.amdhsa_fp16_overflow 0
		.amdhsa_tg_split 0
		.amdhsa_exception_fp_ieee_invalid_op 0
		.amdhsa_exception_fp_denorm_src 0
		.amdhsa_exception_fp_ieee_div_zero 0
		.amdhsa_exception_fp_ieee_overflow 0
		.amdhsa_exception_fp_ieee_underflow 0
		.amdhsa_exception_fp_ieee_inexact 0
		.amdhsa_exception_int_div_zero 0
	.end_amdhsa_kernel
	.section	.text._ZN7rocprim17ROCPRIM_400000_NS6detail17trampoline_kernelINS0_14default_configENS1_38merge_sort_block_merge_config_selectorIsNS0_10empty_typeEEEZZNS1_27merge_sort_block_merge_implIS3_PsPS5_jNS1_19radix_merge_compareILb1ELb1EsNS0_19identity_decomposerEEEEE10hipError_tT0_T1_T2_jT3_P12ihipStream_tbPNSt15iterator_traitsISE_E10value_typeEPNSK_ISF_E10value_typeEPSG_NS1_7vsmem_tEENKUlT_SE_SF_SG_E_clIS8_S8_S9_S9_EESD_ST_SE_SF_SG_EUlST_E0_NS1_11comp_targetILNS1_3genE10ELNS1_11target_archE1201ELNS1_3gpuE5ELNS1_3repE0EEENS1_38merge_mergepath_config_static_selectorELNS0_4arch9wavefront6targetE1EEEvSF_,"axG",@progbits,_ZN7rocprim17ROCPRIM_400000_NS6detail17trampoline_kernelINS0_14default_configENS1_38merge_sort_block_merge_config_selectorIsNS0_10empty_typeEEEZZNS1_27merge_sort_block_merge_implIS3_PsPS5_jNS1_19radix_merge_compareILb1ELb1EsNS0_19identity_decomposerEEEEE10hipError_tT0_T1_T2_jT3_P12ihipStream_tbPNSt15iterator_traitsISE_E10value_typeEPNSK_ISF_E10value_typeEPSG_NS1_7vsmem_tEENKUlT_SE_SF_SG_E_clIS8_S8_S9_S9_EESD_ST_SE_SF_SG_EUlST_E0_NS1_11comp_targetILNS1_3genE10ELNS1_11target_archE1201ELNS1_3gpuE5ELNS1_3repE0EEENS1_38merge_mergepath_config_static_selectorELNS0_4arch9wavefront6targetE1EEEvSF_,comdat
.Lfunc_end1793:
	.size	_ZN7rocprim17ROCPRIM_400000_NS6detail17trampoline_kernelINS0_14default_configENS1_38merge_sort_block_merge_config_selectorIsNS0_10empty_typeEEEZZNS1_27merge_sort_block_merge_implIS3_PsPS5_jNS1_19radix_merge_compareILb1ELb1EsNS0_19identity_decomposerEEEEE10hipError_tT0_T1_T2_jT3_P12ihipStream_tbPNSt15iterator_traitsISE_E10value_typeEPNSK_ISF_E10value_typeEPSG_NS1_7vsmem_tEENKUlT_SE_SF_SG_E_clIS8_S8_S9_S9_EESD_ST_SE_SF_SG_EUlST_E0_NS1_11comp_targetILNS1_3genE10ELNS1_11target_archE1201ELNS1_3gpuE5ELNS1_3repE0EEENS1_38merge_mergepath_config_static_selectorELNS0_4arch9wavefront6targetE1EEEvSF_, .Lfunc_end1793-_ZN7rocprim17ROCPRIM_400000_NS6detail17trampoline_kernelINS0_14default_configENS1_38merge_sort_block_merge_config_selectorIsNS0_10empty_typeEEEZZNS1_27merge_sort_block_merge_implIS3_PsPS5_jNS1_19radix_merge_compareILb1ELb1EsNS0_19identity_decomposerEEEEE10hipError_tT0_T1_T2_jT3_P12ihipStream_tbPNSt15iterator_traitsISE_E10value_typeEPNSK_ISF_E10value_typeEPSG_NS1_7vsmem_tEENKUlT_SE_SF_SG_E_clIS8_S8_S9_S9_EESD_ST_SE_SF_SG_EUlST_E0_NS1_11comp_targetILNS1_3genE10ELNS1_11target_archE1201ELNS1_3gpuE5ELNS1_3repE0EEENS1_38merge_mergepath_config_static_selectorELNS0_4arch9wavefront6targetE1EEEvSF_
                                        ; -- End function
	.section	.AMDGPU.csdata,"",@progbits
; Kernel info:
; codeLenInByte = 0
; NumSgprs: 4
; NumVgprs: 0
; NumAgprs: 0
; TotalNumVgprs: 0
; ScratchSize: 0
; MemoryBound: 0
; FloatMode: 240
; IeeeMode: 1
; LDSByteSize: 0 bytes/workgroup (compile time only)
; SGPRBlocks: 0
; VGPRBlocks: 0
; NumSGPRsForWavesPerEU: 4
; NumVGPRsForWavesPerEU: 1
; AccumOffset: 4
; Occupancy: 8
; WaveLimiterHint : 0
; COMPUTE_PGM_RSRC2:SCRATCH_EN: 0
; COMPUTE_PGM_RSRC2:USER_SGPR: 6
; COMPUTE_PGM_RSRC2:TRAP_HANDLER: 0
; COMPUTE_PGM_RSRC2:TGID_X_EN: 1
; COMPUTE_PGM_RSRC2:TGID_Y_EN: 0
; COMPUTE_PGM_RSRC2:TGID_Z_EN: 0
; COMPUTE_PGM_RSRC2:TIDIG_COMP_CNT: 0
; COMPUTE_PGM_RSRC3_GFX90A:ACCUM_OFFSET: 0
; COMPUTE_PGM_RSRC3_GFX90A:TG_SPLIT: 0
	.section	.text._ZN7rocprim17ROCPRIM_400000_NS6detail17trampoline_kernelINS0_14default_configENS1_38merge_sort_block_merge_config_selectorIsNS0_10empty_typeEEEZZNS1_27merge_sort_block_merge_implIS3_PsPS5_jNS1_19radix_merge_compareILb1ELb1EsNS0_19identity_decomposerEEEEE10hipError_tT0_T1_T2_jT3_P12ihipStream_tbPNSt15iterator_traitsISE_E10value_typeEPNSK_ISF_E10value_typeEPSG_NS1_7vsmem_tEENKUlT_SE_SF_SG_E_clIS8_S8_S9_S9_EESD_ST_SE_SF_SG_EUlST_E0_NS1_11comp_targetILNS1_3genE5ELNS1_11target_archE942ELNS1_3gpuE9ELNS1_3repE0EEENS1_38merge_mergepath_config_static_selectorELNS0_4arch9wavefront6targetE1EEEvSF_,"axG",@progbits,_ZN7rocprim17ROCPRIM_400000_NS6detail17trampoline_kernelINS0_14default_configENS1_38merge_sort_block_merge_config_selectorIsNS0_10empty_typeEEEZZNS1_27merge_sort_block_merge_implIS3_PsPS5_jNS1_19radix_merge_compareILb1ELb1EsNS0_19identity_decomposerEEEEE10hipError_tT0_T1_T2_jT3_P12ihipStream_tbPNSt15iterator_traitsISE_E10value_typeEPNSK_ISF_E10value_typeEPSG_NS1_7vsmem_tEENKUlT_SE_SF_SG_E_clIS8_S8_S9_S9_EESD_ST_SE_SF_SG_EUlST_E0_NS1_11comp_targetILNS1_3genE5ELNS1_11target_archE942ELNS1_3gpuE9ELNS1_3repE0EEENS1_38merge_mergepath_config_static_selectorELNS0_4arch9wavefront6targetE1EEEvSF_,comdat
	.protected	_ZN7rocprim17ROCPRIM_400000_NS6detail17trampoline_kernelINS0_14default_configENS1_38merge_sort_block_merge_config_selectorIsNS0_10empty_typeEEEZZNS1_27merge_sort_block_merge_implIS3_PsPS5_jNS1_19radix_merge_compareILb1ELb1EsNS0_19identity_decomposerEEEEE10hipError_tT0_T1_T2_jT3_P12ihipStream_tbPNSt15iterator_traitsISE_E10value_typeEPNSK_ISF_E10value_typeEPSG_NS1_7vsmem_tEENKUlT_SE_SF_SG_E_clIS8_S8_S9_S9_EESD_ST_SE_SF_SG_EUlST_E0_NS1_11comp_targetILNS1_3genE5ELNS1_11target_archE942ELNS1_3gpuE9ELNS1_3repE0EEENS1_38merge_mergepath_config_static_selectorELNS0_4arch9wavefront6targetE1EEEvSF_ ; -- Begin function _ZN7rocprim17ROCPRIM_400000_NS6detail17trampoline_kernelINS0_14default_configENS1_38merge_sort_block_merge_config_selectorIsNS0_10empty_typeEEEZZNS1_27merge_sort_block_merge_implIS3_PsPS5_jNS1_19radix_merge_compareILb1ELb1EsNS0_19identity_decomposerEEEEE10hipError_tT0_T1_T2_jT3_P12ihipStream_tbPNSt15iterator_traitsISE_E10value_typeEPNSK_ISF_E10value_typeEPSG_NS1_7vsmem_tEENKUlT_SE_SF_SG_E_clIS8_S8_S9_S9_EESD_ST_SE_SF_SG_EUlST_E0_NS1_11comp_targetILNS1_3genE5ELNS1_11target_archE942ELNS1_3gpuE9ELNS1_3repE0EEENS1_38merge_mergepath_config_static_selectorELNS0_4arch9wavefront6targetE1EEEvSF_
	.globl	_ZN7rocprim17ROCPRIM_400000_NS6detail17trampoline_kernelINS0_14default_configENS1_38merge_sort_block_merge_config_selectorIsNS0_10empty_typeEEEZZNS1_27merge_sort_block_merge_implIS3_PsPS5_jNS1_19radix_merge_compareILb1ELb1EsNS0_19identity_decomposerEEEEE10hipError_tT0_T1_T2_jT3_P12ihipStream_tbPNSt15iterator_traitsISE_E10value_typeEPNSK_ISF_E10value_typeEPSG_NS1_7vsmem_tEENKUlT_SE_SF_SG_E_clIS8_S8_S9_S9_EESD_ST_SE_SF_SG_EUlST_E0_NS1_11comp_targetILNS1_3genE5ELNS1_11target_archE942ELNS1_3gpuE9ELNS1_3repE0EEENS1_38merge_mergepath_config_static_selectorELNS0_4arch9wavefront6targetE1EEEvSF_
	.p2align	8
	.type	_ZN7rocprim17ROCPRIM_400000_NS6detail17trampoline_kernelINS0_14default_configENS1_38merge_sort_block_merge_config_selectorIsNS0_10empty_typeEEEZZNS1_27merge_sort_block_merge_implIS3_PsPS5_jNS1_19radix_merge_compareILb1ELb1EsNS0_19identity_decomposerEEEEE10hipError_tT0_T1_T2_jT3_P12ihipStream_tbPNSt15iterator_traitsISE_E10value_typeEPNSK_ISF_E10value_typeEPSG_NS1_7vsmem_tEENKUlT_SE_SF_SG_E_clIS8_S8_S9_S9_EESD_ST_SE_SF_SG_EUlST_E0_NS1_11comp_targetILNS1_3genE5ELNS1_11target_archE942ELNS1_3gpuE9ELNS1_3repE0EEENS1_38merge_mergepath_config_static_selectorELNS0_4arch9wavefront6targetE1EEEvSF_,@function
_ZN7rocprim17ROCPRIM_400000_NS6detail17trampoline_kernelINS0_14default_configENS1_38merge_sort_block_merge_config_selectorIsNS0_10empty_typeEEEZZNS1_27merge_sort_block_merge_implIS3_PsPS5_jNS1_19radix_merge_compareILb1ELb1EsNS0_19identity_decomposerEEEEE10hipError_tT0_T1_T2_jT3_P12ihipStream_tbPNSt15iterator_traitsISE_E10value_typeEPNSK_ISF_E10value_typeEPSG_NS1_7vsmem_tEENKUlT_SE_SF_SG_E_clIS8_S8_S9_S9_EESD_ST_SE_SF_SG_EUlST_E0_NS1_11comp_targetILNS1_3genE5ELNS1_11target_archE942ELNS1_3gpuE9ELNS1_3repE0EEENS1_38merge_mergepath_config_static_selectorELNS0_4arch9wavefront6targetE1EEEvSF_: ; @_ZN7rocprim17ROCPRIM_400000_NS6detail17trampoline_kernelINS0_14default_configENS1_38merge_sort_block_merge_config_selectorIsNS0_10empty_typeEEEZZNS1_27merge_sort_block_merge_implIS3_PsPS5_jNS1_19radix_merge_compareILb1ELb1EsNS0_19identity_decomposerEEEEE10hipError_tT0_T1_T2_jT3_P12ihipStream_tbPNSt15iterator_traitsISE_E10value_typeEPNSK_ISF_E10value_typeEPSG_NS1_7vsmem_tEENKUlT_SE_SF_SG_E_clIS8_S8_S9_S9_EESD_ST_SE_SF_SG_EUlST_E0_NS1_11comp_targetILNS1_3genE5ELNS1_11target_archE942ELNS1_3gpuE9ELNS1_3repE0EEENS1_38merge_mergepath_config_static_selectorELNS0_4arch9wavefront6targetE1EEEvSF_
; %bb.0:
	.section	.rodata,"a",@progbits
	.p2align	6, 0x0
	.amdhsa_kernel _ZN7rocprim17ROCPRIM_400000_NS6detail17trampoline_kernelINS0_14default_configENS1_38merge_sort_block_merge_config_selectorIsNS0_10empty_typeEEEZZNS1_27merge_sort_block_merge_implIS3_PsPS5_jNS1_19radix_merge_compareILb1ELb1EsNS0_19identity_decomposerEEEEE10hipError_tT0_T1_T2_jT3_P12ihipStream_tbPNSt15iterator_traitsISE_E10value_typeEPNSK_ISF_E10value_typeEPSG_NS1_7vsmem_tEENKUlT_SE_SF_SG_E_clIS8_S8_S9_S9_EESD_ST_SE_SF_SG_EUlST_E0_NS1_11comp_targetILNS1_3genE5ELNS1_11target_archE942ELNS1_3gpuE9ELNS1_3repE0EEENS1_38merge_mergepath_config_static_selectorELNS0_4arch9wavefront6targetE1EEEvSF_
		.amdhsa_group_segment_fixed_size 0
		.amdhsa_private_segment_fixed_size 0
		.amdhsa_kernarg_size 64
		.amdhsa_user_sgpr_count 6
		.amdhsa_user_sgpr_private_segment_buffer 1
		.amdhsa_user_sgpr_dispatch_ptr 0
		.amdhsa_user_sgpr_queue_ptr 0
		.amdhsa_user_sgpr_kernarg_segment_ptr 1
		.amdhsa_user_sgpr_dispatch_id 0
		.amdhsa_user_sgpr_flat_scratch_init 0
		.amdhsa_user_sgpr_kernarg_preload_length 0
		.amdhsa_user_sgpr_kernarg_preload_offset 0
		.amdhsa_user_sgpr_private_segment_size 0
		.amdhsa_uses_dynamic_stack 0
		.amdhsa_system_sgpr_private_segment_wavefront_offset 0
		.amdhsa_system_sgpr_workgroup_id_x 1
		.amdhsa_system_sgpr_workgroup_id_y 0
		.amdhsa_system_sgpr_workgroup_id_z 0
		.amdhsa_system_sgpr_workgroup_info 0
		.amdhsa_system_vgpr_workitem_id 0
		.amdhsa_next_free_vgpr 1
		.amdhsa_next_free_sgpr 0
		.amdhsa_accum_offset 4
		.amdhsa_reserve_vcc 0
		.amdhsa_reserve_flat_scratch 0
		.amdhsa_float_round_mode_32 0
		.amdhsa_float_round_mode_16_64 0
		.amdhsa_float_denorm_mode_32 3
		.amdhsa_float_denorm_mode_16_64 3
		.amdhsa_dx10_clamp 1
		.amdhsa_ieee_mode 1
		.amdhsa_fp16_overflow 0
		.amdhsa_tg_split 0
		.amdhsa_exception_fp_ieee_invalid_op 0
		.amdhsa_exception_fp_denorm_src 0
		.amdhsa_exception_fp_ieee_div_zero 0
		.amdhsa_exception_fp_ieee_overflow 0
		.amdhsa_exception_fp_ieee_underflow 0
		.amdhsa_exception_fp_ieee_inexact 0
		.amdhsa_exception_int_div_zero 0
	.end_amdhsa_kernel
	.section	.text._ZN7rocprim17ROCPRIM_400000_NS6detail17trampoline_kernelINS0_14default_configENS1_38merge_sort_block_merge_config_selectorIsNS0_10empty_typeEEEZZNS1_27merge_sort_block_merge_implIS3_PsPS5_jNS1_19radix_merge_compareILb1ELb1EsNS0_19identity_decomposerEEEEE10hipError_tT0_T1_T2_jT3_P12ihipStream_tbPNSt15iterator_traitsISE_E10value_typeEPNSK_ISF_E10value_typeEPSG_NS1_7vsmem_tEENKUlT_SE_SF_SG_E_clIS8_S8_S9_S9_EESD_ST_SE_SF_SG_EUlST_E0_NS1_11comp_targetILNS1_3genE5ELNS1_11target_archE942ELNS1_3gpuE9ELNS1_3repE0EEENS1_38merge_mergepath_config_static_selectorELNS0_4arch9wavefront6targetE1EEEvSF_,"axG",@progbits,_ZN7rocprim17ROCPRIM_400000_NS6detail17trampoline_kernelINS0_14default_configENS1_38merge_sort_block_merge_config_selectorIsNS0_10empty_typeEEEZZNS1_27merge_sort_block_merge_implIS3_PsPS5_jNS1_19radix_merge_compareILb1ELb1EsNS0_19identity_decomposerEEEEE10hipError_tT0_T1_T2_jT3_P12ihipStream_tbPNSt15iterator_traitsISE_E10value_typeEPNSK_ISF_E10value_typeEPSG_NS1_7vsmem_tEENKUlT_SE_SF_SG_E_clIS8_S8_S9_S9_EESD_ST_SE_SF_SG_EUlST_E0_NS1_11comp_targetILNS1_3genE5ELNS1_11target_archE942ELNS1_3gpuE9ELNS1_3repE0EEENS1_38merge_mergepath_config_static_selectorELNS0_4arch9wavefront6targetE1EEEvSF_,comdat
.Lfunc_end1794:
	.size	_ZN7rocprim17ROCPRIM_400000_NS6detail17trampoline_kernelINS0_14default_configENS1_38merge_sort_block_merge_config_selectorIsNS0_10empty_typeEEEZZNS1_27merge_sort_block_merge_implIS3_PsPS5_jNS1_19radix_merge_compareILb1ELb1EsNS0_19identity_decomposerEEEEE10hipError_tT0_T1_T2_jT3_P12ihipStream_tbPNSt15iterator_traitsISE_E10value_typeEPNSK_ISF_E10value_typeEPSG_NS1_7vsmem_tEENKUlT_SE_SF_SG_E_clIS8_S8_S9_S9_EESD_ST_SE_SF_SG_EUlST_E0_NS1_11comp_targetILNS1_3genE5ELNS1_11target_archE942ELNS1_3gpuE9ELNS1_3repE0EEENS1_38merge_mergepath_config_static_selectorELNS0_4arch9wavefront6targetE1EEEvSF_, .Lfunc_end1794-_ZN7rocprim17ROCPRIM_400000_NS6detail17trampoline_kernelINS0_14default_configENS1_38merge_sort_block_merge_config_selectorIsNS0_10empty_typeEEEZZNS1_27merge_sort_block_merge_implIS3_PsPS5_jNS1_19radix_merge_compareILb1ELb1EsNS0_19identity_decomposerEEEEE10hipError_tT0_T1_T2_jT3_P12ihipStream_tbPNSt15iterator_traitsISE_E10value_typeEPNSK_ISF_E10value_typeEPSG_NS1_7vsmem_tEENKUlT_SE_SF_SG_E_clIS8_S8_S9_S9_EESD_ST_SE_SF_SG_EUlST_E0_NS1_11comp_targetILNS1_3genE5ELNS1_11target_archE942ELNS1_3gpuE9ELNS1_3repE0EEENS1_38merge_mergepath_config_static_selectorELNS0_4arch9wavefront6targetE1EEEvSF_
                                        ; -- End function
	.section	.AMDGPU.csdata,"",@progbits
; Kernel info:
; codeLenInByte = 0
; NumSgprs: 4
; NumVgprs: 0
; NumAgprs: 0
; TotalNumVgprs: 0
; ScratchSize: 0
; MemoryBound: 0
; FloatMode: 240
; IeeeMode: 1
; LDSByteSize: 0 bytes/workgroup (compile time only)
; SGPRBlocks: 0
; VGPRBlocks: 0
; NumSGPRsForWavesPerEU: 4
; NumVGPRsForWavesPerEU: 1
; AccumOffset: 4
; Occupancy: 8
; WaveLimiterHint : 0
; COMPUTE_PGM_RSRC2:SCRATCH_EN: 0
; COMPUTE_PGM_RSRC2:USER_SGPR: 6
; COMPUTE_PGM_RSRC2:TRAP_HANDLER: 0
; COMPUTE_PGM_RSRC2:TGID_X_EN: 1
; COMPUTE_PGM_RSRC2:TGID_Y_EN: 0
; COMPUTE_PGM_RSRC2:TGID_Z_EN: 0
; COMPUTE_PGM_RSRC2:TIDIG_COMP_CNT: 0
; COMPUTE_PGM_RSRC3_GFX90A:ACCUM_OFFSET: 0
; COMPUTE_PGM_RSRC3_GFX90A:TG_SPLIT: 0
	.section	.text._ZN7rocprim17ROCPRIM_400000_NS6detail17trampoline_kernelINS0_14default_configENS1_38merge_sort_block_merge_config_selectorIsNS0_10empty_typeEEEZZNS1_27merge_sort_block_merge_implIS3_PsPS5_jNS1_19radix_merge_compareILb1ELb1EsNS0_19identity_decomposerEEEEE10hipError_tT0_T1_T2_jT3_P12ihipStream_tbPNSt15iterator_traitsISE_E10value_typeEPNSK_ISF_E10value_typeEPSG_NS1_7vsmem_tEENKUlT_SE_SF_SG_E_clIS8_S8_S9_S9_EESD_ST_SE_SF_SG_EUlST_E0_NS1_11comp_targetILNS1_3genE4ELNS1_11target_archE910ELNS1_3gpuE8ELNS1_3repE0EEENS1_38merge_mergepath_config_static_selectorELNS0_4arch9wavefront6targetE1EEEvSF_,"axG",@progbits,_ZN7rocprim17ROCPRIM_400000_NS6detail17trampoline_kernelINS0_14default_configENS1_38merge_sort_block_merge_config_selectorIsNS0_10empty_typeEEEZZNS1_27merge_sort_block_merge_implIS3_PsPS5_jNS1_19radix_merge_compareILb1ELb1EsNS0_19identity_decomposerEEEEE10hipError_tT0_T1_T2_jT3_P12ihipStream_tbPNSt15iterator_traitsISE_E10value_typeEPNSK_ISF_E10value_typeEPSG_NS1_7vsmem_tEENKUlT_SE_SF_SG_E_clIS8_S8_S9_S9_EESD_ST_SE_SF_SG_EUlST_E0_NS1_11comp_targetILNS1_3genE4ELNS1_11target_archE910ELNS1_3gpuE8ELNS1_3repE0EEENS1_38merge_mergepath_config_static_selectorELNS0_4arch9wavefront6targetE1EEEvSF_,comdat
	.protected	_ZN7rocprim17ROCPRIM_400000_NS6detail17trampoline_kernelINS0_14default_configENS1_38merge_sort_block_merge_config_selectorIsNS0_10empty_typeEEEZZNS1_27merge_sort_block_merge_implIS3_PsPS5_jNS1_19radix_merge_compareILb1ELb1EsNS0_19identity_decomposerEEEEE10hipError_tT0_T1_T2_jT3_P12ihipStream_tbPNSt15iterator_traitsISE_E10value_typeEPNSK_ISF_E10value_typeEPSG_NS1_7vsmem_tEENKUlT_SE_SF_SG_E_clIS8_S8_S9_S9_EESD_ST_SE_SF_SG_EUlST_E0_NS1_11comp_targetILNS1_3genE4ELNS1_11target_archE910ELNS1_3gpuE8ELNS1_3repE0EEENS1_38merge_mergepath_config_static_selectorELNS0_4arch9wavefront6targetE1EEEvSF_ ; -- Begin function _ZN7rocprim17ROCPRIM_400000_NS6detail17trampoline_kernelINS0_14default_configENS1_38merge_sort_block_merge_config_selectorIsNS0_10empty_typeEEEZZNS1_27merge_sort_block_merge_implIS3_PsPS5_jNS1_19radix_merge_compareILb1ELb1EsNS0_19identity_decomposerEEEEE10hipError_tT0_T1_T2_jT3_P12ihipStream_tbPNSt15iterator_traitsISE_E10value_typeEPNSK_ISF_E10value_typeEPSG_NS1_7vsmem_tEENKUlT_SE_SF_SG_E_clIS8_S8_S9_S9_EESD_ST_SE_SF_SG_EUlST_E0_NS1_11comp_targetILNS1_3genE4ELNS1_11target_archE910ELNS1_3gpuE8ELNS1_3repE0EEENS1_38merge_mergepath_config_static_selectorELNS0_4arch9wavefront6targetE1EEEvSF_
	.globl	_ZN7rocprim17ROCPRIM_400000_NS6detail17trampoline_kernelINS0_14default_configENS1_38merge_sort_block_merge_config_selectorIsNS0_10empty_typeEEEZZNS1_27merge_sort_block_merge_implIS3_PsPS5_jNS1_19radix_merge_compareILb1ELb1EsNS0_19identity_decomposerEEEEE10hipError_tT0_T1_T2_jT3_P12ihipStream_tbPNSt15iterator_traitsISE_E10value_typeEPNSK_ISF_E10value_typeEPSG_NS1_7vsmem_tEENKUlT_SE_SF_SG_E_clIS8_S8_S9_S9_EESD_ST_SE_SF_SG_EUlST_E0_NS1_11comp_targetILNS1_3genE4ELNS1_11target_archE910ELNS1_3gpuE8ELNS1_3repE0EEENS1_38merge_mergepath_config_static_selectorELNS0_4arch9wavefront6targetE1EEEvSF_
	.p2align	8
	.type	_ZN7rocprim17ROCPRIM_400000_NS6detail17trampoline_kernelINS0_14default_configENS1_38merge_sort_block_merge_config_selectorIsNS0_10empty_typeEEEZZNS1_27merge_sort_block_merge_implIS3_PsPS5_jNS1_19radix_merge_compareILb1ELb1EsNS0_19identity_decomposerEEEEE10hipError_tT0_T1_T2_jT3_P12ihipStream_tbPNSt15iterator_traitsISE_E10value_typeEPNSK_ISF_E10value_typeEPSG_NS1_7vsmem_tEENKUlT_SE_SF_SG_E_clIS8_S8_S9_S9_EESD_ST_SE_SF_SG_EUlST_E0_NS1_11comp_targetILNS1_3genE4ELNS1_11target_archE910ELNS1_3gpuE8ELNS1_3repE0EEENS1_38merge_mergepath_config_static_selectorELNS0_4arch9wavefront6targetE1EEEvSF_,@function
_ZN7rocprim17ROCPRIM_400000_NS6detail17trampoline_kernelINS0_14default_configENS1_38merge_sort_block_merge_config_selectorIsNS0_10empty_typeEEEZZNS1_27merge_sort_block_merge_implIS3_PsPS5_jNS1_19radix_merge_compareILb1ELb1EsNS0_19identity_decomposerEEEEE10hipError_tT0_T1_T2_jT3_P12ihipStream_tbPNSt15iterator_traitsISE_E10value_typeEPNSK_ISF_E10value_typeEPSG_NS1_7vsmem_tEENKUlT_SE_SF_SG_E_clIS8_S8_S9_S9_EESD_ST_SE_SF_SG_EUlST_E0_NS1_11comp_targetILNS1_3genE4ELNS1_11target_archE910ELNS1_3gpuE8ELNS1_3repE0EEENS1_38merge_mergepath_config_static_selectorELNS0_4arch9wavefront6targetE1EEEvSF_: ; @_ZN7rocprim17ROCPRIM_400000_NS6detail17trampoline_kernelINS0_14default_configENS1_38merge_sort_block_merge_config_selectorIsNS0_10empty_typeEEEZZNS1_27merge_sort_block_merge_implIS3_PsPS5_jNS1_19radix_merge_compareILb1ELb1EsNS0_19identity_decomposerEEEEE10hipError_tT0_T1_T2_jT3_P12ihipStream_tbPNSt15iterator_traitsISE_E10value_typeEPNSK_ISF_E10value_typeEPSG_NS1_7vsmem_tEENKUlT_SE_SF_SG_E_clIS8_S8_S9_S9_EESD_ST_SE_SF_SG_EUlST_E0_NS1_11comp_targetILNS1_3genE4ELNS1_11target_archE910ELNS1_3gpuE8ELNS1_3repE0EEENS1_38merge_mergepath_config_static_selectorELNS0_4arch9wavefront6targetE1EEEvSF_
; %bb.0:
	s_load_dwordx2 s[10:11], s[4:5], 0x40
	s_load_dword s3, s[4:5], 0x30
	s_add_u32 s0, s4, 64
	s_addc_u32 s1, s5, 0
	s_waitcnt lgkmcnt(0)
	s_mul_i32 s2, s11, s8
	s_add_i32 s2, s2, s7
	s_mul_i32 s2, s2, s10
	s_add_i32 s2, s2, s6
	s_cmp_ge_u32 s2, s3
	s_cbranch_scc1 .LBB1795_43
; %bb.1:
	s_load_dwordx2 s[14:15], s[4:5], 0x28
	s_load_dwordx2 s[8:9], s[4:5], 0x38
	;; [unrolled: 1-line block ×3, first 2 shown]
	s_mov_b32 s3, 0
	s_mov_b32 s23, s3
	s_waitcnt lgkmcnt(0)
	s_lshr_b32 s17, s14, 10
	s_cmp_lg_u32 s2, s17
	s_cselect_b64 s[18:19], -1, 0
	s_lshl_b64 s[12:13], s[2:3], 2
	s_add_u32 s8, s8, s12
	s_addc_u32 s9, s9, s13
	s_lshr_b32 s7, s15, 9
	s_and_b32 s7, s7, 0x7ffffe
	s_load_dwordx2 s[8:9], s[8:9], 0x0
	s_sub_i32 s7, 0, s7
	s_and_b32 s11, s2, s7
	s_lshl_b32 s12, s11, 10
	s_lshl_b32 s16, s2, 10
	;; [unrolled: 1-line block ×3, first 2 shown]
	s_sub_i32 s13, s16, s12
	s_add_i32 s11, s11, s15
	s_add_i32 s13, s11, s13
	s_waitcnt lgkmcnt(0)
	s_sub_i32 s22, s13, s8
	s_sub_i32 s13, s13, s9
	;; [unrolled: 1-line block ×3, first 2 shown]
	s_min_u32 s22, s14, s22
	s_addk_i32 s13, 0x400
	s_or_b32 s7, s2, s7
	s_min_u32 s12, s14, s11
	s_add_i32 s11, s11, s15
	s_cmp_eq_u32 s7, -1
	s_cselect_b32 s7, s11, s13
	s_cselect_b32 s9, s12, s9
	s_min_u32 s7, s7, s14
	s_sub_i32 s15, s9, s8
	s_mov_b32 s9, s3
	s_sub_i32 s7, s7, s22
	s_lshl_b64 s[8:9], s[8:9], 1
	s_add_u32 s11, s20, s8
	s_addc_u32 s12, s21, s9
	s_lshl_b64 s[8:9], s[22:23], 1
	s_add_u32 s8, s20, s8
	s_addc_u32 s9, s21, s9
	s_cmp_lt_u32 s6, s10
	v_mov_b32_e32 v3, 0
	s_cselect_b32 s3, 12, 18
	global_load_dword v1, v3, s[0:1] offset:14
	s_add_u32 s0, s0, s3
	s_addc_u32 s1, s1, 0
	global_load_ushort v2, v3, s[0:1]
	s_cmp_eq_u32 s2, s17
	s_waitcnt vmcnt(1)
	v_lshrrev_b32_e32 v4, 16, v1
	v_and_b32_e32 v1, 0xffff, v1
	v_mul_lo_u32 v1, v1, v4
	s_waitcnt vmcnt(0)
	v_mul_lo_u32 v10, v1, v2
	v_add_u32_e32 v8, v10, v0
	v_lshlrev_b32_e32 v1, 1, v0
	v_add_u32_e32 v6, v8, v10
	s_cbranch_scc1 .LBB1795_3
; %bb.2:
	v_mov_b32_e32 v2, s12
	v_add_co_u32_e32 v7, vcc, s11, v1
	v_addc_co_u32_e32 v9, vcc, 0, v2, vcc
	v_subrev_u32_e32 v2, s15, v0
	v_lshlrev_b64 v[4:5], 1, v[2:3]
	v_mov_b32_e32 v2, s9
	v_add_co_u32_e32 v4, vcc, s8, v4
	v_addc_co_u32_e32 v2, vcc, v2, v5, vcc
	v_cmp_gt_u32_e32 vcc, s15, v0
	v_cndmask_b32_e32 v5, v2, v9, vcc
	v_cndmask_b32_e32 v4, v4, v7, vcc
	v_mov_b32_e32 v9, v3
	global_load_ushort v11, v[4:5], off
	v_lshlrev_b64 v[4:5], 1, v[8:9]
	v_mov_b32_e32 v2, s12
	v_add_co_u32_e32 v7, vcc, s11, v4
	v_addc_co_u32_e32 v9, vcc, v2, v5, vcc
	v_subrev_u32_e32 v2, s15, v8
	v_lshlrev_b64 v[4:5], 1, v[2:3]
	v_mov_b32_e32 v2, s9
	v_add_co_u32_e32 v4, vcc, s8, v4
	v_addc_co_u32_e32 v2, vcc, v2, v5, vcc
	v_cmp_gt_u32_e32 vcc, s15, v8
	v_cndmask_b32_e32 v5, v2, v9, vcc
	v_cndmask_b32_e32 v4, v4, v7, vcc
	v_mov_b32_e32 v7, v3
	global_load_ushort v9, v[4:5], off
	v_lshlrev_b64 v[4:5], 1, v[6:7]
	v_mov_b32_e32 v2, s12
	v_add_co_u32_e32 v7, vcc, s11, v4
	v_addc_co_u32_e32 v12, vcc, v2, v5, vcc
	v_subrev_u32_e32 v2, s15, v6
	v_lshlrev_b64 v[4:5], 1, v[2:3]
	v_mov_b32_e32 v2, s9
	v_add_co_u32_e32 v4, vcc, s8, v4
	v_addc_co_u32_e32 v2, vcc, v2, v5, vcc
	v_cmp_gt_u32_e32 vcc, s15, v6
	v_cndmask_b32_e32 v5, v2, v12, vcc
	v_cndmask_b32_e32 v4, v4, v7, vcc
	v_add_u32_e32 v2, v6, v10
	global_load_ushort v7, v[4:5], off
	v_lshlrev_b64 v[4:5], 1, v[2:3]
	v_mov_b32_e32 v12, s12
	v_add_co_u32_e32 v13, vcc, s11, v4
	v_addc_co_u32_e32 v12, vcc, v12, v5, vcc
	v_subrev_u32_e32 v4, s15, v2
	v_mov_b32_e32 v5, v3
	v_lshlrev_b64 v[4:5], 1, v[4:5]
	v_mov_b32_e32 v14, s9
	v_add_co_u32_e32 v4, vcc, s8, v4
	v_addc_co_u32_e32 v5, vcc, v14, v5, vcc
	v_cmp_gt_u32_e32 vcc, s15, v2
	v_cndmask_b32_e32 v5, v5, v12, vcc
	v_cndmask_b32_e32 v4, v4, v13, vcc
	v_add_u32_e32 v2, v2, v10
	global_load_ushort v12, v[4:5], off
	v_lshlrev_b64 v[4:5], 1, v[2:3]
	v_mov_b32_e32 v13, s12
	v_add_co_u32_e32 v14, vcc, s11, v4
	v_addc_co_u32_e32 v13, vcc, v13, v5, vcc
	v_subrev_u32_e32 v4, s15, v2
	v_mov_b32_e32 v5, v3
	;; [unrolled: 15-line block ×4, first 2 shown]
	v_lshlrev_b64 v[4:5], 1, v[4:5]
	v_mov_b32_e32 v17, s9
	v_add_co_u32_e32 v4, vcc, s8, v4
	v_addc_co_u32_e32 v5, vcc, v17, v5, vcc
	v_cmp_gt_u32_e32 vcc, s15, v2
	v_cndmask_b32_e32 v5, v5, v15, vcc
	v_cndmask_b32_e32 v4, v4, v16, vcc
	v_add_u32_e32 v2, v2, v10
	global_load_ushort v15, v[4:5], off
	v_lshlrev_b64 v[4:5], 1, v[2:3]
	v_mov_b32_e32 v16, s12
	v_add_co_u32_e32 v4, vcc, s11, v4
	v_addc_co_u32_e32 v5, vcc, v16, v5, vcc
	v_cmp_gt_u32_e32 vcc, s15, v2
	v_subrev_u32_e32 v2, s15, v2
	v_lshlrev_b64 v[2:3], 1, v[2:3]
	v_mov_b32_e32 v16, s9
	v_add_co_u32_e64 v2, s[0:1], s8, v2
	v_addc_co_u32_e64 v3, s[0:1], v16, v3, s[0:1]
	v_cndmask_b32_e32 v3, v3, v5, vcc
	v_cndmask_b32_e32 v2, v2, v4, vcc
	global_load_ushort v5, v[2:3], off
	s_mov_b32 s0, 0x5040100
	s_waitcnt vmcnt(6)
	v_perm_b32 v2, v9, v11, s0
	s_add_i32 s17, s7, s15
	s_waitcnt vmcnt(4)
	v_perm_b32 v3, v12, v7, s0
	s_waitcnt vmcnt(2)
	v_perm_b32 v4, v14, v13, s0
	;; [unrolled: 2-line block ×3, first 2 shown]
	s_load_dwordx2 s[20:21], s[4:5], 0x10
	s_cbranch_execz .LBB1795_4
	s_branch .LBB1795_19
.LBB1795_3:
                                        ; implicit-def: $vgpr2_vgpr3_vgpr4_vgpr5
                                        ; implicit-def: $sgpr17
	s_load_dwordx2 s[20:21], s[4:5], 0x10
.LBB1795_4:
	s_add_i32 s17, s7, s15
	v_cmp_gt_u32_e32 vcc, s17, v0
                                        ; implicit-def: $vgpr2_vgpr3_vgpr4_vgpr5
	s_and_saveexec_b64 s[0:1], vcc
	s_cbranch_execnz .LBB1795_44
; %bb.5:
	s_or_b64 exec, exec, s[0:1]
	v_cmp_gt_u32_e32 vcc, s17, v8
	s_and_saveexec_b64 s[2:3], vcc
	s_cbranch_execnz .LBB1795_45
.LBB1795_6:
	s_or_b64 exec, exec, s[2:3]
	v_cmp_gt_u32_e32 vcc, s17, v6
	s_and_saveexec_b64 s[0:1], vcc
	s_cbranch_execz .LBB1795_8
.LBB1795_7:
	v_mov_b32_e32 v7, 0
	v_lshlrev_b64 v[8:9], 1, v[6:7]
	v_mov_b32_e32 v11, s12
	v_add_co_u32_e32 v12, vcc, s11, v8
	v_addc_co_u32_e32 v11, vcc, v11, v9, vcc
	v_subrev_u32_e32 v8, s15, v6
	v_mov_b32_e32 v9, v7
	v_lshlrev_b64 v[8:9], 1, v[8:9]
	v_mov_b32_e32 v7, s9
	v_add_co_u32_e32 v8, vcc, s8, v8
	v_addc_co_u32_e32 v7, vcc, v7, v9, vcc
	v_cmp_gt_u32_e32 vcc, s15, v6
	v_cndmask_b32_e32 v9, v7, v11, vcc
	v_cndmask_b32_e32 v8, v8, v12, vcc
	global_load_ushort v7, v[8:9], off
	s_mov_b32 s2, 0xffff
	s_waitcnt vmcnt(0)
	v_bfi_b32 v3, s2, v7, v3
.LBB1795_8:
	s_or_b64 exec, exec, s[0:1]
	v_add_u32_e32 v6, v6, v10
	v_cmp_gt_u32_e32 vcc, s17, v6
	s_and_saveexec_b64 s[0:1], vcc
	s_cbranch_execz .LBB1795_10
; %bb.9:
	v_mov_b32_e32 v7, 0
	v_lshlrev_b64 v[8:9], 1, v[6:7]
	v_mov_b32_e32 v11, s12
	v_add_co_u32_e32 v12, vcc, s11, v8
	v_addc_co_u32_e32 v11, vcc, v11, v9, vcc
	v_subrev_u32_e32 v8, s15, v6
	v_mov_b32_e32 v9, v7
	v_lshlrev_b64 v[8:9], 1, v[8:9]
	v_mov_b32_e32 v7, s9
	v_add_co_u32_e32 v8, vcc, s8, v8
	v_addc_co_u32_e32 v7, vcc, v7, v9, vcc
	v_cmp_gt_u32_e32 vcc, s15, v6
	v_cndmask_b32_e32 v9, v7, v11, vcc
	v_cndmask_b32_e32 v8, v8, v12, vcc
	global_load_ushort v7, v[8:9], off
	s_mov_b32 s2, 0x5040100
	s_waitcnt vmcnt(0)
	v_perm_b32 v3, v7, v3, s2
.LBB1795_10:
	s_or_b64 exec, exec, s[0:1]
	v_add_u32_e32 v6, v6, v10
	v_cmp_gt_u32_e32 vcc, s17, v6
	s_and_saveexec_b64 s[0:1], vcc
	s_cbranch_execz .LBB1795_12
; %bb.11:
	v_mov_b32_e32 v7, 0
	v_lshlrev_b64 v[8:9], 1, v[6:7]
	v_mov_b32_e32 v11, s12
	v_add_co_u32_e32 v12, vcc, s11, v8
	v_addc_co_u32_e32 v11, vcc, v11, v9, vcc
	v_subrev_u32_e32 v8, s15, v6
	v_mov_b32_e32 v9, v7
	v_lshlrev_b64 v[8:9], 1, v[8:9]
	v_mov_b32_e32 v7, s9
	v_add_co_u32_e32 v8, vcc, s8, v8
	v_addc_co_u32_e32 v7, vcc, v7, v9, vcc
	v_cmp_gt_u32_e32 vcc, s15, v6
	v_cndmask_b32_e32 v9, v7, v11, vcc
	v_cndmask_b32_e32 v8, v8, v12, vcc
	global_load_ushort v7, v[8:9], off
	s_mov_b32 s2, 0xffff
	s_waitcnt vmcnt(0)
	v_bfi_b32 v4, s2, v7, v4
.LBB1795_12:
	s_or_b64 exec, exec, s[0:1]
	v_add_u32_e32 v6, v6, v10
	v_cmp_gt_u32_e32 vcc, s17, v6
	s_and_saveexec_b64 s[0:1], vcc
	s_cbranch_execz .LBB1795_14
; %bb.13:
	v_mov_b32_e32 v7, 0
	v_lshlrev_b64 v[8:9], 1, v[6:7]
	v_mov_b32_e32 v11, s12
	v_add_co_u32_e32 v12, vcc, s11, v8
	v_addc_co_u32_e32 v11, vcc, v11, v9, vcc
	v_subrev_u32_e32 v8, s15, v6
	v_mov_b32_e32 v9, v7
	v_lshlrev_b64 v[8:9], 1, v[8:9]
	v_mov_b32_e32 v7, s9
	v_add_co_u32_e32 v8, vcc, s8, v8
	v_addc_co_u32_e32 v7, vcc, v7, v9, vcc
	v_cmp_gt_u32_e32 vcc, s15, v6
	v_cndmask_b32_e32 v9, v7, v11, vcc
	v_cndmask_b32_e32 v8, v8, v12, vcc
	global_load_ushort v7, v[8:9], off
	s_mov_b32 s2, 0x5040100
	s_waitcnt vmcnt(0)
	v_perm_b32 v4, v7, v4, s2
.LBB1795_14:
	s_or_b64 exec, exec, s[0:1]
	v_add_u32_e32 v6, v6, v10
	v_cmp_gt_u32_e32 vcc, s17, v6
	s_and_saveexec_b64 s[0:1], vcc
	s_cbranch_execz .LBB1795_16
; %bb.15:
	v_mov_b32_e32 v7, 0
	v_lshlrev_b64 v[8:9], 1, v[6:7]
	v_mov_b32_e32 v11, s12
	v_add_co_u32_e32 v12, vcc, s11, v8
	v_addc_co_u32_e32 v11, vcc, v11, v9, vcc
	v_subrev_u32_e32 v8, s15, v6
	v_mov_b32_e32 v9, v7
	v_lshlrev_b64 v[8:9], 1, v[8:9]
	v_mov_b32_e32 v7, s9
	v_add_co_u32_e32 v8, vcc, s8, v8
	v_addc_co_u32_e32 v7, vcc, v7, v9, vcc
	v_cmp_gt_u32_e32 vcc, s15, v6
	v_cndmask_b32_e32 v9, v7, v11, vcc
	v_cndmask_b32_e32 v8, v8, v12, vcc
	global_load_ushort v7, v[8:9], off
	s_mov_b32 s2, 0xffff
	s_waitcnt vmcnt(0)
	v_bfi_b32 v5, s2, v7, v5
.LBB1795_16:
	s_or_b64 exec, exec, s[0:1]
	v_add_u32_e32 v6, v6, v10
	v_cmp_gt_u32_e32 vcc, s17, v6
	s_and_saveexec_b64 s[2:3], vcc
	s_cbranch_execz .LBB1795_18
; %bb.17:
	v_mov_b32_e32 v7, 0
	v_lshlrev_b64 v[8:9], 1, v[6:7]
	v_mov_b32_e32 v10, s12
	v_add_co_u32_e32 v8, vcc, s11, v8
	v_addc_co_u32_e32 v9, vcc, v10, v9, vcc
	v_cmp_gt_u32_e32 vcc, s15, v6
	v_subrev_u32_e32 v6, s15, v6
	v_lshlrev_b64 v[6:7], 1, v[6:7]
	v_mov_b32_e32 v10, s9
	v_add_co_u32_e64 v6, s[0:1], s8, v6
	v_addc_co_u32_e64 v7, s[0:1], v10, v7, s[0:1]
	v_cndmask_b32_e32 v7, v7, v9, vcc
	v_cndmask_b32_e32 v6, v6, v8, vcc
	global_load_ushort v6, v[6:7], off
	s_mov_b32 s0, 0x5040100
	s_waitcnt vmcnt(0)
	v_perm_b32 v5, v6, v5, s0
.LBB1795_18:
	s_or_b64 exec, exec, s[2:3]
.LBB1795_19:
	s_load_dword s24, s[4:5], 0x34
	v_lshlrev_b32_e32 v6, 3, v0
	v_min_u32_e32 v12, s17, v6
	v_sub_u32_e64 v10, v12, s7 clamp
	v_min_u32_e32 v13, s15, v12
	s_waitcnt vmcnt(0)
	v_lshrrev_b32_e32 v7, 16, v2
	v_lshrrev_b32_e32 v8, 16, v3
	;; [unrolled: 1-line block ×4, first 2 shown]
	v_cmp_lt_u32_e32 vcc, v10, v13
	ds_write_b16 v1, v2
	ds_write_b16 v1, v7 offset:256
	ds_write_b16 v1, v3 offset:512
	;; [unrolled: 1-line block ×7, first 2 shown]
	s_waitcnt lgkmcnt(0)
	s_barrier
	s_and_saveexec_b64 s[0:1], vcc
	s_cbranch_execz .LBB1795_23
; %bb.20:
	v_lshlrev_b32_e32 v14, 1, v12
	v_lshl_add_u32 v14, s15, 1, v14
	s_mov_b64 s[2:3], 0
.LBB1795_21:                            ; =>This Inner Loop Header: Depth=1
	v_add_u32_e32 v15, v13, v10
	v_lshrrev_b32_e32 v16, 1, v15
	v_not_b32_e32 v17, v16
	v_and_b32_e32 v15, -2, v15
	v_lshl_add_u32 v17, v17, 1, v14
	ds_read_u16 v15, v15
	ds_read_u16 v17, v17
	v_add_u32_e32 v18, 1, v16
	s_waitcnt lgkmcnt(1)
	v_and_b32_e32 v15, s24, v15
	s_waitcnt lgkmcnt(0)
	v_and_b32_e32 v17, s24, v17
	v_cmp_gt_i16_e32 vcc, v17, v15
	v_cndmask_b32_e32 v13, v13, v16, vcc
	v_cndmask_b32_e32 v10, v18, v10, vcc
	v_cmp_ge_u32_e32 vcc, v10, v13
	s_or_b64 s[2:3], vcc, s[2:3]
	s_andn2_b64 exec, exec, s[2:3]
	s_cbranch_execnz .LBB1795_21
; %bb.22:
	s_or_b64 exec, exec, s[2:3]
.LBB1795_23:
	s_or_b64 exec, exec, s[0:1]
	v_sub_u32_e32 v12, v12, v10
	v_add_u32_e32 v12, s15, v12
	v_cmp_ge_u32_e32 vcc, s15, v10
	v_cmp_ge_u32_e64 s[0:1], s17, v12
	s_or_b64 s[0:1], vcc, s[0:1]
	s_and_saveexec_b64 s[22:23], s[0:1]
	s_cbranch_execz .LBB1795_29
; %bb.24:
	v_cmp_gt_u32_e32 vcc, s15, v10
                                        ; implicit-def: $vgpr2
	s_and_saveexec_b64 s[0:1], vcc
	s_cbranch_execz .LBB1795_26
; %bb.25:
	v_lshlrev_b32_e32 v2, 1, v10
	ds_read_u16 v2, v2
.LBB1795_26:
	s_or_b64 exec, exec, s[0:1]
	v_cmp_le_u32_e64 s[0:1], s17, v12
	v_cmp_gt_u32_e64 s[2:3], s17, v12
                                        ; implicit-def: $vgpr3
	s_and_saveexec_b64 s[4:5], s[2:3]
	s_cbranch_execz .LBB1795_28
; %bb.27:
	v_lshlrev_b32_e32 v3, 1, v12
	ds_read_u16 v3, v3
.LBB1795_28:
	s_or_b64 exec, exec, s[4:5]
	s_waitcnt lgkmcnt(0)
	v_and_b32_e32 v4, s24, v3
	v_and_b32_e32 v5, s24, v2
	v_cmp_le_i16_e64 s[2:3], v4, v5
	s_and_b64 s[2:3], vcc, s[2:3]
	s_or_b64 vcc, s[0:1], s[2:3]
	v_mov_b32_e32 v5, s17
	v_mov_b32_e32 v8, s15
	v_cndmask_b32_e32 v4, v12, v10, vcc
	v_cndmask_b32_e32 v7, v5, v8, vcc
	v_add_u32_e32 v4, 1, v4
	v_add_u32_e32 v7, -1, v7
	v_min_u32_e32 v7, v4, v7
	v_lshlrev_b32_e32 v7, 1, v7
	ds_read_u16 v7, v7
	v_cndmask_b32_e32 v11, v4, v12, vcc
	v_cndmask_b32_e32 v4, v10, v4, vcc
	v_cmp_gt_u32_e64 s[2:3], s15, v4
	v_cmp_le_u32_e64 s[0:1], s17, v11
	s_waitcnt lgkmcnt(0)
	v_cndmask_b32_e32 v9, v7, v3, vcc
	v_cndmask_b32_e32 v7, v2, v7, vcc
	v_and_b32_e32 v10, s24, v9
	v_and_b32_e32 v12, s24, v7
	v_cmp_le_i16_e64 s[4:5], v10, v12
	s_and_b64 s[2:3], s[2:3], s[4:5]
	s_or_b64 s[0:1], s[0:1], s[2:3]
	v_cndmask_b32_e64 v10, v11, v4, s[0:1]
	v_cndmask_b32_e64 v12, v5, v8, s[0:1]
	v_add_u32_e32 v10, 1, v10
	v_add_u32_e32 v12, -1, v12
	v_min_u32_e32 v12, v10, v12
	v_lshlrev_b32_e32 v12, 1, v12
	ds_read_u16 v12, v12
	v_cndmask_b32_e64 v11, v10, v11, s[0:1]
	v_cndmask_b32_e64 v4, v4, v10, s[0:1]
	v_cmp_gt_u32_e64 s[4:5], s15, v4
	v_cmp_le_u32_e64 s[2:3], s17, v11
	s_waitcnt lgkmcnt(0)
	v_cndmask_b32_e64 v13, v12, v9, s[0:1]
	v_cndmask_b32_e64 v12, v7, v12, s[0:1]
	v_and_b32_e32 v10, s24, v13
	v_and_b32_e32 v14, s24, v12
	v_cmp_le_i16_e64 s[6:7], v10, v14
	s_and_b64 s[4:5], s[4:5], s[6:7]
	s_or_b64 s[2:3], s[2:3], s[4:5]
	v_cndmask_b32_e64 v10, v11, v4, s[2:3]
	v_cndmask_b32_e64 v14, v5, v8, s[2:3]
	v_add_u32_e32 v10, 1, v10
	v_add_u32_e32 v14, -1, v14
	v_min_u32_e32 v14, v10, v14
	v_lshlrev_b32_e32 v14, 1, v14
	ds_read_u16 v14, v14
	v_cndmask_b32_e64 v11, v10, v11, s[2:3]
	v_cndmask_b32_e64 v4, v4, v10, s[2:3]
	v_cmp_gt_u32_e64 s[6:7], s15, v4
	v_cmp_le_u32_e64 s[4:5], s17, v11
	s_waitcnt lgkmcnt(0)
	v_cndmask_b32_e64 v15, v14, v13, s[2:3]
	v_cndmask_b32_e64 v14, v12, v14, s[2:3]
	;; [unrolled: 19-line block ×4, first 2 shown]
	v_and_b32_e32 v10, s24, v19
	v_and_b32_e32 v20, s24, v18
	v_cmp_le_i16_e64 s[12:13], v10, v20
	s_and_b64 s[10:11], s[10:11], s[12:13]
	s_or_b64 s[8:9], s[8:9], s[10:11]
	v_cndmask_b32_e64 v10, v11, v4, s[8:9]
	v_cndmask_b32_e64 v20, v5, v8, s[8:9]
	v_add_u32_e32 v10, 1, v10
	v_add_u32_e32 v20, -1, v20
	v_min_u32_e32 v20, v10, v20
	v_lshlrev_b32_e32 v20, 1, v20
	ds_read_u16 v20, v20
	v_cndmask_b32_e32 v2, v3, v2, vcc
	v_cndmask_b32_e64 v3, v13, v12, s[2:3]
	v_cndmask_b32_e64 v7, v9, v7, s[0:1]
	;; [unrolled: 1-line block ×3, first 2 shown]
	s_waitcnt lgkmcnt(0)
	v_cndmask_b32_e64 v12, v20, v19, s[8:9]
	v_cndmask_b32_e64 v13, v18, v20, s[8:9]
	;; [unrolled: 1-line block ×3, first 2 shown]
	v_and_b32_e32 v4, s24, v12
	v_and_b32_e32 v9, s24, v13
	v_cmp_gt_u32_e64 s[0:1], s15, v10
	v_cmp_le_i16_e64 s[2:3], v4, v9
	v_cmp_le_u32_e32 vcc, s17, v11
	s_and_b64 s[0:1], s[0:1], s[2:3]
	s_or_b64 vcc, vcc, s[0:1]
	v_cndmask_b32_e32 v4, v11, v10, vcc
	v_cndmask_b32_e32 v5, v5, v8, vcc
	v_add_u32_e32 v20, 1, v4
	v_add_u32_e32 v4, -1, v5
	v_min_u32_e32 v4, v20, v4
	v_lshlrev_b32_e32 v4, 1, v4
	ds_read_u16 v21, v4
	v_cndmask_b32_e32 v5, v12, v13, vcc
	v_cndmask_b32_e32 v11, v20, v11, vcc
	;; [unrolled: 1-line block ×3, first 2 shown]
	v_cmp_gt_u32_e64 s[0:1], s15, v10
	s_waitcnt lgkmcnt(0)
	v_cndmask_b32_e32 v12, v21, v12, vcc
	v_cndmask_b32_e32 v13, v13, v21, vcc
	v_cmp_le_u32_e32 vcc, s17, v11
	v_and_b32_e32 v10, s24, v12
	v_and_b32_e32 v11, s24, v13
	v_cmp_le_i16_e64 s[2:3], v10, v11
	s_and_b64 s[0:1], s[0:1], s[2:3]
	s_or_b64 vcc, vcc, s[0:1]
	v_cndmask_b32_e64 v8, v15, v14, s[4:5]
	v_cndmask_b32_e64 v4, v17, v16, s[6:7]
	;; [unrolled: 1-line block ×3, first 2 shown]
	v_cndmask_b32_e32 v11, v12, v13, vcc
.LBB1795_29:
	s_or_b64 exec, exec, s[22:23]
	v_lshrrev_b32_e32 v10, 2, v0
	v_and_b32_e32 v10, 30, v10
	s_mov_b32 s2, 0x5040100
	v_add_lshl_u32 v6, v10, v6, 1
	v_perm_b32 v3, v8, v3, s2
	v_perm_b32 v2, v7, v2, s2
	s_barrier
	s_barrier
	ds_write2_b32 v6, v2, v3 offset1:1
	v_perm_b32 v2, v11, v5, s2
	v_perm_b32 v3, v9, v4, s2
	ds_write2_b32 v6, v3, v2 offset0:2 offset1:3
	v_lshrrev_b32_e32 v2, 4, v0
	v_and_b32_e32 v2, 4, v2
	v_or_b32_e32 v10, 0x80, v0
	v_add_u32_e32 v11, v1, v2
	v_lshrrev_b32_e32 v2, 4, v10
	v_and_b32_e32 v2, 12, v2
	v_or_b32_e32 v9, 0x100, v0
	v_add_u32_e32 v12, v1, v2
	;; [unrolled: 4-line block ×5, first 2 shown]
	v_lshrrev_b32_e32 v2, 4, v6
	v_and_b32_e32 v2, 44, v2
	v_or_b32_e32 v5, 0x300, v0
	s_mov_b32 s17, 0
	v_add_u32_e32 v16, v1, v2
	v_lshrrev_b32_e32 v2, 4, v5
	s_lshl_b64 s[0:1], s[16:17], 1
	v_and_b32_e32 v2, 52, v2
	v_or_b32_e32 v4, 0x380, v0
	s_add_u32 s0, s20, s0
	v_add_u32_e32 v17, v1, v2
	v_lshrrev_b32_e32 v2, 4, v4
	s_addc_u32 s1, s21, s1
	v_and_b32_e32 v2, 60, v2
	v_add_u32_e32 v18, v1, v2
	v_mov_b32_e32 v3, s1
	v_add_co_u32_e32 v2, vcc, s0, v1
	v_addc_co_u32_e32 v3, vcc, 0, v3, vcc
	s_and_b64 vcc, exec, s[18:19]
	s_waitcnt lgkmcnt(0)
	s_cbranch_vccz .LBB1795_31
; %bb.30:
	s_barrier
	ds_read_u16 v19, v11
	ds_read_u16 v20, v12 offset:256
	ds_read_u16 v21, v13 offset:512
	;; [unrolled: 1-line block ×7, first 2 shown]
	s_waitcnt lgkmcnt(7)
	global_store_short v[2:3], v19, off
	s_waitcnt lgkmcnt(6)
	global_store_short v[2:3], v20, off offset:256
	s_waitcnt lgkmcnt(5)
	global_store_short v[2:3], v21, off offset:512
	;; [unrolled: 2-line block ×6, first 2 shown]
	s_mov_b64 s[0:1], -1
	s_cbranch_execz .LBB1795_32
	s_branch .LBB1795_41
.LBB1795_31:
	s_mov_b64 s[0:1], 0
                                        ; implicit-def: $vgpr1
.LBB1795_32:
	s_barrier
	s_waitcnt lgkmcnt(0)
	ds_read_u16 v21, v12 offset:256
	ds_read_u16 v20, v13 offset:512
	;; [unrolled: 1-line block ×7, first 2 shown]
	s_sub_i32 s2, s14, s16
	v_cmp_gt_u32_e32 vcc, s2, v0
	s_and_saveexec_b64 s[0:1], vcc
	s_cbranch_execnz .LBB1795_46
; %bb.33:
	s_or_b64 exec, exec, s[0:1]
	v_cmp_gt_u32_e32 vcc, s2, v10
	s_and_saveexec_b64 s[0:1], vcc
	s_cbranch_execnz .LBB1795_47
.LBB1795_34:
	s_or_b64 exec, exec, s[0:1]
	v_cmp_gt_u32_e32 vcc, s2, v9
	s_and_saveexec_b64 s[0:1], vcc
	s_cbranch_execnz .LBB1795_48
.LBB1795_35:
	s_or_b64 exec, exec, s[0:1]
	v_cmp_gt_u32_e32 vcc, s2, v8
	s_and_saveexec_b64 s[0:1], vcc
	s_cbranch_execnz .LBB1795_49
.LBB1795_36:
	s_or_b64 exec, exec, s[0:1]
	v_cmp_gt_u32_e32 vcc, s2, v7
	s_and_saveexec_b64 s[0:1], vcc
	s_cbranch_execnz .LBB1795_50
.LBB1795_37:
	s_or_b64 exec, exec, s[0:1]
	v_cmp_gt_u32_e32 vcc, s2, v6
	s_and_saveexec_b64 s[0:1], vcc
	s_cbranch_execnz .LBB1795_51
.LBB1795_38:
	s_or_b64 exec, exec, s[0:1]
	v_cmp_gt_u32_e32 vcc, s2, v5
	s_and_saveexec_b64 s[0:1], vcc
	s_cbranch_execz .LBB1795_40
.LBB1795_39:
	s_waitcnt lgkmcnt(1)
	global_store_short v[2:3], v12, off offset:1536
.LBB1795_40:
	s_or_b64 exec, exec, s[0:1]
	v_cmp_gt_u32_e64 s[0:1], s2, v4
.LBB1795_41:
	s_and_saveexec_b64 s[2:3], s[0:1]
	s_cbranch_execz .LBB1795_43
; %bb.42:
	s_waitcnt lgkmcnt(0)
	global_store_short v[2:3], v1, off offset:1792
.LBB1795_43:
	s_endpgm
.LBB1795_44:
	v_mov_b32_e32 v2, s12
	v_add_co_u32_e32 v4, vcc, s11, v1
	v_mov_b32_e32 v3, 0
	v_addc_co_u32_e32 v5, vcc, 0, v2, vcc
	v_subrev_u32_e32 v2, s15, v0
	v_lshlrev_b64 v[2:3], 1, v[2:3]
	v_mov_b32_e32 v7, s9
	v_add_co_u32_e32 v2, vcc, s8, v2
	v_addc_co_u32_e32 v3, vcc, v7, v3, vcc
	v_cmp_gt_u32_e32 vcc, s15, v0
	v_cndmask_b32_e32 v3, v3, v5, vcc
	v_cndmask_b32_e32 v2, v2, v4, vcc
	global_load_ushort v2, v[2:3], off
	s_or_b64 exec, exec, s[0:1]
	v_cmp_gt_u32_e32 vcc, s17, v8
	s_and_saveexec_b64 s[2:3], vcc
	s_cbranch_execz .LBB1795_6
.LBB1795_45:
	v_mov_b32_e32 v9, 0
	v_lshlrev_b64 v[12:13], 1, v[8:9]
	v_mov_b32_e32 v7, s12
	v_add_co_u32_e32 v11, vcc, s11, v12
	v_addc_co_u32_e32 v7, vcc, v7, v13, vcc
	v_cmp_gt_u32_e32 vcc, s15, v8
	v_subrev_u32_e32 v8, s15, v8
	v_lshlrev_b64 v[8:9], 1, v[8:9]
	v_mov_b32_e32 v12, s9
	v_add_co_u32_e64 v8, s[0:1], s8, v8
	v_addc_co_u32_e64 v9, s[0:1], v12, v9, s[0:1]
	v_cndmask_b32_e32 v9, v9, v7, vcc
	v_cndmask_b32_e32 v8, v8, v11, vcc
	global_load_ushort v7, v[8:9], off
	s_mov_b32 s0, 0x5040100
	s_waitcnt vmcnt(0)
	v_perm_b32 v2, v7, v2, s0
	s_or_b64 exec, exec, s[2:3]
	v_cmp_gt_u32_e32 vcc, s17, v6
	s_and_saveexec_b64 s[0:1], vcc
	s_cbranch_execnz .LBB1795_7
	s_branch .LBB1795_8
.LBB1795_46:
	ds_read_u16 v0, v11
	s_waitcnt lgkmcnt(0)
	global_store_short v[2:3], v0, off
	s_or_b64 exec, exec, s[0:1]
	v_cmp_gt_u32_e32 vcc, s2, v10
	s_and_saveexec_b64 s[0:1], vcc
	s_cbranch_execz .LBB1795_34
.LBB1795_47:
	s_waitcnt lgkmcnt(6)
	global_store_short v[2:3], v21, off offset:256
	s_or_b64 exec, exec, s[0:1]
	v_cmp_gt_u32_e32 vcc, s2, v9
	s_and_saveexec_b64 s[0:1], vcc
	s_cbranch_execz .LBB1795_35
.LBB1795_48:
	s_waitcnt lgkmcnt(5)
	global_store_short v[2:3], v20, off offset:512
	s_or_b64 exec, exec, s[0:1]
	v_cmp_gt_u32_e32 vcc, s2, v8
	s_and_saveexec_b64 s[0:1], vcc
	s_cbranch_execz .LBB1795_36
.LBB1795_49:
	s_waitcnt lgkmcnt(4)
	global_store_short v[2:3], v19, off offset:768
	s_or_b64 exec, exec, s[0:1]
	v_cmp_gt_u32_e32 vcc, s2, v7
	s_and_saveexec_b64 s[0:1], vcc
	s_cbranch_execz .LBB1795_37
.LBB1795_50:
	s_waitcnt lgkmcnt(3)
	global_store_short v[2:3], v14, off offset:1024
	s_or_b64 exec, exec, s[0:1]
	v_cmp_gt_u32_e32 vcc, s2, v6
	s_and_saveexec_b64 s[0:1], vcc
	s_cbranch_execz .LBB1795_38
.LBB1795_51:
	s_waitcnt lgkmcnt(2)
	global_store_short v[2:3], v13, off offset:1280
	s_or_b64 exec, exec, s[0:1]
	v_cmp_gt_u32_e32 vcc, s2, v5
	s_and_saveexec_b64 s[0:1], vcc
	s_cbranch_execnz .LBB1795_39
	s_branch .LBB1795_40
	.section	.rodata,"a",@progbits
	.p2align	6, 0x0
	.amdhsa_kernel _ZN7rocprim17ROCPRIM_400000_NS6detail17trampoline_kernelINS0_14default_configENS1_38merge_sort_block_merge_config_selectorIsNS0_10empty_typeEEEZZNS1_27merge_sort_block_merge_implIS3_PsPS5_jNS1_19radix_merge_compareILb1ELb1EsNS0_19identity_decomposerEEEEE10hipError_tT0_T1_T2_jT3_P12ihipStream_tbPNSt15iterator_traitsISE_E10value_typeEPNSK_ISF_E10value_typeEPSG_NS1_7vsmem_tEENKUlT_SE_SF_SG_E_clIS8_S8_S9_S9_EESD_ST_SE_SF_SG_EUlST_E0_NS1_11comp_targetILNS1_3genE4ELNS1_11target_archE910ELNS1_3gpuE8ELNS1_3repE0EEENS1_38merge_mergepath_config_static_selectorELNS0_4arch9wavefront6targetE1EEEvSF_
		.amdhsa_group_segment_fixed_size 2112
		.amdhsa_private_segment_fixed_size 0
		.amdhsa_kernarg_size 320
		.amdhsa_user_sgpr_count 6
		.amdhsa_user_sgpr_private_segment_buffer 1
		.amdhsa_user_sgpr_dispatch_ptr 0
		.amdhsa_user_sgpr_queue_ptr 0
		.amdhsa_user_sgpr_kernarg_segment_ptr 1
		.amdhsa_user_sgpr_dispatch_id 0
		.amdhsa_user_sgpr_flat_scratch_init 0
		.amdhsa_user_sgpr_kernarg_preload_length 0
		.amdhsa_user_sgpr_kernarg_preload_offset 0
		.amdhsa_user_sgpr_private_segment_size 0
		.amdhsa_uses_dynamic_stack 0
		.amdhsa_system_sgpr_private_segment_wavefront_offset 0
		.amdhsa_system_sgpr_workgroup_id_x 1
		.amdhsa_system_sgpr_workgroup_id_y 1
		.amdhsa_system_sgpr_workgroup_id_z 1
		.amdhsa_system_sgpr_workgroup_info 0
		.amdhsa_system_vgpr_workitem_id 0
		.amdhsa_next_free_vgpr 26
		.amdhsa_next_free_sgpr 25
		.amdhsa_accum_offset 28
		.amdhsa_reserve_vcc 1
		.amdhsa_reserve_flat_scratch 0
		.amdhsa_float_round_mode_32 0
		.amdhsa_float_round_mode_16_64 0
		.amdhsa_float_denorm_mode_32 3
		.amdhsa_float_denorm_mode_16_64 3
		.amdhsa_dx10_clamp 1
		.amdhsa_ieee_mode 1
		.amdhsa_fp16_overflow 0
		.amdhsa_tg_split 0
		.amdhsa_exception_fp_ieee_invalid_op 0
		.amdhsa_exception_fp_denorm_src 0
		.amdhsa_exception_fp_ieee_div_zero 0
		.amdhsa_exception_fp_ieee_overflow 0
		.amdhsa_exception_fp_ieee_underflow 0
		.amdhsa_exception_fp_ieee_inexact 0
		.amdhsa_exception_int_div_zero 0
	.end_amdhsa_kernel
	.section	.text._ZN7rocprim17ROCPRIM_400000_NS6detail17trampoline_kernelINS0_14default_configENS1_38merge_sort_block_merge_config_selectorIsNS0_10empty_typeEEEZZNS1_27merge_sort_block_merge_implIS3_PsPS5_jNS1_19radix_merge_compareILb1ELb1EsNS0_19identity_decomposerEEEEE10hipError_tT0_T1_T2_jT3_P12ihipStream_tbPNSt15iterator_traitsISE_E10value_typeEPNSK_ISF_E10value_typeEPSG_NS1_7vsmem_tEENKUlT_SE_SF_SG_E_clIS8_S8_S9_S9_EESD_ST_SE_SF_SG_EUlST_E0_NS1_11comp_targetILNS1_3genE4ELNS1_11target_archE910ELNS1_3gpuE8ELNS1_3repE0EEENS1_38merge_mergepath_config_static_selectorELNS0_4arch9wavefront6targetE1EEEvSF_,"axG",@progbits,_ZN7rocprim17ROCPRIM_400000_NS6detail17trampoline_kernelINS0_14default_configENS1_38merge_sort_block_merge_config_selectorIsNS0_10empty_typeEEEZZNS1_27merge_sort_block_merge_implIS3_PsPS5_jNS1_19radix_merge_compareILb1ELb1EsNS0_19identity_decomposerEEEEE10hipError_tT0_T1_T2_jT3_P12ihipStream_tbPNSt15iterator_traitsISE_E10value_typeEPNSK_ISF_E10value_typeEPSG_NS1_7vsmem_tEENKUlT_SE_SF_SG_E_clIS8_S8_S9_S9_EESD_ST_SE_SF_SG_EUlST_E0_NS1_11comp_targetILNS1_3genE4ELNS1_11target_archE910ELNS1_3gpuE8ELNS1_3repE0EEENS1_38merge_mergepath_config_static_selectorELNS0_4arch9wavefront6targetE1EEEvSF_,comdat
.Lfunc_end1795:
	.size	_ZN7rocprim17ROCPRIM_400000_NS6detail17trampoline_kernelINS0_14default_configENS1_38merge_sort_block_merge_config_selectorIsNS0_10empty_typeEEEZZNS1_27merge_sort_block_merge_implIS3_PsPS5_jNS1_19radix_merge_compareILb1ELb1EsNS0_19identity_decomposerEEEEE10hipError_tT0_T1_T2_jT3_P12ihipStream_tbPNSt15iterator_traitsISE_E10value_typeEPNSK_ISF_E10value_typeEPSG_NS1_7vsmem_tEENKUlT_SE_SF_SG_E_clIS8_S8_S9_S9_EESD_ST_SE_SF_SG_EUlST_E0_NS1_11comp_targetILNS1_3genE4ELNS1_11target_archE910ELNS1_3gpuE8ELNS1_3repE0EEENS1_38merge_mergepath_config_static_selectorELNS0_4arch9wavefront6targetE1EEEvSF_, .Lfunc_end1795-_ZN7rocprim17ROCPRIM_400000_NS6detail17trampoline_kernelINS0_14default_configENS1_38merge_sort_block_merge_config_selectorIsNS0_10empty_typeEEEZZNS1_27merge_sort_block_merge_implIS3_PsPS5_jNS1_19radix_merge_compareILb1ELb1EsNS0_19identity_decomposerEEEEE10hipError_tT0_T1_T2_jT3_P12ihipStream_tbPNSt15iterator_traitsISE_E10value_typeEPNSK_ISF_E10value_typeEPSG_NS1_7vsmem_tEENKUlT_SE_SF_SG_E_clIS8_S8_S9_S9_EESD_ST_SE_SF_SG_EUlST_E0_NS1_11comp_targetILNS1_3genE4ELNS1_11target_archE910ELNS1_3gpuE8ELNS1_3repE0EEENS1_38merge_mergepath_config_static_selectorELNS0_4arch9wavefront6targetE1EEEvSF_
                                        ; -- End function
	.section	.AMDGPU.csdata,"",@progbits
; Kernel info:
; codeLenInByte = 3920
; NumSgprs: 29
; NumVgprs: 26
; NumAgprs: 0
; TotalNumVgprs: 26
; ScratchSize: 0
; MemoryBound: 0
; FloatMode: 240
; IeeeMode: 1
; LDSByteSize: 2112 bytes/workgroup (compile time only)
; SGPRBlocks: 3
; VGPRBlocks: 3
; NumSGPRsForWavesPerEU: 29
; NumVGPRsForWavesPerEU: 26
; AccumOffset: 28
; Occupancy: 8
; WaveLimiterHint : 1
; COMPUTE_PGM_RSRC2:SCRATCH_EN: 0
; COMPUTE_PGM_RSRC2:USER_SGPR: 6
; COMPUTE_PGM_RSRC2:TRAP_HANDLER: 0
; COMPUTE_PGM_RSRC2:TGID_X_EN: 1
; COMPUTE_PGM_RSRC2:TGID_Y_EN: 1
; COMPUTE_PGM_RSRC2:TGID_Z_EN: 1
; COMPUTE_PGM_RSRC2:TIDIG_COMP_CNT: 0
; COMPUTE_PGM_RSRC3_GFX90A:ACCUM_OFFSET: 6
; COMPUTE_PGM_RSRC3_GFX90A:TG_SPLIT: 0
	.section	.text._ZN7rocprim17ROCPRIM_400000_NS6detail17trampoline_kernelINS0_14default_configENS1_38merge_sort_block_merge_config_selectorIsNS0_10empty_typeEEEZZNS1_27merge_sort_block_merge_implIS3_PsPS5_jNS1_19radix_merge_compareILb1ELb1EsNS0_19identity_decomposerEEEEE10hipError_tT0_T1_T2_jT3_P12ihipStream_tbPNSt15iterator_traitsISE_E10value_typeEPNSK_ISF_E10value_typeEPSG_NS1_7vsmem_tEENKUlT_SE_SF_SG_E_clIS8_S8_S9_S9_EESD_ST_SE_SF_SG_EUlST_E0_NS1_11comp_targetILNS1_3genE3ELNS1_11target_archE908ELNS1_3gpuE7ELNS1_3repE0EEENS1_38merge_mergepath_config_static_selectorELNS0_4arch9wavefront6targetE1EEEvSF_,"axG",@progbits,_ZN7rocprim17ROCPRIM_400000_NS6detail17trampoline_kernelINS0_14default_configENS1_38merge_sort_block_merge_config_selectorIsNS0_10empty_typeEEEZZNS1_27merge_sort_block_merge_implIS3_PsPS5_jNS1_19radix_merge_compareILb1ELb1EsNS0_19identity_decomposerEEEEE10hipError_tT0_T1_T2_jT3_P12ihipStream_tbPNSt15iterator_traitsISE_E10value_typeEPNSK_ISF_E10value_typeEPSG_NS1_7vsmem_tEENKUlT_SE_SF_SG_E_clIS8_S8_S9_S9_EESD_ST_SE_SF_SG_EUlST_E0_NS1_11comp_targetILNS1_3genE3ELNS1_11target_archE908ELNS1_3gpuE7ELNS1_3repE0EEENS1_38merge_mergepath_config_static_selectorELNS0_4arch9wavefront6targetE1EEEvSF_,comdat
	.protected	_ZN7rocprim17ROCPRIM_400000_NS6detail17trampoline_kernelINS0_14default_configENS1_38merge_sort_block_merge_config_selectorIsNS0_10empty_typeEEEZZNS1_27merge_sort_block_merge_implIS3_PsPS5_jNS1_19radix_merge_compareILb1ELb1EsNS0_19identity_decomposerEEEEE10hipError_tT0_T1_T2_jT3_P12ihipStream_tbPNSt15iterator_traitsISE_E10value_typeEPNSK_ISF_E10value_typeEPSG_NS1_7vsmem_tEENKUlT_SE_SF_SG_E_clIS8_S8_S9_S9_EESD_ST_SE_SF_SG_EUlST_E0_NS1_11comp_targetILNS1_3genE3ELNS1_11target_archE908ELNS1_3gpuE7ELNS1_3repE0EEENS1_38merge_mergepath_config_static_selectorELNS0_4arch9wavefront6targetE1EEEvSF_ ; -- Begin function _ZN7rocprim17ROCPRIM_400000_NS6detail17trampoline_kernelINS0_14default_configENS1_38merge_sort_block_merge_config_selectorIsNS0_10empty_typeEEEZZNS1_27merge_sort_block_merge_implIS3_PsPS5_jNS1_19radix_merge_compareILb1ELb1EsNS0_19identity_decomposerEEEEE10hipError_tT0_T1_T2_jT3_P12ihipStream_tbPNSt15iterator_traitsISE_E10value_typeEPNSK_ISF_E10value_typeEPSG_NS1_7vsmem_tEENKUlT_SE_SF_SG_E_clIS8_S8_S9_S9_EESD_ST_SE_SF_SG_EUlST_E0_NS1_11comp_targetILNS1_3genE3ELNS1_11target_archE908ELNS1_3gpuE7ELNS1_3repE0EEENS1_38merge_mergepath_config_static_selectorELNS0_4arch9wavefront6targetE1EEEvSF_
	.globl	_ZN7rocprim17ROCPRIM_400000_NS6detail17trampoline_kernelINS0_14default_configENS1_38merge_sort_block_merge_config_selectorIsNS0_10empty_typeEEEZZNS1_27merge_sort_block_merge_implIS3_PsPS5_jNS1_19radix_merge_compareILb1ELb1EsNS0_19identity_decomposerEEEEE10hipError_tT0_T1_T2_jT3_P12ihipStream_tbPNSt15iterator_traitsISE_E10value_typeEPNSK_ISF_E10value_typeEPSG_NS1_7vsmem_tEENKUlT_SE_SF_SG_E_clIS8_S8_S9_S9_EESD_ST_SE_SF_SG_EUlST_E0_NS1_11comp_targetILNS1_3genE3ELNS1_11target_archE908ELNS1_3gpuE7ELNS1_3repE0EEENS1_38merge_mergepath_config_static_selectorELNS0_4arch9wavefront6targetE1EEEvSF_
	.p2align	8
	.type	_ZN7rocprim17ROCPRIM_400000_NS6detail17trampoline_kernelINS0_14default_configENS1_38merge_sort_block_merge_config_selectorIsNS0_10empty_typeEEEZZNS1_27merge_sort_block_merge_implIS3_PsPS5_jNS1_19radix_merge_compareILb1ELb1EsNS0_19identity_decomposerEEEEE10hipError_tT0_T1_T2_jT3_P12ihipStream_tbPNSt15iterator_traitsISE_E10value_typeEPNSK_ISF_E10value_typeEPSG_NS1_7vsmem_tEENKUlT_SE_SF_SG_E_clIS8_S8_S9_S9_EESD_ST_SE_SF_SG_EUlST_E0_NS1_11comp_targetILNS1_3genE3ELNS1_11target_archE908ELNS1_3gpuE7ELNS1_3repE0EEENS1_38merge_mergepath_config_static_selectorELNS0_4arch9wavefront6targetE1EEEvSF_,@function
_ZN7rocprim17ROCPRIM_400000_NS6detail17trampoline_kernelINS0_14default_configENS1_38merge_sort_block_merge_config_selectorIsNS0_10empty_typeEEEZZNS1_27merge_sort_block_merge_implIS3_PsPS5_jNS1_19radix_merge_compareILb1ELb1EsNS0_19identity_decomposerEEEEE10hipError_tT0_T1_T2_jT3_P12ihipStream_tbPNSt15iterator_traitsISE_E10value_typeEPNSK_ISF_E10value_typeEPSG_NS1_7vsmem_tEENKUlT_SE_SF_SG_E_clIS8_S8_S9_S9_EESD_ST_SE_SF_SG_EUlST_E0_NS1_11comp_targetILNS1_3genE3ELNS1_11target_archE908ELNS1_3gpuE7ELNS1_3repE0EEENS1_38merge_mergepath_config_static_selectorELNS0_4arch9wavefront6targetE1EEEvSF_: ; @_ZN7rocprim17ROCPRIM_400000_NS6detail17trampoline_kernelINS0_14default_configENS1_38merge_sort_block_merge_config_selectorIsNS0_10empty_typeEEEZZNS1_27merge_sort_block_merge_implIS3_PsPS5_jNS1_19radix_merge_compareILb1ELb1EsNS0_19identity_decomposerEEEEE10hipError_tT0_T1_T2_jT3_P12ihipStream_tbPNSt15iterator_traitsISE_E10value_typeEPNSK_ISF_E10value_typeEPSG_NS1_7vsmem_tEENKUlT_SE_SF_SG_E_clIS8_S8_S9_S9_EESD_ST_SE_SF_SG_EUlST_E0_NS1_11comp_targetILNS1_3genE3ELNS1_11target_archE908ELNS1_3gpuE7ELNS1_3repE0EEENS1_38merge_mergepath_config_static_selectorELNS0_4arch9wavefront6targetE1EEEvSF_
; %bb.0:
	.section	.rodata,"a",@progbits
	.p2align	6, 0x0
	.amdhsa_kernel _ZN7rocprim17ROCPRIM_400000_NS6detail17trampoline_kernelINS0_14default_configENS1_38merge_sort_block_merge_config_selectorIsNS0_10empty_typeEEEZZNS1_27merge_sort_block_merge_implIS3_PsPS5_jNS1_19radix_merge_compareILb1ELb1EsNS0_19identity_decomposerEEEEE10hipError_tT0_T1_T2_jT3_P12ihipStream_tbPNSt15iterator_traitsISE_E10value_typeEPNSK_ISF_E10value_typeEPSG_NS1_7vsmem_tEENKUlT_SE_SF_SG_E_clIS8_S8_S9_S9_EESD_ST_SE_SF_SG_EUlST_E0_NS1_11comp_targetILNS1_3genE3ELNS1_11target_archE908ELNS1_3gpuE7ELNS1_3repE0EEENS1_38merge_mergepath_config_static_selectorELNS0_4arch9wavefront6targetE1EEEvSF_
		.amdhsa_group_segment_fixed_size 0
		.amdhsa_private_segment_fixed_size 0
		.amdhsa_kernarg_size 64
		.amdhsa_user_sgpr_count 6
		.amdhsa_user_sgpr_private_segment_buffer 1
		.amdhsa_user_sgpr_dispatch_ptr 0
		.amdhsa_user_sgpr_queue_ptr 0
		.amdhsa_user_sgpr_kernarg_segment_ptr 1
		.amdhsa_user_sgpr_dispatch_id 0
		.amdhsa_user_sgpr_flat_scratch_init 0
		.amdhsa_user_sgpr_kernarg_preload_length 0
		.amdhsa_user_sgpr_kernarg_preload_offset 0
		.amdhsa_user_sgpr_private_segment_size 0
		.amdhsa_uses_dynamic_stack 0
		.amdhsa_system_sgpr_private_segment_wavefront_offset 0
		.amdhsa_system_sgpr_workgroup_id_x 1
		.amdhsa_system_sgpr_workgroup_id_y 0
		.amdhsa_system_sgpr_workgroup_id_z 0
		.amdhsa_system_sgpr_workgroup_info 0
		.amdhsa_system_vgpr_workitem_id 0
		.amdhsa_next_free_vgpr 1
		.amdhsa_next_free_sgpr 0
		.amdhsa_accum_offset 4
		.amdhsa_reserve_vcc 0
		.amdhsa_reserve_flat_scratch 0
		.amdhsa_float_round_mode_32 0
		.amdhsa_float_round_mode_16_64 0
		.amdhsa_float_denorm_mode_32 3
		.amdhsa_float_denorm_mode_16_64 3
		.amdhsa_dx10_clamp 1
		.amdhsa_ieee_mode 1
		.amdhsa_fp16_overflow 0
		.amdhsa_tg_split 0
		.amdhsa_exception_fp_ieee_invalid_op 0
		.amdhsa_exception_fp_denorm_src 0
		.amdhsa_exception_fp_ieee_div_zero 0
		.amdhsa_exception_fp_ieee_overflow 0
		.amdhsa_exception_fp_ieee_underflow 0
		.amdhsa_exception_fp_ieee_inexact 0
		.amdhsa_exception_int_div_zero 0
	.end_amdhsa_kernel
	.section	.text._ZN7rocprim17ROCPRIM_400000_NS6detail17trampoline_kernelINS0_14default_configENS1_38merge_sort_block_merge_config_selectorIsNS0_10empty_typeEEEZZNS1_27merge_sort_block_merge_implIS3_PsPS5_jNS1_19radix_merge_compareILb1ELb1EsNS0_19identity_decomposerEEEEE10hipError_tT0_T1_T2_jT3_P12ihipStream_tbPNSt15iterator_traitsISE_E10value_typeEPNSK_ISF_E10value_typeEPSG_NS1_7vsmem_tEENKUlT_SE_SF_SG_E_clIS8_S8_S9_S9_EESD_ST_SE_SF_SG_EUlST_E0_NS1_11comp_targetILNS1_3genE3ELNS1_11target_archE908ELNS1_3gpuE7ELNS1_3repE0EEENS1_38merge_mergepath_config_static_selectorELNS0_4arch9wavefront6targetE1EEEvSF_,"axG",@progbits,_ZN7rocprim17ROCPRIM_400000_NS6detail17trampoline_kernelINS0_14default_configENS1_38merge_sort_block_merge_config_selectorIsNS0_10empty_typeEEEZZNS1_27merge_sort_block_merge_implIS3_PsPS5_jNS1_19radix_merge_compareILb1ELb1EsNS0_19identity_decomposerEEEEE10hipError_tT0_T1_T2_jT3_P12ihipStream_tbPNSt15iterator_traitsISE_E10value_typeEPNSK_ISF_E10value_typeEPSG_NS1_7vsmem_tEENKUlT_SE_SF_SG_E_clIS8_S8_S9_S9_EESD_ST_SE_SF_SG_EUlST_E0_NS1_11comp_targetILNS1_3genE3ELNS1_11target_archE908ELNS1_3gpuE7ELNS1_3repE0EEENS1_38merge_mergepath_config_static_selectorELNS0_4arch9wavefront6targetE1EEEvSF_,comdat
.Lfunc_end1796:
	.size	_ZN7rocprim17ROCPRIM_400000_NS6detail17trampoline_kernelINS0_14default_configENS1_38merge_sort_block_merge_config_selectorIsNS0_10empty_typeEEEZZNS1_27merge_sort_block_merge_implIS3_PsPS5_jNS1_19radix_merge_compareILb1ELb1EsNS0_19identity_decomposerEEEEE10hipError_tT0_T1_T2_jT3_P12ihipStream_tbPNSt15iterator_traitsISE_E10value_typeEPNSK_ISF_E10value_typeEPSG_NS1_7vsmem_tEENKUlT_SE_SF_SG_E_clIS8_S8_S9_S9_EESD_ST_SE_SF_SG_EUlST_E0_NS1_11comp_targetILNS1_3genE3ELNS1_11target_archE908ELNS1_3gpuE7ELNS1_3repE0EEENS1_38merge_mergepath_config_static_selectorELNS0_4arch9wavefront6targetE1EEEvSF_, .Lfunc_end1796-_ZN7rocprim17ROCPRIM_400000_NS6detail17trampoline_kernelINS0_14default_configENS1_38merge_sort_block_merge_config_selectorIsNS0_10empty_typeEEEZZNS1_27merge_sort_block_merge_implIS3_PsPS5_jNS1_19radix_merge_compareILb1ELb1EsNS0_19identity_decomposerEEEEE10hipError_tT0_T1_T2_jT3_P12ihipStream_tbPNSt15iterator_traitsISE_E10value_typeEPNSK_ISF_E10value_typeEPSG_NS1_7vsmem_tEENKUlT_SE_SF_SG_E_clIS8_S8_S9_S9_EESD_ST_SE_SF_SG_EUlST_E0_NS1_11comp_targetILNS1_3genE3ELNS1_11target_archE908ELNS1_3gpuE7ELNS1_3repE0EEENS1_38merge_mergepath_config_static_selectorELNS0_4arch9wavefront6targetE1EEEvSF_
                                        ; -- End function
	.section	.AMDGPU.csdata,"",@progbits
; Kernel info:
; codeLenInByte = 0
; NumSgprs: 4
; NumVgprs: 0
; NumAgprs: 0
; TotalNumVgprs: 0
; ScratchSize: 0
; MemoryBound: 0
; FloatMode: 240
; IeeeMode: 1
; LDSByteSize: 0 bytes/workgroup (compile time only)
; SGPRBlocks: 0
; VGPRBlocks: 0
; NumSGPRsForWavesPerEU: 4
; NumVGPRsForWavesPerEU: 1
; AccumOffset: 4
; Occupancy: 8
; WaveLimiterHint : 0
; COMPUTE_PGM_RSRC2:SCRATCH_EN: 0
; COMPUTE_PGM_RSRC2:USER_SGPR: 6
; COMPUTE_PGM_RSRC2:TRAP_HANDLER: 0
; COMPUTE_PGM_RSRC2:TGID_X_EN: 1
; COMPUTE_PGM_RSRC2:TGID_Y_EN: 0
; COMPUTE_PGM_RSRC2:TGID_Z_EN: 0
; COMPUTE_PGM_RSRC2:TIDIG_COMP_CNT: 0
; COMPUTE_PGM_RSRC3_GFX90A:ACCUM_OFFSET: 0
; COMPUTE_PGM_RSRC3_GFX90A:TG_SPLIT: 0
	.section	.text._ZN7rocprim17ROCPRIM_400000_NS6detail17trampoline_kernelINS0_14default_configENS1_38merge_sort_block_merge_config_selectorIsNS0_10empty_typeEEEZZNS1_27merge_sort_block_merge_implIS3_PsPS5_jNS1_19radix_merge_compareILb1ELb1EsNS0_19identity_decomposerEEEEE10hipError_tT0_T1_T2_jT3_P12ihipStream_tbPNSt15iterator_traitsISE_E10value_typeEPNSK_ISF_E10value_typeEPSG_NS1_7vsmem_tEENKUlT_SE_SF_SG_E_clIS8_S8_S9_S9_EESD_ST_SE_SF_SG_EUlST_E0_NS1_11comp_targetILNS1_3genE2ELNS1_11target_archE906ELNS1_3gpuE6ELNS1_3repE0EEENS1_38merge_mergepath_config_static_selectorELNS0_4arch9wavefront6targetE1EEEvSF_,"axG",@progbits,_ZN7rocprim17ROCPRIM_400000_NS6detail17trampoline_kernelINS0_14default_configENS1_38merge_sort_block_merge_config_selectorIsNS0_10empty_typeEEEZZNS1_27merge_sort_block_merge_implIS3_PsPS5_jNS1_19radix_merge_compareILb1ELb1EsNS0_19identity_decomposerEEEEE10hipError_tT0_T1_T2_jT3_P12ihipStream_tbPNSt15iterator_traitsISE_E10value_typeEPNSK_ISF_E10value_typeEPSG_NS1_7vsmem_tEENKUlT_SE_SF_SG_E_clIS8_S8_S9_S9_EESD_ST_SE_SF_SG_EUlST_E0_NS1_11comp_targetILNS1_3genE2ELNS1_11target_archE906ELNS1_3gpuE6ELNS1_3repE0EEENS1_38merge_mergepath_config_static_selectorELNS0_4arch9wavefront6targetE1EEEvSF_,comdat
	.protected	_ZN7rocprim17ROCPRIM_400000_NS6detail17trampoline_kernelINS0_14default_configENS1_38merge_sort_block_merge_config_selectorIsNS0_10empty_typeEEEZZNS1_27merge_sort_block_merge_implIS3_PsPS5_jNS1_19radix_merge_compareILb1ELb1EsNS0_19identity_decomposerEEEEE10hipError_tT0_T1_T2_jT3_P12ihipStream_tbPNSt15iterator_traitsISE_E10value_typeEPNSK_ISF_E10value_typeEPSG_NS1_7vsmem_tEENKUlT_SE_SF_SG_E_clIS8_S8_S9_S9_EESD_ST_SE_SF_SG_EUlST_E0_NS1_11comp_targetILNS1_3genE2ELNS1_11target_archE906ELNS1_3gpuE6ELNS1_3repE0EEENS1_38merge_mergepath_config_static_selectorELNS0_4arch9wavefront6targetE1EEEvSF_ ; -- Begin function _ZN7rocprim17ROCPRIM_400000_NS6detail17trampoline_kernelINS0_14default_configENS1_38merge_sort_block_merge_config_selectorIsNS0_10empty_typeEEEZZNS1_27merge_sort_block_merge_implIS3_PsPS5_jNS1_19radix_merge_compareILb1ELb1EsNS0_19identity_decomposerEEEEE10hipError_tT0_T1_T2_jT3_P12ihipStream_tbPNSt15iterator_traitsISE_E10value_typeEPNSK_ISF_E10value_typeEPSG_NS1_7vsmem_tEENKUlT_SE_SF_SG_E_clIS8_S8_S9_S9_EESD_ST_SE_SF_SG_EUlST_E0_NS1_11comp_targetILNS1_3genE2ELNS1_11target_archE906ELNS1_3gpuE6ELNS1_3repE0EEENS1_38merge_mergepath_config_static_selectorELNS0_4arch9wavefront6targetE1EEEvSF_
	.globl	_ZN7rocprim17ROCPRIM_400000_NS6detail17trampoline_kernelINS0_14default_configENS1_38merge_sort_block_merge_config_selectorIsNS0_10empty_typeEEEZZNS1_27merge_sort_block_merge_implIS3_PsPS5_jNS1_19radix_merge_compareILb1ELb1EsNS0_19identity_decomposerEEEEE10hipError_tT0_T1_T2_jT3_P12ihipStream_tbPNSt15iterator_traitsISE_E10value_typeEPNSK_ISF_E10value_typeEPSG_NS1_7vsmem_tEENKUlT_SE_SF_SG_E_clIS8_S8_S9_S9_EESD_ST_SE_SF_SG_EUlST_E0_NS1_11comp_targetILNS1_3genE2ELNS1_11target_archE906ELNS1_3gpuE6ELNS1_3repE0EEENS1_38merge_mergepath_config_static_selectorELNS0_4arch9wavefront6targetE1EEEvSF_
	.p2align	8
	.type	_ZN7rocprim17ROCPRIM_400000_NS6detail17trampoline_kernelINS0_14default_configENS1_38merge_sort_block_merge_config_selectorIsNS0_10empty_typeEEEZZNS1_27merge_sort_block_merge_implIS3_PsPS5_jNS1_19radix_merge_compareILb1ELb1EsNS0_19identity_decomposerEEEEE10hipError_tT0_T1_T2_jT3_P12ihipStream_tbPNSt15iterator_traitsISE_E10value_typeEPNSK_ISF_E10value_typeEPSG_NS1_7vsmem_tEENKUlT_SE_SF_SG_E_clIS8_S8_S9_S9_EESD_ST_SE_SF_SG_EUlST_E0_NS1_11comp_targetILNS1_3genE2ELNS1_11target_archE906ELNS1_3gpuE6ELNS1_3repE0EEENS1_38merge_mergepath_config_static_selectorELNS0_4arch9wavefront6targetE1EEEvSF_,@function
_ZN7rocprim17ROCPRIM_400000_NS6detail17trampoline_kernelINS0_14default_configENS1_38merge_sort_block_merge_config_selectorIsNS0_10empty_typeEEEZZNS1_27merge_sort_block_merge_implIS3_PsPS5_jNS1_19radix_merge_compareILb1ELb1EsNS0_19identity_decomposerEEEEE10hipError_tT0_T1_T2_jT3_P12ihipStream_tbPNSt15iterator_traitsISE_E10value_typeEPNSK_ISF_E10value_typeEPSG_NS1_7vsmem_tEENKUlT_SE_SF_SG_E_clIS8_S8_S9_S9_EESD_ST_SE_SF_SG_EUlST_E0_NS1_11comp_targetILNS1_3genE2ELNS1_11target_archE906ELNS1_3gpuE6ELNS1_3repE0EEENS1_38merge_mergepath_config_static_selectorELNS0_4arch9wavefront6targetE1EEEvSF_: ; @_ZN7rocprim17ROCPRIM_400000_NS6detail17trampoline_kernelINS0_14default_configENS1_38merge_sort_block_merge_config_selectorIsNS0_10empty_typeEEEZZNS1_27merge_sort_block_merge_implIS3_PsPS5_jNS1_19radix_merge_compareILb1ELb1EsNS0_19identity_decomposerEEEEE10hipError_tT0_T1_T2_jT3_P12ihipStream_tbPNSt15iterator_traitsISE_E10value_typeEPNSK_ISF_E10value_typeEPSG_NS1_7vsmem_tEENKUlT_SE_SF_SG_E_clIS8_S8_S9_S9_EESD_ST_SE_SF_SG_EUlST_E0_NS1_11comp_targetILNS1_3genE2ELNS1_11target_archE906ELNS1_3gpuE6ELNS1_3repE0EEENS1_38merge_mergepath_config_static_selectorELNS0_4arch9wavefront6targetE1EEEvSF_
; %bb.0:
	.section	.rodata,"a",@progbits
	.p2align	6, 0x0
	.amdhsa_kernel _ZN7rocprim17ROCPRIM_400000_NS6detail17trampoline_kernelINS0_14default_configENS1_38merge_sort_block_merge_config_selectorIsNS0_10empty_typeEEEZZNS1_27merge_sort_block_merge_implIS3_PsPS5_jNS1_19radix_merge_compareILb1ELb1EsNS0_19identity_decomposerEEEEE10hipError_tT0_T1_T2_jT3_P12ihipStream_tbPNSt15iterator_traitsISE_E10value_typeEPNSK_ISF_E10value_typeEPSG_NS1_7vsmem_tEENKUlT_SE_SF_SG_E_clIS8_S8_S9_S9_EESD_ST_SE_SF_SG_EUlST_E0_NS1_11comp_targetILNS1_3genE2ELNS1_11target_archE906ELNS1_3gpuE6ELNS1_3repE0EEENS1_38merge_mergepath_config_static_selectorELNS0_4arch9wavefront6targetE1EEEvSF_
		.amdhsa_group_segment_fixed_size 0
		.amdhsa_private_segment_fixed_size 0
		.amdhsa_kernarg_size 64
		.amdhsa_user_sgpr_count 6
		.amdhsa_user_sgpr_private_segment_buffer 1
		.amdhsa_user_sgpr_dispatch_ptr 0
		.amdhsa_user_sgpr_queue_ptr 0
		.amdhsa_user_sgpr_kernarg_segment_ptr 1
		.amdhsa_user_sgpr_dispatch_id 0
		.amdhsa_user_sgpr_flat_scratch_init 0
		.amdhsa_user_sgpr_kernarg_preload_length 0
		.amdhsa_user_sgpr_kernarg_preload_offset 0
		.amdhsa_user_sgpr_private_segment_size 0
		.amdhsa_uses_dynamic_stack 0
		.amdhsa_system_sgpr_private_segment_wavefront_offset 0
		.amdhsa_system_sgpr_workgroup_id_x 1
		.amdhsa_system_sgpr_workgroup_id_y 0
		.amdhsa_system_sgpr_workgroup_id_z 0
		.amdhsa_system_sgpr_workgroup_info 0
		.amdhsa_system_vgpr_workitem_id 0
		.amdhsa_next_free_vgpr 1
		.amdhsa_next_free_sgpr 0
		.amdhsa_accum_offset 4
		.amdhsa_reserve_vcc 0
		.amdhsa_reserve_flat_scratch 0
		.amdhsa_float_round_mode_32 0
		.amdhsa_float_round_mode_16_64 0
		.amdhsa_float_denorm_mode_32 3
		.amdhsa_float_denorm_mode_16_64 3
		.amdhsa_dx10_clamp 1
		.amdhsa_ieee_mode 1
		.amdhsa_fp16_overflow 0
		.amdhsa_tg_split 0
		.amdhsa_exception_fp_ieee_invalid_op 0
		.amdhsa_exception_fp_denorm_src 0
		.amdhsa_exception_fp_ieee_div_zero 0
		.amdhsa_exception_fp_ieee_overflow 0
		.amdhsa_exception_fp_ieee_underflow 0
		.amdhsa_exception_fp_ieee_inexact 0
		.amdhsa_exception_int_div_zero 0
	.end_amdhsa_kernel
	.section	.text._ZN7rocprim17ROCPRIM_400000_NS6detail17trampoline_kernelINS0_14default_configENS1_38merge_sort_block_merge_config_selectorIsNS0_10empty_typeEEEZZNS1_27merge_sort_block_merge_implIS3_PsPS5_jNS1_19radix_merge_compareILb1ELb1EsNS0_19identity_decomposerEEEEE10hipError_tT0_T1_T2_jT3_P12ihipStream_tbPNSt15iterator_traitsISE_E10value_typeEPNSK_ISF_E10value_typeEPSG_NS1_7vsmem_tEENKUlT_SE_SF_SG_E_clIS8_S8_S9_S9_EESD_ST_SE_SF_SG_EUlST_E0_NS1_11comp_targetILNS1_3genE2ELNS1_11target_archE906ELNS1_3gpuE6ELNS1_3repE0EEENS1_38merge_mergepath_config_static_selectorELNS0_4arch9wavefront6targetE1EEEvSF_,"axG",@progbits,_ZN7rocprim17ROCPRIM_400000_NS6detail17trampoline_kernelINS0_14default_configENS1_38merge_sort_block_merge_config_selectorIsNS0_10empty_typeEEEZZNS1_27merge_sort_block_merge_implIS3_PsPS5_jNS1_19radix_merge_compareILb1ELb1EsNS0_19identity_decomposerEEEEE10hipError_tT0_T1_T2_jT3_P12ihipStream_tbPNSt15iterator_traitsISE_E10value_typeEPNSK_ISF_E10value_typeEPSG_NS1_7vsmem_tEENKUlT_SE_SF_SG_E_clIS8_S8_S9_S9_EESD_ST_SE_SF_SG_EUlST_E0_NS1_11comp_targetILNS1_3genE2ELNS1_11target_archE906ELNS1_3gpuE6ELNS1_3repE0EEENS1_38merge_mergepath_config_static_selectorELNS0_4arch9wavefront6targetE1EEEvSF_,comdat
.Lfunc_end1797:
	.size	_ZN7rocprim17ROCPRIM_400000_NS6detail17trampoline_kernelINS0_14default_configENS1_38merge_sort_block_merge_config_selectorIsNS0_10empty_typeEEEZZNS1_27merge_sort_block_merge_implIS3_PsPS5_jNS1_19radix_merge_compareILb1ELb1EsNS0_19identity_decomposerEEEEE10hipError_tT0_T1_T2_jT3_P12ihipStream_tbPNSt15iterator_traitsISE_E10value_typeEPNSK_ISF_E10value_typeEPSG_NS1_7vsmem_tEENKUlT_SE_SF_SG_E_clIS8_S8_S9_S9_EESD_ST_SE_SF_SG_EUlST_E0_NS1_11comp_targetILNS1_3genE2ELNS1_11target_archE906ELNS1_3gpuE6ELNS1_3repE0EEENS1_38merge_mergepath_config_static_selectorELNS0_4arch9wavefront6targetE1EEEvSF_, .Lfunc_end1797-_ZN7rocprim17ROCPRIM_400000_NS6detail17trampoline_kernelINS0_14default_configENS1_38merge_sort_block_merge_config_selectorIsNS0_10empty_typeEEEZZNS1_27merge_sort_block_merge_implIS3_PsPS5_jNS1_19radix_merge_compareILb1ELb1EsNS0_19identity_decomposerEEEEE10hipError_tT0_T1_T2_jT3_P12ihipStream_tbPNSt15iterator_traitsISE_E10value_typeEPNSK_ISF_E10value_typeEPSG_NS1_7vsmem_tEENKUlT_SE_SF_SG_E_clIS8_S8_S9_S9_EESD_ST_SE_SF_SG_EUlST_E0_NS1_11comp_targetILNS1_3genE2ELNS1_11target_archE906ELNS1_3gpuE6ELNS1_3repE0EEENS1_38merge_mergepath_config_static_selectorELNS0_4arch9wavefront6targetE1EEEvSF_
                                        ; -- End function
	.section	.AMDGPU.csdata,"",@progbits
; Kernel info:
; codeLenInByte = 0
; NumSgprs: 4
; NumVgprs: 0
; NumAgprs: 0
; TotalNumVgprs: 0
; ScratchSize: 0
; MemoryBound: 0
; FloatMode: 240
; IeeeMode: 1
; LDSByteSize: 0 bytes/workgroup (compile time only)
; SGPRBlocks: 0
; VGPRBlocks: 0
; NumSGPRsForWavesPerEU: 4
; NumVGPRsForWavesPerEU: 1
; AccumOffset: 4
; Occupancy: 8
; WaveLimiterHint : 0
; COMPUTE_PGM_RSRC2:SCRATCH_EN: 0
; COMPUTE_PGM_RSRC2:USER_SGPR: 6
; COMPUTE_PGM_RSRC2:TRAP_HANDLER: 0
; COMPUTE_PGM_RSRC2:TGID_X_EN: 1
; COMPUTE_PGM_RSRC2:TGID_Y_EN: 0
; COMPUTE_PGM_RSRC2:TGID_Z_EN: 0
; COMPUTE_PGM_RSRC2:TIDIG_COMP_CNT: 0
; COMPUTE_PGM_RSRC3_GFX90A:ACCUM_OFFSET: 0
; COMPUTE_PGM_RSRC3_GFX90A:TG_SPLIT: 0
	.section	.text._ZN7rocprim17ROCPRIM_400000_NS6detail17trampoline_kernelINS0_14default_configENS1_38merge_sort_block_merge_config_selectorIsNS0_10empty_typeEEEZZNS1_27merge_sort_block_merge_implIS3_PsPS5_jNS1_19radix_merge_compareILb1ELb1EsNS0_19identity_decomposerEEEEE10hipError_tT0_T1_T2_jT3_P12ihipStream_tbPNSt15iterator_traitsISE_E10value_typeEPNSK_ISF_E10value_typeEPSG_NS1_7vsmem_tEENKUlT_SE_SF_SG_E_clIS8_S8_S9_S9_EESD_ST_SE_SF_SG_EUlST_E0_NS1_11comp_targetILNS1_3genE9ELNS1_11target_archE1100ELNS1_3gpuE3ELNS1_3repE0EEENS1_38merge_mergepath_config_static_selectorELNS0_4arch9wavefront6targetE1EEEvSF_,"axG",@progbits,_ZN7rocprim17ROCPRIM_400000_NS6detail17trampoline_kernelINS0_14default_configENS1_38merge_sort_block_merge_config_selectorIsNS0_10empty_typeEEEZZNS1_27merge_sort_block_merge_implIS3_PsPS5_jNS1_19radix_merge_compareILb1ELb1EsNS0_19identity_decomposerEEEEE10hipError_tT0_T1_T2_jT3_P12ihipStream_tbPNSt15iterator_traitsISE_E10value_typeEPNSK_ISF_E10value_typeEPSG_NS1_7vsmem_tEENKUlT_SE_SF_SG_E_clIS8_S8_S9_S9_EESD_ST_SE_SF_SG_EUlST_E0_NS1_11comp_targetILNS1_3genE9ELNS1_11target_archE1100ELNS1_3gpuE3ELNS1_3repE0EEENS1_38merge_mergepath_config_static_selectorELNS0_4arch9wavefront6targetE1EEEvSF_,comdat
	.protected	_ZN7rocprim17ROCPRIM_400000_NS6detail17trampoline_kernelINS0_14default_configENS1_38merge_sort_block_merge_config_selectorIsNS0_10empty_typeEEEZZNS1_27merge_sort_block_merge_implIS3_PsPS5_jNS1_19radix_merge_compareILb1ELb1EsNS0_19identity_decomposerEEEEE10hipError_tT0_T1_T2_jT3_P12ihipStream_tbPNSt15iterator_traitsISE_E10value_typeEPNSK_ISF_E10value_typeEPSG_NS1_7vsmem_tEENKUlT_SE_SF_SG_E_clIS8_S8_S9_S9_EESD_ST_SE_SF_SG_EUlST_E0_NS1_11comp_targetILNS1_3genE9ELNS1_11target_archE1100ELNS1_3gpuE3ELNS1_3repE0EEENS1_38merge_mergepath_config_static_selectorELNS0_4arch9wavefront6targetE1EEEvSF_ ; -- Begin function _ZN7rocprim17ROCPRIM_400000_NS6detail17trampoline_kernelINS0_14default_configENS1_38merge_sort_block_merge_config_selectorIsNS0_10empty_typeEEEZZNS1_27merge_sort_block_merge_implIS3_PsPS5_jNS1_19radix_merge_compareILb1ELb1EsNS0_19identity_decomposerEEEEE10hipError_tT0_T1_T2_jT3_P12ihipStream_tbPNSt15iterator_traitsISE_E10value_typeEPNSK_ISF_E10value_typeEPSG_NS1_7vsmem_tEENKUlT_SE_SF_SG_E_clIS8_S8_S9_S9_EESD_ST_SE_SF_SG_EUlST_E0_NS1_11comp_targetILNS1_3genE9ELNS1_11target_archE1100ELNS1_3gpuE3ELNS1_3repE0EEENS1_38merge_mergepath_config_static_selectorELNS0_4arch9wavefront6targetE1EEEvSF_
	.globl	_ZN7rocprim17ROCPRIM_400000_NS6detail17trampoline_kernelINS0_14default_configENS1_38merge_sort_block_merge_config_selectorIsNS0_10empty_typeEEEZZNS1_27merge_sort_block_merge_implIS3_PsPS5_jNS1_19radix_merge_compareILb1ELb1EsNS0_19identity_decomposerEEEEE10hipError_tT0_T1_T2_jT3_P12ihipStream_tbPNSt15iterator_traitsISE_E10value_typeEPNSK_ISF_E10value_typeEPSG_NS1_7vsmem_tEENKUlT_SE_SF_SG_E_clIS8_S8_S9_S9_EESD_ST_SE_SF_SG_EUlST_E0_NS1_11comp_targetILNS1_3genE9ELNS1_11target_archE1100ELNS1_3gpuE3ELNS1_3repE0EEENS1_38merge_mergepath_config_static_selectorELNS0_4arch9wavefront6targetE1EEEvSF_
	.p2align	8
	.type	_ZN7rocprim17ROCPRIM_400000_NS6detail17trampoline_kernelINS0_14default_configENS1_38merge_sort_block_merge_config_selectorIsNS0_10empty_typeEEEZZNS1_27merge_sort_block_merge_implIS3_PsPS5_jNS1_19radix_merge_compareILb1ELb1EsNS0_19identity_decomposerEEEEE10hipError_tT0_T1_T2_jT3_P12ihipStream_tbPNSt15iterator_traitsISE_E10value_typeEPNSK_ISF_E10value_typeEPSG_NS1_7vsmem_tEENKUlT_SE_SF_SG_E_clIS8_S8_S9_S9_EESD_ST_SE_SF_SG_EUlST_E0_NS1_11comp_targetILNS1_3genE9ELNS1_11target_archE1100ELNS1_3gpuE3ELNS1_3repE0EEENS1_38merge_mergepath_config_static_selectorELNS0_4arch9wavefront6targetE1EEEvSF_,@function
_ZN7rocprim17ROCPRIM_400000_NS6detail17trampoline_kernelINS0_14default_configENS1_38merge_sort_block_merge_config_selectorIsNS0_10empty_typeEEEZZNS1_27merge_sort_block_merge_implIS3_PsPS5_jNS1_19radix_merge_compareILb1ELb1EsNS0_19identity_decomposerEEEEE10hipError_tT0_T1_T2_jT3_P12ihipStream_tbPNSt15iterator_traitsISE_E10value_typeEPNSK_ISF_E10value_typeEPSG_NS1_7vsmem_tEENKUlT_SE_SF_SG_E_clIS8_S8_S9_S9_EESD_ST_SE_SF_SG_EUlST_E0_NS1_11comp_targetILNS1_3genE9ELNS1_11target_archE1100ELNS1_3gpuE3ELNS1_3repE0EEENS1_38merge_mergepath_config_static_selectorELNS0_4arch9wavefront6targetE1EEEvSF_: ; @_ZN7rocprim17ROCPRIM_400000_NS6detail17trampoline_kernelINS0_14default_configENS1_38merge_sort_block_merge_config_selectorIsNS0_10empty_typeEEEZZNS1_27merge_sort_block_merge_implIS3_PsPS5_jNS1_19radix_merge_compareILb1ELb1EsNS0_19identity_decomposerEEEEE10hipError_tT0_T1_T2_jT3_P12ihipStream_tbPNSt15iterator_traitsISE_E10value_typeEPNSK_ISF_E10value_typeEPSG_NS1_7vsmem_tEENKUlT_SE_SF_SG_E_clIS8_S8_S9_S9_EESD_ST_SE_SF_SG_EUlST_E0_NS1_11comp_targetILNS1_3genE9ELNS1_11target_archE1100ELNS1_3gpuE3ELNS1_3repE0EEENS1_38merge_mergepath_config_static_selectorELNS0_4arch9wavefront6targetE1EEEvSF_
; %bb.0:
	.section	.rodata,"a",@progbits
	.p2align	6, 0x0
	.amdhsa_kernel _ZN7rocprim17ROCPRIM_400000_NS6detail17trampoline_kernelINS0_14default_configENS1_38merge_sort_block_merge_config_selectorIsNS0_10empty_typeEEEZZNS1_27merge_sort_block_merge_implIS3_PsPS5_jNS1_19radix_merge_compareILb1ELb1EsNS0_19identity_decomposerEEEEE10hipError_tT0_T1_T2_jT3_P12ihipStream_tbPNSt15iterator_traitsISE_E10value_typeEPNSK_ISF_E10value_typeEPSG_NS1_7vsmem_tEENKUlT_SE_SF_SG_E_clIS8_S8_S9_S9_EESD_ST_SE_SF_SG_EUlST_E0_NS1_11comp_targetILNS1_3genE9ELNS1_11target_archE1100ELNS1_3gpuE3ELNS1_3repE0EEENS1_38merge_mergepath_config_static_selectorELNS0_4arch9wavefront6targetE1EEEvSF_
		.amdhsa_group_segment_fixed_size 0
		.amdhsa_private_segment_fixed_size 0
		.amdhsa_kernarg_size 64
		.amdhsa_user_sgpr_count 6
		.amdhsa_user_sgpr_private_segment_buffer 1
		.amdhsa_user_sgpr_dispatch_ptr 0
		.amdhsa_user_sgpr_queue_ptr 0
		.amdhsa_user_sgpr_kernarg_segment_ptr 1
		.amdhsa_user_sgpr_dispatch_id 0
		.amdhsa_user_sgpr_flat_scratch_init 0
		.amdhsa_user_sgpr_kernarg_preload_length 0
		.amdhsa_user_sgpr_kernarg_preload_offset 0
		.amdhsa_user_sgpr_private_segment_size 0
		.amdhsa_uses_dynamic_stack 0
		.amdhsa_system_sgpr_private_segment_wavefront_offset 0
		.amdhsa_system_sgpr_workgroup_id_x 1
		.amdhsa_system_sgpr_workgroup_id_y 0
		.amdhsa_system_sgpr_workgroup_id_z 0
		.amdhsa_system_sgpr_workgroup_info 0
		.amdhsa_system_vgpr_workitem_id 0
		.amdhsa_next_free_vgpr 1
		.amdhsa_next_free_sgpr 0
		.amdhsa_accum_offset 4
		.amdhsa_reserve_vcc 0
		.amdhsa_reserve_flat_scratch 0
		.amdhsa_float_round_mode_32 0
		.amdhsa_float_round_mode_16_64 0
		.amdhsa_float_denorm_mode_32 3
		.amdhsa_float_denorm_mode_16_64 3
		.amdhsa_dx10_clamp 1
		.amdhsa_ieee_mode 1
		.amdhsa_fp16_overflow 0
		.amdhsa_tg_split 0
		.amdhsa_exception_fp_ieee_invalid_op 0
		.amdhsa_exception_fp_denorm_src 0
		.amdhsa_exception_fp_ieee_div_zero 0
		.amdhsa_exception_fp_ieee_overflow 0
		.amdhsa_exception_fp_ieee_underflow 0
		.amdhsa_exception_fp_ieee_inexact 0
		.amdhsa_exception_int_div_zero 0
	.end_amdhsa_kernel
	.section	.text._ZN7rocprim17ROCPRIM_400000_NS6detail17trampoline_kernelINS0_14default_configENS1_38merge_sort_block_merge_config_selectorIsNS0_10empty_typeEEEZZNS1_27merge_sort_block_merge_implIS3_PsPS5_jNS1_19radix_merge_compareILb1ELb1EsNS0_19identity_decomposerEEEEE10hipError_tT0_T1_T2_jT3_P12ihipStream_tbPNSt15iterator_traitsISE_E10value_typeEPNSK_ISF_E10value_typeEPSG_NS1_7vsmem_tEENKUlT_SE_SF_SG_E_clIS8_S8_S9_S9_EESD_ST_SE_SF_SG_EUlST_E0_NS1_11comp_targetILNS1_3genE9ELNS1_11target_archE1100ELNS1_3gpuE3ELNS1_3repE0EEENS1_38merge_mergepath_config_static_selectorELNS0_4arch9wavefront6targetE1EEEvSF_,"axG",@progbits,_ZN7rocprim17ROCPRIM_400000_NS6detail17trampoline_kernelINS0_14default_configENS1_38merge_sort_block_merge_config_selectorIsNS0_10empty_typeEEEZZNS1_27merge_sort_block_merge_implIS3_PsPS5_jNS1_19radix_merge_compareILb1ELb1EsNS0_19identity_decomposerEEEEE10hipError_tT0_T1_T2_jT3_P12ihipStream_tbPNSt15iterator_traitsISE_E10value_typeEPNSK_ISF_E10value_typeEPSG_NS1_7vsmem_tEENKUlT_SE_SF_SG_E_clIS8_S8_S9_S9_EESD_ST_SE_SF_SG_EUlST_E0_NS1_11comp_targetILNS1_3genE9ELNS1_11target_archE1100ELNS1_3gpuE3ELNS1_3repE0EEENS1_38merge_mergepath_config_static_selectorELNS0_4arch9wavefront6targetE1EEEvSF_,comdat
.Lfunc_end1798:
	.size	_ZN7rocprim17ROCPRIM_400000_NS6detail17trampoline_kernelINS0_14default_configENS1_38merge_sort_block_merge_config_selectorIsNS0_10empty_typeEEEZZNS1_27merge_sort_block_merge_implIS3_PsPS5_jNS1_19radix_merge_compareILb1ELb1EsNS0_19identity_decomposerEEEEE10hipError_tT0_T1_T2_jT3_P12ihipStream_tbPNSt15iterator_traitsISE_E10value_typeEPNSK_ISF_E10value_typeEPSG_NS1_7vsmem_tEENKUlT_SE_SF_SG_E_clIS8_S8_S9_S9_EESD_ST_SE_SF_SG_EUlST_E0_NS1_11comp_targetILNS1_3genE9ELNS1_11target_archE1100ELNS1_3gpuE3ELNS1_3repE0EEENS1_38merge_mergepath_config_static_selectorELNS0_4arch9wavefront6targetE1EEEvSF_, .Lfunc_end1798-_ZN7rocprim17ROCPRIM_400000_NS6detail17trampoline_kernelINS0_14default_configENS1_38merge_sort_block_merge_config_selectorIsNS0_10empty_typeEEEZZNS1_27merge_sort_block_merge_implIS3_PsPS5_jNS1_19radix_merge_compareILb1ELb1EsNS0_19identity_decomposerEEEEE10hipError_tT0_T1_T2_jT3_P12ihipStream_tbPNSt15iterator_traitsISE_E10value_typeEPNSK_ISF_E10value_typeEPSG_NS1_7vsmem_tEENKUlT_SE_SF_SG_E_clIS8_S8_S9_S9_EESD_ST_SE_SF_SG_EUlST_E0_NS1_11comp_targetILNS1_3genE9ELNS1_11target_archE1100ELNS1_3gpuE3ELNS1_3repE0EEENS1_38merge_mergepath_config_static_selectorELNS0_4arch9wavefront6targetE1EEEvSF_
                                        ; -- End function
	.section	.AMDGPU.csdata,"",@progbits
; Kernel info:
; codeLenInByte = 0
; NumSgprs: 4
; NumVgprs: 0
; NumAgprs: 0
; TotalNumVgprs: 0
; ScratchSize: 0
; MemoryBound: 0
; FloatMode: 240
; IeeeMode: 1
; LDSByteSize: 0 bytes/workgroup (compile time only)
; SGPRBlocks: 0
; VGPRBlocks: 0
; NumSGPRsForWavesPerEU: 4
; NumVGPRsForWavesPerEU: 1
; AccumOffset: 4
; Occupancy: 8
; WaveLimiterHint : 0
; COMPUTE_PGM_RSRC2:SCRATCH_EN: 0
; COMPUTE_PGM_RSRC2:USER_SGPR: 6
; COMPUTE_PGM_RSRC2:TRAP_HANDLER: 0
; COMPUTE_PGM_RSRC2:TGID_X_EN: 1
; COMPUTE_PGM_RSRC2:TGID_Y_EN: 0
; COMPUTE_PGM_RSRC2:TGID_Z_EN: 0
; COMPUTE_PGM_RSRC2:TIDIG_COMP_CNT: 0
; COMPUTE_PGM_RSRC3_GFX90A:ACCUM_OFFSET: 0
; COMPUTE_PGM_RSRC3_GFX90A:TG_SPLIT: 0
	.section	.text._ZN7rocprim17ROCPRIM_400000_NS6detail17trampoline_kernelINS0_14default_configENS1_38merge_sort_block_merge_config_selectorIsNS0_10empty_typeEEEZZNS1_27merge_sort_block_merge_implIS3_PsPS5_jNS1_19radix_merge_compareILb1ELb1EsNS0_19identity_decomposerEEEEE10hipError_tT0_T1_T2_jT3_P12ihipStream_tbPNSt15iterator_traitsISE_E10value_typeEPNSK_ISF_E10value_typeEPSG_NS1_7vsmem_tEENKUlT_SE_SF_SG_E_clIS8_S8_S9_S9_EESD_ST_SE_SF_SG_EUlST_E0_NS1_11comp_targetILNS1_3genE8ELNS1_11target_archE1030ELNS1_3gpuE2ELNS1_3repE0EEENS1_38merge_mergepath_config_static_selectorELNS0_4arch9wavefront6targetE1EEEvSF_,"axG",@progbits,_ZN7rocprim17ROCPRIM_400000_NS6detail17trampoline_kernelINS0_14default_configENS1_38merge_sort_block_merge_config_selectorIsNS0_10empty_typeEEEZZNS1_27merge_sort_block_merge_implIS3_PsPS5_jNS1_19radix_merge_compareILb1ELb1EsNS0_19identity_decomposerEEEEE10hipError_tT0_T1_T2_jT3_P12ihipStream_tbPNSt15iterator_traitsISE_E10value_typeEPNSK_ISF_E10value_typeEPSG_NS1_7vsmem_tEENKUlT_SE_SF_SG_E_clIS8_S8_S9_S9_EESD_ST_SE_SF_SG_EUlST_E0_NS1_11comp_targetILNS1_3genE8ELNS1_11target_archE1030ELNS1_3gpuE2ELNS1_3repE0EEENS1_38merge_mergepath_config_static_selectorELNS0_4arch9wavefront6targetE1EEEvSF_,comdat
	.protected	_ZN7rocprim17ROCPRIM_400000_NS6detail17trampoline_kernelINS0_14default_configENS1_38merge_sort_block_merge_config_selectorIsNS0_10empty_typeEEEZZNS1_27merge_sort_block_merge_implIS3_PsPS5_jNS1_19radix_merge_compareILb1ELb1EsNS0_19identity_decomposerEEEEE10hipError_tT0_T1_T2_jT3_P12ihipStream_tbPNSt15iterator_traitsISE_E10value_typeEPNSK_ISF_E10value_typeEPSG_NS1_7vsmem_tEENKUlT_SE_SF_SG_E_clIS8_S8_S9_S9_EESD_ST_SE_SF_SG_EUlST_E0_NS1_11comp_targetILNS1_3genE8ELNS1_11target_archE1030ELNS1_3gpuE2ELNS1_3repE0EEENS1_38merge_mergepath_config_static_selectorELNS0_4arch9wavefront6targetE1EEEvSF_ ; -- Begin function _ZN7rocprim17ROCPRIM_400000_NS6detail17trampoline_kernelINS0_14default_configENS1_38merge_sort_block_merge_config_selectorIsNS0_10empty_typeEEEZZNS1_27merge_sort_block_merge_implIS3_PsPS5_jNS1_19radix_merge_compareILb1ELb1EsNS0_19identity_decomposerEEEEE10hipError_tT0_T1_T2_jT3_P12ihipStream_tbPNSt15iterator_traitsISE_E10value_typeEPNSK_ISF_E10value_typeEPSG_NS1_7vsmem_tEENKUlT_SE_SF_SG_E_clIS8_S8_S9_S9_EESD_ST_SE_SF_SG_EUlST_E0_NS1_11comp_targetILNS1_3genE8ELNS1_11target_archE1030ELNS1_3gpuE2ELNS1_3repE0EEENS1_38merge_mergepath_config_static_selectorELNS0_4arch9wavefront6targetE1EEEvSF_
	.globl	_ZN7rocprim17ROCPRIM_400000_NS6detail17trampoline_kernelINS0_14default_configENS1_38merge_sort_block_merge_config_selectorIsNS0_10empty_typeEEEZZNS1_27merge_sort_block_merge_implIS3_PsPS5_jNS1_19radix_merge_compareILb1ELb1EsNS0_19identity_decomposerEEEEE10hipError_tT0_T1_T2_jT3_P12ihipStream_tbPNSt15iterator_traitsISE_E10value_typeEPNSK_ISF_E10value_typeEPSG_NS1_7vsmem_tEENKUlT_SE_SF_SG_E_clIS8_S8_S9_S9_EESD_ST_SE_SF_SG_EUlST_E0_NS1_11comp_targetILNS1_3genE8ELNS1_11target_archE1030ELNS1_3gpuE2ELNS1_3repE0EEENS1_38merge_mergepath_config_static_selectorELNS0_4arch9wavefront6targetE1EEEvSF_
	.p2align	8
	.type	_ZN7rocprim17ROCPRIM_400000_NS6detail17trampoline_kernelINS0_14default_configENS1_38merge_sort_block_merge_config_selectorIsNS0_10empty_typeEEEZZNS1_27merge_sort_block_merge_implIS3_PsPS5_jNS1_19radix_merge_compareILb1ELb1EsNS0_19identity_decomposerEEEEE10hipError_tT0_T1_T2_jT3_P12ihipStream_tbPNSt15iterator_traitsISE_E10value_typeEPNSK_ISF_E10value_typeEPSG_NS1_7vsmem_tEENKUlT_SE_SF_SG_E_clIS8_S8_S9_S9_EESD_ST_SE_SF_SG_EUlST_E0_NS1_11comp_targetILNS1_3genE8ELNS1_11target_archE1030ELNS1_3gpuE2ELNS1_3repE0EEENS1_38merge_mergepath_config_static_selectorELNS0_4arch9wavefront6targetE1EEEvSF_,@function
_ZN7rocprim17ROCPRIM_400000_NS6detail17trampoline_kernelINS0_14default_configENS1_38merge_sort_block_merge_config_selectorIsNS0_10empty_typeEEEZZNS1_27merge_sort_block_merge_implIS3_PsPS5_jNS1_19radix_merge_compareILb1ELb1EsNS0_19identity_decomposerEEEEE10hipError_tT0_T1_T2_jT3_P12ihipStream_tbPNSt15iterator_traitsISE_E10value_typeEPNSK_ISF_E10value_typeEPSG_NS1_7vsmem_tEENKUlT_SE_SF_SG_E_clIS8_S8_S9_S9_EESD_ST_SE_SF_SG_EUlST_E0_NS1_11comp_targetILNS1_3genE8ELNS1_11target_archE1030ELNS1_3gpuE2ELNS1_3repE0EEENS1_38merge_mergepath_config_static_selectorELNS0_4arch9wavefront6targetE1EEEvSF_: ; @_ZN7rocprim17ROCPRIM_400000_NS6detail17trampoline_kernelINS0_14default_configENS1_38merge_sort_block_merge_config_selectorIsNS0_10empty_typeEEEZZNS1_27merge_sort_block_merge_implIS3_PsPS5_jNS1_19radix_merge_compareILb1ELb1EsNS0_19identity_decomposerEEEEE10hipError_tT0_T1_T2_jT3_P12ihipStream_tbPNSt15iterator_traitsISE_E10value_typeEPNSK_ISF_E10value_typeEPSG_NS1_7vsmem_tEENKUlT_SE_SF_SG_E_clIS8_S8_S9_S9_EESD_ST_SE_SF_SG_EUlST_E0_NS1_11comp_targetILNS1_3genE8ELNS1_11target_archE1030ELNS1_3gpuE2ELNS1_3repE0EEENS1_38merge_mergepath_config_static_selectorELNS0_4arch9wavefront6targetE1EEEvSF_
; %bb.0:
	.section	.rodata,"a",@progbits
	.p2align	6, 0x0
	.amdhsa_kernel _ZN7rocprim17ROCPRIM_400000_NS6detail17trampoline_kernelINS0_14default_configENS1_38merge_sort_block_merge_config_selectorIsNS0_10empty_typeEEEZZNS1_27merge_sort_block_merge_implIS3_PsPS5_jNS1_19radix_merge_compareILb1ELb1EsNS0_19identity_decomposerEEEEE10hipError_tT0_T1_T2_jT3_P12ihipStream_tbPNSt15iterator_traitsISE_E10value_typeEPNSK_ISF_E10value_typeEPSG_NS1_7vsmem_tEENKUlT_SE_SF_SG_E_clIS8_S8_S9_S9_EESD_ST_SE_SF_SG_EUlST_E0_NS1_11comp_targetILNS1_3genE8ELNS1_11target_archE1030ELNS1_3gpuE2ELNS1_3repE0EEENS1_38merge_mergepath_config_static_selectorELNS0_4arch9wavefront6targetE1EEEvSF_
		.amdhsa_group_segment_fixed_size 0
		.amdhsa_private_segment_fixed_size 0
		.amdhsa_kernarg_size 64
		.amdhsa_user_sgpr_count 6
		.amdhsa_user_sgpr_private_segment_buffer 1
		.amdhsa_user_sgpr_dispatch_ptr 0
		.amdhsa_user_sgpr_queue_ptr 0
		.amdhsa_user_sgpr_kernarg_segment_ptr 1
		.amdhsa_user_sgpr_dispatch_id 0
		.amdhsa_user_sgpr_flat_scratch_init 0
		.amdhsa_user_sgpr_kernarg_preload_length 0
		.amdhsa_user_sgpr_kernarg_preload_offset 0
		.amdhsa_user_sgpr_private_segment_size 0
		.amdhsa_uses_dynamic_stack 0
		.amdhsa_system_sgpr_private_segment_wavefront_offset 0
		.amdhsa_system_sgpr_workgroup_id_x 1
		.amdhsa_system_sgpr_workgroup_id_y 0
		.amdhsa_system_sgpr_workgroup_id_z 0
		.amdhsa_system_sgpr_workgroup_info 0
		.amdhsa_system_vgpr_workitem_id 0
		.amdhsa_next_free_vgpr 1
		.amdhsa_next_free_sgpr 0
		.amdhsa_accum_offset 4
		.amdhsa_reserve_vcc 0
		.amdhsa_reserve_flat_scratch 0
		.amdhsa_float_round_mode_32 0
		.amdhsa_float_round_mode_16_64 0
		.amdhsa_float_denorm_mode_32 3
		.amdhsa_float_denorm_mode_16_64 3
		.amdhsa_dx10_clamp 1
		.amdhsa_ieee_mode 1
		.amdhsa_fp16_overflow 0
		.amdhsa_tg_split 0
		.amdhsa_exception_fp_ieee_invalid_op 0
		.amdhsa_exception_fp_denorm_src 0
		.amdhsa_exception_fp_ieee_div_zero 0
		.amdhsa_exception_fp_ieee_overflow 0
		.amdhsa_exception_fp_ieee_underflow 0
		.amdhsa_exception_fp_ieee_inexact 0
		.amdhsa_exception_int_div_zero 0
	.end_amdhsa_kernel
	.section	.text._ZN7rocprim17ROCPRIM_400000_NS6detail17trampoline_kernelINS0_14default_configENS1_38merge_sort_block_merge_config_selectorIsNS0_10empty_typeEEEZZNS1_27merge_sort_block_merge_implIS3_PsPS5_jNS1_19radix_merge_compareILb1ELb1EsNS0_19identity_decomposerEEEEE10hipError_tT0_T1_T2_jT3_P12ihipStream_tbPNSt15iterator_traitsISE_E10value_typeEPNSK_ISF_E10value_typeEPSG_NS1_7vsmem_tEENKUlT_SE_SF_SG_E_clIS8_S8_S9_S9_EESD_ST_SE_SF_SG_EUlST_E0_NS1_11comp_targetILNS1_3genE8ELNS1_11target_archE1030ELNS1_3gpuE2ELNS1_3repE0EEENS1_38merge_mergepath_config_static_selectorELNS0_4arch9wavefront6targetE1EEEvSF_,"axG",@progbits,_ZN7rocprim17ROCPRIM_400000_NS6detail17trampoline_kernelINS0_14default_configENS1_38merge_sort_block_merge_config_selectorIsNS0_10empty_typeEEEZZNS1_27merge_sort_block_merge_implIS3_PsPS5_jNS1_19radix_merge_compareILb1ELb1EsNS0_19identity_decomposerEEEEE10hipError_tT0_T1_T2_jT3_P12ihipStream_tbPNSt15iterator_traitsISE_E10value_typeEPNSK_ISF_E10value_typeEPSG_NS1_7vsmem_tEENKUlT_SE_SF_SG_E_clIS8_S8_S9_S9_EESD_ST_SE_SF_SG_EUlST_E0_NS1_11comp_targetILNS1_3genE8ELNS1_11target_archE1030ELNS1_3gpuE2ELNS1_3repE0EEENS1_38merge_mergepath_config_static_selectorELNS0_4arch9wavefront6targetE1EEEvSF_,comdat
.Lfunc_end1799:
	.size	_ZN7rocprim17ROCPRIM_400000_NS6detail17trampoline_kernelINS0_14default_configENS1_38merge_sort_block_merge_config_selectorIsNS0_10empty_typeEEEZZNS1_27merge_sort_block_merge_implIS3_PsPS5_jNS1_19radix_merge_compareILb1ELb1EsNS0_19identity_decomposerEEEEE10hipError_tT0_T1_T2_jT3_P12ihipStream_tbPNSt15iterator_traitsISE_E10value_typeEPNSK_ISF_E10value_typeEPSG_NS1_7vsmem_tEENKUlT_SE_SF_SG_E_clIS8_S8_S9_S9_EESD_ST_SE_SF_SG_EUlST_E0_NS1_11comp_targetILNS1_3genE8ELNS1_11target_archE1030ELNS1_3gpuE2ELNS1_3repE0EEENS1_38merge_mergepath_config_static_selectorELNS0_4arch9wavefront6targetE1EEEvSF_, .Lfunc_end1799-_ZN7rocprim17ROCPRIM_400000_NS6detail17trampoline_kernelINS0_14default_configENS1_38merge_sort_block_merge_config_selectorIsNS0_10empty_typeEEEZZNS1_27merge_sort_block_merge_implIS3_PsPS5_jNS1_19radix_merge_compareILb1ELb1EsNS0_19identity_decomposerEEEEE10hipError_tT0_T1_T2_jT3_P12ihipStream_tbPNSt15iterator_traitsISE_E10value_typeEPNSK_ISF_E10value_typeEPSG_NS1_7vsmem_tEENKUlT_SE_SF_SG_E_clIS8_S8_S9_S9_EESD_ST_SE_SF_SG_EUlST_E0_NS1_11comp_targetILNS1_3genE8ELNS1_11target_archE1030ELNS1_3gpuE2ELNS1_3repE0EEENS1_38merge_mergepath_config_static_selectorELNS0_4arch9wavefront6targetE1EEEvSF_
                                        ; -- End function
	.section	.AMDGPU.csdata,"",@progbits
; Kernel info:
; codeLenInByte = 0
; NumSgprs: 4
; NumVgprs: 0
; NumAgprs: 0
; TotalNumVgprs: 0
; ScratchSize: 0
; MemoryBound: 0
; FloatMode: 240
; IeeeMode: 1
; LDSByteSize: 0 bytes/workgroup (compile time only)
; SGPRBlocks: 0
; VGPRBlocks: 0
; NumSGPRsForWavesPerEU: 4
; NumVGPRsForWavesPerEU: 1
; AccumOffset: 4
; Occupancy: 8
; WaveLimiterHint : 0
; COMPUTE_PGM_RSRC2:SCRATCH_EN: 0
; COMPUTE_PGM_RSRC2:USER_SGPR: 6
; COMPUTE_PGM_RSRC2:TRAP_HANDLER: 0
; COMPUTE_PGM_RSRC2:TGID_X_EN: 1
; COMPUTE_PGM_RSRC2:TGID_Y_EN: 0
; COMPUTE_PGM_RSRC2:TGID_Z_EN: 0
; COMPUTE_PGM_RSRC2:TIDIG_COMP_CNT: 0
; COMPUTE_PGM_RSRC3_GFX90A:ACCUM_OFFSET: 0
; COMPUTE_PGM_RSRC3_GFX90A:TG_SPLIT: 0
	.section	.text._ZN7rocprim17ROCPRIM_400000_NS6detail17trampoline_kernelINS0_14default_configENS1_38merge_sort_block_merge_config_selectorIsNS0_10empty_typeEEEZZNS1_27merge_sort_block_merge_implIS3_PsPS5_jNS1_19radix_merge_compareILb1ELb1EsNS0_19identity_decomposerEEEEE10hipError_tT0_T1_T2_jT3_P12ihipStream_tbPNSt15iterator_traitsISE_E10value_typeEPNSK_ISF_E10value_typeEPSG_NS1_7vsmem_tEENKUlT_SE_SF_SG_E_clIS8_S8_S9_S9_EESD_ST_SE_SF_SG_EUlST_E1_NS1_11comp_targetILNS1_3genE0ELNS1_11target_archE4294967295ELNS1_3gpuE0ELNS1_3repE0EEENS1_36merge_oddeven_config_static_selectorELNS0_4arch9wavefront6targetE1EEEvSF_,"axG",@progbits,_ZN7rocprim17ROCPRIM_400000_NS6detail17trampoline_kernelINS0_14default_configENS1_38merge_sort_block_merge_config_selectorIsNS0_10empty_typeEEEZZNS1_27merge_sort_block_merge_implIS3_PsPS5_jNS1_19radix_merge_compareILb1ELb1EsNS0_19identity_decomposerEEEEE10hipError_tT0_T1_T2_jT3_P12ihipStream_tbPNSt15iterator_traitsISE_E10value_typeEPNSK_ISF_E10value_typeEPSG_NS1_7vsmem_tEENKUlT_SE_SF_SG_E_clIS8_S8_S9_S9_EESD_ST_SE_SF_SG_EUlST_E1_NS1_11comp_targetILNS1_3genE0ELNS1_11target_archE4294967295ELNS1_3gpuE0ELNS1_3repE0EEENS1_36merge_oddeven_config_static_selectorELNS0_4arch9wavefront6targetE1EEEvSF_,comdat
	.protected	_ZN7rocprim17ROCPRIM_400000_NS6detail17trampoline_kernelINS0_14default_configENS1_38merge_sort_block_merge_config_selectorIsNS0_10empty_typeEEEZZNS1_27merge_sort_block_merge_implIS3_PsPS5_jNS1_19radix_merge_compareILb1ELb1EsNS0_19identity_decomposerEEEEE10hipError_tT0_T1_T2_jT3_P12ihipStream_tbPNSt15iterator_traitsISE_E10value_typeEPNSK_ISF_E10value_typeEPSG_NS1_7vsmem_tEENKUlT_SE_SF_SG_E_clIS8_S8_S9_S9_EESD_ST_SE_SF_SG_EUlST_E1_NS1_11comp_targetILNS1_3genE0ELNS1_11target_archE4294967295ELNS1_3gpuE0ELNS1_3repE0EEENS1_36merge_oddeven_config_static_selectorELNS0_4arch9wavefront6targetE1EEEvSF_ ; -- Begin function _ZN7rocprim17ROCPRIM_400000_NS6detail17trampoline_kernelINS0_14default_configENS1_38merge_sort_block_merge_config_selectorIsNS0_10empty_typeEEEZZNS1_27merge_sort_block_merge_implIS3_PsPS5_jNS1_19radix_merge_compareILb1ELb1EsNS0_19identity_decomposerEEEEE10hipError_tT0_T1_T2_jT3_P12ihipStream_tbPNSt15iterator_traitsISE_E10value_typeEPNSK_ISF_E10value_typeEPSG_NS1_7vsmem_tEENKUlT_SE_SF_SG_E_clIS8_S8_S9_S9_EESD_ST_SE_SF_SG_EUlST_E1_NS1_11comp_targetILNS1_3genE0ELNS1_11target_archE4294967295ELNS1_3gpuE0ELNS1_3repE0EEENS1_36merge_oddeven_config_static_selectorELNS0_4arch9wavefront6targetE1EEEvSF_
	.globl	_ZN7rocprim17ROCPRIM_400000_NS6detail17trampoline_kernelINS0_14default_configENS1_38merge_sort_block_merge_config_selectorIsNS0_10empty_typeEEEZZNS1_27merge_sort_block_merge_implIS3_PsPS5_jNS1_19radix_merge_compareILb1ELb1EsNS0_19identity_decomposerEEEEE10hipError_tT0_T1_T2_jT3_P12ihipStream_tbPNSt15iterator_traitsISE_E10value_typeEPNSK_ISF_E10value_typeEPSG_NS1_7vsmem_tEENKUlT_SE_SF_SG_E_clIS8_S8_S9_S9_EESD_ST_SE_SF_SG_EUlST_E1_NS1_11comp_targetILNS1_3genE0ELNS1_11target_archE4294967295ELNS1_3gpuE0ELNS1_3repE0EEENS1_36merge_oddeven_config_static_selectorELNS0_4arch9wavefront6targetE1EEEvSF_
	.p2align	8
	.type	_ZN7rocprim17ROCPRIM_400000_NS6detail17trampoline_kernelINS0_14default_configENS1_38merge_sort_block_merge_config_selectorIsNS0_10empty_typeEEEZZNS1_27merge_sort_block_merge_implIS3_PsPS5_jNS1_19radix_merge_compareILb1ELb1EsNS0_19identity_decomposerEEEEE10hipError_tT0_T1_T2_jT3_P12ihipStream_tbPNSt15iterator_traitsISE_E10value_typeEPNSK_ISF_E10value_typeEPSG_NS1_7vsmem_tEENKUlT_SE_SF_SG_E_clIS8_S8_S9_S9_EESD_ST_SE_SF_SG_EUlST_E1_NS1_11comp_targetILNS1_3genE0ELNS1_11target_archE4294967295ELNS1_3gpuE0ELNS1_3repE0EEENS1_36merge_oddeven_config_static_selectorELNS0_4arch9wavefront6targetE1EEEvSF_,@function
_ZN7rocprim17ROCPRIM_400000_NS6detail17trampoline_kernelINS0_14default_configENS1_38merge_sort_block_merge_config_selectorIsNS0_10empty_typeEEEZZNS1_27merge_sort_block_merge_implIS3_PsPS5_jNS1_19radix_merge_compareILb1ELb1EsNS0_19identity_decomposerEEEEE10hipError_tT0_T1_T2_jT3_P12ihipStream_tbPNSt15iterator_traitsISE_E10value_typeEPNSK_ISF_E10value_typeEPSG_NS1_7vsmem_tEENKUlT_SE_SF_SG_E_clIS8_S8_S9_S9_EESD_ST_SE_SF_SG_EUlST_E1_NS1_11comp_targetILNS1_3genE0ELNS1_11target_archE4294967295ELNS1_3gpuE0ELNS1_3repE0EEENS1_36merge_oddeven_config_static_selectorELNS0_4arch9wavefront6targetE1EEEvSF_: ; @_ZN7rocprim17ROCPRIM_400000_NS6detail17trampoline_kernelINS0_14default_configENS1_38merge_sort_block_merge_config_selectorIsNS0_10empty_typeEEEZZNS1_27merge_sort_block_merge_implIS3_PsPS5_jNS1_19radix_merge_compareILb1ELb1EsNS0_19identity_decomposerEEEEE10hipError_tT0_T1_T2_jT3_P12ihipStream_tbPNSt15iterator_traitsISE_E10value_typeEPNSK_ISF_E10value_typeEPSG_NS1_7vsmem_tEENKUlT_SE_SF_SG_E_clIS8_S8_S9_S9_EESD_ST_SE_SF_SG_EUlST_E1_NS1_11comp_targetILNS1_3genE0ELNS1_11target_archE4294967295ELNS1_3gpuE0ELNS1_3repE0EEENS1_36merge_oddeven_config_static_selectorELNS0_4arch9wavefront6targetE1EEEvSF_
; %bb.0:
	.section	.rodata,"a",@progbits
	.p2align	6, 0x0
	.amdhsa_kernel _ZN7rocprim17ROCPRIM_400000_NS6detail17trampoline_kernelINS0_14default_configENS1_38merge_sort_block_merge_config_selectorIsNS0_10empty_typeEEEZZNS1_27merge_sort_block_merge_implIS3_PsPS5_jNS1_19radix_merge_compareILb1ELb1EsNS0_19identity_decomposerEEEEE10hipError_tT0_T1_T2_jT3_P12ihipStream_tbPNSt15iterator_traitsISE_E10value_typeEPNSK_ISF_E10value_typeEPSG_NS1_7vsmem_tEENKUlT_SE_SF_SG_E_clIS8_S8_S9_S9_EESD_ST_SE_SF_SG_EUlST_E1_NS1_11comp_targetILNS1_3genE0ELNS1_11target_archE4294967295ELNS1_3gpuE0ELNS1_3repE0EEENS1_36merge_oddeven_config_static_selectorELNS0_4arch9wavefront6targetE1EEEvSF_
		.amdhsa_group_segment_fixed_size 0
		.amdhsa_private_segment_fixed_size 0
		.amdhsa_kernarg_size 48
		.amdhsa_user_sgpr_count 6
		.amdhsa_user_sgpr_private_segment_buffer 1
		.amdhsa_user_sgpr_dispatch_ptr 0
		.amdhsa_user_sgpr_queue_ptr 0
		.amdhsa_user_sgpr_kernarg_segment_ptr 1
		.amdhsa_user_sgpr_dispatch_id 0
		.amdhsa_user_sgpr_flat_scratch_init 0
		.amdhsa_user_sgpr_kernarg_preload_length 0
		.amdhsa_user_sgpr_kernarg_preload_offset 0
		.amdhsa_user_sgpr_private_segment_size 0
		.amdhsa_uses_dynamic_stack 0
		.amdhsa_system_sgpr_private_segment_wavefront_offset 0
		.amdhsa_system_sgpr_workgroup_id_x 1
		.amdhsa_system_sgpr_workgroup_id_y 0
		.amdhsa_system_sgpr_workgroup_id_z 0
		.amdhsa_system_sgpr_workgroup_info 0
		.amdhsa_system_vgpr_workitem_id 0
		.amdhsa_next_free_vgpr 1
		.amdhsa_next_free_sgpr 0
		.amdhsa_accum_offset 4
		.amdhsa_reserve_vcc 0
		.amdhsa_reserve_flat_scratch 0
		.amdhsa_float_round_mode_32 0
		.amdhsa_float_round_mode_16_64 0
		.amdhsa_float_denorm_mode_32 3
		.amdhsa_float_denorm_mode_16_64 3
		.amdhsa_dx10_clamp 1
		.amdhsa_ieee_mode 1
		.amdhsa_fp16_overflow 0
		.amdhsa_tg_split 0
		.amdhsa_exception_fp_ieee_invalid_op 0
		.amdhsa_exception_fp_denorm_src 0
		.amdhsa_exception_fp_ieee_div_zero 0
		.amdhsa_exception_fp_ieee_overflow 0
		.amdhsa_exception_fp_ieee_underflow 0
		.amdhsa_exception_fp_ieee_inexact 0
		.amdhsa_exception_int_div_zero 0
	.end_amdhsa_kernel
	.section	.text._ZN7rocprim17ROCPRIM_400000_NS6detail17trampoline_kernelINS0_14default_configENS1_38merge_sort_block_merge_config_selectorIsNS0_10empty_typeEEEZZNS1_27merge_sort_block_merge_implIS3_PsPS5_jNS1_19radix_merge_compareILb1ELb1EsNS0_19identity_decomposerEEEEE10hipError_tT0_T1_T2_jT3_P12ihipStream_tbPNSt15iterator_traitsISE_E10value_typeEPNSK_ISF_E10value_typeEPSG_NS1_7vsmem_tEENKUlT_SE_SF_SG_E_clIS8_S8_S9_S9_EESD_ST_SE_SF_SG_EUlST_E1_NS1_11comp_targetILNS1_3genE0ELNS1_11target_archE4294967295ELNS1_3gpuE0ELNS1_3repE0EEENS1_36merge_oddeven_config_static_selectorELNS0_4arch9wavefront6targetE1EEEvSF_,"axG",@progbits,_ZN7rocprim17ROCPRIM_400000_NS6detail17trampoline_kernelINS0_14default_configENS1_38merge_sort_block_merge_config_selectorIsNS0_10empty_typeEEEZZNS1_27merge_sort_block_merge_implIS3_PsPS5_jNS1_19radix_merge_compareILb1ELb1EsNS0_19identity_decomposerEEEEE10hipError_tT0_T1_T2_jT3_P12ihipStream_tbPNSt15iterator_traitsISE_E10value_typeEPNSK_ISF_E10value_typeEPSG_NS1_7vsmem_tEENKUlT_SE_SF_SG_E_clIS8_S8_S9_S9_EESD_ST_SE_SF_SG_EUlST_E1_NS1_11comp_targetILNS1_3genE0ELNS1_11target_archE4294967295ELNS1_3gpuE0ELNS1_3repE0EEENS1_36merge_oddeven_config_static_selectorELNS0_4arch9wavefront6targetE1EEEvSF_,comdat
.Lfunc_end1800:
	.size	_ZN7rocprim17ROCPRIM_400000_NS6detail17trampoline_kernelINS0_14default_configENS1_38merge_sort_block_merge_config_selectorIsNS0_10empty_typeEEEZZNS1_27merge_sort_block_merge_implIS3_PsPS5_jNS1_19radix_merge_compareILb1ELb1EsNS0_19identity_decomposerEEEEE10hipError_tT0_T1_T2_jT3_P12ihipStream_tbPNSt15iterator_traitsISE_E10value_typeEPNSK_ISF_E10value_typeEPSG_NS1_7vsmem_tEENKUlT_SE_SF_SG_E_clIS8_S8_S9_S9_EESD_ST_SE_SF_SG_EUlST_E1_NS1_11comp_targetILNS1_3genE0ELNS1_11target_archE4294967295ELNS1_3gpuE0ELNS1_3repE0EEENS1_36merge_oddeven_config_static_selectorELNS0_4arch9wavefront6targetE1EEEvSF_, .Lfunc_end1800-_ZN7rocprim17ROCPRIM_400000_NS6detail17trampoline_kernelINS0_14default_configENS1_38merge_sort_block_merge_config_selectorIsNS0_10empty_typeEEEZZNS1_27merge_sort_block_merge_implIS3_PsPS5_jNS1_19radix_merge_compareILb1ELb1EsNS0_19identity_decomposerEEEEE10hipError_tT0_T1_T2_jT3_P12ihipStream_tbPNSt15iterator_traitsISE_E10value_typeEPNSK_ISF_E10value_typeEPSG_NS1_7vsmem_tEENKUlT_SE_SF_SG_E_clIS8_S8_S9_S9_EESD_ST_SE_SF_SG_EUlST_E1_NS1_11comp_targetILNS1_3genE0ELNS1_11target_archE4294967295ELNS1_3gpuE0ELNS1_3repE0EEENS1_36merge_oddeven_config_static_selectorELNS0_4arch9wavefront6targetE1EEEvSF_
                                        ; -- End function
	.section	.AMDGPU.csdata,"",@progbits
; Kernel info:
; codeLenInByte = 0
; NumSgprs: 4
; NumVgprs: 0
; NumAgprs: 0
; TotalNumVgprs: 0
; ScratchSize: 0
; MemoryBound: 0
; FloatMode: 240
; IeeeMode: 1
; LDSByteSize: 0 bytes/workgroup (compile time only)
; SGPRBlocks: 0
; VGPRBlocks: 0
; NumSGPRsForWavesPerEU: 4
; NumVGPRsForWavesPerEU: 1
; AccumOffset: 4
; Occupancy: 8
; WaveLimiterHint : 0
; COMPUTE_PGM_RSRC2:SCRATCH_EN: 0
; COMPUTE_PGM_RSRC2:USER_SGPR: 6
; COMPUTE_PGM_RSRC2:TRAP_HANDLER: 0
; COMPUTE_PGM_RSRC2:TGID_X_EN: 1
; COMPUTE_PGM_RSRC2:TGID_Y_EN: 0
; COMPUTE_PGM_RSRC2:TGID_Z_EN: 0
; COMPUTE_PGM_RSRC2:TIDIG_COMP_CNT: 0
; COMPUTE_PGM_RSRC3_GFX90A:ACCUM_OFFSET: 0
; COMPUTE_PGM_RSRC3_GFX90A:TG_SPLIT: 0
	.section	.text._ZN7rocprim17ROCPRIM_400000_NS6detail17trampoline_kernelINS0_14default_configENS1_38merge_sort_block_merge_config_selectorIsNS0_10empty_typeEEEZZNS1_27merge_sort_block_merge_implIS3_PsPS5_jNS1_19radix_merge_compareILb1ELb1EsNS0_19identity_decomposerEEEEE10hipError_tT0_T1_T2_jT3_P12ihipStream_tbPNSt15iterator_traitsISE_E10value_typeEPNSK_ISF_E10value_typeEPSG_NS1_7vsmem_tEENKUlT_SE_SF_SG_E_clIS8_S8_S9_S9_EESD_ST_SE_SF_SG_EUlST_E1_NS1_11comp_targetILNS1_3genE10ELNS1_11target_archE1201ELNS1_3gpuE5ELNS1_3repE0EEENS1_36merge_oddeven_config_static_selectorELNS0_4arch9wavefront6targetE1EEEvSF_,"axG",@progbits,_ZN7rocprim17ROCPRIM_400000_NS6detail17trampoline_kernelINS0_14default_configENS1_38merge_sort_block_merge_config_selectorIsNS0_10empty_typeEEEZZNS1_27merge_sort_block_merge_implIS3_PsPS5_jNS1_19radix_merge_compareILb1ELb1EsNS0_19identity_decomposerEEEEE10hipError_tT0_T1_T2_jT3_P12ihipStream_tbPNSt15iterator_traitsISE_E10value_typeEPNSK_ISF_E10value_typeEPSG_NS1_7vsmem_tEENKUlT_SE_SF_SG_E_clIS8_S8_S9_S9_EESD_ST_SE_SF_SG_EUlST_E1_NS1_11comp_targetILNS1_3genE10ELNS1_11target_archE1201ELNS1_3gpuE5ELNS1_3repE0EEENS1_36merge_oddeven_config_static_selectorELNS0_4arch9wavefront6targetE1EEEvSF_,comdat
	.protected	_ZN7rocprim17ROCPRIM_400000_NS6detail17trampoline_kernelINS0_14default_configENS1_38merge_sort_block_merge_config_selectorIsNS0_10empty_typeEEEZZNS1_27merge_sort_block_merge_implIS3_PsPS5_jNS1_19radix_merge_compareILb1ELb1EsNS0_19identity_decomposerEEEEE10hipError_tT0_T1_T2_jT3_P12ihipStream_tbPNSt15iterator_traitsISE_E10value_typeEPNSK_ISF_E10value_typeEPSG_NS1_7vsmem_tEENKUlT_SE_SF_SG_E_clIS8_S8_S9_S9_EESD_ST_SE_SF_SG_EUlST_E1_NS1_11comp_targetILNS1_3genE10ELNS1_11target_archE1201ELNS1_3gpuE5ELNS1_3repE0EEENS1_36merge_oddeven_config_static_selectorELNS0_4arch9wavefront6targetE1EEEvSF_ ; -- Begin function _ZN7rocprim17ROCPRIM_400000_NS6detail17trampoline_kernelINS0_14default_configENS1_38merge_sort_block_merge_config_selectorIsNS0_10empty_typeEEEZZNS1_27merge_sort_block_merge_implIS3_PsPS5_jNS1_19radix_merge_compareILb1ELb1EsNS0_19identity_decomposerEEEEE10hipError_tT0_T1_T2_jT3_P12ihipStream_tbPNSt15iterator_traitsISE_E10value_typeEPNSK_ISF_E10value_typeEPSG_NS1_7vsmem_tEENKUlT_SE_SF_SG_E_clIS8_S8_S9_S9_EESD_ST_SE_SF_SG_EUlST_E1_NS1_11comp_targetILNS1_3genE10ELNS1_11target_archE1201ELNS1_3gpuE5ELNS1_3repE0EEENS1_36merge_oddeven_config_static_selectorELNS0_4arch9wavefront6targetE1EEEvSF_
	.globl	_ZN7rocprim17ROCPRIM_400000_NS6detail17trampoline_kernelINS0_14default_configENS1_38merge_sort_block_merge_config_selectorIsNS0_10empty_typeEEEZZNS1_27merge_sort_block_merge_implIS3_PsPS5_jNS1_19radix_merge_compareILb1ELb1EsNS0_19identity_decomposerEEEEE10hipError_tT0_T1_T2_jT3_P12ihipStream_tbPNSt15iterator_traitsISE_E10value_typeEPNSK_ISF_E10value_typeEPSG_NS1_7vsmem_tEENKUlT_SE_SF_SG_E_clIS8_S8_S9_S9_EESD_ST_SE_SF_SG_EUlST_E1_NS1_11comp_targetILNS1_3genE10ELNS1_11target_archE1201ELNS1_3gpuE5ELNS1_3repE0EEENS1_36merge_oddeven_config_static_selectorELNS0_4arch9wavefront6targetE1EEEvSF_
	.p2align	8
	.type	_ZN7rocprim17ROCPRIM_400000_NS6detail17trampoline_kernelINS0_14default_configENS1_38merge_sort_block_merge_config_selectorIsNS0_10empty_typeEEEZZNS1_27merge_sort_block_merge_implIS3_PsPS5_jNS1_19radix_merge_compareILb1ELb1EsNS0_19identity_decomposerEEEEE10hipError_tT0_T1_T2_jT3_P12ihipStream_tbPNSt15iterator_traitsISE_E10value_typeEPNSK_ISF_E10value_typeEPSG_NS1_7vsmem_tEENKUlT_SE_SF_SG_E_clIS8_S8_S9_S9_EESD_ST_SE_SF_SG_EUlST_E1_NS1_11comp_targetILNS1_3genE10ELNS1_11target_archE1201ELNS1_3gpuE5ELNS1_3repE0EEENS1_36merge_oddeven_config_static_selectorELNS0_4arch9wavefront6targetE1EEEvSF_,@function
_ZN7rocprim17ROCPRIM_400000_NS6detail17trampoline_kernelINS0_14default_configENS1_38merge_sort_block_merge_config_selectorIsNS0_10empty_typeEEEZZNS1_27merge_sort_block_merge_implIS3_PsPS5_jNS1_19radix_merge_compareILb1ELb1EsNS0_19identity_decomposerEEEEE10hipError_tT0_T1_T2_jT3_P12ihipStream_tbPNSt15iterator_traitsISE_E10value_typeEPNSK_ISF_E10value_typeEPSG_NS1_7vsmem_tEENKUlT_SE_SF_SG_E_clIS8_S8_S9_S9_EESD_ST_SE_SF_SG_EUlST_E1_NS1_11comp_targetILNS1_3genE10ELNS1_11target_archE1201ELNS1_3gpuE5ELNS1_3repE0EEENS1_36merge_oddeven_config_static_selectorELNS0_4arch9wavefront6targetE1EEEvSF_: ; @_ZN7rocprim17ROCPRIM_400000_NS6detail17trampoline_kernelINS0_14default_configENS1_38merge_sort_block_merge_config_selectorIsNS0_10empty_typeEEEZZNS1_27merge_sort_block_merge_implIS3_PsPS5_jNS1_19radix_merge_compareILb1ELb1EsNS0_19identity_decomposerEEEEE10hipError_tT0_T1_T2_jT3_P12ihipStream_tbPNSt15iterator_traitsISE_E10value_typeEPNSK_ISF_E10value_typeEPSG_NS1_7vsmem_tEENKUlT_SE_SF_SG_E_clIS8_S8_S9_S9_EESD_ST_SE_SF_SG_EUlST_E1_NS1_11comp_targetILNS1_3genE10ELNS1_11target_archE1201ELNS1_3gpuE5ELNS1_3repE0EEENS1_36merge_oddeven_config_static_selectorELNS0_4arch9wavefront6targetE1EEEvSF_
; %bb.0:
	.section	.rodata,"a",@progbits
	.p2align	6, 0x0
	.amdhsa_kernel _ZN7rocprim17ROCPRIM_400000_NS6detail17trampoline_kernelINS0_14default_configENS1_38merge_sort_block_merge_config_selectorIsNS0_10empty_typeEEEZZNS1_27merge_sort_block_merge_implIS3_PsPS5_jNS1_19radix_merge_compareILb1ELb1EsNS0_19identity_decomposerEEEEE10hipError_tT0_T1_T2_jT3_P12ihipStream_tbPNSt15iterator_traitsISE_E10value_typeEPNSK_ISF_E10value_typeEPSG_NS1_7vsmem_tEENKUlT_SE_SF_SG_E_clIS8_S8_S9_S9_EESD_ST_SE_SF_SG_EUlST_E1_NS1_11comp_targetILNS1_3genE10ELNS1_11target_archE1201ELNS1_3gpuE5ELNS1_3repE0EEENS1_36merge_oddeven_config_static_selectorELNS0_4arch9wavefront6targetE1EEEvSF_
		.amdhsa_group_segment_fixed_size 0
		.amdhsa_private_segment_fixed_size 0
		.amdhsa_kernarg_size 48
		.amdhsa_user_sgpr_count 6
		.amdhsa_user_sgpr_private_segment_buffer 1
		.amdhsa_user_sgpr_dispatch_ptr 0
		.amdhsa_user_sgpr_queue_ptr 0
		.amdhsa_user_sgpr_kernarg_segment_ptr 1
		.amdhsa_user_sgpr_dispatch_id 0
		.amdhsa_user_sgpr_flat_scratch_init 0
		.amdhsa_user_sgpr_kernarg_preload_length 0
		.amdhsa_user_sgpr_kernarg_preload_offset 0
		.amdhsa_user_sgpr_private_segment_size 0
		.amdhsa_uses_dynamic_stack 0
		.amdhsa_system_sgpr_private_segment_wavefront_offset 0
		.amdhsa_system_sgpr_workgroup_id_x 1
		.amdhsa_system_sgpr_workgroup_id_y 0
		.amdhsa_system_sgpr_workgroup_id_z 0
		.amdhsa_system_sgpr_workgroup_info 0
		.amdhsa_system_vgpr_workitem_id 0
		.amdhsa_next_free_vgpr 1
		.amdhsa_next_free_sgpr 0
		.amdhsa_accum_offset 4
		.amdhsa_reserve_vcc 0
		.amdhsa_reserve_flat_scratch 0
		.amdhsa_float_round_mode_32 0
		.amdhsa_float_round_mode_16_64 0
		.amdhsa_float_denorm_mode_32 3
		.amdhsa_float_denorm_mode_16_64 3
		.amdhsa_dx10_clamp 1
		.amdhsa_ieee_mode 1
		.amdhsa_fp16_overflow 0
		.amdhsa_tg_split 0
		.amdhsa_exception_fp_ieee_invalid_op 0
		.amdhsa_exception_fp_denorm_src 0
		.amdhsa_exception_fp_ieee_div_zero 0
		.amdhsa_exception_fp_ieee_overflow 0
		.amdhsa_exception_fp_ieee_underflow 0
		.amdhsa_exception_fp_ieee_inexact 0
		.amdhsa_exception_int_div_zero 0
	.end_amdhsa_kernel
	.section	.text._ZN7rocprim17ROCPRIM_400000_NS6detail17trampoline_kernelINS0_14default_configENS1_38merge_sort_block_merge_config_selectorIsNS0_10empty_typeEEEZZNS1_27merge_sort_block_merge_implIS3_PsPS5_jNS1_19radix_merge_compareILb1ELb1EsNS0_19identity_decomposerEEEEE10hipError_tT0_T1_T2_jT3_P12ihipStream_tbPNSt15iterator_traitsISE_E10value_typeEPNSK_ISF_E10value_typeEPSG_NS1_7vsmem_tEENKUlT_SE_SF_SG_E_clIS8_S8_S9_S9_EESD_ST_SE_SF_SG_EUlST_E1_NS1_11comp_targetILNS1_3genE10ELNS1_11target_archE1201ELNS1_3gpuE5ELNS1_3repE0EEENS1_36merge_oddeven_config_static_selectorELNS0_4arch9wavefront6targetE1EEEvSF_,"axG",@progbits,_ZN7rocprim17ROCPRIM_400000_NS6detail17trampoline_kernelINS0_14default_configENS1_38merge_sort_block_merge_config_selectorIsNS0_10empty_typeEEEZZNS1_27merge_sort_block_merge_implIS3_PsPS5_jNS1_19radix_merge_compareILb1ELb1EsNS0_19identity_decomposerEEEEE10hipError_tT0_T1_T2_jT3_P12ihipStream_tbPNSt15iterator_traitsISE_E10value_typeEPNSK_ISF_E10value_typeEPSG_NS1_7vsmem_tEENKUlT_SE_SF_SG_E_clIS8_S8_S9_S9_EESD_ST_SE_SF_SG_EUlST_E1_NS1_11comp_targetILNS1_3genE10ELNS1_11target_archE1201ELNS1_3gpuE5ELNS1_3repE0EEENS1_36merge_oddeven_config_static_selectorELNS0_4arch9wavefront6targetE1EEEvSF_,comdat
.Lfunc_end1801:
	.size	_ZN7rocprim17ROCPRIM_400000_NS6detail17trampoline_kernelINS0_14default_configENS1_38merge_sort_block_merge_config_selectorIsNS0_10empty_typeEEEZZNS1_27merge_sort_block_merge_implIS3_PsPS5_jNS1_19radix_merge_compareILb1ELb1EsNS0_19identity_decomposerEEEEE10hipError_tT0_T1_T2_jT3_P12ihipStream_tbPNSt15iterator_traitsISE_E10value_typeEPNSK_ISF_E10value_typeEPSG_NS1_7vsmem_tEENKUlT_SE_SF_SG_E_clIS8_S8_S9_S9_EESD_ST_SE_SF_SG_EUlST_E1_NS1_11comp_targetILNS1_3genE10ELNS1_11target_archE1201ELNS1_3gpuE5ELNS1_3repE0EEENS1_36merge_oddeven_config_static_selectorELNS0_4arch9wavefront6targetE1EEEvSF_, .Lfunc_end1801-_ZN7rocprim17ROCPRIM_400000_NS6detail17trampoline_kernelINS0_14default_configENS1_38merge_sort_block_merge_config_selectorIsNS0_10empty_typeEEEZZNS1_27merge_sort_block_merge_implIS3_PsPS5_jNS1_19radix_merge_compareILb1ELb1EsNS0_19identity_decomposerEEEEE10hipError_tT0_T1_T2_jT3_P12ihipStream_tbPNSt15iterator_traitsISE_E10value_typeEPNSK_ISF_E10value_typeEPSG_NS1_7vsmem_tEENKUlT_SE_SF_SG_E_clIS8_S8_S9_S9_EESD_ST_SE_SF_SG_EUlST_E1_NS1_11comp_targetILNS1_3genE10ELNS1_11target_archE1201ELNS1_3gpuE5ELNS1_3repE0EEENS1_36merge_oddeven_config_static_selectorELNS0_4arch9wavefront6targetE1EEEvSF_
                                        ; -- End function
	.section	.AMDGPU.csdata,"",@progbits
; Kernel info:
; codeLenInByte = 0
; NumSgprs: 4
; NumVgprs: 0
; NumAgprs: 0
; TotalNumVgprs: 0
; ScratchSize: 0
; MemoryBound: 0
; FloatMode: 240
; IeeeMode: 1
; LDSByteSize: 0 bytes/workgroup (compile time only)
; SGPRBlocks: 0
; VGPRBlocks: 0
; NumSGPRsForWavesPerEU: 4
; NumVGPRsForWavesPerEU: 1
; AccumOffset: 4
; Occupancy: 8
; WaveLimiterHint : 0
; COMPUTE_PGM_RSRC2:SCRATCH_EN: 0
; COMPUTE_PGM_RSRC2:USER_SGPR: 6
; COMPUTE_PGM_RSRC2:TRAP_HANDLER: 0
; COMPUTE_PGM_RSRC2:TGID_X_EN: 1
; COMPUTE_PGM_RSRC2:TGID_Y_EN: 0
; COMPUTE_PGM_RSRC2:TGID_Z_EN: 0
; COMPUTE_PGM_RSRC2:TIDIG_COMP_CNT: 0
; COMPUTE_PGM_RSRC3_GFX90A:ACCUM_OFFSET: 0
; COMPUTE_PGM_RSRC3_GFX90A:TG_SPLIT: 0
	.section	.text._ZN7rocprim17ROCPRIM_400000_NS6detail17trampoline_kernelINS0_14default_configENS1_38merge_sort_block_merge_config_selectorIsNS0_10empty_typeEEEZZNS1_27merge_sort_block_merge_implIS3_PsPS5_jNS1_19radix_merge_compareILb1ELb1EsNS0_19identity_decomposerEEEEE10hipError_tT0_T1_T2_jT3_P12ihipStream_tbPNSt15iterator_traitsISE_E10value_typeEPNSK_ISF_E10value_typeEPSG_NS1_7vsmem_tEENKUlT_SE_SF_SG_E_clIS8_S8_S9_S9_EESD_ST_SE_SF_SG_EUlST_E1_NS1_11comp_targetILNS1_3genE5ELNS1_11target_archE942ELNS1_3gpuE9ELNS1_3repE0EEENS1_36merge_oddeven_config_static_selectorELNS0_4arch9wavefront6targetE1EEEvSF_,"axG",@progbits,_ZN7rocprim17ROCPRIM_400000_NS6detail17trampoline_kernelINS0_14default_configENS1_38merge_sort_block_merge_config_selectorIsNS0_10empty_typeEEEZZNS1_27merge_sort_block_merge_implIS3_PsPS5_jNS1_19radix_merge_compareILb1ELb1EsNS0_19identity_decomposerEEEEE10hipError_tT0_T1_T2_jT3_P12ihipStream_tbPNSt15iterator_traitsISE_E10value_typeEPNSK_ISF_E10value_typeEPSG_NS1_7vsmem_tEENKUlT_SE_SF_SG_E_clIS8_S8_S9_S9_EESD_ST_SE_SF_SG_EUlST_E1_NS1_11comp_targetILNS1_3genE5ELNS1_11target_archE942ELNS1_3gpuE9ELNS1_3repE0EEENS1_36merge_oddeven_config_static_selectorELNS0_4arch9wavefront6targetE1EEEvSF_,comdat
	.protected	_ZN7rocprim17ROCPRIM_400000_NS6detail17trampoline_kernelINS0_14default_configENS1_38merge_sort_block_merge_config_selectorIsNS0_10empty_typeEEEZZNS1_27merge_sort_block_merge_implIS3_PsPS5_jNS1_19radix_merge_compareILb1ELb1EsNS0_19identity_decomposerEEEEE10hipError_tT0_T1_T2_jT3_P12ihipStream_tbPNSt15iterator_traitsISE_E10value_typeEPNSK_ISF_E10value_typeEPSG_NS1_7vsmem_tEENKUlT_SE_SF_SG_E_clIS8_S8_S9_S9_EESD_ST_SE_SF_SG_EUlST_E1_NS1_11comp_targetILNS1_3genE5ELNS1_11target_archE942ELNS1_3gpuE9ELNS1_3repE0EEENS1_36merge_oddeven_config_static_selectorELNS0_4arch9wavefront6targetE1EEEvSF_ ; -- Begin function _ZN7rocprim17ROCPRIM_400000_NS6detail17trampoline_kernelINS0_14default_configENS1_38merge_sort_block_merge_config_selectorIsNS0_10empty_typeEEEZZNS1_27merge_sort_block_merge_implIS3_PsPS5_jNS1_19radix_merge_compareILb1ELb1EsNS0_19identity_decomposerEEEEE10hipError_tT0_T1_T2_jT3_P12ihipStream_tbPNSt15iterator_traitsISE_E10value_typeEPNSK_ISF_E10value_typeEPSG_NS1_7vsmem_tEENKUlT_SE_SF_SG_E_clIS8_S8_S9_S9_EESD_ST_SE_SF_SG_EUlST_E1_NS1_11comp_targetILNS1_3genE5ELNS1_11target_archE942ELNS1_3gpuE9ELNS1_3repE0EEENS1_36merge_oddeven_config_static_selectorELNS0_4arch9wavefront6targetE1EEEvSF_
	.globl	_ZN7rocprim17ROCPRIM_400000_NS6detail17trampoline_kernelINS0_14default_configENS1_38merge_sort_block_merge_config_selectorIsNS0_10empty_typeEEEZZNS1_27merge_sort_block_merge_implIS3_PsPS5_jNS1_19radix_merge_compareILb1ELb1EsNS0_19identity_decomposerEEEEE10hipError_tT0_T1_T2_jT3_P12ihipStream_tbPNSt15iterator_traitsISE_E10value_typeEPNSK_ISF_E10value_typeEPSG_NS1_7vsmem_tEENKUlT_SE_SF_SG_E_clIS8_S8_S9_S9_EESD_ST_SE_SF_SG_EUlST_E1_NS1_11comp_targetILNS1_3genE5ELNS1_11target_archE942ELNS1_3gpuE9ELNS1_3repE0EEENS1_36merge_oddeven_config_static_selectorELNS0_4arch9wavefront6targetE1EEEvSF_
	.p2align	8
	.type	_ZN7rocprim17ROCPRIM_400000_NS6detail17trampoline_kernelINS0_14default_configENS1_38merge_sort_block_merge_config_selectorIsNS0_10empty_typeEEEZZNS1_27merge_sort_block_merge_implIS3_PsPS5_jNS1_19radix_merge_compareILb1ELb1EsNS0_19identity_decomposerEEEEE10hipError_tT0_T1_T2_jT3_P12ihipStream_tbPNSt15iterator_traitsISE_E10value_typeEPNSK_ISF_E10value_typeEPSG_NS1_7vsmem_tEENKUlT_SE_SF_SG_E_clIS8_S8_S9_S9_EESD_ST_SE_SF_SG_EUlST_E1_NS1_11comp_targetILNS1_3genE5ELNS1_11target_archE942ELNS1_3gpuE9ELNS1_3repE0EEENS1_36merge_oddeven_config_static_selectorELNS0_4arch9wavefront6targetE1EEEvSF_,@function
_ZN7rocprim17ROCPRIM_400000_NS6detail17trampoline_kernelINS0_14default_configENS1_38merge_sort_block_merge_config_selectorIsNS0_10empty_typeEEEZZNS1_27merge_sort_block_merge_implIS3_PsPS5_jNS1_19radix_merge_compareILb1ELb1EsNS0_19identity_decomposerEEEEE10hipError_tT0_T1_T2_jT3_P12ihipStream_tbPNSt15iterator_traitsISE_E10value_typeEPNSK_ISF_E10value_typeEPSG_NS1_7vsmem_tEENKUlT_SE_SF_SG_E_clIS8_S8_S9_S9_EESD_ST_SE_SF_SG_EUlST_E1_NS1_11comp_targetILNS1_3genE5ELNS1_11target_archE942ELNS1_3gpuE9ELNS1_3repE0EEENS1_36merge_oddeven_config_static_selectorELNS0_4arch9wavefront6targetE1EEEvSF_: ; @_ZN7rocprim17ROCPRIM_400000_NS6detail17trampoline_kernelINS0_14default_configENS1_38merge_sort_block_merge_config_selectorIsNS0_10empty_typeEEEZZNS1_27merge_sort_block_merge_implIS3_PsPS5_jNS1_19radix_merge_compareILb1ELb1EsNS0_19identity_decomposerEEEEE10hipError_tT0_T1_T2_jT3_P12ihipStream_tbPNSt15iterator_traitsISE_E10value_typeEPNSK_ISF_E10value_typeEPSG_NS1_7vsmem_tEENKUlT_SE_SF_SG_E_clIS8_S8_S9_S9_EESD_ST_SE_SF_SG_EUlST_E1_NS1_11comp_targetILNS1_3genE5ELNS1_11target_archE942ELNS1_3gpuE9ELNS1_3repE0EEENS1_36merge_oddeven_config_static_selectorELNS0_4arch9wavefront6targetE1EEEvSF_
; %bb.0:
	.section	.rodata,"a",@progbits
	.p2align	6, 0x0
	.amdhsa_kernel _ZN7rocprim17ROCPRIM_400000_NS6detail17trampoline_kernelINS0_14default_configENS1_38merge_sort_block_merge_config_selectorIsNS0_10empty_typeEEEZZNS1_27merge_sort_block_merge_implIS3_PsPS5_jNS1_19radix_merge_compareILb1ELb1EsNS0_19identity_decomposerEEEEE10hipError_tT0_T1_T2_jT3_P12ihipStream_tbPNSt15iterator_traitsISE_E10value_typeEPNSK_ISF_E10value_typeEPSG_NS1_7vsmem_tEENKUlT_SE_SF_SG_E_clIS8_S8_S9_S9_EESD_ST_SE_SF_SG_EUlST_E1_NS1_11comp_targetILNS1_3genE5ELNS1_11target_archE942ELNS1_3gpuE9ELNS1_3repE0EEENS1_36merge_oddeven_config_static_selectorELNS0_4arch9wavefront6targetE1EEEvSF_
		.amdhsa_group_segment_fixed_size 0
		.amdhsa_private_segment_fixed_size 0
		.amdhsa_kernarg_size 48
		.amdhsa_user_sgpr_count 6
		.amdhsa_user_sgpr_private_segment_buffer 1
		.amdhsa_user_sgpr_dispatch_ptr 0
		.amdhsa_user_sgpr_queue_ptr 0
		.amdhsa_user_sgpr_kernarg_segment_ptr 1
		.amdhsa_user_sgpr_dispatch_id 0
		.amdhsa_user_sgpr_flat_scratch_init 0
		.amdhsa_user_sgpr_kernarg_preload_length 0
		.amdhsa_user_sgpr_kernarg_preload_offset 0
		.amdhsa_user_sgpr_private_segment_size 0
		.amdhsa_uses_dynamic_stack 0
		.amdhsa_system_sgpr_private_segment_wavefront_offset 0
		.amdhsa_system_sgpr_workgroup_id_x 1
		.amdhsa_system_sgpr_workgroup_id_y 0
		.amdhsa_system_sgpr_workgroup_id_z 0
		.amdhsa_system_sgpr_workgroup_info 0
		.amdhsa_system_vgpr_workitem_id 0
		.amdhsa_next_free_vgpr 1
		.amdhsa_next_free_sgpr 0
		.amdhsa_accum_offset 4
		.amdhsa_reserve_vcc 0
		.amdhsa_reserve_flat_scratch 0
		.amdhsa_float_round_mode_32 0
		.amdhsa_float_round_mode_16_64 0
		.amdhsa_float_denorm_mode_32 3
		.amdhsa_float_denorm_mode_16_64 3
		.amdhsa_dx10_clamp 1
		.amdhsa_ieee_mode 1
		.amdhsa_fp16_overflow 0
		.amdhsa_tg_split 0
		.amdhsa_exception_fp_ieee_invalid_op 0
		.amdhsa_exception_fp_denorm_src 0
		.amdhsa_exception_fp_ieee_div_zero 0
		.amdhsa_exception_fp_ieee_overflow 0
		.amdhsa_exception_fp_ieee_underflow 0
		.amdhsa_exception_fp_ieee_inexact 0
		.amdhsa_exception_int_div_zero 0
	.end_amdhsa_kernel
	.section	.text._ZN7rocprim17ROCPRIM_400000_NS6detail17trampoline_kernelINS0_14default_configENS1_38merge_sort_block_merge_config_selectorIsNS0_10empty_typeEEEZZNS1_27merge_sort_block_merge_implIS3_PsPS5_jNS1_19radix_merge_compareILb1ELb1EsNS0_19identity_decomposerEEEEE10hipError_tT0_T1_T2_jT3_P12ihipStream_tbPNSt15iterator_traitsISE_E10value_typeEPNSK_ISF_E10value_typeEPSG_NS1_7vsmem_tEENKUlT_SE_SF_SG_E_clIS8_S8_S9_S9_EESD_ST_SE_SF_SG_EUlST_E1_NS1_11comp_targetILNS1_3genE5ELNS1_11target_archE942ELNS1_3gpuE9ELNS1_3repE0EEENS1_36merge_oddeven_config_static_selectorELNS0_4arch9wavefront6targetE1EEEvSF_,"axG",@progbits,_ZN7rocprim17ROCPRIM_400000_NS6detail17trampoline_kernelINS0_14default_configENS1_38merge_sort_block_merge_config_selectorIsNS0_10empty_typeEEEZZNS1_27merge_sort_block_merge_implIS3_PsPS5_jNS1_19radix_merge_compareILb1ELb1EsNS0_19identity_decomposerEEEEE10hipError_tT0_T1_T2_jT3_P12ihipStream_tbPNSt15iterator_traitsISE_E10value_typeEPNSK_ISF_E10value_typeEPSG_NS1_7vsmem_tEENKUlT_SE_SF_SG_E_clIS8_S8_S9_S9_EESD_ST_SE_SF_SG_EUlST_E1_NS1_11comp_targetILNS1_3genE5ELNS1_11target_archE942ELNS1_3gpuE9ELNS1_3repE0EEENS1_36merge_oddeven_config_static_selectorELNS0_4arch9wavefront6targetE1EEEvSF_,comdat
.Lfunc_end1802:
	.size	_ZN7rocprim17ROCPRIM_400000_NS6detail17trampoline_kernelINS0_14default_configENS1_38merge_sort_block_merge_config_selectorIsNS0_10empty_typeEEEZZNS1_27merge_sort_block_merge_implIS3_PsPS5_jNS1_19radix_merge_compareILb1ELb1EsNS0_19identity_decomposerEEEEE10hipError_tT0_T1_T2_jT3_P12ihipStream_tbPNSt15iterator_traitsISE_E10value_typeEPNSK_ISF_E10value_typeEPSG_NS1_7vsmem_tEENKUlT_SE_SF_SG_E_clIS8_S8_S9_S9_EESD_ST_SE_SF_SG_EUlST_E1_NS1_11comp_targetILNS1_3genE5ELNS1_11target_archE942ELNS1_3gpuE9ELNS1_3repE0EEENS1_36merge_oddeven_config_static_selectorELNS0_4arch9wavefront6targetE1EEEvSF_, .Lfunc_end1802-_ZN7rocprim17ROCPRIM_400000_NS6detail17trampoline_kernelINS0_14default_configENS1_38merge_sort_block_merge_config_selectorIsNS0_10empty_typeEEEZZNS1_27merge_sort_block_merge_implIS3_PsPS5_jNS1_19radix_merge_compareILb1ELb1EsNS0_19identity_decomposerEEEEE10hipError_tT0_T1_T2_jT3_P12ihipStream_tbPNSt15iterator_traitsISE_E10value_typeEPNSK_ISF_E10value_typeEPSG_NS1_7vsmem_tEENKUlT_SE_SF_SG_E_clIS8_S8_S9_S9_EESD_ST_SE_SF_SG_EUlST_E1_NS1_11comp_targetILNS1_3genE5ELNS1_11target_archE942ELNS1_3gpuE9ELNS1_3repE0EEENS1_36merge_oddeven_config_static_selectorELNS0_4arch9wavefront6targetE1EEEvSF_
                                        ; -- End function
	.section	.AMDGPU.csdata,"",@progbits
; Kernel info:
; codeLenInByte = 0
; NumSgprs: 4
; NumVgprs: 0
; NumAgprs: 0
; TotalNumVgprs: 0
; ScratchSize: 0
; MemoryBound: 0
; FloatMode: 240
; IeeeMode: 1
; LDSByteSize: 0 bytes/workgroup (compile time only)
; SGPRBlocks: 0
; VGPRBlocks: 0
; NumSGPRsForWavesPerEU: 4
; NumVGPRsForWavesPerEU: 1
; AccumOffset: 4
; Occupancy: 8
; WaveLimiterHint : 0
; COMPUTE_PGM_RSRC2:SCRATCH_EN: 0
; COMPUTE_PGM_RSRC2:USER_SGPR: 6
; COMPUTE_PGM_RSRC2:TRAP_HANDLER: 0
; COMPUTE_PGM_RSRC2:TGID_X_EN: 1
; COMPUTE_PGM_RSRC2:TGID_Y_EN: 0
; COMPUTE_PGM_RSRC2:TGID_Z_EN: 0
; COMPUTE_PGM_RSRC2:TIDIG_COMP_CNT: 0
; COMPUTE_PGM_RSRC3_GFX90A:ACCUM_OFFSET: 0
; COMPUTE_PGM_RSRC3_GFX90A:TG_SPLIT: 0
	.section	.text._ZN7rocprim17ROCPRIM_400000_NS6detail17trampoline_kernelINS0_14default_configENS1_38merge_sort_block_merge_config_selectorIsNS0_10empty_typeEEEZZNS1_27merge_sort_block_merge_implIS3_PsPS5_jNS1_19radix_merge_compareILb1ELb1EsNS0_19identity_decomposerEEEEE10hipError_tT0_T1_T2_jT3_P12ihipStream_tbPNSt15iterator_traitsISE_E10value_typeEPNSK_ISF_E10value_typeEPSG_NS1_7vsmem_tEENKUlT_SE_SF_SG_E_clIS8_S8_S9_S9_EESD_ST_SE_SF_SG_EUlST_E1_NS1_11comp_targetILNS1_3genE4ELNS1_11target_archE910ELNS1_3gpuE8ELNS1_3repE0EEENS1_36merge_oddeven_config_static_selectorELNS0_4arch9wavefront6targetE1EEEvSF_,"axG",@progbits,_ZN7rocprim17ROCPRIM_400000_NS6detail17trampoline_kernelINS0_14default_configENS1_38merge_sort_block_merge_config_selectorIsNS0_10empty_typeEEEZZNS1_27merge_sort_block_merge_implIS3_PsPS5_jNS1_19radix_merge_compareILb1ELb1EsNS0_19identity_decomposerEEEEE10hipError_tT0_T1_T2_jT3_P12ihipStream_tbPNSt15iterator_traitsISE_E10value_typeEPNSK_ISF_E10value_typeEPSG_NS1_7vsmem_tEENKUlT_SE_SF_SG_E_clIS8_S8_S9_S9_EESD_ST_SE_SF_SG_EUlST_E1_NS1_11comp_targetILNS1_3genE4ELNS1_11target_archE910ELNS1_3gpuE8ELNS1_3repE0EEENS1_36merge_oddeven_config_static_selectorELNS0_4arch9wavefront6targetE1EEEvSF_,comdat
	.protected	_ZN7rocprim17ROCPRIM_400000_NS6detail17trampoline_kernelINS0_14default_configENS1_38merge_sort_block_merge_config_selectorIsNS0_10empty_typeEEEZZNS1_27merge_sort_block_merge_implIS3_PsPS5_jNS1_19radix_merge_compareILb1ELb1EsNS0_19identity_decomposerEEEEE10hipError_tT0_T1_T2_jT3_P12ihipStream_tbPNSt15iterator_traitsISE_E10value_typeEPNSK_ISF_E10value_typeEPSG_NS1_7vsmem_tEENKUlT_SE_SF_SG_E_clIS8_S8_S9_S9_EESD_ST_SE_SF_SG_EUlST_E1_NS1_11comp_targetILNS1_3genE4ELNS1_11target_archE910ELNS1_3gpuE8ELNS1_3repE0EEENS1_36merge_oddeven_config_static_selectorELNS0_4arch9wavefront6targetE1EEEvSF_ ; -- Begin function _ZN7rocprim17ROCPRIM_400000_NS6detail17trampoline_kernelINS0_14default_configENS1_38merge_sort_block_merge_config_selectorIsNS0_10empty_typeEEEZZNS1_27merge_sort_block_merge_implIS3_PsPS5_jNS1_19radix_merge_compareILb1ELb1EsNS0_19identity_decomposerEEEEE10hipError_tT0_T1_T2_jT3_P12ihipStream_tbPNSt15iterator_traitsISE_E10value_typeEPNSK_ISF_E10value_typeEPSG_NS1_7vsmem_tEENKUlT_SE_SF_SG_E_clIS8_S8_S9_S9_EESD_ST_SE_SF_SG_EUlST_E1_NS1_11comp_targetILNS1_3genE4ELNS1_11target_archE910ELNS1_3gpuE8ELNS1_3repE0EEENS1_36merge_oddeven_config_static_selectorELNS0_4arch9wavefront6targetE1EEEvSF_
	.globl	_ZN7rocprim17ROCPRIM_400000_NS6detail17trampoline_kernelINS0_14default_configENS1_38merge_sort_block_merge_config_selectorIsNS0_10empty_typeEEEZZNS1_27merge_sort_block_merge_implIS3_PsPS5_jNS1_19radix_merge_compareILb1ELb1EsNS0_19identity_decomposerEEEEE10hipError_tT0_T1_T2_jT3_P12ihipStream_tbPNSt15iterator_traitsISE_E10value_typeEPNSK_ISF_E10value_typeEPSG_NS1_7vsmem_tEENKUlT_SE_SF_SG_E_clIS8_S8_S9_S9_EESD_ST_SE_SF_SG_EUlST_E1_NS1_11comp_targetILNS1_3genE4ELNS1_11target_archE910ELNS1_3gpuE8ELNS1_3repE0EEENS1_36merge_oddeven_config_static_selectorELNS0_4arch9wavefront6targetE1EEEvSF_
	.p2align	8
	.type	_ZN7rocprim17ROCPRIM_400000_NS6detail17trampoline_kernelINS0_14default_configENS1_38merge_sort_block_merge_config_selectorIsNS0_10empty_typeEEEZZNS1_27merge_sort_block_merge_implIS3_PsPS5_jNS1_19radix_merge_compareILb1ELb1EsNS0_19identity_decomposerEEEEE10hipError_tT0_T1_T2_jT3_P12ihipStream_tbPNSt15iterator_traitsISE_E10value_typeEPNSK_ISF_E10value_typeEPSG_NS1_7vsmem_tEENKUlT_SE_SF_SG_E_clIS8_S8_S9_S9_EESD_ST_SE_SF_SG_EUlST_E1_NS1_11comp_targetILNS1_3genE4ELNS1_11target_archE910ELNS1_3gpuE8ELNS1_3repE0EEENS1_36merge_oddeven_config_static_selectorELNS0_4arch9wavefront6targetE1EEEvSF_,@function
_ZN7rocprim17ROCPRIM_400000_NS6detail17trampoline_kernelINS0_14default_configENS1_38merge_sort_block_merge_config_selectorIsNS0_10empty_typeEEEZZNS1_27merge_sort_block_merge_implIS3_PsPS5_jNS1_19radix_merge_compareILb1ELb1EsNS0_19identity_decomposerEEEEE10hipError_tT0_T1_T2_jT3_P12ihipStream_tbPNSt15iterator_traitsISE_E10value_typeEPNSK_ISF_E10value_typeEPSG_NS1_7vsmem_tEENKUlT_SE_SF_SG_E_clIS8_S8_S9_S9_EESD_ST_SE_SF_SG_EUlST_E1_NS1_11comp_targetILNS1_3genE4ELNS1_11target_archE910ELNS1_3gpuE8ELNS1_3repE0EEENS1_36merge_oddeven_config_static_selectorELNS0_4arch9wavefront6targetE1EEEvSF_: ; @_ZN7rocprim17ROCPRIM_400000_NS6detail17trampoline_kernelINS0_14default_configENS1_38merge_sort_block_merge_config_selectorIsNS0_10empty_typeEEEZZNS1_27merge_sort_block_merge_implIS3_PsPS5_jNS1_19radix_merge_compareILb1ELb1EsNS0_19identity_decomposerEEEEE10hipError_tT0_T1_T2_jT3_P12ihipStream_tbPNSt15iterator_traitsISE_E10value_typeEPNSK_ISF_E10value_typeEPSG_NS1_7vsmem_tEENKUlT_SE_SF_SG_E_clIS8_S8_S9_S9_EESD_ST_SE_SF_SG_EUlST_E1_NS1_11comp_targetILNS1_3genE4ELNS1_11target_archE910ELNS1_3gpuE8ELNS1_3repE0EEENS1_36merge_oddeven_config_static_selectorELNS0_4arch9wavefront6targetE1EEEvSF_
; %bb.0:
	s_load_dword s18, s[4:5], 0x20
	s_waitcnt lgkmcnt(0)
	s_lshr_b32 s0, s18, 8
	s_cmp_lg_u32 s6, s0
	s_cselect_b64 s[14:15], -1, 0
	s_cmp_eq_u32 s6, s0
	s_cselect_b64 s[12:13], -1, 0
	s_lshl_b32 s16, s6, 8
	s_sub_i32 s0, s18, s16
	v_cmp_gt_u32_e64 s[2:3], s0, v0
	s_or_b64 s[0:1], s[14:15], s[2:3]
	s_and_saveexec_b64 s[8:9], s[0:1]
	s_cbranch_execz .LBB1803_20
; %bb.1:
	s_load_dwordx4 s[8:11], s[4:5], 0x0
	s_load_dword s19, s[4:5], 0x24
	s_mov_b32 s17, 0
	s_lshl_b64 s[0:1], s[16:17], 1
	v_lshlrev_b32_e32 v1, 1, v0
	s_waitcnt lgkmcnt(0)
	s_add_u32 s0, s8, s0
	s_addc_u32 s1, s9, s1
	global_load_ushort v2, v1, s[0:1]
	s_lshr_b32 s0, s19, 8
	s_sub_i32 s1, 0, s0
	s_and_b32 s1, s6, s1
	s_and_b32 s0, s1, s0
	s_lshl_b32 s20, s1, 8
	s_sub_i32 s17, 0, s19
	s_cmp_eq_u32 s0, 0
	s_cselect_b64 s[0:1], -1, 0
	s_and_b64 s[6:7], s[0:1], exec
	s_cselect_b32 s17, s19, s17
	s_add_i32 s17, s17, s20
	s_cmp_lt_u32 s17, s18
	v_add_u32_e32 v0, s16, v0
	s_cbranch_scc1 .LBB1803_3
; %bb.2:
	v_cmp_gt_u32_e32 vcc, s18, v0
	s_or_b64 s[6:7], vcc, s[14:15]
	s_and_b64 s[6:7], s[6:7], exec
	s_cbranch_execz .LBB1803_4
	s_branch .LBB1803_18
.LBB1803_3:
	s_mov_b64 s[6:7], 0
.LBB1803_4:
	s_load_dword s14, s[4:5], 0x28
	s_min_u32 s15, s17, s18
	s_add_i32 s4, s15, s19
	s_min_u32 s16, s4, s18
	s_min_u32 s4, s20, s15
	s_add_i32 s20, s20, s15
	v_subrev_u32_e32 v0, s20, v0
	v_add_u32_e32 v1, s4, v0
	s_and_b64 vcc, exec, s[12:13]
	s_cbranch_vccz .LBB1803_12
; %bb.5:
                                        ; implicit-def: $vgpr0
	s_and_saveexec_b64 s[4:5], s[2:3]
	s_cbranch_execz .LBB1803_11
; %bb.6:
	s_cmp_ge_u32 s17, s16
	v_mov_b32_e32 v0, s15
	s_cbranch_scc1 .LBB1803_10
; %bb.7:
	s_waitcnt vmcnt(0) lgkmcnt(0)
	v_and_b32_e32 v3, s14, v2
	s_mov_b64 s[2:3], 0
	v_mov_b32_e32 v4, s16
	v_mov_b32_e32 v0, s15
.LBB1803_8:                             ; =>This Inner Loop Header: Depth=1
	v_add_u32_e32 v5, v0, v4
	v_and_b32_e32 v6, -2, v5
	global_load_ushort v6, v6, s[8:9]
	v_lshrrev_b32_e32 v5, 1, v5
	v_add_u32_e32 v7, 1, v5
	s_waitcnt vmcnt(0)
	v_and_b32_e32 v6, s14, v6
	v_cmp_gt_i16_e32 vcc, v6, v3
	v_cndmask_b32_e64 v8, 0, 1, vcc
	v_cmp_le_i16_e32 vcc, v3, v6
	v_cndmask_b32_e64 v6, 0, 1, vcc
	v_cndmask_b32_e64 v6, v6, v8, s[0:1]
	v_and_b32_e32 v6, 1, v6
	v_cmp_eq_u32_e32 vcc, 1, v6
	v_cndmask_b32_e32 v4, v5, v4, vcc
	v_cndmask_b32_e32 v0, v0, v7, vcc
	v_cmp_ge_u32_e32 vcc, v0, v4
	s_or_b64 s[2:3], vcc, s[2:3]
	s_andn2_b64 exec, exec, s[2:3]
	s_cbranch_execnz .LBB1803_8
; %bb.9:
	s_or_b64 exec, exec, s[2:3]
.LBB1803_10:
	v_add_u32_e32 v0, v0, v1
	s_or_b64 s[6:7], s[6:7], exec
.LBB1803_11:
	s_or_b64 exec, exec, s[4:5]
	s_branch .LBB1803_18
.LBB1803_12:
                                        ; implicit-def: $vgpr0
	s_cbranch_execz .LBB1803_18
; %bb.13:
	s_cmp_ge_u32 s17, s16
	v_mov_b32_e32 v0, s15
	s_cbranch_scc1 .LBB1803_17
; %bb.14:
	s_waitcnt vmcnt(0) lgkmcnt(0)
	v_and_b32_e32 v3, s14, v2
	s_mov_b64 s[2:3], 0
	v_mov_b32_e32 v4, s16
	v_mov_b32_e32 v0, s15
.LBB1803_15:                            ; =>This Inner Loop Header: Depth=1
	v_add_u32_e32 v5, v0, v4
	v_and_b32_e32 v6, -2, v5
	global_load_ushort v6, v6, s[8:9]
	v_lshrrev_b32_e32 v5, 1, v5
	v_add_u32_e32 v7, 1, v5
	s_waitcnt vmcnt(0)
	v_and_b32_e32 v6, s14, v6
	v_cmp_gt_i16_e32 vcc, v6, v3
	v_cndmask_b32_e64 v8, 0, 1, vcc
	v_cmp_le_i16_e32 vcc, v3, v6
	v_cndmask_b32_e64 v6, 0, 1, vcc
	v_cndmask_b32_e64 v6, v6, v8, s[0:1]
	v_and_b32_e32 v6, 1, v6
	v_cmp_eq_u32_e32 vcc, 1, v6
	v_cndmask_b32_e32 v4, v5, v4, vcc
	v_cndmask_b32_e32 v0, v0, v7, vcc
	v_cmp_ge_u32_e32 vcc, v0, v4
	s_or_b64 s[2:3], vcc, s[2:3]
	s_andn2_b64 exec, exec, s[2:3]
	s_cbranch_execnz .LBB1803_15
; %bb.16:
	s_or_b64 exec, exec, s[2:3]
.LBB1803_17:
	v_add_u32_e32 v0, v0, v1
	s_mov_b64 s[6:7], -1
.LBB1803_18:
	s_and_b64 exec, exec, s[6:7]
	s_cbranch_execz .LBB1803_20
; %bb.19:
	v_mov_b32_e32 v1, 0
	v_lshlrev_b64 v[0:1], 1, v[0:1]
	v_mov_b32_e32 v3, s11
	v_add_co_u32_e32 v0, vcc, s10, v0
	v_addc_co_u32_e32 v1, vcc, v3, v1, vcc
	s_waitcnt vmcnt(0)
	global_store_short v[0:1], v2, off
.LBB1803_20:
	s_endpgm
	.section	.rodata,"a",@progbits
	.p2align	6, 0x0
	.amdhsa_kernel _ZN7rocprim17ROCPRIM_400000_NS6detail17trampoline_kernelINS0_14default_configENS1_38merge_sort_block_merge_config_selectorIsNS0_10empty_typeEEEZZNS1_27merge_sort_block_merge_implIS3_PsPS5_jNS1_19radix_merge_compareILb1ELb1EsNS0_19identity_decomposerEEEEE10hipError_tT0_T1_T2_jT3_P12ihipStream_tbPNSt15iterator_traitsISE_E10value_typeEPNSK_ISF_E10value_typeEPSG_NS1_7vsmem_tEENKUlT_SE_SF_SG_E_clIS8_S8_S9_S9_EESD_ST_SE_SF_SG_EUlST_E1_NS1_11comp_targetILNS1_3genE4ELNS1_11target_archE910ELNS1_3gpuE8ELNS1_3repE0EEENS1_36merge_oddeven_config_static_selectorELNS0_4arch9wavefront6targetE1EEEvSF_
		.amdhsa_group_segment_fixed_size 0
		.amdhsa_private_segment_fixed_size 0
		.amdhsa_kernarg_size 48
		.amdhsa_user_sgpr_count 6
		.amdhsa_user_sgpr_private_segment_buffer 1
		.amdhsa_user_sgpr_dispatch_ptr 0
		.amdhsa_user_sgpr_queue_ptr 0
		.amdhsa_user_sgpr_kernarg_segment_ptr 1
		.amdhsa_user_sgpr_dispatch_id 0
		.amdhsa_user_sgpr_flat_scratch_init 0
		.amdhsa_user_sgpr_kernarg_preload_length 0
		.amdhsa_user_sgpr_kernarg_preload_offset 0
		.amdhsa_user_sgpr_private_segment_size 0
		.amdhsa_uses_dynamic_stack 0
		.amdhsa_system_sgpr_private_segment_wavefront_offset 0
		.amdhsa_system_sgpr_workgroup_id_x 1
		.amdhsa_system_sgpr_workgroup_id_y 0
		.amdhsa_system_sgpr_workgroup_id_z 0
		.amdhsa_system_sgpr_workgroup_info 0
		.amdhsa_system_vgpr_workitem_id 0
		.amdhsa_next_free_vgpr 9
		.amdhsa_next_free_sgpr 21
		.amdhsa_accum_offset 12
		.amdhsa_reserve_vcc 1
		.amdhsa_reserve_flat_scratch 0
		.amdhsa_float_round_mode_32 0
		.amdhsa_float_round_mode_16_64 0
		.amdhsa_float_denorm_mode_32 3
		.amdhsa_float_denorm_mode_16_64 3
		.amdhsa_dx10_clamp 1
		.amdhsa_ieee_mode 1
		.amdhsa_fp16_overflow 0
		.amdhsa_tg_split 0
		.amdhsa_exception_fp_ieee_invalid_op 0
		.amdhsa_exception_fp_denorm_src 0
		.amdhsa_exception_fp_ieee_div_zero 0
		.amdhsa_exception_fp_ieee_overflow 0
		.amdhsa_exception_fp_ieee_underflow 0
		.amdhsa_exception_fp_ieee_inexact 0
		.amdhsa_exception_int_div_zero 0
	.end_amdhsa_kernel
	.section	.text._ZN7rocprim17ROCPRIM_400000_NS6detail17trampoline_kernelINS0_14default_configENS1_38merge_sort_block_merge_config_selectorIsNS0_10empty_typeEEEZZNS1_27merge_sort_block_merge_implIS3_PsPS5_jNS1_19radix_merge_compareILb1ELb1EsNS0_19identity_decomposerEEEEE10hipError_tT0_T1_T2_jT3_P12ihipStream_tbPNSt15iterator_traitsISE_E10value_typeEPNSK_ISF_E10value_typeEPSG_NS1_7vsmem_tEENKUlT_SE_SF_SG_E_clIS8_S8_S9_S9_EESD_ST_SE_SF_SG_EUlST_E1_NS1_11comp_targetILNS1_3genE4ELNS1_11target_archE910ELNS1_3gpuE8ELNS1_3repE0EEENS1_36merge_oddeven_config_static_selectorELNS0_4arch9wavefront6targetE1EEEvSF_,"axG",@progbits,_ZN7rocprim17ROCPRIM_400000_NS6detail17trampoline_kernelINS0_14default_configENS1_38merge_sort_block_merge_config_selectorIsNS0_10empty_typeEEEZZNS1_27merge_sort_block_merge_implIS3_PsPS5_jNS1_19radix_merge_compareILb1ELb1EsNS0_19identity_decomposerEEEEE10hipError_tT0_T1_T2_jT3_P12ihipStream_tbPNSt15iterator_traitsISE_E10value_typeEPNSK_ISF_E10value_typeEPSG_NS1_7vsmem_tEENKUlT_SE_SF_SG_E_clIS8_S8_S9_S9_EESD_ST_SE_SF_SG_EUlST_E1_NS1_11comp_targetILNS1_3genE4ELNS1_11target_archE910ELNS1_3gpuE8ELNS1_3repE0EEENS1_36merge_oddeven_config_static_selectorELNS0_4arch9wavefront6targetE1EEEvSF_,comdat
.Lfunc_end1803:
	.size	_ZN7rocprim17ROCPRIM_400000_NS6detail17trampoline_kernelINS0_14default_configENS1_38merge_sort_block_merge_config_selectorIsNS0_10empty_typeEEEZZNS1_27merge_sort_block_merge_implIS3_PsPS5_jNS1_19radix_merge_compareILb1ELb1EsNS0_19identity_decomposerEEEEE10hipError_tT0_T1_T2_jT3_P12ihipStream_tbPNSt15iterator_traitsISE_E10value_typeEPNSK_ISF_E10value_typeEPSG_NS1_7vsmem_tEENKUlT_SE_SF_SG_E_clIS8_S8_S9_S9_EESD_ST_SE_SF_SG_EUlST_E1_NS1_11comp_targetILNS1_3genE4ELNS1_11target_archE910ELNS1_3gpuE8ELNS1_3repE0EEENS1_36merge_oddeven_config_static_selectorELNS0_4arch9wavefront6targetE1EEEvSF_, .Lfunc_end1803-_ZN7rocprim17ROCPRIM_400000_NS6detail17trampoline_kernelINS0_14default_configENS1_38merge_sort_block_merge_config_selectorIsNS0_10empty_typeEEEZZNS1_27merge_sort_block_merge_implIS3_PsPS5_jNS1_19radix_merge_compareILb1ELb1EsNS0_19identity_decomposerEEEEE10hipError_tT0_T1_T2_jT3_P12ihipStream_tbPNSt15iterator_traitsISE_E10value_typeEPNSK_ISF_E10value_typeEPSG_NS1_7vsmem_tEENKUlT_SE_SF_SG_E_clIS8_S8_S9_S9_EESD_ST_SE_SF_SG_EUlST_E1_NS1_11comp_targetILNS1_3genE4ELNS1_11target_archE910ELNS1_3gpuE8ELNS1_3repE0EEENS1_36merge_oddeven_config_static_selectorELNS0_4arch9wavefront6targetE1EEEvSF_
                                        ; -- End function
	.section	.AMDGPU.csdata,"",@progbits
; Kernel info:
; codeLenInByte = 580
; NumSgprs: 25
; NumVgprs: 9
; NumAgprs: 0
; TotalNumVgprs: 9
; ScratchSize: 0
; MemoryBound: 0
; FloatMode: 240
; IeeeMode: 1
; LDSByteSize: 0 bytes/workgroup (compile time only)
; SGPRBlocks: 3
; VGPRBlocks: 1
; NumSGPRsForWavesPerEU: 25
; NumVGPRsForWavesPerEU: 9
; AccumOffset: 12
; Occupancy: 8
; WaveLimiterHint : 0
; COMPUTE_PGM_RSRC2:SCRATCH_EN: 0
; COMPUTE_PGM_RSRC2:USER_SGPR: 6
; COMPUTE_PGM_RSRC2:TRAP_HANDLER: 0
; COMPUTE_PGM_RSRC2:TGID_X_EN: 1
; COMPUTE_PGM_RSRC2:TGID_Y_EN: 0
; COMPUTE_PGM_RSRC2:TGID_Z_EN: 0
; COMPUTE_PGM_RSRC2:TIDIG_COMP_CNT: 0
; COMPUTE_PGM_RSRC3_GFX90A:ACCUM_OFFSET: 2
; COMPUTE_PGM_RSRC3_GFX90A:TG_SPLIT: 0
	.section	.text._ZN7rocprim17ROCPRIM_400000_NS6detail17trampoline_kernelINS0_14default_configENS1_38merge_sort_block_merge_config_selectorIsNS0_10empty_typeEEEZZNS1_27merge_sort_block_merge_implIS3_PsPS5_jNS1_19radix_merge_compareILb1ELb1EsNS0_19identity_decomposerEEEEE10hipError_tT0_T1_T2_jT3_P12ihipStream_tbPNSt15iterator_traitsISE_E10value_typeEPNSK_ISF_E10value_typeEPSG_NS1_7vsmem_tEENKUlT_SE_SF_SG_E_clIS8_S8_S9_S9_EESD_ST_SE_SF_SG_EUlST_E1_NS1_11comp_targetILNS1_3genE3ELNS1_11target_archE908ELNS1_3gpuE7ELNS1_3repE0EEENS1_36merge_oddeven_config_static_selectorELNS0_4arch9wavefront6targetE1EEEvSF_,"axG",@progbits,_ZN7rocprim17ROCPRIM_400000_NS6detail17trampoline_kernelINS0_14default_configENS1_38merge_sort_block_merge_config_selectorIsNS0_10empty_typeEEEZZNS1_27merge_sort_block_merge_implIS3_PsPS5_jNS1_19radix_merge_compareILb1ELb1EsNS0_19identity_decomposerEEEEE10hipError_tT0_T1_T2_jT3_P12ihipStream_tbPNSt15iterator_traitsISE_E10value_typeEPNSK_ISF_E10value_typeEPSG_NS1_7vsmem_tEENKUlT_SE_SF_SG_E_clIS8_S8_S9_S9_EESD_ST_SE_SF_SG_EUlST_E1_NS1_11comp_targetILNS1_3genE3ELNS1_11target_archE908ELNS1_3gpuE7ELNS1_3repE0EEENS1_36merge_oddeven_config_static_selectorELNS0_4arch9wavefront6targetE1EEEvSF_,comdat
	.protected	_ZN7rocprim17ROCPRIM_400000_NS6detail17trampoline_kernelINS0_14default_configENS1_38merge_sort_block_merge_config_selectorIsNS0_10empty_typeEEEZZNS1_27merge_sort_block_merge_implIS3_PsPS5_jNS1_19radix_merge_compareILb1ELb1EsNS0_19identity_decomposerEEEEE10hipError_tT0_T1_T2_jT3_P12ihipStream_tbPNSt15iterator_traitsISE_E10value_typeEPNSK_ISF_E10value_typeEPSG_NS1_7vsmem_tEENKUlT_SE_SF_SG_E_clIS8_S8_S9_S9_EESD_ST_SE_SF_SG_EUlST_E1_NS1_11comp_targetILNS1_3genE3ELNS1_11target_archE908ELNS1_3gpuE7ELNS1_3repE0EEENS1_36merge_oddeven_config_static_selectorELNS0_4arch9wavefront6targetE1EEEvSF_ ; -- Begin function _ZN7rocprim17ROCPRIM_400000_NS6detail17trampoline_kernelINS0_14default_configENS1_38merge_sort_block_merge_config_selectorIsNS0_10empty_typeEEEZZNS1_27merge_sort_block_merge_implIS3_PsPS5_jNS1_19radix_merge_compareILb1ELb1EsNS0_19identity_decomposerEEEEE10hipError_tT0_T1_T2_jT3_P12ihipStream_tbPNSt15iterator_traitsISE_E10value_typeEPNSK_ISF_E10value_typeEPSG_NS1_7vsmem_tEENKUlT_SE_SF_SG_E_clIS8_S8_S9_S9_EESD_ST_SE_SF_SG_EUlST_E1_NS1_11comp_targetILNS1_3genE3ELNS1_11target_archE908ELNS1_3gpuE7ELNS1_3repE0EEENS1_36merge_oddeven_config_static_selectorELNS0_4arch9wavefront6targetE1EEEvSF_
	.globl	_ZN7rocprim17ROCPRIM_400000_NS6detail17trampoline_kernelINS0_14default_configENS1_38merge_sort_block_merge_config_selectorIsNS0_10empty_typeEEEZZNS1_27merge_sort_block_merge_implIS3_PsPS5_jNS1_19radix_merge_compareILb1ELb1EsNS0_19identity_decomposerEEEEE10hipError_tT0_T1_T2_jT3_P12ihipStream_tbPNSt15iterator_traitsISE_E10value_typeEPNSK_ISF_E10value_typeEPSG_NS1_7vsmem_tEENKUlT_SE_SF_SG_E_clIS8_S8_S9_S9_EESD_ST_SE_SF_SG_EUlST_E1_NS1_11comp_targetILNS1_3genE3ELNS1_11target_archE908ELNS1_3gpuE7ELNS1_3repE0EEENS1_36merge_oddeven_config_static_selectorELNS0_4arch9wavefront6targetE1EEEvSF_
	.p2align	8
	.type	_ZN7rocprim17ROCPRIM_400000_NS6detail17trampoline_kernelINS0_14default_configENS1_38merge_sort_block_merge_config_selectorIsNS0_10empty_typeEEEZZNS1_27merge_sort_block_merge_implIS3_PsPS5_jNS1_19radix_merge_compareILb1ELb1EsNS0_19identity_decomposerEEEEE10hipError_tT0_T1_T2_jT3_P12ihipStream_tbPNSt15iterator_traitsISE_E10value_typeEPNSK_ISF_E10value_typeEPSG_NS1_7vsmem_tEENKUlT_SE_SF_SG_E_clIS8_S8_S9_S9_EESD_ST_SE_SF_SG_EUlST_E1_NS1_11comp_targetILNS1_3genE3ELNS1_11target_archE908ELNS1_3gpuE7ELNS1_3repE0EEENS1_36merge_oddeven_config_static_selectorELNS0_4arch9wavefront6targetE1EEEvSF_,@function
_ZN7rocprim17ROCPRIM_400000_NS6detail17trampoline_kernelINS0_14default_configENS1_38merge_sort_block_merge_config_selectorIsNS0_10empty_typeEEEZZNS1_27merge_sort_block_merge_implIS3_PsPS5_jNS1_19radix_merge_compareILb1ELb1EsNS0_19identity_decomposerEEEEE10hipError_tT0_T1_T2_jT3_P12ihipStream_tbPNSt15iterator_traitsISE_E10value_typeEPNSK_ISF_E10value_typeEPSG_NS1_7vsmem_tEENKUlT_SE_SF_SG_E_clIS8_S8_S9_S9_EESD_ST_SE_SF_SG_EUlST_E1_NS1_11comp_targetILNS1_3genE3ELNS1_11target_archE908ELNS1_3gpuE7ELNS1_3repE0EEENS1_36merge_oddeven_config_static_selectorELNS0_4arch9wavefront6targetE1EEEvSF_: ; @_ZN7rocprim17ROCPRIM_400000_NS6detail17trampoline_kernelINS0_14default_configENS1_38merge_sort_block_merge_config_selectorIsNS0_10empty_typeEEEZZNS1_27merge_sort_block_merge_implIS3_PsPS5_jNS1_19radix_merge_compareILb1ELb1EsNS0_19identity_decomposerEEEEE10hipError_tT0_T1_T2_jT3_P12ihipStream_tbPNSt15iterator_traitsISE_E10value_typeEPNSK_ISF_E10value_typeEPSG_NS1_7vsmem_tEENKUlT_SE_SF_SG_E_clIS8_S8_S9_S9_EESD_ST_SE_SF_SG_EUlST_E1_NS1_11comp_targetILNS1_3genE3ELNS1_11target_archE908ELNS1_3gpuE7ELNS1_3repE0EEENS1_36merge_oddeven_config_static_selectorELNS0_4arch9wavefront6targetE1EEEvSF_
; %bb.0:
	.section	.rodata,"a",@progbits
	.p2align	6, 0x0
	.amdhsa_kernel _ZN7rocprim17ROCPRIM_400000_NS6detail17trampoline_kernelINS0_14default_configENS1_38merge_sort_block_merge_config_selectorIsNS0_10empty_typeEEEZZNS1_27merge_sort_block_merge_implIS3_PsPS5_jNS1_19radix_merge_compareILb1ELb1EsNS0_19identity_decomposerEEEEE10hipError_tT0_T1_T2_jT3_P12ihipStream_tbPNSt15iterator_traitsISE_E10value_typeEPNSK_ISF_E10value_typeEPSG_NS1_7vsmem_tEENKUlT_SE_SF_SG_E_clIS8_S8_S9_S9_EESD_ST_SE_SF_SG_EUlST_E1_NS1_11comp_targetILNS1_3genE3ELNS1_11target_archE908ELNS1_3gpuE7ELNS1_3repE0EEENS1_36merge_oddeven_config_static_selectorELNS0_4arch9wavefront6targetE1EEEvSF_
		.amdhsa_group_segment_fixed_size 0
		.amdhsa_private_segment_fixed_size 0
		.amdhsa_kernarg_size 48
		.amdhsa_user_sgpr_count 6
		.amdhsa_user_sgpr_private_segment_buffer 1
		.amdhsa_user_sgpr_dispatch_ptr 0
		.amdhsa_user_sgpr_queue_ptr 0
		.amdhsa_user_sgpr_kernarg_segment_ptr 1
		.amdhsa_user_sgpr_dispatch_id 0
		.amdhsa_user_sgpr_flat_scratch_init 0
		.amdhsa_user_sgpr_kernarg_preload_length 0
		.amdhsa_user_sgpr_kernarg_preload_offset 0
		.amdhsa_user_sgpr_private_segment_size 0
		.amdhsa_uses_dynamic_stack 0
		.amdhsa_system_sgpr_private_segment_wavefront_offset 0
		.amdhsa_system_sgpr_workgroup_id_x 1
		.amdhsa_system_sgpr_workgroup_id_y 0
		.amdhsa_system_sgpr_workgroup_id_z 0
		.amdhsa_system_sgpr_workgroup_info 0
		.amdhsa_system_vgpr_workitem_id 0
		.amdhsa_next_free_vgpr 1
		.amdhsa_next_free_sgpr 0
		.amdhsa_accum_offset 4
		.amdhsa_reserve_vcc 0
		.amdhsa_reserve_flat_scratch 0
		.amdhsa_float_round_mode_32 0
		.amdhsa_float_round_mode_16_64 0
		.amdhsa_float_denorm_mode_32 3
		.amdhsa_float_denorm_mode_16_64 3
		.amdhsa_dx10_clamp 1
		.amdhsa_ieee_mode 1
		.amdhsa_fp16_overflow 0
		.amdhsa_tg_split 0
		.amdhsa_exception_fp_ieee_invalid_op 0
		.amdhsa_exception_fp_denorm_src 0
		.amdhsa_exception_fp_ieee_div_zero 0
		.amdhsa_exception_fp_ieee_overflow 0
		.amdhsa_exception_fp_ieee_underflow 0
		.amdhsa_exception_fp_ieee_inexact 0
		.amdhsa_exception_int_div_zero 0
	.end_amdhsa_kernel
	.section	.text._ZN7rocprim17ROCPRIM_400000_NS6detail17trampoline_kernelINS0_14default_configENS1_38merge_sort_block_merge_config_selectorIsNS0_10empty_typeEEEZZNS1_27merge_sort_block_merge_implIS3_PsPS5_jNS1_19radix_merge_compareILb1ELb1EsNS0_19identity_decomposerEEEEE10hipError_tT0_T1_T2_jT3_P12ihipStream_tbPNSt15iterator_traitsISE_E10value_typeEPNSK_ISF_E10value_typeEPSG_NS1_7vsmem_tEENKUlT_SE_SF_SG_E_clIS8_S8_S9_S9_EESD_ST_SE_SF_SG_EUlST_E1_NS1_11comp_targetILNS1_3genE3ELNS1_11target_archE908ELNS1_3gpuE7ELNS1_3repE0EEENS1_36merge_oddeven_config_static_selectorELNS0_4arch9wavefront6targetE1EEEvSF_,"axG",@progbits,_ZN7rocprim17ROCPRIM_400000_NS6detail17trampoline_kernelINS0_14default_configENS1_38merge_sort_block_merge_config_selectorIsNS0_10empty_typeEEEZZNS1_27merge_sort_block_merge_implIS3_PsPS5_jNS1_19radix_merge_compareILb1ELb1EsNS0_19identity_decomposerEEEEE10hipError_tT0_T1_T2_jT3_P12ihipStream_tbPNSt15iterator_traitsISE_E10value_typeEPNSK_ISF_E10value_typeEPSG_NS1_7vsmem_tEENKUlT_SE_SF_SG_E_clIS8_S8_S9_S9_EESD_ST_SE_SF_SG_EUlST_E1_NS1_11comp_targetILNS1_3genE3ELNS1_11target_archE908ELNS1_3gpuE7ELNS1_3repE0EEENS1_36merge_oddeven_config_static_selectorELNS0_4arch9wavefront6targetE1EEEvSF_,comdat
.Lfunc_end1804:
	.size	_ZN7rocprim17ROCPRIM_400000_NS6detail17trampoline_kernelINS0_14default_configENS1_38merge_sort_block_merge_config_selectorIsNS0_10empty_typeEEEZZNS1_27merge_sort_block_merge_implIS3_PsPS5_jNS1_19radix_merge_compareILb1ELb1EsNS0_19identity_decomposerEEEEE10hipError_tT0_T1_T2_jT3_P12ihipStream_tbPNSt15iterator_traitsISE_E10value_typeEPNSK_ISF_E10value_typeEPSG_NS1_7vsmem_tEENKUlT_SE_SF_SG_E_clIS8_S8_S9_S9_EESD_ST_SE_SF_SG_EUlST_E1_NS1_11comp_targetILNS1_3genE3ELNS1_11target_archE908ELNS1_3gpuE7ELNS1_3repE0EEENS1_36merge_oddeven_config_static_selectorELNS0_4arch9wavefront6targetE1EEEvSF_, .Lfunc_end1804-_ZN7rocprim17ROCPRIM_400000_NS6detail17trampoline_kernelINS0_14default_configENS1_38merge_sort_block_merge_config_selectorIsNS0_10empty_typeEEEZZNS1_27merge_sort_block_merge_implIS3_PsPS5_jNS1_19radix_merge_compareILb1ELb1EsNS0_19identity_decomposerEEEEE10hipError_tT0_T1_T2_jT3_P12ihipStream_tbPNSt15iterator_traitsISE_E10value_typeEPNSK_ISF_E10value_typeEPSG_NS1_7vsmem_tEENKUlT_SE_SF_SG_E_clIS8_S8_S9_S9_EESD_ST_SE_SF_SG_EUlST_E1_NS1_11comp_targetILNS1_3genE3ELNS1_11target_archE908ELNS1_3gpuE7ELNS1_3repE0EEENS1_36merge_oddeven_config_static_selectorELNS0_4arch9wavefront6targetE1EEEvSF_
                                        ; -- End function
	.section	.AMDGPU.csdata,"",@progbits
; Kernel info:
; codeLenInByte = 0
; NumSgprs: 4
; NumVgprs: 0
; NumAgprs: 0
; TotalNumVgprs: 0
; ScratchSize: 0
; MemoryBound: 0
; FloatMode: 240
; IeeeMode: 1
; LDSByteSize: 0 bytes/workgroup (compile time only)
; SGPRBlocks: 0
; VGPRBlocks: 0
; NumSGPRsForWavesPerEU: 4
; NumVGPRsForWavesPerEU: 1
; AccumOffset: 4
; Occupancy: 8
; WaveLimiterHint : 0
; COMPUTE_PGM_RSRC2:SCRATCH_EN: 0
; COMPUTE_PGM_RSRC2:USER_SGPR: 6
; COMPUTE_PGM_RSRC2:TRAP_HANDLER: 0
; COMPUTE_PGM_RSRC2:TGID_X_EN: 1
; COMPUTE_PGM_RSRC2:TGID_Y_EN: 0
; COMPUTE_PGM_RSRC2:TGID_Z_EN: 0
; COMPUTE_PGM_RSRC2:TIDIG_COMP_CNT: 0
; COMPUTE_PGM_RSRC3_GFX90A:ACCUM_OFFSET: 0
; COMPUTE_PGM_RSRC3_GFX90A:TG_SPLIT: 0
	.section	.text._ZN7rocprim17ROCPRIM_400000_NS6detail17trampoline_kernelINS0_14default_configENS1_38merge_sort_block_merge_config_selectorIsNS0_10empty_typeEEEZZNS1_27merge_sort_block_merge_implIS3_PsPS5_jNS1_19radix_merge_compareILb1ELb1EsNS0_19identity_decomposerEEEEE10hipError_tT0_T1_T2_jT3_P12ihipStream_tbPNSt15iterator_traitsISE_E10value_typeEPNSK_ISF_E10value_typeEPSG_NS1_7vsmem_tEENKUlT_SE_SF_SG_E_clIS8_S8_S9_S9_EESD_ST_SE_SF_SG_EUlST_E1_NS1_11comp_targetILNS1_3genE2ELNS1_11target_archE906ELNS1_3gpuE6ELNS1_3repE0EEENS1_36merge_oddeven_config_static_selectorELNS0_4arch9wavefront6targetE1EEEvSF_,"axG",@progbits,_ZN7rocprim17ROCPRIM_400000_NS6detail17trampoline_kernelINS0_14default_configENS1_38merge_sort_block_merge_config_selectorIsNS0_10empty_typeEEEZZNS1_27merge_sort_block_merge_implIS3_PsPS5_jNS1_19radix_merge_compareILb1ELb1EsNS0_19identity_decomposerEEEEE10hipError_tT0_T1_T2_jT3_P12ihipStream_tbPNSt15iterator_traitsISE_E10value_typeEPNSK_ISF_E10value_typeEPSG_NS1_7vsmem_tEENKUlT_SE_SF_SG_E_clIS8_S8_S9_S9_EESD_ST_SE_SF_SG_EUlST_E1_NS1_11comp_targetILNS1_3genE2ELNS1_11target_archE906ELNS1_3gpuE6ELNS1_3repE0EEENS1_36merge_oddeven_config_static_selectorELNS0_4arch9wavefront6targetE1EEEvSF_,comdat
	.protected	_ZN7rocprim17ROCPRIM_400000_NS6detail17trampoline_kernelINS0_14default_configENS1_38merge_sort_block_merge_config_selectorIsNS0_10empty_typeEEEZZNS1_27merge_sort_block_merge_implIS3_PsPS5_jNS1_19radix_merge_compareILb1ELb1EsNS0_19identity_decomposerEEEEE10hipError_tT0_T1_T2_jT3_P12ihipStream_tbPNSt15iterator_traitsISE_E10value_typeEPNSK_ISF_E10value_typeEPSG_NS1_7vsmem_tEENKUlT_SE_SF_SG_E_clIS8_S8_S9_S9_EESD_ST_SE_SF_SG_EUlST_E1_NS1_11comp_targetILNS1_3genE2ELNS1_11target_archE906ELNS1_3gpuE6ELNS1_3repE0EEENS1_36merge_oddeven_config_static_selectorELNS0_4arch9wavefront6targetE1EEEvSF_ ; -- Begin function _ZN7rocprim17ROCPRIM_400000_NS6detail17trampoline_kernelINS0_14default_configENS1_38merge_sort_block_merge_config_selectorIsNS0_10empty_typeEEEZZNS1_27merge_sort_block_merge_implIS3_PsPS5_jNS1_19radix_merge_compareILb1ELb1EsNS0_19identity_decomposerEEEEE10hipError_tT0_T1_T2_jT3_P12ihipStream_tbPNSt15iterator_traitsISE_E10value_typeEPNSK_ISF_E10value_typeEPSG_NS1_7vsmem_tEENKUlT_SE_SF_SG_E_clIS8_S8_S9_S9_EESD_ST_SE_SF_SG_EUlST_E1_NS1_11comp_targetILNS1_3genE2ELNS1_11target_archE906ELNS1_3gpuE6ELNS1_3repE0EEENS1_36merge_oddeven_config_static_selectorELNS0_4arch9wavefront6targetE1EEEvSF_
	.globl	_ZN7rocprim17ROCPRIM_400000_NS6detail17trampoline_kernelINS0_14default_configENS1_38merge_sort_block_merge_config_selectorIsNS0_10empty_typeEEEZZNS1_27merge_sort_block_merge_implIS3_PsPS5_jNS1_19radix_merge_compareILb1ELb1EsNS0_19identity_decomposerEEEEE10hipError_tT0_T1_T2_jT3_P12ihipStream_tbPNSt15iterator_traitsISE_E10value_typeEPNSK_ISF_E10value_typeEPSG_NS1_7vsmem_tEENKUlT_SE_SF_SG_E_clIS8_S8_S9_S9_EESD_ST_SE_SF_SG_EUlST_E1_NS1_11comp_targetILNS1_3genE2ELNS1_11target_archE906ELNS1_3gpuE6ELNS1_3repE0EEENS1_36merge_oddeven_config_static_selectorELNS0_4arch9wavefront6targetE1EEEvSF_
	.p2align	8
	.type	_ZN7rocprim17ROCPRIM_400000_NS6detail17trampoline_kernelINS0_14default_configENS1_38merge_sort_block_merge_config_selectorIsNS0_10empty_typeEEEZZNS1_27merge_sort_block_merge_implIS3_PsPS5_jNS1_19radix_merge_compareILb1ELb1EsNS0_19identity_decomposerEEEEE10hipError_tT0_T1_T2_jT3_P12ihipStream_tbPNSt15iterator_traitsISE_E10value_typeEPNSK_ISF_E10value_typeEPSG_NS1_7vsmem_tEENKUlT_SE_SF_SG_E_clIS8_S8_S9_S9_EESD_ST_SE_SF_SG_EUlST_E1_NS1_11comp_targetILNS1_3genE2ELNS1_11target_archE906ELNS1_3gpuE6ELNS1_3repE0EEENS1_36merge_oddeven_config_static_selectorELNS0_4arch9wavefront6targetE1EEEvSF_,@function
_ZN7rocprim17ROCPRIM_400000_NS6detail17trampoline_kernelINS0_14default_configENS1_38merge_sort_block_merge_config_selectorIsNS0_10empty_typeEEEZZNS1_27merge_sort_block_merge_implIS3_PsPS5_jNS1_19radix_merge_compareILb1ELb1EsNS0_19identity_decomposerEEEEE10hipError_tT0_T1_T2_jT3_P12ihipStream_tbPNSt15iterator_traitsISE_E10value_typeEPNSK_ISF_E10value_typeEPSG_NS1_7vsmem_tEENKUlT_SE_SF_SG_E_clIS8_S8_S9_S9_EESD_ST_SE_SF_SG_EUlST_E1_NS1_11comp_targetILNS1_3genE2ELNS1_11target_archE906ELNS1_3gpuE6ELNS1_3repE0EEENS1_36merge_oddeven_config_static_selectorELNS0_4arch9wavefront6targetE1EEEvSF_: ; @_ZN7rocprim17ROCPRIM_400000_NS6detail17trampoline_kernelINS0_14default_configENS1_38merge_sort_block_merge_config_selectorIsNS0_10empty_typeEEEZZNS1_27merge_sort_block_merge_implIS3_PsPS5_jNS1_19radix_merge_compareILb1ELb1EsNS0_19identity_decomposerEEEEE10hipError_tT0_T1_T2_jT3_P12ihipStream_tbPNSt15iterator_traitsISE_E10value_typeEPNSK_ISF_E10value_typeEPSG_NS1_7vsmem_tEENKUlT_SE_SF_SG_E_clIS8_S8_S9_S9_EESD_ST_SE_SF_SG_EUlST_E1_NS1_11comp_targetILNS1_3genE2ELNS1_11target_archE906ELNS1_3gpuE6ELNS1_3repE0EEENS1_36merge_oddeven_config_static_selectorELNS0_4arch9wavefront6targetE1EEEvSF_
; %bb.0:
	.section	.rodata,"a",@progbits
	.p2align	6, 0x0
	.amdhsa_kernel _ZN7rocprim17ROCPRIM_400000_NS6detail17trampoline_kernelINS0_14default_configENS1_38merge_sort_block_merge_config_selectorIsNS0_10empty_typeEEEZZNS1_27merge_sort_block_merge_implIS3_PsPS5_jNS1_19radix_merge_compareILb1ELb1EsNS0_19identity_decomposerEEEEE10hipError_tT0_T1_T2_jT3_P12ihipStream_tbPNSt15iterator_traitsISE_E10value_typeEPNSK_ISF_E10value_typeEPSG_NS1_7vsmem_tEENKUlT_SE_SF_SG_E_clIS8_S8_S9_S9_EESD_ST_SE_SF_SG_EUlST_E1_NS1_11comp_targetILNS1_3genE2ELNS1_11target_archE906ELNS1_3gpuE6ELNS1_3repE0EEENS1_36merge_oddeven_config_static_selectorELNS0_4arch9wavefront6targetE1EEEvSF_
		.amdhsa_group_segment_fixed_size 0
		.amdhsa_private_segment_fixed_size 0
		.amdhsa_kernarg_size 48
		.amdhsa_user_sgpr_count 6
		.amdhsa_user_sgpr_private_segment_buffer 1
		.amdhsa_user_sgpr_dispatch_ptr 0
		.amdhsa_user_sgpr_queue_ptr 0
		.amdhsa_user_sgpr_kernarg_segment_ptr 1
		.amdhsa_user_sgpr_dispatch_id 0
		.amdhsa_user_sgpr_flat_scratch_init 0
		.amdhsa_user_sgpr_kernarg_preload_length 0
		.amdhsa_user_sgpr_kernarg_preload_offset 0
		.amdhsa_user_sgpr_private_segment_size 0
		.amdhsa_uses_dynamic_stack 0
		.amdhsa_system_sgpr_private_segment_wavefront_offset 0
		.amdhsa_system_sgpr_workgroup_id_x 1
		.amdhsa_system_sgpr_workgroup_id_y 0
		.amdhsa_system_sgpr_workgroup_id_z 0
		.amdhsa_system_sgpr_workgroup_info 0
		.amdhsa_system_vgpr_workitem_id 0
		.amdhsa_next_free_vgpr 1
		.amdhsa_next_free_sgpr 0
		.amdhsa_accum_offset 4
		.amdhsa_reserve_vcc 0
		.amdhsa_reserve_flat_scratch 0
		.amdhsa_float_round_mode_32 0
		.amdhsa_float_round_mode_16_64 0
		.amdhsa_float_denorm_mode_32 3
		.amdhsa_float_denorm_mode_16_64 3
		.amdhsa_dx10_clamp 1
		.amdhsa_ieee_mode 1
		.amdhsa_fp16_overflow 0
		.amdhsa_tg_split 0
		.amdhsa_exception_fp_ieee_invalid_op 0
		.amdhsa_exception_fp_denorm_src 0
		.amdhsa_exception_fp_ieee_div_zero 0
		.amdhsa_exception_fp_ieee_overflow 0
		.amdhsa_exception_fp_ieee_underflow 0
		.amdhsa_exception_fp_ieee_inexact 0
		.amdhsa_exception_int_div_zero 0
	.end_amdhsa_kernel
	.section	.text._ZN7rocprim17ROCPRIM_400000_NS6detail17trampoline_kernelINS0_14default_configENS1_38merge_sort_block_merge_config_selectorIsNS0_10empty_typeEEEZZNS1_27merge_sort_block_merge_implIS3_PsPS5_jNS1_19radix_merge_compareILb1ELb1EsNS0_19identity_decomposerEEEEE10hipError_tT0_T1_T2_jT3_P12ihipStream_tbPNSt15iterator_traitsISE_E10value_typeEPNSK_ISF_E10value_typeEPSG_NS1_7vsmem_tEENKUlT_SE_SF_SG_E_clIS8_S8_S9_S9_EESD_ST_SE_SF_SG_EUlST_E1_NS1_11comp_targetILNS1_3genE2ELNS1_11target_archE906ELNS1_3gpuE6ELNS1_3repE0EEENS1_36merge_oddeven_config_static_selectorELNS0_4arch9wavefront6targetE1EEEvSF_,"axG",@progbits,_ZN7rocprim17ROCPRIM_400000_NS6detail17trampoline_kernelINS0_14default_configENS1_38merge_sort_block_merge_config_selectorIsNS0_10empty_typeEEEZZNS1_27merge_sort_block_merge_implIS3_PsPS5_jNS1_19radix_merge_compareILb1ELb1EsNS0_19identity_decomposerEEEEE10hipError_tT0_T1_T2_jT3_P12ihipStream_tbPNSt15iterator_traitsISE_E10value_typeEPNSK_ISF_E10value_typeEPSG_NS1_7vsmem_tEENKUlT_SE_SF_SG_E_clIS8_S8_S9_S9_EESD_ST_SE_SF_SG_EUlST_E1_NS1_11comp_targetILNS1_3genE2ELNS1_11target_archE906ELNS1_3gpuE6ELNS1_3repE0EEENS1_36merge_oddeven_config_static_selectorELNS0_4arch9wavefront6targetE1EEEvSF_,comdat
.Lfunc_end1805:
	.size	_ZN7rocprim17ROCPRIM_400000_NS6detail17trampoline_kernelINS0_14default_configENS1_38merge_sort_block_merge_config_selectorIsNS0_10empty_typeEEEZZNS1_27merge_sort_block_merge_implIS3_PsPS5_jNS1_19radix_merge_compareILb1ELb1EsNS0_19identity_decomposerEEEEE10hipError_tT0_T1_T2_jT3_P12ihipStream_tbPNSt15iterator_traitsISE_E10value_typeEPNSK_ISF_E10value_typeEPSG_NS1_7vsmem_tEENKUlT_SE_SF_SG_E_clIS8_S8_S9_S9_EESD_ST_SE_SF_SG_EUlST_E1_NS1_11comp_targetILNS1_3genE2ELNS1_11target_archE906ELNS1_3gpuE6ELNS1_3repE0EEENS1_36merge_oddeven_config_static_selectorELNS0_4arch9wavefront6targetE1EEEvSF_, .Lfunc_end1805-_ZN7rocprim17ROCPRIM_400000_NS6detail17trampoline_kernelINS0_14default_configENS1_38merge_sort_block_merge_config_selectorIsNS0_10empty_typeEEEZZNS1_27merge_sort_block_merge_implIS3_PsPS5_jNS1_19radix_merge_compareILb1ELb1EsNS0_19identity_decomposerEEEEE10hipError_tT0_T1_T2_jT3_P12ihipStream_tbPNSt15iterator_traitsISE_E10value_typeEPNSK_ISF_E10value_typeEPSG_NS1_7vsmem_tEENKUlT_SE_SF_SG_E_clIS8_S8_S9_S9_EESD_ST_SE_SF_SG_EUlST_E1_NS1_11comp_targetILNS1_3genE2ELNS1_11target_archE906ELNS1_3gpuE6ELNS1_3repE0EEENS1_36merge_oddeven_config_static_selectorELNS0_4arch9wavefront6targetE1EEEvSF_
                                        ; -- End function
	.section	.AMDGPU.csdata,"",@progbits
; Kernel info:
; codeLenInByte = 0
; NumSgprs: 4
; NumVgprs: 0
; NumAgprs: 0
; TotalNumVgprs: 0
; ScratchSize: 0
; MemoryBound: 0
; FloatMode: 240
; IeeeMode: 1
; LDSByteSize: 0 bytes/workgroup (compile time only)
; SGPRBlocks: 0
; VGPRBlocks: 0
; NumSGPRsForWavesPerEU: 4
; NumVGPRsForWavesPerEU: 1
; AccumOffset: 4
; Occupancy: 8
; WaveLimiterHint : 0
; COMPUTE_PGM_RSRC2:SCRATCH_EN: 0
; COMPUTE_PGM_RSRC2:USER_SGPR: 6
; COMPUTE_PGM_RSRC2:TRAP_HANDLER: 0
; COMPUTE_PGM_RSRC2:TGID_X_EN: 1
; COMPUTE_PGM_RSRC2:TGID_Y_EN: 0
; COMPUTE_PGM_RSRC2:TGID_Z_EN: 0
; COMPUTE_PGM_RSRC2:TIDIG_COMP_CNT: 0
; COMPUTE_PGM_RSRC3_GFX90A:ACCUM_OFFSET: 0
; COMPUTE_PGM_RSRC3_GFX90A:TG_SPLIT: 0
	.section	.text._ZN7rocprim17ROCPRIM_400000_NS6detail17trampoline_kernelINS0_14default_configENS1_38merge_sort_block_merge_config_selectorIsNS0_10empty_typeEEEZZNS1_27merge_sort_block_merge_implIS3_PsPS5_jNS1_19radix_merge_compareILb1ELb1EsNS0_19identity_decomposerEEEEE10hipError_tT0_T1_T2_jT3_P12ihipStream_tbPNSt15iterator_traitsISE_E10value_typeEPNSK_ISF_E10value_typeEPSG_NS1_7vsmem_tEENKUlT_SE_SF_SG_E_clIS8_S8_S9_S9_EESD_ST_SE_SF_SG_EUlST_E1_NS1_11comp_targetILNS1_3genE9ELNS1_11target_archE1100ELNS1_3gpuE3ELNS1_3repE0EEENS1_36merge_oddeven_config_static_selectorELNS0_4arch9wavefront6targetE1EEEvSF_,"axG",@progbits,_ZN7rocprim17ROCPRIM_400000_NS6detail17trampoline_kernelINS0_14default_configENS1_38merge_sort_block_merge_config_selectorIsNS0_10empty_typeEEEZZNS1_27merge_sort_block_merge_implIS3_PsPS5_jNS1_19radix_merge_compareILb1ELb1EsNS0_19identity_decomposerEEEEE10hipError_tT0_T1_T2_jT3_P12ihipStream_tbPNSt15iterator_traitsISE_E10value_typeEPNSK_ISF_E10value_typeEPSG_NS1_7vsmem_tEENKUlT_SE_SF_SG_E_clIS8_S8_S9_S9_EESD_ST_SE_SF_SG_EUlST_E1_NS1_11comp_targetILNS1_3genE9ELNS1_11target_archE1100ELNS1_3gpuE3ELNS1_3repE0EEENS1_36merge_oddeven_config_static_selectorELNS0_4arch9wavefront6targetE1EEEvSF_,comdat
	.protected	_ZN7rocprim17ROCPRIM_400000_NS6detail17trampoline_kernelINS0_14default_configENS1_38merge_sort_block_merge_config_selectorIsNS0_10empty_typeEEEZZNS1_27merge_sort_block_merge_implIS3_PsPS5_jNS1_19radix_merge_compareILb1ELb1EsNS0_19identity_decomposerEEEEE10hipError_tT0_T1_T2_jT3_P12ihipStream_tbPNSt15iterator_traitsISE_E10value_typeEPNSK_ISF_E10value_typeEPSG_NS1_7vsmem_tEENKUlT_SE_SF_SG_E_clIS8_S8_S9_S9_EESD_ST_SE_SF_SG_EUlST_E1_NS1_11comp_targetILNS1_3genE9ELNS1_11target_archE1100ELNS1_3gpuE3ELNS1_3repE0EEENS1_36merge_oddeven_config_static_selectorELNS0_4arch9wavefront6targetE1EEEvSF_ ; -- Begin function _ZN7rocprim17ROCPRIM_400000_NS6detail17trampoline_kernelINS0_14default_configENS1_38merge_sort_block_merge_config_selectorIsNS0_10empty_typeEEEZZNS1_27merge_sort_block_merge_implIS3_PsPS5_jNS1_19radix_merge_compareILb1ELb1EsNS0_19identity_decomposerEEEEE10hipError_tT0_T1_T2_jT3_P12ihipStream_tbPNSt15iterator_traitsISE_E10value_typeEPNSK_ISF_E10value_typeEPSG_NS1_7vsmem_tEENKUlT_SE_SF_SG_E_clIS8_S8_S9_S9_EESD_ST_SE_SF_SG_EUlST_E1_NS1_11comp_targetILNS1_3genE9ELNS1_11target_archE1100ELNS1_3gpuE3ELNS1_3repE0EEENS1_36merge_oddeven_config_static_selectorELNS0_4arch9wavefront6targetE1EEEvSF_
	.globl	_ZN7rocprim17ROCPRIM_400000_NS6detail17trampoline_kernelINS0_14default_configENS1_38merge_sort_block_merge_config_selectorIsNS0_10empty_typeEEEZZNS1_27merge_sort_block_merge_implIS3_PsPS5_jNS1_19radix_merge_compareILb1ELb1EsNS0_19identity_decomposerEEEEE10hipError_tT0_T1_T2_jT3_P12ihipStream_tbPNSt15iterator_traitsISE_E10value_typeEPNSK_ISF_E10value_typeEPSG_NS1_7vsmem_tEENKUlT_SE_SF_SG_E_clIS8_S8_S9_S9_EESD_ST_SE_SF_SG_EUlST_E1_NS1_11comp_targetILNS1_3genE9ELNS1_11target_archE1100ELNS1_3gpuE3ELNS1_3repE0EEENS1_36merge_oddeven_config_static_selectorELNS0_4arch9wavefront6targetE1EEEvSF_
	.p2align	8
	.type	_ZN7rocprim17ROCPRIM_400000_NS6detail17trampoline_kernelINS0_14default_configENS1_38merge_sort_block_merge_config_selectorIsNS0_10empty_typeEEEZZNS1_27merge_sort_block_merge_implIS3_PsPS5_jNS1_19radix_merge_compareILb1ELb1EsNS0_19identity_decomposerEEEEE10hipError_tT0_T1_T2_jT3_P12ihipStream_tbPNSt15iterator_traitsISE_E10value_typeEPNSK_ISF_E10value_typeEPSG_NS1_7vsmem_tEENKUlT_SE_SF_SG_E_clIS8_S8_S9_S9_EESD_ST_SE_SF_SG_EUlST_E1_NS1_11comp_targetILNS1_3genE9ELNS1_11target_archE1100ELNS1_3gpuE3ELNS1_3repE0EEENS1_36merge_oddeven_config_static_selectorELNS0_4arch9wavefront6targetE1EEEvSF_,@function
_ZN7rocprim17ROCPRIM_400000_NS6detail17trampoline_kernelINS0_14default_configENS1_38merge_sort_block_merge_config_selectorIsNS0_10empty_typeEEEZZNS1_27merge_sort_block_merge_implIS3_PsPS5_jNS1_19radix_merge_compareILb1ELb1EsNS0_19identity_decomposerEEEEE10hipError_tT0_T1_T2_jT3_P12ihipStream_tbPNSt15iterator_traitsISE_E10value_typeEPNSK_ISF_E10value_typeEPSG_NS1_7vsmem_tEENKUlT_SE_SF_SG_E_clIS8_S8_S9_S9_EESD_ST_SE_SF_SG_EUlST_E1_NS1_11comp_targetILNS1_3genE9ELNS1_11target_archE1100ELNS1_3gpuE3ELNS1_3repE0EEENS1_36merge_oddeven_config_static_selectorELNS0_4arch9wavefront6targetE1EEEvSF_: ; @_ZN7rocprim17ROCPRIM_400000_NS6detail17trampoline_kernelINS0_14default_configENS1_38merge_sort_block_merge_config_selectorIsNS0_10empty_typeEEEZZNS1_27merge_sort_block_merge_implIS3_PsPS5_jNS1_19radix_merge_compareILb1ELb1EsNS0_19identity_decomposerEEEEE10hipError_tT0_T1_T2_jT3_P12ihipStream_tbPNSt15iterator_traitsISE_E10value_typeEPNSK_ISF_E10value_typeEPSG_NS1_7vsmem_tEENKUlT_SE_SF_SG_E_clIS8_S8_S9_S9_EESD_ST_SE_SF_SG_EUlST_E1_NS1_11comp_targetILNS1_3genE9ELNS1_11target_archE1100ELNS1_3gpuE3ELNS1_3repE0EEENS1_36merge_oddeven_config_static_selectorELNS0_4arch9wavefront6targetE1EEEvSF_
; %bb.0:
	.section	.rodata,"a",@progbits
	.p2align	6, 0x0
	.amdhsa_kernel _ZN7rocprim17ROCPRIM_400000_NS6detail17trampoline_kernelINS0_14default_configENS1_38merge_sort_block_merge_config_selectorIsNS0_10empty_typeEEEZZNS1_27merge_sort_block_merge_implIS3_PsPS5_jNS1_19radix_merge_compareILb1ELb1EsNS0_19identity_decomposerEEEEE10hipError_tT0_T1_T2_jT3_P12ihipStream_tbPNSt15iterator_traitsISE_E10value_typeEPNSK_ISF_E10value_typeEPSG_NS1_7vsmem_tEENKUlT_SE_SF_SG_E_clIS8_S8_S9_S9_EESD_ST_SE_SF_SG_EUlST_E1_NS1_11comp_targetILNS1_3genE9ELNS1_11target_archE1100ELNS1_3gpuE3ELNS1_3repE0EEENS1_36merge_oddeven_config_static_selectorELNS0_4arch9wavefront6targetE1EEEvSF_
		.amdhsa_group_segment_fixed_size 0
		.amdhsa_private_segment_fixed_size 0
		.amdhsa_kernarg_size 48
		.amdhsa_user_sgpr_count 6
		.amdhsa_user_sgpr_private_segment_buffer 1
		.amdhsa_user_sgpr_dispatch_ptr 0
		.amdhsa_user_sgpr_queue_ptr 0
		.amdhsa_user_sgpr_kernarg_segment_ptr 1
		.amdhsa_user_sgpr_dispatch_id 0
		.amdhsa_user_sgpr_flat_scratch_init 0
		.amdhsa_user_sgpr_kernarg_preload_length 0
		.amdhsa_user_sgpr_kernarg_preload_offset 0
		.amdhsa_user_sgpr_private_segment_size 0
		.amdhsa_uses_dynamic_stack 0
		.amdhsa_system_sgpr_private_segment_wavefront_offset 0
		.amdhsa_system_sgpr_workgroup_id_x 1
		.amdhsa_system_sgpr_workgroup_id_y 0
		.amdhsa_system_sgpr_workgroup_id_z 0
		.amdhsa_system_sgpr_workgroup_info 0
		.amdhsa_system_vgpr_workitem_id 0
		.amdhsa_next_free_vgpr 1
		.amdhsa_next_free_sgpr 0
		.amdhsa_accum_offset 4
		.amdhsa_reserve_vcc 0
		.amdhsa_reserve_flat_scratch 0
		.amdhsa_float_round_mode_32 0
		.amdhsa_float_round_mode_16_64 0
		.amdhsa_float_denorm_mode_32 3
		.amdhsa_float_denorm_mode_16_64 3
		.amdhsa_dx10_clamp 1
		.amdhsa_ieee_mode 1
		.amdhsa_fp16_overflow 0
		.amdhsa_tg_split 0
		.amdhsa_exception_fp_ieee_invalid_op 0
		.amdhsa_exception_fp_denorm_src 0
		.amdhsa_exception_fp_ieee_div_zero 0
		.amdhsa_exception_fp_ieee_overflow 0
		.amdhsa_exception_fp_ieee_underflow 0
		.amdhsa_exception_fp_ieee_inexact 0
		.amdhsa_exception_int_div_zero 0
	.end_amdhsa_kernel
	.section	.text._ZN7rocprim17ROCPRIM_400000_NS6detail17trampoline_kernelINS0_14default_configENS1_38merge_sort_block_merge_config_selectorIsNS0_10empty_typeEEEZZNS1_27merge_sort_block_merge_implIS3_PsPS5_jNS1_19radix_merge_compareILb1ELb1EsNS0_19identity_decomposerEEEEE10hipError_tT0_T1_T2_jT3_P12ihipStream_tbPNSt15iterator_traitsISE_E10value_typeEPNSK_ISF_E10value_typeEPSG_NS1_7vsmem_tEENKUlT_SE_SF_SG_E_clIS8_S8_S9_S9_EESD_ST_SE_SF_SG_EUlST_E1_NS1_11comp_targetILNS1_3genE9ELNS1_11target_archE1100ELNS1_3gpuE3ELNS1_3repE0EEENS1_36merge_oddeven_config_static_selectorELNS0_4arch9wavefront6targetE1EEEvSF_,"axG",@progbits,_ZN7rocprim17ROCPRIM_400000_NS6detail17trampoline_kernelINS0_14default_configENS1_38merge_sort_block_merge_config_selectorIsNS0_10empty_typeEEEZZNS1_27merge_sort_block_merge_implIS3_PsPS5_jNS1_19radix_merge_compareILb1ELb1EsNS0_19identity_decomposerEEEEE10hipError_tT0_T1_T2_jT3_P12ihipStream_tbPNSt15iterator_traitsISE_E10value_typeEPNSK_ISF_E10value_typeEPSG_NS1_7vsmem_tEENKUlT_SE_SF_SG_E_clIS8_S8_S9_S9_EESD_ST_SE_SF_SG_EUlST_E1_NS1_11comp_targetILNS1_3genE9ELNS1_11target_archE1100ELNS1_3gpuE3ELNS1_3repE0EEENS1_36merge_oddeven_config_static_selectorELNS0_4arch9wavefront6targetE1EEEvSF_,comdat
.Lfunc_end1806:
	.size	_ZN7rocprim17ROCPRIM_400000_NS6detail17trampoline_kernelINS0_14default_configENS1_38merge_sort_block_merge_config_selectorIsNS0_10empty_typeEEEZZNS1_27merge_sort_block_merge_implIS3_PsPS5_jNS1_19radix_merge_compareILb1ELb1EsNS0_19identity_decomposerEEEEE10hipError_tT0_T1_T2_jT3_P12ihipStream_tbPNSt15iterator_traitsISE_E10value_typeEPNSK_ISF_E10value_typeEPSG_NS1_7vsmem_tEENKUlT_SE_SF_SG_E_clIS8_S8_S9_S9_EESD_ST_SE_SF_SG_EUlST_E1_NS1_11comp_targetILNS1_3genE9ELNS1_11target_archE1100ELNS1_3gpuE3ELNS1_3repE0EEENS1_36merge_oddeven_config_static_selectorELNS0_4arch9wavefront6targetE1EEEvSF_, .Lfunc_end1806-_ZN7rocprim17ROCPRIM_400000_NS6detail17trampoline_kernelINS0_14default_configENS1_38merge_sort_block_merge_config_selectorIsNS0_10empty_typeEEEZZNS1_27merge_sort_block_merge_implIS3_PsPS5_jNS1_19radix_merge_compareILb1ELb1EsNS0_19identity_decomposerEEEEE10hipError_tT0_T1_T2_jT3_P12ihipStream_tbPNSt15iterator_traitsISE_E10value_typeEPNSK_ISF_E10value_typeEPSG_NS1_7vsmem_tEENKUlT_SE_SF_SG_E_clIS8_S8_S9_S9_EESD_ST_SE_SF_SG_EUlST_E1_NS1_11comp_targetILNS1_3genE9ELNS1_11target_archE1100ELNS1_3gpuE3ELNS1_3repE0EEENS1_36merge_oddeven_config_static_selectorELNS0_4arch9wavefront6targetE1EEEvSF_
                                        ; -- End function
	.section	.AMDGPU.csdata,"",@progbits
; Kernel info:
; codeLenInByte = 0
; NumSgprs: 4
; NumVgprs: 0
; NumAgprs: 0
; TotalNumVgprs: 0
; ScratchSize: 0
; MemoryBound: 0
; FloatMode: 240
; IeeeMode: 1
; LDSByteSize: 0 bytes/workgroup (compile time only)
; SGPRBlocks: 0
; VGPRBlocks: 0
; NumSGPRsForWavesPerEU: 4
; NumVGPRsForWavesPerEU: 1
; AccumOffset: 4
; Occupancy: 8
; WaveLimiterHint : 0
; COMPUTE_PGM_RSRC2:SCRATCH_EN: 0
; COMPUTE_PGM_RSRC2:USER_SGPR: 6
; COMPUTE_PGM_RSRC2:TRAP_HANDLER: 0
; COMPUTE_PGM_RSRC2:TGID_X_EN: 1
; COMPUTE_PGM_RSRC2:TGID_Y_EN: 0
; COMPUTE_PGM_RSRC2:TGID_Z_EN: 0
; COMPUTE_PGM_RSRC2:TIDIG_COMP_CNT: 0
; COMPUTE_PGM_RSRC3_GFX90A:ACCUM_OFFSET: 0
; COMPUTE_PGM_RSRC3_GFX90A:TG_SPLIT: 0
	.section	.text._ZN7rocprim17ROCPRIM_400000_NS6detail17trampoline_kernelINS0_14default_configENS1_38merge_sort_block_merge_config_selectorIsNS0_10empty_typeEEEZZNS1_27merge_sort_block_merge_implIS3_PsPS5_jNS1_19radix_merge_compareILb1ELb1EsNS0_19identity_decomposerEEEEE10hipError_tT0_T1_T2_jT3_P12ihipStream_tbPNSt15iterator_traitsISE_E10value_typeEPNSK_ISF_E10value_typeEPSG_NS1_7vsmem_tEENKUlT_SE_SF_SG_E_clIS8_S8_S9_S9_EESD_ST_SE_SF_SG_EUlST_E1_NS1_11comp_targetILNS1_3genE8ELNS1_11target_archE1030ELNS1_3gpuE2ELNS1_3repE0EEENS1_36merge_oddeven_config_static_selectorELNS0_4arch9wavefront6targetE1EEEvSF_,"axG",@progbits,_ZN7rocprim17ROCPRIM_400000_NS6detail17trampoline_kernelINS0_14default_configENS1_38merge_sort_block_merge_config_selectorIsNS0_10empty_typeEEEZZNS1_27merge_sort_block_merge_implIS3_PsPS5_jNS1_19radix_merge_compareILb1ELb1EsNS0_19identity_decomposerEEEEE10hipError_tT0_T1_T2_jT3_P12ihipStream_tbPNSt15iterator_traitsISE_E10value_typeEPNSK_ISF_E10value_typeEPSG_NS1_7vsmem_tEENKUlT_SE_SF_SG_E_clIS8_S8_S9_S9_EESD_ST_SE_SF_SG_EUlST_E1_NS1_11comp_targetILNS1_3genE8ELNS1_11target_archE1030ELNS1_3gpuE2ELNS1_3repE0EEENS1_36merge_oddeven_config_static_selectorELNS0_4arch9wavefront6targetE1EEEvSF_,comdat
	.protected	_ZN7rocprim17ROCPRIM_400000_NS6detail17trampoline_kernelINS0_14default_configENS1_38merge_sort_block_merge_config_selectorIsNS0_10empty_typeEEEZZNS1_27merge_sort_block_merge_implIS3_PsPS5_jNS1_19radix_merge_compareILb1ELb1EsNS0_19identity_decomposerEEEEE10hipError_tT0_T1_T2_jT3_P12ihipStream_tbPNSt15iterator_traitsISE_E10value_typeEPNSK_ISF_E10value_typeEPSG_NS1_7vsmem_tEENKUlT_SE_SF_SG_E_clIS8_S8_S9_S9_EESD_ST_SE_SF_SG_EUlST_E1_NS1_11comp_targetILNS1_3genE8ELNS1_11target_archE1030ELNS1_3gpuE2ELNS1_3repE0EEENS1_36merge_oddeven_config_static_selectorELNS0_4arch9wavefront6targetE1EEEvSF_ ; -- Begin function _ZN7rocprim17ROCPRIM_400000_NS6detail17trampoline_kernelINS0_14default_configENS1_38merge_sort_block_merge_config_selectorIsNS0_10empty_typeEEEZZNS1_27merge_sort_block_merge_implIS3_PsPS5_jNS1_19radix_merge_compareILb1ELb1EsNS0_19identity_decomposerEEEEE10hipError_tT0_T1_T2_jT3_P12ihipStream_tbPNSt15iterator_traitsISE_E10value_typeEPNSK_ISF_E10value_typeEPSG_NS1_7vsmem_tEENKUlT_SE_SF_SG_E_clIS8_S8_S9_S9_EESD_ST_SE_SF_SG_EUlST_E1_NS1_11comp_targetILNS1_3genE8ELNS1_11target_archE1030ELNS1_3gpuE2ELNS1_3repE0EEENS1_36merge_oddeven_config_static_selectorELNS0_4arch9wavefront6targetE1EEEvSF_
	.globl	_ZN7rocprim17ROCPRIM_400000_NS6detail17trampoline_kernelINS0_14default_configENS1_38merge_sort_block_merge_config_selectorIsNS0_10empty_typeEEEZZNS1_27merge_sort_block_merge_implIS3_PsPS5_jNS1_19radix_merge_compareILb1ELb1EsNS0_19identity_decomposerEEEEE10hipError_tT0_T1_T2_jT3_P12ihipStream_tbPNSt15iterator_traitsISE_E10value_typeEPNSK_ISF_E10value_typeEPSG_NS1_7vsmem_tEENKUlT_SE_SF_SG_E_clIS8_S8_S9_S9_EESD_ST_SE_SF_SG_EUlST_E1_NS1_11comp_targetILNS1_3genE8ELNS1_11target_archE1030ELNS1_3gpuE2ELNS1_3repE0EEENS1_36merge_oddeven_config_static_selectorELNS0_4arch9wavefront6targetE1EEEvSF_
	.p2align	8
	.type	_ZN7rocprim17ROCPRIM_400000_NS6detail17trampoline_kernelINS0_14default_configENS1_38merge_sort_block_merge_config_selectorIsNS0_10empty_typeEEEZZNS1_27merge_sort_block_merge_implIS3_PsPS5_jNS1_19radix_merge_compareILb1ELb1EsNS0_19identity_decomposerEEEEE10hipError_tT0_T1_T2_jT3_P12ihipStream_tbPNSt15iterator_traitsISE_E10value_typeEPNSK_ISF_E10value_typeEPSG_NS1_7vsmem_tEENKUlT_SE_SF_SG_E_clIS8_S8_S9_S9_EESD_ST_SE_SF_SG_EUlST_E1_NS1_11comp_targetILNS1_3genE8ELNS1_11target_archE1030ELNS1_3gpuE2ELNS1_3repE0EEENS1_36merge_oddeven_config_static_selectorELNS0_4arch9wavefront6targetE1EEEvSF_,@function
_ZN7rocprim17ROCPRIM_400000_NS6detail17trampoline_kernelINS0_14default_configENS1_38merge_sort_block_merge_config_selectorIsNS0_10empty_typeEEEZZNS1_27merge_sort_block_merge_implIS3_PsPS5_jNS1_19radix_merge_compareILb1ELb1EsNS0_19identity_decomposerEEEEE10hipError_tT0_T1_T2_jT3_P12ihipStream_tbPNSt15iterator_traitsISE_E10value_typeEPNSK_ISF_E10value_typeEPSG_NS1_7vsmem_tEENKUlT_SE_SF_SG_E_clIS8_S8_S9_S9_EESD_ST_SE_SF_SG_EUlST_E1_NS1_11comp_targetILNS1_3genE8ELNS1_11target_archE1030ELNS1_3gpuE2ELNS1_3repE0EEENS1_36merge_oddeven_config_static_selectorELNS0_4arch9wavefront6targetE1EEEvSF_: ; @_ZN7rocprim17ROCPRIM_400000_NS6detail17trampoline_kernelINS0_14default_configENS1_38merge_sort_block_merge_config_selectorIsNS0_10empty_typeEEEZZNS1_27merge_sort_block_merge_implIS3_PsPS5_jNS1_19radix_merge_compareILb1ELb1EsNS0_19identity_decomposerEEEEE10hipError_tT0_T1_T2_jT3_P12ihipStream_tbPNSt15iterator_traitsISE_E10value_typeEPNSK_ISF_E10value_typeEPSG_NS1_7vsmem_tEENKUlT_SE_SF_SG_E_clIS8_S8_S9_S9_EESD_ST_SE_SF_SG_EUlST_E1_NS1_11comp_targetILNS1_3genE8ELNS1_11target_archE1030ELNS1_3gpuE2ELNS1_3repE0EEENS1_36merge_oddeven_config_static_selectorELNS0_4arch9wavefront6targetE1EEEvSF_
; %bb.0:
	.section	.rodata,"a",@progbits
	.p2align	6, 0x0
	.amdhsa_kernel _ZN7rocprim17ROCPRIM_400000_NS6detail17trampoline_kernelINS0_14default_configENS1_38merge_sort_block_merge_config_selectorIsNS0_10empty_typeEEEZZNS1_27merge_sort_block_merge_implIS3_PsPS5_jNS1_19radix_merge_compareILb1ELb1EsNS0_19identity_decomposerEEEEE10hipError_tT0_T1_T2_jT3_P12ihipStream_tbPNSt15iterator_traitsISE_E10value_typeEPNSK_ISF_E10value_typeEPSG_NS1_7vsmem_tEENKUlT_SE_SF_SG_E_clIS8_S8_S9_S9_EESD_ST_SE_SF_SG_EUlST_E1_NS1_11comp_targetILNS1_3genE8ELNS1_11target_archE1030ELNS1_3gpuE2ELNS1_3repE0EEENS1_36merge_oddeven_config_static_selectorELNS0_4arch9wavefront6targetE1EEEvSF_
		.amdhsa_group_segment_fixed_size 0
		.amdhsa_private_segment_fixed_size 0
		.amdhsa_kernarg_size 48
		.amdhsa_user_sgpr_count 6
		.amdhsa_user_sgpr_private_segment_buffer 1
		.amdhsa_user_sgpr_dispatch_ptr 0
		.amdhsa_user_sgpr_queue_ptr 0
		.amdhsa_user_sgpr_kernarg_segment_ptr 1
		.amdhsa_user_sgpr_dispatch_id 0
		.amdhsa_user_sgpr_flat_scratch_init 0
		.amdhsa_user_sgpr_kernarg_preload_length 0
		.amdhsa_user_sgpr_kernarg_preload_offset 0
		.amdhsa_user_sgpr_private_segment_size 0
		.amdhsa_uses_dynamic_stack 0
		.amdhsa_system_sgpr_private_segment_wavefront_offset 0
		.amdhsa_system_sgpr_workgroup_id_x 1
		.amdhsa_system_sgpr_workgroup_id_y 0
		.amdhsa_system_sgpr_workgroup_id_z 0
		.amdhsa_system_sgpr_workgroup_info 0
		.amdhsa_system_vgpr_workitem_id 0
		.amdhsa_next_free_vgpr 1
		.amdhsa_next_free_sgpr 0
		.amdhsa_accum_offset 4
		.amdhsa_reserve_vcc 0
		.amdhsa_reserve_flat_scratch 0
		.amdhsa_float_round_mode_32 0
		.amdhsa_float_round_mode_16_64 0
		.amdhsa_float_denorm_mode_32 3
		.amdhsa_float_denorm_mode_16_64 3
		.amdhsa_dx10_clamp 1
		.amdhsa_ieee_mode 1
		.amdhsa_fp16_overflow 0
		.amdhsa_tg_split 0
		.amdhsa_exception_fp_ieee_invalid_op 0
		.amdhsa_exception_fp_denorm_src 0
		.amdhsa_exception_fp_ieee_div_zero 0
		.amdhsa_exception_fp_ieee_overflow 0
		.amdhsa_exception_fp_ieee_underflow 0
		.amdhsa_exception_fp_ieee_inexact 0
		.amdhsa_exception_int_div_zero 0
	.end_amdhsa_kernel
	.section	.text._ZN7rocprim17ROCPRIM_400000_NS6detail17trampoline_kernelINS0_14default_configENS1_38merge_sort_block_merge_config_selectorIsNS0_10empty_typeEEEZZNS1_27merge_sort_block_merge_implIS3_PsPS5_jNS1_19radix_merge_compareILb1ELb1EsNS0_19identity_decomposerEEEEE10hipError_tT0_T1_T2_jT3_P12ihipStream_tbPNSt15iterator_traitsISE_E10value_typeEPNSK_ISF_E10value_typeEPSG_NS1_7vsmem_tEENKUlT_SE_SF_SG_E_clIS8_S8_S9_S9_EESD_ST_SE_SF_SG_EUlST_E1_NS1_11comp_targetILNS1_3genE8ELNS1_11target_archE1030ELNS1_3gpuE2ELNS1_3repE0EEENS1_36merge_oddeven_config_static_selectorELNS0_4arch9wavefront6targetE1EEEvSF_,"axG",@progbits,_ZN7rocprim17ROCPRIM_400000_NS6detail17trampoline_kernelINS0_14default_configENS1_38merge_sort_block_merge_config_selectorIsNS0_10empty_typeEEEZZNS1_27merge_sort_block_merge_implIS3_PsPS5_jNS1_19radix_merge_compareILb1ELb1EsNS0_19identity_decomposerEEEEE10hipError_tT0_T1_T2_jT3_P12ihipStream_tbPNSt15iterator_traitsISE_E10value_typeEPNSK_ISF_E10value_typeEPSG_NS1_7vsmem_tEENKUlT_SE_SF_SG_E_clIS8_S8_S9_S9_EESD_ST_SE_SF_SG_EUlST_E1_NS1_11comp_targetILNS1_3genE8ELNS1_11target_archE1030ELNS1_3gpuE2ELNS1_3repE0EEENS1_36merge_oddeven_config_static_selectorELNS0_4arch9wavefront6targetE1EEEvSF_,comdat
.Lfunc_end1807:
	.size	_ZN7rocprim17ROCPRIM_400000_NS6detail17trampoline_kernelINS0_14default_configENS1_38merge_sort_block_merge_config_selectorIsNS0_10empty_typeEEEZZNS1_27merge_sort_block_merge_implIS3_PsPS5_jNS1_19radix_merge_compareILb1ELb1EsNS0_19identity_decomposerEEEEE10hipError_tT0_T1_T2_jT3_P12ihipStream_tbPNSt15iterator_traitsISE_E10value_typeEPNSK_ISF_E10value_typeEPSG_NS1_7vsmem_tEENKUlT_SE_SF_SG_E_clIS8_S8_S9_S9_EESD_ST_SE_SF_SG_EUlST_E1_NS1_11comp_targetILNS1_3genE8ELNS1_11target_archE1030ELNS1_3gpuE2ELNS1_3repE0EEENS1_36merge_oddeven_config_static_selectorELNS0_4arch9wavefront6targetE1EEEvSF_, .Lfunc_end1807-_ZN7rocprim17ROCPRIM_400000_NS6detail17trampoline_kernelINS0_14default_configENS1_38merge_sort_block_merge_config_selectorIsNS0_10empty_typeEEEZZNS1_27merge_sort_block_merge_implIS3_PsPS5_jNS1_19radix_merge_compareILb1ELb1EsNS0_19identity_decomposerEEEEE10hipError_tT0_T1_T2_jT3_P12ihipStream_tbPNSt15iterator_traitsISE_E10value_typeEPNSK_ISF_E10value_typeEPSG_NS1_7vsmem_tEENKUlT_SE_SF_SG_E_clIS8_S8_S9_S9_EESD_ST_SE_SF_SG_EUlST_E1_NS1_11comp_targetILNS1_3genE8ELNS1_11target_archE1030ELNS1_3gpuE2ELNS1_3repE0EEENS1_36merge_oddeven_config_static_selectorELNS0_4arch9wavefront6targetE1EEEvSF_
                                        ; -- End function
	.section	.AMDGPU.csdata,"",@progbits
; Kernel info:
; codeLenInByte = 0
; NumSgprs: 4
; NumVgprs: 0
; NumAgprs: 0
; TotalNumVgprs: 0
; ScratchSize: 0
; MemoryBound: 0
; FloatMode: 240
; IeeeMode: 1
; LDSByteSize: 0 bytes/workgroup (compile time only)
; SGPRBlocks: 0
; VGPRBlocks: 0
; NumSGPRsForWavesPerEU: 4
; NumVGPRsForWavesPerEU: 1
; AccumOffset: 4
; Occupancy: 8
; WaveLimiterHint : 0
; COMPUTE_PGM_RSRC2:SCRATCH_EN: 0
; COMPUTE_PGM_RSRC2:USER_SGPR: 6
; COMPUTE_PGM_RSRC2:TRAP_HANDLER: 0
; COMPUTE_PGM_RSRC2:TGID_X_EN: 1
; COMPUTE_PGM_RSRC2:TGID_Y_EN: 0
; COMPUTE_PGM_RSRC2:TGID_Z_EN: 0
; COMPUTE_PGM_RSRC2:TIDIG_COMP_CNT: 0
; COMPUTE_PGM_RSRC3_GFX90A:ACCUM_OFFSET: 0
; COMPUTE_PGM_RSRC3_GFX90A:TG_SPLIT: 0
	.section	.text._ZN7rocprim17ROCPRIM_400000_NS6detail17trampoline_kernelINS0_14default_configENS1_35radix_sort_onesweep_config_selectorIsNS0_10empty_typeEEEZNS1_34radix_sort_onesweep_global_offsetsIS3_Lb1EPsPS5_mNS0_19identity_decomposerEEE10hipError_tT1_T2_PT3_SE_jT4_jjP12ihipStream_tbEUlT_E_NS1_11comp_targetILNS1_3genE0ELNS1_11target_archE4294967295ELNS1_3gpuE0ELNS1_3repE0EEENS1_52radix_sort_onesweep_histogram_config_static_selectorELNS0_4arch9wavefront6targetE1EEEvSC_,"axG",@progbits,_ZN7rocprim17ROCPRIM_400000_NS6detail17trampoline_kernelINS0_14default_configENS1_35radix_sort_onesweep_config_selectorIsNS0_10empty_typeEEEZNS1_34radix_sort_onesweep_global_offsetsIS3_Lb1EPsPS5_mNS0_19identity_decomposerEEE10hipError_tT1_T2_PT3_SE_jT4_jjP12ihipStream_tbEUlT_E_NS1_11comp_targetILNS1_3genE0ELNS1_11target_archE4294967295ELNS1_3gpuE0ELNS1_3repE0EEENS1_52radix_sort_onesweep_histogram_config_static_selectorELNS0_4arch9wavefront6targetE1EEEvSC_,comdat
	.protected	_ZN7rocprim17ROCPRIM_400000_NS6detail17trampoline_kernelINS0_14default_configENS1_35radix_sort_onesweep_config_selectorIsNS0_10empty_typeEEEZNS1_34radix_sort_onesweep_global_offsetsIS3_Lb1EPsPS5_mNS0_19identity_decomposerEEE10hipError_tT1_T2_PT3_SE_jT4_jjP12ihipStream_tbEUlT_E_NS1_11comp_targetILNS1_3genE0ELNS1_11target_archE4294967295ELNS1_3gpuE0ELNS1_3repE0EEENS1_52radix_sort_onesweep_histogram_config_static_selectorELNS0_4arch9wavefront6targetE1EEEvSC_ ; -- Begin function _ZN7rocprim17ROCPRIM_400000_NS6detail17trampoline_kernelINS0_14default_configENS1_35radix_sort_onesweep_config_selectorIsNS0_10empty_typeEEEZNS1_34radix_sort_onesweep_global_offsetsIS3_Lb1EPsPS5_mNS0_19identity_decomposerEEE10hipError_tT1_T2_PT3_SE_jT4_jjP12ihipStream_tbEUlT_E_NS1_11comp_targetILNS1_3genE0ELNS1_11target_archE4294967295ELNS1_3gpuE0ELNS1_3repE0EEENS1_52radix_sort_onesweep_histogram_config_static_selectorELNS0_4arch9wavefront6targetE1EEEvSC_
	.globl	_ZN7rocprim17ROCPRIM_400000_NS6detail17trampoline_kernelINS0_14default_configENS1_35radix_sort_onesweep_config_selectorIsNS0_10empty_typeEEEZNS1_34radix_sort_onesweep_global_offsetsIS3_Lb1EPsPS5_mNS0_19identity_decomposerEEE10hipError_tT1_T2_PT3_SE_jT4_jjP12ihipStream_tbEUlT_E_NS1_11comp_targetILNS1_3genE0ELNS1_11target_archE4294967295ELNS1_3gpuE0ELNS1_3repE0EEENS1_52radix_sort_onesweep_histogram_config_static_selectorELNS0_4arch9wavefront6targetE1EEEvSC_
	.p2align	8
	.type	_ZN7rocprim17ROCPRIM_400000_NS6detail17trampoline_kernelINS0_14default_configENS1_35radix_sort_onesweep_config_selectorIsNS0_10empty_typeEEEZNS1_34radix_sort_onesweep_global_offsetsIS3_Lb1EPsPS5_mNS0_19identity_decomposerEEE10hipError_tT1_T2_PT3_SE_jT4_jjP12ihipStream_tbEUlT_E_NS1_11comp_targetILNS1_3genE0ELNS1_11target_archE4294967295ELNS1_3gpuE0ELNS1_3repE0EEENS1_52radix_sort_onesweep_histogram_config_static_selectorELNS0_4arch9wavefront6targetE1EEEvSC_,@function
_ZN7rocprim17ROCPRIM_400000_NS6detail17trampoline_kernelINS0_14default_configENS1_35radix_sort_onesweep_config_selectorIsNS0_10empty_typeEEEZNS1_34radix_sort_onesweep_global_offsetsIS3_Lb1EPsPS5_mNS0_19identity_decomposerEEE10hipError_tT1_T2_PT3_SE_jT4_jjP12ihipStream_tbEUlT_E_NS1_11comp_targetILNS1_3genE0ELNS1_11target_archE4294967295ELNS1_3gpuE0ELNS1_3repE0EEENS1_52radix_sort_onesweep_histogram_config_static_selectorELNS0_4arch9wavefront6targetE1EEEvSC_: ; @_ZN7rocprim17ROCPRIM_400000_NS6detail17trampoline_kernelINS0_14default_configENS1_35radix_sort_onesweep_config_selectorIsNS0_10empty_typeEEEZNS1_34radix_sort_onesweep_global_offsetsIS3_Lb1EPsPS5_mNS0_19identity_decomposerEEE10hipError_tT1_T2_PT3_SE_jT4_jjP12ihipStream_tbEUlT_E_NS1_11comp_targetILNS1_3genE0ELNS1_11target_archE4294967295ELNS1_3gpuE0ELNS1_3repE0EEENS1_52radix_sort_onesweep_histogram_config_static_selectorELNS0_4arch9wavefront6targetE1EEEvSC_
; %bb.0:
	.section	.rodata,"a",@progbits
	.p2align	6, 0x0
	.amdhsa_kernel _ZN7rocprim17ROCPRIM_400000_NS6detail17trampoline_kernelINS0_14default_configENS1_35radix_sort_onesweep_config_selectorIsNS0_10empty_typeEEEZNS1_34radix_sort_onesweep_global_offsetsIS3_Lb1EPsPS5_mNS0_19identity_decomposerEEE10hipError_tT1_T2_PT3_SE_jT4_jjP12ihipStream_tbEUlT_E_NS1_11comp_targetILNS1_3genE0ELNS1_11target_archE4294967295ELNS1_3gpuE0ELNS1_3repE0EEENS1_52radix_sort_onesweep_histogram_config_static_selectorELNS0_4arch9wavefront6targetE1EEEvSC_
		.amdhsa_group_segment_fixed_size 0
		.amdhsa_private_segment_fixed_size 0
		.amdhsa_kernarg_size 48
		.amdhsa_user_sgpr_count 6
		.amdhsa_user_sgpr_private_segment_buffer 1
		.amdhsa_user_sgpr_dispatch_ptr 0
		.amdhsa_user_sgpr_queue_ptr 0
		.amdhsa_user_sgpr_kernarg_segment_ptr 1
		.amdhsa_user_sgpr_dispatch_id 0
		.amdhsa_user_sgpr_flat_scratch_init 0
		.amdhsa_user_sgpr_kernarg_preload_length 0
		.amdhsa_user_sgpr_kernarg_preload_offset 0
		.amdhsa_user_sgpr_private_segment_size 0
		.amdhsa_uses_dynamic_stack 0
		.amdhsa_system_sgpr_private_segment_wavefront_offset 0
		.amdhsa_system_sgpr_workgroup_id_x 1
		.amdhsa_system_sgpr_workgroup_id_y 0
		.amdhsa_system_sgpr_workgroup_id_z 0
		.amdhsa_system_sgpr_workgroup_info 0
		.amdhsa_system_vgpr_workitem_id 0
		.amdhsa_next_free_vgpr 1
		.amdhsa_next_free_sgpr 0
		.amdhsa_accum_offset 4
		.amdhsa_reserve_vcc 0
		.amdhsa_reserve_flat_scratch 0
		.amdhsa_float_round_mode_32 0
		.amdhsa_float_round_mode_16_64 0
		.amdhsa_float_denorm_mode_32 3
		.amdhsa_float_denorm_mode_16_64 3
		.amdhsa_dx10_clamp 1
		.amdhsa_ieee_mode 1
		.amdhsa_fp16_overflow 0
		.amdhsa_tg_split 0
		.amdhsa_exception_fp_ieee_invalid_op 0
		.amdhsa_exception_fp_denorm_src 0
		.amdhsa_exception_fp_ieee_div_zero 0
		.amdhsa_exception_fp_ieee_overflow 0
		.amdhsa_exception_fp_ieee_underflow 0
		.amdhsa_exception_fp_ieee_inexact 0
		.amdhsa_exception_int_div_zero 0
	.end_amdhsa_kernel
	.section	.text._ZN7rocprim17ROCPRIM_400000_NS6detail17trampoline_kernelINS0_14default_configENS1_35radix_sort_onesweep_config_selectorIsNS0_10empty_typeEEEZNS1_34radix_sort_onesweep_global_offsetsIS3_Lb1EPsPS5_mNS0_19identity_decomposerEEE10hipError_tT1_T2_PT3_SE_jT4_jjP12ihipStream_tbEUlT_E_NS1_11comp_targetILNS1_3genE0ELNS1_11target_archE4294967295ELNS1_3gpuE0ELNS1_3repE0EEENS1_52radix_sort_onesweep_histogram_config_static_selectorELNS0_4arch9wavefront6targetE1EEEvSC_,"axG",@progbits,_ZN7rocprim17ROCPRIM_400000_NS6detail17trampoline_kernelINS0_14default_configENS1_35radix_sort_onesweep_config_selectorIsNS0_10empty_typeEEEZNS1_34radix_sort_onesweep_global_offsetsIS3_Lb1EPsPS5_mNS0_19identity_decomposerEEE10hipError_tT1_T2_PT3_SE_jT4_jjP12ihipStream_tbEUlT_E_NS1_11comp_targetILNS1_3genE0ELNS1_11target_archE4294967295ELNS1_3gpuE0ELNS1_3repE0EEENS1_52radix_sort_onesweep_histogram_config_static_selectorELNS0_4arch9wavefront6targetE1EEEvSC_,comdat
.Lfunc_end1808:
	.size	_ZN7rocprim17ROCPRIM_400000_NS6detail17trampoline_kernelINS0_14default_configENS1_35radix_sort_onesweep_config_selectorIsNS0_10empty_typeEEEZNS1_34radix_sort_onesweep_global_offsetsIS3_Lb1EPsPS5_mNS0_19identity_decomposerEEE10hipError_tT1_T2_PT3_SE_jT4_jjP12ihipStream_tbEUlT_E_NS1_11comp_targetILNS1_3genE0ELNS1_11target_archE4294967295ELNS1_3gpuE0ELNS1_3repE0EEENS1_52radix_sort_onesweep_histogram_config_static_selectorELNS0_4arch9wavefront6targetE1EEEvSC_, .Lfunc_end1808-_ZN7rocprim17ROCPRIM_400000_NS6detail17trampoline_kernelINS0_14default_configENS1_35radix_sort_onesweep_config_selectorIsNS0_10empty_typeEEEZNS1_34radix_sort_onesweep_global_offsetsIS3_Lb1EPsPS5_mNS0_19identity_decomposerEEE10hipError_tT1_T2_PT3_SE_jT4_jjP12ihipStream_tbEUlT_E_NS1_11comp_targetILNS1_3genE0ELNS1_11target_archE4294967295ELNS1_3gpuE0ELNS1_3repE0EEENS1_52radix_sort_onesweep_histogram_config_static_selectorELNS0_4arch9wavefront6targetE1EEEvSC_
                                        ; -- End function
	.section	.AMDGPU.csdata,"",@progbits
; Kernel info:
; codeLenInByte = 0
; NumSgprs: 4
; NumVgprs: 0
; NumAgprs: 0
; TotalNumVgprs: 0
; ScratchSize: 0
; MemoryBound: 0
; FloatMode: 240
; IeeeMode: 1
; LDSByteSize: 0 bytes/workgroup (compile time only)
; SGPRBlocks: 0
; VGPRBlocks: 0
; NumSGPRsForWavesPerEU: 4
; NumVGPRsForWavesPerEU: 1
; AccumOffset: 4
; Occupancy: 8
; WaveLimiterHint : 0
; COMPUTE_PGM_RSRC2:SCRATCH_EN: 0
; COMPUTE_PGM_RSRC2:USER_SGPR: 6
; COMPUTE_PGM_RSRC2:TRAP_HANDLER: 0
; COMPUTE_PGM_RSRC2:TGID_X_EN: 1
; COMPUTE_PGM_RSRC2:TGID_Y_EN: 0
; COMPUTE_PGM_RSRC2:TGID_Z_EN: 0
; COMPUTE_PGM_RSRC2:TIDIG_COMP_CNT: 0
; COMPUTE_PGM_RSRC3_GFX90A:ACCUM_OFFSET: 0
; COMPUTE_PGM_RSRC3_GFX90A:TG_SPLIT: 0
	.section	.text._ZN7rocprim17ROCPRIM_400000_NS6detail17trampoline_kernelINS0_14default_configENS1_35radix_sort_onesweep_config_selectorIsNS0_10empty_typeEEEZNS1_34radix_sort_onesweep_global_offsetsIS3_Lb1EPsPS5_mNS0_19identity_decomposerEEE10hipError_tT1_T2_PT3_SE_jT4_jjP12ihipStream_tbEUlT_E_NS1_11comp_targetILNS1_3genE6ELNS1_11target_archE950ELNS1_3gpuE13ELNS1_3repE0EEENS1_52radix_sort_onesweep_histogram_config_static_selectorELNS0_4arch9wavefront6targetE1EEEvSC_,"axG",@progbits,_ZN7rocprim17ROCPRIM_400000_NS6detail17trampoline_kernelINS0_14default_configENS1_35radix_sort_onesweep_config_selectorIsNS0_10empty_typeEEEZNS1_34radix_sort_onesweep_global_offsetsIS3_Lb1EPsPS5_mNS0_19identity_decomposerEEE10hipError_tT1_T2_PT3_SE_jT4_jjP12ihipStream_tbEUlT_E_NS1_11comp_targetILNS1_3genE6ELNS1_11target_archE950ELNS1_3gpuE13ELNS1_3repE0EEENS1_52radix_sort_onesweep_histogram_config_static_selectorELNS0_4arch9wavefront6targetE1EEEvSC_,comdat
	.protected	_ZN7rocprim17ROCPRIM_400000_NS6detail17trampoline_kernelINS0_14default_configENS1_35radix_sort_onesweep_config_selectorIsNS0_10empty_typeEEEZNS1_34radix_sort_onesweep_global_offsetsIS3_Lb1EPsPS5_mNS0_19identity_decomposerEEE10hipError_tT1_T2_PT3_SE_jT4_jjP12ihipStream_tbEUlT_E_NS1_11comp_targetILNS1_3genE6ELNS1_11target_archE950ELNS1_3gpuE13ELNS1_3repE0EEENS1_52radix_sort_onesweep_histogram_config_static_selectorELNS0_4arch9wavefront6targetE1EEEvSC_ ; -- Begin function _ZN7rocprim17ROCPRIM_400000_NS6detail17trampoline_kernelINS0_14default_configENS1_35radix_sort_onesweep_config_selectorIsNS0_10empty_typeEEEZNS1_34radix_sort_onesweep_global_offsetsIS3_Lb1EPsPS5_mNS0_19identity_decomposerEEE10hipError_tT1_T2_PT3_SE_jT4_jjP12ihipStream_tbEUlT_E_NS1_11comp_targetILNS1_3genE6ELNS1_11target_archE950ELNS1_3gpuE13ELNS1_3repE0EEENS1_52radix_sort_onesweep_histogram_config_static_selectorELNS0_4arch9wavefront6targetE1EEEvSC_
	.globl	_ZN7rocprim17ROCPRIM_400000_NS6detail17trampoline_kernelINS0_14default_configENS1_35radix_sort_onesweep_config_selectorIsNS0_10empty_typeEEEZNS1_34radix_sort_onesweep_global_offsetsIS3_Lb1EPsPS5_mNS0_19identity_decomposerEEE10hipError_tT1_T2_PT3_SE_jT4_jjP12ihipStream_tbEUlT_E_NS1_11comp_targetILNS1_3genE6ELNS1_11target_archE950ELNS1_3gpuE13ELNS1_3repE0EEENS1_52radix_sort_onesweep_histogram_config_static_selectorELNS0_4arch9wavefront6targetE1EEEvSC_
	.p2align	8
	.type	_ZN7rocprim17ROCPRIM_400000_NS6detail17trampoline_kernelINS0_14default_configENS1_35radix_sort_onesweep_config_selectorIsNS0_10empty_typeEEEZNS1_34radix_sort_onesweep_global_offsetsIS3_Lb1EPsPS5_mNS0_19identity_decomposerEEE10hipError_tT1_T2_PT3_SE_jT4_jjP12ihipStream_tbEUlT_E_NS1_11comp_targetILNS1_3genE6ELNS1_11target_archE950ELNS1_3gpuE13ELNS1_3repE0EEENS1_52radix_sort_onesweep_histogram_config_static_selectorELNS0_4arch9wavefront6targetE1EEEvSC_,@function
_ZN7rocprim17ROCPRIM_400000_NS6detail17trampoline_kernelINS0_14default_configENS1_35radix_sort_onesweep_config_selectorIsNS0_10empty_typeEEEZNS1_34radix_sort_onesweep_global_offsetsIS3_Lb1EPsPS5_mNS0_19identity_decomposerEEE10hipError_tT1_T2_PT3_SE_jT4_jjP12ihipStream_tbEUlT_E_NS1_11comp_targetILNS1_3genE6ELNS1_11target_archE950ELNS1_3gpuE13ELNS1_3repE0EEENS1_52radix_sort_onesweep_histogram_config_static_selectorELNS0_4arch9wavefront6targetE1EEEvSC_: ; @_ZN7rocprim17ROCPRIM_400000_NS6detail17trampoline_kernelINS0_14default_configENS1_35radix_sort_onesweep_config_selectorIsNS0_10empty_typeEEEZNS1_34radix_sort_onesweep_global_offsetsIS3_Lb1EPsPS5_mNS0_19identity_decomposerEEE10hipError_tT1_T2_PT3_SE_jT4_jjP12ihipStream_tbEUlT_E_NS1_11comp_targetILNS1_3genE6ELNS1_11target_archE950ELNS1_3gpuE13ELNS1_3repE0EEENS1_52radix_sort_onesweep_histogram_config_static_selectorELNS0_4arch9wavefront6targetE1EEEvSC_
; %bb.0:
	.section	.rodata,"a",@progbits
	.p2align	6, 0x0
	.amdhsa_kernel _ZN7rocprim17ROCPRIM_400000_NS6detail17trampoline_kernelINS0_14default_configENS1_35radix_sort_onesweep_config_selectorIsNS0_10empty_typeEEEZNS1_34radix_sort_onesweep_global_offsetsIS3_Lb1EPsPS5_mNS0_19identity_decomposerEEE10hipError_tT1_T2_PT3_SE_jT4_jjP12ihipStream_tbEUlT_E_NS1_11comp_targetILNS1_3genE6ELNS1_11target_archE950ELNS1_3gpuE13ELNS1_3repE0EEENS1_52radix_sort_onesweep_histogram_config_static_selectorELNS0_4arch9wavefront6targetE1EEEvSC_
		.amdhsa_group_segment_fixed_size 0
		.amdhsa_private_segment_fixed_size 0
		.amdhsa_kernarg_size 48
		.amdhsa_user_sgpr_count 6
		.amdhsa_user_sgpr_private_segment_buffer 1
		.amdhsa_user_sgpr_dispatch_ptr 0
		.amdhsa_user_sgpr_queue_ptr 0
		.amdhsa_user_sgpr_kernarg_segment_ptr 1
		.amdhsa_user_sgpr_dispatch_id 0
		.amdhsa_user_sgpr_flat_scratch_init 0
		.amdhsa_user_sgpr_kernarg_preload_length 0
		.amdhsa_user_sgpr_kernarg_preload_offset 0
		.amdhsa_user_sgpr_private_segment_size 0
		.amdhsa_uses_dynamic_stack 0
		.amdhsa_system_sgpr_private_segment_wavefront_offset 0
		.amdhsa_system_sgpr_workgroup_id_x 1
		.amdhsa_system_sgpr_workgroup_id_y 0
		.amdhsa_system_sgpr_workgroup_id_z 0
		.amdhsa_system_sgpr_workgroup_info 0
		.amdhsa_system_vgpr_workitem_id 0
		.amdhsa_next_free_vgpr 1
		.amdhsa_next_free_sgpr 0
		.amdhsa_accum_offset 4
		.amdhsa_reserve_vcc 0
		.amdhsa_reserve_flat_scratch 0
		.amdhsa_float_round_mode_32 0
		.amdhsa_float_round_mode_16_64 0
		.amdhsa_float_denorm_mode_32 3
		.amdhsa_float_denorm_mode_16_64 3
		.amdhsa_dx10_clamp 1
		.amdhsa_ieee_mode 1
		.amdhsa_fp16_overflow 0
		.amdhsa_tg_split 0
		.amdhsa_exception_fp_ieee_invalid_op 0
		.amdhsa_exception_fp_denorm_src 0
		.amdhsa_exception_fp_ieee_div_zero 0
		.amdhsa_exception_fp_ieee_overflow 0
		.amdhsa_exception_fp_ieee_underflow 0
		.amdhsa_exception_fp_ieee_inexact 0
		.amdhsa_exception_int_div_zero 0
	.end_amdhsa_kernel
	.section	.text._ZN7rocprim17ROCPRIM_400000_NS6detail17trampoline_kernelINS0_14default_configENS1_35radix_sort_onesweep_config_selectorIsNS0_10empty_typeEEEZNS1_34radix_sort_onesweep_global_offsetsIS3_Lb1EPsPS5_mNS0_19identity_decomposerEEE10hipError_tT1_T2_PT3_SE_jT4_jjP12ihipStream_tbEUlT_E_NS1_11comp_targetILNS1_3genE6ELNS1_11target_archE950ELNS1_3gpuE13ELNS1_3repE0EEENS1_52radix_sort_onesweep_histogram_config_static_selectorELNS0_4arch9wavefront6targetE1EEEvSC_,"axG",@progbits,_ZN7rocprim17ROCPRIM_400000_NS6detail17trampoline_kernelINS0_14default_configENS1_35radix_sort_onesweep_config_selectorIsNS0_10empty_typeEEEZNS1_34radix_sort_onesweep_global_offsetsIS3_Lb1EPsPS5_mNS0_19identity_decomposerEEE10hipError_tT1_T2_PT3_SE_jT4_jjP12ihipStream_tbEUlT_E_NS1_11comp_targetILNS1_3genE6ELNS1_11target_archE950ELNS1_3gpuE13ELNS1_3repE0EEENS1_52radix_sort_onesweep_histogram_config_static_selectorELNS0_4arch9wavefront6targetE1EEEvSC_,comdat
.Lfunc_end1809:
	.size	_ZN7rocprim17ROCPRIM_400000_NS6detail17trampoline_kernelINS0_14default_configENS1_35radix_sort_onesweep_config_selectorIsNS0_10empty_typeEEEZNS1_34radix_sort_onesweep_global_offsetsIS3_Lb1EPsPS5_mNS0_19identity_decomposerEEE10hipError_tT1_T2_PT3_SE_jT4_jjP12ihipStream_tbEUlT_E_NS1_11comp_targetILNS1_3genE6ELNS1_11target_archE950ELNS1_3gpuE13ELNS1_3repE0EEENS1_52radix_sort_onesweep_histogram_config_static_selectorELNS0_4arch9wavefront6targetE1EEEvSC_, .Lfunc_end1809-_ZN7rocprim17ROCPRIM_400000_NS6detail17trampoline_kernelINS0_14default_configENS1_35radix_sort_onesweep_config_selectorIsNS0_10empty_typeEEEZNS1_34radix_sort_onesweep_global_offsetsIS3_Lb1EPsPS5_mNS0_19identity_decomposerEEE10hipError_tT1_T2_PT3_SE_jT4_jjP12ihipStream_tbEUlT_E_NS1_11comp_targetILNS1_3genE6ELNS1_11target_archE950ELNS1_3gpuE13ELNS1_3repE0EEENS1_52radix_sort_onesweep_histogram_config_static_selectorELNS0_4arch9wavefront6targetE1EEEvSC_
                                        ; -- End function
	.section	.AMDGPU.csdata,"",@progbits
; Kernel info:
; codeLenInByte = 0
; NumSgprs: 4
; NumVgprs: 0
; NumAgprs: 0
; TotalNumVgprs: 0
; ScratchSize: 0
; MemoryBound: 0
; FloatMode: 240
; IeeeMode: 1
; LDSByteSize: 0 bytes/workgroup (compile time only)
; SGPRBlocks: 0
; VGPRBlocks: 0
; NumSGPRsForWavesPerEU: 4
; NumVGPRsForWavesPerEU: 1
; AccumOffset: 4
; Occupancy: 8
; WaveLimiterHint : 0
; COMPUTE_PGM_RSRC2:SCRATCH_EN: 0
; COMPUTE_PGM_RSRC2:USER_SGPR: 6
; COMPUTE_PGM_RSRC2:TRAP_HANDLER: 0
; COMPUTE_PGM_RSRC2:TGID_X_EN: 1
; COMPUTE_PGM_RSRC2:TGID_Y_EN: 0
; COMPUTE_PGM_RSRC2:TGID_Z_EN: 0
; COMPUTE_PGM_RSRC2:TIDIG_COMP_CNT: 0
; COMPUTE_PGM_RSRC3_GFX90A:ACCUM_OFFSET: 0
; COMPUTE_PGM_RSRC3_GFX90A:TG_SPLIT: 0
	.section	.text._ZN7rocprim17ROCPRIM_400000_NS6detail17trampoline_kernelINS0_14default_configENS1_35radix_sort_onesweep_config_selectorIsNS0_10empty_typeEEEZNS1_34radix_sort_onesweep_global_offsetsIS3_Lb1EPsPS5_mNS0_19identity_decomposerEEE10hipError_tT1_T2_PT3_SE_jT4_jjP12ihipStream_tbEUlT_E_NS1_11comp_targetILNS1_3genE5ELNS1_11target_archE942ELNS1_3gpuE9ELNS1_3repE0EEENS1_52radix_sort_onesweep_histogram_config_static_selectorELNS0_4arch9wavefront6targetE1EEEvSC_,"axG",@progbits,_ZN7rocprim17ROCPRIM_400000_NS6detail17trampoline_kernelINS0_14default_configENS1_35radix_sort_onesweep_config_selectorIsNS0_10empty_typeEEEZNS1_34radix_sort_onesweep_global_offsetsIS3_Lb1EPsPS5_mNS0_19identity_decomposerEEE10hipError_tT1_T2_PT3_SE_jT4_jjP12ihipStream_tbEUlT_E_NS1_11comp_targetILNS1_3genE5ELNS1_11target_archE942ELNS1_3gpuE9ELNS1_3repE0EEENS1_52radix_sort_onesweep_histogram_config_static_selectorELNS0_4arch9wavefront6targetE1EEEvSC_,comdat
	.protected	_ZN7rocprim17ROCPRIM_400000_NS6detail17trampoline_kernelINS0_14default_configENS1_35radix_sort_onesweep_config_selectorIsNS0_10empty_typeEEEZNS1_34radix_sort_onesweep_global_offsetsIS3_Lb1EPsPS5_mNS0_19identity_decomposerEEE10hipError_tT1_T2_PT3_SE_jT4_jjP12ihipStream_tbEUlT_E_NS1_11comp_targetILNS1_3genE5ELNS1_11target_archE942ELNS1_3gpuE9ELNS1_3repE0EEENS1_52radix_sort_onesweep_histogram_config_static_selectorELNS0_4arch9wavefront6targetE1EEEvSC_ ; -- Begin function _ZN7rocprim17ROCPRIM_400000_NS6detail17trampoline_kernelINS0_14default_configENS1_35radix_sort_onesweep_config_selectorIsNS0_10empty_typeEEEZNS1_34radix_sort_onesweep_global_offsetsIS3_Lb1EPsPS5_mNS0_19identity_decomposerEEE10hipError_tT1_T2_PT3_SE_jT4_jjP12ihipStream_tbEUlT_E_NS1_11comp_targetILNS1_3genE5ELNS1_11target_archE942ELNS1_3gpuE9ELNS1_3repE0EEENS1_52radix_sort_onesweep_histogram_config_static_selectorELNS0_4arch9wavefront6targetE1EEEvSC_
	.globl	_ZN7rocprim17ROCPRIM_400000_NS6detail17trampoline_kernelINS0_14default_configENS1_35radix_sort_onesweep_config_selectorIsNS0_10empty_typeEEEZNS1_34radix_sort_onesweep_global_offsetsIS3_Lb1EPsPS5_mNS0_19identity_decomposerEEE10hipError_tT1_T2_PT3_SE_jT4_jjP12ihipStream_tbEUlT_E_NS1_11comp_targetILNS1_3genE5ELNS1_11target_archE942ELNS1_3gpuE9ELNS1_3repE0EEENS1_52radix_sort_onesweep_histogram_config_static_selectorELNS0_4arch9wavefront6targetE1EEEvSC_
	.p2align	8
	.type	_ZN7rocprim17ROCPRIM_400000_NS6detail17trampoline_kernelINS0_14default_configENS1_35radix_sort_onesweep_config_selectorIsNS0_10empty_typeEEEZNS1_34radix_sort_onesweep_global_offsetsIS3_Lb1EPsPS5_mNS0_19identity_decomposerEEE10hipError_tT1_T2_PT3_SE_jT4_jjP12ihipStream_tbEUlT_E_NS1_11comp_targetILNS1_3genE5ELNS1_11target_archE942ELNS1_3gpuE9ELNS1_3repE0EEENS1_52radix_sort_onesweep_histogram_config_static_selectorELNS0_4arch9wavefront6targetE1EEEvSC_,@function
_ZN7rocprim17ROCPRIM_400000_NS6detail17trampoline_kernelINS0_14default_configENS1_35radix_sort_onesweep_config_selectorIsNS0_10empty_typeEEEZNS1_34radix_sort_onesweep_global_offsetsIS3_Lb1EPsPS5_mNS0_19identity_decomposerEEE10hipError_tT1_T2_PT3_SE_jT4_jjP12ihipStream_tbEUlT_E_NS1_11comp_targetILNS1_3genE5ELNS1_11target_archE942ELNS1_3gpuE9ELNS1_3repE0EEENS1_52radix_sort_onesweep_histogram_config_static_selectorELNS0_4arch9wavefront6targetE1EEEvSC_: ; @_ZN7rocprim17ROCPRIM_400000_NS6detail17trampoline_kernelINS0_14default_configENS1_35radix_sort_onesweep_config_selectorIsNS0_10empty_typeEEEZNS1_34radix_sort_onesweep_global_offsetsIS3_Lb1EPsPS5_mNS0_19identity_decomposerEEE10hipError_tT1_T2_PT3_SE_jT4_jjP12ihipStream_tbEUlT_E_NS1_11comp_targetILNS1_3genE5ELNS1_11target_archE942ELNS1_3gpuE9ELNS1_3repE0EEENS1_52radix_sort_onesweep_histogram_config_static_selectorELNS0_4arch9wavefront6targetE1EEEvSC_
; %bb.0:
	.section	.rodata,"a",@progbits
	.p2align	6, 0x0
	.amdhsa_kernel _ZN7rocprim17ROCPRIM_400000_NS6detail17trampoline_kernelINS0_14default_configENS1_35radix_sort_onesweep_config_selectorIsNS0_10empty_typeEEEZNS1_34radix_sort_onesweep_global_offsetsIS3_Lb1EPsPS5_mNS0_19identity_decomposerEEE10hipError_tT1_T2_PT3_SE_jT4_jjP12ihipStream_tbEUlT_E_NS1_11comp_targetILNS1_3genE5ELNS1_11target_archE942ELNS1_3gpuE9ELNS1_3repE0EEENS1_52radix_sort_onesweep_histogram_config_static_selectorELNS0_4arch9wavefront6targetE1EEEvSC_
		.amdhsa_group_segment_fixed_size 0
		.amdhsa_private_segment_fixed_size 0
		.amdhsa_kernarg_size 48
		.amdhsa_user_sgpr_count 6
		.amdhsa_user_sgpr_private_segment_buffer 1
		.amdhsa_user_sgpr_dispatch_ptr 0
		.amdhsa_user_sgpr_queue_ptr 0
		.amdhsa_user_sgpr_kernarg_segment_ptr 1
		.amdhsa_user_sgpr_dispatch_id 0
		.amdhsa_user_sgpr_flat_scratch_init 0
		.amdhsa_user_sgpr_kernarg_preload_length 0
		.amdhsa_user_sgpr_kernarg_preload_offset 0
		.amdhsa_user_sgpr_private_segment_size 0
		.amdhsa_uses_dynamic_stack 0
		.amdhsa_system_sgpr_private_segment_wavefront_offset 0
		.amdhsa_system_sgpr_workgroup_id_x 1
		.amdhsa_system_sgpr_workgroup_id_y 0
		.amdhsa_system_sgpr_workgroup_id_z 0
		.amdhsa_system_sgpr_workgroup_info 0
		.amdhsa_system_vgpr_workitem_id 0
		.amdhsa_next_free_vgpr 1
		.amdhsa_next_free_sgpr 0
		.amdhsa_accum_offset 4
		.amdhsa_reserve_vcc 0
		.amdhsa_reserve_flat_scratch 0
		.amdhsa_float_round_mode_32 0
		.amdhsa_float_round_mode_16_64 0
		.amdhsa_float_denorm_mode_32 3
		.amdhsa_float_denorm_mode_16_64 3
		.amdhsa_dx10_clamp 1
		.amdhsa_ieee_mode 1
		.amdhsa_fp16_overflow 0
		.amdhsa_tg_split 0
		.amdhsa_exception_fp_ieee_invalid_op 0
		.amdhsa_exception_fp_denorm_src 0
		.amdhsa_exception_fp_ieee_div_zero 0
		.amdhsa_exception_fp_ieee_overflow 0
		.amdhsa_exception_fp_ieee_underflow 0
		.amdhsa_exception_fp_ieee_inexact 0
		.amdhsa_exception_int_div_zero 0
	.end_amdhsa_kernel
	.section	.text._ZN7rocprim17ROCPRIM_400000_NS6detail17trampoline_kernelINS0_14default_configENS1_35radix_sort_onesweep_config_selectorIsNS0_10empty_typeEEEZNS1_34radix_sort_onesweep_global_offsetsIS3_Lb1EPsPS5_mNS0_19identity_decomposerEEE10hipError_tT1_T2_PT3_SE_jT4_jjP12ihipStream_tbEUlT_E_NS1_11comp_targetILNS1_3genE5ELNS1_11target_archE942ELNS1_3gpuE9ELNS1_3repE0EEENS1_52radix_sort_onesweep_histogram_config_static_selectorELNS0_4arch9wavefront6targetE1EEEvSC_,"axG",@progbits,_ZN7rocprim17ROCPRIM_400000_NS6detail17trampoline_kernelINS0_14default_configENS1_35radix_sort_onesweep_config_selectorIsNS0_10empty_typeEEEZNS1_34radix_sort_onesweep_global_offsetsIS3_Lb1EPsPS5_mNS0_19identity_decomposerEEE10hipError_tT1_T2_PT3_SE_jT4_jjP12ihipStream_tbEUlT_E_NS1_11comp_targetILNS1_3genE5ELNS1_11target_archE942ELNS1_3gpuE9ELNS1_3repE0EEENS1_52radix_sort_onesweep_histogram_config_static_selectorELNS0_4arch9wavefront6targetE1EEEvSC_,comdat
.Lfunc_end1810:
	.size	_ZN7rocprim17ROCPRIM_400000_NS6detail17trampoline_kernelINS0_14default_configENS1_35radix_sort_onesweep_config_selectorIsNS0_10empty_typeEEEZNS1_34radix_sort_onesweep_global_offsetsIS3_Lb1EPsPS5_mNS0_19identity_decomposerEEE10hipError_tT1_T2_PT3_SE_jT4_jjP12ihipStream_tbEUlT_E_NS1_11comp_targetILNS1_3genE5ELNS1_11target_archE942ELNS1_3gpuE9ELNS1_3repE0EEENS1_52radix_sort_onesweep_histogram_config_static_selectorELNS0_4arch9wavefront6targetE1EEEvSC_, .Lfunc_end1810-_ZN7rocprim17ROCPRIM_400000_NS6detail17trampoline_kernelINS0_14default_configENS1_35radix_sort_onesweep_config_selectorIsNS0_10empty_typeEEEZNS1_34radix_sort_onesweep_global_offsetsIS3_Lb1EPsPS5_mNS0_19identity_decomposerEEE10hipError_tT1_T2_PT3_SE_jT4_jjP12ihipStream_tbEUlT_E_NS1_11comp_targetILNS1_3genE5ELNS1_11target_archE942ELNS1_3gpuE9ELNS1_3repE0EEENS1_52radix_sort_onesweep_histogram_config_static_selectorELNS0_4arch9wavefront6targetE1EEEvSC_
                                        ; -- End function
	.section	.AMDGPU.csdata,"",@progbits
; Kernel info:
; codeLenInByte = 0
; NumSgprs: 4
; NumVgprs: 0
; NumAgprs: 0
; TotalNumVgprs: 0
; ScratchSize: 0
; MemoryBound: 0
; FloatMode: 240
; IeeeMode: 1
; LDSByteSize: 0 bytes/workgroup (compile time only)
; SGPRBlocks: 0
; VGPRBlocks: 0
; NumSGPRsForWavesPerEU: 4
; NumVGPRsForWavesPerEU: 1
; AccumOffset: 4
; Occupancy: 8
; WaveLimiterHint : 0
; COMPUTE_PGM_RSRC2:SCRATCH_EN: 0
; COMPUTE_PGM_RSRC2:USER_SGPR: 6
; COMPUTE_PGM_RSRC2:TRAP_HANDLER: 0
; COMPUTE_PGM_RSRC2:TGID_X_EN: 1
; COMPUTE_PGM_RSRC2:TGID_Y_EN: 0
; COMPUTE_PGM_RSRC2:TGID_Z_EN: 0
; COMPUTE_PGM_RSRC2:TIDIG_COMP_CNT: 0
; COMPUTE_PGM_RSRC3_GFX90A:ACCUM_OFFSET: 0
; COMPUTE_PGM_RSRC3_GFX90A:TG_SPLIT: 0
	.section	.text._ZN7rocprim17ROCPRIM_400000_NS6detail17trampoline_kernelINS0_14default_configENS1_35radix_sort_onesweep_config_selectorIsNS0_10empty_typeEEEZNS1_34radix_sort_onesweep_global_offsetsIS3_Lb1EPsPS5_mNS0_19identity_decomposerEEE10hipError_tT1_T2_PT3_SE_jT4_jjP12ihipStream_tbEUlT_E_NS1_11comp_targetILNS1_3genE2ELNS1_11target_archE906ELNS1_3gpuE6ELNS1_3repE0EEENS1_52radix_sort_onesweep_histogram_config_static_selectorELNS0_4arch9wavefront6targetE1EEEvSC_,"axG",@progbits,_ZN7rocprim17ROCPRIM_400000_NS6detail17trampoline_kernelINS0_14default_configENS1_35radix_sort_onesweep_config_selectorIsNS0_10empty_typeEEEZNS1_34radix_sort_onesweep_global_offsetsIS3_Lb1EPsPS5_mNS0_19identity_decomposerEEE10hipError_tT1_T2_PT3_SE_jT4_jjP12ihipStream_tbEUlT_E_NS1_11comp_targetILNS1_3genE2ELNS1_11target_archE906ELNS1_3gpuE6ELNS1_3repE0EEENS1_52radix_sort_onesweep_histogram_config_static_selectorELNS0_4arch9wavefront6targetE1EEEvSC_,comdat
	.protected	_ZN7rocprim17ROCPRIM_400000_NS6detail17trampoline_kernelINS0_14default_configENS1_35radix_sort_onesweep_config_selectorIsNS0_10empty_typeEEEZNS1_34radix_sort_onesweep_global_offsetsIS3_Lb1EPsPS5_mNS0_19identity_decomposerEEE10hipError_tT1_T2_PT3_SE_jT4_jjP12ihipStream_tbEUlT_E_NS1_11comp_targetILNS1_3genE2ELNS1_11target_archE906ELNS1_3gpuE6ELNS1_3repE0EEENS1_52radix_sort_onesweep_histogram_config_static_selectorELNS0_4arch9wavefront6targetE1EEEvSC_ ; -- Begin function _ZN7rocprim17ROCPRIM_400000_NS6detail17trampoline_kernelINS0_14default_configENS1_35radix_sort_onesweep_config_selectorIsNS0_10empty_typeEEEZNS1_34radix_sort_onesweep_global_offsetsIS3_Lb1EPsPS5_mNS0_19identity_decomposerEEE10hipError_tT1_T2_PT3_SE_jT4_jjP12ihipStream_tbEUlT_E_NS1_11comp_targetILNS1_3genE2ELNS1_11target_archE906ELNS1_3gpuE6ELNS1_3repE0EEENS1_52radix_sort_onesweep_histogram_config_static_selectorELNS0_4arch9wavefront6targetE1EEEvSC_
	.globl	_ZN7rocprim17ROCPRIM_400000_NS6detail17trampoline_kernelINS0_14default_configENS1_35radix_sort_onesweep_config_selectorIsNS0_10empty_typeEEEZNS1_34radix_sort_onesweep_global_offsetsIS3_Lb1EPsPS5_mNS0_19identity_decomposerEEE10hipError_tT1_T2_PT3_SE_jT4_jjP12ihipStream_tbEUlT_E_NS1_11comp_targetILNS1_3genE2ELNS1_11target_archE906ELNS1_3gpuE6ELNS1_3repE0EEENS1_52radix_sort_onesweep_histogram_config_static_selectorELNS0_4arch9wavefront6targetE1EEEvSC_
	.p2align	8
	.type	_ZN7rocprim17ROCPRIM_400000_NS6detail17trampoline_kernelINS0_14default_configENS1_35radix_sort_onesweep_config_selectorIsNS0_10empty_typeEEEZNS1_34radix_sort_onesweep_global_offsetsIS3_Lb1EPsPS5_mNS0_19identity_decomposerEEE10hipError_tT1_T2_PT3_SE_jT4_jjP12ihipStream_tbEUlT_E_NS1_11comp_targetILNS1_3genE2ELNS1_11target_archE906ELNS1_3gpuE6ELNS1_3repE0EEENS1_52radix_sort_onesweep_histogram_config_static_selectorELNS0_4arch9wavefront6targetE1EEEvSC_,@function
_ZN7rocprim17ROCPRIM_400000_NS6detail17trampoline_kernelINS0_14default_configENS1_35radix_sort_onesweep_config_selectorIsNS0_10empty_typeEEEZNS1_34radix_sort_onesweep_global_offsetsIS3_Lb1EPsPS5_mNS0_19identity_decomposerEEE10hipError_tT1_T2_PT3_SE_jT4_jjP12ihipStream_tbEUlT_E_NS1_11comp_targetILNS1_3genE2ELNS1_11target_archE906ELNS1_3gpuE6ELNS1_3repE0EEENS1_52radix_sort_onesweep_histogram_config_static_selectorELNS0_4arch9wavefront6targetE1EEEvSC_: ; @_ZN7rocprim17ROCPRIM_400000_NS6detail17trampoline_kernelINS0_14default_configENS1_35radix_sort_onesweep_config_selectorIsNS0_10empty_typeEEEZNS1_34radix_sort_onesweep_global_offsetsIS3_Lb1EPsPS5_mNS0_19identity_decomposerEEE10hipError_tT1_T2_PT3_SE_jT4_jjP12ihipStream_tbEUlT_E_NS1_11comp_targetILNS1_3genE2ELNS1_11target_archE906ELNS1_3gpuE6ELNS1_3repE0EEENS1_52radix_sort_onesweep_histogram_config_static_selectorELNS0_4arch9wavefront6targetE1EEEvSC_
; %bb.0:
	.section	.rodata,"a",@progbits
	.p2align	6, 0x0
	.amdhsa_kernel _ZN7rocprim17ROCPRIM_400000_NS6detail17trampoline_kernelINS0_14default_configENS1_35radix_sort_onesweep_config_selectorIsNS0_10empty_typeEEEZNS1_34radix_sort_onesweep_global_offsetsIS3_Lb1EPsPS5_mNS0_19identity_decomposerEEE10hipError_tT1_T2_PT3_SE_jT4_jjP12ihipStream_tbEUlT_E_NS1_11comp_targetILNS1_3genE2ELNS1_11target_archE906ELNS1_3gpuE6ELNS1_3repE0EEENS1_52radix_sort_onesweep_histogram_config_static_selectorELNS0_4arch9wavefront6targetE1EEEvSC_
		.amdhsa_group_segment_fixed_size 0
		.amdhsa_private_segment_fixed_size 0
		.amdhsa_kernarg_size 48
		.amdhsa_user_sgpr_count 6
		.amdhsa_user_sgpr_private_segment_buffer 1
		.amdhsa_user_sgpr_dispatch_ptr 0
		.amdhsa_user_sgpr_queue_ptr 0
		.amdhsa_user_sgpr_kernarg_segment_ptr 1
		.amdhsa_user_sgpr_dispatch_id 0
		.amdhsa_user_sgpr_flat_scratch_init 0
		.amdhsa_user_sgpr_kernarg_preload_length 0
		.amdhsa_user_sgpr_kernarg_preload_offset 0
		.amdhsa_user_sgpr_private_segment_size 0
		.amdhsa_uses_dynamic_stack 0
		.amdhsa_system_sgpr_private_segment_wavefront_offset 0
		.amdhsa_system_sgpr_workgroup_id_x 1
		.amdhsa_system_sgpr_workgroup_id_y 0
		.amdhsa_system_sgpr_workgroup_id_z 0
		.amdhsa_system_sgpr_workgroup_info 0
		.amdhsa_system_vgpr_workitem_id 0
		.amdhsa_next_free_vgpr 1
		.amdhsa_next_free_sgpr 0
		.amdhsa_accum_offset 4
		.amdhsa_reserve_vcc 0
		.amdhsa_reserve_flat_scratch 0
		.amdhsa_float_round_mode_32 0
		.amdhsa_float_round_mode_16_64 0
		.amdhsa_float_denorm_mode_32 3
		.amdhsa_float_denorm_mode_16_64 3
		.amdhsa_dx10_clamp 1
		.amdhsa_ieee_mode 1
		.amdhsa_fp16_overflow 0
		.amdhsa_tg_split 0
		.amdhsa_exception_fp_ieee_invalid_op 0
		.amdhsa_exception_fp_denorm_src 0
		.amdhsa_exception_fp_ieee_div_zero 0
		.amdhsa_exception_fp_ieee_overflow 0
		.amdhsa_exception_fp_ieee_underflow 0
		.amdhsa_exception_fp_ieee_inexact 0
		.amdhsa_exception_int_div_zero 0
	.end_amdhsa_kernel
	.section	.text._ZN7rocprim17ROCPRIM_400000_NS6detail17trampoline_kernelINS0_14default_configENS1_35radix_sort_onesweep_config_selectorIsNS0_10empty_typeEEEZNS1_34radix_sort_onesweep_global_offsetsIS3_Lb1EPsPS5_mNS0_19identity_decomposerEEE10hipError_tT1_T2_PT3_SE_jT4_jjP12ihipStream_tbEUlT_E_NS1_11comp_targetILNS1_3genE2ELNS1_11target_archE906ELNS1_3gpuE6ELNS1_3repE0EEENS1_52radix_sort_onesweep_histogram_config_static_selectorELNS0_4arch9wavefront6targetE1EEEvSC_,"axG",@progbits,_ZN7rocprim17ROCPRIM_400000_NS6detail17trampoline_kernelINS0_14default_configENS1_35radix_sort_onesweep_config_selectorIsNS0_10empty_typeEEEZNS1_34radix_sort_onesweep_global_offsetsIS3_Lb1EPsPS5_mNS0_19identity_decomposerEEE10hipError_tT1_T2_PT3_SE_jT4_jjP12ihipStream_tbEUlT_E_NS1_11comp_targetILNS1_3genE2ELNS1_11target_archE906ELNS1_3gpuE6ELNS1_3repE0EEENS1_52radix_sort_onesweep_histogram_config_static_selectorELNS0_4arch9wavefront6targetE1EEEvSC_,comdat
.Lfunc_end1811:
	.size	_ZN7rocprim17ROCPRIM_400000_NS6detail17trampoline_kernelINS0_14default_configENS1_35radix_sort_onesweep_config_selectorIsNS0_10empty_typeEEEZNS1_34radix_sort_onesweep_global_offsetsIS3_Lb1EPsPS5_mNS0_19identity_decomposerEEE10hipError_tT1_T2_PT3_SE_jT4_jjP12ihipStream_tbEUlT_E_NS1_11comp_targetILNS1_3genE2ELNS1_11target_archE906ELNS1_3gpuE6ELNS1_3repE0EEENS1_52radix_sort_onesweep_histogram_config_static_selectorELNS0_4arch9wavefront6targetE1EEEvSC_, .Lfunc_end1811-_ZN7rocprim17ROCPRIM_400000_NS6detail17trampoline_kernelINS0_14default_configENS1_35radix_sort_onesweep_config_selectorIsNS0_10empty_typeEEEZNS1_34radix_sort_onesweep_global_offsetsIS3_Lb1EPsPS5_mNS0_19identity_decomposerEEE10hipError_tT1_T2_PT3_SE_jT4_jjP12ihipStream_tbEUlT_E_NS1_11comp_targetILNS1_3genE2ELNS1_11target_archE906ELNS1_3gpuE6ELNS1_3repE0EEENS1_52radix_sort_onesweep_histogram_config_static_selectorELNS0_4arch9wavefront6targetE1EEEvSC_
                                        ; -- End function
	.section	.AMDGPU.csdata,"",@progbits
; Kernel info:
; codeLenInByte = 0
; NumSgprs: 4
; NumVgprs: 0
; NumAgprs: 0
; TotalNumVgprs: 0
; ScratchSize: 0
; MemoryBound: 0
; FloatMode: 240
; IeeeMode: 1
; LDSByteSize: 0 bytes/workgroup (compile time only)
; SGPRBlocks: 0
; VGPRBlocks: 0
; NumSGPRsForWavesPerEU: 4
; NumVGPRsForWavesPerEU: 1
; AccumOffset: 4
; Occupancy: 8
; WaveLimiterHint : 0
; COMPUTE_PGM_RSRC2:SCRATCH_EN: 0
; COMPUTE_PGM_RSRC2:USER_SGPR: 6
; COMPUTE_PGM_RSRC2:TRAP_HANDLER: 0
; COMPUTE_PGM_RSRC2:TGID_X_EN: 1
; COMPUTE_PGM_RSRC2:TGID_Y_EN: 0
; COMPUTE_PGM_RSRC2:TGID_Z_EN: 0
; COMPUTE_PGM_RSRC2:TIDIG_COMP_CNT: 0
; COMPUTE_PGM_RSRC3_GFX90A:ACCUM_OFFSET: 0
; COMPUTE_PGM_RSRC3_GFX90A:TG_SPLIT: 0
	.section	.text._ZN7rocprim17ROCPRIM_400000_NS6detail17trampoline_kernelINS0_14default_configENS1_35radix_sort_onesweep_config_selectorIsNS0_10empty_typeEEEZNS1_34radix_sort_onesweep_global_offsetsIS3_Lb1EPsPS5_mNS0_19identity_decomposerEEE10hipError_tT1_T2_PT3_SE_jT4_jjP12ihipStream_tbEUlT_E_NS1_11comp_targetILNS1_3genE4ELNS1_11target_archE910ELNS1_3gpuE8ELNS1_3repE0EEENS1_52radix_sort_onesweep_histogram_config_static_selectorELNS0_4arch9wavefront6targetE1EEEvSC_,"axG",@progbits,_ZN7rocprim17ROCPRIM_400000_NS6detail17trampoline_kernelINS0_14default_configENS1_35radix_sort_onesweep_config_selectorIsNS0_10empty_typeEEEZNS1_34radix_sort_onesweep_global_offsetsIS3_Lb1EPsPS5_mNS0_19identity_decomposerEEE10hipError_tT1_T2_PT3_SE_jT4_jjP12ihipStream_tbEUlT_E_NS1_11comp_targetILNS1_3genE4ELNS1_11target_archE910ELNS1_3gpuE8ELNS1_3repE0EEENS1_52radix_sort_onesweep_histogram_config_static_selectorELNS0_4arch9wavefront6targetE1EEEvSC_,comdat
	.protected	_ZN7rocprim17ROCPRIM_400000_NS6detail17trampoline_kernelINS0_14default_configENS1_35radix_sort_onesweep_config_selectorIsNS0_10empty_typeEEEZNS1_34radix_sort_onesweep_global_offsetsIS3_Lb1EPsPS5_mNS0_19identity_decomposerEEE10hipError_tT1_T2_PT3_SE_jT4_jjP12ihipStream_tbEUlT_E_NS1_11comp_targetILNS1_3genE4ELNS1_11target_archE910ELNS1_3gpuE8ELNS1_3repE0EEENS1_52radix_sort_onesweep_histogram_config_static_selectorELNS0_4arch9wavefront6targetE1EEEvSC_ ; -- Begin function _ZN7rocprim17ROCPRIM_400000_NS6detail17trampoline_kernelINS0_14default_configENS1_35radix_sort_onesweep_config_selectorIsNS0_10empty_typeEEEZNS1_34radix_sort_onesweep_global_offsetsIS3_Lb1EPsPS5_mNS0_19identity_decomposerEEE10hipError_tT1_T2_PT3_SE_jT4_jjP12ihipStream_tbEUlT_E_NS1_11comp_targetILNS1_3genE4ELNS1_11target_archE910ELNS1_3gpuE8ELNS1_3repE0EEENS1_52radix_sort_onesweep_histogram_config_static_selectorELNS0_4arch9wavefront6targetE1EEEvSC_
	.globl	_ZN7rocprim17ROCPRIM_400000_NS6detail17trampoline_kernelINS0_14default_configENS1_35radix_sort_onesweep_config_selectorIsNS0_10empty_typeEEEZNS1_34radix_sort_onesweep_global_offsetsIS3_Lb1EPsPS5_mNS0_19identity_decomposerEEE10hipError_tT1_T2_PT3_SE_jT4_jjP12ihipStream_tbEUlT_E_NS1_11comp_targetILNS1_3genE4ELNS1_11target_archE910ELNS1_3gpuE8ELNS1_3repE0EEENS1_52radix_sort_onesweep_histogram_config_static_selectorELNS0_4arch9wavefront6targetE1EEEvSC_
	.p2align	8
	.type	_ZN7rocprim17ROCPRIM_400000_NS6detail17trampoline_kernelINS0_14default_configENS1_35radix_sort_onesweep_config_selectorIsNS0_10empty_typeEEEZNS1_34radix_sort_onesweep_global_offsetsIS3_Lb1EPsPS5_mNS0_19identity_decomposerEEE10hipError_tT1_T2_PT3_SE_jT4_jjP12ihipStream_tbEUlT_E_NS1_11comp_targetILNS1_3genE4ELNS1_11target_archE910ELNS1_3gpuE8ELNS1_3repE0EEENS1_52radix_sort_onesweep_histogram_config_static_selectorELNS0_4arch9wavefront6targetE1EEEvSC_,@function
_ZN7rocprim17ROCPRIM_400000_NS6detail17trampoline_kernelINS0_14default_configENS1_35radix_sort_onesweep_config_selectorIsNS0_10empty_typeEEEZNS1_34radix_sort_onesweep_global_offsetsIS3_Lb1EPsPS5_mNS0_19identity_decomposerEEE10hipError_tT1_T2_PT3_SE_jT4_jjP12ihipStream_tbEUlT_E_NS1_11comp_targetILNS1_3genE4ELNS1_11target_archE910ELNS1_3gpuE8ELNS1_3repE0EEENS1_52radix_sort_onesweep_histogram_config_static_selectorELNS0_4arch9wavefront6targetE1EEEvSC_: ; @_ZN7rocprim17ROCPRIM_400000_NS6detail17trampoline_kernelINS0_14default_configENS1_35radix_sort_onesweep_config_selectorIsNS0_10empty_typeEEEZNS1_34radix_sort_onesweep_global_offsetsIS3_Lb1EPsPS5_mNS0_19identity_decomposerEEE10hipError_tT1_T2_PT3_SE_jT4_jjP12ihipStream_tbEUlT_E_NS1_11comp_targetILNS1_3genE4ELNS1_11target_archE910ELNS1_3gpuE8ELNS1_3repE0EEENS1_52radix_sort_onesweep_histogram_config_static_selectorELNS0_4arch9wavefront6targetE1EEEvSC_
; %bb.0:
	s_load_dwordx2 s[10:11], s[4:5], 0x18
	s_load_dwordx4 s[0:3], s[4:5], 0x0
	s_load_dwordx2 s[8:9], s[4:5], 0x24
	v_mov_b32_e32 v2, s6
	v_mov_b32_e32 v3, 0
	s_mul_hi_u32 s7, s6, 0x6000
	s_mulk_i32 s6, 0x6000
	s_waitcnt lgkmcnt(0)
	v_cmp_le_u64_e32 vcc, s[10:11], v[2:3]
	s_add_u32 s6, s0, s6
	s_addc_u32 s7, s1, s7
	s_mov_b64 s[0:1], -1
	s_cbranch_vccz .LBB1812_115
; %bb.1:
	s_load_dword s14, s[4:5], 0x10
	s_mul_i32 s0, s10, 0xffffd000
                                        ; implicit-def: $vgpr2_vgpr3_vgpr4_vgpr5_vgpr6_vgpr7_vgpr8_vgpr9
	s_waitcnt lgkmcnt(0)
	s_add_i32 s14, s14, s0
	v_cmp_gt_u32_e32 vcc, s14, v0
	s_and_saveexec_b64 s[0:1], vcc
	s_cbranch_execz .LBB1812_3
; %bb.2:
	v_lshlrev_b32_e32 v1, 1, v0
	global_load_ushort v2, v1, s[6:7]
.LBB1812_3:
	s_or_b64 exec, exec, s[0:1]
	v_or_b32_e32 v18, 0x400, v0
	v_cmp_gt_u32_e32 vcc, s14, v18
	s_and_saveexec_b64 s[0:1], vcc
	s_cbranch_execz .LBB1812_5
; %bb.4:
	v_lshlrev_b32_e32 v1, 1, v0
	global_load_ushort v1, v1, s[6:7] offset:2048
	s_mov_b32 s4, 0x5040100
	s_waitcnt vmcnt(0)
	v_perm_b32 v2, v1, v2, s4
.LBB1812_5:
	s_or_b64 exec, exec, s[0:1]
	v_or_b32_e32 v17, 0x800, v0
	v_cmp_gt_u32_e32 vcc, s14, v17
	s_and_saveexec_b64 s[0:1], vcc
	s_cbranch_execz .LBB1812_7
; %bb.6:
	v_lshlrev_b32_e32 v1, 1, v17
	global_load_ushort v1, v1, s[6:7]
	s_mov_b32 s4, 0xffff
	s_waitcnt vmcnt(0)
	v_bfi_b32 v3, s4, v1, v3
.LBB1812_7:
	s_or_b64 exec, exec, s[0:1]
	v_or_b32_e32 v16, 0xc00, v0
	v_cmp_gt_u32_e32 vcc, s14, v16
	s_and_saveexec_b64 s[0:1], vcc
	s_cbranch_execz .LBB1812_9
; %bb.8:
	v_lshlrev_b32_e32 v1, 1, v16
	global_load_ushort v1, v1, s[6:7]
	s_mov_b32 s4, 0x5040100
	s_waitcnt vmcnt(0)
	v_perm_b32 v3, v1, v3, s4
.LBB1812_9:
	s_or_b64 exec, exec, s[0:1]
	v_or_b32_e32 v15, 0x1000, v0
	v_cmp_gt_u32_e32 vcc, s14, v15
	s_and_saveexec_b64 s[0:1], vcc
	s_cbranch_execz .LBB1812_11
; %bb.10:
	v_lshlrev_b32_e32 v1, 1, v15
	global_load_ushort v1, v1, s[6:7]
	s_mov_b32 s4, 0xffff
	s_waitcnt vmcnt(0)
	v_bfi_b32 v4, s4, v1, v4
.LBB1812_11:
	s_or_b64 exec, exec, s[0:1]
	v_or_b32_e32 v14, 0x1400, v0
	v_cmp_gt_u32_e32 vcc, s14, v14
	s_and_saveexec_b64 s[0:1], vcc
	s_cbranch_execz .LBB1812_13
; %bb.12:
	v_lshlrev_b32_e32 v1, 1, v14
	global_load_ushort v1, v1, s[6:7]
	s_mov_b32 s4, 0x5040100
	s_waitcnt vmcnt(0)
	v_perm_b32 v4, v1, v4, s4
.LBB1812_13:
	;; [unrolled: 24-line block ×5, first 2 shown]
	s_or_b64 exec, exec, s[0:1]
	s_cmp_le_u32 s9, s8
	s_cselect_b64 s[4:5], -1, 0
	v_cmp_le_u32_e32 vcc, s14, v0
	s_and_b64 s[0:1], s[4:5], exec
	v_lshlrev_b32_e32 v19, 2, v0
	v_mov_b32_e32 v20, 0
	s_cselect_b32 s15, 8, 10
	s_or_b64 s[0:1], s[4:5], vcc
	v_and_b32_e32 v1, 3, v0
	ds_write2st64_b32 v19, v20, v20 offset1:16
	s_waitcnt vmcnt(0)
	v_xor_b32_e32 v19, 0x7fff, v2
	s_xor_b64 s[10:11], s[0:1], -1
	v_mov_b32_e32 v20, s15
	s_waitcnt lgkmcnt(0)
	s_barrier
	s_and_saveexec_b64 s[0:1], s[10:11]
	s_cbranch_execz .LBB1812_27
; %bb.26:
	s_sub_i32 s10, s9, s8
	s_min_u32 s10, s10, 8
	v_lshrrev_b32_sdwa v20, s8, v19 dst_sel:DWORD dst_unused:UNUSED_PAD src0_sel:DWORD src1_sel:WORD_0
	v_bfe_u32 v20, v20, 0, s10
	v_lshlrev_b32_e32 v21, 2, v1
	v_lshl_or_b32 v20, v20, 4, v21
	v_mov_b32_e32 v21, 1
	ds_add_u32 v20, v21
	v_mov_b32_e32 v20, 0
.LBB1812_27:
	s_or_b64 exec, exec, s[0:1]
	v_cmp_gt_i32_e64 s[0:1], 10, v20
	s_mov_b64 s[10:11], -1
	s_and_saveexec_b64 s[12:13], s[0:1]
; %bb.28:
	v_cmp_eq_u32_e64 s[0:1], 0, v20
	s_orn2_b64 s[10:11], s[0:1], exec
; %bb.29:
	s_or_b64 exec, exec, s[12:13]
	s_and_saveexec_b64 s[0:1], s[10:11]
	s_cbranch_execz .LBB1812_32
; %bb.30:
	s_add_i32 s10, s8, 8
	s_cmp_gt_u32 s9, s10
	s_cselect_b64 s[12:13], -1, 0
	s_xor_b64 s[16:17], vcc, -1
	s_and_b64 s[12:13], s[12:13], s[16:17]
	s_and_b64 exec, exec, s[12:13]
	s_cbranch_execz .LBB1812_32
; %bb.31:
	s_sub_i32 s11, s9, s10
	s_min_u32 s11, s11, 8
	v_lshrrev_b32_sdwa v19, s10, v19 dst_sel:DWORD dst_unused:UNUSED_PAD src0_sel:DWORD src1_sel:WORD_0
	v_bfe_u32 v19, v19, 0, s11
	v_lshlrev_b32_e32 v20, 2, v1
	v_lshl_or_b32 v19, v19, 4, v20
	v_mov_b32_e32 v20, 1
	ds_add_u32 v19, v20 offset:4096
.LBB1812_32:
	s_or_b64 exec, exec, s[0:1]
	s_movk_i32 s0, 0x7fff
	v_cmp_le_u32_e32 vcc, s14, v18
	v_xor_b32_sdwa v2, v2, s0 dst_sel:DWORD dst_unused:UNUSED_PAD src0_sel:WORD_1 src1_sel:DWORD
	s_or_b64 s[0:1], s[4:5], vcc
	s_xor_b64 s[10:11], s[0:1], -1
	v_mov_b32_e32 v18, s15
	s_and_saveexec_b64 s[0:1], s[10:11]
	s_cbranch_execz .LBB1812_34
; %bb.33:
	s_sub_i32 s10, s9, s8
	s_min_u32 s10, s10, 8
	v_lshrrev_b32_sdwa v18, s8, v2 dst_sel:DWORD dst_unused:UNUSED_PAD src0_sel:DWORD src1_sel:WORD_0
	v_bfe_u32 v18, v18, 0, s10
	v_lshlrev_b32_e32 v19, 2, v1
	v_lshl_or_b32 v18, v18, 4, v19
	v_mov_b32_e32 v19, 1
	ds_add_u32 v18, v19
	v_mov_b32_e32 v18, 0
.LBB1812_34:
	s_or_b64 exec, exec, s[0:1]
	v_cmp_gt_i32_e64 s[0:1], 10, v18
	s_mov_b64 s[10:11], -1
	s_and_saveexec_b64 s[12:13], s[0:1]
; %bb.35:
	v_cmp_eq_u32_e64 s[0:1], 0, v18
	s_orn2_b64 s[10:11], s[0:1], exec
; %bb.36:
	s_or_b64 exec, exec, s[12:13]
	s_and_saveexec_b64 s[0:1], s[10:11]
	s_cbranch_execz .LBB1812_39
; %bb.37:
	s_add_i32 s10, s8, 8
	s_cmp_gt_u32 s9, s10
	s_cselect_b64 s[12:13], -1, 0
	s_xor_b64 s[16:17], vcc, -1
	s_and_b64 s[12:13], s[12:13], s[16:17]
	s_and_b64 exec, exec, s[12:13]
	s_cbranch_execz .LBB1812_39
; %bb.38:
	s_sub_i32 s11, s9, s10
	s_min_u32 s11, s11, 8
	v_lshrrev_b32_sdwa v2, s10, v2 dst_sel:DWORD dst_unused:UNUSED_PAD src0_sel:DWORD src1_sel:WORD_0
	v_bfe_u32 v2, v2, 0, s11
	v_lshlrev_b32_e32 v18, 2, v1
	v_lshl_or_b32 v2, v2, 4, v18
	v_mov_b32_e32 v18, 1
	ds_add_u32 v2, v18 offset:4096
.LBB1812_39:
	s_or_b64 exec, exec, s[0:1]
	v_cmp_le_u32_e32 vcc, s14, v17
	s_or_b64 s[0:1], s[4:5], vcc
	v_xor_b32_e32 v2, 0x7fff, v3
	s_xor_b64 s[10:11], s[0:1], -1
	v_mov_b32_e32 v17, s15
	s_and_saveexec_b64 s[0:1], s[10:11]
	s_cbranch_execz .LBB1812_41
; %bb.40:
	s_sub_i32 s10, s9, s8
	s_min_u32 s10, s10, 8
	v_lshrrev_b32_sdwa v17, s8, v2 dst_sel:DWORD dst_unused:UNUSED_PAD src0_sel:DWORD src1_sel:WORD_0
	v_bfe_u32 v17, v17, 0, s10
	v_lshlrev_b32_e32 v18, 2, v1
	v_lshl_or_b32 v17, v17, 4, v18
	v_mov_b32_e32 v18, 1
	ds_add_u32 v17, v18
	v_mov_b32_e32 v17, 0
.LBB1812_41:
	s_or_b64 exec, exec, s[0:1]
	v_cmp_gt_i32_e64 s[0:1], 10, v17
	s_mov_b64 s[10:11], -1
	s_and_saveexec_b64 s[12:13], s[0:1]
; %bb.42:
	v_cmp_eq_u32_e64 s[0:1], 0, v17
	s_orn2_b64 s[10:11], s[0:1], exec
; %bb.43:
	s_or_b64 exec, exec, s[12:13]
	s_and_saveexec_b64 s[0:1], s[10:11]
	s_cbranch_execz .LBB1812_46
; %bb.44:
	s_add_i32 s10, s8, 8
	s_cmp_gt_u32 s9, s10
	s_cselect_b64 s[12:13], -1, 0
	s_xor_b64 s[16:17], vcc, -1
	s_and_b64 s[12:13], s[12:13], s[16:17]
	s_and_b64 exec, exec, s[12:13]
	s_cbranch_execz .LBB1812_46
; %bb.45:
	s_sub_i32 s11, s9, s10
	s_min_u32 s11, s11, 8
	v_lshrrev_b32_sdwa v2, s10, v2 dst_sel:DWORD dst_unused:UNUSED_PAD src0_sel:DWORD src1_sel:WORD_0
	v_bfe_u32 v2, v2, 0, s11
	v_lshlrev_b32_e32 v17, 2, v1
	v_lshl_or_b32 v2, v2, 4, v17
	v_mov_b32_e32 v17, 1
	ds_add_u32 v2, v17 offset:4096
.LBB1812_46:
	s_or_b64 exec, exec, s[0:1]
	s_movk_i32 s0, 0x7fff
	v_cmp_le_u32_e32 vcc, s14, v16
	v_xor_b32_sdwa v2, v3, s0 dst_sel:DWORD dst_unused:UNUSED_PAD src0_sel:WORD_1 src1_sel:DWORD
	s_or_b64 s[0:1], s[4:5], vcc
	s_xor_b64 s[10:11], s[0:1], -1
	v_mov_b32_e32 v3, s15
	s_and_saveexec_b64 s[0:1], s[10:11]
	s_cbranch_execz .LBB1812_48
; %bb.47:
	s_sub_i32 s10, s9, s8
	s_min_u32 s10, s10, 8
	v_lshrrev_b32_sdwa v3, s8, v2 dst_sel:DWORD dst_unused:UNUSED_PAD src0_sel:DWORD src1_sel:WORD_0
	v_bfe_u32 v3, v3, 0, s10
	v_lshlrev_b32_e32 v16, 2, v1
	v_lshl_or_b32 v3, v3, 4, v16
	v_mov_b32_e32 v16, 1
	ds_add_u32 v3, v16
	v_mov_b32_e32 v3, 0
.LBB1812_48:
	s_or_b64 exec, exec, s[0:1]
	v_cmp_gt_i32_e64 s[0:1], 10, v3
	s_mov_b64 s[10:11], -1
	s_and_saveexec_b64 s[12:13], s[0:1]
; %bb.49:
	v_cmp_eq_u32_e64 s[0:1], 0, v3
	s_orn2_b64 s[10:11], s[0:1], exec
; %bb.50:
	s_or_b64 exec, exec, s[12:13]
	s_and_saveexec_b64 s[0:1], s[10:11]
	s_cbranch_execz .LBB1812_53
; %bb.51:
	s_add_i32 s10, s8, 8
	s_cmp_gt_u32 s9, s10
	s_cselect_b64 s[12:13], -1, 0
	s_xor_b64 s[16:17], vcc, -1
	s_and_b64 s[12:13], s[12:13], s[16:17]
	s_and_b64 exec, exec, s[12:13]
	s_cbranch_execz .LBB1812_53
; %bb.52:
	s_sub_i32 s11, s9, s10
	s_min_u32 s11, s11, 8
	v_lshrrev_b32_sdwa v2, s10, v2 dst_sel:DWORD dst_unused:UNUSED_PAD src0_sel:DWORD src1_sel:WORD_0
	v_bfe_u32 v2, v2, 0, s11
	v_lshlrev_b32_e32 v3, 2, v1
	v_lshl_or_b32 v2, v2, 4, v3
	v_mov_b32_e32 v3, 1
	ds_add_u32 v2, v3 offset:4096
.LBB1812_53:
	s_or_b64 exec, exec, s[0:1]
	v_cmp_le_u32_e32 vcc, s14, v15
	s_or_b64 s[0:1], s[4:5], vcc
	v_xor_b32_e32 v2, 0x7fff, v4
	s_xor_b64 s[10:11], s[0:1], -1
	v_mov_b32_e32 v3, s15
	s_and_saveexec_b64 s[0:1], s[10:11]
	s_cbranch_execz .LBB1812_55
; %bb.54:
	s_sub_i32 s10, s9, s8
	s_min_u32 s10, s10, 8
	v_lshrrev_b32_sdwa v3, s8, v2 dst_sel:DWORD dst_unused:UNUSED_PAD src0_sel:DWORD src1_sel:WORD_0
	v_bfe_u32 v3, v3, 0, s10
	v_lshlrev_b32_e32 v15, 2, v1
	v_lshl_or_b32 v3, v3, 4, v15
	v_mov_b32_e32 v15, 1
	ds_add_u32 v3, v15
	v_mov_b32_e32 v3, 0
.LBB1812_55:
	s_or_b64 exec, exec, s[0:1]
	v_cmp_gt_i32_e64 s[0:1], 10, v3
	s_mov_b64 s[10:11], -1
	s_and_saveexec_b64 s[12:13], s[0:1]
; %bb.56:
	v_cmp_eq_u32_e64 s[0:1], 0, v3
	s_orn2_b64 s[10:11], s[0:1], exec
; %bb.57:
	s_or_b64 exec, exec, s[12:13]
	s_and_saveexec_b64 s[0:1], s[10:11]
	s_cbranch_execz .LBB1812_60
; %bb.58:
	s_add_i32 s10, s8, 8
	s_cmp_gt_u32 s9, s10
	s_cselect_b64 s[12:13], -1, 0
	s_xor_b64 s[16:17], vcc, -1
	s_and_b64 s[12:13], s[12:13], s[16:17]
	s_and_b64 exec, exec, s[12:13]
	s_cbranch_execz .LBB1812_60
; %bb.59:
	s_sub_i32 s11, s9, s10
	s_min_u32 s11, s11, 8
	v_lshrrev_b32_sdwa v2, s10, v2 dst_sel:DWORD dst_unused:UNUSED_PAD src0_sel:DWORD src1_sel:WORD_0
	v_bfe_u32 v2, v2, 0, s11
	v_lshlrev_b32_e32 v3, 2, v1
	v_lshl_or_b32 v2, v2, 4, v3
	v_mov_b32_e32 v3, 1
	ds_add_u32 v2, v3 offset:4096
.LBB1812_60:
	s_or_b64 exec, exec, s[0:1]
	s_movk_i32 s0, 0x7fff
	v_cmp_le_u32_e32 vcc, s14, v14
	v_xor_b32_sdwa v2, v4, s0 dst_sel:DWORD dst_unused:UNUSED_PAD src0_sel:WORD_1 src1_sel:DWORD
	s_or_b64 s[0:1], s[4:5], vcc
	s_xor_b64 s[10:11], s[0:1], -1
	v_mov_b32_e32 v3, s15
	s_and_saveexec_b64 s[0:1], s[10:11]
	s_cbranch_execz .LBB1812_62
; %bb.61:
	s_sub_i32 s10, s9, s8
	s_min_u32 s10, s10, 8
	v_lshrrev_b32_sdwa v3, s8, v2 dst_sel:DWORD dst_unused:UNUSED_PAD src0_sel:DWORD src1_sel:WORD_0
	v_bfe_u32 v3, v3, 0, s10
	v_lshlrev_b32_e32 v4, 2, v1
	v_lshl_or_b32 v3, v3, 4, v4
	v_mov_b32_e32 v4, 1
	ds_add_u32 v3, v4
	v_mov_b32_e32 v3, 0
.LBB1812_62:
	s_or_b64 exec, exec, s[0:1]
	v_cmp_gt_i32_e64 s[0:1], 10, v3
	s_mov_b64 s[10:11], -1
	s_and_saveexec_b64 s[12:13], s[0:1]
; %bb.63:
	v_cmp_eq_u32_e64 s[0:1], 0, v3
	s_orn2_b64 s[10:11], s[0:1], exec
; %bb.64:
	s_or_b64 exec, exec, s[12:13]
	s_and_saveexec_b64 s[0:1], s[10:11]
	s_cbranch_execz .LBB1812_67
; %bb.65:
	s_add_i32 s10, s8, 8
	s_cmp_gt_u32 s9, s10
	s_cselect_b64 s[12:13], -1, 0
	s_xor_b64 s[16:17], vcc, -1
	s_and_b64 s[12:13], s[12:13], s[16:17]
	s_and_b64 exec, exec, s[12:13]
	s_cbranch_execz .LBB1812_67
; %bb.66:
	s_sub_i32 s11, s9, s10
	s_min_u32 s11, s11, 8
	v_lshrrev_b32_sdwa v2, s10, v2 dst_sel:DWORD dst_unused:UNUSED_PAD src0_sel:DWORD src1_sel:WORD_0
	v_bfe_u32 v2, v2, 0, s11
	v_lshlrev_b32_e32 v3, 2, v1
	v_lshl_or_b32 v2, v2, 4, v3
	v_mov_b32_e32 v3, 1
	ds_add_u32 v2, v3 offset:4096
.LBB1812_67:
	s_or_b64 exec, exec, s[0:1]
	v_cmp_le_u32_e32 vcc, s14, v13
	s_or_b64 s[0:1], s[4:5], vcc
	v_xor_b32_e32 v2, 0x7fff, v5
	s_xor_b64 s[10:11], s[0:1], -1
	v_mov_b32_e32 v3, s15
	s_and_saveexec_b64 s[0:1], s[10:11]
	s_cbranch_execz .LBB1812_69
; %bb.68:
	s_sub_i32 s10, s9, s8
	s_min_u32 s10, s10, 8
	v_lshrrev_b32_sdwa v3, s8, v2 dst_sel:DWORD dst_unused:UNUSED_PAD src0_sel:DWORD src1_sel:WORD_0
	v_bfe_u32 v3, v3, 0, s10
	v_lshlrev_b32_e32 v4, 2, v1
	v_lshl_or_b32 v3, v3, 4, v4
	v_mov_b32_e32 v4, 1
	ds_add_u32 v3, v4
	v_mov_b32_e32 v3, 0
.LBB1812_69:
	s_or_b64 exec, exec, s[0:1]
	v_cmp_gt_i32_e64 s[0:1], 10, v3
	s_mov_b64 s[10:11], -1
	s_and_saveexec_b64 s[12:13], s[0:1]
; %bb.70:
	v_cmp_eq_u32_e64 s[0:1], 0, v3
	s_orn2_b64 s[10:11], s[0:1], exec
; %bb.71:
	s_or_b64 exec, exec, s[12:13]
	s_and_saveexec_b64 s[0:1], s[10:11]
	s_cbranch_execz .LBB1812_74
; %bb.72:
	s_add_i32 s10, s8, 8
	s_cmp_gt_u32 s9, s10
	s_cselect_b64 s[12:13], -1, 0
	s_xor_b64 s[16:17], vcc, -1
	s_and_b64 s[12:13], s[12:13], s[16:17]
	s_and_b64 exec, exec, s[12:13]
	s_cbranch_execz .LBB1812_74
; %bb.73:
	s_sub_i32 s11, s9, s10
	s_min_u32 s11, s11, 8
	v_lshrrev_b32_sdwa v2, s10, v2 dst_sel:DWORD dst_unused:UNUSED_PAD src0_sel:DWORD src1_sel:WORD_0
	v_bfe_u32 v2, v2, 0, s11
	v_lshlrev_b32_e32 v3, 2, v1
	v_lshl_or_b32 v2, v2, 4, v3
	v_mov_b32_e32 v3, 1
	ds_add_u32 v2, v3 offset:4096
.LBB1812_74:
	s_or_b64 exec, exec, s[0:1]
	s_movk_i32 s0, 0x7fff
	v_cmp_le_u32_e32 vcc, s14, v12
	v_xor_b32_sdwa v2, v5, s0 dst_sel:DWORD dst_unused:UNUSED_PAD src0_sel:WORD_1 src1_sel:DWORD
	s_or_b64 s[0:1], s[4:5], vcc
	s_xor_b64 s[10:11], s[0:1], -1
	v_mov_b32_e32 v3, s15
	s_and_saveexec_b64 s[0:1], s[10:11]
	s_cbranch_execz .LBB1812_76
; %bb.75:
	s_sub_i32 s10, s9, s8
	s_min_u32 s10, s10, 8
	v_lshrrev_b32_sdwa v3, s8, v2 dst_sel:DWORD dst_unused:UNUSED_PAD src0_sel:DWORD src1_sel:WORD_0
	v_bfe_u32 v3, v3, 0, s10
	v_lshlrev_b32_e32 v4, 2, v1
	v_lshl_or_b32 v3, v3, 4, v4
	v_mov_b32_e32 v4, 1
	ds_add_u32 v3, v4
	v_mov_b32_e32 v3, 0
.LBB1812_76:
	s_or_b64 exec, exec, s[0:1]
	v_cmp_gt_i32_e64 s[0:1], 10, v3
	s_mov_b64 s[10:11], -1
	s_and_saveexec_b64 s[12:13], s[0:1]
; %bb.77:
	v_cmp_eq_u32_e64 s[0:1], 0, v3
	s_orn2_b64 s[10:11], s[0:1], exec
; %bb.78:
	s_or_b64 exec, exec, s[12:13]
	s_and_saveexec_b64 s[0:1], s[10:11]
	s_cbranch_execz .LBB1812_81
; %bb.79:
	s_add_i32 s10, s8, 8
	s_cmp_gt_u32 s9, s10
	s_cselect_b64 s[12:13], -1, 0
	s_xor_b64 s[16:17], vcc, -1
	s_and_b64 s[12:13], s[12:13], s[16:17]
	s_and_b64 exec, exec, s[12:13]
	s_cbranch_execz .LBB1812_81
; %bb.80:
	s_sub_i32 s11, s9, s10
	s_min_u32 s11, s11, 8
	v_lshrrev_b32_sdwa v2, s10, v2 dst_sel:DWORD dst_unused:UNUSED_PAD src0_sel:DWORD src1_sel:WORD_0
	v_bfe_u32 v2, v2, 0, s11
	v_lshlrev_b32_e32 v3, 2, v1
	v_lshl_or_b32 v2, v2, 4, v3
	v_mov_b32_e32 v3, 1
	ds_add_u32 v2, v3 offset:4096
.LBB1812_81:
	s_or_b64 exec, exec, s[0:1]
	v_cmp_le_u32_e32 vcc, s14, v11
	s_or_b64 s[0:1], s[4:5], vcc
	v_xor_b32_e32 v2, 0x7fff, v6
	s_xor_b64 s[10:11], s[0:1], -1
	v_mov_b32_e32 v3, s15
	s_and_saveexec_b64 s[0:1], s[10:11]
	s_cbranch_execz .LBB1812_83
; %bb.82:
	s_sub_i32 s10, s9, s8
	s_min_u32 s10, s10, 8
	v_lshrrev_b32_sdwa v3, s8, v2 dst_sel:DWORD dst_unused:UNUSED_PAD src0_sel:DWORD src1_sel:WORD_0
	v_bfe_u32 v3, v3, 0, s10
	v_lshlrev_b32_e32 v4, 2, v1
	v_lshl_or_b32 v3, v3, 4, v4
	v_mov_b32_e32 v4, 1
	ds_add_u32 v3, v4
	v_mov_b32_e32 v3, 0
.LBB1812_83:
	s_or_b64 exec, exec, s[0:1]
	v_cmp_gt_i32_e64 s[0:1], 10, v3
	s_mov_b64 s[10:11], -1
	s_and_saveexec_b64 s[12:13], s[0:1]
; %bb.84:
	v_cmp_eq_u32_e64 s[0:1], 0, v3
	s_orn2_b64 s[10:11], s[0:1], exec
; %bb.85:
	s_or_b64 exec, exec, s[12:13]
	s_and_saveexec_b64 s[0:1], s[10:11]
	s_cbranch_execz .LBB1812_88
; %bb.86:
	s_add_i32 s10, s8, 8
	s_cmp_gt_u32 s9, s10
	s_cselect_b64 s[12:13], -1, 0
	s_xor_b64 s[16:17], vcc, -1
	s_and_b64 s[12:13], s[12:13], s[16:17]
	s_and_b64 exec, exec, s[12:13]
	s_cbranch_execz .LBB1812_88
; %bb.87:
	s_sub_i32 s11, s9, s10
	s_min_u32 s11, s11, 8
	v_lshrrev_b32_sdwa v2, s10, v2 dst_sel:DWORD dst_unused:UNUSED_PAD src0_sel:DWORD src1_sel:WORD_0
	v_bfe_u32 v2, v2, 0, s11
	v_lshlrev_b32_e32 v3, 2, v1
	v_lshl_or_b32 v2, v2, 4, v3
	v_mov_b32_e32 v3, 1
	ds_add_u32 v2, v3 offset:4096
.LBB1812_88:
	s_or_b64 exec, exec, s[0:1]
	s_movk_i32 s0, 0x7fff
	v_cmp_le_u32_e32 vcc, s14, v10
	v_xor_b32_sdwa v2, v6, s0 dst_sel:DWORD dst_unused:UNUSED_PAD src0_sel:WORD_1 src1_sel:DWORD
	s_or_b64 s[0:1], s[4:5], vcc
	s_xor_b64 s[10:11], s[0:1], -1
	v_mov_b32_e32 v3, s15
	s_and_saveexec_b64 s[0:1], s[10:11]
	s_cbranch_execz .LBB1812_90
; %bb.89:
	s_sub_i32 s10, s9, s8
	s_min_u32 s10, s10, 8
	v_lshrrev_b32_sdwa v3, s8, v2 dst_sel:DWORD dst_unused:UNUSED_PAD src0_sel:DWORD src1_sel:WORD_0
	v_bfe_u32 v3, v3, 0, s10
	v_lshlrev_b32_e32 v4, 2, v1
	v_lshl_or_b32 v3, v3, 4, v4
	v_mov_b32_e32 v4, 1
	ds_add_u32 v3, v4
	v_mov_b32_e32 v3, 0
.LBB1812_90:
	s_or_b64 exec, exec, s[0:1]
	v_cmp_gt_i32_e64 s[0:1], 10, v3
	s_mov_b64 s[10:11], -1
	s_and_saveexec_b64 s[12:13], s[0:1]
; %bb.91:
	v_cmp_eq_u32_e64 s[0:1], 0, v3
	s_orn2_b64 s[10:11], s[0:1], exec
; %bb.92:
	s_or_b64 exec, exec, s[12:13]
	s_and_saveexec_b64 s[0:1], s[10:11]
	s_cbranch_execz .LBB1812_95
; %bb.93:
	s_add_i32 s10, s8, 8
	s_cmp_gt_u32 s9, s10
	s_cselect_b64 s[12:13], -1, 0
	s_xor_b64 s[16:17], vcc, -1
	s_and_b64 s[12:13], s[12:13], s[16:17]
	s_and_b64 exec, exec, s[12:13]
	s_cbranch_execz .LBB1812_95
; %bb.94:
	s_sub_i32 s11, s9, s10
	s_min_u32 s11, s11, 8
	v_lshrrev_b32_sdwa v2, s10, v2 dst_sel:DWORD dst_unused:UNUSED_PAD src0_sel:DWORD src1_sel:WORD_0
	v_bfe_u32 v2, v2, 0, s11
	v_lshlrev_b32_e32 v3, 2, v1
	v_lshl_or_b32 v2, v2, 4, v3
	v_mov_b32_e32 v3, 1
	ds_add_u32 v2, v3 offset:4096
.LBB1812_95:
	s_or_b64 exec, exec, s[0:1]
	v_cmp_le_u32_e32 vcc, s14, v9
	s_or_b64 s[0:1], s[4:5], vcc
	v_xor_b32_e32 v2, 0x7fff, v7
	s_xor_b64 s[10:11], s[0:1], -1
	v_mov_b32_e32 v3, s15
	s_and_saveexec_b64 s[0:1], s[10:11]
	s_cbranch_execz .LBB1812_97
; %bb.96:
	s_sub_i32 s10, s9, s8
	s_min_u32 s10, s10, 8
	v_lshrrev_b32_sdwa v3, s8, v2 dst_sel:DWORD dst_unused:UNUSED_PAD src0_sel:DWORD src1_sel:WORD_0
	v_bfe_u32 v3, v3, 0, s10
	v_lshlrev_b32_e32 v4, 2, v1
	v_lshl_or_b32 v3, v3, 4, v4
	v_mov_b32_e32 v4, 1
	ds_add_u32 v3, v4
	v_mov_b32_e32 v3, 0
.LBB1812_97:
	s_or_b64 exec, exec, s[0:1]
	v_cmp_gt_i32_e64 s[0:1], 10, v3
	s_mov_b64 s[10:11], -1
	s_and_saveexec_b64 s[12:13], s[0:1]
; %bb.98:
	v_cmp_eq_u32_e64 s[0:1], 0, v3
	s_orn2_b64 s[10:11], s[0:1], exec
; %bb.99:
	s_or_b64 exec, exec, s[12:13]
	s_and_saveexec_b64 s[0:1], s[10:11]
	s_cbranch_execz .LBB1812_102
; %bb.100:
	s_add_i32 s10, s8, 8
	s_cmp_gt_u32 s9, s10
	s_cselect_b64 s[12:13], -1, 0
	s_xor_b64 s[16:17], vcc, -1
	s_and_b64 s[12:13], s[12:13], s[16:17]
	s_and_b64 exec, exec, s[12:13]
	s_cbranch_execz .LBB1812_102
; %bb.101:
	s_sub_i32 s11, s9, s10
	s_min_u32 s11, s11, 8
	v_lshrrev_b32_sdwa v2, s10, v2 dst_sel:DWORD dst_unused:UNUSED_PAD src0_sel:DWORD src1_sel:WORD_0
	v_bfe_u32 v2, v2, 0, s11
	v_lshlrev_b32_e32 v3, 2, v1
	v_lshl_or_b32 v2, v2, 4, v3
	v_mov_b32_e32 v3, 1
	ds_add_u32 v2, v3 offset:4096
.LBB1812_102:
	s_or_b64 exec, exec, s[0:1]
	s_movk_i32 s0, 0x7fff
	v_cmp_le_u32_e32 vcc, s14, v8
	v_xor_b32_sdwa v2, v7, s0 dst_sel:DWORD dst_unused:UNUSED_PAD src0_sel:WORD_1 src1_sel:DWORD
	s_or_b64 s[0:1], s[4:5], vcc
	s_xor_b64 s[4:5], s[0:1], -1
	v_mov_b32_e32 v3, s15
	s_and_saveexec_b64 s[0:1], s[4:5]
	s_cbranch_execz .LBB1812_104
; %bb.103:
	s_sub_i32 s4, s9, s8
	s_min_u32 s4, s4, 8
	v_lshrrev_b32_sdwa v3, s8, v2 dst_sel:DWORD dst_unused:UNUSED_PAD src0_sel:DWORD src1_sel:WORD_0
	v_bfe_u32 v3, v3, 0, s4
	v_lshlrev_b32_e32 v4, 2, v1
	v_lshl_or_b32 v3, v3, 4, v4
	v_mov_b32_e32 v4, 1
	ds_add_u32 v3, v4
	v_mov_b32_e32 v3, 0
.LBB1812_104:
	s_or_b64 exec, exec, s[0:1]
	v_cmp_gt_i32_e64 s[0:1], 10, v3
	s_mov_b64 s[4:5], -1
	s_and_saveexec_b64 s[10:11], s[0:1]
; %bb.105:
	v_cmp_eq_u32_e64 s[0:1], 0, v3
	s_orn2_b64 s[4:5], s[0:1], exec
; %bb.106:
	s_or_b64 exec, exec, s[10:11]
	s_and_saveexec_b64 s[0:1], s[4:5]
	s_cbranch_execz .LBB1812_109
; %bb.107:
	s_add_i32 s4, s8, 8
	s_cmp_gt_u32 s9, s4
	s_cselect_b64 s[10:11], -1, 0
	s_xor_b64 s[12:13], vcc, -1
	s_and_b64 s[10:11], s[10:11], s[12:13]
	s_and_b64 exec, exec, s[10:11]
	s_cbranch_execz .LBB1812_109
; %bb.108:
	s_sub_i32 s5, s9, s4
	s_min_u32 s5, s5, 8
	v_lshrrev_b32_sdwa v2, s4, v2 dst_sel:DWORD dst_unused:UNUSED_PAD src0_sel:DWORD src1_sel:WORD_0
	v_bfe_u32 v2, v2, 0, s5
	v_lshlrev_b32_e32 v1, 2, v1
	v_lshl_or_b32 v1, v2, 4, v1
	v_mov_b32_e32 v2, 1
	ds_add_u32 v1, v2 offset:4096
.LBB1812_109:
	s_or_b64 exec, exec, s[0:1]
	s_cmp_gt_u32 s9, s8
	s_waitcnt lgkmcnt(0)
	s_barrier
	s_cbranch_scc0 .LBB1812_114
; %bb.110:
	s_movk_i32 s0, 0x100
	v_cmp_gt_u32_e32 vcc, s0, v0
	v_lshlrev_b32_e32 v1, 4, v0
	v_mov_b32_e32 v3, 0
	v_mov_b32_e32 v2, v0
	s_mov_b32 s10, s8
	s_branch .LBB1812_112
.LBB1812_111:                           ;   in Loop: Header=BB1812_112 Depth=1
	s_or_b64 exec, exec, s[4:5]
	s_add_i32 s10, s10, 8
	v_add_u32_e32 v2, 0x100, v2
	s_cmp_lt_u32 s10, s9
	v_add_u32_e32 v1, 0x1000, v1
	s_cbranch_scc0 .LBB1812_114
.LBB1812_112:                           ; =>This Inner Loop Header: Depth=1
	s_and_saveexec_b64 s[4:5], vcc
	s_cbranch_execz .LBB1812_111
; %bb.113:                              ;   in Loop: Header=BB1812_112 Depth=1
	ds_read2_b32 v[4:5], v1 offset1:1
	ds_read2_b32 v[6:7], v1 offset0:2 offset1:3
	v_lshlrev_b64 v[8:9], 3, v[2:3]
	v_mov_b32_e32 v10, s3
	s_waitcnt lgkmcnt(1)
	v_add_u32_e32 v4, v5, v4
	s_waitcnt lgkmcnt(0)
	v_add3_u32 v4, v4, v6, v7
	v_add_co_u32_e64 v6, s[0:1], s2, v8
	v_addc_co_u32_e64 v7, s[0:1], v10, v9, s[0:1]
	v_mov_b32_e32 v5, v3
	global_atomic_add_x2 v[6:7], v[4:5], off
	s_branch .LBB1812_111
.LBB1812_114:
	s_mov_b64 s[0:1], 0
.LBB1812_115:
	s_and_b64 vcc, exec, s[0:1]
	s_cbranch_vccz .LBB1812_162
; %bb.116:
	v_lshlrev_b32_e32 v1, 1, v0
	v_mov_b32_e32 v2, s7
	v_add_co_u32_e32 v8, vcc, s6, v1
	v_addc_co_u32_e32 v9, vcc, 0, v2, vcc
	v_add_co_u32_e32 v2, vcc, 0x1000, v8
	v_addc_co_u32_e32 v3, vcc, 0, v9, vcc
	;; [unrolled: 2-line block ×4, first 2 shown]
	global_load_ushort v10, v1, s[6:7]
	global_load_ushort v11, v1, s[6:7] offset:2048
	global_load_ushort v12, v[2:3], off
	global_load_ushort v16, v[2:3], off offset:2048
	global_load_ushort v17, v[4:5], off
	global_load_ushort v18, v[4:5], off offset:2048
	;; [unrolled: 2-line block ×3, first 2 shown]
	v_add_co_u32_e32 v2, vcc, 0x4000, v8
	v_addc_co_u32_e32 v3, vcc, 0, v9, vcc
	v_add_co_u32_e32 v4, vcc, 0x5000, v8
	v_addc_co_u32_e32 v5, vcc, 0, v9, vcc
	global_load_ushort v6, v[2:3], off
	global_load_ushort v21, v[2:3], off offset:2048
	global_load_ushort v22, v[4:5], off
	global_load_ushort v23, v[4:5], off offset:2048
	s_cmp_eq_u32 s8, 0
	s_cselect_b64 s[4:5], -1, 0
	s_cmp_eq_u32 s9, 16
	v_mov_b32_e32 v2, 0
	v_lshlrev_b32_e32 v3, 2, v0
	s_cselect_b64 s[6:7], -1, 0
	ds_write2st64_b32 v3, v2, v2 offset1:16
	s_and_b64 s[4:5], s[4:5], s[6:7]
	v_and_b32_e32 v1, 3, v0
	s_mov_b64 s[0:1], -1
	s_and_b64 vcc, exec, s[4:5]
	s_waitcnt vmcnt(11) lgkmcnt(0)
	v_xor_b32_e32 v2, 0x7fff, v10
	s_waitcnt vmcnt(10)
	v_xor_b32_e32 v14, 0x7fff, v11
	v_and_b32_e32 v15, 0xffff, v2
	s_waitcnt vmcnt(9)
	v_xor_b32_e32 v13, 0x7fff, v12
	s_waitcnt vmcnt(8)
	v_xor_b32_e32 v12, 0x7fff, v16
	;; [unrolled: 2-line block ×10, first 2 shown]
	s_cbranch_vccnz .LBB1812_159
; %bb.117:
	s_cmp_gt_u32 s9, s8
	s_cselect_b64 s[4:5], -1, 0
	s_and_b64 vcc, exec, s[4:5]
	v_lshlrev_b32_e32 v2, 2, v1
	s_barrier
	s_cbranch_vccz .LBB1812_120
; %bb.118:
	s_sub_i32 s0, s9, s8
	s_min_u32 s0, s0, 8
	v_lshrrev_b32_e32 v3, s8, v15
	v_bfe_u32 v3, v3, 0, s0
	v_lshl_or_b32 v16, v3, 4, v2
	v_mov_b32_e32 v3, 1
	ds_add_u32 v16, v3
	s_add_i32 s0, s8, 8
	s_cmp_le_u32 s9, s0
	s_cbranch_scc1 .LBB1812_120
; %bb.119:
	s_sub_i32 s1, s9, s0
	s_min_u32 s1, s1, 8
	v_lshrrev_b32_e32 v16, s0, v15
	v_bfe_u32 v16, v16, 0, s1
	v_lshl_or_b32 v16, v16, 4, v2
	ds_add_u32 v16, v3 offset:4096
.LBB1812_120:
	v_cndmask_b32_e64 v3, 0, 1, s[4:5]
	v_cmp_ne_u32_e64 s[0:1], 1, v3
	s_andn2_b64 vcc, exec, s[4:5]
	s_cbranch_vccnz .LBB1812_123
; %bb.121:
	s_sub_i32 s6, s9, s8
	s_min_u32 s6, s6, 8
	v_lshrrev_b32_sdwa v3, s8, v14 dst_sel:DWORD dst_unused:UNUSED_PAD src0_sel:DWORD src1_sel:WORD_0
	v_bfe_u32 v3, v3, 0, s6
	v_lshl_or_b32 v16, v3, 4, v2
	v_mov_b32_e32 v3, 1
	ds_add_u32 v16, v3
	s_add_i32 s6, s8, 8
	s_cmp_le_u32 s9, s6
	s_cbranch_scc1 .LBB1812_123
; %bb.122:
	s_sub_i32 s7, s9, s6
	s_min_u32 s7, s7, 8
	v_lshrrev_b32_sdwa v16, s6, v14 dst_sel:DWORD dst_unused:UNUSED_PAD src0_sel:DWORD src1_sel:WORD_0
	v_bfe_u32 v16, v16, 0, s7
	v_lshl_or_b32 v16, v16, 4, v2
	ds_add_u32 v16, v3 offset:4096
.LBB1812_123:
	s_and_b64 vcc, exec, s[0:1]
	s_cbranch_vccnz .LBB1812_126
; %bb.124:
	s_sub_i32 s6, s9, s8
	s_min_u32 s6, s6, 8
	v_lshrrev_b32_sdwa v3, s8, v13 dst_sel:DWORD dst_unused:UNUSED_PAD src0_sel:DWORD src1_sel:WORD_0
	v_bfe_u32 v3, v3, 0, s6
	v_lshl_or_b32 v16, v3, 4, v2
	v_mov_b32_e32 v3, 1
	ds_add_u32 v16, v3
	s_add_i32 s6, s8, 8
	s_cmp_le_u32 s9, s6
	s_cbranch_scc1 .LBB1812_126
; %bb.125:
	s_sub_i32 s7, s9, s6
	s_min_u32 s7, s7, 8
	v_lshrrev_b32_sdwa v16, s6, v13 dst_sel:DWORD dst_unused:UNUSED_PAD src0_sel:DWORD src1_sel:WORD_0
	v_bfe_u32 v16, v16, 0, s7
	v_lshl_or_b32 v16, v16, 4, v2
	ds_add_u32 v16, v3 offset:4096
.LBB1812_126:
	s_and_b64 vcc, exec, s[0:1]
	;; [unrolled: 21-line block ×11, first 2 shown]
	s_waitcnt lgkmcnt(0)
	s_barrier
	s_cbranch_vccz .LBB1812_158
; %bb.154:
	s_movk_i32 s0, 0x100
	v_cmp_gt_u32_e32 vcc, s0, v0
	v_lshlrev_b32_e32 v16, 4, v0
	v_mov_b32_e32 v3, 0
	v_mov_b32_e32 v2, v0
	s_branch .LBB1812_156
.LBB1812_155:                           ;   in Loop: Header=BB1812_156 Depth=1
	s_or_b64 exec, exec, s[4:5]
	s_add_i32 s8, s8, 8
	v_add_u32_e32 v2, 0x100, v2
	s_cmp_ge_u32 s8, s9
	v_add_u32_e32 v16, 0x1000, v16
	s_cbranch_scc1 .LBB1812_158
.LBB1812_156:                           ; =>This Inner Loop Header: Depth=1
	s_and_saveexec_b64 s[4:5], vcc
	s_cbranch_execz .LBB1812_155
; %bb.157:                              ;   in Loop: Header=BB1812_156 Depth=1
	ds_read2_b32 v[18:19], v16 offset1:1
	ds_read2_b32 v[20:21], v16 offset0:2 offset1:3
	v_lshlrev_b64 v[22:23], 3, v[2:3]
	v_mov_b32_e32 v17, s3
	s_waitcnt lgkmcnt(1)
	v_add_u32_e32 v18, v19, v18
	s_waitcnt lgkmcnt(0)
	v_add3_u32 v18, v18, v20, v21
	v_add_co_u32_e64 v20, s[0:1], s2, v22
	v_addc_co_u32_e64 v21, s[0:1], v17, v23, s[0:1]
	v_mov_b32_e32 v19, v3
	global_atomic_add_x2 v[20:21], v[18:19], off
	s_branch .LBB1812_155
.LBB1812_158:
	s_mov_b64 s[0:1], 0
.LBB1812_159:
	s_and_b64 vcc, exec, s[0:1]
	s_cbranch_vccz .LBB1812_162
; %bb.160:
	v_lshlrev_b32_e32 v2, 2, v15
	s_movk_i32 s0, 0x3fc
	v_and_or_b32 v2, v2, s0, v1
	v_lshlrev_b32_e32 v2, 2, v2
	v_mov_b32_e32 v3, 1
	s_barrier
	ds_add_u32 v2, v3
	v_bfe_u32 v2, v15, 8, 8
	v_lshl_or_b32 v2, v2, 2, v1
	v_lshlrev_b32_e32 v2, 2, v2
	ds_add_u32 v2, v3 offset:4096
	v_and_b32_e32 v2, 0xffff, v14
	v_lshlrev_b32_e32 v14, 2, v2
	v_and_or_b32 v14, v14, s0, v1
	v_bfe_u32 v2, v2, 8, 8
	v_lshlrev_b32_e32 v14, 2, v14
	v_lshl_or_b32 v2, v2, 2, v1
	ds_add_u32 v14, v3
	v_lshlrev_b32_e32 v2, 2, v2
	ds_add_u32 v2, v3 offset:4096
	v_and_b32_e32 v2, 0xffff, v13
	v_lshlrev_b32_e32 v13, 2, v2
	v_and_or_b32 v13, v13, s0, v1
	v_bfe_u32 v2, v2, 8, 8
	v_lshlrev_b32_e32 v13, 2, v13
	v_lshl_or_b32 v2, v2, 2, v1
	ds_add_u32 v13, v3
	;; [unrolled: 9-line block ×11, first 2 shown]
	v_lshlrev_b32_e32 v1, 2, v1
	ds_add_u32 v1, v3 offset:4096
	s_movk_i32 s0, 0x100
	v_cmp_gt_u32_e32 vcc, s0, v0
	s_waitcnt lgkmcnt(0)
	s_barrier
	s_and_saveexec_b64 s[0:1], vcc
	s_cbranch_execz .LBB1812_162
; %bb.161:
	v_lshlrev_b32_e32 v6, 4, v0
	ds_read2_b32 v[2:3], v6 offset1:1
	ds_read2_b32 v[4:5], v6 offset0:2 offset1:3
	v_lshlrev_b32_e32 v7, 3, v0
	v_mov_b32_e32 v1, 0
	v_add_u32_e32 v8, 0x1000, v6
	s_waitcnt lgkmcnt(1)
	v_add_u32_e32 v0, v3, v2
	s_waitcnt lgkmcnt(0)
	v_add3_u32 v0, v0, v4, v5
	global_atomic_add_x2 v7, v[0:1], s[2:3]
	v_add_u32_e32 v0, 0x1008, v6
	ds_read2_b32 v[2:3], v8 offset1:1
	ds_read2_b32 v[4:5], v0 offset1:1
	s_waitcnt lgkmcnt(1)
	v_add_u32_e32 v0, v3, v2
	s_waitcnt lgkmcnt(0)
	v_add3_u32 v0, v0, v4, v5
	global_atomic_add_x2 v7, v[0:1], s[2:3] offset:2048
.LBB1812_162:
	s_endpgm
	.section	.rodata,"a",@progbits
	.p2align	6, 0x0
	.amdhsa_kernel _ZN7rocprim17ROCPRIM_400000_NS6detail17trampoline_kernelINS0_14default_configENS1_35radix_sort_onesweep_config_selectorIsNS0_10empty_typeEEEZNS1_34radix_sort_onesweep_global_offsetsIS3_Lb1EPsPS5_mNS0_19identity_decomposerEEE10hipError_tT1_T2_PT3_SE_jT4_jjP12ihipStream_tbEUlT_E_NS1_11comp_targetILNS1_3genE4ELNS1_11target_archE910ELNS1_3gpuE8ELNS1_3repE0EEENS1_52radix_sort_onesweep_histogram_config_static_selectorELNS0_4arch9wavefront6targetE1EEEvSC_
		.amdhsa_group_segment_fixed_size 8192
		.amdhsa_private_segment_fixed_size 0
		.amdhsa_kernarg_size 48
		.amdhsa_user_sgpr_count 6
		.amdhsa_user_sgpr_private_segment_buffer 1
		.amdhsa_user_sgpr_dispatch_ptr 0
		.amdhsa_user_sgpr_queue_ptr 0
		.amdhsa_user_sgpr_kernarg_segment_ptr 1
		.amdhsa_user_sgpr_dispatch_id 0
		.amdhsa_user_sgpr_flat_scratch_init 0
		.amdhsa_user_sgpr_kernarg_preload_length 0
		.amdhsa_user_sgpr_kernarg_preload_offset 0
		.amdhsa_user_sgpr_private_segment_size 0
		.amdhsa_uses_dynamic_stack 0
		.amdhsa_system_sgpr_private_segment_wavefront_offset 0
		.amdhsa_system_sgpr_workgroup_id_x 1
		.amdhsa_system_sgpr_workgroup_id_y 0
		.amdhsa_system_sgpr_workgroup_id_z 0
		.amdhsa_system_sgpr_workgroup_info 0
		.amdhsa_system_vgpr_workitem_id 0
		.amdhsa_next_free_vgpr 24
		.amdhsa_next_free_sgpr 18
		.amdhsa_accum_offset 24
		.amdhsa_reserve_vcc 1
		.amdhsa_reserve_flat_scratch 0
		.amdhsa_float_round_mode_32 0
		.amdhsa_float_round_mode_16_64 0
		.amdhsa_float_denorm_mode_32 3
		.amdhsa_float_denorm_mode_16_64 3
		.amdhsa_dx10_clamp 1
		.amdhsa_ieee_mode 1
		.amdhsa_fp16_overflow 0
		.amdhsa_tg_split 0
		.amdhsa_exception_fp_ieee_invalid_op 0
		.amdhsa_exception_fp_denorm_src 0
		.amdhsa_exception_fp_ieee_div_zero 0
		.amdhsa_exception_fp_ieee_overflow 0
		.amdhsa_exception_fp_ieee_underflow 0
		.amdhsa_exception_fp_ieee_inexact 0
		.amdhsa_exception_int_div_zero 0
	.end_amdhsa_kernel
	.section	.text._ZN7rocprim17ROCPRIM_400000_NS6detail17trampoline_kernelINS0_14default_configENS1_35radix_sort_onesweep_config_selectorIsNS0_10empty_typeEEEZNS1_34radix_sort_onesweep_global_offsetsIS3_Lb1EPsPS5_mNS0_19identity_decomposerEEE10hipError_tT1_T2_PT3_SE_jT4_jjP12ihipStream_tbEUlT_E_NS1_11comp_targetILNS1_3genE4ELNS1_11target_archE910ELNS1_3gpuE8ELNS1_3repE0EEENS1_52radix_sort_onesweep_histogram_config_static_selectorELNS0_4arch9wavefront6targetE1EEEvSC_,"axG",@progbits,_ZN7rocprim17ROCPRIM_400000_NS6detail17trampoline_kernelINS0_14default_configENS1_35radix_sort_onesweep_config_selectorIsNS0_10empty_typeEEEZNS1_34radix_sort_onesweep_global_offsetsIS3_Lb1EPsPS5_mNS0_19identity_decomposerEEE10hipError_tT1_T2_PT3_SE_jT4_jjP12ihipStream_tbEUlT_E_NS1_11comp_targetILNS1_3genE4ELNS1_11target_archE910ELNS1_3gpuE8ELNS1_3repE0EEENS1_52radix_sort_onesweep_histogram_config_static_selectorELNS0_4arch9wavefront6targetE1EEEvSC_,comdat
.Lfunc_end1812:
	.size	_ZN7rocprim17ROCPRIM_400000_NS6detail17trampoline_kernelINS0_14default_configENS1_35radix_sort_onesweep_config_selectorIsNS0_10empty_typeEEEZNS1_34radix_sort_onesweep_global_offsetsIS3_Lb1EPsPS5_mNS0_19identity_decomposerEEE10hipError_tT1_T2_PT3_SE_jT4_jjP12ihipStream_tbEUlT_E_NS1_11comp_targetILNS1_3genE4ELNS1_11target_archE910ELNS1_3gpuE8ELNS1_3repE0EEENS1_52radix_sort_onesweep_histogram_config_static_selectorELNS0_4arch9wavefront6targetE1EEEvSC_, .Lfunc_end1812-_ZN7rocprim17ROCPRIM_400000_NS6detail17trampoline_kernelINS0_14default_configENS1_35radix_sort_onesweep_config_selectorIsNS0_10empty_typeEEEZNS1_34radix_sort_onesweep_global_offsetsIS3_Lb1EPsPS5_mNS0_19identity_decomposerEEE10hipError_tT1_T2_PT3_SE_jT4_jjP12ihipStream_tbEUlT_E_NS1_11comp_targetILNS1_3genE4ELNS1_11target_archE910ELNS1_3gpuE8ELNS1_3repE0EEENS1_52radix_sort_onesweep_histogram_config_static_selectorELNS0_4arch9wavefront6targetE1EEEvSC_
                                        ; -- End function
	.section	.AMDGPU.csdata,"",@progbits
; Kernel info:
; codeLenInByte = 6168
; NumSgprs: 22
; NumVgprs: 24
; NumAgprs: 0
; TotalNumVgprs: 24
; ScratchSize: 0
; MemoryBound: 0
; FloatMode: 240
; IeeeMode: 1
; LDSByteSize: 8192 bytes/workgroup (compile time only)
; SGPRBlocks: 2
; VGPRBlocks: 2
; NumSGPRsForWavesPerEU: 22
; NumVGPRsForWavesPerEU: 24
; AccumOffset: 24
; Occupancy: 8
; WaveLimiterHint : 1
; COMPUTE_PGM_RSRC2:SCRATCH_EN: 0
; COMPUTE_PGM_RSRC2:USER_SGPR: 6
; COMPUTE_PGM_RSRC2:TRAP_HANDLER: 0
; COMPUTE_PGM_RSRC2:TGID_X_EN: 1
; COMPUTE_PGM_RSRC2:TGID_Y_EN: 0
; COMPUTE_PGM_RSRC2:TGID_Z_EN: 0
; COMPUTE_PGM_RSRC2:TIDIG_COMP_CNT: 0
; COMPUTE_PGM_RSRC3_GFX90A:ACCUM_OFFSET: 5
; COMPUTE_PGM_RSRC3_GFX90A:TG_SPLIT: 0
	.section	.text._ZN7rocprim17ROCPRIM_400000_NS6detail17trampoline_kernelINS0_14default_configENS1_35radix_sort_onesweep_config_selectorIsNS0_10empty_typeEEEZNS1_34radix_sort_onesweep_global_offsetsIS3_Lb1EPsPS5_mNS0_19identity_decomposerEEE10hipError_tT1_T2_PT3_SE_jT4_jjP12ihipStream_tbEUlT_E_NS1_11comp_targetILNS1_3genE3ELNS1_11target_archE908ELNS1_3gpuE7ELNS1_3repE0EEENS1_52radix_sort_onesweep_histogram_config_static_selectorELNS0_4arch9wavefront6targetE1EEEvSC_,"axG",@progbits,_ZN7rocprim17ROCPRIM_400000_NS6detail17trampoline_kernelINS0_14default_configENS1_35radix_sort_onesweep_config_selectorIsNS0_10empty_typeEEEZNS1_34radix_sort_onesweep_global_offsetsIS3_Lb1EPsPS5_mNS0_19identity_decomposerEEE10hipError_tT1_T2_PT3_SE_jT4_jjP12ihipStream_tbEUlT_E_NS1_11comp_targetILNS1_3genE3ELNS1_11target_archE908ELNS1_3gpuE7ELNS1_3repE0EEENS1_52radix_sort_onesweep_histogram_config_static_selectorELNS0_4arch9wavefront6targetE1EEEvSC_,comdat
	.protected	_ZN7rocprim17ROCPRIM_400000_NS6detail17trampoline_kernelINS0_14default_configENS1_35radix_sort_onesweep_config_selectorIsNS0_10empty_typeEEEZNS1_34radix_sort_onesweep_global_offsetsIS3_Lb1EPsPS5_mNS0_19identity_decomposerEEE10hipError_tT1_T2_PT3_SE_jT4_jjP12ihipStream_tbEUlT_E_NS1_11comp_targetILNS1_3genE3ELNS1_11target_archE908ELNS1_3gpuE7ELNS1_3repE0EEENS1_52radix_sort_onesweep_histogram_config_static_selectorELNS0_4arch9wavefront6targetE1EEEvSC_ ; -- Begin function _ZN7rocprim17ROCPRIM_400000_NS6detail17trampoline_kernelINS0_14default_configENS1_35radix_sort_onesweep_config_selectorIsNS0_10empty_typeEEEZNS1_34radix_sort_onesweep_global_offsetsIS3_Lb1EPsPS5_mNS0_19identity_decomposerEEE10hipError_tT1_T2_PT3_SE_jT4_jjP12ihipStream_tbEUlT_E_NS1_11comp_targetILNS1_3genE3ELNS1_11target_archE908ELNS1_3gpuE7ELNS1_3repE0EEENS1_52radix_sort_onesweep_histogram_config_static_selectorELNS0_4arch9wavefront6targetE1EEEvSC_
	.globl	_ZN7rocprim17ROCPRIM_400000_NS6detail17trampoline_kernelINS0_14default_configENS1_35radix_sort_onesweep_config_selectorIsNS0_10empty_typeEEEZNS1_34radix_sort_onesweep_global_offsetsIS3_Lb1EPsPS5_mNS0_19identity_decomposerEEE10hipError_tT1_T2_PT3_SE_jT4_jjP12ihipStream_tbEUlT_E_NS1_11comp_targetILNS1_3genE3ELNS1_11target_archE908ELNS1_3gpuE7ELNS1_3repE0EEENS1_52radix_sort_onesweep_histogram_config_static_selectorELNS0_4arch9wavefront6targetE1EEEvSC_
	.p2align	8
	.type	_ZN7rocprim17ROCPRIM_400000_NS6detail17trampoline_kernelINS0_14default_configENS1_35radix_sort_onesweep_config_selectorIsNS0_10empty_typeEEEZNS1_34radix_sort_onesweep_global_offsetsIS3_Lb1EPsPS5_mNS0_19identity_decomposerEEE10hipError_tT1_T2_PT3_SE_jT4_jjP12ihipStream_tbEUlT_E_NS1_11comp_targetILNS1_3genE3ELNS1_11target_archE908ELNS1_3gpuE7ELNS1_3repE0EEENS1_52radix_sort_onesweep_histogram_config_static_selectorELNS0_4arch9wavefront6targetE1EEEvSC_,@function
_ZN7rocprim17ROCPRIM_400000_NS6detail17trampoline_kernelINS0_14default_configENS1_35radix_sort_onesweep_config_selectorIsNS0_10empty_typeEEEZNS1_34radix_sort_onesweep_global_offsetsIS3_Lb1EPsPS5_mNS0_19identity_decomposerEEE10hipError_tT1_T2_PT3_SE_jT4_jjP12ihipStream_tbEUlT_E_NS1_11comp_targetILNS1_3genE3ELNS1_11target_archE908ELNS1_3gpuE7ELNS1_3repE0EEENS1_52radix_sort_onesweep_histogram_config_static_selectorELNS0_4arch9wavefront6targetE1EEEvSC_: ; @_ZN7rocprim17ROCPRIM_400000_NS6detail17trampoline_kernelINS0_14default_configENS1_35radix_sort_onesweep_config_selectorIsNS0_10empty_typeEEEZNS1_34radix_sort_onesweep_global_offsetsIS3_Lb1EPsPS5_mNS0_19identity_decomposerEEE10hipError_tT1_T2_PT3_SE_jT4_jjP12ihipStream_tbEUlT_E_NS1_11comp_targetILNS1_3genE3ELNS1_11target_archE908ELNS1_3gpuE7ELNS1_3repE0EEENS1_52radix_sort_onesweep_histogram_config_static_selectorELNS0_4arch9wavefront6targetE1EEEvSC_
; %bb.0:
	.section	.rodata,"a",@progbits
	.p2align	6, 0x0
	.amdhsa_kernel _ZN7rocprim17ROCPRIM_400000_NS6detail17trampoline_kernelINS0_14default_configENS1_35radix_sort_onesweep_config_selectorIsNS0_10empty_typeEEEZNS1_34radix_sort_onesweep_global_offsetsIS3_Lb1EPsPS5_mNS0_19identity_decomposerEEE10hipError_tT1_T2_PT3_SE_jT4_jjP12ihipStream_tbEUlT_E_NS1_11comp_targetILNS1_3genE3ELNS1_11target_archE908ELNS1_3gpuE7ELNS1_3repE0EEENS1_52radix_sort_onesweep_histogram_config_static_selectorELNS0_4arch9wavefront6targetE1EEEvSC_
		.amdhsa_group_segment_fixed_size 0
		.amdhsa_private_segment_fixed_size 0
		.amdhsa_kernarg_size 48
		.amdhsa_user_sgpr_count 6
		.amdhsa_user_sgpr_private_segment_buffer 1
		.amdhsa_user_sgpr_dispatch_ptr 0
		.amdhsa_user_sgpr_queue_ptr 0
		.amdhsa_user_sgpr_kernarg_segment_ptr 1
		.amdhsa_user_sgpr_dispatch_id 0
		.amdhsa_user_sgpr_flat_scratch_init 0
		.amdhsa_user_sgpr_kernarg_preload_length 0
		.amdhsa_user_sgpr_kernarg_preload_offset 0
		.amdhsa_user_sgpr_private_segment_size 0
		.amdhsa_uses_dynamic_stack 0
		.amdhsa_system_sgpr_private_segment_wavefront_offset 0
		.amdhsa_system_sgpr_workgroup_id_x 1
		.amdhsa_system_sgpr_workgroup_id_y 0
		.amdhsa_system_sgpr_workgroup_id_z 0
		.amdhsa_system_sgpr_workgroup_info 0
		.amdhsa_system_vgpr_workitem_id 0
		.amdhsa_next_free_vgpr 1
		.amdhsa_next_free_sgpr 0
		.amdhsa_accum_offset 4
		.amdhsa_reserve_vcc 0
		.amdhsa_reserve_flat_scratch 0
		.amdhsa_float_round_mode_32 0
		.amdhsa_float_round_mode_16_64 0
		.amdhsa_float_denorm_mode_32 3
		.amdhsa_float_denorm_mode_16_64 3
		.amdhsa_dx10_clamp 1
		.amdhsa_ieee_mode 1
		.amdhsa_fp16_overflow 0
		.amdhsa_tg_split 0
		.amdhsa_exception_fp_ieee_invalid_op 0
		.amdhsa_exception_fp_denorm_src 0
		.amdhsa_exception_fp_ieee_div_zero 0
		.amdhsa_exception_fp_ieee_overflow 0
		.amdhsa_exception_fp_ieee_underflow 0
		.amdhsa_exception_fp_ieee_inexact 0
		.amdhsa_exception_int_div_zero 0
	.end_amdhsa_kernel
	.section	.text._ZN7rocprim17ROCPRIM_400000_NS6detail17trampoline_kernelINS0_14default_configENS1_35radix_sort_onesweep_config_selectorIsNS0_10empty_typeEEEZNS1_34radix_sort_onesweep_global_offsetsIS3_Lb1EPsPS5_mNS0_19identity_decomposerEEE10hipError_tT1_T2_PT3_SE_jT4_jjP12ihipStream_tbEUlT_E_NS1_11comp_targetILNS1_3genE3ELNS1_11target_archE908ELNS1_3gpuE7ELNS1_3repE0EEENS1_52radix_sort_onesweep_histogram_config_static_selectorELNS0_4arch9wavefront6targetE1EEEvSC_,"axG",@progbits,_ZN7rocprim17ROCPRIM_400000_NS6detail17trampoline_kernelINS0_14default_configENS1_35radix_sort_onesweep_config_selectorIsNS0_10empty_typeEEEZNS1_34radix_sort_onesweep_global_offsetsIS3_Lb1EPsPS5_mNS0_19identity_decomposerEEE10hipError_tT1_T2_PT3_SE_jT4_jjP12ihipStream_tbEUlT_E_NS1_11comp_targetILNS1_3genE3ELNS1_11target_archE908ELNS1_3gpuE7ELNS1_3repE0EEENS1_52radix_sort_onesweep_histogram_config_static_selectorELNS0_4arch9wavefront6targetE1EEEvSC_,comdat
.Lfunc_end1813:
	.size	_ZN7rocprim17ROCPRIM_400000_NS6detail17trampoline_kernelINS0_14default_configENS1_35radix_sort_onesweep_config_selectorIsNS0_10empty_typeEEEZNS1_34radix_sort_onesweep_global_offsetsIS3_Lb1EPsPS5_mNS0_19identity_decomposerEEE10hipError_tT1_T2_PT3_SE_jT4_jjP12ihipStream_tbEUlT_E_NS1_11comp_targetILNS1_3genE3ELNS1_11target_archE908ELNS1_3gpuE7ELNS1_3repE0EEENS1_52radix_sort_onesweep_histogram_config_static_selectorELNS0_4arch9wavefront6targetE1EEEvSC_, .Lfunc_end1813-_ZN7rocprim17ROCPRIM_400000_NS6detail17trampoline_kernelINS0_14default_configENS1_35radix_sort_onesweep_config_selectorIsNS0_10empty_typeEEEZNS1_34radix_sort_onesweep_global_offsetsIS3_Lb1EPsPS5_mNS0_19identity_decomposerEEE10hipError_tT1_T2_PT3_SE_jT4_jjP12ihipStream_tbEUlT_E_NS1_11comp_targetILNS1_3genE3ELNS1_11target_archE908ELNS1_3gpuE7ELNS1_3repE0EEENS1_52radix_sort_onesweep_histogram_config_static_selectorELNS0_4arch9wavefront6targetE1EEEvSC_
                                        ; -- End function
	.section	.AMDGPU.csdata,"",@progbits
; Kernel info:
; codeLenInByte = 0
; NumSgprs: 4
; NumVgprs: 0
; NumAgprs: 0
; TotalNumVgprs: 0
; ScratchSize: 0
; MemoryBound: 0
; FloatMode: 240
; IeeeMode: 1
; LDSByteSize: 0 bytes/workgroup (compile time only)
; SGPRBlocks: 0
; VGPRBlocks: 0
; NumSGPRsForWavesPerEU: 4
; NumVGPRsForWavesPerEU: 1
; AccumOffset: 4
; Occupancy: 8
; WaveLimiterHint : 0
; COMPUTE_PGM_RSRC2:SCRATCH_EN: 0
; COMPUTE_PGM_RSRC2:USER_SGPR: 6
; COMPUTE_PGM_RSRC2:TRAP_HANDLER: 0
; COMPUTE_PGM_RSRC2:TGID_X_EN: 1
; COMPUTE_PGM_RSRC2:TGID_Y_EN: 0
; COMPUTE_PGM_RSRC2:TGID_Z_EN: 0
; COMPUTE_PGM_RSRC2:TIDIG_COMP_CNT: 0
; COMPUTE_PGM_RSRC3_GFX90A:ACCUM_OFFSET: 0
; COMPUTE_PGM_RSRC3_GFX90A:TG_SPLIT: 0
	.section	.text._ZN7rocprim17ROCPRIM_400000_NS6detail17trampoline_kernelINS0_14default_configENS1_35radix_sort_onesweep_config_selectorIsNS0_10empty_typeEEEZNS1_34radix_sort_onesweep_global_offsetsIS3_Lb1EPsPS5_mNS0_19identity_decomposerEEE10hipError_tT1_T2_PT3_SE_jT4_jjP12ihipStream_tbEUlT_E_NS1_11comp_targetILNS1_3genE10ELNS1_11target_archE1201ELNS1_3gpuE5ELNS1_3repE0EEENS1_52radix_sort_onesweep_histogram_config_static_selectorELNS0_4arch9wavefront6targetE1EEEvSC_,"axG",@progbits,_ZN7rocprim17ROCPRIM_400000_NS6detail17trampoline_kernelINS0_14default_configENS1_35radix_sort_onesweep_config_selectorIsNS0_10empty_typeEEEZNS1_34radix_sort_onesweep_global_offsetsIS3_Lb1EPsPS5_mNS0_19identity_decomposerEEE10hipError_tT1_T2_PT3_SE_jT4_jjP12ihipStream_tbEUlT_E_NS1_11comp_targetILNS1_3genE10ELNS1_11target_archE1201ELNS1_3gpuE5ELNS1_3repE0EEENS1_52radix_sort_onesweep_histogram_config_static_selectorELNS0_4arch9wavefront6targetE1EEEvSC_,comdat
	.protected	_ZN7rocprim17ROCPRIM_400000_NS6detail17trampoline_kernelINS0_14default_configENS1_35radix_sort_onesweep_config_selectorIsNS0_10empty_typeEEEZNS1_34radix_sort_onesweep_global_offsetsIS3_Lb1EPsPS5_mNS0_19identity_decomposerEEE10hipError_tT1_T2_PT3_SE_jT4_jjP12ihipStream_tbEUlT_E_NS1_11comp_targetILNS1_3genE10ELNS1_11target_archE1201ELNS1_3gpuE5ELNS1_3repE0EEENS1_52radix_sort_onesweep_histogram_config_static_selectorELNS0_4arch9wavefront6targetE1EEEvSC_ ; -- Begin function _ZN7rocprim17ROCPRIM_400000_NS6detail17trampoline_kernelINS0_14default_configENS1_35radix_sort_onesweep_config_selectorIsNS0_10empty_typeEEEZNS1_34radix_sort_onesweep_global_offsetsIS3_Lb1EPsPS5_mNS0_19identity_decomposerEEE10hipError_tT1_T2_PT3_SE_jT4_jjP12ihipStream_tbEUlT_E_NS1_11comp_targetILNS1_3genE10ELNS1_11target_archE1201ELNS1_3gpuE5ELNS1_3repE0EEENS1_52radix_sort_onesweep_histogram_config_static_selectorELNS0_4arch9wavefront6targetE1EEEvSC_
	.globl	_ZN7rocprim17ROCPRIM_400000_NS6detail17trampoline_kernelINS0_14default_configENS1_35radix_sort_onesweep_config_selectorIsNS0_10empty_typeEEEZNS1_34radix_sort_onesweep_global_offsetsIS3_Lb1EPsPS5_mNS0_19identity_decomposerEEE10hipError_tT1_T2_PT3_SE_jT4_jjP12ihipStream_tbEUlT_E_NS1_11comp_targetILNS1_3genE10ELNS1_11target_archE1201ELNS1_3gpuE5ELNS1_3repE0EEENS1_52radix_sort_onesweep_histogram_config_static_selectorELNS0_4arch9wavefront6targetE1EEEvSC_
	.p2align	8
	.type	_ZN7rocprim17ROCPRIM_400000_NS6detail17trampoline_kernelINS0_14default_configENS1_35radix_sort_onesweep_config_selectorIsNS0_10empty_typeEEEZNS1_34radix_sort_onesweep_global_offsetsIS3_Lb1EPsPS5_mNS0_19identity_decomposerEEE10hipError_tT1_T2_PT3_SE_jT4_jjP12ihipStream_tbEUlT_E_NS1_11comp_targetILNS1_3genE10ELNS1_11target_archE1201ELNS1_3gpuE5ELNS1_3repE0EEENS1_52radix_sort_onesweep_histogram_config_static_selectorELNS0_4arch9wavefront6targetE1EEEvSC_,@function
_ZN7rocprim17ROCPRIM_400000_NS6detail17trampoline_kernelINS0_14default_configENS1_35radix_sort_onesweep_config_selectorIsNS0_10empty_typeEEEZNS1_34radix_sort_onesweep_global_offsetsIS3_Lb1EPsPS5_mNS0_19identity_decomposerEEE10hipError_tT1_T2_PT3_SE_jT4_jjP12ihipStream_tbEUlT_E_NS1_11comp_targetILNS1_3genE10ELNS1_11target_archE1201ELNS1_3gpuE5ELNS1_3repE0EEENS1_52radix_sort_onesweep_histogram_config_static_selectorELNS0_4arch9wavefront6targetE1EEEvSC_: ; @_ZN7rocprim17ROCPRIM_400000_NS6detail17trampoline_kernelINS0_14default_configENS1_35radix_sort_onesweep_config_selectorIsNS0_10empty_typeEEEZNS1_34radix_sort_onesweep_global_offsetsIS3_Lb1EPsPS5_mNS0_19identity_decomposerEEE10hipError_tT1_T2_PT3_SE_jT4_jjP12ihipStream_tbEUlT_E_NS1_11comp_targetILNS1_3genE10ELNS1_11target_archE1201ELNS1_3gpuE5ELNS1_3repE0EEENS1_52radix_sort_onesweep_histogram_config_static_selectorELNS0_4arch9wavefront6targetE1EEEvSC_
; %bb.0:
	.section	.rodata,"a",@progbits
	.p2align	6, 0x0
	.amdhsa_kernel _ZN7rocprim17ROCPRIM_400000_NS6detail17trampoline_kernelINS0_14default_configENS1_35radix_sort_onesweep_config_selectorIsNS0_10empty_typeEEEZNS1_34radix_sort_onesweep_global_offsetsIS3_Lb1EPsPS5_mNS0_19identity_decomposerEEE10hipError_tT1_T2_PT3_SE_jT4_jjP12ihipStream_tbEUlT_E_NS1_11comp_targetILNS1_3genE10ELNS1_11target_archE1201ELNS1_3gpuE5ELNS1_3repE0EEENS1_52radix_sort_onesweep_histogram_config_static_selectorELNS0_4arch9wavefront6targetE1EEEvSC_
		.amdhsa_group_segment_fixed_size 0
		.amdhsa_private_segment_fixed_size 0
		.amdhsa_kernarg_size 48
		.amdhsa_user_sgpr_count 6
		.amdhsa_user_sgpr_private_segment_buffer 1
		.amdhsa_user_sgpr_dispatch_ptr 0
		.amdhsa_user_sgpr_queue_ptr 0
		.amdhsa_user_sgpr_kernarg_segment_ptr 1
		.amdhsa_user_sgpr_dispatch_id 0
		.amdhsa_user_sgpr_flat_scratch_init 0
		.amdhsa_user_sgpr_kernarg_preload_length 0
		.amdhsa_user_sgpr_kernarg_preload_offset 0
		.amdhsa_user_sgpr_private_segment_size 0
		.amdhsa_uses_dynamic_stack 0
		.amdhsa_system_sgpr_private_segment_wavefront_offset 0
		.amdhsa_system_sgpr_workgroup_id_x 1
		.amdhsa_system_sgpr_workgroup_id_y 0
		.amdhsa_system_sgpr_workgroup_id_z 0
		.amdhsa_system_sgpr_workgroup_info 0
		.amdhsa_system_vgpr_workitem_id 0
		.amdhsa_next_free_vgpr 1
		.amdhsa_next_free_sgpr 0
		.amdhsa_accum_offset 4
		.amdhsa_reserve_vcc 0
		.amdhsa_reserve_flat_scratch 0
		.amdhsa_float_round_mode_32 0
		.amdhsa_float_round_mode_16_64 0
		.amdhsa_float_denorm_mode_32 3
		.amdhsa_float_denorm_mode_16_64 3
		.amdhsa_dx10_clamp 1
		.amdhsa_ieee_mode 1
		.amdhsa_fp16_overflow 0
		.amdhsa_tg_split 0
		.amdhsa_exception_fp_ieee_invalid_op 0
		.amdhsa_exception_fp_denorm_src 0
		.amdhsa_exception_fp_ieee_div_zero 0
		.amdhsa_exception_fp_ieee_overflow 0
		.amdhsa_exception_fp_ieee_underflow 0
		.amdhsa_exception_fp_ieee_inexact 0
		.amdhsa_exception_int_div_zero 0
	.end_amdhsa_kernel
	.section	.text._ZN7rocprim17ROCPRIM_400000_NS6detail17trampoline_kernelINS0_14default_configENS1_35radix_sort_onesweep_config_selectorIsNS0_10empty_typeEEEZNS1_34radix_sort_onesweep_global_offsetsIS3_Lb1EPsPS5_mNS0_19identity_decomposerEEE10hipError_tT1_T2_PT3_SE_jT4_jjP12ihipStream_tbEUlT_E_NS1_11comp_targetILNS1_3genE10ELNS1_11target_archE1201ELNS1_3gpuE5ELNS1_3repE0EEENS1_52radix_sort_onesweep_histogram_config_static_selectorELNS0_4arch9wavefront6targetE1EEEvSC_,"axG",@progbits,_ZN7rocprim17ROCPRIM_400000_NS6detail17trampoline_kernelINS0_14default_configENS1_35radix_sort_onesweep_config_selectorIsNS0_10empty_typeEEEZNS1_34radix_sort_onesweep_global_offsetsIS3_Lb1EPsPS5_mNS0_19identity_decomposerEEE10hipError_tT1_T2_PT3_SE_jT4_jjP12ihipStream_tbEUlT_E_NS1_11comp_targetILNS1_3genE10ELNS1_11target_archE1201ELNS1_3gpuE5ELNS1_3repE0EEENS1_52radix_sort_onesweep_histogram_config_static_selectorELNS0_4arch9wavefront6targetE1EEEvSC_,comdat
.Lfunc_end1814:
	.size	_ZN7rocprim17ROCPRIM_400000_NS6detail17trampoline_kernelINS0_14default_configENS1_35radix_sort_onesweep_config_selectorIsNS0_10empty_typeEEEZNS1_34radix_sort_onesweep_global_offsetsIS3_Lb1EPsPS5_mNS0_19identity_decomposerEEE10hipError_tT1_T2_PT3_SE_jT4_jjP12ihipStream_tbEUlT_E_NS1_11comp_targetILNS1_3genE10ELNS1_11target_archE1201ELNS1_3gpuE5ELNS1_3repE0EEENS1_52radix_sort_onesweep_histogram_config_static_selectorELNS0_4arch9wavefront6targetE1EEEvSC_, .Lfunc_end1814-_ZN7rocprim17ROCPRIM_400000_NS6detail17trampoline_kernelINS0_14default_configENS1_35radix_sort_onesweep_config_selectorIsNS0_10empty_typeEEEZNS1_34radix_sort_onesweep_global_offsetsIS3_Lb1EPsPS5_mNS0_19identity_decomposerEEE10hipError_tT1_T2_PT3_SE_jT4_jjP12ihipStream_tbEUlT_E_NS1_11comp_targetILNS1_3genE10ELNS1_11target_archE1201ELNS1_3gpuE5ELNS1_3repE0EEENS1_52radix_sort_onesweep_histogram_config_static_selectorELNS0_4arch9wavefront6targetE1EEEvSC_
                                        ; -- End function
	.section	.AMDGPU.csdata,"",@progbits
; Kernel info:
; codeLenInByte = 0
; NumSgprs: 4
; NumVgprs: 0
; NumAgprs: 0
; TotalNumVgprs: 0
; ScratchSize: 0
; MemoryBound: 0
; FloatMode: 240
; IeeeMode: 1
; LDSByteSize: 0 bytes/workgroup (compile time only)
; SGPRBlocks: 0
; VGPRBlocks: 0
; NumSGPRsForWavesPerEU: 4
; NumVGPRsForWavesPerEU: 1
; AccumOffset: 4
; Occupancy: 8
; WaveLimiterHint : 0
; COMPUTE_PGM_RSRC2:SCRATCH_EN: 0
; COMPUTE_PGM_RSRC2:USER_SGPR: 6
; COMPUTE_PGM_RSRC2:TRAP_HANDLER: 0
; COMPUTE_PGM_RSRC2:TGID_X_EN: 1
; COMPUTE_PGM_RSRC2:TGID_Y_EN: 0
; COMPUTE_PGM_RSRC2:TGID_Z_EN: 0
; COMPUTE_PGM_RSRC2:TIDIG_COMP_CNT: 0
; COMPUTE_PGM_RSRC3_GFX90A:ACCUM_OFFSET: 0
; COMPUTE_PGM_RSRC3_GFX90A:TG_SPLIT: 0
	.section	.text._ZN7rocprim17ROCPRIM_400000_NS6detail17trampoline_kernelINS0_14default_configENS1_35radix_sort_onesweep_config_selectorIsNS0_10empty_typeEEEZNS1_34radix_sort_onesweep_global_offsetsIS3_Lb1EPsPS5_mNS0_19identity_decomposerEEE10hipError_tT1_T2_PT3_SE_jT4_jjP12ihipStream_tbEUlT_E_NS1_11comp_targetILNS1_3genE9ELNS1_11target_archE1100ELNS1_3gpuE3ELNS1_3repE0EEENS1_52radix_sort_onesweep_histogram_config_static_selectorELNS0_4arch9wavefront6targetE1EEEvSC_,"axG",@progbits,_ZN7rocprim17ROCPRIM_400000_NS6detail17trampoline_kernelINS0_14default_configENS1_35radix_sort_onesweep_config_selectorIsNS0_10empty_typeEEEZNS1_34radix_sort_onesweep_global_offsetsIS3_Lb1EPsPS5_mNS0_19identity_decomposerEEE10hipError_tT1_T2_PT3_SE_jT4_jjP12ihipStream_tbEUlT_E_NS1_11comp_targetILNS1_3genE9ELNS1_11target_archE1100ELNS1_3gpuE3ELNS1_3repE0EEENS1_52radix_sort_onesweep_histogram_config_static_selectorELNS0_4arch9wavefront6targetE1EEEvSC_,comdat
	.protected	_ZN7rocprim17ROCPRIM_400000_NS6detail17trampoline_kernelINS0_14default_configENS1_35radix_sort_onesweep_config_selectorIsNS0_10empty_typeEEEZNS1_34radix_sort_onesweep_global_offsetsIS3_Lb1EPsPS5_mNS0_19identity_decomposerEEE10hipError_tT1_T2_PT3_SE_jT4_jjP12ihipStream_tbEUlT_E_NS1_11comp_targetILNS1_3genE9ELNS1_11target_archE1100ELNS1_3gpuE3ELNS1_3repE0EEENS1_52radix_sort_onesweep_histogram_config_static_selectorELNS0_4arch9wavefront6targetE1EEEvSC_ ; -- Begin function _ZN7rocprim17ROCPRIM_400000_NS6detail17trampoline_kernelINS0_14default_configENS1_35radix_sort_onesweep_config_selectorIsNS0_10empty_typeEEEZNS1_34radix_sort_onesweep_global_offsetsIS3_Lb1EPsPS5_mNS0_19identity_decomposerEEE10hipError_tT1_T2_PT3_SE_jT4_jjP12ihipStream_tbEUlT_E_NS1_11comp_targetILNS1_3genE9ELNS1_11target_archE1100ELNS1_3gpuE3ELNS1_3repE0EEENS1_52radix_sort_onesweep_histogram_config_static_selectorELNS0_4arch9wavefront6targetE1EEEvSC_
	.globl	_ZN7rocprim17ROCPRIM_400000_NS6detail17trampoline_kernelINS0_14default_configENS1_35radix_sort_onesweep_config_selectorIsNS0_10empty_typeEEEZNS1_34radix_sort_onesweep_global_offsetsIS3_Lb1EPsPS5_mNS0_19identity_decomposerEEE10hipError_tT1_T2_PT3_SE_jT4_jjP12ihipStream_tbEUlT_E_NS1_11comp_targetILNS1_3genE9ELNS1_11target_archE1100ELNS1_3gpuE3ELNS1_3repE0EEENS1_52radix_sort_onesweep_histogram_config_static_selectorELNS0_4arch9wavefront6targetE1EEEvSC_
	.p2align	8
	.type	_ZN7rocprim17ROCPRIM_400000_NS6detail17trampoline_kernelINS0_14default_configENS1_35radix_sort_onesweep_config_selectorIsNS0_10empty_typeEEEZNS1_34radix_sort_onesweep_global_offsetsIS3_Lb1EPsPS5_mNS0_19identity_decomposerEEE10hipError_tT1_T2_PT3_SE_jT4_jjP12ihipStream_tbEUlT_E_NS1_11comp_targetILNS1_3genE9ELNS1_11target_archE1100ELNS1_3gpuE3ELNS1_3repE0EEENS1_52radix_sort_onesweep_histogram_config_static_selectorELNS0_4arch9wavefront6targetE1EEEvSC_,@function
_ZN7rocprim17ROCPRIM_400000_NS6detail17trampoline_kernelINS0_14default_configENS1_35radix_sort_onesweep_config_selectorIsNS0_10empty_typeEEEZNS1_34radix_sort_onesweep_global_offsetsIS3_Lb1EPsPS5_mNS0_19identity_decomposerEEE10hipError_tT1_T2_PT3_SE_jT4_jjP12ihipStream_tbEUlT_E_NS1_11comp_targetILNS1_3genE9ELNS1_11target_archE1100ELNS1_3gpuE3ELNS1_3repE0EEENS1_52radix_sort_onesweep_histogram_config_static_selectorELNS0_4arch9wavefront6targetE1EEEvSC_: ; @_ZN7rocprim17ROCPRIM_400000_NS6detail17trampoline_kernelINS0_14default_configENS1_35radix_sort_onesweep_config_selectorIsNS0_10empty_typeEEEZNS1_34radix_sort_onesweep_global_offsetsIS3_Lb1EPsPS5_mNS0_19identity_decomposerEEE10hipError_tT1_T2_PT3_SE_jT4_jjP12ihipStream_tbEUlT_E_NS1_11comp_targetILNS1_3genE9ELNS1_11target_archE1100ELNS1_3gpuE3ELNS1_3repE0EEENS1_52radix_sort_onesweep_histogram_config_static_selectorELNS0_4arch9wavefront6targetE1EEEvSC_
; %bb.0:
	.section	.rodata,"a",@progbits
	.p2align	6, 0x0
	.amdhsa_kernel _ZN7rocprim17ROCPRIM_400000_NS6detail17trampoline_kernelINS0_14default_configENS1_35radix_sort_onesweep_config_selectorIsNS0_10empty_typeEEEZNS1_34radix_sort_onesweep_global_offsetsIS3_Lb1EPsPS5_mNS0_19identity_decomposerEEE10hipError_tT1_T2_PT3_SE_jT4_jjP12ihipStream_tbEUlT_E_NS1_11comp_targetILNS1_3genE9ELNS1_11target_archE1100ELNS1_3gpuE3ELNS1_3repE0EEENS1_52radix_sort_onesweep_histogram_config_static_selectorELNS0_4arch9wavefront6targetE1EEEvSC_
		.amdhsa_group_segment_fixed_size 0
		.amdhsa_private_segment_fixed_size 0
		.amdhsa_kernarg_size 48
		.amdhsa_user_sgpr_count 6
		.amdhsa_user_sgpr_private_segment_buffer 1
		.amdhsa_user_sgpr_dispatch_ptr 0
		.amdhsa_user_sgpr_queue_ptr 0
		.amdhsa_user_sgpr_kernarg_segment_ptr 1
		.amdhsa_user_sgpr_dispatch_id 0
		.amdhsa_user_sgpr_flat_scratch_init 0
		.amdhsa_user_sgpr_kernarg_preload_length 0
		.amdhsa_user_sgpr_kernarg_preload_offset 0
		.amdhsa_user_sgpr_private_segment_size 0
		.amdhsa_uses_dynamic_stack 0
		.amdhsa_system_sgpr_private_segment_wavefront_offset 0
		.amdhsa_system_sgpr_workgroup_id_x 1
		.amdhsa_system_sgpr_workgroup_id_y 0
		.amdhsa_system_sgpr_workgroup_id_z 0
		.amdhsa_system_sgpr_workgroup_info 0
		.amdhsa_system_vgpr_workitem_id 0
		.amdhsa_next_free_vgpr 1
		.amdhsa_next_free_sgpr 0
		.amdhsa_accum_offset 4
		.amdhsa_reserve_vcc 0
		.amdhsa_reserve_flat_scratch 0
		.amdhsa_float_round_mode_32 0
		.amdhsa_float_round_mode_16_64 0
		.amdhsa_float_denorm_mode_32 3
		.amdhsa_float_denorm_mode_16_64 3
		.amdhsa_dx10_clamp 1
		.amdhsa_ieee_mode 1
		.amdhsa_fp16_overflow 0
		.amdhsa_tg_split 0
		.amdhsa_exception_fp_ieee_invalid_op 0
		.amdhsa_exception_fp_denorm_src 0
		.amdhsa_exception_fp_ieee_div_zero 0
		.amdhsa_exception_fp_ieee_overflow 0
		.amdhsa_exception_fp_ieee_underflow 0
		.amdhsa_exception_fp_ieee_inexact 0
		.amdhsa_exception_int_div_zero 0
	.end_amdhsa_kernel
	.section	.text._ZN7rocprim17ROCPRIM_400000_NS6detail17trampoline_kernelINS0_14default_configENS1_35radix_sort_onesweep_config_selectorIsNS0_10empty_typeEEEZNS1_34radix_sort_onesweep_global_offsetsIS3_Lb1EPsPS5_mNS0_19identity_decomposerEEE10hipError_tT1_T2_PT3_SE_jT4_jjP12ihipStream_tbEUlT_E_NS1_11comp_targetILNS1_3genE9ELNS1_11target_archE1100ELNS1_3gpuE3ELNS1_3repE0EEENS1_52radix_sort_onesweep_histogram_config_static_selectorELNS0_4arch9wavefront6targetE1EEEvSC_,"axG",@progbits,_ZN7rocprim17ROCPRIM_400000_NS6detail17trampoline_kernelINS0_14default_configENS1_35radix_sort_onesweep_config_selectorIsNS0_10empty_typeEEEZNS1_34radix_sort_onesweep_global_offsetsIS3_Lb1EPsPS5_mNS0_19identity_decomposerEEE10hipError_tT1_T2_PT3_SE_jT4_jjP12ihipStream_tbEUlT_E_NS1_11comp_targetILNS1_3genE9ELNS1_11target_archE1100ELNS1_3gpuE3ELNS1_3repE0EEENS1_52radix_sort_onesweep_histogram_config_static_selectorELNS0_4arch9wavefront6targetE1EEEvSC_,comdat
.Lfunc_end1815:
	.size	_ZN7rocprim17ROCPRIM_400000_NS6detail17trampoline_kernelINS0_14default_configENS1_35radix_sort_onesweep_config_selectorIsNS0_10empty_typeEEEZNS1_34radix_sort_onesweep_global_offsetsIS3_Lb1EPsPS5_mNS0_19identity_decomposerEEE10hipError_tT1_T2_PT3_SE_jT4_jjP12ihipStream_tbEUlT_E_NS1_11comp_targetILNS1_3genE9ELNS1_11target_archE1100ELNS1_3gpuE3ELNS1_3repE0EEENS1_52radix_sort_onesweep_histogram_config_static_selectorELNS0_4arch9wavefront6targetE1EEEvSC_, .Lfunc_end1815-_ZN7rocprim17ROCPRIM_400000_NS6detail17trampoline_kernelINS0_14default_configENS1_35radix_sort_onesweep_config_selectorIsNS0_10empty_typeEEEZNS1_34radix_sort_onesweep_global_offsetsIS3_Lb1EPsPS5_mNS0_19identity_decomposerEEE10hipError_tT1_T2_PT3_SE_jT4_jjP12ihipStream_tbEUlT_E_NS1_11comp_targetILNS1_3genE9ELNS1_11target_archE1100ELNS1_3gpuE3ELNS1_3repE0EEENS1_52radix_sort_onesweep_histogram_config_static_selectorELNS0_4arch9wavefront6targetE1EEEvSC_
                                        ; -- End function
	.section	.AMDGPU.csdata,"",@progbits
; Kernel info:
; codeLenInByte = 0
; NumSgprs: 4
; NumVgprs: 0
; NumAgprs: 0
; TotalNumVgprs: 0
; ScratchSize: 0
; MemoryBound: 0
; FloatMode: 240
; IeeeMode: 1
; LDSByteSize: 0 bytes/workgroup (compile time only)
; SGPRBlocks: 0
; VGPRBlocks: 0
; NumSGPRsForWavesPerEU: 4
; NumVGPRsForWavesPerEU: 1
; AccumOffset: 4
; Occupancy: 8
; WaveLimiterHint : 0
; COMPUTE_PGM_RSRC2:SCRATCH_EN: 0
; COMPUTE_PGM_RSRC2:USER_SGPR: 6
; COMPUTE_PGM_RSRC2:TRAP_HANDLER: 0
; COMPUTE_PGM_RSRC2:TGID_X_EN: 1
; COMPUTE_PGM_RSRC2:TGID_Y_EN: 0
; COMPUTE_PGM_RSRC2:TGID_Z_EN: 0
; COMPUTE_PGM_RSRC2:TIDIG_COMP_CNT: 0
; COMPUTE_PGM_RSRC3_GFX90A:ACCUM_OFFSET: 0
; COMPUTE_PGM_RSRC3_GFX90A:TG_SPLIT: 0
	.section	.text._ZN7rocprim17ROCPRIM_400000_NS6detail17trampoline_kernelINS0_14default_configENS1_35radix_sort_onesweep_config_selectorIsNS0_10empty_typeEEEZNS1_34radix_sort_onesweep_global_offsetsIS3_Lb1EPsPS5_mNS0_19identity_decomposerEEE10hipError_tT1_T2_PT3_SE_jT4_jjP12ihipStream_tbEUlT_E_NS1_11comp_targetILNS1_3genE8ELNS1_11target_archE1030ELNS1_3gpuE2ELNS1_3repE0EEENS1_52radix_sort_onesweep_histogram_config_static_selectorELNS0_4arch9wavefront6targetE1EEEvSC_,"axG",@progbits,_ZN7rocprim17ROCPRIM_400000_NS6detail17trampoline_kernelINS0_14default_configENS1_35radix_sort_onesweep_config_selectorIsNS0_10empty_typeEEEZNS1_34radix_sort_onesweep_global_offsetsIS3_Lb1EPsPS5_mNS0_19identity_decomposerEEE10hipError_tT1_T2_PT3_SE_jT4_jjP12ihipStream_tbEUlT_E_NS1_11comp_targetILNS1_3genE8ELNS1_11target_archE1030ELNS1_3gpuE2ELNS1_3repE0EEENS1_52radix_sort_onesweep_histogram_config_static_selectorELNS0_4arch9wavefront6targetE1EEEvSC_,comdat
	.protected	_ZN7rocprim17ROCPRIM_400000_NS6detail17trampoline_kernelINS0_14default_configENS1_35radix_sort_onesweep_config_selectorIsNS0_10empty_typeEEEZNS1_34radix_sort_onesweep_global_offsetsIS3_Lb1EPsPS5_mNS0_19identity_decomposerEEE10hipError_tT1_T2_PT3_SE_jT4_jjP12ihipStream_tbEUlT_E_NS1_11comp_targetILNS1_3genE8ELNS1_11target_archE1030ELNS1_3gpuE2ELNS1_3repE0EEENS1_52radix_sort_onesweep_histogram_config_static_selectorELNS0_4arch9wavefront6targetE1EEEvSC_ ; -- Begin function _ZN7rocprim17ROCPRIM_400000_NS6detail17trampoline_kernelINS0_14default_configENS1_35radix_sort_onesweep_config_selectorIsNS0_10empty_typeEEEZNS1_34radix_sort_onesweep_global_offsetsIS3_Lb1EPsPS5_mNS0_19identity_decomposerEEE10hipError_tT1_T2_PT3_SE_jT4_jjP12ihipStream_tbEUlT_E_NS1_11comp_targetILNS1_3genE8ELNS1_11target_archE1030ELNS1_3gpuE2ELNS1_3repE0EEENS1_52radix_sort_onesweep_histogram_config_static_selectorELNS0_4arch9wavefront6targetE1EEEvSC_
	.globl	_ZN7rocprim17ROCPRIM_400000_NS6detail17trampoline_kernelINS0_14default_configENS1_35radix_sort_onesweep_config_selectorIsNS0_10empty_typeEEEZNS1_34radix_sort_onesweep_global_offsetsIS3_Lb1EPsPS5_mNS0_19identity_decomposerEEE10hipError_tT1_T2_PT3_SE_jT4_jjP12ihipStream_tbEUlT_E_NS1_11comp_targetILNS1_3genE8ELNS1_11target_archE1030ELNS1_3gpuE2ELNS1_3repE0EEENS1_52radix_sort_onesweep_histogram_config_static_selectorELNS0_4arch9wavefront6targetE1EEEvSC_
	.p2align	8
	.type	_ZN7rocprim17ROCPRIM_400000_NS6detail17trampoline_kernelINS0_14default_configENS1_35radix_sort_onesweep_config_selectorIsNS0_10empty_typeEEEZNS1_34radix_sort_onesweep_global_offsetsIS3_Lb1EPsPS5_mNS0_19identity_decomposerEEE10hipError_tT1_T2_PT3_SE_jT4_jjP12ihipStream_tbEUlT_E_NS1_11comp_targetILNS1_3genE8ELNS1_11target_archE1030ELNS1_3gpuE2ELNS1_3repE0EEENS1_52radix_sort_onesweep_histogram_config_static_selectorELNS0_4arch9wavefront6targetE1EEEvSC_,@function
_ZN7rocprim17ROCPRIM_400000_NS6detail17trampoline_kernelINS0_14default_configENS1_35radix_sort_onesweep_config_selectorIsNS0_10empty_typeEEEZNS1_34radix_sort_onesweep_global_offsetsIS3_Lb1EPsPS5_mNS0_19identity_decomposerEEE10hipError_tT1_T2_PT3_SE_jT4_jjP12ihipStream_tbEUlT_E_NS1_11comp_targetILNS1_3genE8ELNS1_11target_archE1030ELNS1_3gpuE2ELNS1_3repE0EEENS1_52radix_sort_onesweep_histogram_config_static_selectorELNS0_4arch9wavefront6targetE1EEEvSC_: ; @_ZN7rocprim17ROCPRIM_400000_NS6detail17trampoline_kernelINS0_14default_configENS1_35radix_sort_onesweep_config_selectorIsNS0_10empty_typeEEEZNS1_34radix_sort_onesweep_global_offsetsIS3_Lb1EPsPS5_mNS0_19identity_decomposerEEE10hipError_tT1_T2_PT3_SE_jT4_jjP12ihipStream_tbEUlT_E_NS1_11comp_targetILNS1_3genE8ELNS1_11target_archE1030ELNS1_3gpuE2ELNS1_3repE0EEENS1_52radix_sort_onesweep_histogram_config_static_selectorELNS0_4arch9wavefront6targetE1EEEvSC_
; %bb.0:
	.section	.rodata,"a",@progbits
	.p2align	6, 0x0
	.amdhsa_kernel _ZN7rocprim17ROCPRIM_400000_NS6detail17trampoline_kernelINS0_14default_configENS1_35radix_sort_onesweep_config_selectorIsNS0_10empty_typeEEEZNS1_34radix_sort_onesweep_global_offsetsIS3_Lb1EPsPS5_mNS0_19identity_decomposerEEE10hipError_tT1_T2_PT3_SE_jT4_jjP12ihipStream_tbEUlT_E_NS1_11comp_targetILNS1_3genE8ELNS1_11target_archE1030ELNS1_3gpuE2ELNS1_3repE0EEENS1_52radix_sort_onesweep_histogram_config_static_selectorELNS0_4arch9wavefront6targetE1EEEvSC_
		.amdhsa_group_segment_fixed_size 0
		.amdhsa_private_segment_fixed_size 0
		.amdhsa_kernarg_size 48
		.amdhsa_user_sgpr_count 6
		.amdhsa_user_sgpr_private_segment_buffer 1
		.amdhsa_user_sgpr_dispatch_ptr 0
		.amdhsa_user_sgpr_queue_ptr 0
		.amdhsa_user_sgpr_kernarg_segment_ptr 1
		.amdhsa_user_sgpr_dispatch_id 0
		.amdhsa_user_sgpr_flat_scratch_init 0
		.amdhsa_user_sgpr_kernarg_preload_length 0
		.amdhsa_user_sgpr_kernarg_preload_offset 0
		.amdhsa_user_sgpr_private_segment_size 0
		.amdhsa_uses_dynamic_stack 0
		.amdhsa_system_sgpr_private_segment_wavefront_offset 0
		.amdhsa_system_sgpr_workgroup_id_x 1
		.amdhsa_system_sgpr_workgroup_id_y 0
		.amdhsa_system_sgpr_workgroup_id_z 0
		.amdhsa_system_sgpr_workgroup_info 0
		.amdhsa_system_vgpr_workitem_id 0
		.amdhsa_next_free_vgpr 1
		.amdhsa_next_free_sgpr 0
		.amdhsa_accum_offset 4
		.amdhsa_reserve_vcc 0
		.amdhsa_reserve_flat_scratch 0
		.amdhsa_float_round_mode_32 0
		.amdhsa_float_round_mode_16_64 0
		.amdhsa_float_denorm_mode_32 3
		.amdhsa_float_denorm_mode_16_64 3
		.amdhsa_dx10_clamp 1
		.amdhsa_ieee_mode 1
		.amdhsa_fp16_overflow 0
		.amdhsa_tg_split 0
		.amdhsa_exception_fp_ieee_invalid_op 0
		.amdhsa_exception_fp_denorm_src 0
		.amdhsa_exception_fp_ieee_div_zero 0
		.amdhsa_exception_fp_ieee_overflow 0
		.amdhsa_exception_fp_ieee_underflow 0
		.amdhsa_exception_fp_ieee_inexact 0
		.amdhsa_exception_int_div_zero 0
	.end_amdhsa_kernel
	.section	.text._ZN7rocprim17ROCPRIM_400000_NS6detail17trampoline_kernelINS0_14default_configENS1_35radix_sort_onesweep_config_selectorIsNS0_10empty_typeEEEZNS1_34radix_sort_onesweep_global_offsetsIS3_Lb1EPsPS5_mNS0_19identity_decomposerEEE10hipError_tT1_T2_PT3_SE_jT4_jjP12ihipStream_tbEUlT_E_NS1_11comp_targetILNS1_3genE8ELNS1_11target_archE1030ELNS1_3gpuE2ELNS1_3repE0EEENS1_52radix_sort_onesweep_histogram_config_static_selectorELNS0_4arch9wavefront6targetE1EEEvSC_,"axG",@progbits,_ZN7rocprim17ROCPRIM_400000_NS6detail17trampoline_kernelINS0_14default_configENS1_35radix_sort_onesweep_config_selectorIsNS0_10empty_typeEEEZNS1_34radix_sort_onesweep_global_offsetsIS3_Lb1EPsPS5_mNS0_19identity_decomposerEEE10hipError_tT1_T2_PT3_SE_jT4_jjP12ihipStream_tbEUlT_E_NS1_11comp_targetILNS1_3genE8ELNS1_11target_archE1030ELNS1_3gpuE2ELNS1_3repE0EEENS1_52radix_sort_onesweep_histogram_config_static_selectorELNS0_4arch9wavefront6targetE1EEEvSC_,comdat
.Lfunc_end1816:
	.size	_ZN7rocprim17ROCPRIM_400000_NS6detail17trampoline_kernelINS0_14default_configENS1_35radix_sort_onesweep_config_selectorIsNS0_10empty_typeEEEZNS1_34radix_sort_onesweep_global_offsetsIS3_Lb1EPsPS5_mNS0_19identity_decomposerEEE10hipError_tT1_T2_PT3_SE_jT4_jjP12ihipStream_tbEUlT_E_NS1_11comp_targetILNS1_3genE8ELNS1_11target_archE1030ELNS1_3gpuE2ELNS1_3repE0EEENS1_52radix_sort_onesweep_histogram_config_static_selectorELNS0_4arch9wavefront6targetE1EEEvSC_, .Lfunc_end1816-_ZN7rocprim17ROCPRIM_400000_NS6detail17trampoline_kernelINS0_14default_configENS1_35radix_sort_onesweep_config_selectorIsNS0_10empty_typeEEEZNS1_34radix_sort_onesweep_global_offsetsIS3_Lb1EPsPS5_mNS0_19identity_decomposerEEE10hipError_tT1_T2_PT3_SE_jT4_jjP12ihipStream_tbEUlT_E_NS1_11comp_targetILNS1_3genE8ELNS1_11target_archE1030ELNS1_3gpuE2ELNS1_3repE0EEENS1_52radix_sort_onesweep_histogram_config_static_selectorELNS0_4arch9wavefront6targetE1EEEvSC_
                                        ; -- End function
	.section	.AMDGPU.csdata,"",@progbits
; Kernel info:
; codeLenInByte = 0
; NumSgprs: 4
; NumVgprs: 0
; NumAgprs: 0
; TotalNumVgprs: 0
; ScratchSize: 0
; MemoryBound: 0
; FloatMode: 240
; IeeeMode: 1
; LDSByteSize: 0 bytes/workgroup (compile time only)
; SGPRBlocks: 0
; VGPRBlocks: 0
; NumSGPRsForWavesPerEU: 4
; NumVGPRsForWavesPerEU: 1
; AccumOffset: 4
; Occupancy: 8
; WaveLimiterHint : 0
; COMPUTE_PGM_RSRC2:SCRATCH_EN: 0
; COMPUTE_PGM_RSRC2:USER_SGPR: 6
; COMPUTE_PGM_RSRC2:TRAP_HANDLER: 0
; COMPUTE_PGM_RSRC2:TGID_X_EN: 1
; COMPUTE_PGM_RSRC2:TGID_Y_EN: 0
; COMPUTE_PGM_RSRC2:TGID_Z_EN: 0
; COMPUTE_PGM_RSRC2:TIDIG_COMP_CNT: 0
; COMPUTE_PGM_RSRC3_GFX90A:ACCUM_OFFSET: 0
; COMPUTE_PGM_RSRC3_GFX90A:TG_SPLIT: 0
	.section	.text._ZN7rocprim17ROCPRIM_400000_NS6detail17trampoline_kernelINS0_14default_configENS1_35radix_sort_onesweep_config_selectorIsNS0_10empty_typeEEEZNS1_34radix_sort_onesweep_global_offsetsIS3_Lb1EPsPS5_mNS0_19identity_decomposerEEE10hipError_tT1_T2_PT3_SE_jT4_jjP12ihipStream_tbEUlT_E0_NS1_11comp_targetILNS1_3genE0ELNS1_11target_archE4294967295ELNS1_3gpuE0ELNS1_3repE0EEENS1_52radix_sort_onesweep_histogram_config_static_selectorELNS0_4arch9wavefront6targetE1EEEvSC_,"axG",@progbits,_ZN7rocprim17ROCPRIM_400000_NS6detail17trampoline_kernelINS0_14default_configENS1_35radix_sort_onesweep_config_selectorIsNS0_10empty_typeEEEZNS1_34radix_sort_onesweep_global_offsetsIS3_Lb1EPsPS5_mNS0_19identity_decomposerEEE10hipError_tT1_T2_PT3_SE_jT4_jjP12ihipStream_tbEUlT_E0_NS1_11comp_targetILNS1_3genE0ELNS1_11target_archE4294967295ELNS1_3gpuE0ELNS1_3repE0EEENS1_52radix_sort_onesweep_histogram_config_static_selectorELNS0_4arch9wavefront6targetE1EEEvSC_,comdat
	.protected	_ZN7rocprim17ROCPRIM_400000_NS6detail17trampoline_kernelINS0_14default_configENS1_35radix_sort_onesweep_config_selectorIsNS0_10empty_typeEEEZNS1_34radix_sort_onesweep_global_offsetsIS3_Lb1EPsPS5_mNS0_19identity_decomposerEEE10hipError_tT1_T2_PT3_SE_jT4_jjP12ihipStream_tbEUlT_E0_NS1_11comp_targetILNS1_3genE0ELNS1_11target_archE4294967295ELNS1_3gpuE0ELNS1_3repE0EEENS1_52radix_sort_onesweep_histogram_config_static_selectorELNS0_4arch9wavefront6targetE1EEEvSC_ ; -- Begin function _ZN7rocprim17ROCPRIM_400000_NS6detail17trampoline_kernelINS0_14default_configENS1_35radix_sort_onesweep_config_selectorIsNS0_10empty_typeEEEZNS1_34radix_sort_onesweep_global_offsetsIS3_Lb1EPsPS5_mNS0_19identity_decomposerEEE10hipError_tT1_T2_PT3_SE_jT4_jjP12ihipStream_tbEUlT_E0_NS1_11comp_targetILNS1_3genE0ELNS1_11target_archE4294967295ELNS1_3gpuE0ELNS1_3repE0EEENS1_52radix_sort_onesweep_histogram_config_static_selectorELNS0_4arch9wavefront6targetE1EEEvSC_
	.globl	_ZN7rocprim17ROCPRIM_400000_NS6detail17trampoline_kernelINS0_14default_configENS1_35radix_sort_onesweep_config_selectorIsNS0_10empty_typeEEEZNS1_34radix_sort_onesweep_global_offsetsIS3_Lb1EPsPS5_mNS0_19identity_decomposerEEE10hipError_tT1_T2_PT3_SE_jT4_jjP12ihipStream_tbEUlT_E0_NS1_11comp_targetILNS1_3genE0ELNS1_11target_archE4294967295ELNS1_3gpuE0ELNS1_3repE0EEENS1_52radix_sort_onesweep_histogram_config_static_selectorELNS0_4arch9wavefront6targetE1EEEvSC_
	.p2align	8
	.type	_ZN7rocprim17ROCPRIM_400000_NS6detail17trampoline_kernelINS0_14default_configENS1_35radix_sort_onesweep_config_selectorIsNS0_10empty_typeEEEZNS1_34radix_sort_onesweep_global_offsetsIS3_Lb1EPsPS5_mNS0_19identity_decomposerEEE10hipError_tT1_T2_PT3_SE_jT4_jjP12ihipStream_tbEUlT_E0_NS1_11comp_targetILNS1_3genE0ELNS1_11target_archE4294967295ELNS1_3gpuE0ELNS1_3repE0EEENS1_52radix_sort_onesweep_histogram_config_static_selectorELNS0_4arch9wavefront6targetE1EEEvSC_,@function
_ZN7rocprim17ROCPRIM_400000_NS6detail17trampoline_kernelINS0_14default_configENS1_35radix_sort_onesweep_config_selectorIsNS0_10empty_typeEEEZNS1_34radix_sort_onesweep_global_offsetsIS3_Lb1EPsPS5_mNS0_19identity_decomposerEEE10hipError_tT1_T2_PT3_SE_jT4_jjP12ihipStream_tbEUlT_E0_NS1_11comp_targetILNS1_3genE0ELNS1_11target_archE4294967295ELNS1_3gpuE0ELNS1_3repE0EEENS1_52radix_sort_onesweep_histogram_config_static_selectorELNS0_4arch9wavefront6targetE1EEEvSC_: ; @_ZN7rocprim17ROCPRIM_400000_NS6detail17trampoline_kernelINS0_14default_configENS1_35radix_sort_onesweep_config_selectorIsNS0_10empty_typeEEEZNS1_34radix_sort_onesweep_global_offsetsIS3_Lb1EPsPS5_mNS0_19identity_decomposerEEE10hipError_tT1_T2_PT3_SE_jT4_jjP12ihipStream_tbEUlT_E0_NS1_11comp_targetILNS1_3genE0ELNS1_11target_archE4294967295ELNS1_3gpuE0ELNS1_3repE0EEENS1_52radix_sort_onesweep_histogram_config_static_selectorELNS0_4arch9wavefront6targetE1EEEvSC_
; %bb.0:
	.section	.rodata,"a",@progbits
	.p2align	6, 0x0
	.amdhsa_kernel _ZN7rocprim17ROCPRIM_400000_NS6detail17trampoline_kernelINS0_14default_configENS1_35radix_sort_onesweep_config_selectorIsNS0_10empty_typeEEEZNS1_34radix_sort_onesweep_global_offsetsIS3_Lb1EPsPS5_mNS0_19identity_decomposerEEE10hipError_tT1_T2_PT3_SE_jT4_jjP12ihipStream_tbEUlT_E0_NS1_11comp_targetILNS1_3genE0ELNS1_11target_archE4294967295ELNS1_3gpuE0ELNS1_3repE0EEENS1_52radix_sort_onesweep_histogram_config_static_selectorELNS0_4arch9wavefront6targetE1EEEvSC_
		.amdhsa_group_segment_fixed_size 0
		.amdhsa_private_segment_fixed_size 0
		.amdhsa_kernarg_size 8
		.amdhsa_user_sgpr_count 6
		.amdhsa_user_sgpr_private_segment_buffer 1
		.amdhsa_user_sgpr_dispatch_ptr 0
		.amdhsa_user_sgpr_queue_ptr 0
		.amdhsa_user_sgpr_kernarg_segment_ptr 1
		.amdhsa_user_sgpr_dispatch_id 0
		.amdhsa_user_sgpr_flat_scratch_init 0
		.amdhsa_user_sgpr_kernarg_preload_length 0
		.amdhsa_user_sgpr_kernarg_preload_offset 0
		.amdhsa_user_sgpr_private_segment_size 0
		.amdhsa_uses_dynamic_stack 0
		.amdhsa_system_sgpr_private_segment_wavefront_offset 0
		.amdhsa_system_sgpr_workgroup_id_x 1
		.amdhsa_system_sgpr_workgroup_id_y 0
		.amdhsa_system_sgpr_workgroup_id_z 0
		.amdhsa_system_sgpr_workgroup_info 0
		.amdhsa_system_vgpr_workitem_id 0
		.amdhsa_next_free_vgpr 1
		.amdhsa_next_free_sgpr 0
		.amdhsa_accum_offset 4
		.amdhsa_reserve_vcc 0
		.amdhsa_reserve_flat_scratch 0
		.amdhsa_float_round_mode_32 0
		.amdhsa_float_round_mode_16_64 0
		.amdhsa_float_denorm_mode_32 3
		.amdhsa_float_denorm_mode_16_64 3
		.amdhsa_dx10_clamp 1
		.amdhsa_ieee_mode 1
		.amdhsa_fp16_overflow 0
		.amdhsa_tg_split 0
		.amdhsa_exception_fp_ieee_invalid_op 0
		.amdhsa_exception_fp_denorm_src 0
		.amdhsa_exception_fp_ieee_div_zero 0
		.amdhsa_exception_fp_ieee_overflow 0
		.amdhsa_exception_fp_ieee_underflow 0
		.amdhsa_exception_fp_ieee_inexact 0
		.amdhsa_exception_int_div_zero 0
	.end_amdhsa_kernel
	.section	.text._ZN7rocprim17ROCPRIM_400000_NS6detail17trampoline_kernelINS0_14default_configENS1_35radix_sort_onesweep_config_selectorIsNS0_10empty_typeEEEZNS1_34radix_sort_onesweep_global_offsetsIS3_Lb1EPsPS5_mNS0_19identity_decomposerEEE10hipError_tT1_T2_PT3_SE_jT4_jjP12ihipStream_tbEUlT_E0_NS1_11comp_targetILNS1_3genE0ELNS1_11target_archE4294967295ELNS1_3gpuE0ELNS1_3repE0EEENS1_52radix_sort_onesweep_histogram_config_static_selectorELNS0_4arch9wavefront6targetE1EEEvSC_,"axG",@progbits,_ZN7rocprim17ROCPRIM_400000_NS6detail17trampoline_kernelINS0_14default_configENS1_35radix_sort_onesweep_config_selectorIsNS0_10empty_typeEEEZNS1_34radix_sort_onesweep_global_offsetsIS3_Lb1EPsPS5_mNS0_19identity_decomposerEEE10hipError_tT1_T2_PT3_SE_jT4_jjP12ihipStream_tbEUlT_E0_NS1_11comp_targetILNS1_3genE0ELNS1_11target_archE4294967295ELNS1_3gpuE0ELNS1_3repE0EEENS1_52radix_sort_onesweep_histogram_config_static_selectorELNS0_4arch9wavefront6targetE1EEEvSC_,comdat
.Lfunc_end1817:
	.size	_ZN7rocprim17ROCPRIM_400000_NS6detail17trampoline_kernelINS0_14default_configENS1_35radix_sort_onesweep_config_selectorIsNS0_10empty_typeEEEZNS1_34radix_sort_onesweep_global_offsetsIS3_Lb1EPsPS5_mNS0_19identity_decomposerEEE10hipError_tT1_T2_PT3_SE_jT4_jjP12ihipStream_tbEUlT_E0_NS1_11comp_targetILNS1_3genE0ELNS1_11target_archE4294967295ELNS1_3gpuE0ELNS1_3repE0EEENS1_52radix_sort_onesweep_histogram_config_static_selectorELNS0_4arch9wavefront6targetE1EEEvSC_, .Lfunc_end1817-_ZN7rocprim17ROCPRIM_400000_NS6detail17trampoline_kernelINS0_14default_configENS1_35radix_sort_onesweep_config_selectorIsNS0_10empty_typeEEEZNS1_34radix_sort_onesweep_global_offsetsIS3_Lb1EPsPS5_mNS0_19identity_decomposerEEE10hipError_tT1_T2_PT3_SE_jT4_jjP12ihipStream_tbEUlT_E0_NS1_11comp_targetILNS1_3genE0ELNS1_11target_archE4294967295ELNS1_3gpuE0ELNS1_3repE0EEENS1_52radix_sort_onesweep_histogram_config_static_selectorELNS0_4arch9wavefront6targetE1EEEvSC_
                                        ; -- End function
	.section	.AMDGPU.csdata,"",@progbits
; Kernel info:
; codeLenInByte = 0
; NumSgprs: 4
; NumVgprs: 0
; NumAgprs: 0
; TotalNumVgprs: 0
; ScratchSize: 0
; MemoryBound: 0
; FloatMode: 240
; IeeeMode: 1
; LDSByteSize: 0 bytes/workgroup (compile time only)
; SGPRBlocks: 0
; VGPRBlocks: 0
; NumSGPRsForWavesPerEU: 4
; NumVGPRsForWavesPerEU: 1
; AccumOffset: 4
; Occupancy: 8
; WaveLimiterHint : 0
; COMPUTE_PGM_RSRC2:SCRATCH_EN: 0
; COMPUTE_PGM_RSRC2:USER_SGPR: 6
; COMPUTE_PGM_RSRC2:TRAP_HANDLER: 0
; COMPUTE_PGM_RSRC2:TGID_X_EN: 1
; COMPUTE_PGM_RSRC2:TGID_Y_EN: 0
; COMPUTE_PGM_RSRC2:TGID_Z_EN: 0
; COMPUTE_PGM_RSRC2:TIDIG_COMP_CNT: 0
; COMPUTE_PGM_RSRC3_GFX90A:ACCUM_OFFSET: 0
; COMPUTE_PGM_RSRC3_GFX90A:TG_SPLIT: 0
	.section	.text._ZN7rocprim17ROCPRIM_400000_NS6detail17trampoline_kernelINS0_14default_configENS1_35radix_sort_onesweep_config_selectorIsNS0_10empty_typeEEEZNS1_34radix_sort_onesweep_global_offsetsIS3_Lb1EPsPS5_mNS0_19identity_decomposerEEE10hipError_tT1_T2_PT3_SE_jT4_jjP12ihipStream_tbEUlT_E0_NS1_11comp_targetILNS1_3genE6ELNS1_11target_archE950ELNS1_3gpuE13ELNS1_3repE0EEENS1_52radix_sort_onesweep_histogram_config_static_selectorELNS0_4arch9wavefront6targetE1EEEvSC_,"axG",@progbits,_ZN7rocprim17ROCPRIM_400000_NS6detail17trampoline_kernelINS0_14default_configENS1_35radix_sort_onesweep_config_selectorIsNS0_10empty_typeEEEZNS1_34radix_sort_onesweep_global_offsetsIS3_Lb1EPsPS5_mNS0_19identity_decomposerEEE10hipError_tT1_T2_PT3_SE_jT4_jjP12ihipStream_tbEUlT_E0_NS1_11comp_targetILNS1_3genE6ELNS1_11target_archE950ELNS1_3gpuE13ELNS1_3repE0EEENS1_52radix_sort_onesweep_histogram_config_static_selectorELNS0_4arch9wavefront6targetE1EEEvSC_,comdat
	.protected	_ZN7rocprim17ROCPRIM_400000_NS6detail17trampoline_kernelINS0_14default_configENS1_35radix_sort_onesweep_config_selectorIsNS0_10empty_typeEEEZNS1_34radix_sort_onesweep_global_offsetsIS3_Lb1EPsPS5_mNS0_19identity_decomposerEEE10hipError_tT1_T2_PT3_SE_jT4_jjP12ihipStream_tbEUlT_E0_NS1_11comp_targetILNS1_3genE6ELNS1_11target_archE950ELNS1_3gpuE13ELNS1_3repE0EEENS1_52radix_sort_onesweep_histogram_config_static_selectorELNS0_4arch9wavefront6targetE1EEEvSC_ ; -- Begin function _ZN7rocprim17ROCPRIM_400000_NS6detail17trampoline_kernelINS0_14default_configENS1_35radix_sort_onesweep_config_selectorIsNS0_10empty_typeEEEZNS1_34radix_sort_onesweep_global_offsetsIS3_Lb1EPsPS5_mNS0_19identity_decomposerEEE10hipError_tT1_T2_PT3_SE_jT4_jjP12ihipStream_tbEUlT_E0_NS1_11comp_targetILNS1_3genE6ELNS1_11target_archE950ELNS1_3gpuE13ELNS1_3repE0EEENS1_52radix_sort_onesweep_histogram_config_static_selectorELNS0_4arch9wavefront6targetE1EEEvSC_
	.globl	_ZN7rocprim17ROCPRIM_400000_NS6detail17trampoline_kernelINS0_14default_configENS1_35radix_sort_onesweep_config_selectorIsNS0_10empty_typeEEEZNS1_34radix_sort_onesweep_global_offsetsIS3_Lb1EPsPS5_mNS0_19identity_decomposerEEE10hipError_tT1_T2_PT3_SE_jT4_jjP12ihipStream_tbEUlT_E0_NS1_11comp_targetILNS1_3genE6ELNS1_11target_archE950ELNS1_3gpuE13ELNS1_3repE0EEENS1_52radix_sort_onesweep_histogram_config_static_selectorELNS0_4arch9wavefront6targetE1EEEvSC_
	.p2align	8
	.type	_ZN7rocprim17ROCPRIM_400000_NS6detail17trampoline_kernelINS0_14default_configENS1_35radix_sort_onesweep_config_selectorIsNS0_10empty_typeEEEZNS1_34radix_sort_onesweep_global_offsetsIS3_Lb1EPsPS5_mNS0_19identity_decomposerEEE10hipError_tT1_T2_PT3_SE_jT4_jjP12ihipStream_tbEUlT_E0_NS1_11comp_targetILNS1_3genE6ELNS1_11target_archE950ELNS1_3gpuE13ELNS1_3repE0EEENS1_52radix_sort_onesweep_histogram_config_static_selectorELNS0_4arch9wavefront6targetE1EEEvSC_,@function
_ZN7rocprim17ROCPRIM_400000_NS6detail17trampoline_kernelINS0_14default_configENS1_35radix_sort_onesweep_config_selectorIsNS0_10empty_typeEEEZNS1_34radix_sort_onesweep_global_offsetsIS3_Lb1EPsPS5_mNS0_19identity_decomposerEEE10hipError_tT1_T2_PT3_SE_jT4_jjP12ihipStream_tbEUlT_E0_NS1_11comp_targetILNS1_3genE6ELNS1_11target_archE950ELNS1_3gpuE13ELNS1_3repE0EEENS1_52radix_sort_onesweep_histogram_config_static_selectorELNS0_4arch9wavefront6targetE1EEEvSC_: ; @_ZN7rocprim17ROCPRIM_400000_NS6detail17trampoline_kernelINS0_14default_configENS1_35radix_sort_onesweep_config_selectorIsNS0_10empty_typeEEEZNS1_34radix_sort_onesweep_global_offsetsIS3_Lb1EPsPS5_mNS0_19identity_decomposerEEE10hipError_tT1_T2_PT3_SE_jT4_jjP12ihipStream_tbEUlT_E0_NS1_11comp_targetILNS1_3genE6ELNS1_11target_archE950ELNS1_3gpuE13ELNS1_3repE0EEENS1_52radix_sort_onesweep_histogram_config_static_selectorELNS0_4arch9wavefront6targetE1EEEvSC_
; %bb.0:
	.section	.rodata,"a",@progbits
	.p2align	6, 0x0
	.amdhsa_kernel _ZN7rocprim17ROCPRIM_400000_NS6detail17trampoline_kernelINS0_14default_configENS1_35radix_sort_onesweep_config_selectorIsNS0_10empty_typeEEEZNS1_34radix_sort_onesweep_global_offsetsIS3_Lb1EPsPS5_mNS0_19identity_decomposerEEE10hipError_tT1_T2_PT3_SE_jT4_jjP12ihipStream_tbEUlT_E0_NS1_11comp_targetILNS1_3genE6ELNS1_11target_archE950ELNS1_3gpuE13ELNS1_3repE0EEENS1_52radix_sort_onesweep_histogram_config_static_selectorELNS0_4arch9wavefront6targetE1EEEvSC_
		.amdhsa_group_segment_fixed_size 0
		.amdhsa_private_segment_fixed_size 0
		.amdhsa_kernarg_size 8
		.amdhsa_user_sgpr_count 6
		.amdhsa_user_sgpr_private_segment_buffer 1
		.amdhsa_user_sgpr_dispatch_ptr 0
		.amdhsa_user_sgpr_queue_ptr 0
		.amdhsa_user_sgpr_kernarg_segment_ptr 1
		.amdhsa_user_sgpr_dispatch_id 0
		.amdhsa_user_sgpr_flat_scratch_init 0
		.amdhsa_user_sgpr_kernarg_preload_length 0
		.amdhsa_user_sgpr_kernarg_preload_offset 0
		.amdhsa_user_sgpr_private_segment_size 0
		.amdhsa_uses_dynamic_stack 0
		.amdhsa_system_sgpr_private_segment_wavefront_offset 0
		.amdhsa_system_sgpr_workgroup_id_x 1
		.amdhsa_system_sgpr_workgroup_id_y 0
		.amdhsa_system_sgpr_workgroup_id_z 0
		.amdhsa_system_sgpr_workgroup_info 0
		.amdhsa_system_vgpr_workitem_id 0
		.amdhsa_next_free_vgpr 1
		.amdhsa_next_free_sgpr 0
		.amdhsa_accum_offset 4
		.amdhsa_reserve_vcc 0
		.amdhsa_reserve_flat_scratch 0
		.amdhsa_float_round_mode_32 0
		.amdhsa_float_round_mode_16_64 0
		.amdhsa_float_denorm_mode_32 3
		.amdhsa_float_denorm_mode_16_64 3
		.amdhsa_dx10_clamp 1
		.amdhsa_ieee_mode 1
		.amdhsa_fp16_overflow 0
		.amdhsa_tg_split 0
		.amdhsa_exception_fp_ieee_invalid_op 0
		.amdhsa_exception_fp_denorm_src 0
		.amdhsa_exception_fp_ieee_div_zero 0
		.amdhsa_exception_fp_ieee_overflow 0
		.amdhsa_exception_fp_ieee_underflow 0
		.amdhsa_exception_fp_ieee_inexact 0
		.amdhsa_exception_int_div_zero 0
	.end_amdhsa_kernel
	.section	.text._ZN7rocprim17ROCPRIM_400000_NS6detail17trampoline_kernelINS0_14default_configENS1_35radix_sort_onesweep_config_selectorIsNS0_10empty_typeEEEZNS1_34radix_sort_onesweep_global_offsetsIS3_Lb1EPsPS5_mNS0_19identity_decomposerEEE10hipError_tT1_T2_PT3_SE_jT4_jjP12ihipStream_tbEUlT_E0_NS1_11comp_targetILNS1_3genE6ELNS1_11target_archE950ELNS1_3gpuE13ELNS1_3repE0EEENS1_52radix_sort_onesweep_histogram_config_static_selectorELNS0_4arch9wavefront6targetE1EEEvSC_,"axG",@progbits,_ZN7rocprim17ROCPRIM_400000_NS6detail17trampoline_kernelINS0_14default_configENS1_35radix_sort_onesweep_config_selectorIsNS0_10empty_typeEEEZNS1_34radix_sort_onesweep_global_offsetsIS3_Lb1EPsPS5_mNS0_19identity_decomposerEEE10hipError_tT1_T2_PT3_SE_jT4_jjP12ihipStream_tbEUlT_E0_NS1_11comp_targetILNS1_3genE6ELNS1_11target_archE950ELNS1_3gpuE13ELNS1_3repE0EEENS1_52radix_sort_onesweep_histogram_config_static_selectorELNS0_4arch9wavefront6targetE1EEEvSC_,comdat
.Lfunc_end1818:
	.size	_ZN7rocprim17ROCPRIM_400000_NS6detail17trampoline_kernelINS0_14default_configENS1_35radix_sort_onesweep_config_selectorIsNS0_10empty_typeEEEZNS1_34radix_sort_onesweep_global_offsetsIS3_Lb1EPsPS5_mNS0_19identity_decomposerEEE10hipError_tT1_T2_PT3_SE_jT4_jjP12ihipStream_tbEUlT_E0_NS1_11comp_targetILNS1_3genE6ELNS1_11target_archE950ELNS1_3gpuE13ELNS1_3repE0EEENS1_52radix_sort_onesweep_histogram_config_static_selectorELNS0_4arch9wavefront6targetE1EEEvSC_, .Lfunc_end1818-_ZN7rocprim17ROCPRIM_400000_NS6detail17trampoline_kernelINS0_14default_configENS1_35radix_sort_onesweep_config_selectorIsNS0_10empty_typeEEEZNS1_34radix_sort_onesweep_global_offsetsIS3_Lb1EPsPS5_mNS0_19identity_decomposerEEE10hipError_tT1_T2_PT3_SE_jT4_jjP12ihipStream_tbEUlT_E0_NS1_11comp_targetILNS1_3genE6ELNS1_11target_archE950ELNS1_3gpuE13ELNS1_3repE0EEENS1_52radix_sort_onesweep_histogram_config_static_selectorELNS0_4arch9wavefront6targetE1EEEvSC_
                                        ; -- End function
	.section	.AMDGPU.csdata,"",@progbits
; Kernel info:
; codeLenInByte = 0
; NumSgprs: 4
; NumVgprs: 0
; NumAgprs: 0
; TotalNumVgprs: 0
; ScratchSize: 0
; MemoryBound: 0
; FloatMode: 240
; IeeeMode: 1
; LDSByteSize: 0 bytes/workgroup (compile time only)
; SGPRBlocks: 0
; VGPRBlocks: 0
; NumSGPRsForWavesPerEU: 4
; NumVGPRsForWavesPerEU: 1
; AccumOffset: 4
; Occupancy: 8
; WaveLimiterHint : 0
; COMPUTE_PGM_RSRC2:SCRATCH_EN: 0
; COMPUTE_PGM_RSRC2:USER_SGPR: 6
; COMPUTE_PGM_RSRC2:TRAP_HANDLER: 0
; COMPUTE_PGM_RSRC2:TGID_X_EN: 1
; COMPUTE_PGM_RSRC2:TGID_Y_EN: 0
; COMPUTE_PGM_RSRC2:TGID_Z_EN: 0
; COMPUTE_PGM_RSRC2:TIDIG_COMP_CNT: 0
; COMPUTE_PGM_RSRC3_GFX90A:ACCUM_OFFSET: 0
; COMPUTE_PGM_RSRC3_GFX90A:TG_SPLIT: 0
	.section	.text._ZN7rocprim17ROCPRIM_400000_NS6detail17trampoline_kernelINS0_14default_configENS1_35radix_sort_onesweep_config_selectorIsNS0_10empty_typeEEEZNS1_34radix_sort_onesweep_global_offsetsIS3_Lb1EPsPS5_mNS0_19identity_decomposerEEE10hipError_tT1_T2_PT3_SE_jT4_jjP12ihipStream_tbEUlT_E0_NS1_11comp_targetILNS1_3genE5ELNS1_11target_archE942ELNS1_3gpuE9ELNS1_3repE0EEENS1_52radix_sort_onesweep_histogram_config_static_selectorELNS0_4arch9wavefront6targetE1EEEvSC_,"axG",@progbits,_ZN7rocprim17ROCPRIM_400000_NS6detail17trampoline_kernelINS0_14default_configENS1_35radix_sort_onesweep_config_selectorIsNS0_10empty_typeEEEZNS1_34radix_sort_onesweep_global_offsetsIS3_Lb1EPsPS5_mNS0_19identity_decomposerEEE10hipError_tT1_T2_PT3_SE_jT4_jjP12ihipStream_tbEUlT_E0_NS1_11comp_targetILNS1_3genE5ELNS1_11target_archE942ELNS1_3gpuE9ELNS1_3repE0EEENS1_52radix_sort_onesweep_histogram_config_static_selectorELNS0_4arch9wavefront6targetE1EEEvSC_,comdat
	.protected	_ZN7rocprim17ROCPRIM_400000_NS6detail17trampoline_kernelINS0_14default_configENS1_35radix_sort_onesweep_config_selectorIsNS0_10empty_typeEEEZNS1_34radix_sort_onesweep_global_offsetsIS3_Lb1EPsPS5_mNS0_19identity_decomposerEEE10hipError_tT1_T2_PT3_SE_jT4_jjP12ihipStream_tbEUlT_E0_NS1_11comp_targetILNS1_3genE5ELNS1_11target_archE942ELNS1_3gpuE9ELNS1_3repE0EEENS1_52radix_sort_onesweep_histogram_config_static_selectorELNS0_4arch9wavefront6targetE1EEEvSC_ ; -- Begin function _ZN7rocprim17ROCPRIM_400000_NS6detail17trampoline_kernelINS0_14default_configENS1_35radix_sort_onesweep_config_selectorIsNS0_10empty_typeEEEZNS1_34radix_sort_onesweep_global_offsetsIS3_Lb1EPsPS5_mNS0_19identity_decomposerEEE10hipError_tT1_T2_PT3_SE_jT4_jjP12ihipStream_tbEUlT_E0_NS1_11comp_targetILNS1_3genE5ELNS1_11target_archE942ELNS1_3gpuE9ELNS1_3repE0EEENS1_52radix_sort_onesweep_histogram_config_static_selectorELNS0_4arch9wavefront6targetE1EEEvSC_
	.globl	_ZN7rocprim17ROCPRIM_400000_NS6detail17trampoline_kernelINS0_14default_configENS1_35radix_sort_onesweep_config_selectorIsNS0_10empty_typeEEEZNS1_34radix_sort_onesweep_global_offsetsIS3_Lb1EPsPS5_mNS0_19identity_decomposerEEE10hipError_tT1_T2_PT3_SE_jT4_jjP12ihipStream_tbEUlT_E0_NS1_11comp_targetILNS1_3genE5ELNS1_11target_archE942ELNS1_3gpuE9ELNS1_3repE0EEENS1_52radix_sort_onesweep_histogram_config_static_selectorELNS0_4arch9wavefront6targetE1EEEvSC_
	.p2align	8
	.type	_ZN7rocprim17ROCPRIM_400000_NS6detail17trampoline_kernelINS0_14default_configENS1_35radix_sort_onesweep_config_selectorIsNS0_10empty_typeEEEZNS1_34radix_sort_onesweep_global_offsetsIS3_Lb1EPsPS5_mNS0_19identity_decomposerEEE10hipError_tT1_T2_PT3_SE_jT4_jjP12ihipStream_tbEUlT_E0_NS1_11comp_targetILNS1_3genE5ELNS1_11target_archE942ELNS1_3gpuE9ELNS1_3repE0EEENS1_52radix_sort_onesweep_histogram_config_static_selectorELNS0_4arch9wavefront6targetE1EEEvSC_,@function
_ZN7rocprim17ROCPRIM_400000_NS6detail17trampoline_kernelINS0_14default_configENS1_35radix_sort_onesweep_config_selectorIsNS0_10empty_typeEEEZNS1_34radix_sort_onesweep_global_offsetsIS3_Lb1EPsPS5_mNS0_19identity_decomposerEEE10hipError_tT1_T2_PT3_SE_jT4_jjP12ihipStream_tbEUlT_E0_NS1_11comp_targetILNS1_3genE5ELNS1_11target_archE942ELNS1_3gpuE9ELNS1_3repE0EEENS1_52radix_sort_onesweep_histogram_config_static_selectorELNS0_4arch9wavefront6targetE1EEEvSC_: ; @_ZN7rocprim17ROCPRIM_400000_NS6detail17trampoline_kernelINS0_14default_configENS1_35radix_sort_onesweep_config_selectorIsNS0_10empty_typeEEEZNS1_34radix_sort_onesweep_global_offsetsIS3_Lb1EPsPS5_mNS0_19identity_decomposerEEE10hipError_tT1_T2_PT3_SE_jT4_jjP12ihipStream_tbEUlT_E0_NS1_11comp_targetILNS1_3genE5ELNS1_11target_archE942ELNS1_3gpuE9ELNS1_3repE0EEENS1_52radix_sort_onesweep_histogram_config_static_selectorELNS0_4arch9wavefront6targetE1EEEvSC_
; %bb.0:
	.section	.rodata,"a",@progbits
	.p2align	6, 0x0
	.amdhsa_kernel _ZN7rocprim17ROCPRIM_400000_NS6detail17trampoline_kernelINS0_14default_configENS1_35radix_sort_onesweep_config_selectorIsNS0_10empty_typeEEEZNS1_34radix_sort_onesweep_global_offsetsIS3_Lb1EPsPS5_mNS0_19identity_decomposerEEE10hipError_tT1_T2_PT3_SE_jT4_jjP12ihipStream_tbEUlT_E0_NS1_11comp_targetILNS1_3genE5ELNS1_11target_archE942ELNS1_3gpuE9ELNS1_3repE0EEENS1_52radix_sort_onesweep_histogram_config_static_selectorELNS0_4arch9wavefront6targetE1EEEvSC_
		.amdhsa_group_segment_fixed_size 0
		.amdhsa_private_segment_fixed_size 0
		.amdhsa_kernarg_size 8
		.amdhsa_user_sgpr_count 6
		.amdhsa_user_sgpr_private_segment_buffer 1
		.amdhsa_user_sgpr_dispatch_ptr 0
		.amdhsa_user_sgpr_queue_ptr 0
		.amdhsa_user_sgpr_kernarg_segment_ptr 1
		.amdhsa_user_sgpr_dispatch_id 0
		.amdhsa_user_sgpr_flat_scratch_init 0
		.amdhsa_user_sgpr_kernarg_preload_length 0
		.amdhsa_user_sgpr_kernarg_preload_offset 0
		.amdhsa_user_sgpr_private_segment_size 0
		.amdhsa_uses_dynamic_stack 0
		.amdhsa_system_sgpr_private_segment_wavefront_offset 0
		.amdhsa_system_sgpr_workgroup_id_x 1
		.amdhsa_system_sgpr_workgroup_id_y 0
		.amdhsa_system_sgpr_workgroup_id_z 0
		.amdhsa_system_sgpr_workgroup_info 0
		.amdhsa_system_vgpr_workitem_id 0
		.amdhsa_next_free_vgpr 1
		.amdhsa_next_free_sgpr 0
		.amdhsa_accum_offset 4
		.amdhsa_reserve_vcc 0
		.amdhsa_reserve_flat_scratch 0
		.amdhsa_float_round_mode_32 0
		.amdhsa_float_round_mode_16_64 0
		.amdhsa_float_denorm_mode_32 3
		.amdhsa_float_denorm_mode_16_64 3
		.amdhsa_dx10_clamp 1
		.amdhsa_ieee_mode 1
		.amdhsa_fp16_overflow 0
		.amdhsa_tg_split 0
		.amdhsa_exception_fp_ieee_invalid_op 0
		.amdhsa_exception_fp_denorm_src 0
		.amdhsa_exception_fp_ieee_div_zero 0
		.amdhsa_exception_fp_ieee_overflow 0
		.amdhsa_exception_fp_ieee_underflow 0
		.amdhsa_exception_fp_ieee_inexact 0
		.amdhsa_exception_int_div_zero 0
	.end_amdhsa_kernel
	.section	.text._ZN7rocprim17ROCPRIM_400000_NS6detail17trampoline_kernelINS0_14default_configENS1_35radix_sort_onesweep_config_selectorIsNS0_10empty_typeEEEZNS1_34radix_sort_onesweep_global_offsetsIS3_Lb1EPsPS5_mNS0_19identity_decomposerEEE10hipError_tT1_T2_PT3_SE_jT4_jjP12ihipStream_tbEUlT_E0_NS1_11comp_targetILNS1_3genE5ELNS1_11target_archE942ELNS1_3gpuE9ELNS1_3repE0EEENS1_52radix_sort_onesweep_histogram_config_static_selectorELNS0_4arch9wavefront6targetE1EEEvSC_,"axG",@progbits,_ZN7rocprim17ROCPRIM_400000_NS6detail17trampoline_kernelINS0_14default_configENS1_35radix_sort_onesweep_config_selectorIsNS0_10empty_typeEEEZNS1_34radix_sort_onesweep_global_offsetsIS3_Lb1EPsPS5_mNS0_19identity_decomposerEEE10hipError_tT1_T2_PT3_SE_jT4_jjP12ihipStream_tbEUlT_E0_NS1_11comp_targetILNS1_3genE5ELNS1_11target_archE942ELNS1_3gpuE9ELNS1_3repE0EEENS1_52radix_sort_onesweep_histogram_config_static_selectorELNS0_4arch9wavefront6targetE1EEEvSC_,comdat
.Lfunc_end1819:
	.size	_ZN7rocprim17ROCPRIM_400000_NS6detail17trampoline_kernelINS0_14default_configENS1_35radix_sort_onesweep_config_selectorIsNS0_10empty_typeEEEZNS1_34radix_sort_onesweep_global_offsetsIS3_Lb1EPsPS5_mNS0_19identity_decomposerEEE10hipError_tT1_T2_PT3_SE_jT4_jjP12ihipStream_tbEUlT_E0_NS1_11comp_targetILNS1_3genE5ELNS1_11target_archE942ELNS1_3gpuE9ELNS1_3repE0EEENS1_52radix_sort_onesweep_histogram_config_static_selectorELNS0_4arch9wavefront6targetE1EEEvSC_, .Lfunc_end1819-_ZN7rocprim17ROCPRIM_400000_NS6detail17trampoline_kernelINS0_14default_configENS1_35radix_sort_onesweep_config_selectorIsNS0_10empty_typeEEEZNS1_34radix_sort_onesweep_global_offsetsIS3_Lb1EPsPS5_mNS0_19identity_decomposerEEE10hipError_tT1_T2_PT3_SE_jT4_jjP12ihipStream_tbEUlT_E0_NS1_11comp_targetILNS1_3genE5ELNS1_11target_archE942ELNS1_3gpuE9ELNS1_3repE0EEENS1_52radix_sort_onesweep_histogram_config_static_selectorELNS0_4arch9wavefront6targetE1EEEvSC_
                                        ; -- End function
	.section	.AMDGPU.csdata,"",@progbits
; Kernel info:
; codeLenInByte = 0
; NumSgprs: 4
; NumVgprs: 0
; NumAgprs: 0
; TotalNumVgprs: 0
; ScratchSize: 0
; MemoryBound: 0
; FloatMode: 240
; IeeeMode: 1
; LDSByteSize: 0 bytes/workgroup (compile time only)
; SGPRBlocks: 0
; VGPRBlocks: 0
; NumSGPRsForWavesPerEU: 4
; NumVGPRsForWavesPerEU: 1
; AccumOffset: 4
; Occupancy: 8
; WaveLimiterHint : 0
; COMPUTE_PGM_RSRC2:SCRATCH_EN: 0
; COMPUTE_PGM_RSRC2:USER_SGPR: 6
; COMPUTE_PGM_RSRC2:TRAP_HANDLER: 0
; COMPUTE_PGM_RSRC2:TGID_X_EN: 1
; COMPUTE_PGM_RSRC2:TGID_Y_EN: 0
; COMPUTE_PGM_RSRC2:TGID_Z_EN: 0
; COMPUTE_PGM_RSRC2:TIDIG_COMP_CNT: 0
; COMPUTE_PGM_RSRC3_GFX90A:ACCUM_OFFSET: 0
; COMPUTE_PGM_RSRC3_GFX90A:TG_SPLIT: 0
	.section	.text._ZN7rocprim17ROCPRIM_400000_NS6detail17trampoline_kernelINS0_14default_configENS1_35radix_sort_onesweep_config_selectorIsNS0_10empty_typeEEEZNS1_34radix_sort_onesweep_global_offsetsIS3_Lb1EPsPS5_mNS0_19identity_decomposerEEE10hipError_tT1_T2_PT3_SE_jT4_jjP12ihipStream_tbEUlT_E0_NS1_11comp_targetILNS1_3genE2ELNS1_11target_archE906ELNS1_3gpuE6ELNS1_3repE0EEENS1_52radix_sort_onesweep_histogram_config_static_selectorELNS0_4arch9wavefront6targetE1EEEvSC_,"axG",@progbits,_ZN7rocprim17ROCPRIM_400000_NS6detail17trampoline_kernelINS0_14default_configENS1_35radix_sort_onesweep_config_selectorIsNS0_10empty_typeEEEZNS1_34radix_sort_onesweep_global_offsetsIS3_Lb1EPsPS5_mNS0_19identity_decomposerEEE10hipError_tT1_T2_PT3_SE_jT4_jjP12ihipStream_tbEUlT_E0_NS1_11comp_targetILNS1_3genE2ELNS1_11target_archE906ELNS1_3gpuE6ELNS1_3repE0EEENS1_52radix_sort_onesweep_histogram_config_static_selectorELNS0_4arch9wavefront6targetE1EEEvSC_,comdat
	.protected	_ZN7rocprim17ROCPRIM_400000_NS6detail17trampoline_kernelINS0_14default_configENS1_35radix_sort_onesweep_config_selectorIsNS0_10empty_typeEEEZNS1_34radix_sort_onesweep_global_offsetsIS3_Lb1EPsPS5_mNS0_19identity_decomposerEEE10hipError_tT1_T2_PT3_SE_jT4_jjP12ihipStream_tbEUlT_E0_NS1_11comp_targetILNS1_3genE2ELNS1_11target_archE906ELNS1_3gpuE6ELNS1_3repE0EEENS1_52radix_sort_onesweep_histogram_config_static_selectorELNS0_4arch9wavefront6targetE1EEEvSC_ ; -- Begin function _ZN7rocprim17ROCPRIM_400000_NS6detail17trampoline_kernelINS0_14default_configENS1_35radix_sort_onesweep_config_selectorIsNS0_10empty_typeEEEZNS1_34radix_sort_onesweep_global_offsetsIS3_Lb1EPsPS5_mNS0_19identity_decomposerEEE10hipError_tT1_T2_PT3_SE_jT4_jjP12ihipStream_tbEUlT_E0_NS1_11comp_targetILNS1_3genE2ELNS1_11target_archE906ELNS1_3gpuE6ELNS1_3repE0EEENS1_52radix_sort_onesweep_histogram_config_static_selectorELNS0_4arch9wavefront6targetE1EEEvSC_
	.globl	_ZN7rocprim17ROCPRIM_400000_NS6detail17trampoline_kernelINS0_14default_configENS1_35radix_sort_onesweep_config_selectorIsNS0_10empty_typeEEEZNS1_34radix_sort_onesweep_global_offsetsIS3_Lb1EPsPS5_mNS0_19identity_decomposerEEE10hipError_tT1_T2_PT3_SE_jT4_jjP12ihipStream_tbEUlT_E0_NS1_11comp_targetILNS1_3genE2ELNS1_11target_archE906ELNS1_3gpuE6ELNS1_3repE0EEENS1_52radix_sort_onesweep_histogram_config_static_selectorELNS0_4arch9wavefront6targetE1EEEvSC_
	.p2align	8
	.type	_ZN7rocprim17ROCPRIM_400000_NS6detail17trampoline_kernelINS0_14default_configENS1_35radix_sort_onesweep_config_selectorIsNS0_10empty_typeEEEZNS1_34radix_sort_onesweep_global_offsetsIS3_Lb1EPsPS5_mNS0_19identity_decomposerEEE10hipError_tT1_T2_PT3_SE_jT4_jjP12ihipStream_tbEUlT_E0_NS1_11comp_targetILNS1_3genE2ELNS1_11target_archE906ELNS1_3gpuE6ELNS1_3repE0EEENS1_52radix_sort_onesweep_histogram_config_static_selectorELNS0_4arch9wavefront6targetE1EEEvSC_,@function
_ZN7rocprim17ROCPRIM_400000_NS6detail17trampoline_kernelINS0_14default_configENS1_35radix_sort_onesweep_config_selectorIsNS0_10empty_typeEEEZNS1_34radix_sort_onesweep_global_offsetsIS3_Lb1EPsPS5_mNS0_19identity_decomposerEEE10hipError_tT1_T2_PT3_SE_jT4_jjP12ihipStream_tbEUlT_E0_NS1_11comp_targetILNS1_3genE2ELNS1_11target_archE906ELNS1_3gpuE6ELNS1_3repE0EEENS1_52radix_sort_onesweep_histogram_config_static_selectorELNS0_4arch9wavefront6targetE1EEEvSC_: ; @_ZN7rocprim17ROCPRIM_400000_NS6detail17trampoline_kernelINS0_14default_configENS1_35radix_sort_onesweep_config_selectorIsNS0_10empty_typeEEEZNS1_34radix_sort_onesweep_global_offsetsIS3_Lb1EPsPS5_mNS0_19identity_decomposerEEE10hipError_tT1_T2_PT3_SE_jT4_jjP12ihipStream_tbEUlT_E0_NS1_11comp_targetILNS1_3genE2ELNS1_11target_archE906ELNS1_3gpuE6ELNS1_3repE0EEENS1_52radix_sort_onesweep_histogram_config_static_selectorELNS0_4arch9wavefront6targetE1EEEvSC_
; %bb.0:
	.section	.rodata,"a",@progbits
	.p2align	6, 0x0
	.amdhsa_kernel _ZN7rocprim17ROCPRIM_400000_NS6detail17trampoline_kernelINS0_14default_configENS1_35radix_sort_onesweep_config_selectorIsNS0_10empty_typeEEEZNS1_34radix_sort_onesweep_global_offsetsIS3_Lb1EPsPS5_mNS0_19identity_decomposerEEE10hipError_tT1_T2_PT3_SE_jT4_jjP12ihipStream_tbEUlT_E0_NS1_11comp_targetILNS1_3genE2ELNS1_11target_archE906ELNS1_3gpuE6ELNS1_3repE0EEENS1_52radix_sort_onesweep_histogram_config_static_selectorELNS0_4arch9wavefront6targetE1EEEvSC_
		.amdhsa_group_segment_fixed_size 0
		.amdhsa_private_segment_fixed_size 0
		.amdhsa_kernarg_size 8
		.amdhsa_user_sgpr_count 6
		.amdhsa_user_sgpr_private_segment_buffer 1
		.amdhsa_user_sgpr_dispatch_ptr 0
		.amdhsa_user_sgpr_queue_ptr 0
		.amdhsa_user_sgpr_kernarg_segment_ptr 1
		.amdhsa_user_sgpr_dispatch_id 0
		.amdhsa_user_sgpr_flat_scratch_init 0
		.amdhsa_user_sgpr_kernarg_preload_length 0
		.amdhsa_user_sgpr_kernarg_preload_offset 0
		.amdhsa_user_sgpr_private_segment_size 0
		.amdhsa_uses_dynamic_stack 0
		.amdhsa_system_sgpr_private_segment_wavefront_offset 0
		.amdhsa_system_sgpr_workgroup_id_x 1
		.amdhsa_system_sgpr_workgroup_id_y 0
		.amdhsa_system_sgpr_workgroup_id_z 0
		.amdhsa_system_sgpr_workgroup_info 0
		.amdhsa_system_vgpr_workitem_id 0
		.amdhsa_next_free_vgpr 1
		.amdhsa_next_free_sgpr 0
		.amdhsa_accum_offset 4
		.amdhsa_reserve_vcc 0
		.amdhsa_reserve_flat_scratch 0
		.amdhsa_float_round_mode_32 0
		.amdhsa_float_round_mode_16_64 0
		.amdhsa_float_denorm_mode_32 3
		.amdhsa_float_denorm_mode_16_64 3
		.amdhsa_dx10_clamp 1
		.amdhsa_ieee_mode 1
		.amdhsa_fp16_overflow 0
		.amdhsa_tg_split 0
		.amdhsa_exception_fp_ieee_invalid_op 0
		.amdhsa_exception_fp_denorm_src 0
		.amdhsa_exception_fp_ieee_div_zero 0
		.amdhsa_exception_fp_ieee_overflow 0
		.amdhsa_exception_fp_ieee_underflow 0
		.amdhsa_exception_fp_ieee_inexact 0
		.amdhsa_exception_int_div_zero 0
	.end_amdhsa_kernel
	.section	.text._ZN7rocprim17ROCPRIM_400000_NS6detail17trampoline_kernelINS0_14default_configENS1_35radix_sort_onesweep_config_selectorIsNS0_10empty_typeEEEZNS1_34radix_sort_onesweep_global_offsetsIS3_Lb1EPsPS5_mNS0_19identity_decomposerEEE10hipError_tT1_T2_PT3_SE_jT4_jjP12ihipStream_tbEUlT_E0_NS1_11comp_targetILNS1_3genE2ELNS1_11target_archE906ELNS1_3gpuE6ELNS1_3repE0EEENS1_52radix_sort_onesweep_histogram_config_static_selectorELNS0_4arch9wavefront6targetE1EEEvSC_,"axG",@progbits,_ZN7rocprim17ROCPRIM_400000_NS6detail17trampoline_kernelINS0_14default_configENS1_35radix_sort_onesweep_config_selectorIsNS0_10empty_typeEEEZNS1_34radix_sort_onesweep_global_offsetsIS3_Lb1EPsPS5_mNS0_19identity_decomposerEEE10hipError_tT1_T2_PT3_SE_jT4_jjP12ihipStream_tbEUlT_E0_NS1_11comp_targetILNS1_3genE2ELNS1_11target_archE906ELNS1_3gpuE6ELNS1_3repE0EEENS1_52radix_sort_onesweep_histogram_config_static_selectorELNS0_4arch9wavefront6targetE1EEEvSC_,comdat
.Lfunc_end1820:
	.size	_ZN7rocprim17ROCPRIM_400000_NS6detail17trampoline_kernelINS0_14default_configENS1_35radix_sort_onesweep_config_selectorIsNS0_10empty_typeEEEZNS1_34radix_sort_onesweep_global_offsetsIS3_Lb1EPsPS5_mNS0_19identity_decomposerEEE10hipError_tT1_T2_PT3_SE_jT4_jjP12ihipStream_tbEUlT_E0_NS1_11comp_targetILNS1_3genE2ELNS1_11target_archE906ELNS1_3gpuE6ELNS1_3repE0EEENS1_52radix_sort_onesweep_histogram_config_static_selectorELNS0_4arch9wavefront6targetE1EEEvSC_, .Lfunc_end1820-_ZN7rocprim17ROCPRIM_400000_NS6detail17trampoline_kernelINS0_14default_configENS1_35radix_sort_onesweep_config_selectorIsNS0_10empty_typeEEEZNS1_34radix_sort_onesweep_global_offsetsIS3_Lb1EPsPS5_mNS0_19identity_decomposerEEE10hipError_tT1_T2_PT3_SE_jT4_jjP12ihipStream_tbEUlT_E0_NS1_11comp_targetILNS1_3genE2ELNS1_11target_archE906ELNS1_3gpuE6ELNS1_3repE0EEENS1_52radix_sort_onesweep_histogram_config_static_selectorELNS0_4arch9wavefront6targetE1EEEvSC_
                                        ; -- End function
	.section	.AMDGPU.csdata,"",@progbits
; Kernel info:
; codeLenInByte = 0
; NumSgprs: 4
; NumVgprs: 0
; NumAgprs: 0
; TotalNumVgprs: 0
; ScratchSize: 0
; MemoryBound: 0
; FloatMode: 240
; IeeeMode: 1
; LDSByteSize: 0 bytes/workgroup (compile time only)
; SGPRBlocks: 0
; VGPRBlocks: 0
; NumSGPRsForWavesPerEU: 4
; NumVGPRsForWavesPerEU: 1
; AccumOffset: 4
; Occupancy: 8
; WaveLimiterHint : 0
; COMPUTE_PGM_RSRC2:SCRATCH_EN: 0
; COMPUTE_PGM_RSRC2:USER_SGPR: 6
; COMPUTE_PGM_RSRC2:TRAP_HANDLER: 0
; COMPUTE_PGM_RSRC2:TGID_X_EN: 1
; COMPUTE_PGM_RSRC2:TGID_Y_EN: 0
; COMPUTE_PGM_RSRC2:TGID_Z_EN: 0
; COMPUTE_PGM_RSRC2:TIDIG_COMP_CNT: 0
; COMPUTE_PGM_RSRC3_GFX90A:ACCUM_OFFSET: 0
; COMPUTE_PGM_RSRC3_GFX90A:TG_SPLIT: 0
	.section	.text._ZN7rocprim17ROCPRIM_400000_NS6detail17trampoline_kernelINS0_14default_configENS1_35radix_sort_onesweep_config_selectorIsNS0_10empty_typeEEEZNS1_34radix_sort_onesweep_global_offsetsIS3_Lb1EPsPS5_mNS0_19identity_decomposerEEE10hipError_tT1_T2_PT3_SE_jT4_jjP12ihipStream_tbEUlT_E0_NS1_11comp_targetILNS1_3genE4ELNS1_11target_archE910ELNS1_3gpuE8ELNS1_3repE0EEENS1_52radix_sort_onesweep_histogram_config_static_selectorELNS0_4arch9wavefront6targetE1EEEvSC_,"axG",@progbits,_ZN7rocprim17ROCPRIM_400000_NS6detail17trampoline_kernelINS0_14default_configENS1_35radix_sort_onesweep_config_selectorIsNS0_10empty_typeEEEZNS1_34radix_sort_onesweep_global_offsetsIS3_Lb1EPsPS5_mNS0_19identity_decomposerEEE10hipError_tT1_T2_PT3_SE_jT4_jjP12ihipStream_tbEUlT_E0_NS1_11comp_targetILNS1_3genE4ELNS1_11target_archE910ELNS1_3gpuE8ELNS1_3repE0EEENS1_52radix_sort_onesweep_histogram_config_static_selectorELNS0_4arch9wavefront6targetE1EEEvSC_,comdat
	.protected	_ZN7rocprim17ROCPRIM_400000_NS6detail17trampoline_kernelINS0_14default_configENS1_35radix_sort_onesweep_config_selectorIsNS0_10empty_typeEEEZNS1_34radix_sort_onesweep_global_offsetsIS3_Lb1EPsPS5_mNS0_19identity_decomposerEEE10hipError_tT1_T2_PT3_SE_jT4_jjP12ihipStream_tbEUlT_E0_NS1_11comp_targetILNS1_3genE4ELNS1_11target_archE910ELNS1_3gpuE8ELNS1_3repE0EEENS1_52radix_sort_onesweep_histogram_config_static_selectorELNS0_4arch9wavefront6targetE1EEEvSC_ ; -- Begin function _ZN7rocprim17ROCPRIM_400000_NS6detail17trampoline_kernelINS0_14default_configENS1_35radix_sort_onesweep_config_selectorIsNS0_10empty_typeEEEZNS1_34radix_sort_onesweep_global_offsetsIS3_Lb1EPsPS5_mNS0_19identity_decomposerEEE10hipError_tT1_T2_PT3_SE_jT4_jjP12ihipStream_tbEUlT_E0_NS1_11comp_targetILNS1_3genE4ELNS1_11target_archE910ELNS1_3gpuE8ELNS1_3repE0EEENS1_52radix_sort_onesweep_histogram_config_static_selectorELNS0_4arch9wavefront6targetE1EEEvSC_
	.globl	_ZN7rocprim17ROCPRIM_400000_NS6detail17trampoline_kernelINS0_14default_configENS1_35radix_sort_onesweep_config_selectorIsNS0_10empty_typeEEEZNS1_34radix_sort_onesweep_global_offsetsIS3_Lb1EPsPS5_mNS0_19identity_decomposerEEE10hipError_tT1_T2_PT3_SE_jT4_jjP12ihipStream_tbEUlT_E0_NS1_11comp_targetILNS1_3genE4ELNS1_11target_archE910ELNS1_3gpuE8ELNS1_3repE0EEENS1_52radix_sort_onesweep_histogram_config_static_selectorELNS0_4arch9wavefront6targetE1EEEvSC_
	.p2align	8
	.type	_ZN7rocprim17ROCPRIM_400000_NS6detail17trampoline_kernelINS0_14default_configENS1_35radix_sort_onesweep_config_selectorIsNS0_10empty_typeEEEZNS1_34radix_sort_onesweep_global_offsetsIS3_Lb1EPsPS5_mNS0_19identity_decomposerEEE10hipError_tT1_T2_PT3_SE_jT4_jjP12ihipStream_tbEUlT_E0_NS1_11comp_targetILNS1_3genE4ELNS1_11target_archE910ELNS1_3gpuE8ELNS1_3repE0EEENS1_52radix_sort_onesweep_histogram_config_static_selectorELNS0_4arch9wavefront6targetE1EEEvSC_,@function
_ZN7rocprim17ROCPRIM_400000_NS6detail17trampoline_kernelINS0_14default_configENS1_35radix_sort_onesweep_config_selectorIsNS0_10empty_typeEEEZNS1_34radix_sort_onesweep_global_offsetsIS3_Lb1EPsPS5_mNS0_19identity_decomposerEEE10hipError_tT1_T2_PT3_SE_jT4_jjP12ihipStream_tbEUlT_E0_NS1_11comp_targetILNS1_3genE4ELNS1_11target_archE910ELNS1_3gpuE8ELNS1_3repE0EEENS1_52radix_sort_onesweep_histogram_config_static_selectorELNS0_4arch9wavefront6targetE1EEEvSC_: ; @_ZN7rocprim17ROCPRIM_400000_NS6detail17trampoline_kernelINS0_14default_configENS1_35radix_sort_onesweep_config_selectorIsNS0_10empty_typeEEEZNS1_34radix_sort_onesweep_global_offsetsIS3_Lb1EPsPS5_mNS0_19identity_decomposerEEE10hipError_tT1_T2_PT3_SE_jT4_jjP12ihipStream_tbEUlT_E0_NS1_11comp_targetILNS1_3genE4ELNS1_11target_archE910ELNS1_3gpuE8ELNS1_3repE0EEENS1_52radix_sort_onesweep_histogram_config_static_selectorELNS0_4arch9wavefront6targetE1EEEvSC_
; %bb.0:
	s_load_dwordx2 s[0:1], s[4:5], 0x0
	s_lshl_b32 s2, s6, 8
	s_mov_b32 s3, 0
	s_lshl_b64 s[2:3], s[2:3], 3
	v_lshlrev_b32_e32 v5, 3, v0
	s_waitcnt lgkmcnt(0)
	s_add_u32 s14, s0, s2
	s_movk_i32 s0, 0x100
	s_addc_u32 s15, s1, s3
	v_cmp_gt_u32_e32 vcc, s0, v0
                                        ; implicit-def: $vgpr2_vgpr3
	s_and_saveexec_b64 s[0:1], vcc
	s_cbranch_execz .LBB1821_2
; %bb.1:
	global_load_dwordx2 v[2:3], v5, s[14:15]
.LBB1821_2:
	s_or_b64 exec, exec, s[0:1]
	s_waitcnt vmcnt(0)
	v_mov_b32_dpp v4, v2 row_shr:1 row_mask:0xf bank_mask:0xf
	v_add_co_u32_e64 v4, s[0:1], v2, v4
	v_mbcnt_lo_u32_b32 v1, -1, 0
	v_addc_co_u32_e64 v8, s[0:1], 0, v3, s[0:1]
	v_mbcnt_hi_u32_b32 v6, -1, v1
	v_mov_b32_dpp v7, v3 row_shr:1 row_mask:0xf bank_mask:0xf
	v_add_co_u32_e64 v9, s[0:1], 0, v4
	v_and_b32_e32 v1, 15, v6
	v_addc_co_u32_e64 v7, s[0:1], v7, v8, s[0:1]
	v_cmp_eq_u32_e64 s[0:1], 0, v1
	v_cndmask_b32_e64 v4, v4, v2, s[0:1]
	v_cndmask_b32_e64 v7, v7, v3, s[0:1]
	v_cndmask_b32_e64 v8, v9, v2, s[0:1]
	v_mov_b32_dpp v9, v4 row_shr:2 row_mask:0xf bank_mask:0xf
	v_mov_b32_dpp v10, v7 row_shr:2 row_mask:0xf bank_mask:0xf
	v_add_co_u32_e64 v9, s[2:3], v9, v8
	v_cmp_lt_u32_e64 s[4:5], 1, v1
	v_addc_co_u32_e64 v10, s[2:3], v10, v7, s[2:3]
	v_cndmask_b32_e64 v4, v4, v9, s[4:5]
	v_cndmask_b32_e64 v7, v7, v10, s[4:5]
	v_cndmask_b32_e64 v8, v8, v9, s[4:5]
	v_mov_b32_dpp v9, v4 row_shr:4 row_mask:0xf bank_mask:0xf
	v_mov_b32_dpp v10, v7 row_shr:4 row_mask:0xf bank_mask:0xf
	v_add_co_u32_e64 v9, s[2:3], v9, v8
	v_cmp_lt_u32_e64 s[6:7], 3, v1
	v_addc_co_u32_e64 v10, s[2:3], v10, v7, s[2:3]
	;; [unrolled: 8-line block ×3, first 2 shown]
	v_cndmask_b32_e64 v11, v4, v9, s[8:9]
	v_cndmask_b32_e64 v1, v7, v10, s[8:9]
	;; [unrolled: 1-line block ×3, first 2 shown]
	v_mov_b32_dpp v7, v11 row_bcast:15 row_mask:0xf bank_mask:0xf
	v_mov_b32_dpp v8, v1 row_bcast:15 row_mask:0xf bank_mask:0xf
	v_and_b32_e32 v10, 16, v6
	v_add_co_u32_e64 v7, s[2:3], v7, v4
	v_addc_co_u32_e64 v9, s[2:3], v8, v1, s[2:3]
	v_cmp_eq_u32_e64 s[10:11], 0, v10
	v_cndmask_b32_e64 v10, v9, v1, s[10:11]
	v_cndmask_b32_e64 v8, v7, v11, s[10:11]
	v_cmp_eq_u32_e64 s[2:3], 0, v6
	v_mov_b32_dpp v10, v10 row_bcast:31 row_mask:0xf bank_mask:0xf
	v_mov_b32_dpp v8, v8 row_bcast:31 row_mask:0xf bank_mask:0xf
	v_cmp_ne_u32_e64 s[12:13], 0, v6
	s_and_saveexec_b64 s[16:17], s[12:13]
; %bb.3:
	v_cndmask_b32_e64 v1, v9, v1, s[10:11]
	v_cndmask_b32_e64 v2, v7, v4, s[10:11]
	v_cmp_lt_u32_e64 s[10:11], 31, v6
	v_cndmask_b32_e64 v4, 0, v8, s[10:11]
	v_cndmask_b32_e64 v3, 0, v10, s[10:11]
	v_add_co_u32_e64 v2, s[10:11], v4, v2
	v_addc_co_u32_e64 v3, s[10:11], v3, v1, s[10:11]
; %bb.4:
	s_or_b64 exec, exec, s[16:17]
	v_and_b32_e32 v1, 63, v0
	v_lshrrev_b32_e32 v4, 6, v0
	v_cmp_eq_u32_e64 s[10:11], 63, v1
	s_and_saveexec_b64 s[12:13], s[10:11]
	s_cbranch_execz .LBB1821_6
; %bb.5:
	v_lshlrev_b32_e32 v1, 3, v4
	ds_write_b64 v1, v[2:3]
.LBB1821_6:
	s_or_b64 exec, exec, s[12:13]
	v_cmp_gt_u32_e64 s[10:11], 16, v0
	s_waitcnt lgkmcnt(0)
	s_barrier
	s_and_saveexec_b64 s[12:13], s[10:11]
	s_cbranch_execz .LBB1821_8
; %bb.7:
	ds_read_b64 v[8:9], v5
	s_waitcnt lgkmcnt(0)
	s_nop 0
	v_mov_b32_dpp v1, v8 row_shr:1 row_mask:0xf bank_mask:0xf
	v_add_co_u32_e64 v1, s[10:11], v8, v1
	v_addc_co_u32_e64 v10, s[10:11], 0, v9, s[10:11]
	v_mov_b32_dpp v7, v9 row_shr:1 row_mask:0xf bank_mask:0xf
	v_add_co_u32_e64 v11, s[10:11], 0, v1
	v_addc_co_u32_e64 v7, s[10:11], v7, v10, s[10:11]
	v_cndmask_b32_e64 v1, v1, v8, s[0:1]
	v_cndmask_b32_e64 v7, v7, v9, s[0:1]
	v_cndmask_b32_e64 v10, v11, v8, s[0:1]
	v_mov_b32_dpp v11, v1 row_shr:2 row_mask:0xf bank_mask:0xf
	v_mov_b32_dpp v12, v7 row_shr:2 row_mask:0xf bank_mask:0xf
	v_add_co_u32_e64 v11, s[10:11], v11, v10
	v_addc_co_u32_e64 v12, s[10:11], v12, v7, s[10:11]
	v_cndmask_b32_e64 v1, v1, v11, s[4:5]
	v_cndmask_b32_e64 v7, v7, v12, s[4:5]
	v_cndmask_b32_e64 v10, v10, v11, s[4:5]
	v_mov_b32_dpp v11, v1 row_shr:4 row_mask:0xf bank_mask:0xf
	;; [unrolled: 7-line block ×3, first 2 shown]
	v_mov_b32_dpp v12, v7 row_shr:8 row_mask:0xf bank_mask:0xf
	v_cndmask_b32_e64 v1, 0, v1, s[8:9]
	v_cndmask_b32_e64 v11, 0, v12, s[8:9]
	v_add_co_u32_e64 v1, s[4:5], v1, v10
	v_addc_co_u32_e64 v7, s[4:5], v11, v7, s[4:5]
	v_cndmask_b32_e64 v9, v7, v9, s[0:1]
	v_cndmask_b32_e64 v8, v1, v8, s[0:1]
	ds_write_b64 v5, v[8:9]
.LBB1821_8:
	s_or_b64 exec, exec, s[12:13]
	v_cmp_lt_u32_e64 s[0:1], 63, v0
	v_pk_mov_b32 v[0:1], 0, 0
	s_waitcnt lgkmcnt(0)
	s_barrier
	s_and_saveexec_b64 s[4:5], s[0:1]
	s_cbranch_execz .LBB1821_10
; %bb.9:
	v_lshl_add_u32 v0, v4, 3, -8
	ds_read_b64 v[0:1], v0
.LBB1821_10:
	s_or_b64 exec, exec, s[4:5]
	s_waitcnt lgkmcnt(0)
	v_add_co_u32_e64 v2, s[0:1], v0, v2
	v_addc_co_u32_e64 v3, s[0:1], v1, v3, s[0:1]
	v_add_u32_e32 v4, -1, v6
	v_and_b32_e32 v7, 64, v6
	v_cmp_lt_i32_e64 s[0:1], v4, v7
	v_cndmask_b32_e64 v4, v4, v6, s[0:1]
	v_lshlrev_b32_e32 v4, 2, v4
	ds_bpermute_b32 v2, v4, v2
	ds_bpermute_b32 v3, v4, v3
	s_and_saveexec_b64 s[0:1], vcc
	s_cbranch_execz .LBB1821_12
; %bb.11:
	s_waitcnt lgkmcnt(0)
	v_cndmask_b32_e64 v1, v3, v1, s[2:3]
	v_cndmask_b32_e64 v0, v2, v0, s[2:3]
	global_store_dwordx2 v5, v[0:1], s[14:15]
.LBB1821_12:
	s_endpgm
	.section	.rodata,"a",@progbits
	.p2align	6, 0x0
	.amdhsa_kernel _ZN7rocprim17ROCPRIM_400000_NS6detail17trampoline_kernelINS0_14default_configENS1_35radix_sort_onesweep_config_selectorIsNS0_10empty_typeEEEZNS1_34radix_sort_onesweep_global_offsetsIS3_Lb1EPsPS5_mNS0_19identity_decomposerEEE10hipError_tT1_T2_PT3_SE_jT4_jjP12ihipStream_tbEUlT_E0_NS1_11comp_targetILNS1_3genE4ELNS1_11target_archE910ELNS1_3gpuE8ELNS1_3repE0EEENS1_52radix_sort_onesweep_histogram_config_static_selectorELNS0_4arch9wavefront6targetE1EEEvSC_
		.amdhsa_group_segment_fixed_size 128
		.amdhsa_private_segment_fixed_size 0
		.amdhsa_kernarg_size 8
		.amdhsa_user_sgpr_count 6
		.amdhsa_user_sgpr_private_segment_buffer 1
		.amdhsa_user_sgpr_dispatch_ptr 0
		.amdhsa_user_sgpr_queue_ptr 0
		.amdhsa_user_sgpr_kernarg_segment_ptr 1
		.amdhsa_user_sgpr_dispatch_id 0
		.amdhsa_user_sgpr_flat_scratch_init 0
		.amdhsa_user_sgpr_kernarg_preload_length 0
		.amdhsa_user_sgpr_kernarg_preload_offset 0
		.amdhsa_user_sgpr_private_segment_size 0
		.amdhsa_uses_dynamic_stack 0
		.amdhsa_system_sgpr_private_segment_wavefront_offset 0
		.amdhsa_system_sgpr_workgroup_id_x 1
		.amdhsa_system_sgpr_workgroup_id_y 0
		.amdhsa_system_sgpr_workgroup_id_z 0
		.amdhsa_system_sgpr_workgroup_info 0
		.amdhsa_system_vgpr_workitem_id 0
		.amdhsa_next_free_vgpr 13
		.amdhsa_next_free_sgpr 18
		.amdhsa_accum_offset 16
		.amdhsa_reserve_vcc 1
		.amdhsa_reserve_flat_scratch 0
		.amdhsa_float_round_mode_32 0
		.amdhsa_float_round_mode_16_64 0
		.amdhsa_float_denorm_mode_32 3
		.amdhsa_float_denorm_mode_16_64 3
		.amdhsa_dx10_clamp 1
		.amdhsa_ieee_mode 1
		.amdhsa_fp16_overflow 0
		.amdhsa_tg_split 0
		.amdhsa_exception_fp_ieee_invalid_op 0
		.amdhsa_exception_fp_denorm_src 0
		.amdhsa_exception_fp_ieee_div_zero 0
		.amdhsa_exception_fp_ieee_overflow 0
		.amdhsa_exception_fp_ieee_underflow 0
		.amdhsa_exception_fp_ieee_inexact 0
		.amdhsa_exception_int_div_zero 0
	.end_amdhsa_kernel
	.section	.text._ZN7rocprim17ROCPRIM_400000_NS6detail17trampoline_kernelINS0_14default_configENS1_35radix_sort_onesweep_config_selectorIsNS0_10empty_typeEEEZNS1_34radix_sort_onesweep_global_offsetsIS3_Lb1EPsPS5_mNS0_19identity_decomposerEEE10hipError_tT1_T2_PT3_SE_jT4_jjP12ihipStream_tbEUlT_E0_NS1_11comp_targetILNS1_3genE4ELNS1_11target_archE910ELNS1_3gpuE8ELNS1_3repE0EEENS1_52radix_sort_onesweep_histogram_config_static_selectorELNS0_4arch9wavefront6targetE1EEEvSC_,"axG",@progbits,_ZN7rocprim17ROCPRIM_400000_NS6detail17trampoline_kernelINS0_14default_configENS1_35radix_sort_onesweep_config_selectorIsNS0_10empty_typeEEEZNS1_34radix_sort_onesweep_global_offsetsIS3_Lb1EPsPS5_mNS0_19identity_decomposerEEE10hipError_tT1_T2_PT3_SE_jT4_jjP12ihipStream_tbEUlT_E0_NS1_11comp_targetILNS1_3genE4ELNS1_11target_archE910ELNS1_3gpuE8ELNS1_3repE0EEENS1_52radix_sort_onesweep_histogram_config_static_selectorELNS0_4arch9wavefront6targetE1EEEvSC_,comdat
.Lfunc_end1821:
	.size	_ZN7rocprim17ROCPRIM_400000_NS6detail17trampoline_kernelINS0_14default_configENS1_35radix_sort_onesweep_config_selectorIsNS0_10empty_typeEEEZNS1_34radix_sort_onesweep_global_offsetsIS3_Lb1EPsPS5_mNS0_19identity_decomposerEEE10hipError_tT1_T2_PT3_SE_jT4_jjP12ihipStream_tbEUlT_E0_NS1_11comp_targetILNS1_3genE4ELNS1_11target_archE910ELNS1_3gpuE8ELNS1_3repE0EEENS1_52radix_sort_onesweep_histogram_config_static_selectorELNS0_4arch9wavefront6targetE1EEEvSC_, .Lfunc_end1821-_ZN7rocprim17ROCPRIM_400000_NS6detail17trampoline_kernelINS0_14default_configENS1_35radix_sort_onesweep_config_selectorIsNS0_10empty_typeEEEZNS1_34radix_sort_onesweep_global_offsetsIS3_Lb1EPsPS5_mNS0_19identity_decomposerEEE10hipError_tT1_T2_PT3_SE_jT4_jjP12ihipStream_tbEUlT_E0_NS1_11comp_targetILNS1_3genE4ELNS1_11target_archE910ELNS1_3gpuE8ELNS1_3repE0EEENS1_52radix_sort_onesweep_histogram_config_static_selectorELNS0_4arch9wavefront6targetE1EEEvSC_
                                        ; -- End function
	.section	.AMDGPU.csdata,"",@progbits
; Kernel info:
; codeLenInByte = 1012
; NumSgprs: 22
; NumVgprs: 13
; NumAgprs: 0
; TotalNumVgprs: 13
; ScratchSize: 0
; MemoryBound: 0
; FloatMode: 240
; IeeeMode: 1
; LDSByteSize: 128 bytes/workgroup (compile time only)
; SGPRBlocks: 2
; VGPRBlocks: 1
; NumSGPRsForWavesPerEU: 22
; NumVGPRsForWavesPerEU: 13
; AccumOffset: 16
; Occupancy: 8
; WaveLimiterHint : 0
; COMPUTE_PGM_RSRC2:SCRATCH_EN: 0
; COMPUTE_PGM_RSRC2:USER_SGPR: 6
; COMPUTE_PGM_RSRC2:TRAP_HANDLER: 0
; COMPUTE_PGM_RSRC2:TGID_X_EN: 1
; COMPUTE_PGM_RSRC2:TGID_Y_EN: 0
; COMPUTE_PGM_RSRC2:TGID_Z_EN: 0
; COMPUTE_PGM_RSRC2:TIDIG_COMP_CNT: 0
; COMPUTE_PGM_RSRC3_GFX90A:ACCUM_OFFSET: 3
; COMPUTE_PGM_RSRC3_GFX90A:TG_SPLIT: 0
	.section	.text._ZN7rocprim17ROCPRIM_400000_NS6detail17trampoline_kernelINS0_14default_configENS1_35radix_sort_onesweep_config_selectorIsNS0_10empty_typeEEEZNS1_34radix_sort_onesweep_global_offsetsIS3_Lb1EPsPS5_mNS0_19identity_decomposerEEE10hipError_tT1_T2_PT3_SE_jT4_jjP12ihipStream_tbEUlT_E0_NS1_11comp_targetILNS1_3genE3ELNS1_11target_archE908ELNS1_3gpuE7ELNS1_3repE0EEENS1_52radix_sort_onesweep_histogram_config_static_selectorELNS0_4arch9wavefront6targetE1EEEvSC_,"axG",@progbits,_ZN7rocprim17ROCPRIM_400000_NS6detail17trampoline_kernelINS0_14default_configENS1_35radix_sort_onesweep_config_selectorIsNS0_10empty_typeEEEZNS1_34radix_sort_onesweep_global_offsetsIS3_Lb1EPsPS5_mNS0_19identity_decomposerEEE10hipError_tT1_T2_PT3_SE_jT4_jjP12ihipStream_tbEUlT_E0_NS1_11comp_targetILNS1_3genE3ELNS1_11target_archE908ELNS1_3gpuE7ELNS1_3repE0EEENS1_52radix_sort_onesweep_histogram_config_static_selectorELNS0_4arch9wavefront6targetE1EEEvSC_,comdat
	.protected	_ZN7rocprim17ROCPRIM_400000_NS6detail17trampoline_kernelINS0_14default_configENS1_35radix_sort_onesweep_config_selectorIsNS0_10empty_typeEEEZNS1_34radix_sort_onesweep_global_offsetsIS3_Lb1EPsPS5_mNS0_19identity_decomposerEEE10hipError_tT1_T2_PT3_SE_jT4_jjP12ihipStream_tbEUlT_E0_NS1_11comp_targetILNS1_3genE3ELNS1_11target_archE908ELNS1_3gpuE7ELNS1_3repE0EEENS1_52radix_sort_onesweep_histogram_config_static_selectorELNS0_4arch9wavefront6targetE1EEEvSC_ ; -- Begin function _ZN7rocprim17ROCPRIM_400000_NS6detail17trampoline_kernelINS0_14default_configENS1_35radix_sort_onesweep_config_selectorIsNS0_10empty_typeEEEZNS1_34radix_sort_onesweep_global_offsetsIS3_Lb1EPsPS5_mNS0_19identity_decomposerEEE10hipError_tT1_T2_PT3_SE_jT4_jjP12ihipStream_tbEUlT_E0_NS1_11comp_targetILNS1_3genE3ELNS1_11target_archE908ELNS1_3gpuE7ELNS1_3repE0EEENS1_52radix_sort_onesweep_histogram_config_static_selectorELNS0_4arch9wavefront6targetE1EEEvSC_
	.globl	_ZN7rocprim17ROCPRIM_400000_NS6detail17trampoline_kernelINS0_14default_configENS1_35radix_sort_onesweep_config_selectorIsNS0_10empty_typeEEEZNS1_34radix_sort_onesweep_global_offsetsIS3_Lb1EPsPS5_mNS0_19identity_decomposerEEE10hipError_tT1_T2_PT3_SE_jT4_jjP12ihipStream_tbEUlT_E0_NS1_11comp_targetILNS1_3genE3ELNS1_11target_archE908ELNS1_3gpuE7ELNS1_3repE0EEENS1_52radix_sort_onesweep_histogram_config_static_selectorELNS0_4arch9wavefront6targetE1EEEvSC_
	.p2align	8
	.type	_ZN7rocprim17ROCPRIM_400000_NS6detail17trampoline_kernelINS0_14default_configENS1_35radix_sort_onesweep_config_selectorIsNS0_10empty_typeEEEZNS1_34radix_sort_onesweep_global_offsetsIS3_Lb1EPsPS5_mNS0_19identity_decomposerEEE10hipError_tT1_T2_PT3_SE_jT4_jjP12ihipStream_tbEUlT_E0_NS1_11comp_targetILNS1_3genE3ELNS1_11target_archE908ELNS1_3gpuE7ELNS1_3repE0EEENS1_52radix_sort_onesweep_histogram_config_static_selectorELNS0_4arch9wavefront6targetE1EEEvSC_,@function
_ZN7rocprim17ROCPRIM_400000_NS6detail17trampoline_kernelINS0_14default_configENS1_35radix_sort_onesweep_config_selectorIsNS0_10empty_typeEEEZNS1_34radix_sort_onesweep_global_offsetsIS3_Lb1EPsPS5_mNS0_19identity_decomposerEEE10hipError_tT1_T2_PT3_SE_jT4_jjP12ihipStream_tbEUlT_E0_NS1_11comp_targetILNS1_3genE3ELNS1_11target_archE908ELNS1_3gpuE7ELNS1_3repE0EEENS1_52radix_sort_onesweep_histogram_config_static_selectorELNS0_4arch9wavefront6targetE1EEEvSC_: ; @_ZN7rocprim17ROCPRIM_400000_NS6detail17trampoline_kernelINS0_14default_configENS1_35radix_sort_onesweep_config_selectorIsNS0_10empty_typeEEEZNS1_34radix_sort_onesweep_global_offsetsIS3_Lb1EPsPS5_mNS0_19identity_decomposerEEE10hipError_tT1_T2_PT3_SE_jT4_jjP12ihipStream_tbEUlT_E0_NS1_11comp_targetILNS1_3genE3ELNS1_11target_archE908ELNS1_3gpuE7ELNS1_3repE0EEENS1_52radix_sort_onesweep_histogram_config_static_selectorELNS0_4arch9wavefront6targetE1EEEvSC_
; %bb.0:
	.section	.rodata,"a",@progbits
	.p2align	6, 0x0
	.amdhsa_kernel _ZN7rocprim17ROCPRIM_400000_NS6detail17trampoline_kernelINS0_14default_configENS1_35radix_sort_onesweep_config_selectorIsNS0_10empty_typeEEEZNS1_34radix_sort_onesweep_global_offsetsIS3_Lb1EPsPS5_mNS0_19identity_decomposerEEE10hipError_tT1_T2_PT3_SE_jT4_jjP12ihipStream_tbEUlT_E0_NS1_11comp_targetILNS1_3genE3ELNS1_11target_archE908ELNS1_3gpuE7ELNS1_3repE0EEENS1_52radix_sort_onesweep_histogram_config_static_selectorELNS0_4arch9wavefront6targetE1EEEvSC_
		.amdhsa_group_segment_fixed_size 0
		.amdhsa_private_segment_fixed_size 0
		.amdhsa_kernarg_size 8
		.amdhsa_user_sgpr_count 6
		.amdhsa_user_sgpr_private_segment_buffer 1
		.amdhsa_user_sgpr_dispatch_ptr 0
		.amdhsa_user_sgpr_queue_ptr 0
		.amdhsa_user_sgpr_kernarg_segment_ptr 1
		.amdhsa_user_sgpr_dispatch_id 0
		.amdhsa_user_sgpr_flat_scratch_init 0
		.amdhsa_user_sgpr_kernarg_preload_length 0
		.amdhsa_user_sgpr_kernarg_preload_offset 0
		.amdhsa_user_sgpr_private_segment_size 0
		.amdhsa_uses_dynamic_stack 0
		.amdhsa_system_sgpr_private_segment_wavefront_offset 0
		.amdhsa_system_sgpr_workgroup_id_x 1
		.amdhsa_system_sgpr_workgroup_id_y 0
		.amdhsa_system_sgpr_workgroup_id_z 0
		.amdhsa_system_sgpr_workgroup_info 0
		.amdhsa_system_vgpr_workitem_id 0
		.amdhsa_next_free_vgpr 1
		.amdhsa_next_free_sgpr 0
		.amdhsa_accum_offset 4
		.amdhsa_reserve_vcc 0
		.amdhsa_reserve_flat_scratch 0
		.amdhsa_float_round_mode_32 0
		.amdhsa_float_round_mode_16_64 0
		.amdhsa_float_denorm_mode_32 3
		.amdhsa_float_denorm_mode_16_64 3
		.amdhsa_dx10_clamp 1
		.amdhsa_ieee_mode 1
		.amdhsa_fp16_overflow 0
		.amdhsa_tg_split 0
		.amdhsa_exception_fp_ieee_invalid_op 0
		.amdhsa_exception_fp_denorm_src 0
		.amdhsa_exception_fp_ieee_div_zero 0
		.amdhsa_exception_fp_ieee_overflow 0
		.amdhsa_exception_fp_ieee_underflow 0
		.amdhsa_exception_fp_ieee_inexact 0
		.amdhsa_exception_int_div_zero 0
	.end_amdhsa_kernel
	.section	.text._ZN7rocprim17ROCPRIM_400000_NS6detail17trampoline_kernelINS0_14default_configENS1_35radix_sort_onesweep_config_selectorIsNS0_10empty_typeEEEZNS1_34radix_sort_onesweep_global_offsetsIS3_Lb1EPsPS5_mNS0_19identity_decomposerEEE10hipError_tT1_T2_PT3_SE_jT4_jjP12ihipStream_tbEUlT_E0_NS1_11comp_targetILNS1_3genE3ELNS1_11target_archE908ELNS1_3gpuE7ELNS1_3repE0EEENS1_52radix_sort_onesweep_histogram_config_static_selectorELNS0_4arch9wavefront6targetE1EEEvSC_,"axG",@progbits,_ZN7rocprim17ROCPRIM_400000_NS6detail17trampoline_kernelINS0_14default_configENS1_35radix_sort_onesweep_config_selectorIsNS0_10empty_typeEEEZNS1_34radix_sort_onesweep_global_offsetsIS3_Lb1EPsPS5_mNS0_19identity_decomposerEEE10hipError_tT1_T2_PT3_SE_jT4_jjP12ihipStream_tbEUlT_E0_NS1_11comp_targetILNS1_3genE3ELNS1_11target_archE908ELNS1_3gpuE7ELNS1_3repE0EEENS1_52radix_sort_onesweep_histogram_config_static_selectorELNS0_4arch9wavefront6targetE1EEEvSC_,comdat
.Lfunc_end1822:
	.size	_ZN7rocprim17ROCPRIM_400000_NS6detail17trampoline_kernelINS0_14default_configENS1_35radix_sort_onesweep_config_selectorIsNS0_10empty_typeEEEZNS1_34radix_sort_onesweep_global_offsetsIS3_Lb1EPsPS5_mNS0_19identity_decomposerEEE10hipError_tT1_T2_PT3_SE_jT4_jjP12ihipStream_tbEUlT_E0_NS1_11comp_targetILNS1_3genE3ELNS1_11target_archE908ELNS1_3gpuE7ELNS1_3repE0EEENS1_52radix_sort_onesweep_histogram_config_static_selectorELNS0_4arch9wavefront6targetE1EEEvSC_, .Lfunc_end1822-_ZN7rocprim17ROCPRIM_400000_NS6detail17trampoline_kernelINS0_14default_configENS1_35radix_sort_onesweep_config_selectorIsNS0_10empty_typeEEEZNS1_34radix_sort_onesweep_global_offsetsIS3_Lb1EPsPS5_mNS0_19identity_decomposerEEE10hipError_tT1_T2_PT3_SE_jT4_jjP12ihipStream_tbEUlT_E0_NS1_11comp_targetILNS1_3genE3ELNS1_11target_archE908ELNS1_3gpuE7ELNS1_3repE0EEENS1_52radix_sort_onesweep_histogram_config_static_selectorELNS0_4arch9wavefront6targetE1EEEvSC_
                                        ; -- End function
	.section	.AMDGPU.csdata,"",@progbits
; Kernel info:
; codeLenInByte = 0
; NumSgprs: 4
; NumVgprs: 0
; NumAgprs: 0
; TotalNumVgprs: 0
; ScratchSize: 0
; MemoryBound: 0
; FloatMode: 240
; IeeeMode: 1
; LDSByteSize: 0 bytes/workgroup (compile time only)
; SGPRBlocks: 0
; VGPRBlocks: 0
; NumSGPRsForWavesPerEU: 4
; NumVGPRsForWavesPerEU: 1
; AccumOffset: 4
; Occupancy: 8
; WaveLimiterHint : 0
; COMPUTE_PGM_RSRC2:SCRATCH_EN: 0
; COMPUTE_PGM_RSRC2:USER_SGPR: 6
; COMPUTE_PGM_RSRC2:TRAP_HANDLER: 0
; COMPUTE_PGM_RSRC2:TGID_X_EN: 1
; COMPUTE_PGM_RSRC2:TGID_Y_EN: 0
; COMPUTE_PGM_RSRC2:TGID_Z_EN: 0
; COMPUTE_PGM_RSRC2:TIDIG_COMP_CNT: 0
; COMPUTE_PGM_RSRC3_GFX90A:ACCUM_OFFSET: 0
; COMPUTE_PGM_RSRC3_GFX90A:TG_SPLIT: 0
	.section	.text._ZN7rocprim17ROCPRIM_400000_NS6detail17trampoline_kernelINS0_14default_configENS1_35radix_sort_onesweep_config_selectorIsNS0_10empty_typeEEEZNS1_34radix_sort_onesweep_global_offsetsIS3_Lb1EPsPS5_mNS0_19identity_decomposerEEE10hipError_tT1_T2_PT3_SE_jT4_jjP12ihipStream_tbEUlT_E0_NS1_11comp_targetILNS1_3genE10ELNS1_11target_archE1201ELNS1_3gpuE5ELNS1_3repE0EEENS1_52radix_sort_onesweep_histogram_config_static_selectorELNS0_4arch9wavefront6targetE1EEEvSC_,"axG",@progbits,_ZN7rocprim17ROCPRIM_400000_NS6detail17trampoline_kernelINS0_14default_configENS1_35radix_sort_onesweep_config_selectorIsNS0_10empty_typeEEEZNS1_34radix_sort_onesweep_global_offsetsIS3_Lb1EPsPS5_mNS0_19identity_decomposerEEE10hipError_tT1_T2_PT3_SE_jT4_jjP12ihipStream_tbEUlT_E0_NS1_11comp_targetILNS1_3genE10ELNS1_11target_archE1201ELNS1_3gpuE5ELNS1_3repE0EEENS1_52radix_sort_onesweep_histogram_config_static_selectorELNS0_4arch9wavefront6targetE1EEEvSC_,comdat
	.protected	_ZN7rocprim17ROCPRIM_400000_NS6detail17trampoline_kernelINS0_14default_configENS1_35radix_sort_onesweep_config_selectorIsNS0_10empty_typeEEEZNS1_34radix_sort_onesweep_global_offsetsIS3_Lb1EPsPS5_mNS0_19identity_decomposerEEE10hipError_tT1_T2_PT3_SE_jT4_jjP12ihipStream_tbEUlT_E0_NS1_11comp_targetILNS1_3genE10ELNS1_11target_archE1201ELNS1_3gpuE5ELNS1_3repE0EEENS1_52radix_sort_onesweep_histogram_config_static_selectorELNS0_4arch9wavefront6targetE1EEEvSC_ ; -- Begin function _ZN7rocprim17ROCPRIM_400000_NS6detail17trampoline_kernelINS0_14default_configENS1_35radix_sort_onesweep_config_selectorIsNS0_10empty_typeEEEZNS1_34radix_sort_onesweep_global_offsetsIS3_Lb1EPsPS5_mNS0_19identity_decomposerEEE10hipError_tT1_T2_PT3_SE_jT4_jjP12ihipStream_tbEUlT_E0_NS1_11comp_targetILNS1_3genE10ELNS1_11target_archE1201ELNS1_3gpuE5ELNS1_3repE0EEENS1_52radix_sort_onesweep_histogram_config_static_selectorELNS0_4arch9wavefront6targetE1EEEvSC_
	.globl	_ZN7rocprim17ROCPRIM_400000_NS6detail17trampoline_kernelINS0_14default_configENS1_35radix_sort_onesweep_config_selectorIsNS0_10empty_typeEEEZNS1_34radix_sort_onesweep_global_offsetsIS3_Lb1EPsPS5_mNS0_19identity_decomposerEEE10hipError_tT1_T2_PT3_SE_jT4_jjP12ihipStream_tbEUlT_E0_NS1_11comp_targetILNS1_3genE10ELNS1_11target_archE1201ELNS1_3gpuE5ELNS1_3repE0EEENS1_52radix_sort_onesweep_histogram_config_static_selectorELNS0_4arch9wavefront6targetE1EEEvSC_
	.p2align	8
	.type	_ZN7rocprim17ROCPRIM_400000_NS6detail17trampoline_kernelINS0_14default_configENS1_35radix_sort_onesweep_config_selectorIsNS0_10empty_typeEEEZNS1_34radix_sort_onesweep_global_offsetsIS3_Lb1EPsPS5_mNS0_19identity_decomposerEEE10hipError_tT1_T2_PT3_SE_jT4_jjP12ihipStream_tbEUlT_E0_NS1_11comp_targetILNS1_3genE10ELNS1_11target_archE1201ELNS1_3gpuE5ELNS1_3repE0EEENS1_52radix_sort_onesweep_histogram_config_static_selectorELNS0_4arch9wavefront6targetE1EEEvSC_,@function
_ZN7rocprim17ROCPRIM_400000_NS6detail17trampoline_kernelINS0_14default_configENS1_35radix_sort_onesweep_config_selectorIsNS0_10empty_typeEEEZNS1_34radix_sort_onesweep_global_offsetsIS3_Lb1EPsPS5_mNS0_19identity_decomposerEEE10hipError_tT1_T2_PT3_SE_jT4_jjP12ihipStream_tbEUlT_E0_NS1_11comp_targetILNS1_3genE10ELNS1_11target_archE1201ELNS1_3gpuE5ELNS1_3repE0EEENS1_52radix_sort_onesweep_histogram_config_static_selectorELNS0_4arch9wavefront6targetE1EEEvSC_: ; @_ZN7rocprim17ROCPRIM_400000_NS6detail17trampoline_kernelINS0_14default_configENS1_35radix_sort_onesweep_config_selectorIsNS0_10empty_typeEEEZNS1_34radix_sort_onesweep_global_offsetsIS3_Lb1EPsPS5_mNS0_19identity_decomposerEEE10hipError_tT1_T2_PT3_SE_jT4_jjP12ihipStream_tbEUlT_E0_NS1_11comp_targetILNS1_3genE10ELNS1_11target_archE1201ELNS1_3gpuE5ELNS1_3repE0EEENS1_52radix_sort_onesweep_histogram_config_static_selectorELNS0_4arch9wavefront6targetE1EEEvSC_
; %bb.0:
	.section	.rodata,"a",@progbits
	.p2align	6, 0x0
	.amdhsa_kernel _ZN7rocprim17ROCPRIM_400000_NS6detail17trampoline_kernelINS0_14default_configENS1_35radix_sort_onesweep_config_selectorIsNS0_10empty_typeEEEZNS1_34radix_sort_onesweep_global_offsetsIS3_Lb1EPsPS5_mNS0_19identity_decomposerEEE10hipError_tT1_T2_PT3_SE_jT4_jjP12ihipStream_tbEUlT_E0_NS1_11comp_targetILNS1_3genE10ELNS1_11target_archE1201ELNS1_3gpuE5ELNS1_3repE0EEENS1_52radix_sort_onesweep_histogram_config_static_selectorELNS0_4arch9wavefront6targetE1EEEvSC_
		.amdhsa_group_segment_fixed_size 0
		.amdhsa_private_segment_fixed_size 0
		.amdhsa_kernarg_size 8
		.amdhsa_user_sgpr_count 6
		.amdhsa_user_sgpr_private_segment_buffer 1
		.amdhsa_user_sgpr_dispatch_ptr 0
		.amdhsa_user_sgpr_queue_ptr 0
		.amdhsa_user_sgpr_kernarg_segment_ptr 1
		.amdhsa_user_sgpr_dispatch_id 0
		.amdhsa_user_sgpr_flat_scratch_init 0
		.amdhsa_user_sgpr_kernarg_preload_length 0
		.amdhsa_user_sgpr_kernarg_preload_offset 0
		.amdhsa_user_sgpr_private_segment_size 0
		.amdhsa_uses_dynamic_stack 0
		.amdhsa_system_sgpr_private_segment_wavefront_offset 0
		.amdhsa_system_sgpr_workgroup_id_x 1
		.amdhsa_system_sgpr_workgroup_id_y 0
		.amdhsa_system_sgpr_workgroup_id_z 0
		.amdhsa_system_sgpr_workgroup_info 0
		.amdhsa_system_vgpr_workitem_id 0
		.amdhsa_next_free_vgpr 1
		.amdhsa_next_free_sgpr 0
		.amdhsa_accum_offset 4
		.amdhsa_reserve_vcc 0
		.amdhsa_reserve_flat_scratch 0
		.amdhsa_float_round_mode_32 0
		.amdhsa_float_round_mode_16_64 0
		.amdhsa_float_denorm_mode_32 3
		.amdhsa_float_denorm_mode_16_64 3
		.amdhsa_dx10_clamp 1
		.amdhsa_ieee_mode 1
		.amdhsa_fp16_overflow 0
		.amdhsa_tg_split 0
		.amdhsa_exception_fp_ieee_invalid_op 0
		.amdhsa_exception_fp_denorm_src 0
		.amdhsa_exception_fp_ieee_div_zero 0
		.amdhsa_exception_fp_ieee_overflow 0
		.amdhsa_exception_fp_ieee_underflow 0
		.amdhsa_exception_fp_ieee_inexact 0
		.amdhsa_exception_int_div_zero 0
	.end_amdhsa_kernel
	.section	.text._ZN7rocprim17ROCPRIM_400000_NS6detail17trampoline_kernelINS0_14default_configENS1_35radix_sort_onesweep_config_selectorIsNS0_10empty_typeEEEZNS1_34radix_sort_onesweep_global_offsetsIS3_Lb1EPsPS5_mNS0_19identity_decomposerEEE10hipError_tT1_T2_PT3_SE_jT4_jjP12ihipStream_tbEUlT_E0_NS1_11comp_targetILNS1_3genE10ELNS1_11target_archE1201ELNS1_3gpuE5ELNS1_3repE0EEENS1_52radix_sort_onesweep_histogram_config_static_selectorELNS0_4arch9wavefront6targetE1EEEvSC_,"axG",@progbits,_ZN7rocprim17ROCPRIM_400000_NS6detail17trampoline_kernelINS0_14default_configENS1_35radix_sort_onesweep_config_selectorIsNS0_10empty_typeEEEZNS1_34radix_sort_onesweep_global_offsetsIS3_Lb1EPsPS5_mNS0_19identity_decomposerEEE10hipError_tT1_T2_PT3_SE_jT4_jjP12ihipStream_tbEUlT_E0_NS1_11comp_targetILNS1_3genE10ELNS1_11target_archE1201ELNS1_3gpuE5ELNS1_3repE0EEENS1_52radix_sort_onesweep_histogram_config_static_selectorELNS0_4arch9wavefront6targetE1EEEvSC_,comdat
.Lfunc_end1823:
	.size	_ZN7rocprim17ROCPRIM_400000_NS6detail17trampoline_kernelINS0_14default_configENS1_35radix_sort_onesweep_config_selectorIsNS0_10empty_typeEEEZNS1_34radix_sort_onesweep_global_offsetsIS3_Lb1EPsPS5_mNS0_19identity_decomposerEEE10hipError_tT1_T2_PT3_SE_jT4_jjP12ihipStream_tbEUlT_E0_NS1_11comp_targetILNS1_3genE10ELNS1_11target_archE1201ELNS1_3gpuE5ELNS1_3repE0EEENS1_52radix_sort_onesweep_histogram_config_static_selectorELNS0_4arch9wavefront6targetE1EEEvSC_, .Lfunc_end1823-_ZN7rocprim17ROCPRIM_400000_NS6detail17trampoline_kernelINS0_14default_configENS1_35radix_sort_onesweep_config_selectorIsNS0_10empty_typeEEEZNS1_34radix_sort_onesweep_global_offsetsIS3_Lb1EPsPS5_mNS0_19identity_decomposerEEE10hipError_tT1_T2_PT3_SE_jT4_jjP12ihipStream_tbEUlT_E0_NS1_11comp_targetILNS1_3genE10ELNS1_11target_archE1201ELNS1_3gpuE5ELNS1_3repE0EEENS1_52radix_sort_onesweep_histogram_config_static_selectorELNS0_4arch9wavefront6targetE1EEEvSC_
                                        ; -- End function
	.section	.AMDGPU.csdata,"",@progbits
; Kernel info:
; codeLenInByte = 0
; NumSgprs: 4
; NumVgprs: 0
; NumAgprs: 0
; TotalNumVgprs: 0
; ScratchSize: 0
; MemoryBound: 0
; FloatMode: 240
; IeeeMode: 1
; LDSByteSize: 0 bytes/workgroup (compile time only)
; SGPRBlocks: 0
; VGPRBlocks: 0
; NumSGPRsForWavesPerEU: 4
; NumVGPRsForWavesPerEU: 1
; AccumOffset: 4
; Occupancy: 8
; WaveLimiterHint : 0
; COMPUTE_PGM_RSRC2:SCRATCH_EN: 0
; COMPUTE_PGM_RSRC2:USER_SGPR: 6
; COMPUTE_PGM_RSRC2:TRAP_HANDLER: 0
; COMPUTE_PGM_RSRC2:TGID_X_EN: 1
; COMPUTE_PGM_RSRC2:TGID_Y_EN: 0
; COMPUTE_PGM_RSRC2:TGID_Z_EN: 0
; COMPUTE_PGM_RSRC2:TIDIG_COMP_CNT: 0
; COMPUTE_PGM_RSRC3_GFX90A:ACCUM_OFFSET: 0
; COMPUTE_PGM_RSRC3_GFX90A:TG_SPLIT: 0
	.section	.text._ZN7rocprim17ROCPRIM_400000_NS6detail17trampoline_kernelINS0_14default_configENS1_35radix_sort_onesweep_config_selectorIsNS0_10empty_typeEEEZNS1_34radix_sort_onesweep_global_offsetsIS3_Lb1EPsPS5_mNS0_19identity_decomposerEEE10hipError_tT1_T2_PT3_SE_jT4_jjP12ihipStream_tbEUlT_E0_NS1_11comp_targetILNS1_3genE9ELNS1_11target_archE1100ELNS1_3gpuE3ELNS1_3repE0EEENS1_52radix_sort_onesweep_histogram_config_static_selectorELNS0_4arch9wavefront6targetE1EEEvSC_,"axG",@progbits,_ZN7rocprim17ROCPRIM_400000_NS6detail17trampoline_kernelINS0_14default_configENS1_35radix_sort_onesweep_config_selectorIsNS0_10empty_typeEEEZNS1_34radix_sort_onesweep_global_offsetsIS3_Lb1EPsPS5_mNS0_19identity_decomposerEEE10hipError_tT1_T2_PT3_SE_jT4_jjP12ihipStream_tbEUlT_E0_NS1_11comp_targetILNS1_3genE9ELNS1_11target_archE1100ELNS1_3gpuE3ELNS1_3repE0EEENS1_52radix_sort_onesweep_histogram_config_static_selectorELNS0_4arch9wavefront6targetE1EEEvSC_,comdat
	.protected	_ZN7rocprim17ROCPRIM_400000_NS6detail17trampoline_kernelINS0_14default_configENS1_35radix_sort_onesweep_config_selectorIsNS0_10empty_typeEEEZNS1_34radix_sort_onesweep_global_offsetsIS3_Lb1EPsPS5_mNS0_19identity_decomposerEEE10hipError_tT1_T2_PT3_SE_jT4_jjP12ihipStream_tbEUlT_E0_NS1_11comp_targetILNS1_3genE9ELNS1_11target_archE1100ELNS1_3gpuE3ELNS1_3repE0EEENS1_52radix_sort_onesweep_histogram_config_static_selectorELNS0_4arch9wavefront6targetE1EEEvSC_ ; -- Begin function _ZN7rocprim17ROCPRIM_400000_NS6detail17trampoline_kernelINS0_14default_configENS1_35radix_sort_onesweep_config_selectorIsNS0_10empty_typeEEEZNS1_34radix_sort_onesweep_global_offsetsIS3_Lb1EPsPS5_mNS0_19identity_decomposerEEE10hipError_tT1_T2_PT3_SE_jT4_jjP12ihipStream_tbEUlT_E0_NS1_11comp_targetILNS1_3genE9ELNS1_11target_archE1100ELNS1_3gpuE3ELNS1_3repE0EEENS1_52radix_sort_onesweep_histogram_config_static_selectorELNS0_4arch9wavefront6targetE1EEEvSC_
	.globl	_ZN7rocprim17ROCPRIM_400000_NS6detail17trampoline_kernelINS0_14default_configENS1_35radix_sort_onesweep_config_selectorIsNS0_10empty_typeEEEZNS1_34radix_sort_onesweep_global_offsetsIS3_Lb1EPsPS5_mNS0_19identity_decomposerEEE10hipError_tT1_T2_PT3_SE_jT4_jjP12ihipStream_tbEUlT_E0_NS1_11comp_targetILNS1_3genE9ELNS1_11target_archE1100ELNS1_3gpuE3ELNS1_3repE0EEENS1_52radix_sort_onesweep_histogram_config_static_selectorELNS0_4arch9wavefront6targetE1EEEvSC_
	.p2align	8
	.type	_ZN7rocprim17ROCPRIM_400000_NS6detail17trampoline_kernelINS0_14default_configENS1_35radix_sort_onesweep_config_selectorIsNS0_10empty_typeEEEZNS1_34radix_sort_onesweep_global_offsetsIS3_Lb1EPsPS5_mNS0_19identity_decomposerEEE10hipError_tT1_T2_PT3_SE_jT4_jjP12ihipStream_tbEUlT_E0_NS1_11comp_targetILNS1_3genE9ELNS1_11target_archE1100ELNS1_3gpuE3ELNS1_3repE0EEENS1_52radix_sort_onesweep_histogram_config_static_selectorELNS0_4arch9wavefront6targetE1EEEvSC_,@function
_ZN7rocprim17ROCPRIM_400000_NS6detail17trampoline_kernelINS0_14default_configENS1_35radix_sort_onesweep_config_selectorIsNS0_10empty_typeEEEZNS1_34radix_sort_onesweep_global_offsetsIS3_Lb1EPsPS5_mNS0_19identity_decomposerEEE10hipError_tT1_T2_PT3_SE_jT4_jjP12ihipStream_tbEUlT_E0_NS1_11comp_targetILNS1_3genE9ELNS1_11target_archE1100ELNS1_3gpuE3ELNS1_3repE0EEENS1_52radix_sort_onesweep_histogram_config_static_selectorELNS0_4arch9wavefront6targetE1EEEvSC_: ; @_ZN7rocprim17ROCPRIM_400000_NS6detail17trampoline_kernelINS0_14default_configENS1_35radix_sort_onesweep_config_selectorIsNS0_10empty_typeEEEZNS1_34radix_sort_onesweep_global_offsetsIS3_Lb1EPsPS5_mNS0_19identity_decomposerEEE10hipError_tT1_T2_PT3_SE_jT4_jjP12ihipStream_tbEUlT_E0_NS1_11comp_targetILNS1_3genE9ELNS1_11target_archE1100ELNS1_3gpuE3ELNS1_3repE0EEENS1_52radix_sort_onesweep_histogram_config_static_selectorELNS0_4arch9wavefront6targetE1EEEvSC_
; %bb.0:
	.section	.rodata,"a",@progbits
	.p2align	6, 0x0
	.amdhsa_kernel _ZN7rocprim17ROCPRIM_400000_NS6detail17trampoline_kernelINS0_14default_configENS1_35radix_sort_onesweep_config_selectorIsNS0_10empty_typeEEEZNS1_34radix_sort_onesweep_global_offsetsIS3_Lb1EPsPS5_mNS0_19identity_decomposerEEE10hipError_tT1_T2_PT3_SE_jT4_jjP12ihipStream_tbEUlT_E0_NS1_11comp_targetILNS1_3genE9ELNS1_11target_archE1100ELNS1_3gpuE3ELNS1_3repE0EEENS1_52radix_sort_onesweep_histogram_config_static_selectorELNS0_4arch9wavefront6targetE1EEEvSC_
		.amdhsa_group_segment_fixed_size 0
		.amdhsa_private_segment_fixed_size 0
		.amdhsa_kernarg_size 8
		.amdhsa_user_sgpr_count 6
		.amdhsa_user_sgpr_private_segment_buffer 1
		.amdhsa_user_sgpr_dispatch_ptr 0
		.amdhsa_user_sgpr_queue_ptr 0
		.amdhsa_user_sgpr_kernarg_segment_ptr 1
		.amdhsa_user_sgpr_dispatch_id 0
		.amdhsa_user_sgpr_flat_scratch_init 0
		.amdhsa_user_sgpr_kernarg_preload_length 0
		.amdhsa_user_sgpr_kernarg_preload_offset 0
		.amdhsa_user_sgpr_private_segment_size 0
		.amdhsa_uses_dynamic_stack 0
		.amdhsa_system_sgpr_private_segment_wavefront_offset 0
		.amdhsa_system_sgpr_workgroup_id_x 1
		.amdhsa_system_sgpr_workgroup_id_y 0
		.amdhsa_system_sgpr_workgroup_id_z 0
		.amdhsa_system_sgpr_workgroup_info 0
		.amdhsa_system_vgpr_workitem_id 0
		.amdhsa_next_free_vgpr 1
		.amdhsa_next_free_sgpr 0
		.amdhsa_accum_offset 4
		.amdhsa_reserve_vcc 0
		.amdhsa_reserve_flat_scratch 0
		.amdhsa_float_round_mode_32 0
		.amdhsa_float_round_mode_16_64 0
		.amdhsa_float_denorm_mode_32 3
		.amdhsa_float_denorm_mode_16_64 3
		.amdhsa_dx10_clamp 1
		.amdhsa_ieee_mode 1
		.amdhsa_fp16_overflow 0
		.amdhsa_tg_split 0
		.amdhsa_exception_fp_ieee_invalid_op 0
		.amdhsa_exception_fp_denorm_src 0
		.amdhsa_exception_fp_ieee_div_zero 0
		.amdhsa_exception_fp_ieee_overflow 0
		.amdhsa_exception_fp_ieee_underflow 0
		.amdhsa_exception_fp_ieee_inexact 0
		.amdhsa_exception_int_div_zero 0
	.end_amdhsa_kernel
	.section	.text._ZN7rocprim17ROCPRIM_400000_NS6detail17trampoline_kernelINS0_14default_configENS1_35radix_sort_onesweep_config_selectorIsNS0_10empty_typeEEEZNS1_34radix_sort_onesweep_global_offsetsIS3_Lb1EPsPS5_mNS0_19identity_decomposerEEE10hipError_tT1_T2_PT3_SE_jT4_jjP12ihipStream_tbEUlT_E0_NS1_11comp_targetILNS1_3genE9ELNS1_11target_archE1100ELNS1_3gpuE3ELNS1_3repE0EEENS1_52radix_sort_onesweep_histogram_config_static_selectorELNS0_4arch9wavefront6targetE1EEEvSC_,"axG",@progbits,_ZN7rocprim17ROCPRIM_400000_NS6detail17trampoline_kernelINS0_14default_configENS1_35radix_sort_onesweep_config_selectorIsNS0_10empty_typeEEEZNS1_34radix_sort_onesweep_global_offsetsIS3_Lb1EPsPS5_mNS0_19identity_decomposerEEE10hipError_tT1_T2_PT3_SE_jT4_jjP12ihipStream_tbEUlT_E0_NS1_11comp_targetILNS1_3genE9ELNS1_11target_archE1100ELNS1_3gpuE3ELNS1_3repE0EEENS1_52radix_sort_onesweep_histogram_config_static_selectorELNS0_4arch9wavefront6targetE1EEEvSC_,comdat
.Lfunc_end1824:
	.size	_ZN7rocprim17ROCPRIM_400000_NS6detail17trampoline_kernelINS0_14default_configENS1_35radix_sort_onesweep_config_selectorIsNS0_10empty_typeEEEZNS1_34radix_sort_onesweep_global_offsetsIS3_Lb1EPsPS5_mNS0_19identity_decomposerEEE10hipError_tT1_T2_PT3_SE_jT4_jjP12ihipStream_tbEUlT_E0_NS1_11comp_targetILNS1_3genE9ELNS1_11target_archE1100ELNS1_3gpuE3ELNS1_3repE0EEENS1_52radix_sort_onesweep_histogram_config_static_selectorELNS0_4arch9wavefront6targetE1EEEvSC_, .Lfunc_end1824-_ZN7rocprim17ROCPRIM_400000_NS6detail17trampoline_kernelINS0_14default_configENS1_35radix_sort_onesweep_config_selectorIsNS0_10empty_typeEEEZNS1_34radix_sort_onesweep_global_offsetsIS3_Lb1EPsPS5_mNS0_19identity_decomposerEEE10hipError_tT1_T2_PT3_SE_jT4_jjP12ihipStream_tbEUlT_E0_NS1_11comp_targetILNS1_3genE9ELNS1_11target_archE1100ELNS1_3gpuE3ELNS1_3repE0EEENS1_52radix_sort_onesweep_histogram_config_static_selectorELNS0_4arch9wavefront6targetE1EEEvSC_
                                        ; -- End function
	.section	.AMDGPU.csdata,"",@progbits
; Kernel info:
; codeLenInByte = 0
; NumSgprs: 4
; NumVgprs: 0
; NumAgprs: 0
; TotalNumVgprs: 0
; ScratchSize: 0
; MemoryBound: 0
; FloatMode: 240
; IeeeMode: 1
; LDSByteSize: 0 bytes/workgroup (compile time only)
; SGPRBlocks: 0
; VGPRBlocks: 0
; NumSGPRsForWavesPerEU: 4
; NumVGPRsForWavesPerEU: 1
; AccumOffset: 4
; Occupancy: 8
; WaveLimiterHint : 0
; COMPUTE_PGM_RSRC2:SCRATCH_EN: 0
; COMPUTE_PGM_RSRC2:USER_SGPR: 6
; COMPUTE_PGM_RSRC2:TRAP_HANDLER: 0
; COMPUTE_PGM_RSRC2:TGID_X_EN: 1
; COMPUTE_PGM_RSRC2:TGID_Y_EN: 0
; COMPUTE_PGM_RSRC2:TGID_Z_EN: 0
; COMPUTE_PGM_RSRC2:TIDIG_COMP_CNT: 0
; COMPUTE_PGM_RSRC3_GFX90A:ACCUM_OFFSET: 0
; COMPUTE_PGM_RSRC3_GFX90A:TG_SPLIT: 0
	.section	.text._ZN7rocprim17ROCPRIM_400000_NS6detail17trampoline_kernelINS0_14default_configENS1_35radix_sort_onesweep_config_selectorIsNS0_10empty_typeEEEZNS1_34radix_sort_onesweep_global_offsetsIS3_Lb1EPsPS5_mNS0_19identity_decomposerEEE10hipError_tT1_T2_PT3_SE_jT4_jjP12ihipStream_tbEUlT_E0_NS1_11comp_targetILNS1_3genE8ELNS1_11target_archE1030ELNS1_3gpuE2ELNS1_3repE0EEENS1_52radix_sort_onesweep_histogram_config_static_selectorELNS0_4arch9wavefront6targetE1EEEvSC_,"axG",@progbits,_ZN7rocprim17ROCPRIM_400000_NS6detail17trampoline_kernelINS0_14default_configENS1_35radix_sort_onesweep_config_selectorIsNS0_10empty_typeEEEZNS1_34radix_sort_onesweep_global_offsetsIS3_Lb1EPsPS5_mNS0_19identity_decomposerEEE10hipError_tT1_T2_PT3_SE_jT4_jjP12ihipStream_tbEUlT_E0_NS1_11comp_targetILNS1_3genE8ELNS1_11target_archE1030ELNS1_3gpuE2ELNS1_3repE0EEENS1_52radix_sort_onesweep_histogram_config_static_selectorELNS0_4arch9wavefront6targetE1EEEvSC_,comdat
	.protected	_ZN7rocprim17ROCPRIM_400000_NS6detail17trampoline_kernelINS0_14default_configENS1_35radix_sort_onesweep_config_selectorIsNS0_10empty_typeEEEZNS1_34radix_sort_onesweep_global_offsetsIS3_Lb1EPsPS5_mNS0_19identity_decomposerEEE10hipError_tT1_T2_PT3_SE_jT4_jjP12ihipStream_tbEUlT_E0_NS1_11comp_targetILNS1_3genE8ELNS1_11target_archE1030ELNS1_3gpuE2ELNS1_3repE0EEENS1_52radix_sort_onesweep_histogram_config_static_selectorELNS0_4arch9wavefront6targetE1EEEvSC_ ; -- Begin function _ZN7rocprim17ROCPRIM_400000_NS6detail17trampoline_kernelINS0_14default_configENS1_35radix_sort_onesweep_config_selectorIsNS0_10empty_typeEEEZNS1_34radix_sort_onesweep_global_offsetsIS3_Lb1EPsPS5_mNS0_19identity_decomposerEEE10hipError_tT1_T2_PT3_SE_jT4_jjP12ihipStream_tbEUlT_E0_NS1_11comp_targetILNS1_3genE8ELNS1_11target_archE1030ELNS1_3gpuE2ELNS1_3repE0EEENS1_52radix_sort_onesweep_histogram_config_static_selectorELNS0_4arch9wavefront6targetE1EEEvSC_
	.globl	_ZN7rocprim17ROCPRIM_400000_NS6detail17trampoline_kernelINS0_14default_configENS1_35radix_sort_onesweep_config_selectorIsNS0_10empty_typeEEEZNS1_34radix_sort_onesweep_global_offsetsIS3_Lb1EPsPS5_mNS0_19identity_decomposerEEE10hipError_tT1_T2_PT3_SE_jT4_jjP12ihipStream_tbEUlT_E0_NS1_11comp_targetILNS1_3genE8ELNS1_11target_archE1030ELNS1_3gpuE2ELNS1_3repE0EEENS1_52radix_sort_onesweep_histogram_config_static_selectorELNS0_4arch9wavefront6targetE1EEEvSC_
	.p2align	8
	.type	_ZN7rocprim17ROCPRIM_400000_NS6detail17trampoline_kernelINS0_14default_configENS1_35radix_sort_onesweep_config_selectorIsNS0_10empty_typeEEEZNS1_34radix_sort_onesweep_global_offsetsIS3_Lb1EPsPS5_mNS0_19identity_decomposerEEE10hipError_tT1_T2_PT3_SE_jT4_jjP12ihipStream_tbEUlT_E0_NS1_11comp_targetILNS1_3genE8ELNS1_11target_archE1030ELNS1_3gpuE2ELNS1_3repE0EEENS1_52radix_sort_onesweep_histogram_config_static_selectorELNS0_4arch9wavefront6targetE1EEEvSC_,@function
_ZN7rocprim17ROCPRIM_400000_NS6detail17trampoline_kernelINS0_14default_configENS1_35radix_sort_onesweep_config_selectorIsNS0_10empty_typeEEEZNS1_34radix_sort_onesweep_global_offsetsIS3_Lb1EPsPS5_mNS0_19identity_decomposerEEE10hipError_tT1_T2_PT3_SE_jT4_jjP12ihipStream_tbEUlT_E0_NS1_11comp_targetILNS1_3genE8ELNS1_11target_archE1030ELNS1_3gpuE2ELNS1_3repE0EEENS1_52radix_sort_onesweep_histogram_config_static_selectorELNS0_4arch9wavefront6targetE1EEEvSC_: ; @_ZN7rocprim17ROCPRIM_400000_NS6detail17trampoline_kernelINS0_14default_configENS1_35radix_sort_onesweep_config_selectorIsNS0_10empty_typeEEEZNS1_34radix_sort_onesweep_global_offsetsIS3_Lb1EPsPS5_mNS0_19identity_decomposerEEE10hipError_tT1_T2_PT3_SE_jT4_jjP12ihipStream_tbEUlT_E0_NS1_11comp_targetILNS1_3genE8ELNS1_11target_archE1030ELNS1_3gpuE2ELNS1_3repE0EEENS1_52radix_sort_onesweep_histogram_config_static_selectorELNS0_4arch9wavefront6targetE1EEEvSC_
; %bb.0:
	.section	.rodata,"a",@progbits
	.p2align	6, 0x0
	.amdhsa_kernel _ZN7rocprim17ROCPRIM_400000_NS6detail17trampoline_kernelINS0_14default_configENS1_35radix_sort_onesweep_config_selectorIsNS0_10empty_typeEEEZNS1_34radix_sort_onesweep_global_offsetsIS3_Lb1EPsPS5_mNS0_19identity_decomposerEEE10hipError_tT1_T2_PT3_SE_jT4_jjP12ihipStream_tbEUlT_E0_NS1_11comp_targetILNS1_3genE8ELNS1_11target_archE1030ELNS1_3gpuE2ELNS1_3repE0EEENS1_52radix_sort_onesweep_histogram_config_static_selectorELNS0_4arch9wavefront6targetE1EEEvSC_
		.amdhsa_group_segment_fixed_size 0
		.amdhsa_private_segment_fixed_size 0
		.amdhsa_kernarg_size 8
		.amdhsa_user_sgpr_count 6
		.amdhsa_user_sgpr_private_segment_buffer 1
		.amdhsa_user_sgpr_dispatch_ptr 0
		.amdhsa_user_sgpr_queue_ptr 0
		.amdhsa_user_sgpr_kernarg_segment_ptr 1
		.amdhsa_user_sgpr_dispatch_id 0
		.amdhsa_user_sgpr_flat_scratch_init 0
		.amdhsa_user_sgpr_kernarg_preload_length 0
		.amdhsa_user_sgpr_kernarg_preload_offset 0
		.amdhsa_user_sgpr_private_segment_size 0
		.amdhsa_uses_dynamic_stack 0
		.amdhsa_system_sgpr_private_segment_wavefront_offset 0
		.amdhsa_system_sgpr_workgroup_id_x 1
		.amdhsa_system_sgpr_workgroup_id_y 0
		.amdhsa_system_sgpr_workgroup_id_z 0
		.amdhsa_system_sgpr_workgroup_info 0
		.amdhsa_system_vgpr_workitem_id 0
		.amdhsa_next_free_vgpr 1
		.amdhsa_next_free_sgpr 0
		.amdhsa_accum_offset 4
		.amdhsa_reserve_vcc 0
		.amdhsa_reserve_flat_scratch 0
		.amdhsa_float_round_mode_32 0
		.amdhsa_float_round_mode_16_64 0
		.amdhsa_float_denorm_mode_32 3
		.amdhsa_float_denorm_mode_16_64 3
		.amdhsa_dx10_clamp 1
		.amdhsa_ieee_mode 1
		.amdhsa_fp16_overflow 0
		.amdhsa_tg_split 0
		.amdhsa_exception_fp_ieee_invalid_op 0
		.amdhsa_exception_fp_denorm_src 0
		.amdhsa_exception_fp_ieee_div_zero 0
		.amdhsa_exception_fp_ieee_overflow 0
		.amdhsa_exception_fp_ieee_underflow 0
		.amdhsa_exception_fp_ieee_inexact 0
		.amdhsa_exception_int_div_zero 0
	.end_amdhsa_kernel
	.section	.text._ZN7rocprim17ROCPRIM_400000_NS6detail17trampoline_kernelINS0_14default_configENS1_35radix_sort_onesweep_config_selectorIsNS0_10empty_typeEEEZNS1_34radix_sort_onesweep_global_offsetsIS3_Lb1EPsPS5_mNS0_19identity_decomposerEEE10hipError_tT1_T2_PT3_SE_jT4_jjP12ihipStream_tbEUlT_E0_NS1_11comp_targetILNS1_3genE8ELNS1_11target_archE1030ELNS1_3gpuE2ELNS1_3repE0EEENS1_52radix_sort_onesweep_histogram_config_static_selectorELNS0_4arch9wavefront6targetE1EEEvSC_,"axG",@progbits,_ZN7rocprim17ROCPRIM_400000_NS6detail17trampoline_kernelINS0_14default_configENS1_35radix_sort_onesweep_config_selectorIsNS0_10empty_typeEEEZNS1_34radix_sort_onesweep_global_offsetsIS3_Lb1EPsPS5_mNS0_19identity_decomposerEEE10hipError_tT1_T2_PT3_SE_jT4_jjP12ihipStream_tbEUlT_E0_NS1_11comp_targetILNS1_3genE8ELNS1_11target_archE1030ELNS1_3gpuE2ELNS1_3repE0EEENS1_52radix_sort_onesweep_histogram_config_static_selectorELNS0_4arch9wavefront6targetE1EEEvSC_,comdat
.Lfunc_end1825:
	.size	_ZN7rocprim17ROCPRIM_400000_NS6detail17trampoline_kernelINS0_14default_configENS1_35radix_sort_onesweep_config_selectorIsNS0_10empty_typeEEEZNS1_34radix_sort_onesweep_global_offsetsIS3_Lb1EPsPS5_mNS0_19identity_decomposerEEE10hipError_tT1_T2_PT3_SE_jT4_jjP12ihipStream_tbEUlT_E0_NS1_11comp_targetILNS1_3genE8ELNS1_11target_archE1030ELNS1_3gpuE2ELNS1_3repE0EEENS1_52radix_sort_onesweep_histogram_config_static_selectorELNS0_4arch9wavefront6targetE1EEEvSC_, .Lfunc_end1825-_ZN7rocprim17ROCPRIM_400000_NS6detail17trampoline_kernelINS0_14default_configENS1_35radix_sort_onesweep_config_selectorIsNS0_10empty_typeEEEZNS1_34radix_sort_onesweep_global_offsetsIS3_Lb1EPsPS5_mNS0_19identity_decomposerEEE10hipError_tT1_T2_PT3_SE_jT4_jjP12ihipStream_tbEUlT_E0_NS1_11comp_targetILNS1_3genE8ELNS1_11target_archE1030ELNS1_3gpuE2ELNS1_3repE0EEENS1_52radix_sort_onesweep_histogram_config_static_selectorELNS0_4arch9wavefront6targetE1EEEvSC_
                                        ; -- End function
	.section	.AMDGPU.csdata,"",@progbits
; Kernel info:
; codeLenInByte = 0
; NumSgprs: 4
; NumVgprs: 0
; NumAgprs: 0
; TotalNumVgprs: 0
; ScratchSize: 0
; MemoryBound: 0
; FloatMode: 240
; IeeeMode: 1
; LDSByteSize: 0 bytes/workgroup (compile time only)
; SGPRBlocks: 0
; VGPRBlocks: 0
; NumSGPRsForWavesPerEU: 4
; NumVGPRsForWavesPerEU: 1
; AccumOffset: 4
; Occupancy: 8
; WaveLimiterHint : 0
; COMPUTE_PGM_RSRC2:SCRATCH_EN: 0
; COMPUTE_PGM_RSRC2:USER_SGPR: 6
; COMPUTE_PGM_RSRC2:TRAP_HANDLER: 0
; COMPUTE_PGM_RSRC2:TGID_X_EN: 1
; COMPUTE_PGM_RSRC2:TGID_Y_EN: 0
; COMPUTE_PGM_RSRC2:TGID_Z_EN: 0
; COMPUTE_PGM_RSRC2:TIDIG_COMP_CNT: 0
; COMPUTE_PGM_RSRC3_GFX90A:ACCUM_OFFSET: 0
; COMPUTE_PGM_RSRC3_GFX90A:TG_SPLIT: 0
	.section	.text._ZN7rocprim17ROCPRIM_400000_NS6detail17trampoline_kernelINS0_14default_configENS1_35radix_sort_onesweep_config_selectorIsNS0_10empty_typeEEEZZNS1_29radix_sort_onesweep_iterationIS3_Lb1EPsS8_PS5_S9_mNS0_19identity_decomposerENS1_16block_id_wrapperIjLb1EEEEE10hipError_tT1_PNSt15iterator_traitsISE_E10value_typeET2_T3_PNSF_ISK_E10value_typeET4_T5_PSP_SQ_PNS1_23onesweep_lookback_stateEbbT6_jjT7_P12ihipStream_tbENKUlT_T0_SE_SJ_E_clIS8_S8_S9_S9_EEDaSX_SY_SE_SJ_EUlSX_E_NS1_11comp_targetILNS1_3genE0ELNS1_11target_archE4294967295ELNS1_3gpuE0ELNS1_3repE0EEENS1_47radix_sort_onesweep_sort_config_static_selectorELNS0_4arch9wavefront6targetE1EEEvSE_,"axG",@progbits,_ZN7rocprim17ROCPRIM_400000_NS6detail17trampoline_kernelINS0_14default_configENS1_35radix_sort_onesweep_config_selectorIsNS0_10empty_typeEEEZZNS1_29radix_sort_onesweep_iterationIS3_Lb1EPsS8_PS5_S9_mNS0_19identity_decomposerENS1_16block_id_wrapperIjLb1EEEEE10hipError_tT1_PNSt15iterator_traitsISE_E10value_typeET2_T3_PNSF_ISK_E10value_typeET4_T5_PSP_SQ_PNS1_23onesweep_lookback_stateEbbT6_jjT7_P12ihipStream_tbENKUlT_T0_SE_SJ_E_clIS8_S8_S9_S9_EEDaSX_SY_SE_SJ_EUlSX_E_NS1_11comp_targetILNS1_3genE0ELNS1_11target_archE4294967295ELNS1_3gpuE0ELNS1_3repE0EEENS1_47radix_sort_onesweep_sort_config_static_selectorELNS0_4arch9wavefront6targetE1EEEvSE_,comdat
	.protected	_ZN7rocprim17ROCPRIM_400000_NS6detail17trampoline_kernelINS0_14default_configENS1_35radix_sort_onesweep_config_selectorIsNS0_10empty_typeEEEZZNS1_29radix_sort_onesweep_iterationIS3_Lb1EPsS8_PS5_S9_mNS0_19identity_decomposerENS1_16block_id_wrapperIjLb1EEEEE10hipError_tT1_PNSt15iterator_traitsISE_E10value_typeET2_T3_PNSF_ISK_E10value_typeET4_T5_PSP_SQ_PNS1_23onesweep_lookback_stateEbbT6_jjT7_P12ihipStream_tbENKUlT_T0_SE_SJ_E_clIS8_S8_S9_S9_EEDaSX_SY_SE_SJ_EUlSX_E_NS1_11comp_targetILNS1_3genE0ELNS1_11target_archE4294967295ELNS1_3gpuE0ELNS1_3repE0EEENS1_47radix_sort_onesweep_sort_config_static_selectorELNS0_4arch9wavefront6targetE1EEEvSE_ ; -- Begin function _ZN7rocprim17ROCPRIM_400000_NS6detail17trampoline_kernelINS0_14default_configENS1_35radix_sort_onesweep_config_selectorIsNS0_10empty_typeEEEZZNS1_29radix_sort_onesweep_iterationIS3_Lb1EPsS8_PS5_S9_mNS0_19identity_decomposerENS1_16block_id_wrapperIjLb1EEEEE10hipError_tT1_PNSt15iterator_traitsISE_E10value_typeET2_T3_PNSF_ISK_E10value_typeET4_T5_PSP_SQ_PNS1_23onesweep_lookback_stateEbbT6_jjT7_P12ihipStream_tbENKUlT_T0_SE_SJ_E_clIS8_S8_S9_S9_EEDaSX_SY_SE_SJ_EUlSX_E_NS1_11comp_targetILNS1_3genE0ELNS1_11target_archE4294967295ELNS1_3gpuE0ELNS1_3repE0EEENS1_47radix_sort_onesweep_sort_config_static_selectorELNS0_4arch9wavefront6targetE1EEEvSE_
	.globl	_ZN7rocprim17ROCPRIM_400000_NS6detail17trampoline_kernelINS0_14default_configENS1_35radix_sort_onesweep_config_selectorIsNS0_10empty_typeEEEZZNS1_29radix_sort_onesweep_iterationIS3_Lb1EPsS8_PS5_S9_mNS0_19identity_decomposerENS1_16block_id_wrapperIjLb1EEEEE10hipError_tT1_PNSt15iterator_traitsISE_E10value_typeET2_T3_PNSF_ISK_E10value_typeET4_T5_PSP_SQ_PNS1_23onesweep_lookback_stateEbbT6_jjT7_P12ihipStream_tbENKUlT_T0_SE_SJ_E_clIS8_S8_S9_S9_EEDaSX_SY_SE_SJ_EUlSX_E_NS1_11comp_targetILNS1_3genE0ELNS1_11target_archE4294967295ELNS1_3gpuE0ELNS1_3repE0EEENS1_47radix_sort_onesweep_sort_config_static_selectorELNS0_4arch9wavefront6targetE1EEEvSE_
	.p2align	8
	.type	_ZN7rocprim17ROCPRIM_400000_NS6detail17trampoline_kernelINS0_14default_configENS1_35radix_sort_onesweep_config_selectorIsNS0_10empty_typeEEEZZNS1_29radix_sort_onesweep_iterationIS3_Lb1EPsS8_PS5_S9_mNS0_19identity_decomposerENS1_16block_id_wrapperIjLb1EEEEE10hipError_tT1_PNSt15iterator_traitsISE_E10value_typeET2_T3_PNSF_ISK_E10value_typeET4_T5_PSP_SQ_PNS1_23onesweep_lookback_stateEbbT6_jjT7_P12ihipStream_tbENKUlT_T0_SE_SJ_E_clIS8_S8_S9_S9_EEDaSX_SY_SE_SJ_EUlSX_E_NS1_11comp_targetILNS1_3genE0ELNS1_11target_archE4294967295ELNS1_3gpuE0ELNS1_3repE0EEENS1_47radix_sort_onesweep_sort_config_static_selectorELNS0_4arch9wavefront6targetE1EEEvSE_,@function
_ZN7rocprim17ROCPRIM_400000_NS6detail17trampoline_kernelINS0_14default_configENS1_35radix_sort_onesweep_config_selectorIsNS0_10empty_typeEEEZZNS1_29radix_sort_onesweep_iterationIS3_Lb1EPsS8_PS5_S9_mNS0_19identity_decomposerENS1_16block_id_wrapperIjLb1EEEEE10hipError_tT1_PNSt15iterator_traitsISE_E10value_typeET2_T3_PNSF_ISK_E10value_typeET4_T5_PSP_SQ_PNS1_23onesweep_lookback_stateEbbT6_jjT7_P12ihipStream_tbENKUlT_T0_SE_SJ_E_clIS8_S8_S9_S9_EEDaSX_SY_SE_SJ_EUlSX_E_NS1_11comp_targetILNS1_3genE0ELNS1_11target_archE4294967295ELNS1_3gpuE0ELNS1_3repE0EEENS1_47radix_sort_onesweep_sort_config_static_selectorELNS0_4arch9wavefront6targetE1EEEvSE_: ; @_ZN7rocprim17ROCPRIM_400000_NS6detail17trampoline_kernelINS0_14default_configENS1_35radix_sort_onesweep_config_selectorIsNS0_10empty_typeEEEZZNS1_29radix_sort_onesweep_iterationIS3_Lb1EPsS8_PS5_S9_mNS0_19identity_decomposerENS1_16block_id_wrapperIjLb1EEEEE10hipError_tT1_PNSt15iterator_traitsISE_E10value_typeET2_T3_PNSF_ISK_E10value_typeET4_T5_PSP_SQ_PNS1_23onesweep_lookback_stateEbbT6_jjT7_P12ihipStream_tbENKUlT_T0_SE_SJ_E_clIS8_S8_S9_S9_EEDaSX_SY_SE_SJ_EUlSX_E_NS1_11comp_targetILNS1_3genE0ELNS1_11target_archE4294967295ELNS1_3gpuE0ELNS1_3repE0EEENS1_47radix_sort_onesweep_sort_config_static_selectorELNS0_4arch9wavefront6targetE1EEEvSE_
; %bb.0:
	.section	.rodata,"a",@progbits
	.p2align	6, 0x0
	.amdhsa_kernel _ZN7rocprim17ROCPRIM_400000_NS6detail17trampoline_kernelINS0_14default_configENS1_35radix_sort_onesweep_config_selectorIsNS0_10empty_typeEEEZZNS1_29radix_sort_onesweep_iterationIS3_Lb1EPsS8_PS5_S9_mNS0_19identity_decomposerENS1_16block_id_wrapperIjLb1EEEEE10hipError_tT1_PNSt15iterator_traitsISE_E10value_typeET2_T3_PNSF_ISK_E10value_typeET4_T5_PSP_SQ_PNS1_23onesweep_lookback_stateEbbT6_jjT7_P12ihipStream_tbENKUlT_T0_SE_SJ_E_clIS8_S8_S9_S9_EEDaSX_SY_SE_SJ_EUlSX_E_NS1_11comp_targetILNS1_3genE0ELNS1_11target_archE4294967295ELNS1_3gpuE0ELNS1_3repE0EEENS1_47radix_sort_onesweep_sort_config_static_selectorELNS0_4arch9wavefront6targetE1EEEvSE_
		.amdhsa_group_segment_fixed_size 0
		.amdhsa_private_segment_fixed_size 0
		.amdhsa_kernarg_size 88
		.amdhsa_user_sgpr_count 6
		.amdhsa_user_sgpr_private_segment_buffer 1
		.amdhsa_user_sgpr_dispatch_ptr 0
		.amdhsa_user_sgpr_queue_ptr 0
		.amdhsa_user_sgpr_kernarg_segment_ptr 1
		.amdhsa_user_sgpr_dispatch_id 0
		.amdhsa_user_sgpr_flat_scratch_init 0
		.amdhsa_user_sgpr_kernarg_preload_length 0
		.amdhsa_user_sgpr_kernarg_preload_offset 0
		.amdhsa_user_sgpr_private_segment_size 0
		.amdhsa_uses_dynamic_stack 0
		.amdhsa_system_sgpr_private_segment_wavefront_offset 0
		.amdhsa_system_sgpr_workgroup_id_x 1
		.amdhsa_system_sgpr_workgroup_id_y 0
		.amdhsa_system_sgpr_workgroup_id_z 0
		.amdhsa_system_sgpr_workgroup_info 0
		.amdhsa_system_vgpr_workitem_id 0
		.amdhsa_next_free_vgpr 1
		.amdhsa_next_free_sgpr 0
		.amdhsa_accum_offset 4
		.amdhsa_reserve_vcc 0
		.amdhsa_reserve_flat_scratch 0
		.amdhsa_float_round_mode_32 0
		.amdhsa_float_round_mode_16_64 0
		.amdhsa_float_denorm_mode_32 3
		.amdhsa_float_denorm_mode_16_64 3
		.amdhsa_dx10_clamp 1
		.amdhsa_ieee_mode 1
		.amdhsa_fp16_overflow 0
		.amdhsa_tg_split 0
		.amdhsa_exception_fp_ieee_invalid_op 0
		.amdhsa_exception_fp_denorm_src 0
		.amdhsa_exception_fp_ieee_div_zero 0
		.amdhsa_exception_fp_ieee_overflow 0
		.amdhsa_exception_fp_ieee_underflow 0
		.amdhsa_exception_fp_ieee_inexact 0
		.amdhsa_exception_int_div_zero 0
	.end_amdhsa_kernel
	.section	.text._ZN7rocprim17ROCPRIM_400000_NS6detail17trampoline_kernelINS0_14default_configENS1_35radix_sort_onesweep_config_selectorIsNS0_10empty_typeEEEZZNS1_29radix_sort_onesweep_iterationIS3_Lb1EPsS8_PS5_S9_mNS0_19identity_decomposerENS1_16block_id_wrapperIjLb1EEEEE10hipError_tT1_PNSt15iterator_traitsISE_E10value_typeET2_T3_PNSF_ISK_E10value_typeET4_T5_PSP_SQ_PNS1_23onesweep_lookback_stateEbbT6_jjT7_P12ihipStream_tbENKUlT_T0_SE_SJ_E_clIS8_S8_S9_S9_EEDaSX_SY_SE_SJ_EUlSX_E_NS1_11comp_targetILNS1_3genE0ELNS1_11target_archE4294967295ELNS1_3gpuE0ELNS1_3repE0EEENS1_47radix_sort_onesweep_sort_config_static_selectorELNS0_4arch9wavefront6targetE1EEEvSE_,"axG",@progbits,_ZN7rocprim17ROCPRIM_400000_NS6detail17trampoline_kernelINS0_14default_configENS1_35radix_sort_onesweep_config_selectorIsNS0_10empty_typeEEEZZNS1_29radix_sort_onesweep_iterationIS3_Lb1EPsS8_PS5_S9_mNS0_19identity_decomposerENS1_16block_id_wrapperIjLb1EEEEE10hipError_tT1_PNSt15iterator_traitsISE_E10value_typeET2_T3_PNSF_ISK_E10value_typeET4_T5_PSP_SQ_PNS1_23onesweep_lookback_stateEbbT6_jjT7_P12ihipStream_tbENKUlT_T0_SE_SJ_E_clIS8_S8_S9_S9_EEDaSX_SY_SE_SJ_EUlSX_E_NS1_11comp_targetILNS1_3genE0ELNS1_11target_archE4294967295ELNS1_3gpuE0ELNS1_3repE0EEENS1_47radix_sort_onesweep_sort_config_static_selectorELNS0_4arch9wavefront6targetE1EEEvSE_,comdat
.Lfunc_end1826:
	.size	_ZN7rocprim17ROCPRIM_400000_NS6detail17trampoline_kernelINS0_14default_configENS1_35radix_sort_onesweep_config_selectorIsNS0_10empty_typeEEEZZNS1_29radix_sort_onesweep_iterationIS3_Lb1EPsS8_PS5_S9_mNS0_19identity_decomposerENS1_16block_id_wrapperIjLb1EEEEE10hipError_tT1_PNSt15iterator_traitsISE_E10value_typeET2_T3_PNSF_ISK_E10value_typeET4_T5_PSP_SQ_PNS1_23onesweep_lookback_stateEbbT6_jjT7_P12ihipStream_tbENKUlT_T0_SE_SJ_E_clIS8_S8_S9_S9_EEDaSX_SY_SE_SJ_EUlSX_E_NS1_11comp_targetILNS1_3genE0ELNS1_11target_archE4294967295ELNS1_3gpuE0ELNS1_3repE0EEENS1_47radix_sort_onesweep_sort_config_static_selectorELNS0_4arch9wavefront6targetE1EEEvSE_, .Lfunc_end1826-_ZN7rocprim17ROCPRIM_400000_NS6detail17trampoline_kernelINS0_14default_configENS1_35radix_sort_onesweep_config_selectorIsNS0_10empty_typeEEEZZNS1_29radix_sort_onesweep_iterationIS3_Lb1EPsS8_PS5_S9_mNS0_19identity_decomposerENS1_16block_id_wrapperIjLb1EEEEE10hipError_tT1_PNSt15iterator_traitsISE_E10value_typeET2_T3_PNSF_ISK_E10value_typeET4_T5_PSP_SQ_PNS1_23onesweep_lookback_stateEbbT6_jjT7_P12ihipStream_tbENKUlT_T0_SE_SJ_E_clIS8_S8_S9_S9_EEDaSX_SY_SE_SJ_EUlSX_E_NS1_11comp_targetILNS1_3genE0ELNS1_11target_archE4294967295ELNS1_3gpuE0ELNS1_3repE0EEENS1_47radix_sort_onesweep_sort_config_static_selectorELNS0_4arch9wavefront6targetE1EEEvSE_
                                        ; -- End function
	.section	.AMDGPU.csdata,"",@progbits
; Kernel info:
; codeLenInByte = 0
; NumSgprs: 4
; NumVgprs: 0
; NumAgprs: 0
; TotalNumVgprs: 0
; ScratchSize: 0
; MemoryBound: 0
; FloatMode: 240
; IeeeMode: 1
; LDSByteSize: 0 bytes/workgroup (compile time only)
; SGPRBlocks: 0
; VGPRBlocks: 0
; NumSGPRsForWavesPerEU: 4
; NumVGPRsForWavesPerEU: 1
; AccumOffset: 4
; Occupancy: 8
; WaveLimiterHint : 0
; COMPUTE_PGM_RSRC2:SCRATCH_EN: 0
; COMPUTE_PGM_RSRC2:USER_SGPR: 6
; COMPUTE_PGM_RSRC2:TRAP_HANDLER: 0
; COMPUTE_PGM_RSRC2:TGID_X_EN: 1
; COMPUTE_PGM_RSRC2:TGID_Y_EN: 0
; COMPUTE_PGM_RSRC2:TGID_Z_EN: 0
; COMPUTE_PGM_RSRC2:TIDIG_COMP_CNT: 0
; COMPUTE_PGM_RSRC3_GFX90A:ACCUM_OFFSET: 0
; COMPUTE_PGM_RSRC3_GFX90A:TG_SPLIT: 0
	.section	.text._ZN7rocprim17ROCPRIM_400000_NS6detail17trampoline_kernelINS0_14default_configENS1_35radix_sort_onesweep_config_selectorIsNS0_10empty_typeEEEZZNS1_29radix_sort_onesweep_iterationIS3_Lb1EPsS8_PS5_S9_mNS0_19identity_decomposerENS1_16block_id_wrapperIjLb1EEEEE10hipError_tT1_PNSt15iterator_traitsISE_E10value_typeET2_T3_PNSF_ISK_E10value_typeET4_T5_PSP_SQ_PNS1_23onesweep_lookback_stateEbbT6_jjT7_P12ihipStream_tbENKUlT_T0_SE_SJ_E_clIS8_S8_S9_S9_EEDaSX_SY_SE_SJ_EUlSX_E_NS1_11comp_targetILNS1_3genE6ELNS1_11target_archE950ELNS1_3gpuE13ELNS1_3repE0EEENS1_47radix_sort_onesweep_sort_config_static_selectorELNS0_4arch9wavefront6targetE1EEEvSE_,"axG",@progbits,_ZN7rocprim17ROCPRIM_400000_NS6detail17trampoline_kernelINS0_14default_configENS1_35radix_sort_onesweep_config_selectorIsNS0_10empty_typeEEEZZNS1_29radix_sort_onesweep_iterationIS3_Lb1EPsS8_PS5_S9_mNS0_19identity_decomposerENS1_16block_id_wrapperIjLb1EEEEE10hipError_tT1_PNSt15iterator_traitsISE_E10value_typeET2_T3_PNSF_ISK_E10value_typeET4_T5_PSP_SQ_PNS1_23onesweep_lookback_stateEbbT6_jjT7_P12ihipStream_tbENKUlT_T0_SE_SJ_E_clIS8_S8_S9_S9_EEDaSX_SY_SE_SJ_EUlSX_E_NS1_11comp_targetILNS1_3genE6ELNS1_11target_archE950ELNS1_3gpuE13ELNS1_3repE0EEENS1_47radix_sort_onesweep_sort_config_static_selectorELNS0_4arch9wavefront6targetE1EEEvSE_,comdat
	.protected	_ZN7rocprim17ROCPRIM_400000_NS6detail17trampoline_kernelINS0_14default_configENS1_35radix_sort_onesweep_config_selectorIsNS0_10empty_typeEEEZZNS1_29radix_sort_onesweep_iterationIS3_Lb1EPsS8_PS5_S9_mNS0_19identity_decomposerENS1_16block_id_wrapperIjLb1EEEEE10hipError_tT1_PNSt15iterator_traitsISE_E10value_typeET2_T3_PNSF_ISK_E10value_typeET4_T5_PSP_SQ_PNS1_23onesweep_lookback_stateEbbT6_jjT7_P12ihipStream_tbENKUlT_T0_SE_SJ_E_clIS8_S8_S9_S9_EEDaSX_SY_SE_SJ_EUlSX_E_NS1_11comp_targetILNS1_3genE6ELNS1_11target_archE950ELNS1_3gpuE13ELNS1_3repE0EEENS1_47radix_sort_onesweep_sort_config_static_selectorELNS0_4arch9wavefront6targetE1EEEvSE_ ; -- Begin function _ZN7rocprim17ROCPRIM_400000_NS6detail17trampoline_kernelINS0_14default_configENS1_35radix_sort_onesweep_config_selectorIsNS0_10empty_typeEEEZZNS1_29radix_sort_onesweep_iterationIS3_Lb1EPsS8_PS5_S9_mNS0_19identity_decomposerENS1_16block_id_wrapperIjLb1EEEEE10hipError_tT1_PNSt15iterator_traitsISE_E10value_typeET2_T3_PNSF_ISK_E10value_typeET4_T5_PSP_SQ_PNS1_23onesweep_lookback_stateEbbT6_jjT7_P12ihipStream_tbENKUlT_T0_SE_SJ_E_clIS8_S8_S9_S9_EEDaSX_SY_SE_SJ_EUlSX_E_NS1_11comp_targetILNS1_3genE6ELNS1_11target_archE950ELNS1_3gpuE13ELNS1_3repE0EEENS1_47radix_sort_onesweep_sort_config_static_selectorELNS0_4arch9wavefront6targetE1EEEvSE_
	.globl	_ZN7rocprim17ROCPRIM_400000_NS6detail17trampoline_kernelINS0_14default_configENS1_35radix_sort_onesweep_config_selectorIsNS0_10empty_typeEEEZZNS1_29radix_sort_onesweep_iterationIS3_Lb1EPsS8_PS5_S9_mNS0_19identity_decomposerENS1_16block_id_wrapperIjLb1EEEEE10hipError_tT1_PNSt15iterator_traitsISE_E10value_typeET2_T3_PNSF_ISK_E10value_typeET4_T5_PSP_SQ_PNS1_23onesweep_lookback_stateEbbT6_jjT7_P12ihipStream_tbENKUlT_T0_SE_SJ_E_clIS8_S8_S9_S9_EEDaSX_SY_SE_SJ_EUlSX_E_NS1_11comp_targetILNS1_3genE6ELNS1_11target_archE950ELNS1_3gpuE13ELNS1_3repE0EEENS1_47radix_sort_onesweep_sort_config_static_selectorELNS0_4arch9wavefront6targetE1EEEvSE_
	.p2align	8
	.type	_ZN7rocprim17ROCPRIM_400000_NS6detail17trampoline_kernelINS0_14default_configENS1_35radix_sort_onesweep_config_selectorIsNS0_10empty_typeEEEZZNS1_29radix_sort_onesweep_iterationIS3_Lb1EPsS8_PS5_S9_mNS0_19identity_decomposerENS1_16block_id_wrapperIjLb1EEEEE10hipError_tT1_PNSt15iterator_traitsISE_E10value_typeET2_T3_PNSF_ISK_E10value_typeET4_T5_PSP_SQ_PNS1_23onesweep_lookback_stateEbbT6_jjT7_P12ihipStream_tbENKUlT_T0_SE_SJ_E_clIS8_S8_S9_S9_EEDaSX_SY_SE_SJ_EUlSX_E_NS1_11comp_targetILNS1_3genE6ELNS1_11target_archE950ELNS1_3gpuE13ELNS1_3repE0EEENS1_47radix_sort_onesweep_sort_config_static_selectorELNS0_4arch9wavefront6targetE1EEEvSE_,@function
_ZN7rocprim17ROCPRIM_400000_NS6detail17trampoline_kernelINS0_14default_configENS1_35radix_sort_onesweep_config_selectorIsNS0_10empty_typeEEEZZNS1_29radix_sort_onesweep_iterationIS3_Lb1EPsS8_PS5_S9_mNS0_19identity_decomposerENS1_16block_id_wrapperIjLb1EEEEE10hipError_tT1_PNSt15iterator_traitsISE_E10value_typeET2_T3_PNSF_ISK_E10value_typeET4_T5_PSP_SQ_PNS1_23onesweep_lookback_stateEbbT6_jjT7_P12ihipStream_tbENKUlT_T0_SE_SJ_E_clIS8_S8_S9_S9_EEDaSX_SY_SE_SJ_EUlSX_E_NS1_11comp_targetILNS1_3genE6ELNS1_11target_archE950ELNS1_3gpuE13ELNS1_3repE0EEENS1_47radix_sort_onesweep_sort_config_static_selectorELNS0_4arch9wavefront6targetE1EEEvSE_: ; @_ZN7rocprim17ROCPRIM_400000_NS6detail17trampoline_kernelINS0_14default_configENS1_35radix_sort_onesweep_config_selectorIsNS0_10empty_typeEEEZZNS1_29radix_sort_onesweep_iterationIS3_Lb1EPsS8_PS5_S9_mNS0_19identity_decomposerENS1_16block_id_wrapperIjLb1EEEEE10hipError_tT1_PNSt15iterator_traitsISE_E10value_typeET2_T3_PNSF_ISK_E10value_typeET4_T5_PSP_SQ_PNS1_23onesweep_lookback_stateEbbT6_jjT7_P12ihipStream_tbENKUlT_T0_SE_SJ_E_clIS8_S8_S9_S9_EEDaSX_SY_SE_SJ_EUlSX_E_NS1_11comp_targetILNS1_3genE6ELNS1_11target_archE950ELNS1_3gpuE13ELNS1_3repE0EEENS1_47radix_sort_onesweep_sort_config_static_selectorELNS0_4arch9wavefront6targetE1EEEvSE_
; %bb.0:
	.section	.rodata,"a",@progbits
	.p2align	6, 0x0
	.amdhsa_kernel _ZN7rocprim17ROCPRIM_400000_NS6detail17trampoline_kernelINS0_14default_configENS1_35radix_sort_onesweep_config_selectorIsNS0_10empty_typeEEEZZNS1_29radix_sort_onesweep_iterationIS3_Lb1EPsS8_PS5_S9_mNS0_19identity_decomposerENS1_16block_id_wrapperIjLb1EEEEE10hipError_tT1_PNSt15iterator_traitsISE_E10value_typeET2_T3_PNSF_ISK_E10value_typeET4_T5_PSP_SQ_PNS1_23onesweep_lookback_stateEbbT6_jjT7_P12ihipStream_tbENKUlT_T0_SE_SJ_E_clIS8_S8_S9_S9_EEDaSX_SY_SE_SJ_EUlSX_E_NS1_11comp_targetILNS1_3genE6ELNS1_11target_archE950ELNS1_3gpuE13ELNS1_3repE0EEENS1_47radix_sort_onesweep_sort_config_static_selectorELNS0_4arch9wavefront6targetE1EEEvSE_
		.amdhsa_group_segment_fixed_size 0
		.amdhsa_private_segment_fixed_size 0
		.amdhsa_kernarg_size 88
		.amdhsa_user_sgpr_count 6
		.amdhsa_user_sgpr_private_segment_buffer 1
		.amdhsa_user_sgpr_dispatch_ptr 0
		.amdhsa_user_sgpr_queue_ptr 0
		.amdhsa_user_sgpr_kernarg_segment_ptr 1
		.amdhsa_user_sgpr_dispatch_id 0
		.amdhsa_user_sgpr_flat_scratch_init 0
		.amdhsa_user_sgpr_kernarg_preload_length 0
		.amdhsa_user_sgpr_kernarg_preload_offset 0
		.amdhsa_user_sgpr_private_segment_size 0
		.amdhsa_uses_dynamic_stack 0
		.amdhsa_system_sgpr_private_segment_wavefront_offset 0
		.amdhsa_system_sgpr_workgroup_id_x 1
		.amdhsa_system_sgpr_workgroup_id_y 0
		.amdhsa_system_sgpr_workgroup_id_z 0
		.amdhsa_system_sgpr_workgroup_info 0
		.amdhsa_system_vgpr_workitem_id 0
		.amdhsa_next_free_vgpr 1
		.amdhsa_next_free_sgpr 0
		.amdhsa_accum_offset 4
		.amdhsa_reserve_vcc 0
		.amdhsa_reserve_flat_scratch 0
		.amdhsa_float_round_mode_32 0
		.amdhsa_float_round_mode_16_64 0
		.amdhsa_float_denorm_mode_32 3
		.amdhsa_float_denorm_mode_16_64 3
		.amdhsa_dx10_clamp 1
		.amdhsa_ieee_mode 1
		.amdhsa_fp16_overflow 0
		.amdhsa_tg_split 0
		.amdhsa_exception_fp_ieee_invalid_op 0
		.amdhsa_exception_fp_denorm_src 0
		.amdhsa_exception_fp_ieee_div_zero 0
		.amdhsa_exception_fp_ieee_overflow 0
		.amdhsa_exception_fp_ieee_underflow 0
		.amdhsa_exception_fp_ieee_inexact 0
		.amdhsa_exception_int_div_zero 0
	.end_amdhsa_kernel
	.section	.text._ZN7rocprim17ROCPRIM_400000_NS6detail17trampoline_kernelINS0_14default_configENS1_35radix_sort_onesweep_config_selectorIsNS0_10empty_typeEEEZZNS1_29radix_sort_onesweep_iterationIS3_Lb1EPsS8_PS5_S9_mNS0_19identity_decomposerENS1_16block_id_wrapperIjLb1EEEEE10hipError_tT1_PNSt15iterator_traitsISE_E10value_typeET2_T3_PNSF_ISK_E10value_typeET4_T5_PSP_SQ_PNS1_23onesweep_lookback_stateEbbT6_jjT7_P12ihipStream_tbENKUlT_T0_SE_SJ_E_clIS8_S8_S9_S9_EEDaSX_SY_SE_SJ_EUlSX_E_NS1_11comp_targetILNS1_3genE6ELNS1_11target_archE950ELNS1_3gpuE13ELNS1_3repE0EEENS1_47radix_sort_onesweep_sort_config_static_selectorELNS0_4arch9wavefront6targetE1EEEvSE_,"axG",@progbits,_ZN7rocprim17ROCPRIM_400000_NS6detail17trampoline_kernelINS0_14default_configENS1_35radix_sort_onesweep_config_selectorIsNS0_10empty_typeEEEZZNS1_29radix_sort_onesweep_iterationIS3_Lb1EPsS8_PS5_S9_mNS0_19identity_decomposerENS1_16block_id_wrapperIjLb1EEEEE10hipError_tT1_PNSt15iterator_traitsISE_E10value_typeET2_T3_PNSF_ISK_E10value_typeET4_T5_PSP_SQ_PNS1_23onesweep_lookback_stateEbbT6_jjT7_P12ihipStream_tbENKUlT_T0_SE_SJ_E_clIS8_S8_S9_S9_EEDaSX_SY_SE_SJ_EUlSX_E_NS1_11comp_targetILNS1_3genE6ELNS1_11target_archE950ELNS1_3gpuE13ELNS1_3repE0EEENS1_47radix_sort_onesweep_sort_config_static_selectorELNS0_4arch9wavefront6targetE1EEEvSE_,comdat
.Lfunc_end1827:
	.size	_ZN7rocprim17ROCPRIM_400000_NS6detail17trampoline_kernelINS0_14default_configENS1_35radix_sort_onesweep_config_selectorIsNS0_10empty_typeEEEZZNS1_29radix_sort_onesweep_iterationIS3_Lb1EPsS8_PS5_S9_mNS0_19identity_decomposerENS1_16block_id_wrapperIjLb1EEEEE10hipError_tT1_PNSt15iterator_traitsISE_E10value_typeET2_T3_PNSF_ISK_E10value_typeET4_T5_PSP_SQ_PNS1_23onesweep_lookback_stateEbbT6_jjT7_P12ihipStream_tbENKUlT_T0_SE_SJ_E_clIS8_S8_S9_S9_EEDaSX_SY_SE_SJ_EUlSX_E_NS1_11comp_targetILNS1_3genE6ELNS1_11target_archE950ELNS1_3gpuE13ELNS1_3repE0EEENS1_47radix_sort_onesweep_sort_config_static_selectorELNS0_4arch9wavefront6targetE1EEEvSE_, .Lfunc_end1827-_ZN7rocprim17ROCPRIM_400000_NS6detail17trampoline_kernelINS0_14default_configENS1_35radix_sort_onesweep_config_selectorIsNS0_10empty_typeEEEZZNS1_29radix_sort_onesweep_iterationIS3_Lb1EPsS8_PS5_S9_mNS0_19identity_decomposerENS1_16block_id_wrapperIjLb1EEEEE10hipError_tT1_PNSt15iterator_traitsISE_E10value_typeET2_T3_PNSF_ISK_E10value_typeET4_T5_PSP_SQ_PNS1_23onesweep_lookback_stateEbbT6_jjT7_P12ihipStream_tbENKUlT_T0_SE_SJ_E_clIS8_S8_S9_S9_EEDaSX_SY_SE_SJ_EUlSX_E_NS1_11comp_targetILNS1_3genE6ELNS1_11target_archE950ELNS1_3gpuE13ELNS1_3repE0EEENS1_47radix_sort_onesweep_sort_config_static_selectorELNS0_4arch9wavefront6targetE1EEEvSE_
                                        ; -- End function
	.section	.AMDGPU.csdata,"",@progbits
; Kernel info:
; codeLenInByte = 0
; NumSgprs: 4
; NumVgprs: 0
; NumAgprs: 0
; TotalNumVgprs: 0
; ScratchSize: 0
; MemoryBound: 0
; FloatMode: 240
; IeeeMode: 1
; LDSByteSize: 0 bytes/workgroup (compile time only)
; SGPRBlocks: 0
; VGPRBlocks: 0
; NumSGPRsForWavesPerEU: 4
; NumVGPRsForWavesPerEU: 1
; AccumOffset: 4
; Occupancy: 8
; WaveLimiterHint : 0
; COMPUTE_PGM_RSRC2:SCRATCH_EN: 0
; COMPUTE_PGM_RSRC2:USER_SGPR: 6
; COMPUTE_PGM_RSRC2:TRAP_HANDLER: 0
; COMPUTE_PGM_RSRC2:TGID_X_EN: 1
; COMPUTE_PGM_RSRC2:TGID_Y_EN: 0
; COMPUTE_PGM_RSRC2:TGID_Z_EN: 0
; COMPUTE_PGM_RSRC2:TIDIG_COMP_CNT: 0
; COMPUTE_PGM_RSRC3_GFX90A:ACCUM_OFFSET: 0
; COMPUTE_PGM_RSRC3_GFX90A:TG_SPLIT: 0
	.section	.text._ZN7rocprim17ROCPRIM_400000_NS6detail17trampoline_kernelINS0_14default_configENS1_35radix_sort_onesweep_config_selectorIsNS0_10empty_typeEEEZZNS1_29radix_sort_onesweep_iterationIS3_Lb1EPsS8_PS5_S9_mNS0_19identity_decomposerENS1_16block_id_wrapperIjLb1EEEEE10hipError_tT1_PNSt15iterator_traitsISE_E10value_typeET2_T3_PNSF_ISK_E10value_typeET4_T5_PSP_SQ_PNS1_23onesweep_lookback_stateEbbT6_jjT7_P12ihipStream_tbENKUlT_T0_SE_SJ_E_clIS8_S8_S9_S9_EEDaSX_SY_SE_SJ_EUlSX_E_NS1_11comp_targetILNS1_3genE5ELNS1_11target_archE942ELNS1_3gpuE9ELNS1_3repE0EEENS1_47radix_sort_onesweep_sort_config_static_selectorELNS0_4arch9wavefront6targetE1EEEvSE_,"axG",@progbits,_ZN7rocprim17ROCPRIM_400000_NS6detail17trampoline_kernelINS0_14default_configENS1_35radix_sort_onesweep_config_selectorIsNS0_10empty_typeEEEZZNS1_29radix_sort_onesweep_iterationIS3_Lb1EPsS8_PS5_S9_mNS0_19identity_decomposerENS1_16block_id_wrapperIjLb1EEEEE10hipError_tT1_PNSt15iterator_traitsISE_E10value_typeET2_T3_PNSF_ISK_E10value_typeET4_T5_PSP_SQ_PNS1_23onesweep_lookback_stateEbbT6_jjT7_P12ihipStream_tbENKUlT_T0_SE_SJ_E_clIS8_S8_S9_S9_EEDaSX_SY_SE_SJ_EUlSX_E_NS1_11comp_targetILNS1_3genE5ELNS1_11target_archE942ELNS1_3gpuE9ELNS1_3repE0EEENS1_47radix_sort_onesweep_sort_config_static_selectorELNS0_4arch9wavefront6targetE1EEEvSE_,comdat
	.protected	_ZN7rocprim17ROCPRIM_400000_NS6detail17trampoline_kernelINS0_14default_configENS1_35radix_sort_onesweep_config_selectorIsNS0_10empty_typeEEEZZNS1_29radix_sort_onesweep_iterationIS3_Lb1EPsS8_PS5_S9_mNS0_19identity_decomposerENS1_16block_id_wrapperIjLb1EEEEE10hipError_tT1_PNSt15iterator_traitsISE_E10value_typeET2_T3_PNSF_ISK_E10value_typeET4_T5_PSP_SQ_PNS1_23onesweep_lookback_stateEbbT6_jjT7_P12ihipStream_tbENKUlT_T0_SE_SJ_E_clIS8_S8_S9_S9_EEDaSX_SY_SE_SJ_EUlSX_E_NS1_11comp_targetILNS1_3genE5ELNS1_11target_archE942ELNS1_3gpuE9ELNS1_3repE0EEENS1_47radix_sort_onesweep_sort_config_static_selectorELNS0_4arch9wavefront6targetE1EEEvSE_ ; -- Begin function _ZN7rocprim17ROCPRIM_400000_NS6detail17trampoline_kernelINS0_14default_configENS1_35radix_sort_onesweep_config_selectorIsNS0_10empty_typeEEEZZNS1_29radix_sort_onesweep_iterationIS3_Lb1EPsS8_PS5_S9_mNS0_19identity_decomposerENS1_16block_id_wrapperIjLb1EEEEE10hipError_tT1_PNSt15iterator_traitsISE_E10value_typeET2_T3_PNSF_ISK_E10value_typeET4_T5_PSP_SQ_PNS1_23onesweep_lookback_stateEbbT6_jjT7_P12ihipStream_tbENKUlT_T0_SE_SJ_E_clIS8_S8_S9_S9_EEDaSX_SY_SE_SJ_EUlSX_E_NS1_11comp_targetILNS1_3genE5ELNS1_11target_archE942ELNS1_3gpuE9ELNS1_3repE0EEENS1_47radix_sort_onesweep_sort_config_static_selectorELNS0_4arch9wavefront6targetE1EEEvSE_
	.globl	_ZN7rocprim17ROCPRIM_400000_NS6detail17trampoline_kernelINS0_14default_configENS1_35radix_sort_onesweep_config_selectorIsNS0_10empty_typeEEEZZNS1_29radix_sort_onesweep_iterationIS3_Lb1EPsS8_PS5_S9_mNS0_19identity_decomposerENS1_16block_id_wrapperIjLb1EEEEE10hipError_tT1_PNSt15iterator_traitsISE_E10value_typeET2_T3_PNSF_ISK_E10value_typeET4_T5_PSP_SQ_PNS1_23onesweep_lookback_stateEbbT6_jjT7_P12ihipStream_tbENKUlT_T0_SE_SJ_E_clIS8_S8_S9_S9_EEDaSX_SY_SE_SJ_EUlSX_E_NS1_11comp_targetILNS1_3genE5ELNS1_11target_archE942ELNS1_3gpuE9ELNS1_3repE0EEENS1_47radix_sort_onesweep_sort_config_static_selectorELNS0_4arch9wavefront6targetE1EEEvSE_
	.p2align	8
	.type	_ZN7rocprim17ROCPRIM_400000_NS6detail17trampoline_kernelINS0_14default_configENS1_35radix_sort_onesweep_config_selectorIsNS0_10empty_typeEEEZZNS1_29radix_sort_onesweep_iterationIS3_Lb1EPsS8_PS5_S9_mNS0_19identity_decomposerENS1_16block_id_wrapperIjLb1EEEEE10hipError_tT1_PNSt15iterator_traitsISE_E10value_typeET2_T3_PNSF_ISK_E10value_typeET4_T5_PSP_SQ_PNS1_23onesweep_lookback_stateEbbT6_jjT7_P12ihipStream_tbENKUlT_T0_SE_SJ_E_clIS8_S8_S9_S9_EEDaSX_SY_SE_SJ_EUlSX_E_NS1_11comp_targetILNS1_3genE5ELNS1_11target_archE942ELNS1_3gpuE9ELNS1_3repE0EEENS1_47radix_sort_onesweep_sort_config_static_selectorELNS0_4arch9wavefront6targetE1EEEvSE_,@function
_ZN7rocprim17ROCPRIM_400000_NS6detail17trampoline_kernelINS0_14default_configENS1_35radix_sort_onesweep_config_selectorIsNS0_10empty_typeEEEZZNS1_29radix_sort_onesweep_iterationIS3_Lb1EPsS8_PS5_S9_mNS0_19identity_decomposerENS1_16block_id_wrapperIjLb1EEEEE10hipError_tT1_PNSt15iterator_traitsISE_E10value_typeET2_T3_PNSF_ISK_E10value_typeET4_T5_PSP_SQ_PNS1_23onesweep_lookback_stateEbbT6_jjT7_P12ihipStream_tbENKUlT_T0_SE_SJ_E_clIS8_S8_S9_S9_EEDaSX_SY_SE_SJ_EUlSX_E_NS1_11comp_targetILNS1_3genE5ELNS1_11target_archE942ELNS1_3gpuE9ELNS1_3repE0EEENS1_47radix_sort_onesweep_sort_config_static_selectorELNS0_4arch9wavefront6targetE1EEEvSE_: ; @_ZN7rocprim17ROCPRIM_400000_NS6detail17trampoline_kernelINS0_14default_configENS1_35radix_sort_onesweep_config_selectorIsNS0_10empty_typeEEEZZNS1_29radix_sort_onesweep_iterationIS3_Lb1EPsS8_PS5_S9_mNS0_19identity_decomposerENS1_16block_id_wrapperIjLb1EEEEE10hipError_tT1_PNSt15iterator_traitsISE_E10value_typeET2_T3_PNSF_ISK_E10value_typeET4_T5_PSP_SQ_PNS1_23onesweep_lookback_stateEbbT6_jjT7_P12ihipStream_tbENKUlT_T0_SE_SJ_E_clIS8_S8_S9_S9_EEDaSX_SY_SE_SJ_EUlSX_E_NS1_11comp_targetILNS1_3genE5ELNS1_11target_archE942ELNS1_3gpuE9ELNS1_3repE0EEENS1_47radix_sort_onesweep_sort_config_static_selectorELNS0_4arch9wavefront6targetE1EEEvSE_
; %bb.0:
	.section	.rodata,"a",@progbits
	.p2align	6, 0x0
	.amdhsa_kernel _ZN7rocprim17ROCPRIM_400000_NS6detail17trampoline_kernelINS0_14default_configENS1_35radix_sort_onesweep_config_selectorIsNS0_10empty_typeEEEZZNS1_29radix_sort_onesweep_iterationIS3_Lb1EPsS8_PS5_S9_mNS0_19identity_decomposerENS1_16block_id_wrapperIjLb1EEEEE10hipError_tT1_PNSt15iterator_traitsISE_E10value_typeET2_T3_PNSF_ISK_E10value_typeET4_T5_PSP_SQ_PNS1_23onesweep_lookback_stateEbbT6_jjT7_P12ihipStream_tbENKUlT_T0_SE_SJ_E_clIS8_S8_S9_S9_EEDaSX_SY_SE_SJ_EUlSX_E_NS1_11comp_targetILNS1_3genE5ELNS1_11target_archE942ELNS1_3gpuE9ELNS1_3repE0EEENS1_47radix_sort_onesweep_sort_config_static_selectorELNS0_4arch9wavefront6targetE1EEEvSE_
		.amdhsa_group_segment_fixed_size 0
		.amdhsa_private_segment_fixed_size 0
		.amdhsa_kernarg_size 88
		.amdhsa_user_sgpr_count 6
		.amdhsa_user_sgpr_private_segment_buffer 1
		.amdhsa_user_sgpr_dispatch_ptr 0
		.amdhsa_user_sgpr_queue_ptr 0
		.amdhsa_user_sgpr_kernarg_segment_ptr 1
		.amdhsa_user_sgpr_dispatch_id 0
		.amdhsa_user_sgpr_flat_scratch_init 0
		.amdhsa_user_sgpr_kernarg_preload_length 0
		.amdhsa_user_sgpr_kernarg_preload_offset 0
		.amdhsa_user_sgpr_private_segment_size 0
		.amdhsa_uses_dynamic_stack 0
		.amdhsa_system_sgpr_private_segment_wavefront_offset 0
		.amdhsa_system_sgpr_workgroup_id_x 1
		.amdhsa_system_sgpr_workgroup_id_y 0
		.amdhsa_system_sgpr_workgroup_id_z 0
		.amdhsa_system_sgpr_workgroup_info 0
		.amdhsa_system_vgpr_workitem_id 0
		.amdhsa_next_free_vgpr 1
		.amdhsa_next_free_sgpr 0
		.amdhsa_accum_offset 4
		.amdhsa_reserve_vcc 0
		.amdhsa_reserve_flat_scratch 0
		.amdhsa_float_round_mode_32 0
		.amdhsa_float_round_mode_16_64 0
		.amdhsa_float_denorm_mode_32 3
		.amdhsa_float_denorm_mode_16_64 3
		.amdhsa_dx10_clamp 1
		.amdhsa_ieee_mode 1
		.amdhsa_fp16_overflow 0
		.amdhsa_tg_split 0
		.amdhsa_exception_fp_ieee_invalid_op 0
		.amdhsa_exception_fp_denorm_src 0
		.amdhsa_exception_fp_ieee_div_zero 0
		.amdhsa_exception_fp_ieee_overflow 0
		.amdhsa_exception_fp_ieee_underflow 0
		.amdhsa_exception_fp_ieee_inexact 0
		.amdhsa_exception_int_div_zero 0
	.end_amdhsa_kernel
	.section	.text._ZN7rocprim17ROCPRIM_400000_NS6detail17trampoline_kernelINS0_14default_configENS1_35radix_sort_onesweep_config_selectorIsNS0_10empty_typeEEEZZNS1_29radix_sort_onesweep_iterationIS3_Lb1EPsS8_PS5_S9_mNS0_19identity_decomposerENS1_16block_id_wrapperIjLb1EEEEE10hipError_tT1_PNSt15iterator_traitsISE_E10value_typeET2_T3_PNSF_ISK_E10value_typeET4_T5_PSP_SQ_PNS1_23onesweep_lookback_stateEbbT6_jjT7_P12ihipStream_tbENKUlT_T0_SE_SJ_E_clIS8_S8_S9_S9_EEDaSX_SY_SE_SJ_EUlSX_E_NS1_11comp_targetILNS1_3genE5ELNS1_11target_archE942ELNS1_3gpuE9ELNS1_3repE0EEENS1_47radix_sort_onesweep_sort_config_static_selectorELNS0_4arch9wavefront6targetE1EEEvSE_,"axG",@progbits,_ZN7rocprim17ROCPRIM_400000_NS6detail17trampoline_kernelINS0_14default_configENS1_35radix_sort_onesweep_config_selectorIsNS0_10empty_typeEEEZZNS1_29radix_sort_onesweep_iterationIS3_Lb1EPsS8_PS5_S9_mNS0_19identity_decomposerENS1_16block_id_wrapperIjLb1EEEEE10hipError_tT1_PNSt15iterator_traitsISE_E10value_typeET2_T3_PNSF_ISK_E10value_typeET4_T5_PSP_SQ_PNS1_23onesweep_lookback_stateEbbT6_jjT7_P12ihipStream_tbENKUlT_T0_SE_SJ_E_clIS8_S8_S9_S9_EEDaSX_SY_SE_SJ_EUlSX_E_NS1_11comp_targetILNS1_3genE5ELNS1_11target_archE942ELNS1_3gpuE9ELNS1_3repE0EEENS1_47radix_sort_onesweep_sort_config_static_selectorELNS0_4arch9wavefront6targetE1EEEvSE_,comdat
.Lfunc_end1828:
	.size	_ZN7rocprim17ROCPRIM_400000_NS6detail17trampoline_kernelINS0_14default_configENS1_35radix_sort_onesweep_config_selectorIsNS0_10empty_typeEEEZZNS1_29radix_sort_onesweep_iterationIS3_Lb1EPsS8_PS5_S9_mNS0_19identity_decomposerENS1_16block_id_wrapperIjLb1EEEEE10hipError_tT1_PNSt15iterator_traitsISE_E10value_typeET2_T3_PNSF_ISK_E10value_typeET4_T5_PSP_SQ_PNS1_23onesweep_lookback_stateEbbT6_jjT7_P12ihipStream_tbENKUlT_T0_SE_SJ_E_clIS8_S8_S9_S9_EEDaSX_SY_SE_SJ_EUlSX_E_NS1_11comp_targetILNS1_3genE5ELNS1_11target_archE942ELNS1_3gpuE9ELNS1_3repE0EEENS1_47radix_sort_onesweep_sort_config_static_selectorELNS0_4arch9wavefront6targetE1EEEvSE_, .Lfunc_end1828-_ZN7rocprim17ROCPRIM_400000_NS6detail17trampoline_kernelINS0_14default_configENS1_35radix_sort_onesweep_config_selectorIsNS0_10empty_typeEEEZZNS1_29radix_sort_onesweep_iterationIS3_Lb1EPsS8_PS5_S9_mNS0_19identity_decomposerENS1_16block_id_wrapperIjLb1EEEEE10hipError_tT1_PNSt15iterator_traitsISE_E10value_typeET2_T3_PNSF_ISK_E10value_typeET4_T5_PSP_SQ_PNS1_23onesweep_lookback_stateEbbT6_jjT7_P12ihipStream_tbENKUlT_T0_SE_SJ_E_clIS8_S8_S9_S9_EEDaSX_SY_SE_SJ_EUlSX_E_NS1_11comp_targetILNS1_3genE5ELNS1_11target_archE942ELNS1_3gpuE9ELNS1_3repE0EEENS1_47radix_sort_onesweep_sort_config_static_selectorELNS0_4arch9wavefront6targetE1EEEvSE_
                                        ; -- End function
	.section	.AMDGPU.csdata,"",@progbits
; Kernel info:
; codeLenInByte = 0
; NumSgprs: 4
; NumVgprs: 0
; NumAgprs: 0
; TotalNumVgprs: 0
; ScratchSize: 0
; MemoryBound: 0
; FloatMode: 240
; IeeeMode: 1
; LDSByteSize: 0 bytes/workgroup (compile time only)
; SGPRBlocks: 0
; VGPRBlocks: 0
; NumSGPRsForWavesPerEU: 4
; NumVGPRsForWavesPerEU: 1
; AccumOffset: 4
; Occupancy: 8
; WaveLimiterHint : 0
; COMPUTE_PGM_RSRC2:SCRATCH_EN: 0
; COMPUTE_PGM_RSRC2:USER_SGPR: 6
; COMPUTE_PGM_RSRC2:TRAP_HANDLER: 0
; COMPUTE_PGM_RSRC2:TGID_X_EN: 1
; COMPUTE_PGM_RSRC2:TGID_Y_EN: 0
; COMPUTE_PGM_RSRC2:TGID_Z_EN: 0
; COMPUTE_PGM_RSRC2:TIDIG_COMP_CNT: 0
; COMPUTE_PGM_RSRC3_GFX90A:ACCUM_OFFSET: 0
; COMPUTE_PGM_RSRC3_GFX90A:TG_SPLIT: 0
	.section	.text._ZN7rocprim17ROCPRIM_400000_NS6detail17trampoline_kernelINS0_14default_configENS1_35radix_sort_onesweep_config_selectorIsNS0_10empty_typeEEEZZNS1_29radix_sort_onesweep_iterationIS3_Lb1EPsS8_PS5_S9_mNS0_19identity_decomposerENS1_16block_id_wrapperIjLb1EEEEE10hipError_tT1_PNSt15iterator_traitsISE_E10value_typeET2_T3_PNSF_ISK_E10value_typeET4_T5_PSP_SQ_PNS1_23onesweep_lookback_stateEbbT6_jjT7_P12ihipStream_tbENKUlT_T0_SE_SJ_E_clIS8_S8_S9_S9_EEDaSX_SY_SE_SJ_EUlSX_E_NS1_11comp_targetILNS1_3genE2ELNS1_11target_archE906ELNS1_3gpuE6ELNS1_3repE0EEENS1_47radix_sort_onesweep_sort_config_static_selectorELNS0_4arch9wavefront6targetE1EEEvSE_,"axG",@progbits,_ZN7rocprim17ROCPRIM_400000_NS6detail17trampoline_kernelINS0_14default_configENS1_35radix_sort_onesweep_config_selectorIsNS0_10empty_typeEEEZZNS1_29radix_sort_onesweep_iterationIS3_Lb1EPsS8_PS5_S9_mNS0_19identity_decomposerENS1_16block_id_wrapperIjLb1EEEEE10hipError_tT1_PNSt15iterator_traitsISE_E10value_typeET2_T3_PNSF_ISK_E10value_typeET4_T5_PSP_SQ_PNS1_23onesweep_lookback_stateEbbT6_jjT7_P12ihipStream_tbENKUlT_T0_SE_SJ_E_clIS8_S8_S9_S9_EEDaSX_SY_SE_SJ_EUlSX_E_NS1_11comp_targetILNS1_3genE2ELNS1_11target_archE906ELNS1_3gpuE6ELNS1_3repE0EEENS1_47radix_sort_onesweep_sort_config_static_selectorELNS0_4arch9wavefront6targetE1EEEvSE_,comdat
	.protected	_ZN7rocprim17ROCPRIM_400000_NS6detail17trampoline_kernelINS0_14default_configENS1_35radix_sort_onesweep_config_selectorIsNS0_10empty_typeEEEZZNS1_29radix_sort_onesweep_iterationIS3_Lb1EPsS8_PS5_S9_mNS0_19identity_decomposerENS1_16block_id_wrapperIjLb1EEEEE10hipError_tT1_PNSt15iterator_traitsISE_E10value_typeET2_T3_PNSF_ISK_E10value_typeET4_T5_PSP_SQ_PNS1_23onesweep_lookback_stateEbbT6_jjT7_P12ihipStream_tbENKUlT_T0_SE_SJ_E_clIS8_S8_S9_S9_EEDaSX_SY_SE_SJ_EUlSX_E_NS1_11comp_targetILNS1_3genE2ELNS1_11target_archE906ELNS1_3gpuE6ELNS1_3repE0EEENS1_47radix_sort_onesweep_sort_config_static_selectorELNS0_4arch9wavefront6targetE1EEEvSE_ ; -- Begin function _ZN7rocprim17ROCPRIM_400000_NS6detail17trampoline_kernelINS0_14default_configENS1_35radix_sort_onesweep_config_selectorIsNS0_10empty_typeEEEZZNS1_29radix_sort_onesweep_iterationIS3_Lb1EPsS8_PS5_S9_mNS0_19identity_decomposerENS1_16block_id_wrapperIjLb1EEEEE10hipError_tT1_PNSt15iterator_traitsISE_E10value_typeET2_T3_PNSF_ISK_E10value_typeET4_T5_PSP_SQ_PNS1_23onesweep_lookback_stateEbbT6_jjT7_P12ihipStream_tbENKUlT_T0_SE_SJ_E_clIS8_S8_S9_S9_EEDaSX_SY_SE_SJ_EUlSX_E_NS1_11comp_targetILNS1_3genE2ELNS1_11target_archE906ELNS1_3gpuE6ELNS1_3repE0EEENS1_47radix_sort_onesweep_sort_config_static_selectorELNS0_4arch9wavefront6targetE1EEEvSE_
	.globl	_ZN7rocprim17ROCPRIM_400000_NS6detail17trampoline_kernelINS0_14default_configENS1_35radix_sort_onesweep_config_selectorIsNS0_10empty_typeEEEZZNS1_29radix_sort_onesweep_iterationIS3_Lb1EPsS8_PS5_S9_mNS0_19identity_decomposerENS1_16block_id_wrapperIjLb1EEEEE10hipError_tT1_PNSt15iterator_traitsISE_E10value_typeET2_T3_PNSF_ISK_E10value_typeET4_T5_PSP_SQ_PNS1_23onesweep_lookback_stateEbbT6_jjT7_P12ihipStream_tbENKUlT_T0_SE_SJ_E_clIS8_S8_S9_S9_EEDaSX_SY_SE_SJ_EUlSX_E_NS1_11comp_targetILNS1_3genE2ELNS1_11target_archE906ELNS1_3gpuE6ELNS1_3repE0EEENS1_47radix_sort_onesweep_sort_config_static_selectorELNS0_4arch9wavefront6targetE1EEEvSE_
	.p2align	8
	.type	_ZN7rocprim17ROCPRIM_400000_NS6detail17trampoline_kernelINS0_14default_configENS1_35radix_sort_onesweep_config_selectorIsNS0_10empty_typeEEEZZNS1_29radix_sort_onesweep_iterationIS3_Lb1EPsS8_PS5_S9_mNS0_19identity_decomposerENS1_16block_id_wrapperIjLb1EEEEE10hipError_tT1_PNSt15iterator_traitsISE_E10value_typeET2_T3_PNSF_ISK_E10value_typeET4_T5_PSP_SQ_PNS1_23onesweep_lookback_stateEbbT6_jjT7_P12ihipStream_tbENKUlT_T0_SE_SJ_E_clIS8_S8_S9_S9_EEDaSX_SY_SE_SJ_EUlSX_E_NS1_11comp_targetILNS1_3genE2ELNS1_11target_archE906ELNS1_3gpuE6ELNS1_3repE0EEENS1_47radix_sort_onesweep_sort_config_static_selectorELNS0_4arch9wavefront6targetE1EEEvSE_,@function
_ZN7rocprim17ROCPRIM_400000_NS6detail17trampoline_kernelINS0_14default_configENS1_35radix_sort_onesweep_config_selectorIsNS0_10empty_typeEEEZZNS1_29radix_sort_onesweep_iterationIS3_Lb1EPsS8_PS5_S9_mNS0_19identity_decomposerENS1_16block_id_wrapperIjLb1EEEEE10hipError_tT1_PNSt15iterator_traitsISE_E10value_typeET2_T3_PNSF_ISK_E10value_typeET4_T5_PSP_SQ_PNS1_23onesweep_lookback_stateEbbT6_jjT7_P12ihipStream_tbENKUlT_T0_SE_SJ_E_clIS8_S8_S9_S9_EEDaSX_SY_SE_SJ_EUlSX_E_NS1_11comp_targetILNS1_3genE2ELNS1_11target_archE906ELNS1_3gpuE6ELNS1_3repE0EEENS1_47radix_sort_onesweep_sort_config_static_selectorELNS0_4arch9wavefront6targetE1EEEvSE_: ; @_ZN7rocprim17ROCPRIM_400000_NS6detail17trampoline_kernelINS0_14default_configENS1_35radix_sort_onesweep_config_selectorIsNS0_10empty_typeEEEZZNS1_29radix_sort_onesweep_iterationIS3_Lb1EPsS8_PS5_S9_mNS0_19identity_decomposerENS1_16block_id_wrapperIjLb1EEEEE10hipError_tT1_PNSt15iterator_traitsISE_E10value_typeET2_T3_PNSF_ISK_E10value_typeET4_T5_PSP_SQ_PNS1_23onesweep_lookback_stateEbbT6_jjT7_P12ihipStream_tbENKUlT_T0_SE_SJ_E_clIS8_S8_S9_S9_EEDaSX_SY_SE_SJ_EUlSX_E_NS1_11comp_targetILNS1_3genE2ELNS1_11target_archE906ELNS1_3gpuE6ELNS1_3repE0EEENS1_47radix_sort_onesweep_sort_config_static_selectorELNS0_4arch9wavefront6targetE1EEEvSE_
; %bb.0:
	.section	.rodata,"a",@progbits
	.p2align	6, 0x0
	.amdhsa_kernel _ZN7rocprim17ROCPRIM_400000_NS6detail17trampoline_kernelINS0_14default_configENS1_35radix_sort_onesweep_config_selectorIsNS0_10empty_typeEEEZZNS1_29radix_sort_onesweep_iterationIS3_Lb1EPsS8_PS5_S9_mNS0_19identity_decomposerENS1_16block_id_wrapperIjLb1EEEEE10hipError_tT1_PNSt15iterator_traitsISE_E10value_typeET2_T3_PNSF_ISK_E10value_typeET4_T5_PSP_SQ_PNS1_23onesweep_lookback_stateEbbT6_jjT7_P12ihipStream_tbENKUlT_T0_SE_SJ_E_clIS8_S8_S9_S9_EEDaSX_SY_SE_SJ_EUlSX_E_NS1_11comp_targetILNS1_3genE2ELNS1_11target_archE906ELNS1_3gpuE6ELNS1_3repE0EEENS1_47radix_sort_onesweep_sort_config_static_selectorELNS0_4arch9wavefront6targetE1EEEvSE_
		.amdhsa_group_segment_fixed_size 0
		.amdhsa_private_segment_fixed_size 0
		.amdhsa_kernarg_size 88
		.amdhsa_user_sgpr_count 6
		.amdhsa_user_sgpr_private_segment_buffer 1
		.amdhsa_user_sgpr_dispatch_ptr 0
		.amdhsa_user_sgpr_queue_ptr 0
		.amdhsa_user_sgpr_kernarg_segment_ptr 1
		.amdhsa_user_sgpr_dispatch_id 0
		.amdhsa_user_sgpr_flat_scratch_init 0
		.amdhsa_user_sgpr_kernarg_preload_length 0
		.amdhsa_user_sgpr_kernarg_preload_offset 0
		.amdhsa_user_sgpr_private_segment_size 0
		.amdhsa_uses_dynamic_stack 0
		.amdhsa_system_sgpr_private_segment_wavefront_offset 0
		.amdhsa_system_sgpr_workgroup_id_x 1
		.amdhsa_system_sgpr_workgroup_id_y 0
		.amdhsa_system_sgpr_workgroup_id_z 0
		.amdhsa_system_sgpr_workgroup_info 0
		.amdhsa_system_vgpr_workitem_id 0
		.amdhsa_next_free_vgpr 1
		.amdhsa_next_free_sgpr 0
		.amdhsa_accum_offset 4
		.amdhsa_reserve_vcc 0
		.amdhsa_reserve_flat_scratch 0
		.amdhsa_float_round_mode_32 0
		.amdhsa_float_round_mode_16_64 0
		.amdhsa_float_denorm_mode_32 3
		.amdhsa_float_denorm_mode_16_64 3
		.amdhsa_dx10_clamp 1
		.amdhsa_ieee_mode 1
		.amdhsa_fp16_overflow 0
		.amdhsa_tg_split 0
		.amdhsa_exception_fp_ieee_invalid_op 0
		.amdhsa_exception_fp_denorm_src 0
		.amdhsa_exception_fp_ieee_div_zero 0
		.amdhsa_exception_fp_ieee_overflow 0
		.amdhsa_exception_fp_ieee_underflow 0
		.amdhsa_exception_fp_ieee_inexact 0
		.amdhsa_exception_int_div_zero 0
	.end_amdhsa_kernel
	.section	.text._ZN7rocprim17ROCPRIM_400000_NS6detail17trampoline_kernelINS0_14default_configENS1_35radix_sort_onesweep_config_selectorIsNS0_10empty_typeEEEZZNS1_29radix_sort_onesweep_iterationIS3_Lb1EPsS8_PS5_S9_mNS0_19identity_decomposerENS1_16block_id_wrapperIjLb1EEEEE10hipError_tT1_PNSt15iterator_traitsISE_E10value_typeET2_T3_PNSF_ISK_E10value_typeET4_T5_PSP_SQ_PNS1_23onesweep_lookback_stateEbbT6_jjT7_P12ihipStream_tbENKUlT_T0_SE_SJ_E_clIS8_S8_S9_S9_EEDaSX_SY_SE_SJ_EUlSX_E_NS1_11comp_targetILNS1_3genE2ELNS1_11target_archE906ELNS1_3gpuE6ELNS1_3repE0EEENS1_47radix_sort_onesweep_sort_config_static_selectorELNS0_4arch9wavefront6targetE1EEEvSE_,"axG",@progbits,_ZN7rocprim17ROCPRIM_400000_NS6detail17trampoline_kernelINS0_14default_configENS1_35radix_sort_onesweep_config_selectorIsNS0_10empty_typeEEEZZNS1_29radix_sort_onesweep_iterationIS3_Lb1EPsS8_PS5_S9_mNS0_19identity_decomposerENS1_16block_id_wrapperIjLb1EEEEE10hipError_tT1_PNSt15iterator_traitsISE_E10value_typeET2_T3_PNSF_ISK_E10value_typeET4_T5_PSP_SQ_PNS1_23onesweep_lookback_stateEbbT6_jjT7_P12ihipStream_tbENKUlT_T0_SE_SJ_E_clIS8_S8_S9_S9_EEDaSX_SY_SE_SJ_EUlSX_E_NS1_11comp_targetILNS1_3genE2ELNS1_11target_archE906ELNS1_3gpuE6ELNS1_3repE0EEENS1_47radix_sort_onesweep_sort_config_static_selectorELNS0_4arch9wavefront6targetE1EEEvSE_,comdat
.Lfunc_end1829:
	.size	_ZN7rocprim17ROCPRIM_400000_NS6detail17trampoline_kernelINS0_14default_configENS1_35radix_sort_onesweep_config_selectorIsNS0_10empty_typeEEEZZNS1_29radix_sort_onesweep_iterationIS3_Lb1EPsS8_PS5_S9_mNS0_19identity_decomposerENS1_16block_id_wrapperIjLb1EEEEE10hipError_tT1_PNSt15iterator_traitsISE_E10value_typeET2_T3_PNSF_ISK_E10value_typeET4_T5_PSP_SQ_PNS1_23onesweep_lookback_stateEbbT6_jjT7_P12ihipStream_tbENKUlT_T0_SE_SJ_E_clIS8_S8_S9_S9_EEDaSX_SY_SE_SJ_EUlSX_E_NS1_11comp_targetILNS1_3genE2ELNS1_11target_archE906ELNS1_3gpuE6ELNS1_3repE0EEENS1_47radix_sort_onesweep_sort_config_static_selectorELNS0_4arch9wavefront6targetE1EEEvSE_, .Lfunc_end1829-_ZN7rocprim17ROCPRIM_400000_NS6detail17trampoline_kernelINS0_14default_configENS1_35radix_sort_onesweep_config_selectorIsNS0_10empty_typeEEEZZNS1_29radix_sort_onesweep_iterationIS3_Lb1EPsS8_PS5_S9_mNS0_19identity_decomposerENS1_16block_id_wrapperIjLb1EEEEE10hipError_tT1_PNSt15iterator_traitsISE_E10value_typeET2_T3_PNSF_ISK_E10value_typeET4_T5_PSP_SQ_PNS1_23onesweep_lookback_stateEbbT6_jjT7_P12ihipStream_tbENKUlT_T0_SE_SJ_E_clIS8_S8_S9_S9_EEDaSX_SY_SE_SJ_EUlSX_E_NS1_11comp_targetILNS1_3genE2ELNS1_11target_archE906ELNS1_3gpuE6ELNS1_3repE0EEENS1_47radix_sort_onesweep_sort_config_static_selectorELNS0_4arch9wavefront6targetE1EEEvSE_
                                        ; -- End function
	.section	.AMDGPU.csdata,"",@progbits
; Kernel info:
; codeLenInByte = 0
; NumSgprs: 4
; NumVgprs: 0
; NumAgprs: 0
; TotalNumVgprs: 0
; ScratchSize: 0
; MemoryBound: 0
; FloatMode: 240
; IeeeMode: 1
; LDSByteSize: 0 bytes/workgroup (compile time only)
; SGPRBlocks: 0
; VGPRBlocks: 0
; NumSGPRsForWavesPerEU: 4
; NumVGPRsForWavesPerEU: 1
; AccumOffset: 4
; Occupancy: 8
; WaveLimiterHint : 0
; COMPUTE_PGM_RSRC2:SCRATCH_EN: 0
; COMPUTE_PGM_RSRC2:USER_SGPR: 6
; COMPUTE_PGM_RSRC2:TRAP_HANDLER: 0
; COMPUTE_PGM_RSRC2:TGID_X_EN: 1
; COMPUTE_PGM_RSRC2:TGID_Y_EN: 0
; COMPUTE_PGM_RSRC2:TGID_Z_EN: 0
; COMPUTE_PGM_RSRC2:TIDIG_COMP_CNT: 0
; COMPUTE_PGM_RSRC3_GFX90A:ACCUM_OFFSET: 0
; COMPUTE_PGM_RSRC3_GFX90A:TG_SPLIT: 0
	.section	.text._ZN7rocprim17ROCPRIM_400000_NS6detail17trampoline_kernelINS0_14default_configENS1_35radix_sort_onesweep_config_selectorIsNS0_10empty_typeEEEZZNS1_29radix_sort_onesweep_iterationIS3_Lb1EPsS8_PS5_S9_mNS0_19identity_decomposerENS1_16block_id_wrapperIjLb1EEEEE10hipError_tT1_PNSt15iterator_traitsISE_E10value_typeET2_T3_PNSF_ISK_E10value_typeET4_T5_PSP_SQ_PNS1_23onesweep_lookback_stateEbbT6_jjT7_P12ihipStream_tbENKUlT_T0_SE_SJ_E_clIS8_S8_S9_S9_EEDaSX_SY_SE_SJ_EUlSX_E_NS1_11comp_targetILNS1_3genE4ELNS1_11target_archE910ELNS1_3gpuE8ELNS1_3repE0EEENS1_47radix_sort_onesweep_sort_config_static_selectorELNS0_4arch9wavefront6targetE1EEEvSE_,"axG",@progbits,_ZN7rocprim17ROCPRIM_400000_NS6detail17trampoline_kernelINS0_14default_configENS1_35radix_sort_onesweep_config_selectorIsNS0_10empty_typeEEEZZNS1_29radix_sort_onesweep_iterationIS3_Lb1EPsS8_PS5_S9_mNS0_19identity_decomposerENS1_16block_id_wrapperIjLb1EEEEE10hipError_tT1_PNSt15iterator_traitsISE_E10value_typeET2_T3_PNSF_ISK_E10value_typeET4_T5_PSP_SQ_PNS1_23onesweep_lookback_stateEbbT6_jjT7_P12ihipStream_tbENKUlT_T0_SE_SJ_E_clIS8_S8_S9_S9_EEDaSX_SY_SE_SJ_EUlSX_E_NS1_11comp_targetILNS1_3genE4ELNS1_11target_archE910ELNS1_3gpuE8ELNS1_3repE0EEENS1_47radix_sort_onesweep_sort_config_static_selectorELNS0_4arch9wavefront6targetE1EEEvSE_,comdat
	.protected	_ZN7rocprim17ROCPRIM_400000_NS6detail17trampoline_kernelINS0_14default_configENS1_35radix_sort_onesweep_config_selectorIsNS0_10empty_typeEEEZZNS1_29radix_sort_onesweep_iterationIS3_Lb1EPsS8_PS5_S9_mNS0_19identity_decomposerENS1_16block_id_wrapperIjLb1EEEEE10hipError_tT1_PNSt15iterator_traitsISE_E10value_typeET2_T3_PNSF_ISK_E10value_typeET4_T5_PSP_SQ_PNS1_23onesweep_lookback_stateEbbT6_jjT7_P12ihipStream_tbENKUlT_T0_SE_SJ_E_clIS8_S8_S9_S9_EEDaSX_SY_SE_SJ_EUlSX_E_NS1_11comp_targetILNS1_3genE4ELNS1_11target_archE910ELNS1_3gpuE8ELNS1_3repE0EEENS1_47radix_sort_onesweep_sort_config_static_selectorELNS0_4arch9wavefront6targetE1EEEvSE_ ; -- Begin function _ZN7rocprim17ROCPRIM_400000_NS6detail17trampoline_kernelINS0_14default_configENS1_35radix_sort_onesweep_config_selectorIsNS0_10empty_typeEEEZZNS1_29radix_sort_onesweep_iterationIS3_Lb1EPsS8_PS5_S9_mNS0_19identity_decomposerENS1_16block_id_wrapperIjLb1EEEEE10hipError_tT1_PNSt15iterator_traitsISE_E10value_typeET2_T3_PNSF_ISK_E10value_typeET4_T5_PSP_SQ_PNS1_23onesweep_lookback_stateEbbT6_jjT7_P12ihipStream_tbENKUlT_T0_SE_SJ_E_clIS8_S8_S9_S9_EEDaSX_SY_SE_SJ_EUlSX_E_NS1_11comp_targetILNS1_3genE4ELNS1_11target_archE910ELNS1_3gpuE8ELNS1_3repE0EEENS1_47radix_sort_onesweep_sort_config_static_selectorELNS0_4arch9wavefront6targetE1EEEvSE_
	.globl	_ZN7rocprim17ROCPRIM_400000_NS6detail17trampoline_kernelINS0_14default_configENS1_35radix_sort_onesweep_config_selectorIsNS0_10empty_typeEEEZZNS1_29radix_sort_onesweep_iterationIS3_Lb1EPsS8_PS5_S9_mNS0_19identity_decomposerENS1_16block_id_wrapperIjLb1EEEEE10hipError_tT1_PNSt15iterator_traitsISE_E10value_typeET2_T3_PNSF_ISK_E10value_typeET4_T5_PSP_SQ_PNS1_23onesweep_lookback_stateEbbT6_jjT7_P12ihipStream_tbENKUlT_T0_SE_SJ_E_clIS8_S8_S9_S9_EEDaSX_SY_SE_SJ_EUlSX_E_NS1_11comp_targetILNS1_3genE4ELNS1_11target_archE910ELNS1_3gpuE8ELNS1_3repE0EEENS1_47radix_sort_onesweep_sort_config_static_selectorELNS0_4arch9wavefront6targetE1EEEvSE_
	.p2align	8
	.type	_ZN7rocprim17ROCPRIM_400000_NS6detail17trampoline_kernelINS0_14default_configENS1_35radix_sort_onesweep_config_selectorIsNS0_10empty_typeEEEZZNS1_29radix_sort_onesweep_iterationIS3_Lb1EPsS8_PS5_S9_mNS0_19identity_decomposerENS1_16block_id_wrapperIjLb1EEEEE10hipError_tT1_PNSt15iterator_traitsISE_E10value_typeET2_T3_PNSF_ISK_E10value_typeET4_T5_PSP_SQ_PNS1_23onesweep_lookback_stateEbbT6_jjT7_P12ihipStream_tbENKUlT_T0_SE_SJ_E_clIS8_S8_S9_S9_EEDaSX_SY_SE_SJ_EUlSX_E_NS1_11comp_targetILNS1_3genE4ELNS1_11target_archE910ELNS1_3gpuE8ELNS1_3repE0EEENS1_47radix_sort_onesweep_sort_config_static_selectorELNS0_4arch9wavefront6targetE1EEEvSE_,@function
_ZN7rocprim17ROCPRIM_400000_NS6detail17trampoline_kernelINS0_14default_configENS1_35radix_sort_onesweep_config_selectorIsNS0_10empty_typeEEEZZNS1_29radix_sort_onesweep_iterationIS3_Lb1EPsS8_PS5_S9_mNS0_19identity_decomposerENS1_16block_id_wrapperIjLb1EEEEE10hipError_tT1_PNSt15iterator_traitsISE_E10value_typeET2_T3_PNSF_ISK_E10value_typeET4_T5_PSP_SQ_PNS1_23onesweep_lookback_stateEbbT6_jjT7_P12ihipStream_tbENKUlT_T0_SE_SJ_E_clIS8_S8_S9_S9_EEDaSX_SY_SE_SJ_EUlSX_E_NS1_11comp_targetILNS1_3genE4ELNS1_11target_archE910ELNS1_3gpuE8ELNS1_3repE0EEENS1_47radix_sort_onesweep_sort_config_static_selectorELNS0_4arch9wavefront6targetE1EEEvSE_: ; @_ZN7rocprim17ROCPRIM_400000_NS6detail17trampoline_kernelINS0_14default_configENS1_35radix_sort_onesweep_config_selectorIsNS0_10empty_typeEEEZZNS1_29radix_sort_onesweep_iterationIS3_Lb1EPsS8_PS5_S9_mNS0_19identity_decomposerENS1_16block_id_wrapperIjLb1EEEEE10hipError_tT1_PNSt15iterator_traitsISE_E10value_typeET2_T3_PNSF_ISK_E10value_typeET4_T5_PSP_SQ_PNS1_23onesweep_lookback_stateEbbT6_jjT7_P12ihipStream_tbENKUlT_T0_SE_SJ_E_clIS8_S8_S9_S9_EEDaSX_SY_SE_SJ_EUlSX_E_NS1_11comp_targetILNS1_3genE4ELNS1_11target_archE910ELNS1_3gpuE8ELNS1_3repE0EEENS1_47radix_sort_onesweep_sort_config_static_selectorELNS0_4arch9wavefront6targetE1EEEvSE_
; %bb.0:
	s_load_dwordx4 s[16:19], s[4:5], 0x28
	s_load_dwordx2 s[14:15], s[4:5], 0x38
	s_load_dwordx4 s[20:23], s[4:5], 0x44
	v_and_b32_e32 v10, 0x3ff, v0
	v_cmp_eq_u32_e64 s[0:1], 0, v10
	s_and_saveexec_b64 s[2:3], s[0:1]
	s_cbranch_execz .LBB1830_4
; %bb.1:
	s_mov_b64 s[10:11], exec
	v_mbcnt_lo_u32_b32 v1, s10, 0
	v_mbcnt_hi_u32_b32 v1, s11, v1
	v_cmp_eq_u32_e32 vcc, 0, v1
                                        ; implicit-def: $vgpr2
	s_and_saveexec_b64 s[8:9], vcc
	s_cbranch_execz .LBB1830_3
; %bb.2:
	s_load_dwordx2 s[12:13], s[4:5], 0x50
	s_bcnt1_i32_b64 s7, s[10:11]
	v_mov_b32_e32 v2, 0
	v_mov_b32_e32 v3, s7
	s_waitcnt lgkmcnt(0)
	global_atomic_add v2, v2, v3, s[12:13] glc
.LBB1830_3:
	s_or_b64 exec, exec, s[8:9]
	s_waitcnt vmcnt(0)
	v_readfirstlane_b32 s7, v2
	v_add_u32_e32 v1, s7, v1
	v_mov_b32_e32 v2, 0
	ds_write_b32 v2, v1 offset:26624
.LBB1830_4:
	s_or_b64 exec, exec, s[2:3]
	v_mov_b32_e32 v1, 0
	s_load_dwordx4 s[24:27], s[4:5], 0x0
	s_load_dword s2, s[4:5], 0x20
	s_waitcnt lgkmcnt(0)
	s_barrier
	ds_read_b32 v1, v1 offset:26624
	s_waitcnt lgkmcnt(0)
	s_barrier
	v_readfirstlane_b32 s30, v1
	v_cmp_le_u32_e32 vcc, s22, v1
	s_mul_i32 s28, s30, 0x3000
	v_mbcnt_lo_u32_b32 v1, -1, 0
	s_cbranch_vccz .LBB1830_100
; %bb.5:
	s_mul_i32 s7, s22, 0xffffd000
	s_mov_b32 s29, 0
	s_add_i32 s7, s7, s2
	s_lshl_b64 s[2:3], s[28:29], 1
	v_mbcnt_hi_u32_b32 v11, -1, v1
	s_add_u32 s2, s24, s2
	v_and_b32_e32 v2, 63, v11
	s_addc_u32 s3, s25, s3
	v_and_b32_e32 v3, 0x3c0, v10
	v_lshlrev_b32_e32 v4, 1, v2
	v_mul_u32_u24_e32 v3, 12, v3
	v_mov_b32_e32 v5, s3
	v_add_co_u32_e32 v4, vcc, s2, v4
	v_addc_co_u32_e32 v5, vcc, 0, v5, vcc
	v_lshlrev_b32_e32 v6, 1, v3
	s_mov_b32 s8, 0x80008000
	v_add_co_u32_e32 v12, vcc, v4, v6
	s_mov_b32 s9, s8
	v_addc_co_u32_e32 v13, vcc, 0, v5, vcc
	v_or_b32_e32 v14, v2, v3
	s_mov_b32 s10, s8
	s_mov_b32 s11, s8
	;; [unrolled: 1-line block ×4, first 2 shown]
	v_pk_mov_b32 v[2:3], s[8:9], s[8:9] op_sel:[0,1]
	v_cmp_gt_u32_e32 vcc, s7, v14
	v_pk_mov_b32 v[4:5], s[10:11], s[10:11] op_sel:[0,1]
	v_pk_mov_b32 v[6:7], s[12:13], s[12:13] op_sel:[0,1]
	;; [unrolled: 1-line block ×3, first 2 shown]
	s_and_saveexec_b64 s[2:3], vcc
	s_cbranch_execz .LBB1830_7
; %bb.6:
	global_load_ushort v2, v[12:13], off
	s_movk_i32 s8, 0x8000
	v_mov_b32_e32 v7, 0x5040100
	v_mov_b32_e32 v3, 0x80008000
	;; [unrolled: 1-line block ×5, first 2 shown]
	s_waitcnt vmcnt(0)
	v_perm_b32 v2, s8, v2, v7
	v_mov_b32_e32 v7, v3
.LBB1830_7:
	s_or_b64 exec, exec, s[2:3]
	v_or_b32_e32 v8, 64, v14
	v_cmp_gt_u32_e32 vcc, s7, v8
	s_and_saveexec_b64 s[2:3], vcc
	s_cbranch_execz .LBB1830_9
; %bb.8:
	global_load_ushort v8, v[12:13], off offset:128
	s_mov_b32 s8, 0x5040100
	s_waitcnt vmcnt(0)
	v_perm_b32 v2, v8, v2, s8
.LBB1830_9:
	s_or_b64 exec, exec, s[2:3]
	v_or_b32_e32 v8, 0x80, v14
	v_cmp_gt_u32_e32 vcc, s7, v8
	s_and_saveexec_b64 s[2:3], vcc
	s_cbranch_execz .LBB1830_11
; %bb.10:
	global_load_ushort v8, v[12:13], off offset:256
	s_mov_b32 s8, 0xffff
	s_waitcnt vmcnt(0)
	v_bfi_b32 v3, s8, v8, v3
.LBB1830_11:
	s_or_b64 exec, exec, s[2:3]
	v_or_b32_e32 v8, 0xc0, v14
	v_cmp_gt_u32_e32 vcc, s7, v8
	s_and_saveexec_b64 s[2:3], vcc
	s_cbranch_execz .LBB1830_13
; %bb.12:
	global_load_ushort v8, v[12:13], off offset:384
	s_mov_b32 s8, 0x5040100
	s_waitcnt vmcnt(0)
	v_perm_b32 v3, v8, v3, s8
.LBB1830_13:
	s_or_b64 exec, exec, s[2:3]
	v_add_u32_e32 v8, 0x100, v14
	v_cmp_gt_u32_e32 vcc, s7, v8
	s_and_saveexec_b64 s[2:3], vcc
	s_cbranch_execz .LBB1830_15
; %bb.14:
	global_load_ushort v8, v[12:13], off offset:512
	s_mov_b32 s8, 0xffff
	s_waitcnt vmcnt(0)
	v_bfi_b32 v4, s8, v8, v4
.LBB1830_15:
	s_or_b64 exec, exec, s[2:3]
	v_add_u32_e32 v8, 0x140, v14
	v_cmp_gt_u32_e32 vcc, s7, v8
	s_and_saveexec_b64 s[2:3], vcc
	s_cbranch_execz .LBB1830_17
; %bb.16:
	global_load_ushort v8, v[12:13], off offset:640
	s_mov_b32 s8, 0x5040100
	s_waitcnt vmcnt(0)
	v_perm_b32 v4, v8, v4, s8
.LBB1830_17:
	s_or_b64 exec, exec, s[2:3]
	v_add_u32_e32 v8, 0x180, v14
	v_cmp_gt_u32_e32 vcc, s7, v8
	s_and_saveexec_b64 s[2:3], vcc
	s_cbranch_execz .LBB1830_19
; %bb.18:
	global_load_ushort v8, v[12:13], off offset:768
	s_mov_b32 s8, 0xffff
	s_waitcnt vmcnt(0)
	v_bfi_b32 v5, s8, v8, v5
.LBB1830_19:
	s_or_b64 exec, exec, s[2:3]
	v_add_u32_e32 v8, 0x1c0, v14
	;; [unrolled: 22-line block ×4, first 2 shown]
	v_cmp_gt_u32_e32 vcc, s7, v8
	s_and_saveexec_b64 s[2:3], vcc
	s_cbranch_execz .LBB1830_29
; %bb.28:
	global_load_ushort v8, v[12:13], off offset:1408
	s_mov_b32 s8, 0x5040100
	s_waitcnt vmcnt(0)
	v_perm_b32 v7, v8, v7, s8
.LBB1830_29:
	s_or_b64 exec, exec, s[2:3]
	s_load_dword s2, s[4:5], 0x64
	s_load_dword s29, s[4:5], 0x58
	s_add_u32 s3, s4, 0x58
	s_addc_u32 s8, s5, 0
	v_mov_b32_e32 v8, 0
	s_waitcnt lgkmcnt(0)
	s_lshr_b32 s9, s2, 16
	s_cmp_lt_u32 s6, s29
	s_cselect_b32 s2, 12, 18
	s_add_u32 s2, s3, s2
	s_addc_u32 s3, s8, 0
	global_load_ushort v12, v8, s[2:3]
	v_xor_b32_e32 v14, 0x7fff, v2
	s_lshl_b32 s2, -1, s21
	v_lshrrev_b32_sdwa v16, s20, v14 dst_sel:DWORD dst_unused:UNUSED_PAD src0_sel:DWORD src1_sel:WORD_0
	s_not_b32 s31, s2
	v_and_b32_e32 v16, s31, v16
	v_and_b32_e32 v18, 1, v16
	v_bfe_u32 v9, v0, 10, 10
	v_bfe_u32 v13, v0, 20, 10
	v_add_co_u32_e32 v19, vcc, -1, v18
	v_mad_u32_u24 v13, v13, s9, v9
	v_lshlrev_b32_e32 v9, 30, v16
	v_addc_co_u32_e64 v20, s[2:3], 0, -1, vcc
	v_cmp_ne_u32_e32 vcc, 0, v18
	v_cmp_gt_i64_e64 s[2:3], 0, v[8:9]
	v_not_b32_e32 v18, v9
	v_lshlrev_b32_e32 v9, 29, v16
	v_xor_b32_e32 v20, vcc_hi, v20
	v_xor_b32_e32 v19, vcc_lo, v19
	v_ashrrev_i32_e32 v18, 31, v18
	v_cmp_gt_i64_e32 vcc, 0, v[8:9]
	v_not_b32_e32 v21, v9
	v_lshlrev_b32_e32 v9, 28, v16
	v_and_b32_e32 v20, exec_hi, v20
	v_and_b32_e32 v19, exec_lo, v19
	v_xor_b32_e32 v22, s3, v18
	v_xor_b32_e32 v18, s2, v18
	v_ashrrev_i32_e32 v21, 31, v21
	v_cmp_gt_i64_e64 s[2:3], 0, v[8:9]
	v_not_b32_e32 v23, v9
	v_lshlrev_b32_e32 v9, 27, v16
	v_and_b32_e32 v20, v20, v22
	v_and_b32_e32 v18, v19, v18
	v_xor_b32_e32 v19, vcc_hi, v21
	v_xor_b32_e32 v21, vcc_lo, v21
	v_ashrrev_i32_e32 v22, 31, v23
	v_cmp_gt_i64_e32 vcc, 0, v[8:9]
	v_not_b32_e32 v23, v9
	v_lshlrev_b32_e32 v9, 26, v16
	v_and_b32_e32 v19, v20, v19
	v_and_b32_e32 v18, v18, v21
	v_xor_b32_e32 v20, s3, v22
	v_xor_b32_e32 v21, s2, v22
	v_ashrrev_i32_e32 v22, 31, v23
	v_cmp_gt_i64_e64 s[2:3], 0, v[8:9]
	v_not_b32_e32 v23, v9
	v_lshlrev_b32_e32 v9, 25, v16
	v_and_b32_e32 v19, v19, v20
	v_and_b32_e32 v18, v18, v21
	v_xor_b32_e32 v20, vcc_hi, v22
	v_xor_b32_e32 v21, vcc_lo, v22
	v_ashrrev_i32_e32 v22, 31, v23
	v_cmp_gt_i64_e32 vcc, 0, v[8:9]
	v_not_b32_e32 v23, v9
	v_lshlrev_b32_e32 v9, 24, v16
	v_mul_u32_u24_e32 v17, 17, v16
	v_and_b32_e32 v16, v19, v20
	v_and_b32_e32 v18, v18, v21
	v_xor_b32_e32 v19, s3, v22
	v_xor_b32_e32 v20, s2, v22
	v_ashrrev_i32_e32 v21, 31, v23
	v_cmp_gt_i64_e64 s[2:3], 0, v[8:9]
	v_not_b32_e32 v9, v9
	v_and_b32_e32 v16, v16, v19
	v_and_b32_e32 v18, v18, v20
	v_xor_b32_e32 v19, vcc_hi, v21
	v_xor_b32_e32 v20, vcc_lo, v21
	v_ashrrev_i32_e32 v9, 31, v9
	v_and_b32_e32 v16, v16, v19
	v_and_b32_e32 v18, v18, v20
	v_mul_u32_u24_e32 v15, 5, v10
	s_movk_i32 s8, 0x7fff
	v_lshlrev_b32_e32 v15, 2, v15
	ds_write2_b32 v15, v8, v8 offset0:16 offset1:17
	ds_write2_b32 v15, v8, v8 offset0:18 offset1:19
	ds_write_b32 v15, v8 offset:80
	s_waitcnt lgkmcnt(0)
	s_barrier
	s_waitcnt vmcnt(0)
	v_mad_u64_u32 v[12:13], s[10:11], v13, v12, v[10:11]
	v_lshrrev_b32_e32 v26, 6, v12
	v_xor_b32_e32 v12, s3, v9
	v_xor_b32_e32 v9, s2, v9
	v_and_b32_e32 v13, v16, v12
	v_and_b32_e32 v12, v18, v9
	v_mbcnt_lo_u32_b32 v9, v12, 0
	v_mbcnt_hi_u32_b32 v16, v13, v9
	v_cmp_eq_u32_e32 vcc, 0, v16
	v_cmp_ne_u64_e64 s[2:3], 0, v[12:13]
	v_add_lshl_u32 v19, v26, v17, 2
	s_and_b64 s[10:11], s[2:3], vcc
	; wave barrier
	s_and_saveexec_b64 s[2:3], s[10:11]
	s_cbranch_execz .LBB1830_31
; %bb.30:
	v_bcnt_u32_b32 v9, v12, 0
	v_bcnt_u32_b32 v9, v13, v9
	ds_write_b32 v19, v9 offset:64
.LBB1830_31:
	s_or_b64 exec, exec, s[2:3]
	v_xor_b32_sdwa v17, v2, s8 dst_sel:DWORD dst_unused:UNUSED_PAD src0_sel:WORD_1 src1_sel:DWORD
	v_lshrrev_b32_sdwa v2, s20, v17 dst_sel:DWORD dst_unused:UNUSED_PAD src0_sel:DWORD src1_sel:WORD_0
	v_and_b32_e32 v2, s31, v2
	v_mul_u32_u24_e32 v9, 17, v2
	v_add_lshl_u32 v20, v26, v9, 2
	v_and_b32_e32 v9, 1, v2
	v_add_co_u32_e32 v12, vcc, -1, v9
	v_addc_co_u32_e64 v13, s[2:3], 0, -1, vcc
	v_cmp_ne_u32_e32 vcc, 0, v9
	v_xor_b32_e32 v9, vcc_hi, v13
	v_and_b32_e32 v13, exec_hi, v9
	v_lshlrev_b32_e32 v9, 30, v2
	v_xor_b32_e32 v12, vcc_lo, v12
	v_cmp_gt_i64_e32 vcc, 0, v[8:9]
	v_not_b32_e32 v9, v9
	v_ashrrev_i32_e32 v9, 31, v9
	v_and_b32_e32 v12, exec_lo, v12
	v_xor_b32_e32 v21, vcc_hi, v9
	v_xor_b32_e32 v9, vcc_lo, v9
	v_and_b32_e32 v12, v12, v9
	v_lshlrev_b32_e32 v9, 29, v2
	v_cmp_gt_i64_e32 vcc, 0, v[8:9]
	v_not_b32_e32 v9, v9
	v_ashrrev_i32_e32 v9, 31, v9
	v_and_b32_e32 v13, v13, v21
	v_xor_b32_e32 v21, vcc_hi, v9
	v_xor_b32_e32 v9, vcc_lo, v9
	v_and_b32_e32 v12, v12, v9
	v_lshlrev_b32_e32 v9, 28, v2
	v_cmp_gt_i64_e32 vcc, 0, v[8:9]
	v_not_b32_e32 v9, v9
	v_ashrrev_i32_e32 v9, 31, v9
	v_and_b32_e32 v13, v13, v21
	;; [unrolled: 8-line block ×5, first 2 shown]
	v_xor_b32_e32 v21, vcc_hi, v9
	v_xor_b32_e32 v9, vcc_lo, v9
	v_and_b32_e32 v12, v12, v9
	v_lshlrev_b32_e32 v9, 24, v2
	v_not_b32_e32 v2, v9
	v_cmp_gt_i64_e32 vcc, 0, v[8:9]
	v_ashrrev_i32_e32 v2, 31, v2
	v_and_b32_e32 v13, v13, v21
	v_xor_b32_e32 v8, vcc_hi, v2
	v_xor_b32_e32 v2, vcc_lo, v2
	; wave barrier
	ds_read_b32 v18, v20 offset:64
	v_and_b32_e32 v9, v13, v8
	v_and_b32_e32 v8, v12, v2
	v_mbcnt_lo_u32_b32 v2, v8, 0
	v_mbcnt_hi_u32_b32 v21, v9, v2
	v_cmp_eq_u32_e32 vcc, 0, v21
	v_cmp_ne_u64_e64 s[2:3], 0, v[8:9]
	s_and_b64 s[8:9], s[2:3], vcc
	; wave barrier
	s_and_saveexec_b64 s[2:3], s[8:9]
	s_cbranch_execz .LBB1830_33
; %bb.32:
	v_bcnt_u32_b32 v2, v8, 0
	v_bcnt_u32_b32 v2, v9, v2
	s_waitcnt lgkmcnt(0)
	v_add_u32_e32 v2, v18, v2
	ds_write_b32 v20, v2 offset:64
.LBB1830_33:
	s_or_b64 exec, exec, s[2:3]
	v_xor_b32_e32 v22, 0x7fff, v3
	v_lshrrev_b32_sdwa v2, s20, v22 dst_sel:DWORD dst_unused:UNUSED_PAD src0_sel:DWORD src1_sel:WORD_0
	v_and_b32_e32 v2, s31, v2
	v_and_b32_e32 v9, 1, v2
	v_add_co_u32_e32 v12, vcc, -1, v9
	v_addc_co_u32_e64 v13, s[2:3], 0, -1, vcc
	v_cmp_ne_u32_e32 vcc, 0, v9
	v_mul_u32_u24_e32 v8, 17, v2
	v_xor_b32_e32 v9, vcc_hi, v13
	v_add_lshl_u32 v24, v26, v8, 2
	v_mov_b32_e32 v8, 0
	v_and_b32_e32 v13, exec_hi, v9
	v_lshlrev_b32_e32 v9, 30, v2
	v_xor_b32_e32 v12, vcc_lo, v12
	v_cmp_gt_i64_e32 vcc, 0, v[8:9]
	v_not_b32_e32 v9, v9
	v_ashrrev_i32_e32 v9, 31, v9
	v_and_b32_e32 v12, exec_lo, v12
	v_xor_b32_e32 v25, vcc_hi, v9
	v_xor_b32_e32 v9, vcc_lo, v9
	v_and_b32_e32 v12, v12, v9
	v_lshlrev_b32_e32 v9, 29, v2
	v_cmp_gt_i64_e32 vcc, 0, v[8:9]
	v_not_b32_e32 v9, v9
	v_ashrrev_i32_e32 v9, 31, v9
	v_and_b32_e32 v13, v13, v25
	v_xor_b32_e32 v25, vcc_hi, v9
	v_xor_b32_e32 v9, vcc_lo, v9
	v_and_b32_e32 v12, v12, v9
	v_lshlrev_b32_e32 v9, 28, v2
	v_cmp_gt_i64_e32 vcc, 0, v[8:9]
	v_not_b32_e32 v9, v9
	v_ashrrev_i32_e32 v9, 31, v9
	v_and_b32_e32 v13, v13, v25
	v_xor_b32_e32 v25, vcc_hi, v9
	v_xor_b32_e32 v9, vcc_lo, v9
	v_and_b32_e32 v12, v12, v9
	v_lshlrev_b32_e32 v9, 27, v2
	v_cmp_gt_i64_e32 vcc, 0, v[8:9]
	v_not_b32_e32 v9, v9
	v_ashrrev_i32_e32 v9, 31, v9
	v_and_b32_e32 v13, v13, v25
	v_xor_b32_e32 v25, vcc_hi, v9
	v_xor_b32_e32 v9, vcc_lo, v9
	v_and_b32_e32 v12, v12, v9
	v_lshlrev_b32_e32 v9, 26, v2
	v_cmp_gt_i64_e32 vcc, 0, v[8:9]
	v_not_b32_e32 v9, v9
	v_ashrrev_i32_e32 v9, 31, v9
	v_and_b32_e32 v13, v13, v25
	v_xor_b32_e32 v25, vcc_hi, v9
	v_xor_b32_e32 v9, vcc_lo, v9
	v_and_b32_e32 v12, v12, v9
	v_lshlrev_b32_e32 v9, 25, v2
	v_cmp_gt_i64_e32 vcc, 0, v[8:9]
	v_not_b32_e32 v9, v9
	v_ashrrev_i32_e32 v9, 31, v9
	v_and_b32_e32 v13, v13, v25
	v_xor_b32_e32 v25, vcc_hi, v9
	v_xor_b32_e32 v9, vcc_lo, v9
	v_and_b32_e32 v12, v12, v9
	v_lshlrev_b32_e32 v9, 24, v2
	v_not_b32_e32 v2, v9
	v_cmp_gt_i64_e32 vcc, 0, v[8:9]
	v_ashrrev_i32_e32 v2, 31, v2
	v_xor_b32_e32 v9, vcc_hi, v2
	v_xor_b32_e32 v2, vcc_lo, v2
	; wave barrier
	ds_read_b32 v23, v24 offset:64
	v_and_b32_e32 v13, v13, v25
	v_and_b32_e32 v12, v12, v2
	;; [unrolled: 1-line block ×3, first 2 shown]
	v_mbcnt_lo_u32_b32 v2, v12, 0
	v_mbcnt_hi_u32_b32 v25, v13, v2
	v_cmp_eq_u32_e32 vcc, 0, v25
	v_cmp_ne_u64_e64 s[2:3], 0, v[12:13]
	s_movk_i32 s8, 0x7fff
	s_and_b64 s[10:11], s[2:3], vcc
	; wave barrier
	s_and_saveexec_b64 s[2:3], s[10:11]
	s_cbranch_execz .LBB1830_35
; %bb.34:
	v_bcnt_u32_b32 v2, v12, 0
	v_bcnt_u32_b32 v2, v13, v2
	s_waitcnt lgkmcnt(0)
	v_add_u32_e32 v2, v23, v2
	ds_write_b32 v24, v2 offset:64
.LBB1830_35:
	s_or_b64 exec, exec, s[2:3]
	v_xor_b32_sdwa v12, v3, s8 dst_sel:DWORD dst_unused:UNUSED_PAD src0_sel:WORD_1 src1_sel:DWORD
	v_lshrrev_b32_sdwa v2, s20, v12 dst_sel:DWORD dst_unused:UNUSED_PAD src0_sel:DWORD src1_sel:WORD_0
	v_and_b32_e32 v2, s31, v2
	v_mul_u32_u24_e32 v3, 17, v2
	v_add_lshl_u32 v27, v26, v3, 2
	v_and_b32_e32 v3, 1, v2
	v_add_co_u32_e32 v9, vcc, -1, v3
	v_addc_co_u32_e64 v28, s[2:3], 0, -1, vcc
	v_cmp_ne_u32_e32 vcc, 0, v3
	v_xor_b32_e32 v9, vcc_lo, v9
	v_xor_b32_e32 v3, vcc_hi, v28
	v_and_b32_e32 v28, exec_lo, v9
	v_lshlrev_b32_e32 v9, 30, v2
	v_cmp_gt_i64_e32 vcc, 0, v[8:9]
	v_not_b32_e32 v9, v9
	v_ashrrev_i32_e32 v9, 31, v9
	v_xor_b32_e32 v29, vcc_hi, v9
	v_xor_b32_e32 v9, vcc_lo, v9
	v_and_b32_e32 v28, v28, v9
	v_lshlrev_b32_e32 v9, 29, v2
	v_cmp_gt_i64_e32 vcc, 0, v[8:9]
	v_not_b32_e32 v9, v9
	v_and_b32_e32 v3, exec_hi, v3
	v_ashrrev_i32_e32 v9, 31, v9
	v_and_b32_e32 v3, v3, v29
	v_xor_b32_e32 v29, vcc_hi, v9
	v_xor_b32_e32 v9, vcc_lo, v9
	v_and_b32_e32 v28, v28, v9
	v_lshlrev_b32_e32 v9, 28, v2
	v_cmp_gt_i64_e32 vcc, 0, v[8:9]
	v_not_b32_e32 v9, v9
	v_ashrrev_i32_e32 v9, 31, v9
	v_and_b32_e32 v3, v3, v29
	v_xor_b32_e32 v29, vcc_hi, v9
	v_xor_b32_e32 v9, vcc_lo, v9
	v_and_b32_e32 v28, v28, v9
	v_lshlrev_b32_e32 v9, 27, v2
	v_cmp_gt_i64_e32 vcc, 0, v[8:9]
	v_not_b32_e32 v9, v9
	;; [unrolled: 8-line block ×4, first 2 shown]
	v_ashrrev_i32_e32 v9, 31, v9
	v_and_b32_e32 v3, v3, v29
	v_xor_b32_e32 v29, vcc_hi, v9
	v_xor_b32_e32 v9, vcc_lo, v9
	v_and_b32_e32 v28, v28, v9
	v_lshlrev_b32_e32 v9, 24, v2
	v_not_b32_e32 v2, v9
	v_cmp_gt_i64_e32 vcc, 0, v[8:9]
	v_ashrrev_i32_e32 v2, 31, v2
	v_xor_b32_e32 v8, vcc_hi, v2
	v_xor_b32_e32 v2, vcc_lo, v2
	; wave barrier
	ds_read_b32 v13, v27 offset:64
	v_and_b32_e32 v3, v3, v29
	v_and_b32_e32 v2, v28, v2
	;; [unrolled: 1-line block ×3, first 2 shown]
	v_mbcnt_lo_u32_b32 v8, v2, 0
	v_mbcnt_hi_u32_b32 v28, v3, v8
	v_cmp_eq_u32_e32 vcc, 0, v28
	v_cmp_ne_u64_e64 s[2:3], 0, v[2:3]
	s_and_b64 s[8:9], s[2:3], vcc
	; wave barrier
	s_and_saveexec_b64 s[2:3], s[8:9]
	s_cbranch_execz .LBB1830_37
; %bb.36:
	v_bcnt_u32_b32 v2, v2, 0
	v_bcnt_u32_b32 v2, v3, v2
	s_waitcnt lgkmcnt(0)
	v_add_u32_e32 v2, v13, v2
	ds_write_b32 v27, v2 offset:64
.LBB1830_37:
	s_or_b64 exec, exec, s[2:3]
	v_xor_b32_e32 v29, 0x7fff, v4
	v_lshrrev_b32_sdwa v2, s20, v29 dst_sel:DWORD dst_unused:UNUSED_PAD src0_sel:DWORD src1_sel:WORD_0
	v_and_b32_e32 v8, s31, v2
	v_and_b32_e32 v3, 1, v8
	v_add_co_u32_e32 v9, vcc, -1, v3
	v_addc_co_u32_e64 v32, s[2:3], 0, -1, vcc
	v_cmp_ne_u32_e32 vcc, 0, v3
	v_mul_u32_u24_e32 v2, 17, v8
	v_xor_b32_e32 v3, vcc_hi, v32
	v_add_lshl_u32 v31, v26, v2, 2
	v_mov_b32_e32 v2, 0
	v_and_b32_e32 v32, exec_hi, v3
	v_lshlrev_b32_e32 v3, 30, v8
	v_xor_b32_e32 v9, vcc_lo, v9
	v_cmp_gt_i64_e32 vcc, 0, v[2:3]
	v_not_b32_e32 v3, v3
	v_ashrrev_i32_e32 v3, 31, v3
	v_and_b32_e32 v9, exec_lo, v9
	v_xor_b32_e32 v33, vcc_hi, v3
	v_xor_b32_e32 v3, vcc_lo, v3
	v_and_b32_e32 v9, v9, v3
	v_lshlrev_b32_e32 v3, 29, v8
	v_cmp_gt_i64_e32 vcc, 0, v[2:3]
	v_not_b32_e32 v3, v3
	v_ashrrev_i32_e32 v3, 31, v3
	v_and_b32_e32 v32, v32, v33
	v_xor_b32_e32 v33, vcc_hi, v3
	v_xor_b32_e32 v3, vcc_lo, v3
	v_and_b32_e32 v9, v9, v3
	v_lshlrev_b32_e32 v3, 28, v8
	v_cmp_gt_i64_e32 vcc, 0, v[2:3]
	v_not_b32_e32 v3, v3
	v_ashrrev_i32_e32 v3, 31, v3
	v_and_b32_e32 v32, v32, v33
	;; [unrolled: 8-line block ×5, first 2 shown]
	v_xor_b32_e32 v33, vcc_hi, v3
	v_xor_b32_e32 v3, vcc_lo, v3
	v_and_b32_e32 v32, v32, v33
	v_and_b32_e32 v33, v9, v3
	v_lshlrev_b32_e32 v3, 24, v8
	v_cmp_gt_i64_e32 vcc, 0, v[2:3]
	v_not_b32_e32 v3, v3
	v_ashrrev_i32_e32 v3, 31, v3
	v_xor_b32_e32 v8, vcc_hi, v3
	v_xor_b32_e32 v3, vcc_lo, v3
	; wave barrier
	ds_read_b32 v30, v31 offset:64
	v_and_b32_e32 v9, v32, v8
	v_and_b32_e32 v8, v33, v3
	v_mbcnt_lo_u32_b32 v3, v8, 0
	v_mbcnt_hi_u32_b32 v33, v9, v3
	v_cmp_eq_u32_e32 vcc, 0, v33
	v_cmp_ne_u64_e64 s[2:3], 0, v[8:9]
	s_movk_i32 s8, 0x7fff
	s_and_b64 s[10:11], s[2:3], vcc
	; wave barrier
	s_and_saveexec_b64 s[2:3], s[10:11]
	s_cbranch_execz .LBB1830_39
; %bb.38:
	v_bcnt_u32_b32 v3, v8, 0
	v_bcnt_u32_b32 v3, v9, v3
	s_waitcnt lgkmcnt(0)
	v_add_u32_e32 v3, v30, v3
	ds_write_b32 v31, v3 offset:64
.LBB1830_39:
	s_or_b64 exec, exec, s[2:3]
	v_xor_b32_sdwa v32, v4, s8 dst_sel:DWORD dst_unused:UNUSED_PAD src0_sel:WORD_1 src1_sel:DWORD
	v_lshrrev_b32_sdwa v3, s20, v32 dst_sel:DWORD dst_unused:UNUSED_PAD src0_sel:DWORD src1_sel:WORD_0
	v_and_b32_e32 v4, s31, v3
	v_mul_u32_u24_e32 v3, 17, v4
	v_add_lshl_u32 v35, v26, v3, 2
	v_and_b32_e32 v3, 1, v4
	v_add_co_u32_e32 v8, vcc, -1, v3
	v_addc_co_u32_e64 v9, s[2:3], 0, -1, vcc
	v_cmp_ne_u32_e32 vcc, 0, v3
	v_xor_b32_e32 v3, vcc_hi, v9
	v_and_b32_e32 v9, exec_hi, v3
	v_lshlrev_b32_e32 v3, 30, v4
	v_xor_b32_e32 v8, vcc_lo, v8
	v_cmp_gt_i64_e32 vcc, 0, v[2:3]
	v_not_b32_e32 v3, v3
	v_ashrrev_i32_e32 v3, 31, v3
	v_and_b32_e32 v8, exec_lo, v8
	v_xor_b32_e32 v36, vcc_hi, v3
	v_xor_b32_e32 v3, vcc_lo, v3
	v_and_b32_e32 v8, v8, v3
	v_lshlrev_b32_e32 v3, 29, v4
	v_cmp_gt_i64_e32 vcc, 0, v[2:3]
	v_not_b32_e32 v3, v3
	v_ashrrev_i32_e32 v3, 31, v3
	v_and_b32_e32 v9, v9, v36
	v_xor_b32_e32 v36, vcc_hi, v3
	v_xor_b32_e32 v3, vcc_lo, v3
	v_and_b32_e32 v8, v8, v3
	v_lshlrev_b32_e32 v3, 28, v4
	v_cmp_gt_i64_e32 vcc, 0, v[2:3]
	v_not_b32_e32 v3, v3
	v_ashrrev_i32_e32 v3, 31, v3
	v_and_b32_e32 v9, v9, v36
	;; [unrolled: 8-line block ×5, first 2 shown]
	v_xor_b32_e32 v36, vcc_hi, v3
	v_xor_b32_e32 v3, vcc_lo, v3
	v_and_b32_e32 v8, v8, v3
	v_lshlrev_b32_e32 v3, 24, v4
	v_cmp_gt_i64_e32 vcc, 0, v[2:3]
	v_not_b32_e32 v2, v3
	v_ashrrev_i32_e32 v2, 31, v2
	v_xor_b32_e32 v3, vcc_hi, v2
	v_xor_b32_e32 v2, vcc_lo, v2
	; wave barrier
	ds_read_b32 v34, v35 offset:64
	v_and_b32_e32 v9, v9, v36
	v_and_b32_e32 v2, v8, v2
	;; [unrolled: 1-line block ×3, first 2 shown]
	v_mbcnt_lo_u32_b32 v4, v2, 0
	v_mbcnt_hi_u32_b32 v37, v3, v4
	v_cmp_eq_u32_e32 vcc, 0, v37
	v_cmp_ne_u64_e64 s[2:3], 0, v[2:3]
	s_and_b64 s[8:9], s[2:3], vcc
	; wave barrier
	s_and_saveexec_b64 s[2:3], s[8:9]
	s_cbranch_execz .LBB1830_41
; %bb.40:
	v_bcnt_u32_b32 v2, v2, 0
	v_bcnt_u32_b32 v2, v3, v2
	s_waitcnt lgkmcnt(0)
	v_add_u32_e32 v2, v34, v2
	ds_write_b32 v35, v2 offset:64
.LBB1830_41:
	s_or_b64 exec, exec, s[2:3]
	v_xor_b32_e32 v36, 0x7fff, v5
	v_lshrrev_b32_sdwa v2, s20, v36 dst_sel:DWORD dst_unused:UNUSED_PAD src0_sel:DWORD src1_sel:WORD_0
	v_and_b32_e32 v4, s31, v2
	v_and_b32_e32 v3, 1, v4
	v_add_co_u32_e32 v8, vcc, -1, v3
	v_addc_co_u32_e64 v9, s[2:3], 0, -1, vcc
	v_cmp_ne_u32_e32 vcc, 0, v3
	v_mul_u32_u24_e32 v2, 17, v4
	v_xor_b32_e32 v3, vcc_hi, v9
	v_add_lshl_u32 v39, v26, v2, 2
	v_mov_b32_e32 v2, 0
	v_and_b32_e32 v9, exec_hi, v3
	v_lshlrev_b32_e32 v3, 30, v4
	v_xor_b32_e32 v8, vcc_lo, v8
	v_cmp_gt_i64_e32 vcc, 0, v[2:3]
	v_not_b32_e32 v3, v3
	v_ashrrev_i32_e32 v3, 31, v3
	v_and_b32_e32 v8, exec_lo, v8
	v_xor_b32_e32 v40, vcc_hi, v3
	v_xor_b32_e32 v3, vcc_lo, v3
	v_and_b32_e32 v8, v8, v3
	v_lshlrev_b32_e32 v3, 29, v4
	v_cmp_gt_i64_e32 vcc, 0, v[2:3]
	v_not_b32_e32 v3, v3
	v_ashrrev_i32_e32 v3, 31, v3
	v_and_b32_e32 v9, v9, v40
	v_xor_b32_e32 v40, vcc_hi, v3
	v_xor_b32_e32 v3, vcc_lo, v3
	v_and_b32_e32 v8, v8, v3
	v_lshlrev_b32_e32 v3, 28, v4
	v_cmp_gt_i64_e32 vcc, 0, v[2:3]
	v_not_b32_e32 v3, v3
	v_ashrrev_i32_e32 v3, 31, v3
	v_and_b32_e32 v9, v9, v40
	v_xor_b32_e32 v40, vcc_hi, v3
	v_xor_b32_e32 v3, vcc_lo, v3
	v_and_b32_e32 v8, v8, v3
	v_lshlrev_b32_e32 v3, 27, v4
	v_cmp_gt_i64_e32 vcc, 0, v[2:3]
	v_not_b32_e32 v3, v3
	v_ashrrev_i32_e32 v3, 31, v3
	v_and_b32_e32 v9, v9, v40
	v_xor_b32_e32 v40, vcc_hi, v3
	v_xor_b32_e32 v3, vcc_lo, v3
	v_and_b32_e32 v8, v8, v3
	v_lshlrev_b32_e32 v3, 26, v4
	v_cmp_gt_i64_e32 vcc, 0, v[2:3]
	v_not_b32_e32 v3, v3
	v_ashrrev_i32_e32 v3, 31, v3
	v_and_b32_e32 v9, v9, v40
	v_xor_b32_e32 v40, vcc_hi, v3
	v_xor_b32_e32 v3, vcc_lo, v3
	v_and_b32_e32 v8, v8, v3
	v_lshlrev_b32_e32 v3, 25, v4
	v_cmp_gt_i64_e32 vcc, 0, v[2:3]
	v_not_b32_e32 v3, v3
	v_ashrrev_i32_e32 v3, 31, v3
	v_and_b32_e32 v9, v9, v40
	v_xor_b32_e32 v40, vcc_hi, v3
	v_xor_b32_e32 v3, vcc_lo, v3
	v_and_b32_e32 v8, v8, v3
	v_lshlrev_b32_e32 v3, 24, v4
	v_cmp_gt_i64_e32 vcc, 0, v[2:3]
	v_not_b32_e32 v3, v3
	v_ashrrev_i32_e32 v3, 31, v3
	v_xor_b32_e32 v4, vcc_hi, v3
	v_xor_b32_e32 v3, vcc_lo, v3
	; wave barrier
	ds_read_b32 v38, v39 offset:64
	v_and_b32_e32 v9, v9, v40
	v_and_b32_e32 v8, v8, v3
	;; [unrolled: 1-line block ×3, first 2 shown]
	v_mbcnt_lo_u32_b32 v3, v8, 0
	v_mbcnt_hi_u32_b32 v40, v9, v3
	v_cmp_eq_u32_e32 vcc, 0, v40
	v_cmp_ne_u64_e64 s[2:3], 0, v[8:9]
	s_movk_i32 s8, 0x7fff
	s_and_b64 s[10:11], s[2:3], vcc
	; wave barrier
	s_and_saveexec_b64 s[2:3], s[10:11]
	s_cbranch_execz .LBB1830_43
; %bb.42:
	v_bcnt_u32_b32 v3, v8, 0
	v_bcnt_u32_b32 v3, v9, v3
	s_waitcnt lgkmcnt(0)
	v_add_u32_e32 v3, v38, v3
	ds_write_b32 v39, v3 offset:64
.LBB1830_43:
	s_or_b64 exec, exec, s[2:3]
	v_xor_b32_sdwa v8, v5, s8 dst_sel:DWORD dst_unused:UNUSED_PAD src0_sel:WORD_1 src1_sel:DWORD
	v_lshrrev_b32_sdwa v3, s20, v8 dst_sel:DWORD dst_unused:UNUSED_PAD src0_sel:DWORD src1_sel:WORD_0
	v_and_b32_e32 v4, s31, v3
	v_mul_u32_u24_e32 v3, 17, v4
	v_add_lshl_u32 v41, v26, v3, 2
	v_and_b32_e32 v3, 1, v4
	v_add_co_u32_e32 v5, vcc, -1, v3
	v_addc_co_u32_e64 v42, s[2:3], 0, -1, vcc
	v_cmp_ne_u32_e32 vcc, 0, v3
	v_xor_b32_e32 v3, vcc_hi, v42
	v_and_b32_e32 v42, exec_hi, v3
	v_lshlrev_b32_e32 v3, 30, v4
	v_xor_b32_e32 v5, vcc_lo, v5
	v_cmp_gt_i64_e32 vcc, 0, v[2:3]
	v_not_b32_e32 v3, v3
	v_ashrrev_i32_e32 v3, 31, v3
	v_and_b32_e32 v5, exec_lo, v5
	v_xor_b32_e32 v43, vcc_hi, v3
	v_xor_b32_e32 v3, vcc_lo, v3
	v_and_b32_e32 v5, v5, v3
	v_lshlrev_b32_e32 v3, 29, v4
	v_cmp_gt_i64_e32 vcc, 0, v[2:3]
	v_not_b32_e32 v3, v3
	v_ashrrev_i32_e32 v3, 31, v3
	v_and_b32_e32 v42, v42, v43
	v_xor_b32_e32 v43, vcc_hi, v3
	v_xor_b32_e32 v3, vcc_lo, v3
	v_and_b32_e32 v5, v5, v3
	v_lshlrev_b32_e32 v3, 28, v4
	v_cmp_gt_i64_e32 vcc, 0, v[2:3]
	v_not_b32_e32 v3, v3
	v_ashrrev_i32_e32 v3, 31, v3
	v_and_b32_e32 v42, v42, v43
	;; [unrolled: 8-line block ×5, first 2 shown]
	v_xor_b32_e32 v43, vcc_hi, v3
	v_xor_b32_e32 v3, vcc_lo, v3
	v_and_b32_e32 v5, v5, v3
	v_lshlrev_b32_e32 v3, 24, v4
	v_cmp_gt_i64_e32 vcc, 0, v[2:3]
	v_not_b32_e32 v2, v3
	v_ashrrev_i32_e32 v2, 31, v2
	v_xor_b32_e32 v3, vcc_hi, v2
	v_xor_b32_e32 v2, vcc_lo, v2
	; wave barrier
	ds_read_b32 v9, v41 offset:64
	v_and_b32_e32 v42, v42, v43
	v_and_b32_e32 v2, v5, v2
	;; [unrolled: 1-line block ×3, first 2 shown]
	v_mbcnt_lo_u32_b32 v4, v2, 0
	v_mbcnt_hi_u32_b32 v43, v3, v4
	v_cmp_eq_u32_e32 vcc, 0, v43
	v_cmp_ne_u64_e64 s[2:3], 0, v[2:3]
	s_and_b64 s[8:9], s[2:3], vcc
	; wave barrier
	s_and_saveexec_b64 s[2:3], s[8:9]
	s_cbranch_execz .LBB1830_45
; %bb.44:
	v_bcnt_u32_b32 v2, v2, 0
	v_bcnt_u32_b32 v2, v3, v2
	s_waitcnt lgkmcnt(0)
	v_add_u32_e32 v2, v9, v2
	ds_write_b32 v41, v2 offset:64
.LBB1830_45:
	s_or_b64 exec, exec, s[2:3]
	v_xor_b32_e32 v42, 0x7fff, v6
	v_lshrrev_b32_sdwa v2, s20, v42 dst_sel:DWORD dst_unused:UNUSED_PAD src0_sel:DWORD src1_sel:WORD_0
	v_and_b32_e32 v4, s31, v2
	v_and_b32_e32 v3, 1, v4
	v_add_co_u32_e32 v5, vcc, -1, v3
	v_addc_co_u32_e64 v46, s[2:3], 0, -1, vcc
	v_cmp_ne_u32_e32 vcc, 0, v3
	v_mul_u32_u24_e32 v2, 17, v4
	v_xor_b32_e32 v3, vcc_hi, v46
	v_add_lshl_u32 v45, v26, v2, 2
	v_mov_b32_e32 v2, 0
	v_and_b32_e32 v46, exec_hi, v3
	v_lshlrev_b32_e32 v3, 30, v4
	v_xor_b32_e32 v5, vcc_lo, v5
	v_cmp_gt_i64_e32 vcc, 0, v[2:3]
	v_not_b32_e32 v3, v3
	v_ashrrev_i32_e32 v3, 31, v3
	v_and_b32_e32 v5, exec_lo, v5
	v_xor_b32_e32 v47, vcc_hi, v3
	v_xor_b32_e32 v3, vcc_lo, v3
	v_and_b32_e32 v5, v5, v3
	v_lshlrev_b32_e32 v3, 29, v4
	v_cmp_gt_i64_e32 vcc, 0, v[2:3]
	v_not_b32_e32 v3, v3
	v_ashrrev_i32_e32 v3, 31, v3
	v_and_b32_e32 v46, v46, v47
	v_xor_b32_e32 v47, vcc_hi, v3
	v_xor_b32_e32 v3, vcc_lo, v3
	v_and_b32_e32 v5, v5, v3
	v_lshlrev_b32_e32 v3, 28, v4
	v_cmp_gt_i64_e32 vcc, 0, v[2:3]
	v_not_b32_e32 v3, v3
	v_ashrrev_i32_e32 v3, 31, v3
	v_and_b32_e32 v46, v46, v47
	;; [unrolled: 8-line block ×5, first 2 shown]
	v_xor_b32_e32 v47, vcc_hi, v3
	v_xor_b32_e32 v3, vcc_lo, v3
	v_and_b32_e32 v46, v46, v47
	v_and_b32_e32 v47, v5, v3
	v_lshlrev_b32_e32 v3, 24, v4
	v_cmp_gt_i64_e32 vcc, 0, v[2:3]
	v_not_b32_e32 v3, v3
	v_ashrrev_i32_e32 v3, 31, v3
	v_xor_b32_e32 v4, vcc_hi, v3
	v_xor_b32_e32 v3, vcc_lo, v3
	; wave barrier
	ds_read_b32 v44, v45 offset:64
	v_and_b32_e32 v5, v46, v4
	v_and_b32_e32 v4, v47, v3
	v_mbcnt_lo_u32_b32 v3, v4, 0
	v_mbcnt_hi_u32_b32 v46, v5, v3
	v_cmp_eq_u32_e32 vcc, 0, v46
	v_cmp_ne_u64_e64 s[2:3], 0, v[4:5]
	s_movk_i32 s8, 0x7fff
	s_and_b64 s[10:11], s[2:3], vcc
	; wave barrier
	s_and_saveexec_b64 s[2:3], s[10:11]
	s_cbranch_execz .LBB1830_47
; %bb.46:
	v_bcnt_u32_b32 v3, v4, 0
	v_bcnt_u32_b32 v3, v5, v3
	s_waitcnt lgkmcnt(0)
	v_add_u32_e32 v3, v44, v3
	ds_write_b32 v45, v3 offset:64
.LBB1830_47:
	s_or_b64 exec, exec, s[2:3]
	v_xor_b32_sdwa v6, v6, s8 dst_sel:DWORD dst_unused:UNUSED_PAD src0_sel:WORD_1 src1_sel:DWORD
	v_lshrrev_b32_sdwa v3, s20, v6 dst_sel:DWORD dst_unused:UNUSED_PAD src0_sel:DWORD src1_sel:WORD_0
	v_and_b32_e32 v4, s31, v3
	v_mul_u32_u24_e32 v3, 17, v4
	v_add_lshl_u32 v48, v26, v3, 2
	v_and_b32_e32 v3, 1, v4
	v_add_co_u32_e32 v5, vcc, -1, v3
	v_addc_co_u32_e64 v49, s[2:3], 0, -1, vcc
	v_cmp_ne_u32_e32 vcc, 0, v3
	v_xor_b32_e32 v3, vcc_hi, v49
	v_and_b32_e32 v49, exec_hi, v3
	v_lshlrev_b32_e32 v3, 30, v4
	v_xor_b32_e32 v5, vcc_lo, v5
	v_cmp_gt_i64_e32 vcc, 0, v[2:3]
	v_not_b32_e32 v3, v3
	v_ashrrev_i32_e32 v3, 31, v3
	v_and_b32_e32 v5, exec_lo, v5
	v_xor_b32_e32 v50, vcc_hi, v3
	v_xor_b32_e32 v3, vcc_lo, v3
	v_and_b32_e32 v5, v5, v3
	v_lshlrev_b32_e32 v3, 29, v4
	v_cmp_gt_i64_e32 vcc, 0, v[2:3]
	v_not_b32_e32 v3, v3
	v_ashrrev_i32_e32 v3, 31, v3
	v_and_b32_e32 v49, v49, v50
	v_xor_b32_e32 v50, vcc_hi, v3
	v_xor_b32_e32 v3, vcc_lo, v3
	v_and_b32_e32 v5, v5, v3
	v_lshlrev_b32_e32 v3, 28, v4
	v_cmp_gt_i64_e32 vcc, 0, v[2:3]
	v_not_b32_e32 v3, v3
	v_ashrrev_i32_e32 v3, 31, v3
	v_and_b32_e32 v49, v49, v50
	;; [unrolled: 8-line block ×5, first 2 shown]
	v_xor_b32_e32 v50, vcc_hi, v3
	v_xor_b32_e32 v3, vcc_lo, v3
	v_and_b32_e32 v5, v5, v3
	v_lshlrev_b32_e32 v3, 24, v4
	v_cmp_gt_i64_e32 vcc, 0, v[2:3]
	v_not_b32_e32 v2, v3
	v_ashrrev_i32_e32 v2, 31, v2
	v_xor_b32_e32 v3, vcc_hi, v2
	v_xor_b32_e32 v2, vcc_lo, v2
	; wave barrier
	ds_read_b32 v47, v48 offset:64
	v_and_b32_e32 v49, v49, v50
	v_and_b32_e32 v2, v5, v2
	;; [unrolled: 1-line block ×3, first 2 shown]
	v_mbcnt_lo_u32_b32 v4, v2, 0
	v_mbcnt_hi_u32_b32 v50, v3, v4
	v_cmp_eq_u32_e32 vcc, 0, v50
	v_cmp_ne_u64_e64 s[2:3], 0, v[2:3]
	s_and_b64 s[8:9], s[2:3], vcc
	; wave barrier
	s_and_saveexec_b64 s[2:3], s[8:9]
	s_cbranch_execz .LBB1830_49
; %bb.48:
	v_bcnt_u32_b32 v2, v2, 0
	v_bcnt_u32_b32 v2, v3, v2
	s_waitcnt lgkmcnt(0)
	v_add_u32_e32 v2, v47, v2
	ds_write_b32 v48, v2 offset:64
.LBB1830_49:
	s_or_b64 exec, exec, s[2:3]
	v_xor_b32_e32 v49, 0x7fff, v7
	v_lshrrev_b32_sdwa v2, s20, v49 dst_sel:DWORD dst_unused:UNUSED_PAD src0_sel:DWORD src1_sel:WORD_0
	v_and_b32_e32 v4, s31, v2
	v_and_b32_e32 v3, 1, v4
	v_add_co_u32_e32 v5, vcc, -1, v3
	v_addc_co_u32_e64 v53, s[2:3], 0, -1, vcc
	v_cmp_ne_u32_e32 vcc, 0, v3
	v_mul_u32_u24_e32 v2, 17, v4
	v_xor_b32_e32 v3, vcc_hi, v53
	v_add_lshl_u32 v52, v26, v2, 2
	v_mov_b32_e32 v2, 0
	v_and_b32_e32 v53, exec_hi, v3
	v_lshlrev_b32_e32 v3, 30, v4
	v_xor_b32_e32 v5, vcc_lo, v5
	v_cmp_gt_i64_e32 vcc, 0, v[2:3]
	v_not_b32_e32 v3, v3
	v_ashrrev_i32_e32 v3, 31, v3
	v_and_b32_e32 v5, exec_lo, v5
	v_xor_b32_e32 v54, vcc_hi, v3
	v_xor_b32_e32 v3, vcc_lo, v3
	v_and_b32_e32 v5, v5, v3
	v_lshlrev_b32_e32 v3, 29, v4
	v_cmp_gt_i64_e32 vcc, 0, v[2:3]
	v_not_b32_e32 v3, v3
	v_ashrrev_i32_e32 v3, 31, v3
	v_and_b32_e32 v53, v53, v54
	v_xor_b32_e32 v54, vcc_hi, v3
	v_xor_b32_e32 v3, vcc_lo, v3
	v_and_b32_e32 v5, v5, v3
	v_lshlrev_b32_e32 v3, 28, v4
	v_cmp_gt_i64_e32 vcc, 0, v[2:3]
	v_not_b32_e32 v3, v3
	v_ashrrev_i32_e32 v3, 31, v3
	v_and_b32_e32 v53, v53, v54
	v_xor_b32_e32 v54, vcc_hi, v3
	v_xor_b32_e32 v3, vcc_lo, v3
	v_and_b32_e32 v5, v5, v3
	v_lshlrev_b32_e32 v3, 27, v4
	v_cmp_gt_i64_e32 vcc, 0, v[2:3]
	v_not_b32_e32 v3, v3
	v_ashrrev_i32_e32 v3, 31, v3
	v_and_b32_e32 v53, v53, v54
	v_xor_b32_e32 v54, vcc_hi, v3
	v_xor_b32_e32 v3, vcc_lo, v3
	v_and_b32_e32 v5, v5, v3
	v_lshlrev_b32_e32 v3, 26, v4
	v_cmp_gt_i64_e32 vcc, 0, v[2:3]
	v_not_b32_e32 v3, v3
	v_ashrrev_i32_e32 v3, 31, v3
	v_and_b32_e32 v53, v53, v54
	v_xor_b32_e32 v54, vcc_hi, v3
	v_xor_b32_e32 v3, vcc_lo, v3
	v_and_b32_e32 v5, v5, v3
	v_lshlrev_b32_e32 v3, 25, v4
	v_cmp_gt_i64_e32 vcc, 0, v[2:3]
	v_not_b32_e32 v3, v3
	v_ashrrev_i32_e32 v3, 31, v3
	v_and_b32_e32 v53, v53, v54
	v_xor_b32_e32 v54, vcc_hi, v3
	v_xor_b32_e32 v3, vcc_lo, v3
	v_and_b32_e32 v53, v53, v54
	v_and_b32_e32 v54, v5, v3
	v_lshlrev_b32_e32 v3, 24, v4
	v_cmp_gt_i64_e32 vcc, 0, v[2:3]
	v_not_b32_e32 v3, v3
	v_ashrrev_i32_e32 v3, 31, v3
	v_xor_b32_e32 v4, vcc_hi, v3
	v_xor_b32_e32 v3, vcc_lo, v3
	; wave barrier
	ds_read_b32 v51, v52 offset:64
	v_and_b32_e32 v5, v53, v4
	v_and_b32_e32 v4, v54, v3
	v_mbcnt_lo_u32_b32 v3, v4, 0
	v_mbcnt_hi_u32_b32 v53, v5, v3
	v_cmp_eq_u32_e32 vcc, 0, v53
	v_cmp_ne_u64_e64 s[2:3], 0, v[4:5]
	s_movk_i32 s8, 0x7fff
	s_and_b64 s[10:11], s[2:3], vcc
	; wave barrier
	s_and_saveexec_b64 s[2:3], s[10:11]
	s_cbranch_execz .LBB1830_51
; %bb.50:
	v_bcnt_u32_b32 v3, v4, 0
	v_bcnt_u32_b32 v3, v5, v3
	s_waitcnt lgkmcnt(0)
	v_add_u32_e32 v3, v51, v3
	ds_write_b32 v52, v3 offset:64
.LBB1830_51:
	s_or_b64 exec, exec, s[2:3]
	v_xor_b32_sdwa v7, v7, s8 dst_sel:DWORD dst_unused:UNUSED_PAD src0_sel:WORD_1 src1_sel:DWORD
	v_lshrrev_b32_sdwa v3, s20, v7 dst_sel:DWORD dst_unused:UNUSED_PAD src0_sel:DWORD src1_sel:WORD_0
	v_and_b32_e32 v4, s31, v3
	v_mul_u32_u24_e32 v3, 17, v4
	v_add_lshl_u32 v54, v26, v3, 2
	v_and_b32_e32 v3, 1, v4
	v_add_co_u32_e32 v5, vcc, -1, v3
	v_addc_co_u32_e64 v56, s[2:3], 0, -1, vcc
	v_cmp_ne_u32_e32 vcc, 0, v3
	v_xor_b32_e32 v3, vcc_hi, v56
	v_and_b32_e32 v56, exec_hi, v3
	v_lshlrev_b32_e32 v3, 30, v4
	v_xor_b32_e32 v5, vcc_lo, v5
	v_cmp_gt_i64_e32 vcc, 0, v[2:3]
	v_not_b32_e32 v3, v3
	v_ashrrev_i32_e32 v3, 31, v3
	v_and_b32_e32 v5, exec_lo, v5
	v_xor_b32_e32 v57, vcc_hi, v3
	v_xor_b32_e32 v3, vcc_lo, v3
	v_and_b32_e32 v5, v5, v3
	v_lshlrev_b32_e32 v3, 29, v4
	v_cmp_gt_i64_e32 vcc, 0, v[2:3]
	v_not_b32_e32 v3, v3
	v_ashrrev_i32_e32 v3, 31, v3
	v_and_b32_e32 v56, v56, v57
	v_xor_b32_e32 v57, vcc_hi, v3
	v_xor_b32_e32 v3, vcc_lo, v3
	v_and_b32_e32 v5, v5, v3
	v_lshlrev_b32_e32 v3, 28, v4
	v_cmp_gt_i64_e32 vcc, 0, v[2:3]
	v_not_b32_e32 v3, v3
	v_ashrrev_i32_e32 v3, 31, v3
	v_and_b32_e32 v56, v56, v57
	;; [unrolled: 8-line block ×5, first 2 shown]
	v_xor_b32_e32 v57, vcc_hi, v3
	v_xor_b32_e32 v3, vcc_lo, v3
	v_and_b32_e32 v5, v5, v3
	v_lshlrev_b32_e32 v3, 24, v4
	v_cmp_gt_i64_e32 vcc, 0, v[2:3]
	v_not_b32_e32 v2, v3
	v_ashrrev_i32_e32 v2, 31, v2
	v_xor_b32_e32 v3, vcc_hi, v2
	v_xor_b32_e32 v2, vcc_lo, v2
	; wave barrier
	ds_read_b32 v26, v54 offset:64
	v_and_b32_e32 v56, v56, v57
	v_and_b32_e32 v2, v5, v2
	;; [unrolled: 1-line block ×3, first 2 shown]
	v_mbcnt_lo_u32_b32 v4, v2, 0
	v_mbcnt_hi_u32_b32 v56, v3, v4
	v_cmp_eq_u32_e32 vcc, 0, v56
	v_cmp_ne_u64_e64 s[2:3], 0, v[2:3]
	v_add_u32_e32 v55, 64, v15
	s_and_b64 s[8:9], s[2:3], vcc
	; wave barrier
	s_and_saveexec_b64 s[2:3], s[8:9]
	s_cbranch_execz .LBB1830_53
; %bb.52:
	v_bcnt_u32_b32 v2, v2, 0
	v_bcnt_u32_b32 v2, v3, v2
	s_waitcnt lgkmcnt(0)
	v_add_u32_e32 v2, v26, v2
	ds_write_b32 v54, v2 offset:64
.LBB1830_53:
	s_or_b64 exec, exec, s[2:3]
	; wave barrier
	s_waitcnt lgkmcnt(0)
	s_barrier
	ds_read2_b32 v[4:5], v15 offset0:16 offset1:17
	ds_read2_b32 v[2:3], v55 offset0:2 offset1:3
	ds_read_b32 v57, v55 offset:16
	v_cmp_lt_u32_e64 s[12:13], 31, v11
	s_waitcnt lgkmcnt(1)
	v_add3_u32 v58, v5, v4, v2
	s_waitcnt lgkmcnt(0)
	v_add3_u32 v57, v58, v3, v57
	v_and_b32_e32 v58, 15, v11
	v_cmp_eq_u32_e32 vcc, 0, v58
	v_mov_b32_dpp v59, v57 row_shr:1 row_mask:0xf bank_mask:0xf
	v_cndmask_b32_e64 v59, v59, 0, vcc
	v_add_u32_e32 v57, v59, v57
	v_cmp_lt_u32_e64 s[2:3], 1, v58
	v_cmp_lt_u32_e64 s[10:11], 3, v58
	v_mov_b32_dpp v59, v57 row_shr:2 row_mask:0xf bank_mask:0xf
	v_cndmask_b32_e64 v59, 0, v59, s[2:3]
	v_add_u32_e32 v57, v57, v59
	v_cmp_lt_u32_e64 s[8:9], 7, v58
	s_nop 0
	v_mov_b32_dpp v59, v57 row_shr:4 row_mask:0xf bank_mask:0xf
	v_cndmask_b32_e64 v59, 0, v59, s[10:11]
	v_add_u32_e32 v57, v57, v59
	s_nop 1
	v_mov_b32_dpp v59, v57 row_shr:8 row_mask:0xf bank_mask:0xf
	v_cndmask_b32_e64 v58, 0, v59, s[8:9]
	v_add_u32_e32 v57, v57, v58
	v_bfe_i32 v59, v11, 4, 1
	s_nop 0
	v_mov_b32_dpp v58, v57 row_bcast:15 row_mask:0xf bank_mask:0xf
	v_and_b32_e32 v58, v59, v58
	v_add_u32_e32 v57, v57, v58
	v_and_b32_e32 v59, 63, v10
	s_nop 0
	v_mov_b32_dpp v58, v57 row_bcast:31 row_mask:0xf bank_mask:0xf
	v_cndmask_b32_e64 v58, 0, v58, s[12:13]
	v_add_u32_e32 v57, v57, v58
	v_lshrrev_b32_e32 v58, 6, v10
	v_cmp_eq_u32_e64 s[12:13], 63, v59
	s_and_saveexec_b64 s[22:23], s[12:13]
	s_cbranch_execz .LBB1830_55
; %bb.54:
	v_lshlrev_b32_e32 v59, 2, v58
	ds_write_b32 v59, v57
.LBB1830_55:
	s_or_b64 exec, exec, s[22:23]
	v_cmp_gt_u32_e64 s[12:13], 16, v10
	s_waitcnt lgkmcnt(0)
	s_barrier
	s_and_saveexec_b64 s[22:23], s[12:13]
	s_cbranch_execz .LBB1830_57
; %bb.56:
	v_lshlrev_b32_e32 v59, 2, v10
	ds_read_b32 v60, v59
	s_waitcnt lgkmcnt(0)
	s_nop 0
	v_mov_b32_dpp v61, v60 row_shr:1 row_mask:0xf bank_mask:0xf
	v_cndmask_b32_e64 v61, v61, 0, vcc
	v_add_u32_e32 v60, v61, v60
	s_nop 1
	v_mov_b32_dpp v61, v60 row_shr:2 row_mask:0xf bank_mask:0xf
	v_cndmask_b32_e64 v61, 0, v61, s[2:3]
	v_add_u32_e32 v60, v60, v61
	s_nop 1
	v_mov_b32_dpp v61, v60 row_shr:4 row_mask:0xf bank_mask:0xf
	v_cndmask_b32_e64 v61, 0, v61, s[10:11]
	;; [unrolled: 4-line block ×3, first 2 shown]
	v_add_u32_e32 v60, v60, v61
	ds_write_b32 v59, v60
.LBB1830_57:
	s_or_b64 exec, exec, s[22:23]
	v_cmp_lt_u32_e32 vcc, 63, v10
	v_mov_b32_e32 v59, 0
	s_waitcnt lgkmcnt(0)
	s_barrier
	s_and_saveexec_b64 s[2:3], vcc
	s_cbranch_execz .LBB1830_59
; %bb.58:
	v_lshl_add_u32 v58, v58, 2, -4
	ds_read_b32 v59, v58
.LBB1830_59:
	s_or_b64 exec, exec, s[2:3]
	v_add_u32_e32 v58, -1, v11
	v_and_b32_e32 v60, 64, v11
	v_cmp_lt_i32_e32 vcc, v58, v60
	v_cndmask_b32_e32 v58, v58, v11, vcc
	s_waitcnt lgkmcnt(0)
	v_add_u32_e32 v57, v59, v57
	v_lshlrev_b32_e32 v58, 2, v58
	ds_bpermute_b32 v57, v58, v57
	v_cmp_eq_u32_e32 vcc, 0, v11
	s_movk_i32 s2, 0x100
	s_waitcnt lgkmcnt(0)
	v_cndmask_b32_e32 v11, v57, v59, vcc
	v_cndmask_b32_e64 v11, v11, 0, s[0:1]
	v_add_u32_e32 v4, v11, v4
	v_add_u32_e32 v5, v4, v5
	;; [unrolled: 1-line block ×4, first 2 shown]
	ds_write2_b32 v15, v11, v4 offset0:16 offset1:17
	ds_write2_b32 v55, v5, v2 offset0:2 offset1:3
	ds_write_b32 v55, v3 offset:16
	s_waitcnt lgkmcnt(0)
	s_barrier
	ds_read_b32 v59, v19 offset:64
	ds_read_b32 v58, v20 offset:64
	;; [unrolled: 1-line block ×12, first 2 shown]
	v_cmp_gt_u32_e32 vcc, s2, v10
	v_pk_mov_b32 v[2:3], 0, 0
                                        ; implicit-def: $vgpr15
	s_and_saveexec_b64 s[8:9], vcc
	s_cbranch_execz .LBB1830_63
; %bb.60:
	v_mul_u32_u24_e32 v2, 17, v10
	v_lshlrev_b32_e32 v15, 2, v2
	ds_read_b32 v2, v15 offset:64
	s_movk_i32 s2, 0xff
	v_cmp_ne_u32_e64 s[2:3], s2, v10
	v_mov_b32_e32 v3, 0x3000
	s_and_saveexec_b64 s[10:11], s[2:3]
	s_cbranch_execz .LBB1830_62
; %bb.61:
	ds_read_b32 v3, v15 offset:132
.LBB1830_62:
	s_or_b64 exec, exec, s[10:11]
	s_waitcnt lgkmcnt(0)
	v_sub_u32_e32 v15, v3, v2
	v_mov_b32_e32 v3, 0
.LBB1830_63:
	s_or_b64 exec, exec, s[8:9]
	v_add_u32_e32 v18, v21, v18
	s_waitcnt lgkmcnt(11)
	v_add_lshl_u32 v16, v59, v16, 1
	v_add_u32_e32 v13, v28, v13
	v_add_u32_e32 v23, v25, v23
	s_waitcnt lgkmcnt(0)
	s_barrier
	ds_write_b16 v16, v14 offset:2048
	v_add_lshl_u32 v14, v18, v58, 1
	v_add_u32_e32 v30, v33, v30
	ds_write_b16 v14, v17 offset:2048
	v_add_lshl_u32 v14, v23, v57, 1
	v_add_lshl_u32 v13, v13, v55, 1
	v_add_u32_e32 v34, v37, v34
	ds_write_b16 v14, v22 offset:2048
	ds_write_b16 v13, v12 offset:2048
	v_add_lshl_u32 v12, v30, v31, 1
	v_add_u32_e32 v9, v43, v9
	v_add_u32_e32 v38, v40, v38
	ds_write_b16 v12, v29 offset:2048
	v_add_lshl_u32 v12, v34, v27, 1
	v_add_u32_e32 v41, v46, v44
	ds_write_b16 v12, v32 offset:2048
	v_add_lshl_u32 v12, v38, v24, 1
	v_add_lshl_u32 v9, v9, v20, 1
	v_add_u32_e32 v26, v56, v26
	v_add_u32_e32 v35, v53, v51
	;; [unrolled: 1-line block ×3, first 2 shown]
	ds_write_b16 v12, v36 offset:2048
	ds_write_b16 v9, v8 offset:2048
	v_add_lshl_u32 v8, v41, v19, 1
	ds_write_b16 v8, v42 offset:2048
	v_add_lshl_u32 v8, v39, v11, 1
	v_add_lshl_u32 v5, v35, v5, 1
	;; [unrolled: 1-line block ×3, first 2 shown]
	ds_write_b16 v8, v6 offset:2048
	ds_write_b16 v5, v49 offset:2048
	;; [unrolled: 1-line block ×3, first 2 shown]
	s_and_saveexec_b64 s[8:9], vcc
	s_cbranch_execz .LBB1830_73
; %bb.64:
	v_lshl_or_b32 v4, s30, 8, v10
	v_mov_b32_e32 v5, 0
	v_lshlrev_b64 v[6:7], 2, v[4:5]
	v_mov_b32_e32 v11, s15
	v_add_co_u32_e64 v6, s[2:3], s14, v6
	v_addc_co_u32_e64 v7, s[2:3], v11, v7, s[2:3]
	v_or_b32_e32 v4, 2.0, v15
	s_mov_b64 s[10:11], 0
	s_brev_b32 s33, 1
	s_mov_b32 s34, s30
	v_mov_b32_e32 v12, 0
	global_store_dword v[6:7], v4, off
                                        ; implicit-def: $sgpr2_sgpr3
	s_branch .LBB1830_66
.LBB1830_65:                            ;   in Loop: Header=BB1830_66 Depth=1
	s_or_b64 exec, exec, s[12:13]
	v_and_b32_e32 v8, 0x3fffffff, v13
	v_add_u32_e32 v12, v8, v12
	v_cmp_eq_u32_e64 s[2:3], s33, v4
	s_and_b64 s[12:13], exec, s[2:3]
	s_or_b64 s[10:11], s[12:13], s[10:11]
	s_andn2_b64 exec, exec, s[10:11]
	s_cbranch_execz .LBB1830_72
.LBB1830_66:                            ; =>This Loop Header: Depth=1
                                        ;     Child Loop BB1830_69 Depth 2
	s_or_b64 s[2:3], s[2:3], exec
	s_cmp_eq_u32 s34, 0
	s_cbranch_scc1 .LBB1830_71
; %bb.67:                               ;   in Loop: Header=BB1830_66 Depth=1
	s_add_i32 s34, s34, -1
	v_lshl_or_b32 v4, s34, 8, v10
	v_lshlrev_b64 v[8:9], 2, v[4:5]
	v_add_co_u32_e64 v8, s[2:3], s14, v8
	v_addc_co_u32_e64 v9, s[2:3], v11, v9, s[2:3]
	global_load_dword v13, v[8:9], off glc
	s_waitcnt vmcnt(0)
	v_and_b32_e32 v4, -2.0, v13
	v_cmp_eq_u32_e64 s[2:3], 0, v4
	s_and_saveexec_b64 s[12:13], s[2:3]
	s_cbranch_execz .LBB1830_65
; %bb.68:                               ;   in Loop: Header=BB1830_66 Depth=1
	s_mov_b64 s[22:23], 0
.LBB1830_69:                            ;   Parent Loop BB1830_66 Depth=1
                                        ; =>  This Inner Loop Header: Depth=2
	global_load_dword v13, v[8:9], off glc
	s_waitcnt vmcnt(0)
	v_and_b32_e32 v4, -2.0, v13
	v_cmp_ne_u32_e64 s[2:3], 0, v4
	s_or_b64 s[22:23], s[2:3], s[22:23]
	s_andn2_b64 exec, exec, s[22:23]
	s_cbranch_execnz .LBB1830_69
; %bb.70:                               ;   in Loop: Header=BB1830_66 Depth=1
	s_or_b64 exec, exec, s[22:23]
	s_branch .LBB1830_65
.LBB1830_71:                            ;   in Loop: Header=BB1830_66 Depth=1
                                        ; implicit-def: $sgpr34
	s_and_b64 s[12:13], exec, s[2:3]
	s_or_b64 s[10:11], s[12:13], s[10:11]
	s_andn2_b64 exec, exec, s[10:11]
	s_cbranch_execnz .LBB1830_66
.LBB1830_72:
	s_or_b64 exec, exec, s[10:11]
	v_add_u32_e32 v4, v12, v15
	v_or_b32_e32 v4, 0x80000000, v4
	global_store_dword v[6:7], v4, off
	v_lshlrev_b32_e32 v6, 3, v10
	global_load_dwordx2 v[4:5], v6, s[16:17]
	v_sub_co_u32_e64 v7, s[2:3], v12, v2
	v_subb_co_u32_e64 v8, s[2:3], 0, v3, s[2:3]
	s_waitcnt vmcnt(0)
	v_add_co_u32_e64 v4, s[2:3], v7, v4
	v_addc_co_u32_e64 v5, s[2:3], v8, v5, s[2:3]
	ds_write_b64 v6, v[4:5]
.LBB1830_73:
	s_or_b64 exec, exec, s[8:9]
	v_cmp_gt_u32_e64 s[2:3], s7, v10
	s_waitcnt lgkmcnt(0)
	s_barrier
	s_and_saveexec_b64 s[8:9], s[2:3]
	s_cbranch_execz .LBB1830_75
; %bb.74:
	v_lshlrev_b32_e32 v6, 1, v10
	ds_read_u16 v7, v6 offset:2048
	v_mov_b32_e32 v8, s27
	s_waitcnt lgkmcnt(0)
	v_lshrrev_b32_sdwa v4, s20, v7 dst_sel:DWORD dst_unused:UNUSED_PAD src0_sel:DWORD src1_sel:WORD_0
	v_and_b32_e32 v4, s31, v4
	v_lshlrev_b32_e32 v4, 3, v4
	ds_read_b64 v[4:5], v4
	v_xor_b32_e32 v7, 0x7fff, v7
	s_waitcnt lgkmcnt(0)
	v_lshlrev_b64 v[4:5], 1, v[4:5]
	v_add_co_u32_e64 v4, s[2:3], s26, v4
	v_addc_co_u32_e64 v5, s[2:3], v8, v5, s[2:3]
	v_add_co_u32_e64 v4, s[2:3], v4, v6
	v_addc_co_u32_e64 v5, s[2:3], 0, v5, s[2:3]
	global_store_short v[4:5], v7, off
.LBB1830_75:
	s_or_b64 exec, exec, s[8:9]
	v_or_b32_e32 v4, 0x400, v10
	v_cmp_gt_u32_e64 s[2:3], s7, v4
	s_and_saveexec_b64 s[8:9], s[2:3]
	s_cbranch_execz .LBB1830_77
; %bb.76:
	v_lshlrev_b32_e32 v6, 1, v10
	ds_read_u16 v7, v6 offset:4096
	v_mov_b32_e32 v8, s27
	s_waitcnt lgkmcnt(0)
	v_lshrrev_b32_sdwa v4, s20, v7 dst_sel:DWORD dst_unused:UNUSED_PAD src0_sel:DWORD src1_sel:WORD_0
	v_and_b32_e32 v4, s31, v4
	v_lshlrev_b32_e32 v4, 3, v4
	ds_read_b64 v[4:5], v4
	v_xor_b32_e32 v7, 0x7fff, v7
	s_waitcnt lgkmcnt(0)
	v_lshlrev_b64 v[4:5], 1, v[4:5]
	v_add_co_u32_e64 v4, s[2:3], s26, v4
	v_addc_co_u32_e64 v5, s[2:3], v8, v5, s[2:3]
	v_add_co_u32_e64 v4, s[2:3], v4, v6
	v_addc_co_u32_e64 v5, s[2:3], 0, v5, s[2:3]
	global_store_short v[4:5], v7, off offset:2048
.LBB1830_77:
	s_or_b64 exec, exec, s[8:9]
	v_or_b32_e32 v4, 0x800, v10
	v_cmp_gt_u32_e64 s[2:3], s7, v4
	s_and_saveexec_b64 s[8:9], s[2:3]
	s_cbranch_execz .LBB1830_79
; %bb.78:
	v_lshlrev_b32_e32 v5, 1, v10
	ds_read_u16 v5, v5 offset:6144
	v_lshlrev_b32_e32 v9, 1, v4
	v_mov_b32_e32 v8, s27
	s_waitcnt lgkmcnt(0)
	v_lshrrev_b32_sdwa v6, s20, v5 dst_sel:DWORD dst_unused:UNUSED_PAD src0_sel:DWORD src1_sel:WORD_0
	v_and_b32_e32 v6, s31, v6
	v_lshlrev_b32_e32 v6, 3, v6
	ds_read_b64 v[6:7], v6
	v_xor_b32_e32 v11, 0x7fff, v5
	s_waitcnt lgkmcnt(0)
	v_lshlrev_b64 v[4:5], 1, v[6:7]
	v_add_co_u32_e64 v4, s[2:3], s26, v4
	v_addc_co_u32_e64 v5, s[2:3], v8, v5, s[2:3]
	v_add_co_u32_e64 v4, s[2:3], v4, v9
	v_addc_co_u32_e64 v5, s[2:3], 0, v5, s[2:3]
	global_store_short v[4:5], v11, off
.LBB1830_79:
	s_or_b64 exec, exec, s[8:9]
	v_or_b32_e32 v4, 0xc00, v10
	v_cmp_gt_u32_e64 s[2:3], s7, v4
	s_and_saveexec_b64 s[8:9], s[2:3]
	s_cbranch_execz .LBB1830_81
; %bb.80:
	v_lshlrev_b32_e32 v5, 1, v10
	ds_read_u16 v5, v5 offset:8192
	v_lshlrev_b32_e32 v9, 1, v4
	v_mov_b32_e32 v8, s27
	s_waitcnt lgkmcnt(0)
	v_lshrrev_b32_sdwa v6, s20, v5 dst_sel:DWORD dst_unused:UNUSED_PAD src0_sel:DWORD src1_sel:WORD_0
	v_and_b32_e32 v6, s31, v6
	v_lshlrev_b32_e32 v6, 3, v6
	ds_read_b64 v[6:7], v6
	v_xor_b32_e32 v11, 0x7fff, v5
	s_waitcnt lgkmcnt(0)
	v_lshlrev_b64 v[4:5], 1, v[6:7]
	v_add_co_u32_e64 v4, s[2:3], s26, v4
	v_addc_co_u32_e64 v5, s[2:3], v8, v5, s[2:3]
	v_add_co_u32_e64 v4, s[2:3], v4, v9
	v_addc_co_u32_e64 v5, s[2:3], 0, v5, s[2:3]
	global_store_short v[4:5], v11, off
.LBB1830_81:
	;; [unrolled: 24-line block ×10, first 2 shown]
	s_or_b64 exec, exec, s[8:9]
	s_add_i32 s29, s29, -1
	s_cmp_eq_u32 s29, s30
	s_cselect_b64 s[2:3], -1, 0
	s_and_b64 s[8:9], vcc, s[2:3]
	s_mov_b64 s[2:3], 0
	s_mov_b64 s[10:11], 0
                                        ; implicit-def: $vgpr4_vgpr5
	s_and_saveexec_b64 s[12:13], s[8:9]
	s_xor_b64 s[8:9], exec, s[12:13]
; %bb.98:
	v_add_co_u32_e32 v4, vcc, v2, v15
	s_mov_b64 s[10:11], exec
	v_mov_b32_e32 v11, 0
	v_addc_co_u32_e32 v5, vcc, 0, v3, vcc
; %bb.99:
	s_or_b64 exec, exec, s[8:9]
	s_and_b64 vcc, exec, s[2:3]
	s_cbranch_vccnz .LBB1830_101
	s_branch .LBB1830_150
.LBB1830_100:
	s_mov_b64 s[10:11], 0
                                        ; implicit-def: $vgpr4_vgpr5
	s_cbranch_execz .LBB1830_150
.LBB1830_101:
	s_mov_b32 s29, 0
	v_mbcnt_hi_u32_b32 v5, -1, v1
	s_lshl_b64 s[2:3], s[28:29], 1
	v_and_b32_e32 v1, 63, v5
	s_add_u32 s2, s24, s2
	v_lshlrev_b32_e32 v1, 1, v1
	v_add_co_u32_e32 v1, vcc, s2, v1
	s_load_dword s22, s[4:5], 0x58
	s_load_dword s2, s[4:5], 0x64
	s_addc_u32 s3, s25, s3
	v_and_b32_e32 v3, 0x3c0, v10
	v_mul_u32_u24_e32 v3, 12, v3
	v_mov_b32_e32 v4, s3
	v_addc_co_u32_e32 v4, vcc, 0, v4, vcc
	v_lshlrev_b32_e32 v3, 1, v3
	s_add_u32 s3, s4, 0x58
	v_add_co_u32_e32 v12, vcc, v1, v3
	s_addc_u32 s4, s5, 0
	s_waitcnt lgkmcnt(0)
	s_lshr_b32 s5, s2, 16
	v_addc_co_u32_e32 v13, vcc, 0, v4, vcc
	s_cmp_lt_u32 s6, s22
	global_load_ushort v1, v[12:13], off
	s_cselect_b32 s2, 12, 18
	s_add_u32 s2, s3, s2
	v_mov_b32_e32 v2, 0
	s_addc_u32 s3, s4, 0
	global_load_ushort v3, v2, s[2:3]
	v_mul_u32_u24_e32 v6, 5, v10
	v_lshlrev_b32_e32 v6, 2, v6
	ds_write2_b32 v6, v2, v2 offset0:16 offset1:17
	ds_write2_b32 v6, v2, v2 offset0:18 offset1:19
	ds_write_b32 v6, v2 offset:80
	global_load_ushort v9, v[12:13], off offset:128
	global_load_ushort v14, v[12:13], off offset:256
	;; [unrolled: 1-line block ×11, first 2 shown]
	v_bfe_u32 v4, v0, 10, 10
	v_bfe_u32 v0, v0, 20, 10
	v_mad_u32_u24 v0, v0, s5, v4
	s_lshl_b32 s2, -1, s21
	s_not_b32 s21, s2
	s_waitcnt lgkmcnt(0)
	s_barrier
	s_waitcnt lgkmcnt(0)
	; wave barrier
	s_waitcnt vmcnt(12)
	v_xor_b32_e32 v4, 0x7fff, v1
	v_lshrrev_b32_sdwa v1, s20, v4 dst_sel:DWORD dst_unused:UNUSED_PAD src0_sel:DWORD src1_sel:WORD_0
	v_and_b32_e32 v8, s21, v1
	v_and_b32_e32 v7, 1, v8
	s_waitcnt vmcnt(11)
	v_mad_u64_u32 v[0:1], s[2:3], v0, v3, v[10:11]
	v_lshrrev_b32_e32 v17, 6, v0
	v_add_co_u32_e32 v0, vcc, -1, v7
	v_lshlrev_b32_e32 v3, 30, v8
	v_addc_co_u32_e64 v11, s[2:3], 0, -1, vcc
	v_mul_u32_u24_e32 v1, 17, v8
	v_cmp_ne_u32_e32 vcc, 0, v7
	v_cmp_gt_i64_e64 s[2:3], 0, v[2:3]
	v_not_b32_e32 v12, v3
	v_lshlrev_b32_e32 v3, 29, v8
	v_add_lshl_u32 v7, v17, v1, 2
	v_xor_b32_e32 v1, vcc_hi, v11
	v_xor_b32_e32 v0, vcc_lo, v0
	v_ashrrev_i32_e32 v11, 31, v12
	v_cmp_gt_i64_e32 vcc, 0, v[2:3]
	v_not_b32_e32 v12, v3
	v_lshlrev_b32_e32 v3, 28, v8
	v_and_b32_e32 v1, exec_hi, v1
	v_and_b32_e32 v0, exec_lo, v0
	v_xor_b32_e32 v13, s3, v11
	v_xor_b32_e32 v11, s2, v11
	v_ashrrev_i32_e32 v12, 31, v12
	v_cmp_gt_i64_e64 s[2:3], 0, v[2:3]
	v_not_b32_e32 v3, v3
	v_and_b32_e32 v1, v1, v13
	v_and_b32_e32 v0, v0, v11
	v_xor_b32_e32 v11, vcc_hi, v12
	v_xor_b32_e32 v12, vcc_lo, v12
	v_ashrrev_i32_e32 v3, 31, v3
	v_and_b32_e32 v1, v1, v11
	v_and_b32_e32 v0, v0, v12
	v_xor_b32_e32 v11, s3, v3
	v_xor_b32_e32 v3, s2, v3
	v_and_b32_e32 v0, v0, v3
	v_lshlrev_b32_e32 v3, 27, v8
	v_cmp_gt_i64_e32 vcc, 0, v[2:3]
	v_not_b32_e32 v3, v3
	v_ashrrev_i32_e32 v3, 31, v3
	v_and_b32_e32 v1, v1, v11
	v_xor_b32_e32 v11, vcc_hi, v3
	v_xor_b32_e32 v3, vcc_lo, v3
	v_and_b32_e32 v0, v0, v3
	v_lshlrev_b32_e32 v3, 26, v8
	v_cmp_gt_i64_e32 vcc, 0, v[2:3]
	v_not_b32_e32 v3, v3
	v_ashrrev_i32_e32 v3, 31, v3
	v_and_b32_e32 v1, v1, v11
	v_xor_b32_e32 v11, vcc_hi, v3
	v_xor_b32_e32 v3, vcc_lo, v3
	;; [unrolled: 8-line block ×3, first 2 shown]
	v_and_b32_e32 v0, v0, v3
	v_lshlrev_b32_e32 v3, 24, v8
	v_cmp_gt_i64_e32 vcc, 0, v[2:3]
	v_not_b32_e32 v3, v3
	v_ashrrev_i32_e32 v3, 31, v3
	v_xor_b32_e32 v8, vcc_hi, v3
	v_xor_b32_e32 v3, vcc_lo, v3
	v_and_b32_e32 v1, v1, v11
	v_and_b32_e32 v0, v0, v3
	;; [unrolled: 1-line block ×3, first 2 shown]
	v_mbcnt_lo_u32_b32 v3, v0, 0
	v_mbcnt_hi_u32_b32 v8, v1, v3
	v_cmp_eq_u32_e32 vcc, 0, v8
	v_cmp_ne_u64_e64 s[2:3], 0, v[0:1]
	s_and_b64 s[4:5], s[2:3], vcc
	s_and_saveexec_b64 s[2:3], s[4:5]
	s_cbranch_execz .LBB1830_103
; %bb.102:
	v_bcnt_u32_b32 v0, v0, 0
	v_bcnt_u32_b32 v0, v1, v0
	ds_write_b32 v7, v0 offset:64
.LBB1830_103:
	s_or_b64 exec, exec, s[2:3]
	s_waitcnt vmcnt(10)
	v_xor_b32_e32 v9, 0x7fff, v9
	v_lshrrev_b32_sdwa v0, s20, v9 dst_sel:DWORD dst_unused:UNUSED_PAD src0_sel:DWORD src1_sel:WORD_0
	v_and_b32_e32 v0, s21, v0
	v_mul_u32_u24_e32 v1, 17, v0
	v_add_lshl_u32 v12, v17, v1, 2
	v_and_b32_e32 v1, 1, v0
	v_add_co_u32_e32 v3, vcc, -1, v1
	v_addc_co_u32_e64 v13, s[2:3], 0, -1, vcc
	v_cmp_ne_u32_e32 vcc, 0, v1
	v_xor_b32_e32 v3, vcc_lo, v3
	v_xor_b32_e32 v1, vcc_hi, v13
	v_and_b32_e32 v13, exec_lo, v3
	v_lshlrev_b32_e32 v3, 30, v0
	v_cmp_gt_i64_e32 vcc, 0, v[2:3]
	v_not_b32_e32 v3, v3
	v_ashrrev_i32_e32 v3, 31, v3
	v_xor_b32_e32 v15, vcc_hi, v3
	v_xor_b32_e32 v3, vcc_lo, v3
	v_and_b32_e32 v13, v13, v3
	v_lshlrev_b32_e32 v3, 29, v0
	v_cmp_gt_i64_e32 vcc, 0, v[2:3]
	v_not_b32_e32 v3, v3
	v_and_b32_e32 v1, exec_hi, v1
	v_ashrrev_i32_e32 v3, 31, v3
	v_and_b32_e32 v1, v1, v15
	v_xor_b32_e32 v15, vcc_hi, v3
	v_xor_b32_e32 v3, vcc_lo, v3
	v_and_b32_e32 v13, v13, v3
	v_lshlrev_b32_e32 v3, 28, v0
	v_cmp_gt_i64_e32 vcc, 0, v[2:3]
	v_not_b32_e32 v3, v3
	v_ashrrev_i32_e32 v3, 31, v3
	v_and_b32_e32 v1, v1, v15
	v_xor_b32_e32 v15, vcc_hi, v3
	v_xor_b32_e32 v3, vcc_lo, v3
	v_and_b32_e32 v13, v13, v3
	v_lshlrev_b32_e32 v3, 27, v0
	v_cmp_gt_i64_e32 vcc, 0, v[2:3]
	v_not_b32_e32 v3, v3
	;; [unrolled: 8-line block ×4, first 2 shown]
	v_ashrrev_i32_e32 v3, 31, v3
	v_and_b32_e32 v1, v1, v15
	v_xor_b32_e32 v15, vcc_hi, v3
	v_xor_b32_e32 v3, vcc_lo, v3
	v_and_b32_e32 v13, v13, v3
	v_lshlrev_b32_e32 v3, 24, v0
	v_not_b32_e32 v0, v3
	v_cmp_gt_i64_e32 vcc, 0, v[2:3]
	v_ashrrev_i32_e32 v0, 31, v0
	v_xor_b32_e32 v2, vcc_hi, v0
	v_xor_b32_e32 v0, vcc_lo, v0
	; wave barrier
	ds_read_b32 v11, v12 offset:64
	v_and_b32_e32 v1, v1, v15
	v_and_b32_e32 v0, v13, v0
	;; [unrolled: 1-line block ×3, first 2 shown]
	v_mbcnt_lo_u32_b32 v2, v0, 0
	v_mbcnt_hi_u32_b32 v13, v1, v2
	v_cmp_eq_u32_e32 vcc, 0, v13
	v_cmp_ne_u64_e64 s[2:3], 0, v[0:1]
	s_and_b64 s[4:5], s[2:3], vcc
	; wave barrier
	s_and_saveexec_b64 s[2:3], s[4:5]
	s_cbranch_execz .LBB1830_105
; %bb.104:
	v_bcnt_u32_b32 v0, v0, 0
	v_bcnt_u32_b32 v0, v1, v0
	s_waitcnt lgkmcnt(0)
	v_add_u32_e32 v0, v11, v0
	ds_write_b32 v12, v0 offset:64
.LBB1830_105:
	s_or_b64 exec, exec, s[2:3]
	s_waitcnt vmcnt(9)
	v_xor_b32_e32 v14, 0x7fff, v14
	v_lshrrev_b32_sdwa v0, s20, v14 dst_sel:DWORD dst_unused:UNUSED_PAD src0_sel:DWORD src1_sel:WORD_0
	v_and_b32_e32 v2, s21, v0
	v_and_b32_e32 v1, 1, v2
	v_add_co_u32_e32 v3, vcc, -1, v1
	v_addc_co_u32_e64 v19, s[2:3], 0, -1, vcc
	v_cmp_ne_u32_e32 vcc, 0, v1
	v_mul_u32_u24_e32 v0, 17, v2
	v_xor_b32_e32 v1, vcc_hi, v19
	v_add_lshl_u32 v18, v17, v0, 2
	v_mov_b32_e32 v0, 0
	v_and_b32_e32 v19, exec_hi, v1
	v_lshlrev_b32_e32 v1, 30, v2
	v_xor_b32_e32 v3, vcc_lo, v3
	v_cmp_gt_i64_e32 vcc, 0, v[0:1]
	v_not_b32_e32 v1, v1
	v_ashrrev_i32_e32 v1, 31, v1
	v_and_b32_e32 v3, exec_lo, v3
	v_xor_b32_e32 v21, vcc_hi, v1
	v_xor_b32_e32 v1, vcc_lo, v1
	v_and_b32_e32 v3, v3, v1
	v_lshlrev_b32_e32 v1, 29, v2
	v_cmp_gt_i64_e32 vcc, 0, v[0:1]
	v_not_b32_e32 v1, v1
	v_ashrrev_i32_e32 v1, 31, v1
	v_and_b32_e32 v19, v19, v21
	v_xor_b32_e32 v21, vcc_hi, v1
	v_xor_b32_e32 v1, vcc_lo, v1
	v_and_b32_e32 v3, v3, v1
	v_lshlrev_b32_e32 v1, 28, v2
	v_cmp_gt_i64_e32 vcc, 0, v[0:1]
	v_not_b32_e32 v1, v1
	v_ashrrev_i32_e32 v1, 31, v1
	v_and_b32_e32 v19, v19, v21
	;; [unrolled: 8-line block ×5, first 2 shown]
	v_xor_b32_e32 v21, vcc_hi, v1
	v_xor_b32_e32 v1, vcc_lo, v1
	v_and_b32_e32 v19, v19, v21
	v_and_b32_e32 v21, v3, v1
	v_lshlrev_b32_e32 v1, 24, v2
	v_cmp_gt_i64_e32 vcc, 0, v[0:1]
	v_not_b32_e32 v1, v1
	v_ashrrev_i32_e32 v1, 31, v1
	v_xor_b32_e32 v2, vcc_hi, v1
	v_xor_b32_e32 v1, vcc_lo, v1
	; wave barrier
	ds_read_b32 v15, v18 offset:64
	v_and_b32_e32 v3, v19, v2
	v_and_b32_e32 v2, v21, v1
	v_mbcnt_lo_u32_b32 v1, v2, 0
	v_mbcnt_hi_u32_b32 v19, v3, v1
	v_cmp_eq_u32_e32 vcc, 0, v19
	v_cmp_ne_u64_e64 s[2:3], 0, v[2:3]
	s_and_b64 s[4:5], s[2:3], vcc
	; wave barrier
	s_and_saveexec_b64 s[2:3], s[4:5]
	s_cbranch_execz .LBB1830_107
; %bb.106:
	v_bcnt_u32_b32 v1, v2, 0
	v_bcnt_u32_b32 v1, v3, v1
	s_waitcnt lgkmcnt(0)
	v_add_u32_e32 v1, v15, v1
	ds_write_b32 v18, v1 offset:64
.LBB1830_107:
	s_or_b64 exec, exec, s[2:3]
	s_waitcnt vmcnt(8)
	v_xor_b32_e32 v20, 0x7fff, v20
	v_lshrrev_b32_sdwa v1, s20, v20 dst_sel:DWORD dst_unused:UNUSED_PAD src0_sel:DWORD src1_sel:WORD_0
	v_and_b32_e32 v2, s21, v1
	v_mul_u32_u24_e32 v1, 17, v2
	v_add_lshl_u32 v23, v17, v1, 2
	v_and_b32_e32 v1, 1, v2
	v_add_co_u32_e32 v3, vcc, -1, v1
	v_addc_co_u32_e64 v24, s[2:3], 0, -1, vcc
	v_cmp_ne_u32_e32 vcc, 0, v1
	v_xor_b32_e32 v1, vcc_hi, v24
	v_and_b32_e32 v24, exec_hi, v1
	v_lshlrev_b32_e32 v1, 30, v2
	v_xor_b32_e32 v3, vcc_lo, v3
	v_cmp_gt_i64_e32 vcc, 0, v[0:1]
	v_not_b32_e32 v1, v1
	v_ashrrev_i32_e32 v1, 31, v1
	v_and_b32_e32 v3, exec_lo, v3
	v_xor_b32_e32 v26, vcc_hi, v1
	v_xor_b32_e32 v1, vcc_lo, v1
	v_and_b32_e32 v3, v3, v1
	v_lshlrev_b32_e32 v1, 29, v2
	v_cmp_gt_i64_e32 vcc, 0, v[0:1]
	v_not_b32_e32 v1, v1
	v_ashrrev_i32_e32 v1, 31, v1
	v_and_b32_e32 v24, v24, v26
	v_xor_b32_e32 v26, vcc_hi, v1
	v_xor_b32_e32 v1, vcc_lo, v1
	v_and_b32_e32 v3, v3, v1
	v_lshlrev_b32_e32 v1, 28, v2
	v_cmp_gt_i64_e32 vcc, 0, v[0:1]
	v_not_b32_e32 v1, v1
	v_ashrrev_i32_e32 v1, 31, v1
	v_and_b32_e32 v24, v24, v26
	;; [unrolled: 8-line block ×5, first 2 shown]
	v_xor_b32_e32 v26, vcc_hi, v1
	v_xor_b32_e32 v1, vcc_lo, v1
	v_and_b32_e32 v3, v3, v1
	v_lshlrev_b32_e32 v1, 24, v2
	v_cmp_gt_i64_e32 vcc, 0, v[0:1]
	v_not_b32_e32 v0, v1
	v_ashrrev_i32_e32 v0, 31, v0
	v_xor_b32_e32 v1, vcc_hi, v0
	v_xor_b32_e32 v0, vcc_lo, v0
	; wave barrier
	ds_read_b32 v21, v23 offset:64
	v_and_b32_e32 v24, v24, v26
	v_and_b32_e32 v0, v3, v0
	;; [unrolled: 1-line block ×3, first 2 shown]
	v_mbcnt_lo_u32_b32 v2, v0, 0
	v_mbcnt_hi_u32_b32 v24, v1, v2
	v_cmp_eq_u32_e32 vcc, 0, v24
	v_cmp_ne_u64_e64 s[2:3], 0, v[0:1]
	s_and_b64 s[4:5], s[2:3], vcc
	; wave barrier
	s_and_saveexec_b64 s[2:3], s[4:5]
	s_cbranch_execz .LBB1830_109
; %bb.108:
	v_bcnt_u32_b32 v0, v0, 0
	v_bcnt_u32_b32 v0, v1, v0
	s_waitcnt lgkmcnt(0)
	v_add_u32_e32 v0, v21, v0
	ds_write_b32 v23, v0 offset:64
.LBB1830_109:
	s_or_b64 exec, exec, s[2:3]
	s_waitcnt vmcnt(7)
	v_xor_b32_e32 v25, 0x7fff, v25
	v_lshrrev_b32_sdwa v0, s20, v25 dst_sel:DWORD dst_unused:UNUSED_PAD src0_sel:DWORD src1_sel:WORD_0
	v_and_b32_e32 v2, s21, v0
	v_and_b32_e32 v1, 1, v2
	v_add_co_u32_e32 v3, vcc, -1, v1
	v_addc_co_u32_e64 v30, s[2:3], 0, -1, vcc
	v_cmp_ne_u32_e32 vcc, 0, v1
	v_mul_u32_u24_e32 v0, 17, v2
	v_xor_b32_e32 v1, vcc_hi, v30
	v_add_lshl_u32 v28, v17, v0, 2
	v_mov_b32_e32 v0, 0
	v_and_b32_e32 v30, exec_hi, v1
	v_lshlrev_b32_e32 v1, 30, v2
	v_xor_b32_e32 v3, vcc_lo, v3
	v_cmp_gt_i64_e32 vcc, 0, v[0:1]
	v_not_b32_e32 v1, v1
	v_ashrrev_i32_e32 v1, 31, v1
	v_and_b32_e32 v3, exec_lo, v3
	v_xor_b32_e32 v31, vcc_hi, v1
	v_xor_b32_e32 v1, vcc_lo, v1
	v_and_b32_e32 v3, v3, v1
	v_lshlrev_b32_e32 v1, 29, v2
	v_cmp_gt_i64_e32 vcc, 0, v[0:1]
	v_not_b32_e32 v1, v1
	v_ashrrev_i32_e32 v1, 31, v1
	v_and_b32_e32 v30, v30, v31
	v_xor_b32_e32 v31, vcc_hi, v1
	v_xor_b32_e32 v1, vcc_lo, v1
	v_and_b32_e32 v3, v3, v1
	v_lshlrev_b32_e32 v1, 28, v2
	v_cmp_gt_i64_e32 vcc, 0, v[0:1]
	v_not_b32_e32 v1, v1
	v_ashrrev_i32_e32 v1, 31, v1
	v_and_b32_e32 v30, v30, v31
	;; [unrolled: 8-line block ×5, first 2 shown]
	v_xor_b32_e32 v31, vcc_hi, v1
	v_xor_b32_e32 v1, vcc_lo, v1
	v_and_b32_e32 v30, v30, v31
	v_and_b32_e32 v31, v3, v1
	v_lshlrev_b32_e32 v1, 24, v2
	v_cmp_gt_i64_e32 vcc, 0, v[0:1]
	v_not_b32_e32 v1, v1
	v_ashrrev_i32_e32 v1, 31, v1
	v_xor_b32_e32 v2, vcc_hi, v1
	v_xor_b32_e32 v1, vcc_lo, v1
	; wave barrier
	ds_read_b32 v26, v28 offset:64
	v_and_b32_e32 v3, v30, v2
	v_and_b32_e32 v2, v31, v1
	v_mbcnt_lo_u32_b32 v1, v2, 0
	v_mbcnt_hi_u32_b32 v30, v3, v1
	v_cmp_eq_u32_e32 vcc, 0, v30
	v_cmp_ne_u64_e64 s[2:3], 0, v[2:3]
	s_and_b64 s[4:5], s[2:3], vcc
	; wave barrier
	s_and_saveexec_b64 s[2:3], s[4:5]
	s_cbranch_execz .LBB1830_111
; %bb.110:
	v_bcnt_u32_b32 v1, v2, 0
	v_bcnt_u32_b32 v1, v3, v1
	s_waitcnt lgkmcnt(0)
	v_add_u32_e32 v1, v26, v1
	ds_write_b32 v28, v1 offset:64
.LBB1830_111:
	s_or_b64 exec, exec, s[2:3]
	s_waitcnt vmcnt(6)
	v_xor_b32_e32 v29, 0x7fff, v29
	v_lshrrev_b32_sdwa v1, s20, v29 dst_sel:DWORD dst_unused:UNUSED_PAD src0_sel:DWORD src1_sel:WORD_0
	v_and_b32_e32 v2, s21, v1
	v_mul_u32_u24_e32 v1, 17, v2
	v_add_lshl_u32 v33, v17, v1, 2
	v_and_b32_e32 v1, 1, v2
	v_add_co_u32_e32 v3, vcc, -1, v1
	v_addc_co_u32_e64 v35, s[2:3], 0, -1, vcc
	v_cmp_ne_u32_e32 vcc, 0, v1
	v_xor_b32_e32 v1, vcc_hi, v35
	v_and_b32_e32 v35, exec_hi, v1
	v_lshlrev_b32_e32 v1, 30, v2
	v_xor_b32_e32 v3, vcc_lo, v3
	v_cmp_gt_i64_e32 vcc, 0, v[0:1]
	v_not_b32_e32 v1, v1
	v_ashrrev_i32_e32 v1, 31, v1
	v_and_b32_e32 v3, exec_lo, v3
	v_xor_b32_e32 v36, vcc_hi, v1
	v_xor_b32_e32 v1, vcc_lo, v1
	v_and_b32_e32 v3, v3, v1
	v_lshlrev_b32_e32 v1, 29, v2
	v_cmp_gt_i64_e32 vcc, 0, v[0:1]
	v_not_b32_e32 v1, v1
	v_ashrrev_i32_e32 v1, 31, v1
	v_and_b32_e32 v35, v35, v36
	v_xor_b32_e32 v36, vcc_hi, v1
	v_xor_b32_e32 v1, vcc_lo, v1
	v_and_b32_e32 v3, v3, v1
	v_lshlrev_b32_e32 v1, 28, v2
	v_cmp_gt_i64_e32 vcc, 0, v[0:1]
	v_not_b32_e32 v1, v1
	v_ashrrev_i32_e32 v1, 31, v1
	v_and_b32_e32 v35, v35, v36
	;; [unrolled: 8-line block ×5, first 2 shown]
	v_xor_b32_e32 v36, vcc_hi, v1
	v_xor_b32_e32 v1, vcc_lo, v1
	v_and_b32_e32 v3, v3, v1
	v_lshlrev_b32_e32 v1, 24, v2
	v_cmp_gt_i64_e32 vcc, 0, v[0:1]
	v_not_b32_e32 v0, v1
	v_ashrrev_i32_e32 v0, 31, v0
	v_xor_b32_e32 v1, vcc_hi, v0
	v_xor_b32_e32 v0, vcc_lo, v0
	; wave barrier
	ds_read_b32 v31, v33 offset:64
	v_and_b32_e32 v35, v35, v36
	v_and_b32_e32 v0, v3, v0
	;; [unrolled: 1-line block ×3, first 2 shown]
	v_mbcnt_lo_u32_b32 v2, v0, 0
	v_mbcnt_hi_u32_b32 v35, v1, v2
	v_cmp_eq_u32_e32 vcc, 0, v35
	v_cmp_ne_u64_e64 s[2:3], 0, v[0:1]
	s_and_b64 s[4:5], s[2:3], vcc
	; wave barrier
	s_and_saveexec_b64 s[2:3], s[4:5]
	s_cbranch_execz .LBB1830_113
; %bb.112:
	v_bcnt_u32_b32 v0, v0, 0
	v_bcnt_u32_b32 v0, v1, v0
	s_waitcnt lgkmcnt(0)
	v_add_u32_e32 v0, v31, v0
	ds_write_b32 v33, v0 offset:64
.LBB1830_113:
	s_or_b64 exec, exec, s[2:3]
	s_waitcnt vmcnt(5)
	v_xor_b32_e32 v34, 0x7fff, v34
	v_lshrrev_b32_sdwa v0, s20, v34 dst_sel:DWORD dst_unused:UNUSED_PAD src0_sel:DWORD src1_sel:WORD_0
	v_and_b32_e32 v2, s21, v0
	v_and_b32_e32 v1, 1, v2
	v_add_co_u32_e32 v3, vcc, -1, v1
	v_addc_co_u32_e64 v39, s[2:3], 0, -1, vcc
	v_cmp_ne_u32_e32 vcc, 0, v1
	v_mul_u32_u24_e32 v0, 17, v2
	v_xor_b32_e32 v1, vcc_hi, v39
	v_add_lshl_u32 v38, v17, v0, 2
	v_mov_b32_e32 v0, 0
	v_and_b32_e32 v39, exec_hi, v1
	v_lshlrev_b32_e32 v1, 30, v2
	v_xor_b32_e32 v3, vcc_lo, v3
	v_cmp_gt_i64_e32 vcc, 0, v[0:1]
	v_not_b32_e32 v1, v1
	v_ashrrev_i32_e32 v1, 31, v1
	v_and_b32_e32 v3, exec_lo, v3
	v_xor_b32_e32 v40, vcc_hi, v1
	v_xor_b32_e32 v1, vcc_lo, v1
	v_and_b32_e32 v3, v3, v1
	v_lshlrev_b32_e32 v1, 29, v2
	v_cmp_gt_i64_e32 vcc, 0, v[0:1]
	v_not_b32_e32 v1, v1
	v_ashrrev_i32_e32 v1, 31, v1
	v_and_b32_e32 v39, v39, v40
	v_xor_b32_e32 v40, vcc_hi, v1
	v_xor_b32_e32 v1, vcc_lo, v1
	v_and_b32_e32 v3, v3, v1
	v_lshlrev_b32_e32 v1, 28, v2
	v_cmp_gt_i64_e32 vcc, 0, v[0:1]
	v_not_b32_e32 v1, v1
	v_ashrrev_i32_e32 v1, 31, v1
	v_and_b32_e32 v39, v39, v40
	;; [unrolled: 8-line block ×5, first 2 shown]
	v_xor_b32_e32 v40, vcc_hi, v1
	v_xor_b32_e32 v1, vcc_lo, v1
	v_and_b32_e32 v39, v39, v40
	v_and_b32_e32 v40, v3, v1
	v_lshlrev_b32_e32 v1, 24, v2
	v_cmp_gt_i64_e32 vcc, 0, v[0:1]
	v_not_b32_e32 v1, v1
	v_ashrrev_i32_e32 v1, 31, v1
	v_xor_b32_e32 v2, vcc_hi, v1
	v_xor_b32_e32 v1, vcc_lo, v1
	; wave barrier
	ds_read_b32 v36, v38 offset:64
	v_and_b32_e32 v3, v39, v2
	v_and_b32_e32 v2, v40, v1
	v_mbcnt_lo_u32_b32 v1, v2, 0
	v_mbcnt_hi_u32_b32 v39, v3, v1
	v_cmp_eq_u32_e32 vcc, 0, v39
	v_cmp_ne_u64_e64 s[2:3], 0, v[2:3]
	s_and_b64 s[4:5], s[2:3], vcc
	; wave barrier
	s_and_saveexec_b64 s[2:3], s[4:5]
	s_cbranch_execz .LBB1830_115
; %bb.114:
	v_bcnt_u32_b32 v1, v2, 0
	v_bcnt_u32_b32 v1, v3, v1
	s_waitcnt lgkmcnt(0)
	v_add_u32_e32 v1, v36, v1
	ds_write_b32 v38, v1 offset:64
.LBB1830_115:
	s_or_b64 exec, exec, s[2:3]
	s_waitcnt vmcnt(4)
	v_xor_b32_e32 v37, 0x7fff, v37
	v_lshrrev_b32_sdwa v1, s20, v37 dst_sel:DWORD dst_unused:UNUSED_PAD src0_sel:DWORD src1_sel:WORD_0
	v_and_b32_e32 v2, s21, v1
	v_mul_u32_u24_e32 v1, 17, v2
	v_add_lshl_u32 v41, v17, v1, 2
	v_and_b32_e32 v1, 1, v2
	v_add_co_u32_e32 v3, vcc, -1, v1
	v_addc_co_u32_e64 v42, s[2:3], 0, -1, vcc
	v_cmp_ne_u32_e32 vcc, 0, v1
	v_xor_b32_e32 v1, vcc_hi, v42
	v_and_b32_e32 v42, exec_hi, v1
	v_lshlrev_b32_e32 v1, 30, v2
	v_xor_b32_e32 v3, vcc_lo, v3
	v_cmp_gt_i64_e32 vcc, 0, v[0:1]
	v_not_b32_e32 v1, v1
	v_ashrrev_i32_e32 v1, 31, v1
	v_and_b32_e32 v3, exec_lo, v3
	v_xor_b32_e32 v43, vcc_hi, v1
	v_xor_b32_e32 v1, vcc_lo, v1
	v_and_b32_e32 v3, v3, v1
	v_lshlrev_b32_e32 v1, 29, v2
	v_cmp_gt_i64_e32 vcc, 0, v[0:1]
	v_not_b32_e32 v1, v1
	v_ashrrev_i32_e32 v1, 31, v1
	v_and_b32_e32 v42, v42, v43
	v_xor_b32_e32 v43, vcc_hi, v1
	v_xor_b32_e32 v1, vcc_lo, v1
	v_and_b32_e32 v3, v3, v1
	v_lshlrev_b32_e32 v1, 28, v2
	v_cmp_gt_i64_e32 vcc, 0, v[0:1]
	v_not_b32_e32 v1, v1
	v_ashrrev_i32_e32 v1, 31, v1
	v_and_b32_e32 v42, v42, v43
	;; [unrolled: 8-line block ×5, first 2 shown]
	v_xor_b32_e32 v43, vcc_hi, v1
	v_xor_b32_e32 v1, vcc_lo, v1
	v_and_b32_e32 v3, v3, v1
	v_lshlrev_b32_e32 v1, 24, v2
	v_cmp_gt_i64_e32 vcc, 0, v[0:1]
	v_not_b32_e32 v0, v1
	v_ashrrev_i32_e32 v0, 31, v0
	v_xor_b32_e32 v1, vcc_hi, v0
	v_xor_b32_e32 v0, vcc_lo, v0
	; wave barrier
	ds_read_b32 v40, v41 offset:64
	v_and_b32_e32 v42, v42, v43
	v_and_b32_e32 v0, v3, v0
	;; [unrolled: 1-line block ×3, first 2 shown]
	v_mbcnt_lo_u32_b32 v2, v0, 0
	v_mbcnt_hi_u32_b32 v42, v1, v2
	v_cmp_eq_u32_e32 vcc, 0, v42
	v_cmp_ne_u64_e64 s[2:3], 0, v[0:1]
	s_and_b64 s[4:5], s[2:3], vcc
	; wave barrier
	s_and_saveexec_b64 s[2:3], s[4:5]
	s_cbranch_execz .LBB1830_117
; %bb.116:
	v_bcnt_u32_b32 v0, v0, 0
	v_bcnt_u32_b32 v0, v1, v0
	s_waitcnt lgkmcnt(0)
	v_add_u32_e32 v0, v40, v0
	ds_write_b32 v41, v0 offset:64
.LBB1830_117:
	s_or_b64 exec, exec, s[2:3]
	s_waitcnt vmcnt(3)
	v_xor_b32_e32 v32, 0x7fff, v32
	v_lshrrev_b32_sdwa v0, s20, v32 dst_sel:DWORD dst_unused:UNUSED_PAD src0_sel:DWORD src1_sel:WORD_0
	v_and_b32_e32 v2, s21, v0
	v_and_b32_e32 v1, 1, v2
	v_add_co_u32_e32 v3, vcc, -1, v1
	v_addc_co_u32_e64 v45, s[2:3], 0, -1, vcc
	v_cmp_ne_u32_e32 vcc, 0, v1
	v_mul_u32_u24_e32 v0, 17, v2
	v_xor_b32_e32 v1, vcc_hi, v45
	v_add_lshl_u32 v44, v17, v0, 2
	v_mov_b32_e32 v0, 0
	v_and_b32_e32 v45, exec_hi, v1
	v_lshlrev_b32_e32 v1, 30, v2
	v_xor_b32_e32 v3, vcc_lo, v3
	v_cmp_gt_i64_e32 vcc, 0, v[0:1]
	v_not_b32_e32 v1, v1
	v_ashrrev_i32_e32 v1, 31, v1
	v_and_b32_e32 v3, exec_lo, v3
	v_xor_b32_e32 v46, vcc_hi, v1
	v_xor_b32_e32 v1, vcc_lo, v1
	v_and_b32_e32 v3, v3, v1
	v_lshlrev_b32_e32 v1, 29, v2
	v_cmp_gt_i64_e32 vcc, 0, v[0:1]
	v_not_b32_e32 v1, v1
	v_ashrrev_i32_e32 v1, 31, v1
	v_and_b32_e32 v45, v45, v46
	v_xor_b32_e32 v46, vcc_hi, v1
	v_xor_b32_e32 v1, vcc_lo, v1
	v_and_b32_e32 v3, v3, v1
	v_lshlrev_b32_e32 v1, 28, v2
	v_cmp_gt_i64_e32 vcc, 0, v[0:1]
	v_not_b32_e32 v1, v1
	v_ashrrev_i32_e32 v1, 31, v1
	v_and_b32_e32 v45, v45, v46
	;; [unrolled: 8-line block ×5, first 2 shown]
	v_xor_b32_e32 v46, vcc_hi, v1
	v_xor_b32_e32 v1, vcc_lo, v1
	v_and_b32_e32 v45, v45, v46
	v_and_b32_e32 v46, v3, v1
	v_lshlrev_b32_e32 v1, 24, v2
	v_cmp_gt_i64_e32 vcc, 0, v[0:1]
	v_not_b32_e32 v1, v1
	v_ashrrev_i32_e32 v1, 31, v1
	v_xor_b32_e32 v2, vcc_hi, v1
	v_xor_b32_e32 v1, vcc_lo, v1
	; wave barrier
	ds_read_b32 v43, v44 offset:64
	v_and_b32_e32 v3, v45, v2
	v_and_b32_e32 v2, v46, v1
	v_mbcnt_lo_u32_b32 v1, v2, 0
	v_mbcnt_hi_u32_b32 v45, v3, v1
	v_cmp_eq_u32_e32 vcc, 0, v45
	v_cmp_ne_u64_e64 s[2:3], 0, v[2:3]
	s_and_b64 s[4:5], s[2:3], vcc
	; wave barrier
	s_and_saveexec_b64 s[2:3], s[4:5]
	s_cbranch_execz .LBB1830_119
; %bb.118:
	v_bcnt_u32_b32 v1, v2, 0
	v_bcnt_u32_b32 v1, v3, v1
	s_waitcnt lgkmcnt(0)
	v_add_u32_e32 v1, v43, v1
	ds_write_b32 v44, v1 offset:64
.LBB1830_119:
	s_or_b64 exec, exec, s[2:3]
	s_waitcnt vmcnt(2)
	v_xor_b32_e32 v27, 0x7fff, v27
	v_lshrrev_b32_sdwa v1, s20, v27 dst_sel:DWORD dst_unused:UNUSED_PAD src0_sel:DWORD src1_sel:WORD_0
	v_and_b32_e32 v2, s21, v1
	v_mul_u32_u24_e32 v1, 17, v2
	v_add_lshl_u32 v47, v17, v1, 2
	v_and_b32_e32 v1, 1, v2
	v_add_co_u32_e32 v3, vcc, -1, v1
	v_addc_co_u32_e64 v48, s[2:3], 0, -1, vcc
	v_cmp_ne_u32_e32 vcc, 0, v1
	v_xor_b32_e32 v1, vcc_hi, v48
	v_and_b32_e32 v48, exec_hi, v1
	v_lshlrev_b32_e32 v1, 30, v2
	v_xor_b32_e32 v3, vcc_lo, v3
	v_cmp_gt_i64_e32 vcc, 0, v[0:1]
	v_not_b32_e32 v1, v1
	v_ashrrev_i32_e32 v1, 31, v1
	v_and_b32_e32 v3, exec_lo, v3
	v_xor_b32_e32 v49, vcc_hi, v1
	v_xor_b32_e32 v1, vcc_lo, v1
	v_and_b32_e32 v3, v3, v1
	v_lshlrev_b32_e32 v1, 29, v2
	v_cmp_gt_i64_e32 vcc, 0, v[0:1]
	v_not_b32_e32 v1, v1
	v_ashrrev_i32_e32 v1, 31, v1
	v_and_b32_e32 v48, v48, v49
	v_xor_b32_e32 v49, vcc_hi, v1
	v_xor_b32_e32 v1, vcc_lo, v1
	v_and_b32_e32 v3, v3, v1
	v_lshlrev_b32_e32 v1, 28, v2
	v_cmp_gt_i64_e32 vcc, 0, v[0:1]
	v_not_b32_e32 v1, v1
	v_ashrrev_i32_e32 v1, 31, v1
	v_and_b32_e32 v48, v48, v49
	;; [unrolled: 8-line block ×5, first 2 shown]
	v_xor_b32_e32 v49, vcc_hi, v1
	v_xor_b32_e32 v1, vcc_lo, v1
	v_and_b32_e32 v3, v3, v1
	v_lshlrev_b32_e32 v1, 24, v2
	v_cmp_gt_i64_e32 vcc, 0, v[0:1]
	v_not_b32_e32 v0, v1
	v_ashrrev_i32_e32 v0, 31, v0
	v_xor_b32_e32 v1, vcc_hi, v0
	v_xor_b32_e32 v0, vcc_lo, v0
	; wave barrier
	ds_read_b32 v46, v47 offset:64
	v_and_b32_e32 v48, v48, v49
	v_and_b32_e32 v0, v3, v0
	v_and_b32_e32 v1, v48, v1
	v_mbcnt_lo_u32_b32 v2, v0, 0
	v_mbcnt_hi_u32_b32 v48, v1, v2
	v_cmp_eq_u32_e32 vcc, 0, v48
	v_cmp_ne_u64_e64 s[2:3], 0, v[0:1]
	s_and_b64 s[4:5], s[2:3], vcc
	; wave barrier
	s_and_saveexec_b64 s[2:3], s[4:5]
	s_cbranch_execz .LBB1830_121
; %bb.120:
	v_bcnt_u32_b32 v0, v0, 0
	v_bcnt_u32_b32 v0, v1, v0
	s_waitcnt lgkmcnt(0)
	v_add_u32_e32 v0, v46, v0
	ds_write_b32 v47, v0 offset:64
.LBB1830_121:
	s_or_b64 exec, exec, s[2:3]
	s_waitcnt vmcnt(1)
	v_xor_b32_e32 v22, 0x7fff, v22
	v_lshrrev_b32_sdwa v0, s20, v22 dst_sel:DWORD dst_unused:UNUSED_PAD src0_sel:DWORD src1_sel:WORD_0
	v_and_b32_e32 v2, s21, v0
	v_and_b32_e32 v1, 1, v2
	v_add_co_u32_e32 v3, vcc, -1, v1
	v_addc_co_u32_e64 v51, s[2:3], 0, -1, vcc
	v_cmp_ne_u32_e32 vcc, 0, v1
	v_mul_u32_u24_e32 v0, 17, v2
	v_xor_b32_e32 v1, vcc_hi, v51
	v_add_lshl_u32 v50, v17, v0, 2
	v_mov_b32_e32 v0, 0
	v_and_b32_e32 v51, exec_hi, v1
	v_lshlrev_b32_e32 v1, 30, v2
	v_xor_b32_e32 v3, vcc_lo, v3
	v_cmp_gt_i64_e32 vcc, 0, v[0:1]
	v_not_b32_e32 v1, v1
	v_ashrrev_i32_e32 v1, 31, v1
	v_and_b32_e32 v3, exec_lo, v3
	v_xor_b32_e32 v52, vcc_hi, v1
	v_xor_b32_e32 v1, vcc_lo, v1
	v_and_b32_e32 v3, v3, v1
	v_lshlrev_b32_e32 v1, 29, v2
	v_cmp_gt_i64_e32 vcc, 0, v[0:1]
	v_not_b32_e32 v1, v1
	v_ashrrev_i32_e32 v1, 31, v1
	v_and_b32_e32 v51, v51, v52
	v_xor_b32_e32 v52, vcc_hi, v1
	v_xor_b32_e32 v1, vcc_lo, v1
	v_and_b32_e32 v3, v3, v1
	v_lshlrev_b32_e32 v1, 28, v2
	v_cmp_gt_i64_e32 vcc, 0, v[0:1]
	v_not_b32_e32 v1, v1
	v_ashrrev_i32_e32 v1, 31, v1
	v_and_b32_e32 v51, v51, v52
	;; [unrolled: 8-line block ×5, first 2 shown]
	v_xor_b32_e32 v52, vcc_hi, v1
	v_xor_b32_e32 v1, vcc_lo, v1
	v_and_b32_e32 v51, v51, v52
	v_and_b32_e32 v52, v3, v1
	v_lshlrev_b32_e32 v1, 24, v2
	v_cmp_gt_i64_e32 vcc, 0, v[0:1]
	v_not_b32_e32 v1, v1
	v_ashrrev_i32_e32 v1, 31, v1
	v_xor_b32_e32 v2, vcc_hi, v1
	v_xor_b32_e32 v1, vcc_lo, v1
	; wave barrier
	ds_read_b32 v49, v50 offset:64
	v_and_b32_e32 v3, v51, v2
	v_and_b32_e32 v2, v52, v1
	v_mbcnt_lo_u32_b32 v1, v2, 0
	v_mbcnt_hi_u32_b32 v51, v3, v1
	v_cmp_eq_u32_e32 vcc, 0, v51
	v_cmp_ne_u64_e64 s[2:3], 0, v[2:3]
	s_and_b64 s[4:5], s[2:3], vcc
	; wave barrier
	s_and_saveexec_b64 s[2:3], s[4:5]
	s_cbranch_execz .LBB1830_123
; %bb.122:
	v_bcnt_u32_b32 v1, v2, 0
	v_bcnt_u32_b32 v1, v3, v1
	s_waitcnt lgkmcnt(0)
	v_add_u32_e32 v1, v49, v1
	ds_write_b32 v50, v1 offset:64
.LBB1830_123:
	s_or_b64 exec, exec, s[2:3]
	s_waitcnt vmcnt(0)
	v_xor_b32_e32 v16, 0x7fff, v16
	v_lshrrev_b32_sdwa v1, s20, v16 dst_sel:DWORD dst_unused:UNUSED_PAD src0_sel:DWORD src1_sel:WORD_0
	v_and_b32_e32 v2, s21, v1
	v_mul_u32_u24_e32 v1, 17, v2
	v_add_lshl_u32 v52, v17, v1, 2
	v_and_b32_e32 v1, 1, v2
	v_add_co_u32_e32 v3, vcc, -1, v1
	v_addc_co_u32_e64 v54, s[2:3], 0, -1, vcc
	v_cmp_ne_u32_e32 vcc, 0, v1
	v_xor_b32_e32 v1, vcc_hi, v54
	v_and_b32_e32 v54, exec_hi, v1
	v_lshlrev_b32_e32 v1, 30, v2
	v_xor_b32_e32 v3, vcc_lo, v3
	v_cmp_gt_i64_e32 vcc, 0, v[0:1]
	v_not_b32_e32 v1, v1
	v_ashrrev_i32_e32 v1, 31, v1
	v_and_b32_e32 v3, exec_lo, v3
	v_xor_b32_e32 v55, vcc_hi, v1
	v_xor_b32_e32 v1, vcc_lo, v1
	v_and_b32_e32 v3, v3, v1
	v_lshlrev_b32_e32 v1, 29, v2
	v_cmp_gt_i64_e32 vcc, 0, v[0:1]
	v_not_b32_e32 v1, v1
	v_ashrrev_i32_e32 v1, 31, v1
	v_and_b32_e32 v54, v54, v55
	v_xor_b32_e32 v55, vcc_hi, v1
	v_xor_b32_e32 v1, vcc_lo, v1
	v_and_b32_e32 v3, v3, v1
	v_lshlrev_b32_e32 v1, 28, v2
	v_cmp_gt_i64_e32 vcc, 0, v[0:1]
	v_not_b32_e32 v1, v1
	v_ashrrev_i32_e32 v1, 31, v1
	v_and_b32_e32 v54, v54, v55
	;; [unrolled: 8-line block ×5, first 2 shown]
	v_xor_b32_e32 v55, vcc_hi, v1
	v_xor_b32_e32 v1, vcc_lo, v1
	v_and_b32_e32 v3, v3, v1
	v_lshlrev_b32_e32 v1, 24, v2
	v_cmp_gt_i64_e32 vcc, 0, v[0:1]
	v_not_b32_e32 v0, v1
	v_ashrrev_i32_e32 v0, 31, v0
	v_xor_b32_e32 v1, vcc_hi, v0
	v_xor_b32_e32 v0, vcc_lo, v0
	; wave barrier
	ds_read_b32 v17, v52 offset:64
	v_and_b32_e32 v54, v54, v55
	v_and_b32_e32 v0, v3, v0
	;; [unrolled: 1-line block ×3, first 2 shown]
	v_mbcnt_lo_u32_b32 v2, v0, 0
	v_mbcnt_hi_u32_b32 v54, v1, v2
	v_cmp_eq_u32_e32 vcc, 0, v54
	v_cmp_ne_u64_e64 s[2:3], 0, v[0:1]
	v_add_u32_e32 v53, 64, v6
	s_and_b64 s[4:5], s[2:3], vcc
	; wave barrier
	s_and_saveexec_b64 s[2:3], s[4:5]
	s_cbranch_execz .LBB1830_125
; %bb.124:
	v_bcnt_u32_b32 v0, v0, 0
	v_bcnt_u32_b32 v0, v1, v0
	s_waitcnt lgkmcnt(0)
	v_add_u32_e32 v0, v17, v0
	ds_write_b32 v52, v0 offset:64
.LBB1830_125:
	s_or_b64 exec, exec, s[2:3]
	; wave barrier
	s_waitcnt lgkmcnt(0)
	s_barrier
	ds_read2_b32 v[2:3], v6 offset0:16 offset1:17
	ds_read2_b32 v[0:1], v53 offset0:2 offset1:3
	ds_read_b32 v55, v53 offset:16
	v_cmp_lt_u32_e64 s[8:9], 31, v5
	s_waitcnt lgkmcnt(1)
	v_add3_u32 v56, v3, v2, v0
	s_waitcnt lgkmcnt(0)
	v_add3_u32 v55, v56, v1, v55
	v_and_b32_e32 v56, 15, v5
	v_cmp_eq_u32_e32 vcc, 0, v56
	v_mov_b32_dpp v57, v55 row_shr:1 row_mask:0xf bank_mask:0xf
	v_cndmask_b32_e64 v57, v57, 0, vcc
	v_add_u32_e32 v55, v57, v55
	v_cmp_lt_u32_e64 s[2:3], 1, v56
	v_cmp_lt_u32_e64 s[4:5], 3, v56
	v_mov_b32_dpp v57, v55 row_shr:2 row_mask:0xf bank_mask:0xf
	v_cndmask_b32_e64 v57, 0, v57, s[2:3]
	v_add_u32_e32 v55, v55, v57
	v_cmp_lt_u32_e64 s[6:7], 7, v56
	s_nop 0
	v_mov_b32_dpp v57, v55 row_shr:4 row_mask:0xf bank_mask:0xf
	v_cndmask_b32_e64 v57, 0, v57, s[4:5]
	v_add_u32_e32 v55, v55, v57
	s_nop 1
	v_mov_b32_dpp v57, v55 row_shr:8 row_mask:0xf bank_mask:0xf
	v_cndmask_b32_e64 v56, 0, v57, s[6:7]
	v_add_u32_e32 v55, v55, v56
	v_bfe_i32 v57, v5, 4, 1
	s_nop 0
	v_mov_b32_dpp v56, v55 row_bcast:15 row_mask:0xf bank_mask:0xf
	v_and_b32_e32 v56, v57, v56
	v_add_u32_e32 v55, v55, v56
	v_and_b32_e32 v57, 63, v10
	s_nop 0
	v_mov_b32_dpp v56, v55 row_bcast:31 row_mask:0xf bank_mask:0xf
	v_cndmask_b32_e64 v56, 0, v56, s[8:9]
	v_add_u32_e32 v55, v55, v56
	v_lshrrev_b32_e32 v56, 6, v10
	v_cmp_eq_u32_e64 s[8:9], 63, v57
	s_and_saveexec_b64 s[12:13], s[8:9]
	s_cbranch_execz .LBB1830_127
; %bb.126:
	v_lshlrev_b32_e32 v57, 2, v56
	ds_write_b32 v57, v55
.LBB1830_127:
	s_or_b64 exec, exec, s[12:13]
	v_cmp_gt_u32_e64 s[8:9], 16, v10
	s_waitcnt lgkmcnt(0)
	s_barrier
	s_and_saveexec_b64 s[12:13], s[8:9]
	s_cbranch_execz .LBB1830_129
; %bb.128:
	v_lshlrev_b32_e32 v57, 2, v10
	ds_read_b32 v58, v57
	s_waitcnt lgkmcnt(0)
	s_nop 0
	v_mov_b32_dpp v59, v58 row_shr:1 row_mask:0xf bank_mask:0xf
	v_cndmask_b32_e64 v59, v59, 0, vcc
	v_add_u32_e32 v58, v59, v58
	s_nop 1
	v_mov_b32_dpp v59, v58 row_shr:2 row_mask:0xf bank_mask:0xf
	v_cndmask_b32_e64 v59, 0, v59, s[2:3]
	v_add_u32_e32 v58, v58, v59
	s_nop 1
	v_mov_b32_dpp v59, v58 row_shr:4 row_mask:0xf bank_mask:0xf
	v_cndmask_b32_e64 v59, 0, v59, s[4:5]
	;; [unrolled: 4-line block ×3, first 2 shown]
	v_add_u32_e32 v58, v58, v59
	ds_write_b32 v57, v58
.LBB1830_129:
	s_or_b64 exec, exec, s[12:13]
	v_cmp_lt_u32_e32 vcc, 63, v10
	v_mov_b32_e32 v57, 0
	s_waitcnt lgkmcnt(0)
	s_barrier
	s_and_saveexec_b64 s[2:3], vcc
	s_cbranch_execz .LBB1830_131
; %bb.130:
	v_lshl_add_u32 v56, v56, 2, -4
	ds_read_b32 v57, v56
.LBB1830_131:
	s_or_b64 exec, exec, s[2:3]
	v_add_u32_e32 v56, -1, v5
	v_and_b32_e32 v58, 64, v5
	v_cmp_lt_i32_e32 vcc, v56, v58
	v_cndmask_b32_e32 v56, v56, v5, vcc
	s_waitcnt lgkmcnt(0)
	v_add_u32_e32 v55, v57, v55
	v_lshlrev_b32_e32 v56, 2, v56
	ds_bpermute_b32 v55, v56, v55
	v_cmp_eq_u32_e32 vcc, 0, v5
	s_movk_i32 s2, 0xff
	s_movk_i32 s3, 0x100
	s_waitcnt lgkmcnt(0)
	v_cndmask_b32_e32 v5, v55, v57, vcc
	v_cndmask_b32_e64 v5, v5, 0, s[0:1]
	v_add_u32_e32 v2, v5, v2
	v_add_u32_e32 v3, v2, v3
	;; [unrolled: 1-line block ×4, first 2 shown]
	ds_write2_b32 v6, v5, v2 offset0:16 offset1:17
	ds_write2_b32 v53, v3, v0 offset0:2 offset1:3
	ds_write_b32 v53, v1 offset:16
	s_waitcnt lgkmcnt(0)
	s_barrier
	ds_read_b32 v57, v7 offset:64
	ds_read_b32 v56, v12 offset:64
	;; [unrolled: 1-line block ×12, first 2 shown]
	v_cmp_lt_u32_e64 s[0:1], s2, v10
	v_cmp_gt_u32_e32 vcc, s3, v10
	v_pk_mov_b32 v[0:1], 0, 0
                                        ; implicit-def: $vgpr12
	s_and_saveexec_b64 s[4:5], vcc
	s_cbranch_execz .LBB1830_135
; %bb.132:
	v_mul_u32_u24_e32 v0, 17, v10
	v_lshlrev_b32_e32 v12, 2, v0
	ds_read_b32 v0, v12 offset:64
	v_cmp_ne_u32_e64 s[2:3], s2, v10
	v_mov_b32_e32 v1, 0x3000
	s_and_saveexec_b64 s[6:7], s[2:3]
	s_cbranch_execz .LBB1830_134
; %bb.133:
	ds_read_b32 v1, v12 offset:132
.LBB1830_134:
	s_or_b64 exec, exec, s[6:7]
	s_waitcnt lgkmcnt(0)
	v_sub_u32_e32 v12, v1, v0
	v_mov_b32_e32 v1, 0
.LBB1830_135:
	s_or_b64 exec, exec, s[4:5]
	v_add_u32_e32 v11, v13, v11
	s_waitcnt lgkmcnt(11)
	v_add_lshl_u32 v8, v57, v8, 1
	v_add_u32_e32 v15, v19, v15
	s_waitcnt lgkmcnt(0)
	s_barrier
	ds_write_b16 v8, v4 offset:2048
	v_add_lshl_u32 v4, v11, v56, 1
	v_add_u32_e32 v21, v24, v21
	ds_write_b16 v4, v9 offset:2048
	v_add_lshl_u32 v4, v15, v55, 1
	v_add_u32_e32 v26, v30, v26
	;; [unrolled: 3-line block ×7, first 2 shown]
	v_add_u32_e32 v33, v51, v49
	v_add_u32_e32 v38, v48, v46
	ds_write_b16 v4, v37 offset:2048
	v_add_lshl_u32 v4, v41, v6, 1
	ds_write_b16 v4, v32 offset:2048
	v_add_lshl_u32 v4, v38, v5, 1
	v_add_lshl_u32 v3, v33, v3, 1
	;; [unrolled: 1-line block ×3, first 2 shown]
	ds_write_b16 v4, v27 offset:2048
	ds_write_b16 v3, v22 offset:2048
	;; [unrolled: 1-line block ×3, first 2 shown]
	s_and_saveexec_b64 s[2:3], s[0:1]
	s_xor_b64 s[0:1], exec, s[2:3]
; %bb.136:
	v_mov_b32_e32 v11, 0
; %bb.137:
	s_andn2_saveexec_b64 s[2:3], s[0:1]
	s_cbranch_execz .LBB1830_147
; %bb.138:
	v_lshl_or_b32 v2, s30, 8, v10
	v_mov_b32_e32 v3, 0
	v_lshlrev_b64 v[4:5], 2, v[2:3]
	v_mov_b32_e32 v9, s15
	v_add_co_u32_e64 v4, s[0:1], s14, v4
	v_addc_co_u32_e64 v5, s[0:1], v9, v5, s[0:1]
	v_or_b32_e32 v2, 2.0, v12
	s_mov_b64 s[4:5], 0
	s_brev_b32 s12, 1
	s_mov_b32 s13, s30
	v_mov_b32_e32 v8, 0
	global_store_dword v[4:5], v2, off
                                        ; implicit-def: $sgpr0_sgpr1
	s_branch .LBB1830_141
.LBB1830_139:                           ;   in Loop: Header=BB1830_141 Depth=1
	s_or_b64 exec, exec, s[8:9]
.LBB1830_140:                           ;   in Loop: Header=BB1830_141 Depth=1
	s_or_b64 exec, exec, s[6:7]
	v_and_b32_e32 v6, 0x3fffffff, v11
	v_add_u32_e32 v8, v6, v8
	v_cmp_eq_u32_e64 s[0:1], s12, v2
	s_and_b64 s[6:7], exec, s[0:1]
	s_or_b64 s[4:5], s[6:7], s[4:5]
	s_andn2_b64 exec, exec, s[4:5]
	s_cbranch_execz .LBB1830_146
.LBB1830_141:                           ; =>This Loop Header: Depth=1
                                        ;     Child Loop BB1830_144 Depth 2
	s_or_b64 s[0:1], s[0:1], exec
	s_cmp_eq_u32 s13, 0
	s_cbranch_scc1 .LBB1830_145
; %bb.142:                              ;   in Loop: Header=BB1830_141 Depth=1
	s_add_i32 s13, s13, -1
	v_lshl_or_b32 v2, s13, 8, v10
	v_lshlrev_b64 v[6:7], 2, v[2:3]
	v_add_co_u32_e64 v6, s[0:1], s14, v6
	v_addc_co_u32_e64 v7, s[0:1], v9, v7, s[0:1]
	global_load_dword v11, v[6:7], off glc
	s_waitcnt vmcnt(0)
	v_and_b32_e32 v2, -2.0, v11
	v_cmp_eq_u32_e64 s[0:1], 0, v2
	s_and_saveexec_b64 s[6:7], s[0:1]
	s_cbranch_execz .LBB1830_140
; %bb.143:                              ;   in Loop: Header=BB1830_141 Depth=1
	s_mov_b64 s[8:9], 0
.LBB1830_144:                           ;   Parent Loop BB1830_141 Depth=1
                                        ; =>  This Inner Loop Header: Depth=2
	global_load_dword v11, v[6:7], off glc
	s_waitcnt vmcnt(0)
	v_and_b32_e32 v2, -2.0, v11
	v_cmp_ne_u32_e64 s[0:1], 0, v2
	s_or_b64 s[8:9], s[0:1], s[8:9]
	s_andn2_b64 exec, exec, s[8:9]
	s_cbranch_execnz .LBB1830_144
	s_branch .LBB1830_139
.LBB1830_145:                           ;   in Loop: Header=BB1830_141 Depth=1
                                        ; implicit-def: $sgpr13
	s_and_b64 s[6:7], exec, s[0:1]
	s_or_b64 s[4:5], s[6:7], s[4:5]
	s_andn2_b64 exec, exec, s[4:5]
	s_cbranch_execnz .LBB1830_141
.LBB1830_146:
	s_or_b64 exec, exec, s[4:5]
	v_add_u32_e32 v2, v8, v12
	v_or_b32_e32 v2, 0x80000000, v2
	global_store_dword v[4:5], v2, off
	v_lshlrev_b32_e32 v4, 3, v10
	global_load_dwordx2 v[2:3], v4, s[16:17]
	v_sub_co_u32_e64 v5, s[0:1], v8, v0
	v_subb_co_u32_e64 v6, s[0:1], 0, v1, s[0:1]
	v_mov_b32_e32 v11, 0
	s_waitcnt vmcnt(0)
	v_add_co_u32_e64 v2, s[0:1], v5, v2
	v_addc_co_u32_e64 v3, s[0:1], v6, v3, s[0:1]
	ds_write_b64 v4, v[2:3]
.LBB1830_147:
	s_or_b64 exec, exec, s[2:3]
	v_lshlrev_b32_e32 v2, 1, v10
	s_waitcnt lgkmcnt(0)
	s_barrier
	ds_read_u16 v3, v2 offset:2048
	ds_read_u16 v8, v2 offset:4096
	;; [unrolled: 1-line block ×8, first 2 shown]
	s_waitcnt lgkmcnt(7)
	v_lshrrev_b32_sdwa v4, s20, v3 dst_sel:DWORD dst_unused:UNUSED_PAD src0_sel:DWORD src1_sel:WORD_0
	v_and_b32_e32 v4, s21, v4
	v_lshlrev_b32_e32 v4, 3, v4
	ds_read_b64 v[4:5], v4
	ds_read_u16 v23, v2 offset:18432
	ds_read_u16 v24, v2 offset:20480
	;; [unrolled: 1-line block ×4, first 2 shown]
	s_waitcnt lgkmcnt(4)
	v_lshlrev_b64 v[4:5], 1, v[4:5]
	v_mov_b32_e32 v6, s27
	v_add_co_u32_e64 v7, s[0:1], s26, v4
	v_addc_co_u32_e64 v9, s[0:1], v6, v5, s[0:1]
	v_lshlrev_b64 v[4:5], 1, v[10:11]
	v_add_co_u32_e64 v6, s[0:1], v7, v4
	v_xor_b32_e32 v3, 0x7fff, v3
	v_addc_co_u32_e64 v7, s[0:1], v9, v5, s[0:1]
	global_store_short v[6:7], v3, off
	v_lshrrev_b32_sdwa v6, s20, v13 dst_sel:DWORD dst_unused:UNUSED_PAD src0_sel:DWORD src1_sel:WORD_0
	v_and_b32_e32 v6, s21, v6
	v_lshrrev_b32_sdwa v3, s20, v8 dst_sel:DWORD dst_unused:UNUSED_PAD src0_sel:DWORD src1_sel:WORD_0
	v_xor_b32_e32 v27, 0x7fff, v8
	v_lshlrev_b32_e32 v8, 3, v6
	v_lshrrev_b32_sdwa v6, s20, v18 dst_sel:DWORD dst_unused:UNUSED_PAD src0_sel:DWORD src1_sel:WORD_0
	v_and_b32_e32 v3, s21, v3
	v_and_b32_e32 v6, s21, v6
	v_lshlrev_b32_e32 v3, 3, v3
	v_lshlrev_b32_e32 v14, 3, v6
	v_lshrrev_b32_sdwa v6, s20, v19 dst_sel:DWORD dst_unused:UNUSED_PAD src0_sel:DWORD src1_sel:WORD_0
	v_and_b32_e32 v9, s21, v6
	ds_read_b64 v[6:7], v3
	v_lshlrev_b32_e32 v3, 3, v9
	ds_read_b64 v[8:9], v8
	ds_read_b64 v[14:15], v14
	;; [unrolled: 1-line block ×3, first 2 shown]
	v_mov_b32_e32 v3, s27
	s_add_i32 s22, s22, -1
	s_waitcnt lgkmcnt(3)
	v_lshlrev_b64 v[6:7], 1, v[6:7]
	v_add_co_u32_e64 v6, s[0:1], s26, v6
	v_addc_co_u32_e64 v3, s[0:1], v3, v7, s[0:1]
	v_add_co_u32_e64 v4, s[0:1], v6, v4
	v_addc_co_u32_e64 v5, s[0:1], v3, v5, s[0:1]
	global_store_short v[4:5], v27, off offset:2048
	s_waitcnt lgkmcnt(2)
	v_lshlrev_b64 v[4:5], 1, v[8:9]
	v_mov_b32_e32 v6, s27
	v_add_co_u32_e64 v4, s[0:1], s26, v4
	v_addc_co_u32_e64 v5, s[0:1], v6, v5, s[0:1]
	v_or_b32_e32 v6, 0x1000, v2
	v_add_co_u32_e64 v4, s[0:1], v4, v6
	v_xor_b32_e32 v3, 0x7fff, v13
	v_addc_co_u32_e64 v5, s[0:1], 0, v5, s[0:1]
	global_store_short v[4:5], v3, off
	s_waitcnt lgkmcnt(1)
	v_lshlrev_b64 v[4:5], 1, v[14:15]
	v_mov_b32_e32 v6, s27
	v_add_co_u32_e64 v4, s[0:1], s26, v4
	v_addc_co_u32_e64 v5, s[0:1], v6, v5, s[0:1]
	v_or_b32_e32 v6, 0x1800, v2
	v_add_co_u32_e64 v4, s[0:1], v4, v6
	v_xor_b32_e32 v3, 0x7fff, v18
	v_addc_co_u32_e64 v5, s[0:1], 0, v5, s[0:1]
	global_store_short v[4:5], v3, off
	s_waitcnt lgkmcnt(0)
	v_lshlrev_b64 v[4:5], 1, v[16:17]
	v_mov_b32_e32 v6, s27
	v_add_co_u32_e64 v4, s[0:1], s26, v4
	v_addc_co_u32_e64 v5, s[0:1], v6, v5, s[0:1]
	v_or_b32_e32 v6, 0x2000, v2
	v_add_co_u32_e64 v4, s[0:1], v4, v6
	v_xor_b32_e32 v3, 0x7fff, v19
	v_addc_co_u32_e64 v5, s[0:1], 0, v5, s[0:1]
	global_store_short v[4:5], v3, off
	v_lshrrev_b32_sdwa v4, s20, v21 dst_sel:DWORD dst_unused:UNUSED_PAD src0_sel:DWORD src1_sel:WORD_0
	v_and_b32_e32 v4, s21, v4
	v_lshrrev_b32_sdwa v3, s20, v20 dst_sel:DWORD dst_unused:UNUSED_PAD src0_sel:DWORD src1_sel:WORD_0
	v_lshlrev_b32_e32 v6, 3, v4
	v_lshrrev_b32_sdwa v4, s20, v22 dst_sel:DWORD dst_unused:UNUSED_PAD src0_sel:DWORD src1_sel:WORD_0
	v_and_b32_e32 v3, s21, v3
	v_and_b32_e32 v4, s21, v4
	v_lshlrev_b32_e32 v3, 3, v3
	v_lshlrev_b32_e32 v8, 3, v4
	v_lshrrev_b32_sdwa v4, s20, v23 dst_sel:DWORD dst_unused:UNUSED_PAD src0_sel:DWORD src1_sel:WORD_0
	v_and_b32_e32 v7, s21, v4
	ds_read_b64 v[4:5], v3
	v_lshlrev_b32_e32 v3, 3, v7
	ds_read_b64 v[6:7], v6
	ds_read_b64 v[8:9], v8
	;; [unrolled: 1-line block ×3, first 2 shown]
	v_mov_b32_e32 v3, s27
	v_xor_b32_e32 v13, 0x7fff, v20
	s_waitcnt lgkmcnt(3)
	v_lshlrev_b64 v[4:5], 1, v[4:5]
	v_add_co_u32_e64 v4, s[0:1], s26, v4
	v_addc_co_u32_e64 v3, s[0:1], v3, v5, s[0:1]
	v_or_b32_e32 v5, 0x2800, v2
	v_add_co_u32_e64 v4, s[0:1], v4, v5
	v_addc_co_u32_e64 v5, s[0:1], 0, v3, s[0:1]
	global_store_short v[4:5], v13, off
	s_waitcnt lgkmcnt(2)
	v_lshlrev_b64 v[4:5], 1, v[6:7]
	v_mov_b32_e32 v6, s27
	v_add_co_u32_e64 v4, s[0:1], s26, v4
	v_addc_co_u32_e64 v5, s[0:1], v6, v5, s[0:1]
	v_or_b32_e32 v6, 0x3000, v2
	v_add_co_u32_e64 v4, s[0:1], v4, v6
	v_xor_b32_e32 v3, 0x7fff, v21
	v_addc_co_u32_e64 v5, s[0:1], 0, v5, s[0:1]
	global_store_short v[4:5], v3, off
	s_waitcnt lgkmcnt(1)
	v_lshlrev_b64 v[4:5], 1, v[8:9]
	v_mov_b32_e32 v6, s27
	v_add_co_u32_e64 v4, s[0:1], s26, v4
	v_addc_co_u32_e64 v5, s[0:1], v6, v5, s[0:1]
	v_or_b32_e32 v6, 0x3800, v2
	v_add_co_u32_e64 v4, s[0:1], v4, v6
	v_xor_b32_e32 v3, 0x7fff, v22
	;; [unrolled: 10-line block ×3, first 2 shown]
	v_addc_co_u32_e64 v5, s[0:1], 0, v5, s[0:1]
	global_store_short v[4:5], v3, off
	v_lshrrev_b32_sdwa v3, s20, v24 dst_sel:DWORD dst_unused:UNUSED_PAD src0_sel:DWORD src1_sel:WORD_0
	v_and_b32_e32 v3, s21, v3
	v_lshrrev_b32_sdwa v4, s20, v25 dst_sel:DWORD dst_unused:UNUSED_PAD src0_sel:DWORD src1_sel:WORD_0
	v_lshlrev_b32_e32 v3, 3, v3
	v_and_b32_e32 v4, s21, v4
	v_lshlrev_b32_e32 v6, 3, v4
	ds_read_b64 v[4:5], v3
	v_lshrrev_b32_sdwa v7, s20, v26 dst_sel:DWORD dst_unused:UNUSED_PAD src0_sel:DWORD src1_sel:WORD_0
	v_and_b32_e32 v3, s21, v7
	v_lshlrev_b32_e32 v3, 3, v3
	ds_read_b64 v[6:7], v6
	ds_read_b64 v[8:9], v3
	s_waitcnt lgkmcnt(2)
	v_lshlrev_b64 v[4:5], 1, v[4:5]
	v_mov_b32_e32 v3, s27
	v_add_co_u32_e64 v4, s[0:1], s26, v4
	v_addc_co_u32_e64 v3, s[0:1], v3, v5, s[0:1]
	v_or_b32_e32 v5, 0x4800, v2
	v_add_co_u32_e64 v4, s[0:1], v4, v5
	v_xor_b32_e32 v13, 0x7fff, v24
	v_addc_co_u32_e64 v5, s[0:1], 0, v3, s[0:1]
	global_store_short v[4:5], v13, off
	s_waitcnt lgkmcnt(1)
	v_lshlrev_b64 v[4:5], 1, v[6:7]
	v_mov_b32_e32 v6, s27
	v_add_co_u32_e64 v4, s[0:1], s26, v4
	v_addc_co_u32_e64 v5, s[0:1], v6, v5, s[0:1]
	v_or_b32_e32 v6, 0x5000, v2
	v_add_co_u32_e64 v4, s[0:1], v4, v6
	v_xor_b32_e32 v3, 0x7fff, v25
	v_addc_co_u32_e64 v5, s[0:1], 0, v5, s[0:1]
	global_store_short v[4:5], v3, off
	s_waitcnt lgkmcnt(0)
	v_lshlrev_b64 v[4:5], 1, v[8:9]
	v_mov_b32_e32 v3, s27
	v_add_co_u32_e64 v4, s[0:1], s26, v4
	v_addc_co_u32_e64 v3, s[0:1], v3, v5, s[0:1]
	v_or_b32_e32 v2, 0x5800, v2
	v_add_co_u32_e64 v2, s[0:1], v4, v2
	v_addc_co_u32_e64 v3, s[0:1], 0, v3, s[0:1]
	s_cmp_eq_u32 s22, s30
	s_cselect_b64 s[0:1], -1, 0
	v_xor_b32_e32 v6, 0x7fff, v26
	s_and_b64 s[2:3], vcc, s[0:1]
	global_store_short v[2:3], v6, off
                                        ; implicit-def: $vgpr4_vgpr5
	s_and_saveexec_b64 s[0:1], s[2:3]
; %bb.148:
	v_add_co_u32_e32 v4, vcc, v0, v12
	v_addc_co_u32_e32 v5, vcc, 0, v1, vcc
	s_or_b64 s[10:11], s[10:11], exec
; %bb.149:
	s_or_b64 exec, exec, s[0:1]
.LBB1830_150:
	s_and_saveexec_b64 s[0:1], s[10:11]
	s_cbranch_execnz .LBB1830_152
; %bb.151:
	s_endpgm
.LBB1830_152:
	v_lshlrev_b32_e32 v2, 3, v10
	ds_read_b64 v[2:3], v2
	v_lshlrev_b64 v[0:1], 3, v[10:11]
	v_mov_b32_e32 v6, s19
	v_add_co_u32_e32 v0, vcc, s18, v0
	v_addc_co_u32_e32 v1, vcc, v6, v1, vcc
	s_waitcnt lgkmcnt(0)
	v_add_co_u32_e32 v2, vcc, v2, v4
	v_addc_co_u32_e32 v3, vcc, v3, v5, vcc
	global_store_dwordx2 v[0:1], v[2:3], off
	s_endpgm
	.section	.rodata,"a",@progbits
	.p2align	6, 0x0
	.amdhsa_kernel _ZN7rocprim17ROCPRIM_400000_NS6detail17trampoline_kernelINS0_14default_configENS1_35radix_sort_onesweep_config_selectorIsNS0_10empty_typeEEEZZNS1_29radix_sort_onesweep_iterationIS3_Lb1EPsS8_PS5_S9_mNS0_19identity_decomposerENS1_16block_id_wrapperIjLb1EEEEE10hipError_tT1_PNSt15iterator_traitsISE_E10value_typeET2_T3_PNSF_ISK_E10value_typeET4_T5_PSP_SQ_PNS1_23onesweep_lookback_stateEbbT6_jjT7_P12ihipStream_tbENKUlT_T0_SE_SJ_E_clIS8_S8_S9_S9_EEDaSX_SY_SE_SJ_EUlSX_E_NS1_11comp_targetILNS1_3genE4ELNS1_11target_archE910ELNS1_3gpuE8ELNS1_3repE0EEENS1_47radix_sort_onesweep_sort_config_static_selectorELNS0_4arch9wavefront6targetE1EEEvSE_
		.amdhsa_group_segment_fixed_size 26632
		.amdhsa_private_segment_fixed_size 0
		.amdhsa_kernarg_size 344
		.amdhsa_user_sgpr_count 6
		.amdhsa_user_sgpr_private_segment_buffer 1
		.amdhsa_user_sgpr_dispatch_ptr 0
		.amdhsa_user_sgpr_queue_ptr 0
		.amdhsa_user_sgpr_kernarg_segment_ptr 1
		.amdhsa_user_sgpr_dispatch_id 0
		.amdhsa_user_sgpr_flat_scratch_init 0
		.amdhsa_user_sgpr_kernarg_preload_length 0
		.amdhsa_user_sgpr_kernarg_preload_offset 0
		.amdhsa_user_sgpr_private_segment_size 0
		.amdhsa_uses_dynamic_stack 0
		.amdhsa_system_sgpr_private_segment_wavefront_offset 0
		.amdhsa_system_sgpr_workgroup_id_x 1
		.amdhsa_system_sgpr_workgroup_id_y 0
		.amdhsa_system_sgpr_workgroup_id_z 0
		.amdhsa_system_sgpr_workgroup_info 0
		.amdhsa_system_vgpr_workitem_id 2
		.amdhsa_next_free_vgpr 62
		.amdhsa_next_free_sgpr 35
		.amdhsa_accum_offset 64
		.amdhsa_reserve_vcc 1
		.amdhsa_reserve_flat_scratch 0
		.amdhsa_float_round_mode_32 0
		.amdhsa_float_round_mode_16_64 0
		.amdhsa_float_denorm_mode_32 3
		.amdhsa_float_denorm_mode_16_64 3
		.amdhsa_dx10_clamp 1
		.amdhsa_ieee_mode 1
		.amdhsa_fp16_overflow 0
		.amdhsa_tg_split 0
		.amdhsa_exception_fp_ieee_invalid_op 0
		.amdhsa_exception_fp_denorm_src 0
		.amdhsa_exception_fp_ieee_div_zero 0
		.amdhsa_exception_fp_ieee_overflow 0
		.amdhsa_exception_fp_ieee_underflow 0
		.amdhsa_exception_fp_ieee_inexact 0
		.amdhsa_exception_int_div_zero 0
	.end_amdhsa_kernel
	.section	.text._ZN7rocprim17ROCPRIM_400000_NS6detail17trampoline_kernelINS0_14default_configENS1_35radix_sort_onesweep_config_selectorIsNS0_10empty_typeEEEZZNS1_29radix_sort_onesweep_iterationIS3_Lb1EPsS8_PS5_S9_mNS0_19identity_decomposerENS1_16block_id_wrapperIjLb1EEEEE10hipError_tT1_PNSt15iterator_traitsISE_E10value_typeET2_T3_PNSF_ISK_E10value_typeET4_T5_PSP_SQ_PNS1_23onesweep_lookback_stateEbbT6_jjT7_P12ihipStream_tbENKUlT_T0_SE_SJ_E_clIS8_S8_S9_S9_EEDaSX_SY_SE_SJ_EUlSX_E_NS1_11comp_targetILNS1_3genE4ELNS1_11target_archE910ELNS1_3gpuE8ELNS1_3repE0EEENS1_47radix_sort_onesweep_sort_config_static_selectorELNS0_4arch9wavefront6targetE1EEEvSE_,"axG",@progbits,_ZN7rocprim17ROCPRIM_400000_NS6detail17trampoline_kernelINS0_14default_configENS1_35radix_sort_onesweep_config_selectorIsNS0_10empty_typeEEEZZNS1_29radix_sort_onesweep_iterationIS3_Lb1EPsS8_PS5_S9_mNS0_19identity_decomposerENS1_16block_id_wrapperIjLb1EEEEE10hipError_tT1_PNSt15iterator_traitsISE_E10value_typeET2_T3_PNSF_ISK_E10value_typeET4_T5_PSP_SQ_PNS1_23onesweep_lookback_stateEbbT6_jjT7_P12ihipStream_tbENKUlT_T0_SE_SJ_E_clIS8_S8_S9_S9_EEDaSX_SY_SE_SJ_EUlSX_E_NS1_11comp_targetILNS1_3genE4ELNS1_11target_archE910ELNS1_3gpuE8ELNS1_3repE0EEENS1_47radix_sort_onesweep_sort_config_static_selectorELNS0_4arch9wavefront6targetE1EEEvSE_,comdat
.Lfunc_end1830:
	.size	_ZN7rocprim17ROCPRIM_400000_NS6detail17trampoline_kernelINS0_14default_configENS1_35radix_sort_onesweep_config_selectorIsNS0_10empty_typeEEEZZNS1_29radix_sort_onesweep_iterationIS3_Lb1EPsS8_PS5_S9_mNS0_19identity_decomposerENS1_16block_id_wrapperIjLb1EEEEE10hipError_tT1_PNSt15iterator_traitsISE_E10value_typeET2_T3_PNSF_ISK_E10value_typeET4_T5_PSP_SQ_PNS1_23onesweep_lookback_stateEbbT6_jjT7_P12ihipStream_tbENKUlT_T0_SE_SJ_E_clIS8_S8_S9_S9_EEDaSX_SY_SE_SJ_EUlSX_E_NS1_11comp_targetILNS1_3genE4ELNS1_11target_archE910ELNS1_3gpuE8ELNS1_3repE0EEENS1_47radix_sort_onesweep_sort_config_static_selectorELNS0_4arch9wavefront6targetE1EEEvSE_, .Lfunc_end1830-_ZN7rocprim17ROCPRIM_400000_NS6detail17trampoline_kernelINS0_14default_configENS1_35radix_sort_onesweep_config_selectorIsNS0_10empty_typeEEEZZNS1_29radix_sort_onesweep_iterationIS3_Lb1EPsS8_PS5_S9_mNS0_19identity_decomposerENS1_16block_id_wrapperIjLb1EEEEE10hipError_tT1_PNSt15iterator_traitsISE_E10value_typeET2_T3_PNSF_ISK_E10value_typeET4_T5_PSP_SQ_PNS1_23onesweep_lookback_stateEbbT6_jjT7_P12ihipStream_tbENKUlT_T0_SE_SJ_E_clIS8_S8_S9_S9_EEDaSX_SY_SE_SJ_EUlSX_E_NS1_11comp_targetILNS1_3genE4ELNS1_11target_archE910ELNS1_3gpuE8ELNS1_3repE0EEENS1_47radix_sort_onesweep_sort_config_static_selectorELNS0_4arch9wavefront6targetE1EEEvSE_
                                        ; -- End function
	.section	.AMDGPU.csdata,"",@progbits
; Kernel info:
; codeLenInByte = 16408
; NumSgprs: 39
; NumVgprs: 62
; NumAgprs: 0
; TotalNumVgprs: 62
; ScratchSize: 0
; MemoryBound: 0
; FloatMode: 240
; IeeeMode: 1
; LDSByteSize: 26632 bytes/workgroup (compile time only)
; SGPRBlocks: 4
; VGPRBlocks: 7
; NumSGPRsForWavesPerEU: 39
; NumVGPRsForWavesPerEU: 62
; AccumOffset: 64
; Occupancy: 8
; WaveLimiterHint : 1
; COMPUTE_PGM_RSRC2:SCRATCH_EN: 0
; COMPUTE_PGM_RSRC2:USER_SGPR: 6
; COMPUTE_PGM_RSRC2:TRAP_HANDLER: 0
; COMPUTE_PGM_RSRC2:TGID_X_EN: 1
; COMPUTE_PGM_RSRC2:TGID_Y_EN: 0
; COMPUTE_PGM_RSRC2:TGID_Z_EN: 0
; COMPUTE_PGM_RSRC2:TIDIG_COMP_CNT: 2
; COMPUTE_PGM_RSRC3_GFX90A:ACCUM_OFFSET: 15
; COMPUTE_PGM_RSRC3_GFX90A:TG_SPLIT: 0
	.section	.text._ZN7rocprim17ROCPRIM_400000_NS6detail17trampoline_kernelINS0_14default_configENS1_35radix_sort_onesweep_config_selectorIsNS0_10empty_typeEEEZZNS1_29radix_sort_onesweep_iterationIS3_Lb1EPsS8_PS5_S9_mNS0_19identity_decomposerENS1_16block_id_wrapperIjLb1EEEEE10hipError_tT1_PNSt15iterator_traitsISE_E10value_typeET2_T3_PNSF_ISK_E10value_typeET4_T5_PSP_SQ_PNS1_23onesweep_lookback_stateEbbT6_jjT7_P12ihipStream_tbENKUlT_T0_SE_SJ_E_clIS8_S8_S9_S9_EEDaSX_SY_SE_SJ_EUlSX_E_NS1_11comp_targetILNS1_3genE3ELNS1_11target_archE908ELNS1_3gpuE7ELNS1_3repE0EEENS1_47radix_sort_onesweep_sort_config_static_selectorELNS0_4arch9wavefront6targetE1EEEvSE_,"axG",@progbits,_ZN7rocprim17ROCPRIM_400000_NS6detail17trampoline_kernelINS0_14default_configENS1_35radix_sort_onesweep_config_selectorIsNS0_10empty_typeEEEZZNS1_29radix_sort_onesweep_iterationIS3_Lb1EPsS8_PS5_S9_mNS0_19identity_decomposerENS1_16block_id_wrapperIjLb1EEEEE10hipError_tT1_PNSt15iterator_traitsISE_E10value_typeET2_T3_PNSF_ISK_E10value_typeET4_T5_PSP_SQ_PNS1_23onesweep_lookback_stateEbbT6_jjT7_P12ihipStream_tbENKUlT_T0_SE_SJ_E_clIS8_S8_S9_S9_EEDaSX_SY_SE_SJ_EUlSX_E_NS1_11comp_targetILNS1_3genE3ELNS1_11target_archE908ELNS1_3gpuE7ELNS1_3repE0EEENS1_47radix_sort_onesweep_sort_config_static_selectorELNS0_4arch9wavefront6targetE1EEEvSE_,comdat
	.protected	_ZN7rocprim17ROCPRIM_400000_NS6detail17trampoline_kernelINS0_14default_configENS1_35radix_sort_onesweep_config_selectorIsNS0_10empty_typeEEEZZNS1_29radix_sort_onesweep_iterationIS3_Lb1EPsS8_PS5_S9_mNS0_19identity_decomposerENS1_16block_id_wrapperIjLb1EEEEE10hipError_tT1_PNSt15iterator_traitsISE_E10value_typeET2_T3_PNSF_ISK_E10value_typeET4_T5_PSP_SQ_PNS1_23onesweep_lookback_stateEbbT6_jjT7_P12ihipStream_tbENKUlT_T0_SE_SJ_E_clIS8_S8_S9_S9_EEDaSX_SY_SE_SJ_EUlSX_E_NS1_11comp_targetILNS1_3genE3ELNS1_11target_archE908ELNS1_3gpuE7ELNS1_3repE0EEENS1_47radix_sort_onesweep_sort_config_static_selectorELNS0_4arch9wavefront6targetE1EEEvSE_ ; -- Begin function _ZN7rocprim17ROCPRIM_400000_NS6detail17trampoline_kernelINS0_14default_configENS1_35radix_sort_onesweep_config_selectorIsNS0_10empty_typeEEEZZNS1_29radix_sort_onesweep_iterationIS3_Lb1EPsS8_PS5_S9_mNS0_19identity_decomposerENS1_16block_id_wrapperIjLb1EEEEE10hipError_tT1_PNSt15iterator_traitsISE_E10value_typeET2_T3_PNSF_ISK_E10value_typeET4_T5_PSP_SQ_PNS1_23onesweep_lookback_stateEbbT6_jjT7_P12ihipStream_tbENKUlT_T0_SE_SJ_E_clIS8_S8_S9_S9_EEDaSX_SY_SE_SJ_EUlSX_E_NS1_11comp_targetILNS1_3genE3ELNS1_11target_archE908ELNS1_3gpuE7ELNS1_3repE0EEENS1_47radix_sort_onesweep_sort_config_static_selectorELNS0_4arch9wavefront6targetE1EEEvSE_
	.globl	_ZN7rocprim17ROCPRIM_400000_NS6detail17trampoline_kernelINS0_14default_configENS1_35radix_sort_onesweep_config_selectorIsNS0_10empty_typeEEEZZNS1_29radix_sort_onesweep_iterationIS3_Lb1EPsS8_PS5_S9_mNS0_19identity_decomposerENS1_16block_id_wrapperIjLb1EEEEE10hipError_tT1_PNSt15iterator_traitsISE_E10value_typeET2_T3_PNSF_ISK_E10value_typeET4_T5_PSP_SQ_PNS1_23onesweep_lookback_stateEbbT6_jjT7_P12ihipStream_tbENKUlT_T0_SE_SJ_E_clIS8_S8_S9_S9_EEDaSX_SY_SE_SJ_EUlSX_E_NS1_11comp_targetILNS1_3genE3ELNS1_11target_archE908ELNS1_3gpuE7ELNS1_3repE0EEENS1_47radix_sort_onesweep_sort_config_static_selectorELNS0_4arch9wavefront6targetE1EEEvSE_
	.p2align	8
	.type	_ZN7rocprim17ROCPRIM_400000_NS6detail17trampoline_kernelINS0_14default_configENS1_35radix_sort_onesweep_config_selectorIsNS0_10empty_typeEEEZZNS1_29radix_sort_onesweep_iterationIS3_Lb1EPsS8_PS5_S9_mNS0_19identity_decomposerENS1_16block_id_wrapperIjLb1EEEEE10hipError_tT1_PNSt15iterator_traitsISE_E10value_typeET2_T3_PNSF_ISK_E10value_typeET4_T5_PSP_SQ_PNS1_23onesweep_lookback_stateEbbT6_jjT7_P12ihipStream_tbENKUlT_T0_SE_SJ_E_clIS8_S8_S9_S9_EEDaSX_SY_SE_SJ_EUlSX_E_NS1_11comp_targetILNS1_3genE3ELNS1_11target_archE908ELNS1_3gpuE7ELNS1_3repE0EEENS1_47radix_sort_onesweep_sort_config_static_selectorELNS0_4arch9wavefront6targetE1EEEvSE_,@function
_ZN7rocprim17ROCPRIM_400000_NS6detail17trampoline_kernelINS0_14default_configENS1_35radix_sort_onesweep_config_selectorIsNS0_10empty_typeEEEZZNS1_29radix_sort_onesweep_iterationIS3_Lb1EPsS8_PS5_S9_mNS0_19identity_decomposerENS1_16block_id_wrapperIjLb1EEEEE10hipError_tT1_PNSt15iterator_traitsISE_E10value_typeET2_T3_PNSF_ISK_E10value_typeET4_T5_PSP_SQ_PNS1_23onesweep_lookback_stateEbbT6_jjT7_P12ihipStream_tbENKUlT_T0_SE_SJ_E_clIS8_S8_S9_S9_EEDaSX_SY_SE_SJ_EUlSX_E_NS1_11comp_targetILNS1_3genE3ELNS1_11target_archE908ELNS1_3gpuE7ELNS1_3repE0EEENS1_47radix_sort_onesweep_sort_config_static_selectorELNS0_4arch9wavefront6targetE1EEEvSE_: ; @_ZN7rocprim17ROCPRIM_400000_NS6detail17trampoline_kernelINS0_14default_configENS1_35radix_sort_onesweep_config_selectorIsNS0_10empty_typeEEEZZNS1_29radix_sort_onesweep_iterationIS3_Lb1EPsS8_PS5_S9_mNS0_19identity_decomposerENS1_16block_id_wrapperIjLb1EEEEE10hipError_tT1_PNSt15iterator_traitsISE_E10value_typeET2_T3_PNSF_ISK_E10value_typeET4_T5_PSP_SQ_PNS1_23onesweep_lookback_stateEbbT6_jjT7_P12ihipStream_tbENKUlT_T0_SE_SJ_E_clIS8_S8_S9_S9_EEDaSX_SY_SE_SJ_EUlSX_E_NS1_11comp_targetILNS1_3genE3ELNS1_11target_archE908ELNS1_3gpuE7ELNS1_3repE0EEENS1_47radix_sort_onesweep_sort_config_static_selectorELNS0_4arch9wavefront6targetE1EEEvSE_
; %bb.0:
	.section	.rodata,"a",@progbits
	.p2align	6, 0x0
	.amdhsa_kernel _ZN7rocprim17ROCPRIM_400000_NS6detail17trampoline_kernelINS0_14default_configENS1_35radix_sort_onesweep_config_selectorIsNS0_10empty_typeEEEZZNS1_29radix_sort_onesweep_iterationIS3_Lb1EPsS8_PS5_S9_mNS0_19identity_decomposerENS1_16block_id_wrapperIjLb1EEEEE10hipError_tT1_PNSt15iterator_traitsISE_E10value_typeET2_T3_PNSF_ISK_E10value_typeET4_T5_PSP_SQ_PNS1_23onesweep_lookback_stateEbbT6_jjT7_P12ihipStream_tbENKUlT_T0_SE_SJ_E_clIS8_S8_S9_S9_EEDaSX_SY_SE_SJ_EUlSX_E_NS1_11comp_targetILNS1_3genE3ELNS1_11target_archE908ELNS1_3gpuE7ELNS1_3repE0EEENS1_47radix_sort_onesweep_sort_config_static_selectorELNS0_4arch9wavefront6targetE1EEEvSE_
		.amdhsa_group_segment_fixed_size 0
		.amdhsa_private_segment_fixed_size 0
		.amdhsa_kernarg_size 88
		.amdhsa_user_sgpr_count 6
		.amdhsa_user_sgpr_private_segment_buffer 1
		.amdhsa_user_sgpr_dispatch_ptr 0
		.amdhsa_user_sgpr_queue_ptr 0
		.amdhsa_user_sgpr_kernarg_segment_ptr 1
		.amdhsa_user_sgpr_dispatch_id 0
		.amdhsa_user_sgpr_flat_scratch_init 0
		.amdhsa_user_sgpr_kernarg_preload_length 0
		.amdhsa_user_sgpr_kernarg_preload_offset 0
		.amdhsa_user_sgpr_private_segment_size 0
		.amdhsa_uses_dynamic_stack 0
		.amdhsa_system_sgpr_private_segment_wavefront_offset 0
		.amdhsa_system_sgpr_workgroup_id_x 1
		.amdhsa_system_sgpr_workgroup_id_y 0
		.amdhsa_system_sgpr_workgroup_id_z 0
		.amdhsa_system_sgpr_workgroup_info 0
		.amdhsa_system_vgpr_workitem_id 0
		.amdhsa_next_free_vgpr 1
		.amdhsa_next_free_sgpr 0
		.amdhsa_accum_offset 4
		.amdhsa_reserve_vcc 0
		.amdhsa_reserve_flat_scratch 0
		.amdhsa_float_round_mode_32 0
		.amdhsa_float_round_mode_16_64 0
		.amdhsa_float_denorm_mode_32 3
		.amdhsa_float_denorm_mode_16_64 3
		.amdhsa_dx10_clamp 1
		.amdhsa_ieee_mode 1
		.amdhsa_fp16_overflow 0
		.amdhsa_tg_split 0
		.amdhsa_exception_fp_ieee_invalid_op 0
		.amdhsa_exception_fp_denorm_src 0
		.amdhsa_exception_fp_ieee_div_zero 0
		.amdhsa_exception_fp_ieee_overflow 0
		.amdhsa_exception_fp_ieee_underflow 0
		.amdhsa_exception_fp_ieee_inexact 0
		.amdhsa_exception_int_div_zero 0
	.end_amdhsa_kernel
	.section	.text._ZN7rocprim17ROCPRIM_400000_NS6detail17trampoline_kernelINS0_14default_configENS1_35radix_sort_onesweep_config_selectorIsNS0_10empty_typeEEEZZNS1_29radix_sort_onesweep_iterationIS3_Lb1EPsS8_PS5_S9_mNS0_19identity_decomposerENS1_16block_id_wrapperIjLb1EEEEE10hipError_tT1_PNSt15iterator_traitsISE_E10value_typeET2_T3_PNSF_ISK_E10value_typeET4_T5_PSP_SQ_PNS1_23onesweep_lookback_stateEbbT6_jjT7_P12ihipStream_tbENKUlT_T0_SE_SJ_E_clIS8_S8_S9_S9_EEDaSX_SY_SE_SJ_EUlSX_E_NS1_11comp_targetILNS1_3genE3ELNS1_11target_archE908ELNS1_3gpuE7ELNS1_3repE0EEENS1_47radix_sort_onesweep_sort_config_static_selectorELNS0_4arch9wavefront6targetE1EEEvSE_,"axG",@progbits,_ZN7rocprim17ROCPRIM_400000_NS6detail17trampoline_kernelINS0_14default_configENS1_35radix_sort_onesweep_config_selectorIsNS0_10empty_typeEEEZZNS1_29radix_sort_onesweep_iterationIS3_Lb1EPsS8_PS5_S9_mNS0_19identity_decomposerENS1_16block_id_wrapperIjLb1EEEEE10hipError_tT1_PNSt15iterator_traitsISE_E10value_typeET2_T3_PNSF_ISK_E10value_typeET4_T5_PSP_SQ_PNS1_23onesweep_lookback_stateEbbT6_jjT7_P12ihipStream_tbENKUlT_T0_SE_SJ_E_clIS8_S8_S9_S9_EEDaSX_SY_SE_SJ_EUlSX_E_NS1_11comp_targetILNS1_3genE3ELNS1_11target_archE908ELNS1_3gpuE7ELNS1_3repE0EEENS1_47radix_sort_onesweep_sort_config_static_selectorELNS0_4arch9wavefront6targetE1EEEvSE_,comdat
.Lfunc_end1831:
	.size	_ZN7rocprim17ROCPRIM_400000_NS6detail17trampoline_kernelINS0_14default_configENS1_35radix_sort_onesweep_config_selectorIsNS0_10empty_typeEEEZZNS1_29radix_sort_onesweep_iterationIS3_Lb1EPsS8_PS5_S9_mNS0_19identity_decomposerENS1_16block_id_wrapperIjLb1EEEEE10hipError_tT1_PNSt15iterator_traitsISE_E10value_typeET2_T3_PNSF_ISK_E10value_typeET4_T5_PSP_SQ_PNS1_23onesweep_lookback_stateEbbT6_jjT7_P12ihipStream_tbENKUlT_T0_SE_SJ_E_clIS8_S8_S9_S9_EEDaSX_SY_SE_SJ_EUlSX_E_NS1_11comp_targetILNS1_3genE3ELNS1_11target_archE908ELNS1_3gpuE7ELNS1_3repE0EEENS1_47radix_sort_onesweep_sort_config_static_selectorELNS0_4arch9wavefront6targetE1EEEvSE_, .Lfunc_end1831-_ZN7rocprim17ROCPRIM_400000_NS6detail17trampoline_kernelINS0_14default_configENS1_35radix_sort_onesweep_config_selectorIsNS0_10empty_typeEEEZZNS1_29radix_sort_onesweep_iterationIS3_Lb1EPsS8_PS5_S9_mNS0_19identity_decomposerENS1_16block_id_wrapperIjLb1EEEEE10hipError_tT1_PNSt15iterator_traitsISE_E10value_typeET2_T3_PNSF_ISK_E10value_typeET4_T5_PSP_SQ_PNS1_23onesweep_lookback_stateEbbT6_jjT7_P12ihipStream_tbENKUlT_T0_SE_SJ_E_clIS8_S8_S9_S9_EEDaSX_SY_SE_SJ_EUlSX_E_NS1_11comp_targetILNS1_3genE3ELNS1_11target_archE908ELNS1_3gpuE7ELNS1_3repE0EEENS1_47radix_sort_onesweep_sort_config_static_selectorELNS0_4arch9wavefront6targetE1EEEvSE_
                                        ; -- End function
	.section	.AMDGPU.csdata,"",@progbits
; Kernel info:
; codeLenInByte = 0
; NumSgprs: 4
; NumVgprs: 0
; NumAgprs: 0
; TotalNumVgprs: 0
; ScratchSize: 0
; MemoryBound: 0
; FloatMode: 240
; IeeeMode: 1
; LDSByteSize: 0 bytes/workgroup (compile time only)
; SGPRBlocks: 0
; VGPRBlocks: 0
; NumSGPRsForWavesPerEU: 4
; NumVGPRsForWavesPerEU: 1
; AccumOffset: 4
; Occupancy: 8
; WaveLimiterHint : 0
; COMPUTE_PGM_RSRC2:SCRATCH_EN: 0
; COMPUTE_PGM_RSRC2:USER_SGPR: 6
; COMPUTE_PGM_RSRC2:TRAP_HANDLER: 0
; COMPUTE_PGM_RSRC2:TGID_X_EN: 1
; COMPUTE_PGM_RSRC2:TGID_Y_EN: 0
; COMPUTE_PGM_RSRC2:TGID_Z_EN: 0
; COMPUTE_PGM_RSRC2:TIDIG_COMP_CNT: 0
; COMPUTE_PGM_RSRC3_GFX90A:ACCUM_OFFSET: 0
; COMPUTE_PGM_RSRC3_GFX90A:TG_SPLIT: 0
	.section	.text._ZN7rocprim17ROCPRIM_400000_NS6detail17trampoline_kernelINS0_14default_configENS1_35radix_sort_onesweep_config_selectorIsNS0_10empty_typeEEEZZNS1_29radix_sort_onesweep_iterationIS3_Lb1EPsS8_PS5_S9_mNS0_19identity_decomposerENS1_16block_id_wrapperIjLb1EEEEE10hipError_tT1_PNSt15iterator_traitsISE_E10value_typeET2_T3_PNSF_ISK_E10value_typeET4_T5_PSP_SQ_PNS1_23onesweep_lookback_stateEbbT6_jjT7_P12ihipStream_tbENKUlT_T0_SE_SJ_E_clIS8_S8_S9_S9_EEDaSX_SY_SE_SJ_EUlSX_E_NS1_11comp_targetILNS1_3genE10ELNS1_11target_archE1201ELNS1_3gpuE5ELNS1_3repE0EEENS1_47radix_sort_onesweep_sort_config_static_selectorELNS0_4arch9wavefront6targetE1EEEvSE_,"axG",@progbits,_ZN7rocprim17ROCPRIM_400000_NS6detail17trampoline_kernelINS0_14default_configENS1_35radix_sort_onesweep_config_selectorIsNS0_10empty_typeEEEZZNS1_29radix_sort_onesweep_iterationIS3_Lb1EPsS8_PS5_S9_mNS0_19identity_decomposerENS1_16block_id_wrapperIjLb1EEEEE10hipError_tT1_PNSt15iterator_traitsISE_E10value_typeET2_T3_PNSF_ISK_E10value_typeET4_T5_PSP_SQ_PNS1_23onesweep_lookback_stateEbbT6_jjT7_P12ihipStream_tbENKUlT_T0_SE_SJ_E_clIS8_S8_S9_S9_EEDaSX_SY_SE_SJ_EUlSX_E_NS1_11comp_targetILNS1_3genE10ELNS1_11target_archE1201ELNS1_3gpuE5ELNS1_3repE0EEENS1_47radix_sort_onesweep_sort_config_static_selectorELNS0_4arch9wavefront6targetE1EEEvSE_,comdat
	.protected	_ZN7rocprim17ROCPRIM_400000_NS6detail17trampoline_kernelINS0_14default_configENS1_35radix_sort_onesweep_config_selectorIsNS0_10empty_typeEEEZZNS1_29radix_sort_onesweep_iterationIS3_Lb1EPsS8_PS5_S9_mNS0_19identity_decomposerENS1_16block_id_wrapperIjLb1EEEEE10hipError_tT1_PNSt15iterator_traitsISE_E10value_typeET2_T3_PNSF_ISK_E10value_typeET4_T5_PSP_SQ_PNS1_23onesweep_lookback_stateEbbT6_jjT7_P12ihipStream_tbENKUlT_T0_SE_SJ_E_clIS8_S8_S9_S9_EEDaSX_SY_SE_SJ_EUlSX_E_NS1_11comp_targetILNS1_3genE10ELNS1_11target_archE1201ELNS1_3gpuE5ELNS1_3repE0EEENS1_47radix_sort_onesweep_sort_config_static_selectorELNS0_4arch9wavefront6targetE1EEEvSE_ ; -- Begin function _ZN7rocprim17ROCPRIM_400000_NS6detail17trampoline_kernelINS0_14default_configENS1_35radix_sort_onesweep_config_selectorIsNS0_10empty_typeEEEZZNS1_29radix_sort_onesweep_iterationIS3_Lb1EPsS8_PS5_S9_mNS0_19identity_decomposerENS1_16block_id_wrapperIjLb1EEEEE10hipError_tT1_PNSt15iterator_traitsISE_E10value_typeET2_T3_PNSF_ISK_E10value_typeET4_T5_PSP_SQ_PNS1_23onesweep_lookback_stateEbbT6_jjT7_P12ihipStream_tbENKUlT_T0_SE_SJ_E_clIS8_S8_S9_S9_EEDaSX_SY_SE_SJ_EUlSX_E_NS1_11comp_targetILNS1_3genE10ELNS1_11target_archE1201ELNS1_3gpuE5ELNS1_3repE0EEENS1_47radix_sort_onesweep_sort_config_static_selectorELNS0_4arch9wavefront6targetE1EEEvSE_
	.globl	_ZN7rocprim17ROCPRIM_400000_NS6detail17trampoline_kernelINS0_14default_configENS1_35radix_sort_onesweep_config_selectorIsNS0_10empty_typeEEEZZNS1_29radix_sort_onesweep_iterationIS3_Lb1EPsS8_PS5_S9_mNS0_19identity_decomposerENS1_16block_id_wrapperIjLb1EEEEE10hipError_tT1_PNSt15iterator_traitsISE_E10value_typeET2_T3_PNSF_ISK_E10value_typeET4_T5_PSP_SQ_PNS1_23onesweep_lookback_stateEbbT6_jjT7_P12ihipStream_tbENKUlT_T0_SE_SJ_E_clIS8_S8_S9_S9_EEDaSX_SY_SE_SJ_EUlSX_E_NS1_11comp_targetILNS1_3genE10ELNS1_11target_archE1201ELNS1_3gpuE5ELNS1_3repE0EEENS1_47radix_sort_onesweep_sort_config_static_selectorELNS0_4arch9wavefront6targetE1EEEvSE_
	.p2align	8
	.type	_ZN7rocprim17ROCPRIM_400000_NS6detail17trampoline_kernelINS0_14default_configENS1_35radix_sort_onesweep_config_selectorIsNS0_10empty_typeEEEZZNS1_29radix_sort_onesweep_iterationIS3_Lb1EPsS8_PS5_S9_mNS0_19identity_decomposerENS1_16block_id_wrapperIjLb1EEEEE10hipError_tT1_PNSt15iterator_traitsISE_E10value_typeET2_T3_PNSF_ISK_E10value_typeET4_T5_PSP_SQ_PNS1_23onesweep_lookback_stateEbbT6_jjT7_P12ihipStream_tbENKUlT_T0_SE_SJ_E_clIS8_S8_S9_S9_EEDaSX_SY_SE_SJ_EUlSX_E_NS1_11comp_targetILNS1_3genE10ELNS1_11target_archE1201ELNS1_3gpuE5ELNS1_3repE0EEENS1_47radix_sort_onesweep_sort_config_static_selectorELNS0_4arch9wavefront6targetE1EEEvSE_,@function
_ZN7rocprim17ROCPRIM_400000_NS6detail17trampoline_kernelINS0_14default_configENS1_35radix_sort_onesweep_config_selectorIsNS0_10empty_typeEEEZZNS1_29radix_sort_onesweep_iterationIS3_Lb1EPsS8_PS5_S9_mNS0_19identity_decomposerENS1_16block_id_wrapperIjLb1EEEEE10hipError_tT1_PNSt15iterator_traitsISE_E10value_typeET2_T3_PNSF_ISK_E10value_typeET4_T5_PSP_SQ_PNS1_23onesweep_lookback_stateEbbT6_jjT7_P12ihipStream_tbENKUlT_T0_SE_SJ_E_clIS8_S8_S9_S9_EEDaSX_SY_SE_SJ_EUlSX_E_NS1_11comp_targetILNS1_3genE10ELNS1_11target_archE1201ELNS1_3gpuE5ELNS1_3repE0EEENS1_47radix_sort_onesweep_sort_config_static_selectorELNS0_4arch9wavefront6targetE1EEEvSE_: ; @_ZN7rocprim17ROCPRIM_400000_NS6detail17trampoline_kernelINS0_14default_configENS1_35radix_sort_onesweep_config_selectorIsNS0_10empty_typeEEEZZNS1_29radix_sort_onesweep_iterationIS3_Lb1EPsS8_PS5_S9_mNS0_19identity_decomposerENS1_16block_id_wrapperIjLb1EEEEE10hipError_tT1_PNSt15iterator_traitsISE_E10value_typeET2_T3_PNSF_ISK_E10value_typeET4_T5_PSP_SQ_PNS1_23onesweep_lookback_stateEbbT6_jjT7_P12ihipStream_tbENKUlT_T0_SE_SJ_E_clIS8_S8_S9_S9_EEDaSX_SY_SE_SJ_EUlSX_E_NS1_11comp_targetILNS1_3genE10ELNS1_11target_archE1201ELNS1_3gpuE5ELNS1_3repE0EEENS1_47radix_sort_onesweep_sort_config_static_selectorELNS0_4arch9wavefront6targetE1EEEvSE_
; %bb.0:
	.section	.rodata,"a",@progbits
	.p2align	6, 0x0
	.amdhsa_kernel _ZN7rocprim17ROCPRIM_400000_NS6detail17trampoline_kernelINS0_14default_configENS1_35radix_sort_onesweep_config_selectorIsNS0_10empty_typeEEEZZNS1_29radix_sort_onesweep_iterationIS3_Lb1EPsS8_PS5_S9_mNS0_19identity_decomposerENS1_16block_id_wrapperIjLb1EEEEE10hipError_tT1_PNSt15iterator_traitsISE_E10value_typeET2_T3_PNSF_ISK_E10value_typeET4_T5_PSP_SQ_PNS1_23onesweep_lookback_stateEbbT6_jjT7_P12ihipStream_tbENKUlT_T0_SE_SJ_E_clIS8_S8_S9_S9_EEDaSX_SY_SE_SJ_EUlSX_E_NS1_11comp_targetILNS1_3genE10ELNS1_11target_archE1201ELNS1_3gpuE5ELNS1_3repE0EEENS1_47radix_sort_onesweep_sort_config_static_selectorELNS0_4arch9wavefront6targetE1EEEvSE_
		.amdhsa_group_segment_fixed_size 0
		.amdhsa_private_segment_fixed_size 0
		.amdhsa_kernarg_size 88
		.amdhsa_user_sgpr_count 6
		.amdhsa_user_sgpr_private_segment_buffer 1
		.amdhsa_user_sgpr_dispatch_ptr 0
		.amdhsa_user_sgpr_queue_ptr 0
		.amdhsa_user_sgpr_kernarg_segment_ptr 1
		.amdhsa_user_sgpr_dispatch_id 0
		.amdhsa_user_sgpr_flat_scratch_init 0
		.amdhsa_user_sgpr_kernarg_preload_length 0
		.amdhsa_user_sgpr_kernarg_preload_offset 0
		.amdhsa_user_sgpr_private_segment_size 0
		.amdhsa_uses_dynamic_stack 0
		.amdhsa_system_sgpr_private_segment_wavefront_offset 0
		.amdhsa_system_sgpr_workgroup_id_x 1
		.amdhsa_system_sgpr_workgroup_id_y 0
		.amdhsa_system_sgpr_workgroup_id_z 0
		.amdhsa_system_sgpr_workgroup_info 0
		.amdhsa_system_vgpr_workitem_id 0
		.amdhsa_next_free_vgpr 1
		.amdhsa_next_free_sgpr 0
		.amdhsa_accum_offset 4
		.amdhsa_reserve_vcc 0
		.amdhsa_reserve_flat_scratch 0
		.amdhsa_float_round_mode_32 0
		.amdhsa_float_round_mode_16_64 0
		.amdhsa_float_denorm_mode_32 3
		.amdhsa_float_denorm_mode_16_64 3
		.amdhsa_dx10_clamp 1
		.amdhsa_ieee_mode 1
		.amdhsa_fp16_overflow 0
		.amdhsa_tg_split 0
		.amdhsa_exception_fp_ieee_invalid_op 0
		.amdhsa_exception_fp_denorm_src 0
		.amdhsa_exception_fp_ieee_div_zero 0
		.amdhsa_exception_fp_ieee_overflow 0
		.amdhsa_exception_fp_ieee_underflow 0
		.amdhsa_exception_fp_ieee_inexact 0
		.amdhsa_exception_int_div_zero 0
	.end_amdhsa_kernel
	.section	.text._ZN7rocprim17ROCPRIM_400000_NS6detail17trampoline_kernelINS0_14default_configENS1_35radix_sort_onesweep_config_selectorIsNS0_10empty_typeEEEZZNS1_29radix_sort_onesweep_iterationIS3_Lb1EPsS8_PS5_S9_mNS0_19identity_decomposerENS1_16block_id_wrapperIjLb1EEEEE10hipError_tT1_PNSt15iterator_traitsISE_E10value_typeET2_T3_PNSF_ISK_E10value_typeET4_T5_PSP_SQ_PNS1_23onesweep_lookback_stateEbbT6_jjT7_P12ihipStream_tbENKUlT_T0_SE_SJ_E_clIS8_S8_S9_S9_EEDaSX_SY_SE_SJ_EUlSX_E_NS1_11comp_targetILNS1_3genE10ELNS1_11target_archE1201ELNS1_3gpuE5ELNS1_3repE0EEENS1_47radix_sort_onesweep_sort_config_static_selectorELNS0_4arch9wavefront6targetE1EEEvSE_,"axG",@progbits,_ZN7rocprim17ROCPRIM_400000_NS6detail17trampoline_kernelINS0_14default_configENS1_35radix_sort_onesweep_config_selectorIsNS0_10empty_typeEEEZZNS1_29radix_sort_onesweep_iterationIS3_Lb1EPsS8_PS5_S9_mNS0_19identity_decomposerENS1_16block_id_wrapperIjLb1EEEEE10hipError_tT1_PNSt15iterator_traitsISE_E10value_typeET2_T3_PNSF_ISK_E10value_typeET4_T5_PSP_SQ_PNS1_23onesweep_lookback_stateEbbT6_jjT7_P12ihipStream_tbENKUlT_T0_SE_SJ_E_clIS8_S8_S9_S9_EEDaSX_SY_SE_SJ_EUlSX_E_NS1_11comp_targetILNS1_3genE10ELNS1_11target_archE1201ELNS1_3gpuE5ELNS1_3repE0EEENS1_47radix_sort_onesweep_sort_config_static_selectorELNS0_4arch9wavefront6targetE1EEEvSE_,comdat
.Lfunc_end1832:
	.size	_ZN7rocprim17ROCPRIM_400000_NS6detail17trampoline_kernelINS0_14default_configENS1_35radix_sort_onesweep_config_selectorIsNS0_10empty_typeEEEZZNS1_29radix_sort_onesweep_iterationIS3_Lb1EPsS8_PS5_S9_mNS0_19identity_decomposerENS1_16block_id_wrapperIjLb1EEEEE10hipError_tT1_PNSt15iterator_traitsISE_E10value_typeET2_T3_PNSF_ISK_E10value_typeET4_T5_PSP_SQ_PNS1_23onesweep_lookback_stateEbbT6_jjT7_P12ihipStream_tbENKUlT_T0_SE_SJ_E_clIS8_S8_S9_S9_EEDaSX_SY_SE_SJ_EUlSX_E_NS1_11comp_targetILNS1_3genE10ELNS1_11target_archE1201ELNS1_3gpuE5ELNS1_3repE0EEENS1_47radix_sort_onesweep_sort_config_static_selectorELNS0_4arch9wavefront6targetE1EEEvSE_, .Lfunc_end1832-_ZN7rocprim17ROCPRIM_400000_NS6detail17trampoline_kernelINS0_14default_configENS1_35radix_sort_onesweep_config_selectorIsNS0_10empty_typeEEEZZNS1_29radix_sort_onesweep_iterationIS3_Lb1EPsS8_PS5_S9_mNS0_19identity_decomposerENS1_16block_id_wrapperIjLb1EEEEE10hipError_tT1_PNSt15iterator_traitsISE_E10value_typeET2_T3_PNSF_ISK_E10value_typeET4_T5_PSP_SQ_PNS1_23onesweep_lookback_stateEbbT6_jjT7_P12ihipStream_tbENKUlT_T0_SE_SJ_E_clIS8_S8_S9_S9_EEDaSX_SY_SE_SJ_EUlSX_E_NS1_11comp_targetILNS1_3genE10ELNS1_11target_archE1201ELNS1_3gpuE5ELNS1_3repE0EEENS1_47radix_sort_onesweep_sort_config_static_selectorELNS0_4arch9wavefront6targetE1EEEvSE_
                                        ; -- End function
	.section	.AMDGPU.csdata,"",@progbits
; Kernel info:
; codeLenInByte = 0
; NumSgprs: 4
; NumVgprs: 0
; NumAgprs: 0
; TotalNumVgprs: 0
; ScratchSize: 0
; MemoryBound: 0
; FloatMode: 240
; IeeeMode: 1
; LDSByteSize: 0 bytes/workgroup (compile time only)
; SGPRBlocks: 0
; VGPRBlocks: 0
; NumSGPRsForWavesPerEU: 4
; NumVGPRsForWavesPerEU: 1
; AccumOffset: 4
; Occupancy: 8
; WaveLimiterHint : 0
; COMPUTE_PGM_RSRC2:SCRATCH_EN: 0
; COMPUTE_PGM_RSRC2:USER_SGPR: 6
; COMPUTE_PGM_RSRC2:TRAP_HANDLER: 0
; COMPUTE_PGM_RSRC2:TGID_X_EN: 1
; COMPUTE_PGM_RSRC2:TGID_Y_EN: 0
; COMPUTE_PGM_RSRC2:TGID_Z_EN: 0
; COMPUTE_PGM_RSRC2:TIDIG_COMP_CNT: 0
; COMPUTE_PGM_RSRC3_GFX90A:ACCUM_OFFSET: 0
; COMPUTE_PGM_RSRC3_GFX90A:TG_SPLIT: 0
	.section	.text._ZN7rocprim17ROCPRIM_400000_NS6detail17trampoline_kernelINS0_14default_configENS1_35radix_sort_onesweep_config_selectorIsNS0_10empty_typeEEEZZNS1_29radix_sort_onesweep_iterationIS3_Lb1EPsS8_PS5_S9_mNS0_19identity_decomposerENS1_16block_id_wrapperIjLb1EEEEE10hipError_tT1_PNSt15iterator_traitsISE_E10value_typeET2_T3_PNSF_ISK_E10value_typeET4_T5_PSP_SQ_PNS1_23onesweep_lookback_stateEbbT6_jjT7_P12ihipStream_tbENKUlT_T0_SE_SJ_E_clIS8_S8_S9_S9_EEDaSX_SY_SE_SJ_EUlSX_E_NS1_11comp_targetILNS1_3genE9ELNS1_11target_archE1100ELNS1_3gpuE3ELNS1_3repE0EEENS1_47radix_sort_onesweep_sort_config_static_selectorELNS0_4arch9wavefront6targetE1EEEvSE_,"axG",@progbits,_ZN7rocprim17ROCPRIM_400000_NS6detail17trampoline_kernelINS0_14default_configENS1_35radix_sort_onesweep_config_selectorIsNS0_10empty_typeEEEZZNS1_29radix_sort_onesweep_iterationIS3_Lb1EPsS8_PS5_S9_mNS0_19identity_decomposerENS1_16block_id_wrapperIjLb1EEEEE10hipError_tT1_PNSt15iterator_traitsISE_E10value_typeET2_T3_PNSF_ISK_E10value_typeET4_T5_PSP_SQ_PNS1_23onesweep_lookback_stateEbbT6_jjT7_P12ihipStream_tbENKUlT_T0_SE_SJ_E_clIS8_S8_S9_S9_EEDaSX_SY_SE_SJ_EUlSX_E_NS1_11comp_targetILNS1_3genE9ELNS1_11target_archE1100ELNS1_3gpuE3ELNS1_3repE0EEENS1_47radix_sort_onesweep_sort_config_static_selectorELNS0_4arch9wavefront6targetE1EEEvSE_,comdat
	.protected	_ZN7rocprim17ROCPRIM_400000_NS6detail17trampoline_kernelINS0_14default_configENS1_35radix_sort_onesweep_config_selectorIsNS0_10empty_typeEEEZZNS1_29radix_sort_onesweep_iterationIS3_Lb1EPsS8_PS5_S9_mNS0_19identity_decomposerENS1_16block_id_wrapperIjLb1EEEEE10hipError_tT1_PNSt15iterator_traitsISE_E10value_typeET2_T3_PNSF_ISK_E10value_typeET4_T5_PSP_SQ_PNS1_23onesweep_lookback_stateEbbT6_jjT7_P12ihipStream_tbENKUlT_T0_SE_SJ_E_clIS8_S8_S9_S9_EEDaSX_SY_SE_SJ_EUlSX_E_NS1_11comp_targetILNS1_3genE9ELNS1_11target_archE1100ELNS1_3gpuE3ELNS1_3repE0EEENS1_47radix_sort_onesweep_sort_config_static_selectorELNS0_4arch9wavefront6targetE1EEEvSE_ ; -- Begin function _ZN7rocprim17ROCPRIM_400000_NS6detail17trampoline_kernelINS0_14default_configENS1_35radix_sort_onesweep_config_selectorIsNS0_10empty_typeEEEZZNS1_29radix_sort_onesweep_iterationIS3_Lb1EPsS8_PS5_S9_mNS0_19identity_decomposerENS1_16block_id_wrapperIjLb1EEEEE10hipError_tT1_PNSt15iterator_traitsISE_E10value_typeET2_T3_PNSF_ISK_E10value_typeET4_T5_PSP_SQ_PNS1_23onesweep_lookback_stateEbbT6_jjT7_P12ihipStream_tbENKUlT_T0_SE_SJ_E_clIS8_S8_S9_S9_EEDaSX_SY_SE_SJ_EUlSX_E_NS1_11comp_targetILNS1_3genE9ELNS1_11target_archE1100ELNS1_3gpuE3ELNS1_3repE0EEENS1_47radix_sort_onesweep_sort_config_static_selectorELNS0_4arch9wavefront6targetE1EEEvSE_
	.globl	_ZN7rocprim17ROCPRIM_400000_NS6detail17trampoline_kernelINS0_14default_configENS1_35radix_sort_onesweep_config_selectorIsNS0_10empty_typeEEEZZNS1_29radix_sort_onesweep_iterationIS3_Lb1EPsS8_PS5_S9_mNS0_19identity_decomposerENS1_16block_id_wrapperIjLb1EEEEE10hipError_tT1_PNSt15iterator_traitsISE_E10value_typeET2_T3_PNSF_ISK_E10value_typeET4_T5_PSP_SQ_PNS1_23onesweep_lookback_stateEbbT6_jjT7_P12ihipStream_tbENKUlT_T0_SE_SJ_E_clIS8_S8_S9_S9_EEDaSX_SY_SE_SJ_EUlSX_E_NS1_11comp_targetILNS1_3genE9ELNS1_11target_archE1100ELNS1_3gpuE3ELNS1_3repE0EEENS1_47radix_sort_onesweep_sort_config_static_selectorELNS0_4arch9wavefront6targetE1EEEvSE_
	.p2align	8
	.type	_ZN7rocprim17ROCPRIM_400000_NS6detail17trampoline_kernelINS0_14default_configENS1_35radix_sort_onesweep_config_selectorIsNS0_10empty_typeEEEZZNS1_29radix_sort_onesweep_iterationIS3_Lb1EPsS8_PS5_S9_mNS0_19identity_decomposerENS1_16block_id_wrapperIjLb1EEEEE10hipError_tT1_PNSt15iterator_traitsISE_E10value_typeET2_T3_PNSF_ISK_E10value_typeET4_T5_PSP_SQ_PNS1_23onesweep_lookback_stateEbbT6_jjT7_P12ihipStream_tbENKUlT_T0_SE_SJ_E_clIS8_S8_S9_S9_EEDaSX_SY_SE_SJ_EUlSX_E_NS1_11comp_targetILNS1_3genE9ELNS1_11target_archE1100ELNS1_3gpuE3ELNS1_3repE0EEENS1_47radix_sort_onesweep_sort_config_static_selectorELNS0_4arch9wavefront6targetE1EEEvSE_,@function
_ZN7rocprim17ROCPRIM_400000_NS6detail17trampoline_kernelINS0_14default_configENS1_35radix_sort_onesweep_config_selectorIsNS0_10empty_typeEEEZZNS1_29radix_sort_onesweep_iterationIS3_Lb1EPsS8_PS5_S9_mNS0_19identity_decomposerENS1_16block_id_wrapperIjLb1EEEEE10hipError_tT1_PNSt15iterator_traitsISE_E10value_typeET2_T3_PNSF_ISK_E10value_typeET4_T5_PSP_SQ_PNS1_23onesweep_lookback_stateEbbT6_jjT7_P12ihipStream_tbENKUlT_T0_SE_SJ_E_clIS8_S8_S9_S9_EEDaSX_SY_SE_SJ_EUlSX_E_NS1_11comp_targetILNS1_3genE9ELNS1_11target_archE1100ELNS1_3gpuE3ELNS1_3repE0EEENS1_47radix_sort_onesweep_sort_config_static_selectorELNS0_4arch9wavefront6targetE1EEEvSE_: ; @_ZN7rocprim17ROCPRIM_400000_NS6detail17trampoline_kernelINS0_14default_configENS1_35radix_sort_onesweep_config_selectorIsNS0_10empty_typeEEEZZNS1_29radix_sort_onesweep_iterationIS3_Lb1EPsS8_PS5_S9_mNS0_19identity_decomposerENS1_16block_id_wrapperIjLb1EEEEE10hipError_tT1_PNSt15iterator_traitsISE_E10value_typeET2_T3_PNSF_ISK_E10value_typeET4_T5_PSP_SQ_PNS1_23onesweep_lookback_stateEbbT6_jjT7_P12ihipStream_tbENKUlT_T0_SE_SJ_E_clIS8_S8_S9_S9_EEDaSX_SY_SE_SJ_EUlSX_E_NS1_11comp_targetILNS1_3genE9ELNS1_11target_archE1100ELNS1_3gpuE3ELNS1_3repE0EEENS1_47radix_sort_onesweep_sort_config_static_selectorELNS0_4arch9wavefront6targetE1EEEvSE_
; %bb.0:
	.section	.rodata,"a",@progbits
	.p2align	6, 0x0
	.amdhsa_kernel _ZN7rocprim17ROCPRIM_400000_NS6detail17trampoline_kernelINS0_14default_configENS1_35radix_sort_onesweep_config_selectorIsNS0_10empty_typeEEEZZNS1_29radix_sort_onesweep_iterationIS3_Lb1EPsS8_PS5_S9_mNS0_19identity_decomposerENS1_16block_id_wrapperIjLb1EEEEE10hipError_tT1_PNSt15iterator_traitsISE_E10value_typeET2_T3_PNSF_ISK_E10value_typeET4_T5_PSP_SQ_PNS1_23onesweep_lookback_stateEbbT6_jjT7_P12ihipStream_tbENKUlT_T0_SE_SJ_E_clIS8_S8_S9_S9_EEDaSX_SY_SE_SJ_EUlSX_E_NS1_11comp_targetILNS1_3genE9ELNS1_11target_archE1100ELNS1_3gpuE3ELNS1_3repE0EEENS1_47radix_sort_onesweep_sort_config_static_selectorELNS0_4arch9wavefront6targetE1EEEvSE_
		.amdhsa_group_segment_fixed_size 0
		.amdhsa_private_segment_fixed_size 0
		.amdhsa_kernarg_size 88
		.amdhsa_user_sgpr_count 6
		.amdhsa_user_sgpr_private_segment_buffer 1
		.amdhsa_user_sgpr_dispatch_ptr 0
		.amdhsa_user_sgpr_queue_ptr 0
		.amdhsa_user_sgpr_kernarg_segment_ptr 1
		.amdhsa_user_sgpr_dispatch_id 0
		.amdhsa_user_sgpr_flat_scratch_init 0
		.amdhsa_user_sgpr_kernarg_preload_length 0
		.amdhsa_user_sgpr_kernarg_preload_offset 0
		.amdhsa_user_sgpr_private_segment_size 0
		.amdhsa_uses_dynamic_stack 0
		.amdhsa_system_sgpr_private_segment_wavefront_offset 0
		.amdhsa_system_sgpr_workgroup_id_x 1
		.amdhsa_system_sgpr_workgroup_id_y 0
		.amdhsa_system_sgpr_workgroup_id_z 0
		.amdhsa_system_sgpr_workgroup_info 0
		.amdhsa_system_vgpr_workitem_id 0
		.amdhsa_next_free_vgpr 1
		.amdhsa_next_free_sgpr 0
		.amdhsa_accum_offset 4
		.amdhsa_reserve_vcc 0
		.amdhsa_reserve_flat_scratch 0
		.amdhsa_float_round_mode_32 0
		.amdhsa_float_round_mode_16_64 0
		.amdhsa_float_denorm_mode_32 3
		.amdhsa_float_denorm_mode_16_64 3
		.amdhsa_dx10_clamp 1
		.amdhsa_ieee_mode 1
		.amdhsa_fp16_overflow 0
		.amdhsa_tg_split 0
		.amdhsa_exception_fp_ieee_invalid_op 0
		.amdhsa_exception_fp_denorm_src 0
		.amdhsa_exception_fp_ieee_div_zero 0
		.amdhsa_exception_fp_ieee_overflow 0
		.amdhsa_exception_fp_ieee_underflow 0
		.amdhsa_exception_fp_ieee_inexact 0
		.amdhsa_exception_int_div_zero 0
	.end_amdhsa_kernel
	.section	.text._ZN7rocprim17ROCPRIM_400000_NS6detail17trampoline_kernelINS0_14default_configENS1_35radix_sort_onesweep_config_selectorIsNS0_10empty_typeEEEZZNS1_29radix_sort_onesweep_iterationIS3_Lb1EPsS8_PS5_S9_mNS0_19identity_decomposerENS1_16block_id_wrapperIjLb1EEEEE10hipError_tT1_PNSt15iterator_traitsISE_E10value_typeET2_T3_PNSF_ISK_E10value_typeET4_T5_PSP_SQ_PNS1_23onesweep_lookback_stateEbbT6_jjT7_P12ihipStream_tbENKUlT_T0_SE_SJ_E_clIS8_S8_S9_S9_EEDaSX_SY_SE_SJ_EUlSX_E_NS1_11comp_targetILNS1_3genE9ELNS1_11target_archE1100ELNS1_3gpuE3ELNS1_3repE0EEENS1_47radix_sort_onesweep_sort_config_static_selectorELNS0_4arch9wavefront6targetE1EEEvSE_,"axG",@progbits,_ZN7rocprim17ROCPRIM_400000_NS6detail17trampoline_kernelINS0_14default_configENS1_35radix_sort_onesweep_config_selectorIsNS0_10empty_typeEEEZZNS1_29radix_sort_onesweep_iterationIS3_Lb1EPsS8_PS5_S9_mNS0_19identity_decomposerENS1_16block_id_wrapperIjLb1EEEEE10hipError_tT1_PNSt15iterator_traitsISE_E10value_typeET2_T3_PNSF_ISK_E10value_typeET4_T5_PSP_SQ_PNS1_23onesweep_lookback_stateEbbT6_jjT7_P12ihipStream_tbENKUlT_T0_SE_SJ_E_clIS8_S8_S9_S9_EEDaSX_SY_SE_SJ_EUlSX_E_NS1_11comp_targetILNS1_3genE9ELNS1_11target_archE1100ELNS1_3gpuE3ELNS1_3repE0EEENS1_47radix_sort_onesweep_sort_config_static_selectorELNS0_4arch9wavefront6targetE1EEEvSE_,comdat
.Lfunc_end1833:
	.size	_ZN7rocprim17ROCPRIM_400000_NS6detail17trampoline_kernelINS0_14default_configENS1_35radix_sort_onesweep_config_selectorIsNS0_10empty_typeEEEZZNS1_29radix_sort_onesweep_iterationIS3_Lb1EPsS8_PS5_S9_mNS0_19identity_decomposerENS1_16block_id_wrapperIjLb1EEEEE10hipError_tT1_PNSt15iterator_traitsISE_E10value_typeET2_T3_PNSF_ISK_E10value_typeET4_T5_PSP_SQ_PNS1_23onesweep_lookback_stateEbbT6_jjT7_P12ihipStream_tbENKUlT_T0_SE_SJ_E_clIS8_S8_S9_S9_EEDaSX_SY_SE_SJ_EUlSX_E_NS1_11comp_targetILNS1_3genE9ELNS1_11target_archE1100ELNS1_3gpuE3ELNS1_3repE0EEENS1_47radix_sort_onesweep_sort_config_static_selectorELNS0_4arch9wavefront6targetE1EEEvSE_, .Lfunc_end1833-_ZN7rocprim17ROCPRIM_400000_NS6detail17trampoline_kernelINS0_14default_configENS1_35radix_sort_onesweep_config_selectorIsNS0_10empty_typeEEEZZNS1_29radix_sort_onesweep_iterationIS3_Lb1EPsS8_PS5_S9_mNS0_19identity_decomposerENS1_16block_id_wrapperIjLb1EEEEE10hipError_tT1_PNSt15iterator_traitsISE_E10value_typeET2_T3_PNSF_ISK_E10value_typeET4_T5_PSP_SQ_PNS1_23onesweep_lookback_stateEbbT6_jjT7_P12ihipStream_tbENKUlT_T0_SE_SJ_E_clIS8_S8_S9_S9_EEDaSX_SY_SE_SJ_EUlSX_E_NS1_11comp_targetILNS1_3genE9ELNS1_11target_archE1100ELNS1_3gpuE3ELNS1_3repE0EEENS1_47radix_sort_onesweep_sort_config_static_selectorELNS0_4arch9wavefront6targetE1EEEvSE_
                                        ; -- End function
	.section	.AMDGPU.csdata,"",@progbits
; Kernel info:
; codeLenInByte = 0
; NumSgprs: 4
; NumVgprs: 0
; NumAgprs: 0
; TotalNumVgprs: 0
; ScratchSize: 0
; MemoryBound: 0
; FloatMode: 240
; IeeeMode: 1
; LDSByteSize: 0 bytes/workgroup (compile time only)
; SGPRBlocks: 0
; VGPRBlocks: 0
; NumSGPRsForWavesPerEU: 4
; NumVGPRsForWavesPerEU: 1
; AccumOffset: 4
; Occupancy: 8
; WaveLimiterHint : 0
; COMPUTE_PGM_RSRC2:SCRATCH_EN: 0
; COMPUTE_PGM_RSRC2:USER_SGPR: 6
; COMPUTE_PGM_RSRC2:TRAP_HANDLER: 0
; COMPUTE_PGM_RSRC2:TGID_X_EN: 1
; COMPUTE_PGM_RSRC2:TGID_Y_EN: 0
; COMPUTE_PGM_RSRC2:TGID_Z_EN: 0
; COMPUTE_PGM_RSRC2:TIDIG_COMP_CNT: 0
; COMPUTE_PGM_RSRC3_GFX90A:ACCUM_OFFSET: 0
; COMPUTE_PGM_RSRC3_GFX90A:TG_SPLIT: 0
	.section	.text._ZN7rocprim17ROCPRIM_400000_NS6detail17trampoline_kernelINS0_14default_configENS1_35radix_sort_onesweep_config_selectorIsNS0_10empty_typeEEEZZNS1_29radix_sort_onesweep_iterationIS3_Lb1EPsS8_PS5_S9_mNS0_19identity_decomposerENS1_16block_id_wrapperIjLb1EEEEE10hipError_tT1_PNSt15iterator_traitsISE_E10value_typeET2_T3_PNSF_ISK_E10value_typeET4_T5_PSP_SQ_PNS1_23onesweep_lookback_stateEbbT6_jjT7_P12ihipStream_tbENKUlT_T0_SE_SJ_E_clIS8_S8_S9_S9_EEDaSX_SY_SE_SJ_EUlSX_E_NS1_11comp_targetILNS1_3genE8ELNS1_11target_archE1030ELNS1_3gpuE2ELNS1_3repE0EEENS1_47radix_sort_onesweep_sort_config_static_selectorELNS0_4arch9wavefront6targetE1EEEvSE_,"axG",@progbits,_ZN7rocprim17ROCPRIM_400000_NS6detail17trampoline_kernelINS0_14default_configENS1_35radix_sort_onesweep_config_selectorIsNS0_10empty_typeEEEZZNS1_29radix_sort_onesweep_iterationIS3_Lb1EPsS8_PS5_S9_mNS0_19identity_decomposerENS1_16block_id_wrapperIjLb1EEEEE10hipError_tT1_PNSt15iterator_traitsISE_E10value_typeET2_T3_PNSF_ISK_E10value_typeET4_T5_PSP_SQ_PNS1_23onesweep_lookback_stateEbbT6_jjT7_P12ihipStream_tbENKUlT_T0_SE_SJ_E_clIS8_S8_S9_S9_EEDaSX_SY_SE_SJ_EUlSX_E_NS1_11comp_targetILNS1_3genE8ELNS1_11target_archE1030ELNS1_3gpuE2ELNS1_3repE0EEENS1_47radix_sort_onesweep_sort_config_static_selectorELNS0_4arch9wavefront6targetE1EEEvSE_,comdat
	.protected	_ZN7rocprim17ROCPRIM_400000_NS6detail17trampoline_kernelINS0_14default_configENS1_35radix_sort_onesweep_config_selectorIsNS0_10empty_typeEEEZZNS1_29radix_sort_onesweep_iterationIS3_Lb1EPsS8_PS5_S9_mNS0_19identity_decomposerENS1_16block_id_wrapperIjLb1EEEEE10hipError_tT1_PNSt15iterator_traitsISE_E10value_typeET2_T3_PNSF_ISK_E10value_typeET4_T5_PSP_SQ_PNS1_23onesweep_lookback_stateEbbT6_jjT7_P12ihipStream_tbENKUlT_T0_SE_SJ_E_clIS8_S8_S9_S9_EEDaSX_SY_SE_SJ_EUlSX_E_NS1_11comp_targetILNS1_3genE8ELNS1_11target_archE1030ELNS1_3gpuE2ELNS1_3repE0EEENS1_47radix_sort_onesweep_sort_config_static_selectorELNS0_4arch9wavefront6targetE1EEEvSE_ ; -- Begin function _ZN7rocprim17ROCPRIM_400000_NS6detail17trampoline_kernelINS0_14default_configENS1_35radix_sort_onesweep_config_selectorIsNS0_10empty_typeEEEZZNS1_29radix_sort_onesweep_iterationIS3_Lb1EPsS8_PS5_S9_mNS0_19identity_decomposerENS1_16block_id_wrapperIjLb1EEEEE10hipError_tT1_PNSt15iterator_traitsISE_E10value_typeET2_T3_PNSF_ISK_E10value_typeET4_T5_PSP_SQ_PNS1_23onesweep_lookback_stateEbbT6_jjT7_P12ihipStream_tbENKUlT_T0_SE_SJ_E_clIS8_S8_S9_S9_EEDaSX_SY_SE_SJ_EUlSX_E_NS1_11comp_targetILNS1_3genE8ELNS1_11target_archE1030ELNS1_3gpuE2ELNS1_3repE0EEENS1_47radix_sort_onesweep_sort_config_static_selectorELNS0_4arch9wavefront6targetE1EEEvSE_
	.globl	_ZN7rocprim17ROCPRIM_400000_NS6detail17trampoline_kernelINS0_14default_configENS1_35radix_sort_onesweep_config_selectorIsNS0_10empty_typeEEEZZNS1_29radix_sort_onesweep_iterationIS3_Lb1EPsS8_PS5_S9_mNS0_19identity_decomposerENS1_16block_id_wrapperIjLb1EEEEE10hipError_tT1_PNSt15iterator_traitsISE_E10value_typeET2_T3_PNSF_ISK_E10value_typeET4_T5_PSP_SQ_PNS1_23onesweep_lookback_stateEbbT6_jjT7_P12ihipStream_tbENKUlT_T0_SE_SJ_E_clIS8_S8_S9_S9_EEDaSX_SY_SE_SJ_EUlSX_E_NS1_11comp_targetILNS1_3genE8ELNS1_11target_archE1030ELNS1_3gpuE2ELNS1_3repE0EEENS1_47radix_sort_onesweep_sort_config_static_selectorELNS0_4arch9wavefront6targetE1EEEvSE_
	.p2align	8
	.type	_ZN7rocprim17ROCPRIM_400000_NS6detail17trampoline_kernelINS0_14default_configENS1_35radix_sort_onesweep_config_selectorIsNS0_10empty_typeEEEZZNS1_29radix_sort_onesweep_iterationIS3_Lb1EPsS8_PS5_S9_mNS0_19identity_decomposerENS1_16block_id_wrapperIjLb1EEEEE10hipError_tT1_PNSt15iterator_traitsISE_E10value_typeET2_T3_PNSF_ISK_E10value_typeET4_T5_PSP_SQ_PNS1_23onesweep_lookback_stateEbbT6_jjT7_P12ihipStream_tbENKUlT_T0_SE_SJ_E_clIS8_S8_S9_S9_EEDaSX_SY_SE_SJ_EUlSX_E_NS1_11comp_targetILNS1_3genE8ELNS1_11target_archE1030ELNS1_3gpuE2ELNS1_3repE0EEENS1_47radix_sort_onesweep_sort_config_static_selectorELNS0_4arch9wavefront6targetE1EEEvSE_,@function
_ZN7rocprim17ROCPRIM_400000_NS6detail17trampoline_kernelINS0_14default_configENS1_35radix_sort_onesweep_config_selectorIsNS0_10empty_typeEEEZZNS1_29radix_sort_onesweep_iterationIS3_Lb1EPsS8_PS5_S9_mNS0_19identity_decomposerENS1_16block_id_wrapperIjLb1EEEEE10hipError_tT1_PNSt15iterator_traitsISE_E10value_typeET2_T3_PNSF_ISK_E10value_typeET4_T5_PSP_SQ_PNS1_23onesweep_lookback_stateEbbT6_jjT7_P12ihipStream_tbENKUlT_T0_SE_SJ_E_clIS8_S8_S9_S9_EEDaSX_SY_SE_SJ_EUlSX_E_NS1_11comp_targetILNS1_3genE8ELNS1_11target_archE1030ELNS1_3gpuE2ELNS1_3repE0EEENS1_47radix_sort_onesweep_sort_config_static_selectorELNS0_4arch9wavefront6targetE1EEEvSE_: ; @_ZN7rocprim17ROCPRIM_400000_NS6detail17trampoline_kernelINS0_14default_configENS1_35radix_sort_onesweep_config_selectorIsNS0_10empty_typeEEEZZNS1_29radix_sort_onesweep_iterationIS3_Lb1EPsS8_PS5_S9_mNS0_19identity_decomposerENS1_16block_id_wrapperIjLb1EEEEE10hipError_tT1_PNSt15iterator_traitsISE_E10value_typeET2_T3_PNSF_ISK_E10value_typeET4_T5_PSP_SQ_PNS1_23onesweep_lookback_stateEbbT6_jjT7_P12ihipStream_tbENKUlT_T0_SE_SJ_E_clIS8_S8_S9_S9_EEDaSX_SY_SE_SJ_EUlSX_E_NS1_11comp_targetILNS1_3genE8ELNS1_11target_archE1030ELNS1_3gpuE2ELNS1_3repE0EEENS1_47radix_sort_onesweep_sort_config_static_selectorELNS0_4arch9wavefront6targetE1EEEvSE_
; %bb.0:
	.section	.rodata,"a",@progbits
	.p2align	6, 0x0
	.amdhsa_kernel _ZN7rocprim17ROCPRIM_400000_NS6detail17trampoline_kernelINS0_14default_configENS1_35radix_sort_onesweep_config_selectorIsNS0_10empty_typeEEEZZNS1_29radix_sort_onesweep_iterationIS3_Lb1EPsS8_PS5_S9_mNS0_19identity_decomposerENS1_16block_id_wrapperIjLb1EEEEE10hipError_tT1_PNSt15iterator_traitsISE_E10value_typeET2_T3_PNSF_ISK_E10value_typeET4_T5_PSP_SQ_PNS1_23onesweep_lookback_stateEbbT6_jjT7_P12ihipStream_tbENKUlT_T0_SE_SJ_E_clIS8_S8_S9_S9_EEDaSX_SY_SE_SJ_EUlSX_E_NS1_11comp_targetILNS1_3genE8ELNS1_11target_archE1030ELNS1_3gpuE2ELNS1_3repE0EEENS1_47radix_sort_onesweep_sort_config_static_selectorELNS0_4arch9wavefront6targetE1EEEvSE_
		.amdhsa_group_segment_fixed_size 0
		.amdhsa_private_segment_fixed_size 0
		.amdhsa_kernarg_size 88
		.amdhsa_user_sgpr_count 6
		.amdhsa_user_sgpr_private_segment_buffer 1
		.amdhsa_user_sgpr_dispatch_ptr 0
		.amdhsa_user_sgpr_queue_ptr 0
		.amdhsa_user_sgpr_kernarg_segment_ptr 1
		.amdhsa_user_sgpr_dispatch_id 0
		.amdhsa_user_sgpr_flat_scratch_init 0
		.amdhsa_user_sgpr_kernarg_preload_length 0
		.amdhsa_user_sgpr_kernarg_preload_offset 0
		.amdhsa_user_sgpr_private_segment_size 0
		.amdhsa_uses_dynamic_stack 0
		.amdhsa_system_sgpr_private_segment_wavefront_offset 0
		.amdhsa_system_sgpr_workgroup_id_x 1
		.amdhsa_system_sgpr_workgroup_id_y 0
		.amdhsa_system_sgpr_workgroup_id_z 0
		.amdhsa_system_sgpr_workgroup_info 0
		.amdhsa_system_vgpr_workitem_id 0
		.amdhsa_next_free_vgpr 1
		.amdhsa_next_free_sgpr 0
		.amdhsa_accum_offset 4
		.amdhsa_reserve_vcc 0
		.amdhsa_reserve_flat_scratch 0
		.amdhsa_float_round_mode_32 0
		.amdhsa_float_round_mode_16_64 0
		.amdhsa_float_denorm_mode_32 3
		.amdhsa_float_denorm_mode_16_64 3
		.amdhsa_dx10_clamp 1
		.amdhsa_ieee_mode 1
		.amdhsa_fp16_overflow 0
		.amdhsa_tg_split 0
		.amdhsa_exception_fp_ieee_invalid_op 0
		.amdhsa_exception_fp_denorm_src 0
		.amdhsa_exception_fp_ieee_div_zero 0
		.amdhsa_exception_fp_ieee_overflow 0
		.amdhsa_exception_fp_ieee_underflow 0
		.amdhsa_exception_fp_ieee_inexact 0
		.amdhsa_exception_int_div_zero 0
	.end_amdhsa_kernel
	.section	.text._ZN7rocprim17ROCPRIM_400000_NS6detail17trampoline_kernelINS0_14default_configENS1_35radix_sort_onesweep_config_selectorIsNS0_10empty_typeEEEZZNS1_29radix_sort_onesweep_iterationIS3_Lb1EPsS8_PS5_S9_mNS0_19identity_decomposerENS1_16block_id_wrapperIjLb1EEEEE10hipError_tT1_PNSt15iterator_traitsISE_E10value_typeET2_T3_PNSF_ISK_E10value_typeET4_T5_PSP_SQ_PNS1_23onesweep_lookback_stateEbbT6_jjT7_P12ihipStream_tbENKUlT_T0_SE_SJ_E_clIS8_S8_S9_S9_EEDaSX_SY_SE_SJ_EUlSX_E_NS1_11comp_targetILNS1_3genE8ELNS1_11target_archE1030ELNS1_3gpuE2ELNS1_3repE0EEENS1_47radix_sort_onesweep_sort_config_static_selectorELNS0_4arch9wavefront6targetE1EEEvSE_,"axG",@progbits,_ZN7rocprim17ROCPRIM_400000_NS6detail17trampoline_kernelINS0_14default_configENS1_35radix_sort_onesweep_config_selectorIsNS0_10empty_typeEEEZZNS1_29radix_sort_onesweep_iterationIS3_Lb1EPsS8_PS5_S9_mNS0_19identity_decomposerENS1_16block_id_wrapperIjLb1EEEEE10hipError_tT1_PNSt15iterator_traitsISE_E10value_typeET2_T3_PNSF_ISK_E10value_typeET4_T5_PSP_SQ_PNS1_23onesweep_lookback_stateEbbT6_jjT7_P12ihipStream_tbENKUlT_T0_SE_SJ_E_clIS8_S8_S9_S9_EEDaSX_SY_SE_SJ_EUlSX_E_NS1_11comp_targetILNS1_3genE8ELNS1_11target_archE1030ELNS1_3gpuE2ELNS1_3repE0EEENS1_47radix_sort_onesweep_sort_config_static_selectorELNS0_4arch9wavefront6targetE1EEEvSE_,comdat
.Lfunc_end1834:
	.size	_ZN7rocprim17ROCPRIM_400000_NS6detail17trampoline_kernelINS0_14default_configENS1_35radix_sort_onesweep_config_selectorIsNS0_10empty_typeEEEZZNS1_29radix_sort_onesweep_iterationIS3_Lb1EPsS8_PS5_S9_mNS0_19identity_decomposerENS1_16block_id_wrapperIjLb1EEEEE10hipError_tT1_PNSt15iterator_traitsISE_E10value_typeET2_T3_PNSF_ISK_E10value_typeET4_T5_PSP_SQ_PNS1_23onesweep_lookback_stateEbbT6_jjT7_P12ihipStream_tbENKUlT_T0_SE_SJ_E_clIS8_S8_S9_S9_EEDaSX_SY_SE_SJ_EUlSX_E_NS1_11comp_targetILNS1_3genE8ELNS1_11target_archE1030ELNS1_3gpuE2ELNS1_3repE0EEENS1_47radix_sort_onesweep_sort_config_static_selectorELNS0_4arch9wavefront6targetE1EEEvSE_, .Lfunc_end1834-_ZN7rocprim17ROCPRIM_400000_NS6detail17trampoline_kernelINS0_14default_configENS1_35radix_sort_onesweep_config_selectorIsNS0_10empty_typeEEEZZNS1_29radix_sort_onesweep_iterationIS3_Lb1EPsS8_PS5_S9_mNS0_19identity_decomposerENS1_16block_id_wrapperIjLb1EEEEE10hipError_tT1_PNSt15iterator_traitsISE_E10value_typeET2_T3_PNSF_ISK_E10value_typeET4_T5_PSP_SQ_PNS1_23onesweep_lookback_stateEbbT6_jjT7_P12ihipStream_tbENKUlT_T0_SE_SJ_E_clIS8_S8_S9_S9_EEDaSX_SY_SE_SJ_EUlSX_E_NS1_11comp_targetILNS1_3genE8ELNS1_11target_archE1030ELNS1_3gpuE2ELNS1_3repE0EEENS1_47radix_sort_onesweep_sort_config_static_selectorELNS0_4arch9wavefront6targetE1EEEvSE_
                                        ; -- End function
	.section	.AMDGPU.csdata,"",@progbits
; Kernel info:
; codeLenInByte = 0
; NumSgprs: 4
; NumVgprs: 0
; NumAgprs: 0
; TotalNumVgprs: 0
; ScratchSize: 0
; MemoryBound: 0
; FloatMode: 240
; IeeeMode: 1
; LDSByteSize: 0 bytes/workgroup (compile time only)
; SGPRBlocks: 0
; VGPRBlocks: 0
; NumSGPRsForWavesPerEU: 4
; NumVGPRsForWavesPerEU: 1
; AccumOffset: 4
; Occupancy: 8
; WaveLimiterHint : 0
; COMPUTE_PGM_RSRC2:SCRATCH_EN: 0
; COMPUTE_PGM_RSRC2:USER_SGPR: 6
; COMPUTE_PGM_RSRC2:TRAP_HANDLER: 0
; COMPUTE_PGM_RSRC2:TGID_X_EN: 1
; COMPUTE_PGM_RSRC2:TGID_Y_EN: 0
; COMPUTE_PGM_RSRC2:TGID_Z_EN: 0
; COMPUTE_PGM_RSRC2:TIDIG_COMP_CNT: 0
; COMPUTE_PGM_RSRC3_GFX90A:ACCUM_OFFSET: 0
; COMPUTE_PGM_RSRC3_GFX90A:TG_SPLIT: 0
	.section	.text._ZN7rocprim17ROCPRIM_400000_NS6detail17trampoline_kernelINS0_14default_configENS1_35radix_sort_onesweep_config_selectorIsNS0_10empty_typeEEEZZNS1_29radix_sort_onesweep_iterationIS3_Lb1EPsS8_PS5_S9_mNS0_19identity_decomposerENS1_16block_id_wrapperIjLb0EEEEE10hipError_tT1_PNSt15iterator_traitsISE_E10value_typeET2_T3_PNSF_ISK_E10value_typeET4_T5_PSP_SQ_PNS1_23onesweep_lookback_stateEbbT6_jjT7_P12ihipStream_tbENKUlT_T0_SE_SJ_E_clIS8_S8_S9_S9_EEDaSX_SY_SE_SJ_EUlSX_E_NS1_11comp_targetILNS1_3genE0ELNS1_11target_archE4294967295ELNS1_3gpuE0ELNS1_3repE0EEENS1_47radix_sort_onesweep_sort_config_static_selectorELNS0_4arch9wavefront6targetE1EEEvSE_,"axG",@progbits,_ZN7rocprim17ROCPRIM_400000_NS6detail17trampoline_kernelINS0_14default_configENS1_35radix_sort_onesweep_config_selectorIsNS0_10empty_typeEEEZZNS1_29radix_sort_onesweep_iterationIS3_Lb1EPsS8_PS5_S9_mNS0_19identity_decomposerENS1_16block_id_wrapperIjLb0EEEEE10hipError_tT1_PNSt15iterator_traitsISE_E10value_typeET2_T3_PNSF_ISK_E10value_typeET4_T5_PSP_SQ_PNS1_23onesweep_lookback_stateEbbT6_jjT7_P12ihipStream_tbENKUlT_T0_SE_SJ_E_clIS8_S8_S9_S9_EEDaSX_SY_SE_SJ_EUlSX_E_NS1_11comp_targetILNS1_3genE0ELNS1_11target_archE4294967295ELNS1_3gpuE0ELNS1_3repE0EEENS1_47radix_sort_onesweep_sort_config_static_selectorELNS0_4arch9wavefront6targetE1EEEvSE_,comdat
	.protected	_ZN7rocprim17ROCPRIM_400000_NS6detail17trampoline_kernelINS0_14default_configENS1_35radix_sort_onesweep_config_selectorIsNS0_10empty_typeEEEZZNS1_29radix_sort_onesweep_iterationIS3_Lb1EPsS8_PS5_S9_mNS0_19identity_decomposerENS1_16block_id_wrapperIjLb0EEEEE10hipError_tT1_PNSt15iterator_traitsISE_E10value_typeET2_T3_PNSF_ISK_E10value_typeET4_T5_PSP_SQ_PNS1_23onesweep_lookback_stateEbbT6_jjT7_P12ihipStream_tbENKUlT_T0_SE_SJ_E_clIS8_S8_S9_S9_EEDaSX_SY_SE_SJ_EUlSX_E_NS1_11comp_targetILNS1_3genE0ELNS1_11target_archE4294967295ELNS1_3gpuE0ELNS1_3repE0EEENS1_47radix_sort_onesweep_sort_config_static_selectorELNS0_4arch9wavefront6targetE1EEEvSE_ ; -- Begin function _ZN7rocprim17ROCPRIM_400000_NS6detail17trampoline_kernelINS0_14default_configENS1_35radix_sort_onesweep_config_selectorIsNS0_10empty_typeEEEZZNS1_29radix_sort_onesweep_iterationIS3_Lb1EPsS8_PS5_S9_mNS0_19identity_decomposerENS1_16block_id_wrapperIjLb0EEEEE10hipError_tT1_PNSt15iterator_traitsISE_E10value_typeET2_T3_PNSF_ISK_E10value_typeET4_T5_PSP_SQ_PNS1_23onesweep_lookback_stateEbbT6_jjT7_P12ihipStream_tbENKUlT_T0_SE_SJ_E_clIS8_S8_S9_S9_EEDaSX_SY_SE_SJ_EUlSX_E_NS1_11comp_targetILNS1_3genE0ELNS1_11target_archE4294967295ELNS1_3gpuE0ELNS1_3repE0EEENS1_47radix_sort_onesweep_sort_config_static_selectorELNS0_4arch9wavefront6targetE1EEEvSE_
	.globl	_ZN7rocprim17ROCPRIM_400000_NS6detail17trampoline_kernelINS0_14default_configENS1_35radix_sort_onesweep_config_selectorIsNS0_10empty_typeEEEZZNS1_29radix_sort_onesweep_iterationIS3_Lb1EPsS8_PS5_S9_mNS0_19identity_decomposerENS1_16block_id_wrapperIjLb0EEEEE10hipError_tT1_PNSt15iterator_traitsISE_E10value_typeET2_T3_PNSF_ISK_E10value_typeET4_T5_PSP_SQ_PNS1_23onesweep_lookback_stateEbbT6_jjT7_P12ihipStream_tbENKUlT_T0_SE_SJ_E_clIS8_S8_S9_S9_EEDaSX_SY_SE_SJ_EUlSX_E_NS1_11comp_targetILNS1_3genE0ELNS1_11target_archE4294967295ELNS1_3gpuE0ELNS1_3repE0EEENS1_47radix_sort_onesweep_sort_config_static_selectorELNS0_4arch9wavefront6targetE1EEEvSE_
	.p2align	8
	.type	_ZN7rocprim17ROCPRIM_400000_NS6detail17trampoline_kernelINS0_14default_configENS1_35radix_sort_onesweep_config_selectorIsNS0_10empty_typeEEEZZNS1_29radix_sort_onesweep_iterationIS3_Lb1EPsS8_PS5_S9_mNS0_19identity_decomposerENS1_16block_id_wrapperIjLb0EEEEE10hipError_tT1_PNSt15iterator_traitsISE_E10value_typeET2_T3_PNSF_ISK_E10value_typeET4_T5_PSP_SQ_PNS1_23onesweep_lookback_stateEbbT6_jjT7_P12ihipStream_tbENKUlT_T0_SE_SJ_E_clIS8_S8_S9_S9_EEDaSX_SY_SE_SJ_EUlSX_E_NS1_11comp_targetILNS1_3genE0ELNS1_11target_archE4294967295ELNS1_3gpuE0ELNS1_3repE0EEENS1_47radix_sort_onesweep_sort_config_static_selectorELNS0_4arch9wavefront6targetE1EEEvSE_,@function
_ZN7rocprim17ROCPRIM_400000_NS6detail17trampoline_kernelINS0_14default_configENS1_35radix_sort_onesweep_config_selectorIsNS0_10empty_typeEEEZZNS1_29radix_sort_onesweep_iterationIS3_Lb1EPsS8_PS5_S9_mNS0_19identity_decomposerENS1_16block_id_wrapperIjLb0EEEEE10hipError_tT1_PNSt15iterator_traitsISE_E10value_typeET2_T3_PNSF_ISK_E10value_typeET4_T5_PSP_SQ_PNS1_23onesweep_lookback_stateEbbT6_jjT7_P12ihipStream_tbENKUlT_T0_SE_SJ_E_clIS8_S8_S9_S9_EEDaSX_SY_SE_SJ_EUlSX_E_NS1_11comp_targetILNS1_3genE0ELNS1_11target_archE4294967295ELNS1_3gpuE0ELNS1_3repE0EEENS1_47radix_sort_onesweep_sort_config_static_selectorELNS0_4arch9wavefront6targetE1EEEvSE_: ; @_ZN7rocprim17ROCPRIM_400000_NS6detail17trampoline_kernelINS0_14default_configENS1_35radix_sort_onesweep_config_selectorIsNS0_10empty_typeEEEZZNS1_29radix_sort_onesweep_iterationIS3_Lb1EPsS8_PS5_S9_mNS0_19identity_decomposerENS1_16block_id_wrapperIjLb0EEEEE10hipError_tT1_PNSt15iterator_traitsISE_E10value_typeET2_T3_PNSF_ISK_E10value_typeET4_T5_PSP_SQ_PNS1_23onesweep_lookback_stateEbbT6_jjT7_P12ihipStream_tbENKUlT_T0_SE_SJ_E_clIS8_S8_S9_S9_EEDaSX_SY_SE_SJ_EUlSX_E_NS1_11comp_targetILNS1_3genE0ELNS1_11target_archE4294967295ELNS1_3gpuE0ELNS1_3repE0EEENS1_47radix_sort_onesweep_sort_config_static_selectorELNS0_4arch9wavefront6targetE1EEEvSE_
; %bb.0:
	.section	.rodata,"a",@progbits
	.p2align	6, 0x0
	.amdhsa_kernel _ZN7rocprim17ROCPRIM_400000_NS6detail17trampoline_kernelINS0_14default_configENS1_35radix_sort_onesweep_config_selectorIsNS0_10empty_typeEEEZZNS1_29radix_sort_onesweep_iterationIS3_Lb1EPsS8_PS5_S9_mNS0_19identity_decomposerENS1_16block_id_wrapperIjLb0EEEEE10hipError_tT1_PNSt15iterator_traitsISE_E10value_typeET2_T3_PNSF_ISK_E10value_typeET4_T5_PSP_SQ_PNS1_23onesweep_lookback_stateEbbT6_jjT7_P12ihipStream_tbENKUlT_T0_SE_SJ_E_clIS8_S8_S9_S9_EEDaSX_SY_SE_SJ_EUlSX_E_NS1_11comp_targetILNS1_3genE0ELNS1_11target_archE4294967295ELNS1_3gpuE0ELNS1_3repE0EEENS1_47radix_sort_onesweep_sort_config_static_selectorELNS0_4arch9wavefront6targetE1EEEvSE_
		.amdhsa_group_segment_fixed_size 0
		.amdhsa_private_segment_fixed_size 0
		.amdhsa_kernarg_size 88
		.amdhsa_user_sgpr_count 6
		.amdhsa_user_sgpr_private_segment_buffer 1
		.amdhsa_user_sgpr_dispatch_ptr 0
		.amdhsa_user_sgpr_queue_ptr 0
		.amdhsa_user_sgpr_kernarg_segment_ptr 1
		.amdhsa_user_sgpr_dispatch_id 0
		.amdhsa_user_sgpr_flat_scratch_init 0
		.amdhsa_user_sgpr_kernarg_preload_length 0
		.amdhsa_user_sgpr_kernarg_preload_offset 0
		.amdhsa_user_sgpr_private_segment_size 0
		.amdhsa_uses_dynamic_stack 0
		.amdhsa_system_sgpr_private_segment_wavefront_offset 0
		.amdhsa_system_sgpr_workgroup_id_x 1
		.amdhsa_system_sgpr_workgroup_id_y 0
		.amdhsa_system_sgpr_workgroup_id_z 0
		.amdhsa_system_sgpr_workgroup_info 0
		.amdhsa_system_vgpr_workitem_id 0
		.amdhsa_next_free_vgpr 1
		.amdhsa_next_free_sgpr 0
		.amdhsa_accum_offset 4
		.amdhsa_reserve_vcc 0
		.amdhsa_reserve_flat_scratch 0
		.amdhsa_float_round_mode_32 0
		.amdhsa_float_round_mode_16_64 0
		.amdhsa_float_denorm_mode_32 3
		.amdhsa_float_denorm_mode_16_64 3
		.amdhsa_dx10_clamp 1
		.amdhsa_ieee_mode 1
		.amdhsa_fp16_overflow 0
		.amdhsa_tg_split 0
		.amdhsa_exception_fp_ieee_invalid_op 0
		.amdhsa_exception_fp_denorm_src 0
		.amdhsa_exception_fp_ieee_div_zero 0
		.amdhsa_exception_fp_ieee_overflow 0
		.amdhsa_exception_fp_ieee_underflow 0
		.amdhsa_exception_fp_ieee_inexact 0
		.amdhsa_exception_int_div_zero 0
	.end_amdhsa_kernel
	.section	.text._ZN7rocprim17ROCPRIM_400000_NS6detail17trampoline_kernelINS0_14default_configENS1_35radix_sort_onesweep_config_selectorIsNS0_10empty_typeEEEZZNS1_29radix_sort_onesweep_iterationIS3_Lb1EPsS8_PS5_S9_mNS0_19identity_decomposerENS1_16block_id_wrapperIjLb0EEEEE10hipError_tT1_PNSt15iterator_traitsISE_E10value_typeET2_T3_PNSF_ISK_E10value_typeET4_T5_PSP_SQ_PNS1_23onesweep_lookback_stateEbbT6_jjT7_P12ihipStream_tbENKUlT_T0_SE_SJ_E_clIS8_S8_S9_S9_EEDaSX_SY_SE_SJ_EUlSX_E_NS1_11comp_targetILNS1_3genE0ELNS1_11target_archE4294967295ELNS1_3gpuE0ELNS1_3repE0EEENS1_47radix_sort_onesweep_sort_config_static_selectorELNS0_4arch9wavefront6targetE1EEEvSE_,"axG",@progbits,_ZN7rocprim17ROCPRIM_400000_NS6detail17trampoline_kernelINS0_14default_configENS1_35radix_sort_onesweep_config_selectorIsNS0_10empty_typeEEEZZNS1_29radix_sort_onesweep_iterationIS3_Lb1EPsS8_PS5_S9_mNS0_19identity_decomposerENS1_16block_id_wrapperIjLb0EEEEE10hipError_tT1_PNSt15iterator_traitsISE_E10value_typeET2_T3_PNSF_ISK_E10value_typeET4_T5_PSP_SQ_PNS1_23onesweep_lookback_stateEbbT6_jjT7_P12ihipStream_tbENKUlT_T0_SE_SJ_E_clIS8_S8_S9_S9_EEDaSX_SY_SE_SJ_EUlSX_E_NS1_11comp_targetILNS1_3genE0ELNS1_11target_archE4294967295ELNS1_3gpuE0ELNS1_3repE0EEENS1_47radix_sort_onesweep_sort_config_static_selectorELNS0_4arch9wavefront6targetE1EEEvSE_,comdat
.Lfunc_end1835:
	.size	_ZN7rocprim17ROCPRIM_400000_NS6detail17trampoline_kernelINS0_14default_configENS1_35radix_sort_onesweep_config_selectorIsNS0_10empty_typeEEEZZNS1_29radix_sort_onesweep_iterationIS3_Lb1EPsS8_PS5_S9_mNS0_19identity_decomposerENS1_16block_id_wrapperIjLb0EEEEE10hipError_tT1_PNSt15iterator_traitsISE_E10value_typeET2_T3_PNSF_ISK_E10value_typeET4_T5_PSP_SQ_PNS1_23onesweep_lookback_stateEbbT6_jjT7_P12ihipStream_tbENKUlT_T0_SE_SJ_E_clIS8_S8_S9_S9_EEDaSX_SY_SE_SJ_EUlSX_E_NS1_11comp_targetILNS1_3genE0ELNS1_11target_archE4294967295ELNS1_3gpuE0ELNS1_3repE0EEENS1_47radix_sort_onesweep_sort_config_static_selectorELNS0_4arch9wavefront6targetE1EEEvSE_, .Lfunc_end1835-_ZN7rocprim17ROCPRIM_400000_NS6detail17trampoline_kernelINS0_14default_configENS1_35radix_sort_onesweep_config_selectorIsNS0_10empty_typeEEEZZNS1_29radix_sort_onesweep_iterationIS3_Lb1EPsS8_PS5_S9_mNS0_19identity_decomposerENS1_16block_id_wrapperIjLb0EEEEE10hipError_tT1_PNSt15iterator_traitsISE_E10value_typeET2_T3_PNSF_ISK_E10value_typeET4_T5_PSP_SQ_PNS1_23onesweep_lookback_stateEbbT6_jjT7_P12ihipStream_tbENKUlT_T0_SE_SJ_E_clIS8_S8_S9_S9_EEDaSX_SY_SE_SJ_EUlSX_E_NS1_11comp_targetILNS1_3genE0ELNS1_11target_archE4294967295ELNS1_3gpuE0ELNS1_3repE0EEENS1_47radix_sort_onesweep_sort_config_static_selectorELNS0_4arch9wavefront6targetE1EEEvSE_
                                        ; -- End function
	.section	.AMDGPU.csdata,"",@progbits
; Kernel info:
; codeLenInByte = 0
; NumSgprs: 4
; NumVgprs: 0
; NumAgprs: 0
; TotalNumVgprs: 0
; ScratchSize: 0
; MemoryBound: 0
; FloatMode: 240
; IeeeMode: 1
; LDSByteSize: 0 bytes/workgroup (compile time only)
; SGPRBlocks: 0
; VGPRBlocks: 0
; NumSGPRsForWavesPerEU: 4
; NumVGPRsForWavesPerEU: 1
; AccumOffset: 4
; Occupancy: 8
; WaveLimiterHint : 0
; COMPUTE_PGM_RSRC2:SCRATCH_EN: 0
; COMPUTE_PGM_RSRC2:USER_SGPR: 6
; COMPUTE_PGM_RSRC2:TRAP_HANDLER: 0
; COMPUTE_PGM_RSRC2:TGID_X_EN: 1
; COMPUTE_PGM_RSRC2:TGID_Y_EN: 0
; COMPUTE_PGM_RSRC2:TGID_Z_EN: 0
; COMPUTE_PGM_RSRC2:TIDIG_COMP_CNT: 0
; COMPUTE_PGM_RSRC3_GFX90A:ACCUM_OFFSET: 0
; COMPUTE_PGM_RSRC3_GFX90A:TG_SPLIT: 0
	.section	.text._ZN7rocprim17ROCPRIM_400000_NS6detail17trampoline_kernelINS0_14default_configENS1_35radix_sort_onesweep_config_selectorIsNS0_10empty_typeEEEZZNS1_29radix_sort_onesweep_iterationIS3_Lb1EPsS8_PS5_S9_mNS0_19identity_decomposerENS1_16block_id_wrapperIjLb0EEEEE10hipError_tT1_PNSt15iterator_traitsISE_E10value_typeET2_T3_PNSF_ISK_E10value_typeET4_T5_PSP_SQ_PNS1_23onesweep_lookback_stateEbbT6_jjT7_P12ihipStream_tbENKUlT_T0_SE_SJ_E_clIS8_S8_S9_S9_EEDaSX_SY_SE_SJ_EUlSX_E_NS1_11comp_targetILNS1_3genE6ELNS1_11target_archE950ELNS1_3gpuE13ELNS1_3repE0EEENS1_47radix_sort_onesweep_sort_config_static_selectorELNS0_4arch9wavefront6targetE1EEEvSE_,"axG",@progbits,_ZN7rocprim17ROCPRIM_400000_NS6detail17trampoline_kernelINS0_14default_configENS1_35radix_sort_onesweep_config_selectorIsNS0_10empty_typeEEEZZNS1_29radix_sort_onesweep_iterationIS3_Lb1EPsS8_PS5_S9_mNS0_19identity_decomposerENS1_16block_id_wrapperIjLb0EEEEE10hipError_tT1_PNSt15iterator_traitsISE_E10value_typeET2_T3_PNSF_ISK_E10value_typeET4_T5_PSP_SQ_PNS1_23onesweep_lookback_stateEbbT6_jjT7_P12ihipStream_tbENKUlT_T0_SE_SJ_E_clIS8_S8_S9_S9_EEDaSX_SY_SE_SJ_EUlSX_E_NS1_11comp_targetILNS1_3genE6ELNS1_11target_archE950ELNS1_3gpuE13ELNS1_3repE0EEENS1_47radix_sort_onesweep_sort_config_static_selectorELNS0_4arch9wavefront6targetE1EEEvSE_,comdat
	.protected	_ZN7rocprim17ROCPRIM_400000_NS6detail17trampoline_kernelINS0_14default_configENS1_35radix_sort_onesweep_config_selectorIsNS0_10empty_typeEEEZZNS1_29radix_sort_onesweep_iterationIS3_Lb1EPsS8_PS5_S9_mNS0_19identity_decomposerENS1_16block_id_wrapperIjLb0EEEEE10hipError_tT1_PNSt15iterator_traitsISE_E10value_typeET2_T3_PNSF_ISK_E10value_typeET4_T5_PSP_SQ_PNS1_23onesweep_lookback_stateEbbT6_jjT7_P12ihipStream_tbENKUlT_T0_SE_SJ_E_clIS8_S8_S9_S9_EEDaSX_SY_SE_SJ_EUlSX_E_NS1_11comp_targetILNS1_3genE6ELNS1_11target_archE950ELNS1_3gpuE13ELNS1_3repE0EEENS1_47radix_sort_onesweep_sort_config_static_selectorELNS0_4arch9wavefront6targetE1EEEvSE_ ; -- Begin function _ZN7rocprim17ROCPRIM_400000_NS6detail17trampoline_kernelINS0_14default_configENS1_35radix_sort_onesweep_config_selectorIsNS0_10empty_typeEEEZZNS1_29radix_sort_onesweep_iterationIS3_Lb1EPsS8_PS5_S9_mNS0_19identity_decomposerENS1_16block_id_wrapperIjLb0EEEEE10hipError_tT1_PNSt15iterator_traitsISE_E10value_typeET2_T3_PNSF_ISK_E10value_typeET4_T5_PSP_SQ_PNS1_23onesweep_lookback_stateEbbT6_jjT7_P12ihipStream_tbENKUlT_T0_SE_SJ_E_clIS8_S8_S9_S9_EEDaSX_SY_SE_SJ_EUlSX_E_NS1_11comp_targetILNS1_3genE6ELNS1_11target_archE950ELNS1_3gpuE13ELNS1_3repE0EEENS1_47radix_sort_onesweep_sort_config_static_selectorELNS0_4arch9wavefront6targetE1EEEvSE_
	.globl	_ZN7rocprim17ROCPRIM_400000_NS6detail17trampoline_kernelINS0_14default_configENS1_35radix_sort_onesweep_config_selectorIsNS0_10empty_typeEEEZZNS1_29radix_sort_onesweep_iterationIS3_Lb1EPsS8_PS5_S9_mNS0_19identity_decomposerENS1_16block_id_wrapperIjLb0EEEEE10hipError_tT1_PNSt15iterator_traitsISE_E10value_typeET2_T3_PNSF_ISK_E10value_typeET4_T5_PSP_SQ_PNS1_23onesweep_lookback_stateEbbT6_jjT7_P12ihipStream_tbENKUlT_T0_SE_SJ_E_clIS8_S8_S9_S9_EEDaSX_SY_SE_SJ_EUlSX_E_NS1_11comp_targetILNS1_3genE6ELNS1_11target_archE950ELNS1_3gpuE13ELNS1_3repE0EEENS1_47radix_sort_onesweep_sort_config_static_selectorELNS0_4arch9wavefront6targetE1EEEvSE_
	.p2align	8
	.type	_ZN7rocprim17ROCPRIM_400000_NS6detail17trampoline_kernelINS0_14default_configENS1_35radix_sort_onesweep_config_selectorIsNS0_10empty_typeEEEZZNS1_29radix_sort_onesweep_iterationIS3_Lb1EPsS8_PS5_S9_mNS0_19identity_decomposerENS1_16block_id_wrapperIjLb0EEEEE10hipError_tT1_PNSt15iterator_traitsISE_E10value_typeET2_T3_PNSF_ISK_E10value_typeET4_T5_PSP_SQ_PNS1_23onesweep_lookback_stateEbbT6_jjT7_P12ihipStream_tbENKUlT_T0_SE_SJ_E_clIS8_S8_S9_S9_EEDaSX_SY_SE_SJ_EUlSX_E_NS1_11comp_targetILNS1_3genE6ELNS1_11target_archE950ELNS1_3gpuE13ELNS1_3repE0EEENS1_47radix_sort_onesweep_sort_config_static_selectorELNS0_4arch9wavefront6targetE1EEEvSE_,@function
_ZN7rocprim17ROCPRIM_400000_NS6detail17trampoline_kernelINS0_14default_configENS1_35radix_sort_onesweep_config_selectorIsNS0_10empty_typeEEEZZNS1_29radix_sort_onesweep_iterationIS3_Lb1EPsS8_PS5_S9_mNS0_19identity_decomposerENS1_16block_id_wrapperIjLb0EEEEE10hipError_tT1_PNSt15iterator_traitsISE_E10value_typeET2_T3_PNSF_ISK_E10value_typeET4_T5_PSP_SQ_PNS1_23onesweep_lookback_stateEbbT6_jjT7_P12ihipStream_tbENKUlT_T0_SE_SJ_E_clIS8_S8_S9_S9_EEDaSX_SY_SE_SJ_EUlSX_E_NS1_11comp_targetILNS1_3genE6ELNS1_11target_archE950ELNS1_3gpuE13ELNS1_3repE0EEENS1_47radix_sort_onesweep_sort_config_static_selectorELNS0_4arch9wavefront6targetE1EEEvSE_: ; @_ZN7rocprim17ROCPRIM_400000_NS6detail17trampoline_kernelINS0_14default_configENS1_35radix_sort_onesweep_config_selectorIsNS0_10empty_typeEEEZZNS1_29radix_sort_onesweep_iterationIS3_Lb1EPsS8_PS5_S9_mNS0_19identity_decomposerENS1_16block_id_wrapperIjLb0EEEEE10hipError_tT1_PNSt15iterator_traitsISE_E10value_typeET2_T3_PNSF_ISK_E10value_typeET4_T5_PSP_SQ_PNS1_23onesweep_lookback_stateEbbT6_jjT7_P12ihipStream_tbENKUlT_T0_SE_SJ_E_clIS8_S8_S9_S9_EEDaSX_SY_SE_SJ_EUlSX_E_NS1_11comp_targetILNS1_3genE6ELNS1_11target_archE950ELNS1_3gpuE13ELNS1_3repE0EEENS1_47radix_sort_onesweep_sort_config_static_selectorELNS0_4arch9wavefront6targetE1EEEvSE_
; %bb.0:
	.section	.rodata,"a",@progbits
	.p2align	6, 0x0
	.amdhsa_kernel _ZN7rocprim17ROCPRIM_400000_NS6detail17trampoline_kernelINS0_14default_configENS1_35radix_sort_onesweep_config_selectorIsNS0_10empty_typeEEEZZNS1_29radix_sort_onesweep_iterationIS3_Lb1EPsS8_PS5_S9_mNS0_19identity_decomposerENS1_16block_id_wrapperIjLb0EEEEE10hipError_tT1_PNSt15iterator_traitsISE_E10value_typeET2_T3_PNSF_ISK_E10value_typeET4_T5_PSP_SQ_PNS1_23onesweep_lookback_stateEbbT6_jjT7_P12ihipStream_tbENKUlT_T0_SE_SJ_E_clIS8_S8_S9_S9_EEDaSX_SY_SE_SJ_EUlSX_E_NS1_11comp_targetILNS1_3genE6ELNS1_11target_archE950ELNS1_3gpuE13ELNS1_3repE0EEENS1_47radix_sort_onesweep_sort_config_static_selectorELNS0_4arch9wavefront6targetE1EEEvSE_
		.amdhsa_group_segment_fixed_size 0
		.amdhsa_private_segment_fixed_size 0
		.amdhsa_kernarg_size 88
		.amdhsa_user_sgpr_count 6
		.amdhsa_user_sgpr_private_segment_buffer 1
		.amdhsa_user_sgpr_dispatch_ptr 0
		.amdhsa_user_sgpr_queue_ptr 0
		.amdhsa_user_sgpr_kernarg_segment_ptr 1
		.amdhsa_user_sgpr_dispatch_id 0
		.amdhsa_user_sgpr_flat_scratch_init 0
		.amdhsa_user_sgpr_kernarg_preload_length 0
		.amdhsa_user_sgpr_kernarg_preload_offset 0
		.amdhsa_user_sgpr_private_segment_size 0
		.amdhsa_uses_dynamic_stack 0
		.amdhsa_system_sgpr_private_segment_wavefront_offset 0
		.amdhsa_system_sgpr_workgroup_id_x 1
		.amdhsa_system_sgpr_workgroup_id_y 0
		.amdhsa_system_sgpr_workgroup_id_z 0
		.amdhsa_system_sgpr_workgroup_info 0
		.amdhsa_system_vgpr_workitem_id 0
		.amdhsa_next_free_vgpr 1
		.amdhsa_next_free_sgpr 0
		.amdhsa_accum_offset 4
		.amdhsa_reserve_vcc 0
		.amdhsa_reserve_flat_scratch 0
		.amdhsa_float_round_mode_32 0
		.amdhsa_float_round_mode_16_64 0
		.amdhsa_float_denorm_mode_32 3
		.amdhsa_float_denorm_mode_16_64 3
		.amdhsa_dx10_clamp 1
		.amdhsa_ieee_mode 1
		.amdhsa_fp16_overflow 0
		.amdhsa_tg_split 0
		.amdhsa_exception_fp_ieee_invalid_op 0
		.amdhsa_exception_fp_denorm_src 0
		.amdhsa_exception_fp_ieee_div_zero 0
		.amdhsa_exception_fp_ieee_overflow 0
		.amdhsa_exception_fp_ieee_underflow 0
		.amdhsa_exception_fp_ieee_inexact 0
		.amdhsa_exception_int_div_zero 0
	.end_amdhsa_kernel
	.section	.text._ZN7rocprim17ROCPRIM_400000_NS6detail17trampoline_kernelINS0_14default_configENS1_35radix_sort_onesweep_config_selectorIsNS0_10empty_typeEEEZZNS1_29radix_sort_onesweep_iterationIS3_Lb1EPsS8_PS5_S9_mNS0_19identity_decomposerENS1_16block_id_wrapperIjLb0EEEEE10hipError_tT1_PNSt15iterator_traitsISE_E10value_typeET2_T3_PNSF_ISK_E10value_typeET4_T5_PSP_SQ_PNS1_23onesweep_lookback_stateEbbT6_jjT7_P12ihipStream_tbENKUlT_T0_SE_SJ_E_clIS8_S8_S9_S9_EEDaSX_SY_SE_SJ_EUlSX_E_NS1_11comp_targetILNS1_3genE6ELNS1_11target_archE950ELNS1_3gpuE13ELNS1_3repE0EEENS1_47radix_sort_onesweep_sort_config_static_selectorELNS0_4arch9wavefront6targetE1EEEvSE_,"axG",@progbits,_ZN7rocprim17ROCPRIM_400000_NS6detail17trampoline_kernelINS0_14default_configENS1_35radix_sort_onesweep_config_selectorIsNS0_10empty_typeEEEZZNS1_29radix_sort_onesweep_iterationIS3_Lb1EPsS8_PS5_S9_mNS0_19identity_decomposerENS1_16block_id_wrapperIjLb0EEEEE10hipError_tT1_PNSt15iterator_traitsISE_E10value_typeET2_T3_PNSF_ISK_E10value_typeET4_T5_PSP_SQ_PNS1_23onesweep_lookback_stateEbbT6_jjT7_P12ihipStream_tbENKUlT_T0_SE_SJ_E_clIS8_S8_S9_S9_EEDaSX_SY_SE_SJ_EUlSX_E_NS1_11comp_targetILNS1_3genE6ELNS1_11target_archE950ELNS1_3gpuE13ELNS1_3repE0EEENS1_47radix_sort_onesweep_sort_config_static_selectorELNS0_4arch9wavefront6targetE1EEEvSE_,comdat
.Lfunc_end1836:
	.size	_ZN7rocprim17ROCPRIM_400000_NS6detail17trampoline_kernelINS0_14default_configENS1_35radix_sort_onesweep_config_selectorIsNS0_10empty_typeEEEZZNS1_29radix_sort_onesweep_iterationIS3_Lb1EPsS8_PS5_S9_mNS0_19identity_decomposerENS1_16block_id_wrapperIjLb0EEEEE10hipError_tT1_PNSt15iterator_traitsISE_E10value_typeET2_T3_PNSF_ISK_E10value_typeET4_T5_PSP_SQ_PNS1_23onesweep_lookback_stateEbbT6_jjT7_P12ihipStream_tbENKUlT_T0_SE_SJ_E_clIS8_S8_S9_S9_EEDaSX_SY_SE_SJ_EUlSX_E_NS1_11comp_targetILNS1_3genE6ELNS1_11target_archE950ELNS1_3gpuE13ELNS1_3repE0EEENS1_47radix_sort_onesweep_sort_config_static_selectorELNS0_4arch9wavefront6targetE1EEEvSE_, .Lfunc_end1836-_ZN7rocprim17ROCPRIM_400000_NS6detail17trampoline_kernelINS0_14default_configENS1_35radix_sort_onesweep_config_selectorIsNS0_10empty_typeEEEZZNS1_29radix_sort_onesweep_iterationIS3_Lb1EPsS8_PS5_S9_mNS0_19identity_decomposerENS1_16block_id_wrapperIjLb0EEEEE10hipError_tT1_PNSt15iterator_traitsISE_E10value_typeET2_T3_PNSF_ISK_E10value_typeET4_T5_PSP_SQ_PNS1_23onesweep_lookback_stateEbbT6_jjT7_P12ihipStream_tbENKUlT_T0_SE_SJ_E_clIS8_S8_S9_S9_EEDaSX_SY_SE_SJ_EUlSX_E_NS1_11comp_targetILNS1_3genE6ELNS1_11target_archE950ELNS1_3gpuE13ELNS1_3repE0EEENS1_47radix_sort_onesweep_sort_config_static_selectorELNS0_4arch9wavefront6targetE1EEEvSE_
                                        ; -- End function
	.section	.AMDGPU.csdata,"",@progbits
; Kernel info:
; codeLenInByte = 0
; NumSgprs: 4
; NumVgprs: 0
; NumAgprs: 0
; TotalNumVgprs: 0
; ScratchSize: 0
; MemoryBound: 0
; FloatMode: 240
; IeeeMode: 1
; LDSByteSize: 0 bytes/workgroup (compile time only)
; SGPRBlocks: 0
; VGPRBlocks: 0
; NumSGPRsForWavesPerEU: 4
; NumVGPRsForWavesPerEU: 1
; AccumOffset: 4
; Occupancy: 8
; WaveLimiterHint : 0
; COMPUTE_PGM_RSRC2:SCRATCH_EN: 0
; COMPUTE_PGM_RSRC2:USER_SGPR: 6
; COMPUTE_PGM_RSRC2:TRAP_HANDLER: 0
; COMPUTE_PGM_RSRC2:TGID_X_EN: 1
; COMPUTE_PGM_RSRC2:TGID_Y_EN: 0
; COMPUTE_PGM_RSRC2:TGID_Z_EN: 0
; COMPUTE_PGM_RSRC2:TIDIG_COMP_CNT: 0
; COMPUTE_PGM_RSRC3_GFX90A:ACCUM_OFFSET: 0
; COMPUTE_PGM_RSRC3_GFX90A:TG_SPLIT: 0
	.section	.text._ZN7rocprim17ROCPRIM_400000_NS6detail17trampoline_kernelINS0_14default_configENS1_35radix_sort_onesweep_config_selectorIsNS0_10empty_typeEEEZZNS1_29radix_sort_onesweep_iterationIS3_Lb1EPsS8_PS5_S9_mNS0_19identity_decomposerENS1_16block_id_wrapperIjLb0EEEEE10hipError_tT1_PNSt15iterator_traitsISE_E10value_typeET2_T3_PNSF_ISK_E10value_typeET4_T5_PSP_SQ_PNS1_23onesweep_lookback_stateEbbT6_jjT7_P12ihipStream_tbENKUlT_T0_SE_SJ_E_clIS8_S8_S9_S9_EEDaSX_SY_SE_SJ_EUlSX_E_NS1_11comp_targetILNS1_3genE5ELNS1_11target_archE942ELNS1_3gpuE9ELNS1_3repE0EEENS1_47radix_sort_onesweep_sort_config_static_selectorELNS0_4arch9wavefront6targetE1EEEvSE_,"axG",@progbits,_ZN7rocprim17ROCPRIM_400000_NS6detail17trampoline_kernelINS0_14default_configENS1_35radix_sort_onesweep_config_selectorIsNS0_10empty_typeEEEZZNS1_29radix_sort_onesweep_iterationIS3_Lb1EPsS8_PS5_S9_mNS0_19identity_decomposerENS1_16block_id_wrapperIjLb0EEEEE10hipError_tT1_PNSt15iterator_traitsISE_E10value_typeET2_T3_PNSF_ISK_E10value_typeET4_T5_PSP_SQ_PNS1_23onesweep_lookback_stateEbbT6_jjT7_P12ihipStream_tbENKUlT_T0_SE_SJ_E_clIS8_S8_S9_S9_EEDaSX_SY_SE_SJ_EUlSX_E_NS1_11comp_targetILNS1_3genE5ELNS1_11target_archE942ELNS1_3gpuE9ELNS1_3repE0EEENS1_47radix_sort_onesweep_sort_config_static_selectorELNS0_4arch9wavefront6targetE1EEEvSE_,comdat
	.protected	_ZN7rocprim17ROCPRIM_400000_NS6detail17trampoline_kernelINS0_14default_configENS1_35radix_sort_onesweep_config_selectorIsNS0_10empty_typeEEEZZNS1_29radix_sort_onesweep_iterationIS3_Lb1EPsS8_PS5_S9_mNS0_19identity_decomposerENS1_16block_id_wrapperIjLb0EEEEE10hipError_tT1_PNSt15iterator_traitsISE_E10value_typeET2_T3_PNSF_ISK_E10value_typeET4_T5_PSP_SQ_PNS1_23onesweep_lookback_stateEbbT6_jjT7_P12ihipStream_tbENKUlT_T0_SE_SJ_E_clIS8_S8_S9_S9_EEDaSX_SY_SE_SJ_EUlSX_E_NS1_11comp_targetILNS1_3genE5ELNS1_11target_archE942ELNS1_3gpuE9ELNS1_3repE0EEENS1_47radix_sort_onesweep_sort_config_static_selectorELNS0_4arch9wavefront6targetE1EEEvSE_ ; -- Begin function _ZN7rocprim17ROCPRIM_400000_NS6detail17trampoline_kernelINS0_14default_configENS1_35radix_sort_onesweep_config_selectorIsNS0_10empty_typeEEEZZNS1_29radix_sort_onesweep_iterationIS3_Lb1EPsS8_PS5_S9_mNS0_19identity_decomposerENS1_16block_id_wrapperIjLb0EEEEE10hipError_tT1_PNSt15iterator_traitsISE_E10value_typeET2_T3_PNSF_ISK_E10value_typeET4_T5_PSP_SQ_PNS1_23onesweep_lookback_stateEbbT6_jjT7_P12ihipStream_tbENKUlT_T0_SE_SJ_E_clIS8_S8_S9_S9_EEDaSX_SY_SE_SJ_EUlSX_E_NS1_11comp_targetILNS1_3genE5ELNS1_11target_archE942ELNS1_3gpuE9ELNS1_3repE0EEENS1_47radix_sort_onesweep_sort_config_static_selectorELNS0_4arch9wavefront6targetE1EEEvSE_
	.globl	_ZN7rocprim17ROCPRIM_400000_NS6detail17trampoline_kernelINS0_14default_configENS1_35radix_sort_onesweep_config_selectorIsNS0_10empty_typeEEEZZNS1_29radix_sort_onesweep_iterationIS3_Lb1EPsS8_PS5_S9_mNS0_19identity_decomposerENS1_16block_id_wrapperIjLb0EEEEE10hipError_tT1_PNSt15iterator_traitsISE_E10value_typeET2_T3_PNSF_ISK_E10value_typeET4_T5_PSP_SQ_PNS1_23onesweep_lookback_stateEbbT6_jjT7_P12ihipStream_tbENKUlT_T0_SE_SJ_E_clIS8_S8_S9_S9_EEDaSX_SY_SE_SJ_EUlSX_E_NS1_11comp_targetILNS1_3genE5ELNS1_11target_archE942ELNS1_3gpuE9ELNS1_3repE0EEENS1_47radix_sort_onesweep_sort_config_static_selectorELNS0_4arch9wavefront6targetE1EEEvSE_
	.p2align	8
	.type	_ZN7rocprim17ROCPRIM_400000_NS6detail17trampoline_kernelINS0_14default_configENS1_35radix_sort_onesweep_config_selectorIsNS0_10empty_typeEEEZZNS1_29radix_sort_onesweep_iterationIS3_Lb1EPsS8_PS5_S9_mNS0_19identity_decomposerENS1_16block_id_wrapperIjLb0EEEEE10hipError_tT1_PNSt15iterator_traitsISE_E10value_typeET2_T3_PNSF_ISK_E10value_typeET4_T5_PSP_SQ_PNS1_23onesweep_lookback_stateEbbT6_jjT7_P12ihipStream_tbENKUlT_T0_SE_SJ_E_clIS8_S8_S9_S9_EEDaSX_SY_SE_SJ_EUlSX_E_NS1_11comp_targetILNS1_3genE5ELNS1_11target_archE942ELNS1_3gpuE9ELNS1_3repE0EEENS1_47radix_sort_onesweep_sort_config_static_selectorELNS0_4arch9wavefront6targetE1EEEvSE_,@function
_ZN7rocprim17ROCPRIM_400000_NS6detail17trampoline_kernelINS0_14default_configENS1_35radix_sort_onesweep_config_selectorIsNS0_10empty_typeEEEZZNS1_29radix_sort_onesweep_iterationIS3_Lb1EPsS8_PS5_S9_mNS0_19identity_decomposerENS1_16block_id_wrapperIjLb0EEEEE10hipError_tT1_PNSt15iterator_traitsISE_E10value_typeET2_T3_PNSF_ISK_E10value_typeET4_T5_PSP_SQ_PNS1_23onesweep_lookback_stateEbbT6_jjT7_P12ihipStream_tbENKUlT_T0_SE_SJ_E_clIS8_S8_S9_S9_EEDaSX_SY_SE_SJ_EUlSX_E_NS1_11comp_targetILNS1_3genE5ELNS1_11target_archE942ELNS1_3gpuE9ELNS1_3repE0EEENS1_47radix_sort_onesweep_sort_config_static_selectorELNS0_4arch9wavefront6targetE1EEEvSE_: ; @_ZN7rocprim17ROCPRIM_400000_NS6detail17trampoline_kernelINS0_14default_configENS1_35radix_sort_onesweep_config_selectorIsNS0_10empty_typeEEEZZNS1_29radix_sort_onesweep_iterationIS3_Lb1EPsS8_PS5_S9_mNS0_19identity_decomposerENS1_16block_id_wrapperIjLb0EEEEE10hipError_tT1_PNSt15iterator_traitsISE_E10value_typeET2_T3_PNSF_ISK_E10value_typeET4_T5_PSP_SQ_PNS1_23onesweep_lookback_stateEbbT6_jjT7_P12ihipStream_tbENKUlT_T0_SE_SJ_E_clIS8_S8_S9_S9_EEDaSX_SY_SE_SJ_EUlSX_E_NS1_11comp_targetILNS1_3genE5ELNS1_11target_archE942ELNS1_3gpuE9ELNS1_3repE0EEENS1_47radix_sort_onesweep_sort_config_static_selectorELNS0_4arch9wavefront6targetE1EEEvSE_
; %bb.0:
	.section	.rodata,"a",@progbits
	.p2align	6, 0x0
	.amdhsa_kernel _ZN7rocprim17ROCPRIM_400000_NS6detail17trampoline_kernelINS0_14default_configENS1_35radix_sort_onesweep_config_selectorIsNS0_10empty_typeEEEZZNS1_29radix_sort_onesweep_iterationIS3_Lb1EPsS8_PS5_S9_mNS0_19identity_decomposerENS1_16block_id_wrapperIjLb0EEEEE10hipError_tT1_PNSt15iterator_traitsISE_E10value_typeET2_T3_PNSF_ISK_E10value_typeET4_T5_PSP_SQ_PNS1_23onesweep_lookback_stateEbbT6_jjT7_P12ihipStream_tbENKUlT_T0_SE_SJ_E_clIS8_S8_S9_S9_EEDaSX_SY_SE_SJ_EUlSX_E_NS1_11comp_targetILNS1_3genE5ELNS1_11target_archE942ELNS1_3gpuE9ELNS1_3repE0EEENS1_47radix_sort_onesweep_sort_config_static_selectorELNS0_4arch9wavefront6targetE1EEEvSE_
		.amdhsa_group_segment_fixed_size 0
		.amdhsa_private_segment_fixed_size 0
		.amdhsa_kernarg_size 88
		.amdhsa_user_sgpr_count 6
		.amdhsa_user_sgpr_private_segment_buffer 1
		.amdhsa_user_sgpr_dispatch_ptr 0
		.amdhsa_user_sgpr_queue_ptr 0
		.amdhsa_user_sgpr_kernarg_segment_ptr 1
		.amdhsa_user_sgpr_dispatch_id 0
		.amdhsa_user_sgpr_flat_scratch_init 0
		.amdhsa_user_sgpr_kernarg_preload_length 0
		.amdhsa_user_sgpr_kernarg_preload_offset 0
		.amdhsa_user_sgpr_private_segment_size 0
		.amdhsa_uses_dynamic_stack 0
		.amdhsa_system_sgpr_private_segment_wavefront_offset 0
		.amdhsa_system_sgpr_workgroup_id_x 1
		.amdhsa_system_sgpr_workgroup_id_y 0
		.amdhsa_system_sgpr_workgroup_id_z 0
		.amdhsa_system_sgpr_workgroup_info 0
		.amdhsa_system_vgpr_workitem_id 0
		.amdhsa_next_free_vgpr 1
		.amdhsa_next_free_sgpr 0
		.amdhsa_accum_offset 4
		.amdhsa_reserve_vcc 0
		.amdhsa_reserve_flat_scratch 0
		.amdhsa_float_round_mode_32 0
		.amdhsa_float_round_mode_16_64 0
		.amdhsa_float_denorm_mode_32 3
		.amdhsa_float_denorm_mode_16_64 3
		.amdhsa_dx10_clamp 1
		.amdhsa_ieee_mode 1
		.amdhsa_fp16_overflow 0
		.amdhsa_tg_split 0
		.amdhsa_exception_fp_ieee_invalid_op 0
		.amdhsa_exception_fp_denorm_src 0
		.amdhsa_exception_fp_ieee_div_zero 0
		.amdhsa_exception_fp_ieee_overflow 0
		.amdhsa_exception_fp_ieee_underflow 0
		.amdhsa_exception_fp_ieee_inexact 0
		.amdhsa_exception_int_div_zero 0
	.end_amdhsa_kernel
	.section	.text._ZN7rocprim17ROCPRIM_400000_NS6detail17trampoline_kernelINS0_14default_configENS1_35radix_sort_onesweep_config_selectorIsNS0_10empty_typeEEEZZNS1_29radix_sort_onesweep_iterationIS3_Lb1EPsS8_PS5_S9_mNS0_19identity_decomposerENS1_16block_id_wrapperIjLb0EEEEE10hipError_tT1_PNSt15iterator_traitsISE_E10value_typeET2_T3_PNSF_ISK_E10value_typeET4_T5_PSP_SQ_PNS1_23onesweep_lookback_stateEbbT6_jjT7_P12ihipStream_tbENKUlT_T0_SE_SJ_E_clIS8_S8_S9_S9_EEDaSX_SY_SE_SJ_EUlSX_E_NS1_11comp_targetILNS1_3genE5ELNS1_11target_archE942ELNS1_3gpuE9ELNS1_3repE0EEENS1_47radix_sort_onesweep_sort_config_static_selectorELNS0_4arch9wavefront6targetE1EEEvSE_,"axG",@progbits,_ZN7rocprim17ROCPRIM_400000_NS6detail17trampoline_kernelINS0_14default_configENS1_35radix_sort_onesweep_config_selectorIsNS0_10empty_typeEEEZZNS1_29radix_sort_onesweep_iterationIS3_Lb1EPsS8_PS5_S9_mNS0_19identity_decomposerENS1_16block_id_wrapperIjLb0EEEEE10hipError_tT1_PNSt15iterator_traitsISE_E10value_typeET2_T3_PNSF_ISK_E10value_typeET4_T5_PSP_SQ_PNS1_23onesweep_lookback_stateEbbT6_jjT7_P12ihipStream_tbENKUlT_T0_SE_SJ_E_clIS8_S8_S9_S9_EEDaSX_SY_SE_SJ_EUlSX_E_NS1_11comp_targetILNS1_3genE5ELNS1_11target_archE942ELNS1_3gpuE9ELNS1_3repE0EEENS1_47radix_sort_onesweep_sort_config_static_selectorELNS0_4arch9wavefront6targetE1EEEvSE_,comdat
.Lfunc_end1837:
	.size	_ZN7rocprim17ROCPRIM_400000_NS6detail17trampoline_kernelINS0_14default_configENS1_35radix_sort_onesweep_config_selectorIsNS0_10empty_typeEEEZZNS1_29radix_sort_onesweep_iterationIS3_Lb1EPsS8_PS5_S9_mNS0_19identity_decomposerENS1_16block_id_wrapperIjLb0EEEEE10hipError_tT1_PNSt15iterator_traitsISE_E10value_typeET2_T3_PNSF_ISK_E10value_typeET4_T5_PSP_SQ_PNS1_23onesweep_lookback_stateEbbT6_jjT7_P12ihipStream_tbENKUlT_T0_SE_SJ_E_clIS8_S8_S9_S9_EEDaSX_SY_SE_SJ_EUlSX_E_NS1_11comp_targetILNS1_3genE5ELNS1_11target_archE942ELNS1_3gpuE9ELNS1_3repE0EEENS1_47radix_sort_onesweep_sort_config_static_selectorELNS0_4arch9wavefront6targetE1EEEvSE_, .Lfunc_end1837-_ZN7rocprim17ROCPRIM_400000_NS6detail17trampoline_kernelINS0_14default_configENS1_35radix_sort_onesweep_config_selectorIsNS0_10empty_typeEEEZZNS1_29radix_sort_onesweep_iterationIS3_Lb1EPsS8_PS5_S9_mNS0_19identity_decomposerENS1_16block_id_wrapperIjLb0EEEEE10hipError_tT1_PNSt15iterator_traitsISE_E10value_typeET2_T3_PNSF_ISK_E10value_typeET4_T5_PSP_SQ_PNS1_23onesweep_lookback_stateEbbT6_jjT7_P12ihipStream_tbENKUlT_T0_SE_SJ_E_clIS8_S8_S9_S9_EEDaSX_SY_SE_SJ_EUlSX_E_NS1_11comp_targetILNS1_3genE5ELNS1_11target_archE942ELNS1_3gpuE9ELNS1_3repE0EEENS1_47radix_sort_onesweep_sort_config_static_selectorELNS0_4arch9wavefront6targetE1EEEvSE_
                                        ; -- End function
	.section	.AMDGPU.csdata,"",@progbits
; Kernel info:
; codeLenInByte = 0
; NumSgprs: 4
; NumVgprs: 0
; NumAgprs: 0
; TotalNumVgprs: 0
; ScratchSize: 0
; MemoryBound: 0
; FloatMode: 240
; IeeeMode: 1
; LDSByteSize: 0 bytes/workgroup (compile time only)
; SGPRBlocks: 0
; VGPRBlocks: 0
; NumSGPRsForWavesPerEU: 4
; NumVGPRsForWavesPerEU: 1
; AccumOffset: 4
; Occupancy: 8
; WaveLimiterHint : 0
; COMPUTE_PGM_RSRC2:SCRATCH_EN: 0
; COMPUTE_PGM_RSRC2:USER_SGPR: 6
; COMPUTE_PGM_RSRC2:TRAP_HANDLER: 0
; COMPUTE_PGM_RSRC2:TGID_X_EN: 1
; COMPUTE_PGM_RSRC2:TGID_Y_EN: 0
; COMPUTE_PGM_RSRC2:TGID_Z_EN: 0
; COMPUTE_PGM_RSRC2:TIDIG_COMP_CNT: 0
; COMPUTE_PGM_RSRC3_GFX90A:ACCUM_OFFSET: 0
; COMPUTE_PGM_RSRC3_GFX90A:TG_SPLIT: 0
	.section	.text._ZN7rocprim17ROCPRIM_400000_NS6detail17trampoline_kernelINS0_14default_configENS1_35radix_sort_onesweep_config_selectorIsNS0_10empty_typeEEEZZNS1_29radix_sort_onesweep_iterationIS3_Lb1EPsS8_PS5_S9_mNS0_19identity_decomposerENS1_16block_id_wrapperIjLb0EEEEE10hipError_tT1_PNSt15iterator_traitsISE_E10value_typeET2_T3_PNSF_ISK_E10value_typeET4_T5_PSP_SQ_PNS1_23onesweep_lookback_stateEbbT6_jjT7_P12ihipStream_tbENKUlT_T0_SE_SJ_E_clIS8_S8_S9_S9_EEDaSX_SY_SE_SJ_EUlSX_E_NS1_11comp_targetILNS1_3genE2ELNS1_11target_archE906ELNS1_3gpuE6ELNS1_3repE0EEENS1_47radix_sort_onesweep_sort_config_static_selectorELNS0_4arch9wavefront6targetE1EEEvSE_,"axG",@progbits,_ZN7rocprim17ROCPRIM_400000_NS6detail17trampoline_kernelINS0_14default_configENS1_35radix_sort_onesweep_config_selectorIsNS0_10empty_typeEEEZZNS1_29radix_sort_onesweep_iterationIS3_Lb1EPsS8_PS5_S9_mNS0_19identity_decomposerENS1_16block_id_wrapperIjLb0EEEEE10hipError_tT1_PNSt15iterator_traitsISE_E10value_typeET2_T3_PNSF_ISK_E10value_typeET4_T5_PSP_SQ_PNS1_23onesweep_lookback_stateEbbT6_jjT7_P12ihipStream_tbENKUlT_T0_SE_SJ_E_clIS8_S8_S9_S9_EEDaSX_SY_SE_SJ_EUlSX_E_NS1_11comp_targetILNS1_3genE2ELNS1_11target_archE906ELNS1_3gpuE6ELNS1_3repE0EEENS1_47radix_sort_onesweep_sort_config_static_selectorELNS0_4arch9wavefront6targetE1EEEvSE_,comdat
	.protected	_ZN7rocprim17ROCPRIM_400000_NS6detail17trampoline_kernelINS0_14default_configENS1_35radix_sort_onesweep_config_selectorIsNS0_10empty_typeEEEZZNS1_29radix_sort_onesweep_iterationIS3_Lb1EPsS8_PS5_S9_mNS0_19identity_decomposerENS1_16block_id_wrapperIjLb0EEEEE10hipError_tT1_PNSt15iterator_traitsISE_E10value_typeET2_T3_PNSF_ISK_E10value_typeET4_T5_PSP_SQ_PNS1_23onesweep_lookback_stateEbbT6_jjT7_P12ihipStream_tbENKUlT_T0_SE_SJ_E_clIS8_S8_S9_S9_EEDaSX_SY_SE_SJ_EUlSX_E_NS1_11comp_targetILNS1_3genE2ELNS1_11target_archE906ELNS1_3gpuE6ELNS1_3repE0EEENS1_47radix_sort_onesweep_sort_config_static_selectorELNS0_4arch9wavefront6targetE1EEEvSE_ ; -- Begin function _ZN7rocprim17ROCPRIM_400000_NS6detail17trampoline_kernelINS0_14default_configENS1_35radix_sort_onesweep_config_selectorIsNS0_10empty_typeEEEZZNS1_29radix_sort_onesweep_iterationIS3_Lb1EPsS8_PS5_S9_mNS0_19identity_decomposerENS1_16block_id_wrapperIjLb0EEEEE10hipError_tT1_PNSt15iterator_traitsISE_E10value_typeET2_T3_PNSF_ISK_E10value_typeET4_T5_PSP_SQ_PNS1_23onesweep_lookback_stateEbbT6_jjT7_P12ihipStream_tbENKUlT_T0_SE_SJ_E_clIS8_S8_S9_S9_EEDaSX_SY_SE_SJ_EUlSX_E_NS1_11comp_targetILNS1_3genE2ELNS1_11target_archE906ELNS1_3gpuE6ELNS1_3repE0EEENS1_47radix_sort_onesweep_sort_config_static_selectorELNS0_4arch9wavefront6targetE1EEEvSE_
	.globl	_ZN7rocprim17ROCPRIM_400000_NS6detail17trampoline_kernelINS0_14default_configENS1_35radix_sort_onesweep_config_selectorIsNS0_10empty_typeEEEZZNS1_29radix_sort_onesweep_iterationIS3_Lb1EPsS8_PS5_S9_mNS0_19identity_decomposerENS1_16block_id_wrapperIjLb0EEEEE10hipError_tT1_PNSt15iterator_traitsISE_E10value_typeET2_T3_PNSF_ISK_E10value_typeET4_T5_PSP_SQ_PNS1_23onesweep_lookback_stateEbbT6_jjT7_P12ihipStream_tbENKUlT_T0_SE_SJ_E_clIS8_S8_S9_S9_EEDaSX_SY_SE_SJ_EUlSX_E_NS1_11comp_targetILNS1_3genE2ELNS1_11target_archE906ELNS1_3gpuE6ELNS1_3repE0EEENS1_47radix_sort_onesweep_sort_config_static_selectorELNS0_4arch9wavefront6targetE1EEEvSE_
	.p2align	8
	.type	_ZN7rocprim17ROCPRIM_400000_NS6detail17trampoline_kernelINS0_14default_configENS1_35radix_sort_onesweep_config_selectorIsNS0_10empty_typeEEEZZNS1_29radix_sort_onesweep_iterationIS3_Lb1EPsS8_PS5_S9_mNS0_19identity_decomposerENS1_16block_id_wrapperIjLb0EEEEE10hipError_tT1_PNSt15iterator_traitsISE_E10value_typeET2_T3_PNSF_ISK_E10value_typeET4_T5_PSP_SQ_PNS1_23onesweep_lookback_stateEbbT6_jjT7_P12ihipStream_tbENKUlT_T0_SE_SJ_E_clIS8_S8_S9_S9_EEDaSX_SY_SE_SJ_EUlSX_E_NS1_11comp_targetILNS1_3genE2ELNS1_11target_archE906ELNS1_3gpuE6ELNS1_3repE0EEENS1_47radix_sort_onesweep_sort_config_static_selectorELNS0_4arch9wavefront6targetE1EEEvSE_,@function
_ZN7rocprim17ROCPRIM_400000_NS6detail17trampoline_kernelINS0_14default_configENS1_35radix_sort_onesweep_config_selectorIsNS0_10empty_typeEEEZZNS1_29radix_sort_onesweep_iterationIS3_Lb1EPsS8_PS5_S9_mNS0_19identity_decomposerENS1_16block_id_wrapperIjLb0EEEEE10hipError_tT1_PNSt15iterator_traitsISE_E10value_typeET2_T3_PNSF_ISK_E10value_typeET4_T5_PSP_SQ_PNS1_23onesweep_lookback_stateEbbT6_jjT7_P12ihipStream_tbENKUlT_T0_SE_SJ_E_clIS8_S8_S9_S9_EEDaSX_SY_SE_SJ_EUlSX_E_NS1_11comp_targetILNS1_3genE2ELNS1_11target_archE906ELNS1_3gpuE6ELNS1_3repE0EEENS1_47radix_sort_onesweep_sort_config_static_selectorELNS0_4arch9wavefront6targetE1EEEvSE_: ; @_ZN7rocprim17ROCPRIM_400000_NS6detail17trampoline_kernelINS0_14default_configENS1_35radix_sort_onesweep_config_selectorIsNS0_10empty_typeEEEZZNS1_29radix_sort_onesweep_iterationIS3_Lb1EPsS8_PS5_S9_mNS0_19identity_decomposerENS1_16block_id_wrapperIjLb0EEEEE10hipError_tT1_PNSt15iterator_traitsISE_E10value_typeET2_T3_PNSF_ISK_E10value_typeET4_T5_PSP_SQ_PNS1_23onesweep_lookback_stateEbbT6_jjT7_P12ihipStream_tbENKUlT_T0_SE_SJ_E_clIS8_S8_S9_S9_EEDaSX_SY_SE_SJ_EUlSX_E_NS1_11comp_targetILNS1_3genE2ELNS1_11target_archE906ELNS1_3gpuE6ELNS1_3repE0EEENS1_47radix_sort_onesweep_sort_config_static_selectorELNS0_4arch9wavefront6targetE1EEEvSE_
; %bb.0:
	.section	.rodata,"a",@progbits
	.p2align	6, 0x0
	.amdhsa_kernel _ZN7rocprim17ROCPRIM_400000_NS6detail17trampoline_kernelINS0_14default_configENS1_35radix_sort_onesweep_config_selectorIsNS0_10empty_typeEEEZZNS1_29radix_sort_onesweep_iterationIS3_Lb1EPsS8_PS5_S9_mNS0_19identity_decomposerENS1_16block_id_wrapperIjLb0EEEEE10hipError_tT1_PNSt15iterator_traitsISE_E10value_typeET2_T3_PNSF_ISK_E10value_typeET4_T5_PSP_SQ_PNS1_23onesweep_lookback_stateEbbT6_jjT7_P12ihipStream_tbENKUlT_T0_SE_SJ_E_clIS8_S8_S9_S9_EEDaSX_SY_SE_SJ_EUlSX_E_NS1_11comp_targetILNS1_3genE2ELNS1_11target_archE906ELNS1_3gpuE6ELNS1_3repE0EEENS1_47radix_sort_onesweep_sort_config_static_selectorELNS0_4arch9wavefront6targetE1EEEvSE_
		.amdhsa_group_segment_fixed_size 0
		.amdhsa_private_segment_fixed_size 0
		.amdhsa_kernarg_size 88
		.amdhsa_user_sgpr_count 6
		.amdhsa_user_sgpr_private_segment_buffer 1
		.amdhsa_user_sgpr_dispatch_ptr 0
		.amdhsa_user_sgpr_queue_ptr 0
		.amdhsa_user_sgpr_kernarg_segment_ptr 1
		.amdhsa_user_sgpr_dispatch_id 0
		.amdhsa_user_sgpr_flat_scratch_init 0
		.amdhsa_user_sgpr_kernarg_preload_length 0
		.amdhsa_user_sgpr_kernarg_preload_offset 0
		.amdhsa_user_sgpr_private_segment_size 0
		.amdhsa_uses_dynamic_stack 0
		.amdhsa_system_sgpr_private_segment_wavefront_offset 0
		.amdhsa_system_sgpr_workgroup_id_x 1
		.amdhsa_system_sgpr_workgroup_id_y 0
		.amdhsa_system_sgpr_workgroup_id_z 0
		.amdhsa_system_sgpr_workgroup_info 0
		.amdhsa_system_vgpr_workitem_id 0
		.amdhsa_next_free_vgpr 1
		.amdhsa_next_free_sgpr 0
		.amdhsa_accum_offset 4
		.amdhsa_reserve_vcc 0
		.amdhsa_reserve_flat_scratch 0
		.amdhsa_float_round_mode_32 0
		.amdhsa_float_round_mode_16_64 0
		.amdhsa_float_denorm_mode_32 3
		.amdhsa_float_denorm_mode_16_64 3
		.amdhsa_dx10_clamp 1
		.amdhsa_ieee_mode 1
		.amdhsa_fp16_overflow 0
		.amdhsa_tg_split 0
		.amdhsa_exception_fp_ieee_invalid_op 0
		.amdhsa_exception_fp_denorm_src 0
		.amdhsa_exception_fp_ieee_div_zero 0
		.amdhsa_exception_fp_ieee_overflow 0
		.amdhsa_exception_fp_ieee_underflow 0
		.amdhsa_exception_fp_ieee_inexact 0
		.amdhsa_exception_int_div_zero 0
	.end_amdhsa_kernel
	.section	.text._ZN7rocprim17ROCPRIM_400000_NS6detail17trampoline_kernelINS0_14default_configENS1_35radix_sort_onesweep_config_selectorIsNS0_10empty_typeEEEZZNS1_29radix_sort_onesweep_iterationIS3_Lb1EPsS8_PS5_S9_mNS0_19identity_decomposerENS1_16block_id_wrapperIjLb0EEEEE10hipError_tT1_PNSt15iterator_traitsISE_E10value_typeET2_T3_PNSF_ISK_E10value_typeET4_T5_PSP_SQ_PNS1_23onesweep_lookback_stateEbbT6_jjT7_P12ihipStream_tbENKUlT_T0_SE_SJ_E_clIS8_S8_S9_S9_EEDaSX_SY_SE_SJ_EUlSX_E_NS1_11comp_targetILNS1_3genE2ELNS1_11target_archE906ELNS1_3gpuE6ELNS1_3repE0EEENS1_47radix_sort_onesweep_sort_config_static_selectorELNS0_4arch9wavefront6targetE1EEEvSE_,"axG",@progbits,_ZN7rocprim17ROCPRIM_400000_NS6detail17trampoline_kernelINS0_14default_configENS1_35radix_sort_onesweep_config_selectorIsNS0_10empty_typeEEEZZNS1_29radix_sort_onesweep_iterationIS3_Lb1EPsS8_PS5_S9_mNS0_19identity_decomposerENS1_16block_id_wrapperIjLb0EEEEE10hipError_tT1_PNSt15iterator_traitsISE_E10value_typeET2_T3_PNSF_ISK_E10value_typeET4_T5_PSP_SQ_PNS1_23onesweep_lookback_stateEbbT6_jjT7_P12ihipStream_tbENKUlT_T0_SE_SJ_E_clIS8_S8_S9_S9_EEDaSX_SY_SE_SJ_EUlSX_E_NS1_11comp_targetILNS1_3genE2ELNS1_11target_archE906ELNS1_3gpuE6ELNS1_3repE0EEENS1_47radix_sort_onesweep_sort_config_static_selectorELNS0_4arch9wavefront6targetE1EEEvSE_,comdat
.Lfunc_end1838:
	.size	_ZN7rocprim17ROCPRIM_400000_NS6detail17trampoline_kernelINS0_14default_configENS1_35radix_sort_onesweep_config_selectorIsNS0_10empty_typeEEEZZNS1_29radix_sort_onesweep_iterationIS3_Lb1EPsS8_PS5_S9_mNS0_19identity_decomposerENS1_16block_id_wrapperIjLb0EEEEE10hipError_tT1_PNSt15iterator_traitsISE_E10value_typeET2_T3_PNSF_ISK_E10value_typeET4_T5_PSP_SQ_PNS1_23onesweep_lookback_stateEbbT6_jjT7_P12ihipStream_tbENKUlT_T0_SE_SJ_E_clIS8_S8_S9_S9_EEDaSX_SY_SE_SJ_EUlSX_E_NS1_11comp_targetILNS1_3genE2ELNS1_11target_archE906ELNS1_3gpuE6ELNS1_3repE0EEENS1_47radix_sort_onesweep_sort_config_static_selectorELNS0_4arch9wavefront6targetE1EEEvSE_, .Lfunc_end1838-_ZN7rocprim17ROCPRIM_400000_NS6detail17trampoline_kernelINS0_14default_configENS1_35radix_sort_onesweep_config_selectorIsNS0_10empty_typeEEEZZNS1_29radix_sort_onesweep_iterationIS3_Lb1EPsS8_PS5_S9_mNS0_19identity_decomposerENS1_16block_id_wrapperIjLb0EEEEE10hipError_tT1_PNSt15iterator_traitsISE_E10value_typeET2_T3_PNSF_ISK_E10value_typeET4_T5_PSP_SQ_PNS1_23onesweep_lookback_stateEbbT6_jjT7_P12ihipStream_tbENKUlT_T0_SE_SJ_E_clIS8_S8_S9_S9_EEDaSX_SY_SE_SJ_EUlSX_E_NS1_11comp_targetILNS1_3genE2ELNS1_11target_archE906ELNS1_3gpuE6ELNS1_3repE0EEENS1_47radix_sort_onesweep_sort_config_static_selectorELNS0_4arch9wavefront6targetE1EEEvSE_
                                        ; -- End function
	.section	.AMDGPU.csdata,"",@progbits
; Kernel info:
; codeLenInByte = 0
; NumSgprs: 4
; NumVgprs: 0
; NumAgprs: 0
; TotalNumVgprs: 0
; ScratchSize: 0
; MemoryBound: 0
; FloatMode: 240
; IeeeMode: 1
; LDSByteSize: 0 bytes/workgroup (compile time only)
; SGPRBlocks: 0
; VGPRBlocks: 0
; NumSGPRsForWavesPerEU: 4
; NumVGPRsForWavesPerEU: 1
; AccumOffset: 4
; Occupancy: 8
; WaveLimiterHint : 0
; COMPUTE_PGM_RSRC2:SCRATCH_EN: 0
; COMPUTE_PGM_RSRC2:USER_SGPR: 6
; COMPUTE_PGM_RSRC2:TRAP_HANDLER: 0
; COMPUTE_PGM_RSRC2:TGID_X_EN: 1
; COMPUTE_PGM_RSRC2:TGID_Y_EN: 0
; COMPUTE_PGM_RSRC2:TGID_Z_EN: 0
; COMPUTE_PGM_RSRC2:TIDIG_COMP_CNT: 0
; COMPUTE_PGM_RSRC3_GFX90A:ACCUM_OFFSET: 0
; COMPUTE_PGM_RSRC3_GFX90A:TG_SPLIT: 0
	.section	.text._ZN7rocprim17ROCPRIM_400000_NS6detail17trampoline_kernelINS0_14default_configENS1_35radix_sort_onesweep_config_selectorIsNS0_10empty_typeEEEZZNS1_29radix_sort_onesweep_iterationIS3_Lb1EPsS8_PS5_S9_mNS0_19identity_decomposerENS1_16block_id_wrapperIjLb0EEEEE10hipError_tT1_PNSt15iterator_traitsISE_E10value_typeET2_T3_PNSF_ISK_E10value_typeET4_T5_PSP_SQ_PNS1_23onesweep_lookback_stateEbbT6_jjT7_P12ihipStream_tbENKUlT_T0_SE_SJ_E_clIS8_S8_S9_S9_EEDaSX_SY_SE_SJ_EUlSX_E_NS1_11comp_targetILNS1_3genE4ELNS1_11target_archE910ELNS1_3gpuE8ELNS1_3repE0EEENS1_47radix_sort_onesweep_sort_config_static_selectorELNS0_4arch9wavefront6targetE1EEEvSE_,"axG",@progbits,_ZN7rocprim17ROCPRIM_400000_NS6detail17trampoline_kernelINS0_14default_configENS1_35radix_sort_onesweep_config_selectorIsNS0_10empty_typeEEEZZNS1_29radix_sort_onesweep_iterationIS3_Lb1EPsS8_PS5_S9_mNS0_19identity_decomposerENS1_16block_id_wrapperIjLb0EEEEE10hipError_tT1_PNSt15iterator_traitsISE_E10value_typeET2_T3_PNSF_ISK_E10value_typeET4_T5_PSP_SQ_PNS1_23onesweep_lookback_stateEbbT6_jjT7_P12ihipStream_tbENKUlT_T0_SE_SJ_E_clIS8_S8_S9_S9_EEDaSX_SY_SE_SJ_EUlSX_E_NS1_11comp_targetILNS1_3genE4ELNS1_11target_archE910ELNS1_3gpuE8ELNS1_3repE0EEENS1_47radix_sort_onesweep_sort_config_static_selectorELNS0_4arch9wavefront6targetE1EEEvSE_,comdat
	.protected	_ZN7rocprim17ROCPRIM_400000_NS6detail17trampoline_kernelINS0_14default_configENS1_35radix_sort_onesweep_config_selectorIsNS0_10empty_typeEEEZZNS1_29radix_sort_onesweep_iterationIS3_Lb1EPsS8_PS5_S9_mNS0_19identity_decomposerENS1_16block_id_wrapperIjLb0EEEEE10hipError_tT1_PNSt15iterator_traitsISE_E10value_typeET2_T3_PNSF_ISK_E10value_typeET4_T5_PSP_SQ_PNS1_23onesweep_lookback_stateEbbT6_jjT7_P12ihipStream_tbENKUlT_T0_SE_SJ_E_clIS8_S8_S9_S9_EEDaSX_SY_SE_SJ_EUlSX_E_NS1_11comp_targetILNS1_3genE4ELNS1_11target_archE910ELNS1_3gpuE8ELNS1_3repE0EEENS1_47radix_sort_onesweep_sort_config_static_selectorELNS0_4arch9wavefront6targetE1EEEvSE_ ; -- Begin function _ZN7rocprim17ROCPRIM_400000_NS6detail17trampoline_kernelINS0_14default_configENS1_35radix_sort_onesweep_config_selectorIsNS0_10empty_typeEEEZZNS1_29radix_sort_onesweep_iterationIS3_Lb1EPsS8_PS5_S9_mNS0_19identity_decomposerENS1_16block_id_wrapperIjLb0EEEEE10hipError_tT1_PNSt15iterator_traitsISE_E10value_typeET2_T3_PNSF_ISK_E10value_typeET4_T5_PSP_SQ_PNS1_23onesweep_lookback_stateEbbT6_jjT7_P12ihipStream_tbENKUlT_T0_SE_SJ_E_clIS8_S8_S9_S9_EEDaSX_SY_SE_SJ_EUlSX_E_NS1_11comp_targetILNS1_3genE4ELNS1_11target_archE910ELNS1_3gpuE8ELNS1_3repE0EEENS1_47radix_sort_onesweep_sort_config_static_selectorELNS0_4arch9wavefront6targetE1EEEvSE_
	.globl	_ZN7rocprim17ROCPRIM_400000_NS6detail17trampoline_kernelINS0_14default_configENS1_35radix_sort_onesweep_config_selectorIsNS0_10empty_typeEEEZZNS1_29radix_sort_onesweep_iterationIS3_Lb1EPsS8_PS5_S9_mNS0_19identity_decomposerENS1_16block_id_wrapperIjLb0EEEEE10hipError_tT1_PNSt15iterator_traitsISE_E10value_typeET2_T3_PNSF_ISK_E10value_typeET4_T5_PSP_SQ_PNS1_23onesweep_lookback_stateEbbT6_jjT7_P12ihipStream_tbENKUlT_T0_SE_SJ_E_clIS8_S8_S9_S9_EEDaSX_SY_SE_SJ_EUlSX_E_NS1_11comp_targetILNS1_3genE4ELNS1_11target_archE910ELNS1_3gpuE8ELNS1_3repE0EEENS1_47radix_sort_onesweep_sort_config_static_selectorELNS0_4arch9wavefront6targetE1EEEvSE_
	.p2align	8
	.type	_ZN7rocprim17ROCPRIM_400000_NS6detail17trampoline_kernelINS0_14default_configENS1_35radix_sort_onesweep_config_selectorIsNS0_10empty_typeEEEZZNS1_29radix_sort_onesweep_iterationIS3_Lb1EPsS8_PS5_S9_mNS0_19identity_decomposerENS1_16block_id_wrapperIjLb0EEEEE10hipError_tT1_PNSt15iterator_traitsISE_E10value_typeET2_T3_PNSF_ISK_E10value_typeET4_T5_PSP_SQ_PNS1_23onesweep_lookback_stateEbbT6_jjT7_P12ihipStream_tbENKUlT_T0_SE_SJ_E_clIS8_S8_S9_S9_EEDaSX_SY_SE_SJ_EUlSX_E_NS1_11comp_targetILNS1_3genE4ELNS1_11target_archE910ELNS1_3gpuE8ELNS1_3repE0EEENS1_47radix_sort_onesweep_sort_config_static_selectorELNS0_4arch9wavefront6targetE1EEEvSE_,@function
_ZN7rocprim17ROCPRIM_400000_NS6detail17trampoline_kernelINS0_14default_configENS1_35radix_sort_onesweep_config_selectorIsNS0_10empty_typeEEEZZNS1_29radix_sort_onesweep_iterationIS3_Lb1EPsS8_PS5_S9_mNS0_19identity_decomposerENS1_16block_id_wrapperIjLb0EEEEE10hipError_tT1_PNSt15iterator_traitsISE_E10value_typeET2_T3_PNSF_ISK_E10value_typeET4_T5_PSP_SQ_PNS1_23onesweep_lookback_stateEbbT6_jjT7_P12ihipStream_tbENKUlT_T0_SE_SJ_E_clIS8_S8_S9_S9_EEDaSX_SY_SE_SJ_EUlSX_E_NS1_11comp_targetILNS1_3genE4ELNS1_11target_archE910ELNS1_3gpuE8ELNS1_3repE0EEENS1_47radix_sort_onesweep_sort_config_static_selectorELNS0_4arch9wavefront6targetE1EEEvSE_: ; @_ZN7rocprim17ROCPRIM_400000_NS6detail17trampoline_kernelINS0_14default_configENS1_35radix_sort_onesweep_config_selectorIsNS0_10empty_typeEEEZZNS1_29radix_sort_onesweep_iterationIS3_Lb1EPsS8_PS5_S9_mNS0_19identity_decomposerENS1_16block_id_wrapperIjLb0EEEEE10hipError_tT1_PNSt15iterator_traitsISE_E10value_typeET2_T3_PNSF_ISK_E10value_typeET4_T5_PSP_SQ_PNS1_23onesweep_lookback_stateEbbT6_jjT7_P12ihipStream_tbENKUlT_T0_SE_SJ_E_clIS8_S8_S9_S9_EEDaSX_SY_SE_SJ_EUlSX_E_NS1_11comp_targetILNS1_3genE4ELNS1_11target_archE910ELNS1_3gpuE8ELNS1_3repE0EEENS1_47radix_sort_onesweep_sort_config_static_selectorELNS0_4arch9wavefront6targetE1EEEvSE_
; %bb.0:
	s_load_dwordx4 s[20:23], s[4:5], 0x44
	s_load_dwordx2 s[24:25], s[4:5], 0x38
	s_load_dwordx4 s[16:19], s[4:5], 0x0
	s_load_dwordx4 s[12:15], s[4:5], 0x28
	s_mul_i32 s26, s6, 0x3000
	s_waitcnt lgkmcnt(0)
	s_cmp_ge_u32 s6, s22
	v_mbcnt_lo_u32_b32 v1, -1, 0
	s_cbranch_scc0 .LBB1839_96
; %bb.1:
	s_load_dword s7, s[4:5], 0x20
	s_mul_i32 s2, s22, 0xffffd000
	s_mov_b32 s27, 0
	s_lshl_b64 s[0:1], s[26:27], 1
	v_mbcnt_hi_u32_b32 v11, -1, v1
	s_waitcnt lgkmcnt(0)
	s_add_i32 s7, s7, s2
	v_and_b32_e32 v10, 0x3ff, v0
	s_add_u32 s0, s16, s0
	v_and_b32_e32 v2, 63, v11
	s_addc_u32 s1, s17, s1
	v_and_b32_e32 v3, 0x3c0, v10
	v_lshlrev_b32_e32 v4, 1, v2
	v_mul_u32_u24_e32 v3, 12, v3
	v_mov_b32_e32 v5, s1
	v_add_co_u32_e32 v4, vcc, s0, v4
	v_addc_co_u32_e32 v5, vcc, 0, v5, vcc
	v_lshlrev_b32_e32 v6, 1, v3
	s_mov_b32 s36, 0x80008000
	v_add_co_u32_e32 v12, vcc, v4, v6
	s_mov_b32 s37, s36
	v_addc_co_u32_e32 v13, vcc, 0, v5, vcc
	v_or_b32_e32 v14, v2, v3
	s_mov_b32 s38, s36
	s_mov_b32 s39, s36
	;; [unrolled: 1-line block ×4, first 2 shown]
	v_pk_mov_b32 v[2:3], s[36:37], s[36:37] op_sel:[0,1]
	v_cmp_gt_u32_e32 vcc, s7, v14
	v_pk_mov_b32 v[4:5], s[38:39], s[38:39] op_sel:[0,1]
	v_pk_mov_b32 v[6:7], s[40:41], s[40:41] op_sel:[0,1]
	;; [unrolled: 1-line block ×3, first 2 shown]
	s_and_saveexec_b64 s[0:1], vcc
	s_cbranch_execz .LBB1839_3
; %bb.2:
	global_load_ushort v2, v[12:13], off
	s_movk_i32 s2, 0x8000
	v_mov_b32_e32 v7, 0x5040100
	v_mov_b32_e32 v3, 0x80008000
	;; [unrolled: 1-line block ×5, first 2 shown]
	s_waitcnt vmcnt(0)
	v_perm_b32 v2, s2, v2, v7
	v_mov_b32_e32 v7, v3
.LBB1839_3:
	s_or_b64 exec, exec, s[0:1]
	v_or_b32_e32 v8, 64, v14
	v_cmp_gt_u32_e32 vcc, s7, v8
	s_and_saveexec_b64 s[0:1], vcc
	s_cbranch_execz .LBB1839_5
; %bb.4:
	global_load_ushort v8, v[12:13], off offset:128
	s_mov_b32 s2, 0x5040100
	s_waitcnt vmcnt(0)
	v_perm_b32 v2, v8, v2, s2
.LBB1839_5:
	s_or_b64 exec, exec, s[0:1]
	v_or_b32_e32 v8, 0x80, v14
	v_cmp_gt_u32_e32 vcc, s7, v8
	s_and_saveexec_b64 s[0:1], vcc
	s_cbranch_execz .LBB1839_7
; %bb.6:
	global_load_ushort v8, v[12:13], off offset:256
	s_mov_b32 s2, 0xffff
	s_waitcnt vmcnt(0)
	v_bfi_b32 v3, s2, v8, v3
.LBB1839_7:
	s_or_b64 exec, exec, s[0:1]
	v_or_b32_e32 v8, 0xc0, v14
	v_cmp_gt_u32_e32 vcc, s7, v8
	s_and_saveexec_b64 s[0:1], vcc
	s_cbranch_execz .LBB1839_9
; %bb.8:
	global_load_ushort v8, v[12:13], off offset:384
	s_mov_b32 s2, 0x5040100
	s_waitcnt vmcnt(0)
	v_perm_b32 v3, v8, v3, s2
.LBB1839_9:
	s_or_b64 exec, exec, s[0:1]
	v_add_u32_e32 v8, 0x100, v14
	v_cmp_gt_u32_e32 vcc, s7, v8
	s_and_saveexec_b64 s[0:1], vcc
	s_cbranch_execz .LBB1839_11
; %bb.10:
	global_load_ushort v8, v[12:13], off offset:512
	s_mov_b32 s2, 0xffff
	s_waitcnt vmcnt(0)
	v_bfi_b32 v4, s2, v8, v4
.LBB1839_11:
	s_or_b64 exec, exec, s[0:1]
	v_add_u32_e32 v8, 0x140, v14
	v_cmp_gt_u32_e32 vcc, s7, v8
	s_and_saveexec_b64 s[0:1], vcc
	s_cbranch_execz .LBB1839_13
; %bb.12:
	global_load_ushort v8, v[12:13], off offset:640
	s_mov_b32 s2, 0x5040100
	s_waitcnt vmcnt(0)
	v_perm_b32 v4, v8, v4, s2
.LBB1839_13:
	s_or_b64 exec, exec, s[0:1]
	v_add_u32_e32 v8, 0x180, v14
	v_cmp_gt_u32_e32 vcc, s7, v8
	s_and_saveexec_b64 s[0:1], vcc
	s_cbranch_execz .LBB1839_15
; %bb.14:
	global_load_ushort v8, v[12:13], off offset:768
	s_mov_b32 s2, 0xffff
	s_waitcnt vmcnt(0)
	v_bfi_b32 v5, s2, v8, v5
.LBB1839_15:
	s_or_b64 exec, exec, s[0:1]
	v_add_u32_e32 v8, 0x1c0, v14
	;; [unrolled: 22-line block ×4, first 2 shown]
	v_cmp_gt_u32_e32 vcc, s7, v8
	s_and_saveexec_b64 s[0:1], vcc
	s_cbranch_execz .LBB1839_25
; %bb.24:
	global_load_ushort v8, v[12:13], off offset:1408
	s_mov_b32 s2, 0x5040100
	s_waitcnt vmcnt(0)
	v_perm_b32 v7, v8, v7, s2
.LBB1839_25:
	s_or_b64 exec, exec, s[0:1]
	s_load_dword s0, s[4:5], 0x64
	s_load_dword s27, s[4:5], 0x58
	s_add_u32 s1, s4, 0x58
	s_addc_u32 s2, s5, 0
	v_mov_b32_e32 v8, 0
	s_waitcnt lgkmcnt(0)
	s_lshr_b32 s3, s0, 16
	s_cmp_lt_u32 s6, s27
	s_cselect_b32 s0, 12, 18
	s_add_u32 s0, s1, s0
	s_addc_u32 s1, s2, 0
	global_load_ushort v12, v8, s[0:1]
	v_xor_b32_e32 v14, 0x7fff, v2
	s_lshl_b32 s0, -1, s21
	v_lshrrev_b32_sdwa v16, s20, v14 dst_sel:DWORD dst_unused:UNUSED_PAD src0_sel:DWORD src1_sel:WORD_0
	s_not_b32 s28, s0
	v_and_b32_e32 v16, s28, v16
	v_and_b32_e32 v18, 1, v16
	v_bfe_u32 v9, v0, 10, 10
	v_bfe_u32 v13, v0, 20, 10
	v_add_co_u32_e32 v19, vcc, -1, v18
	v_mad_u32_u24 v13, v13, s3, v9
	v_lshlrev_b32_e32 v9, 30, v16
	v_addc_co_u32_e64 v20, s[0:1], 0, -1, vcc
	v_cmp_ne_u32_e32 vcc, 0, v18
	v_cmp_gt_i64_e64 s[0:1], 0, v[8:9]
	v_not_b32_e32 v18, v9
	v_lshlrev_b32_e32 v9, 29, v16
	v_xor_b32_e32 v20, vcc_hi, v20
	v_xor_b32_e32 v19, vcc_lo, v19
	v_ashrrev_i32_e32 v18, 31, v18
	v_cmp_gt_i64_e32 vcc, 0, v[8:9]
	v_not_b32_e32 v21, v9
	v_lshlrev_b32_e32 v9, 28, v16
	v_and_b32_e32 v20, exec_hi, v20
	v_and_b32_e32 v19, exec_lo, v19
	v_xor_b32_e32 v22, s1, v18
	v_xor_b32_e32 v18, s0, v18
	v_ashrrev_i32_e32 v21, 31, v21
	v_cmp_gt_i64_e64 s[0:1], 0, v[8:9]
	v_not_b32_e32 v23, v9
	v_lshlrev_b32_e32 v9, 27, v16
	v_and_b32_e32 v20, v20, v22
	v_and_b32_e32 v18, v19, v18
	v_xor_b32_e32 v19, vcc_hi, v21
	v_xor_b32_e32 v21, vcc_lo, v21
	v_ashrrev_i32_e32 v22, 31, v23
	v_cmp_gt_i64_e32 vcc, 0, v[8:9]
	v_not_b32_e32 v23, v9
	v_lshlrev_b32_e32 v9, 26, v16
	v_and_b32_e32 v19, v20, v19
	v_and_b32_e32 v18, v18, v21
	v_xor_b32_e32 v20, s1, v22
	v_xor_b32_e32 v21, s0, v22
	v_ashrrev_i32_e32 v22, 31, v23
	v_cmp_gt_i64_e64 s[0:1], 0, v[8:9]
	v_not_b32_e32 v23, v9
	v_lshlrev_b32_e32 v9, 25, v16
	v_and_b32_e32 v19, v19, v20
	v_and_b32_e32 v18, v18, v21
	v_xor_b32_e32 v20, vcc_hi, v22
	v_xor_b32_e32 v21, vcc_lo, v22
	v_ashrrev_i32_e32 v22, 31, v23
	v_cmp_gt_i64_e32 vcc, 0, v[8:9]
	v_not_b32_e32 v23, v9
	v_lshlrev_b32_e32 v9, 24, v16
	v_mul_u32_u24_e32 v17, 17, v16
	v_and_b32_e32 v16, v19, v20
	v_and_b32_e32 v18, v18, v21
	v_xor_b32_e32 v19, s1, v22
	v_xor_b32_e32 v20, s0, v22
	v_ashrrev_i32_e32 v21, 31, v23
	v_cmp_gt_i64_e64 s[0:1], 0, v[8:9]
	v_not_b32_e32 v9, v9
	v_and_b32_e32 v16, v16, v19
	v_and_b32_e32 v18, v18, v20
	v_xor_b32_e32 v19, vcc_hi, v21
	v_xor_b32_e32 v20, vcc_lo, v21
	v_ashrrev_i32_e32 v9, 31, v9
	v_and_b32_e32 v16, v16, v19
	v_and_b32_e32 v18, v18, v20
	v_mul_u32_u24_e32 v15, 5, v10
	s_movk_i32 s2, 0x7fff
	v_lshlrev_b32_e32 v15, 2, v15
	ds_write2_b32 v15, v8, v8 offset0:16 offset1:17
	ds_write2_b32 v15, v8, v8 offset0:18 offset1:19
	ds_write_b32 v15, v8 offset:80
	s_waitcnt lgkmcnt(0)
	s_barrier
	s_waitcnt vmcnt(0)
	v_mad_u64_u32 v[12:13], s[8:9], v13, v12, v[10:11]
	v_lshrrev_b32_e32 v26, 6, v12
	v_xor_b32_e32 v12, s1, v9
	v_xor_b32_e32 v9, s0, v9
	v_and_b32_e32 v13, v16, v12
	v_and_b32_e32 v12, v18, v9
	v_mbcnt_lo_u32_b32 v9, v12, 0
	v_mbcnt_hi_u32_b32 v16, v13, v9
	v_cmp_eq_u32_e32 vcc, 0, v16
	v_cmp_ne_u64_e64 s[0:1], 0, v[12:13]
	v_add_lshl_u32 v19, v26, v17, 2
	s_and_b64 s[8:9], s[0:1], vcc
	; wave barrier
	s_and_saveexec_b64 s[0:1], s[8:9]
	s_cbranch_execz .LBB1839_27
; %bb.26:
	v_bcnt_u32_b32 v9, v12, 0
	v_bcnt_u32_b32 v9, v13, v9
	ds_write_b32 v19, v9 offset:64
.LBB1839_27:
	s_or_b64 exec, exec, s[0:1]
	v_xor_b32_sdwa v17, v2, s2 dst_sel:DWORD dst_unused:UNUSED_PAD src0_sel:WORD_1 src1_sel:DWORD
	v_lshrrev_b32_sdwa v2, s20, v17 dst_sel:DWORD dst_unused:UNUSED_PAD src0_sel:DWORD src1_sel:WORD_0
	v_and_b32_e32 v2, s28, v2
	v_mul_u32_u24_e32 v9, 17, v2
	v_add_lshl_u32 v20, v26, v9, 2
	v_and_b32_e32 v9, 1, v2
	v_add_co_u32_e32 v12, vcc, -1, v9
	v_addc_co_u32_e64 v13, s[0:1], 0, -1, vcc
	v_cmp_ne_u32_e32 vcc, 0, v9
	v_xor_b32_e32 v9, vcc_hi, v13
	v_and_b32_e32 v13, exec_hi, v9
	v_lshlrev_b32_e32 v9, 30, v2
	v_xor_b32_e32 v12, vcc_lo, v12
	v_cmp_gt_i64_e32 vcc, 0, v[8:9]
	v_not_b32_e32 v9, v9
	v_ashrrev_i32_e32 v9, 31, v9
	v_and_b32_e32 v12, exec_lo, v12
	v_xor_b32_e32 v21, vcc_hi, v9
	v_xor_b32_e32 v9, vcc_lo, v9
	v_and_b32_e32 v12, v12, v9
	v_lshlrev_b32_e32 v9, 29, v2
	v_cmp_gt_i64_e32 vcc, 0, v[8:9]
	v_not_b32_e32 v9, v9
	v_ashrrev_i32_e32 v9, 31, v9
	v_and_b32_e32 v13, v13, v21
	v_xor_b32_e32 v21, vcc_hi, v9
	v_xor_b32_e32 v9, vcc_lo, v9
	v_and_b32_e32 v12, v12, v9
	v_lshlrev_b32_e32 v9, 28, v2
	v_cmp_gt_i64_e32 vcc, 0, v[8:9]
	v_not_b32_e32 v9, v9
	v_ashrrev_i32_e32 v9, 31, v9
	v_and_b32_e32 v13, v13, v21
	;; [unrolled: 8-line block ×5, first 2 shown]
	v_xor_b32_e32 v21, vcc_hi, v9
	v_xor_b32_e32 v9, vcc_lo, v9
	v_and_b32_e32 v12, v12, v9
	v_lshlrev_b32_e32 v9, 24, v2
	v_not_b32_e32 v2, v9
	v_cmp_gt_i64_e32 vcc, 0, v[8:9]
	v_ashrrev_i32_e32 v2, 31, v2
	v_and_b32_e32 v13, v13, v21
	v_xor_b32_e32 v8, vcc_hi, v2
	v_xor_b32_e32 v2, vcc_lo, v2
	; wave barrier
	ds_read_b32 v18, v20 offset:64
	v_and_b32_e32 v9, v13, v8
	v_and_b32_e32 v8, v12, v2
	v_mbcnt_lo_u32_b32 v2, v8, 0
	v_mbcnt_hi_u32_b32 v21, v9, v2
	v_cmp_eq_u32_e32 vcc, 0, v21
	v_cmp_ne_u64_e64 s[0:1], 0, v[8:9]
	s_and_b64 s[2:3], s[0:1], vcc
	; wave barrier
	s_and_saveexec_b64 s[0:1], s[2:3]
	s_cbranch_execz .LBB1839_29
; %bb.28:
	v_bcnt_u32_b32 v2, v8, 0
	v_bcnt_u32_b32 v2, v9, v2
	s_waitcnt lgkmcnt(0)
	v_add_u32_e32 v2, v18, v2
	ds_write_b32 v20, v2 offset:64
.LBB1839_29:
	s_or_b64 exec, exec, s[0:1]
	v_xor_b32_e32 v22, 0x7fff, v3
	v_lshrrev_b32_sdwa v2, s20, v22 dst_sel:DWORD dst_unused:UNUSED_PAD src0_sel:DWORD src1_sel:WORD_0
	v_and_b32_e32 v2, s28, v2
	v_and_b32_e32 v9, 1, v2
	v_add_co_u32_e32 v12, vcc, -1, v9
	v_addc_co_u32_e64 v13, s[0:1], 0, -1, vcc
	v_cmp_ne_u32_e32 vcc, 0, v9
	v_mul_u32_u24_e32 v8, 17, v2
	v_xor_b32_e32 v9, vcc_hi, v13
	v_add_lshl_u32 v24, v26, v8, 2
	v_mov_b32_e32 v8, 0
	v_and_b32_e32 v13, exec_hi, v9
	v_lshlrev_b32_e32 v9, 30, v2
	v_xor_b32_e32 v12, vcc_lo, v12
	v_cmp_gt_i64_e32 vcc, 0, v[8:9]
	v_not_b32_e32 v9, v9
	v_ashrrev_i32_e32 v9, 31, v9
	v_and_b32_e32 v12, exec_lo, v12
	v_xor_b32_e32 v25, vcc_hi, v9
	v_xor_b32_e32 v9, vcc_lo, v9
	v_and_b32_e32 v12, v12, v9
	v_lshlrev_b32_e32 v9, 29, v2
	v_cmp_gt_i64_e32 vcc, 0, v[8:9]
	v_not_b32_e32 v9, v9
	v_ashrrev_i32_e32 v9, 31, v9
	v_and_b32_e32 v13, v13, v25
	v_xor_b32_e32 v25, vcc_hi, v9
	v_xor_b32_e32 v9, vcc_lo, v9
	v_and_b32_e32 v12, v12, v9
	v_lshlrev_b32_e32 v9, 28, v2
	v_cmp_gt_i64_e32 vcc, 0, v[8:9]
	v_not_b32_e32 v9, v9
	v_ashrrev_i32_e32 v9, 31, v9
	v_and_b32_e32 v13, v13, v25
	;; [unrolled: 8-line block ×5, first 2 shown]
	v_xor_b32_e32 v25, vcc_hi, v9
	v_xor_b32_e32 v9, vcc_lo, v9
	v_and_b32_e32 v12, v12, v9
	v_lshlrev_b32_e32 v9, 24, v2
	v_not_b32_e32 v2, v9
	v_cmp_gt_i64_e32 vcc, 0, v[8:9]
	v_ashrrev_i32_e32 v2, 31, v2
	v_xor_b32_e32 v9, vcc_hi, v2
	v_xor_b32_e32 v2, vcc_lo, v2
	; wave barrier
	ds_read_b32 v23, v24 offset:64
	v_and_b32_e32 v13, v13, v25
	v_and_b32_e32 v12, v12, v2
	;; [unrolled: 1-line block ×3, first 2 shown]
	v_mbcnt_lo_u32_b32 v2, v12, 0
	v_mbcnt_hi_u32_b32 v25, v13, v2
	v_cmp_eq_u32_e32 vcc, 0, v25
	v_cmp_ne_u64_e64 s[0:1], 0, v[12:13]
	s_movk_i32 s2, 0x7fff
	s_and_b64 s[8:9], s[0:1], vcc
	; wave barrier
	s_and_saveexec_b64 s[0:1], s[8:9]
	s_cbranch_execz .LBB1839_31
; %bb.30:
	v_bcnt_u32_b32 v2, v12, 0
	v_bcnt_u32_b32 v2, v13, v2
	s_waitcnt lgkmcnt(0)
	v_add_u32_e32 v2, v23, v2
	ds_write_b32 v24, v2 offset:64
.LBB1839_31:
	s_or_b64 exec, exec, s[0:1]
	v_xor_b32_sdwa v12, v3, s2 dst_sel:DWORD dst_unused:UNUSED_PAD src0_sel:WORD_1 src1_sel:DWORD
	v_lshrrev_b32_sdwa v2, s20, v12 dst_sel:DWORD dst_unused:UNUSED_PAD src0_sel:DWORD src1_sel:WORD_0
	v_and_b32_e32 v2, s28, v2
	v_mul_u32_u24_e32 v3, 17, v2
	v_add_lshl_u32 v27, v26, v3, 2
	v_and_b32_e32 v3, 1, v2
	v_add_co_u32_e32 v9, vcc, -1, v3
	v_addc_co_u32_e64 v28, s[0:1], 0, -1, vcc
	v_cmp_ne_u32_e32 vcc, 0, v3
	v_xor_b32_e32 v9, vcc_lo, v9
	v_xor_b32_e32 v3, vcc_hi, v28
	v_and_b32_e32 v28, exec_lo, v9
	v_lshlrev_b32_e32 v9, 30, v2
	v_cmp_gt_i64_e32 vcc, 0, v[8:9]
	v_not_b32_e32 v9, v9
	v_ashrrev_i32_e32 v9, 31, v9
	v_xor_b32_e32 v29, vcc_hi, v9
	v_xor_b32_e32 v9, vcc_lo, v9
	v_and_b32_e32 v28, v28, v9
	v_lshlrev_b32_e32 v9, 29, v2
	v_cmp_gt_i64_e32 vcc, 0, v[8:9]
	v_not_b32_e32 v9, v9
	v_and_b32_e32 v3, exec_hi, v3
	v_ashrrev_i32_e32 v9, 31, v9
	v_and_b32_e32 v3, v3, v29
	v_xor_b32_e32 v29, vcc_hi, v9
	v_xor_b32_e32 v9, vcc_lo, v9
	v_and_b32_e32 v28, v28, v9
	v_lshlrev_b32_e32 v9, 28, v2
	v_cmp_gt_i64_e32 vcc, 0, v[8:9]
	v_not_b32_e32 v9, v9
	v_ashrrev_i32_e32 v9, 31, v9
	v_and_b32_e32 v3, v3, v29
	v_xor_b32_e32 v29, vcc_hi, v9
	v_xor_b32_e32 v9, vcc_lo, v9
	v_and_b32_e32 v28, v28, v9
	v_lshlrev_b32_e32 v9, 27, v2
	v_cmp_gt_i64_e32 vcc, 0, v[8:9]
	v_not_b32_e32 v9, v9
	v_ashrrev_i32_e32 v9, 31, v9
	v_and_b32_e32 v3, v3, v29
	v_xor_b32_e32 v29, vcc_hi, v9
	v_xor_b32_e32 v9, vcc_lo, v9
	v_and_b32_e32 v28, v28, v9
	v_lshlrev_b32_e32 v9, 26, v2
	v_cmp_gt_i64_e32 vcc, 0, v[8:9]
	v_not_b32_e32 v9, v9
	v_ashrrev_i32_e32 v9, 31, v9
	v_and_b32_e32 v3, v3, v29
	v_xor_b32_e32 v29, vcc_hi, v9
	v_xor_b32_e32 v9, vcc_lo, v9
	v_and_b32_e32 v28, v28, v9
	v_lshlrev_b32_e32 v9, 25, v2
	v_cmp_gt_i64_e32 vcc, 0, v[8:9]
	v_not_b32_e32 v9, v9
	v_ashrrev_i32_e32 v9, 31, v9
	v_and_b32_e32 v3, v3, v29
	v_xor_b32_e32 v29, vcc_hi, v9
	v_xor_b32_e32 v9, vcc_lo, v9
	v_and_b32_e32 v28, v28, v9
	v_lshlrev_b32_e32 v9, 24, v2
	v_not_b32_e32 v2, v9
	v_cmp_gt_i64_e32 vcc, 0, v[8:9]
	v_ashrrev_i32_e32 v2, 31, v2
	v_xor_b32_e32 v8, vcc_hi, v2
	v_xor_b32_e32 v2, vcc_lo, v2
	; wave barrier
	ds_read_b32 v13, v27 offset:64
	v_and_b32_e32 v3, v3, v29
	v_and_b32_e32 v2, v28, v2
	;; [unrolled: 1-line block ×3, first 2 shown]
	v_mbcnt_lo_u32_b32 v8, v2, 0
	v_mbcnt_hi_u32_b32 v28, v3, v8
	v_cmp_eq_u32_e32 vcc, 0, v28
	v_cmp_ne_u64_e64 s[0:1], 0, v[2:3]
	s_and_b64 s[2:3], s[0:1], vcc
	; wave barrier
	s_and_saveexec_b64 s[0:1], s[2:3]
	s_cbranch_execz .LBB1839_33
; %bb.32:
	v_bcnt_u32_b32 v2, v2, 0
	v_bcnt_u32_b32 v2, v3, v2
	s_waitcnt lgkmcnt(0)
	v_add_u32_e32 v2, v13, v2
	ds_write_b32 v27, v2 offset:64
.LBB1839_33:
	s_or_b64 exec, exec, s[0:1]
	v_xor_b32_e32 v29, 0x7fff, v4
	v_lshrrev_b32_sdwa v2, s20, v29 dst_sel:DWORD dst_unused:UNUSED_PAD src0_sel:DWORD src1_sel:WORD_0
	v_and_b32_e32 v8, s28, v2
	v_and_b32_e32 v3, 1, v8
	v_add_co_u32_e32 v9, vcc, -1, v3
	v_addc_co_u32_e64 v32, s[0:1], 0, -1, vcc
	v_cmp_ne_u32_e32 vcc, 0, v3
	v_mul_u32_u24_e32 v2, 17, v8
	v_xor_b32_e32 v3, vcc_hi, v32
	v_add_lshl_u32 v31, v26, v2, 2
	v_mov_b32_e32 v2, 0
	v_and_b32_e32 v32, exec_hi, v3
	v_lshlrev_b32_e32 v3, 30, v8
	v_xor_b32_e32 v9, vcc_lo, v9
	v_cmp_gt_i64_e32 vcc, 0, v[2:3]
	v_not_b32_e32 v3, v3
	v_ashrrev_i32_e32 v3, 31, v3
	v_and_b32_e32 v9, exec_lo, v9
	v_xor_b32_e32 v33, vcc_hi, v3
	v_xor_b32_e32 v3, vcc_lo, v3
	v_and_b32_e32 v9, v9, v3
	v_lshlrev_b32_e32 v3, 29, v8
	v_cmp_gt_i64_e32 vcc, 0, v[2:3]
	v_not_b32_e32 v3, v3
	v_ashrrev_i32_e32 v3, 31, v3
	v_and_b32_e32 v32, v32, v33
	v_xor_b32_e32 v33, vcc_hi, v3
	v_xor_b32_e32 v3, vcc_lo, v3
	v_and_b32_e32 v9, v9, v3
	v_lshlrev_b32_e32 v3, 28, v8
	v_cmp_gt_i64_e32 vcc, 0, v[2:3]
	v_not_b32_e32 v3, v3
	v_ashrrev_i32_e32 v3, 31, v3
	v_and_b32_e32 v32, v32, v33
	;; [unrolled: 8-line block ×5, first 2 shown]
	v_xor_b32_e32 v33, vcc_hi, v3
	v_xor_b32_e32 v3, vcc_lo, v3
	v_and_b32_e32 v32, v32, v33
	v_and_b32_e32 v33, v9, v3
	v_lshlrev_b32_e32 v3, 24, v8
	v_cmp_gt_i64_e32 vcc, 0, v[2:3]
	v_not_b32_e32 v3, v3
	v_ashrrev_i32_e32 v3, 31, v3
	v_xor_b32_e32 v8, vcc_hi, v3
	v_xor_b32_e32 v3, vcc_lo, v3
	; wave barrier
	ds_read_b32 v30, v31 offset:64
	v_and_b32_e32 v9, v32, v8
	v_and_b32_e32 v8, v33, v3
	v_mbcnt_lo_u32_b32 v3, v8, 0
	v_mbcnt_hi_u32_b32 v33, v9, v3
	v_cmp_eq_u32_e32 vcc, 0, v33
	v_cmp_ne_u64_e64 s[0:1], 0, v[8:9]
	s_movk_i32 s2, 0x7fff
	s_and_b64 s[8:9], s[0:1], vcc
	; wave barrier
	s_and_saveexec_b64 s[0:1], s[8:9]
	s_cbranch_execz .LBB1839_35
; %bb.34:
	v_bcnt_u32_b32 v3, v8, 0
	v_bcnt_u32_b32 v3, v9, v3
	s_waitcnt lgkmcnt(0)
	v_add_u32_e32 v3, v30, v3
	ds_write_b32 v31, v3 offset:64
.LBB1839_35:
	s_or_b64 exec, exec, s[0:1]
	v_xor_b32_sdwa v32, v4, s2 dst_sel:DWORD dst_unused:UNUSED_PAD src0_sel:WORD_1 src1_sel:DWORD
	v_lshrrev_b32_sdwa v3, s20, v32 dst_sel:DWORD dst_unused:UNUSED_PAD src0_sel:DWORD src1_sel:WORD_0
	v_and_b32_e32 v4, s28, v3
	v_mul_u32_u24_e32 v3, 17, v4
	v_add_lshl_u32 v35, v26, v3, 2
	v_and_b32_e32 v3, 1, v4
	v_add_co_u32_e32 v8, vcc, -1, v3
	v_addc_co_u32_e64 v9, s[0:1], 0, -1, vcc
	v_cmp_ne_u32_e32 vcc, 0, v3
	v_xor_b32_e32 v3, vcc_hi, v9
	v_and_b32_e32 v9, exec_hi, v3
	v_lshlrev_b32_e32 v3, 30, v4
	v_xor_b32_e32 v8, vcc_lo, v8
	v_cmp_gt_i64_e32 vcc, 0, v[2:3]
	v_not_b32_e32 v3, v3
	v_ashrrev_i32_e32 v3, 31, v3
	v_and_b32_e32 v8, exec_lo, v8
	v_xor_b32_e32 v36, vcc_hi, v3
	v_xor_b32_e32 v3, vcc_lo, v3
	v_and_b32_e32 v8, v8, v3
	v_lshlrev_b32_e32 v3, 29, v4
	v_cmp_gt_i64_e32 vcc, 0, v[2:3]
	v_not_b32_e32 v3, v3
	v_ashrrev_i32_e32 v3, 31, v3
	v_and_b32_e32 v9, v9, v36
	v_xor_b32_e32 v36, vcc_hi, v3
	v_xor_b32_e32 v3, vcc_lo, v3
	v_and_b32_e32 v8, v8, v3
	v_lshlrev_b32_e32 v3, 28, v4
	v_cmp_gt_i64_e32 vcc, 0, v[2:3]
	v_not_b32_e32 v3, v3
	v_ashrrev_i32_e32 v3, 31, v3
	v_and_b32_e32 v9, v9, v36
	;; [unrolled: 8-line block ×5, first 2 shown]
	v_xor_b32_e32 v36, vcc_hi, v3
	v_xor_b32_e32 v3, vcc_lo, v3
	v_and_b32_e32 v8, v8, v3
	v_lshlrev_b32_e32 v3, 24, v4
	v_cmp_gt_i64_e32 vcc, 0, v[2:3]
	v_not_b32_e32 v2, v3
	v_ashrrev_i32_e32 v2, 31, v2
	v_xor_b32_e32 v3, vcc_hi, v2
	v_xor_b32_e32 v2, vcc_lo, v2
	; wave barrier
	ds_read_b32 v34, v35 offset:64
	v_and_b32_e32 v9, v9, v36
	v_and_b32_e32 v2, v8, v2
	;; [unrolled: 1-line block ×3, first 2 shown]
	v_mbcnt_lo_u32_b32 v4, v2, 0
	v_mbcnt_hi_u32_b32 v37, v3, v4
	v_cmp_eq_u32_e32 vcc, 0, v37
	v_cmp_ne_u64_e64 s[0:1], 0, v[2:3]
	s_and_b64 s[2:3], s[0:1], vcc
	; wave barrier
	s_and_saveexec_b64 s[0:1], s[2:3]
	s_cbranch_execz .LBB1839_37
; %bb.36:
	v_bcnt_u32_b32 v2, v2, 0
	v_bcnt_u32_b32 v2, v3, v2
	s_waitcnt lgkmcnt(0)
	v_add_u32_e32 v2, v34, v2
	ds_write_b32 v35, v2 offset:64
.LBB1839_37:
	s_or_b64 exec, exec, s[0:1]
	v_xor_b32_e32 v36, 0x7fff, v5
	v_lshrrev_b32_sdwa v2, s20, v36 dst_sel:DWORD dst_unused:UNUSED_PAD src0_sel:DWORD src1_sel:WORD_0
	v_and_b32_e32 v4, s28, v2
	v_and_b32_e32 v3, 1, v4
	v_add_co_u32_e32 v8, vcc, -1, v3
	v_addc_co_u32_e64 v9, s[0:1], 0, -1, vcc
	v_cmp_ne_u32_e32 vcc, 0, v3
	v_mul_u32_u24_e32 v2, 17, v4
	v_xor_b32_e32 v3, vcc_hi, v9
	v_add_lshl_u32 v39, v26, v2, 2
	v_mov_b32_e32 v2, 0
	v_and_b32_e32 v9, exec_hi, v3
	v_lshlrev_b32_e32 v3, 30, v4
	v_xor_b32_e32 v8, vcc_lo, v8
	v_cmp_gt_i64_e32 vcc, 0, v[2:3]
	v_not_b32_e32 v3, v3
	v_ashrrev_i32_e32 v3, 31, v3
	v_and_b32_e32 v8, exec_lo, v8
	v_xor_b32_e32 v40, vcc_hi, v3
	v_xor_b32_e32 v3, vcc_lo, v3
	v_and_b32_e32 v8, v8, v3
	v_lshlrev_b32_e32 v3, 29, v4
	v_cmp_gt_i64_e32 vcc, 0, v[2:3]
	v_not_b32_e32 v3, v3
	v_ashrrev_i32_e32 v3, 31, v3
	v_and_b32_e32 v9, v9, v40
	v_xor_b32_e32 v40, vcc_hi, v3
	v_xor_b32_e32 v3, vcc_lo, v3
	v_and_b32_e32 v8, v8, v3
	v_lshlrev_b32_e32 v3, 28, v4
	v_cmp_gt_i64_e32 vcc, 0, v[2:3]
	v_not_b32_e32 v3, v3
	v_ashrrev_i32_e32 v3, 31, v3
	v_and_b32_e32 v9, v9, v40
	;; [unrolled: 8-line block ×5, first 2 shown]
	v_xor_b32_e32 v40, vcc_hi, v3
	v_xor_b32_e32 v3, vcc_lo, v3
	v_and_b32_e32 v8, v8, v3
	v_lshlrev_b32_e32 v3, 24, v4
	v_cmp_gt_i64_e32 vcc, 0, v[2:3]
	v_not_b32_e32 v3, v3
	v_ashrrev_i32_e32 v3, 31, v3
	v_xor_b32_e32 v4, vcc_hi, v3
	v_xor_b32_e32 v3, vcc_lo, v3
	; wave barrier
	ds_read_b32 v38, v39 offset:64
	v_and_b32_e32 v9, v9, v40
	v_and_b32_e32 v8, v8, v3
	;; [unrolled: 1-line block ×3, first 2 shown]
	v_mbcnt_lo_u32_b32 v3, v8, 0
	v_mbcnt_hi_u32_b32 v40, v9, v3
	v_cmp_eq_u32_e32 vcc, 0, v40
	v_cmp_ne_u64_e64 s[0:1], 0, v[8:9]
	s_movk_i32 s2, 0x7fff
	s_and_b64 s[8:9], s[0:1], vcc
	; wave barrier
	s_and_saveexec_b64 s[0:1], s[8:9]
	s_cbranch_execz .LBB1839_39
; %bb.38:
	v_bcnt_u32_b32 v3, v8, 0
	v_bcnt_u32_b32 v3, v9, v3
	s_waitcnt lgkmcnt(0)
	v_add_u32_e32 v3, v38, v3
	ds_write_b32 v39, v3 offset:64
.LBB1839_39:
	s_or_b64 exec, exec, s[0:1]
	v_xor_b32_sdwa v8, v5, s2 dst_sel:DWORD dst_unused:UNUSED_PAD src0_sel:WORD_1 src1_sel:DWORD
	v_lshrrev_b32_sdwa v3, s20, v8 dst_sel:DWORD dst_unused:UNUSED_PAD src0_sel:DWORD src1_sel:WORD_0
	v_and_b32_e32 v4, s28, v3
	v_mul_u32_u24_e32 v3, 17, v4
	v_add_lshl_u32 v41, v26, v3, 2
	v_and_b32_e32 v3, 1, v4
	v_add_co_u32_e32 v5, vcc, -1, v3
	v_addc_co_u32_e64 v42, s[0:1], 0, -1, vcc
	v_cmp_ne_u32_e32 vcc, 0, v3
	v_xor_b32_e32 v3, vcc_hi, v42
	v_and_b32_e32 v42, exec_hi, v3
	v_lshlrev_b32_e32 v3, 30, v4
	v_xor_b32_e32 v5, vcc_lo, v5
	v_cmp_gt_i64_e32 vcc, 0, v[2:3]
	v_not_b32_e32 v3, v3
	v_ashrrev_i32_e32 v3, 31, v3
	v_and_b32_e32 v5, exec_lo, v5
	v_xor_b32_e32 v43, vcc_hi, v3
	v_xor_b32_e32 v3, vcc_lo, v3
	v_and_b32_e32 v5, v5, v3
	v_lshlrev_b32_e32 v3, 29, v4
	v_cmp_gt_i64_e32 vcc, 0, v[2:3]
	v_not_b32_e32 v3, v3
	v_ashrrev_i32_e32 v3, 31, v3
	v_and_b32_e32 v42, v42, v43
	v_xor_b32_e32 v43, vcc_hi, v3
	v_xor_b32_e32 v3, vcc_lo, v3
	v_and_b32_e32 v5, v5, v3
	v_lshlrev_b32_e32 v3, 28, v4
	v_cmp_gt_i64_e32 vcc, 0, v[2:3]
	v_not_b32_e32 v3, v3
	v_ashrrev_i32_e32 v3, 31, v3
	v_and_b32_e32 v42, v42, v43
	;; [unrolled: 8-line block ×5, first 2 shown]
	v_xor_b32_e32 v43, vcc_hi, v3
	v_xor_b32_e32 v3, vcc_lo, v3
	v_and_b32_e32 v5, v5, v3
	v_lshlrev_b32_e32 v3, 24, v4
	v_cmp_gt_i64_e32 vcc, 0, v[2:3]
	v_not_b32_e32 v2, v3
	v_ashrrev_i32_e32 v2, 31, v2
	v_xor_b32_e32 v3, vcc_hi, v2
	v_xor_b32_e32 v2, vcc_lo, v2
	; wave barrier
	ds_read_b32 v9, v41 offset:64
	v_and_b32_e32 v42, v42, v43
	v_and_b32_e32 v2, v5, v2
	;; [unrolled: 1-line block ×3, first 2 shown]
	v_mbcnt_lo_u32_b32 v4, v2, 0
	v_mbcnt_hi_u32_b32 v43, v3, v4
	v_cmp_eq_u32_e32 vcc, 0, v43
	v_cmp_ne_u64_e64 s[0:1], 0, v[2:3]
	s_and_b64 s[2:3], s[0:1], vcc
	; wave barrier
	s_and_saveexec_b64 s[0:1], s[2:3]
	s_cbranch_execz .LBB1839_41
; %bb.40:
	v_bcnt_u32_b32 v2, v2, 0
	v_bcnt_u32_b32 v2, v3, v2
	s_waitcnt lgkmcnt(0)
	v_add_u32_e32 v2, v9, v2
	ds_write_b32 v41, v2 offset:64
.LBB1839_41:
	s_or_b64 exec, exec, s[0:1]
	v_xor_b32_e32 v42, 0x7fff, v6
	v_lshrrev_b32_sdwa v2, s20, v42 dst_sel:DWORD dst_unused:UNUSED_PAD src0_sel:DWORD src1_sel:WORD_0
	v_and_b32_e32 v4, s28, v2
	v_and_b32_e32 v3, 1, v4
	v_add_co_u32_e32 v5, vcc, -1, v3
	v_addc_co_u32_e64 v46, s[0:1], 0, -1, vcc
	v_cmp_ne_u32_e32 vcc, 0, v3
	v_mul_u32_u24_e32 v2, 17, v4
	v_xor_b32_e32 v3, vcc_hi, v46
	v_add_lshl_u32 v45, v26, v2, 2
	v_mov_b32_e32 v2, 0
	v_and_b32_e32 v46, exec_hi, v3
	v_lshlrev_b32_e32 v3, 30, v4
	v_xor_b32_e32 v5, vcc_lo, v5
	v_cmp_gt_i64_e32 vcc, 0, v[2:3]
	v_not_b32_e32 v3, v3
	v_ashrrev_i32_e32 v3, 31, v3
	v_and_b32_e32 v5, exec_lo, v5
	v_xor_b32_e32 v47, vcc_hi, v3
	v_xor_b32_e32 v3, vcc_lo, v3
	v_and_b32_e32 v5, v5, v3
	v_lshlrev_b32_e32 v3, 29, v4
	v_cmp_gt_i64_e32 vcc, 0, v[2:3]
	v_not_b32_e32 v3, v3
	v_ashrrev_i32_e32 v3, 31, v3
	v_and_b32_e32 v46, v46, v47
	v_xor_b32_e32 v47, vcc_hi, v3
	v_xor_b32_e32 v3, vcc_lo, v3
	v_and_b32_e32 v5, v5, v3
	v_lshlrev_b32_e32 v3, 28, v4
	v_cmp_gt_i64_e32 vcc, 0, v[2:3]
	v_not_b32_e32 v3, v3
	v_ashrrev_i32_e32 v3, 31, v3
	v_and_b32_e32 v46, v46, v47
	v_xor_b32_e32 v47, vcc_hi, v3
	v_xor_b32_e32 v3, vcc_lo, v3
	v_and_b32_e32 v5, v5, v3
	v_lshlrev_b32_e32 v3, 27, v4
	v_cmp_gt_i64_e32 vcc, 0, v[2:3]
	v_not_b32_e32 v3, v3
	v_ashrrev_i32_e32 v3, 31, v3
	v_and_b32_e32 v46, v46, v47
	v_xor_b32_e32 v47, vcc_hi, v3
	v_xor_b32_e32 v3, vcc_lo, v3
	v_and_b32_e32 v5, v5, v3
	v_lshlrev_b32_e32 v3, 26, v4
	v_cmp_gt_i64_e32 vcc, 0, v[2:3]
	v_not_b32_e32 v3, v3
	v_ashrrev_i32_e32 v3, 31, v3
	v_and_b32_e32 v46, v46, v47
	v_xor_b32_e32 v47, vcc_hi, v3
	v_xor_b32_e32 v3, vcc_lo, v3
	v_and_b32_e32 v5, v5, v3
	v_lshlrev_b32_e32 v3, 25, v4
	v_cmp_gt_i64_e32 vcc, 0, v[2:3]
	v_not_b32_e32 v3, v3
	v_ashrrev_i32_e32 v3, 31, v3
	v_and_b32_e32 v46, v46, v47
	v_xor_b32_e32 v47, vcc_hi, v3
	v_xor_b32_e32 v3, vcc_lo, v3
	v_and_b32_e32 v46, v46, v47
	v_and_b32_e32 v47, v5, v3
	v_lshlrev_b32_e32 v3, 24, v4
	v_cmp_gt_i64_e32 vcc, 0, v[2:3]
	v_not_b32_e32 v3, v3
	v_ashrrev_i32_e32 v3, 31, v3
	v_xor_b32_e32 v4, vcc_hi, v3
	v_xor_b32_e32 v3, vcc_lo, v3
	; wave barrier
	ds_read_b32 v44, v45 offset:64
	v_and_b32_e32 v5, v46, v4
	v_and_b32_e32 v4, v47, v3
	v_mbcnt_lo_u32_b32 v3, v4, 0
	v_mbcnt_hi_u32_b32 v46, v5, v3
	v_cmp_eq_u32_e32 vcc, 0, v46
	v_cmp_ne_u64_e64 s[0:1], 0, v[4:5]
	s_movk_i32 s2, 0x7fff
	s_and_b64 s[8:9], s[0:1], vcc
	; wave barrier
	s_and_saveexec_b64 s[0:1], s[8:9]
	s_cbranch_execz .LBB1839_43
; %bb.42:
	v_bcnt_u32_b32 v3, v4, 0
	v_bcnt_u32_b32 v3, v5, v3
	s_waitcnt lgkmcnt(0)
	v_add_u32_e32 v3, v44, v3
	ds_write_b32 v45, v3 offset:64
.LBB1839_43:
	s_or_b64 exec, exec, s[0:1]
	v_xor_b32_sdwa v6, v6, s2 dst_sel:DWORD dst_unused:UNUSED_PAD src0_sel:WORD_1 src1_sel:DWORD
	v_lshrrev_b32_sdwa v3, s20, v6 dst_sel:DWORD dst_unused:UNUSED_PAD src0_sel:DWORD src1_sel:WORD_0
	v_and_b32_e32 v4, s28, v3
	v_mul_u32_u24_e32 v3, 17, v4
	v_add_lshl_u32 v48, v26, v3, 2
	v_and_b32_e32 v3, 1, v4
	v_add_co_u32_e32 v5, vcc, -1, v3
	v_addc_co_u32_e64 v49, s[0:1], 0, -1, vcc
	v_cmp_ne_u32_e32 vcc, 0, v3
	v_xor_b32_e32 v3, vcc_hi, v49
	v_and_b32_e32 v49, exec_hi, v3
	v_lshlrev_b32_e32 v3, 30, v4
	v_xor_b32_e32 v5, vcc_lo, v5
	v_cmp_gt_i64_e32 vcc, 0, v[2:3]
	v_not_b32_e32 v3, v3
	v_ashrrev_i32_e32 v3, 31, v3
	v_and_b32_e32 v5, exec_lo, v5
	v_xor_b32_e32 v50, vcc_hi, v3
	v_xor_b32_e32 v3, vcc_lo, v3
	v_and_b32_e32 v5, v5, v3
	v_lshlrev_b32_e32 v3, 29, v4
	v_cmp_gt_i64_e32 vcc, 0, v[2:3]
	v_not_b32_e32 v3, v3
	v_ashrrev_i32_e32 v3, 31, v3
	v_and_b32_e32 v49, v49, v50
	v_xor_b32_e32 v50, vcc_hi, v3
	v_xor_b32_e32 v3, vcc_lo, v3
	v_and_b32_e32 v5, v5, v3
	v_lshlrev_b32_e32 v3, 28, v4
	v_cmp_gt_i64_e32 vcc, 0, v[2:3]
	v_not_b32_e32 v3, v3
	v_ashrrev_i32_e32 v3, 31, v3
	v_and_b32_e32 v49, v49, v50
	;; [unrolled: 8-line block ×5, first 2 shown]
	v_xor_b32_e32 v50, vcc_hi, v3
	v_xor_b32_e32 v3, vcc_lo, v3
	v_and_b32_e32 v5, v5, v3
	v_lshlrev_b32_e32 v3, 24, v4
	v_cmp_gt_i64_e32 vcc, 0, v[2:3]
	v_not_b32_e32 v2, v3
	v_ashrrev_i32_e32 v2, 31, v2
	v_xor_b32_e32 v3, vcc_hi, v2
	v_xor_b32_e32 v2, vcc_lo, v2
	; wave barrier
	ds_read_b32 v47, v48 offset:64
	v_and_b32_e32 v49, v49, v50
	v_and_b32_e32 v2, v5, v2
	;; [unrolled: 1-line block ×3, first 2 shown]
	v_mbcnt_lo_u32_b32 v4, v2, 0
	v_mbcnt_hi_u32_b32 v50, v3, v4
	v_cmp_eq_u32_e32 vcc, 0, v50
	v_cmp_ne_u64_e64 s[0:1], 0, v[2:3]
	s_and_b64 s[2:3], s[0:1], vcc
	; wave barrier
	s_and_saveexec_b64 s[0:1], s[2:3]
	s_cbranch_execz .LBB1839_45
; %bb.44:
	v_bcnt_u32_b32 v2, v2, 0
	v_bcnt_u32_b32 v2, v3, v2
	s_waitcnt lgkmcnt(0)
	v_add_u32_e32 v2, v47, v2
	ds_write_b32 v48, v2 offset:64
.LBB1839_45:
	s_or_b64 exec, exec, s[0:1]
	v_xor_b32_e32 v49, 0x7fff, v7
	v_lshrrev_b32_sdwa v2, s20, v49 dst_sel:DWORD dst_unused:UNUSED_PAD src0_sel:DWORD src1_sel:WORD_0
	v_and_b32_e32 v4, s28, v2
	v_and_b32_e32 v3, 1, v4
	v_add_co_u32_e32 v5, vcc, -1, v3
	v_addc_co_u32_e64 v53, s[0:1], 0, -1, vcc
	v_cmp_ne_u32_e32 vcc, 0, v3
	v_mul_u32_u24_e32 v2, 17, v4
	v_xor_b32_e32 v3, vcc_hi, v53
	v_add_lshl_u32 v52, v26, v2, 2
	v_mov_b32_e32 v2, 0
	v_and_b32_e32 v53, exec_hi, v3
	v_lshlrev_b32_e32 v3, 30, v4
	v_xor_b32_e32 v5, vcc_lo, v5
	v_cmp_gt_i64_e32 vcc, 0, v[2:3]
	v_not_b32_e32 v3, v3
	v_ashrrev_i32_e32 v3, 31, v3
	v_and_b32_e32 v5, exec_lo, v5
	v_xor_b32_e32 v54, vcc_hi, v3
	v_xor_b32_e32 v3, vcc_lo, v3
	v_and_b32_e32 v5, v5, v3
	v_lshlrev_b32_e32 v3, 29, v4
	v_cmp_gt_i64_e32 vcc, 0, v[2:3]
	v_not_b32_e32 v3, v3
	v_ashrrev_i32_e32 v3, 31, v3
	v_and_b32_e32 v53, v53, v54
	v_xor_b32_e32 v54, vcc_hi, v3
	v_xor_b32_e32 v3, vcc_lo, v3
	v_and_b32_e32 v5, v5, v3
	v_lshlrev_b32_e32 v3, 28, v4
	v_cmp_gt_i64_e32 vcc, 0, v[2:3]
	v_not_b32_e32 v3, v3
	v_ashrrev_i32_e32 v3, 31, v3
	v_and_b32_e32 v53, v53, v54
	;; [unrolled: 8-line block ×5, first 2 shown]
	v_xor_b32_e32 v54, vcc_hi, v3
	v_xor_b32_e32 v3, vcc_lo, v3
	v_and_b32_e32 v53, v53, v54
	v_and_b32_e32 v54, v5, v3
	v_lshlrev_b32_e32 v3, 24, v4
	v_cmp_gt_i64_e32 vcc, 0, v[2:3]
	v_not_b32_e32 v3, v3
	v_ashrrev_i32_e32 v3, 31, v3
	v_xor_b32_e32 v4, vcc_hi, v3
	v_xor_b32_e32 v3, vcc_lo, v3
	; wave barrier
	ds_read_b32 v51, v52 offset:64
	v_and_b32_e32 v5, v53, v4
	v_and_b32_e32 v4, v54, v3
	v_mbcnt_lo_u32_b32 v3, v4, 0
	v_mbcnt_hi_u32_b32 v53, v5, v3
	v_cmp_eq_u32_e32 vcc, 0, v53
	v_cmp_ne_u64_e64 s[0:1], 0, v[4:5]
	s_movk_i32 s2, 0x7fff
	s_and_b64 s[8:9], s[0:1], vcc
	; wave barrier
	s_and_saveexec_b64 s[0:1], s[8:9]
	s_cbranch_execz .LBB1839_47
; %bb.46:
	v_bcnt_u32_b32 v3, v4, 0
	v_bcnt_u32_b32 v3, v5, v3
	s_waitcnt lgkmcnt(0)
	v_add_u32_e32 v3, v51, v3
	ds_write_b32 v52, v3 offset:64
.LBB1839_47:
	s_or_b64 exec, exec, s[0:1]
	v_xor_b32_sdwa v7, v7, s2 dst_sel:DWORD dst_unused:UNUSED_PAD src0_sel:WORD_1 src1_sel:DWORD
	v_lshrrev_b32_sdwa v3, s20, v7 dst_sel:DWORD dst_unused:UNUSED_PAD src0_sel:DWORD src1_sel:WORD_0
	v_and_b32_e32 v4, s28, v3
	v_mul_u32_u24_e32 v3, 17, v4
	v_add_lshl_u32 v54, v26, v3, 2
	v_and_b32_e32 v3, 1, v4
	v_add_co_u32_e32 v5, vcc, -1, v3
	v_addc_co_u32_e64 v56, s[0:1], 0, -1, vcc
	v_cmp_ne_u32_e32 vcc, 0, v3
	v_xor_b32_e32 v3, vcc_hi, v56
	v_and_b32_e32 v56, exec_hi, v3
	v_lshlrev_b32_e32 v3, 30, v4
	v_xor_b32_e32 v5, vcc_lo, v5
	v_cmp_gt_i64_e32 vcc, 0, v[2:3]
	v_not_b32_e32 v3, v3
	v_ashrrev_i32_e32 v3, 31, v3
	v_and_b32_e32 v5, exec_lo, v5
	v_xor_b32_e32 v57, vcc_hi, v3
	v_xor_b32_e32 v3, vcc_lo, v3
	v_and_b32_e32 v5, v5, v3
	v_lshlrev_b32_e32 v3, 29, v4
	v_cmp_gt_i64_e32 vcc, 0, v[2:3]
	v_not_b32_e32 v3, v3
	v_ashrrev_i32_e32 v3, 31, v3
	v_and_b32_e32 v56, v56, v57
	v_xor_b32_e32 v57, vcc_hi, v3
	v_xor_b32_e32 v3, vcc_lo, v3
	v_and_b32_e32 v5, v5, v3
	v_lshlrev_b32_e32 v3, 28, v4
	v_cmp_gt_i64_e32 vcc, 0, v[2:3]
	v_not_b32_e32 v3, v3
	v_ashrrev_i32_e32 v3, 31, v3
	v_and_b32_e32 v56, v56, v57
	;; [unrolled: 8-line block ×5, first 2 shown]
	v_xor_b32_e32 v57, vcc_hi, v3
	v_xor_b32_e32 v3, vcc_lo, v3
	v_and_b32_e32 v5, v5, v3
	v_lshlrev_b32_e32 v3, 24, v4
	v_cmp_gt_i64_e32 vcc, 0, v[2:3]
	v_not_b32_e32 v2, v3
	v_ashrrev_i32_e32 v2, 31, v2
	v_xor_b32_e32 v3, vcc_hi, v2
	v_xor_b32_e32 v2, vcc_lo, v2
	; wave barrier
	ds_read_b32 v26, v54 offset:64
	v_and_b32_e32 v56, v56, v57
	v_and_b32_e32 v2, v5, v2
	;; [unrolled: 1-line block ×3, first 2 shown]
	v_mbcnt_lo_u32_b32 v4, v2, 0
	v_mbcnt_hi_u32_b32 v56, v3, v4
	v_cmp_eq_u32_e32 vcc, 0, v56
	v_cmp_ne_u64_e64 s[0:1], 0, v[2:3]
	v_add_u32_e32 v55, 64, v15
	s_and_b64 s[2:3], s[0:1], vcc
	; wave barrier
	s_and_saveexec_b64 s[0:1], s[2:3]
	s_cbranch_execz .LBB1839_49
; %bb.48:
	v_bcnt_u32_b32 v2, v2, 0
	v_bcnt_u32_b32 v2, v3, v2
	s_waitcnt lgkmcnt(0)
	v_add_u32_e32 v2, v26, v2
	ds_write_b32 v54, v2 offset:64
.LBB1839_49:
	s_or_b64 exec, exec, s[0:1]
	; wave barrier
	s_waitcnt lgkmcnt(0)
	s_barrier
	ds_read2_b32 v[4:5], v15 offset0:16 offset1:17
	ds_read2_b32 v[2:3], v55 offset0:2 offset1:3
	ds_read_b32 v57, v55 offset:16
	v_cmp_lt_u32_e64 s[10:11], 31, v11
	s_waitcnt lgkmcnt(1)
	v_add3_u32 v58, v5, v4, v2
	s_waitcnt lgkmcnt(0)
	v_add3_u32 v57, v58, v3, v57
	v_and_b32_e32 v58, 15, v11
	v_cmp_eq_u32_e32 vcc, 0, v58
	v_mov_b32_dpp v59, v57 row_shr:1 row_mask:0xf bank_mask:0xf
	v_cndmask_b32_e64 v59, v59, 0, vcc
	v_add_u32_e32 v57, v59, v57
	v_cmp_lt_u32_e64 s[0:1], 1, v58
	v_cmp_lt_u32_e64 s[2:3], 3, v58
	v_mov_b32_dpp v59, v57 row_shr:2 row_mask:0xf bank_mask:0xf
	v_cndmask_b32_e64 v59, 0, v59, s[0:1]
	v_add_u32_e32 v57, v57, v59
	v_cmp_lt_u32_e64 s[8:9], 7, v58
	s_nop 0
	v_mov_b32_dpp v59, v57 row_shr:4 row_mask:0xf bank_mask:0xf
	v_cndmask_b32_e64 v59, 0, v59, s[2:3]
	v_add_u32_e32 v57, v57, v59
	s_nop 1
	v_mov_b32_dpp v59, v57 row_shr:8 row_mask:0xf bank_mask:0xf
	v_cndmask_b32_e64 v58, 0, v59, s[8:9]
	v_add_u32_e32 v57, v57, v58
	v_bfe_i32 v59, v11, 4, 1
	s_nop 0
	v_mov_b32_dpp v58, v57 row_bcast:15 row_mask:0xf bank_mask:0xf
	v_and_b32_e32 v58, v59, v58
	v_add_u32_e32 v57, v57, v58
	v_and_b32_e32 v59, 63, v10
	s_nop 0
	v_mov_b32_dpp v58, v57 row_bcast:31 row_mask:0xf bank_mask:0xf
	v_cndmask_b32_e64 v58, 0, v58, s[10:11]
	v_add_u32_e32 v57, v57, v58
	v_lshrrev_b32_e32 v58, 6, v10
	v_cmp_eq_u32_e64 s[10:11], 63, v59
	s_and_saveexec_b64 s[22:23], s[10:11]
	s_cbranch_execz .LBB1839_51
; %bb.50:
	v_lshlrev_b32_e32 v59, 2, v58
	ds_write_b32 v59, v57
.LBB1839_51:
	s_or_b64 exec, exec, s[22:23]
	v_cmp_gt_u32_e64 s[10:11], 16, v10
	s_waitcnt lgkmcnt(0)
	s_barrier
	s_and_saveexec_b64 s[22:23], s[10:11]
	s_cbranch_execz .LBB1839_53
; %bb.52:
	v_lshlrev_b32_e32 v59, 2, v10
	ds_read_b32 v60, v59
	s_waitcnt lgkmcnt(0)
	s_nop 0
	v_mov_b32_dpp v61, v60 row_shr:1 row_mask:0xf bank_mask:0xf
	v_cndmask_b32_e64 v61, v61, 0, vcc
	v_add_u32_e32 v60, v61, v60
	s_nop 1
	v_mov_b32_dpp v61, v60 row_shr:2 row_mask:0xf bank_mask:0xf
	v_cndmask_b32_e64 v61, 0, v61, s[0:1]
	v_add_u32_e32 v60, v60, v61
	s_nop 1
	v_mov_b32_dpp v61, v60 row_shr:4 row_mask:0xf bank_mask:0xf
	v_cndmask_b32_e64 v61, 0, v61, s[2:3]
	;; [unrolled: 4-line block ×3, first 2 shown]
	v_add_u32_e32 v60, v60, v61
	ds_write_b32 v59, v60
.LBB1839_53:
	s_or_b64 exec, exec, s[22:23]
	v_cmp_lt_u32_e32 vcc, 63, v10
	v_mov_b32_e32 v59, 0
	s_waitcnt lgkmcnt(0)
	s_barrier
	s_and_saveexec_b64 s[0:1], vcc
	s_cbranch_execz .LBB1839_55
; %bb.54:
	v_lshl_add_u32 v58, v58, 2, -4
	ds_read_b32 v59, v58
.LBB1839_55:
	s_or_b64 exec, exec, s[0:1]
	v_add_u32_e32 v58, -1, v11
	v_and_b32_e32 v60, 64, v11
	v_cmp_lt_i32_e32 vcc, v58, v60
	v_cndmask_b32_e32 v58, v58, v11, vcc
	s_waitcnt lgkmcnt(0)
	v_add_u32_e32 v57, v59, v57
	v_lshlrev_b32_e32 v58, 2, v58
	ds_bpermute_b32 v57, v58, v57
	v_cmp_eq_u32_e32 vcc, 0, v11
	s_movk_i32 s0, 0x100
	s_waitcnt lgkmcnt(0)
	v_cndmask_b32_e32 v11, v57, v59, vcc
	v_cmp_ne_u32_e32 vcc, 0, v10
	v_cndmask_b32_e32 v11, 0, v11, vcc
	v_add_u32_e32 v4, v11, v4
	v_add_u32_e32 v5, v4, v5
	;; [unrolled: 1-line block ×4, first 2 shown]
	ds_write2_b32 v15, v11, v4 offset0:16 offset1:17
	ds_write2_b32 v55, v5, v2 offset0:2 offset1:3
	ds_write_b32 v55, v3 offset:16
	s_waitcnt lgkmcnt(0)
	s_barrier
	ds_read_b32 v59, v19 offset:64
	ds_read_b32 v58, v20 offset:64
	;; [unrolled: 1-line block ×12, first 2 shown]
	v_cmp_gt_u32_e32 vcc, s0, v10
	v_pk_mov_b32 v[2:3], 0, 0
                                        ; implicit-def: $vgpr15
	s_and_saveexec_b64 s[2:3], vcc
	s_cbranch_execz .LBB1839_59
; %bb.56:
	v_mul_u32_u24_e32 v2, 17, v10
	v_lshlrev_b32_e32 v15, 2, v2
	ds_read_b32 v2, v15 offset:64
	s_movk_i32 s0, 0xff
	v_cmp_ne_u32_e64 s[0:1], s0, v10
	v_mov_b32_e32 v3, 0x3000
	s_and_saveexec_b64 s[8:9], s[0:1]
	s_cbranch_execz .LBB1839_58
; %bb.57:
	ds_read_b32 v3, v15 offset:132
.LBB1839_58:
	s_or_b64 exec, exec, s[8:9]
	s_waitcnt lgkmcnt(0)
	v_sub_u32_e32 v15, v3, v2
	v_mov_b32_e32 v3, 0
.LBB1839_59:
	s_or_b64 exec, exec, s[2:3]
	v_add_u32_e32 v18, v21, v18
	s_waitcnt lgkmcnt(11)
	v_add_lshl_u32 v16, v59, v16, 1
	v_add_u32_e32 v13, v28, v13
	v_add_u32_e32 v23, v25, v23
	s_waitcnt lgkmcnt(0)
	s_barrier
	ds_write_b16 v16, v14 offset:2048
	v_add_lshl_u32 v14, v18, v58, 1
	v_add_u32_e32 v30, v33, v30
	ds_write_b16 v14, v17 offset:2048
	v_add_lshl_u32 v14, v23, v57, 1
	v_add_lshl_u32 v13, v13, v55, 1
	v_add_u32_e32 v34, v37, v34
	ds_write_b16 v14, v22 offset:2048
	ds_write_b16 v13, v12 offset:2048
	v_add_lshl_u32 v12, v30, v31, 1
	v_add_u32_e32 v9, v43, v9
	v_add_u32_e32 v38, v40, v38
	ds_write_b16 v12, v29 offset:2048
	v_add_lshl_u32 v12, v34, v27, 1
	v_add_u32_e32 v41, v46, v44
	ds_write_b16 v12, v32 offset:2048
	v_add_lshl_u32 v12, v38, v24, 1
	v_add_lshl_u32 v9, v9, v20, 1
	v_add_u32_e32 v26, v56, v26
	v_add_u32_e32 v35, v53, v51
	;; [unrolled: 1-line block ×3, first 2 shown]
	ds_write_b16 v12, v36 offset:2048
	ds_write_b16 v9, v8 offset:2048
	v_add_lshl_u32 v8, v41, v19, 1
	ds_write_b16 v8, v42 offset:2048
	v_add_lshl_u32 v8, v39, v11, 1
	v_add_lshl_u32 v5, v35, v5, 1
	;; [unrolled: 1-line block ×3, first 2 shown]
	ds_write_b16 v8, v6 offset:2048
	ds_write_b16 v5, v49 offset:2048
	;; [unrolled: 1-line block ×3, first 2 shown]
	s_and_saveexec_b64 s[2:3], vcc
	s_cbranch_execz .LBB1839_69
; %bb.60:
	v_lshl_or_b32 v4, s6, 8, v10
	v_mov_b32_e32 v5, 0
	v_lshlrev_b64 v[6:7], 2, v[4:5]
	v_mov_b32_e32 v11, s25
	v_add_co_u32_e64 v6, s[0:1], s24, v6
	v_addc_co_u32_e64 v7, s[0:1], v11, v7, s[0:1]
	v_or_b32_e32 v4, 2.0, v15
	s_mov_b64 s[8:9], 0
	s_brev_b32 s29, 1
	s_mov_b32 s30, s6
	v_mov_b32_e32 v12, 0
	global_store_dword v[6:7], v4, off
                                        ; implicit-def: $sgpr0_sgpr1
	s_branch .LBB1839_62
.LBB1839_61:                            ;   in Loop: Header=BB1839_62 Depth=1
	s_or_b64 exec, exec, s[10:11]
	v_and_b32_e32 v8, 0x3fffffff, v13
	v_add_u32_e32 v12, v8, v12
	v_cmp_eq_u32_e64 s[0:1], s29, v4
	s_and_b64 s[10:11], exec, s[0:1]
	s_or_b64 s[8:9], s[10:11], s[8:9]
	s_andn2_b64 exec, exec, s[8:9]
	s_cbranch_execz .LBB1839_68
.LBB1839_62:                            ; =>This Loop Header: Depth=1
                                        ;     Child Loop BB1839_65 Depth 2
	s_or_b64 s[0:1], s[0:1], exec
	s_cmp_eq_u32 s30, 0
	s_cbranch_scc1 .LBB1839_67
; %bb.63:                               ;   in Loop: Header=BB1839_62 Depth=1
	s_add_i32 s30, s30, -1
	v_lshl_or_b32 v4, s30, 8, v10
	v_lshlrev_b64 v[8:9], 2, v[4:5]
	v_add_co_u32_e64 v8, s[0:1], s24, v8
	v_addc_co_u32_e64 v9, s[0:1], v11, v9, s[0:1]
	global_load_dword v13, v[8:9], off glc
	s_waitcnt vmcnt(0)
	v_and_b32_e32 v4, -2.0, v13
	v_cmp_eq_u32_e64 s[0:1], 0, v4
	s_and_saveexec_b64 s[10:11], s[0:1]
	s_cbranch_execz .LBB1839_61
; %bb.64:                               ;   in Loop: Header=BB1839_62 Depth=1
	s_mov_b64 s[22:23], 0
.LBB1839_65:                            ;   Parent Loop BB1839_62 Depth=1
                                        ; =>  This Inner Loop Header: Depth=2
	global_load_dword v13, v[8:9], off glc
	s_waitcnt vmcnt(0)
	v_and_b32_e32 v4, -2.0, v13
	v_cmp_ne_u32_e64 s[0:1], 0, v4
	s_or_b64 s[22:23], s[0:1], s[22:23]
	s_andn2_b64 exec, exec, s[22:23]
	s_cbranch_execnz .LBB1839_65
; %bb.66:                               ;   in Loop: Header=BB1839_62 Depth=1
	s_or_b64 exec, exec, s[22:23]
	s_branch .LBB1839_61
.LBB1839_67:                            ;   in Loop: Header=BB1839_62 Depth=1
                                        ; implicit-def: $sgpr30
	s_and_b64 s[10:11], exec, s[0:1]
	s_or_b64 s[8:9], s[10:11], s[8:9]
	s_andn2_b64 exec, exec, s[8:9]
	s_cbranch_execnz .LBB1839_62
.LBB1839_68:
	s_or_b64 exec, exec, s[8:9]
	v_add_u32_e32 v4, v12, v15
	v_or_b32_e32 v4, 0x80000000, v4
	global_store_dword v[6:7], v4, off
	v_lshlrev_b32_e32 v6, 3, v10
	global_load_dwordx2 v[4:5], v6, s[12:13]
	v_sub_co_u32_e64 v7, s[0:1], v12, v2
	v_subb_co_u32_e64 v8, s[0:1], 0, v3, s[0:1]
	s_waitcnt vmcnt(0)
	v_add_co_u32_e64 v4, s[0:1], v7, v4
	v_addc_co_u32_e64 v5, s[0:1], v8, v5, s[0:1]
	ds_write_b64 v6, v[4:5]
.LBB1839_69:
	s_or_b64 exec, exec, s[2:3]
	v_cmp_gt_u32_e64 s[0:1], s7, v10
	v_lshlrev_b32_e32 v4, 1, v10
	s_waitcnt lgkmcnt(0)
	s_barrier
	s_and_saveexec_b64 s[2:3], s[0:1]
	s_cbranch_execz .LBB1839_71
; %bb.70:
	ds_read_u16 v5, v4 offset:2048
	v_mov_b32_e32 v8, s19
	s_waitcnt lgkmcnt(0)
	v_lshrrev_b32_sdwa v6, s20, v5 dst_sel:DWORD dst_unused:UNUSED_PAD src0_sel:DWORD src1_sel:WORD_0
	v_and_b32_e32 v6, s28, v6
	v_lshlrev_b32_e32 v6, 3, v6
	ds_read_b64 v[6:7], v6
	v_xor_b32_e32 v5, 0x7fff, v5
	s_waitcnt lgkmcnt(0)
	v_lshlrev_b64 v[6:7], 1, v[6:7]
	v_add_co_u32_e64 v6, s[0:1], s18, v6
	v_addc_co_u32_e64 v7, s[0:1], v8, v7, s[0:1]
	v_add_co_u32_e64 v6, s[0:1], v6, v4
	v_addc_co_u32_e64 v7, s[0:1], 0, v7, s[0:1]
	global_store_short v[6:7], v5, off
.LBB1839_71:
	s_or_b64 exec, exec, s[2:3]
	v_or_b32_e32 v5, 0x400, v10
	v_cmp_gt_u32_e64 s[0:1], s7, v5
	s_and_saveexec_b64 s[2:3], s[0:1]
	s_cbranch_execz .LBB1839_73
; %bb.72:
	ds_read_u16 v5, v4 offset:4096
	v_mov_b32_e32 v8, s19
	s_waitcnt lgkmcnt(0)
	v_lshrrev_b32_sdwa v6, s20, v5 dst_sel:DWORD dst_unused:UNUSED_PAD src0_sel:DWORD src1_sel:WORD_0
	v_and_b32_e32 v6, s28, v6
	v_lshlrev_b32_e32 v6, 3, v6
	ds_read_b64 v[6:7], v6
	v_xor_b32_e32 v5, 0x7fff, v5
	s_waitcnt lgkmcnt(0)
	v_lshlrev_b64 v[6:7], 1, v[6:7]
	v_add_co_u32_e64 v6, s[0:1], s18, v6
	v_addc_co_u32_e64 v7, s[0:1], v8, v7, s[0:1]
	v_add_co_u32_e64 v6, s[0:1], v6, v4
	v_addc_co_u32_e64 v7, s[0:1], 0, v7, s[0:1]
	global_store_short v[6:7], v5, off offset:2048
.LBB1839_73:
	s_or_b64 exec, exec, s[2:3]
	v_or_b32_e32 v5, 0x800, v10
	v_cmp_gt_u32_e64 s[0:1], s7, v5
	s_and_saveexec_b64 s[2:3], s[0:1]
	s_cbranch_execz .LBB1839_75
; %bb.74:
	ds_read_u16 v8, v4 offset:6144
	v_mov_b32_e32 v9, s19
	v_lshlrev_b32_e32 v5, 1, v5
	s_waitcnt lgkmcnt(0)
	v_lshrrev_b32_sdwa v6, s20, v8 dst_sel:DWORD dst_unused:UNUSED_PAD src0_sel:DWORD src1_sel:WORD_0
	v_and_b32_e32 v6, s28, v6
	v_lshlrev_b32_e32 v6, 3, v6
	ds_read_b64 v[6:7], v6
	v_xor_b32_e32 v8, 0x7fff, v8
	s_waitcnt lgkmcnt(0)
	v_lshlrev_b64 v[6:7], 1, v[6:7]
	v_add_co_u32_e64 v6, s[0:1], s18, v6
	v_addc_co_u32_e64 v7, s[0:1], v9, v7, s[0:1]
	v_add_co_u32_e64 v6, s[0:1], v6, v5
	v_addc_co_u32_e64 v7, s[0:1], 0, v7, s[0:1]
	global_store_short v[6:7], v8, off
.LBB1839_75:
	s_or_b64 exec, exec, s[2:3]
	v_or_b32_e32 v5, 0xc00, v10
	v_cmp_gt_u32_e64 s[0:1], s7, v5
	s_and_saveexec_b64 s[2:3], s[0:1]
	s_cbranch_execz .LBB1839_77
; %bb.76:
	ds_read_u16 v8, v4 offset:8192
	v_mov_b32_e32 v9, s19
	v_lshlrev_b32_e32 v5, 1, v5
	s_waitcnt lgkmcnt(0)
	v_lshrrev_b32_sdwa v6, s20, v8 dst_sel:DWORD dst_unused:UNUSED_PAD src0_sel:DWORD src1_sel:WORD_0
	v_and_b32_e32 v6, s28, v6
	v_lshlrev_b32_e32 v6, 3, v6
	ds_read_b64 v[6:7], v6
	v_xor_b32_e32 v8, 0x7fff, v8
	s_waitcnt lgkmcnt(0)
	v_lshlrev_b64 v[6:7], 1, v[6:7]
	v_add_co_u32_e64 v6, s[0:1], s18, v6
	v_addc_co_u32_e64 v7, s[0:1], v9, v7, s[0:1]
	v_add_co_u32_e64 v6, s[0:1], v6, v5
	v_addc_co_u32_e64 v7, s[0:1], 0, v7, s[0:1]
	global_store_short v[6:7], v8, off
.LBB1839_77:
	;; [unrolled: 23-line block ×9, first 2 shown]
	s_or_b64 exec, exec, s[2:3]
	v_or_b32_e32 v5, 0x2c00, v10
	v_cmp_gt_u32_e64 s[0:1], s7, v5
	s_and_saveexec_b64 s[2:3], s[0:1]
	s_cbranch_execz .LBB1839_93
; %bb.92:
	ds_read_u16 v4, v4 offset:24576
	v_lshlrev_b32_e32 v9, 1, v5
	v_mov_b32_e32 v8, s19
	s_waitcnt lgkmcnt(0)
	v_lshrrev_b32_sdwa v6, s20, v4 dst_sel:DWORD dst_unused:UNUSED_PAD src0_sel:DWORD src1_sel:WORD_0
	v_and_b32_e32 v6, s28, v6
	v_lshlrev_b32_e32 v6, 3, v6
	ds_read_b64 v[6:7], v6
	v_xor_b32_e32 v11, 0x7fff, v4
	s_waitcnt lgkmcnt(0)
	v_lshlrev_b64 v[4:5], 1, v[6:7]
	v_add_co_u32_e64 v4, s[0:1], s18, v4
	v_addc_co_u32_e64 v5, s[0:1], v8, v5, s[0:1]
	v_add_co_u32_e64 v4, s[0:1], v4, v9
	v_addc_co_u32_e64 v5, s[0:1], 0, v5, s[0:1]
	global_store_short v[4:5], v11, off
.LBB1839_93:
	s_or_b64 exec, exec, s[2:3]
	s_add_i32 s27, s27, -1
	s_cmp_eq_u32 s27, s6
	s_cselect_b64 s[0:1], -1, 0
	s_and_b64 s[2:3], vcc, s[0:1]
	s_mov_b64 s[0:1], 0
	s_mov_b64 s[10:11], 0
                                        ; implicit-def: $vgpr4_vgpr5
	s_and_saveexec_b64 s[8:9], s[2:3]
	s_xor_b64 s[2:3], exec, s[8:9]
; %bb.94:
	v_add_co_u32_e32 v4, vcc, v2, v15
	s_mov_b64 s[10:11], exec
	v_mov_b32_e32 v11, 0
	v_addc_co_u32_e32 v5, vcc, 0, v3, vcc
; %bb.95:
	s_or_b64 exec, exec, s[2:3]
	s_and_b64 vcc, exec, s[0:1]
	s_cbranch_vccnz .LBB1839_97
	s_branch .LBB1839_146
.LBB1839_96:
	s_mov_b64 s[10:11], 0
                                        ; implicit-def: $vgpr4_vgpr5
                                        ; implicit-def: $vgpr10
	s_cbranch_execz .LBB1839_146
.LBB1839_97:
	s_mov_b32 s27, 0
	v_mbcnt_hi_u32_b32 v5, -1, v1
	s_lshl_b64 s[0:1], s[26:27], 1
	v_and_b32_e32 v1, 63, v5
	s_add_u32 s0, s16, s0
	v_lshlrev_b32_e32 v1, 1, v1
	v_add_co_u32_e32 v1, vcc, s0, v1
	s_load_dword s7, s[4:5], 0x58
	s_load_dword s0, s[4:5], 0x64
	v_and_b32_e32 v10, 0x3ff, v0
	s_addc_u32 s1, s17, s1
	v_and_b32_e32 v3, 0x3c0, v10
	v_mul_u32_u24_e32 v3, 12, v3
	v_mov_b32_e32 v4, s1
	v_addc_co_u32_e32 v4, vcc, 0, v4, vcc
	v_lshlrev_b32_e32 v3, 1, v3
	s_add_u32 s1, s4, 0x58
	v_add_co_u32_e32 v12, vcc, v1, v3
	s_addc_u32 s2, s5, 0
	s_waitcnt lgkmcnt(0)
	s_lshr_b32 s3, s0, 16
	v_addc_co_u32_e32 v13, vcc, 0, v4, vcc
	s_cmp_lt_u32 s6, s7
	global_load_ushort v1, v[12:13], off
	s_cselect_b32 s0, 12, 18
	s_add_u32 s0, s1, s0
	v_mov_b32_e32 v2, 0
	s_addc_u32 s1, s2, 0
	global_load_ushort v3, v2, s[0:1]
	v_mul_u32_u24_e32 v6, 5, v10
	v_lshlrev_b32_e32 v6, 2, v6
	ds_write2_b32 v6, v2, v2 offset0:16 offset1:17
	ds_write2_b32 v6, v2, v2 offset0:18 offset1:19
	ds_write_b32 v6, v2 offset:80
	global_load_ushort v9, v[12:13], off offset:128
	global_load_ushort v14, v[12:13], off offset:256
	;; [unrolled: 1-line block ×11, first 2 shown]
	v_bfe_u32 v4, v0, 10, 10
	v_bfe_u32 v0, v0, 20, 10
	v_mad_u32_u24 v0, v0, s3, v4
	s_lshl_b32 s0, -1, s21
	s_not_b32 s21, s0
	s_waitcnt lgkmcnt(0)
	s_barrier
	s_waitcnt lgkmcnt(0)
	; wave barrier
	s_waitcnt vmcnt(12)
	v_xor_b32_e32 v4, 0x7fff, v1
	v_lshrrev_b32_sdwa v1, s20, v4 dst_sel:DWORD dst_unused:UNUSED_PAD src0_sel:DWORD src1_sel:WORD_0
	v_and_b32_e32 v8, s21, v1
	v_and_b32_e32 v7, 1, v8
	s_waitcnt vmcnt(11)
	v_mad_u64_u32 v[0:1], s[0:1], v0, v3, v[10:11]
	v_lshrrev_b32_e32 v17, 6, v0
	v_add_co_u32_e32 v0, vcc, -1, v7
	v_lshlrev_b32_e32 v3, 30, v8
	v_addc_co_u32_e64 v11, s[0:1], 0, -1, vcc
	v_mul_u32_u24_e32 v1, 17, v8
	v_cmp_ne_u32_e32 vcc, 0, v7
	v_cmp_gt_i64_e64 s[0:1], 0, v[2:3]
	v_not_b32_e32 v12, v3
	v_lshlrev_b32_e32 v3, 29, v8
	v_add_lshl_u32 v7, v17, v1, 2
	v_xor_b32_e32 v1, vcc_hi, v11
	v_xor_b32_e32 v0, vcc_lo, v0
	v_ashrrev_i32_e32 v11, 31, v12
	v_cmp_gt_i64_e32 vcc, 0, v[2:3]
	v_not_b32_e32 v12, v3
	v_lshlrev_b32_e32 v3, 28, v8
	v_and_b32_e32 v1, exec_hi, v1
	v_and_b32_e32 v0, exec_lo, v0
	v_xor_b32_e32 v13, s1, v11
	v_xor_b32_e32 v11, s0, v11
	v_ashrrev_i32_e32 v12, 31, v12
	v_cmp_gt_i64_e64 s[0:1], 0, v[2:3]
	v_not_b32_e32 v3, v3
	v_and_b32_e32 v1, v1, v13
	v_and_b32_e32 v0, v0, v11
	v_xor_b32_e32 v11, vcc_hi, v12
	v_xor_b32_e32 v12, vcc_lo, v12
	v_ashrrev_i32_e32 v3, 31, v3
	v_and_b32_e32 v1, v1, v11
	v_and_b32_e32 v0, v0, v12
	v_xor_b32_e32 v11, s1, v3
	v_xor_b32_e32 v3, s0, v3
	v_and_b32_e32 v0, v0, v3
	v_lshlrev_b32_e32 v3, 27, v8
	v_cmp_gt_i64_e32 vcc, 0, v[2:3]
	v_not_b32_e32 v3, v3
	v_ashrrev_i32_e32 v3, 31, v3
	v_and_b32_e32 v1, v1, v11
	v_xor_b32_e32 v11, vcc_hi, v3
	v_xor_b32_e32 v3, vcc_lo, v3
	v_and_b32_e32 v0, v0, v3
	v_lshlrev_b32_e32 v3, 26, v8
	v_cmp_gt_i64_e32 vcc, 0, v[2:3]
	v_not_b32_e32 v3, v3
	v_ashrrev_i32_e32 v3, 31, v3
	v_and_b32_e32 v1, v1, v11
	v_xor_b32_e32 v11, vcc_hi, v3
	v_xor_b32_e32 v3, vcc_lo, v3
	;; [unrolled: 8-line block ×3, first 2 shown]
	v_and_b32_e32 v0, v0, v3
	v_lshlrev_b32_e32 v3, 24, v8
	v_cmp_gt_i64_e32 vcc, 0, v[2:3]
	v_not_b32_e32 v3, v3
	v_ashrrev_i32_e32 v3, 31, v3
	v_xor_b32_e32 v8, vcc_hi, v3
	v_xor_b32_e32 v3, vcc_lo, v3
	v_and_b32_e32 v1, v1, v11
	v_and_b32_e32 v0, v0, v3
	;; [unrolled: 1-line block ×3, first 2 shown]
	v_mbcnt_lo_u32_b32 v3, v0, 0
	v_mbcnt_hi_u32_b32 v8, v1, v3
	v_cmp_eq_u32_e32 vcc, 0, v8
	v_cmp_ne_u64_e64 s[0:1], 0, v[0:1]
	s_and_b64 s[2:3], s[0:1], vcc
	s_and_saveexec_b64 s[0:1], s[2:3]
	s_cbranch_execz .LBB1839_99
; %bb.98:
	v_bcnt_u32_b32 v0, v0, 0
	v_bcnt_u32_b32 v0, v1, v0
	ds_write_b32 v7, v0 offset:64
.LBB1839_99:
	s_or_b64 exec, exec, s[0:1]
	s_waitcnt vmcnt(10)
	v_xor_b32_e32 v9, 0x7fff, v9
	v_lshrrev_b32_sdwa v0, s20, v9 dst_sel:DWORD dst_unused:UNUSED_PAD src0_sel:DWORD src1_sel:WORD_0
	v_and_b32_e32 v0, s21, v0
	v_mul_u32_u24_e32 v1, 17, v0
	v_add_lshl_u32 v12, v17, v1, 2
	v_and_b32_e32 v1, 1, v0
	v_add_co_u32_e32 v3, vcc, -1, v1
	v_addc_co_u32_e64 v13, s[0:1], 0, -1, vcc
	v_cmp_ne_u32_e32 vcc, 0, v1
	v_xor_b32_e32 v3, vcc_lo, v3
	v_xor_b32_e32 v1, vcc_hi, v13
	v_and_b32_e32 v13, exec_lo, v3
	v_lshlrev_b32_e32 v3, 30, v0
	v_cmp_gt_i64_e32 vcc, 0, v[2:3]
	v_not_b32_e32 v3, v3
	v_ashrrev_i32_e32 v3, 31, v3
	v_xor_b32_e32 v15, vcc_hi, v3
	v_xor_b32_e32 v3, vcc_lo, v3
	v_and_b32_e32 v13, v13, v3
	v_lshlrev_b32_e32 v3, 29, v0
	v_cmp_gt_i64_e32 vcc, 0, v[2:3]
	v_not_b32_e32 v3, v3
	v_and_b32_e32 v1, exec_hi, v1
	v_ashrrev_i32_e32 v3, 31, v3
	v_and_b32_e32 v1, v1, v15
	v_xor_b32_e32 v15, vcc_hi, v3
	v_xor_b32_e32 v3, vcc_lo, v3
	v_and_b32_e32 v13, v13, v3
	v_lshlrev_b32_e32 v3, 28, v0
	v_cmp_gt_i64_e32 vcc, 0, v[2:3]
	v_not_b32_e32 v3, v3
	v_ashrrev_i32_e32 v3, 31, v3
	v_and_b32_e32 v1, v1, v15
	v_xor_b32_e32 v15, vcc_hi, v3
	v_xor_b32_e32 v3, vcc_lo, v3
	v_and_b32_e32 v13, v13, v3
	v_lshlrev_b32_e32 v3, 27, v0
	v_cmp_gt_i64_e32 vcc, 0, v[2:3]
	v_not_b32_e32 v3, v3
	;; [unrolled: 8-line block ×4, first 2 shown]
	v_ashrrev_i32_e32 v3, 31, v3
	v_and_b32_e32 v1, v1, v15
	v_xor_b32_e32 v15, vcc_hi, v3
	v_xor_b32_e32 v3, vcc_lo, v3
	v_and_b32_e32 v13, v13, v3
	v_lshlrev_b32_e32 v3, 24, v0
	v_not_b32_e32 v0, v3
	v_cmp_gt_i64_e32 vcc, 0, v[2:3]
	v_ashrrev_i32_e32 v0, 31, v0
	v_xor_b32_e32 v2, vcc_hi, v0
	v_xor_b32_e32 v0, vcc_lo, v0
	; wave barrier
	ds_read_b32 v11, v12 offset:64
	v_and_b32_e32 v1, v1, v15
	v_and_b32_e32 v0, v13, v0
	;; [unrolled: 1-line block ×3, first 2 shown]
	v_mbcnt_lo_u32_b32 v2, v0, 0
	v_mbcnt_hi_u32_b32 v13, v1, v2
	v_cmp_eq_u32_e32 vcc, 0, v13
	v_cmp_ne_u64_e64 s[0:1], 0, v[0:1]
	s_and_b64 s[2:3], s[0:1], vcc
	; wave barrier
	s_and_saveexec_b64 s[0:1], s[2:3]
	s_cbranch_execz .LBB1839_101
; %bb.100:
	v_bcnt_u32_b32 v0, v0, 0
	v_bcnt_u32_b32 v0, v1, v0
	s_waitcnt lgkmcnt(0)
	v_add_u32_e32 v0, v11, v0
	ds_write_b32 v12, v0 offset:64
.LBB1839_101:
	s_or_b64 exec, exec, s[0:1]
	s_waitcnt vmcnt(9)
	v_xor_b32_e32 v14, 0x7fff, v14
	v_lshrrev_b32_sdwa v0, s20, v14 dst_sel:DWORD dst_unused:UNUSED_PAD src0_sel:DWORD src1_sel:WORD_0
	v_and_b32_e32 v2, s21, v0
	v_and_b32_e32 v1, 1, v2
	v_add_co_u32_e32 v3, vcc, -1, v1
	v_addc_co_u32_e64 v19, s[0:1], 0, -1, vcc
	v_cmp_ne_u32_e32 vcc, 0, v1
	v_mul_u32_u24_e32 v0, 17, v2
	v_xor_b32_e32 v1, vcc_hi, v19
	v_add_lshl_u32 v18, v17, v0, 2
	v_mov_b32_e32 v0, 0
	v_and_b32_e32 v19, exec_hi, v1
	v_lshlrev_b32_e32 v1, 30, v2
	v_xor_b32_e32 v3, vcc_lo, v3
	v_cmp_gt_i64_e32 vcc, 0, v[0:1]
	v_not_b32_e32 v1, v1
	v_ashrrev_i32_e32 v1, 31, v1
	v_and_b32_e32 v3, exec_lo, v3
	v_xor_b32_e32 v21, vcc_hi, v1
	v_xor_b32_e32 v1, vcc_lo, v1
	v_and_b32_e32 v3, v3, v1
	v_lshlrev_b32_e32 v1, 29, v2
	v_cmp_gt_i64_e32 vcc, 0, v[0:1]
	v_not_b32_e32 v1, v1
	v_ashrrev_i32_e32 v1, 31, v1
	v_and_b32_e32 v19, v19, v21
	v_xor_b32_e32 v21, vcc_hi, v1
	v_xor_b32_e32 v1, vcc_lo, v1
	v_and_b32_e32 v3, v3, v1
	v_lshlrev_b32_e32 v1, 28, v2
	v_cmp_gt_i64_e32 vcc, 0, v[0:1]
	v_not_b32_e32 v1, v1
	v_ashrrev_i32_e32 v1, 31, v1
	v_and_b32_e32 v19, v19, v21
	;; [unrolled: 8-line block ×5, first 2 shown]
	v_xor_b32_e32 v21, vcc_hi, v1
	v_xor_b32_e32 v1, vcc_lo, v1
	v_and_b32_e32 v19, v19, v21
	v_and_b32_e32 v21, v3, v1
	v_lshlrev_b32_e32 v1, 24, v2
	v_cmp_gt_i64_e32 vcc, 0, v[0:1]
	v_not_b32_e32 v1, v1
	v_ashrrev_i32_e32 v1, 31, v1
	v_xor_b32_e32 v2, vcc_hi, v1
	v_xor_b32_e32 v1, vcc_lo, v1
	; wave barrier
	ds_read_b32 v15, v18 offset:64
	v_and_b32_e32 v3, v19, v2
	v_and_b32_e32 v2, v21, v1
	v_mbcnt_lo_u32_b32 v1, v2, 0
	v_mbcnt_hi_u32_b32 v19, v3, v1
	v_cmp_eq_u32_e32 vcc, 0, v19
	v_cmp_ne_u64_e64 s[0:1], 0, v[2:3]
	s_and_b64 s[2:3], s[0:1], vcc
	; wave barrier
	s_and_saveexec_b64 s[0:1], s[2:3]
	s_cbranch_execz .LBB1839_103
; %bb.102:
	v_bcnt_u32_b32 v1, v2, 0
	v_bcnt_u32_b32 v1, v3, v1
	s_waitcnt lgkmcnt(0)
	v_add_u32_e32 v1, v15, v1
	ds_write_b32 v18, v1 offset:64
.LBB1839_103:
	s_or_b64 exec, exec, s[0:1]
	s_waitcnt vmcnt(8)
	v_xor_b32_e32 v20, 0x7fff, v20
	v_lshrrev_b32_sdwa v1, s20, v20 dst_sel:DWORD dst_unused:UNUSED_PAD src0_sel:DWORD src1_sel:WORD_0
	v_and_b32_e32 v2, s21, v1
	v_mul_u32_u24_e32 v1, 17, v2
	v_add_lshl_u32 v23, v17, v1, 2
	v_and_b32_e32 v1, 1, v2
	v_add_co_u32_e32 v3, vcc, -1, v1
	v_addc_co_u32_e64 v24, s[0:1], 0, -1, vcc
	v_cmp_ne_u32_e32 vcc, 0, v1
	v_xor_b32_e32 v1, vcc_hi, v24
	v_and_b32_e32 v24, exec_hi, v1
	v_lshlrev_b32_e32 v1, 30, v2
	v_xor_b32_e32 v3, vcc_lo, v3
	v_cmp_gt_i64_e32 vcc, 0, v[0:1]
	v_not_b32_e32 v1, v1
	v_ashrrev_i32_e32 v1, 31, v1
	v_and_b32_e32 v3, exec_lo, v3
	v_xor_b32_e32 v26, vcc_hi, v1
	v_xor_b32_e32 v1, vcc_lo, v1
	v_and_b32_e32 v3, v3, v1
	v_lshlrev_b32_e32 v1, 29, v2
	v_cmp_gt_i64_e32 vcc, 0, v[0:1]
	v_not_b32_e32 v1, v1
	v_ashrrev_i32_e32 v1, 31, v1
	v_and_b32_e32 v24, v24, v26
	v_xor_b32_e32 v26, vcc_hi, v1
	v_xor_b32_e32 v1, vcc_lo, v1
	v_and_b32_e32 v3, v3, v1
	v_lshlrev_b32_e32 v1, 28, v2
	v_cmp_gt_i64_e32 vcc, 0, v[0:1]
	v_not_b32_e32 v1, v1
	v_ashrrev_i32_e32 v1, 31, v1
	v_and_b32_e32 v24, v24, v26
	;; [unrolled: 8-line block ×5, first 2 shown]
	v_xor_b32_e32 v26, vcc_hi, v1
	v_xor_b32_e32 v1, vcc_lo, v1
	v_and_b32_e32 v3, v3, v1
	v_lshlrev_b32_e32 v1, 24, v2
	v_cmp_gt_i64_e32 vcc, 0, v[0:1]
	v_not_b32_e32 v0, v1
	v_ashrrev_i32_e32 v0, 31, v0
	v_xor_b32_e32 v1, vcc_hi, v0
	v_xor_b32_e32 v0, vcc_lo, v0
	; wave barrier
	ds_read_b32 v21, v23 offset:64
	v_and_b32_e32 v24, v24, v26
	v_and_b32_e32 v0, v3, v0
	v_and_b32_e32 v1, v24, v1
	v_mbcnt_lo_u32_b32 v2, v0, 0
	v_mbcnt_hi_u32_b32 v24, v1, v2
	v_cmp_eq_u32_e32 vcc, 0, v24
	v_cmp_ne_u64_e64 s[0:1], 0, v[0:1]
	s_and_b64 s[2:3], s[0:1], vcc
	; wave barrier
	s_and_saveexec_b64 s[0:1], s[2:3]
	s_cbranch_execz .LBB1839_105
; %bb.104:
	v_bcnt_u32_b32 v0, v0, 0
	v_bcnt_u32_b32 v0, v1, v0
	s_waitcnt lgkmcnt(0)
	v_add_u32_e32 v0, v21, v0
	ds_write_b32 v23, v0 offset:64
.LBB1839_105:
	s_or_b64 exec, exec, s[0:1]
	s_waitcnt vmcnt(7)
	v_xor_b32_e32 v25, 0x7fff, v25
	v_lshrrev_b32_sdwa v0, s20, v25 dst_sel:DWORD dst_unused:UNUSED_PAD src0_sel:DWORD src1_sel:WORD_0
	v_and_b32_e32 v2, s21, v0
	v_and_b32_e32 v1, 1, v2
	v_add_co_u32_e32 v3, vcc, -1, v1
	v_addc_co_u32_e64 v30, s[0:1], 0, -1, vcc
	v_cmp_ne_u32_e32 vcc, 0, v1
	v_mul_u32_u24_e32 v0, 17, v2
	v_xor_b32_e32 v1, vcc_hi, v30
	v_add_lshl_u32 v28, v17, v0, 2
	v_mov_b32_e32 v0, 0
	v_and_b32_e32 v30, exec_hi, v1
	v_lshlrev_b32_e32 v1, 30, v2
	v_xor_b32_e32 v3, vcc_lo, v3
	v_cmp_gt_i64_e32 vcc, 0, v[0:1]
	v_not_b32_e32 v1, v1
	v_ashrrev_i32_e32 v1, 31, v1
	v_and_b32_e32 v3, exec_lo, v3
	v_xor_b32_e32 v31, vcc_hi, v1
	v_xor_b32_e32 v1, vcc_lo, v1
	v_and_b32_e32 v3, v3, v1
	v_lshlrev_b32_e32 v1, 29, v2
	v_cmp_gt_i64_e32 vcc, 0, v[0:1]
	v_not_b32_e32 v1, v1
	v_ashrrev_i32_e32 v1, 31, v1
	v_and_b32_e32 v30, v30, v31
	v_xor_b32_e32 v31, vcc_hi, v1
	v_xor_b32_e32 v1, vcc_lo, v1
	v_and_b32_e32 v3, v3, v1
	v_lshlrev_b32_e32 v1, 28, v2
	v_cmp_gt_i64_e32 vcc, 0, v[0:1]
	v_not_b32_e32 v1, v1
	v_ashrrev_i32_e32 v1, 31, v1
	v_and_b32_e32 v30, v30, v31
	;; [unrolled: 8-line block ×5, first 2 shown]
	v_xor_b32_e32 v31, vcc_hi, v1
	v_xor_b32_e32 v1, vcc_lo, v1
	v_and_b32_e32 v30, v30, v31
	v_and_b32_e32 v31, v3, v1
	v_lshlrev_b32_e32 v1, 24, v2
	v_cmp_gt_i64_e32 vcc, 0, v[0:1]
	v_not_b32_e32 v1, v1
	v_ashrrev_i32_e32 v1, 31, v1
	v_xor_b32_e32 v2, vcc_hi, v1
	v_xor_b32_e32 v1, vcc_lo, v1
	; wave barrier
	ds_read_b32 v26, v28 offset:64
	v_and_b32_e32 v3, v30, v2
	v_and_b32_e32 v2, v31, v1
	v_mbcnt_lo_u32_b32 v1, v2, 0
	v_mbcnt_hi_u32_b32 v30, v3, v1
	v_cmp_eq_u32_e32 vcc, 0, v30
	v_cmp_ne_u64_e64 s[0:1], 0, v[2:3]
	s_and_b64 s[2:3], s[0:1], vcc
	; wave barrier
	s_and_saveexec_b64 s[0:1], s[2:3]
	s_cbranch_execz .LBB1839_107
; %bb.106:
	v_bcnt_u32_b32 v1, v2, 0
	v_bcnt_u32_b32 v1, v3, v1
	s_waitcnt lgkmcnt(0)
	v_add_u32_e32 v1, v26, v1
	ds_write_b32 v28, v1 offset:64
.LBB1839_107:
	s_or_b64 exec, exec, s[0:1]
	s_waitcnt vmcnt(6)
	v_xor_b32_e32 v29, 0x7fff, v29
	v_lshrrev_b32_sdwa v1, s20, v29 dst_sel:DWORD dst_unused:UNUSED_PAD src0_sel:DWORD src1_sel:WORD_0
	v_and_b32_e32 v2, s21, v1
	v_mul_u32_u24_e32 v1, 17, v2
	v_add_lshl_u32 v33, v17, v1, 2
	v_and_b32_e32 v1, 1, v2
	v_add_co_u32_e32 v3, vcc, -1, v1
	v_addc_co_u32_e64 v35, s[0:1], 0, -1, vcc
	v_cmp_ne_u32_e32 vcc, 0, v1
	v_xor_b32_e32 v1, vcc_hi, v35
	v_and_b32_e32 v35, exec_hi, v1
	v_lshlrev_b32_e32 v1, 30, v2
	v_xor_b32_e32 v3, vcc_lo, v3
	v_cmp_gt_i64_e32 vcc, 0, v[0:1]
	v_not_b32_e32 v1, v1
	v_ashrrev_i32_e32 v1, 31, v1
	v_and_b32_e32 v3, exec_lo, v3
	v_xor_b32_e32 v36, vcc_hi, v1
	v_xor_b32_e32 v1, vcc_lo, v1
	v_and_b32_e32 v3, v3, v1
	v_lshlrev_b32_e32 v1, 29, v2
	v_cmp_gt_i64_e32 vcc, 0, v[0:1]
	v_not_b32_e32 v1, v1
	v_ashrrev_i32_e32 v1, 31, v1
	v_and_b32_e32 v35, v35, v36
	v_xor_b32_e32 v36, vcc_hi, v1
	v_xor_b32_e32 v1, vcc_lo, v1
	v_and_b32_e32 v3, v3, v1
	v_lshlrev_b32_e32 v1, 28, v2
	v_cmp_gt_i64_e32 vcc, 0, v[0:1]
	v_not_b32_e32 v1, v1
	v_ashrrev_i32_e32 v1, 31, v1
	v_and_b32_e32 v35, v35, v36
	v_xor_b32_e32 v36, vcc_hi, v1
	v_xor_b32_e32 v1, vcc_lo, v1
	v_and_b32_e32 v3, v3, v1
	v_lshlrev_b32_e32 v1, 27, v2
	v_cmp_gt_i64_e32 vcc, 0, v[0:1]
	v_not_b32_e32 v1, v1
	v_ashrrev_i32_e32 v1, 31, v1
	v_and_b32_e32 v35, v35, v36
	v_xor_b32_e32 v36, vcc_hi, v1
	v_xor_b32_e32 v1, vcc_lo, v1
	v_and_b32_e32 v3, v3, v1
	v_lshlrev_b32_e32 v1, 26, v2
	v_cmp_gt_i64_e32 vcc, 0, v[0:1]
	v_not_b32_e32 v1, v1
	v_ashrrev_i32_e32 v1, 31, v1
	v_and_b32_e32 v35, v35, v36
	v_xor_b32_e32 v36, vcc_hi, v1
	v_xor_b32_e32 v1, vcc_lo, v1
	v_and_b32_e32 v3, v3, v1
	v_lshlrev_b32_e32 v1, 25, v2
	v_cmp_gt_i64_e32 vcc, 0, v[0:1]
	v_not_b32_e32 v1, v1
	v_ashrrev_i32_e32 v1, 31, v1
	v_and_b32_e32 v35, v35, v36
	v_xor_b32_e32 v36, vcc_hi, v1
	v_xor_b32_e32 v1, vcc_lo, v1
	v_and_b32_e32 v3, v3, v1
	v_lshlrev_b32_e32 v1, 24, v2
	v_cmp_gt_i64_e32 vcc, 0, v[0:1]
	v_not_b32_e32 v0, v1
	v_ashrrev_i32_e32 v0, 31, v0
	v_xor_b32_e32 v1, vcc_hi, v0
	v_xor_b32_e32 v0, vcc_lo, v0
	; wave barrier
	ds_read_b32 v31, v33 offset:64
	v_and_b32_e32 v35, v35, v36
	v_and_b32_e32 v0, v3, v0
	v_and_b32_e32 v1, v35, v1
	v_mbcnt_lo_u32_b32 v2, v0, 0
	v_mbcnt_hi_u32_b32 v35, v1, v2
	v_cmp_eq_u32_e32 vcc, 0, v35
	v_cmp_ne_u64_e64 s[0:1], 0, v[0:1]
	s_and_b64 s[2:3], s[0:1], vcc
	; wave barrier
	s_and_saveexec_b64 s[0:1], s[2:3]
	s_cbranch_execz .LBB1839_109
; %bb.108:
	v_bcnt_u32_b32 v0, v0, 0
	v_bcnt_u32_b32 v0, v1, v0
	s_waitcnt lgkmcnt(0)
	v_add_u32_e32 v0, v31, v0
	ds_write_b32 v33, v0 offset:64
.LBB1839_109:
	s_or_b64 exec, exec, s[0:1]
	s_waitcnt vmcnt(5)
	v_xor_b32_e32 v34, 0x7fff, v34
	v_lshrrev_b32_sdwa v0, s20, v34 dst_sel:DWORD dst_unused:UNUSED_PAD src0_sel:DWORD src1_sel:WORD_0
	v_and_b32_e32 v2, s21, v0
	v_and_b32_e32 v1, 1, v2
	v_add_co_u32_e32 v3, vcc, -1, v1
	v_addc_co_u32_e64 v39, s[0:1], 0, -1, vcc
	v_cmp_ne_u32_e32 vcc, 0, v1
	v_mul_u32_u24_e32 v0, 17, v2
	v_xor_b32_e32 v1, vcc_hi, v39
	v_add_lshl_u32 v38, v17, v0, 2
	v_mov_b32_e32 v0, 0
	v_and_b32_e32 v39, exec_hi, v1
	v_lshlrev_b32_e32 v1, 30, v2
	v_xor_b32_e32 v3, vcc_lo, v3
	v_cmp_gt_i64_e32 vcc, 0, v[0:1]
	v_not_b32_e32 v1, v1
	v_ashrrev_i32_e32 v1, 31, v1
	v_and_b32_e32 v3, exec_lo, v3
	v_xor_b32_e32 v40, vcc_hi, v1
	v_xor_b32_e32 v1, vcc_lo, v1
	v_and_b32_e32 v3, v3, v1
	v_lshlrev_b32_e32 v1, 29, v2
	v_cmp_gt_i64_e32 vcc, 0, v[0:1]
	v_not_b32_e32 v1, v1
	v_ashrrev_i32_e32 v1, 31, v1
	v_and_b32_e32 v39, v39, v40
	v_xor_b32_e32 v40, vcc_hi, v1
	v_xor_b32_e32 v1, vcc_lo, v1
	v_and_b32_e32 v3, v3, v1
	v_lshlrev_b32_e32 v1, 28, v2
	v_cmp_gt_i64_e32 vcc, 0, v[0:1]
	v_not_b32_e32 v1, v1
	v_ashrrev_i32_e32 v1, 31, v1
	v_and_b32_e32 v39, v39, v40
	;; [unrolled: 8-line block ×5, first 2 shown]
	v_xor_b32_e32 v40, vcc_hi, v1
	v_xor_b32_e32 v1, vcc_lo, v1
	v_and_b32_e32 v39, v39, v40
	v_and_b32_e32 v40, v3, v1
	v_lshlrev_b32_e32 v1, 24, v2
	v_cmp_gt_i64_e32 vcc, 0, v[0:1]
	v_not_b32_e32 v1, v1
	v_ashrrev_i32_e32 v1, 31, v1
	v_xor_b32_e32 v2, vcc_hi, v1
	v_xor_b32_e32 v1, vcc_lo, v1
	; wave barrier
	ds_read_b32 v36, v38 offset:64
	v_and_b32_e32 v3, v39, v2
	v_and_b32_e32 v2, v40, v1
	v_mbcnt_lo_u32_b32 v1, v2, 0
	v_mbcnt_hi_u32_b32 v39, v3, v1
	v_cmp_eq_u32_e32 vcc, 0, v39
	v_cmp_ne_u64_e64 s[0:1], 0, v[2:3]
	s_and_b64 s[2:3], s[0:1], vcc
	; wave barrier
	s_and_saveexec_b64 s[0:1], s[2:3]
	s_cbranch_execz .LBB1839_111
; %bb.110:
	v_bcnt_u32_b32 v1, v2, 0
	v_bcnt_u32_b32 v1, v3, v1
	s_waitcnt lgkmcnt(0)
	v_add_u32_e32 v1, v36, v1
	ds_write_b32 v38, v1 offset:64
.LBB1839_111:
	s_or_b64 exec, exec, s[0:1]
	s_waitcnt vmcnt(4)
	v_xor_b32_e32 v37, 0x7fff, v37
	v_lshrrev_b32_sdwa v1, s20, v37 dst_sel:DWORD dst_unused:UNUSED_PAD src0_sel:DWORD src1_sel:WORD_0
	v_and_b32_e32 v2, s21, v1
	v_mul_u32_u24_e32 v1, 17, v2
	v_add_lshl_u32 v41, v17, v1, 2
	v_and_b32_e32 v1, 1, v2
	v_add_co_u32_e32 v3, vcc, -1, v1
	v_addc_co_u32_e64 v42, s[0:1], 0, -1, vcc
	v_cmp_ne_u32_e32 vcc, 0, v1
	v_xor_b32_e32 v1, vcc_hi, v42
	v_and_b32_e32 v42, exec_hi, v1
	v_lshlrev_b32_e32 v1, 30, v2
	v_xor_b32_e32 v3, vcc_lo, v3
	v_cmp_gt_i64_e32 vcc, 0, v[0:1]
	v_not_b32_e32 v1, v1
	v_ashrrev_i32_e32 v1, 31, v1
	v_and_b32_e32 v3, exec_lo, v3
	v_xor_b32_e32 v43, vcc_hi, v1
	v_xor_b32_e32 v1, vcc_lo, v1
	v_and_b32_e32 v3, v3, v1
	v_lshlrev_b32_e32 v1, 29, v2
	v_cmp_gt_i64_e32 vcc, 0, v[0:1]
	v_not_b32_e32 v1, v1
	v_ashrrev_i32_e32 v1, 31, v1
	v_and_b32_e32 v42, v42, v43
	v_xor_b32_e32 v43, vcc_hi, v1
	v_xor_b32_e32 v1, vcc_lo, v1
	v_and_b32_e32 v3, v3, v1
	v_lshlrev_b32_e32 v1, 28, v2
	v_cmp_gt_i64_e32 vcc, 0, v[0:1]
	v_not_b32_e32 v1, v1
	v_ashrrev_i32_e32 v1, 31, v1
	v_and_b32_e32 v42, v42, v43
	;; [unrolled: 8-line block ×5, first 2 shown]
	v_xor_b32_e32 v43, vcc_hi, v1
	v_xor_b32_e32 v1, vcc_lo, v1
	v_and_b32_e32 v3, v3, v1
	v_lshlrev_b32_e32 v1, 24, v2
	v_cmp_gt_i64_e32 vcc, 0, v[0:1]
	v_not_b32_e32 v0, v1
	v_ashrrev_i32_e32 v0, 31, v0
	v_xor_b32_e32 v1, vcc_hi, v0
	v_xor_b32_e32 v0, vcc_lo, v0
	; wave barrier
	ds_read_b32 v40, v41 offset:64
	v_and_b32_e32 v42, v42, v43
	v_and_b32_e32 v0, v3, v0
	;; [unrolled: 1-line block ×3, first 2 shown]
	v_mbcnt_lo_u32_b32 v2, v0, 0
	v_mbcnt_hi_u32_b32 v42, v1, v2
	v_cmp_eq_u32_e32 vcc, 0, v42
	v_cmp_ne_u64_e64 s[0:1], 0, v[0:1]
	s_and_b64 s[2:3], s[0:1], vcc
	; wave barrier
	s_and_saveexec_b64 s[0:1], s[2:3]
	s_cbranch_execz .LBB1839_113
; %bb.112:
	v_bcnt_u32_b32 v0, v0, 0
	v_bcnt_u32_b32 v0, v1, v0
	s_waitcnt lgkmcnt(0)
	v_add_u32_e32 v0, v40, v0
	ds_write_b32 v41, v0 offset:64
.LBB1839_113:
	s_or_b64 exec, exec, s[0:1]
	s_waitcnt vmcnt(3)
	v_xor_b32_e32 v32, 0x7fff, v32
	v_lshrrev_b32_sdwa v0, s20, v32 dst_sel:DWORD dst_unused:UNUSED_PAD src0_sel:DWORD src1_sel:WORD_0
	v_and_b32_e32 v2, s21, v0
	v_and_b32_e32 v1, 1, v2
	v_add_co_u32_e32 v3, vcc, -1, v1
	v_addc_co_u32_e64 v45, s[0:1], 0, -1, vcc
	v_cmp_ne_u32_e32 vcc, 0, v1
	v_mul_u32_u24_e32 v0, 17, v2
	v_xor_b32_e32 v1, vcc_hi, v45
	v_add_lshl_u32 v44, v17, v0, 2
	v_mov_b32_e32 v0, 0
	v_and_b32_e32 v45, exec_hi, v1
	v_lshlrev_b32_e32 v1, 30, v2
	v_xor_b32_e32 v3, vcc_lo, v3
	v_cmp_gt_i64_e32 vcc, 0, v[0:1]
	v_not_b32_e32 v1, v1
	v_ashrrev_i32_e32 v1, 31, v1
	v_and_b32_e32 v3, exec_lo, v3
	v_xor_b32_e32 v46, vcc_hi, v1
	v_xor_b32_e32 v1, vcc_lo, v1
	v_and_b32_e32 v3, v3, v1
	v_lshlrev_b32_e32 v1, 29, v2
	v_cmp_gt_i64_e32 vcc, 0, v[0:1]
	v_not_b32_e32 v1, v1
	v_ashrrev_i32_e32 v1, 31, v1
	v_and_b32_e32 v45, v45, v46
	v_xor_b32_e32 v46, vcc_hi, v1
	v_xor_b32_e32 v1, vcc_lo, v1
	v_and_b32_e32 v3, v3, v1
	v_lshlrev_b32_e32 v1, 28, v2
	v_cmp_gt_i64_e32 vcc, 0, v[0:1]
	v_not_b32_e32 v1, v1
	v_ashrrev_i32_e32 v1, 31, v1
	v_and_b32_e32 v45, v45, v46
	;; [unrolled: 8-line block ×5, first 2 shown]
	v_xor_b32_e32 v46, vcc_hi, v1
	v_xor_b32_e32 v1, vcc_lo, v1
	v_and_b32_e32 v45, v45, v46
	v_and_b32_e32 v46, v3, v1
	v_lshlrev_b32_e32 v1, 24, v2
	v_cmp_gt_i64_e32 vcc, 0, v[0:1]
	v_not_b32_e32 v1, v1
	v_ashrrev_i32_e32 v1, 31, v1
	v_xor_b32_e32 v2, vcc_hi, v1
	v_xor_b32_e32 v1, vcc_lo, v1
	; wave barrier
	ds_read_b32 v43, v44 offset:64
	v_and_b32_e32 v3, v45, v2
	v_and_b32_e32 v2, v46, v1
	v_mbcnt_lo_u32_b32 v1, v2, 0
	v_mbcnt_hi_u32_b32 v45, v3, v1
	v_cmp_eq_u32_e32 vcc, 0, v45
	v_cmp_ne_u64_e64 s[0:1], 0, v[2:3]
	s_and_b64 s[2:3], s[0:1], vcc
	; wave barrier
	s_and_saveexec_b64 s[0:1], s[2:3]
	s_cbranch_execz .LBB1839_115
; %bb.114:
	v_bcnt_u32_b32 v1, v2, 0
	v_bcnt_u32_b32 v1, v3, v1
	s_waitcnt lgkmcnt(0)
	v_add_u32_e32 v1, v43, v1
	ds_write_b32 v44, v1 offset:64
.LBB1839_115:
	s_or_b64 exec, exec, s[0:1]
	s_waitcnt vmcnt(2)
	v_xor_b32_e32 v27, 0x7fff, v27
	v_lshrrev_b32_sdwa v1, s20, v27 dst_sel:DWORD dst_unused:UNUSED_PAD src0_sel:DWORD src1_sel:WORD_0
	v_and_b32_e32 v2, s21, v1
	v_mul_u32_u24_e32 v1, 17, v2
	v_add_lshl_u32 v47, v17, v1, 2
	v_and_b32_e32 v1, 1, v2
	v_add_co_u32_e32 v3, vcc, -1, v1
	v_addc_co_u32_e64 v48, s[0:1], 0, -1, vcc
	v_cmp_ne_u32_e32 vcc, 0, v1
	v_xor_b32_e32 v1, vcc_hi, v48
	v_and_b32_e32 v48, exec_hi, v1
	v_lshlrev_b32_e32 v1, 30, v2
	v_xor_b32_e32 v3, vcc_lo, v3
	v_cmp_gt_i64_e32 vcc, 0, v[0:1]
	v_not_b32_e32 v1, v1
	v_ashrrev_i32_e32 v1, 31, v1
	v_and_b32_e32 v3, exec_lo, v3
	v_xor_b32_e32 v49, vcc_hi, v1
	v_xor_b32_e32 v1, vcc_lo, v1
	v_and_b32_e32 v3, v3, v1
	v_lshlrev_b32_e32 v1, 29, v2
	v_cmp_gt_i64_e32 vcc, 0, v[0:1]
	v_not_b32_e32 v1, v1
	v_ashrrev_i32_e32 v1, 31, v1
	v_and_b32_e32 v48, v48, v49
	v_xor_b32_e32 v49, vcc_hi, v1
	v_xor_b32_e32 v1, vcc_lo, v1
	v_and_b32_e32 v3, v3, v1
	v_lshlrev_b32_e32 v1, 28, v2
	v_cmp_gt_i64_e32 vcc, 0, v[0:1]
	v_not_b32_e32 v1, v1
	v_ashrrev_i32_e32 v1, 31, v1
	v_and_b32_e32 v48, v48, v49
	;; [unrolled: 8-line block ×5, first 2 shown]
	v_xor_b32_e32 v49, vcc_hi, v1
	v_xor_b32_e32 v1, vcc_lo, v1
	v_and_b32_e32 v3, v3, v1
	v_lshlrev_b32_e32 v1, 24, v2
	v_cmp_gt_i64_e32 vcc, 0, v[0:1]
	v_not_b32_e32 v0, v1
	v_ashrrev_i32_e32 v0, 31, v0
	v_xor_b32_e32 v1, vcc_hi, v0
	v_xor_b32_e32 v0, vcc_lo, v0
	; wave barrier
	ds_read_b32 v46, v47 offset:64
	v_and_b32_e32 v48, v48, v49
	v_and_b32_e32 v0, v3, v0
	;; [unrolled: 1-line block ×3, first 2 shown]
	v_mbcnt_lo_u32_b32 v2, v0, 0
	v_mbcnt_hi_u32_b32 v48, v1, v2
	v_cmp_eq_u32_e32 vcc, 0, v48
	v_cmp_ne_u64_e64 s[0:1], 0, v[0:1]
	s_and_b64 s[2:3], s[0:1], vcc
	; wave barrier
	s_and_saveexec_b64 s[0:1], s[2:3]
	s_cbranch_execz .LBB1839_117
; %bb.116:
	v_bcnt_u32_b32 v0, v0, 0
	v_bcnt_u32_b32 v0, v1, v0
	s_waitcnt lgkmcnt(0)
	v_add_u32_e32 v0, v46, v0
	ds_write_b32 v47, v0 offset:64
.LBB1839_117:
	s_or_b64 exec, exec, s[0:1]
	s_waitcnt vmcnt(1)
	v_xor_b32_e32 v22, 0x7fff, v22
	v_lshrrev_b32_sdwa v0, s20, v22 dst_sel:DWORD dst_unused:UNUSED_PAD src0_sel:DWORD src1_sel:WORD_0
	v_and_b32_e32 v2, s21, v0
	v_and_b32_e32 v1, 1, v2
	v_add_co_u32_e32 v3, vcc, -1, v1
	v_addc_co_u32_e64 v51, s[0:1], 0, -1, vcc
	v_cmp_ne_u32_e32 vcc, 0, v1
	v_mul_u32_u24_e32 v0, 17, v2
	v_xor_b32_e32 v1, vcc_hi, v51
	v_add_lshl_u32 v50, v17, v0, 2
	v_mov_b32_e32 v0, 0
	v_and_b32_e32 v51, exec_hi, v1
	v_lshlrev_b32_e32 v1, 30, v2
	v_xor_b32_e32 v3, vcc_lo, v3
	v_cmp_gt_i64_e32 vcc, 0, v[0:1]
	v_not_b32_e32 v1, v1
	v_ashrrev_i32_e32 v1, 31, v1
	v_and_b32_e32 v3, exec_lo, v3
	v_xor_b32_e32 v52, vcc_hi, v1
	v_xor_b32_e32 v1, vcc_lo, v1
	v_and_b32_e32 v3, v3, v1
	v_lshlrev_b32_e32 v1, 29, v2
	v_cmp_gt_i64_e32 vcc, 0, v[0:1]
	v_not_b32_e32 v1, v1
	v_ashrrev_i32_e32 v1, 31, v1
	v_and_b32_e32 v51, v51, v52
	v_xor_b32_e32 v52, vcc_hi, v1
	v_xor_b32_e32 v1, vcc_lo, v1
	v_and_b32_e32 v3, v3, v1
	v_lshlrev_b32_e32 v1, 28, v2
	v_cmp_gt_i64_e32 vcc, 0, v[0:1]
	v_not_b32_e32 v1, v1
	v_ashrrev_i32_e32 v1, 31, v1
	v_and_b32_e32 v51, v51, v52
	;; [unrolled: 8-line block ×5, first 2 shown]
	v_xor_b32_e32 v52, vcc_hi, v1
	v_xor_b32_e32 v1, vcc_lo, v1
	v_and_b32_e32 v51, v51, v52
	v_and_b32_e32 v52, v3, v1
	v_lshlrev_b32_e32 v1, 24, v2
	v_cmp_gt_i64_e32 vcc, 0, v[0:1]
	v_not_b32_e32 v1, v1
	v_ashrrev_i32_e32 v1, 31, v1
	v_xor_b32_e32 v2, vcc_hi, v1
	v_xor_b32_e32 v1, vcc_lo, v1
	; wave barrier
	ds_read_b32 v49, v50 offset:64
	v_and_b32_e32 v3, v51, v2
	v_and_b32_e32 v2, v52, v1
	v_mbcnt_lo_u32_b32 v1, v2, 0
	v_mbcnt_hi_u32_b32 v51, v3, v1
	v_cmp_eq_u32_e32 vcc, 0, v51
	v_cmp_ne_u64_e64 s[0:1], 0, v[2:3]
	s_and_b64 s[2:3], s[0:1], vcc
	; wave barrier
	s_and_saveexec_b64 s[0:1], s[2:3]
	s_cbranch_execz .LBB1839_119
; %bb.118:
	v_bcnt_u32_b32 v1, v2, 0
	v_bcnt_u32_b32 v1, v3, v1
	s_waitcnt lgkmcnt(0)
	v_add_u32_e32 v1, v49, v1
	ds_write_b32 v50, v1 offset:64
.LBB1839_119:
	s_or_b64 exec, exec, s[0:1]
	s_waitcnt vmcnt(0)
	v_xor_b32_e32 v16, 0x7fff, v16
	v_lshrrev_b32_sdwa v1, s20, v16 dst_sel:DWORD dst_unused:UNUSED_PAD src0_sel:DWORD src1_sel:WORD_0
	v_and_b32_e32 v2, s21, v1
	v_mul_u32_u24_e32 v1, 17, v2
	v_add_lshl_u32 v52, v17, v1, 2
	v_and_b32_e32 v1, 1, v2
	v_add_co_u32_e32 v3, vcc, -1, v1
	v_addc_co_u32_e64 v54, s[0:1], 0, -1, vcc
	v_cmp_ne_u32_e32 vcc, 0, v1
	v_xor_b32_e32 v1, vcc_hi, v54
	v_and_b32_e32 v54, exec_hi, v1
	v_lshlrev_b32_e32 v1, 30, v2
	v_xor_b32_e32 v3, vcc_lo, v3
	v_cmp_gt_i64_e32 vcc, 0, v[0:1]
	v_not_b32_e32 v1, v1
	v_ashrrev_i32_e32 v1, 31, v1
	v_and_b32_e32 v3, exec_lo, v3
	v_xor_b32_e32 v55, vcc_hi, v1
	v_xor_b32_e32 v1, vcc_lo, v1
	v_and_b32_e32 v3, v3, v1
	v_lshlrev_b32_e32 v1, 29, v2
	v_cmp_gt_i64_e32 vcc, 0, v[0:1]
	v_not_b32_e32 v1, v1
	v_ashrrev_i32_e32 v1, 31, v1
	v_and_b32_e32 v54, v54, v55
	v_xor_b32_e32 v55, vcc_hi, v1
	v_xor_b32_e32 v1, vcc_lo, v1
	v_and_b32_e32 v3, v3, v1
	v_lshlrev_b32_e32 v1, 28, v2
	v_cmp_gt_i64_e32 vcc, 0, v[0:1]
	v_not_b32_e32 v1, v1
	v_ashrrev_i32_e32 v1, 31, v1
	v_and_b32_e32 v54, v54, v55
	;; [unrolled: 8-line block ×5, first 2 shown]
	v_xor_b32_e32 v55, vcc_hi, v1
	v_xor_b32_e32 v1, vcc_lo, v1
	v_and_b32_e32 v3, v3, v1
	v_lshlrev_b32_e32 v1, 24, v2
	v_cmp_gt_i64_e32 vcc, 0, v[0:1]
	v_not_b32_e32 v0, v1
	v_ashrrev_i32_e32 v0, 31, v0
	v_xor_b32_e32 v1, vcc_hi, v0
	v_xor_b32_e32 v0, vcc_lo, v0
	; wave barrier
	ds_read_b32 v17, v52 offset:64
	v_and_b32_e32 v54, v54, v55
	v_and_b32_e32 v0, v3, v0
	;; [unrolled: 1-line block ×3, first 2 shown]
	v_mbcnt_lo_u32_b32 v2, v0, 0
	v_mbcnt_hi_u32_b32 v54, v1, v2
	v_cmp_eq_u32_e32 vcc, 0, v54
	v_cmp_ne_u64_e64 s[0:1], 0, v[0:1]
	v_add_u32_e32 v53, 64, v6
	s_and_b64 s[2:3], s[0:1], vcc
	; wave barrier
	s_and_saveexec_b64 s[0:1], s[2:3]
	s_cbranch_execz .LBB1839_121
; %bb.120:
	v_bcnt_u32_b32 v0, v0, 0
	v_bcnt_u32_b32 v0, v1, v0
	s_waitcnt lgkmcnt(0)
	v_add_u32_e32 v0, v17, v0
	ds_write_b32 v52, v0 offset:64
.LBB1839_121:
	s_or_b64 exec, exec, s[0:1]
	; wave barrier
	s_waitcnt lgkmcnt(0)
	s_barrier
	ds_read2_b32 v[2:3], v6 offset0:16 offset1:17
	ds_read2_b32 v[0:1], v53 offset0:2 offset1:3
	ds_read_b32 v55, v53 offset:16
	v_cmp_lt_u32_e64 s[8:9], 31, v5
	s_waitcnt lgkmcnt(1)
	v_add3_u32 v56, v3, v2, v0
	s_waitcnt lgkmcnt(0)
	v_add3_u32 v55, v56, v1, v55
	v_and_b32_e32 v56, 15, v5
	v_cmp_eq_u32_e32 vcc, 0, v56
	v_mov_b32_dpp v57, v55 row_shr:1 row_mask:0xf bank_mask:0xf
	v_cndmask_b32_e64 v57, v57, 0, vcc
	v_add_u32_e32 v55, v57, v55
	v_cmp_lt_u32_e64 s[0:1], 1, v56
	v_cmp_lt_u32_e64 s[2:3], 3, v56
	v_mov_b32_dpp v57, v55 row_shr:2 row_mask:0xf bank_mask:0xf
	v_cndmask_b32_e64 v57, 0, v57, s[0:1]
	v_add_u32_e32 v55, v55, v57
	v_cmp_lt_u32_e64 s[4:5], 7, v56
	s_nop 0
	v_mov_b32_dpp v57, v55 row_shr:4 row_mask:0xf bank_mask:0xf
	v_cndmask_b32_e64 v57, 0, v57, s[2:3]
	v_add_u32_e32 v55, v55, v57
	s_nop 1
	v_mov_b32_dpp v57, v55 row_shr:8 row_mask:0xf bank_mask:0xf
	v_cndmask_b32_e64 v56, 0, v57, s[4:5]
	v_add_u32_e32 v55, v55, v56
	v_bfe_i32 v57, v5, 4, 1
	s_nop 0
	v_mov_b32_dpp v56, v55 row_bcast:15 row_mask:0xf bank_mask:0xf
	v_and_b32_e32 v56, v57, v56
	v_add_u32_e32 v55, v55, v56
	v_and_b32_e32 v57, 63, v10
	s_nop 0
	v_mov_b32_dpp v56, v55 row_bcast:31 row_mask:0xf bank_mask:0xf
	v_cndmask_b32_e64 v56, 0, v56, s[8:9]
	v_add_u32_e32 v55, v55, v56
	v_lshrrev_b32_e32 v56, 6, v10
	v_cmp_eq_u32_e64 s[8:9], 63, v57
	s_and_saveexec_b64 s[16:17], s[8:9]
	s_cbranch_execz .LBB1839_123
; %bb.122:
	v_lshlrev_b32_e32 v57, 2, v56
	ds_write_b32 v57, v55
.LBB1839_123:
	s_or_b64 exec, exec, s[16:17]
	v_cmp_gt_u32_e64 s[8:9], 16, v10
	s_waitcnt lgkmcnt(0)
	s_barrier
	s_and_saveexec_b64 s[16:17], s[8:9]
	s_cbranch_execz .LBB1839_125
; %bb.124:
	v_lshlrev_b32_e32 v57, 2, v10
	ds_read_b32 v58, v57
	s_waitcnt lgkmcnt(0)
	s_nop 0
	v_mov_b32_dpp v59, v58 row_shr:1 row_mask:0xf bank_mask:0xf
	v_cndmask_b32_e64 v59, v59, 0, vcc
	v_add_u32_e32 v58, v59, v58
	s_nop 1
	v_mov_b32_dpp v59, v58 row_shr:2 row_mask:0xf bank_mask:0xf
	v_cndmask_b32_e64 v59, 0, v59, s[0:1]
	v_add_u32_e32 v58, v58, v59
	s_nop 1
	v_mov_b32_dpp v59, v58 row_shr:4 row_mask:0xf bank_mask:0xf
	v_cndmask_b32_e64 v59, 0, v59, s[2:3]
	;; [unrolled: 4-line block ×3, first 2 shown]
	v_add_u32_e32 v58, v58, v59
	ds_write_b32 v57, v58
.LBB1839_125:
	s_or_b64 exec, exec, s[16:17]
	v_cmp_lt_u32_e32 vcc, 63, v10
	v_mov_b32_e32 v57, 0
	s_waitcnt lgkmcnt(0)
	s_barrier
	s_and_saveexec_b64 s[0:1], vcc
	s_cbranch_execz .LBB1839_127
; %bb.126:
	v_lshl_add_u32 v56, v56, 2, -4
	ds_read_b32 v57, v56
.LBB1839_127:
	s_or_b64 exec, exec, s[0:1]
	v_add_u32_e32 v56, -1, v5
	v_and_b32_e32 v58, 64, v5
	v_cmp_lt_i32_e32 vcc, v56, v58
	v_cndmask_b32_e32 v56, v56, v5, vcc
	s_waitcnt lgkmcnt(0)
	v_add_u32_e32 v55, v57, v55
	v_lshlrev_b32_e32 v56, 2, v56
	ds_bpermute_b32 v55, v56, v55
	v_cmp_eq_u32_e32 vcc, 0, v5
	s_movk_i32 s2, 0xff
	s_movk_i32 s3, 0x100
	v_cmp_lt_u32_e64 s[0:1], s2, v10
	s_waitcnt lgkmcnt(0)
	v_cndmask_b32_e32 v5, v55, v57, vcc
	v_cmp_ne_u32_e32 vcc, 0, v10
	v_cndmask_b32_e32 v5, 0, v5, vcc
	v_add_u32_e32 v2, v5, v2
	v_add_u32_e32 v3, v2, v3
	v_add_u32_e32 v0, v3, v0
	v_add_u32_e32 v1, v0, v1
	ds_write2_b32 v6, v5, v2 offset0:16 offset1:17
	ds_write2_b32 v53, v3, v0 offset0:2 offset1:3
	ds_write_b32 v53, v1 offset:16
	s_waitcnt lgkmcnt(0)
	s_barrier
	ds_read_b32 v57, v7 offset:64
	ds_read_b32 v56, v12 offset:64
	;; [unrolled: 1-line block ×12, first 2 shown]
	v_cmp_gt_u32_e32 vcc, s3, v10
	v_pk_mov_b32 v[0:1], 0, 0
                                        ; implicit-def: $vgpr12
	s_and_saveexec_b64 s[4:5], vcc
	s_cbranch_execz .LBB1839_131
; %bb.128:
	v_mul_u32_u24_e32 v0, 17, v10
	v_lshlrev_b32_e32 v12, 2, v0
	ds_read_b32 v0, v12 offset:64
	v_cmp_ne_u32_e64 s[2:3], s2, v10
	v_mov_b32_e32 v1, 0x3000
	s_and_saveexec_b64 s[8:9], s[2:3]
	s_cbranch_execz .LBB1839_130
; %bb.129:
	ds_read_b32 v1, v12 offset:132
.LBB1839_130:
	s_or_b64 exec, exec, s[8:9]
	s_waitcnt lgkmcnt(0)
	v_sub_u32_e32 v12, v1, v0
	v_mov_b32_e32 v1, 0
.LBB1839_131:
	s_or_b64 exec, exec, s[4:5]
	v_add_u32_e32 v11, v13, v11
	s_waitcnt lgkmcnt(11)
	v_add_lshl_u32 v8, v57, v8, 1
	v_add_u32_e32 v15, v19, v15
	s_waitcnt lgkmcnt(0)
	s_barrier
	ds_write_b16 v8, v4 offset:2048
	v_add_lshl_u32 v4, v11, v56, 1
	v_add_u32_e32 v21, v24, v21
	ds_write_b16 v4, v9 offset:2048
	v_add_lshl_u32 v4, v15, v55, 1
	v_add_u32_e32 v26, v30, v26
	;; [unrolled: 3-line block ×7, first 2 shown]
	v_add_u32_e32 v33, v51, v49
	v_add_u32_e32 v38, v48, v46
	ds_write_b16 v4, v37 offset:2048
	v_add_lshl_u32 v4, v41, v6, 1
	ds_write_b16 v4, v32 offset:2048
	v_add_lshl_u32 v4, v38, v5, 1
	v_add_lshl_u32 v3, v33, v3, 1
	;; [unrolled: 1-line block ×3, first 2 shown]
	ds_write_b16 v4, v27 offset:2048
	ds_write_b16 v3, v22 offset:2048
	;; [unrolled: 1-line block ×3, first 2 shown]
	s_and_saveexec_b64 s[2:3], s[0:1]
	s_xor_b64 s[0:1], exec, s[2:3]
; %bb.132:
	v_mov_b32_e32 v11, 0
; %bb.133:
	s_andn2_saveexec_b64 s[2:3], s[0:1]
	s_cbranch_execz .LBB1839_143
; %bb.134:
	v_lshl_or_b32 v2, s6, 8, v10
	v_mov_b32_e32 v3, 0
	v_lshlrev_b64 v[4:5], 2, v[2:3]
	v_mov_b32_e32 v9, s25
	v_add_co_u32_e64 v4, s[0:1], s24, v4
	v_addc_co_u32_e64 v5, s[0:1], v9, v5, s[0:1]
	v_or_b32_e32 v2, 2.0, v12
	s_mov_b64 s[4:5], 0
	s_brev_b32 s22, 1
	s_mov_b32 s23, s6
	v_mov_b32_e32 v8, 0
	global_store_dword v[4:5], v2, off
                                        ; implicit-def: $sgpr0_sgpr1
	s_branch .LBB1839_137
.LBB1839_135:                           ;   in Loop: Header=BB1839_137 Depth=1
	s_or_b64 exec, exec, s[16:17]
.LBB1839_136:                           ;   in Loop: Header=BB1839_137 Depth=1
	s_or_b64 exec, exec, s[8:9]
	v_and_b32_e32 v6, 0x3fffffff, v11
	v_add_u32_e32 v8, v6, v8
	v_cmp_eq_u32_e64 s[0:1], s22, v2
	s_and_b64 s[8:9], exec, s[0:1]
	s_or_b64 s[4:5], s[8:9], s[4:5]
	s_andn2_b64 exec, exec, s[4:5]
	s_cbranch_execz .LBB1839_142
.LBB1839_137:                           ; =>This Loop Header: Depth=1
                                        ;     Child Loop BB1839_140 Depth 2
	s_or_b64 s[0:1], s[0:1], exec
	s_cmp_eq_u32 s23, 0
	s_cbranch_scc1 .LBB1839_141
; %bb.138:                              ;   in Loop: Header=BB1839_137 Depth=1
	s_add_i32 s23, s23, -1
	v_lshl_or_b32 v2, s23, 8, v10
	v_lshlrev_b64 v[6:7], 2, v[2:3]
	v_add_co_u32_e64 v6, s[0:1], s24, v6
	v_addc_co_u32_e64 v7, s[0:1], v9, v7, s[0:1]
	global_load_dword v11, v[6:7], off glc
	s_waitcnt vmcnt(0)
	v_and_b32_e32 v2, -2.0, v11
	v_cmp_eq_u32_e64 s[0:1], 0, v2
	s_and_saveexec_b64 s[8:9], s[0:1]
	s_cbranch_execz .LBB1839_136
; %bb.139:                              ;   in Loop: Header=BB1839_137 Depth=1
	s_mov_b64 s[16:17], 0
.LBB1839_140:                           ;   Parent Loop BB1839_137 Depth=1
                                        ; =>  This Inner Loop Header: Depth=2
	global_load_dword v11, v[6:7], off glc
	s_waitcnt vmcnt(0)
	v_and_b32_e32 v2, -2.0, v11
	v_cmp_ne_u32_e64 s[0:1], 0, v2
	s_or_b64 s[16:17], s[0:1], s[16:17]
	s_andn2_b64 exec, exec, s[16:17]
	s_cbranch_execnz .LBB1839_140
	s_branch .LBB1839_135
.LBB1839_141:                           ;   in Loop: Header=BB1839_137 Depth=1
                                        ; implicit-def: $sgpr23
	s_and_b64 s[8:9], exec, s[0:1]
	s_or_b64 s[4:5], s[8:9], s[4:5]
	s_andn2_b64 exec, exec, s[4:5]
	s_cbranch_execnz .LBB1839_137
.LBB1839_142:
	s_or_b64 exec, exec, s[4:5]
	v_add_u32_e32 v2, v8, v12
	v_or_b32_e32 v2, 0x80000000, v2
	global_store_dword v[4:5], v2, off
	v_lshlrev_b32_e32 v4, 3, v10
	global_load_dwordx2 v[2:3], v4, s[12:13]
	v_sub_co_u32_e64 v5, s[0:1], v8, v0
	v_subb_co_u32_e64 v6, s[0:1], 0, v1, s[0:1]
	v_mov_b32_e32 v11, 0
	s_waitcnt vmcnt(0)
	v_add_co_u32_e64 v2, s[0:1], v5, v2
	v_addc_co_u32_e64 v3, s[0:1], v6, v3, s[0:1]
	ds_write_b64 v4, v[2:3]
.LBB1839_143:
	s_or_b64 exec, exec, s[2:3]
	v_lshlrev_b32_e32 v2, 1, v10
	s_waitcnt lgkmcnt(0)
	s_barrier
	ds_read_u16 v3, v2 offset:2048
	ds_read_u16 v8, v2 offset:4096
	;; [unrolled: 1-line block ×8, first 2 shown]
	s_waitcnt lgkmcnt(7)
	v_lshrrev_b32_sdwa v4, s20, v3 dst_sel:DWORD dst_unused:UNUSED_PAD src0_sel:DWORD src1_sel:WORD_0
	v_and_b32_e32 v4, s21, v4
	v_lshlrev_b32_e32 v4, 3, v4
	ds_read_b64 v[4:5], v4
	ds_read_u16 v23, v2 offset:18432
	ds_read_u16 v24, v2 offset:20480
	;; [unrolled: 1-line block ×4, first 2 shown]
	s_waitcnt lgkmcnt(4)
	v_lshlrev_b64 v[4:5], 1, v[4:5]
	v_mov_b32_e32 v6, s19
	v_add_co_u32_e64 v7, s[0:1], s18, v4
	v_addc_co_u32_e64 v9, s[0:1], v6, v5, s[0:1]
	v_lshlrev_b64 v[4:5], 1, v[10:11]
	v_add_co_u32_e64 v6, s[0:1], v7, v4
	v_xor_b32_e32 v3, 0x7fff, v3
	v_addc_co_u32_e64 v7, s[0:1], v9, v5, s[0:1]
	global_store_short v[6:7], v3, off
	v_lshrrev_b32_sdwa v6, s20, v13 dst_sel:DWORD dst_unused:UNUSED_PAD src0_sel:DWORD src1_sel:WORD_0
	v_and_b32_e32 v6, s21, v6
	v_lshrrev_b32_sdwa v3, s20, v8 dst_sel:DWORD dst_unused:UNUSED_PAD src0_sel:DWORD src1_sel:WORD_0
	v_xor_b32_e32 v27, 0x7fff, v8
	v_lshlrev_b32_e32 v8, 3, v6
	v_lshrrev_b32_sdwa v6, s20, v18 dst_sel:DWORD dst_unused:UNUSED_PAD src0_sel:DWORD src1_sel:WORD_0
	v_and_b32_e32 v3, s21, v3
	v_and_b32_e32 v6, s21, v6
	v_lshlrev_b32_e32 v3, 3, v3
	v_lshlrev_b32_e32 v14, 3, v6
	v_lshrrev_b32_sdwa v6, s20, v19 dst_sel:DWORD dst_unused:UNUSED_PAD src0_sel:DWORD src1_sel:WORD_0
	v_and_b32_e32 v9, s21, v6
	ds_read_b64 v[6:7], v3
	v_lshlrev_b32_e32 v3, 3, v9
	ds_read_b64 v[8:9], v8
	ds_read_b64 v[14:15], v14
	;; [unrolled: 1-line block ×3, first 2 shown]
	v_mov_b32_e32 v3, s19
	s_add_i32 s7, s7, -1
	s_waitcnt lgkmcnt(3)
	v_lshlrev_b64 v[6:7], 1, v[6:7]
	v_add_co_u32_e64 v6, s[0:1], s18, v6
	v_addc_co_u32_e64 v3, s[0:1], v3, v7, s[0:1]
	v_add_co_u32_e64 v4, s[0:1], v6, v4
	v_addc_co_u32_e64 v5, s[0:1], v3, v5, s[0:1]
	global_store_short v[4:5], v27, off offset:2048
	s_waitcnt lgkmcnt(2)
	v_lshlrev_b64 v[4:5], 1, v[8:9]
	v_mov_b32_e32 v6, s19
	v_add_co_u32_e64 v4, s[0:1], s18, v4
	v_addc_co_u32_e64 v5, s[0:1], v6, v5, s[0:1]
	v_or_b32_e32 v6, 0x1000, v2
	v_add_co_u32_e64 v4, s[0:1], v4, v6
	v_xor_b32_e32 v3, 0x7fff, v13
	v_addc_co_u32_e64 v5, s[0:1], 0, v5, s[0:1]
	global_store_short v[4:5], v3, off
	s_waitcnt lgkmcnt(1)
	v_lshlrev_b64 v[4:5], 1, v[14:15]
	v_mov_b32_e32 v6, s19
	v_add_co_u32_e64 v4, s[0:1], s18, v4
	v_addc_co_u32_e64 v5, s[0:1], v6, v5, s[0:1]
	v_or_b32_e32 v6, 0x1800, v2
	v_add_co_u32_e64 v4, s[0:1], v4, v6
	v_xor_b32_e32 v3, 0x7fff, v18
	v_addc_co_u32_e64 v5, s[0:1], 0, v5, s[0:1]
	global_store_short v[4:5], v3, off
	;; [unrolled: 10-line block ×3, first 2 shown]
	v_lshrrev_b32_sdwa v4, s20, v21 dst_sel:DWORD dst_unused:UNUSED_PAD src0_sel:DWORD src1_sel:WORD_0
	v_and_b32_e32 v4, s21, v4
	v_lshrrev_b32_sdwa v3, s20, v20 dst_sel:DWORD dst_unused:UNUSED_PAD src0_sel:DWORD src1_sel:WORD_0
	v_lshlrev_b32_e32 v6, 3, v4
	v_lshrrev_b32_sdwa v4, s20, v22 dst_sel:DWORD dst_unused:UNUSED_PAD src0_sel:DWORD src1_sel:WORD_0
	v_and_b32_e32 v3, s21, v3
	v_and_b32_e32 v4, s21, v4
	v_lshlrev_b32_e32 v3, 3, v3
	v_lshlrev_b32_e32 v8, 3, v4
	v_lshrrev_b32_sdwa v4, s20, v23 dst_sel:DWORD dst_unused:UNUSED_PAD src0_sel:DWORD src1_sel:WORD_0
	v_and_b32_e32 v7, s21, v4
	ds_read_b64 v[4:5], v3
	v_lshlrev_b32_e32 v3, 3, v7
	ds_read_b64 v[6:7], v6
	ds_read_b64 v[8:9], v8
	;; [unrolled: 1-line block ×3, first 2 shown]
	v_mov_b32_e32 v3, s19
	v_xor_b32_e32 v13, 0x7fff, v20
	s_waitcnt lgkmcnt(3)
	v_lshlrev_b64 v[4:5], 1, v[4:5]
	v_add_co_u32_e64 v4, s[0:1], s18, v4
	v_addc_co_u32_e64 v3, s[0:1], v3, v5, s[0:1]
	v_or_b32_e32 v5, 0x2800, v2
	v_add_co_u32_e64 v4, s[0:1], v4, v5
	v_addc_co_u32_e64 v5, s[0:1], 0, v3, s[0:1]
	global_store_short v[4:5], v13, off
	s_waitcnt lgkmcnt(2)
	v_lshlrev_b64 v[4:5], 1, v[6:7]
	v_mov_b32_e32 v6, s19
	v_add_co_u32_e64 v4, s[0:1], s18, v4
	v_addc_co_u32_e64 v5, s[0:1], v6, v5, s[0:1]
	v_or_b32_e32 v6, 0x3000, v2
	v_add_co_u32_e64 v4, s[0:1], v4, v6
	v_xor_b32_e32 v3, 0x7fff, v21
	v_addc_co_u32_e64 v5, s[0:1], 0, v5, s[0:1]
	global_store_short v[4:5], v3, off
	s_waitcnt lgkmcnt(1)
	v_lshlrev_b64 v[4:5], 1, v[8:9]
	v_mov_b32_e32 v6, s19
	v_add_co_u32_e64 v4, s[0:1], s18, v4
	v_addc_co_u32_e64 v5, s[0:1], v6, v5, s[0:1]
	v_or_b32_e32 v6, 0x3800, v2
	v_add_co_u32_e64 v4, s[0:1], v4, v6
	v_xor_b32_e32 v3, 0x7fff, v22
	;; [unrolled: 10-line block ×3, first 2 shown]
	v_addc_co_u32_e64 v5, s[0:1], 0, v5, s[0:1]
	global_store_short v[4:5], v3, off
	v_lshrrev_b32_sdwa v3, s20, v24 dst_sel:DWORD dst_unused:UNUSED_PAD src0_sel:DWORD src1_sel:WORD_0
	v_and_b32_e32 v3, s21, v3
	v_lshrrev_b32_sdwa v4, s20, v25 dst_sel:DWORD dst_unused:UNUSED_PAD src0_sel:DWORD src1_sel:WORD_0
	v_lshlrev_b32_e32 v3, 3, v3
	v_and_b32_e32 v4, s21, v4
	v_lshlrev_b32_e32 v6, 3, v4
	ds_read_b64 v[4:5], v3
	v_lshrrev_b32_sdwa v7, s20, v26 dst_sel:DWORD dst_unused:UNUSED_PAD src0_sel:DWORD src1_sel:WORD_0
	v_and_b32_e32 v3, s21, v7
	v_lshlrev_b32_e32 v3, 3, v3
	ds_read_b64 v[6:7], v6
	ds_read_b64 v[8:9], v3
	s_waitcnt lgkmcnt(2)
	v_lshlrev_b64 v[4:5], 1, v[4:5]
	v_mov_b32_e32 v3, s19
	v_add_co_u32_e64 v4, s[0:1], s18, v4
	v_addc_co_u32_e64 v3, s[0:1], v3, v5, s[0:1]
	v_or_b32_e32 v5, 0x4800, v2
	v_add_co_u32_e64 v4, s[0:1], v4, v5
	v_xor_b32_e32 v13, 0x7fff, v24
	v_addc_co_u32_e64 v5, s[0:1], 0, v3, s[0:1]
	global_store_short v[4:5], v13, off
	s_waitcnt lgkmcnt(1)
	v_lshlrev_b64 v[4:5], 1, v[6:7]
	v_mov_b32_e32 v6, s19
	v_add_co_u32_e64 v4, s[0:1], s18, v4
	v_addc_co_u32_e64 v5, s[0:1], v6, v5, s[0:1]
	v_or_b32_e32 v6, 0x5000, v2
	v_add_co_u32_e64 v4, s[0:1], v4, v6
	v_xor_b32_e32 v3, 0x7fff, v25
	v_addc_co_u32_e64 v5, s[0:1], 0, v5, s[0:1]
	global_store_short v[4:5], v3, off
	s_waitcnt lgkmcnt(0)
	v_lshlrev_b64 v[4:5], 1, v[8:9]
	v_mov_b32_e32 v3, s19
	v_add_co_u32_e64 v4, s[0:1], s18, v4
	v_addc_co_u32_e64 v3, s[0:1], v3, v5, s[0:1]
	v_or_b32_e32 v2, 0x5800, v2
	v_add_co_u32_e64 v2, s[0:1], v4, v2
	v_addc_co_u32_e64 v3, s[0:1], 0, v3, s[0:1]
	s_cmp_eq_u32 s7, s6
	s_cselect_b64 s[0:1], -1, 0
	v_xor_b32_e32 v6, 0x7fff, v26
	s_and_b64 s[2:3], vcc, s[0:1]
	global_store_short v[2:3], v6, off
                                        ; implicit-def: $vgpr4_vgpr5
	s_and_saveexec_b64 s[0:1], s[2:3]
; %bb.144:
	v_add_co_u32_e32 v4, vcc, v0, v12
	v_addc_co_u32_e32 v5, vcc, 0, v1, vcc
	s_or_b64 s[10:11], s[10:11], exec
; %bb.145:
	s_or_b64 exec, exec, s[0:1]
.LBB1839_146:
	s_and_saveexec_b64 s[0:1], s[10:11]
	s_cbranch_execnz .LBB1839_148
; %bb.147:
	s_endpgm
.LBB1839_148:
	v_lshlrev_b32_e32 v2, 3, v10
	ds_read_b64 v[2:3], v2
	v_lshlrev_b64 v[0:1], 3, v[10:11]
	v_mov_b32_e32 v6, s15
	v_add_co_u32_e32 v0, vcc, s14, v0
	v_addc_co_u32_e32 v1, vcc, v6, v1, vcc
	s_waitcnt lgkmcnt(0)
	v_add_co_u32_e32 v2, vcc, v2, v4
	v_addc_co_u32_e32 v3, vcc, v3, v5, vcc
	global_store_dwordx2 v[0:1], v[2:3], off
	s_endpgm
	.section	.rodata,"a",@progbits
	.p2align	6, 0x0
	.amdhsa_kernel _ZN7rocprim17ROCPRIM_400000_NS6detail17trampoline_kernelINS0_14default_configENS1_35radix_sort_onesweep_config_selectorIsNS0_10empty_typeEEEZZNS1_29radix_sort_onesweep_iterationIS3_Lb1EPsS8_PS5_S9_mNS0_19identity_decomposerENS1_16block_id_wrapperIjLb0EEEEE10hipError_tT1_PNSt15iterator_traitsISE_E10value_typeET2_T3_PNSF_ISK_E10value_typeET4_T5_PSP_SQ_PNS1_23onesweep_lookback_stateEbbT6_jjT7_P12ihipStream_tbENKUlT_T0_SE_SJ_E_clIS8_S8_S9_S9_EEDaSX_SY_SE_SJ_EUlSX_E_NS1_11comp_targetILNS1_3genE4ELNS1_11target_archE910ELNS1_3gpuE8ELNS1_3repE0EEENS1_47radix_sort_onesweep_sort_config_static_selectorELNS0_4arch9wavefront6targetE1EEEvSE_
		.amdhsa_group_segment_fixed_size 26632
		.amdhsa_private_segment_fixed_size 0
		.amdhsa_kernarg_size 344
		.amdhsa_user_sgpr_count 6
		.amdhsa_user_sgpr_private_segment_buffer 1
		.amdhsa_user_sgpr_dispatch_ptr 0
		.amdhsa_user_sgpr_queue_ptr 0
		.amdhsa_user_sgpr_kernarg_segment_ptr 1
		.amdhsa_user_sgpr_dispatch_id 0
		.amdhsa_user_sgpr_flat_scratch_init 0
		.amdhsa_user_sgpr_kernarg_preload_length 0
		.amdhsa_user_sgpr_kernarg_preload_offset 0
		.amdhsa_user_sgpr_private_segment_size 0
		.amdhsa_uses_dynamic_stack 0
		.amdhsa_system_sgpr_private_segment_wavefront_offset 0
		.amdhsa_system_sgpr_workgroup_id_x 1
		.amdhsa_system_sgpr_workgroup_id_y 0
		.amdhsa_system_sgpr_workgroup_id_z 0
		.amdhsa_system_sgpr_workgroup_info 0
		.amdhsa_system_vgpr_workitem_id 2
		.amdhsa_next_free_vgpr 62
		.amdhsa_next_free_sgpr 44
		.amdhsa_accum_offset 64
		.amdhsa_reserve_vcc 1
		.amdhsa_reserve_flat_scratch 0
		.amdhsa_float_round_mode_32 0
		.amdhsa_float_round_mode_16_64 0
		.amdhsa_float_denorm_mode_32 3
		.amdhsa_float_denorm_mode_16_64 3
		.amdhsa_dx10_clamp 1
		.amdhsa_ieee_mode 1
		.amdhsa_fp16_overflow 0
		.amdhsa_tg_split 0
		.amdhsa_exception_fp_ieee_invalid_op 0
		.amdhsa_exception_fp_denorm_src 0
		.amdhsa_exception_fp_ieee_div_zero 0
		.amdhsa_exception_fp_ieee_overflow 0
		.amdhsa_exception_fp_ieee_underflow 0
		.amdhsa_exception_fp_ieee_inexact 0
		.amdhsa_exception_int_div_zero 0
	.end_amdhsa_kernel
	.section	.text._ZN7rocprim17ROCPRIM_400000_NS6detail17trampoline_kernelINS0_14default_configENS1_35radix_sort_onesweep_config_selectorIsNS0_10empty_typeEEEZZNS1_29radix_sort_onesweep_iterationIS3_Lb1EPsS8_PS5_S9_mNS0_19identity_decomposerENS1_16block_id_wrapperIjLb0EEEEE10hipError_tT1_PNSt15iterator_traitsISE_E10value_typeET2_T3_PNSF_ISK_E10value_typeET4_T5_PSP_SQ_PNS1_23onesweep_lookback_stateEbbT6_jjT7_P12ihipStream_tbENKUlT_T0_SE_SJ_E_clIS8_S8_S9_S9_EEDaSX_SY_SE_SJ_EUlSX_E_NS1_11comp_targetILNS1_3genE4ELNS1_11target_archE910ELNS1_3gpuE8ELNS1_3repE0EEENS1_47radix_sort_onesweep_sort_config_static_selectorELNS0_4arch9wavefront6targetE1EEEvSE_,"axG",@progbits,_ZN7rocprim17ROCPRIM_400000_NS6detail17trampoline_kernelINS0_14default_configENS1_35radix_sort_onesweep_config_selectorIsNS0_10empty_typeEEEZZNS1_29radix_sort_onesweep_iterationIS3_Lb1EPsS8_PS5_S9_mNS0_19identity_decomposerENS1_16block_id_wrapperIjLb0EEEEE10hipError_tT1_PNSt15iterator_traitsISE_E10value_typeET2_T3_PNSF_ISK_E10value_typeET4_T5_PSP_SQ_PNS1_23onesweep_lookback_stateEbbT6_jjT7_P12ihipStream_tbENKUlT_T0_SE_SJ_E_clIS8_S8_S9_S9_EEDaSX_SY_SE_SJ_EUlSX_E_NS1_11comp_targetILNS1_3genE4ELNS1_11target_archE910ELNS1_3gpuE8ELNS1_3repE0EEENS1_47radix_sort_onesweep_sort_config_static_selectorELNS0_4arch9wavefront6targetE1EEEvSE_,comdat
.Lfunc_end1839:
	.size	_ZN7rocprim17ROCPRIM_400000_NS6detail17trampoline_kernelINS0_14default_configENS1_35radix_sort_onesweep_config_selectorIsNS0_10empty_typeEEEZZNS1_29radix_sort_onesweep_iterationIS3_Lb1EPsS8_PS5_S9_mNS0_19identity_decomposerENS1_16block_id_wrapperIjLb0EEEEE10hipError_tT1_PNSt15iterator_traitsISE_E10value_typeET2_T3_PNSF_ISK_E10value_typeET4_T5_PSP_SQ_PNS1_23onesweep_lookback_stateEbbT6_jjT7_P12ihipStream_tbENKUlT_T0_SE_SJ_E_clIS8_S8_S9_S9_EEDaSX_SY_SE_SJ_EUlSX_E_NS1_11comp_targetILNS1_3genE4ELNS1_11target_archE910ELNS1_3gpuE8ELNS1_3repE0EEENS1_47radix_sort_onesweep_sort_config_static_selectorELNS0_4arch9wavefront6targetE1EEEvSE_, .Lfunc_end1839-_ZN7rocprim17ROCPRIM_400000_NS6detail17trampoline_kernelINS0_14default_configENS1_35radix_sort_onesweep_config_selectorIsNS0_10empty_typeEEEZZNS1_29radix_sort_onesweep_iterationIS3_Lb1EPsS8_PS5_S9_mNS0_19identity_decomposerENS1_16block_id_wrapperIjLb0EEEEE10hipError_tT1_PNSt15iterator_traitsISE_E10value_typeET2_T3_PNSF_ISK_E10value_typeET4_T5_PSP_SQ_PNS1_23onesweep_lookback_stateEbbT6_jjT7_P12ihipStream_tbENKUlT_T0_SE_SJ_E_clIS8_S8_S9_S9_EEDaSX_SY_SE_SJ_EUlSX_E_NS1_11comp_targetILNS1_3genE4ELNS1_11target_archE910ELNS1_3gpuE8ELNS1_3repE0EEENS1_47radix_sort_onesweep_sort_config_static_selectorELNS0_4arch9wavefront6targetE1EEEvSE_
                                        ; -- End function
	.section	.AMDGPU.csdata,"",@progbits
; Kernel info:
; codeLenInByte = 16236
; NumSgprs: 48
; NumVgprs: 62
; NumAgprs: 0
; TotalNumVgprs: 62
; ScratchSize: 0
; MemoryBound: 0
; FloatMode: 240
; IeeeMode: 1
; LDSByteSize: 26632 bytes/workgroup (compile time only)
; SGPRBlocks: 5
; VGPRBlocks: 7
; NumSGPRsForWavesPerEU: 48
; NumVGPRsForWavesPerEU: 62
; AccumOffset: 64
; Occupancy: 8
; WaveLimiterHint : 1
; COMPUTE_PGM_RSRC2:SCRATCH_EN: 0
; COMPUTE_PGM_RSRC2:USER_SGPR: 6
; COMPUTE_PGM_RSRC2:TRAP_HANDLER: 0
; COMPUTE_PGM_RSRC2:TGID_X_EN: 1
; COMPUTE_PGM_RSRC2:TGID_Y_EN: 0
; COMPUTE_PGM_RSRC2:TGID_Z_EN: 0
; COMPUTE_PGM_RSRC2:TIDIG_COMP_CNT: 2
; COMPUTE_PGM_RSRC3_GFX90A:ACCUM_OFFSET: 15
; COMPUTE_PGM_RSRC3_GFX90A:TG_SPLIT: 0
	.section	.text._ZN7rocprim17ROCPRIM_400000_NS6detail17trampoline_kernelINS0_14default_configENS1_35radix_sort_onesweep_config_selectorIsNS0_10empty_typeEEEZZNS1_29radix_sort_onesweep_iterationIS3_Lb1EPsS8_PS5_S9_mNS0_19identity_decomposerENS1_16block_id_wrapperIjLb0EEEEE10hipError_tT1_PNSt15iterator_traitsISE_E10value_typeET2_T3_PNSF_ISK_E10value_typeET4_T5_PSP_SQ_PNS1_23onesweep_lookback_stateEbbT6_jjT7_P12ihipStream_tbENKUlT_T0_SE_SJ_E_clIS8_S8_S9_S9_EEDaSX_SY_SE_SJ_EUlSX_E_NS1_11comp_targetILNS1_3genE3ELNS1_11target_archE908ELNS1_3gpuE7ELNS1_3repE0EEENS1_47radix_sort_onesweep_sort_config_static_selectorELNS0_4arch9wavefront6targetE1EEEvSE_,"axG",@progbits,_ZN7rocprim17ROCPRIM_400000_NS6detail17trampoline_kernelINS0_14default_configENS1_35radix_sort_onesweep_config_selectorIsNS0_10empty_typeEEEZZNS1_29radix_sort_onesweep_iterationIS3_Lb1EPsS8_PS5_S9_mNS0_19identity_decomposerENS1_16block_id_wrapperIjLb0EEEEE10hipError_tT1_PNSt15iterator_traitsISE_E10value_typeET2_T3_PNSF_ISK_E10value_typeET4_T5_PSP_SQ_PNS1_23onesweep_lookback_stateEbbT6_jjT7_P12ihipStream_tbENKUlT_T0_SE_SJ_E_clIS8_S8_S9_S9_EEDaSX_SY_SE_SJ_EUlSX_E_NS1_11comp_targetILNS1_3genE3ELNS1_11target_archE908ELNS1_3gpuE7ELNS1_3repE0EEENS1_47radix_sort_onesweep_sort_config_static_selectorELNS0_4arch9wavefront6targetE1EEEvSE_,comdat
	.protected	_ZN7rocprim17ROCPRIM_400000_NS6detail17trampoline_kernelINS0_14default_configENS1_35radix_sort_onesweep_config_selectorIsNS0_10empty_typeEEEZZNS1_29radix_sort_onesweep_iterationIS3_Lb1EPsS8_PS5_S9_mNS0_19identity_decomposerENS1_16block_id_wrapperIjLb0EEEEE10hipError_tT1_PNSt15iterator_traitsISE_E10value_typeET2_T3_PNSF_ISK_E10value_typeET4_T5_PSP_SQ_PNS1_23onesweep_lookback_stateEbbT6_jjT7_P12ihipStream_tbENKUlT_T0_SE_SJ_E_clIS8_S8_S9_S9_EEDaSX_SY_SE_SJ_EUlSX_E_NS1_11comp_targetILNS1_3genE3ELNS1_11target_archE908ELNS1_3gpuE7ELNS1_3repE0EEENS1_47radix_sort_onesweep_sort_config_static_selectorELNS0_4arch9wavefront6targetE1EEEvSE_ ; -- Begin function _ZN7rocprim17ROCPRIM_400000_NS6detail17trampoline_kernelINS0_14default_configENS1_35radix_sort_onesweep_config_selectorIsNS0_10empty_typeEEEZZNS1_29radix_sort_onesweep_iterationIS3_Lb1EPsS8_PS5_S9_mNS0_19identity_decomposerENS1_16block_id_wrapperIjLb0EEEEE10hipError_tT1_PNSt15iterator_traitsISE_E10value_typeET2_T3_PNSF_ISK_E10value_typeET4_T5_PSP_SQ_PNS1_23onesweep_lookback_stateEbbT6_jjT7_P12ihipStream_tbENKUlT_T0_SE_SJ_E_clIS8_S8_S9_S9_EEDaSX_SY_SE_SJ_EUlSX_E_NS1_11comp_targetILNS1_3genE3ELNS1_11target_archE908ELNS1_3gpuE7ELNS1_3repE0EEENS1_47radix_sort_onesweep_sort_config_static_selectorELNS0_4arch9wavefront6targetE1EEEvSE_
	.globl	_ZN7rocprim17ROCPRIM_400000_NS6detail17trampoline_kernelINS0_14default_configENS1_35radix_sort_onesweep_config_selectorIsNS0_10empty_typeEEEZZNS1_29radix_sort_onesweep_iterationIS3_Lb1EPsS8_PS5_S9_mNS0_19identity_decomposerENS1_16block_id_wrapperIjLb0EEEEE10hipError_tT1_PNSt15iterator_traitsISE_E10value_typeET2_T3_PNSF_ISK_E10value_typeET4_T5_PSP_SQ_PNS1_23onesweep_lookback_stateEbbT6_jjT7_P12ihipStream_tbENKUlT_T0_SE_SJ_E_clIS8_S8_S9_S9_EEDaSX_SY_SE_SJ_EUlSX_E_NS1_11comp_targetILNS1_3genE3ELNS1_11target_archE908ELNS1_3gpuE7ELNS1_3repE0EEENS1_47radix_sort_onesweep_sort_config_static_selectorELNS0_4arch9wavefront6targetE1EEEvSE_
	.p2align	8
	.type	_ZN7rocprim17ROCPRIM_400000_NS6detail17trampoline_kernelINS0_14default_configENS1_35radix_sort_onesweep_config_selectorIsNS0_10empty_typeEEEZZNS1_29radix_sort_onesweep_iterationIS3_Lb1EPsS8_PS5_S9_mNS0_19identity_decomposerENS1_16block_id_wrapperIjLb0EEEEE10hipError_tT1_PNSt15iterator_traitsISE_E10value_typeET2_T3_PNSF_ISK_E10value_typeET4_T5_PSP_SQ_PNS1_23onesweep_lookback_stateEbbT6_jjT7_P12ihipStream_tbENKUlT_T0_SE_SJ_E_clIS8_S8_S9_S9_EEDaSX_SY_SE_SJ_EUlSX_E_NS1_11comp_targetILNS1_3genE3ELNS1_11target_archE908ELNS1_3gpuE7ELNS1_3repE0EEENS1_47radix_sort_onesweep_sort_config_static_selectorELNS0_4arch9wavefront6targetE1EEEvSE_,@function
_ZN7rocprim17ROCPRIM_400000_NS6detail17trampoline_kernelINS0_14default_configENS1_35radix_sort_onesweep_config_selectorIsNS0_10empty_typeEEEZZNS1_29radix_sort_onesweep_iterationIS3_Lb1EPsS8_PS5_S9_mNS0_19identity_decomposerENS1_16block_id_wrapperIjLb0EEEEE10hipError_tT1_PNSt15iterator_traitsISE_E10value_typeET2_T3_PNSF_ISK_E10value_typeET4_T5_PSP_SQ_PNS1_23onesweep_lookback_stateEbbT6_jjT7_P12ihipStream_tbENKUlT_T0_SE_SJ_E_clIS8_S8_S9_S9_EEDaSX_SY_SE_SJ_EUlSX_E_NS1_11comp_targetILNS1_3genE3ELNS1_11target_archE908ELNS1_3gpuE7ELNS1_3repE0EEENS1_47radix_sort_onesweep_sort_config_static_selectorELNS0_4arch9wavefront6targetE1EEEvSE_: ; @_ZN7rocprim17ROCPRIM_400000_NS6detail17trampoline_kernelINS0_14default_configENS1_35radix_sort_onesweep_config_selectorIsNS0_10empty_typeEEEZZNS1_29radix_sort_onesweep_iterationIS3_Lb1EPsS8_PS5_S9_mNS0_19identity_decomposerENS1_16block_id_wrapperIjLb0EEEEE10hipError_tT1_PNSt15iterator_traitsISE_E10value_typeET2_T3_PNSF_ISK_E10value_typeET4_T5_PSP_SQ_PNS1_23onesweep_lookback_stateEbbT6_jjT7_P12ihipStream_tbENKUlT_T0_SE_SJ_E_clIS8_S8_S9_S9_EEDaSX_SY_SE_SJ_EUlSX_E_NS1_11comp_targetILNS1_3genE3ELNS1_11target_archE908ELNS1_3gpuE7ELNS1_3repE0EEENS1_47radix_sort_onesweep_sort_config_static_selectorELNS0_4arch9wavefront6targetE1EEEvSE_
; %bb.0:
	.section	.rodata,"a",@progbits
	.p2align	6, 0x0
	.amdhsa_kernel _ZN7rocprim17ROCPRIM_400000_NS6detail17trampoline_kernelINS0_14default_configENS1_35radix_sort_onesweep_config_selectorIsNS0_10empty_typeEEEZZNS1_29radix_sort_onesweep_iterationIS3_Lb1EPsS8_PS5_S9_mNS0_19identity_decomposerENS1_16block_id_wrapperIjLb0EEEEE10hipError_tT1_PNSt15iterator_traitsISE_E10value_typeET2_T3_PNSF_ISK_E10value_typeET4_T5_PSP_SQ_PNS1_23onesweep_lookback_stateEbbT6_jjT7_P12ihipStream_tbENKUlT_T0_SE_SJ_E_clIS8_S8_S9_S9_EEDaSX_SY_SE_SJ_EUlSX_E_NS1_11comp_targetILNS1_3genE3ELNS1_11target_archE908ELNS1_3gpuE7ELNS1_3repE0EEENS1_47radix_sort_onesweep_sort_config_static_selectorELNS0_4arch9wavefront6targetE1EEEvSE_
		.amdhsa_group_segment_fixed_size 0
		.amdhsa_private_segment_fixed_size 0
		.amdhsa_kernarg_size 88
		.amdhsa_user_sgpr_count 6
		.amdhsa_user_sgpr_private_segment_buffer 1
		.amdhsa_user_sgpr_dispatch_ptr 0
		.amdhsa_user_sgpr_queue_ptr 0
		.amdhsa_user_sgpr_kernarg_segment_ptr 1
		.amdhsa_user_sgpr_dispatch_id 0
		.amdhsa_user_sgpr_flat_scratch_init 0
		.amdhsa_user_sgpr_kernarg_preload_length 0
		.amdhsa_user_sgpr_kernarg_preload_offset 0
		.amdhsa_user_sgpr_private_segment_size 0
		.amdhsa_uses_dynamic_stack 0
		.amdhsa_system_sgpr_private_segment_wavefront_offset 0
		.amdhsa_system_sgpr_workgroup_id_x 1
		.amdhsa_system_sgpr_workgroup_id_y 0
		.amdhsa_system_sgpr_workgroup_id_z 0
		.amdhsa_system_sgpr_workgroup_info 0
		.amdhsa_system_vgpr_workitem_id 0
		.amdhsa_next_free_vgpr 1
		.amdhsa_next_free_sgpr 0
		.amdhsa_accum_offset 4
		.amdhsa_reserve_vcc 0
		.amdhsa_reserve_flat_scratch 0
		.amdhsa_float_round_mode_32 0
		.amdhsa_float_round_mode_16_64 0
		.amdhsa_float_denorm_mode_32 3
		.amdhsa_float_denorm_mode_16_64 3
		.amdhsa_dx10_clamp 1
		.amdhsa_ieee_mode 1
		.amdhsa_fp16_overflow 0
		.amdhsa_tg_split 0
		.amdhsa_exception_fp_ieee_invalid_op 0
		.amdhsa_exception_fp_denorm_src 0
		.amdhsa_exception_fp_ieee_div_zero 0
		.amdhsa_exception_fp_ieee_overflow 0
		.amdhsa_exception_fp_ieee_underflow 0
		.amdhsa_exception_fp_ieee_inexact 0
		.amdhsa_exception_int_div_zero 0
	.end_amdhsa_kernel
	.section	.text._ZN7rocprim17ROCPRIM_400000_NS6detail17trampoline_kernelINS0_14default_configENS1_35radix_sort_onesweep_config_selectorIsNS0_10empty_typeEEEZZNS1_29radix_sort_onesweep_iterationIS3_Lb1EPsS8_PS5_S9_mNS0_19identity_decomposerENS1_16block_id_wrapperIjLb0EEEEE10hipError_tT1_PNSt15iterator_traitsISE_E10value_typeET2_T3_PNSF_ISK_E10value_typeET4_T5_PSP_SQ_PNS1_23onesweep_lookback_stateEbbT6_jjT7_P12ihipStream_tbENKUlT_T0_SE_SJ_E_clIS8_S8_S9_S9_EEDaSX_SY_SE_SJ_EUlSX_E_NS1_11comp_targetILNS1_3genE3ELNS1_11target_archE908ELNS1_3gpuE7ELNS1_3repE0EEENS1_47radix_sort_onesweep_sort_config_static_selectorELNS0_4arch9wavefront6targetE1EEEvSE_,"axG",@progbits,_ZN7rocprim17ROCPRIM_400000_NS6detail17trampoline_kernelINS0_14default_configENS1_35radix_sort_onesweep_config_selectorIsNS0_10empty_typeEEEZZNS1_29radix_sort_onesweep_iterationIS3_Lb1EPsS8_PS5_S9_mNS0_19identity_decomposerENS1_16block_id_wrapperIjLb0EEEEE10hipError_tT1_PNSt15iterator_traitsISE_E10value_typeET2_T3_PNSF_ISK_E10value_typeET4_T5_PSP_SQ_PNS1_23onesweep_lookback_stateEbbT6_jjT7_P12ihipStream_tbENKUlT_T0_SE_SJ_E_clIS8_S8_S9_S9_EEDaSX_SY_SE_SJ_EUlSX_E_NS1_11comp_targetILNS1_3genE3ELNS1_11target_archE908ELNS1_3gpuE7ELNS1_3repE0EEENS1_47radix_sort_onesweep_sort_config_static_selectorELNS0_4arch9wavefront6targetE1EEEvSE_,comdat
.Lfunc_end1840:
	.size	_ZN7rocprim17ROCPRIM_400000_NS6detail17trampoline_kernelINS0_14default_configENS1_35radix_sort_onesweep_config_selectorIsNS0_10empty_typeEEEZZNS1_29radix_sort_onesweep_iterationIS3_Lb1EPsS8_PS5_S9_mNS0_19identity_decomposerENS1_16block_id_wrapperIjLb0EEEEE10hipError_tT1_PNSt15iterator_traitsISE_E10value_typeET2_T3_PNSF_ISK_E10value_typeET4_T5_PSP_SQ_PNS1_23onesweep_lookback_stateEbbT6_jjT7_P12ihipStream_tbENKUlT_T0_SE_SJ_E_clIS8_S8_S9_S9_EEDaSX_SY_SE_SJ_EUlSX_E_NS1_11comp_targetILNS1_3genE3ELNS1_11target_archE908ELNS1_3gpuE7ELNS1_3repE0EEENS1_47radix_sort_onesweep_sort_config_static_selectorELNS0_4arch9wavefront6targetE1EEEvSE_, .Lfunc_end1840-_ZN7rocprim17ROCPRIM_400000_NS6detail17trampoline_kernelINS0_14default_configENS1_35radix_sort_onesweep_config_selectorIsNS0_10empty_typeEEEZZNS1_29radix_sort_onesweep_iterationIS3_Lb1EPsS8_PS5_S9_mNS0_19identity_decomposerENS1_16block_id_wrapperIjLb0EEEEE10hipError_tT1_PNSt15iterator_traitsISE_E10value_typeET2_T3_PNSF_ISK_E10value_typeET4_T5_PSP_SQ_PNS1_23onesweep_lookback_stateEbbT6_jjT7_P12ihipStream_tbENKUlT_T0_SE_SJ_E_clIS8_S8_S9_S9_EEDaSX_SY_SE_SJ_EUlSX_E_NS1_11comp_targetILNS1_3genE3ELNS1_11target_archE908ELNS1_3gpuE7ELNS1_3repE0EEENS1_47radix_sort_onesweep_sort_config_static_selectorELNS0_4arch9wavefront6targetE1EEEvSE_
                                        ; -- End function
	.section	.AMDGPU.csdata,"",@progbits
; Kernel info:
; codeLenInByte = 0
; NumSgprs: 4
; NumVgprs: 0
; NumAgprs: 0
; TotalNumVgprs: 0
; ScratchSize: 0
; MemoryBound: 0
; FloatMode: 240
; IeeeMode: 1
; LDSByteSize: 0 bytes/workgroup (compile time only)
; SGPRBlocks: 0
; VGPRBlocks: 0
; NumSGPRsForWavesPerEU: 4
; NumVGPRsForWavesPerEU: 1
; AccumOffset: 4
; Occupancy: 8
; WaveLimiterHint : 0
; COMPUTE_PGM_RSRC2:SCRATCH_EN: 0
; COMPUTE_PGM_RSRC2:USER_SGPR: 6
; COMPUTE_PGM_RSRC2:TRAP_HANDLER: 0
; COMPUTE_PGM_RSRC2:TGID_X_EN: 1
; COMPUTE_PGM_RSRC2:TGID_Y_EN: 0
; COMPUTE_PGM_RSRC2:TGID_Z_EN: 0
; COMPUTE_PGM_RSRC2:TIDIG_COMP_CNT: 0
; COMPUTE_PGM_RSRC3_GFX90A:ACCUM_OFFSET: 0
; COMPUTE_PGM_RSRC3_GFX90A:TG_SPLIT: 0
	.section	.text._ZN7rocprim17ROCPRIM_400000_NS6detail17trampoline_kernelINS0_14default_configENS1_35radix_sort_onesweep_config_selectorIsNS0_10empty_typeEEEZZNS1_29radix_sort_onesweep_iterationIS3_Lb1EPsS8_PS5_S9_mNS0_19identity_decomposerENS1_16block_id_wrapperIjLb0EEEEE10hipError_tT1_PNSt15iterator_traitsISE_E10value_typeET2_T3_PNSF_ISK_E10value_typeET4_T5_PSP_SQ_PNS1_23onesweep_lookback_stateEbbT6_jjT7_P12ihipStream_tbENKUlT_T0_SE_SJ_E_clIS8_S8_S9_S9_EEDaSX_SY_SE_SJ_EUlSX_E_NS1_11comp_targetILNS1_3genE10ELNS1_11target_archE1201ELNS1_3gpuE5ELNS1_3repE0EEENS1_47radix_sort_onesweep_sort_config_static_selectorELNS0_4arch9wavefront6targetE1EEEvSE_,"axG",@progbits,_ZN7rocprim17ROCPRIM_400000_NS6detail17trampoline_kernelINS0_14default_configENS1_35radix_sort_onesweep_config_selectorIsNS0_10empty_typeEEEZZNS1_29radix_sort_onesweep_iterationIS3_Lb1EPsS8_PS5_S9_mNS0_19identity_decomposerENS1_16block_id_wrapperIjLb0EEEEE10hipError_tT1_PNSt15iterator_traitsISE_E10value_typeET2_T3_PNSF_ISK_E10value_typeET4_T5_PSP_SQ_PNS1_23onesweep_lookback_stateEbbT6_jjT7_P12ihipStream_tbENKUlT_T0_SE_SJ_E_clIS8_S8_S9_S9_EEDaSX_SY_SE_SJ_EUlSX_E_NS1_11comp_targetILNS1_3genE10ELNS1_11target_archE1201ELNS1_3gpuE5ELNS1_3repE0EEENS1_47radix_sort_onesweep_sort_config_static_selectorELNS0_4arch9wavefront6targetE1EEEvSE_,comdat
	.protected	_ZN7rocprim17ROCPRIM_400000_NS6detail17trampoline_kernelINS0_14default_configENS1_35radix_sort_onesweep_config_selectorIsNS0_10empty_typeEEEZZNS1_29radix_sort_onesweep_iterationIS3_Lb1EPsS8_PS5_S9_mNS0_19identity_decomposerENS1_16block_id_wrapperIjLb0EEEEE10hipError_tT1_PNSt15iterator_traitsISE_E10value_typeET2_T3_PNSF_ISK_E10value_typeET4_T5_PSP_SQ_PNS1_23onesweep_lookback_stateEbbT6_jjT7_P12ihipStream_tbENKUlT_T0_SE_SJ_E_clIS8_S8_S9_S9_EEDaSX_SY_SE_SJ_EUlSX_E_NS1_11comp_targetILNS1_3genE10ELNS1_11target_archE1201ELNS1_3gpuE5ELNS1_3repE0EEENS1_47radix_sort_onesweep_sort_config_static_selectorELNS0_4arch9wavefront6targetE1EEEvSE_ ; -- Begin function _ZN7rocprim17ROCPRIM_400000_NS6detail17trampoline_kernelINS0_14default_configENS1_35radix_sort_onesweep_config_selectorIsNS0_10empty_typeEEEZZNS1_29radix_sort_onesweep_iterationIS3_Lb1EPsS8_PS5_S9_mNS0_19identity_decomposerENS1_16block_id_wrapperIjLb0EEEEE10hipError_tT1_PNSt15iterator_traitsISE_E10value_typeET2_T3_PNSF_ISK_E10value_typeET4_T5_PSP_SQ_PNS1_23onesweep_lookback_stateEbbT6_jjT7_P12ihipStream_tbENKUlT_T0_SE_SJ_E_clIS8_S8_S9_S9_EEDaSX_SY_SE_SJ_EUlSX_E_NS1_11comp_targetILNS1_3genE10ELNS1_11target_archE1201ELNS1_3gpuE5ELNS1_3repE0EEENS1_47radix_sort_onesweep_sort_config_static_selectorELNS0_4arch9wavefront6targetE1EEEvSE_
	.globl	_ZN7rocprim17ROCPRIM_400000_NS6detail17trampoline_kernelINS0_14default_configENS1_35radix_sort_onesweep_config_selectorIsNS0_10empty_typeEEEZZNS1_29radix_sort_onesweep_iterationIS3_Lb1EPsS8_PS5_S9_mNS0_19identity_decomposerENS1_16block_id_wrapperIjLb0EEEEE10hipError_tT1_PNSt15iterator_traitsISE_E10value_typeET2_T3_PNSF_ISK_E10value_typeET4_T5_PSP_SQ_PNS1_23onesweep_lookback_stateEbbT6_jjT7_P12ihipStream_tbENKUlT_T0_SE_SJ_E_clIS8_S8_S9_S9_EEDaSX_SY_SE_SJ_EUlSX_E_NS1_11comp_targetILNS1_3genE10ELNS1_11target_archE1201ELNS1_3gpuE5ELNS1_3repE0EEENS1_47radix_sort_onesweep_sort_config_static_selectorELNS0_4arch9wavefront6targetE1EEEvSE_
	.p2align	8
	.type	_ZN7rocprim17ROCPRIM_400000_NS6detail17trampoline_kernelINS0_14default_configENS1_35radix_sort_onesweep_config_selectorIsNS0_10empty_typeEEEZZNS1_29radix_sort_onesweep_iterationIS3_Lb1EPsS8_PS5_S9_mNS0_19identity_decomposerENS1_16block_id_wrapperIjLb0EEEEE10hipError_tT1_PNSt15iterator_traitsISE_E10value_typeET2_T3_PNSF_ISK_E10value_typeET4_T5_PSP_SQ_PNS1_23onesweep_lookback_stateEbbT6_jjT7_P12ihipStream_tbENKUlT_T0_SE_SJ_E_clIS8_S8_S9_S9_EEDaSX_SY_SE_SJ_EUlSX_E_NS1_11comp_targetILNS1_3genE10ELNS1_11target_archE1201ELNS1_3gpuE5ELNS1_3repE0EEENS1_47radix_sort_onesweep_sort_config_static_selectorELNS0_4arch9wavefront6targetE1EEEvSE_,@function
_ZN7rocprim17ROCPRIM_400000_NS6detail17trampoline_kernelINS0_14default_configENS1_35radix_sort_onesweep_config_selectorIsNS0_10empty_typeEEEZZNS1_29radix_sort_onesweep_iterationIS3_Lb1EPsS8_PS5_S9_mNS0_19identity_decomposerENS1_16block_id_wrapperIjLb0EEEEE10hipError_tT1_PNSt15iterator_traitsISE_E10value_typeET2_T3_PNSF_ISK_E10value_typeET4_T5_PSP_SQ_PNS1_23onesweep_lookback_stateEbbT6_jjT7_P12ihipStream_tbENKUlT_T0_SE_SJ_E_clIS8_S8_S9_S9_EEDaSX_SY_SE_SJ_EUlSX_E_NS1_11comp_targetILNS1_3genE10ELNS1_11target_archE1201ELNS1_3gpuE5ELNS1_3repE0EEENS1_47radix_sort_onesweep_sort_config_static_selectorELNS0_4arch9wavefront6targetE1EEEvSE_: ; @_ZN7rocprim17ROCPRIM_400000_NS6detail17trampoline_kernelINS0_14default_configENS1_35radix_sort_onesweep_config_selectorIsNS0_10empty_typeEEEZZNS1_29radix_sort_onesweep_iterationIS3_Lb1EPsS8_PS5_S9_mNS0_19identity_decomposerENS1_16block_id_wrapperIjLb0EEEEE10hipError_tT1_PNSt15iterator_traitsISE_E10value_typeET2_T3_PNSF_ISK_E10value_typeET4_T5_PSP_SQ_PNS1_23onesweep_lookback_stateEbbT6_jjT7_P12ihipStream_tbENKUlT_T0_SE_SJ_E_clIS8_S8_S9_S9_EEDaSX_SY_SE_SJ_EUlSX_E_NS1_11comp_targetILNS1_3genE10ELNS1_11target_archE1201ELNS1_3gpuE5ELNS1_3repE0EEENS1_47radix_sort_onesweep_sort_config_static_selectorELNS0_4arch9wavefront6targetE1EEEvSE_
; %bb.0:
	.section	.rodata,"a",@progbits
	.p2align	6, 0x0
	.amdhsa_kernel _ZN7rocprim17ROCPRIM_400000_NS6detail17trampoline_kernelINS0_14default_configENS1_35radix_sort_onesweep_config_selectorIsNS0_10empty_typeEEEZZNS1_29radix_sort_onesweep_iterationIS3_Lb1EPsS8_PS5_S9_mNS0_19identity_decomposerENS1_16block_id_wrapperIjLb0EEEEE10hipError_tT1_PNSt15iterator_traitsISE_E10value_typeET2_T3_PNSF_ISK_E10value_typeET4_T5_PSP_SQ_PNS1_23onesweep_lookback_stateEbbT6_jjT7_P12ihipStream_tbENKUlT_T0_SE_SJ_E_clIS8_S8_S9_S9_EEDaSX_SY_SE_SJ_EUlSX_E_NS1_11comp_targetILNS1_3genE10ELNS1_11target_archE1201ELNS1_3gpuE5ELNS1_3repE0EEENS1_47radix_sort_onesweep_sort_config_static_selectorELNS0_4arch9wavefront6targetE1EEEvSE_
		.amdhsa_group_segment_fixed_size 0
		.amdhsa_private_segment_fixed_size 0
		.amdhsa_kernarg_size 88
		.amdhsa_user_sgpr_count 6
		.amdhsa_user_sgpr_private_segment_buffer 1
		.amdhsa_user_sgpr_dispatch_ptr 0
		.amdhsa_user_sgpr_queue_ptr 0
		.amdhsa_user_sgpr_kernarg_segment_ptr 1
		.amdhsa_user_sgpr_dispatch_id 0
		.amdhsa_user_sgpr_flat_scratch_init 0
		.amdhsa_user_sgpr_kernarg_preload_length 0
		.amdhsa_user_sgpr_kernarg_preload_offset 0
		.amdhsa_user_sgpr_private_segment_size 0
		.amdhsa_uses_dynamic_stack 0
		.amdhsa_system_sgpr_private_segment_wavefront_offset 0
		.amdhsa_system_sgpr_workgroup_id_x 1
		.amdhsa_system_sgpr_workgroup_id_y 0
		.amdhsa_system_sgpr_workgroup_id_z 0
		.amdhsa_system_sgpr_workgroup_info 0
		.amdhsa_system_vgpr_workitem_id 0
		.amdhsa_next_free_vgpr 1
		.amdhsa_next_free_sgpr 0
		.amdhsa_accum_offset 4
		.amdhsa_reserve_vcc 0
		.amdhsa_reserve_flat_scratch 0
		.amdhsa_float_round_mode_32 0
		.amdhsa_float_round_mode_16_64 0
		.amdhsa_float_denorm_mode_32 3
		.amdhsa_float_denorm_mode_16_64 3
		.amdhsa_dx10_clamp 1
		.amdhsa_ieee_mode 1
		.amdhsa_fp16_overflow 0
		.amdhsa_tg_split 0
		.amdhsa_exception_fp_ieee_invalid_op 0
		.amdhsa_exception_fp_denorm_src 0
		.amdhsa_exception_fp_ieee_div_zero 0
		.amdhsa_exception_fp_ieee_overflow 0
		.amdhsa_exception_fp_ieee_underflow 0
		.amdhsa_exception_fp_ieee_inexact 0
		.amdhsa_exception_int_div_zero 0
	.end_amdhsa_kernel
	.section	.text._ZN7rocprim17ROCPRIM_400000_NS6detail17trampoline_kernelINS0_14default_configENS1_35radix_sort_onesweep_config_selectorIsNS0_10empty_typeEEEZZNS1_29radix_sort_onesweep_iterationIS3_Lb1EPsS8_PS5_S9_mNS0_19identity_decomposerENS1_16block_id_wrapperIjLb0EEEEE10hipError_tT1_PNSt15iterator_traitsISE_E10value_typeET2_T3_PNSF_ISK_E10value_typeET4_T5_PSP_SQ_PNS1_23onesweep_lookback_stateEbbT6_jjT7_P12ihipStream_tbENKUlT_T0_SE_SJ_E_clIS8_S8_S9_S9_EEDaSX_SY_SE_SJ_EUlSX_E_NS1_11comp_targetILNS1_3genE10ELNS1_11target_archE1201ELNS1_3gpuE5ELNS1_3repE0EEENS1_47radix_sort_onesweep_sort_config_static_selectorELNS0_4arch9wavefront6targetE1EEEvSE_,"axG",@progbits,_ZN7rocprim17ROCPRIM_400000_NS6detail17trampoline_kernelINS0_14default_configENS1_35radix_sort_onesweep_config_selectorIsNS0_10empty_typeEEEZZNS1_29radix_sort_onesweep_iterationIS3_Lb1EPsS8_PS5_S9_mNS0_19identity_decomposerENS1_16block_id_wrapperIjLb0EEEEE10hipError_tT1_PNSt15iterator_traitsISE_E10value_typeET2_T3_PNSF_ISK_E10value_typeET4_T5_PSP_SQ_PNS1_23onesweep_lookback_stateEbbT6_jjT7_P12ihipStream_tbENKUlT_T0_SE_SJ_E_clIS8_S8_S9_S9_EEDaSX_SY_SE_SJ_EUlSX_E_NS1_11comp_targetILNS1_3genE10ELNS1_11target_archE1201ELNS1_3gpuE5ELNS1_3repE0EEENS1_47radix_sort_onesweep_sort_config_static_selectorELNS0_4arch9wavefront6targetE1EEEvSE_,comdat
.Lfunc_end1841:
	.size	_ZN7rocprim17ROCPRIM_400000_NS6detail17trampoline_kernelINS0_14default_configENS1_35radix_sort_onesweep_config_selectorIsNS0_10empty_typeEEEZZNS1_29radix_sort_onesweep_iterationIS3_Lb1EPsS8_PS5_S9_mNS0_19identity_decomposerENS1_16block_id_wrapperIjLb0EEEEE10hipError_tT1_PNSt15iterator_traitsISE_E10value_typeET2_T3_PNSF_ISK_E10value_typeET4_T5_PSP_SQ_PNS1_23onesweep_lookback_stateEbbT6_jjT7_P12ihipStream_tbENKUlT_T0_SE_SJ_E_clIS8_S8_S9_S9_EEDaSX_SY_SE_SJ_EUlSX_E_NS1_11comp_targetILNS1_3genE10ELNS1_11target_archE1201ELNS1_3gpuE5ELNS1_3repE0EEENS1_47radix_sort_onesweep_sort_config_static_selectorELNS0_4arch9wavefront6targetE1EEEvSE_, .Lfunc_end1841-_ZN7rocprim17ROCPRIM_400000_NS6detail17trampoline_kernelINS0_14default_configENS1_35radix_sort_onesweep_config_selectorIsNS0_10empty_typeEEEZZNS1_29radix_sort_onesweep_iterationIS3_Lb1EPsS8_PS5_S9_mNS0_19identity_decomposerENS1_16block_id_wrapperIjLb0EEEEE10hipError_tT1_PNSt15iterator_traitsISE_E10value_typeET2_T3_PNSF_ISK_E10value_typeET4_T5_PSP_SQ_PNS1_23onesweep_lookback_stateEbbT6_jjT7_P12ihipStream_tbENKUlT_T0_SE_SJ_E_clIS8_S8_S9_S9_EEDaSX_SY_SE_SJ_EUlSX_E_NS1_11comp_targetILNS1_3genE10ELNS1_11target_archE1201ELNS1_3gpuE5ELNS1_3repE0EEENS1_47radix_sort_onesweep_sort_config_static_selectorELNS0_4arch9wavefront6targetE1EEEvSE_
                                        ; -- End function
	.section	.AMDGPU.csdata,"",@progbits
; Kernel info:
; codeLenInByte = 0
; NumSgprs: 4
; NumVgprs: 0
; NumAgprs: 0
; TotalNumVgprs: 0
; ScratchSize: 0
; MemoryBound: 0
; FloatMode: 240
; IeeeMode: 1
; LDSByteSize: 0 bytes/workgroup (compile time only)
; SGPRBlocks: 0
; VGPRBlocks: 0
; NumSGPRsForWavesPerEU: 4
; NumVGPRsForWavesPerEU: 1
; AccumOffset: 4
; Occupancy: 8
; WaveLimiterHint : 0
; COMPUTE_PGM_RSRC2:SCRATCH_EN: 0
; COMPUTE_PGM_RSRC2:USER_SGPR: 6
; COMPUTE_PGM_RSRC2:TRAP_HANDLER: 0
; COMPUTE_PGM_RSRC2:TGID_X_EN: 1
; COMPUTE_PGM_RSRC2:TGID_Y_EN: 0
; COMPUTE_PGM_RSRC2:TGID_Z_EN: 0
; COMPUTE_PGM_RSRC2:TIDIG_COMP_CNT: 0
; COMPUTE_PGM_RSRC3_GFX90A:ACCUM_OFFSET: 0
; COMPUTE_PGM_RSRC3_GFX90A:TG_SPLIT: 0
	.section	.text._ZN7rocprim17ROCPRIM_400000_NS6detail17trampoline_kernelINS0_14default_configENS1_35radix_sort_onesweep_config_selectorIsNS0_10empty_typeEEEZZNS1_29radix_sort_onesweep_iterationIS3_Lb1EPsS8_PS5_S9_mNS0_19identity_decomposerENS1_16block_id_wrapperIjLb0EEEEE10hipError_tT1_PNSt15iterator_traitsISE_E10value_typeET2_T3_PNSF_ISK_E10value_typeET4_T5_PSP_SQ_PNS1_23onesweep_lookback_stateEbbT6_jjT7_P12ihipStream_tbENKUlT_T0_SE_SJ_E_clIS8_S8_S9_S9_EEDaSX_SY_SE_SJ_EUlSX_E_NS1_11comp_targetILNS1_3genE9ELNS1_11target_archE1100ELNS1_3gpuE3ELNS1_3repE0EEENS1_47radix_sort_onesweep_sort_config_static_selectorELNS0_4arch9wavefront6targetE1EEEvSE_,"axG",@progbits,_ZN7rocprim17ROCPRIM_400000_NS6detail17trampoline_kernelINS0_14default_configENS1_35radix_sort_onesweep_config_selectorIsNS0_10empty_typeEEEZZNS1_29radix_sort_onesweep_iterationIS3_Lb1EPsS8_PS5_S9_mNS0_19identity_decomposerENS1_16block_id_wrapperIjLb0EEEEE10hipError_tT1_PNSt15iterator_traitsISE_E10value_typeET2_T3_PNSF_ISK_E10value_typeET4_T5_PSP_SQ_PNS1_23onesweep_lookback_stateEbbT6_jjT7_P12ihipStream_tbENKUlT_T0_SE_SJ_E_clIS8_S8_S9_S9_EEDaSX_SY_SE_SJ_EUlSX_E_NS1_11comp_targetILNS1_3genE9ELNS1_11target_archE1100ELNS1_3gpuE3ELNS1_3repE0EEENS1_47radix_sort_onesweep_sort_config_static_selectorELNS0_4arch9wavefront6targetE1EEEvSE_,comdat
	.protected	_ZN7rocprim17ROCPRIM_400000_NS6detail17trampoline_kernelINS0_14default_configENS1_35radix_sort_onesweep_config_selectorIsNS0_10empty_typeEEEZZNS1_29radix_sort_onesweep_iterationIS3_Lb1EPsS8_PS5_S9_mNS0_19identity_decomposerENS1_16block_id_wrapperIjLb0EEEEE10hipError_tT1_PNSt15iterator_traitsISE_E10value_typeET2_T3_PNSF_ISK_E10value_typeET4_T5_PSP_SQ_PNS1_23onesweep_lookback_stateEbbT6_jjT7_P12ihipStream_tbENKUlT_T0_SE_SJ_E_clIS8_S8_S9_S9_EEDaSX_SY_SE_SJ_EUlSX_E_NS1_11comp_targetILNS1_3genE9ELNS1_11target_archE1100ELNS1_3gpuE3ELNS1_3repE0EEENS1_47radix_sort_onesweep_sort_config_static_selectorELNS0_4arch9wavefront6targetE1EEEvSE_ ; -- Begin function _ZN7rocprim17ROCPRIM_400000_NS6detail17trampoline_kernelINS0_14default_configENS1_35radix_sort_onesweep_config_selectorIsNS0_10empty_typeEEEZZNS1_29radix_sort_onesweep_iterationIS3_Lb1EPsS8_PS5_S9_mNS0_19identity_decomposerENS1_16block_id_wrapperIjLb0EEEEE10hipError_tT1_PNSt15iterator_traitsISE_E10value_typeET2_T3_PNSF_ISK_E10value_typeET4_T5_PSP_SQ_PNS1_23onesweep_lookback_stateEbbT6_jjT7_P12ihipStream_tbENKUlT_T0_SE_SJ_E_clIS8_S8_S9_S9_EEDaSX_SY_SE_SJ_EUlSX_E_NS1_11comp_targetILNS1_3genE9ELNS1_11target_archE1100ELNS1_3gpuE3ELNS1_3repE0EEENS1_47radix_sort_onesweep_sort_config_static_selectorELNS0_4arch9wavefront6targetE1EEEvSE_
	.globl	_ZN7rocprim17ROCPRIM_400000_NS6detail17trampoline_kernelINS0_14default_configENS1_35radix_sort_onesweep_config_selectorIsNS0_10empty_typeEEEZZNS1_29radix_sort_onesweep_iterationIS3_Lb1EPsS8_PS5_S9_mNS0_19identity_decomposerENS1_16block_id_wrapperIjLb0EEEEE10hipError_tT1_PNSt15iterator_traitsISE_E10value_typeET2_T3_PNSF_ISK_E10value_typeET4_T5_PSP_SQ_PNS1_23onesweep_lookback_stateEbbT6_jjT7_P12ihipStream_tbENKUlT_T0_SE_SJ_E_clIS8_S8_S9_S9_EEDaSX_SY_SE_SJ_EUlSX_E_NS1_11comp_targetILNS1_3genE9ELNS1_11target_archE1100ELNS1_3gpuE3ELNS1_3repE0EEENS1_47radix_sort_onesweep_sort_config_static_selectorELNS0_4arch9wavefront6targetE1EEEvSE_
	.p2align	8
	.type	_ZN7rocprim17ROCPRIM_400000_NS6detail17trampoline_kernelINS0_14default_configENS1_35radix_sort_onesweep_config_selectorIsNS0_10empty_typeEEEZZNS1_29radix_sort_onesweep_iterationIS3_Lb1EPsS8_PS5_S9_mNS0_19identity_decomposerENS1_16block_id_wrapperIjLb0EEEEE10hipError_tT1_PNSt15iterator_traitsISE_E10value_typeET2_T3_PNSF_ISK_E10value_typeET4_T5_PSP_SQ_PNS1_23onesweep_lookback_stateEbbT6_jjT7_P12ihipStream_tbENKUlT_T0_SE_SJ_E_clIS8_S8_S9_S9_EEDaSX_SY_SE_SJ_EUlSX_E_NS1_11comp_targetILNS1_3genE9ELNS1_11target_archE1100ELNS1_3gpuE3ELNS1_3repE0EEENS1_47radix_sort_onesweep_sort_config_static_selectorELNS0_4arch9wavefront6targetE1EEEvSE_,@function
_ZN7rocprim17ROCPRIM_400000_NS6detail17trampoline_kernelINS0_14default_configENS1_35radix_sort_onesweep_config_selectorIsNS0_10empty_typeEEEZZNS1_29radix_sort_onesweep_iterationIS3_Lb1EPsS8_PS5_S9_mNS0_19identity_decomposerENS1_16block_id_wrapperIjLb0EEEEE10hipError_tT1_PNSt15iterator_traitsISE_E10value_typeET2_T3_PNSF_ISK_E10value_typeET4_T5_PSP_SQ_PNS1_23onesweep_lookback_stateEbbT6_jjT7_P12ihipStream_tbENKUlT_T0_SE_SJ_E_clIS8_S8_S9_S9_EEDaSX_SY_SE_SJ_EUlSX_E_NS1_11comp_targetILNS1_3genE9ELNS1_11target_archE1100ELNS1_3gpuE3ELNS1_3repE0EEENS1_47radix_sort_onesweep_sort_config_static_selectorELNS0_4arch9wavefront6targetE1EEEvSE_: ; @_ZN7rocprim17ROCPRIM_400000_NS6detail17trampoline_kernelINS0_14default_configENS1_35radix_sort_onesweep_config_selectorIsNS0_10empty_typeEEEZZNS1_29radix_sort_onesweep_iterationIS3_Lb1EPsS8_PS5_S9_mNS0_19identity_decomposerENS1_16block_id_wrapperIjLb0EEEEE10hipError_tT1_PNSt15iterator_traitsISE_E10value_typeET2_T3_PNSF_ISK_E10value_typeET4_T5_PSP_SQ_PNS1_23onesweep_lookback_stateEbbT6_jjT7_P12ihipStream_tbENKUlT_T0_SE_SJ_E_clIS8_S8_S9_S9_EEDaSX_SY_SE_SJ_EUlSX_E_NS1_11comp_targetILNS1_3genE9ELNS1_11target_archE1100ELNS1_3gpuE3ELNS1_3repE0EEENS1_47radix_sort_onesweep_sort_config_static_selectorELNS0_4arch9wavefront6targetE1EEEvSE_
; %bb.0:
	.section	.rodata,"a",@progbits
	.p2align	6, 0x0
	.amdhsa_kernel _ZN7rocprim17ROCPRIM_400000_NS6detail17trampoline_kernelINS0_14default_configENS1_35radix_sort_onesweep_config_selectorIsNS0_10empty_typeEEEZZNS1_29radix_sort_onesweep_iterationIS3_Lb1EPsS8_PS5_S9_mNS0_19identity_decomposerENS1_16block_id_wrapperIjLb0EEEEE10hipError_tT1_PNSt15iterator_traitsISE_E10value_typeET2_T3_PNSF_ISK_E10value_typeET4_T5_PSP_SQ_PNS1_23onesweep_lookback_stateEbbT6_jjT7_P12ihipStream_tbENKUlT_T0_SE_SJ_E_clIS8_S8_S9_S9_EEDaSX_SY_SE_SJ_EUlSX_E_NS1_11comp_targetILNS1_3genE9ELNS1_11target_archE1100ELNS1_3gpuE3ELNS1_3repE0EEENS1_47radix_sort_onesweep_sort_config_static_selectorELNS0_4arch9wavefront6targetE1EEEvSE_
		.amdhsa_group_segment_fixed_size 0
		.amdhsa_private_segment_fixed_size 0
		.amdhsa_kernarg_size 88
		.amdhsa_user_sgpr_count 6
		.amdhsa_user_sgpr_private_segment_buffer 1
		.amdhsa_user_sgpr_dispatch_ptr 0
		.amdhsa_user_sgpr_queue_ptr 0
		.amdhsa_user_sgpr_kernarg_segment_ptr 1
		.amdhsa_user_sgpr_dispatch_id 0
		.amdhsa_user_sgpr_flat_scratch_init 0
		.amdhsa_user_sgpr_kernarg_preload_length 0
		.amdhsa_user_sgpr_kernarg_preload_offset 0
		.amdhsa_user_sgpr_private_segment_size 0
		.amdhsa_uses_dynamic_stack 0
		.amdhsa_system_sgpr_private_segment_wavefront_offset 0
		.amdhsa_system_sgpr_workgroup_id_x 1
		.amdhsa_system_sgpr_workgroup_id_y 0
		.amdhsa_system_sgpr_workgroup_id_z 0
		.amdhsa_system_sgpr_workgroup_info 0
		.amdhsa_system_vgpr_workitem_id 0
		.amdhsa_next_free_vgpr 1
		.amdhsa_next_free_sgpr 0
		.amdhsa_accum_offset 4
		.amdhsa_reserve_vcc 0
		.amdhsa_reserve_flat_scratch 0
		.amdhsa_float_round_mode_32 0
		.amdhsa_float_round_mode_16_64 0
		.amdhsa_float_denorm_mode_32 3
		.amdhsa_float_denorm_mode_16_64 3
		.amdhsa_dx10_clamp 1
		.amdhsa_ieee_mode 1
		.amdhsa_fp16_overflow 0
		.amdhsa_tg_split 0
		.amdhsa_exception_fp_ieee_invalid_op 0
		.amdhsa_exception_fp_denorm_src 0
		.amdhsa_exception_fp_ieee_div_zero 0
		.amdhsa_exception_fp_ieee_overflow 0
		.amdhsa_exception_fp_ieee_underflow 0
		.amdhsa_exception_fp_ieee_inexact 0
		.amdhsa_exception_int_div_zero 0
	.end_amdhsa_kernel
	.section	.text._ZN7rocprim17ROCPRIM_400000_NS6detail17trampoline_kernelINS0_14default_configENS1_35radix_sort_onesweep_config_selectorIsNS0_10empty_typeEEEZZNS1_29radix_sort_onesweep_iterationIS3_Lb1EPsS8_PS5_S9_mNS0_19identity_decomposerENS1_16block_id_wrapperIjLb0EEEEE10hipError_tT1_PNSt15iterator_traitsISE_E10value_typeET2_T3_PNSF_ISK_E10value_typeET4_T5_PSP_SQ_PNS1_23onesweep_lookback_stateEbbT6_jjT7_P12ihipStream_tbENKUlT_T0_SE_SJ_E_clIS8_S8_S9_S9_EEDaSX_SY_SE_SJ_EUlSX_E_NS1_11comp_targetILNS1_3genE9ELNS1_11target_archE1100ELNS1_3gpuE3ELNS1_3repE0EEENS1_47radix_sort_onesweep_sort_config_static_selectorELNS0_4arch9wavefront6targetE1EEEvSE_,"axG",@progbits,_ZN7rocprim17ROCPRIM_400000_NS6detail17trampoline_kernelINS0_14default_configENS1_35radix_sort_onesweep_config_selectorIsNS0_10empty_typeEEEZZNS1_29radix_sort_onesweep_iterationIS3_Lb1EPsS8_PS5_S9_mNS0_19identity_decomposerENS1_16block_id_wrapperIjLb0EEEEE10hipError_tT1_PNSt15iterator_traitsISE_E10value_typeET2_T3_PNSF_ISK_E10value_typeET4_T5_PSP_SQ_PNS1_23onesweep_lookback_stateEbbT6_jjT7_P12ihipStream_tbENKUlT_T0_SE_SJ_E_clIS8_S8_S9_S9_EEDaSX_SY_SE_SJ_EUlSX_E_NS1_11comp_targetILNS1_3genE9ELNS1_11target_archE1100ELNS1_3gpuE3ELNS1_3repE0EEENS1_47radix_sort_onesweep_sort_config_static_selectorELNS0_4arch9wavefront6targetE1EEEvSE_,comdat
.Lfunc_end1842:
	.size	_ZN7rocprim17ROCPRIM_400000_NS6detail17trampoline_kernelINS0_14default_configENS1_35radix_sort_onesweep_config_selectorIsNS0_10empty_typeEEEZZNS1_29radix_sort_onesweep_iterationIS3_Lb1EPsS8_PS5_S9_mNS0_19identity_decomposerENS1_16block_id_wrapperIjLb0EEEEE10hipError_tT1_PNSt15iterator_traitsISE_E10value_typeET2_T3_PNSF_ISK_E10value_typeET4_T5_PSP_SQ_PNS1_23onesweep_lookback_stateEbbT6_jjT7_P12ihipStream_tbENKUlT_T0_SE_SJ_E_clIS8_S8_S9_S9_EEDaSX_SY_SE_SJ_EUlSX_E_NS1_11comp_targetILNS1_3genE9ELNS1_11target_archE1100ELNS1_3gpuE3ELNS1_3repE0EEENS1_47radix_sort_onesweep_sort_config_static_selectorELNS0_4arch9wavefront6targetE1EEEvSE_, .Lfunc_end1842-_ZN7rocprim17ROCPRIM_400000_NS6detail17trampoline_kernelINS0_14default_configENS1_35radix_sort_onesweep_config_selectorIsNS0_10empty_typeEEEZZNS1_29radix_sort_onesweep_iterationIS3_Lb1EPsS8_PS5_S9_mNS0_19identity_decomposerENS1_16block_id_wrapperIjLb0EEEEE10hipError_tT1_PNSt15iterator_traitsISE_E10value_typeET2_T3_PNSF_ISK_E10value_typeET4_T5_PSP_SQ_PNS1_23onesweep_lookback_stateEbbT6_jjT7_P12ihipStream_tbENKUlT_T0_SE_SJ_E_clIS8_S8_S9_S9_EEDaSX_SY_SE_SJ_EUlSX_E_NS1_11comp_targetILNS1_3genE9ELNS1_11target_archE1100ELNS1_3gpuE3ELNS1_3repE0EEENS1_47radix_sort_onesweep_sort_config_static_selectorELNS0_4arch9wavefront6targetE1EEEvSE_
                                        ; -- End function
	.section	.AMDGPU.csdata,"",@progbits
; Kernel info:
; codeLenInByte = 0
; NumSgprs: 4
; NumVgprs: 0
; NumAgprs: 0
; TotalNumVgprs: 0
; ScratchSize: 0
; MemoryBound: 0
; FloatMode: 240
; IeeeMode: 1
; LDSByteSize: 0 bytes/workgroup (compile time only)
; SGPRBlocks: 0
; VGPRBlocks: 0
; NumSGPRsForWavesPerEU: 4
; NumVGPRsForWavesPerEU: 1
; AccumOffset: 4
; Occupancy: 8
; WaveLimiterHint : 0
; COMPUTE_PGM_RSRC2:SCRATCH_EN: 0
; COMPUTE_PGM_RSRC2:USER_SGPR: 6
; COMPUTE_PGM_RSRC2:TRAP_HANDLER: 0
; COMPUTE_PGM_RSRC2:TGID_X_EN: 1
; COMPUTE_PGM_RSRC2:TGID_Y_EN: 0
; COMPUTE_PGM_RSRC2:TGID_Z_EN: 0
; COMPUTE_PGM_RSRC2:TIDIG_COMP_CNT: 0
; COMPUTE_PGM_RSRC3_GFX90A:ACCUM_OFFSET: 0
; COMPUTE_PGM_RSRC3_GFX90A:TG_SPLIT: 0
	.section	.text._ZN7rocprim17ROCPRIM_400000_NS6detail17trampoline_kernelINS0_14default_configENS1_35radix_sort_onesweep_config_selectorIsNS0_10empty_typeEEEZZNS1_29radix_sort_onesweep_iterationIS3_Lb1EPsS8_PS5_S9_mNS0_19identity_decomposerENS1_16block_id_wrapperIjLb0EEEEE10hipError_tT1_PNSt15iterator_traitsISE_E10value_typeET2_T3_PNSF_ISK_E10value_typeET4_T5_PSP_SQ_PNS1_23onesweep_lookback_stateEbbT6_jjT7_P12ihipStream_tbENKUlT_T0_SE_SJ_E_clIS8_S8_S9_S9_EEDaSX_SY_SE_SJ_EUlSX_E_NS1_11comp_targetILNS1_3genE8ELNS1_11target_archE1030ELNS1_3gpuE2ELNS1_3repE0EEENS1_47radix_sort_onesweep_sort_config_static_selectorELNS0_4arch9wavefront6targetE1EEEvSE_,"axG",@progbits,_ZN7rocprim17ROCPRIM_400000_NS6detail17trampoline_kernelINS0_14default_configENS1_35radix_sort_onesweep_config_selectorIsNS0_10empty_typeEEEZZNS1_29radix_sort_onesweep_iterationIS3_Lb1EPsS8_PS5_S9_mNS0_19identity_decomposerENS1_16block_id_wrapperIjLb0EEEEE10hipError_tT1_PNSt15iterator_traitsISE_E10value_typeET2_T3_PNSF_ISK_E10value_typeET4_T5_PSP_SQ_PNS1_23onesweep_lookback_stateEbbT6_jjT7_P12ihipStream_tbENKUlT_T0_SE_SJ_E_clIS8_S8_S9_S9_EEDaSX_SY_SE_SJ_EUlSX_E_NS1_11comp_targetILNS1_3genE8ELNS1_11target_archE1030ELNS1_3gpuE2ELNS1_3repE0EEENS1_47radix_sort_onesweep_sort_config_static_selectorELNS0_4arch9wavefront6targetE1EEEvSE_,comdat
	.protected	_ZN7rocprim17ROCPRIM_400000_NS6detail17trampoline_kernelINS0_14default_configENS1_35radix_sort_onesweep_config_selectorIsNS0_10empty_typeEEEZZNS1_29radix_sort_onesweep_iterationIS3_Lb1EPsS8_PS5_S9_mNS0_19identity_decomposerENS1_16block_id_wrapperIjLb0EEEEE10hipError_tT1_PNSt15iterator_traitsISE_E10value_typeET2_T3_PNSF_ISK_E10value_typeET4_T5_PSP_SQ_PNS1_23onesweep_lookback_stateEbbT6_jjT7_P12ihipStream_tbENKUlT_T0_SE_SJ_E_clIS8_S8_S9_S9_EEDaSX_SY_SE_SJ_EUlSX_E_NS1_11comp_targetILNS1_3genE8ELNS1_11target_archE1030ELNS1_3gpuE2ELNS1_3repE0EEENS1_47radix_sort_onesweep_sort_config_static_selectorELNS0_4arch9wavefront6targetE1EEEvSE_ ; -- Begin function _ZN7rocprim17ROCPRIM_400000_NS6detail17trampoline_kernelINS0_14default_configENS1_35radix_sort_onesweep_config_selectorIsNS0_10empty_typeEEEZZNS1_29radix_sort_onesweep_iterationIS3_Lb1EPsS8_PS5_S9_mNS0_19identity_decomposerENS1_16block_id_wrapperIjLb0EEEEE10hipError_tT1_PNSt15iterator_traitsISE_E10value_typeET2_T3_PNSF_ISK_E10value_typeET4_T5_PSP_SQ_PNS1_23onesweep_lookback_stateEbbT6_jjT7_P12ihipStream_tbENKUlT_T0_SE_SJ_E_clIS8_S8_S9_S9_EEDaSX_SY_SE_SJ_EUlSX_E_NS1_11comp_targetILNS1_3genE8ELNS1_11target_archE1030ELNS1_3gpuE2ELNS1_3repE0EEENS1_47radix_sort_onesweep_sort_config_static_selectorELNS0_4arch9wavefront6targetE1EEEvSE_
	.globl	_ZN7rocprim17ROCPRIM_400000_NS6detail17trampoline_kernelINS0_14default_configENS1_35radix_sort_onesweep_config_selectorIsNS0_10empty_typeEEEZZNS1_29radix_sort_onesweep_iterationIS3_Lb1EPsS8_PS5_S9_mNS0_19identity_decomposerENS1_16block_id_wrapperIjLb0EEEEE10hipError_tT1_PNSt15iterator_traitsISE_E10value_typeET2_T3_PNSF_ISK_E10value_typeET4_T5_PSP_SQ_PNS1_23onesweep_lookback_stateEbbT6_jjT7_P12ihipStream_tbENKUlT_T0_SE_SJ_E_clIS8_S8_S9_S9_EEDaSX_SY_SE_SJ_EUlSX_E_NS1_11comp_targetILNS1_3genE8ELNS1_11target_archE1030ELNS1_3gpuE2ELNS1_3repE0EEENS1_47radix_sort_onesweep_sort_config_static_selectorELNS0_4arch9wavefront6targetE1EEEvSE_
	.p2align	8
	.type	_ZN7rocprim17ROCPRIM_400000_NS6detail17trampoline_kernelINS0_14default_configENS1_35radix_sort_onesweep_config_selectorIsNS0_10empty_typeEEEZZNS1_29radix_sort_onesweep_iterationIS3_Lb1EPsS8_PS5_S9_mNS0_19identity_decomposerENS1_16block_id_wrapperIjLb0EEEEE10hipError_tT1_PNSt15iterator_traitsISE_E10value_typeET2_T3_PNSF_ISK_E10value_typeET4_T5_PSP_SQ_PNS1_23onesweep_lookback_stateEbbT6_jjT7_P12ihipStream_tbENKUlT_T0_SE_SJ_E_clIS8_S8_S9_S9_EEDaSX_SY_SE_SJ_EUlSX_E_NS1_11comp_targetILNS1_3genE8ELNS1_11target_archE1030ELNS1_3gpuE2ELNS1_3repE0EEENS1_47radix_sort_onesweep_sort_config_static_selectorELNS0_4arch9wavefront6targetE1EEEvSE_,@function
_ZN7rocprim17ROCPRIM_400000_NS6detail17trampoline_kernelINS0_14default_configENS1_35radix_sort_onesweep_config_selectorIsNS0_10empty_typeEEEZZNS1_29radix_sort_onesweep_iterationIS3_Lb1EPsS8_PS5_S9_mNS0_19identity_decomposerENS1_16block_id_wrapperIjLb0EEEEE10hipError_tT1_PNSt15iterator_traitsISE_E10value_typeET2_T3_PNSF_ISK_E10value_typeET4_T5_PSP_SQ_PNS1_23onesweep_lookback_stateEbbT6_jjT7_P12ihipStream_tbENKUlT_T0_SE_SJ_E_clIS8_S8_S9_S9_EEDaSX_SY_SE_SJ_EUlSX_E_NS1_11comp_targetILNS1_3genE8ELNS1_11target_archE1030ELNS1_3gpuE2ELNS1_3repE0EEENS1_47radix_sort_onesweep_sort_config_static_selectorELNS0_4arch9wavefront6targetE1EEEvSE_: ; @_ZN7rocprim17ROCPRIM_400000_NS6detail17trampoline_kernelINS0_14default_configENS1_35radix_sort_onesweep_config_selectorIsNS0_10empty_typeEEEZZNS1_29radix_sort_onesweep_iterationIS3_Lb1EPsS8_PS5_S9_mNS0_19identity_decomposerENS1_16block_id_wrapperIjLb0EEEEE10hipError_tT1_PNSt15iterator_traitsISE_E10value_typeET2_T3_PNSF_ISK_E10value_typeET4_T5_PSP_SQ_PNS1_23onesweep_lookback_stateEbbT6_jjT7_P12ihipStream_tbENKUlT_T0_SE_SJ_E_clIS8_S8_S9_S9_EEDaSX_SY_SE_SJ_EUlSX_E_NS1_11comp_targetILNS1_3genE8ELNS1_11target_archE1030ELNS1_3gpuE2ELNS1_3repE0EEENS1_47radix_sort_onesweep_sort_config_static_selectorELNS0_4arch9wavefront6targetE1EEEvSE_
; %bb.0:
	.section	.rodata,"a",@progbits
	.p2align	6, 0x0
	.amdhsa_kernel _ZN7rocprim17ROCPRIM_400000_NS6detail17trampoline_kernelINS0_14default_configENS1_35radix_sort_onesweep_config_selectorIsNS0_10empty_typeEEEZZNS1_29radix_sort_onesweep_iterationIS3_Lb1EPsS8_PS5_S9_mNS0_19identity_decomposerENS1_16block_id_wrapperIjLb0EEEEE10hipError_tT1_PNSt15iterator_traitsISE_E10value_typeET2_T3_PNSF_ISK_E10value_typeET4_T5_PSP_SQ_PNS1_23onesweep_lookback_stateEbbT6_jjT7_P12ihipStream_tbENKUlT_T0_SE_SJ_E_clIS8_S8_S9_S9_EEDaSX_SY_SE_SJ_EUlSX_E_NS1_11comp_targetILNS1_3genE8ELNS1_11target_archE1030ELNS1_3gpuE2ELNS1_3repE0EEENS1_47radix_sort_onesweep_sort_config_static_selectorELNS0_4arch9wavefront6targetE1EEEvSE_
		.amdhsa_group_segment_fixed_size 0
		.amdhsa_private_segment_fixed_size 0
		.amdhsa_kernarg_size 88
		.amdhsa_user_sgpr_count 6
		.amdhsa_user_sgpr_private_segment_buffer 1
		.amdhsa_user_sgpr_dispatch_ptr 0
		.amdhsa_user_sgpr_queue_ptr 0
		.amdhsa_user_sgpr_kernarg_segment_ptr 1
		.amdhsa_user_sgpr_dispatch_id 0
		.amdhsa_user_sgpr_flat_scratch_init 0
		.amdhsa_user_sgpr_kernarg_preload_length 0
		.amdhsa_user_sgpr_kernarg_preload_offset 0
		.amdhsa_user_sgpr_private_segment_size 0
		.amdhsa_uses_dynamic_stack 0
		.amdhsa_system_sgpr_private_segment_wavefront_offset 0
		.amdhsa_system_sgpr_workgroup_id_x 1
		.amdhsa_system_sgpr_workgroup_id_y 0
		.amdhsa_system_sgpr_workgroup_id_z 0
		.amdhsa_system_sgpr_workgroup_info 0
		.amdhsa_system_vgpr_workitem_id 0
		.amdhsa_next_free_vgpr 1
		.amdhsa_next_free_sgpr 0
		.amdhsa_accum_offset 4
		.amdhsa_reserve_vcc 0
		.amdhsa_reserve_flat_scratch 0
		.amdhsa_float_round_mode_32 0
		.amdhsa_float_round_mode_16_64 0
		.amdhsa_float_denorm_mode_32 3
		.amdhsa_float_denorm_mode_16_64 3
		.amdhsa_dx10_clamp 1
		.amdhsa_ieee_mode 1
		.amdhsa_fp16_overflow 0
		.amdhsa_tg_split 0
		.amdhsa_exception_fp_ieee_invalid_op 0
		.amdhsa_exception_fp_denorm_src 0
		.amdhsa_exception_fp_ieee_div_zero 0
		.amdhsa_exception_fp_ieee_overflow 0
		.amdhsa_exception_fp_ieee_underflow 0
		.amdhsa_exception_fp_ieee_inexact 0
		.amdhsa_exception_int_div_zero 0
	.end_amdhsa_kernel
	.section	.text._ZN7rocprim17ROCPRIM_400000_NS6detail17trampoline_kernelINS0_14default_configENS1_35radix_sort_onesweep_config_selectorIsNS0_10empty_typeEEEZZNS1_29radix_sort_onesweep_iterationIS3_Lb1EPsS8_PS5_S9_mNS0_19identity_decomposerENS1_16block_id_wrapperIjLb0EEEEE10hipError_tT1_PNSt15iterator_traitsISE_E10value_typeET2_T3_PNSF_ISK_E10value_typeET4_T5_PSP_SQ_PNS1_23onesweep_lookback_stateEbbT6_jjT7_P12ihipStream_tbENKUlT_T0_SE_SJ_E_clIS8_S8_S9_S9_EEDaSX_SY_SE_SJ_EUlSX_E_NS1_11comp_targetILNS1_3genE8ELNS1_11target_archE1030ELNS1_3gpuE2ELNS1_3repE0EEENS1_47radix_sort_onesweep_sort_config_static_selectorELNS0_4arch9wavefront6targetE1EEEvSE_,"axG",@progbits,_ZN7rocprim17ROCPRIM_400000_NS6detail17trampoline_kernelINS0_14default_configENS1_35radix_sort_onesweep_config_selectorIsNS0_10empty_typeEEEZZNS1_29radix_sort_onesweep_iterationIS3_Lb1EPsS8_PS5_S9_mNS0_19identity_decomposerENS1_16block_id_wrapperIjLb0EEEEE10hipError_tT1_PNSt15iterator_traitsISE_E10value_typeET2_T3_PNSF_ISK_E10value_typeET4_T5_PSP_SQ_PNS1_23onesweep_lookback_stateEbbT6_jjT7_P12ihipStream_tbENKUlT_T0_SE_SJ_E_clIS8_S8_S9_S9_EEDaSX_SY_SE_SJ_EUlSX_E_NS1_11comp_targetILNS1_3genE8ELNS1_11target_archE1030ELNS1_3gpuE2ELNS1_3repE0EEENS1_47radix_sort_onesweep_sort_config_static_selectorELNS0_4arch9wavefront6targetE1EEEvSE_,comdat
.Lfunc_end1843:
	.size	_ZN7rocprim17ROCPRIM_400000_NS6detail17trampoline_kernelINS0_14default_configENS1_35radix_sort_onesweep_config_selectorIsNS0_10empty_typeEEEZZNS1_29radix_sort_onesweep_iterationIS3_Lb1EPsS8_PS5_S9_mNS0_19identity_decomposerENS1_16block_id_wrapperIjLb0EEEEE10hipError_tT1_PNSt15iterator_traitsISE_E10value_typeET2_T3_PNSF_ISK_E10value_typeET4_T5_PSP_SQ_PNS1_23onesweep_lookback_stateEbbT6_jjT7_P12ihipStream_tbENKUlT_T0_SE_SJ_E_clIS8_S8_S9_S9_EEDaSX_SY_SE_SJ_EUlSX_E_NS1_11comp_targetILNS1_3genE8ELNS1_11target_archE1030ELNS1_3gpuE2ELNS1_3repE0EEENS1_47radix_sort_onesweep_sort_config_static_selectorELNS0_4arch9wavefront6targetE1EEEvSE_, .Lfunc_end1843-_ZN7rocprim17ROCPRIM_400000_NS6detail17trampoline_kernelINS0_14default_configENS1_35radix_sort_onesweep_config_selectorIsNS0_10empty_typeEEEZZNS1_29radix_sort_onesweep_iterationIS3_Lb1EPsS8_PS5_S9_mNS0_19identity_decomposerENS1_16block_id_wrapperIjLb0EEEEE10hipError_tT1_PNSt15iterator_traitsISE_E10value_typeET2_T3_PNSF_ISK_E10value_typeET4_T5_PSP_SQ_PNS1_23onesweep_lookback_stateEbbT6_jjT7_P12ihipStream_tbENKUlT_T0_SE_SJ_E_clIS8_S8_S9_S9_EEDaSX_SY_SE_SJ_EUlSX_E_NS1_11comp_targetILNS1_3genE8ELNS1_11target_archE1030ELNS1_3gpuE2ELNS1_3repE0EEENS1_47radix_sort_onesweep_sort_config_static_selectorELNS0_4arch9wavefront6targetE1EEEvSE_
                                        ; -- End function
	.section	.AMDGPU.csdata,"",@progbits
; Kernel info:
; codeLenInByte = 0
; NumSgprs: 4
; NumVgprs: 0
; NumAgprs: 0
; TotalNumVgprs: 0
; ScratchSize: 0
; MemoryBound: 0
; FloatMode: 240
; IeeeMode: 1
; LDSByteSize: 0 bytes/workgroup (compile time only)
; SGPRBlocks: 0
; VGPRBlocks: 0
; NumSGPRsForWavesPerEU: 4
; NumVGPRsForWavesPerEU: 1
; AccumOffset: 4
; Occupancy: 8
; WaveLimiterHint : 0
; COMPUTE_PGM_RSRC2:SCRATCH_EN: 0
; COMPUTE_PGM_RSRC2:USER_SGPR: 6
; COMPUTE_PGM_RSRC2:TRAP_HANDLER: 0
; COMPUTE_PGM_RSRC2:TGID_X_EN: 1
; COMPUTE_PGM_RSRC2:TGID_Y_EN: 0
; COMPUTE_PGM_RSRC2:TGID_Z_EN: 0
; COMPUTE_PGM_RSRC2:TIDIG_COMP_CNT: 0
; COMPUTE_PGM_RSRC3_GFX90A:ACCUM_OFFSET: 0
; COMPUTE_PGM_RSRC3_GFX90A:TG_SPLIT: 0
	.section	.text._ZN7rocprim17ROCPRIM_400000_NS6detail17trampoline_kernelINS0_13kernel_configILj256ELj4ELj4294967295EEENS1_37radix_sort_block_sort_config_selectorItNS0_10empty_typeEEEZNS1_21radix_sort_block_sortIS4_Lb1EPtS9_PS6_SA_NS0_19identity_decomposerEEE10hipError_tT1_T2_T3_T4_jRjT5_jjP12ihipStream_tbEUlT_E_NS1_11comp_targetILNS1_3genE0ELNS1_11target_archE4294967295ELNS1_3gpuE0ELNS1_3repE0EEENS1_44radix_sort_block_sort_config_static_selectorELNS0_4arch9wavefront6targetE1EEEvSD_,"axG",@progbits,_ZN7rocprim17ROCPRIM_400000_NS6detail17trampoline_kernelINS0_13kernel_configILj256ELj4ELj4294967295EEENS1_37radix_sort_block_sort_config_selectorItNS0_10empty_typeEEEZNS1_21radix_sort_block_sortIS4_Lb1EPtS9_PS6_SA_NS0_19identity_decomposerEEE10hipError_tT1_T2_T3_T4_jRjT5_jjP12ihipStream_tbEUlT_E_NS1_11comp_targetILNS1_3genE0ELNS1_11target_archE4294967295ELNS1_3gpuE0ELNS1_3repE0EEENS1_44radix_sort_block_sort_config_static_selectorELNS0_4arch9wavefront6targetE1EEEvSD_,comdat
	.protected	_ZN7rocprim17ROCPRIM_400000_NS6detail17trampoline_kernelINS0_13kernel_configILj256ELj4ELj4294967295EEENS1_37radix_sort_block_sort_config_selectorItNS0_10empty_typeEEEZNS1_21radix_sort_block_sortIS4_Lb1EPtS9_PS6_SA_NS0_19identity_decomposerEEE10hipError_tT1_T2_T3_T4_jRjT5_jjP12ihipStream_tbEUlT_E_NS1_11comp_targetILNS1_3genE0ELNS1_11target_archE4294967295ELNS1_3gpuE0ELNS1_3repE0EEENS1_44radix_sort_block_sort_config_static_selectorELNS0_4arch9wavefront6targetE1EEEvSD_ ; -- Begin function _ZN7rocprim17ROCPRIM_400000_NS6detail17trampoline_kernelINS0_13kernel_configILj256ELj4ELj4294967295EEENS1_37radix_sort_block_sort_config_selectorItNS0_10empty_typeEEEZNS1_21radix_sort_block_sortIS4_Lb1EPtS9_PS6_SA_NS0_19identity_decomposerEEE10hipError_tT1_T2_T3_T4_jRjT5_jjP12ihipStream_tbEUlT_E_NS1_11comp_targetILNS1_3genE0ELNS1_11target_archE4294967295ELNS1_3gpuE0ELNS1_3repE0EEENS1_44radix_sort_block_sort_config_static_selectorELNS0_4arch9wavefront6targetE1EEEvSD_
	.globl	_ZN7rocprim17ROCPRIM_400000_NS6detail17trampoline_kernelINS0_13kernel_configILj256ELj4ELj4294967295EEENS1_37radix_sort_block_sort_config_selectorItNS0_10empty_typeEEEZNS1_21radix_sort_block_sortIS4_Lb1EPtS9_PS6_SA_NS0_19identity_decomposerEEE10hipError_tT1_T2_T3_T4_jRjT5_jjP12ihipStream_tbEUlT_E_NS1_11comp_targetILNS1_3genE0ELNS1_11target_archE4294967295ELNS1_3gpuE0ELNS1_3repE0EEENS1_44radix_sort_block_sort_config_static_selectorELNS0_4arch9wavefront6targetE1EEEvSD_
	.p2align	8
	.type	_ZN7rocprim17ROCPRIM_400000_NS6detail17trampoline_kernelINS0_13kernel_configILj256ELj4ELj4294967295EEENS1_37radix_sort_block_sort_config_selectorItNS0_10empty_typeEEEZNS1_21radix_sort_block_sortIS4_Lb1EPtS9_PS6_SA_NS0_19identity_decomposerEEE10hipError_tT1_T2_T3_T4_jRjT5_jjP12ihipStream_tbEUlT_E_NS1_11comp_targetILNS1_3genE0ELNS1_11target_archE4294967295ELNS1_3gpuE0ELNS1_3repE0EEENS1_44radix_sort_block_sort_config_static_selectorELNS0_4arch9wavefront6targetE1EEEvSD_,@function
_ZN7rocprim17ROCPRIM_400000_NS6detail17trampoline_kernelINS0_13kernel_configILj256ELj4ELj4294967295EEENS1_37radix_sort_block_sort_config_selectorItNS0_10empty_typeEEEZNS1_21radix_sort_block_sortIS4_Lb1EPtS9_PS6_SA_NS0_19identity_decomposerEEE10hipError_tT1_T2_T3_T4_jRjT5_jjP12ihipStream_tbEUlT_E_NS1_11comp_targetILNS1_3genE0ELNS1_11target_archE4294967295ELNS1_3gpuE0ELNS1_3repE0EEENS1_44radix_sort_block_sort_config_static_selectorELNS0_4arch9wavefront6targetE1EEEvSD_: ; @_ZN7rocprim17ROCPRIM_400000_NS6detail17trampoline_kernelINS0_13kernel_configILj256ELj4ELj4294967295EEENS1_37radix_sort_block_sort_config_selectorItNS0_10empty_typeEEEZNS1_21radix_sort_block_sortIS4_Lb1EPtS9_PS6_SA_NS0_19identity_decomposerEEE10hipError_tT1_T2_T3_T4_jRjT5_jjP12ihipStream_tbEUlT_E_NS1_11comp_targetILNS1_3genE0ELNS1_11target_archE4294967295ELNS1_3gpuE0ELNS1_3repE0EEENS1_44radix_sort_block_sort_config_static_selectorELNS0_4arch9wavefront6targetE1EEEvSD_
; %bb.0:
	.section	.rodata,"a",@progbits
	.p2align	6, 0x0
	.amdhsa_kernel _ZN7rocprim17ROCPRIM_400000_NS6detail17trampoline_kernelINS0_13kernel_configILj256ELj4ELj4294967295EEENS1_37radix_sort_block_sort_config_selectorItNS0_10empty_typeEEEZNS1_21radix_sort_block_sortIS4_Lb1EPtS9_PS6_SA_NS0_19identity_decomposerEEE10hipError_tT1_T2_T3_T4_jRjT5_jjP12ihipStream_tbEUlT_E_NS1_11comp_targetILNS1_3genE0ELNS1_11target_archE4294967295ELNS1_3gpuE0ELNS1_3repE0EEENS1_44radix_sort_block_sort_config_static_selectorELNS0_4arch9wavefront6targetE1EEEvSD_
		.amdhsa_group_segment_fixed_size 0
		.amdhsa_private_segment_fixed_size 0
		.amdhsa_kernarg_size 48
		.amdhsa_user_sgpr_count 6
		.amdhsa_user_sgpr_private_segment_buffer 1
		.amdhsa_user_sgpr_dispatch_ptr 0
		.amdhsa_user_sgpr_queue_ptr 0
		.amdhsa_user_sgpr_kernarg_segment_ptr 1
		.amdhsa_user_sgpr_dispatch_id 0
		.amdhsa_user_sgpr_flat_scratch_init 0
		.amdhsa_user_sgpr_kernarg_preload_length 0
		.amdhsa_user_sgpr_kernarg_preload_offset 0
		.amdhsa_user_sgpr_private_segment_size 0
		.amdhsa_uses_dynamic_stack 0
		.amdhsa_system_sgpr_private_segment_wavefront_offset 0
		.amdhsa_system_sgpr_workgroup_id_x 1
		.amdhsa_system_sgpr_workgroup_id_y 0
		.amdhsa_system_sgpr_workgroup_id_z 0
		.amdhsa_system_sgpr_workgroup_info 0
		.amdhsa_system_vgpr_workitem_id 0
		.amdhsa_next_free_vgpr 1
		.amdhsa_next_free_sgpr 0
		.amdhsa_accum_offset 4
		.amdhsa_reserve_vcc 0
		.amdhsa_reserve_flat_scratch 0
		.amdhsa_float_round_mode_32 0
		.amdhsa_float_round_mode_16_64 0
		.amdhsa_float_denorm_mode_32 3
		.amdhsa_float_denorm_mode_16_64 3
		.amdhsa_dx10_clamp 1
		.amdhsa_ieee_mode 1
		.amdhsa_fp16_overflow 0
		.amdhsa_tg_split 0
		.amdhsa_exception_fp_ieee_invalid_op 0
		.amdhsa_exception_fp_denorm_src 0
		.amdhsa_exception_fp_ieee_div_zero 0
		.amdhsa_exception_fp_ieee_overflow 0
		.amdhsa_exception_fp_ieee_underflow 0
		.amdhsa_exception_fp_ieee_inexact 0
		.amdhsa_exception_int_div_zero 0
	.end_amdhsa_kernel
	.section	.text._ZN7rocprim17ROCPRIM_400000_NS6detail17trampoline_kernelINS0_13kernel_configILj256ELj4ELj4294967295EEENS1_37radix_sort_block_sort_config_selectorItNS0_10empty_typeEEEZNS1_21radix_sort_block_sortIS4_Lb1EPtS9_PS6_SA_NS0_19identity_decomposerEEE10hipError_tT1_T2_T3_T4_jRjT5_jjP12ihipStream_tbEUlT_E_NS1_11comp_targetILNS1_3genE0ELNS1_11target_archE4294967295ELNS1_3gpuE0ELNS1_3repE0EEENS1_44radix_sort_block_sort_config_static_selectorELNS0_4arch9wavefront6targetE1EEEvSD_,"axG",@progbits,_ZN7rocprim17ROCPRIM_400000_NS6detail17trampoline_kernelINS0_13kernel_configILj256ELj4ELj4294967295EEENS1_37radix_sort_block_sort_config_selectorItNS0_10empty_typeEEEZNS1_21radix_sort_block_sortIS4_Lb1EPtS9_PS6_SA_NS0_19identity_decomposerEEE10hipError_tT1_T2_T3_T4_jRjT5_jjP12ihipStream_tbEUlT_E_NS1_11comp_targetILNS1_3genE0ELNS1_11target_archE4294967295ELNS1_3gpuE0ELNS1_3repE0EEENS1_44radix_sort_block_sort_config_static_selectorELNS0_4arch9wavefront6targetE1EEEvSD_,comdat
.Lfunc_end1844:
	.size	_ZN7rocprim17ROCPRIM_400000_NS6detail17trampoline_kernelINS0_13kernel_configILj256ELj4ELj4294967295EEENS1_37radix_sort_block_sort_config_selectorItNS0_10empty_typeEEEZNS1_21radix_sort_block_sortIS4_Lb1EPtS9_PS6_SA_NS0_19identity_decomposerEEE10hipError_tT1_T2_T3_T4_jRjT5_jjP12ihipStream_tbEUlT_E_NS1_11comp_targetILNS1_3genE0ELNS1_11target_archE4294967295ELNS1_3gpuE0ELNS1_3repE0EEENS1_44radix_sort_block_sort_config_static_selectorELNS0_4arch9wavefront6targetE1EEEvSD_, .Lfunc_end1844-_ZN7rocprim17ROCPRIM_400000_NS6detail17trampoline_kernelINS0_13kernel_configILj256ELj4ELj4294967295EEENS1_37radix_sort_block_sort_config_selectorItNS0_10empty_typeEEEZNS1_21radix_sort_block_sortIS4_Lb1EPtS9_PS6_SA_NS0_19identity_decomposerEEE10hipError_tT1_T2_T3_T4_jRjT5_jjP12ihipStream_tbEUlT_E_NS1_11comp_targetILNS1_3genE0ELNS1_11target_archE4294967295ELNS1_3gpuE0ELNS1_3repE0EEENS1_44radix_sort_block_sort_config_static_selectorELNS0_4arch9wavefront6targetE1EEEvSD_
                                        ; -- End function
	.section	.AMDGPU.csdata,"",@progbits
; Kernel info:
; codeLenInByte = 0
; NumSgprs: 4
; NumVgprs: 0
; NumAgprs: 0
; TotalNumVgprs: 0
; ScratchSize: 0
; MemoryBound: 0
; FloatMode: 240
; IeeeMode: 1
; LDSByteSize: 0 bytes/workgroup (compile time only)
; SGPRBlocks: 0
; VGPRBlocks: 0
; NumSGPRsForWavesPerEU: 4
; NumVGPRsForWavesPerEU: 1
; AccumOffset: 4
; Occupancy: 8
; WaveLimiterHint : 0
; COMPUTE_PGM_RSRC2:SCRATCH_EN: 0
; COMPUTE_PGM_RSRC2:USER_SGPR: 6
; COMPUTE_PGM_RSRC2:TRAP_HANDLER: 0
; COMPUTE_PGM_RSRC2:TGID_X_EN: 1
; COMPUTE_PGM_RSRC2:TGID_Y_EN: 0
; COMPUTE_PGM_RSRC2:TGID_Z_EN: 0
; COMPUTE_PGM_RSRC2:TIDIG_COMP_CNT: 0
; COMPUTE_PGM_RSRC3_GFX90A:ACCUM_OFFSET: 0
; COMPUTE_PGM_RSRC3_GFX90A:TG_SPLIT: 0
	.section	.text._ZN7rocprim17ROCPRIM_400000_NS6detail17trampoline_kernelINS0_13kernel_configILj256ELj4ELj4294967295EEENS1_37radix_sort_block_sort_config_selectorItNS0_10empty_typeEEEZNS1_21radix_sort_block_sortIS4_Lb1EPtS9_PS6_SA_NS0_19identity_decomposerEEE10hipError_tT1_T2_T3_T4_jRjT5_jjP12ihipStream_tbEUlT_E_NS1_11comp_targetILNS1_3genE5ELNS1_11target_archE942ELNS1_3gpuE9ELNS1_3repE0EEENS1_44radix_sort_block_sort_config_static_selectorELNS0_4arch9wavefront6targetE1EEEvSD_,"axG",@progbits,_ZN7rocprim17ROCPRIM_400000_NS6detail17trampoline_kernelINS0_13kernel_configILj256ELj4ELj4294967295EEENS1_37radix_sort_block_sort_config_selectorItNS0_10empty_typeEEEZNS1_21radix_sort_block_sortIS4_Lb1EPtS9_PS6_SA_NS0_19identity_decomposerEEE10hipError_tT1_T2_T3_T4_jRjT5_jjP12ihipStream_tbEUlT_E_NS1_11comp_targetILNS1_3genE5ELNS1_11target_archE942ELNS1_3gpuE9ELNS1_3repE0EEENS1_44radix_sort_block_sort_config_static_selectorELNS0_4arch9wavefront6targetE1EEEvSD_,comdat
	.protected	_ZN7rocprim17ROCPRIM_400000_NS6detail17trampoline_kernelINS0_13kernel_configILj256ELj4ELj4294967295EEENS1_37radix_sort_block_sort_config_selectorItNS0_10empty_typeEEEZNS1_21radix_sort_block_sortIS4_Lb1EPtS9_PS6_SA_NS0_19identity_decomposerEEE10hipError_tT1_T2_T3_T4_jRjT5_jjP12ihipStream_tbEUlT_E_NS1_11comp_targetILNS1_3genE5ELNS1_11target_archE942ELNS1_3gpuE9ELNS1_3repE0EEENS1_44radix_sort_block_sort_config_static_selectorELNS0_4arch9wavefront6targetE1EEEvSD_ ; -- Begin function _ZN7rocprim17ROCPRIM_400000_NS6detail17trampoline_kernelINS0_13kernel_configILj256ELj4ELj4294967295EEENS1_37radix_sort_block_sort_config_selectorItNS0_10empty_typeEEEZNS1_21radix_sort_block_sortIS4_Lb1EPtS9_PS6_SA_NS0_19identity_decomposerEEE10hipError_tT1_T2_T3_T4_jRjT5_jjP12ihipStream_tbEUlT_E_NS1_11comp_targetILNS1_3genE5ELNS1_11target_archE942ELNS1_3gpuE9ELNS1_3repE0EEENS1_44radix_sort_block_sort_config_static_selectorELNS0_4arch9wavefront6targetE1EEEvSD_
	.globl	_ZN7rocprim17ROCPRIM_400000_NS6detail17trampoline_kernelINS0_13kernel_configILj256ELj4ELj4294967295EEENS1_37radix_sort_block_sort_config_selectorItNS0_10empty_typeEEEZNS1_21radix_sort_block_sortIS4_Lb1EPtS9_PS6_SA_NS0_19identity_decomposerEEE10hipError_tT1_T2_T3_T4_jRjT5_jjP12ihipStream_tbEUlT_E_NS1_11comp_targetILNS1_3genE5ELNS1_11target_archE942ELNS1_3gpuE9ELNS1_3repE0EEENS1_44radix_sort_block_sort_config_static_selectorELNS0_4arch9wavefront6targetE1EEEvSD_
	.p2align	8
	.type	_ZN7rocprim17ROCPRIM_400000_NS6detail17trampoline_kernelINS0_13kernel_configILj256ELj4ELj4294967295EEENS1_37radix_sort_block_sort_config_selectorItNS0_10empty_typeEEEZNS1_21radix_sort_block_sortIS4_Lb1EPtS9_PS6_SA_NS0_19identity_decomposerEEE10hipError_tT1_T2_T3_T4_jRjT5_jjP12ihipStream_tbEUlT_E_NS1_11comp_targetILNS1_3genE5ELNS1_11target_archE942ELNS1_3gpuE9ELNS1_3repE0EEENS1_44radix_sort_block_sort_config_static_selectorELNS0_4arch9wavefront6targetE1EEEvSD_,@function
_ZN7rocprim17ROCPRIM_400000_NS6detail17trampoline_kernelINS0_13kernel_configILj256ELj4ELj4294967295EEENS1_37radix_sort_block_sort_config_selectorItNS0_10empty_typeEEEZNS1_21radix_sort_block_sortIS4_Lb1EPtS9_PS6_SA_NS0_19identity_decomposerEEE10hipError_tT1_T2_T3_T4_jRjT5_jjP12ihipStream_tbEUlT_E_NS1_11comp_targetILNS1_3genE5ELNS1_11target_archE942ELNS1_3gpuE9ELNS1_3repE0EEENS1_44radix_sort_block_sort_config_static_selectorELNS0_4arch9wavefront6targetE1EEEvSD_: ; @_ZN7rocprim17ROCPRIM_400000_NS6detail17trampoline_kernelINS0_13kernel_configILj256ELj4ELj4294967295EEENS1_37radix_sort_block_sort_config_selectorItNS0_10empty_typeEEEZNS1_21radix_sort_block_sortIS4_Lb1EPtS9_PS6_SA_NS0_19identity_decomposerEEE10hipError_tT1_T2_T3_T4_jRjT5_jjP12ihipStream_tbEUlT_E_NS1_11comp_targetILNS1_3genE5ELNS1_11target_archE942ELNS1_3gpuE9ELNS1_3repE0EEENS1_44radix_sort_block_sort_config_static_selectorELNS0_4arch9wavefront6targetE1EEEvSD_
; %bb.0:
	.section	.rodata,"a",@progbits
	.p2align	6, 0x0
	.amdhsa_kernel _ZN7rocprim17ROCPRIM_400000_NS6detail17trampoline_kernelINS0_13kernel_configILj256ELj4ELj4294967295EEENS1_37radix_sort_block_sort_config_selectorItNS0_10empty_typeEEEZNS1_21radix_sort_block_sortIS4_Lb1EPtS9_PS6_SA_NS0_19identity_decomposerEEE10hipError_tT1_T2_T3_T4_jRjT5_jjP12ihipStream_tbEUlT_E_NS1_11comp_targetILNS1_3genE5ELNS1_11target_archE942ELNS1_3gpuE9ELNS1_3repE0EEENS1_44radix_sort_block_sort_config_static_selectorELNS0_4arch9wavefront6targetE1EEEvSD_
		.amdhsa_group_segment_fixed_size 0
		.amdhsa_private_segment_fixed_size 0
		.amdhsa_kernarg_size 48
		.amdhsa_user_sgpr_count 6
		.amdhsa_user_sgpr_private_segment_buffer 1
		.amdhsa_user_sgpr_dispatch_ptr 0
		.amdhsa_user_sgpr_queue_ptr 0
		.amdhsa_user_sgpr_kernarg_segment_ptr 1
		.amdhsa_user_sgpr_dispatch_id 0
		.amdhsa_user_sgpr_flat_scratch_init 0
		.amdhsa_user_sgpr_kernarg_preload_length 0
		.amdhsa_user_sgpr_kernarg_preload_offset 0
		.amdhsa_user_sgpr_private_segment_size 0
		.amdhsa_uses_dynamic_stack 0
		.amdhsa_system_sgpr_private_segment_wavefront_offset 0
		.amdhsa_system_sgpr_workgroup_id_x 1
		.amdhsa_system_sgpr_workgroup_id_y 0
		.amdhsa_system_sgpr_workgroup_id_z 0
		.amdhsa_system_sgpr_workgroup_info 0
		.amdhsa_system_vgpr_workitem_id 0
		.amdhsa_next_free_vgpr 1
		.amdhsa_next_free_sgpr 0
		.amdhsa_accum_offset 4
		.amdhsa_reserve_vcc 0
		.amdhsa_reserve_flat_scratch 0
		.amdhsa_float_round_mode_32 0
		.amdhsa_float_round_mode_16_64 0
		.amdhsa_float_denorm_mode_32 3
		.amdhsa_float_denorm_mode_16_64 3
		.amdhsa_dx10_clamp 1
		.amdhsa_ieee_mode 1
		.amdhsa_fp16_overflow 0
		.amdhsa_tg_split 0
		.amdhsa_exception_fp_ieee_invalid_op 0
		.amdhsa_exception_fp_denorm_src 0
		.amdhsa_exception_fp_ieee_div_zero 0
		.amdhsa_exception_fp_ieee_overflow 0
		.amdhsa_exception_fp_ieee_underflow 0
		.amdhsa_exception_fp_ieee_inexact 0
		.amdhsa_exception_int_div_zero 0
	.end_amdhsa_kernel
	.section	.text._ZN7rocprim17ROCPRIM_400000_NS6detail17trampoline_kernelINS0_13kernel_configILj256ELj4ELj4294967295EEENS1_37radix_sort_block_sort_config_selectorItNS0_10empty_typeEEEZNS1_21radix_sort_block_sortIS4_Lb1EPtS9_PS6_SA_NS0_19identity_decomposerEEE10hipError_tT1_T2_T3_T4_jRjT5_jjP12ihipStream_tbEUlT_E_NS1_11comp_targetILNS1_3genE5ELNS1_11target_archE942ELNS1_3gpuE9ELNS1_3repE0EEENS1_44radix_sort_block_sort_config_static_selectorELNS0_4arch9wavefront6targetE1EEEvSD_,"axG",@progbits,_ZN7rocprim17ROCPRIM_400000_NS6detail17trampoline_kernelINS0_13kernel_configILj256ELj4ELj4294967295EEENS1_37radix_sort_block_sort_config_selectorItNS0_10empty_typeEEEZNS1_21radix_sort_block_sortIS4_Lb1EPtS9_PS6_SA_NS0_19identity_decomposerEEE10hipError_tT1_T2_T3_T4_jRjT5_jjP12ihipStream_tbEUlT_E_NS1_11comp_targetILNS1_3genE5ELNS1_11target_archE942ELNS1_3gpuE9ELNS1_3repE0EEENS1_44radix_sort_block_sort_config_static_selectorELNS0_4arch9wavefront6targetE1EEEvSD_,comdat
.Lfunc_end1845:
	.size	_ZN7rocprim17ROCPRIM_400000_NS6detail17trampoline_kernelINS0_13kernel_configILj256ELj4ELj4294967295EEENS1_37radix_sort_block_sort_config_selectorItNS0_10empty_typeEEEZNS1_21radix_sort_block_sortIS4_Lb1EPtS9_PS6_SA_NS0_19identity_decomposerEEE10hipError_tT1_T2_T3_T4_jRjT5_jjP12ihipStream_tbEUlT_E_NS1_11comp_targetILNS1_3genE5ELNS1_11target_archE942ELNS1_3gpuE9ELNS1_3repE0EEENS1_44radix_sort_block_sort_config_static_selectorELNS0_4arch9wavefront6targetE1EEEvSD_, .Lfunc_end1845-_ZN7rocprim17ROCPRIM_400000_NS6detail17trampoline_kernelINS0_13kernel_configILj256ELj4ELj4294967295EEENS1_37radix_sort_block_sort_config_selectorItNS0_10empty_typeEEEZNS1_21radix_sort_block_sortIS4_Lb1EPtS9_PS6_SA_NS0_19identity_decomposerEEE10hipError_tT1_T2_T3_T4_jRjT5_jjP12ihipStream_tbEUlT_E_NS1_11comp_targetILNS1_3genE5ELNS1_11target_archE942ELNS1_3gpuE9ELNS1_3repE0EEENS1_44radix_sort_block_sort_config_static_selectorELNS0_4arch9wavefront6targetE1EEEvSD_
                                        ; -- End function
	.section	.AMDGPU.csdata,"",@progbits
; Kernel info:
; codeLenInByte = 0
; NumSgprs: 4
; NumVgprs: 0
; NumAgprs: 0
; TotalNumVgprs: 0
; ScratchSize: 0
; MemoryBound: 0
; FloatMode: 240
; IeeeMode: 1
; LDSByteSize: 0 bytes/workgroup (compile time only)
; SGPRBlocks: 0
; VGPRBlocks: 0
; NumSGPRsForWavesPerEU: 4
; NumVGPRsForWavesPerEU: 1
; AccumOffset: 4
; Occupancy: 8
; WaveLimiterHint : 0
; COMPUTE_PGM_RSRC2:SCRATCH_EN: 0
; COMPUTE_PGM_RSRC2:USER_SGPR: 6
; COMPUTE_PGM_RSRC2:TRAP_HANDLER: 0
; COMPUTE_PGM_RSRC2:TGID_X_EN: 1
; COMPUTE_PGM_RSRC2:TGID_Y_EN: 0
; COMPUTE_PGM_RSRC2:TGID_Z_EN: 0
; COMPUTE_PGM_RSRC2:TIDIG_COMP_CNT: 0
; COMPUTE_PGM_RSRC3_GFX90A:ACCUM_OFFSET: 0
; COMPUTE_PGM_RSRC3_GFX90A:TG_SPLIT: 0
	.section	.text._ZN7rocprim17ROCPRIM_400000_NS6detail17trampoline_kernelINS0_13kernel_configILj256ELj4ELj4294967295EEENS1_37radix_sort_block_sort_config_selectorItNS0_10empty_typeEEEZNS1_21radix_sort_block_sortIS4_Lb1EPtS9_PS6_SA_NS0_19identity_decomposerEEE10hipError_tT1_T2_T3_T4_jRjT5_jjP12ihipStream_tbEUlT_E_NS1_11comp_targetILNS1_3genE4ELNS1_11target_archE910ELNS1_3gpuE8ELNS1_3repE0EEENS1_44radix_sort_block_sort_config_static_selectorELNS0_4arch9wavefront6targetE1EEEvSD_,"axG",@progbits,_ZN7rocprim17ROCPRIM_400000_NS6detail17trampoline_kernelINS0_13kernel_configILj256ELj4ELj4294967295EEENS1_37radix_sort_block_sort_config_selectorItNS0_10empty_typeEEEZNS1_21radix_sort_block_sortIS4_Lb1EPtS9_PS6_SA_NS0_19identity_decomposerEEE10hipError_tT1_T2_T3_T4_jRjT5_jjP12ihipStream_tbEUlT_E_NS1_11comp_targetILNS1_3genE4ELNS1_11target_archE910ELNS1_3gpuE8ELNS1_3repE0EEENS1_44radix_sort_block_sort_config_static_selectorELNS0_4arch9wavefront6targetE1EEEvSD_,comdat
	.protected	_ZN7rocprim17ROCPRIM_400000_NS6detail17trampoline_kernelINS0_13kernel_configILj256ELj4ELj4294967295EEENS1_37radix_sort_block_sort_config_selectorItNS0_10empty_typeEEEZNS1_21radix_sort_block_sortIS4_Lb1EPtS9_PS6_SA_NS0_19identity_decomposerEEE10hipError_tT1_T2_T3_T4_jRjT5_jjP12ihipStream_tbEUlT_E_NS1_11comp_targetILNS1_3genE4ELNS1_11target_archE910ELNS1_3gpuE8ELNS1_3repE0EEENS1_44radix_sort_block_sort_config_static_selectorELNS0_4arch9wavefront6targetE1EEEvSD_ ; -- Begin function _ZN7rocprim17ROCPRIM_400000_NS6detail17trampoline_kernelINS0_13kernel_configILj256ELj4ELj4294967295EEENS1_37radix_sort_block_sort_config_selectorItNS0_10empty_typeEEEZNS1_21radix_sort_block_sortIS4_Lb1EPtS9_PS6_SA_NS0_19identity_decomposerEEE10hipError_tT1_T2_T3_T4_jRjT5_jjP12ihipStream_tbEUlT_E_NS1_11comp_targetILNS1_3genE4ELNS1_11target_archE910ELNS1_3gpuE8ELNS1_3repE0EEENS1_44radix_sort_block_sort_config_static_selectorELNS0_4arch9wavefront6targetE1EEEvSD_
	.globl	_ZN7rocprim17ROCPRIM_400000_NS6detail17trampoline_kernelINS0_13kernel_configILj256ELj4ELj4294967295EEENS1_37radix_sort_block_sort_config_selectorItNS0_10empty_typeEEEZNS1_21radix_sort_block_sortIS4_Lb1EPtS9_PS6_SA_NS0_19identity_decomposerEEE10hipError_tT1_T2_T3_T4_jRjT5_jjP12ihipStream_tbEUlT_E_NS1_11comp_targetILNS1_3genE4ELNS1_11target_archE910ELNS1_3gpuE8ELNS1_3repE0EEENS1_44radix_sort_block_sort_config_static_selectorELNS0_4arch9wavefront6targetE1EEEvSD_
	.p2align	8
	.type	_ZN7rocprim17ROCPRIM_400000_NS6detail17trampoline_kernelINS0_13kernel_configILj256ELj4ELj4294967295EEENS1_37radix_sort_block_sort_config_selectorItNS0_10empty_typeEEEZNS1_21radix_sort_block_sortIS4_Lb1EPtS9_PS6_SA_NS0_19identity_decomposerEEE10hipError_tT1_T2_T3_T4_jRjT5_jjP12ihipStream_tbEUlT_E_NS1_11comp_targetILNS1_3genE4ELNS1_11target_archE910ELNS1_3gpuE8ELNS1_3repE0EEENS1_44radix_sort_block_sort_config_static_selectorELNS0_4arch9wavefront6targetE1EEEvSD_,@function
_ZN7rocprim17ROCPRIM_400000_NS6detail17trampoline_kernelINS0_13kernel_configILj256ELj4ELj4294967295EEENS1_37radix_sort_block_sort_config_selectorItNS0_10empty_typeEEEZNS1_21radix_sort_block_sortIS4_Lb1EPtS9_PS6_SA_NS0_19identity_decomposerEEE10hipError_tT1_T2_T3_T4_jRjT5_jjP12ihipStream_tbEUlT_E_NS1_11comp_targetILNS1_3genE4ELNS1_11target_archE910ELNS1_3gpuE8ELNS1_3repE0EEENS1_44radix_sort_block_sort_config_static_selectorELNS0_4arch9wavefront6targetE1EEEvSD_: ; @_ZN7rocprim17ROCPRIM_400000_NS6detail17trampoline_kernelINS0_13kernel_configILj256ELj4ELj4294967295EEENS1_37radix_sort_block_sort_config_selectorItNS0_10empty_typeEEEZNS1_21radix_sort_block_sortIS4_Lb1EPtS9_PS6_SA_NS0_19identity_decomposerEEE10hipError_tT1_T2_T3_T4_jRjT5_jjP12ihipStream_tbEUlT_E_NS1_11comp_targetILNS1_3genE4ELNS1_11target_archE910ELNS1_3gpuE8ELNS1_3repE0EEENS1_44radix_sort_block_sort_config_static_selectorELNS0_4arch9wavefront6targetE1EEEvSD_
; %bb.0:
	s_load_dword s7, s[4:5], 0x20
	s_load_dwordx4 s[28:31], s[4:5], 0x0
	s_lshl_b32 s0, s6, 10
	s_mov_b32 s1, 0
	v_mbcnt_lo_u32_b32 v1, -1, 0
	s_waitcnt lgkmcnt(0)
	s_lshr_b32 s2, s7, 10
	s_cmp_lg_u32 s6, s2
	s_cselect_b64 s[34:35], -1, 0
	s_lshl_b64 s[36:37], s[0:1], 1
	v_mbcnt_hi_u32_b32 v1, -1, v1
	v_and_b32_e32 v4, 0x3ff, v0
	s_add_u32 s1, s28, s36
	v_and_b32_e32 v2, 63, v1
	s_addc_u32 s3, s29, s37
	v_lshlrev_b32_e32 v5, 2, v4
	v_lshlrev_b32_e32 v6, 1, v2
	v_and_b32_e32 v3, 0x300, v5
	v_mov_b32_e32 v7, s3
	v_add_co_u32_e32 v6, vcc, s1, v6
	v_addc_co_u32_e32 v7, vcc, 0, v7, vcc
	v_lshlrev_b32_e32 v8, 1, v3
	v_add_co_u32_e32 v6, vcc, v6, v8
	s_cmp_eq_u32 s6, s2
	v_addc_co_u32_e32 v7, vcc, 0, v7, vcc
	v_or_b32_e32 v9, v2, v3
	s_cbranch_scc1 .LBB1846_2
; %bb.1:
	global_load_ushort v12, v[6:7], off offset:256
	global_load_ushort v13, v[6:7], off offset:384
	global_load_ushort v14, v[6:7], off
	global_load_ushort v15, v[6:7], off offset:128
	s_mov_b32 s1, 0x5040100
	v_or_b32_e32 v16, v2, v3
	v_or_b32_e32 v8, 64, v16
	;; [unrolled: 1-line block ×4, first 2 shown]
	s_waitcnt vmcnt(2)
	v_perm_b32 v3, v13, v12, s1
	s_waitcnt vmcnt(0)
	v_perm_b32 v2, v15, v14, s1
	s_load_dwordx2 s[28:29], s[4:5], 0x28
	s_sub_i32 s33, s7, s0
	s_cbranch_execz .LBB1846_3
	s_branch .LBB1846_12
.LBB1846_2:
                                        ; implicit-def: $vgpr2_vgpr3
                                        ; implicit-def: $vgpr16
                                        ; implicit-def: $vgpr8
                                        ; implicit-def: $vgpr10
                                        ; implicit-def: $vgpr11
	s_load_dwordx2 s[28:29], s[4:5], 0x28
	s_sub_i32 s33, s7, s0
.LBB1846_3:
	s_mov_b32 s0, 0
	s_mov_b32 s1, s0
	v_cmp_gt_u32_e32 vcc, s33, v9
	v_pk_mov_b32 v[2:3], s[0:1], s[0:1] op_sel:[0,1]
	s_and_saveexec_b64 s[0:1], vcc
	s_cbranch_execz .LBB1846_5
; %bb.4:
	global_load_ushort v2, v[6:7], off
	v_mov_b32_e32 v3, 0
	s_waitcnt vmcnt(0)
	v_and_b32_e32 v2, 0xffff, v2
.LBB1846_5:
	s_or_b64 exec, exec, s[0:1]
	v_or_b32_e32 v8, 64, v9
	v_cmp_gt_u32_e32 vcc, s33, v8
	s_and_saveexec_b64 s[0:1], vcc
	s_cbranch_execz .LBB1846_7
; %bb.6:
	global_load_ushort v10, v[6:7], off offset:128
	s_mov_b32 s2, 0x5040100
	s_waitcnt vmcnt(0)
	v_perm_b32 v2, v10, v2, s2
.LBB1846_7:
	s_or_b64 exec, exec, s[0:1]
	v_or_b32_e32 v10, 0x80, v9
	v_cmp_gt_u32_e32 vcc, s33, v10
	s_and_saveexec_b64 s[0:1], vcc
	s_cbranch_execz .LBB1846_9
; %bb.8:
	global_load_ushort v11, v[6:7], off offset:256
	s_mov_b32 s2, 0xffff
	s_waitcnt vmcnt(0)
	v_bfi_b32 v3, s2, v11, v3
.LBB1846_9:
	s_or_b64 exec, exec, s[0:1]
	v_or_b32_e32 v11, 0xc0, v9
	v_cmp_gt_u32_e32 vcc, s33, v11
	s_and_saveexec_b64 s[0:1], vcc
	s_cbranch_execz .LBB1846_11
; %bb.10:
	global_load_ushort v6, v[6:7], off offset:384
	s_mov_b32 s2, 0x5040100
	s_waitcnt vmcnt(0)
	v_perm_b32 v3, v6, v3, s2
.LBB1846_11:
	s_or_b64 exec, exec, s[0:1]
	v_mov_b32_e32 v16, v9
.LBB1846_12:
	s_load_dword s2, s[4:5], 0x3c
	s_waitcnt lgkmcnt(0)
	s_add_i32 s38, s29, s28
	s_getpc_b64 s[0:1]
	s_add_u32 s0, s0, _ZN7rocprim17ROCPRIM_400000_NS16block_radix_sortItLj256ELj4ENS0_10empty_typeELj1ELj1ELj0ELNS0_26block_radix_rank_algorithmE1ELNS0_18block_padding_hintE2ELNS0_4arch9wavefront6targetE1EE19radix_bits_per_passE@rel32@lo+4
	s_addc_u32 s1, s1, _ZN7rocprim17ROCPRIM_400000_NS16block_radix_sortItLj256ELj4ENS0_10empty_typeELj1ELj1ELj0ELNS0_26block_radix_rank_algorithmE1ELNS0_18block_padding_hintE2ELNS0_4arch9wavefront6targetE1EE19radix_bits_per_passE@rel32@hi+12
	s_load_dword s39, s[0:1], 0x0
	v_bfe_u32 v6, v0, 10, 10
	s_lshr_b32 s0, s2, 16
	v_bfe_u32 v0, v0, 20, 10
	s_and_b32 s1, s2, 0xffff
	v_mad_u32_u24 v0, v0, s0, v6
	v_mad_u64_u32 v[6:7], s[0:1], v0, s1, v[4:5]
	v_and_b32_e32 v0, 15, v1
	v_cmp_eq_u32_e64 s[0:1], 0, v0
	v_cmp_lt_u32_e64 s[2:3], 1, v0
	v_cmp_lt_u32_e64 s[4:5], 3, v0
	;; [unrolled: 1-line block ×3, first 2 shown]
	v_and_b32_e32 v0, 16, v1
	v_cmp_eq_u32_e64 s[8:9], 0, v0
	v_and_b32_e32 v0, 0x3c0, v4
	v_min_u32_e32 v0, 0xc0, v0
	v_or_b32_e32 v0, 63, v0
	v_lshrrev_b32_e32 v12, 6, v6
	v_cmp_eq_u32_e64 s[12:13], v0, v4
	v_add_u32_e32 v0, -1, v1
	v_and_b32_e32 v6, 64, v1
	v_cmp_lt_i32_e32 vcc, v0, v6
	v_cndmask_b32_e32 v0, v0, v1, vcc
	s_mov_b32 s26, 0
	v_lshlrev_b32_e32 v13, 2, v0
	v_lshrrev_b32_e32 v0, 4, v4
	v_lshlrev_b32_e32 v5, 2, v5
	v_cmp_lt_u32_e64 s[10:11], 31, v1
	v_cmp_eq_u32_e64 s[18:19], 0, v1
	v_and_b32_e32 v14, 60, v0
	v_mul_i32_i24_e32 v0, -12, v4
	v_and_b32_e32 v1, 3, v1
	s_mov_b32 s27, s26
	s_mov_b32 s40, s26
	;; [unrolled: 1-line block ×3, first 2 shown]
	v_xor_b32_e32 v3, -1, v3
	v_cmp_gt_u32_e64 s[14:15], 4, v4
	v_cmp_lt_u32_e64 s[16:17], 63, v4
	v_cmp_eq_u32_e64 s[20:21], 0, v4
	v_cmp_eq_u32_e64 s[22:23], 0, v1
	v_cmp_lt_u32_e64 s[24:25], 1, v1
	v_add_u32_e32 v15, -4, v14
	v_lshlrev_b32_e32 v16, 1, v16
	v_lshlrev_b32_e32 v17, 1, v8
	;; [unrolled: 1-line block ×4, first 2 shown]
	v_xor_b32_e32 v22, -1, v2
	v_pk_mov_b32 v[6:7], s[26:27], s[26:27] op_sel:[0,1]
	v_pk_mov_b32 v[8:9], s[40:41], s[40:41] op_sel:[0,1]
	v_add_u32_e32 v20, v5, v0
	s_mov_b32 s40, 0x5040100
	v_mov_b32_e32 v10, 0
	s_branch .LBB1846_14
.LBB1846_13:                            ;   in Loop: Header=BB1846_14 Depth=1
	s_barrier
	ds_write_b16 v0, v22
	ds_write_b16 v1, v24
	;; [unrolled: 1-line block ×4, first 2 shown]
	s_waitcnt lgkmcnt(0)
	s_barrier
	ds_read_u16 v3, v16
	ds_read_u16 v22, v17
	;; [unrolled: 1-line block ×4, first 2 shown]
	s_add_i32 s29, s29, -8
	s_waitcnt lgkmcnt(2)
	v_perm_b32 v22, v22, v3, s40
	s_waitcnt lgkmcnt(0)
	v_perm_b32 v3, v25, v23, s40
	s_barrier
	s_cbranch_execz .LBB1846_30
.LBB1846_14:                            ; =>This Inner Loop Header: Depth=1
	s_waitcnt lgkmcnt(0)
	s_min_u32 s26, s39, s29
	s_lshl_b32 s26, -1, s26
	s_not_b32 s41, s26
	v_lshrrev_b32_sdwa v0, s28, v22 dst_sel:DWORD dst_unused:UNUSED_PAD src0_sel:DWORD src1_sel:WORD_0
	v_and_b32_e32 v0, s41, v0
	v_lshl_add_u32 v1, v0, 2, v12
	v_lshl_add_u32 v23, v1, 2, 16
	v_and_b32_e32 v1, 1, v0
	v_add_co_u32_e32 v2, vcc, -1, v1
	v_mov_b32_e32 v21, v3
	v_addc_co_u32_e64 v3, s[26:27], 0, -1, vcc
	v_cmp_ne_u32_e32 vcc, 0, v1
	v_lshlrev_b32_e32 v11, 30, v0
	v_xor_b32_e32 v1, vcc_hi, v3
	v_not_b32_e32 v3, v11
	v_xor_b32_e32 v2, vcc_lo, v2
	v_cmp_gt_i64_e32 vcc, 0, v[10:11]
	v_ashrrev_i32_e32 v3, 31, v3
	v_and_b32_e32 v1, exec_hi, v1
	v_xor_b32_e32 v11, vcc_hi, v3
	v_and_b32_e32 v2, exec_lo, v2
	v_xor_b32_e32 v3, vcc_lo, v3
	v_and_b32_e32 v1, v1, v11
	v_lshlrev_b32_e32 v11, 29, v0
	v_and_b32_e32 v2, v2, v3
	v_not_b32_e32 v3, v11
	v_cmp_gt_i64_e32 vcc, 0, v[10:11]
	v_ashrrev_i32_e32 v3, 31, v3
	v_xor_b32_e32 v11, vcc_hi, v3
	v_xor_b32_e32 v3, vcc_lo, v3
	v_and_b32_e32 v1, v1, v11
	v_lshlrev_b32_e32 v11, 28, v0
	v_and_b32_e32 v2, v2, v3
	v_not_b32_e32 v3, v11
	v_cmp_gt_i64_e32 vcc, 0, v[10:11]
	v_ashrrev_i32_e32 v3, 31, v3
	v_xor_b32_e32 v11, vcc_hi, v3
	;; [unrolled: 8-line block ×5, first 2 shown]
	v_and_b32_e32 v1, v1, v11
	v_lshlrev_b32_e32 v11, 24, v0
	v_not_b32_e32 v0, v11
	v_xor_b32_e32 v3, vcc_lo, v3
	v_cmp_gt_i64_e32 vcc, 0, v[10:11]
	v_ashrrev_i32_e32 v0, 31, v0
	v_and_b32_e32 v2, v2, v3
	v_xor_b32_e32 v3, vcc_hi, v0
	v_xor_b32_e32 v0, vcc_lo, v0
	v_and_b32_e32 v0, v2, v0
	v_and_b32_e32 v1, v1, v3
	v_mbcnt_lo_u32_b32 v2, v0, 0
	v_mbcnt_hi_u32_b32 v25, v1, v2
	v_cmp_eq_u32_e32 vcc, 0, v25
	v_cmp_ne_u64_e64 s[26:27], 0, v[0:1]
	s_and_b64 s[42:43], s[26:27], vcc
	ds_write2_b64 v5, v[6:7], v[8:9] offset0:2 offset1:3
	s_waitcnt lgkmcnt(0)
	s_barrier
	s_waitcnt lgkmcnt(0)
	; wave barrier
	s_and_saveexec_b64 s[26:27], s[42:43]
	s_cbranch_execz .LBB1846_16
; %bb.15:                               ;   in Loop: Header=BB1846_14 Depth=1
	v_bcnt_u32_b32 v0, v0, 0
	v_bcnt_u32_b32 v0, v1, v0
	ds_write_b32 v23, v0
.LBB1846_16:                            ;   in Loop: Header=BB1846_14 Depth=1
	s_or_b64 exec, exec, s[26:27]
	v_lshrrev_b32_e32 v24, 16, v22
	v_lshrrev_b32_e32 v0, s28, v24
	v_and_b32_e32 v0, s41, v0
	v_lshlrev_b32_e32 v1, 2, v0
	v_add_lshl_u32 v1, v1, v12, 2
	; wave barrier
	v_add_u32_e32 v27, 16, v1
	ds_read_b32 v26, v1 offset:16
	v_and_b32_e32 v1, 1, v0
	v_add_co_u32_e32 v2, vcc, -1, v1
	v_addc_co_u32_e64 v3, s[26:27], 0, -1, vcc
	v_cmp_ne_u32_e32 vcc, 0, v1
	v_lshlrev_b32_e32 v11, 30, v0
	v_xor_b32_e32 v1, vcc_hi, v3
	v_not_b32_e32 v3, v11
	v_xor_b32_e32 v2, vcc_lo, v2
	v_cmp_gt_i64_e32 vcc, 0, v[10:11]
	v_ashrrev_i32_e32 v3, 31, v3
	v_and_b32_e32 v1, exec_hi, v1
	v_xor_b32_e32 v11, vcc_hi, v3
	v_and_b32_e32 v2, exec_lo, v2
	v_xor_b32_e32 v3, vcc_lo, v3
	v_and_b32_e32 v1, v1, v11
	v_lshlrev_b32_e32 v11, 29, v0
	v_and_b32_e32 v2, v2, v3
	v_not_b32_e32 v3, v11
	v_cmp_gt_i64_e32 vcc, 0, v[10:11]
	v_ashrrev_i32_e32 v3, 31, v3
	v_xor_b32_e32 v11, vcc_hi, v3
	v_xor_b32_e32 v3, vcc_lo, v3
	v_and_b32_e32 v1, v1, v11
	v_lshlrev_b32_e32 v11, 28, v0
	v_and_b32_e32 v2, v2, v3
	v_not_b32_e32 v3, v11
	v_cmp_gt_i64_e32 vcc, 0, v[10:11]
	v_ashrrev_i32_e32 v3, 31, v3
	v_xor_b32_e32 v11, vcc_hi, v3
	;; [unrolled: 8-line block ×5, first 2 shown]
	v_and_b32_e32 v1, v1, v11
	v_lshlrev_b32_e32 v11, 24, v0
	v_not_b32_e32 v0, v11
	v_xor_b32_e32 v3, vcc_lo, v3
	v_cmp_gt_i64_e32 vcc, 0, v[10:11]
	v_ashrrev_i32_e32 v0, 31, v0
	v_and_b32_e32 v2, v2, v3
	v_xor_b32_e32 v3, vcc_hi, v0
	v_xor_b32_e32 v0, vcc_lo, v0
	v_and_b32_e32 v0, v2, v0
	v_and_b32_e32 v1, v1, v3
	v_mbcnt_lo_u32_b32 v2, v0, 0
	v_mbcnt_hi_u32_b32 v28, v1, v2
	v_cmp_eq_u32_e32 vcc, 0, v28
	v_cmp_ne_u64_e64 s[26:27], 0, v[0:1]
	s_and_b64 s[42:43], s[26:27], vcc
	; wave barrier
	s_and_saveexec_b64 s[26:27], s[42:43]
	s_cbranch_execz .LBB1846_18
; %bb.17:                               ;   in Loop: Header=BB1846_14 Depth=1
	v_bcnt_u32_b32 v0, v0, 0
	v_bcnt_u32_b32 v0, v1, v0
	s_waitcnt lgkmcnt(0)
	v_add_u32_e32 v0, v26, v0
	ds_write_b32 v27, v0
.LBB1846_18:                            ;   in Loop: Header=BB1846_14 Depth=1
	s_or_b64 exec, exec, s[26:27]
	v_lshrrev_b32_sdwa v0, s28, v21 dst_sel:DWORD dst_unused:UNUSED_PAD src0_sel:DWORD src1_sel:WORD_0
	v_and_b32_e32 v0, s41, v0
	v_lshlrev_b32_e32 v1, 2, v0
	v_add_lshl_u32 v1, v1, v12, 2
	; wave barrier
	v_add_u32_e32 v30, 16, v1
	ds_read_b32 v29, v1 offset:16
	v_and_b32_e32 v1, 1, v0
	v_add_co_u32_e32 v2, vcc, -1, v1
	v_addc_co_u32_e64 v3, s[26:27], 0, -1, vcc
	v_cmp_ne_u32_e32 vcc, 0, v1
	v_lshlrev_b32_e32 v11, 30, v0
	v_xor_b32_e32 v1, vcc_hi, v3
	v_not_b32_e32 v3, v11
	v_xor_b32_e32 v2, vcc_lo, v2
	v_cmp_gt_i64_e32 vcc, 0, v[10:11]
	v_ashrrev_i32_e32 v3, 31, v3
	v_and_b32_e32 v1, exec_hi, v1
	v_xor_b32_e32 v11, vcc_hi, v3
	v_and_b32_e32 v2, exec_lo, v2
	v_xor_b32_e32 v3, vcc_lo, v3
	v_and_b32_e32 v1, v1, v11
	v_lshlrev_b32_e32 v11, 29, v0
	v_and_b32_e32 v2, v2, v3
	v_not_b32_e32 v3, v11
	v_cmp_gt_i64_e32 vcc, 0, v[10:11]
	v_ashrrev_i32_e32 v3, 31, v3
	v_xor_b32_e32 v11, vcc_hi, v3
	v_xor_b32_e32 v3, vcc_lo, v3
	v_and_b32_e32 v1, v1, v11
	v_lshlrev_b32_e32 v11, 28, v0
	v_and_b32_e32 v2, v2, v3
	v_not_b32_e32 v3, v11
	v_cmp_gt_i64_e32 vcc, 0, v[10:11]
	v_ashrrev_i32_e32 v3, 31, v3
	v_xor_b32_e32 v11, vcc_hi, v3
	v_xor_b32_e32 v3, vcc_lo, v3
	v_and_b32_e32 v1, v1, v11
	v_lshlrev_b32_e32 v11, 27, v0
	v_and_b32_e32 v2, v2, v3
	v_not_b32_e32 v3, v11
	v_cmp_gt_i64_e32 vcc, 0, v[10:11]
	v_ashrrev_i32_e32 v3, 31, v3
	v_xor_b32_e32 v11, vcc_hi, v3
	v_xor_b32_e32 v3, vcc_lo, v3
	v_and_b32_e32 v1, v1, v11
	v_lshlrev_b32_e32 v11, 26, v0
	v_and_b32_e32 v2, v2, v3
	v_not_b32_e32 v3, v11
	v_cmp_gt_i64_e32 vcc, 0, v[10:11]
	v_ashrrev_i32_e32 v3, 31, v3
	v_xor_b32_e32 v11, vcc_hi, v3
	v_xor_b32_e32 v3, vcc_lo, v3
	v_and_b32_e32 v1, v1, v11
	v_lshlrev_b32_e32 v11, 25, v0
	v_and_b32_e32 v2, v2, v3
	v_not_b32_e32 v3, v11
	v_cmp_gt_i64_e32 vcc, 0, v[10:11]
	v_ashrrev_i32_e32 v3, 31, v3
	v_xor_b32_e32 v11, vcc_hi, v3
	v_and_b32_e32 v1, v1, v11
	v_lshlrev_b32_e32 v11, 24, v0
	v_not_b32_e32 v0, v11
	v_xor_b32_e32 v3, vcc_lo, v3
	v_cmp_gt_i64_e32 vcc, 0, v[10:11]
	v_ashrrev_i32_e32 v0, 31, v0
	v_and_b32_e32 v2, v2, v3
	v_xor_b32_e32 v3, vcc_hi, v0
	v_xor_b32_e32 v0, vcc_lo, v0
	v_and_b32_e32 v0, v2, v0
	v_and_b32_e32 v1, v1, v3
	v_mbcnt_lo_u32_b32 v2, v0, 0
	v_mbcnt_hi_u32_b32 v32, v1, v2
	v_cmp_eq_u32_e32 vcc, 0, v32
	v_cmp_ne_u64_e64 s[26:27], 0, v[0:1]
	s_and_b64 s[42:43], s[26:27], vcc
	; wave barrier
	s_and_saveexec_b64 s[26:27], s[42:43]
	s_cbranch_execz .LBB1846_20
; %bb.19:                               ;   in Loop: Header=BB1846_14 Depth=1
	v_bcnt_u32_b32 v0, v0, 0
	v_bcnt_u32_b32 v0, v1, v0
	s_waitcnt lgkmcnt(0)
	v_add_u32_e32 v0, v29, v0
	ds_write_b32 v30, v0
.LBB1846_20:                            ;   in Loop: Header=BB1846_14 Depth=1
	s_or_b64 exec, exec, s[26:27]
	v_lshrrev_b32_e32 v31, 16, v21
	v_lshrrev_b32_e32 v0, s28, v31
	v_and_b32_e32 v0, s41, v0
	v_lshlrev_b32_e32 v1, 2, v0
	v_add_lshl_u32 v1, v1, v12, 2
	; wave barrier
	v_add_u32_e32 v34, 16, v1
	ds_read_b32 v33, v1 offset:16
	v_and_b32_e32 v1, 1, v0
	v_add_co_u32_e32 v2, vcc, -1, v1
	v_addc_co_u32_e64 v3, s[26:27], 0, -1, vcc
	v_cmp_ne_u32_e32 vcc, 0, v1
	v_lshlrev_b32_e32 v11, 30, v0
	v_xor_b32_e32 v1, vcc_hi, v3
	v_not_b32_e32 v3, v11
	v_xor_b32_e32 v2, vcc_lo, v2
	v_cmp_gt_i64_e32 vcc, 0, v[10:11]
	v_ashrrev_i32_e32 v3, 31, v3
	v_and_b32_e32 v1, exec_hi, v1
	v_xor_b32_e32 v11, vcc_hi, v3
	v_and_b32_e32 v2, exec_lo, v2
	v_xor_b32_e32 v3, vcc_lo, v3
	v_and_b32_e32 v1, v1, v11
	v_lshlrev_b32_e32 v11, 29, v0
	v_and_b32_e32 v2, v2, v3
	v_not_b32_e32 v3, v11
	v_cmp_gt_i64_e32 vcc, 0, v[10:11]
	v_ashrrev_i32_e32 v3, 31, v3
	v_xor_b32_e32 v11, vcc_hi, v3
	v_xor_b32_e32 v3, vcc_lo, v3
	v_and_b32_e32 v1, v1, v11
	v_lshlrev_b32_e32 v11, 28, v0
	v_and_b32_e32 v2, v2, v3
	v_not_b32_e32 v3, v11
	v_cmp_gt_i64_e32 vcc, 0, v[10:11]
	v_ashrrev_i32_e32 v3, 31, v3
	v_xor_b32_e32 v11, vcc_hi, v3
	;; [unrolled: 8-line block ×5, first 2 shown]
	v_and_b32_e32 v1, v1, v11
	v_lshlrev_b32_e32 v11, 24, v0
	v_not_b32_e32 v0, v11
	v_xor_b32_e32 v3, vcc_lo, v3
	v_cmp_gt_i64_e32 vcc, 0, v[10:11]
	v_ashrrev_i32_e32 v0, 31, v0
	v_and_b32_e32 v2, v2, v3
	v_xor_b32_e32 v3, vcc_hi, v0
	v_xor_b32_e32 v0, vcc_lo, v0
	v_and_b32_e32 v0, v2, v0
	v_and_b32_e32 v1, v1, v3
	v_mbcnt_lo_u32_b32 v2, v0, 0
	v_mbcnt_hi_u32_b32 v11, v1, v2
	v_cmp_eq_u32_e32 vcc, 0, v11
	v_cmp_ne_u64_e64 s[26:27], 0, v[0:1]
	s_and_b64 s[42:43], s[26:27], vcc
	; wave barrier
	s_and_saveexec_b64 s[26:27], s[42:43]
	s_cbranch_execz .LBB1846_22
; %bb.21:                               ;   in Loop: Header=BB1846_14 Depth=1
	v_bcnt_u32_b32 v0, v0, 0
	v_bcnt_u32_b32 v0, v1, v0
	s_waitcnt lgkmcnt(0)
	v_add_u32_e32 v0, v33, v0
	ds_write_b32 v34, v0
.LBB1846_22:                            ;   in Loop: Header=BB1846_14 Depth=1
	s_or_b64 exec, exec, s[26:27]
	; wave barrier
	s_waitcnt lgkmcnt(0)
	s_barrier
	ds_read2_b64 v[0:3], v5 offset0:2 offset1:3
	s_waitcnt lgkmcnt(0)
	v_add_u32_e32 v35, v1, v0
	v_add3_u32 v3, v35, v2, v3
	s_nop 1
	v_mov_b32_dpp v35, v3 row_shr:1 row_mask:0xf bank_mask:0xf
	v_cndmask_b32_e64 v35, v35, 0, s[0:1]
	v_add_u32_e32 v3, v35, v3
	s_nop 1
	v_mov_b32_dpp v35, v3 row_shr:2 row_mask:0xf bank_mask:0xf
	v_cndmask_b32_e64 v35, 0, v35, s[2:3]
	v_add_u32_e32 v3, v3, v35
	;; [unrolled: 4-line block ×4, first 2 shown]
	s_nop 1
	v_mov_b32_dpp v35, v3 row_bcast:15 row_mask:0xf bank_mask:0xf
	v_cndmask_b32_e64 v35, v35, 0, s[8:9]
	v_add_u32_e32 v3, v3, v35
	s_nop 1
	v_mov_b32_dpp v35, v3 row_bcast:31 row_mask:0xf bank_mask:0xf
	v_cndmask_b32_e64 v35, 0, v35, s[10:11]
	v_add_u32_e32 v3, v3, v35
	s_and_saveexec_b64 s[26:27], s[12:13]
	s_cbranch_execz .LBB1846_24
; %bb.23:                               ;   in Loop: Header=BB1846_14 Depth=1
	ds_write_b32 v14, v3
.LBB1846_24:                            ;   in Loop: Header=BB1846_14 Depth=1
	s_or_b64 exec, exec, s[26:27]
	s_waitcnt lgkmcnt(0)
	s_barrier
	s_and_saveexec_b64 s[26:27], s[14:15]
	s_cbranch_execz .LBB1846_26
; %bb.25:                               ;   in Loop: Header=BB1846_14 Depth=1
	ds_read_b32 v35, v20
	s_waitcnt lgkmcnt(0)
	s_nop 0
	v_mov_b32_dpp v36, v35 row_shr:1 row_mask:0xf bank_mask:0xf
	v_cndmask_b32_e64 v36, v36, 0, s[22:23]
	v_add_u32_e32 v35, v36, v35
	s_nop 1
	v_mov_b32_dpp v36, v35 row_shr:2 row_mask:0xf bank_mask:0xf
	v_cndmask_b32_e64 v36, 0, v36, s[24:25]
	v_add_u32_e32 v35, v35, v36
	ds_write_b32 v20, v35
.LBB1846_26:                            ;   in Loop: Header=BB1846_14 Depth=1
	s_or_b64 exec, exec, s[26:27]
	v_mov_b32_e32 v36, 0
	s_waitcnt lgkmcnt(0)
	s_barrier
	s_and_saveexec_b64 s[26:27], s[16:17]
	s_cbranch_execz .LBB1846_28
; %bb.27:                               ;   in Loop: Header=BB1846_14 Depth=1
	ds_read_b32 v36, v15
.LBB1846_28:                            ;   in Loop: Header=BB1846_14 Depth=1
	s_or_b64 exec, exec, s[26:27]
	s_waitcnt lgkmcnt(0)
	v_add_u32_e32 v3, v36, v3
	ds_bpermute_b32 v3, v13, v3
	s_add_i32 s28, s28, 8
	v_lshlrev_b32_e32 v11, 1, v11
	v_mov_b32_e32 v35, v22
	s_cmp_ge_u32 s28, s38
	s_waitcnt lgkmcnt(0)
	v_cndmask_b32_e64 v3, v3, v36, s[18:19]
	v_cndmask_b32_e64 v36, v3, 0, s[20:21]
	v_add_u32_e32 v37, v36, v0
	v_add_u32_e32 v0, v37, v1
	;; [unrolled: 1-line block ×3, first 2 shown]
	ds_write2_b64 v5, v[36:37], v[0:1] offset0:2 offset1:3
	s_waitcnt lgkmcnt(0)
	s_barrier
	ds_read_b32 v0, v23
	ds_read_b32 v1, v27
	;; [unrolled: 1-line block ×4, first 2 shown]
	v_lshlrev_b32_e32 v23, 1, v25
	s_waitcnt lgkmcnt(3)
	v_lshl_add_u32 v0, v0, 1, v23
	v_lshlrev_b32_e32 v23, 1, v28
	v_lshlrev_b32_e32 v25, 1, v26
	s_waitcnt lgkmcnt(2)
	v_lshlrev_b32_e32 v1, 1, v1
	v_add3_u32 v1, v23, v25, v1
	v_lshlrev_b32_e32 v23, 1, v32
	v_lshlrev_b32_e32 v25, 1, v29
	s_waitcnt lgkmcnt(1)
	v_lshlrev_b32_e32 v2, 1, v2
	v_add3_u32 v2, v23, v25, v2
	v_lshlrev_b32_e32 v23, 1, v33
	s_waitcnt lgkmcnt(0)
	v_lshlrev_b32_e32 v3, 1, v3
	v_add3_u32 v11, v11, v23, v3
	s_cbranch_scc0 .LBB1846_13
; %bb.29:
                                        ; implicit-def: $vgpr3
                                        ; implicit-def: $vgpr22
                                        ; implicit-def: $sgpr28
.LBB1846_30:
	s_barrier
	ds_write_b16 v0, v35
	ds_write_b16 v1, v24
	;; [unrolled: 1-line block ×4, first 2 shown]
	v_lshlrev_b32_e32 v0, 1, v4
	s_waitcnt lgkmcnt(0)
	s_barrier
	ds_read_u16 v1, v0
	ds_read_u16 v3, v0 offset:512
	ds_read_u16 v7, v0 offset:1024
	;; [unrolled: 1-line block ×3, first 2 shown]
	s_add_u32 s0, s30, s36
	s_addc_u32 s1, s31, s37
	s_waitcnt lgkmcnt(3)
	v_xor_b32_e32 v6, -1, v1
	v_mov_b32_e32 v1, s1
	v_add_co_u32_e64 v0, s[0:1], s0, v0
	s_waitcnt lgkmcnt(2)
	v_xor_b32_e32 v5, -1, v3
	s_waitcnt lgkmcnt(1)
	v_xor_b32_e32 v3, -1, v7
	s_andn2_b64 vcc, exec, s[34:35]
	v_addc_co_u32_e64 v1, s[0:1], 0, v1, s[0:1]
	s_cbranch_vccnz .LBB1846_32
; %bb.31:
	s_mov_b64 s[0:1], -1
	global_store_short v[0:1], v6, off
	global_store_short v[0:1], v5, off offset:512
	global_store_short v[0:1], v3, off offset:1024
	s_cbranch_execz .LBB1846_33
	s_branch .LBB1846_40
.LBB1846_32:
	s_mov_b64 s[0:1], 0
.LBB1846_33:
	v_cmp_gt_u32_e32 vcc, s33, v4
	s_and_saveexec_b64 s[0:1], vcc
	s_cbranch_execz .LBB1846_35
; %bb.34:
	global_store_short v[0:1], v6, off
.LBB1846_35:
	s_or_b64 exec, exec, s[0:1]
	v_add_u32_e32 v6, 0x100, v4
	v_cmp_gt_u32_e32 vcc, s33, v6
	s_and_saveexec_b64 s[0:1], vcc
	s_cbranch_execz .LBB1846_37
; %bb.36:
	global_store_short v[0:1], v5, off offset:512
.LBB1846_37:
	s_or_b64 exec, exec, s[0:1]
	v_add_u32_e32 v5, 0x200, v4
	v_cmp_gt_u32_e32 vcc, s33, v5
	s_and_saveexec_b64 s[0:1], vcc
	s_cbranch_execz .LBB1846_39
; %bb.38:
	global_store_short v[0:1], v3, off offset:1024
.LBB1846_39:
	s_or_b64 exec, exec, s[0:1]
	v_add_u32_e32 v3, 0x300, v4
	v_cmp_gt_u32_e64 s[0:1], s33, v3
.LBB1846_40:
	s_and_saveexec_b64 s[2:3], s[0:1]
	s_cbranch_execnz .LBB1846_42
; %bb.41:
	s_endpgm
.LBB1846_42:
	s_waitcnt lgkmcnt(0)
	v_xor_b32_e32 v2, -1, v2
	global_store_short v[0:1], v2, off offset:1536
	s_endpgm
	.section	.rodata,"a",@progbits
	.p2align	6, 0x0
	.amdhsa_kernel _ZN7rocprim17ROCPRIM_400000_NS6detail17trampoline_kernelINS0_13kernel_configILj256ELj4ELj4294967295EEENS1_37radix_sort_block_sort_config_selectorItNS0_10empty_typeEEEZNS1_21radix_sort_block_sortIS4_Lb1EPtS9_PS6_SA_NS0_19identity_decomposerEEE10hipError_tT1_T2_T3_T4_jRjT5_jjP12ihipStream_tbEUlT_E_NS1_11comp_targetILNS1_3genE4ELNS1_11target_archE910ELNS1_3gpuE8ELNS1_3repE0EEENS1_44radix_sort_block_sort_config_static_selectorELNS0_4arch9wavefront6targetE1EEEvSD_
		.amdhsa_group_segment_fixed_size 4112
		.amdhsa_private_segment_fixed_size 0
		.amdhsa_kernarg_size 304
		.amdhsa_user_sgpr_count 6
		.amdhsa_user_sgpr_private_segment_buffer 1
		.amdhsa_user_sgpr_dispatch_ptr 0
		.amdhsa_user_sgpr_queue_ptr 0
		.amdhsa_user_sgpr_kernarg_segment_ptr 1
		.amdhsa_user_sgpr_dispatch_id 0
		.amdhsa_user_sgpr_flat_scratch_init 0
		.amdhsa_user_sgpr_kernarg_preload_length 0
		.amdhsa_user_sgpr_kernarg_preload_offset 0
		.amdhsa_user_sgpr_private_segment_size 0
		.amdhsa_uses_dynamic_stack 0
		.amdhsa_system_sgpr_private_segment_wavefront_offset 0
		.amdhsa_system_sgpr_workgroup_id_x 1
		.amdhsa_system_sgpr_workgroup_id_y 0
		.amdhsa_system_sgpr_workgroup_id_z 0
		.amdhsa_system_sgpr_workgroup_info 0
		.amdhsa_system_vgpr_workitem_id 2
		.amdhsa_next_free_vgpr 38
		.amdhsa_next_free_sgpr 44
		.amdhsa_accum_offset 40
		.amdhsa_reserve_vcc 1
		.amdhsa_reserve_flat_scratch 0
		.amdhsa_float_round_mode_32 0
		.amdhsa_float_round_mode_16_64 0
		.amdhsa_float_denorm_mode_32 3
		.amdhsa_float_denorm_mode_16_64 3
		.amdhsa_dx10_clamp 1
		.amdhsa_ieee_mode 1
		.amdhsa_fp16_overflow 0
		.amdhsa_tg_split 0
		.amdhsa_exception_fp_ieee_invalid_op 0
		.amdhsa_exception_fp_denorm_src 0
		.amdhsa_exception_fp_ieee_div_zero 0
		.amdhsa_exception_fp_ieee_overflow 0
		.amdhsa_exception_fp_ieee_underflow 0
		.amdhsa_exception_fp_ieee_inexact 0
		.amdhsa_exception_int_div_zero 0
	.end_amdhsa_kernel
	.section	.text._ZN7rocprim17ROCPRIM_400000_NS6detail17trampoline_kernelINS0_13kernel_configILj256ELj4ELj4294967295EEENS1_37radix_sort_block_sort_config_selectorItNS0_10empty_typeEEEZNS1_21radix_sort_block_sortIS4_Lb1EPtS9_PS6_SA_NS0_19identity_decomposerEEE10hipError_tT1_T2_T3_T4_jRjT5_jjP12ihipStream_tbEUlT_E_NS1_11comp_targetILNS1_3genE4ELNS1_11target_archE910ELNS1_3gpuE8ELNS1_3repE0EEENS1_44radix_sort_block_sort_config_static_selectorELNS0_4arch9wavefront6targetE1EEEvSD_,"axG",@progbits,_ZN7rocprim17ROCPRIM_400000_NS6detail17trampoline_kernelINS0_13kernel_configILj256ELj4ELj4294967295EEENS1_37radix_sort_block_sort_config_selectorItNS0_10empty_typeEEEZNS1_21radix_sort_block_sortIS4_Lb1EPtS9_PS6_SA_NS0_19identity_decomposerEEE10hipError_tT1_T2_T3_T4_jRjT5_jjP12ihipStream_tbEUlT_E_NS1_11comp_targetILNS1_3genE4ELNS1_11target_archE910ELNS1_3gpuE8ELNS1_3repE0EEENS1_44radix_sort_block_sort_config_static_selectorELNS0_4arch9wavefront6targetE1EEEvSD_,comdat
.Lfunc_end1846:
	.size	_ZN7rocprim17ROCPRIM_400000_NS6detail17trampoline_kernelINS0_13kernel_configILj256ELj4ELj4294967295EEENS1_37radix_sort_block_sort_config_selectorItNS0_10empty_typeEEEZNS1_21radix_sort_block_sortIS4_Lb1EPtS9_PS6_SA_NS0_19identity_decomposerEEE10hipError_tT1_T2_T3_T4_jRjT5_jjP12ihipStream_tbEUlT_E_NS1_11comp_targetILNS1_3genE4ELNS1_11target_archE910ELNS1_3gpuE8ELNS1_3repE0EEENS1_44radix_sort_block_sort_config_static_selectorELNS0_4arch9wavefront6targetE1EEEvSD_, .Lfunc_end1846-_ZN7rocprim17ROCPRIM_400000_NS6detail17trampoline_kernelINS0_13kernel_configILj256ELj4ELj4294967295EEENS1_37radix_sort_block_sort_config_selectorItNS0_10empty_typeEEEZNS1_21radix_sort_block_sortIS4_Lb1EPtS9_PS6_SA_NS0_19identity_decomposerEEE10hipError_tT1_T2_T3_T4_jRjT5_jjP12ihipStream_tbEUlT_E_NS1_11comp_targetILNS1_3genE4ELNS1_11target_archE910ELNS1_3gpuE8ELNS1_3repE0EEENS1_44radix_sort_block_sort_config_static_selectorELNS0_4arch9wavefront6targetE1EEEvSD_
                                        ; -- End function
	.section	.AMDGPU.csdata,"",@progbits
; Kernel info:
; codeLenInByte = 3264
; NumSgprs: 48
; NumVgprs: 38
; NumAgprs: 0
; TotalNumVgprs: 38
; ScratchSize: 0
; MemoryBound: 0
; FloatMode: 240
; IeeeMode: 1
; LDSByteSize: 4112 bytes/workgroup (compile time only)
; SGPRBlocks: 5
; VGPRBlocks: 4
; NumSGPRsForWavesPerEU: 48
; NumVGPRsForWavesPerEU: 38
; AccumOffset: 40
; Occupancy: 8
; WaveLimiterHint : 1
; COMPUTE_PGM_RSRC2:SCRATCH_EN: 0
; COMPUTE_PGM_RSRC2:USER_SGPR: 6
; COMPUTE_PGM_RSRC2:TRAP_HANDLER: 0
; COMPUTE_PGM_RSRC2:TGID_X_EN: 1
; COMPUTE_PGM_RSRC2:TGID_Y_EN: 0
; COMPUTE_PGM_RSRC2:TGID_Z_EN: 0
; COMPUTE_PGM_RSRC2:TIDIG_COMP_CNT: 2
; COMPUTE_PGM_RSRC3_GFX90A:ACCUM_OFFSET: 9
; COMPUTE_PGM_RSRC3_GFX90A:TG_SPLIT: 0
	.section	.text._ZN7rocprim17ROCPRIM_400000_NS6detail17trampoline_kernelINS0_13kernel_configILj256ELj4ELj4294967295EEENS1_37radix_sort_block_sort_config_selectorItNS0_10empty_typeEEEZNS1_21radix_sort_block_sortIS4_Lb1EPtS9_PS6_SA_NS0_19identity_decomposerEEE10hipError_tT1_T2_T3_T4_jRjT5_jjP12ihipStream_tbEUlT_E_NS1_11comp_targetILNS1_3genE3ELNS1_11target_archE908ELNS1_3gpuE7ELNS1_3repE0EEENS1_44radix_sort_block_sort_config_static_selectorELNS0_4arch9wavefront6targetE1EEEvSD_,"axG",@progbits,_ZN7rocprim17ROCPRIM_400000_NS6detail17trampoline_kernelINS0_13kernel_configILj256ELj4ELj4294967295EEENS1_37radix_sort_block_sort_config_selectorItNS0_10empty_typeEEEZNS1_21radix_sort_block_sortIS4_Lb1EPtS9_PS6_SA_NS0_19identity_decomposerEEE10hipError_tT1_T2_T3_T4_jRjT5_jjP12ihipStream_tbEUlT_E_NS1_11comp_targetILNS1_3genE3ELNS1_11target_archE908ELNS1_3gpuE7ELNS1_3repE0EEENS1_44radix_sort_block_sort_config_static_selectorELNS0_4arch9wavefront6targetE1EEEvSD_,comdat
	.protected	_ZN7rocprim17ROCPRIM_400000_NS6detail17trampoline_kernelINS0_13kernel_configILj256ELj4ELj4294967295EEENS1_37radix_sort_block_sort_config_selectorItNS0_10empty_typeEEEZNS1_21radix_sort_block_sortIS4_Lb1EPtS9_PS6_SA_NS0_19identity_decomposerEEE10hipError_tT1_T2_T3_T4_jRjT5_jjP12ihipStream_tbEUlT_E_NS1_11comp_targetILNS1_3genE3ELNS1_11target_archE908ELNS1_3gpuE7ELNS1_3repE0EEENS1_44radix_sort_block_sort_config_static_selectorELNS0_4arch9wavefront6targetE1EEEvSD_ ; -- Begin function _ZN7rocprim17ROCPRIM_400000_NS6detail17trampoline_kernelINS0_13kernel_configILj256ELj4ELj4294967295EEENS1_37radix_sort_block_sort_config_selectorItNS0_10empty_typeEEEZNS1_21radix_sort_block_sortIS4_Lb1EPtS9_PS6_SA_NS0_19identity_decomposerEEE10hipError_tT1_T2_T3_T4_jRjT5_jjP12ihipStream_tbEUlT_E_NS1_11comp_targetILNS1_3genE3ELNS1_11target_archE908ELNS1_3gpuE7ELNS1_3repE0EEENS1_44radix_sort_block_sort_config_static_selectorELNS0_4arch9wavefront6targetE1EEEvSD_
	.globl	_ZN7rocprim17ROCPRIM_400000_NS6detail17trampoline_kernelINS0_13kernel_configILj256ELj4ELj4294967295EEENS1_37radix_sort_block_sort_config_selectorItNS0_10empty_typeEEEZNS1_21radix_sort_block_sortIS4_Lb1EPtS9_PS6_SA_NS0_19identity_decomposerEEE10hipError_tT1_T2_T3_T4_jRjT5_jjP12ihipStream_tbEUlT_E_NS1_11comp_targetILNS1_3genE3ELNS1_11target_archE908ELNS1_3gpuE7ELNS1_3repE0EEENS1_44radix_sort_block_sort_config_static_selectorELNS0_4arch9wavefront6targetE1EEEvSD_
	.p2align	8
	.type	_ZN7rocprim17ROCPRIM_400000_NS6detail17trampoline_kernelINS0_13kernel_configILj256ELj4ELj4294967295EEENS1_37radix_sort_block_sort_config_selectorItNS0_10empty_typeEEEZNS1_21radix_sort_block_sortIS4_Lb1EPtS9_PS6_SA_NS0_19identity_decomposerEEE10hipError_tT1_T2_T3_T4_jRjT5_jjP12ihipStream_tbEUlT_E_NS1_11comp_targetILNS1_3genE3ELNS1_11target_archE908ELNS1_3gpuE7ELNS1_3repE0EEENS1_44radix_sort_block_sort_config_static_selectorELNS0_4arch9wavefront6targetE1EEEvSD_,@function
_ZN7rocprim17ROCPRIM_400000_NS6detail17trampoline_kernelINS0_13kernel_configILj256ELj4ELj4294967295EEENS1_37radix_sort_block_sort_config_selectorItNS0_10empty_typeEEEZNS1_21radix_sort_block_sortIS4_Lb1EPtS9_PS6_SA_NS0_19identity_decomposerEEE10hipError_tT1_T2_T3_T4_jRjT5_jjP12ihipStream_tbEUlT_E_NS1_11comp_targetILNS1_3genE3ELNS1_11target_archE908ELNS1_3gpuE7ELNS1_3repE0EEENS1_44radix_sort_block_sort_config_static_selectorELNS0_4arch9wavefront6targetE1EEEvSD_: ; @_ZN7rocprim17ROCPRIM_400000_NS6detail17trampoline_kernelINS0_13kernel_configILj256ELj4ELj4294967295EEENS1_37radix_sort_block_sort_config_selectorItNS0_10empty_typeEEEZNS1_21radix_sort_block_sortIS4_Lb1EPtS9_PS6_SA_NS0_19identity_decomposerEEE10hipError_tT1_T2_T3_T4_jRjT5_jjP12ihipStream_tbEUlT_E_NS1_11comp_targetILNS1_3genE3ELNS1_11target_archE908ELNS1_3gpuE7ELNS1_3repE0EEENS1_44radix_sort_block_sort_config_static_selectorELNS0_4arch9wavefront6targetE1EEEvSD_
; %bb.0:
	.section	.rodata,"a",@progbits
	.p2align	6, 0x0
	.amdhsa_kernel _ZN7rocprim17ROCPRIM_400000_NS6detail17trampoline_kernelINS0_13kernel_configILj256ELj4ELj4294967295EEENS1_37radix_sort_block_sort_config_selectorItNS0_10empty_typeEEEZNS1_21radix_sort_block_sortIS4_Lb1EPtS9_PS6_SA_NS0_19identity_decomposerEEE10hipError_tT1_T2_T3_T4_jRjT5_jjP12ihipStream_tbEUlT_E_NS1_11comp_targetILNS1_3genE3ELNS1_11target_archE908ELNS1_3gpuE7ELNS1_3repE0EEENS1_44radix_sort_block_sort_config_static_selectorELNS0_4arch9wavefront6targetE1EEEvSD_
		.amdhsa_group_segment_fixed_size 0
		.amdhsa_private_segment_fixed_size 0
		.amdhsa_kernarg_size 48
		.amdhsa_user_sgpr_count 6
		.amdhsa_user_sgpr_private_segment_buffer 1
		.amdhsa_user_sgpr_dispatch_ptr 0
		.amdhsa_user_sgpr_queue_ptr 0
		.amdhsa_user_sgpr_kernarg_segment_ptr 1
		.amdhsa_user_sgpr_dispatch_id 0
		.amdhsa_user_sgpr_flat_scratch_init 0
		.amdhsa_user_sgpr_kernarg_preload_length 0
		.amdhsa_user_sgpr_kernarg_preload_offset 0
		.amdhsa_user_sgpr_private_segment_size 0
		.amdhsa_uses_dynamic_stack 0
		.amdhsa_system_sgpr_private_segment_wavefront_offset 0
		.amdhsa_system_sgpr_workgroup_id_x 1
		.amdhsa_system_sgpr_workgroup_id_y 0
		.amdhsa_system_sgpr_workgroup_id_z 0
		.amdhsa_system_sgpr_workgroup_info 0
		.amdhsa_system_vgpr_workitem_id 0
		.amdhsa_next_free_vgpr 1
		.amdhsa_next_free_sgpr 0
		.amdhsa_accum_offset 4
		.amdhsa_reserve_vcc 0
		.amdhsa_reserve_flat_scratch 0
		.amdhsa_float_round_mode_32 0
		.amdhsa_float_round_mode_16_64 0
		.amdhsa_float_denorm_mode_32 3
		.amdhsa_float_denorm_mode_16_64 3
		.amdhsa_dx10_clamp 1
		.amdhsa_ieee_mode 1
		.amdhsa_fp16_overflow 0
		.amdhsa_tg_split 0
		.amdhsa_exception_fp_ieee_invalid_op 0
		.amdhsa_exception_fp_denorm_src 0
		.amdhsa_exception_fp_ieee_div_zero 0
		.amdhsa_exception_fp_ieee_overflow 0
		.amdhsa_exception_fp_ieee_underflow 0
		.amdhsa_exception_fp_ieee_inexact 0
		.amdhsa_exception_int_div_zero 0
	.end_amdhsa_kernel
	.section	.text._ZN7rocprim17ROCPRIM_400000_NS6detail17trampoline_kernelINS0_13kernel_configILj256ELj4ELj4294967295EEENS1_37radix_sort_block_sort_config_selectorItNS0_10empty_typeEEEZNS1_21radix_sort_block_sortIS4_Lb1EPtS9_PS6_SA_NS0_19identity_decomposerEEE10hipError_tT1_T2_T3_T4_jRjT5_jjP12ihipStream_tbEUlT_E_NS1_11comp_targetILNS1_3genE3ELNS1_11target_archE908ELNS1_3gpuE7ELNS1_3repE0EEENS1_44radix_sort_block_sort_config_static_selectorELNS0_4arch9wavefront6targetE1EEEvSD_,"axG",@progbits,_ZN7rocprim17ROCPRIM_400000_NS6detail17trampoline_kernelINS0_13kernel_configILj256ELj4ELj4294967295EEENS1_37radix_sort_block_sort_config_selectorItNS0_10empty_typeEEEZNS1_21radix_sort_block_sortIS4_Lb1EPtS9_PS6_SA_NS0_19identity_decomposerEEE10hipError_tT1_T2_T3_T4_jRjT5_jjP12ihipStream_tbEUlT_E_NS1_11comp_targetILNS1_3genE3ELNS1_11target_archE908ELNS1_3gpuE7ELNS1_3repE0EEENS1_44radix_sort_block_sort_config_static_selectorELNS0_4arch9wavefront6targetE1EEEvSD_,comdat
.Lfunc_end1847:
	.size	_ZN7rocprim17ROCPRIM_400000_NS6detail17trampoline_kernelINS0_13kernel_configILj256ELj4ELj4294967295EEENS1_37radix_sort_block_sort_config_selectorItNS0_10empty_typeEEEZNS1_21radix_sort_block_sortIS4_Lb1EPtS9_PS6_SA_NS0_19identity_decomposerEEE10hipError_tT1_T2_T3_T4_jRjT5_jjP12ihipStream_tbEUlT_E_NS1_11comp_targetILNS1_3genE3ELNS1_11target_archE908ELNS1_3gpuE7ELNS1_3repE0EEENS1_44radix_sort_block_sort_config_static_selectorELNS0_4arch9wavefront6targetE1EEEvSD_, .Lfunc_end1847-_ZN7rocprim17ROCPRIM_400000_NS6detail17trampoline_kernelINS0_13kernel_configILj256ELj4ELj4294967295EEENS1_37radix_sort_block_sort_config_selectorItNS0_10empty_typeEEEZNS1_21radix_sort_block_sortIS4_Lb1EPtS9_PS6_SA_NS0_19identity_decomposerEEE10hipError_tT1_T2_T3_T4_jRjT5_jjP12ihipStream_tbEUlT_E_NS1_11comp_targetILNS1_3genE3ELNS1_11target_archE908ELNS1_3gpuE7ELNS1_3repE0EEENS1_44radix_sort_block_sort_config_static_selectorELNS0_4arch9wavefront6targetE1EEEvSD_
                                        ; -- End function
	.section	.AMDGPU.csdata,"",@progbits
; Kernel info:
; codeLenInByte = 0
; NumSgprs: 4
; NumVgprs: 0
; NumAgprs: 0
; TotalNumVgprs: 0
; ScratchSize: 0
; MemoryBound: 0
; FloatMode: 240
; IeeeMode: 1
; LDSByteSize: 0 bytes/workgroup (compile time only)
; SGPRBlocks: 0
; VGPRBlocks: 0
; NumSGPRsForWavesPerEU: 4
; NumVGPRsForWavesPerEU: 1
; AccumOffset: 4
; Occupancy: 8
; WaveLimiterHint : 0
; COMPUTE_PGM_RSRC2:SCRATCH_EN: 0
; COMPUTE_PGM_RSRC2:USER_SGPR: 6
; COMPUTE_PGM_RSRC2:TRAP_HANDLER: 0
; COMPUTE_PGM_RSRC2:TGID_X_EN: 1
; COMPUTE_PGM_RSRC2:TGID_Y_EN: 0
; COMPUTE_PGM_RSRC2:TGID_Z_EN: 0
; COMPUTE_PGM_RSRC2:TIDIG_COMP_CNT: 0
; COMPUTE_PGM_RSRC3_GFX90A:ACCUM_OFFSET: 0
; COMPUTE_PGM_RSRC3_GFX90A:TG_SPLIT: 0
	.section	.text._ZN7rocprim17ROCPRIM_400000_NS6detail17trampoline_kernelINS0_13kernel_configILj256ELj4ELj4294967295EEENS1_37radix_sort_block_sort_config_selectorItNS0_10empty_typeEEEZNS1_21radix_sort_block_sortIS4_Lb1EPtS9_PS6_SA_NS0_19identity_decomposerEEE10hipError_tT1_T2_T3_T4_jRjT5_jjP12ihipStream_tbEUlT_E_NS1_11comp_targetILNS1_3genE2ELNS1_11target_archE906ELNS1_3gpuE6ELNS1_3repE0EEENS1_44radix_sort_block_sort_config_static_selectorELNS0_4arch9wavefront6targetE1EEEvSD_,"axG",@progbits,_ZN7rocprim17ROCPRIM_400000_NS6detail17trampoline_kernelINS0_13kernel_configILj256ELj4ELj4294967295EEENS1_37radix_sort_block_sort_config_selectorItNS0_10empty_typeEEEZNS1_21radix_sort_block_sortIS4_Lb1EPtS9_PS6_SA_NS0_19identity_decomposerEEE10hipError_tT1_T2_T3_T4_jRjT5_jjP12ihipStream_tbEUlT_E_NS1_11comp_targetILNS1_3genE2ELNS1_11target_archE906ELNS1_3gpuE6ELNS1_3repE0EEENS1_44radix_sort_block_sort_config_static_selectorELNS0_4arch9wavefront6targetE1EEEvSD_,comdat
	.protected	_ZN7rocprim17ROCPRIM_400000_NS6detail17trampoline_kernelINS0_13kernel_configILj256ELj4ELj4294967295EEENS1_37radix_sort_block_sort_config_selectorItNS0_10empty_typeEEEZNS1_21radix_sort_block_sortIS4_Lb1EPtS9_PS6_SA_NS0_19identity_decomposerEEE10hipError_tT1_T2_T3_T4_jRjT5_jjP12ihipStream_tbEUlT_E_NS1_11comp_targetILNS1_3genE2ELNS1_11target_archE906ELNS1_3gpuE6ELNS1_3repE0EEENS1_44radix_sort_block_sort_config_static_selectorELNS0_4arch9wavefront6targetE1EEEvSD_ ; -- Begin function _ZN7rocprim17ROCPRIM_400000_NS6detail17trampoline_kernelINS0_13kernel_configILj256ELj4ELj4294967295EEENS1_37radix_sort_block_sort_config_selectorItNS0_10empty_typeEEEZNS1_21radix_sort_block_sortIS4_Lb1EPtS9_PS6_SA_NS0_19identity_decomposerEEE10hipError_tT1_T2_T3_T4_jRjT5_jjP12ihipStream_tbEUlT_E_NS1_11comp_targetILNS1_3genE2ELNS1_11target_archE906ELNS1_3gpuE6ELNS1_3repE0EEENS1_44radix_sort_block_sort_config_static_selectorELNS0_4arch9wavefront6targetE1EEEvSD_
	.globl	_ZN7rocprim17ROCPRIM_400000_NS6detail17trampoline_kernelINS0_13kernel_configILj256ELj4ELj4294967295EEENS1_37radix_sort_block_sort_config_selectorItNS0_10empty_typeEEEZNS1_21radix_sort_block_sortIS4_Lb1EPtS9_PS6_SA_NS0_19identity_decomposerEEE10hipError_tT1_T2_T3_T4_jRjT5_jjP12ihipStream_tbEUlT_E_NS1_11comp_targetILNS1_3genE2ELNS1_11target_archE906ELNS1_3gpuE6ELNS1_3repE0EEENS1_44radix_sort_block_sort_config_static_selectorELNS0_4arch9wavefront6targetE1EEEvSD_
	.p2align	8
	.type	_ZN7rocprim17ROCPRIM_400000_NS6detail17trampoline_kernelINS0_13kernel_configILj256ELj4ELj4294967295EEENS1_37radix_sort_block_sort_config_selectorItNS0_10empty_typeEEEZNS1_21radix_sort_block_sortIS4_Lb1EPtS9_PS6_SA_NS0_19identity_decomposerEEE10hipError_tT1_T2_T3_T4_jRjT5_jjP12ihipStream_tbEUlT_E_NS1_11comp_targetILNS1_3genE2ELNS1_11target_archE906ELNS1_3gpuE6ELNS1_3repE0EEENS1_44radix_sort_block_sort_config_static_selectorELNS0_4arch9wavefront6targetE1EEEvSD_,@function
_ZN7rocprim17ROCPRIM_400000_NS6detail17trampoline_kernelINS0_13kernel_configILj256ELj4ELj4294967295EEENS1_37radix_sort_block_sort_config_selectorItNS0_10empty_typeEEEZNS1_21radix_sort_block_sortIS4_Lb1EPtS9_PS6_SA_NS0_19identity_decomposerEEE10hipError_tT1_T2_T3_T4_jRjT5_jjP12ihipStream_tbEUlT_E_NS1_11comp_targetILNS1_3genE2ELNS1_11target_archE906ELNS1_3gpuE6ELNS1_3repE0EEENS1_44radix_sort_block_sort_config_static_selectorELNS0_4arch9wavefront6targetE1EEEvSD_: ; @_ZN7rocprim17ROCPRIM_400000_NS6detail17trampoline_kernelINS0_13kernel_configILj256ELj4ELj4294967295EEENS1_37radix_sort_block_sort_config_selectorItNS0_10empty_typeEEEZNS1_21radix_sort_block_sortIS4_Lb1EPtS9_PS6_SA_NS0_19identity_decomposerEEE10hipError_tT1_T2_T3_T4_jRjT5_jjP12ihipStream_tbEUlT_E_NS1_11comp_targetILNS1_3genE2ELNS1_11target_archE906ELNS1_3gpuE6ELNS1_3repE0EEENS1_44radix_sort_block_sort_config_static_selectorELNS0_4arch9wavefront6targetE1EEEvSD_
; %bb.0:
	.section	.rodata,"a",@progbits
	.p2align	6, 0x0
	.amdhsa_kernel _ZN7rocprim17ROCPRIM_400000_NS6detail17trampoline_kernelINS0_13kernel_configILj256ELj4ELj4294967295EEENS1_37radix_sort_block_sort_config_selectorItNS0_10empty_typeEEEZNS1_21radix_sort_block_sortIS4_Lb1EPtS9_PS6_SA_NS0_19identity_decomposerEEE10hipError_tT1_T2_T3_T4_jRjT5_jjP12ihipStream_tbEUlT_E_NS1_11comp_targetILNS1_3genE2ELNS1_11target_archE906ELNS1_3gpuE6ELNS1_3repE0EEENS1_44radix_sort_block_sort_config_static_selectorELNS0_4arch9wavefront6targetE1EEEvSD_
		.amdhsa_group_segment_fixed_size 0
		.amdhsa_private_segment_fixed_size 0
		.amdhsa_kernarg_size 48
		.amdhsa_user_sgpr_count 6
		.amdhsa_user_sgpr_private_segment_buffer 1
		.amdhsa_user_sgpr_dispatch_ptr 0
		.amdhsa_user_sgpr_queue_ptr 0
		.amdhsa_user_sgpr_kernarg_segment_ptr 1
		.amdhsa_user_sgpr_dispatch_id 0
		.amdhsa_user_sgpr_flat_scratch_init 0
		.amdhsa_user_sgpr_kernarg_preload_length 0
		.amdhsa_user_sgpr_kernarg_preload_offset 0
		.amdhsa_user_sgpr_private_segment_size 0
		.amdhsa_uses_dynamic_stack 0
		.amdhsa_system_sgpr_private_segment_wavefront_offset 0
		.amdhsa_system_sgpr_workgroup_id_x 1
		.amdhsa_system_sgpr_workgroup_id_y 0
		.amdhsa_system_sgpr_workgroup_id_z 0
		.amdhsa_system_sgpr_workgroup_info 0
		.amdhsa_system_vgpr_workitem_id 0
		.amdhsa_next_free_vgpr 1
		.amdhsa_next_free_sgpr 0
		.amdhsa_accum_offset 4
		.amdhsa_reserve_vcc 0
		.amdhsa_reserve_flat_scratch 0
		.amdhsa_float_round_mode_32 0
		.amdhsa_float_round_mode_16_64 0
		.amdhsa_float_denorm_mode_32 3
		.amdhsa_float_denorm_mode_16_64 3
		.amdhsa_dx10_clamp 1
		.amdhsa_ieee_mode 1
		.amdhsa_fp16_overflow 0
		.amdhsa_tg_split 0
		.amdhsa_exception_fp_ieee_invalid_op 0
		.amdhsa_exception_fp_denorm_src 0
		.amdhsa_exception_fp_ieee_div_zero 0
		.amdhsa_exception_fp_ieee_overflow 0
		.amdhsa_exception_fp_ieee_underflow 0
		.amdhsa_exception_fp_ieee_inexact 0
		.amdhsa_exception_int_div_zero 0
	.end_amdhsa_kernel
	.section	.text._ZN7rocprim17ROCPRIM_400000_NS6detail17trampoline_kernelINS0_13kernel_configILj256ELj4ELj4294967295EEENS1_37radix_sort_block_sort_config_selectorItNS0_10empty_typeEEEZNS1_21radix_sort_block_sortIS4_Lb1EPtS9_PS6_SA_NS0_19identity_decomposerEEE10hipError_tT1_T2_T3_T4_jRjT5_jjP12ihipStream_tbEUlT_E_NS1_11comp_targetILNS1_3genE2ELNS1_11target_archE906ELNS1_3gpuE6ELNS1_3repE0EEENS1_44radix_sort_block_sort_config_static_selectorELNS0_4arch9wavefront6targetE1EEEvSD_,"axG",@progbits,_ZN7rocprim17ROCPRIM_400000_NS6detail17trampoline_kernelINS0_13kernel_configILj256ELj4ELj4294967295EEENS1_37radix_sort_block_sort_config_selectorItNS0_10empty_typeEEEZNS1_21radix_sort_block_sortIS4_Lb1EPtS9_PS6_SA_NS0_19identity_decomposerEEE10hipError_tT1_T2_T3_T4_jRjT5_jjP12ihipStream_tbEUlT_E_NS1_11comp_targetILNS1_3genE2ELNS1_11target_archE906ELNS1_3gpuE6ELNS1_3repE0EEENS1_44radix_sort_block_sort_config_static_selectorELNS0_4arch9wavefront6targetE1EEEvSD_,comdat
.Lfunc_end1848:
	.size	_ZN7rocprim17ROCPRIM_400000_NS6detail17trampoline_kernelINS0_13kernel_configILj256ELj4ELj4294967295EEENS1_37radix_sort_block_sort_config_selectorItNS0_10empty_typeEEEZNS1_21radix_sort_block_sortIS4_Lb1EPtS9_PS6_SA_NS0_19identity_decomposerEEE10hipError_tT1_T2_T3_T4_jRjT5_jjP12ihipStream_tbEUlT_E_NS1_11comp_targetILNS1_3genE2ELNS1_11target_archE906ELNS1_3gpuE6ELNS1_3repE0EEENS1_44radix_sort_block_sort_config_static_selectorELNS0_4arch9wavefront6targetE1EEEvSD_, .Lfunc_end1848-_ZN7rocprim17ROCPRIM_400000_NS6detail17trampoline_kernelINS0_13kernel_configILj256ELj4ELj4294967295EEENS1_37radix_sort_block_sort_config_selectorItNS0_10empty_typeEEEZNS1_21radix_sort_block_sortIS4_Lb1EPtS9_PS6_SA_NS0_19identity_decomposerEEE10hipError_tT1_T2_T3_T4_jRjT5_jjP12ihipStream_tbEUlT_E_NS1_11comp_targetILNS1_3genE2ELNS1_11target_archE906ELNS1_3gpuE6ELNS1_3repE0EEENS1_44radix_sort_block_sort_config_static_selectorELNS0_4arch9wavefront6targetE1EEEvSD_
                                        ; -- End function
	.section	.AMDGPU.csdata,"",@progbits
; Kernel info:
; codeLenInByte = 0
; NumSgprs: 4
; NumVgprs: 0
; NumAgprs: 0
; TotalNumVgprs: 0
; ScratchSize: 0
; MemoryBound: 0
; FloatMode: 240
; IeeeMode: 1
; LDSByteSize: 0 bytes/workgroup (compile time only)
; SGPRBlocks: 0
; VGPRBlocks: 0
; NumSGPRsForWavesPerEU: 4
; NumVGPRsForWavesPerEU: 1
; AccumOffset: 4
; Occupancy: 8
; WaveLimiterHint : 0
; COMPUTE_PGM_RSRC2:SCRATCH_EN: 0
; COMPUTE_PGM_RSRC2:USER_SGPR: 6
; COMPUTE_PGM_RSRC2:TRAP_HANDLER: 0
; COMPUTE_PGM_RSRC2:TGID_X_EN: 1
; COMPUTE_PGM_RSRC2:TGID_Y_EN: 0
; COMPUTE_PGM_RSRC2:TGID_Z_EN: 0
; COMPUTE_PGM_RSRC2:TIDIG_COMP_CNT: 0
; COMPUTE_PGM_RSRC3_GFX90A:ACCUM_OFFSET: 0
; COMPUTE_PGM_RSRC3_GFX90A:TG_SPLIT: 0
	.section	.text._ZN7rocprim17ROCPRIM_400000_NS6detail17trampoline_kernelINS0_13kernel_configILj256ELj4ELj4294967295EEENS1_37radix_sort_block_sort_config_selectorItNS0_10empty_typeEEEZNS1_21radix_sort_block_sortIS4_Lb1EPtS9_PS6_SA_NS0_19identity_decomposerEEE10hipError_tT1_T2_T3_T4_jRjT5_jjP12ihipStream_tbEUlT_E_NS1_11comp_targetILNS1_3genE10ELNS1_11target_archE1201ELNS1_3gpuE5ELNS1_3repE0EEENS1_44radix_sort_block_sort_config_static_selectorELNS0_4arch9wavefront6targetE1EEEvSD_,"axG",@progbits,_ZN7rocprim17ROCPRIM_400000_NS6detail17trampoline_kernelINS0_13kernel_configILj256ELj4ELj4294967295EEENS1_37radix_sort_block_sort_config_selectorItNS0_10empty_typeEEEZNS1_21radix_sort_block_sortIS4_Lb1EPtS9_PS6_SA_NS0_19identity_decomposerEEE10hipError_tT1_T2_T3_T4_jRjT5_jjP12ihipStream_tbEUlT_E_NS1_11comp_targetILNS1_3genE10ELNS1_11target_archE1201ELNS1_3gpuE5ELNS1_3repE0EEENS1_44radix_sort_block_sort_config_static_selectorELNS0_4arch9wavefront6targetE1EEEvSD_,comdat
	.protected	_ZN7rocprim17ROCPRIM_400000_NS6detail17trampoline_kernelINS0_13kernel_configILj256ELj4ELj4294967295EEENS1_37radix_sort_block_sort_config_selectorItNS0_10empty_typeEEEZNS1_21radix_sort_block_sortIS4_Lb1EPtS9_PS6_SA_NS0_19identity_decomposerEEE10hipError_tT1_T2_T3_T4_jRjT5_jjP12ihipStream_tbEUlT_E_NS1_11comp_targetILNS1_3genE10ELNS1_11target_archE1201ELNS1_3gpuE5ELNS1_3repE0EEENS1_44radix_sort_block_sort_config_static_selectorELNS0_4arch9wavefront6targetE1EEEvSD_ ; -- Begin function _ZN7rocprim17ROCPRIM_400000_NS6detail17trampoline_kernelINS0_13kernel_configILj256ELj4ELj4294967295EEENS1_37radix_sort_block_sort_config_selectorItNS0_10empty_typeEEEZNS1_21radix_sort_block_sortIS4_Lb1EPtS9_PS6_SA_NS0_19identity_decomposerEEE10hipError_tT1_T2_T3_T4_jRjT5_jjP12ihipStream_tbEUlT_E_NS1_11comp_targetILNS1_3genE10ELNS1_11target_archE1201ELNS1_3gpuE5ELNS1_3repE0EEENS1_44radix_sort_block_sort_config_static_selectorELNS0_4arch9wavefront6targetE1EEEvSD_
	.globl	_ZN7rocprim17ROCPRIM_400000_NS6detail17trampoline_kernelINS0_13kernel_configILj256ELj4ELj4294967295EEENS1_37radix_sort_block_sort_config_selectorItNS0_10empty_typeEEEZNS1_21radix_sort_block_sortIS4_Lb1EPtS9_PS6_SA_NS0_19identity_decomposerEEE10hipError_tT1_T2_T3_T4_jRjT5_jjP12ihipStream_tbEUlT_E_NS1_11comp_targetILNS1_3genE10ELNS1_11target_archE1201ELNS1_3gpuE5ELNS1_3repE0EEENS1_44radix_sort_block_sort_config_static_selectorELNS0_4arch9wavefront6targetE1EEEvSD_
	.p2align	8
	.type	_ZN7rocprim17ROCPRIM_400000_NS6detail17trampoline_kernelINS0_13kernel_configILj256ELj4ELj4294967295EEENS1_37radix_sort_block_sort_config_selectorItNS0_10empty_typeEEEZNS1_21radix_sort_block_sortIS4_Lb1EPtS9_PS6_SA_NS0_19identity_decomposerEEE10hipError_tT1_T2_T3_T4_jRjT5_jjP12ihipStream_tbEUlT_E_NS1_11comp_targetILNS1_3genE10ELNS1_11target_archE1201ELNS1_3gpuE5ELNS1_3repE0EEENS1_44radix_sort_block_sort_config_static_selectorELNS0_4arch9wavefront6targetE1EEEvSD_,@function
_ZN7rocprim17ROCPRIM_400000_NS6detail17trampoline_kernelINS0_13kernel_configILj256ELj4ELj4294967295EEENS1_37radix_sort_block_sort_config_selectorItNS0_10empty_typeEEEZNS1_21radix_sort_block_sortIS4_Lb1EPtS9_PS6_SA_NS0_19identity_decomposerEEE10hipError_tT1_T2_T3_T4_jRjT5_jjP12ihipStream_tbEUlT_E_NS1_11comp_targetILNS1_3genE10ELNS1_11target_archE1201ELNS1_3gpuE5ELNS1_3repE0EEENS1_44radix_sort_block_sort_config_static_selectorELNS0_4arch9wavefront6targetE1EEEvSD_: ; @_ZN7rocprim17ROCPRIM_400000_NS6detail17trampoline_kernelINS0_13kernel_configILj256ELj4ELj4294967295EEENS1_37radix_sort_block_sort_config_selectorItNS0_10empty_typeEEEZNS1_21radix_sort_block_sortIS4_Lb1EPtS9_PS6_SA_NS0_19identity_decomposerEEE10hipError_tT1_T2_T3_T4_jRjT5_jjP12ihipStream_tbEUlT_E_NS1_11comp_targetILNS1_3genE10ELNS1_11target_archE1201ELNS1_3gpuE5ELNS1_3repE0EEENS1_44radix_sort_block_sort_config_static_selectorELNS0_4arch9wavefront6targetE1EEEvSD_
; %bb.0:
	.section	.rodata,"a",@progbits
	.p2align	6, 0x0
	.amdhsa_kernel _ZN7rocprim17ROCPRIM_400000_NS6detail17trampoline_kernelINS0_13kernel_configILj256ELj4ELj4294967295EEENS1_37radix_sort_block_sort_config_selectorItNS0_10empty_typeEEEZNS1_21radix_sort_block_sortIS4_Lb1EPtS9_PS6_SA_NS0_19identity_decomposerEEE10hipError_tT1_T2_T3_T4_jRjT5_jjP12ihipStream_tbEUlT_E_NS1_11comp_targetILNS1_3genE10ELNS1_11target_archE1201ELNS1_3gpuE5ELNS1_3repE0EEENS1_44radix_sort_block_sort_config_static_selectorELNS0_4arch9wavefront6targetE1EEEvSD_
		.amdhsa_group_segment_fixed_size 0
		.amdhsa_private_segment_fixed_size 0
		.amdhsa_kernarg_size 48
		.amdhsa_user_sgpr_count 6
		.amdhsa_user_sgpr_private_segment_buffer 1
		.amdhsa_user_sgpr_dispatch_ptr 0
		.amdhsa_user_sgpr_queue_ptr 0
		.amdhsa_user_sgpr_kernarg_segment_ptr 1
		.amdhsa_user_sgpr_dispatch_id 0
		.amdhsa_user_sgpr_flat_scratch_init 0
		.amdhsa_user_sgpr_kernarg_preload_length 0
		.amdhsa_user_sgpr_kernarg_preload_offset 0
		.amdhsa_user_sgpr_private_segment_size 0
		.amdhsa_uses_dynamic_stack 0
		.amdhsa_system_sgpr_private_segment_wavefront_offset 0
		.amdhsa_system_sgpr_workgroup_id_x 1
		.amdhsa_system_sgpr_workgroup_id_y 0
		.amdhsa_system_sgpr_workgroup_id_z 0
		.amdhsa_system_sgpr_workgroup_info 0
		.amdhsa_system_vgpr_workitem_id 0
		.amdhsa_next_free_vgpr 1
		.amdhsa_next_free_sgpr 0
		.amdhsa_accum_offset 4
		.amdhsa_reserve_vcc 0
		.amdhsa_reserve_flat_scratch 0
		.amdhsa_float_round_mode_32 0
		.amdhsa_float_round_mode_16_64 0
		.amdhsa_float_denorm_mode_32 3
		.amdhsa_float_denorm_mode_16_64 3
		.amdhsa_dx10_clamp 1
		.amdhsa_ieee_mode 1
		.amdhsa_fp16_overflow 0
		.amdhsa_tg_split 0
		.amdhsa_exception_fp_ieee_invalid_op 0
		.amdhsa_exception_fp_denorm_src 0
		.amdhsa_exception_fp_ieee_div_zero 0
		.amdhsa_exception_fp_ieee_overflow 0
		.amdhsa_exception_fp_ieee_underflow 0
		.amdhsa_exception_fp_ieee_inexact 0
		.amdhsa_exception_int_div_zero 0
	.end_amdhsa_kernel
	.section	.text._ZN7rocprim17ROCPRIM_400000_NS6detail17trampoline_kernelINS0_13kernel_configILj256ELj4ELj4294967295EEENS1_37radix_sort_block_sort_config_selectorItNS0_10empty_typeEEEZNS1_21radix_sort_block_sortIS4_Lb1EPtS9_PS6_SA_NS0_19identity_decomposerEEE10hipError_tT1_T2_T3_T4_jRjT5_jjP12ihipStream_tbEUlT_E_NS1_11comp_targetILNS1_3genE10ELNS1_11target_archE1201ELNS1_3gpuE5ELNS1_3repE0EEENS1_44radix_sort_block_sort_config_static_selectorELNS0_4arch9wavefront6targetE1EEEvSD_,"axG",@progbits,_ZN7rocprim17ROCPRIM_400000_NS6detail17trampoline_kernelINS0_13kernel_configILj256ELj4ELj4294967295EEENS1_37radix_sort_block_sort_config_selectorItNS0_10empty_typeEEEZNS1_21radix_sort_block_sortIS4_Lb1EPtS9_PS6_SA_NS0_19identity_decomposerEEE10hipError_tT1_T2_T3_T4_jRjT5_jjP12ihipStream_tbEUlT_E_NS1_11comp_targetILNS1_3genE10ELNS1_11target_archE1201ELNS1_3gpuE5ELNS1_3repE0EEENS1_44radix_sort_block_sort_config_static_selectorELNS0_4arch9wavefront6targetE1EEEvSD_,comdat
.Lfunc_end1849:
	.size	_ZN7rocprim17ROCPRIM_400000_NS6detail17trampoline_kernelINS0_13kernel_configILj256ELj4ELj4294967295EEENS1_37radix_sort_block_sort_config_selectorItNS0_10empty_typeEEEZNS1_21radix_sort_block_sortIS4_Lb1EPtS9_PS6_SA_NS0_19identity_decomposerEEE10hipError_tT1_T2_T3_T4_jRjT5_jjP12ihipStream_tbEUlT_E_NS1_11comp_targetILNS1_3genE10ELNS1_11target_archE1201ELNS1_3gpuE5ELNS1_3repE0EEENS1_44radix_sort_block_sort_config_static_selectorELNS0_4arch9wavefront6targetE1EEEvSD_, .Lfunc_end1849-_ZN7rocprim17ROCPRIM_400000_NS6detail17trampoline_kernelINS0_13kernel_configILj256ELj4ELj4294967295EEENS1_37radix_sort_block_sort_config_selectorItNS0_10empty_typeEEEZNS1_21radix_sort_block_sortIS4_Lb1EPtS9_PS6_SA_NS0_19identity_decomposerEEE10hipError_tT1_T2_T3_T4_jRjT5_jjP12ihipStream_tbEUlT_E_NS1_11comp_targetILNS1_3genE10ELNS1_11target_archE1201ELNS1_3gpuE5ELNS1_3repE0EEENS1_44radix_sort_block_sort_config_static_selectorELNS0_4arch9wavefront6targetE1EEEvSD_
                                        ; -- End function
	.section	.AMDGPU.csdata,"",@progbits
; Kernel info:
; codeLenInByte = 0
; NumSgprs: 4
; NumVgprs: 0
; NumAgprs: 0
; TotalNumVgprs: 0
; ScratchSize: 0
; MemoryBound: 0
; FloatMode: 240
; IeeeMode: 1
; LDSByteSize: 0 bytes/workgroup (compile time only)
; SGPRBlocks: 0
; VGPRBlocks: 0
; NumSGPRsForWavesPerEU: 4
; NumVGPRsForWavesPerEU: 1
; AccumOffset: 4
; Occupancy: 8
; WaveLimiterHint : 0
; COMPUTE_PGM_RSRC2:SCRATCH_EN: 0
; COMPUTE_PGM_RSRC2:USER_SGPR: 6
; COMPUTE_PGM_RSRC2:TRAP_HANDLER: 0
; COMPUTE_PGM_RSRC2:TGID_X_EN: 1
; COMPUTE_PGM_RSRC2:TGID_Y_EN: 0
; COMPUTE_PGM_RSRC2:TGID_Z_EN: 0
; COMPUTE_PGM_RSRC2:TIDIG_COMP_CNT: 0
; COMPUTE_PGM_RSRC3_GFX90A:ACCUM_OFFSET: 0
; COMPUTE_PGM_RSRC3_GFX90A:TG_SPLIT: 0
	.section	.text._ZN7rocprim17ROCPRIM_400000_NS6detail17trampoline_kernelINS0_13kernel_configILj256ELj4ELj4294967295EEENS1_37radix_sort_block_sort_config_selectorItNS0_10empty_typeEEEZNS1_21radix_sort_block_sortIS4_Lb1EPtS9_PS6_SA_NS0_19identity_decomposerEEE10hipError_tT1_T2_T3_T4_jRjT5_jjP12ihipStream_tbEUlT_E_NS1_11comp_targetILNS1_3genE10ELNS1_11target_archE1200ELNS1_3gpuE4ELNS1_3repE0EEENS1_44radix_sort_block_sort_config_static_selectorELNS0_4arch9wavefront6targetE1EEEvSD_,"axG",@progbits,_ZN7rocprim17ROCPRIM_400000_NS6detail17trampoline_kernelINS0_13kernel_configILj256ELj4ELj4294967295EEENS1_37radix_sort_block_sort_config_selectorItNS0_10empty_typeEEEZNS1_21radix_sort_block_sortIS4_Lb1EPtS9_PS6_SA_NS0_19identity_decomposerEEE10hipError_tT1_T2_T3_T4_jRjT5_jjP12ihipStream_tbEUlT_E_NS1_11comp_targetILNS1_3genE10ELNS1_11target_archE1200ELNS1_3gpuE4ELNS1_3repE0EEENS1_44radix_sort_block_sort_config_static_selectorELNS0_4arch9wavefront6targetE1EEEvSD_,comdat
	.protected	_ZN7rocprim17ROCPRIM_400000_NS6detail17trampoline_kernelINS0_13kernel_configILj256ELj4ELj4294967295EEENS1_37radix_sort_block_sort_config_selectorItNS0_10empty_typeEEEZNS1_21radix_sort_block_sortIS4_Lb1EPtS9_PS6_SA_NS0_19identity_decomposerEEE10hipError_tT1_T2_T3_T4_jRjT5_jjP12ihipStream_tbEUlT_E_NS1_11comp_targetILNS1_3genE10ELNS1_11target_archE1200ELNS1_3gpuE4ELNS1_3repE0EEENS1_44radix_sort_block_sort_config_static_selectorELNS0_4arch9wavefront6targetE1EEEvSD_ ; -- Begin function _ZN7rocprim17ROCPRIM_400000_NS6detail17trampoline_kernelINS0_13kernel_configILj256ELj4ELj4294967295EEENS1_37radix_sort_block_sort_config_selectorItNS0_10empty_typeEEEZNS1_21radix_sort_block_sortIS4_Lb1EPtS9_PS6_SA_NS0_19identity_decomposerEEE10hipError_tT1_T2_T3_T4_jRjT5_jjP12ihipStream_tbEUlT_E_NS1_11comp_targetILNS1_3genE10ELNS1_11target_archE1200ELNS1_3gpuE4ELNS1_3repE0EEENS1_44radix_sort_block_sort_config_static_selectorELNS0_4arch9wavefront6targetE1EEEvSD_
	.globl	_ZN7rocprim17ROCPRIM_400000_NS6detail17trampoline_kernelINS0_13kernel_configILj256ELj4ELj4294967295EEENS1_37radix_sort_block_sort_config_selectorItNS0_10empty_typeEEEZNS1_21radix_sort_block_sortIS4_Lb1EPtS9_PS6_SA_NS0_19identity_decomposerEEE10hipError_tT1_T2_T3_T4_jRjT5_jjP12ihipStream_tbEUlT_E_NS1_11comp_targetILNS1_3genE10ELNS1_11target_archE1200ELNS1_3gpuE4ELNS1_3repE0EEENS1_44radix_sort_block_sort_config_static_selectorELNS0_4arch9wavefront6targetE1EEEvSD_
	.p2align	8
	.type	_ZN7rocprim17ROCPRIM_400000_NS6detail17trampoline_kernelINS0_13kernel_configILj256ELj4ELj4294967295EEENS1_37radix_sort_block_sort_config_selectorItNS0_10empty_typeEEEZNS1_21radix_sort_block_sortIS4_Lb1EPtS9_PS6_SA_NS0_19identity_decomposerEEE10hipError_tT1_T2_T3_T4_jRjT5_jjP12ihipStream_tbEUlT_E_NS1_11comp_targetILNS1_3genE10ELNS1_11target_archE1200ELNS1_3gpuE4ELNS1_3repE0EEENS1_44radix_sort_block_sort_config_static_selectorELNS0_4arch9wavefront6targetE1EEEvSD_,@function
_ZN7rocprim17ROCPRIM_400000_NS6detail17trampoline_kernelINS0_13kernel_configILj256ELj4ELj4294967295EEENS1_37radix_sort_block_sort_config_selectorItNS0_10empty_typeEEEZNS1_21radix_sort_block_sortIS4_Lb1EPtS9_PS6_SA_NS0_19identity_decomposerEEE10hipError_tT1_T2_T3_T4_jRjT5_jjP12ihipStream_tbEUlT_E_NS1_11comp_targetILNS1_3genE10ELNS1_11target_archE1200ELNS1_3gpuE4ELNS1_3repE0EEENS1_44radix_sort_block_sort_config_static_selectorELNS0_4arch9wavefront6targetE1EEEvSD_: ; @_ZN7rocprim17ROCPRIM_400000_NS6detail17trampoline_kernelINS0_13kernel_configILj256ELj4ELj4294967295EEENS1_37radix_sort_block_sort_config_selectorItNS0_10empty_typeEEEZNS1_21radix_sort_block_sortIS4_Lb1EPtS9_PS6_SA_NS0_19identity_decomposerEEE10hipError_tT1_T2_T3_T4_jRjT5_jjP12ihipStream_tbEUlT_E_NS1_11comp_targetILNS1_3genE10ELNS1_11target_archE1200ELNS1_3gpuE4ELNS1_3repE0EEENS1_44radix_sort_block_sort_config_static_selectorELNS0_4arch9wavefront6targetE1EEEvSD_
; %bb.0:
	.section	.rodata,"a",@progbits
	.p2align	6, 0x0
	.amdhsa_kernel _ZN7rocprim17ROCPRIM_400000_NS6detail17trampoline_kernelINS0_13kernel_configILj256ELj4ELj4294967295EEENS1_37radix_sort_block_sort_config_selectorItNS0_10empty_typeEEEZNS1_21radix_sort_block_sortIS4_Lb1EPtS9_PS6_SA_NS0_19identity_decomposerEEE10hipError_tT1_T2_T3_T4_jRjT5_jjP12ihipStream_tbEUlT_E_NS1_11comp_targetILNS1_3genE10ELNS1_11target_archE1200ELNS1_3gpuE4ELNS1_3repE0EEENS1_44radix_sort_block_sort_config_static_selectorELNS0_4arch9wavefront6targetE1EEEvSD_
		.amdhsa_group_segment_fixed_size 0
		.amdhsa_private_segment_fixed_size 0
		.amdhsa_kernarg_size 48
		.amdhsa_user_sgpr_count 6
		.amdhsa_user_sgpr_private_segment_buffer 1
		.amdhsa_user_sgpr_dispatch_ptr 0
		.amdhsa_user_sgpr_queue_ptr 0
		.amdhsa_user_sgpr_kernarg_segment_ptr 1
		.amdhsa_user_sgpr_dispatch_id 0
		.amdhsa_user_sgpr_flat_scratch_init 0
		.amdhsa_user_sgpr_kernarg_preload_length 0
		.amdhsa_user_sgpr_kernarg_preload_offset 0
		.amdhsa_user_sgpr_private_segment_size 0
		.amdhsa_uses_dynamic_stack 0
		.amdhsa_system_sgpr_private_segment_wavefront_offset 0
		.amdhsa_system_sgpr_workgroup_id_x 1
		.amdhsa_system_sgpr_workgroup_id_y 0
		.amdhsa_system_sgpr_workgroup_id_z 0
		.amdhsa_system_sgpr_workgroup_info 0
		.amdhsa_system_vgpr_workitem_id 0
		.amdhsa_next_free_vgpr 1
		.amdhsa_next_free_sgpr 0
		.amdhsa_accum_offset 4
		.amdhsa_reserve_vcc 0
		.amdhsa_reserve_flat_scratch 0
		.amdhsa_float_round_mode_32 0
		.amdhsa_float_round_mode_16_64 0
		.amdhsa_float_denorm_mode_32 3
		.amdhsa_float_denorm_mode_16_64 3
		.amdhsa_dx10_clamp 1
		.amdhsa_ieee_mode 1
		.amdhsa_fp16_overflow 0
		.amdhsa_tg_split 0
		.amdhsa_exception_fp_ieee_invalid_op 0
		.amdhsa_exception_fp_denorm_src 0
		.amdhsa_exception_fp_ieee_div_zero 0
		.amdhsa_exception_fp_ieee_overflow 0
		.amdhsa_exception_fp_ieee_underflow 0
		.amdhsa_exception_fp_ieee_inexact 0
		.amdhsa_exception_int_div_zero 0
	.end_amdhsa_kernel
	.section	.text._ZN7rocprim17ROCPRIM_400000_NS6detail17trampoline_kernelINS0_13kernel_configILj256ELj4ELj4294967295EEENS1_37radix_sort_block_sort_config_selectorItNS0_10empty_typeEEEZNS1_21radix_sort_block_sortIS4_Lb1EPtS9_PS6_SA_NS0_19identity_decomposerEEE10hipError_tT1_T2_T3_T4_jRjT5_jjP12ihipStream_tbEUlT_E_NS1_11comp_targetILNS1_3genE10ELNS1_11target_archE1200ELNS1_3gpuE4ELNS1_3repE0EEENS1_44radix_sort_block_sort_config_static_selectorELNS0_4arch9wavefront6targetE1EEEvSD_,"axG",@progbits,_ZN7rocprim17ROCPRIM_400000_NS6detail17trampoline_kernelINS0_13kernel_configILj256ELj4ELj4294967295EEENS1_37radix_sort_block_sort_config_selectorItNS0_10empty_typeEEEZNS1_21radix_sort_block_sortIS4_Lb1EPtS9_PS6_SA_NS0_19identity_decomposerEEE10hipError_tT1_T2_T3_T4_jRjT5_jjP12ihipStream_tbEUlT_E_NS1_11comp_targetILNS1_3genE10ELNS1_11target_archE1200ELNS1_3gpuE4ELNS1_3repE0EEENS1_44radix_sort_block_sort_config_static_selectorELNS0_4arch9wavefront6targetE1EEEvSD_,comdat
.Lfunc_end1850:
	.size	_ZN7rocprim17ROCPRIM_400000_NS6detail17trampoline_kernelINS0_13kernel_configILj256ELj4ELj4294967295EEENS1_37radix_sort_block_sort_config_selectorItNS0_10empty_typeEEEZNS1_21radix_sort_block_sortIS4_Lb1EPtS9_PS6_SA_NS0_19identity_decomposerEEE10hipError_tT1_T2_T3_T4_jRjT5_jjP12ihipStream_tbEUlT_E_NS1_11comp_targetILNS1_3genE10ELNS1_11target_archE1200ELNS1_3gpuE4ELNS1_3repE0EEENS1_44radix_sort_block_sort_config_static_selectorELNS0_4arch9wavefront6targetE1EEEvSD_, .Lfunc_end1850-_ZN7rocprim17ROCPRIM_400000_NS6detail17trampoline_kernelINS0_13kernel_configILj256ELj4ELj4294967295EEENS1_37radix_sort_block_sort_config_selectorItNS0_10empty_typeEEEZNS1_21radix_sort_block_sortIS4_Lb1EPtS9_PS6_SA_NS0_19identity_decomposerEEE10hipError_tT1_T2_T3_T4_jRjT5_jjP12ihipStream_tbEUlT_E_NS1_11comp_targetILNS1_3genE10ELNS1_11target_archE1200ELNS1_3gpuE4ELNS1_3repE0EEENS1_44radix_sort_block_sort_config_static_selectorELNS0_4arch9wavefront6targetE1EEEvSD_
                                        ; -- End function
	.section	.AMDGPU.csdata,"",@progbits
; Kernel info:
; codeLenInByte = 0
; NumSgprs: 4
; NumVgprs: 0
; NumAgprs: 0
; TotalNumVgprs: 0
; ScratchSize: 0
; MemoryBound: 0
; FloatMode: 240
; IeeeMode: 1
; LDSByteSize: 0 bytes/workgroup (compile time only)
; SGPRBlocks: 0
; VGPRBlocks: 0
; NumSGPRsForWavesPerEU: 4
; NumVGPRsForWavesPerEU: 1
; AccumOffset: 4
; Occupancy: 8
; WaveLimiterHint : 0
; COMPUTE_PGM_RSRC2:SCRATCH_EN: 0
; COMPUTE_PGM_RSRC2:USER_SGPR: 6
; COMPUTE_PGM_RSRC2:TRAP_HANDLER: 0
; COMPUTE_PGM_RSRC2:TGID_X_EN: 1
; COMPUTE_PGM_RSRC2:TGID_Y_EN: 0
; COMPUTE_PGM_RSRC2:TGID_Z_EN: 0
; COMPUTE_PGM_RSRC2:TIDIG_COMP_CNT: 0
; COMPUTE_PGM_RSRC3_GFX90A:ACCUM_OFFSET: 0
; COMPUTE_PGM_RSRC3_GFX90A:TG_SPLIT: 0
	.section	.text._ZN7rocprim17ROCPRIM_400000_NS6detail17trampoline_kernelINS0_13kernel_configILj256ELj4ELj4294967295EEENS1_37radix_sort_block_sort_config_selectorItNS0_10empty_typeEEEZNS1_21radix_sort_block_sortIS4_Lb1EPtS9_PS6_SA_NS0_19identity_decomposerEEE10hipError_tT1_T2_T3_T4_jRjT5_jjP12ihipStream_tbEUlT_E_NS1_11comp_targetILNS1_3genE9ELNS1_11target_archE1100ELNS1_3gpuE3ELNS1_3repE0EEENS1_44radix_sort_block_sort_config_static_selectorELNS0_4arch9wavefront6targetE1EEEvSD_,"axG",@progbits,_ZN7rocprim17ROCPRIM_400000_NS6detail17trampoline_kernelINS0_13kernel_configILj256ELj4ELj4294967295EEENS1_37radix_sort_block_sort_config_selectorItNS0_10empty_typeEEEZNS1_21radix_sort_block_sortIS4_Lb1EPtS9_PS6_SA_NS0_19identity_decomposerEEE10hipError_tT1_T2_T3_T4_jRjT5_jjP12ihipStream_tbEUlT_E_NS1_11comp_targetILNS1_3genE9ELNS1_11target_archE1100ELNS1_3gpuE3ELNS1_3repE0EEENS1_44radix_sort_block_sort_config_static_selectorELNS0_4arch9wavefront6targetE1EEEvSD_,comdat
	.protected	_ZN7rocprim17ROCPRIM_400000_NS6detail17trampoline_kernelINS0_13kernel_configILj256ELj4ELj4294967295EEENS1_37radix_sort_block_sort_config_selectorItNS0_10empty_typeEEEZNS1_21radix_sort_block_sortIS4_Lb1EPtS9_PS6_SA_NS0_19identity_decomposerEEE10hipError_tT1_T2_T3_T4_jRjT5_jjP12ihipStream_tbEUlT_E_NS1_11comp_targetILNS1_3genE9ELNS1_11target_archE1100ELNS1_3gpuE3ELNS1_3repE0EEENS1_44radix_sort_block_sort_config_static_selectorELNS0_4arch9wavefront6targetE1EEEvSD_ ; -- Begin function _ZN7rocprim17ROCPRIM_400000_NS6detail17trampoline_kernelINS0_13kernel_configILj256ELj4ELj4294967295EEENS1_37radix_sort_block_sort_config_selectorItNS0_10empty_typeEEEZNS1_21radix_sort_block_sortIS4_Lb1EPtS9_PS6_SA_NS0_19identity_decomposerEEE10hipError_tT1_T2_T3_T4_jRjT5_jjP12ihipStream_tbEUlT_E_NS1_11comp_targetILNS1_3genE9ELNS1_11target_archE1100ELNS1_3gpuE3ELNS1_3repE0EEENS1_44radix_sort_block_sort_config_static_selectorELNS0_4arch9wavefront6targetE1EEEvSD_
	.globl	_ZN7rocprim17ROCPRIM_400000_NS6detail17trampoline_kernelINS0_13kernel_configILj256ELj4ELj4294967295EEENS1_37radix_sort_block_sort_config_selectorItNS0_10empty_typeEEEZNS1_21radix_sort_block_sortIS4_Lb1EPtS9_PS6_SA_NS0_19identity_decomposerEEE10hipError_tT1_T2_T3_T4_jRjT5_jjP12ihipStream_tbEUlT_E_NS1_11comp_targetILNS1_3genE9ELNS1_11target_archE1100ELNS1_3gpuE3ELNS1_3repE0EEENS1_44radix_sort_block_sort_config_static_selectorELNS0_4arch9wavefront6targetE1EEEvSD_
	.p2align	8
	.type	_ZN7rocprim17ROCPRIM_400000_NS6detail17trampoline_kernelINS0_13kernel_configILj256ELj4ELj4294967295EEENS1_37radix_sort_block_sort_config_selectorItNS0_10empty_typeEEEZNS1_21radix_sort_block_sortIS4_Lb1EPtS9_PS6_SA_NS0_19identity_decomposerEEE10hipError_tT1_T2_T3_T4_jRjT5_jjP12ihipStream_tbEUlT_E_NS1_11comp_targetILNS1_3genE9ELNS1_11target_archE1100ELNS1_3gpuE3ELNS1_3repE0EEENS1_44radix_sort_block_sort_config_static_selectorELNS0_4arch9wavefront6targetE1EEEvSD_,@function
_ZN7rocprim17ROCPRIM_400000_NS6detail17trampoline_kernelINS0_13kernel_configILj256ELj4ELj4294967295EEENS1_37radix_sort_block_sort_config_selectorItNS0_10empty_typeEEEZNS1_21radix_sort_block_sortIS4_Lb1EPtS9_PS6_SA_NS0_19identity_decomposerEEE10hipError_tT1_T2_T3_T4_jRjT5_jjP12ihipStream_tbEUlT_E_NS1_11comp_targetILNS1_3genE9ELNS1_11target_archE1100ELNS1_3gpuE3ELNS1_3repE0EEENS1_44radix_sort_block_sort_config_static_selectorELNS0_4arch9wavefront6targetE1EEEvSD_: ; @_ZN7rocprim17ROCPRIM_400000_NS6detail17trampoline_kernelINS0_13kernel_configILj256ELj4ELj4294967295EEENS1_37radix_sort_block_sort_config_selectorItNS0_10empty_typeEEEZNS1_21radix_sort_block_sortIS4_Lb1EPtS9_PS6_SA_NS0_19identity_decomposerEEE10hipError_tT1_T2_T3_T4_jRjT5_jjP12ihipStream_tbEUlT_E_NS1_11comp_targetILNS1_3genE9ELNS1_11target_archE1100ELNS1_3gpuE3ELNS1_3repE0EEENS1_44radix_sort_block_sort_config_static_selectorELNS0_4arch9wavefront6targetE1EEEvSD_
; %bb.0:
	.section	.rodata,"a",@progbits
	.p2align	6, 0x0
	.amdhsa_kernel _ZN7rocprim17ROCPRIM_400000_NS6detail17trampoline_kernelINS0_13kernel_configILj256ELj4ELj4294967295EEENS1_37radix_sort_block_sort_config_selectorItNS0_10empty_typeEEEZNS1_21radix_sort_block_sortIS4_Lb1EPtS9_PS6_SA_NS0_19identity_decomposerEEE10hipError_tT1_T2_T3_T4_jRjT5_jjP12ihipStream_tbEUlT_E_NS1_11comp_targetILNS1_3genE9ELNS1_11target_archE1100ELNS1_3gpuE3ELNS1_3repE0EEENS1_44radix_sort_block_sort_config_static_selectorELNS0_4arch9wavefront6targetE1EEEvSD_
		.amdhsa_group_segment_fixed_size 0
		.amdhsa_private_segment_fixed_size 0
		.amdhsa_kernarg_size 48
		.amdhsa_user_sgpr_count 6
		.amdhsa_user_sgpr_private_segment_buffer 1
		.amdhsa_user_sgpr_dispatch_ptr 0
		.amdhsa_user_sgpr_queue_ptr 0
		.amdhsa_user_sgpr_kernarg_segment_ptr 1
		.amdhsa_user_sgpr_dispatch_id 0
		.amdhsa_user_sgpr_flat_scratch_init 0
		.amdhsa_user_sgpr_kernarg_preload_length 0
		.amdhsa_user_sgpr_kernarg_preload_offset 0
		.amdhsa_user_sgpr_private_segment_size 0
		.amdhsa_uses_dynamic_stack 0
		.amdhsa_system_sgpr_private_segment_wavefront_offset 0
		.amdhsa_system_sgpr_workgroup_id_x 1
		.amdhsa_system_sgpr_workgroup_id_y 0
		.amdhsa_system_sgpr_workgroup_id_z 0
		.amdhsa_system_sgpr_workgroup_info 0
		.amdhsa_system_vgpr_workitem_id 0
		.amdhsa_next_free_vgpr 1
		.amdhsa_next_free_sgpr 0
		.amdhsa_accum_offset 4
		.amdhsa_reserve_vcc 0
		.amdhsa_reserve_flat_scratch 0
		.amdhsa_float_round_mode_32 0
		.amdhsa_float_round_mode_16_64 0
		.amdhsa_float_denorm_mode_32 3
		.amdhsa_float_denorm_mode_16_64 3
		.amdhsa_dx10_clamp 1
		.amdhsa_ieee_mode 1
		.amdhsa_fp16_overflow 0
		.amdhsa_tg_split 0
		.amdhsa_exception_fp_ieee_invalid_op 0
		.amdhsa_exception_fp_denorm_src 0
		.amdhsa_exception_fp_ieee_div_zero 0
		.amdhsa_exception_fp_ieee_overflow 0
		.amdhsa_exception_fp_ieee_underflow 0
		.amdhsa_exception_fp_ieee_inexact 0
		.amdhsa_exception_int_div_zero 0
	.end_amdhsa_kernel
	.section	.text._ZN7rocprim17ROCPRIM_400000_NS6detail17trampoline_kernelINS0_13kernel_configILj256ELj4ELj4294967295EEENS1_37radix_sort_block_sort_config_selectorItNS0_10empty_typeEEEZNS1_21radix_sort_block_sortIS4_Lb1EPtS9_PS6_SA_NS0_19identity_decomposerEEE10hipError_tT1_T2_T3_T4_jRjT5_jjP12ihipStream_tbEUlT_E_NS1_11comp_targetILNS1_3genE9ELNS1_11target_archE1100ELNS1_3gpuE3ELNS1_3repE0EEENS1_44radix_sort_block_sort_config_static_selectorELNS0_4arch9wavefront6targetE1EEEvSD_,"axG",@progbits,_ZN7rocprim17ROCPRIM_400000_NS6detail17trampoline_kernelINS0_13kernel_configILj256ELj4ELj4294967295EEENS1_37radix_sort_block_sort_config_selectorItNS0_10empty_typeEEEZNS1_21radix_sort_block_sortIS4_Lb1EPtS9_PS6_SA_NS0_19identity_decomposerEEE10hipError_tT1_T2_T3_T4_jRjT5_jjP12ihipStream_tbEUlT_E_NS1_11comp_targetILNS1_3genE9ELNS1_11target_archE1100ELNS1_3gpuE3ELNS1_3repE0EEENS1_44radix_sort_block_sort_config_static_selectorELNS0_4arch9wavefront6targetE1EEEvSD_,comdat
.Lfunc_end1851:
	.size	_ZN7rocprim17ROCPRIM_400000_NS6detail17trampoline_kernelINS0_13kernel_configILj256ELj4ELj4294967295EEENS1_37radix_sort_block_sort_config_selectorItNS0_10empty_typeEEEZNS1_21radix_sort_block_sortIS4_Lb1EPtS9_PS6_SA_NS0_19identity_decomposerEEE10hipError_tT1_T2_T3_T4_jRjT5_jjP12ihipStream_tbEUlT_E_NS1_11comp_targetILNS1_3genE9ELNS1_11target_archE1100ELNS1_3gpuE3ELNS1_3repE0EEENS1_44radix_sort_block_sort_config_static_selectorELNS0_4arch9wavefront6targetE1EEEvSD_, .Lfunc_end1851-_ZN7rocprim17ROCPRIM_400000_NS6detail17trampoline_kernelINS0_13kernel_configILj256ELj4ELj4294967295EEENS1_37radix_sort_block_sort_config_selectorItNS0_10empty_typeEEEZNS1_21radix_sort_block_sortIS4_Lb1EPtS9_PS6_SA_NS0_19identity_decomposerEEE10hipError_tT1_T2_T3_T4_jRjT5_jjP12ihipStream_tbEUlT_E_NS1_11comp_targetILNS1_3genE9ELNS1_11target_archE1100ELNS1_3gpuE3ELNS1_3repE0EEENS1_44radix_sort_block_sort_config_static_selectorELNS0_4arch9wavefront6targetE1EEEvSD_
                                        ; -- End function
	.section	.AMDGPU.csdata,"",@progbits
; Kernel info:
; codeLenInByte = 0
; NumSgprs: 4
; NumVgprs: 0
; NumAgprs: 0
; TotalNumVgprs: 0
; ScratchSize: 0
; MemoryBound: 0
; FloatMode: 240
; IeeeMode: 1
; LDSByteSize: 0 bytes/workgroup (compile time only)
; SGPRBlocks: 0
; VGPRBlocks: 0
; NumSGPRsForWavesPerEU: 4
; NumVGPRsForWavesPerEU: 1
; AccumOffset: 4
; Occupancy: 8
; WaveLimiterHint : 0
; COMPUTE_PGM_RSRC2:SCRATCH_EN: 0
; COMPUTE_PGM_RSRC2:USER_SGPR: 6
; COMPUTE_PGM_RSRC2:TRAP_HANDLER: 0
; COMPUTE_PGM_RSRC2:TGID_X_EN: 1
; COMPUTE_PGM_RSRC2:TGID_Y_EN: 0
; COMPUTE_PGM_RSRC2:TGID_Z_EN: 0
; COMPUTE_PGM_RSRC2:TIDIG_COMP_CNT: 0
; COMPUTE_PGM_RSRC3_GFX90A:ACCUM_OFFSET: 0
; COMPUTE_PGM_RSRC3_GFX90A:TG_SPLIT: 0
	.section	.text._ZN7rocprim17ROCPRIM_400000_NS6detail17trampoline_kernelINS0_13kernel_configILj256ELj4ELj4294967295EEENS1_37radix_sort_block_sort_config_selectorItNS0_10empty_typeEEEZNS1_21radix_sort_block_sortIS4_Lb1EPtS9_PS6_SA_NS0_19identity_decomposerEEE10hipError_tT1_T2_T3_T4_jRjT5_jjP12ihipStream_tbEUlT_E_NS1_11comp_targetILNS1_3genE8ELNS1_11target_archE1030ELNS1_3gpuE2ELNS1_3repE0EEENS1_44radix_sort_block_sort_config_static_selectorELNS0_4arch9wavefront6targetE1EEEvSD_,"axG",@progbits,_ZN7rocprim17ROCPRIM_400000_NS6detail17trampoline_kernelINS0_13kernel_configILj256ELj4ELj4294967295EEENS1_37radix_sort_block_sort_config_selectorItNS0_10empty_typeEEEZNS1_21radix_sort_block_sortIS4_Lb1EPtS9_PS6_SA_NS0_19identity_decomposerEEE10hipError_tT1_T2_T3_T4_jRjT5_jjP12ihipStream_tbEUlT_E_NS1_11comp_targetILNS1_3genE8ELNS1_11target_archE1030ELNS1_3gpuE2ELNS1_3repE0EEENS1_44radix_sort_block_sort_config_static_selectorELNS0_4arch9wavefront6targetE1EEEvSD_,comdat
	.protected	_ZN7rocprim17ROCPRIM_400000_NS6detail17trampoline_kernelINS0_13kernel_configILj256ELj4ELj4294967295EEENS1_37radix_sort_block_sort_config_selectorItNS0_10empty_typeEEEZNS1_21radix_sort_block_sortIS4_Lb1EPtS9_PS6_SA_NS0_19identity_decomposerEEE10hipError_tT1_T2_T3_T4_jRjT5_jjP12ihipStream_tbEUlT_E_NS1_11comp_targetILNS1_3genE8ELNS1_11target_archE1030ELNS1_3gpuE2ELNS1_3repE0EEENS1_44radix_sort_block_sort_config_static_selectorELNS0_4arch9wavefront6targetE1EEEvSD_ ; -- Begin function _ZN7rocprim17ROCPRIM_400000_NS6detail17trampoline_kernelINS0_13kernel_configILj256ELj4ELj4294967295EEENS1_37radix_sort_block_sort_config_selectorItNS0_10empty_typeEEEZNS1_21radix_sort_block_sortIS4_Lb1EPtS9_PS6_SA_NS0_19identity_decomposerEEE10hipError_tT1_T2_T3_T4_jRjT5_jjP12ihipStream_tbEUlT_E_NS1_11comp_targetILNS1_3genE8ELNS1_11target_archE1030ELNS1_3gpuE2ELNS1_3repE0EEENS1_44radix_sort_block_sort_config_static_selectorELNS0_4arch9wavefront6targetE1EEEvSD_
	.globl	_ZN7rocprim17ROCPRIM_400000_NS6detail17trampoline_kernelINS0_13kernel_configILj256ELj4ELj4294967295EEENS1_37radix_sort_block_sort_config_selectorItNS0_10empty_typeEEEZNS1_21radix_sort_block_sortIS4_Lb1EPtS9_PS6_SA_NS0_19identity_decomposerEEE10hipError_tT1_T2_T3_T4_jRjT5_jjP12ihipStream_tbEUlT_E_NS1_11comp_targetILNS1_3genE8ELNS1_11target_archE1030ELNS1_3gpuE2ELNS1_3repE0EEENS1_44radix_sort_block_sort_config_static_selectorELNS0_4arch9wavefront6targetE1EEEvSD_
	.p2align	8
	.type	_ZN7rocprim17ROCPRIM_400000_NS6detail17trampoline_kernelINS0_13kernel_configILj256ELj4ELj4294967295EEENS1_37radix_sort_block_sort_config_selectorItNS0_10empty_typeEEEZNS1_21radix_sort_block_sortIS4_Lb1EPtS9_PS6_SA_NS0_19identity_decomposerEEE10hipError_tT1_T2_T3_T4_jRjT5_jjP12ihipStream_tbEUlT_E_NS1_11comp_targetILNS1_3genE8ELNS1_11target_archE1030ELNS1_3gpuE2ELNS1_3repE0EEENS1_44radix_sort_block_sort_config_static_selectorELNS0_4arch9wavefront6targetE1EEEvSD_,@function
_ZN7rocprim17ROCPRIM_400000_NS6detail17trampoline_kernelINS0_13kernel_configILj256ELj4ELj4294967295EEENS1_37radix_sort_block_sort_config_selectorItNS0_10empty_typeEEEZNS1_21radix_sort_block_sortIS4_Lb1EPtS9_PS6_SA_NS0_19identity_decomposerEEE10hipError_tT1_T2_T3_T4_jRjT5_jjP12ihipStream_tbEUlT_E_NS1_11comp_targetILNS1_3genE8ELNS1_11target_archE1030ELNS1_3gpuE2ELNS1_3repE0EEENS1_44radix_sort_block_sort_config_static_selectorELNS0_4arch9wavefront6targetE1EEEvSD_: ; @_ZN7rocprim17ROCPRIM_400000_NS6detail17trampoline_kernelINS0_13kernel_configILj256ELj4ELj4294967295EEENS1_37radix_sort_block_sort_config_selectorItNS0_10empty_typeEEEZNS1_21radix_sort_block_sortIS4_Lb1EPtS9_PS6_SA_NS0_19identity_decomposerEEE10hipError_tT1_T2_T3_T4_jRjT5_jjP12ihipStream_tbEUlT_E_NS1_11comp_targetILNS1_3genE8ELNS1_11target_archE1030ELNS1_3gpuE2ELNS1_3repE0EEENS1_44radix_sort_block_sort_config_static_selectorELNS0_4arch9wavefront6targetE1EEEvSD_
; %bb.0:
	.section	.rodata,"a",@progbits
	.p2align	6, 0x0
	.amdhsa_kernel _ZN7rocprim17ROCPRIM_400000_NS6detail17trampoline_kernelINS0_13kernel_configILj256ELj4ELj4294967295EEENS1_37radix_sort_block_sort_config_selectorItNS0_10empty_typeEEEZNS1_21radix_sort_block_sortIS4_Lb1EPtS9_PS6_SA_NS0_19identity_decomposerEEE10hipError_tT1_T2_T3_T4_jRjT5_jjP12ihipStream_tbEUlT_E_NS1_11comp_targetILNS1_3genE8ELNS1_11target_archE1030ELNS1_3gpuE2ELNS1_3repE0EEENS1_44radix_sort_block_sort_config_static_selectorELNS0_4arch9wavefront6targetE1EEEvSD_
		.amdhsa_group_segment_fixed_size 0
		.amdhsa_private_segment_fixed_size 0
		.amdhsa_kernarg_size 48
		.amdhsa_user_sgpr_count 6
		.amdhsa_user_sgpr_private_segment_buffer 1
		.amdhsa_user_sgpr_dispatch_ptr 0
		.amdhsa_user_sgpr_queue_ptr 0
		.amdhsa_user_sgpr_kernarg_segment_ptr 1
		.amdhsa_user_sgpr_dispatch_id 0
		.amdhsa_user_sgpr_flat_scratch_init 0
		.amdhsa_user_sgpr_kernarg_preload_length 0
		.amdhsa_user_sgpr_kernarg_preload_offset 0
		.amdhsa_user_sgpr_private_segment_size 0
		.amdhsa_uses_dynamic_stack 0
		.amdhsa_system_sgpr_private_segment_wavefront_offset 0
		.amdhsa_system_sgpr_workgroup_id_x 1
		.amdhsa_system_sgpr_workgroup_id_y 0
		.amdhsa_system_sgpr_workgroup_id_z 0
		.amdhsa_system_sgpr_workgroup_info 0
		.amdhsa_system_vgpr_workitem_id 0
		.amdhsa_next_free_vgpr 1
		.amdhsa_next_free_sgpr 0
		.amdhsa_accum_offset 4
		.amdhsa_reserve_vcc 0
		.amdhsa_reserve_flat_scratch 0
		.amdhsa_float_round_mode_32 0
		.amdhsa_float_round_mode_16_64 0
		.amdhsa_float_denorm_mode_32 3
		.amdhsa_float_denorm_mode_16_64 3
		.amdhsa_dx10_clamp 1
		.amdhsa_ieee_mode 1
		.amdhsa_fp16_overflow 0
		.amdhsa_tg_split 0
		.amdhsa_exception_fp_ieee_invalid_op 0
		.amdhsa_exception_fp_denorm_src 0
		.amdhsa_exception_fp_ieee_div_zero 0
		.amdhsa_exception_fp_ieee_overflow 0
		.amdhsa_exception_fp_ieee_underflow 0
		.amdhsa_exception_fp_ieee_inexact 0
		.amdhsa_exception_int_div_zero 0
	.end_amdhsa_kernel
	.section	.text._ZN7rocprim17ROCPRIM_400000_NS6detail17trampoline_kernelINS0_13kernel_configILj256ELj4ELj4294967295EEENS1_37radix_sort_block_sort_config_selectorItNS0_10empty_typeEEEZNS1_21radix_sort_block_sortIS4_Lb1EPtS9_PS6_SA_NS0_19identity_decomposerEEE10hipError_tT1_T2_T3_T4_jRjT5_jjP12ihipStream_tbEUlT_E_NS1_11comp_targetILNS1_3genE8ELNS1_11target_archE1030ELNS1_3gpuE2ELNS1_3repE0EEENS1_44radix_sort_block_sort_config_static_selectorELNS0_4arch9wavefront6targetE1EEEvSD_,"axG",@progbits,_ZN7rocprim17ROCPRIM_400000_NS6detail17trampoline_kernelINS0_13kernel_configILj256ELj4ELj4294967295EEENS1_37radix_sort_block_sort_config_selectorItNS0_10empty_typeEEEZNS1_21radix_sort_block_sortIS4_Lb1EPtS9_PS6_SA_NS0_19identity_decomposerEEE10hipError_tT1_T2_T3_T4_jRjT5_jjP12ihipStream_tbEUlT_E_NS1_11comp_targetILNS1_3genE8ELNS1_11target_archE1030ELNS1_3gpuE2ELNS1_3repE0EEENS1_44radix_sort_block_sort_config_static_selectorELNS0_4arch9wavefront6targetE1EEEvSD_,comdat
.Lfunc_end1852:
	.size	_ZN7rocprim17ROCPRIM_400000_NS6detail17trampoline_kernelINS0_13kernel_configILj256ELj4ELj4294967295EEENS1_37radix_sort_block_sort_config_selectorItNS0_10empty_typeEEEZNS1_21radix_sort_block_sortIS4_Lb1EPtS9_PS6_SA_NS0_19identity_decomposerEEE10hipError_tT1_T2_T3_T4_jRjT5_jjP12ihipStream_tbEUlT_E_NS1_11comp_targetILNS1_3genE8ELNS1_11target_archE1030ELNS1_3gpuE2ELNS1_3repE0EEENS1_44radix_sort_block_sort_config_static_selectorELNS0_4arch9wavefront6targetE1EEEvSD_, .Lfunc_end1852-_ZN7rocprim17ROCPRIM_400000_NS6detail17trampoline_kernelINS0_13kernel_configILj256ELj4ELj4294967295EEENS1_37radix_sort_block_sort_config_selectorItNS0_10empty_typeEEEZNS1_21radix_sort_block_sortIS4_Lb1EPtS9_PS6_SA_NS0_19identity_decomposerEEE10hipError_tT1_T2_T3_T4_jRjT5_jjP12ihipStream_tbEUlT_E_NS1_11comp_targetILNS1_3genE8ELNS1_11target_archE1030ELNS1_3gpuE2ELNS1_3repE0EEENS1_44radix_sort_block_sort_config_static_selectorELNS0_4arch9wavefront6targetE1EEEvSD_
                                        ; -- End function
	.section	.AMDGPU.csdata,"",@progbits
; Kernel info:
; codeLenInByte = 0
; NumSgprs: 4
; NumVgprs: 0
; NumAgprs: 0
; TotalNumVgprs: 0
; ScratchSize: 0
; MemoryBound: 0
; FloatMode: 240
; IeeeMode: 1
; LDSByteSize: 0 bytes/workgroup (compile time only)
; SGPRBlocks: 0
; VGPRBlocks: 0
; NumSGPRsForWavesPerEU: 4
; NumVGPRsForWavesPerEU: 1
; AccumOffset: 4
; Occupancy: 8
; WaveLimiterHint : 0
; COMPUTE_PGM_RSRC2:SCRATCH_EN: 0
; COMPUTE_PGM_RSRC2:USER_SGPR: 6
; COMPUTE_PGM_RSRC2:TRAP_HANDLER: 0
; COMPUTE_PGM_RSRC2:TGID_X_EN: 1
; COMPUTE_PGM_RSRC2:TGID_Y_EN: 0
; COMPUTE_PGM_RSRC2:TGID_Z_EN: 0
; COMPUTE_PGM_RSRC2:TIDIG_COMP_CNT: 0
; COMPUTE_PGM_RSRC3_GFX90A:ACCUM_OFFSET: 0
; COMPUTE_PGM_RSRC3_GFX90A:TG_SPLIT: 0
	.section	.text._ZN7rocprim17ROCPRIM_400000_NS6detail17trampoline_kernelINS0_14default_configENS1_38merge_sort_block_merge_config_selectorItNS0_10empty_typeEEEZZNS1_27merge_sort_block_merge_implIS3_PtPS5_jNS1_19radix_merge_compareILb1ELb0EtNS0_19identity_decomposerEEEEE10hipError_tT0_T1_T2_jT3_P12ihipStream_tbPNSt15iterator_traitsISE_E10value_typeEPNSK_ISF_E10value_typeEPSG_NS1_7vsmem_tEENKUlT_SE_SF_SG_E_clIS8_S8_S9_S9_EESD_ST_SE_SF_SG_EUlST_E_NS1_11comp_targetILNS1_3genE0ELNS1_11target_archE4294967295ELNS1_3gpuE0ELNS1_3repE0EEENS1_48merge_mergepath_partition_config_static_selectorELNS0_4arch9wavefront6targetE1EEEvSF_,"axG",@progbits,_ZN7rocprim17ROCPRIM_400000_NS6detail17trampoline_kernelINS0_14default_configENS1_38merge_sort_block_merge_config_selectorItNS0_10empty_typeEEEZZNS1_27merge_sort_block_merge_implIS3_PtPS5_jNS1_19radix_merge_compareILb1ELb0EtNS0_19identity_decomposerEEEEE10hipError_tT0_T1_T2_jT3_P12ihipStream_tbPNSt15iterator_traitsISE_E10value_typeEPNSK_ISF_E10value_typeEPSG_NS1_7vsmem_tEENKUlT_SE_SF_SG_E_clIS8_S8_S9_S9_EESD_ST_SE_SF_SG_EUlST_E_NS1_11comp_targetILNS1_3genE0ELNS1_11target_archE4294967295ELNS1_3gpuE0ELNS1_3repE0EEENS1_48merge_mergepath_partition_config_static_selectorELNS0_4arch9wavefront6targetE1EEEvSF_,comdat
	.protected	_ZN7rocprim17ROCPRIM_400000_NS6detail17trampoline_kernelINS0_14default_configENS1_38merge_sort_block_merge_config_selectorItNS0_10empty_typeEEEZZNS1_27merge_sort_block_merge_implIS3_PtPS5_jNS1_19radix_merge_compareILb1ELb0EtNS0_19identity_decomposerEEEEE10hipError_tT0_T1_T2_jT3_P12ihipStream_tbPNSt15iterator_traitsISE_E10value_typeEPNSK_ISF_E10value_typeEPSG_NS1_7vsmem_tEENKUlT_SE_SF_SG_E_clIS8_S8_S9_S9_EESD_ST_SE_SF_SG_EUlST_E_NS1_11comp_targetILNS1_3genE0ELNS1_11target_archE4294967295ELNS1_3gpuE0ELNS1_3repE0EEENS1_48merge_mergepath_partition_config_static_selectorELNS0_4arch9wavefront6targetE1EEEvSF_ ; -- Begin function _ZN7rocprim17ROCPRIM_400000_NS6detail17trampoline_kernelINS0_14default_configENS1_38merge_sort_block_merge_config_selectorItNS0_10empty_typeEEEZZNS1_27merge_sort_block_merge_implIS3_PtPS5_jNS1_19radix_merge_compareILb1ELb0EtNS0_19identity_decomposerEEEEE10hipError_tT0_T1_T2_jT3_P12ihipStream_tbPNSt15iterator_traitsISE_E10value_typeEPNSK_ISF_E10value_typeEPSG_NS1_7vsmem_tEENKUlT_SE_SF_SG_E_clIS8_S8_S9_S9_EESD_ST_SE_SF_SG_EUlST_E_NS1_11comp_targetILNS1_3genE0ELNS1_11target_archE4294967295ELNS1_3gpuE0ELNS1_3repE0EEENS1_48merge_mergepath_partition_config_static_selectorELNS0_4arch9wavefront6targetE1EEEvSF_
	.globl	_ZN7rocprim17ROCPRIM_400000_NS6detail17trampoline_kernelINS0_14default_configENS1_38merge_sort_block_merge_config_selectorItNS0_10empty_typeEEEZZNS1_27merge_sort_block_merge_implIS3_PtPS5_jNS1_19radix_merge_compareILb1ELb0EtNS0_19identity_decomposerEEEEE10hipError_tT0_T1_T2_jT3_P12ihipStream_tbPNSt15iterator_traitsISE_E10value_typeEPNSK_ISF_E10value_typeEPSG_NS1_7vsmem_tEENKUlT_SE_SF_SG_E_clIS8_S8_S9_S9_EESD_ST_SE_SF_SG_EUlST_E_NS1_11comp_targetILNS1_3genE0ELNS1_11target_archE4294967295ELNS1_3gpuE0ELNS1_3repE0EEENS1_48merge_mergepath_partition_config_static_selectorELNS0_4arch9wavefront6targetE1EEEvSF_
	.p2align	8
	.type	_ZN7rocprim17ROCPRIM_400000_NS6detail17trampoline_kernelINS0_14default_configENS1_38merge_sort_block_merge_config_selectorItNS0_10empty_typeEEEZZNS1_27merge_sort_block_merge_implIS3_PtPS5_jNS1_19radix_merge_compareILb1ELb0EtNS0_19identity_decomposerEEEEE10hipError_tT0_T1_T2_jT3_P12ihipStream_tbPNSt15iterator_traitsISE_E10value_typeEPNSK_ISF_E10value_typeEPSG_NS1_7vsmem_tEENKUlT_SE_SF_SG_E_clIS8_S8_S9_S9_EESD_ST_SE_SF_SG_EUlST_E_NS1_11comp_targetILNS1_3genE0ELNS1_11target_archE4294967295ELNS1_3gpuE0ELNS1_3repE0EEENS1_48merge_mergepath_partition_config_static_selectorELNS0_4arch9wavefront6targetE1EEEvSF_,@function
_ZN7rocprim17ROCPRIM_400000_NS6detail17trampoline_kernelINS0_14default_configENS1_38merge_sort_block_merge_config_selectorItNS0_10empty_typeEEEZZNS1_27merge_sort_block_merge_implIS3_PtPS5_jNS1_19radix_merge_compareILb1ELb0EtNS0_19identity_decomposerEEEEE10hipError_tT0_T1_T2_jT3_P12ihipStream_tbPNSt15iterator_traitsISE_E10value_typeEPNSK_ISF_E10value_typeEPSG_NS1_7vsmem_tEENKUlT_SE_SF_SG_E_clIS8_S8_S9_S9_EESD_ST_SE_SF_SG_EUlST_E_NS1_11comp_targetILNS1_3genE0ELNS1_11target_archE4294967295ELNS1_3gpuE0ELNS1_3repE0EEENS1_48merge_mergepath_partition_config_static_selectorELNS0_4arch9wavefront6targetE1EEEvSF_: ; @_ZN7rocprim17ROCPRIM_400000_NS6detail17trampoline_kernelINS0_14default_configENS1_38merge_sort_block_merge_config_selectorItNS0_10empty_typeEEEZZNS1_27merge_sort_block_merge_implIS3_PtPS5_jNS1_19radix_merge_compareILb1ELb0EtNS0_19identity_decomposerEEEEE10hipError_tT0_T1_T2_jT3_P12ihipStream_tbPNSt15iterator_traitsISE_E10value_typeEPNSK_ISF_E10value_typeEPSG_NS1_7vsmem_tEENKUlT_SE_SF_SG_E_clIS8_S8_S9_S9_EESD_ST_SE_SF_SG_EUlST_E_NS1_11comp_targetILNS1_3genE0ELNS1_11target_archE4294967295ELNS1_3gpuE0ELNS1_3repE0EEENS1_48merge_mergepath_partition_config_static_selectorELNS0_4arch9wavefront6targetE1EEEvSF_
; %bb.0:
	.section	.rodata,"a",@progbits
	.p2align	6, 0x0
	.amdhsa_kernel _ZN7rocprim17ROCPRIM_400000_NS6detail17trampoline_kernelINS0_14default_configENS1_38merge_sort_block_merge_config_selectorItNS0_10empty_typeEEEZZNS1_27merge_sort_block_merge_implIS3_PtPS5_jNS1_19radix_merge_compareILb1ELb0EtNS0_19identity_decomposerEEEEE10hipError_tT0_T1_T2_jT3_P12ihipStream_tbPNSt15iterator_traitsISE_E10value_typeEPNSK_ISF_E10value_typeEPSG_NS1_7vsmem_tEENKUlT_SE_SF_SG_E_clIS8_S8_S9_S9_EESD_ST_SE_SF_SG_EUlST_E_NS1_11comp_targetILNS1_3genE0ELNS1_11target_archE4294967295ELNS1_3gpuE0ELNS1_3repE0EEENS1_48merge_mergepath_partition_config_static_selectorELNS0_4arch9wavefront6targetE1EEEvSF_
		.amdhsa_group_segment_fixed_size 0
		.amdhsa_private_segment_fixed_size 0
		.amdhsa_kernarg_size 40
		.amdhsa_user_sgpr_count 6
		.amdhsa_user_sgpr_private_segment_buffer 1
		.amdhsa_user_sgpr_dispatch_ptr 0
		.amdhsa_user_sgpr_queue_ptr 0
		.amdhsa_user_sgpr_kernarg_segment_ptr 1
		.amdhsa_user_sgpr_dispatch_id 0
		.amdhsa_user_sgpr_flat_scratch_init 0
		.amdhsa_user_sgpr_kernarg_preload_length 0
		.amdhsa_user_sgpr_kernarg_preload_offset 0
		.amdhsa_user_sgpr_private_segment_size 0
		.amdhsa_uses_dynamic_stack 0
		.amdhsa_system_sgpr_private_segment_wavefront_offset 0
		.amdhsa_system_sgpr_workgroup_id_x 1
		.amdhsa_system_sgpr_workgroup_id_y 0
		.amdhsa_system_sgpr_workgroup_id_z 0
		.amdhsa_system_sgpr_workgroup_info 0
		.amdhsa_system_vgpr_workitem_id 0
		.amdhsa_next_free_vgpr 1
		.amdhsa_next_free_sgpr 0
		.amdhsa_accum_offset 4
		.amdhsa_reserve_vcc 0
		.amdhsa_reserve_flat_scratch 0
		.amdhsa_float_round_mode_32 0
		.amdhsa_float_round_mode_16_64 0
		.amdhsa_float_denorm_mode_32 3
		.amdhsa_float_denorm_mode_16_64 3
		.amdhsa_dx10_clamp 1
		.amdhsa_ieee_mode 1
		.amdhsa_fp16_overflow 0
		.amdhsa_tg_split 0
		.amdhsa_exception_fp_ieee_invalid_op 0
		.amdhsa_exception_fp_denorm_src 0
		.amdhsa_exception_fp_ieee_div_zero 0
		.amdhsa_exception_fp_ieee_overflow 0
		.amdhsa_exception_fp_ieee_underflow 0
		.amdhsa_exception_fp_ieee_inexact 0
		.amdhsa_exception_int_div_zero 0
	.end_amdhsa_kernel
	.section	.text._ZN7rocprim17ROCPRIM_400000_NS6detail17trampoline_kernelINS0_14default_configENS1_38merge_sort_block_merge_config_selectorItNS0_10empty_typeEEEZZNS1_27merge_sort_block_merge_implIS3_PtPS5_jNS1_19radix_merge_compareILb1ELb0EtNS0_19identity_decomposerEEEEE10hipError_tT0_T1_T2_jT3_P12ihipStream_tbPNSt15iterator_traitsISE_E10value_typeEPNSK_ISF_E10value_typeEPSG_NS1_7vsmem_tEENKUlT_SE_SF_SG_E_clIS8_S8_S9_S9_EESD_ST_SE_SF_SG_EUlST_E_NS1_11comp_targetILNS1_3genE0ELNS1_11target_archE4294967295ELNS1_3gpuE0ELNS1_3repE0EEENS1_48merge_mergepath_partition_config_static_selectorELNS0_4arch9wavefront6targetE1EEEvSF_,"axG",@progbits,_ZN7rocprim17ROCPRIM_400000_NS6detail17trampoline_kernelINS0_14default_configENS1_38merge_sort_block_merge_config_selectorItNS0_10empty_typeEEEZZNS1_27merge_sort_block_merge_implIS3_PtPS5_jNS1_19radix_merge_compareILb1ELb0EtNS0_19identity_decomposerEEEEE10hipError_tT0_T1_T2_jT3_P12ihipStream_tbPNSt15iterator_traitsISE_E10value_typeEPNSK_ISF_E10value_typeEPSG_NS1_7vsmem_tEENKUlT_SE_SF_SG_E_clIS8_S8_S9_S9_EESD_ST_SE_SF_SG_EUlST_E_NS1_11comp_targetILNS1_3genE0ELNS1_11target_archE4294967295ELNS1_3gpuE0ELNS1_3repE0EEENS1_48merge_mergepath_partition_config_static_selectorELNS0_4arch9wavefront6targetE1EEEvSF_,comdat
.Lfunc_end1853:
	.size	_ZN7rocprim17ROCPRIM_400000_NS6detail17trampoline_kernelINS0_14default_configENS1_38merge_sort_block_merge_config_selectorItNS0_10empty_typeEEEZZNS1_27merge_sort_block_merge_implIS3_PtPS5_jNS1_19radix_merge_compareILb1ELb0EtNS0_19identity_decomposerEEEEE10hipError_tT0_T1_T2_jT3_P12ihipStream_tbPNSt15iterator_traitsISE_E10value_typeEPNSK_ISF_E10value_typeEPSG_NS1_7vsmem_tEENKUlT_SE_SF_SG_E_clIS8_S8_S9_S9_EESD_ST_SE_SF_SG_EUlST_E_NS1_11comp_targetILNS1_3genE0ELNS1_11target_archE4294967295ELNS1_3gpuE0ELNS1_3repE0EEENS1_48merge_mergepath_partition_config_static_selectorELNS0_4arch9wavefront6targetE1EEEvSF_, .Lfunc_end1853-_ZN7rocprim17ROCPRIM_400000_NS6detail17trampoline_kernelINS0_14default_configENS1_38merge_sort_block_merge_config_selectorItNS0_10empty_typeEEEZZNS1_27merge_sort_block_merge_implIS3_PtPS5_jNS1_19radix_merge_compareILb1ELb0EtNS0_19identity_decomposerEEEEE10hipError_tT0_T1_T2_jT3_P12ihipStream_tbPNSt15iterator_traitsISE_E10value_typeEPNSK_ISF_E10value_typeEPSG_NS1_7vsmem_tEENKUlT_SE_SF_SG_E_clIS8_S8_S9_S9_EESD_ST_SE_SF_SG_EUlST_E_NS1_11comp_targetILNS1_3genE0ELNS1_11target_archE4294967295ELNS1_3gpuE0ELNS1_3repE0EEENS1_48merge_mergepath_partition_config_static_selectorELNS0_4arch9wavefront6targetE1EEEvSF_
                                        ; -- End function
	.section	.AMDGPU.csdata,"",@progbits
; Kernel info:
; codeLenInByte = 0
; NumSgprs: 4
; NumVgprs: 0
; NumAgprs: 0
; TotalNumVgprs: 0
; ScratchSize: 0
; MemoryBound: 0
; FloatMode: 240
; IeeeMode: 1
; LDSByteSize: 0 bytes/workgroup (compile time only)
; SGPRBlocks: 0
; VGPRBlocks: 0
; NumSGPRsForWavesPerEU: 4
; NumVGPRsForWavesPerEU: 1
; AccumOffset: 4
; Occupancy: 8
; WaveLimiterHint : 0
; COMPUTE_PGM_RSRC2:SCRATCH_EN: 0
; COMPUTE_PGM_RSRC2:USER_SGPR: 6
; COMPUTE_PGM_RSRC2:TRAP_HANDLER: 0
; COMPUTE_PGM_RSRC2:TGID_X_EN: 1
; COMPUTE_PGM_RSRC2:TGID_Y_EN: 0
; COMPUTE_PGM_RSRC2:TGID_Z_EN: 0
; COMPUTE_PGM_RSRC2:TIDIG_COMP_CNT: 0
; COMPUTE_PGM_RSRC3_GFX90A:ACCUM_OFFSET: 0
; COMPUTE_PGM_RSRC3_GFX90A:TG_SPLIT: 0
	.section	.text._ZN7rocprim17ROCPRIM_400000_NS6detail17trampoline_kernelINS0_14default_configENS1_38merge_sort_block_merge_config_selectorItNS0_10empty_typeEEEZZNS1_27merge_sort_block_merge_implIS3_PtPS5_jNS1_19radix_merge_compareILb1ELb0EtNS0_19identity_decomposerEEEEE10hipError_tT0_T1_T2_jT3_P12ihipStream_tbPNSt15iterator_traitsISE_E10value_typeEPNSK_ISF_E10value_typeEPSG_NS1_7vsmem_tEENKUlT_SE_SF_SG_E_clIS8_S8_S9_S9_EESD_ST_SE_SF_SG_EUlST_E_NS1_11comp_targetILNS1_3genE10ELNS1_11target_archE1201ELNS1_3gpuE5ELNS1_3repE0EEENS1_48merge_mergepath_partition_config_static_selectorELNS0_4arch9wavefront6targetE1EEEvSF_,"axG",@progbits,_ZN7rocprim17ROCPRIM_400000_NS6detail17trampoline_kernelINS0_14default_configENS1_38merge_sort_block_merge_config_selectorItNS0_10empty_typeEEEZZNS1_27merge_sort_block_merge_implIS3_PtPS5_jNS1_19radix_merge_compareILb1ELb0EtNS0_19identity_decomposerEEEEE10hipError_tT0_T1_T2_jT3_P12ihipStream_tbPNSt15iterator_traitsISE_E10value_typeEPNSK_ISF_E10value_typeEPSG_NS1_7vsmem_tEENKUlT_SE_SF_SG_E_clIS8_S8_S9_S9_EESD_ST_SE_SF_SG_EUlST_E_NS1_11comp_targetILNS1_3genE10ELNS1_11target_archE1201ELNS1_3gpuE5ELNS1_3repE0EEENS1_48merge_mergepath_partition_config_static_selectorELNS0_4arch9wavefront6targetE1EEEvSF_,comdat
	.protected	_ZN7rocprim17ROCPRIM_400000_NS6detail17trampoline_kernelINS0_14default_configENS1_38merge_sort_block_merge_config_selectorItNS0_10empty_typeEEEZZNS1_27merge_sort_block_merge_implIS3_PtPS5_jNS1_19radix_merge_compareILb1ELb0EtNS0_19identity_decomposerEEEEE10hipError_tT0_T1_T2_jT3_P12ihipStream_tbPNSt15iterator_traitsISE_E10value_typeEPNSK_ISF_E10value_typeEPSG_NS1_7vsmem_tEENKUlT_SE_SF_SG_E_clIS8_S8_S9_S9_EESD_ST_SE_SF_SG_EUlST_E_NS1_11comp_targetILNS1_3genE10ELNS1_11target_archE1201ELNS1_3gpuE5ELNS1_3repE0EEENS1_48merge_mergepath_partition_config_static_selectorELNS0_4arch9wavefront6targetE1EEEvSF_ ; -- Begin function _ZN7rocprim17ROCPRIM_400000_NS6detail17trampoline_kernelINS0_14default_configENS1_38merge_sort_block_merge_config_selectorItNS0_10empty_typeEEEZZNS1_27merge_sort_block_merge_implIS3_PtPS5_jNS1_19radix_merge_compareILb1ELb0EtNS0_19identity_decomposerEEEEE10hipError_tT0_T1_T2_jT3_P12ihipStream_tbPNSt15iterator_traitsISE_E10value_typeEPNSK_ISF_E10value_typeEPSG_NS1_7vsmem_tEENKUlT_SE_SF_SG_E_clIS8_S8_S9_S9_EESD_ST_SE_SF_SG_EUlST_E_NS1_11comp_targetILNS1_3genE10ELNS1_11target_archE1201ELNS1_3gpuE5ELNS1_3repE0EEENS1_48merge_mergepath_partition_config_static_selectorELNS0_4arch9wavefront6targetE1EEEvSF_
	.globl	_ZN7rocprim17ROCPRIM_400000_NS6detail17trampoline_kernelINS0_14default_configENS1_38merge_sort_block_merge_config_selectorItNS0_10empty_typeEEEZZNS1_27merge_sort_block_merge_implIS3_PtPS5_jNS1_19radix_merge_compareILb1ELb0EtNS0_19identity_decomposerEEEEE10hipError_tT0_T1_T2_jT3_P12ihipStream_tbPNSt15iterator_traitsISE_E10value_typeEPNSK_ISF_E10value_typeEPSG_NS1_7vsmem_tEENKUlT_SE_SF_SG_E_clIS8_S8_S9_S9_EESD_ST_SE_SF_SG_EUlST_E_NS1_11comp_targetILNS1_3genE10ELNS1_11target_archE1201ELNS1_3gpuE5ELNS1_3repE0EEENS1_48merge_mergepath_partition_config_static_selectorELNS0_4arch9wavefront6targetE1EEEvSF_
	.p2align	8
	.type	_ZN7rocprim17ROCPRIM_400000_NS6detail17trampoline_kernelINS0_14default_configENS1_38merge_sort_block_merge_config_selectorItNS0_10empty_typeEEEZZNS1_27merge_sort_block_merge_implIS3_PtPS5_jNS1_19radix_merge_compareILb1ELb0EtNS0_19identity_decomposerEEEEE10hipError_tT0_T1_T2_jT3_P12ihipStream_tbPNSt15iterator_traitsISE_E10value_typeEPNSK_ISF_E10value_typeEPSG_NS1_7vsmem_tEENKUlT_SE_SF_SG_E_clIS8_S8_S9_S9_EESD_ST_SE_SF_SG_EUlST_E_NS1_11comp_targetILNS1_3genE10ELNS1_11target_archE1201ELNS1_3gpuE5ELNS1_3repE0EEENS1_48merge_mergepath_partition_config_static_selectorELNS0_4arch9wavefront6targetE1EEEvSF_,@function
_ZN7rocprim17ROCPRIM_400000_NS6detail17trampoline_kernelINS0_14default_configENS1_38merge_sort_block_merge_config_selectorItNS0_10empty_typeEEEZZNS1_27merge_sort_block_merge_implIS3_PtPS5_jNS1_19radix_merge_compareILb1ELb0EtNS0_19identity_decomposerEEEEE10hipError_tT0_T1_T2_jT3_P12ihipStream_tbPNSt15iterator_traitsISE_E10value_typeEPNSK_ISF_E10value_typeEPSG_NS1_7vsmem_tEENKUlT_SE_SF_SG_E_clIS8_S8_S9_S9_EESD_ST_SE_SF_SG_EUlST_E_NS1_11comp_targetILNS1_3genE10ELNS1_11target_archE1201ELNS1_3gpuE5ELNS1_3repE0EEENS1_48merge_mergepath_partition_config_static_selectorELNS0_4arch9wavefront6targetE1EEEvSF_: ; @_ZN7rocprim17ROCPRIM_400000_NS6detail17trampoline_kernelINS0_14default_configENS1_38merge_sort_block_merge_config_selectorItNS0_10empty_typeEEEZZNS1_27merge_sort_block_merge_implIS3_PtPS5_jNS1_19radix_merge_compareILb1ELb0EtNS0_19identity_decomposerEEEEE10hipError_tT0_T1_T2_jT3_P12ihipStream_tbPNSt15iterator_traitsISE_E10value_typeEPNSK_ISF_E10value_typeEPSG_NS1_7vsmem_tEENKUlT_SE_SF_SG_E_clIS8_S8_S9_S9_EESD_ST_SE_SF_SG_EUlST_E_NS1_11comp_targetILNS1_3genE10ELNS1_11target_archE1201ELNS1_3gpuE5ELNS1_3repE0EEENS1_48merge_mergepath_partition_config_static_selectorELNS0_4arch9wavefront6targetE1EEEvSF_
; %bb.0:
	.section	.rodata,"a",@progbits
	.p2align	6, 0x0
	.amdhsa_kernel _ZN7rocprim17ROCPRIM_400000_NS6detail17trampoline_kernelINS0_14default_configENS1_38merge_sort_block_merge_config_selectorItNS0_10empty_typeEEEZZNS1_27merge_sort_block_merge_implIS3_PtPS5_jNS1_19radix_merge_compareILb1ELb0EtNS0_19identity_decomposerEEEEE10hipError_tT0_T1_T2_jT3_P12ihipStream_tbPNSt15iterator_traitsISE_E10value_typeEPNSK_ISF_E10value_typeEPSG_NS1_7vsmem_tEENKUlT_SE_SF_SG_E_clIS8_S8_S9_S9_EESD_ST_SE_SF_SG_EUlST_E_NS1_11comp_targetILNS1_3genE10ELNS1_11target_archE1201ELNS1_3gpuE5ELNS1_3repE0EEENS1_48merge_mergepath_partition_config_static_selectorELNS0_4arch9wavefront6targetE1EEEvSF_
		.amdhsa_group_segment_fixed_size 0
		.amdhsa_private_segment_fixed_size 0
		.amdhsa_kernarg_size 40
		.amdhsa_user_sgpr_count 6
		.amdhsa_user_sgpr_private_segment_buffer 1
		.amdhsa_user_sgpr_dispatch_ptr 0
		.amdhsa_user_sgpr_queue_ptr 0
		.amdhsa_user_sgpr_kernarg_segment_ptr 1
		.amdhsa_user_sgpr_dispatch_id 0
		.amdhsa_user_sgpr_flat_scratch_init 0
		.amdhsa_user_sgpr_kernarg_preload_length 0
		.amdhsa_user_sgpr_kernarg_preload_offset 0
		.amdhsa_user_sgpr_private_segment_size 0
		.amdhsa_uses_dynamic_stack 0
		.amdhsa_system_sgpr_private_segment_wavefront_offset 0
		.amdhsa_system_sgpr_workgroup_id_x 1
		.amdhsa_system_sgpr_workgroup_id_y 0
		.amdhsa_system_sgpr_workgroup_id_z 0
		.amdhsa_system_sgpr_workgroup_info 0
		.amdhsa_system_vgpr_workitem_id 0
		.amdhsa_next_free_vgpr 1
		.amdhsa_next_free_sgpr 0
		.amdhsa_accum_offset 4
		.amdhsa_reserve_vcc 0
		.amdhsa_reserve_flat_scratch 0
		.amdhsa_float_round_mode_32 0
		.amdhsa_float_round_mode_16_64 0
		.amdhsa_float_denorm_mode_32 3
		.amdhsa_float_denorm_mode_16_64 3
		.amdhsa_dx10_clamp 1
		.amdhsa_ieee_mode 1
		.amdhsa_fp16_overflow 0
		.amdhsa_tg_split 0
		.amdhsa_exception_fp_ieee_invalid_op 0
		.amdhsa_exception_fp_denorm_src 0
		.amdhsa_exception_fp_ieee_div_zero 0
		.amdhsa_exception_fp_ieee_overflow 0
		.amdhsa_exception_fp_ieee_underflow 0
		.amdhsa_exception_fp_ieee_inexact 0
		.amdhsa_exception_int_div_zero 0
	.end_amdhsa_kernel
	.section	.text._ZN7rocprim17ROCPRIM_400000_NS6detail17trampoline_kernelINS0_14default_configENS1_38merge_sort_block_merge_config_selectorItNS0_10empty_typeEEEZZNS1_27merge_sort_block_merge_implIS3_PtPS5_jNS1_19radix_merge_compareILb1ELb0EtNS0_19identity_decomposerEEEEE10hipError_tT0_T1_T2_jT3_P12ihipStream_tbPNSt15iterator_traitsISE_E10value_typeEPNSK_ISF_E10value_typeEPSG_NS1_7vsmem_tEENKUlT_SE_SF_SG_E_clIS8_S8_S9_S9_EESD_ST_SE_SF_SG_EUlST_E_NS1_11comp_targetILNS1_3genE10ELNS1_11target_archE1201ELNS1_3gpuE5ELNS1_3repE0EEENS1_48merge_mergepath_partition_config_static_selectorELNS0_4arch9wavefront6targetE1EEEvSF_,"axG",@progbits,_ZN7rocprim17ROCPRIM_400000_NS6detail17trampoline_kernelINS0_14default_configENS1_38merge_sort_block_merge_config_selectorItNS0_10empty_typeEEEZZNS1_27merge_sort_block_merge_implIS3_PtPS5_jNS1_19radix_merge_compareILb1ELb0EtNS0_19identity_decomposerEEEEE10hipError_tT0_T1_T2_jT3_P12ihipStream_tbPNSt15iterator_traitsISE_E10value_typeEPNSK_ISF_E10value_typeEPSG_NS1_7vsmem_tEENKUlT_SE_SF_SG_E_clIS8_S8_S9_S9_EESD_ST_SE_SF_SG_EUlST_E_NS1_11comp_targetILNS1_3genE10ELNS1_11target_archE1201ELNS1_3gpuE5ELNS1_3repE0EEENS1_48merge_mergepath_partition_config_static_selectorELNS0_4arch9wavefront6targetE1EEEvSF_,comdat
.Lfunc_end1854:
	.size	_ZN7rocprim17ROCPRIM_400000_NS6detail17trampoline_kernelINS0_14default_configENS1_38merge_sort_block_merge_config_selectorItNS0_10empty_typeEEEZZNS1_27merge_sort_block_merge_implIS3_PtPS5_jNS1_19radix_merge_compareILb1ELb0EtNS0_19identity_decomposerEEEEE10hipError_tT0_T1_T2_jT3_P12ihipStream_tbPNSt15iterator_traitsISE_E10value_typeEPNSK_ISF_E10value_typeEPSG_NS1_7vsmem_tEENKUlT_SE_SF_SG_E_clIS8_S8_S9_S9_EESD_ST_SE_SF_SG_EUlST_E_NS1_11comp_targetILNS1_3genE10ELNS1_11target_archE1201ELNS1_3gpuE5ELNS1_3repE0EEENS1_48merge_mergepath_partition_config_static_selectorELNS0_4arch9wavefront6targetE1EEEvSF_, .Lfunc_end1854-_ZN7rocprim17ROCPRIM_400000_NS6detail17trampoline_kernelINS0_14default_configENS1_38merge_sort_block_merge_config_selectorItNS0_10empty_typeEEEZZNS1_27merge_sort_block_merge_implIS3_PtPS5_jNS1_19radix_merge_compareILb1ELb0EtNS0_19identity_decomposerEEEEE10hipError_tT0_T1_T2_jT3_P12ihipStream_tbPNSt15iterator_traitsISE_E10value_typeEPNSK_ISF_E10value_typeEPSG_NS1_7vsmem_tEENKUlT_SE_SF_SG_E_clIS8_S8_S9_S9_EESD_ST_SE_SF_SG_EUlST_E_NS1_11comp_targetILNS1_3genE10ELNS1_11target_archE1201ELNS1_3gpuE5ELNS1_3repE0EEENS1_48merge_mergepath_partition_config_static_selectorELNS0_4arch9wavefront6targetE1EEEvSF_
                                        ; -- End function
	.section	.AMDGPU.csdata,"",@progbits
; Kernel info:
; codeLenInByte = 0
; NumSgprs: 4
; NumVgprs: 0
; NumAgprs: 0
; TotalNumVgprs: 0
; ScratchSize: 0
; MemoryBound: 0
; FloatMode: 240
; IeeeMode: 1
; LDSByteSize: 0 bytes/workgroup (compile time only)
; SGPRBlocks: 0
; VGPRBlocks: 0
; NumSGPRsForWavesPerEU: 4
; NumVGPRsForWavesPerEU: 1
; AccumOffset: 4
; Occupancy: 8
; WaveLimiterHint : 0
; COMPUTE_PGM_RSRC2:SCRATCH_EN: 0
; COMPUTE_PGM_RSRC2:USER_SGPR: 6
; COMPUTE_PGM_RSRC2:TRAP_HANDLER: 0
; COMPUTE_PGM_RSRC2:TGID_X_EN: 1
; COMPUTE_PGM_RSRC2:TGID_Y_EN: 0
; COMPUTE_PGM_RSRC2:TGID_Z_EN: 0
; COMPUTE_PGM_RSRC2:TIDIG_COMP_CNT: 0
; COMPUTE_PGM_RSRC3_GFX90A:ACCUM_OFFSET: 0
; COMPUTE_PGM_RSRC3_GFX90A:TG_SPLIT: 0
	.section	.text._ZN7rocprim17ROCPRIM_400000_NS6detail17trampoline_kernelINS0_14default_configENS1_38merge_sort_block_merge_config_selectorItNS0_10empty_typeEEEZZNS1_27merge_sort_block_merge_implIS3_PtPS5_jNS1_19radix_merge_compareILb1ELb0EtNS0_19identity_decomposerEEEEE10hipError_tT0_T1_T2_jT3_P12ihipStream_tbPNSt15iterator_traitsISE_E10value_typeEPNSK_ISF_E10value_typeEPSG_NS1_7vsmem_tEENKUlT_SE_SF_SG_E_clIS8_S8_S9_S9_EESD_ST_SE_SF_SG_EUlST_E_NS1_11comp_targetILNS1_3genE5ELNS1_11target_archE942ELNS1_3gpuE9ELNS1_3repE0EEENS1_48merge_mergepath_partition_config_static_selectorELNS0_4arch9wavefront6targetE1EEEvSF_,"axG",@progbits,_ZN7rocprim17ROCPRIM_400000_NS6detail17trampoline_kernelINS0_14default_configENS1_38merge_sort_block_merge_config_selectorItNS0_10empty_typeEEEZZNS1_27merge_sort_block_merge_implIS3_PtPS5_jNS1_19radix_merge_compareILb1ELb0EtNS0_19identity_decomposerEEEEE10hipError_tT0_T1_T2_jT3_P12ihipStream_tbPNSt15iterator_traitsISE_E10value_typeEPNSK_ISF_E10value_typeEPSG_NS1_7vsmem_tEENKUlT_SE_SF_SG_E_clIS8_S8_S9_S9_EESD_ST_SE_SF_SG_EUlST_E_NS1_11comp_targetILNS1_3genE5ELNS1_11target_archE942ELNS1_3gpuE9ELNS1_3repE0EEENS1_48merge_mergepath_partition_config_static_selectorELNS0_4arch9wavefront6targetE1EEEvSF_,comdat
	.protected	_ZN7rocprim17ROCPRIM_400000_NS6detail17trampoline_kernelINS0_14default_configENS1_38merge_sort_block_merge_config_selectorItNS0_10empty_typeEEEZZNS1_27merge_sort_block_merge_implIS3_PtPS5_jNS1_19radix_merge_compareILb1ELb0EtNS0_19identity_decomposerEEEEE10hipError_tT0_T1_T2_jT3_P12ihipStream_tbPNSt15iterator_traitsISE_E10value_typeEPNSK_ISF_E10value_typeEPSG_NS1_7vsmem_tEENKUlT_SE_SF_SG_E_clIS8_S8_S9_S9_EESD_ST_SE_SF_SG_EUlST_E_NS1_11comp_targetILNS1_3genE5ELNS1_11target_archE942ELNS1_3gpuE9ELNS1_3repE0EEENS1_48merge_mergepath_partition_config_static_selectorELNS0_4arch9wavefront6targetE1EEEvSF_ ; -- Begin function _ZN7rocprim17ROCPRIM_400000_NS6detail17trampoline_kernelINS0_14default_configENS1_38merge_sort_block_merge_config_selectorItNS0_10empty_typeEEEZZNS1_27merge_sort_block_merge_implIS3_PtPS5_jNS1_19radix_merge_compareILb1ELb0EtNS0_19identity_decomposerEEEEE10hipError_tT0_T1_T2_jT3_P12ihipStream_tbPNSt15iterator_traitsISE_E10value_typeEPNSK_ISF_E10value_typeEPSG_NS1_7vsmem_tEENKUlT_SE_SF_SG_E_clIS8_S8_S9_S9_EESD_ST_SE_SF_SG_EUlST_E_NS1_11comp_targetILNS1_3genE5ELNS1_11target_archE942ELNS1_3gpuE9ELNS1_3repE0EEENS1_48merge_mergepath_partition_config_static_selectorELNS0_4arch9wavefront6targetE1EEEvSF_
	.globl	_ZN7rocprim17ROCPRIM_400000_NS6detail17trampoline_kernelINS0_14default_configENS1_38merge_sort_block_merge_config_selectorItNS0_10empty_typeEEEZZNS1_27merge_sort_block_merge_implIS3_PtPS5_jNS1_19radix_merge_compareILb1ELb0EtNS0_19identity_decomposerEEEEE10hipError_tT0_T1_T2_jT3_P12ihipStream_tbPNSt15iterator_traitsISE_E10value_typeEPNSK_ISF_E10value_typeEPSG_NS1_7vsmem_tEENKUlT_SE_SF_SG_E_clIS8_S8_S9_S9_EESD_ST_SE_SF_SG_EUlST_E_NS1_11comp_targetILNS1_3genE5ELNS1_11target_archE942ELNS1_3gpuE9ELNS1_3repE0EEENS1_48merge_mergepath_partition_config_static_selectorELNS0_4arch9wavefront6targetE1EEEvSF_
	.p2align	8
	.type	_ZN7rocprim17ROCPRIM_400000_NS6detail17trampoline_kernelINS0_14default_configENS1_38merge_sort_block_merge_config_selectorItNS0_10empty_typeEEEZZNS1_27merge_sort_block_merge_implIS3_PtPS5_jNS1_19radix_merge_compareILb1ELb0EtNS0_19identity_decomposerEEEEE10hipError_tT0_T1_T2_jT3_P12ihipStream_tbPNSt15iterator_traitsISE_E10value_typeEPNSK_ISF_E10value_typeEPSG_NS1_7vsmem_tEENKUlT_SE_SF_SG_E_clIS8_S8_S9_S9_EESD_ST_SE_SF_SG_EUlST_E_NS1_11comp_targetILNS1_3genE5ELNS1_11target_archE942ELNS1_3gpuE9ELNS1_3repE0EEENS1_48merge_mergepath_partition_config_static_selectorELNS0_4arch9wavefront6targetE1EEEvSF_,@function
_ZN7rocprim17ROCPRIM_400000_NS6detail17trampoline_kernelINS0_14default_configENS1_38merge_sort_block_merge_config_selectorItNS0_10empty_typeEEEZZNS1_27merge_sort_block_merge_implIS3_PtPS5_jNS1_19radix_merge_compareILb1ELb0EtNS0_19identity_decomposerEEEEE10hipError_tT0_T1_T2_jT3_P12ihipStream_tbPNSt15iterator_traitsISE_E10value_typeEPNSK_ISF_E10value_typeEPSG_NS1_7vsmem_tEENKUlT_SE_SF_SG_E_clIS8_S8_S9_S9_EESD_ST_SE_SF_SG_EUlST_E_NS1_11comp_targetILNS1_3genE5ELNS1_11target_archE942ELNS1_3gpuE9ELNS1_3repE0EEENS1_48merge_mergepath_partition_config_static_selectorELNS0_4arch9wavefront6targetE1EEEvSF_: ; @_ZN7rocprim17ROCPRIM_400000_NS6detail17trampoline_kernelINS0_14default_configENS1_38merge_sort_block_merge_config_selectorItNS0_10empty_typeEEEZZNS1_27merge_sort_block_merge_implIS3_PtPS5_jNS1_19radix_merge_compareILb1ELb0EtNS0_19identity_decomposerEEEEE10hipError_tT0_T1_T2_jT3_P12ihipStream_tbPNSt15iterator_traitsISE_E10value_typeEPNSK_ISF_E10value_typeEPSG_NS1_7vsmem_tEENKUlT_SE_SF_SG_E_clIS8_S8_S9_S9_EESD_ST_SE_SF_SG_EUlST_E_NS1_11comp_targetILNS1_3genE5ELNS1_11target_archE942ELNS1_3gpuE9ELNS1_3repE0EEENS1_48merge_mergepath_partition_config_static_selectorELNS0_4arch9wavefront6targetE1EEEvSF_
; %bb.0:
	.section	.rodata,"a",@progbits
	.p2align	6, 0x0
	.amdhsa_kernel _ZN7rocprim17ROCPRIM_400000_NS6detail17trampoline_kernelINS0_14default_configENS1_38merge_sort_block_merge_config_selectorItNS0_10empty_typeEEEZZNS1_27merge_sort_block_merge_implIS3_PtPS5_jNS1_19radix_merge_compareILb1ELb0EtNS0_19identity_decomposerEEEEE10hipError_tT0_T1_T2_jT3_P12ihipStream_tbPNSt15iterator_traitsISE_E10value_typeEPNSK_ISF_E10value_typeEPSG_NS1_7vsmem_tEENKUlT_SE_SF_SG_E_clIS8_S8_S9_S9_EESD_ST_SE_SF_SG_EUlST_E_NS1_11comp_targetILNS1_3genE5ELNS1_11target_archE942ELNS1_3gpuE9ELNS1_3repE0EEENS1_48merge_mergepath_partition_config_static_selectorELNS0_4arch9wavefront6targetE1EEEvSF_
		.amdhsa_group_segment_fixed_size 0
		.amdhsa_private_segment_fixed_size 0
		.amdhsa_kernarg_size 40
		.amdhsa_user_sgpr_count 6
		.amdhsa_user_sgpr_private_segment_buffer 1
		.amdhsa_user_sgpr_dispatch_ptr 0
		.amdhsa_user_sgpr_queue_ptr 0
		.amdhsa_user_sgpr_kernarg_segment_ptr 1
		.amdhsa_user_sgpr_dispatch_id 0
		.amdhsa_user_sgpr_flat_scratch_init 0
		.amdhsa_user_sgpr_kernarg_preload_length 0
		.amdhsa_user_sgpr_kernarg_preload_offset 0
		.amdhsa_user_sgpr_private_segment_size 0
		.amdhsa_uses_dynamic_stack 0
		.amdhsa_system_sgpr_private_segment_wavefront_offset 0
		.amdhsa_system_sgpr_workgroup_id_x 1
		.amdhsa_system_sgpr_workgroup_id_y 0
		.amdhsa_system_sgpr_workgroup_id_z 0
		.amdhsa_system_sgpr_workgroup_info 0
		.amdhsa_system_vgpr_workitem_id 0
		.amdhsa_next_free_vgpr 1
		.amdhsa_next_free_sgpr 0
		.amdhsa_accum_offset 4
		.amdhsa_reserve_vcc 0
		.amdhsa_reserve_flat_scratch 0
		.amdhsa_float_round_mode_32 0
		.amdhsa_float_round_mode_16_64 0
		.amdhsa_float_denorm_mode_32 3
		.amdhsa_float_denorm_mode_16_64 3
		.amdhsa_dx10_clamp 1
		.amdhsa_ieee_mode 1
		.amdhsa_fp16_overflow 0
		.amdhsa_tg_split 0
		.amdhsa_exception_fp_ieee_invalid_op 0
		.amdhsa_exception_fp_denorm_src 0
		.amdhsa_exception_fp_ieee_div_zero 0
		.amdhsa_exception_fp_ieee_overflow 0
		.amdhsa_exception_fp_ieee_underflow 0
		.amdhsa_exception_fp_ieee_inexact 0
		.amdhsa_exception_int_div_zero 0
	.end_amdhsa_kernel
	.section	.text._ZN7rocprim17ROCPRIM_400000_NS6detail17trampoline_kernelINS0_14default_configENS1_38merge_sort_block_merge_config_selectorItNS0_10empty_typeEEEZZNS1_27merge_sort_block_merge_implIS3_PtPS5_jNS1_19radix_merge_compareILb1ELb0EtNS0_19identity_decomposerEEEEE10hipError_tT0_T1_T2_jT3_P12ihipStream_tbPNSt15iterator_traitsISE_E10value_typeEPNSK_ISF_E10value_typeEPSG_NS1_7vsmem_tEENKUlT_SE_SF_SG_E_clIS8_S8_S9_S9_EESD_ST_SE_SF_SG_EUlST_E_NS1_11comp_targetILNS1_3genE5ELNS1_11target_archE942ELNS1_3gpuE9ELNS1_3repE0EEENS1_48merge_mergepath_partition_config_static_selectorELNS0_4arch9wavefront6targetE1EEEvSF_,"axG",@progbits,_ZN7rocprim17ROCPRIM_400000_NS6detail17trampoline_kernelINS0_14default_configENS1_38merge_sort_block_merge_config_selectorItNS0_10empty_typeEEEZZNS1_27merge_sort_block_merge_implIS3_PtPS5_jNS1_19radix_merge_compareILb1ELb0EtNS0_19identity_decomposerEEEEE10hipError_tT0_T1_T2_jT3_P12ihipStream_tbPNSt15iterator_traitsISE_E10value_typeEPNSK_ISF_E10value_typeEPSG_NS1_7vsmem_tEENKUlT_SE_SF_SG_E_clIS8_S8_S9_S9_EESD_ST_SE_SF_SG_EUlST_E_NS1_11comp_targetILNS1_3genE5ELNS1_11target_archE942ELNS1_3gpuE9ELNS1_3repE0EEENS1_48merge_mergepath_partition_config_static_selectorELNS0_4arch9wavefront6targetE1EEEvSF_,comdat
.Lfunc_end1855:
	.size	_ZN7rocprim17ROCPRIM_400000_NS6detail17trampoline_kernelINS0_14default_configENS1_38merge_sort_block_merge_config_selectorItNS0_10empty_typeEEEZZNS1_27merge_sort_block_merge_implIS3_PtPS5_jNS1_19radix_merge_compareILb1ELb0EtNS0_19identity_decomposerEEEEE10hipError_tT0_T1_T2_jT3_P12ihipStream_tbPNSt15iterator_traitsISE_E10value_typeEPNSK_ISF_E10value_typeEPSG_NS1_7vsmem_tEENKUlT_SE_SF_SG_E_clIS8_S8_S9_S9_EESD_ST_SE_SF_SG_EUlST_E_NS1_11comp_targetILNS1_3genE5ELNS1_11target_archE942ELNS1_3gpuE9ELNS1_3repE0EEENS1_48merge_mergepath_partition_config_static_selectorELNS0_4arch9wavefront6targetE1EEEvSF_, .Lfunc_end1855-_ZN7rocprim17ROCPRIM_400000_NS6detail17trampoline_kernelINS0_14default_configENS1_38merge_sort_block_merge_config_selectorItNS0_10empty_typeEEEZZNS1_27merge_sort_block_merge_implIS3_PtPS5_jNS1_19radix_merge_compareILb1ELb0EtNS0_19identity_decomposerEEEEE10hipError_tT0_T1_T2_jT3_P12ihipStream_tbPNSt15iterator_traitsISE_E10value_typeEPNSK_ISF_E10value_typeEPSG_NS1_7vsmem_tEENKUlT_SE_SF_SG_E_clIS8_S8_S9_S9_EESD_ST_SE_SF_SG_EUlST_E_NS1_11comp_targetILNS1_3genE5ELNS1_11target_archE942ELNS1_3gpuE9ELNS1_3repE0EEENS1_48merge_mergepath_partition_config_static_selectorELNS0_4arch9wavefront6targetE1EEEvSF_
                                        ; -- End function
	.section	.AMDGPU.csdata,"",@progbits
; Kernel info:
; codeLenInByte = 0
; NumSgprs: 4
; NumVgprs: 0
; NumAgprs: 0
; TotalNumVgprs: 0
; ScratchSize: 0
; MemoryBound: 0
; FloatMode: 240
; IeeeMode: 1
; LDSByteSize: 0 bytes/workgroup (compile time only)
; SGPRBlocks: 0
; VGPRBlocks: 0
; NumSGPRsForWavesPerEU: 4
; NumVGPRsForWavesPerEU: 1
; AccumOffset: 4
; Occupancy: 8
; WaveLimiterHint : 0
; COMPUTE_PGM_RSRC2:SCRATCH_EN: 0
; COMPUTE_PGM_RSRC2:USER_SGPR: 6
; COMPUTE_PGM_RSRC2:TRAP_HANDLER: 0
; COMPUTE_PGM_RSRC2:TGID_X_EN: 1
; COMPUTE_PGM_RSRC2:TGID_Y_EN: 0
; COMPUTE_PGM_RSRC2:TGID_Z_EN: 0
; COMPUTE_PGM_RSRC2:TIDIG_COMP_CNT: 0
; COMPUTE_PGM_RSRC3_GFX90A:ACCUM_OFFSET: 0
; COMPUTE_PGM_RSRC3_GFX90A:TG_SPLIT: 0
	.section	.text._ZN7rocprim17ROCPRIM_400000_NS6detail17trampoline_kernelINS0_14default_configENS1_38merge_sort_block_merge_config_selectorItNS0_10empty_typeEEEZZNS1_27merge_sort_block_merge_implIS3_PtPS5_jNS1_19radix_merge_compareILb1ELb0EtNS0_19identity_decomposerEEEEE10hipError_tT0_T1_T2_jT3_P12ihipStream_tbPNSt15iterator_traitsISE_E10value_typeEPNSK_ISF_E10value_typeEPSG_NS1_7vsmem_tEENKUlT_SE_SF_SG_E_clIS8_S8_S9_S9_EESD_ST_SE_SF_SG_EUlST_E_NS1_11comp_targetILNS1_3genE4ELNS1_11target_archE910ELNS1_3gpuE8ELNS1_3repE0EEENS1_48merge_mergepath_partition_config_static_selectorELNS0_4arch9wavefront6targetE1EEEvSF_,"axG",@progbits,_ZN7rocprim17ROCPRIM_400000_NS6detail17trampoline_kernelINS0_14default_configENS1_38merge_sort_block_merge_config_selectorItNS0_10empty_typeEEEZZNS1_27merge_sort_block_merge_implIS3_PtPS5_jNS1_19radix_merge_compareILb1ELb0EtNS0_19identity_decomposerEEEEE10hipError_tT0_T1_T2_jT3_P12ihipStream_tbPNSt15iterator_traitsISE_E10value_typeEPNSK_ISF_E10value_typeEPSG_NS1_7vsmem_tEENKUlT_SE_SF_SG_E_clIS8_S8_S9_S9_EESD_ST_SE_SF_SG_EUlST_E_NS1_11comp_targetILNS1_3genE4ELNS1_11target_archE910ELNS1_3gpuE8ELNS1_3repE0EEENS1_48merge_mergepath_partition_config_static_selectorELNS0_4arch9wavefront6targetE1EEEvSF_,comdat
	.protected	_ZN7rocprim17ROCPRIM_400000_NS6detail17trampoline_kernelINS0_14default_configENS1_38merge_sort_block_merge_config_selectorItNS0_10empty_typeEEEZZNS1_27merge_sort_block_merge_implIS3_PtPS5_jNS1_19radix_merge_compareILb1ELb0EtNS0_19identity_decomposerEEEEE10hipError_tT0_T1_T2_jT3_P12ihipStream_tbPNSt15iterator_traitsISE_E10value_typeEPNSK_ISF_E10value_typeEPSG_NS1_7vsmem_tEENKUlT_SE_SF_SG_E_clIS8_S8_S9_S9_EESD_ST_SE_SF_SG_EUlST_E_NS1_11comp_targetILNS1_3genE4ELNS1_11target_archE910ELNS1_3gpuE8ELNS1_3repE0EEENS1_48merge_mergepath_partition_config_static_selectorELNS0_4arch9wavefront6targetE1EEEvSF_ ; -- Begin function _ZN7rocprim17ROCPRIM_400000_NS6detail17trampoline_kernelINS0_14default_configENS1_38merge_sort_block_merge_config_selectorItNS0_10empty_typeEEEZZNS1_27merge_sort_block_merge_implIS3_PtPS5_jNS1_19radix_merge_compareILb1ELb0EtNS0_19identity_decomposerEEEEE10hipError_tT0_T1_T2_jT3_P12ihipStream_tbPNSt15iterator_traitsISE_E10value_typeEPNSK_ISF_E10value_typeEPSG_NS1_7vsmem_tEENKUlT_SE_SF_SG_E_clIS8_S8_S9_S9_EESD_ST_SE_SF_SG_EUlST_E_NS1_11comp_targetILNS1_3genE4ELNS1_11target_archE910ELNS1_3gpuE8ELNS1_3repE0EEENS1_48merge_mergepath_partition_config_static_selectorELNS0_4arch9wavefront6targetE1EEEvSF_
	.globl	_ZN7rocprim17ROCPRIM_400000_NS6detail17trampoline_kernelINS0_14default_configENS1_38merge_sort_block_merge_config_selectorItNS0_10empty_typeEEEZZNS1_27merge_sort_block_merge_implIS3_PtPS5_jNS1_19radix_merge_compareILb1ELb0EtNS0_19identity_decomposerEEEEE10hipError_tT0_T1_T2_jT3_P12ihipStream_tbPNSt15iterator_traitsISE_E10value_typeEPNSK_ISF_E10value_typeEPSG_NS1_7vsmem_tEENKUlT_SE_SF_SG_E_clIS8_S8_S9_S9_EESD_ST_SE_SF_SG_EUlST_E_NS1_11comp_targetILNS1_3genE4ELNS1_11target_archE910ELNS1_3gpuE8ELNS1_3repE0EEENS1_48merge_mergepath_partition_config_static_selectorELNS0_4arch9wavefront6targetE1EEEvSF_
	.p2align	8
	.type	_ZN7rocprim17ROCPRIM_400000_NS6detail17trampoline_kernelINS0_14default_configENS1_38merge_sort_block_merge_config_selectorItNS0_10empty_typeEEEZZNS1_27merge_sort_block_merge_implIS3_PtPS5_jNS1_19radix_merge_compareILb1ELb0EtNS0_19identity_decomposerEEEEE10hipError_tT0_T1_T2_jT3_P12ihipStream_tbPNSt15iterator_traitsISE_E10value_typeEPNSK_ISF_E10value_typeEPSG_NS1_7vsmem_tEENKUlT_SE_SF_SG_E_clIS8_S8_S9_S9_EESD_ST_SE_SF_SG_EUlST_E_NS1_11comp_targetILNS1_3genE4ELNS1_11target_archE910ELNS1_3gpuE8ELNS1_3repE0EEENS1_48merge_mergepath_partition_config_static_selectorELNS0_4arch9wavefront6targetE1EEEvSF_,@function
_ZN7rocprim17ROCPRIM_400000_NS6detail17trampoline_kernelINS0_14default_configENS1_38merge_sort_block_merge_config_selectorItNS0_10empty_typeEEEZZNS1_27merge_sort_block_merge_implIS3_PtPS5_jNS1_19radix_merge_compareILb1ELb0EtNS0_19identity_decomposerEEEEE10hipError_tT0_T1_T2_jT3_P12ihipStream_tbPNSt15iterator_traitsISE_E10value_typeEPNSK_ISF_E10value_typeEPSG_NS1_7vsmem_tEENKUlT_SE_SF_SG_E_clIS8_S8_S9_S9_EESD_ST_SE_SF_SG_EUlST_E_NS1_11comp_targetILNS1_3genE4ELNS1_11target_archE910ELNS1_3gpuE8ELNS1_3repE0EEENS1_48merge_mergepath_partition_config_static_selectorELNS0_4arch9wavefront6targetE1EEEvSF_: ; @_ZN7rocprim17ROCPRIM_400000_NS6detail17trampoline_kernelINS0_14default_configENS1_38merge_sort_block_merge_config_selectorItNS0_10empty_typeEEEZZNS1_27merge_sort_block_merge_implIS3_PtPS5_jNS1_19radix_merge_compareILb1ELb0EtNS0_19identity_decomposerEEEEE10hipError_tT0_T1_T2_jT3_P12ihipStream_tbPNSt15iterator_traitsISE_E10value_typeEPNSK_ISF_E10value_typeEPSG_NS1_7vsmem_tEENKUlT_SE_SF_SG_E_clIS8_S8_S9_S9_EESD_ST_SE_SF_SG_EUlST_E_NS1_11comp_targetILNS1_3genE4ELNS1_11target_archE910ELNS1_3gpuE8ELNS1_3repE0EEENS1_48merge_mergepath_partition_config_static_selectorELNS0_4arch9wavefront6targetE1EEEvSF_
; %bb.0:
	s_load_dword s0, s[4:5], 0x0
	v_lshl_or_b32 v0, s6, 7, v0
	s_waitcnt lgkmcnt(0)
	v_cmp_gt_u32_e32 vcc, s0, v0
	s_and_saveexec_b64 s[0:1], vcc
	s_cbranch_execz .LBB1856_6
; %bb.1:
	s_load_dwordx2 s[2:3], s[4:5], 0x4
	s_load_dwordx2 s[0:1], s[4:5], 0x20
	s_waitcnt lgkmcnt(0)
	s_lshr_b32 s6, s2, 9
	s_and_b32 s6, s6, 0x7ffffe
	s_add_i32 s7, s6, -1
	s_sub_i32 s6, 0, s6
	v_and_b32_e32 v1, s6, v0
	v_lshlrev_b32_e32 v1, 10, v1
	v_min_u32_e32 v2, s3, v1
	v_add_u32_e32 v1, s2, v1
	v_min_u32_e32 v4, s3, v1
	v_add_u32_e32 v1, s2, v4
	v_and_b32_e32 v3, s7, v0
	v_min_u32_e32 v1, s3, v1
	v_sub_u32_e32 v5, v1, v2
	v_lshlrev_b32_e32 v3, 10, v3
	v_min_u32_e32 v6, v5, v3
	v_sub_u32_e32 v3, v4, v2
	v_sub_u32_e32 v1, v1, v4
	v_sub_u32_e64 v1, v6, v1 clamp
	v_min_u32_e32 v7, v6, v3
	v_cmp_lt_u32_e32 vcc, v1, v7
	s_and_saveexec_b64 s[2:3], vcc
	s_cbranch_execz .LBB1856_5
; %bb.2:
	s_load_dwordx2 s[4:5], s[4:5], 0x10
	v_mov_b32_e32 v5, 0
	v_mov_b32_e32 v3, v5
	v_lshlrev_b64 v[8:9], 1, v[2:3]
	v_lshlrev_b64 v[10:11], 1, v[4:5]
	s_waitcnt lgkmcnt(0)
	v_mov_b32_e32 v12, s5
	v_add_co_u32_e32 v3, vcc, s4, v8
	v_addc_co_u32_e32 v8, vcc, v12, v9, vcc
	v_add_co_u32_e32 v9, vcc, s4, v10
	v_addc_co_u32_e32 v10, vcc, v12, v11, vcc
	s_mov_b64 s[4:5], 0
.LBB1856_3:                             ; =>This Inner Loop Header: Depth=1
	v_add_u32_e32 v4, v7, v1
	v_and_b32_e32 v12, -2, v4
	v_lshrrev_b32_e32 v11, 1, v4
	v_add_co_u32_e32 v12, vcc, v3, v12
	v_xad_u32 v4, v11, -1, v6
	v_addc_co_u32_e32 v13, vcc, 0, v8, vcc
	global_load_ushort v14, v[12:13], off
	v_lshlrev_b64 v[12:13], 1, v[4:5]
	v_add_co_u32_e32 v12, vcc, v9, v12
	v_addc_co_u32_e32 v13, vcc, v10, v13, vcc
	global_load_ushort v4, v[12:13], off
	v_add_u32_e32 v12, 1, v11
	s_waitcnt vmcnt(0)
	v_cmp_gt_u16_e32 vcc, v4, v14
	v_cndmask_b32_e32 v7, v7, v11, vcc
	v_cndmask_b32_e32 v1, v12, v1, vcc
	v_cmp_ge_u32_e32 vcc, v1, v7
	s_or_b64 s[4:5], vcc, s[4:5]
	s_andn2_b64 exec, exec, s[4:5]
	s_cbranch_execnz .LBB1856_3
; %bb.4:
	s_or_b64 exec, exec, s[4:5]
.LBB1856_5:
	s_or_b64 exec, exec, s[2:3]
	v_add_u32_e32 v2, v1, v2
	v_mov_b32_e32 v1, 0
	v_lshlrev_b64 v[0:1], 2, v[0:1]
	v_mov_b32_e32 v3, s1
	v_add_co_u32_e32 v0, vcc, s0, v0
	v_addc_co_u32_e32 v1, vcc, v3, v1, vcc
	global_store_dword v[0:1], v2, off
.LBB1856_6:
	s_endpgm
	.section	.rodata,"a",@progbits
	.p2align	6, 0x0
	.amdhsa_kernel _ZN7rocprim17ROCPRIM_400000_NS6detail17trampoline_kernelINS0_14default_configENS1_38merge_sort_block_merge_config_selectorItNS0_10empty_typeEEEZZNS1_27merge_sort_block_merge_implIS3_PtPS5_jNS1_19radix_merge_compareILb1ELb0EtNS0_19identity_decomposerEEEEE10hipError_tT0_T1_T2_jT3_P12ihipStream_tbPNSt15iterator_traitsISE_E10value_typeEPNSK_ISF_E10value_typeEPSG_NS1_7vsmem_tEENKUlT_SE_SF_SG_E_clIS8_S8_S9_S9_EESD_ST_SE_SF_SG_EUlST_E_NS1_11comp_targetILNS1_3genE4ELNS1_11target_archE910ELNS1_3gpuE8ELNS1_3repE0EEENS1_48merge_mergepath_partition_config_static_selectorELNS0_4arch9wavefront6targetE1EEEvSF_
		.amdhsa_group_segment_fixed_size 0
		.amdhsa_private_segment_fixed_size 0
		.amdhsa_kernarg_size 40
		.amdhsa_user_sgpr_count 6
		.amdhsa_user_sgpr_private_segment_buffer 1
		.amdhsa_user_sgpr_dispatch_ptr 0
		.amdhsa_user_sgpr_queue_ptr 0
		.amdhsa_user_sgpr_kernarg_segment_ptr 1
		.amdhsa_user_sgpr_dispatch_id 0
		.amdhsa_user_sgpr_flat_scratch_init 0
		.amdhsa_user_sgpr_kernarg_preload_length 0
		.amdhsa_user_sgpr_kernarg_preload_offset 0
		.amdhsa_user_sgpr_private_segment_size 0
		.amdhsa_uses_dynamic_stack 0
		.amdhsa_system_sgpr_private_segment_wavefront_offset 0
		.amdhsa_system_sgpr_workgroup_id_x 1
		.amdhsa_system_sgpr_workgroup_id_y 0
		.amdhsa_system_sgpr_workgroup_id_z 0
		.amdhsa_system_sgpr_workgroup_info 0
		.amdhsa_system_vgpr_workitem_id 0
		.amdhsa_next_free_vgpr 15
		.amdhsa_next_free_sgpr 8
		.amdhsa_accum_offset 16
		.amdhsa_reserve_vcc 1
		.amdhsa_reserve_flat_scratch 0
		.amdhsa_float_round_mode_32 0
		.amdhsa_float_round_mode_16_64 0
		.amdhsa_float_denorm_mode_32 3
		.amdhsa_float_denorm_mode_16_64 3
		.amdhsa_dx10_clamp 1
		.amdhsa_ieee_mode 1
		.amdhsa_fp16_overflow 0
		.amdhsa_tg_split 0
		.amdhsa_exception_fp_ieee_invalid_op 0
		.amdhsa_exception_fp_denorm_src 0
		.amdhsa_exception_fp_ieee_div_zero 0
		.amdhsa_exception_fp_ieee_overflow 0
		.amdhsa_exception_fp_ieee_underflow 0
		.amdhsa_exception_fp_ieee_inexact 0
		.amdhsa_exception_int_div_zero 0
	.end_amdhsa_kernel
	.section	.text._ZN7rocprim17ROCPRIM_400000_NS6detail17trampoline_kernelINS0_14default_configENS1_38merge_sort_block_merge_config_selectorItNS0_10empty_typeEEEZZNS1_27merge_sort_block_merge_implIS3_PtPS5_jNS1_19radix_merge_compareILb1ELb0EtNS0_19identity_decomposerEEEEE10hipError_tT0_T1_T2_jT3_P12ihipStream_tbPNSt15iterator_traitsISE_E10value_typeEPNSK_ISF_E10value_typeEPSG_NS1_7vsmem_tEENKUlT_SE_SF_SG_E_clIS8_S8_S9_S9_EESD_ST_SE_SF_SG_EUlST_E_NS1_11comp_targetILNS1_3genE4ELNS1_11target_archE910ELNS1_3gpuE8ELNS1_3repE0EEENS1_48merge_mergepath_partition_config_static_selectorELNS0_4arch9wavefront6targetE1EEEvSF_,"axG",@progbits,_ZN7rocprim17ROCPRIM_400000_NS6detail17trampoline_kernelINS0_14default_configENS1_38merge_sort_block_merge_config_selectorItNS0_10empty_typeEEEZZNS1_27merge_sort_block_merge_implIS3_PtPS5_jNS1_19radix_merge_compareILb1ELb0EtNS0_19identity_decomposerEEEEE10hipError_tT0_T1_T2_jT3_P12ihipStream_tbPNSt15iterator_traitsISE_E10value_typeEPNSK_ISF_E10value_typeEPSG_NS1_7vsmem_tEENKUlT_SE_SF_SG_E_clIS8_S8_S9_S9_EESD_ST_SE_SF_SG_EUlST_E_NS1_11comp_targetILNS1_3genE4ELNS1_11target_archE910ELNS1_3gpuE8ELNS1_3repE0EEENS1_48merge_mergepath_partition_config_static_selectorELNS0_4arch9wavefront6targetE1EEEvSF_,comdat
.Lfunc_end1856:
	.size	_ZN7rocprim17ROCPRIM_400000_NS6detail17trampoline_kernelINS0_14default_configENS1_38merge_sort_block_merge_config_selectorItNS0_10empty_typeEEEZZNS1_27merge_sort_block_merge_implIS3_PtPS5_jNS1_19radix_merge_compareILb1ELb0EtNS0_19identity_decomposerEEEEE10hipError_tT0_T1_T2_jT3_P12ihipStream_tbPNSt15iterator_traitsISE_E10value_typeEPNSK_ISF_E10value_typeEPSG_NS1_7vsmem_tEENKUlT_SE_SF_SG_E_clIS8_S8_S9_S9_EESD_ST_SE_SF_SG_EUlST_E_NS1_11comp_targetILNS1_3genE4ELNS1_11target_archE910ELNS1_3gpuE8ELNS1_3repE0EEENS1_48merge_mergepath_partition_config_static_selectorELNS0_4arch9wavefront6targetE1EEEvSF_, .Lfunc_end1856-_ZN7rocprim17ROCPRIM_400000_NS6detail17trampoline_kernelINS0_14default_configENS1_38merge_sort_block_merge_config_selectorItNS0_10empty_typeEEEZZNS1_27merge_sort_block_merge_implIS3_PtPS5_jNS1_19radix_merge_compareILb1ELb0EtNS0_19identity_decomposerEEEEE10hipError_tT0_T1_T2_jT3_P12ihipStream_tbPNSt15iterator_traitsISE_E10value_typeEPNSK_ISF_E10value_typeEPSG_NS1_7vsmem_tEENKUlT_SE_SF_SG_E_clIS8_S8_S9_S9_EESD_ST_SE_SF_SG_EUlST_E_NS1_11comp_targetILNS1_3genE4ELNS1_11target_archE910ELNS1_3gpuE8ELNS1_3repE0EEENS1_48merge_mergepath_partition_config_static_selectorELNS0_4arch9wavefront6targetE1EEEvSF_
                                        ; -- End function
	.section	.AMDGPU.csdata,"",@progbits
; Kernel info:
; codeLenInByte = 352
; NumSgprs: 12
; NumVgprs: 15
; NumAgprs: 0
; TotalNumVgprs: 15
; ScratchSize: 0
; MemoryBound: 0
; FloatMode: 240
; IeeeMode: 1
; LDSByteSize: 0 bytes/workgroup (compile time only)
; SGPRBlocks: 1
; VGPRBlocks: 1
; NumSGPRsForWavesPerEU: 12
; NumVGPRsForWavesPerEU: 15
; AccumOffset: 16
; Occupancy: 8
; WaveLimiterHint : 0
; COMPUTE_PGM_RSRC2:SCRATCH_EN: 0
; COMPUTE_PGM_RSRC2:USER_SGPR: 6
; COMPUTE_PGM_RSRC2:TRAP_HANDLER: 0
; COMPUTE_PGM_RSRC2:TGID_X_EN: 1
; COMPUTE_PGM_RSRC2:TGID_Y_EN: 0
; COMPUTE_PGM_RSRC2:TGID_Z_EN: 0
; COMPUTE_PGM_RSRC2:TIDIG_COMP_CNT: 0
; COMPUTE_PGM_RSRC3_GFX90A:ACCUM_OFFSET: 3
; COMPUTE_PGM_RSRC3_GFX90A:TG_SPLIT: 0
	.section	.text._ZN7rocprim17ROCPRIM_400000_NS6detail17trampoline_kernelINS0_14default_configENS1_38merge_sort_block_merge_config_selectorItNS0_10empty_typeEEEZZNS1_27merge_sort_block_merge_implIS3_PtPS5_jNS1_19radix_merge_compareILb1ELb0EtNS0_19identity_decomposerEEEEE10hipError_tT0_T1_T2_jT3_P12ihipStream_tbPNSt15iterator_traitsISE_E10value_typeEPNSK_ISF_E10value_typeEPSG_NS1_7vsmem_tEENKUlT_SE_SF_SG_E_clIS8_S8_S9_S9_EESD_ST_SE_SF_SG_EUlST_E_NS1_11comp_targetILNS1_3genE3ELNS1_11target_archE908ELNS1_3gpuE7ELNS1_3repE0EEENS1_48merge_mergepath_partition_config_static_selectorELNS0_4arch9wavefront6targetE1EEEvSF_,"axG",@progbits,_ZN7rocprim17ROCPRIM_400000_NS6detail17trampoline_kernelINS0_14default_configENS1_38merge_sort_block_merge_config_selectorItNS0_10empty_typeEEEZZNS1_27merge_sort_block_merge_implIS3_PtPS5_jNS1_19radix_merge_compareILb1ELb0EtNS0_19identity_decomposerEEEEE10hipError_tT0_T1_T2_jT3_P12ihipStream_tbPNSt15iterator_traitsISE_E10value_typeEPNSK_ISF_E10value_typeEPSG_NS1_7vsmem_tEENKUlT_SE_SF_SG_E_clIS8_S8_S9_S9_EESD_ST_SE_SF_SG_EUlST_E_NS1_11comp_targetILNS1_3genE3ELNS1_11target_archE908ELNS1_3gpuE7ELNS1_3repE0EEENS1_48merge_mergepath_partition_config_static_selectorELNS0_4arch9wavefront6targetE1EEEvSF_,comdat
	.protected	_ZN7rocprim17ROCPRIM_400000_NS6detail17trampoline_kernelINS0_14default_configENS1_38merge_sort_block_merge_config_selectorItNS0_10empty_typeEEEZZNS1_27merge_sort_block_merge_implIS3_PtPS5_jNS1_19radix_merge_compareILb1ELb0EtNS0_19identity_decomposerEEEEE10hipError_tT0_T1_T2_jT3_P12ihipStream_tbPNSt15iterator_traitsISE_E10value_typeEPNSK_ISF_E10value_typeEPSG_NS1_7vsmem_tEENKUlT_SE_SF_SG_E_clIS8_S8_S9_S9_EESD_ST_SE_SF_SG_EUlST_E_NS1_11comp_targetILNS1_3genE3ELNS1_11target_archE908ELNS1_3gpuE7ELNS1_3repE0EEENS1_48merge_mergepath_partition_config_static_selectorELNS0_4arch9wavefront6targetE1EEEvSF_ ; -- Begin function _ZN7rocprim17ROCPRIM_400000_NS6detail17trampoline_kernelINS0_14default_configENS1_38merge_sort_block_merge_config_selectorItNS0_10empty_typeEEEZZNS1_27merge_sort_block_merge_implIS3_PtPS5_jNS1_19radix_merge_compareILb1ELb0EtNS0_19identity_decomposerEEEEE10hipError_tT0_T1_T2_jT3_P12ihipStream_tbPNSt15iterator_traitsISE_E10value_typeEPNSK_ISF_E10value_typeEPSG_NS1_7vsmem_tEENKUlT_SE_SF_SG_E_clIS8_S8_S9_S9_EESD_ST_SE_SF_SG_EUlST_E_NS1_11comp_targetILNS1_3genE3ELNS1_11target_archE908ELNS1_3gpuE7ELNS1_3repE0EEENS1_48merge_mergepath_partition_config_static_selectorELNS0_4arch9wavefront6targetE1EEEvSF_
	.globl	_ZN7rocprim17ROCPRIM_400000_NS6detail17trampoline_kernelINS0_14default_configENS1_38merge_sort_block_merge_config_selectorItNS0_10empty_typeEEEZZNS1_27merge_sort_block_merge_implIS3_PtPS5_jNS1_19radix_merge_compareILb1ELb0EtNS0_19identity_decomposerEEEEE10hipError_tT0_T1_T2_jT3_P12ihipStream_tbPNSt15iterator_traitsISE_E10value_typeEPNSK_ISF_E10value_typeEPSG_NS1_7vsmem_tEENKUlT_SE_SF_SG_E_clIS8_S8_S9_S9_EESD_ST_SE_SF_SG_EUlST_E_NS1_11comp_targetILNS1_3genE3ELNS1_11target_archE908ELNS1_3gpuE7ELNS1_3repE0EEENS1_48merge_mergepath_partition_config_static_selectorELNS0_4arch9wavefront6targetE1EEEvSF_
	.p2align	8
	.type	_ZN7rocprim17ROCPRIM_400000_NS6detail17trampoline_kernelINS0_14default_configENS1_38merge_sort_block_merge_config_selectorItNS0_10empty_typeEEEZZNS1_27merge_sort_block_merge_implIS3_PtPS5_jNS1_19radix_merge_compareILb1ELb0EtNS0_19identity_decomposerEEEEE10hipError_tT0_T1_T2_jT3_P12ihipStream_tbPNSt15iterator_traitsISE_E10value_typeEPNSK_ISF_E10value_typeEPSG_NS1_7vsmem_tEENKUlT_SE_SF_SG_E_clIS8_S8_S9_S9_EESD_ST_SE_SF_SG_EUlST_E_NS1_11comp_targetILNS1_3genE3ELNS1_11target_archE908ELNS1_3gpuE7ELNS1_3repE0EEENS1_48merge_mergepath_partition_config_static_selectorELNS0_4arch9wavefront6targetE1EEEvSF_,@function
_ZN7rocprim17ROCPRIM_400000_NS6detail17trampoline_kernelINS0_14default_configENS1_38merge_sort_block_merge_config_selectorItNS0_10empty_typeEEEZZNS1_27merge_sort_block_merge_implIS3_PtPS5_jNS1_19radix_merge_compareILb1ELb0EtNS0_19identity_decomposerEEEEE10hipError_tT0_T1_T2_jT3_P12ihipStream_tbPNSt15iterator_traitsISE_E10value_typeEPNSK_ISF_E10value_typeEPSG_NS1_7vsmem_tEENKUlT_SE_SF_SG_E_clIS8_S8_S9_S9_EESD_ST_SE_SF_SG_EUlST_E_NS1_11comp_targetILNS1_3genE3ELNS1_11target_archE908ELNS1_3gpuE7ELNS1_3repE0EEENS1_48merge_mergepath_partition_config_static_selectorELNS0_4arch9wavefront6targetE1EEEvSF_: ; @_ZN7rocprim17ROCPRIM_400000_NS6detail17trampoline_kernelINS0_14default_configENS1_38merge_sort_block_merge_config_selectorItNS0_10empty_typeEEEZZNS1_27merge_sort_block_merge_implIS3_PtPS5_jNS1_19radix_merge_compareILb1ELb0EtNS0_19identity_decomposerEEEEE10hipError_tT0_T1_T2_jT3_P12ihipStream_tbPNSt15iterator_traitsISE_E10value_typeEPNSK_ISF_E10value_typeEPSG_NS1_7vsmem_tEENKUlT_SE_SF_SG_E_clIS8_S8_S9_S9_EESD_ST_SE_SF_SG_EUlST_E_NS1_11comp_targetILNS1_3genE3ELNS1_11target_archE908ELNS1_3gpuE7ELNS1_3repE0EEENS1_48merge_mergepath_partition_config_static_selectorELNS0_4arch9wavefront6targetE1EEEvSF_
; %bb.0:
	.section	.rodata,"a",@progbits
	.p2align	6, 0x0
	.amdhsa_kernel _ZN7rocprim17ROCPRIM_400000_NS6detail17trampoline_kernelINS0_14default_configENS1_38merge_sort_block_merge_config_selectorItNS0_10empty_typeEEEZZNS1_27merge_sort_block_merge_implIS3_PtPS5_jNS1_19radix_merge_compareILb1ELb0EtNS0_19identity_decomposerEEEEE10hipError_tT0_T1_T2_jT3_P12ihipStream_tbPNSt15iterator_traitsISE_E10value_typeEPNSK_ISF_E10value_typeEPSG_NS1_7vsmem_tEENKUlT_SE_SF_SG_E_clIS8_S8_S9_S9_EESD_ST_SE_SF_SG_EUlST_E_NS1_11comp_targetILNS1_3genE3ELNS1_11target_archE908ELNS1_3gpuE7ELNS1_3repE0EEENS1_48merge_mergepath_partition_config_static_selectorELNS0_4arch9wavefront6targetE1EEEvSF_
		.amdhsa_group_segment_fixed_size 0
		.amdhsa_private_segment_fixed_size 0
		.amdhsa_kernarg_size 40
		.amdhsa_user_sgpr_count 6
		.amdhsa_user_sgpr_private_segment_buffer 1
		.amdhsa_user_sgpr_dispatch_ptr 0
		.amdhsa_user_sgpr_queue_ptr 0
		.amdhsa_user_sgpr_kernarg_segment_ptr 1
		.amdhsa_user_sgpr_dispatch_id 0
		.amdhsa_user_sgpr_flat_scratch_init 0
		.amdhsa_user_sgpr_kernarg_preload_length 0
		.amdhsa_user_sgpr_kernarg_preload_offset 0
		.amdhsa_user_sgpr_private_segment_size 0
		.amdhsa_uses_dynamic_stack 0
		.amdhsa_system_sgpr_private_segment_wavefront_offset 0
		.amdhsa_system_sgpr_workgroup_id_x 1
		.amdhsa_system_sgpr_workgroup_id_y 0
		.amdhsa_system_sgpr_workgroup_id_z 0
		.amdhsa_system_sgpr_workgroup_info 0
		.amdhsa_system_vgpr_workitem_id 0
		.amdhsa_next_free_vgpr 1
		.amdhsa_next_free_sgpr 0
		.amdhsa_accum_offset 4
		.amdhsa_reserve_vcc 0
		.amdhsa_reserve_flat_scratch 0
		.amdhsa_float_round_mode_32 0
		.amdhsa_float_round_mode_16_64 0
		.amdhsa_float_denorm_mode_32 3
		.amdhsa_float_denorm_mode_16_64 3
		.amdhsa_dx10_clamp 1
		.amdhsa_ieee_mode 1
		.amdhsa_fp16_overflow 0
		.amdhsa_tg_split 0
		.amdhsa_exception_fp_ieee_invalid_op 0
		.amdhsa_exception_fp_denorm_src 0
		.amdhsa_exception_fp_ieee_div_zero 0
		.amdhsa_exception_fp_ieee_overflow 0
		.amdhsa_exception_fp_ieee_underflow 0
		.amdhsa_exception_fp_ieee_inexact 0
		.amdhsa_exception_int_div_zero 0
	.end_amdhsa_kernel
	.section	.text._ZN7rocprim17ROCPRIM_400000_NS6detail17trampoline_kernelINS0_14default_configENS1_38merge_sort_block_merge_config_selectorItNS0_10empty_typeEEEZZNS1_27merge_sort_block_merge_implIS3_PtPS5_jNS1_19radix_merge_compareILb1ELb0EtNS0_19identity_decomposerEEEEE10hipError_tT0_T1_T2_jT3_P12ihipStream_tbPNSt15iterator_traitsISE_E10value_typeEPNSK_ISF_E10value_typeEPSG_NS1_7vsmem_tEENKUlT_SE_SF_SG_E_clIS8_S8_S9_S9_EESD_ST_SE_SF_SG_EUlST_E_NS1_11comp_targetILNS1_3genE3ELNS1_11target_archE908ELNS1_3gpuE7ELNS1_3repE0EEENS1_48merge_mergepath_partition_config_static_selectorELNS0_4arch9wavefront6targetE1EEEvSF_,"axG",@progbits,_ZN7rocprim17ROCPRIM_400000_NS6detail17trampoline_kernelINS0_14default_configENS1_38merge_sort_block_merge_config_selectorItNS0_10empty_typeEEEZZNS1_27merge_sort_block_merge_implIS3_PtPS5_jNS1_19radix_merge_compareILb1ELb0EtNS0_19identity_decomposerEEEEE10hipError_tT0_T1_T2_jT3_P12ihipStream_tbPNSt15iterator_traitsISE_E10value_typeEPNSK_ISF_E10value_typeEPSG_NS1_7vsmem_tEENKUlT_SE_SF_SG_E_clIS8_S8_S9_S9_EESD_ST_SE_SF_SG_EUlST_E_NS1_11comp_targetILNS1_3genE3ELNS1_11target_archE908ELNS1_3gpuE7ELNS1_3repE0EEENS1_48merge_mergepath_partition_config_static_selectorELNS0_4arch9wavefront6targetE1EEEvSF_,comdat
.Lfunc_end1857:
	.size	_ZN7rocprim17ROCPRIM_400000_NS6detail17trampoline_kernelINS0_14default_configENS1_38merge_sort_block_merge_config_selectorItNS0_10empty_typeEEEZZNS1_27merge_sort_block_merge_implIS3_PtPS5_jNS1_19radix_merge_compareILb1ELb0EtNS0_19identity_decomposerEEEEE10hipError_tT0_T1_T2_jT3_P12ihipStream_tbPNSt15iterator_traitsISE_E10value_typeEPNSK_ISF_E10value_typeEPSG_NS1_7vsmem_tEENKUlT_SE_SF_SG_E_clIS8_S8_S9_S9_EESD_ST_SE_SF_SG_EUlST_E_NS1_11comp_targetILNS1_3genE3ELNS1_11target_archE908ELNS1_3gpuE7ELNS1_3repE0EEENS1_48merge_mergepath_partition_config_static_selectorELNS0_4arch9wavefront6targetE1EEEvSF_, .Lfunc_end1857-_ZN7rocprim17ROCPRIM_400000_NS6detail17trampoline_kernelINS0_14default_configENS1_38merge_sort_block_merge_config_selectorItNS0_10empty_typeEEEZZNS1_27merge_sort_block_merge_implIS3_PtPS5_jNS1_19radix_merge_compareILb1ELb0EtNS0_19identity_decomposerEEEEE10hipError_tT0_T1_T2_jT3_P12ihipStream_tbPNSt15iterator_traitsISE_E10value_typeEPNSK_ISF_E10value_typeEPSG_NS1_7vsmem_tEENKUlT_SE_SF_SG_E_clIS8_S8_S9_S9_EESD_ST_SE_SF_SG_EUlST_E_NS1_11comp_targetILNS1_3genE3ELNS1_11target_archE908ELNS1_3gpuE7ELNS1_3repE0EEENS1_48merge_mergepath_partition_config_static_selectorELNS0_4arch9wavefront6targetE1EEEvSF_
                                        ; -- End function
	.section	.AMDGPU.csdata,"",@progbits
; Kernel info:
; codeLenInByte = 0
; NumSgprs: 4
; NumVgprs: 0
; NumAgprs: 0
; TotalNumVgprs: 0
; ScratchSize: 0
; MemoryBound: 0
; FloatMode: 240
; IeeeMode: 1
; LDSByteSize: 0 bytes/workgroup (compile time only)
; SGPRBlocks: 0
; VGPRBlocks: 0
; NumSGPRsForWavesPerEU: 4
; NumVGPRsForWavesPerEU: 1
; AccumOffset: 4
; Occupancy: 8
; WaveLimiterHint : 0
; COMPUTE_PGM_RSRC2:SCRATCH_EN: 0
; COMPUTE_PGM_RSRC2:USER_SGPR: 6
; COMPUTE_PGM_RSRC2:TRAP_HANDLER: 0
; COMPUTE_PGM_RSRC2:TGID_X_EN: 1
; COMPUTE_PGM_RSRC2:TGID_Y_EN: 0
; COMPUTE_PGM_RSRC2:TGID_Z_EN: 0
; COMPUTE_PGM_RSRC2:TIDIG_COMP_CNT: 0
; COMPUTE_PGM_RSRC3_GFX90A:ACCUM_OFFSET: 0
; COMPUTE_PGM_RSRC3_GFX90A:TG_SPLIT: 0
	.section	.text._ZN7rocprim17ROCPRIM_400000_NS6detail17trampoline_kernelINS0_14default_configENS1_38merge_sort_block_merge_config_selectorItNS0_10empty_typeEEEZZNS1_27merge_sort_block_merge_implIS3_PtPS5_jNS1_19radix_merge_compareILb1ELb0EtNS0_19identity_decomposerEEEEE10hipError_tT0_T1_T2_jT3_P12ihipStream_tbPNSt15iterator_traitsISE_E10value_typeEPNSK_ISF_E10value_typeEPSG_NS1_7vsmem_tEENKUlT_SE_SF_SG_E_clIS8_S8_S9_S9_EESD_ST_SE_SF_SG_EUlST_E_NS1_11comp_targetILNS1_3genE2ELNS1_11target_archE906ELNS1_3gpuE6ELNS1_3repE0EEENS1_48merge_mergepath_partition_config_static_selectorELNS0_4arch9wavefront6targetE1EEEvSF_,"axG",@progbits,_ZN7rocprim17ROCPRIM_400000_NS6detail17trampoline_kernelINS0_14default_configENS1_38merge_sort_block_merge_config_selectorItNS0_10empty_typeEEEZZNS1_27merge_sort_block_merge_implIS3_PtPS5_jNS1_19radix_merge_compareILb1ELb0EtNS0_19identity_decomposerEEEEE10hipError_tT0_T1_T2_jT3_P12ihipStream_tbPNSt15iterator_traitsISE_E10value_typeEPNSK_ISF_E10value_typeEPSG_NS1_7vsmem_tEENKUlT_SE_SF_SG_E_clIS8_S8_S9_S9_EESD_ST_SE_SF_SG_EUlST_E_NS1_11comp_targetILNS1_3genE2ELNS1_11target_archE906ELNS1_3gpuE6ELNS1_3repE0EEENS1_48merge_mergepath_partition_config_static_selectorELNS0_4arch9wavefront6targetE1EEEvSF_,comdat
	.protected	_ZN7rocprim17ROCPRIM_400000_NS6detail17trampoline_kernelINS0_14default_configENS1_38merge_sort_block_merge_config_selectorItNS0_10empty_typeEEEZZNS1_27merge_sort_block_merge_implIS3_PtPS5_jNS1_19radix_merge_compareILb1ELb0EtNS0_19identity_decomposerEEEEE10hipError_tT0_T1_T2_jT3_P12ihipStream_tbPNSt15iterator_traitsISE_E10value_typeEPNSK_ISF_E10value_typeEPSG_NS1_7vsmem_tEENKUlT_SE_SF_SG_E_clIS8_S8_S9_S9_EESD_ST_SE_SF_SG_EUlST_E_NS1_11comp_targetILNS1_3genE2ELNS1_11target_archE906ELNS1_3gpuE6ELNS1_3repE0EEENS1_48merge_mergepath_partition_config_static_selectorELNS0_4arch9wavefront6targetE1EEEvSF_ ; -- Begin function _ZN7rocprim17ROCPRIM_400000_NS6detail17trampoline_kernelINS0_14default_configENS1_38merge_sort_block_merge_config_selectorItNS0_10empty_typeEEEZZNS1_27merge_sort_block_merge_implIS3_PtPS5_jNS1_19radix_merge_compareILb1ELb0EtNS0_19identity_decomposerEEEEE10hipError_tT0_T1_T2_jT3_P12ihipStream_tbPNSt15iterator_traitsISE_E10value_typeEPNSK_ISF_E10value_typeEPSG_NS1_7vsmem_tEENKUlT_SE_SF_SG_E_clIS8_S8_S9_S9_EESD_ST_SE_SF_SG_EUlST_E_NS1_11comp_targetILNS1_3genE2ELNS1_11target_archE906ELNS1_3gpuE6ELNS1_3repE0EEENS1_48merge_mergepath_partition_config_static_selectorELNS0_4arch9wavefront6targetE1EEEvSF_
	.globl	_ZN7rocprim17ROCPRIM_400000_NS6detail17trampoline_kernelINS0_14default_configENS1_38merge_sort_block_merge_config_selectorItNS0_10empty_typeEEEZZNS1_27merge_sort_block_merge_implIS3_PtPS5_jNS1_19radix_merge_compareILb1ELb0EtNS0_19identity_decomposerEEEEE10hipError_tT0_T1_T2_jT3_P12ihipStream_tbPNSt15iterator_traitsISE_E10value_typeEPNSK_ISF_E10value_typeEPSG_NS1_7vsmem_tEENKUlT_SE_SF_SG_E_clIS8_S8_S9_S9_EESD_ST_SE_SF_SG_EUlST_E_NS1_11comp_targetILNS1_3genE2ELNS1_11target_archE906ELNS1_3gpuE6ELNS1_3repE0EEENS1_48merge_mergepath_partition_config_static_selectorELNS0_4arch9wavefront6targetE1EEEvSF_
	.p2align	8
	.type	_ZN7rocprim17ROCPRIM_400000_NS6detail17trampoline_kernelINS0_14default_configENS1_38merge_sort_block_merge_config_selectorItNS0_10empty_typeEEEZZNS1_27merge_sort_block_merge_implIS3_PtPS5_jNS1_19radix_merge_compareILb1ELb0EtNS0_19identity_decomposerEEEEE10hipError_tT0_T1_T2_jT3_P12ihipStream_tbPNSt15iterator_traitsISE_E10value_typeEPNSK_ISF_E10value_typeEPSG_NS1_7vsmem_tEENKUlT_SE_SF_SG_E_clIS8_S8_S9_S9_EESD_ST_SE_SF_SG_EUlST_E_NS1_11comp_targetILNS1_3genE2ELNS1_11target_archE906ELNS1_3gpuE6ELNS1_3repE0EEENS1_48merge_mergepath_partition_config_static_selectorELNS0_4arch9wavefront6targetE1EEEvSF_,@function
_ZN7rocprim17ROCPRIM_400000_NS6detail17trampoline_kernelINS0_14default_configENS1_38merge_sort_block_merge_config_selectorItNS0_10empty_typeEEEZZNS1_27merge_sort_block_merge_implIS3_PtPS5_jNS1_19radix_merge_compareILb1ELb0EtNS0_19identity_decomposerEEEEE10hipError_tT0_T1_T2_jT3_P12ihipStream_tbPNSt15iterator_traitsISE_E10value_typeEPNSK_ISF_E10value_typeEPSG_NS1_7vsmem_tEENKUlT_SE_SF_SG_E_clIS8_S8_S9_S9_EESD_ST_SE_SF_SG_EUlST_E_NS1_11comp_targetILNS1_3genE2ELNS1_11target_archE906ELNS1_3gpuE6ELNS1_3repE0EEENS1_48merge_mergepath_partition_config_static_selectorELNS0_4arch9wavefront6targetE1EEEvSF_: ; @_ZN7rocprim17ROCPRIM_400000_NS6detail17trampoline_kernelINS0_14default_configENS1_38merge_sort_block_merge_config_selectorItNS0_10empty_typeEEEZZNS1_27merge_sort_block_merge_implIS3_PtPS5_jNS1_19radix_merge_compareILb1ELb0EtNS0_19identity_decomposerEEEEE10hipError_tT0_T1_T2_jT3_P12ihipStream_tbPNSt15iterator_traitsISE_E10value_typeEPNSK_ISF_E10value_typeEPSG_NS1_7vsmem_tEENKUlT_SE_SF_SG_E_clIS8_S8_S9_S9_EESD_ST_SE_SF_SG_EUlST_E_NS1_11comp_targetILNS1_3genE2ELNS1_11target_archE906ELNS1_3gpuE6ELNS1_3repE0EEENS1_48merge_mergepath_partition_config_static_selectorELNS0_4arch9wavefront6targetE1EEEvSF_
; %bb.0:
	.section	.rodata,"a",@progbits
	.p2align	6, 0x0
	.amdhsa_kernel _ZN7rocprim17ROCPRIM_400000_NS6detail17trampoline_kernelINS0_14default_configENS1_38merge_sort_block_merge_config_selectorItNS0_10empty_typeEEEZZNS1_27merge_sort_block_merge_implIS3_PtPS5_jNS1_19radix_merge_compareILb1ELb0EtNS0_19identity_decomposerEEEEE10hipError_tT0_T1_T2_jT3_P12ihipStream_tbPNSt15iterator_traitsISE_E10value_typeEPNSK_ISF_E10value_typeEPSG_NS1_7vsmem_tEENKUlT_SE_SF_SG_E_clIS8_S8_S9_S9_EESD_ST_SE_SF_SG_EUlST_E_NS1_11comp_targetILNS1_3genE2ELNS1_11target_archE906ELNS1_3gpuE6ELNS1_3repE0EEENS1_48merge_mergepath_partition_config_static_selectorELNS0_4arch9wavefront6targetE1EEEvSF_
		.amdhsa_group_segment_fixed_size 0
		.amdhsa_private_segment_fixed_size 0
		.amdhsa_kernarg_size 40
		.amdhsa_user_sgpr_count 6
		.amdhsa_user_sgpr_private_segment_buffer 1
		.amdhsa_user_sgpr_dispatch_ptr 0
		.amdhsa_user_sgpr_queue_ptr 0
		.amdhsa_user_sgpr_kernarg_segment_ptr 1
		.amdhsa_user_sgpr_dispatch_id 0
		.amdhsa_user_sgpr_flat_scratch_init 0
		.amdhsa_user_sgpr_kernarg_preload_length 0
		.amdhsa_user_sgpr_kernarg_preload_offset 0
		.amdhsa_user_sgpr_private_segment_size 0
		.amdhsa_uses_dynamic_stack 0
		.amdhsa_system_sgpr_private_segment_wavefront_offset 0
		.amdhsa_system_sgpr_workgroup_id_x 1
		.amdhsa_system_sgpr_workgroup_id_y 0
		.amdhsa_system_sgpr_workgroup_id_z 0
		.amdhsa_system_sgpr_workgroup_info 0
		.amdhsa_system_vgpr_workitem_id 0
		.amdhsa_next_free_vgpr 1
		.amdhsa_next_free_sgpr 0
		.amdhsa_accum_offset 4
		.amdhsa_reserve_vcc 0
		.amdhsa_reserve_flat_scratch 0
		.amdhsa_float_round_mode_32 0
		.amdhsa_float_round_mode_16_64 0
		.amdhsa_float_denorm_mode_32 3
		.amdhsa_float_denorm_mode_16_64 3
		.amdhsa_dx10_clamp 1
		.amdhsa_ieee_mode 1
		.amdhsa_fp16_overflow 0
		.amdhsa_tg_split 0
		.amdhsa_exception_fp_ieee_invalid_op 0
		.amdhsa_exception_fp_denorm_src 0
		.amdhsa_exception_fp_ieee_div_zero 0
		.amdhsa_exception_fp_ieee_overflow 0
		.amdhsa_exception_fp_ieee_underflow 0
		.amdhsa_exception_fp_ieee_inexact 0
		.amdhsa_exception_int_div_zero 0
	.end_amdhsa_kernel
	.section	.text._ZN7rocprim17ROCPRIM_400000_NS6detail17trampoline_kernelINS0_14default_configENS1_38merge_sort_block_merge_config_selectorItNS0_10empty_typeEEEZZNS1_27merge_sort_block_merge_implIS3_PtPS5_jNS1_19radix_merge_compareILb1ELb0EtNS0_19identity_decomposerEEEEE10hipError_tT0_T1_T2_jT3_P12ihipStream_tbPNSt15iterator_traitsISE_E10value_typeEPNSK_ISF_E10value_typeEPSG_NS1_7vsmem_tEENKUlT_SE_SF_SG_E_clIS8_S8_S9_S9_EESD_ST_SE_SF_SG_EUlST_E_NS1_11comp_targetILNS1_3genE2ELNS1_11target_archE906ELNS1_3gpuE6ELNS1_3repE0EEENS1_48merge_mergepath_partition_config_static_selectorELNS0_4arch9wavefront6targetE1EEEvSF_,"axG",@progbits,_ZN7rocprim17ROCPRIM_400000_NS6detail17trampoline_kernelINS0_14default_configENS1_38merge_sort_block_merge_config_selectorItNS0_10empty_typeEEEZZNS1_27merge_sort_block_merge_implIS3_PtPS5_jNS1_19radix_merge_compareILb1ELb0EtNS0_19identity_decomposerEEEEE10hipError_tT0_T1_T2_jT3_P12ihipStream_tbPNSt15iterator_traitsISE_E10value_typeEPNSK_ISF_E10value_typeEPSG_NS1_7vsmem_tEENKUlT_SE_SF_SG_E_clIS8_S8_S9_S9_EESD_ST_SE_SF_SG_EUlST_E_NS1_11comp_targetILNS1_3genE2ELNS1_11target_archE906ELNS1_3gpuE6ELNS1_3repE0EEENS1_48merge_mergepath_partition_config_static_selectorELNS0_4arch9wavefront6targetE1EEEvSF_,comdat
.Lfunc_end1858:
	.size	_ZN7rocprim17ROCPRIM_400000_NS6detail17trampoline_kernelINS0_14default_configENS1_38merge_sort_block_merge_config_selectorItNS0_10empty_typeEEEZZNS1_27merge_sort_block_merge_implIS3_PtPS5_jNS1_19radix_merge_compareILb1ELb0EtNS0_19identity_decomposerEEEEE10hipError_tT0_T1_T2_jT3_P12ihipStream_tbPNSt15iterator_traitsISE_E10value_typeEPNSK_ISF_E10value_typeEPSG_NS1_7vsmem_tEENKUlT_SE_SF_SG_E_clIS8_S8_S9_S9_EESD_ST_SE_SF_SG_EUlST_E_NS1_11comp_targetILNS1_3genE2ELNS1_11target_archE906ELNS1_3gpuE6ELNS1_3repE0EEENS1_48merge_mergepath_partition_config_static_selectorELNS0_4arch9wavefront6targetE1EEEvSF_, .Lfunc_end1858-_ZN7rocprim17ROCPRIM_400000_NS6detail17trampoline_kernelINS0_14default_configENS1_38merge_sort_block_merge_config_selectorItNS0_10empty_typeEEEZZNS1_27merge_sort_block_merge_implIS3_PtPS5_jNS1_19radix_merge_compareILb1ELb0EtNS0_19identity_decomposerEEEEE10hipError_tT0_T1_T2_jT3_P12ihipStream_tbPNSt15iterator_traitsISE_E10value_typeEPNSK_ISF_E10value_typeEPSG_NS1_7vsmem_tEENKUlT_SE_SF_SG_E_clIS8_S8_S9_S9_EESD_ST_SE_SF_SG_EUlST_E_NS1_11comp_targetILNS1_3genE2ELNS1_11target_archE906ELNS1_3gpuE6ELNS1_3repE0EEENS1_48merge_mergepath_partition_config_static_selectorELNS0_4arch9wavefront6targetE1EEEvSF_
                                        ; -- End function
	.section	.AMDGPU.csdata,"",@progbits
; Kernel info:
; codeLenInByte = 0
; NumSgprs: 4
; NumVgprs: 0
; NumAgprs: 0
; TotalNumVgprs: 0
; ScratchSize: 0
; MemoryBound: 0
; FloatMode: 240
; IeeeMode: 1
; LDSByteSize: 0 bytes/workgroup (compile time only)
; SGPRBlocks: 0
; VGPRBlocks: 0
; NumSGPRsForWavesPerEU: 4
; NumVGPRsForWavesPerEU: 1
; AccumOffset: 4
; Occupancy: 8
; WaveLimiterHint : 0
; COMPUTE_PGM_RSRC2:SCRATCH_EN: 0
; COMPUTE_PGM_RSRC2:USER_SGPR: 6
; COMPUTE_PGM_RSRC2:TRAP_HANDLER: 0
; COMPUTE_PGM_RSRC2:TGID_X_EN: 1
; COMPUTE_PGM_RSRC2:TGID_Y_EN: 0
; COMPUTE_PGM_RSRC2:TGID_Z_EN: 0
; COMPUTE_PGM_RSRC2:TIDIG_COMP_CNT: 0
; COMPUTE_PGM_RSRC3_GFX90A:ACCUM_OFFSET: 0
; COMPUTE_PGM_RSRC3_GFX90A:TG_SPLIT: 0
	.section	.text._ZN7rocprim17ROCPRIM_400000_NS6detail17trampoline_kernelINS0_14default_configENS1_38merge_sort_block_merge_config_selectorItNS0_10empty_typeEEEZZNS1_27merge_sort_block_merge_implIS3_PtPS5_jNS1_19radix_merge_compareILb1ELb0EtNS0_19identity_decomposerEEEEE10hipError_tT0_T1_T2_jT3_P12ihipStream_tbPNSt15iterator_traitsISE_E10value_typeEPNSK_ISF_E10value_typeEPSG_NS1_7vsmem_tEENKUlT_SE_SF_SG_E_clIS8_S8_S9_S9_EESD_ST_SE_SF_SG_EUlST_E_NS1_11comp_targetILNS1_3genE9ELNS1_11target_archE1100ELNS1_3gpuE3ELNS1_3repE0EEENS1_48merge_mergepath_partition_config_static_selectorELNS0_4arch9wavefront6targetE1EEEvSF_,"axG",@progbits,_ZN7rocprim17ROCPRIM_400000_NS6detail17trampoline_kernelINS0_14default_configENS1_38merge_sort_block_merge_config_selectorItNS0_10empty_typeEEEZZNS1_27merge_sort_block_merge_implIS3_PtPS5_jNS1_19radix_merge_compareILb1ELb0EtNS0_19identity_decomposerEEEEE10hipError_tT0_T1_T2_jT3_P12ihipStream_tbPNSt15iterator_traitsISE_E10value_typeEPNSK_ISF_E10value_typeEPSG_NS1_7vsmem_tEENKUlT_SE_SF_SG_E_clIS8_S8_S9_S9_EESD_ST_SE_SF_SG_EUlST_E_NS1_11comp_targetILNS1_3genE9ELNS1_11target_archE1100ELNS1_3gpuE3ELNS1_3repE0EEENS1_48merge_mergepath_partition_config_static_selectorELNS0_4arch9wavefront6targetE1EEEvSF_,comdat
	.protected	_ZN7rocprim17ROCPRIM_400000_NS6detail17trampoline_kernelINS0_14default_configENS1_38merge_sort_block_merge_config_selectorItNS0_10empty_typeEEEZZNS1_27merge_sort_block_merge_implIS3_PtPS5_jNS1_19radix_merge_compareILb1ELb0EtNS0_19identity_decomposerEEEEE10hipError_tT0_T1_T2_jT3_P12ihipStream_tbPNSt15iterator_traitsISE_E10value_typeEPNSK_ISF_E10value_typeEPSG_NS1_7vsmem_tEENKUlT_SE_SF_SG_E_clIS8_S8_S9_S9_EESD_ST_SE_SF_SG_EUlST_E_NS1_11comp_targetILNS1_3genE9ELNS1_11target_archE1100ELNS1_3gpuE3ELNS1_3repE0EEENS1_48merge_mergepath_partition_config_static_selectorELNS0_4arch9wavefront6targetE1EEEvSF_ ; -- Begin function _ZN7rocprim17ROCPRIM_400000_NS6detail17trampoline_kernelINS0_14default_configENS1_38merge_sort_block_merge_config_selectorItNS0_10empty_typeEEEZZNS1_27merge_sort_block_merge_implIS3_PtPS5_jNS1_19radix_merge_compareILb1ELb0EtNS0_19identity_decomposerEEEEE10hipError_tT0_T1_T2_jT3_P12ihipStream_tbPNSt15iterator_traitsISE_E10value_typeEPNSK_ISF_E10value_typeEPSG_NS1_7vsmem_tEENKUlT_SE_SF_SG_E_clIS8_S8_S9_S9_EESD_ST_SE_SF_SG_EUlST_E_NS1_11comp_targetILNS1_3genE9ELNS1_11target_archE1100ELNS1_3gpuE3ELNS1_3repE0EEENS1_48merge_mergepath_partition_config_static_selectorELNS0_4arch9wavefront6targetE1EEEvSF_
	.globl	_ZN7rocprim17ROCPRIM_400000_NS6detail17trampoline_kernelINS0_14default_configENS1_38merge_sort_block_merge_config_selectorItNS0_10empty_typeEEEZZNS1_27merge_sort_block_merge_implIS3_PtPS5_jNS1_19radix_merge_compareILb1ELb0EtNS0_19identity_decomposerEEEEE10hipError_tT0_T1_T2_jT3_P12ihipStream_tbPNSt15iterator_traitsISE_E10value_typeEPNSK_ISF_E10value_typeEPSG_NS1_7vsmem_tEENKUlT_SE_SF_SG_E_clIS8_S8_S9_S9_EESD_ST_SE_SF_SG_EUlST_E_NS1_11comp_targetILNS1_3genE9ELNS1_11target_archE1100ELNS1_3gpuE3ELNS1_3repE0EEENS1_48merge_mergepath_partition_config_static_selectorELNS0_4arch9wavefront6targetE1EEEvSF_
	.p2align	8
	.type	_ZN7rocprim17ROCPRIM_400000_NS6detail17trampoline_kernelINS0_14default_configENS1_38merge_sort_block_merge_config_selectorItNS0_10empty_typeEEEZZNS1_27merge_sort_block_merge_implIS3_PtPS5_jNS1_19radix_merge_compareILb1ELb0EtNS0_19identity_decomposerEEEEE10hipError_tT0_T1_T2_jT3_P12ihipStream_tbPNSt15iterator_traitsISE_E10value_typeEPNSK_ISF_E10value_typeEPSG_NS1_7vsmem_tEENKUlT_SE_SF_SG_E_clIS8_S8_S9_S9_EESD_ST_SE_SF_SG_EUlST_E_NS1_11comp_targetILNS1_3genE9ELNS1_11target_archE1100ELNS1_3gpuE3ELNS1_3repE0EEENS1_48merge_mergepath_partition_config_static_selectorELNS0_4arch9wavefront6targetE1EEEvSF_,@function
_ZN7rocprim17ROCPRIM_400000_NS6detail17trampoline_kernelINS0_14default_configENS1_38merge_sort_block_merge_config_selectorItNS0_10empty_typeEEEZZNS1_27merge_sort_block_merge_implIS3_PtPS5_jNS1_19radix_merge_compareILb1ELb0EtNS0_19identity_decomposerEEEEE10hipError_tT0_T1_T2_jT3_P12ihipStream_tbPNSt15iterator_traitsISE_E10value_typeEPNSK_ISF_E10value_typeEPSG_NS1_7vsmem_tEENKUlT_SE_SF_SG_E_clIS8_S8_S9_S9_EESD_ST_SE_SF_SG_EUlST_E_NS1_11comp_targetILNS1_3genE9ELNS1_11target_archE1100ELNS1_3gpuE3ELNS1_3repE0EEENS1_48merge_mergepath_partition_config_static_selectorELNS0_4arch9wavefront6targetE1EEEvSF_: ; @_ZN7rocprim17ROCPRIM_400000_NS6detail17trampoline_kernelINS0_14default_configENS1_38merge_sort_block_merge_config_selectorItNS0_10empty_typeEEEZZNS1_27merge_sort_block_merge_implIS3_PtPS5_jNS1_19radix_merge_compareILb1ELb0EtNS0_19identity_decomposerEEEEE10hipError_tT0_T1_T2_jT3_P12ihipStream_tbPNSt15iterator_traitsISE_E10value_typeEPNSK_ISF_E10value_typeEPSG_NS1_7vsmem_tEENKUlT_SE_SF_SG_E_clIS8_S8_S9_S9_EESD_ST_SE_SF_SG_EUlST_E_NS1_11comp_targetILNS1_3genE9ELNS1_11target_archE1100ELNS1_3gpuE3ELNS1_3repE0EEENS1_48merge_mergepath_partition_config_static_selectorELNS0_4arch9wavefront6targetE1EEEvSF_
; %bb.0:
	.section	.rodata,"a",@progbits
	.p2align	6, 0x0
	.amdhsa_kernel _ZN7rocprim17ROCPRIM_400000_NS6detail17trampoline_kernelINS0_14default_configENS1_38merge_sort_block_merge_config_selectorItNS0_10empty_typeEEEZZNS1_27merge_sort_block_merge_implIS3_PtPS5_jNS1_19radix_merge_compareILb1ELb0EtNS0_19identity_decomposerEEEEE10hipError_tT0_T1_T2_jT3_P12ihipStream_tbPNSt15iterator_traitsISE_E10value_typeEPNSK_ISF_E10value_typeEPSG_NS1_7vsmem_tEENKUlT_SE_SF_SG_E_clIS8_S8_S9_S9_EESD_ST_SE_SF_SG_EUlST_E_NS1_11comp_targetILNS1_3genE9ELNS1_11target_archE1100ELNS1_3gpuE3ELNS1_3repE0EEENS1_48merge_mergepath_partition_config_static_selectorELNS0_4arch9wavefront6targetE1EEEvSF_
		.amdhsa_group_segment_fixed_size 0
		.amdhsa_private_segment_fixed_size 0
		.amdhsa_kernarg_size 40
		.amdhsa_user_sgpr_count 6
		.amdhsa_user_sgpr_private_segment_buffer 1
		.amdhsa_user_sgpr_dispatch_ptr 0
		.amdhsa_user_sgpr_queue_ptr 0
		.amdhsa_user_sgpr_kernarg_segment_ptr 1
		.amdhsa_user_sgpr_dispatch_id 0
		.amdhsa_user_sgpr_flat_scratch_init 0
		.amdhsa_user_sgpr_kernarg_preload_length 0
		.amdhsa_user_sgpr_kernarg_preload_offset 0
		.amdhsa_user_sgpr_private_segment_size 0
		.amdhsa_uses_dynamic_stack 0
		.amdhsa_system_sgpr_private_segment_wavefront_offset 0
		.amdhsa_system_sgpr_workgroup_id_x 1
		.amdhsa_system_sgpr_workgroup_id_y 0
		.amdhsa_system_sgpr_workgroup_id_z 0
		.amdhsa_system_sgpr_workgroup_info 0
		.amdhsa_system_vgpr_workitem_id 0
		.amdhsa_next_free_vgpr 1
		.amdhsa_next_free_sgpr 0
		.amdhsa_accum_offset 4
		.amdhsa_reserve_vcc 0
		.amdhsa_reserve_flat_scratch 0
		.amdhsa_float_round_mode_32 0
		.amdhsa_float_round_mode_16_64 0
		.amdhsa_float_denorm_mode_32 3
		.amdhsa_float_denorm_mode_16_64 3
		.amdhsa_dx10_clamp 1
		.amdhsa_ieee_mode 1
		.amdhsa_fp16_overflow 0
		.amdhsa_tg_split 0
		.amdhsa_exception_fp_ieee_invalid_op 0
		.amdhsa_exception_fp_denorm_src 0
		.amdhsa_exception_fp_ieee_div_zero 0
		.amdhsa_exception_fp_ieee_overflow 0
		.amdhsa_exception_fp_ieee_underflow 0
		.amdhsa_exception_fp_ieee_inexact 0
		.amdhsa_exception_int_div_zero 0
	.end_amdhsa_kernel
	.section	.text._ZN7rocprim17ROCPRIM_400000_NS6detail17trampoline_kernelINS0_14default_configENS1_38merge_sort_block_merge_config_selectorItNS0_10empty_typeEEEZZNS1_27merge_sort_block_merge_implIS3_PtPS5_jNS1_19radix_merge_compareILb1ELb0EtNS0_19identity_decomposerEEEEE10hipError_tT0_T1_T2_jT3_P12ihipStream_tbPNSt15iterator_traitsISE_E10value_typeEPNSK_ISF_E10value_typeEPSG_NS1_7vsmem_tEENKUlT_SE_SF_SG_E_clIS8_S8_S9_S9_EESD_ST_SE_SF_SG_EUlST_E_NS1_11comp_targetILNS1_3genE9ELNS1_11target_archE1100ELNS1_3gpuE3ELNS1_3repE0EEENS1_48merge_mergepath_partition_config_static_selectorELNS0_4arch9wavefront6targetE1EEEvSF_,"axG",@progbits,_ZN7rocprim17ROCPRIM_400000_NS6detail17trampoline_kernelINS0_14default_configENS1_38merge_sort_block_merge_config_selectorItNS0_10empty_typeEEEZZNS1_27merge_sort_block_merge_implIS3_PtPS5_jNS1_19radix_merge_compareILb1ELb0EtNS0_19identity_decomposerEEEEE10hipError_tT0_T1_T2_jT3_P12ihipStream_tbPNSt15iterator_traitsISE_E10value_typeEPNSK_ISF_E10value_typeEPSG_NS1_7vsmem_tEENKUlT_SE_SF_SG_E_clIS8_S8_S9_S9_EESD_ST_SE_SF_SG_EUlST_E_NS1_11comp_targetILNS1_3genE9ELNS1_11target_archE1100ELNS1_3gpuE3ELNS1_3repE0EEENS1_48merge_mergepath_partition_config_static_selectorELNS0_4arch9wavefront6targetE1EEEvSF_,comdat
.Lfunc_end1859:
	.size	_ZN7rocprim17ROCPRIM_400000_NS6detail17trampoline_kernelINS0_14default_configENS1_38merge_sort_block_merge_config_selectorItNS0_10empty_typeEEEZZNS1_27merge_sort_block_merge_implIS3_PtPS5_jNS1_19radix_merge_compareILb1ELb0EtNS0_19identity_decomposerEEEEE10hipError_tT0_T1_T2_jT3_P12ihipStream_tbPNSt15iterator_traitsISE_E10value_typeEPNSK_ISF_E10value_typeEPSG_NS1_7vsmem_tEENKUlT_SE_SF_SG_E_clIS8_S8_S9_S9_EESD_ST_SE_SF_SG_EUlST_E_NS1_11comp_targetILNS1_3genE9ELNS1_11target_archE1100ELNS1_3gpuE3ELNS1_3repE0EEENS1_48merge_mergepath_partition_config_static_selectorELNS0_4arch9wavefront6targetE1EEEvSF_, .Lfunc_end1859-_ZN7rocprim17ROCPRIM_400000_NS6detail17trampoline_kernelINS0_14default_configENS1_38merge_sort_block_merge_config_selectorItNS0_10empty_typeEEEZZNS1_27merge_sort_block_merge_implIS3_PtPS5_jNS1_19radix_merge_compareILb1ELb0EtNS0_19identity_decomposerEEEEE10hipError_tT0_T1_T2_jT3_P12ihipStream_tbPNSt15iterator_traitsISE_E10value_typeEPNSK_ISF_E10value_typeEPSG_NS1_7vsmem_tEENKUlT_SE_SF_SG_E_clIS8_S8_S9_S9_EESD_ST_SE_SF_SG_EUlST_E_NS1_11comp_targetILNS1_3genE9ELNS1_11target_archE1100ELNS1_3gpuE3ELNS1_3repE0EEENS1_48merge_mergepath_partition_config_static_selectorELNS0_4arch9wavefront6targetE1EEEvSF_
                                        ; -- End function
	.section	.AMDGPU.csdata,"",@progbits
; Kernel info:
; codeLenInByte = 0
; NumSgprs: 4
; NumVgprs: 0
; NumAgprs: 0
; TotalNumVgprs: 0
; ScratchSize: 0
; MemoryBound: 0
; FloatMode: 240
; IeeeMode: 1
; LDSByteSize: 0 bytes/workgroup (compile time only)
; SGPRBlocks: 0
; VGPRBlocks: 0
; NumSGPRsForWavesPerEU: 4
; NumVGPRsForWavesPerEU: 1
; AccumOffset: 4
; Occupancy: 8
; WaveLimiterHint : 0
; COMPUTE_PGM_RSRC2:SCRATCH_EN: 0
; COMPUTE_PGM_RSRC2:USER_SGPR: 6
; COMPUTE_PGM_RSRC2:TRAP_HANDLER: 0
; COMPUTE_PGM_RSRC2:TGID_X_EN: 1
; COMPUTE_PGM_RSRC2:TGID_Y_EN: 0
; COMPUTE_PGM_RSRC2:TGID_Z_EN: 0
; COMPUTE_PGM_RSRC2:TIDIG_COMP_CNT: 0
; COMPUTE_PGM_RSRC3_GFX90A:ACCUM_OFFSET: 0
; COMPUTE_PGM_RSRC3_GFX90A:TG_SPLIT: 0
	.section	.text._ZN7rocprim17ROCPRIM_400000_NS6detail17trampoline_kernelINS0_14default_configENS1_38merge_sort_block_merge_config_selectorItNS0_10empty_typeEEEZZNS1_27merge_sort_block_merge_implIS3_PtPS5_jNS1_19radix_merge_compareILb1ELb0EtNS0_19identity_decomposerEEEEE10hipError_tT0_T1_T2_jT3_P12ihipStream_tbPNSt15iterator_traitsISE_E10value_typeEPNSK_ISF_E10value_typeEPSG_NS1_7vsmem_tEENKUlT_SE_SF_SG_E_clIS8_S8_S9_S9_EESD_ST_SE_SF_SG_EUlST_E_NS1_11comp_targetILNS1_3genE8ELNS1_11target_archE1030ELNS1_3gpuE2ELNS1_3repE0EEENS1_48merge_mergepath_partition_config_static_selectorELNS0_4arch9wavefront6targetE1EEEvSF_,"axG",@progbits,_ZN7rocprim17ROCPRIM_400000_NS6detail17trampoline_kernelINS0_14default_configENS1_38merge_sort_block_merge_config_selectorItNS0_10empty_typeEEEZZNS1_27merge_sort_block_merge_implIS3_PtPS5_jNS1_19radix_merge_compareILb1ELb0EtNS0_19identity_decomposerEEEEE10hipError_tT0_T1_T2_jT3_P12ihipStream_tbPNSt15iterator_traitsISE_E10value_typeEPNSK_ISF_E10value_typeEPSG_NS1_7vsmem_tEENKUlT_SE_SF_SG_E_clIS8_S8_S9_S9_EESD_ST_SE_SF_SG_EUlST_E_NS1_11comp_targetILNS1_3genE8ELNS1_11target_archE1030ELNS1_3gpuE2ELNS1_3repE0EEENS1_48merge_mergepath_partition_config_static_selectorELNS0_4arch9wavefront6targetE1EEEvSF_,comdat
	.protected	_ZN7rocprim17ROCPRIM_400000_NS6detail17trampoline_kernelINS0_14default_configENS1_38merge_sort_block_merge_config_selectorItNS0_10empty_typeEEEZZNS1_27merge_sort_block_merge_implIS3_PtPS5_jNS1_19radix_merge_compareILb1ELb0EtNS0_19identity_decomposerEEEEE10hipError_tT0_T1_T2_jT3_P12ihipStream_tbPNSt15iterator_traitsISE_E10value_typeEPNSK_ISF_E10value_typeEPSG_NS1_7vsmem_tEENKUlT_SE_SF_SG_E_clIS8_S8_S9_S9_EESD_ST_SE_SF_SG_EUlST_E_NS1_11comp_targetILNS1_3genE8ELNS1_11target_archE1030ELNS1_3gpuE2ELNS1_3repE0EEENS1_48merge_mergepath_partition_config_static_selectorELNS0_4arch9wavefront6targetE1EEEvSF_ ; -- Begin function _ZN7rocprim17ROCPRIM_400000_NS6detail17trampoline_kernelINS0_14default_configENS1_38merge_sort_block_merge_config_selectorItNS0_10empty_typeEEEZZNS1_27merge_sort_block_merge_implIS3_PtPS5_jNS1_19radix_merge_compareILb1ELb0EtNS0_19identity_decomposerEEEEE10hipError_tT0_T1_T2_jT3_P12ihipStream_tbPNSt15iterator_traitsISE_E10value_typeEPNSK_ISF_E10value_typeEPSG_NS1_7vsmem_tEENKUlT_SE_SF_SG_E_clIS8_S8_S9_S9_EESD_ST_SE_SF_SG_EUlST_E_NS1_11comp_targetILNS1_3genE8ELNS1_11target_archE1030ELNS1_3gpuE2ELNS1_3repE0EEENS1_48merge_mergepath_partition_config_static_selectorELNS0_4arch9wavefront6targetE1EEEvSF_
	.globl	_ZN7rocprim17ROCPRIM_400000_NS6detail17trampoline_kernelINS0_14default_configENS1_38merge_sort_block_merge_config_selectorItNS0_10empty_typeEEEZZNS1_27merge_sort_block_merge_implIS3_PtPS5_jNS1_19radix_merge_compareILb1ELb0EtNS0_19identity_decomposerEEEEE10hipError_tT0_T1_T2_jT3_P12ihipStream_tbPNSt15iterator_traitsISE_E10value_typeEPNSK_ISF_E10value_typeEPSG_NS1_7vsmem_tEENKUlT_SE_SF_SG_E_clIS8_S8_S9_S9_EESD_ST_SE_SF_SG_EUlST_E_NS1_11comp_targetILNS1_3genE8ELNS1_11target_archE1030ELNS1_3gpuE2ELNS1_3repE0EEENS1_48merge_mergepath_partition_config_static_selectorELNS0_4arch9wavefront6targetE1EEEvSF_
	.p2align	8
	.type	_ZN7rocprim17ROCPRIM_400000_NS6detail17trampoline_kernelINS0_14default_configENS1_38merge_sort_block_merge_config_selectorItNS0_10empty_typeEEEZZNS1_27merge_sort_block_merge_implIS3_PtPS5_jNS1_19radix_merge_compareILb1ELb0EtNS0_19identity_decomposerEEEEE10hipError_tT0_T1_T2_jT3_P12ihipStream_tbPNSt15iterator_traitsISE_E10value_typeEPNSK_ISF_E10value_typeEPSG_NS1_7vsmem_tEENKUlT_SE_SF_SG_E_clIS8_S8_S9_S9_EESD_ST_SE_SF_SG_EUlST_E_NS1_11comp_targetILNS1_3genE8ELNS1_11target_archE1030ELNS1_3gpuE2ELNS1_3repE0EEENS1_48merge_mergepath_partition_config_static_selectorELNS0_4arch9wavefront6targetE1EEEvSF_,@function
_ZN7rocprim17ROCPRIM_400000_NS6detail17trampoline_kernelINS0_14default_configENS1_38merge_sort_block_merge_config_selectorItNS0_10empty_typeEEEZZNS1_27merge_sort_block_merge_implIS3_PtPS5_jNS1_19radix_merge_compareILb1ELb0EtNS0_19identity_decomposerEEEEE10hipError_tT0_T1_T2_jT3_P12ihipStream_tbPNSt15iterator_traitsISE_E10value_typeEPNSK_ISF_E10value_typeEPSG_NS1_7vsmem_tEENKUlT_SE_SF_SG_E_clIS8_S8_S9_S9_EESD_ST_SE_SF_SG_EUlST_E_NS1_11comp_targetILNS1_3genE8ELNS1_11target_archE1030ELNS1_3gpuE2ELNS1_3repE0EEENS1_48merge_mergepath_partition_config_static_selectorELNS0_4arch9wavefront6targetE1EEEvSF_: ; @_ZN7rocprim17ROCPRIM_400000_NS6detail17trampoline_kernelINS0_14default_configENS1_38merge_sort_block_merge_config_selectorItNS0_10empty_typeEEEZZNS1_27merge_sort_block_merge_implIS3_PtPS5_jNS1_19radix_merge_compareILb1ELb0EtNS0_19identity_decomposerEEEEE10hipError_tT0_T1_T2_jT3_P12ihipStream_tbPNSt15iterator_traitsISE_E10value_typeEPNSK_ISF_E10value_typeEPSG_NS1_7vsmem_tEENKUlT_SE_SF_SG_E_clIS8_S8_S9_S9_EESD_ST_SE_SF_SG_EUlST_E_NS1_11comp_targetILNS1_3genE8ELNS1_11target_archE1030ELNS1_3gpuE2ELNS1_3repE0EEENS1_48merge_mergepath_partition_config_static_selectorELNS0_4arch9wavefront6targetE1EEEvSF_
; %bb.0:
	.section	.rodata,"a",@progbits
	.p2align	6, 0x0
	.amdhsa_kernel _ZN7rocprim17ROCPRIM_400000_NS6detail17trampoline_kernelINS0_14default_configENS1_38merge_sort_block_merge_config_selectorItNS0_10empty_typeEEEZZNS1_27merge_sort_block_merge_implIS3_PtPS5_jNS1_19radix_merge_compareILb1ELb0EtNS0_19identity_decomposerEEEEE10hipError_tT0_T1_T2_jT3_P12ihipStream_tbPNSt15iterator_traitsISE_E10value_typeEPNSK_ISF_E10value_typeEPSG_NS1_7vsmem_tEENKUlT_SE_SF_SG_E_clIS8_S8_S9_S9_EESD_ST_SE_SF_SG_EUlST_E_NS1_11comp_targetILNS1_3genE8ELNS1_11target_archE1030ELNS1_3gpuE2ELNS1_3repE0EEENS1_48merge_mergepath_partition_config_static_selectorELNS0_4arch9wavefront6targetE1EEEvSF_
		.amdhsa_group_segment_fixed_size 0
		.amdhsa_private_segment_fixed_size 0
		.amdhsa_kernarg_size 40
		.amdhsa_user_sgpr_count 6
		.amdhsa_user_sgpr_private_segment_buffer 1
		.amdhsa_user_sgpr_dispatch_ptr 0
		.amdhsa_user_sgpr_queue_ptr 0
		.amdhsa_user_sgpr_kernarg_segment_ptr 1
		.amdhsa_user_sgpr_dispatch_id 0
		.amdhsa_user_sgpr_flat_scratch_init 0
		.amdhsa_user_sgpr_kernarg_preload_length 0
		.amdhsa_user_sgpr_kernarg_preload_offset 0
		.amdhsa_user_sgpr_private_segment_size 0
		.amdhsa_uses_dynamic_stack 0
		.amdhsa_system_sgpr_private_segment_wavefront_offset 0
		.amdhsa_system_sgpr_workgroup_id_x 1
		.amdhsa_system_sgpr_workgroup_id_y 0
		.amdhsa_system_sgpr_workgroup_id_z 0
		.amdhsa_system_sgpr_workgroup_info 0
		.amdhsa_system_vgpr_workitem_id 0
		.amdhsa_next_free_vgpr 1
		.amdhsa_next_free_sgpr 0
		.amdhsa_accum_offset 4
		.amdhsa_reserve_vcc 0
		.amdhsa_reserve_flat_scratch 0
		.amdhsa_float_round_mode_32 0
		.amdhsa_float_round_mode_16_64 0
		.amdhsa_float_denorm_mode_32 3
		.amdhsa_float_denorm_mode_16_64 3
		.amdhsa_dx10_clamp 1
		.amdhsa_ieee_mode 1
		.amdhsa_fp16_overflow 0
		.amdhsa_tg_split 0
		.amdhsa_exception_fp_ieee_invalid_op 0
		.amdhsa_exception_fp_denorm_src 0
		.amdhsa_exception_fp_ieee_div_zero 0
		.amdhsa_exception_fp_ieee_overflow 0
		.amdhsa_exception_fp_ieee_underflow 0
		.amdhsa_exception_fp_ieee_inexact 0
		.amdhsa_exception_int_div_zero 0
	.end_amdhsa_kernel
	.section	.text._ZN7rocprim17ROCPRIM_400000_NS6detail17trampoline_kernelINS0_14default_configENS1_38merge_sort_block_merge_config_selectorItNS0_10empty_typeEEEZZNS1_27merge_sort_block_merge_implIS3_PtPS5_jNS1_19radix_merge_compareILb1ELb0EtNS0_19identity_decomposerEEEEE10hipError_tT0_T1_T2_jT3_P12ihipStream_tbPNSt15iterator_traitsISE_E10value_typeEPNSK_ISF_E10value_typeEPSG_NS1_7vsmem_tEENKUlT_SE_SF_SG_E_clIS8_S8_S9_S9_EESD_ST_SE_SF_SG_EUlST_E_NS1_11comp_targetILNS1_3genE8ELNS1_11target_archE1030ELNS1_3gpuE2ELNS1_3repE0EEENS1_48merge_mergepath_partition_config_static_selectorELNS0_4arch9wavefront6targetE1EEEvSF_,"axG",@progbits,_ZN7rocprim17ROCPRIM_400000_NS6detail17trampoline_kernelINS0_14default_configENS1_38merge_sort_block_merge_config_selectorItNS0_10empty_typeEEEZZNS1_27merge_sort_block_merge_implIS3_PtPS5_jNS1_19radix_merge_compareILb1ELb0EtNS0_19identity_decomposerEEEEE10hipError_tT0_T1_T2_jT3_P12ihipStream_tbPNSt15iterator_traitsISE_E10value_typeEPNSK_ISF_E10value_typeEPSG_NS1_7vsmem_tEENKUlT_SE_SF_SG_E_clIS8_S8_S9_S9_EESD_ST_SE_SF_SG_EUlST_E_NS1_11comp_targetILNS1_3genE8ELNS1_11target_archE1030ELNS1_3gpuE2ELNS1_3repE0EEENS1_48merge_mergepath_partition_config_static_selectorELNS0_4arch9wavefront6targetE1EEEvSF_,comdat
.Lfunc_end1860:
	.size	_ZN7rocprim17ROCPRIM_400000_NS6detail17trampoline_kernelINS0_14default_configENS1_38merge_sort_block_merge_config_selectorItNS0_10empty_typeEEEZZNS1_27merge_sort_block_merge_implIS3_PtPS5_jNS1_19radix_merge_compareILb1ELb0EtNS0_19identity_decomposerEEEEE10hipError_tT0_T1_T2_jT3_P12ihipStream_tbPNSt15iterator_traitsISE_E10value_typeEPNSK_ISF_E10value_typeEPSG_NS1_7vsmem_tEENKUlT_SE_SF_SG_E_clIS8_S8_S9_S9_EESD_ST_SE_SF_SG_EUlST_E_NS1_11comp_targetILNS1_3genE8ELNS1_11target_archE1030ELNS1_3gpuE2ELNS1_3repE0EEENS1_48merge_mergepath_partition_config_static_selectorELNS0_4arch9wavefront6targetE1EEEvSF_, .Lfunc_end1860-_ZN7rocprim17ROCPRIM_400000_NS6detail17trampoline_kernelINS0_14default_configENS1_38merge_sort_block_merge_config_selectorItNS0_10empty_typeEEEZZNS1_27merge_sort_block_merge_implIS3_PtPS5_jNS1_19radix_merge_compareILb1ELb0EtNS0_19identity_decomposerEEEEE10hipError_tT0_T1_T2_jT3_P12ihipStream_tbPNSt15iterator_traitsISE_E10value_typeEPNSK_ISF_E10value_typeEPSG_NS1_7vsmem_tEENKUlT_SE_SF_SG_E_clIS8_S8_S9_S9_EESD_ST_SE_SF_SG_EUlST_E_NS1_11comp_targetILNS1_3genE8ELNS1_11target_archE1030ELNS1_3gpuE2ELNS1_3repE0EEENS1_48merge_mergepath_partition_config_static_selectorELNS0_4arch9wavefront6targetE1EEEvSF_
                                        ; -- End function
	.section	.AMDGPU.csdata,"",@progbits
; Kernel info:
; codeLenInByte = 0
; NumSgprs: 4
; NumVgprs: 0
; NumAgprs: 0
; TotalNumVgprs: 0
; ScratchSize: 0
; MemoryBound: 0
; FloatMode: 240
; IeeeMode: 1
; LDSByteSize: 0 bytes/workgroup (compile time only)
; SGPRBlocks: 0
; VGPRBlocks: 0
; NumSGPRsForWavesPerEU: 4
; NumVGPRsForWavesPerEU: 1
; AccumOffset: 4
; Occupancy: 8
; WaveLimiterHint : 0
; COMPUTE_PGM_RSRC2:SCRATCH_EN: 0
; COMPUTE_PGM_RSRC2:USER_SGPR: 6
; COMPUTE_PGM_RSRC2:TRAP_HANDLER: 0
; COMPUTE_PGM_RSRC2:TGID_X_EN: 1
; COMPUTE_PGM_RSRC2:TGID_Y_EN: 0
; COMPUTE_PGM_RSRC2:TGID_Z_EN: 0
; COMPUTE_PGM_RSRC2:TIDIG_COMP_CNT: 0
; COMPUTE_PGM_RSRC3_GFX90A:ACCUM_OFFSET: 0
; COMPUTE_PGM_RSRC3_GFX90A:TG_SPLIT: 0
	.section	.text._ZN7rocprim17ROCPRIM_400000_NS6detail17trampoline_kernelINS0_14default_configENS1_38merge_sort_block_merge_config_selectorItNS0_10empty_typeEEEZZNS1_27merge_sort_block_merge_implIS3_PtPS5_jNS1_19radix_merge_compareILb1ELb0EtNS0_19identity_decomposerEEEEE10hipError_tT0_T1_T2_jT3_P12ihipStream_tbPNSt15iterator_traitsISE_E10value_typeEPNSK_ISF_E10value_typeEPSG_NS1_7vsmem_tEENKUlT_SE_SF_SG_E_clIS8_S8_S9_S9_EESD_ST_SE_SF_SG_EUlST_E0_NS1_11comp_targetILNS1_3genE0ELNS1_11target_archE4294967295ELNS1_3gpuE0ELNS1_3repE0EEENS1_38merge_mergepath_config_static_selectorELNS0_4arch9wavefront6targetE1EEEvSF_,"axG",@progbits,_ZN7rocprim17ROCPRIM_400000_NS6detail17trampoline_kernelINS0_14default_configENS1_38merge_sort_block_merge_config_selectorItNS0_10empty_typeEEEZZNS1_27merge_sort_block_merge_implIS3_PtPS5_jNS1_19radix_merge_compareILb1ELb0EtNS0_19identity_decomposerEEEEE10hipError_tT0_T1_T2_jT3_P12ihipStream_tbPNSt15iterator_traitsISE_E10value_typeEPNSK_ISF_E10value_typeEPSG_NS1_7vsmem_tEENKUlT_SE_SF_SG_E_clIS8_S8_S9_S9_EESD_ST_SE_SF_SG_EUlST_E0_NS1_11comp_targetILNS1_3genE0ELNS1_11target_archE4294967295ELNS1_3gpuE0ELNS1_3repE0EEENS1_38merge_mergepath_config_static_selectorELNS0_4arch9wavefront6targetE1EEEvSF_,comdat
	.protected	_ZN7rocprim17ROCPRIM_400000_NS6detail17trampoline_kernelINS0_14default_configENS1_38merge_sort_block_merge_config_selectorItNS0_10empty_typeEEEZZNS1_27merge_sort_block_merge_implIS3_PtPS5_jNS1_19radix_merge_compareILb1ELb0EtNS0_19identity_decomposerEEEEE10hipError_tT0_T1_T2_jT3_P12ihipStream_tbPNSt15iterator_traitsISE_E10value_typeEPNSK_ISF_E10value_typeEPSG_NS1_7vsmem_tEENKUlT_SE_SF_SG_E_clIS8_S8_S9_S9_EESD_ST_SE_SF_SG_EUlST_E0_NS1_11comp_targetILNS1_3genE0ELNS1_11target_archE4294967295ELNS1_3gpuE0ELNS1_3repE0EEENS1_38merge_mergepath_config_static_selectorELNS0_4arch9wavefront6targetE1EEEvSF_ ; -- Begin function _ZN7rocprim17ROCPRIM_400000_NS6detail17trampoline_kernelINS0_14default_configENS1_38merge_sort_block_merge_config_selectorItNS0_10empty_typeEEEZZNS1_27merge_sort_block_merge_implIS3_PtPS5_jNS1_19radix_merge_compareILb1ELb0EtNS0_19identity_decomposerEEEEE10hipError_tT0_T1_T2_jT3_P12ihipStream_tbPNSt15iterator_traitsISE_E10value_typeEPNSK_ISF_E10value_typeEPSG_NS1_7vsmem_tEENKUlT_SE_SF_SG_E_clIS8_S8_S9_S9_EESD_ST_SE_SF_SG_EUlST_E0_NS1_11comp_targetILNS1_3genE0ELNS1_11target_archE4294967295ELNS1_3gpuE0ELNS1_3repE0EEENS1_38merge_mergepath_config_static_selectorELNS0_4arch9wavefront6targetE1EEEvSF_
	.globl	_ZN7rocprim17ROCPRIM_400000_NS6detail17trampoline_kernelINS0_14default_configENS1_38merge_sort_block_merge_config_selectorItNS0_10empty_typeEEEZZNS1_27merge_sort_block_merge_implIS3_PtPS5_jNS1_19radix_merge_compareILb1ELb0EtNS0_19identity_decomposerEEEEE10hipError_tT0_T1_T2_jT3_P12ihipStream_tbPNSt15iterator_traitsISE_E10value_typeEPNSK_ISF_E10value_typeEPSG_NS1_7vsmem_tEENKUlT_SE_SF_SG_E_clIS8_S8_S9_S9_EESD_ST_SE_SF_SG_EUlST_E0_NS1_11comp_targetILNS1_3genE0ELNS1_11target_archE4294967295ELNS1_3gpuE0ELNS1_3repE0EEENS1_38merge_mergepath_config_static_selectorELNS0_4arch9wavefront6targetE1EEEvSF_
	.p2align	8
	.type	_ZN7rocprim17ROCPRIM_400000_NS6detail17trampoline_kernelINS0_14default_configENS1_38merge_sort_block_merge_config_selectorItNS0_10empty_typeEEEZZNS1_27merge_sort_block_merge_implIS3_PtPS5_jNS1_19radix_merge_compareILb1ELb0EtNS0_19identity_decomposerEEEEE10hipError_tT0_T1_T2_jT3_P12ihipStream_tbPNSt15iterator_traitsISE_E10value_typeEPNSK_ISF_E10value_typeEPSG_NS1_7vsmem_tEENKUlT_SE_SF_SG_E_clIS8_S8_S9_S9_EESD_ST_SE_SF_SG_EUlST_E0_NS1_11comp_targetILNS1_3genE0ELNS1_11target_archE4294967295ELNS1_3gpuE0ELNS1_3repE0EEENS1_38merge_mergepath_config_static_selectorELNS0_4arch9wavefront6targetE1EEEvSF_,@function
_ZN7rocprim17ROCPRIM_400000_NS6detail17trampoline_kernelINS0_14default_configENS1_38merge_sort_block_merge_config_selectorItNS0_10empty_typeEEEZZNS1_27merge_sort_block_merge_implIS3_PtPS5_jNS1_19radix_merge_compareILb1ELb0EtNS0_19identity_decomposerEEEEE10hipError_tT0_T1_T2_jT3_P12ihipStream_tbPNSt15iterator_traitsISE_E10value_typeEPNSK_ISF_E10value_typeEPSG_NS1_7vsmem_tEENKUlT_SE_SF_SG_E_clIS8_S8_S9_S9_EESD_ST_SE_SF_SG_EUlST_E0_NS1_11comp_targetILNS1_3genE0ELNS1_11target_archE4294967295ELNS1_3gpuE0ELNS1_3repE0EEENS1_38merge_mergepath_config_static_selectorELNS0_4arch9wavefront6targetE1EEEvSF_: ; @_ZN7rocprim17ROCPRIM_400000_NS6detail17trampoline_kernelINS0_14default_configENS1_38merge_sort_block_merge_config_selectorItNS0_10empty_typeEEEZZNS1_27merge_sort_block_merge_implIS3_PtPS5_jNS1_19radix_merge_compareILb1ELb0EtNS0_19identity_decomposerEEEEE10hipError_tT0_T1_T2_jT3_P12ihipStream_tbPNSt15iterator_traitsISE_E10value_typeEPNSK_ISF_E10value_typeEPSG_NS1_7vsmem_tEENKUlT_SE_SF_SG_E_clIS8_S8_S9_S9_EESD_ST_SE_SF_SG_EUlST_E0_NS1_11comp_targetILNS1_3genE0ELNS1_11target_archE4294967295ELNS1_3gpuE0ELNS1_3repE0EEENS1_38merge_mergepath_config_static_selectorELNS0_4arch9wavefront6targetE1EEEvSF_
; %bb.0:
	.section	.rodata,"a",@progbits
	.p2align	6, 0x0
	.amdhsa_kernel _ZN7rocprim17ROCPRIM_400000_NS6detail17trampoline_kernelINS0_14default_configENS1_38merge_sort_block_merge_config_selectorItNS0_10empty_typeEEEZZNS1_27merge_sort_block_merge_implIS3_PtPS5_jNS1_19radix_merge_compareILb1ELb0EtNS0_19identity_decomposerEEEEE10hipError_tT0_T1_T2_jT3_P12ihipStream_tbPNSt15iterator_traitsISE_E10value_typeEPNSK_ISF_E10value_typeEPSG_NS1_7vsmem_tEENKUlT_SE_SF_SG_E_clIS8_S8_S9_S9_EESD_ST_SE_SF_SG_EUlST_E0_NS1_11comp_targetILNS1_3genE0ELNS1_11target_archE4294967295ELNS1_3gpuE0ELNS1_3repE0EEENS1_38merge_mergepath_config_static_selectorELNS0_4arch9wavefront6targetE1EEEvSF_
		.amdhsa_group_segment_fixed_size 0
		.amdhsa_private_segment_fixed_size 0
		.amdhsa_kernarg_size 64
		.amdhsa_user_sgpr_count 6
		.amdhsa_user_sgpr_private_segment_buffer 1
		.amdhsa_user_sgpr_dispatch_ptr 0
		.amdhsa_user_sgpr_queue_ptr 0
		.amdhsa_user_sgpr_kernarg_segment_ptr 1
		.amdhsa_user_sgpr_dispatch_id 0
		.amdhsa_user_sgpr_flat_scratch_init 0
		.amdhsa_user_sgpr_kernarg_preload_length 0
		.amdhsa_user_sgpr_kernarg_preload_offset 0
		.amdhsa_user_sgpr_private_segment_size 0
		.amdhsa_uses_dynamic_stack 0
		.amdhsa_system_sgpr_private_segment_wavefront_offset 0
		.amdhsa_system_sgpr_workgroup_id_x 1
		.amdhsa_system_sgpr_workgroup_id_y 0
		.amdhsa_system_sgpr_workgroup_id_z 0
		.amdhsa_system_sgpr_workgroup_info 0
		.amdhsa_system_vgpr_workitem_id 0
		.amdhsa_next_free_vgpr 1
		.amdhsa_next_free_sgpr 0
		.amdhsa_accum_offset 4
		.amdhsa_reserve_vcc 0
		.amdhsa_reserve_flat_scratch 0
		.amdhsa_float_round_mode_32 0
		.amdhsa_float_round_mode_16_64 0
		.amdhsa_float_denorm_mode_32 3
		.amdhsa_float_denorm_mode_16_64 3
		.amdhsa_dx10_clamp 1
		.amdhsa_ieee_mode 1
		.amdhsa_fp16_overflow 0
		.amdhsa_tg_split 0
		.amdhsa_exception_fp_ieee_invalid_op 0
		.amdhsa_exception_fp_denorm_src 0
		.amdhsa_exception_fp_ieee_div_zero 0
		.amdhsa_exception_fp_ieee_overflow 0
		.amdhsa_exception_fp_ieee_underflow 0
		.amdhsa_exception_fp_ieee_inexact 0
		.amdhsa_exception_int_div_zero 0
	.end_amdhsa_kernel
	.section	.text._ZN7rocprim17ROCPRIM_400000_NS6detail17trampoline_kernelINS0_14default_configENS1_38merge_sort_block_merge_config_selectorItNS0_10empty_typeEEEZZNS1_27merge_sort_block_merge_implIS3_PtPS5_jNS1_19radix_merge_compareILb1ELb0EtNS0_19identity_decomposerEEEEE10hipError_tT0_T1_T2_jT3_P12ihipStream_tbPNSt15iterator_traitsISE_E10value_typeEPNSK_ISF_E10value_typeEPSG_NS1_7vsmem_tEENKUlT_SE_SF_SG_E_clIS8_S8_S9_S9_EESD_ST_SE_SF_SG_EUlST_E0_NS1_11comp_targetILNS1_3genE0ELNS1_11target_archE4294967295ELNS1_3gpuE0ELNS1_3repE0EEENS1_38merge_mergepath_config_static_selectorELNS0_4arch9wavefront6targetE1EEEvSF_,"axG",@progbits,_ZN7rocprim17ROCPRIM_400000_NS6detail17trampoline_kernelINS0_14default_configENS1_38merge_sort_block_merge_config_selectorItNS0_10empty_typeEEEZZNS1_27merge_sort_block_merge_implIS3_PtPS5_jNS1_19radix_merge_compareILb1ELb0EtNS0_19identity_decomposerEEEEE10hipError_tT0_T1_T2_jT3_P12ihipStream_tbPNSt15iterator_traitsISE_E10value_typeEPNSK_ISF_E10value_typeEPSG_NS1_7vsmem_tEENKUlT_SE_SF_SG_E_clIS8_S8_S9_S9_EESD_ST_SE_SF_SG_EUlST_E0_NS1_11comp_targetILNS1_3genE0ELNS1_11target_archE4294967295ELNS1_3gpuE0ELNS1_3repE0EEENS1_38merge_mergepath_config_static_selectorELNS0_4arch9wavefront6targetE1EEEvSF_,comdat
.Lfunc_end1861:
	.size	_ZN7rocprim17ROCPRIM_400000_NS6detail17trampoline_kernelINS0_14default_configENS1_38merge_sort_block_merge_config_selectorItNS0_10empty_typeEEEZZNS1_27merge_sort_block_merge_implIS3_PtPS5_jNS1_19radix_merge_compareILb1ELb0EtNS0_19identity_decomposerEEEEE10hipError_tT0_T1_T2_jT3_P12ihipStream_tbPNSt15iterator_traitsISE_E10value_typeEPNSK_ISF_E10value_typeEPSG_NS1_7vsmem_tEENKUlT_SE_SF_SG_E_clIS8_S8_S9_S9_EESD_ST_SE_SF_SG_EUlST_E0_NS1_11comp_targetILNS1_3genE0ELNS1_11target_archE4294967295ELNS1_3gpuE0ELNS1_3repE0EEENS1_38merge_mergepath_config_static_selectorELNS0_4arch9wavefront6targetE1EEEvSF_, .Lfunc_end1861-_ZN7rocprim17ROCPRIM_400000_NS6detail17trampoline_kernelINS0_14default_configENS1_38merge_sort_block_merge_config_selectorItNS0_10empty_typeEEEZZNS1_27merge_sort_block_merge_implIS3_PtPS5_jNS1_19radix_merge_compareILb1ELb0EtNS0_19identity_decomposerEEEEE10hipError_tT0_T1_T2_jT3_P12ihipStream_tbPNSt15iterator_traitsISE_E10value_typeEPNSK_ISF_E10value_typeEPSG_NS1_7vsmem_tEENKUlT_SE_SF_SG_E_clIS8_S8_S9_S9_EESD_ST_SE_SF_SG_EUlST_E0_NS1_11comp_targetILNS1_3genE0ELNS1_11target_archE4294967295ELNS1_3gpuE0ELNS1_3repE0EEENS1_38merge_mergepath_config_static_selectorELNS0_4arch9wavefront6targetE1EEEvSF_
                                        ; -- End function
	.section	.AMDGPU.csdata,"",@progbits
; Kernel info:
; codeLenInByte = 0
; NumSgprs: 4
; NumVgprs: 0
; NumAgprs: 0
; TotalNumVgprs: 0
; ScratchSize: 0
; MemoryBound: 0
; FloatMode: 240
; IeeeMode: 1
; LDSByteSize: 0 bytes/workgroup (compile time only)
; SGPRBlocks: 0
; VGPRBlocks: 0
; NumSGPRsForWavesPerEU: 4
; NumVGPRsForWavesPerEU: 1
; AccumOffset: 4
; Occupancy: 8
; WaveLimiterHint : 0
; COMPUTE_PGM_RSRC2:SCRATCH_EN: 0
; COMPUTE_PGM_RSRC2:USER_SGPR: 6
; COMPUTE_PGM_RSRC2:TRAP_HANDLER: 0
; COMPUTE_PGM_RSRC2:TGID_X_EN: 1
; COMPUTE_PGM_RSRC2:TGID_Y_EN: 0
; COMPUTE_PGM_RSRC2:TGID_Z_EN: 0
; COMPUTE_PGM_RSRC2:TIDIG_COMP_CNT: 0
; COMPUTE_PGM_RSRC3_GFX90A:ACCUM_OFFSET: 0
; COMPUTE_PGM_RSRC3_GFX90A:TG_SPLIT: 0
	.section	.text._ZN7rocprim17ROCPRIM_400000_NS6detail17trampoline_kernelINS0_14default_configENS1_38merge_sort_block_merge_config_selectorItNS0_10empty_typeEEEZZNS1_27merge_sort_block_merge_implIS3_PtPS5_jNS1_19radix_merge_compareILb1ELb0EtNS0_19identity_decomposerEEEEE10hipError_tT0_T1_T2_jT3_P12ihipStream_tbPNSt15iterator_traitsISE_E10value_typeEPNSK_ISF_E10value_typeEPSG_NS1_7vsmem_tEENKUlT_SE_SF_SG_E_clIS8_S8_S9_S9_EESD_ST_SE_SF_SG_EUlST_E0_NS1_11comp_targetILNS1_3genE10ELNS1_11target_archE1201ELNS1_3gpuE5ELNS1_3repE0EEENS1_38merge_mergepath_config_static_selectorELNS0_4arch9wavefront6targetE1EEEvSF_,"axG",@progbits,_ZN7rocprim17ROCPRIM_400000_NS6detail17trampoline_kernelINS0_14default_configENS1_38merge_sort_block_merge_config_selectorItNS0_10empty_typeEEEZZNS1_27merge_sort_block_merge_implIS3_PtPS5_jNS1_19radix_merge_compareILb1ELb0EtNS0_19identity_decomposerEEEEE10hipError_tT0_T1_T2_jT3_P12ihipStream_tbPNSt15iterator_traitsISE_E10value_typeEPNSK_ISF_E10value_typeEPSG_NS1_7vsmem_tEENKUlT_SE_SF_SG_E_clIS8_S8_S9_S9_EESD_ST_SE_SF_SG_EUlST_E0_NS1_11comp_targetILNS1_3genE10ELNS1_11target_archE1201ELNS1_3gpuE5ELNS1_3repE0EEENS1_38merge_mergepath_config_static_selectorELNS0_4arch9wavefront6targetE1EEEvSF_,comdat
	.protected	_ZN7rocprim17ROCPRIM_400000_NS6detail17trampoline_kernelINS0_14default_configENS1_38merge_sort_block_merge_config_selectorItNS0_10empty_typeEEEZZNS1_27merge_sort_block_merge_implIS3_PtPS5_jNS1_19radix_merge_compareILb1ELb0EtNS0_19identity_decomposerEEEEE10hipError_tT0_T1_T2_jT3_P12ihipStream_tbPNSt15iterator_traitsISE_E10value_typeEPNSK_ISF_E10value_typeEPSG_NS1_7vsmem_tEENKUlT_SE_SF_SG_E_clIS8_S8_S9_S9_EESD_ST_SE_SF_SG_EUlST_E0_NS1_11comp_targetILNS1_3genE10ELNS1_11target_archE1201ELNS1_3gpuE5ELNS1_3repE0EEENS1_38merge_mergepath_config_static_selectorELNS0_4arch9wavefront6targetE1EEEvSF_ ; -- Begin function _ZN7rocprim17ROCPRIM_400000_NS6detail17trampoline_kernelINS0_14default_configENS1_38merge_sort_block_merge_config_selectorItNS0_10empty_typeEEEZZNS1_27merge_sort_block_merge_implIS3_PtPS5_jNS1_19radix_merge_compareILb1ELb0EtNS0_19identity_decomposerEEEEE10hipError_tT0_T1_T2_jT3_P12ihipStream_tbPNSt15iterator_traitsISE_E10value_typeEPNSK_ISF_E10value_typeEPSG_NS1_7vsmem_tEENKUlT_SE_SF_SG_E_clIS8_S8_S9_S9_EESD_ST_SE_SF_SG_EUlST_E0_NS1_11comp_targetILNS1_3genE10ELNS1_11target_archE1201ELNS1_3gpuE5ELNS1_3repE0EEENS1_38merge_mergepath_config_static_selectorELNS0_4arch9wavefront6targetE1EEEvSF_
	.globl	_ZN7rocprim17ROCPRIM_400000_NS6detail17trampoline_kernelINS0_14default_configENS1_38merge_sort_block_merge_config_selectorItNS0_10empty_typeEEEZZNS1_27merge_sort_block_merge_implIS3_PtPS5_jNS1_19radix_merge_compareILb1ELb0EtNS0_19identity_decomposerEEEEE10hipError_tT0_T1_T2_jT3_P12ihipStream_tbPNSt15iterator_traitsISE_E10value_typeEPNSK_ISF_E10value_typeEPSG_NS1_7vsmem_tEENKUlT_SE_SF_SG_E_clIS8_S8_S9_S9_EESD_ST_SE_SF_SG_EUlST_E0_NS1_11comp_targetILNS1_3genE10ELNS1_11target_archE1201ELNS1_3gpuE5ELNS1_3repE0EEENS1_38merge_mergepath_config_static_selectorELNS0_4arch9wavefront6targetE1EEEvSF_
	.p2align	8
	.type	_ZN7rocprim17ROCPRIM_400000_NS6detail17trampoline_kernelINS0_14default_configENS1_38merge_sort_block_merge_config_selectorItNS0_10empty_typeEEEZZNS1_27merge_sort_block_merge_implIS3_PtPS5_jNS1_19radix_merge_compareILb1ELb0EtNS0_19identity_decomposerEEEEE10hipError_tT0_T1_T2_jT3_P12ihipStream_tbPNSt15iterator_traitsISE_E10value_typeEPNSK_ISF_E10value_typeEPSG_NS1_7vsmem_tEENKUlT_SE_SF_SG_E_clIS8_S8_S9_S9_EESD_ST_SE_SF_SG_EUlST_E0_NS1_11comp_targetILNS1_3genE10ELNS1_11target_archE1201ELNS1_3gpuE5ELNS1_3repE0EEENS1_38merge_mergepath_config_static_selectorELNS0_4arch9wavefront6targetE1EEEvSF_,@function
_ZN7rocprim17ROCPRIM_400000_NS6detail17trampoline_kernelINS0_14default_configENS1_38merge_sort_block_merge_config_selectorItNS0_10empty_typeEEEZZNS1_27merge_sort_block_merge_implIS3_PtPS5_jNS1_19radix_merge_compareILb1ELb0EtNS0_19identity_decomposerEEEEE10hipError_tT0_T1_T2_jT3_P12ihipStream_tbPNSt15iterator_traitsISE_E10value_typeEPNSK_ISF_E10value_typeEPSG_NS1_7vsmem_tEENKUlT_SE_SF_SG_E_clIS8_S8_S9_S9_EESD_ST_SE_SF_SG_EUlST_E0_NS1_11comp_targetILNS1_3genE10ELNS1_11target_archE1201ELNS1_3gpuE5ELNS1_3repE0EEENS1_38merge_mergepath_config_static_selectorELNS0_4arch9wavefront6targetE1EEEvSF_: ; @_ZN7rocprim17ROCPRIM_400000_NS6detail17trampoline_kernelINS0_14default_configENS1_38merge_sort_block_merge_config_selectorItNS0_10empty_typeEEEZZNS1_27merge_sort_block_merge_implIS3_PtPS5_jNS1_19radix_merge_compareILb1ELb0EtNS0_19identity_decomposerEEEEE10hipError_tT0_T1_T2_jT3_P12ihipStream_tbPNSt15iterator_traitsISE_E10value_typeEPNSK_ISF_E10value_typeEPSG_NS1_7vsmem_tEENKUlT_SE_SF_SG_E_clIS8_S8_S9_S9_EESD_ST_SE_SF_SG_EUlST_E0_NS1_11comp_targetILNS1_3genE10ELNS1_11target_archE1201ELNS1_3gpuE5ELNS1_3repE0EEENS1_38merge_mergepath_config_static_selectorELNS0_4arch9wavefront6targetE1EEEvSF_
; %bb.0:
	.section	.rodata,"a",@progbits
	.p2align	6, 0x0
	.amdhsa_kernel _ZN7rocprim17ROCPRIM_400000_NS6detail17trampoline_kernelINS0_14default_configENS1_38merge_sort_block_merge_config_selectorItNS0_10empty_typeEEEZZNS1_27merge_sort_block_merge_implIS3_PtPS5_jNS1_19radix_merge_compareILb1ELb0EtNS0_19identity_decomposerEEEEE10hipError_tT0_T1_T2_jT3_P12ihipStream_tbPNSt15iterator_traitsISE_E10value_typeEPNSK_ISF_E10value_typeEPSG_NS1_7vsmem_tEENKUlT_SE_SF_SG_E_clIS8_S8_S9_S9_EESD_ST_SE_SF_SG_EUlST_E0_NS1_11comp_targetILNS1_3genE10ELNS1_11target_archE1201ELNS1_3gpuE5ELNS1_3repE0EEENS1_38merge_mergepath_config_static_selectorELNS0_4arch9wavefront6targetE1EEEvSF_
		.amdhsa_group_segment_fixed_size 0
		.amdhsa_private_segment_fixed_size 0
		.amdhsa_kernarg_size 64
		.amdhsa_user_sgpr_count 6
		.amdhsa_user_sgpr_private_segment_buffer 1
		.amdhsa_user_sgpr_dispatch_ptr 0
		.amdhsa_user_sgpr_queue_ptr 0
		.amdhsa_user_sgpr_kernarg_segment_ptr 1
		.amdhsa_user_sgpr_dispatch_id 0
		.amdhsa_user_sgpr_flat_scratch_init 0
		.amdhsa_user_sgpr_kernarg_preload_length 0
		.amdhsa_user_sgpr_kernarg_preload_offset 0
		.amdhsa_user_sgpr_private_segment_size 0
		.amdhsa_uses_dynamic_stack 0
		.amdhsa_system_sgpr_private_segment_wavefront_offset 0
		.amdhsa_system_sgpr_workgroup_id_x 1
		.amdhsa_system_sgpr_workgroup_id_y 0
		.amdhsa_system_sgpr_workgroup_id_z 0
		.amdhsa_system_sgpr_workgroup_info 0
		.amdhsa_system_vgpr_workitem_id 0
		.amdhsa_next_free_vgpr 1
		.amdhsa_next_free_sgpr 0
		.amdhsa_accum_offset 4
		.amdhsa_reserve_vcc 0
		.amdhsa_reserve_flat_scratch 0
		.amdhsa_float_round_mode_32 0
		.amdhsa_float_round_mode_16_64 0
		.amdhsa_float_denorm_mode_32 3
		.amdhsa_float_denorm_mode_16_64 3
		.amdhsa_dx10_clamp 1
		.amdhsa_ieee_mode 1
		.amdhsa_fp16_overflow 0
		.amdhsa_tg_split 0
		.amdhsa_exception_fp_ieee_invalid_op 0
		.amdhsa_exception_fp_denorm_src 0
		.amdhsa_exception_fp_ieee_div_zero 0
		.amdhsa_exception_fp_ieee_overflow 0
		.amdhsa_exception_fp_ieee_underflow 0
		.amdhsa_exception_fp_ieee_inexact 0
		.amdhsa_exception_int_div_zero 0
	.end_amdhsa_kernel
	.section	.text._ZN7rocprim17ROCPRIM_400000_NS6detail17trampoline_kernelINS0_14default_configENS1_38merge_sort_block_merge_config_selectorItNS0_10empty_typeEEEZZNS1_27merge_sort_block_merge_implIS3_PtPS5_jNS1_19radix_merge_compareILb1ELb0EtNS0_19identity_decomposerEEEEE10hipError_tT0_T1_T2_jT3_P12ihipStream_tbPNSt15iterator_traitsISE_E10value_typeEPNSK_ISF_E10value_typeEPSG_NS1_7vsmem_tEENKUlT_SE_SF_SG_E_clIS8_S8_S9_S9_EESD_ST_SE_SF_SG_EUlST_E0_NS1_11comp_targetILNS1_3genE10ELNS1_11target_archE1201ELNS1_3gpuE5ELNS1_3repE0EEENS1_38merge_mergepath_config_static_selectorELNS0_4arch9wavefront6targetE1EEEvSF_,"axG",@progbits,_ZN7rocprim17ROCPRIM_400000_NS6detail17trampoline_kernelINS0_14default_configENS1_38merge_sort_block_merge_config_selectorItNS0_10empty_typeEEEZZNS1_27merge_sort_block_merge_implIS3_PtPS5_jNS1_19radix_merge_compareILb1ELb0EtNS0_19identity_decomposerEEEEE10hipError_tT0_T1_T2_jT3_P12ihipStream_tbPNSt15iterator_traitsISE_E10value_typeEPNSK_ISF_E10value_typeEPSG_NS1_7vsmem_tEENKUlT_SE_SF_SG_E_clIS8_S8_S9_S9_EESD_ST_SE_SF_SG_EUlST_E0_NS1_11comp_targetILNS1_3genE10ELNS1_11target_archE1201ELNS1_3gpuE5ELNS1_3repE0EEENS1_38merge_mergepath_config_static_selectorELNS0_4arch9wavefront6targetE1EEEvSF_,comdat
.Lfunc_end1862:
	.size	_ZN7rocprim17ROCPRIM_400000_NS6detail17trampoline_kernelINS0_14default_configENS1_38merge_sort_block_merge_config_selectorItNS0_10empty_typeEEEZZNS1_27merge_sort_block_merge_implIS3_PtPS5_jNS1_19radix_merge_compareILb1ELb0EtNS0_19identity_decomposerEEEEE10hipError_tT0_T1_T2_jT3_P12ihipStream_tbPNSt15iterator_traitsISE_E10value_typeEPNSK_ISF_E10value_typeEPSG_NS1_7vsmem_tEENKUlT_SE_SF_SG_E_clIS8_S8_S9_S9_EESD_ST_SE_SF_SG_EUlST_E0_NS1_11comp_targetILNS1_3genE10ELNS1_11target_archE1201ELNS1_3gpuE5ELNS1_3repE0EEENS1_38merge_mergepath_config_static_selectorELNS0_4arch9wavefront6targetE1EEEvSF_, .Lfunc_end1862-_ZN7rocprim17ROCPRIM_400000_NS6detail17trampoline_kernelINS0_14default_configENS1_38merge_sort_block_merge_config_selectorItNS0_10empty_typeEEEZZNS1_27merge_sort_block_merge_implIS3_PtPS5_jNS1_19radix_merge_compareILb1ELb0EtNS0_19identity_decomposerEEEEE10hipError_tT0_T1_T2_jT3_P12ihipStream_tbPNSt15iterator_traitsISE_E10value_typeEPNSK_ISF_E10value_typeEPSG_NS1_7vsmem_tEENKUlT_SE_SF_SG_E_clIS8_S8_S9_S9_EESD_ST_SE_SF_SG_EUlST_E0_NS1_11comp_targetILNS1_3genE10ELNS1_11target_archE1201ELNS1_3gpuE5ELNS1_3repE0EEENS1_38merge_mergepath_config_static_selectorELNS0_4arch9wavefront6targetE1EEEvSF_
                                        ; -- End function
	.section	.AMDGPU.csdata,"",@progbits
; Kernel info:
; codeLenInByte = 0
; NumSgprs: 4
; NumVgprs: 0
; NumAgprs: 0
; TotalNumVgprs: 0
; ScratchSize: 0
; MemoryBound: 0
; FloatMode: 240
; IeeeMode: 1
; LDSByteSize: 0 bytes/workgroup (compile time only)
; SGPRBlocks: 0
; VGPRBlocks: 0
; NumSGPRsForWavesPerEU: 4
; NumVGPRsForWavesPerEU: 1
; AccumOffset: 4
; Occupancy: 8
; WaveLimiterHint : 0
; COMPUTE_PGM_RSRC2:SCRATCH_EN: 0
; COMPUTE_PGM_RSRC2:USER_SGPR: 6
; COMPUTE_PGM_RSRC2:TRAP_HANDLER: 0
; COMPUTE_PGM_RSRC2:TGID_X_EN: 1
; COMPUTE_PGM_RSRC2:TGID_Y_EN: 0
; COMPUTE_PGM_RSRC2:TGID_Z_EN: 0
; COMPUTE_PGM_RSRC2:TIDIG_COMP_CNT: 0
; COMPUTE_PGM_RSRC3_GFX90A:ACCUM_OFFSET: 0
; COMPUTE_PGM_RSRC3_GFX90A:TG_SPLIT: 0
	.section	.text._ZN7rocprim17ROCPRIM_400000_NS6detail17trampoline_kernelINS0_14default_configENS1_38merge_sort_block_merge_config_selectorItNS0_10empty_typeEEEZZNS1_27merge_sort_block_merge_implIS3_PtPS5_jNS1_19radix_merge_compareILb1ELb0EtNS0_19identity_decomposerEEEEE10hipError_tT0_T1_T2_jT3_P12ihipStream_tbPNSt15iterator_traitsISE_E10value_typeEPNSK_ISF_E10value_typeEPSG_NS1_7vsmem_tEENKUlT_SE_SF_SG_E_clIS8_S8_S9_S9_EESD_ST_SE_SF_SG_EUlST_E0_NS1_11comp_targetILNS1_3genE5ELNS1_11target_archE942ELNS1_3gpuE9ELNS1_3repE0EEENS1_38merge_mergepath_config_static_selectorELNS0_4arch9wavefront6targetE1EEEvSF_,"axG",@progbits,_ZN7rocprim17ROCPRIM_400000_NS6detail17trampoline_kernelINS0_14default_configENS1_38merge_sort_block_merge_config_selectorItNS0_10empty_typeEEEZZNS1_27merge_sort_block_merge_implIS3_PtPS5_jNS1_19radix_merge_compareILb1ELb0EtNS0_19identity_decomposerEEEEE10hipError_tT0_T1_T2_jT3_P12ihipStream_tbPNSt15iterator_traitsISE_E10value_typeEPNSK_ISF_E10value_typeEPSG_NS1_7vsmem_tEENKUlT_SE_SF_SG_E_clIS8_S8_S9_S9_EESD_ST_SE_SF_SG_EUlST_E0_NS1_11comp_targetILNS1_3genE5ELNS1_11target_archE942ELNS1_3gpuE9ELNS1_3repE0EEENS1_38merge_mergepath_config_static_selectorELNS0_4arch9wavefront6targetE1EEEvSF_,comdat
	.protected	_ZN7rocprim17ROCPRIM_400000_NS6detail17trampoline_kernelINS0_14default_configENS1_38merge_sort_block_merge_config_selectorItNS0_10empty_typeEEEZZNS1_27merge_sort_block_merge_implIS3_PtPS5_jNS1_19radix_merge_compareILb1ELb0EtNS0_19identity_decomposerEEEEE10hipError_tT0_T1_T2_jT3_P12ihipStream_tbPNSt15iterator_traitsISE_E10value_typeEPNSK_ISF_E10value_typeEPSG_NS1_7vsmem_tEENKUlT_SE_SF_SG_E_clIS8_S8_S9_S9_EESD_ST_SE_SF_SG_EUlST_E0_NS1_11comp_targetILNS1_3genE5ELNS1_11target_archE942ELNS1_3gpuE9ELNS1_3repE0EEENS1_38merge_mergepath_config_static_selectorELNS0_4arch9wavefront6targetE1EEEvSF_ ; -- Begin function _ZN7rocprim17ROCPRIM_400000_NS6detail17trampoline_kernelINS0_14default_configENS1_38merge_sort_block_merge_config_selectorItNS0_10empty_typeEEEZZNS1_27merge_sort_block_merge_implIS3_PtPS5_jNS1_19radix_merge_compareILb1ELb0EtNS0_19identity_decomposerEEEEE10hipError_tT0_T1_T2_jT3_P12ihipStream_tbPNSt15iterator_traitsISE_E10value_typeEPNSK_ISF_E10value_typeEPSG_NS1_7vsmem_tEENKUlT_SE_SF_SG_E_clIS8_S8_S9_S9_EESD_ST_SE_SF_SG_EUlST_E0_NS1_11comp_targetILNS1_3genE5ELNS1_11target_archE942ELNS1_3gpuE9ELNS1_3repE0EEENS1_38merge_mergepath_config_static_selectorELNS0_4arch9wavefront6targetE1EEEvSF_
	.globl	_ZN7rocprim17ROCPRIM_400000_NS6detail17trampoline_kernelINS0_14default_configENS1_38merge_sort_block_merge_config_selectorItNS0_10empty_typeEEEZZNS1_27merge_sort_block_merge_implIS3_PtPS5_jNS1_19radix_merge_compareILb1ELb0EtNS0_19identity_decomposerEEEEE10hipError_tT0_T1_T2_jT3_P12ihipStream_tbPNSt15iterator_traitsISE_E10value_typeEPNSK_ISF_E10value_typeEPSG_NS1_7vsmem_tEENKUlT_SE_SF_SG_E_clIS8_S8_S9_S9_EESD_ST_SE_SF_SG_EUlST_E0_NS1_11comp_targetILNS1_3genE5ELNS1_11target_archE942ELNS1_3gpuE9ELNS1_3repE0EEENS1_38merge_mergepath_config_static_selectorELNS0_4arch9wavefront6targetE1EEEvSF_
	.p2align	8
	.type	_ZN7rocprim17ROCPRIM_400000_NS6detail17trampoline_kernelINS0_14default_configENS1_38merge_sort_block_merge_config_selectorItNS0_10empty_typeEEEZZNS1_27merge_sort_block_merge_implIS3_PtPS5_jNS1_19radix_merge_compareILb1ELb0EtNS0_19identity_decomposerEEEEE10hipError_tT0_T1_T2_jT3_P12ihipStream_tbPNSt15iterator_traitsISE_E10value_typeEPNSK_ISF_E10value_typeEPSG_NS1_7vsmem_tEENKUlT_SE_SF_SG_E_clIS8_S8_S9_S9_EESD_ST_SE_SF_SG_EUlST_E0_NS1_11comp_targetILNS1_3genE5ELNS1_11target_archE942ELNS1_3gpuE9ELNS1_3repE0EEENS1_38merge_mergepath_config_static_selectorELNS0_4arch9wavefront6targetE1EEEvSF_,@function
_ZN7rocprim17ROCPRIM_400000_NS6detail17trampoline_kernelINS0_14default_configENS1_38merge_sort_block_merge_config_selectorItNS0_10empty_typeEEEZZNS1_27merge_sort_block_merge_implIS3_PtPS5_jNS1_19radix_merge_compareILb1ELb0EtNS0_19identity_decomposerEEEEE10hipError_tT0_T1_T2_jT3_P12ihipStream_tbPNSt15iterator_traitsISE_E10value_typeEPNSK_ISF_E10value_typeEPSG_NS1_7vsmem_tEENKUlT_SE_SF_SG_E_clIS8_S8_S9_S9_EESD_ST_SE_SF_SG_EUlST_E0_NS1_11comp_targetILNS1_3genE5ELNS1_11target_archE942ELNS1_3gpuE9ELNS1_3repE0EEENS1_38merge_mergepath_config_static_selectorELNS0_4arch9wavefront6targetE1EEEvSF_: ; @_ZN7rocprim17ROCPRIM_400000_NS6detail17trampoline_kernelINS0_14default_configENS1_38merge_sort_block_merge_config_selectorItNS0_10empty_typeEEEZZNS1_27merge_sort_block_merge_implIS3_PtPS5_jNS1_19radix_merge_compareILb1ELb0EtNS0_19identity_decomposerEEEEE10hipError_tT0_T1_T2_jT3_P12ihipStream_tbPNSt15iterator_traitsISE_E10value_typeEPNSK_ISF_E10value_typeEPSG_NS1_7vsmem_tEENKUlT_SE_SF_SG_E_clIS8_S8_S9_S9_EESD_ST_SE_SF_SG_EUlST_E0_NS1_11comp_targetILNS1_3genE5ELNS1_11target_archE942ELNS1_3gpuE9ELNS1_3repE0EEENS1_38merge_mergepath_config_static_selectorELNS0_4arch9wavefront6targetE1EEEvSF_
; %bb.0:
	.section	.rodata,"a",@progbits
	.p2align	6, 0x0
	.amdhsa_kernel _ZN7rocprim17ROCPRIM_400000_NS6detail17trampoline_kernelINS0_14default_configENS1_38merge_sort_block_merge_config_selectorItNS0_10empty_typeEEEZZNS1_27merge_sort_block_merge_implIS3_PtPS5_jNS1_19radix_merge_compareILb1ELb0EtNS0_19identity_decomposerEEEEE10hipError_tT0_T1_T2_jT3_P12ihipStream_tbPNSt15iterator_traitsISE_E10value_typeEPNSK_ISF_E10value_typeEPSG_NS1_7vsmem_tEENKUlT_SE_SF_SG_E_clIS8_S8_S9_S9_EESD_ST_SE_SF_SG_EUlST_E0_NS1_11comp_targetILNS1_3genE5ELNS1_11target_archE942ELNS1_3gpuE9ELNS1_3repE0EEENS1_38merge_mergepath_config_static_selectorELNS0_4arch9wavefront6targetE1EEEvSF_
		.amdhsa_group_segment_fixed_size 0
		.amdhsa_private_segment_fixed_size 0
		.amdhsa_kernarg_size 64
		.amdhsa_user_sgpr_count 6
		.amdhsa_user_sgpr_private_segment_buffer 1
		.amdhsa_user_sgpr_dispatch_ptr 0
		.amdhsa_user_sgpr_queue_ptr 0
		.amdhsa_user_sgpr_kernarg_segment_ptr 1
		.amdhsa_user_sgpr_dispatch_id 0
		.amdhsa_user_sgpr_flat_scratch_init 0
		.amdhsa_user_sgpr_kernarg_preload_length 0
		.amdhsa_user_sgpr_kernarg_preload_offset 0
		.amdhsa_user_sgpr_private_segment_size 0
		.amdhsa_uses_dynamic_stack 0
		.amdhsa_system_sgpr_private_segment_wavefront_offset 0
		.amdhsa_system_sgpr_workgroup_id_x 1
		.amdhsa_system_sgpr_workgroup_id_y 0
		.amdhsa_system_sgpr_workgroup_id_z 0
		.amdhsa_system_sgpr_workgroup_info 0
		.amdhsa_system_vgpr_workitem_id 0
		.amdhsa_next_free_vgpr 1
		.amdhsa_next_free_sgpr 0
		.amdhsa_accum_offset 4
		.amdhsa_reserve_vcc 0
		.amdhsa_reserve_flat_scratch 0
		.amdhsa_float_round_mode_32 0
		.amdhsa_float_round_mode_16_64 0
		.amdhsa_float_denorm_mode_32 3
		.amdhsa_float_denorm_mode_16_64 3
		.amdhsa_dx10_clamp 1
		.amdhsa_ieee_mode 1
		.amdhsa_fp16_overflow 0
		.amdhsa_tg_split 0
		.amdhsa_exception_fp_ieee_invalid_op 0
		.amdhsa_exception_fp_denorm_src 0
		.amdhsa_exception_fp_ieee_div_zero 0
		.amdhsa_exception_fp_ieee_overflow 0
		.amdhsa_exception_fp_ieee_underflow 0
		.amdhsa_exception_fp_ieee_inexact 0
		.amdhsa_exception_int_div_zero 0
	.end_amdhsa_kernel
	.section	.text._ZN7rocprim17ROCPRIM_400000_NS6detail17trampoline_kernelINS0_14default_configENS1_38merge_sort_block_merge_config_selectorItNS0_10empty_typeEEEZZNS1_27merge_sort_block_merge_implIS3_PtPS5_jNS1_19radix_merge_compareILb1ELb0EtNS0_19identity_decomposerEEEEE10hipError_tT0_T1_T2_jT3_P12ihipStream_tbPNSt15iterator_traitsISE_E10value_typeEPNSK_ISF_E10value_typeEPSG_NS1_7vsmem_tEENKUlT_SE_SF_SG_E_clIS8_S8_S9_S9_EESD_ST_SE_SF_SG_EUlST_E0_NS1_11comp_targetILNS1_3genE5ELNS1_11target_archE942ELNS1_3gpuE9ELNS1_3repE0EEENS1_38merge_mergepath_config_static_selectorELNS0_4arch9wavefront6targetE1EEEvSF_,"axG",@progbits,_ZN7rocprim17ROCPRIM_400000_NS6detail17trampoline_kernelINS0_14default_configENS1_38merge_sort_block_merge_config_selectorItNS0_10empty_typeEEEZZNS1_27merge_sort_block_merge_implIS3_PtPS5_jNS1_19radix_merge_compareILb1ELb0EtNS0_19identity_decomposerEEEEE10hipError_tT0_T1_T2_jT3_P12ihipStream_tbPNSt15iterator_traitsISE_E10value_typeEPNSK_ISF_E10value_typeEPSG_NS1_7vsmem_tEENKUlT_SE_SF_SG_E_clIS8_S8_S9_S9_EESD_ST_SE_SF_SG_EUlST_E0_NS1_11comp_targetILNS1_3genE5ELNS1_11target_archE942ELNS1_3gpuE9ELNS1_3repE0EEENS1_38merge_mergepath_config_static_selectorELNS0_4arch9wavefront6targetE1EEEvSF_,comdat
.Lfunc_end1863:
	.size	_ZN7rocprim17ROCPRIM_400000_NS6detail17trampoline_kernelINS0_14default_configENS1_38merge_sort_block_merge_config_selectorItNS0_10empty_typeEEEZZNS1_27merge_sort_block_merge_implIS3_PtPS5_jNS1_19radix_merge_compareILb1ELb0EtNS0_19identity_decomposerEEEEE10hipError_tT0_T1_T2_jT3_P12ihipStream_tbPNSt15iterator_traitsISE_E10value_typeEPNSK_ISF_E10value_typeEPSG_NS1_7vsmem_tEENKUlT_SE_SF_SG_E_clIS8_S8_S9_S9_EESD_ST_SE_SF_SG_EUlST_E0_NS1_11comp_targetILNS1_3genE5ELNS1_11target_archE942ELNS1_3gpuE9ELNS1_3repE0EEENS1_38merge_mergepath_config_static_selectorELNS0_4arch9wavefront6targetE1EEEvSF_, .Lfunc_end1863-_ZN7rocprim17ROCPRIM_400000_NS6detail17trampoline_kernelINS0_14default_configENS1_38merge_sort_block_merge_config_selectorItNS0_10empty_typeEEEZZNS1_27merge_sort_block_merge_implIS3_PtPS5_jNS1_19radix_merge_compareILb1ELb0EtNS0_19identity_decomposerEEEEE10hipError_tT0_T1_T2_jT3_P12ihipStream_tbPNSt15iterator_traitsISE_E10value_typeEPNSK_ISF_E10value_typeEPSG_NS1_7vsmem_tEENKUlT_SE_SF_SG_E_clIS8_S8_S9_S9_EESD_ST_SE_SF_SG_EUlST_E0_NS1_11comp_targetILNS1_3genE5ELNS1_11target_archE942ELNS1_3gpuE9ELNS1_3repE0EEENS1_38merge_mergepath_config_static_selectorELNS0_4arch9wavefront6targetE1EEEvSF_
                                        ; -- End function
	.section	.AMDGPU.csdata,"",@progbits
; Kernel info:
; codeLenInByte = 0
; NumSgprs: 4
; NumVgprs: 0
; NumAgprs: 0
; TotalNumVgprs: 0
; ScratchSize: 0
; MemoryBound: 0
; FloatMode: 240
; IeeeMode: 1
; LDSByteSize: 0 bytes/workgroup (compile time only)
; SGPRBlocks: 0
; VGPRBlocks: 0
; NumSGPRsForWavesPerEU: 4
; NumVGPRsForWavesPerEU: 1
; AccumOffset: 4
; Occupancy: 8
; WaveLimiterHint : 0
; COMPUTE_PGM_RSRC2:SCRATCH_EN: 0
; COMPUTE_PGM_RSRC2:USER_SGPR: 6
; COMPUTE_PGM_RSRC2:TRAP_HANDLER: 0
; COMPUTE_PGM_RSRC2:TGID_X_EN: 1
; COMPUTE_PGM_RSRC2:TGID_Y_EN: 0
; COMPUTE_PGM_RSRC2:TGID_Z_EN: 0
; COMPUTE_PGM_RSRC2:TIDIG_COMP_CNT: 0
; COMPUTE_PGM_RSRC3_GFX90A:ACCUM_OFFSET: 0
; COMPUTE_PGM_RSRC3_GFX90A:TG_SPLIT: 0
	.section	.text._ZN7rocprim17ROCPRIM_400000_NS6detail17trampoline_kernelINS0_14default_configENS1_38merge_sort_block_merge_config_selectorItNS0_10empty_typeEEEZZNS1_27merge_sort_block_merge_implIS3_PtPS5_jNS1_19radix_merge_compareILb1ELb0EtNS0_19identity_decomposerEEEEE10hipError_tT0_T1_T2_jT3_P12ihipStream_tbPNSt15iterator_traitsISE_E10value_typeEPNSK_ISF_E10value_typeEPSG_NS1_7vsmem_tEENKUlT_SE_SF_SG_E_clIS8_S8_S9_S9_EESD_ST_SE_SF_SG_EUlST_E0_NS1_11comp_targetILNS1_3genE4ELNS1_11target_archE910ELNS1_3gpuE8ELNS1_3repE0EEENS1_38merge_mergepath_config_static_selectorELNS0_4arch9wavefront6targetE1EEEvSF_,"axG",@progbits,_ZN7rocprim17ROCPRIM_400000_NS6detail17trampoline_kernelINS0_14default_configENS1_38merge_sort_block_merge_config_selectorItNS0_10empty_typeEEEZZNS1_27merge_sort_block_merge_implIS3_PtPS5_jNS1_19radix_merge_compareILb1ELb0EtNS0_19identity_decomposerEEEEE10hipError_tT0_T1_T2_jT3_P12ihipStream_tbPNSt15iterator_traitsISE_E10value_typeEPNSK_ISF_E10value_typeEPSG_NS1_7vsmem_tEENKUlT_SE_SF_SG_E_clIS8_S8_S9_S9_EESD_ST_SE_SF_SG_EUlST_E0_NS1_11comp_targetILNS1_3genE4ELNS1_11target_archE910ELNS1_3gpuE8ELNS1_3repE0EEENS1_38merge_mergepath_config_static_selectorELNS0_4arch9wavefront6targetE1EEEvSF_,comdat
	.protected	_ZN7rocprim17ROCPRIM_400000_NS6detail17trampoline_kernelINS0_14default_configENS1_38merge_sort_block_merge_config_selectorItNS0_10empty_typeEEEZZNS1_27merge_sort_block_merge_implIS3_PtPS5_jNS1_19radix_merge_compareILb1ELb0EtNS0_19identity_decomposerEEEEE10hipError_tT0_T1_T2_jT3_P12ihipStream_tbPNSt15iterator_traitsISE_E10value_typeEPNSK_ISF_E10value_typeEPSG_NS1_7vsmem_tEENKUlT_SE_SF_SG_E_clIS8_S8_S9_S9_EESD_ST_SE_SF_SG_EUlST_E0_NS1_11comp_targetILNS1_3genE4ELNS1_11target_archE910ELNS1_3gpuE8ELNS1_3repE0EEENS1_38merge_mergepath_config_static_selectorELNS0_4arch9wavefront6targetE1EEEvSF_ ; -- Begin function _ZN7rocprim17ROCPRIM_400000_NS6detail17trampoline_kernelINS0_14default_configENS1_38merge_sort_block_merge_config_selectorItNS0_10empty_typeEEEZZNS1_27merge_sort_block_merge_implIS3_PtPS5_jNS1_19radix_merge_compareILb1ELb0EtNS0_19identity_decomposerEEEEE10hipError_tT0_T1_T2_jT3_P12ihipStream_tbPNSt15iterator_traitsISE_E10value_typeEPNSK_ISF_E10value_typeEPSG_NS1_7vsmem_tEENKUlT_SE_SF_SG_E_clIS8_S8_S9_S9_EESD_ST_SE_SF_SG_EUlST_E0_NS1_11comp_targetILNS1_3genE4ELNS1_11target_archE910ELNS1_3gpuE8ELNS1_3repE0EEENS1_38merge_mergepath_config_static_selectorELNS0_4arch9wavefront6targetE1EEEvSF_
	.globl	_ZN7rocprim17ROCPRIM_400000_NS6detail17trampoline_kernelINS0_14default_configENS1_38merge_sort_block_merge_config_selectorItNS0_10empty_typeEEEZZNS1_27merge_sort_block_merge_implIS3_PtPS5_jNS1_19radix_merge_compareILb1ELb0EtNS0_19identity_decomposerEEEEE10hipError_tT0_T1_T2_jT3_P12ihipStream_tbPNSt15iterator_traitsISE_E10value_typeEPNSK_ISF_E10value_typeEPSG_NS1_7vsmem_tEENKUlT_SE_SF_SG_E_clIS8_S8_S9_S9_EESD_ST_SE_SF_SG_EUlST_E0_NS1_11comp_targetILNS1_3genE4ELNS1_11target_archE910ELNS1_3gpuE8ELNS1_3repE0EEENS1_38merge_mergepath_config_static_selectorELNS0_4arch9wavefront6targetE1EEEvSF_
	.p2align	8
	.type	_ZN7rocprim17ROCPRIM_400000_NS6detail17trampoline_kernelINS0_14default_configENS1_38merge_sort_block_merge_config_selectorItNS0_10empty_typeEEEZZNS1_27merge_sort_block_merge_implIS3_PtPS5_jNS1_19radix_merge_compareILb1ELb0EtNS0_19identity_decomposerEEEEE10hipError_tT0_T1_T2_jT3_P12ihipStream_tbPNSt15iterator_traitsISE_E10value_typeEPNSK_ISF_E10value_typeEPSG_NS1_7vsmem_tEENKUlT_SE_SF_SG_E_clIS8_S8_S9_S9_EESD_ST_SE_SF_SG_EUlST_E0_NS1_11comp_targetILNS1_3genE4ELNS1_11target_archE910ELNS1_3gpuE8ELNS1_3repE0EEENS1_38merge_mergepath_config_static_selectorELNS0_4arch9wavefront6targetE1EEEvSF_,@function
_ZN7rocprim17ROCPRIM_400000_NS6detail17trampoline_kernelINS0_14default_configENS1_38merge_sort_block_merge_config_selectorItNS0_10empty_typeEEEZZNS1_27merge_sort_block_merge_implIS3_PtPS5_jNS1_19radix_merge_compareILb1ELb0EtNS0_19identity_decomposerEEEEE10hipError_tT0_T1_T2_jT3_P12ihipStream_tbPNSt15iterator_traitsISE_E10value_typeEPNSK_ISF_E10value_typeEPSG_NS1_7vsmem_tEENKUlT_SE_SF_SG_E_clIS8_S8_S9_S9_EESD_ST_SE_SF_SG_EUlST_E0_NS1_11comp_targetILNS1_3genE4ELNS1_11target_archE910ELNS1_3gpuE8ELNS1_3repE0EEENS1_38merge_mergepath_config_static_selectorELNS0_4arch9wavefront6targetE1EEEvSF_: ; @_ZN7rocprim17ROCPRIM_400000_NS6detail17trampoline_kernelINS0_14default_configENS1_38merge_sort_block_merge_config_selectorItNS0_10empty_typeEEEZZNS1_27merge_sort_block_merge_implIS3_PtPS5_jNS1_19radix_merge_compareILb1ELb0EtNS0_19identity_decomposerEEEEE10hipError_tT0_T1_T2_jT3_P12ihipStream_tbPNSt15iterator_traitsISE_E10value_typeEPNSK_ISF_E10value_typeEPSG_NS1_7vsmem_tEENKUlT_SE_SF_SG_E_clIS8_S8_S9_S9_EESD_ST_SE_SF_SG_EUlST_E0_NS1_11comp_targetILNS1_3genE4ELNS1_11target_archE910ELNS1_3gpuE8ELNS1_3repE0EEENS1_38merge_mergepath_config_static_selectorELNS0_4arch9wavefront6targetE1EEEvSF_
; %bb.0:
	s_load_dwordx2 s[10:11], s[4:5], 0x40
	s_load_dword s3, s[4:5], 0x30
	s_add_u32 s0, s4, 64
	s_addc_u32 s1, s5, 0
	s_waitcnt lgkmcnt(0)
	s_mul_i32 s2, s11, s8
	s_add_i32 s2, s2, s7
	s_mul_i32 s2, s2, s10
	s_add_i32 s2, s2, s6
	s_cmp_ge_u32 s2, s3
	s_cbranch_scc1 .LBB1864_43
; %bb.1:
	s_load_dwordx2 s[14:15], s[4:5], 0x28
	s_load_dwordx2 s[8:9], s[4:5], 0x38
	;; [unrolled: 1-line block ×3, first 2 shown]
	s_mov_b32 s3, 0
	s_mov_b32 s23, s3
	s_waitcnt lgkmcnt(0)
	s_lshr_b32 s17, s14, 10
	s_cmp_lg_u32 s2, s17
	s_cselect_b64 s[18:19], -1, 0
	s_lshl_b64 s[12:13], s[2:3], 2
	s_add_u32 s8, s8, s12
	s_addc_u32 s9, s9, s13
	s_lshr_b32 s7, s15, 9
	s_and_b32 s7, s7, 0x7ffffe
	s_load_dwordx2 s[8:9], s[8:9], 0x0
	s_sub_i32 s7, 0, s7
	s_and_b32 s11, s2, s7
	s_lshl_b32 s12, s11, 10
	s_lshl_b32 s16, s2, 10
	;; [unrolled: 1-line block ×3, first 2 shown]
	s_sub_i32 s13, s16, s12
	s_add_i32 s11, s11, s15
	s_add_i32 s13, s11, s13
	s_waitcnt lgkmcnt(0)
	s_sub_i32 s22, s13, s8
	s_sub_i32 s13, s13, s9
	;; [unrolled: 1-line block ×3, first 2 shown]
	s_min_u32 s22, s14, s22
	s_addk_i32 s13, 0x400
	s_or_b32 s7, s2, s7
	s_min_u32 s12, s14, s11
	s_add_i32 s11, s11, s15
	s_cmp_eq_u32 s7, -1
	s_cselect_b32 s7, s11, s13
	s_cselect_b32 s9, s12, s9
	s_min_u32 s7, s7, s14
	s_sub_i32 s15, s9, s8
	s_mov_b32 s9, s3
	s_sub_i32 s7, s7, s22
	s_lshl_b64 s[8:9], s[8:9], 1
	s_add_u32 s11, s20, s8
	s_addc_u32 s12, s21, s9
	s_lshl_b64 s[8:9], s[22:23], 1
	s_add_u32 s8, s20, s8
	s_addc_u32 s9, s21, s9
	s_cmp_lt_u32 s6, s10
	v_mov_b32_e32 v3, 0
	s_cselect_b32 s3, 12, 18
	global_load_dword v1, v3, s[0:1] offset:14
	s_add_u32 s0, s0, s3
	s_addc_u32 s1, s1, 0
	global_load_ushort v2, v3, s[0:1]
	s_cmp_eq_u32 s2, s17
	s_waitcnt vmcnt(1)
	v_lshrrev_b32_e32 v4, 16, v1
	v_and_b32_e32 v1, 0xffff, v1
	v_mul_lo_u32 v1, v1, v4
	s_waitcnt vmcnt(0)
	v_mul_lo_u32 v10, v1, v2
	v_add_u32_e32 v8, v10, v0
	v_lshlrev_b32_e32 v1, 1, v0
	v_add_u32_e32 v6, v8, v10
	s_cbranch_scc1 .LBB1864_3
; %bb.2:
	v_mov_b32_e32 v2, s12
	v_add_co_u32_e32 v7, vcc, s11, v1
	v_addc_co_u32_e32 v9, vcc, 0, v2, vcc
	v_subrev_u32_e32 v2, s15, v0
	v_lshlrev_b64 v[4:5], 1, v[2:3]
	v_mov_b32_e32 v2, s9
	v_add_co_u32_e32 v4, vcc, s8, v4
	v_addc_co_u32_e32 v2, vcc, v2, v5, vcc
	v_cmp_gt_u32_e32 vcc, s15, v0
	v_cndmask_b32_e32 v5, v2, v9, vcc
	v_cndmask_b32_e32 v4, v4, v7, vcc
	v_mov_b32_e32 v9, v3
	global_load_ushort v11, v[4:5], off
	v_lshlrev_b64 v[4:5], 1, v[8:9]
	v_mov_b32_e32 v2, s12
	v_add_co_u32_e32 v7, vcc, s11, v4
	v_addc_co_u32_e32 v9, vcc, v2, v5, vcc
	v_subrev_u32_e32 v2, s15, v8
	v_lshlrev_b64 v[4:5], 1, v[2:3]
	v_mov_b32_e32 v2, s9
	v_add_co_u32_e32 v4, vcc, s8, v4
	v_addc_co_u32_e32 v2, vcc, v2, v5, vcc
	v_cmp_gt_u32_e32 vcc, s15, v8
	v_cndmask_b32_e32 v5, v2, v9, vcc
	v_cndmask_b32_e32 v4, v4, v7, vcc
	v_mov_b32_e32 v7, v3
	global_load_ushort v9, v[4:5], off
	v_lshlrev_b64 v[4:5], 1, v[6:7]
	v_mov_b32_e32 v2, s12
	v_add_co_u32_e32 v7, vcc, s11, v4
	v_addc_co_u32_e32 v12, vcc, v2, v5, vcc
	v_subrev_u32_e32 v2, s15, v6
	v_lshlrev_b64 v[4:5], 1, v[2:3]
	v_mov_b32_e32 v2, s9
	v_add_co_u32_e32 v4, vcc, s8, v4
	v_addc_co_u32_e32 v2, vcc, v2, v5, vcc
	v_cmp_gt_u32_e32 vcc, s15, v6
	v_cndmask_b32_e32 v5, v2, v12, vcc
	v_cndmask_b32_e32 v4, v4, v7, vcc
	v_add_u32_e32 v2, v6, v10
	global_load_ushort v7, v[4:5], off
	v_lshlrev_b64 v[4:5], 1, v[2:3]
	v_mov_b32_e32 v12, s12
	v_add_co_u32_e32 v13, vcc, s11, v4
	v_addc_co_u32_e32 v12, vcc, v12, v5, vcc
	v_subrev_u32_e32 v4, s15, v2
	v_mov_b32_e32 v5, v3
	v_lshlrev_b64 v[4:5], 1, v[4:5]
	v_mov_b32_e32 v14, s9
	v_add_co_u32_e32 v4, vcc, s8, v4
	v_addc_co_u32_e32 v5, vcc, v14, v5, vcc
	v_cmp_gt_u32_e32 vcc, s15, v2
	v_cndmask_b32_e32 v5, v5, v12, vcc
	v_cndmask_b32_e32 v4, v4, v13, vcc
	v_add_u32_e32 v2, v2, v10
	global_load_ushort v12, v[4:5], off
	v_lshlrev_b64 v[4:5], 1, v[2:3]
	v_mov_b32_e32 v13, s12
	v_add_co_u32_e32 v14, vcc, s11, v4
	v_addc_co_u32_e32 v13, vcc, v13, v5, vcc
	v_subrev_u32_e32 v4, s15, v2
	v_mov_b32_e32 v5, v3
	;; [unrolled: 15-line block ×4, first 2 shown]
	v_lshlrev_b64 v[4:5], 1, v[4:5]
	v_mov_b32_e32 v17, s9
	v_add_co_u32_e32 v4, vcc, s8, v4
	v_addc_co_u32_e32 v5, vcc, v17, v5, vcc
	v_cmp_gt_u32_e32 vcc, s15, v2
	v_cndmask_b32_e32 v5, v5, v15, vcc
	v_cndmask_b32_e32 v4, v4, v16, vcc
	v_add_u32_e32 v2, v2, v10
	global_load_ushort v15, v[4:5], off
	v_lshlrev_b64 v[4:5], 1, v[2:3]
	v_mov_b32_e32 v16, s12
	v_add_co_u32_e32 v4, vcc, s11, v4
	v_addc_co_u32_e32 v5, vcc, v16, v5, vcc
	v_cmp_gt_u32_e32 vcc, s15, v2
	v_subrev_u32_e32 v2, s15, v2
	v_lshlrev_b64 v[2:3], 1, v[2:3]
	v_mov_b32_e32 v16, s9
	v_add_co_u32_e64 v2, s[0:1], s8, v2
	v_addc_co_u32_e64 v3, s[0:1], v16, v3, s[0:1]
	v_cndmask_b32_e32 v3, v3, v5, vcc
	v_cndmask_b32_e32 v2, v2, v4, vcc
	global_load_ushort v5, v[2:3], off
	s_mov_b32 s0, 0x5040100
	s_waitcnt vmcnt(6)
	v_perm_b32 v2, v9, v11, s0
	s_add_i32 s17, s7, s15
	s_waitcnt vmcnt(4)
	v_perm_b32 v3, v12, v7, s0
	s_waitcnt vmcnt(2)
	v_perm_b32 v4, v14, v13, s0
	;; [unrolled: 2-line block ×3, first 2 shown]
	s_load_dwordx2 s[20:21], s[4:5], 0x10
	s_cbranch_execz .LBB1864_4
	s_branch .LBB1864_19
.LBB1864_3:
                                        ; implicit-def: $vgpr2_vgpr3_vgpr4_vgpr5
                                        ; implicit-def: $sgpr17
	s_load_dwordx2 s[20:21], s[4:5], 0x10
.LBB1864_4:
	s_add_i32 s17, s7, s15
	v_cmp_gt_u32_e32 vcc, s17, v0
                                        ; implicit-def: $vgpr2_vgpr3_vgpr4_vgpr5
	s_and_saveexec_b64 s[0:1], vcc
	s_cbranch_execnz .LBB1864_44
; %bb.5:
	s_or_b64 exec, exec, s[0:1]
	v_cmp_gt_u32_e32 vcc, s17, v8
	s_and_saveexec_b64 s[2:3], vcc
	s_cbranch_execnz .LBB1864_45
.LBB1864_6:
	s_or_b64 exec, exec, s[2:3]
	v_cmp_gt_u32_e32 vcc, s17, v6
	s_and_saveexec_b64 s[0:1], vcc
	s_cbranch_execz .LBB1864_8
.LBB1864_7:
	v_mov_b32_e32 v7, 0
	v_lshlrev_b64 v[8:9], 1, v[6:7]
	v_mov_b32_e32 v11, s12
	v_add_co_u32_e32 v12, vcc, s11, v8
	v_addc_co_u32_e32 v11, vcc, v11, v9, vcc
	v_subrev_u32_e32 v8, s15, v6
	v_mov_b32_e32 v9, v7
	v_lshlrev_b64 v[8:9], 1, v[8:9]
	v_mov_b32_e32 v7, s9
	v_add_co_u32_e32 v8, vcc, s8, v8
	v_addc_co_u32_e32 v7, vcc, v7, v9, vcc
	v_cmp_gt_u32_e32 vcc, s15, v6
	v_cndmask_b32_e32 v9, v7, v11, vcc
	v_cndmask_b32_e32 v8, v8, v12, vcc
	global_load_ushort v7, v[8:9], off
	s_mov_b32 s2, 0xffff
	s_waitcnt vmcnt(0)
	v_bfi_b32 v3, s2, v7, v3
.LBB1864_8:
	s_or_b64 exec, exec, s[0:1]
	v_add_u32_e32 v6, v6, v10
	v_cmp_gt_u32_e32 vcc, s17, v6
	s_and_saveexec_b64 s[0:1], vcc
	s_cbranch_execz .LBB1864_10
; %bb.9:
	v_mov_b32_e32 v7, 0
	v_lshlrev_b64 v[8:9], 1, v[6:7]
	v_mov_b32_e32 v11, s12
	v_add_co_u32_e32 v12, vcc, s11, v8
	v_addc_co_u32_e32 v11, vcc, v11, v9, vcc
	v_subrev_u32_e32 v8, s15, v6
	v_mov_b32_e32 v9, v7
	v_lshlrev_b64 v[8:9], 1, v[8:9]
	v_mov_b32_e32 v7, s9
	v_add_co_u32_e32 v8, vcc, s8, v8
	v_addc_co_u32_e32 v7, vcc, v7, v9, vcc
	v_cmp_gt_u32_e32 vcc, s15, v6
	v_cndmask_b32_e32 v9, v7, v11, vcc
	v_cndmask_b32_e32 v8, v8, v12, vcc
	global_load_ushort v7, v[8:9], off
	s_mov_b32 s2, 0x5040100
	s_waitcnt vmcnt(0)
	v_perm_b32 v3, v7, v3, s2
.LBB1864_10:
	s_or_b64 exec, exec, s[0:1]
	v_add_u32_e32 v6, v6, v10
	v_cmp_gt_u32_e32 vcc, s17, v6
	s_and_saveexec_b64 s[0:1], vcc
	s_cbranch_execz .LBB1864_12
; %bb.11:
	v_mov_b32_e32 v7, 0
	v_lshlrev_b64 v[8:9], 1, v[6:7]
	v_mov_b32_e32 v11, s12
	v_add_co_u32_e32 v12, vcc, s11, v8
	v_addc_co_u32_e32 v11, vcc, v11, v9, vcc
	v_subrev_u32_e32 v8, s15, v6
	v_mov_b32_e32 v9, v7
	v_lshlrev_b64 v[8:9], 1, v[8:9]
	v_mov_b32_e32 v7, s9
	v_add_co_u32_e32 v8, vcc, s8, v8
	v_addc_co_u32_e32 v7, vcc, v7, v9, vcc
	v_cmp_gt_u32_e32 vcc, s15, v6
	v_cndmask_b32_e32 v9, v7, v11, vcc
	v_cndmask_b32_e32 v8, v8, v12, vcc
	global_load_ushort v7, v[8:9], off
	s_mov_b32 s2, 0xffff
	s_waitcnt vmcnt(0)
	v_bfi_b32 v4, s2, v7, v4
.LBB1864_12:
	s_or_b64 exec, exec, s[0:1]
	v_add_u32_e32 v6, v6, v10
	v_cmp_gt_u32_e32 vcc, s17, v6
	s_and_saveexec_b64 s[0:1], vcc
	s_cbranch_execz .LBB1864_14
; %bb.13:
	v_mov_b32_e32 v7, 0
	v_lshlrev_b64 v[8:9], 1, v[6:7]
	v_mov_b32_e32 v11, s12
	v_add_co_u32_e32 v12, vcc, s11, v8
	v_addc_co_u32_e32 v11, vcc, v11, v9, vcc
	v_subrev_u32_e32 v8, s15, v6
	v_mov_b32_e32 v9, v7
	v_lshlrev_b64 v[8:9], 1, v[8:9]
	v_mov_b32_e32 v7, s9
	v_add_co_u32_e32 v8, vcc, s8, v8
	v_addc_co_u32_e32 v7, vcc, v7, v9, vcc
	v_cmp_gt_u32_e32 vcc, s15, v6
	v_cndmask_b32_e32 v9, v7, v11, vcc
	v_cndmask_b32_e32 v8, v8, v12, vcc
	global_load_ushort v7, v[8:9], off
	s_mov_b32 s2, 0x5040100
	s_waitcnt vmcnt(0)
	v_perm_b32 v4, v7, v4, s2
.LBB1864_14:
	s_or_b64 exec, exec, s[0:1]
	v_add_u32_e32 v6, v6, v10
	v_cmp_gt_u32_e32 vcc, s17, v6
	s_and_saveexec_b64 s[0:1], vcc
	s_cbranch_execz .LBB1864_16
; %bb.15:
	v_mov_b32_e32 v7, 0
	v_lshlrev_b64 v[8:9], 1, v[6:7]
	v_mov_b32_e32 v11, s12
	v_add_co_u32_e32 v12, vcc, s11, v8
	v_addc_co_u32_e32 v11, vcc, v11, v9, vcc
	v_subrev_u32_e32 v8, s15, v6
	v_mov_b32_e32 v9, v7
	v_lshlrev_b64 v[8:9], 1, v[8:9]
	v_mov_b32_e32 v7, s9
	v_add_co_u32_e32 v8, vcc, s8, v8
	v_addc_co_u32_e32 v7, vcc, v7, v9, vcc
	v_cmp_gt_u32_e32 vcc, s15, v6
	v_cndmask_b32_e32 v9, v7, v11, vcc
	v_cndmask_b32_e32 v8, v8, v12, vcc
	global_load_ushort v7, v[8:9], off
	s_mov_b32 s2, 0xffff
	s_waitcnt vmcnt(0)
	v_bfi_b32 v5, s2, v7, v5
.LBB1864_16:
	s_or_b64 exec, exec, s[0:1]
	v_add_u32_e32 v6, v6, v10
	v_cmp_gt_u32_e32 vcc, s17, v6
	s_and_saveexec_b64 s[2:3], vcc
	s_cbranch_execz .LBB1864_18
; %bb.17:
	v_mov_b32_e32 v7, 0
	v_lshlrev_b64 v[8:9], 1, v[6:7]
	v_mov_b32_e32 v10, s12
	v_add_co_u32_e32 v8, vcc, s11, v8
	v_addc_co_u32_e32 v9, vcc, v10, v9, vcc
	v_cmp_gt_u32_e32 vcc, s15, v6
	v_subrev_u32_e32 v6, s15, v6
	v_lshlrev_b64 v[6:7], 1, v[6:7]
	v_mov_b32_e32 v10, s9
	v_add_co_u32_e64 v6, s[0:1], s8, v6
	v_addc_co_u32_e64 v7, s[0:1], v10, v7, s[0:1]
	v_cndmask_b32_e32 v7, v7, v9, vcc
	v_cndmask_b32_e32 v6, v6, v8, vcc
	global_load_ushort v6, v[6:7], off
	s_mov_b32 s0, 0x5040100
	s_waitcnt vmcnt(0)
	v_perm_b32 v5, v6, v5, s0
.LBB1864_18:
	s_or_b64 exec, exec, s[2:3]
.LBB1864_19:
	v_lshlrev_b32_e32 v6, 3, v0
	v_min_u32_e32 v12, s17, v6
	v_sub_u32_e64 v11, v12, s7 clamp
	v_min_u32_e32 v13, s15, v12
	s_waitcnt vmcnt(0)
	v_lshrrev_b32_e32 v7, 16, v2
	v_lshrrev_b32_e32 v8, 16, v3
	;; [unrolled: 1-line block ×4, first 2 shown]
	v_cmp_lt_u32_e32 vcc, v11, v13
	ds_write_b16 v1, v2
	ds_write_b16 v1, v7 offset:256
	ds_write_b16 v1, v3 offset:512
	;; [unrolled: 1-line block ×7, first 2 shown]
	s_waitcnt lgkmcnt(0)
	s_barrier
	s_and_saveexec_b64 s[0:1], vcc
	s_cbranch_execz .LBB1864_23
; %bb.20:
	v_lshlrev_b32_e32 v14, 1, v12
	v_lshl_add_u32 v14, s15, 1, v14
	s_mov_b64 s[2:3], 0
.LBB1864_21:                            ; =>This Inner Loop Header: Depth=1
	v_add_u32_e32 v15, v13, v11
	v_lshrrev_b32_e32 v16, 1, v15
	v_not_b32_e32 v17, v16
	v_and_b32_e32 v15, -2, v15
	v_lshl_add_u32 v17, v17, 1, v14
	ds_read_u16 v15, v15
	ds_read_u16 v17, v17
	v_add_u32_e32 v18, 1, v16
	s_waitcnt lgkmcnt(0)
	v_cmp_gt_u16_e32 vcc, v17, v15
	v_cndmask_b32_e32 v13, v13, v16, vcc
	v_cndmask_b32_e32 v11, v18, v11, vcc
	v_cmp_ge_u32_e32 vcc, v11, v13
	s_or_b64 s[2:3], vcc, s[2:3]
	s_andn2_b64 exec, exec, s[2:3]
	s_cbranch_execnz .LBB1864_21
; %bb.22:
	s_or_b64 exec, exec, s[2:3]
.LBB1864_23:
	s_or_b64 exec, exec, s[0:1]
	v_sub_u32_e32 v12, v12, v11
	v_add_u32_e32 v12, s15, v12
	v_cmp_ge_u32_e32 vcc, s15, v11
	v_cmp_ge_u32_e64 s[0:1], s17, v12
	s_or_b64 s[0:1], vcc, s[0:1]
	s_and_saveexec_b64 s[22:23], s[0:1]
	s_cbranch_execz .LBB1864_29
; %bb.24:
	v_cmp_gt_u32_e32 vcc, s15, v11
                                        ; implicit-def: $vgpr2
	s_and_saveexec_b64 s[0:1], vcc
	s_cbranch_execz .LBB1864_26
; %bb.25:
	v_lshlrev_b32_e32 v2, 1, v11
	ds_read_u16 v2, v2
.LBB1864_26:
	s_or_b64 exec, exec, s[0:1]
	v_cmp_le_u32_e64 s[0:1], s17, v12
	v_cmp_gt_u32_e64 s[2:3], s17, v12
                                        ; implicit-def: $vgpr3
	s_and_saveexec_b64 s[4:5], s[2:3]
	s_cbranch_execz .LBB1864_28
; %bb.27:
	v_lshlrev_b32_e32 v3, 1, v12
	ds_read_u16 v3, v3
.LBB1864_28:
	s_or_b64 exec, exec, s[4:5]
	s_waitcnt lgkmcnt(0)
	v_cmp_le_u16_e64 s[2:3], v3, v2
	s_and_b64 s[2:3], vcc, s[2:3]
	s_or_b64 vcc, s[0:1], s[2:3]
	v_mov_b32_e32 v5, s17
	v_mov_b32_e32 v8, s15
	v_cndmask_b32_e32 v4, v12, v11, vcc
	v_cndmask_b32_e32 v7, v5, v8, vcc
	v_add_u32_e32 v4, 1, v4
	v_add_u32_e32 v7, -1, v7
	v_min_u32_e32 v7, v4, v7
	v_lshlrev_b32_e32 v7, 1, v7
	ds_read_u16 v7, v7
	v_cndmask_b32_e32 v10, v4, v12, vcc
	v_cndmask_b32_e32 v4, v11, v4, vcc
	v_cmp_gt_u32_e64 s[2:3], s15, v4
	v_cmp_le_u32_e64 s[0:1], s17, v10
	s_waitcnt lgkmcnt(0)
	v_cndmask_b32_e32 v9, v7, v3, vcc
	v_cndmask_b32_e32 v7, v2, v7, vcc
	v_cmp_le_u16_e64 s[4:5], v9, v7
	s_and_b64 s[2:3], s[2:3], s[4:5]
	s_or_b64 s[0:1], s[0:1], s[2:3]
	v_cndmask_b32_e64 v11, v10, v4, s[0:1]
	v_cndmask_b32_e64 v12, v5, v8, s[0:1]
	v_add_u32_e32 v11, 1, v11
	v_add_u32_e32 v12, -1, v12
	v_min_u32_e32 v12, v11, v12
	v_lshlrev_b32_e32 v12, 1, v12
	ds_read_u16 v12, v12
	v_cndmask_b32_e64 v4, v4, v11, s[0:1]
	v_cndmask_b32_e64 v10, v11, v10, s[0:1]
	v_cmp_gt_u32_e64 s[4:5], s15, v4
	v_cmp_le_u32_e64 s[2:3], s17, v10
	s_waitcnt lgkmcnt(0)
	v_cndmask_b32_e64 v13, v12, v9, s[0:1]
	v_cndmask_b32_e64 v12, v7, v12, s[0:1]
	v_cmp_le_u16_e64 s[6:7], v13, v12
	s_and_b64 s[4:5], s[4:5], s[6:7]
	s_or_b64 s[2:3], s[2:3], s[4:5]
	v_cndmask_b32_e64 v11, v10, v4, s[2:3]
	v_cndmask_b32_e64 v14, v5, v8, s[2:3]
	v_add_u32_e32 v11, 1, v11
	v_add_u32_e32 v14, -1, v14
	v_min_u32_e32 v14, v11, v14
	v_lshlrev_b32_e32 v14, 1, v14
	ds_read_u16 v14, v14
	v_cndmask_b32_e64 v4, v4, v11, s[2:3]
	v_cndmask_b32_e64 v10, v11, v10, s[2:3]
	v_cmp_gt_u32_e64 s[6:7], s15, v4
	v_cmp_le_u32_e64 s[4:5], s17, v10
	s_waitcnt lgkmcnt(0)
	v_cndmask_b32_e64 v15, v14, v13, s[2:3]
	v_cndmask_b32_e64 v14, v12, v14, s[2:3]
	;; [unrolled: 17-line block ×4, first 2 shown]
	v_cmp_le_u16_e64 s[12:13], v19, v18
	s_and_b64 s[10:11], s[10:11], s[12:13]
	s_or_b64 s[8:9], s[8:9], s[10:11]
	v_cndmask_b32_e64 v11, v10, v4, s[8:9]
	v_cndmask_b32_e64 v20, v5, v8, s[8:9]
	v_add_u32_e32 v11, 1, v11
	v_add_u32_e32 v20, -1, v20
	v_min_u32_e32 v20, v11, v20
	v_lshlrev_b32_e32 v20, 1, v20
	ds_read_u16 v20, v20
	v_cndmask_b32_e32 v2, v3, v2, vcc
	v_cndmask_b32_e64 v3, v13, v12, s[2:3]
	v_cndmask_b32_e64 v10, v11, v10, s[8:9]
	;; [unrolled: 1-line block ×3, first 2 shown]
	s_waitcnt lgkmcnt(0)
	v_cndmask_b32_e64 v12, v20, v19, s[8:9]
	v_cndmask_b32_e64 v13, v18, v20, s[8:9]
	;; [unrolled: 1-line block ×3, first 2 shown]
	v_cmp_gt_u32_e64 s[0:1], s15, v11
	v_cmp_le_u16_e64 s[2:3], v12, v13
	v_cmp_le_u32_e32 vcc, s17, v10
	s_and_b64 s[0:1], s[0:1], s[2:3]
	s_or_b64 vcc, vcc, s[0:1]
	v_cndmask_b32_e32 v4, v10, v11, vcc
	v_cndmask_b32_e32 v5, v5, v8, vcc
	v_add_u32_e32 v20, 1, v4
	v_add_u32_e32 v4, -1, v5
	v_min_u32_e32 v4, v20, v4
	v_lshlrev_b32_e32 v4, 1, v4
	ds_read_u16 v21, v4
	v_cndmask_b32_e32 v5, v12, v13, vcc
	v_cndmask_b32_e32 v11, v11, v20, vcc
	;; [unrolled: 1-line block ×3, first 2 shown]
	v_cmp_gt_u32_e64 s[0:1], s15, v11
	s_waitcnt lgkmcnt(0)
	v_cndmask_b32_e32 v12, v21, v12, vcc
	v_cndmask_b32_e32 v13, v13, v21, vcc
	v_cmp_le_u16_e64 s[2:3], v12, v13
	v_cmp_le_u32_e32 vcc, s17, v10
	s_and_b64 s[0:1], s[0:1], s[2:3]
	s_or_b64 vcc, vcc, s[0:1]
	v_cndmask_b32_e64 v8, v15, v14, s[4:5]
	v_cndmask_b32_e64 v4, v17, v16, s[6:7]
	;; [unrolled: 1-line block ×3, first 2 shown]
	v_cndmask_b32_e32 v10, v12, v13, vcc
.LBB1864_29:
	s_or_b64 exec, exec, s[22:23]
	v_lshrrev_b32_e32 v11, 2, v0
	v_and_b32_e32 v11, 30, v11
	s_mov_b32 s2, 0x5040100
	v_add_lshl_u32 v6, v11, v6, 1
	v_perm_b32 v3, v8, v3, s2
	v_perm_b32 v2, v7, v2, s2
	s_barrier
	s_barrier
	ds_write2_b32 v6, v2, v3 offset1:1
	v_perm_b32 v2, v10, v5, s2
	v_perm_b32 v3, v9, v4, s2
	ds_write2_b32 v6, v3, v2 offset0:2 offset1:3
	v_lshrrev_b32_e32 v2, 4, v0
	v_and_b32_e32 v2, 4, v2
	v_or_b32_e32 v10, 0x80, v0
	v_add_u32_e32 v11, v1, v2
	v_lshrrev_b32_e32 v2, 4, v10
	v_and_b32_e32 v2, 12, v2
	v_or_b32_e32 v9, 0x100, v0
	v_add_u32_e32 v12, v1, v2
	;; [unrolled: 4-line block ×5, first 2 shown]
	v_lshrrev_b32_e32 v2, 4, v6
	v_and_b32_e32 v2, 44, v2
	v_or_b32_e32 v5, 0x300, v0
	s_mov_b32 s17, 0
	v_add_u32_e32 v16, v1, v2
	v_lshrrev_b32_e32 v2, 4, v5
	s_lshl_b64 s[0:1], s[16:17], 1
	v_and_b32_e32 v2, 52, v2
	v_or_b32_e32 v4, 0x380, v0
	s_add_u32 s0, s20, s0
	v_add_u32_e32 v17, v1, v2
	v_lshrrev_b32_e32 v2, 4, v4
	s_addc_u32 s1, s21, s1
	v_and_b32_e32 v2, 60, v2
	v_add_u32_e32 v18, v1, v2
	v_mov_b32_e32 v3, s1
	v_add_co_u32_e32 v2, vcc, s0, v1
	v_addc_co_u32_e32 v3, vcc, 0, v3, vcc
	s_and_b64 vcc, exec, s[18:19]
	s_waitcnt lgkmcnt(0)
	s_cbranch_vccz .LBB1864_31
; %bb.30:
	s_barrier
	ds_read_u16 v19, v11
	ds_read_u16 v20, v12 offset:256
	ds_read_u16 v21, v13 offset:512
	;; [unrolled: 1-line block ×7, first 2 shown]
	s_waitcnt lgkmcnt(7)
	global_store_short v[2:3], v19, off
	s_waitcnt lgkmcnt(6)
	global_store_short v[2:3], v20, off offset:256
	s_waitcnt lgkmcnt(5)
	global_store_short v[2:3], v21, off offset:512
	;; [unrolled: 2-line block ×6, first 2 shown]
	s_mov_b64 s[0:1], -1
	s_cbranch_execz .LBB1864_32
	s_branch .LBB1864_41
.LBB1864_31:
	s_mov_b64 s[0:1], 0
                                        ; implicit-def: $vgpr1
.LBB1864_32:
	s_barrier
	s_waitcnt lgkmcnt(0)
	ds_read_u16 v21, v12 offset:256
	ds_read_u16 v20, v13 offset:512
	;; [unrolled: 1-line block ×7, first 2 shown]
	s_sub_i32 s2, s14, s16
	v_cmp_gt_u32_e32 vcc, s2, v0
	s_and_saveexec_b64 s[0:1], vcc
	s_cbranch_execnz .LBB1864_46
; %bb.33:
	s_or_b64 exec, exec, s[0:1]
	v_cmp_gt_u32_e32 vcc, s2, v10
	s_and_saveexec_b64 s[0:1], vcc
	s_cbranch_execnz .LBB1864_47
.LBB1864_34:
	s_or_b64 exec, exec, s[0:1]
	v_cmp_gt_u32_e32 vcc, s2, v9
	s_and_saveexec_b64 s[0:1], vcc
	s_cbranch_execnz .LBB1864_48
.LBB1864_35:
	s_or_b64 exec, exec, s[0:1]
	v_cmp_gt_u32_e32 vcc, s2, v8
	s_and_saveexec_b64 s[0:1], vcc
	s_cbranch_execnz .LBB1864_49
.LBB1864_36:
	s_or_b64 exec, exec, s[0:1]
	v_cmp_gt_u32_e32 vcc, s2, v7
	s_and_saveexec_b64 s[0:1], vcc
	s_cbranch_execnz .LBB1864_50
.LBB1864_37:
	s_or_b64 exec, exec, s[0:1]
	v_cmp_gt_u32_e32 vcc, s2, v6
	s_and_saveexec_b64 s[0:1], vcc
	s_cbranch_execnz .LBB1864_51
.LBB1864_38:
	s_or_b64 exec, exec, s[0:1]
	v_cmp_gt_u32_e32 vcc, s2, v5
	s_and_saveexec_b64 s[0:1], vcc
	s_cbranch_execz .LBB1864_40
.LBB1864_39:
	s_waitcnt lgkmcnt(1)
	global_store_short v[2:3], v12, off offset:1536
.LBB1864_40:
	s_or_b64 exec, exec, s[0:1]
	v_cmp_gt_u32_e64 s[0:1], s2, v4
.LBB1864_41:
	s_and_saveexec_b64 s[2:3], s[0:1]
	s_cbranch_execz .LBB1864_43
; %bb.42:
	s_waitcnt lgkmcnt(0)
	global_store_short v[2:3], v1, off offset:1792
.LBB1864_43:
	s_endpgm
.LBB1864_44:
	v_mov_b32_e32 v2, s12
	v_add_co_u32_e32 v4, vcc, s11, v1
	v_mov_b32_e32 v3, 0
	v_addc_co_u32_e32 v5, vcc, 0, v2, vcc
	v_subrev_u32_e32 v2, s15, v0
	v_lshlrev_b64 v[2:3], 1, v[2:3]
	v_mov_b32_e32 v7, s9
	v_add_co_u32_e32 v2, vcc, s8, v2
	v_addc_co_u32_e32 v3, vcc, v7, v3, vcc
	v_cmp_gt_u32_e32 vcc, s15, v0
	v_cndmask_b32_e32 v3, v3, v5, vcc
	v_cndmask_b32_e32 v2, v2, v4, vcc
	global_load_ushort v2, v[2:3], off
	s_or_b64 exec, exec, s[0:1]
	v_cmp_gt_u32_e32 vcc, s17, v8
	s_and_saveexec_b64 s[2:3], vcc
	s_cbranch_execz .LBB1864_6
.LBB1864_45:
	v_mov_b32_e32 v9, 0
	v_lshlrev_b64 v[12:13], 1, v[8:9]
	v_mov_b32_e32 v7, s12
	v_add_co_u32_e32 v11, vcc, s11, v12
	v_addc_co_u32_e32 v7, vcc, v7, v13, vcc
	v_cmp_gt_u32_e32 vcc, s15, v8
	v_subrev_u32_e32 v8, s15, v8
	v_lshlrev_b64 v[8:9], 1, v[8:9]
	v_mov_b32_e32 v12, s9
	v_add_co_u32_e64 v8, s[0:1], s8, v8
	v_addc_co_u32_e64 v9, s[0:1], v12, v9, s[0:1]
	v_cndmask_b32_e32 v9, v9, v7, vcc
	v_cndmask_b32_e32 v8, v8, v11, vcc
	global_load_ushort v7, v[8:9], off
	s_mov_b32 s0, 0x5040100
	s_waitcnt vmcnt(0)
	v_perm_b32 v2, v7, v2, s0
	s_or_b64 exec, exec, s[2:3]
	v_cmp_gt_u32_e32 vcc, s17, v6
	s_and_saveexec_b64 s[0:1], vcc
	s_cbranch_execnz .LBB1864_7
	s_branch .LBB1864_8
.LBB1864_46:
	ds_read_u16 v0, v11
	s_waitcnt lgkmcnt(0)
	global_store_short v[2:3], v0, off
	s_or_b64 exec, exec, s[0:1]
	v_cmp_gt_u32_e32 vcc, s2, v10
	s_and_saveexec_b64 s[0:1], vcc
	s_cbranch_execz .LBB1864_34
.LBB1864_47:
	s_waitcnt lgkmcnt(6)
	global_store_short v[2:3], v21, off offset:256
	s_or_b64 exec, exec, s[0:1]
	v_cmp_gt_u32_e32 vcc, s2, v9
	s_and_saveexec_b64 s[0:1], vcc
	s_cbranch_execz .LBB1864_35
.LBB1864_48:
	s_waitcnt lgkmcnt(5)
	global_store_short v[2:3], v20, off offset:512
	s_or_b64 exec, exec, s[0:1]
	v_cmp_gt_u32_e32 vcc, s2, v8
	s_and_saveexec_b64 s[0:1], vcc
	s_cbranch_execz .LBB1864_36
.LBB1864_49:
	s_waitcnt lgkmcnt(4)
	global_store_short v[2:3], v19, off offset:768
	s_or_b64 exec, exec, s[0:1]
	v_cmp_gt_u32_e32 vcc, s2, v7
	s_and_saveexec_b64 s[0:1], vcc
	s_cbranch_execz .LBB1864_37
.LBB1864_50:
	s_waitcnt lgkmcnt(3)
	global_store_short v[2:3], v14, off offset:1024
	s_or_b64 exec, exec, s[0:1]
	v_cmp_gt_u32_e32 vcc, s2, v6
	s_and_saveexec_b64 s[0:1], vcc
	s_cbranch_execz .LBB1864_38
.LBB1864_51:
	s_waitcnt lgkmcnt(2)
	global_store_short v[2:3], v13, off offset:1280
	s_or_b64 exec, exec, s[0:1]
	v_cmp_gt_u32_e32 vcc, s2, v5
	s_and_saveexec_b64 s[0:1], vcc
	s_cbranch_execnz .LBB1864_39
	s_branch .LBB1864_40
	.section	.rodata,"a",@progbits
	.p2align	6, 0x0
	.amdhsa_kernel _ZN7rocprim17ROCPRIM_400000_NS6detail17trampoline_kernelINS0_14default_configENS1_38merge_sort_block_merge_config_selectorItNS0_10empty_typeEEEZZNS1_27merge_sort_block_merge_implIS3_PtPS5_jNS1_19radix_merge_compareILb1ELb0EtNS0_19identity_decomposerEEEEE10hipError_tT0_T1_T2_jT3_P12ihipStream_tbPNSt15iterator_traitsISE_E10value_typeEPNSK_ISF_E10value_typeEPSG_NS1_7vsmem_tEENKUlT_SE_SF_SG_E_clIS8_S8_S9_S9_EESD_ST_SE_SF_SG_EUlST_E0_NS1_11comp_targetILNS1_3genE4ELNS1_11target_archE910ELNS1_3gpuE8ELNS1_3repE0EEENS1_38merge_mergepath_config_static_selectorELNS0_4arch9wavefront6targetE1EEEvSF_
		.amdhsa_group_segment_fixed_size 2112
		.amdhsa_private_segment_fixed_size 0
		.amdhsa_kernarg_size 320
		.amdhsa_user_sgpr_count 6
		.amdhsa_user_sgpr_private_segment_buffer 1
		.amdhsa_user_sgpr_dispatch_ptr 0
		.amdhsa_user_sgpr_queue_ptr 0
		.amdhsa_user_sgpr_kernarg_segment_ptr 1
		.amdhsa_user_sgpr_dispatch_id 0
		.amdhsa_user_sgpr_flat_scratch_init 0
		.amdhsa_user_sgpr_kernarg_preload_length 0
		.amdhsa_user_sgpr_kernarg_preload_offset 0
		.amdhsa_user_sgpr_private_segment_size 0
		.amdhsa_uses_dynamic_stack 0
		.amdhsa_system_sgpr_private_segment_wavefront_offset 0
		.amdhsa_system_sgpr_workgroup_id_x 1
		.amdhsa_system_sgpr_workgroup_id_y 1
		.amdhsa_system_sgpr_workgroup_id_z 1
		.amdhsa_system_sgpr_workgroup_info 0
		.amdhsa_system_vgpr_workitem_id 0
		.amdhsa_next_free_vgpr 26
		.amdhsa_next_free_sgpr 24
		.amdhsa_accum_offset 28
		.amdhsa_reserve_vcc 1
		.amdhsa_reserve_flat_scratch 0
		.amdhsa_float_round_mode_32 0
		.amdhsa_float_round_mode_16_64 0
		.amdhsa_float_denorm_mode_32 3
		.amdhsa_float_denorm_mode_16_64 3
		.amdhsa_dx10_clamp 1
		.amdhsa_ieee_mode 1
		.amdhsa_fp16_overflow 0
		.amdhsa_tg_split 0
		.amdhsa_exception_fp_ieee_invalid_op 0
		.amdhsa_exception_fp_denorm_src 0
		.amdhsa_exception_fp_ieee_div_zero 0
		.amdhsa_exception_fp_ieee_overflow 0
		.amdhsa_exception_fp_ieee_underflow 0
		.amdhsa_exception_fp_ieee_inexact 0
		.amdhsa_exception_int_div_zero 0
	.end_amdhsa_kernel
	.section	.text._ZN7rocprim17ROCPRIM_400000_NS6detail17trampoline_kernelINS0_14default_configENS1_38merge_sort_block_merge_config_selectorItNS0_10empty_typeEEEZZNS1_27merge_sort_block_merge_implIS3_PtPS5_jNS1_19radix_merge_compareILb1ELb0EtNS0_19identity_decomposerEEEEE10hipError_tT0_T1_T2_jT3_P12ihipStream_tbPNSt15iterator_traitsISE_E10value_typeEPNSK_ISF_E10value_typeEPSG_NS1_7vsmem_tEENKUlT_SE_SF_SG_E_clIS8_S8_S9_S9_EESD_ST_SE_SF_SG_EUlST_E0_NS1_11comp_targetILNS1_3genE4ELNS1_11target_archE910ELNS1_3gpuE8ELNS1_3repE0EEENS1_38merge_mergepath_config_static_selectorELNS0_4arch9wavefront6targetE1EEEvSF_,"axG",@progbits,_ZN7rocprim17ROCPRIM_400000_NS6detail17trampoline_kernelINS0_14default_configENS1_38merge_sort_block_merge_config_selectorItNS0_10empty_typeEEEZZNS1_27merge_sort_block_merge_implIS3_PtPS5_jNS1_19radix_merge_compareILb1ELb0EtNS0_19identity_decomposerEEEEE10hipError_tT0_T1_T2_jT3_P12ihipStream_tbPNSt15iterator_traitsISE_E10value_typeEPNSK_ISF_E10value_typeEPSG_NS1_7vsmem_tEENKUlT_SE_SF_SG_E_clIS8_S8_S9_S9_EESD_ST_SE_SF_SG_EUlST_E0_NS1_11comp_targetILNS1_3genE4ELNS1_11target_archE910ELNS1_3gpuE8ELNS1_3repE0EEENS1_38merge_mergepath_config_static_selectorELNS0_4arch9wavefront6targetE1EEEvSF_,comdat
.Lfunc_end1864:
	.size	_ZN7rocprim17ROCPRIM_400000_NS6detail17trampoline_kernelINS0_14default_configENS1_38merge_sort_block_merge_config_selectorItNS0_10empty_typeEEEZZNS1_27merge_sort_block_merge_implIS3_PtPS5_jNS1_19radix_merge_compareILb1ELb0EtNS0_19identity_decomposerEEEEE10hipError_tT0_T1_T2_jT3_P12ihipStream_tbPNSt15iterator_traitsISE_E10value_typeEPNSK_ISF_E10value_typeEPSG_NS1_7vsmem_tEENKUlT_SE_SF_SG_E_clIS8_S8_S9_S9_EESD_ST_SE_SF_SG_EUlST_E0_NS1_11comp_targetILNS1_3genE4ELNS1_11target_archE910ELNS1_3gpuE8ELNS1_3repE0EEENS1_38merge_mergepath_config_static_selectorELNS0_4arch9wavefront6targetE1EEEvSF_, .Lfunc_end1864-_ZN7rocprim17ROCPRIM_400000_NS6detail17trampoline_kernelINS0_14default_configENS1_38merge_sort_block_merge_config_selectorItNS0_10empty_typeEEEZZNS1_27merge_sort_block_merge_implIS3_PtPS5_jNS1_19radix_merge_compareILb1ELb0EtNS0_19identity_decomposerEEEEE10hipError_tT0_T1_T2_jT3_P12ihipStream_tbPNSt15iterator_traitsISE_E10value_typeEPNSK_ISF_E10value_typeEPSG_NS1_7vsmem_tEENKUlT_SE_SF_SG_E_clIS8_S8_S9_S9_EESD_ST_SE_SF_SG_EUlST_E0_NS1_11comp_targetILNS1_3genE4ELNS1_11target_archE910ELNS1_3gpuE8ELNS1_3repE0EEENS1_38merge_mergepath_config_static_selectorELNS0_4arch9wavefront6targetE1EEEvSF_
                                        ; -- End function
	.section	.AMDGPU.csdata,"",@progbits
; Kernel info:
; codeLenInByte = 3836
; NumSgprs: 28
; NumVgprs: 26
; NumAgprs: 0
; TotalNumVgprs: 26
; ScratchSize: 0
; MemoryBound: 0
; FloatMode: 240
; IeeeMode: 1
; LDSByteSize: 2112 bytes/workgroup (compile time only)
; SGPRBlocks: 3
; VGPRBlocks: 3
; NumSGPRsForWavesPerEU: 28
; NumVGPRsForWavesPerEU: 26
; AccumOffset: 28
; Occupancy: 8
; WaveLimiterHint : 1
; COMPUTE_PGM_RSRC2:SCRATCH_EN: 0
; COMPUTE_PGM_RSRC2:USER_SGPR: 6
; COMPUTE_PGM_RSRC2:TRAP_HANDLER: 0
; COMPUTE_PGM_RSRC2:TGID_X_EN: 1
; COMPUTE_PGM_RSRC2:TGID_Y_EN: 1
; COMPUTE_PGM_RSRC2:TGID_Z_EN: 1
; COMPUTE_PGM_RSRC2:TIDIG_COMP_CNT: 0
; COMPUTE_PGM_RSRC3_GFX90A:ACCUM_OFFSET: 6
; COMPUTE_PGM_RSRC3_GFX90A:TG_SPLIT: 0
	.section	.text._ZN7rocprim17ROCPRIM_400000_NS6detail17trampoline_kernelINS0_14default_configENS1_38merge_sort_block_merge_config_selectorItNS0_10empty_typeEEEZZNS1_27merge_sort_block_merge_implIS3_PtPS5_jNS1_19radix_merge_compareILb1ELb0EtNS0_19identity_decomposerEEEEE10hipError_tT0_T1_T2_jT3_P12ihipStream_tbPNSt15iterator_traitsISE_E10value_typeEPNSK_ISF_E10value_typeEPSG_NS1_7vsmem_tEENKUlT_SE_SF_SG_E_clIS8_S8_S9_S9_EESD_ST_SE_SF_SG_EUlST_E0_NS1_11comp_targetILNS1_3genE3ELNS1_11target_archE908ELNS1_3gpuE7ELNS1_3repE0EEENS1_38merge_mergepath_config_static_selectorELNS0_4arch9wavefront6targetE1EEEvSF_,"axG",@progbits,_ZN7rocprim17ROCPRIM_400000_NS6detail17trampoline_kernelINS0_14default_configENS1_38merge_sort_block_merge_config_selectorItNS0_10empty_typeEEEZZNS1_27merge_sort_block_merge_implIS3_PtPS5_jNS1_19radix_merge_compareILb1ELb0EtNS0_19identity_decomposerEEEEE10hipError_tT0_T1_T2_jT3_P12ihipStream_tbPNSt15iterator_traitsISE_E10value_typeEPNSK_ISF_E10value_typeEPSG_NS1_7vsmem_tEENKUlT_SE_SF_SG_E_clIS8_S8_S9_S9_EESD_ST_SE_SF_SG_EUlST_E0_NS1_11comp_targetILNS1_3genE3ELNS1_11target_archE908ELNS1_3gpuE7ELNS1_3repE0EEENS1_38merge_mergepath_config_static_selectorELNS0_4arch9wavefront6targetE1EEEvSF_,comdat
	.protected	_ZN7rocprim17ROCPRIM_400000_NS6detail17trampoline_kernelINS0_14default_configENS1_38merge_sort_block_merge_config_selectorItNS0_10empty_typeEEEZZNS1_27merge_sort_block_merge_implIS3_PtPS5_jNS1_19radix_merge_compareILb1ELb0EtNS0_19identity_decomposerEEEEE10hipError_tT0_T1_T2_jT3_P12ihipStream_tbPNSt15iterator_traitsISE_E10value_typeEPNSK_ISF_E10value_typeEPSG_NS1_7vsmem_tEENKUlT_SE_SF_SG_E_clIS8_S8_S9_S9_EESD_ST_SE_SF_SG_EUlST_E0_NS1_11comp_targetILNS1_3genE3ELNS1_11target_archE908ELNS1_3gpuE7ELNS1_3repE0EEENS1_38merge_mergepath_config_static_selectorELNS0_4arch9wavefront6targetE1EEEvSF_ ; -- Begin function _ZN7rocprim17ROCPRIM_400000_NS6detail17trampoline_kernelINS0_14default_configENS1_38merge_sort_block_merge_config_selectorItNS0_10empty_typeEEEZZNS1_27merge_sort_block_merge_implIS3_PtPS5_jNS1_19radix_merge_compareILb1ELb0EtNS0_19identity_decomposerEEEEE10hipError_tT0_T1_T2_jT3_P12ihipStream_tbPNSt15iterator_traitsISE_E10value_typeEPNSK_ISF_E10value_typeEPSG_NS1_7vsmem_tEENKUlT_SE_SF_SG_E_clIS8_S8_S9_S9_EESD_ST_SE_SF_SG_EUlST_E0_NS1_11comp_targetILNS1_3genE3ELNS1_11target_archE908ELNS1_3gpuE7ELNS1_3repE0EEENS1_38merge_mergepath_config_static_selectorELNS0_4arch9wavefront6targetE1EEEvSF_
	.globl	_ZN7rocprim17ROCPRIM_400000_NS6detail17trampoline_kernelINS0_14default_configENS1_38merge_sort_block_merge_config_selectorItNS0_10empty_typeEEEZZNS1_27merge_sort_block_merge_implIS3_PtPS5_jNS1_19radix_merge_compareILb1ELb0EtNS0_19identity_decomposerEEEEE10hipError_tT0_T1_T2_jT3_P12ihipStream_tbPNSt15iterator_traitsISE_E10value_typeEPNSK_ISF_E10value_typeEPSG_NS1_7vsmem_tEENKUlT_SE_SF_SG_E_clIS8_S8_S9_S9_EESD_ST_SE_SF_SG_EUlST_E0_NS1_11comp_targetILNS1_3genE3ELNS1_11target_archE908ELNS1_3gpuE7ELNS1_3repE0EEENS1_38merge_mergepath_config_static_selectorELNS0_4arch9wavefront6targetE1EEEvSF_
	.p2align	8
	.type	_ZN7rocprim17ROCPRIM_400000_NS6detail17trampoline_kernelINS0_14default_configENS1_38merge_sort_block_merge_config_selectorItNS0_10empty_typeEEEZZNS1_27merge_sort_block_merge_implIS3_PtPS5_jNS1_19radix_merge_compareILb1ELb0EtNS0_19identity_decomposerEEEEE10hipError_tT0_T1_T2_jT3_P12ihipStream_tbPNSt15iterator_traitsISE_E10value_typeEPNSK_ISF_E10value_typeEPSG_NS1_7vsmem_tEENKUlT_SE_SF_SG_E_clIS8_S8_S9_S9_EESD_ST_SE_SF_SG_EUlST_E0_NS1_11comp_targetILNS1_3genE3ELNS1_11target_archE908ELNS1_3gpuE7ELNS1_3repE0EEENS1_38merge_mergepath_config_static_selectorELNS0_4arch9wavefront6targetE1EEEvSF_,@function
_ZN7rocprim17ROCPRIM_400000_NS6detail17trampoline_kernelINS0_14default_configENS1_38merge_sort_block_merge_config_selectorItNS0_10empty_typeEEEZZNS1_27merge_sort_block_merge_implIS3_PtPS5_jNS1_19radix_merge_compareILb1ELb0EtNS0_19identity_decomposerEEEEE10hipError_tT0_T1_T2_jT3_P12ihipStream_tbPNSt15iterator_traitsISE_E10value_typeEPNSK_ISF_E10value_typeEPSG_NS1_7vsmem_tEENKUlT_SE_SF_SG_E_clIS8_S8_S9_S9_EESD_ST_SE_SF_SG_EUlST_E0_NS1_11comp_targetILNS1_3genE3ELNS1_11target_archE908ELNS1_3gpuE7ELNS1_3repE0EEENS1_38merge_mergepath_config_static_selectorELNS0_4arch9wavefront6targetE1EEEvSF_: ; @_ZN7rocprim17ROCPRIM_400000_NS6detail17trampoline_kernelINS0_14default_configENS1_38merge_sort_block_merge_config_selectorItNS0_10empty_typeEEEZZNS1_27merge_sort_block_merge_implIS3_PtPS5_jNS1_19radix_merge_compareILb1ELb0EtNS0_19identity_decomposerEEEEE10hipError_tT0_T1_T2_jT3_P12ihipStream_tbPNSt15iterator_traitsISE_E10value_typeEPNSK_ISF_E10value_typeEPSG_NS1_7vsmem_tEENKUlT_SE_SF_SG_E_clIS8_S8_S9_S9_EESD_ST_SE_SF_SG_EUlST_E0_NS1_11comp_targetILNS1_3genE3ELNS1_11target_archE908ELNS1_3gpuE7ELNS1_3repE0EEENS1_38merge_mergepath_config_static_selectorELNS0_4arch9wavefront6targetE1EEEvSF_
; %bb.0:
	.section	.rodata,"a",@progbits
	.p2align	6, 0x0
	.amdhsa_kernel _ZN7rocprim17ROCPRIM_400000_NS6detail17trampoline_kernelINS0_14default_configENS1_38merge_sort_block_merge_config_selectorItNS0_10empty_typeEEEZZNS1_27merge_sort_block_merge_implIS3_PtPS5_jNS1_19radix_merge_compareILb1ELb0EtNS0_19identity_decomposerEEEEE10hipError_tT0_T1_T2_jT3_P12ihipStream_tbPNSt15iterator_traitsISE_E10value_typeEPNSK_ISF_E10value_typeEPSG_NS1_7vsmem_tEENKUlT_SE_SF_SG_E_clIS8_S8_S9_S9_EESD_ST_SE_SF_SG_EUlST_E0_NS1_11comp_targetILNS1_3genE3ELNS1_11target_archE908ELNS1_3gpuE7ELNS1_3repE0EEENS1_38merge_mergepath_config_static_selectorELNS0_4arch9wavefront6targetE1EEEvSF_
		.amdhsa_group_segment_fixed_size 0
		.amdhsa_private_segment_fixed_size 0
		.amdhsa_kernarg_size 64
		.amdhsa_user_sgpr_count 6
		.amdhsa_user_sgpr_private_segment_buffer 1
		.amdhsa_user_sgpr_dispatch_ptr 0
		.amdhsa_user_sgpr_queue_ptr 0
		.amdhsa_user_sgpr_kernarg_segment_ptr 1
		.amdhsa_user_sgpr_dispatch_id 0
		.amdhsa_user_sgpr_flat_scratch_init 0
		.amdhsa_user_sgpr_kernarg_preload_length 0
		.amdhsa_user_sgpr_kernarg_preload_offset 0
		.amdhsa_user_sgpr_private_segment_size 0
		.amdhsa_uses_dynamic_stack 0
		.amdhsa_system_sgpr_private_segment_wavefront_offset 0
		.amdhsa_system_sgpr_workgroup_id_x 1
		.amdhsa_system_sgpr_workgroup_id_y 0
		.amdhsa_system_sgpr_workgroup_id_z 0
		.amdhsa_system_sgpr_workgroup_info 0
		.amdhsa_system_vgpr_workitem_id 0
		.amdhsa_next_free_vgpr 1
		.amdhsa_next_free_sgpr 0
		.amdhsa_accum_offset 4
		.amdhsa_reserve_vcc 0
		.amdhsa_reserve_flat_scratch 0
		.amdhsa_float_round_mode_32 0
		.amdhsa_float_round_mode_16_64 0
		.amdhsa_float_denorm_mode_32 3
		.amdhsa_float_denorm_mode_16_64 3
		.amdhsa_dx10_clamp 1
		.amdhsa_ieee_mode 1
		.amdhsa_fp16_overflow 0
		.amdhsa_tg_split 0
		.amdhsa_exception_fp_ieee_invalid_op 0
		.amdhsa_exception_fp_denorm_src 0
		.amdhsa_exception_fp_ieee_div_zero 0
		.amdhsa_exception_fp_ieee_overflow 0
		.amdhsa_exception_fp_ieee_underflow 0
		.amdhsa_exception_fp_ieee_inexact 0
		.amdhsa_exception_int_div_zero 0
	.end_amdhsa_kernel
	.section	.text._ZN7rocprim17ROCPRIM_400000_NS6detail17trampoline_kernelINS0_14default_configENS1_38merge_sort_block_merge_config_selectorItNS0_10empty_typeEEEZZNS1_27merge_sort_block_merge_implIS3_PtPS5_jNS1_19radix_merge_compareILb1ELb0EtNS0_19identity_decomposerEEEEE10hipError_tT0_T1_T2_jT3_P12ihipStream_tbPNSt15iterator_traitsISE_E10value_typeEPNSK_ISF_E10value_typeEPSG_NS1_7vsmem_tEENKUlT_SE_SF_SG_E_clIS8_S8_S9_S9_EESD_ST_SE_SF_SG_EUlST_E0_NS1_11comp_targetILNS1_3genE3ELNS1_11target_archE908ELNS1_3gpuE7ELNS1_3repE0EEENS1_38merge_mergepath_config_static_selectorELNS0_4arch9wavefront6targetE1EEEvSF_,"axG",@progbits,_ZN7rocprim17ROCPRIM_400000_NS6detail17trampoline_kernelINS0_14default_configENS1_38merge_sort_block_merge_config_selectorItNS0_10empty_typeEEEZZNS1_27merge_sort_block_merge_implIS3_PtPS5_jNS1_19radix_merge_compareILb1ELb0EtNS0_19identity_decomposerEEEEE10hipError_tT0_T1_T2_jT3_P12ihipStream_tbPNSt15iterator_traitsISE_E10value_typeEPNSK_ISF_E10value_typeEPSG_NS1_7vsmem_tEENKUlT_SE_SF_SG_E_clIS8_S8_S9_S9_EESD_ST_SE_SF_SG_EUlST_E0_NS1_11comp_targetILNS1_3genE3ELNS1_11target_archE908ELNS1_3gpuE7ELNS1_3repE0EEENS1_38merge_mergepath_config_static_selectorELNS0_4arch9wavefront6targetE1EEEvSF_,comdat
.Lfunc_end1865:
	.size	_ZN7rocprim17ROCPRIM_400000_NS6detail17trampoline_kernelINS0_14default_configENS1_38merge_sort_block_merge_config_selectorItNS0_10empty_typeEEEZZNS1_27merge_sort_block_merge_implIS3_PtPS5_jNS1_19radix_merge_compareILb1ELb0EtNS0_19identity_decomposerEEEEE10hipError_tT0_T1_T2_jT3_P12ihipStream_tbPNSt15iterator_traitsISE_E10value_typeEPNSK_ISF_E10value_typeEPSG_NS1_7vsmem_tEENKUlT_SE_SF_SG_E_clIS8_S8_S9_S9_EESD_ST_SE_SF_SG_EUlST_E0_NS1_11comp_targetILNS1_3genE3ELNS1_11target_archE908ELNS1_3gpuE7ELNS1_3repE0EEENS1_38merge_mergepath_config_static_selectorELNS0_4arch9wavefront6targetE1EEEvSF_, .Lfunc_end1865-_ZN7rocprim17ROCPRIM_400000_NS6detail17trampoline_kernelINS0_14default_configENS1_38merge_sort_block_merge_config_selectorItNS0_10empty_typeEEEZZNS1_27merge_sort_block_merge_implIS3_PtPS5_jNS1_19radix_merge_compareILb1ELb0EtNS0_19identity_decomposerEEEEE10hipError_tT0_T1_T2_jT3_P12ihipStream_tbPNSt15iterator_traitsISE_E10value_typeEPNSK_ISF_E10value_typeEPSG_NS1_7vsmem_tEENKUlT_SE_SF_SG_E_clIS8_S8_S9_S9_EESD_ST_SE_SF_SG_EUlST_E0_NS1_11comp_targetILNS1_3genE3ELNS1_11target_archE908ELNS1_3gpuE7ELNS1_3repE0EEENS1_38merge_mergepath_config_static_selectorELNS0_4arch9wavefront6targetE1EEEvSF_
                                        ; -- End function
	.section	.AMDGPU.csdata,"",@progbits
; Kernel info:
; codeLenInByte = 0
; NumSgprs: 4
; NumVgprs: 0
; NumAgprs: 0
; TotalNumVgprs: 0
; ScratchSize: 0
; MemoryBound: 0
; FloatMode: 240
; IeeeMode: 1
; LDSByteSize: 0 bytes/workgroup (compile time only)
; SGPRBlocks: 0
; VGPRBlocks: 0
; NumSGPRsForWavesPerEU: 4
; NumVGPRsForWavesPerEU: 1
; AccumOffset: 4
; Occupancy: 8
; WaveLimiterHint : 0
; COMPUTE_PGM_RSRC2:SCRATCH_EN: 0
; COMPUTE_PGM_RSRC2:USER_SGPR: 6
; COMPUTE_PGM_RSRC2:TRAP_HANDLER: 0
; COMPUTE_PGM_RSRC2:TGID_X_EN: 1
; COMPUTE_PGM_RSRC2:TGID_Y_EN: 0
; COMPUTE_PGM_RSRC2:TGID_Z_EN: 0
; COMPUTE_PGM_RSRC2:TIDIG_COMP_CNT: 0
; COMPUTE_PGM_RSRC3_GFX90A:ACCUM_OFFSET: 0
; COMPUTE_PGM_RSRC3_GFX90A:TG_SPLIT: 0
	.section	.text._ZN7rocprim17ROCPRIM_400000_NS6detail17trampoline_kernelINS0_14default_configENS1_38merge_sort_block_merge_config_selectorItNS0_10empty_typeEEEZZNS1_27merge_sort_block_merge_implIS3_PtPS5_jNS1_19radix_merge_compareILb1ELb0EtNS0_19identity_decomposerEEEEE10hipError_tT0_T1_T2_jT3_P12ihipStream_tbPNSt15iterator_traitsISE_E10value_typeEPNSK_ISF_E10value_typeEPSG_NS1_7vsmem_tEENKUlT_SE_SF_SG_E_clIS8_S8_S9_S9_EESD_ST_SE_SF_SG_EUlST_E0_NS1_11comp_targetILNS1_3genE2ELNS1_11target_archE906ELNS1_3gpuE6ELNS1_3repE0EEENS1_38merge_mergepath_config_static_selectorELNS0_4arch9wavefront6targetE1EEEvSF_,"axG",@progbits,_ZN7rocprim17ROCPRIM_400000_NS6detail17trampoline_kernelINS0_14default_configENS1_38merge_sort_block_merge_config_selectorItNS0_10empty_typeEEEZZNS1_27merge_sort_block_merge_implIS3_PtPS5_jNS1_19radix_merge_compareILb1ELb0EtNS0_19identity_decomposerEEEEE10hipError_tT0_T1_T2_jT3_P12ihipStream_tbPNSt15iterator_traitsISE_E10value_typeEPNSK_ISF_E10value_typeEPSG_NS1_7vsmem_tEENKUlT_SE_SF_SG_E_clIS8_S8_S9_S9_EESD_ST_SE_SF_SG_EUlST_E0_NS1_11comp_targetILNS1_3genE2ELNS1_11target_archE906ELNS1_3gpuE6ELNS1_3repE0EEENS1_38merge_mergepath_config_static_selectorELNS0_4arch9wavefront6targetE1EEEvSF_,comdat
	.protected	_ZN7rocprim17ROCPRIM_400000_NS6detail17trampoline_kernelINS0_14default_configENS1_38merge_sort_block_merge_config_selectorItNS0_10empty_typeEEEZZNS1_27merge_sort_block_merge_implIS3_PtPS5_jNS1_19radix_merge_compareILb1ELb0EtNS0_19identity_decomposerEEEEE10hipError_tT0_T1_T2_jT3_P12ihipStream_tbPNSt15iterator_traitsISE_E10value_typeEPNSK_ISF_E10value_typeEPSG_NS1_7vsmem_tEENKUlT_SE_SF_SG_E_clIS8_S8_S9_S9_EESD_ST_SE_SF_SG_EUlST_E0_NS1_11comp_targetILNS1_3genE2ELNS1_11target_archE906ELNS1_3gpuE6ELNS1_3repE0EEENS1_38merge_mergepath_config_static_selectorELNS0_4arch9wavefront6targetE1EEEvSF_ ; -- Begin function _ZN7rocprim17ROCPRIM_400000_NS6detail17trampoline_kernelINS0_14default_configENS1_38merge_sort_block_merge_config_selectorItNS0_10empty_typeEEEZZNS1_27merge_sort_block_merge_implIS3_PtPS5_jNS1_19radix_merge_compareILb1ELb0EtNS0_19identity_decomposerEEEEE10hipError_tT0_T1_T2_jT3_P12ihipStream_tbPNSt15iterator_traitsISE_E10value_typeEPNSK_ISF_E10value_typeEPSG_NS1_7vsmem_tEENKUlT_SE_SF_SG_E_clIS8_S8_S9_S9_EESD_ST_SE_SF_SG_EUlST_E0_NS1_11comp_targetILNS1_3genE2ELNS1_11target_archE906ELNS1_3gpuE6ELNS1_3repE0EEENS1_38merge_mergepath_config_static_selectorELNS0_4arch9wavefront6targetE1EEEvSF_
	.globl	_ZN7rocprim17ROCPRIM_400000_NS6detail17trampoline_kernelINS0_14default_configENS1_38merge_sort_block_merge_config_selectorItNS0_10empty_typeEEEZZNS1_27merge_sort_block_merge_implIS3_PtPS5_jNS1_19radix_merge_compareILb1ELb0EtNS0_19identity_decomposerEEEEE10hipError_tT0_T1_T2_jT3_P12ihipStream_tbPNSt15iterator_traitsISE_E10value_typeEPNSK_ISF_E10value_typeEPSG_NS1_7vsmem_tEENKUlT_SE_SF_SG_E_clIS8_S8_S9_S9_EESD_ST_SE_SF_SG_EUlST_E0_NS1_11comp_targetILNS1_3genE2ELNS1_11target_archE906ELNS1_3gpuE6ELNS1_3repE0EEENS1_38merge_mergepath_config_static_selectorELNS0_4arch9wavefront6targetE1EEEvSF_
	.p2align	8
	.type	_ZN7rocprim17ROCPRIM_400000_NS6detail17trampoline_kernelINS0_14default_configENS1_38merge_sort_block_merge_config_selectorItNS0_10empty_typeEEEZZNS1_27merge_sort_block_merge_implIS3_PtPS5_jNS1_19radix_merge_compareILb1ELb0EtNS0_19identity_decomposerEEEEE10hipError_tT0_T1_T2_jT3_P12ihipStream_tbPNSt15iterator_traitsISE_E10value_typeEPNSK_ISF_E10value_typeEPSG_NS1_7vsmem_tEENKUlT_SE_SF_SG_E_clIS8_S8_S9_S9_EESD_ST_SE_SF_SG_EUlST_E0_NS1_11comp_targetILNS1_3genE2ELNS1_11target_archE906ELNS1_3gpuE6ELNS1_3repE0EEENS1_38merge_mergepath_config_static_selectorELNS0_4arch9wavefront6targetE1EEEvSF_,@function
_ZN7rocprim17ROCPRIM_400000_NS6detail17trampoline_kernelINS0_14default_configENS1_38merge_sort_block_merge_config_selectorItNS0_10empty_typeEEEZZNS1_27merge_sort_block_merge_implIS3_PtPS5_jNS1_19radix_merge_compareILb1ELb0EtNS0_19identity_decomposerEEEEE10hipError_tT0_T1_T2_jT3_P12ihipStream_tbPNSt15iterator_traitsISE_E10value_typeEPNSK_ISF_E10value_typeEPSG_NS1_7vsmem_tEENKUlT_SE_SF_SG_E_clIS8_S8_S9_S9_EESD_ST_SE_SF_SG_EUlST_E0_NS1_11comp_targetILNS1_3genE2ELNS1_11target_archE906ELNS1_3gpuE6ELNS1_3repE0EEENS1_38merge_mergepath_config_static_selectorELNS0_4arch9wavefront6targetE1EEEvSF_: ; @_ZN7rocprim17ROCPRIM_400000_NS6detail17trampoline_kernelINS0_14default_configENS1_38merge_sort_block_merge_config_selectorItNS0_10empty_typeEEEZZNS1_27merge_sort_block_merge_implIS3_PtPS5_jNS1_19radix_merge_compareILb1ELb0EtNS0_19identity_decomposerEEEEE10hipError_tT0_T1_T2_jT3_P12ihipStream_tbPNSt15iterator_traitsISE_E10value_typeEPNSK_ISF_E10value_typeEPSG_NS1_7vsmem_tEENKUlT_SE_SF_SG_E_clIS8_S8_S9_S9_EESD_ST_SE_SF_SG_EUlST_E0_NS1_11comp_targetILNS1_3genE2ELNS1_11target_archE906ELNS1_3gpuE6ELNS1_3repE0EEENS1_38merge_mergepath_config_static_selectorELNS0_4arch9wavefront6targetE1EEEvSF_
; %bb.0:
	.section	.rodata,"a",@progbits
	.p2align	6, 0x0
	.amdhsa_kernel _ZN7rocprim17ROCPRIM_400000_NS6detail17trampoline_kernelINS0_14default_configENS1_38merge_sort_block_merge_config_selectorItNS0_10empty_typeEEEZZNS1_27merge_sort_block_merge_implIS3_PtPS5_jNS1_19radix_merge_compareILb1ELb0EtNS0_19identity_decomposerEEEEE10hipError_tT0_T1_T2_jT3_P12ihipStream_tbPNSt15iterator_traitsISE_E10value_typeEPNSK_ISF_E10value_typeEPSG_NS1_7vsmem_tEENKUlT_SE_SF_SG_E_clIS8_S8_S9_S9_EESD_ST_SE_SF_SG_EUlST_E0_NS1_11comp_targetILNS1_3genE2ELNS1_11target_archE906ELNS1_3gpuE6ELNS1_3repE0EEENS1_38merge_mergepath_config_static_selectorELNS0_4arch9wavefront6targetE1EEEvSF_
		.amdhsa_group_segment_fixed_size 0
		.amdhsa_private_segment_fixed_size 0
		.amdhsa_kernarg_size 64
		.amdhsa_user_sgpr_count 6
		.amdhsa_user_sgpr_private_segment_buffer 1
		.amdhsa_user_sgpr_dispatch_ptr 0
		.amdhsa_user_sgpr_queue_ptr 0
		.amdhsa_user_sgpr_kernarg_segment_ptr 1
		.amdhsa_user_sgpr_dispatch_id 0
		.amdhsa_user_sgpr_flat_scratch_init 0
		.amdhsa_user_sgpr_kernarg_preload_length 0
		.amdhsa_user_sgpr_kernarg_preload_offset 0
		.amdhsa_user_sgpr_private_segment_size 0
		.amdhsa_uses_dynamic_stack 0
		.amdhsa_system_sgpr_private_segment_wavefront_offset 0
		.amdhsa_system_sgpr_workgroup_id_x 1
		.amdhsa_system_sgpr_workgroup_id_y 0
		.amdhsa_system_sgpr_workgroup_id_z 0
		.amdhsa_system_sgpr_workgroup_info 0
		.amdhsa_system_vgpr_workitem_id 0
		.amdhsa_next_free_vgpr 1
		.amdhsa_next_free_sgpr 0
		.amdhsa_accum_offset 4
		.amdhsa_reserve_vcc 0
		.amdhsa_reserve_flat_scratch 0
		.amdhsa_float_round_mode_32 0
		.amdhsa_float_round_mode_16_64 0
		.amdhsa_float_denorm_mode_32 3
		.amdhsa_float_denorm_mode_16_64 3
		.amdhsa_dx10_clamp 1
		.amdhsa_ieee_mode 1
		.amdhsa_fp16_overflow 0
		.amdhsa_tg_split 0
		.amdhsa_exception_fp_ieee_invalid_op 0
		.amdhsa_exception_fp_denorm_src 0
		.amdhsa_exception_fp_ieee_div_zero 0
		.amdhsa_exception_fp_ieee_overflow 0
		.amdhsa_exception_fp_ieee_underflow 0
		.amdhsa_exception_fp_ieee_inexact 0
		.amdhsa_exception_int_div_zero 0
	.end_amdhsa_kernel
	.section	.text._ZN7rocprim17ROCPRIM_400000_NS6detail17trampoline_kernelINS0_14default_configENS1_38merge_sort_block_merge_config_selectorItNS0_10empty_typeEEEZZNS1_27merge_sort_block_merge_implIS3_PtPS5_jNS1_19radix_merge_compareILb1ELb0EtNS0_19identity_decomposerEEEEE10hipError_tT0_T1_T2_jT3_P12ihipStream_tbPNSt15iterator_traitsISE_E10value_typeEPNSK_ISF_E10value_typeEPSG_NS1_7vsmem_tEENKUlT_SE_SF_SG_E_clIS8_S8_S9_S9_EESD_ST_SE_SF_SG_EUlST_E0_NS1_11comp_targetILNS1_3genE2ELNS1_11target_archE906ELNS1_3gpuE6ELNS1_3repE0EEENS1_38merge_mergepath_config_static_selectorELNS0_4arch9wavefront6targetE1EEEvSF_,"axG",@progbits,_ZN7rocprim17ROCPRIM_400000_NS6detail17trampoline_kernelINS0_14default_configENS1_38merge_sort_block_merge_config_selectorItNS0_10empty_typeEEEZZNS1_27merge_sort_block_merge_implIS3_PtPS5_jNS1_19radix_merge_compareILb1ELb0EtNS0_19identity_decomposerEEEEE10hipError_tT0_T1_T2_jT3_P12ihipStream_tbPNSt15iterator_traitsISE_E10value_typeEPNSK_ISF_E10value_typeEPSG_NS1_7vsmem_tEENKUlT_SE_SF_SG_E_clIS8_S8_S9_S9_EESD_ST_SE_SF_SG_EUlST_E0_NS1_11comp_targetILNS1_3genE2ELNS1_11target_archE906ELNS1_3gpuE6ELNS1_3repE0EEENS1_38merge_mergepath_config_static_selectorELNS0_4arch9wavefront6targetE1EEEvSF_,comdat
.Lfunc_end1866:
	.size	_ZN7rocprim17ROCPRIM_400000_NS6detail17trampoline_kernelINS0_14default_configENS1_38merge_sort_block_merge_config_selectorItNS0_10empty_typeEEEZZNS1_27merge_sort_block_merge_implIS3_PtPS5_jNS1_19radix_merge_compareILb1ELb0EtNS0_19identity_decomposerEEEEE10hipError_tT0_T1_T2_jT3_P12ihipStream_tbPNSt15iterator_traitsISE_E10value_typeEPNSK_ISF_E10value_typeEPSG_NS1_7vsmem_tEENKUlT_SE_SF_SG_E_clIS8_S8_S9_S9_EESD_ST_SE_SF_SG_EUlST_E0_NS1_11comp_targetILNS1_3genE2ELNS1_11target_archE906ELNS1_3gpuE6ELNS1_3repE0EEENS1_38merge_mergepath_config_static_selectorELNS0_4arch9wavefront6targetE1EEEvSF_, .Lfunc_end1866-_ZN7rocprim17ROCPRIM_400000_NS6detail17trampoline_kernelINS0_14default_configENS1_38merge_sort_block_merge_config_selectorItNS0_10empty_typeEEEZZNS1_27merge_sort_block_merge_implIS3_PtPS5_jNS1_19radix_merge_compareILb1ELb0EtNS0_19identity_decomposerEEEEE10hipError_tT0_T1_T2_jT3_P12ihipStream_tbPNSt15iterator_traitsISE_E10value_typeEPNSK_ISF_E10value_typeEPSG_NS1_7vsmem_tEENKUlT_SE_SF_SG_E_clIS8_S8_S9_S9_EESD_ST_SE_SF_SG_EUlST_E0_NS1_11comp_targetILNS1_3genE2ELNS1_11target_archE906ELNS1_3gpuE6ELNS1_3repE0EEENS1_38merge_mergepath_config_static_selectorELNS0_4arch9wavefront6targetE1EEEvSF_
                                        ; -- End function
	.section	.AMDGPU.csdata,"",@progbits
; Kernel info:
; codeLenInByte = 0
; NumSgprs: 4
; NumVgprs: 0
; NumAgprs: 0
; TotalNumVgprs: 0
; ScratchSize: 0
; MemoryBound: 0
; FloatMode: 240
; IeeeMode: 1
; LDSByteSize: 0 bytes/workgroup (compile time only)
; SGPRBlocks: 0
; VGPRBlocks: 0
; NumSGPRsForWavesPerEU: 4
; NumVGPRsForWavesPerEU: 1
; AccumOffset: 4
; Occupancy: 8
; WaveLimiterHint : 0
; COMPUTE_PGM_RSRC2:SCRATCH_EN: 0
; COMPUTE_PGM_RSRC2:USER_SGPR: 6
; COMPUTE_PGM_RSRC2:TRAP_HANDLER: 0
; COMPUTE_PGM_RSRC2:TGID_X_EN: 1
; COMPUTE_PGM_RSRC2:TGID_Y_EN: 0
; COMPUTE_PGM_RSRC2:TGID_Z_EN: 0
; COMPUTE_PGM_RSRC2:TIDIG_COMP_CNT: 0
; COMPUTE_PGM_RSRC3_GFX90A:ACCUM_OFFSET: 0
; COMPUTE_PGM_RSRC3_GFX90A:TG_SPLIT: 0
	.section	.text._ZN7rocprim17ROCPRIM_400000_NS6detail17trampoline_kernelINS0_14default_configENS1_38merge_sort_block_merge_config_selectorItNS0_10empty_typeEEEZZNS1_27merge_sort_block_merge_implIS3_PtPS5_jNS1_19radix_merge_compareILb1ELb0EtNS0_19identity_decomposerEEEEE10hipError_tT0_T1_T2_jT3_P12ihipStream_tbPNSt15iterator_traitsISE_E10value_typeEPNSK_ISF_E10value_typeEPSG_NS1_7vsmem_tEENKUlT_SE_SF_SG_E_clIS8_S8_S9_S9_EESD_ST_SE_SF_SG_EUlST_E0_NS1_11comp_targetILNS1_3genE9ELNS1_11target_archE1100ELNS1_3gpuE3ELNS1_3repE0EEENS1_38merge_mergepath_config_static_selectorELNS0_4arch9wavefront6targetE1EEEvSF_,"axG",@progbits,_ZN7rocprim17ROCPRIM_400000_NS6detail17trampoline_kernelINS0_14default_configENS1_38merge_sort_block_merge_config_selectorItNS0_10empty_typeEEEZZNS1_27merge_sort_block_merge_implIS3_PtPS5_jNS1_19radix_merge_compareILb1ELb0EtNS0_19identity_decomposerEEEEE10hipError_tT0_T1_T2_jT3_P12ihipStream_tbPNSt15iterator_traitsISE_E10value_typeEPNSK_ISF_E10value_typeEPSG_NS1_7vsmem_tEENKUlT_SE_SF_SG_E_clIS8_S8_S9_S9_EESD_ST_SE_SF_SG_EUlST_E0_NS1_11comp_targetILNS1_3genE9ELNS1_11target_archE1100ELNS1_3gpuE3ELNS1_3repE0EEENS1_38merge_mergepath_config_static_selectorELNS0_4arch9wavefront6targetE1EEEvSF_,comdat
	.protected	_ZN7rocprim17ROCPRIM_400000_NS6detail17trampoline_kernelINS0_14default_configENS1_38merge_sort_block_merge_config_selectorItNS0_10empty_typeEEEZZNS1_27merge_sort_block_merge_implIS3_PtPS5_jNS1_19radix_merge_compareILb1ELb0EtNS0_19identity_decomposerEEEEE10hipError_tT0_T1_T2_jT3_P12ihipStream_tbPNSt15iterator_traitsISE_E10value_typeEPNSK_ISF_E10value_typeEPSG_NS1_7vsmem_tEENKUlT_SE_SF_SG_E_clIS8_S8_S9_S9_EESD_ST_SE_SF_SG_EUlST_E0_NS1_11comp_targetILNS1_3genE9ELNS1_11target_archE1100ELNS1_3gpuE3ELNS1_3repE0EEENS1_38merge_mergepath_config_static_selectorELNS0_4arch9wavefront6targetE1EEEvSF_ ; -- Begin function _ZN7rocprim17ROCPRIM_400000_NS6detail17trampoline_kernelINS0_14default_configENS1_38merge_sort_block_merge_config_selectorItNS0_10empty_typeEEEZZNS1_27merge_sort_block_merge_implIS3_PtPS5_jNS1_19radix_merge_compareILb1ELb0EtNS0_19identity_decomposerEEEEE10hipError_tT0_T1_T2_jT3_P12ihipStream_tbPNSt15iterator_traitsISE_E10value_typeEPNSK_ISF_E10value_typeEPSG_NS1_7vsmem_tEENKUlT_SE_SF_SG_E_clIS8_S8_S9_S9_EESD_ST_SE_SF_SG_EUlST_E0_NS1_11comp_targetILNS1_3genE9ELNS1_11target_archE1100ELNS1_3gpuE3ELNS1_3repE0EEENS1_38merge_mergepath_config_static_selectorELNS0_4arch9wavefront6targetE1EEEvSF_
	.globl	_ZN7rocprim17ROCPRIM_400000_NS6detail17trampoline_kernelINS0_14default_configENS1_38merge_sort_block_merge_config_selectorItNS0_10empty_typeEEEZZNS1_27merge_sort_block_merge_implIS3_PtPS5_jNS1_19radix_merge_compareILb1ELb0EtNS0_19identity_decomposerEEEEE10hipError_tT0_T1_T2_jT3_P12ihipStream_tbPNSt15iterator_traitsISE_E10value_typeEPNSK_ISF_E10value_typeEPSG_NS1_7vsmem_tEENKUlT_SE_SF_SG_E_clIS8_S8_S9_S9_EESD_ST_SE_SF_SG_EUlST_E0_NS1_11comp_targetILNS1_3genE9ELNS1_11target_archE1100ELNS1_3gpuE3ELNS1_3repE0EEENS1_38merge_mergepath_config_static_selectorELNS0_4arch9wavefront6targetE1EEEvSF_
	.p2align	8
	.type	_ZN7rocprim17ROCPRIM_400000_NS6detail17trampoline_kernelINS0_14default_configENS1_38merge_sort_block_merge_config_selectorItNS0_10empty_typeEEEZZNS1_27merge_sort_block_merge_implIS3_PtPS5_jNS1_19radix_merge_compareILb1ELb0EtNS0_19identity_decomposerEEEEE10hipError_tT0_T1_T2_jT3_P12ihipStream_tbPNSt15iterator_traitsISE_E10value_typeEPNSK_ISF_E10value_typeEPSG_NS1_7vsmem_tEENKUlT_SE_SF_SG_E_clIS8_S8_S9_S9_EESD_ST_SE_SF_SG_EUlST_E0_NS1_11comp_targetILNS1_3genE9ELNS1_11target_archE1100ELNS1_3gpuE3ELNS1_3repE0EEENS1_38merge_mergepath_config_static_selectorELNS0_4arch9wavefront6targetE1EEEvSF_,@function
_ZN7rocprim17ROCPRIM_400000_NS6detail17trampoline_kernelINS0_14default_configENS1_38merge_sort_block_merge_config_selectorItNS0_10empty_typeEEEZZNS1_27merge_sort_block_merge_implIS3_PtPS5_jNS1_19radix_merge_compareILb1ELb0EtNS0_19identity_decomposerEEEEE10hipError_tT0_T1_T2_jT3_P12ihipStream_tbPNSt15iterator_traitsISE_E10value_typeEPNSK_ISF_E10value_typeEPSG_NS1_7vsmem_tEENKUlT_SE_SF_SG_E_clIS8_S8_S9_S9_EESD_ST_SE_SF_SG_EUlST_E0_NS1_11comp_targetILNS1_3genE9ELNS1_11target_archE1100ELNS1_3gpuE3ELNS1_3repE0EEENS1_38merge_mergepath_config_static_selectorELNS0_4arch9wavefront6targetE1EEEvSF_: ; @_ZN7rocprim17ROCPRIM_400000_NS6detail17trampoline_kernelINS0_14default_configENS1_38merge_sort_block_merge_config_selectorItNS0_10empty_typeEEEZZNS1_27merge_sort_block_merge_implIS3_PtPS5_jNS1_19radix_merge_compareILb1ELb0EtNS0_19identity_decomposerEEEEE10hipError_tT0_T1_T2_jT3_P12ihipStream_tbPNSt15iterator_traitsISE_E10value_typeEPNSK_ISF_E10value_typeEPSG_NS1_7vsmem_tEENKUlT_SE_SF_SG_E_clIS8_S8_S9_S9_EESD_ST_SE_SF_SG_EUlST_E0_NS1_11comp_targetILNS1_3genE9ELNS1_11target_archE1100ELNS1_3gpuE3ELNS1_3repE0EEENS1_38merge_mergepath_config_static_selectorELNS0_4arch9wavefront6targetE1EEEvSF_
; %bb.0:
	.section	.rodata,"a",@progbits
	.p2align	6, 0x0
	.amdhsa_kernel _ZN7rocprim17ROCPRIM_400000_NS6detail17trampoline_kernelINS0_14default_configENS1_38merge_sort_block_merge_config_selectorItNS0_10empty_typeEEEZZNS1_27merge_sort_block_merge_implIS3_PtPS5_jNS1_19radix_merge_compareILb1ELb0EtNS0_19identity_decomposerEEEEE10hipError_tT0_T1_T2_jT3_P12ihipStream_tbPNSt15iterator_traitsISE_E10value_typeEPNSK_ISF_E10value_typeEPSG_NS1_7vsmem_tEENKUlT_SE_SF_SG_E_clIS8_S8_S9_S9_EESD_ST_SE_SF_SG_EUlST_E0_NS1_11comp_targetILNS1_3genE9ELNS1_11target_archE1100ELNS1_3gpuE3ELNS1_3repE0EEENS1_38merge_mergepath_config_static_selectorELNS0_4arch9wavefront6targetE1EEEvSF_
		.amdhsa_group_segment_fixed_size 0
		.amdhsa_private_segment_fixed_size 0
		.amdhsa_kernarg_size 64
		.amdhsa_user_sgpr_count 6
		.amdhsa_user_sgpr_private_segment_buffer 1
		.amdhsa_user_sgpr_dispatch_ptr 0
		.amdhsa_user_sgpr_queue_ptr 0
		.amdhsa_user_sgpr_kernarg_segment_ptr 1
		.amdhsa_user_sgpr_dispatch_id 0
		.amdhsa_user_sgpr_flat_scratch_init 0
		.amdhsa_user_sgpr_kernarg_preload_length 0
		.amdhsa_user_sgpr_kernarg_preload_offset 0
		.amdhsa_user_sgpr_private_segment_size 0
		.amdhsa_uses_dynamic_stack 0
		.amdhsa_system_sgpr_private_segment_wavefront_offset 0
		.amdhsa_system_sgpr_workgroup_id_x 1
		.amdhsa_system_sgpr_workgroup_id_y 0
		.amdhsa_system_sgpr_workgroup_id_z 0
		.amdhsa_system_sgpr_workgroup_info 0
		.amdhsa_system_vgpr_workitem_id 0
		.amdhsa_next_free_vgpr 1
		.amdhsa_next_free_sgpr 0
		.amdhsa_accum_offset 4
		.amdhsa_reserve_vcc 0
		.amdhsa_reserve_flat_scratch 0
		.amdhsa_float_round_mode_32 0
		.amdhsa_float_round_mode_16_64 0
		.amdhsa_float_denorm_mode_32 3
		.amdhsa_float_denorm_mode_16_64 3
		.amdhsa_dx10_clamp 1
		.amdhsa_ieee_mode 1
		.amdhsa_fp16_overflow 0
		.amdhsa_tg_split 0
		.amdhsa_exception_fp_ieee_invalid_op 0
		.amdhsa_exception_fp_denorm_src 0
		.amdhsa_exception_fp_ieee_div_zero 0
		.amdhsa_exception_fp_ieee_overflow 0
		.amdhsa_exception_fp_ieee_underflow 0
		.amdhsa_exception_fp_ieee_inexact 0
		.amdhsa_exception_int_div_zero 0
	.end_amdhsa_kernel
	.section	.text._ZN7rocprim17ROCPRIM_400000_NS6detail17trampoline_kernelINS0_14default_configENS1_38merge_sort_block_merge_config_selectorItNS0_10empty_typeEEEZZNS1_27merge_sort_block_merge_implIS3_PtPS5_jNS1_19radix_merge_compareILb1ELb0EtNS0_19identity_decomposerEEEEE10hipError_tT0_T1_T2_jT3_P12ihipStream_tbPNSt15iterator_traitsISE_E10value_typeEPNSK_ISF_E10value_typeEPSG_NS1_7vsmem_tEENKUlT_SE_SF_SG_E_clIS8_S8_S9_S9_EESD_ST_SE_SF_SG_EUlST_E0_NS1_11comp_targetILNS1_3genE9ELNS1_11target_archE1100ELNS1_3gpuE3ELNS1_3repE0EEENS1_38merge_mergepath_config_static_selectorELNS0_4arch9wavefront6targetE1EEEvSF_,"axG",@progbits,_ZN7rocprim17ROCPRIM_400000_NS6detail17trampoline_kernelINS0_14default_configENS1_38merge_sort_block_merge_config_selectorItNS0_10empty_typeEEEZZNS1_27merge_sort_block_merge_implIS3_PtPS5_jNS1_19radix_merge_compareILb1ELb0EtNS0_19identity_decomposerEEEEE10hipError_tT0_T1_T2_jT3_P12ihipStream_tbPNSt15iterator_traitsISE_E10value_typeEPNSK_ISF_E10value_typeEPSG_NS1_7vsmem_tEENKUlT_SE_SF_SG_E_clIS8_S8_S9_S9_EESD_ST_SE_SF_SG_EUlST_E0_NS1_11comp_targetILNS1_3genE9ELNS1_11target_archE1100ELNS1_3gpuE3ELNS1_3repE0EEENS1_38merge_mergepath_config_static_selectorELNS0_4arch9wavefront6targetE1EEEvSF_,comdat
.Lfunc_end1867:
	.size	_ZN7rocprim17ROCPRIM_400000_NS6detail17trampoline_kernelINS0_14default_configENS1_38merge_sort_block_merge_config_selectorItNS0_10empty_typeEEEZZNS1_27merge_sort_block_merge_implIS3_PtPS5_jNS1_19radix_merge_compareILb1ELb0EtNS0_19identity_decomposerEEEEE10hipError_tT0_T1_T2_jT3_P12ihipStream_tbPNSt15iterator_traitsISE_E10value_typeEPNSK_ISF_E10value_typeEPSG_NS1_7vsmem_tEENKUlT_SE_SF_SG_E_clIS8_S8_S9_S9_EESD_ST_SE_SF_SG_EUlST_E0_NS1_11comp_targetILNS1_3genE9ELNS1_11target_archE1100ELNS1_3gpuE3ELNS1_3repE0EEENS1_38merge_mergepath_config_static_selectorELNS0_4arch9wavefront6targetE1EEEvSF_, .Lfunc_end1867-_ZN7rocprim17ROCPRIM_400000_NS6detail17trampoline_kernelINS0_14default_configENS1_38merge_sort_block_merge_config_selectorItNS0_10empty_typeEEEZZNS1_27merge_sort_block_merge_implIS3_PtPS5_jNS1_19radix_merge_compareILb1ELb0EtNS0_19identity_decomposerEEEEE10hipError_tT0_T1_T2_jT3_P12ihipStream_tbPNSt15iterator_traitsISE_E10value_typeEPNSK_ISF_E10value_typeEPSG_NS1_7vsmem_tEENKUlT_SE_SF_SG_E_clIS8_S8_S9_S9_EESD_ST_SE_SF_SG_EUlST_E0_NS1_11comp_targetILNS1_3genE9ELNS1_11target_archE1100ELNS1_3gpuE3ELNS1_3repE0EEENS1_38merge_mergepath_config_static_selectorELNS0_4arch9wavefront6targetE1EEEvSF_
                                        ; -- End function
	.section	.AMDGPU.csdata,"",@progbits
; Kernel info:
; codeLenInByte = 0
; NumSgprs: 4
; NumVgprs: 0
; NumAgprs: 0
; TotalNumVgprs: 0
; ScratchSize: 0
; MemoryBound: 0
; FloatMode: 240
; IeeeMode: 1
; LDSByteSize: 0 bytes/workgroup (compile time only)
; SGPRBlocks: 0
; VGPRBlocks: 0
; NumSGPRsForWavesPerEU: 4
; NumVGPRsForWavesPerEU: 1
; AccumOffset: 4
; Occupancy: 8
; WaveLimiterHint : 0
; COMPUTE_PGM_RSRC2:SCRATCH_EN: 0
; COMPUTE_PGM_RSRC2:USER_SGPR: 6
; COMPUTE_PGM_RSRC2:TRAP_HANDLER: 0
; COMPUTE_PGM_RSRC2:TGID_X_EN: 1
; COMPUTE_PGM_RSRC2:TGID_Y_EN: 0
; COMPUTE_PGM_RSRC2:TGID_Z_EN: 0
; COMPUTE_PGM_RSRC2:TIDIG_COMP_CNT: 0
; COMPUTE_PGM_RSRC3_GFX90A:ACCUM_OFFSET: 0
; COMPUTE_PGM_RSRC3_GFX90A:TG_SPLIT: 0
	.section	.text._ZN7rocprim17ROCPRIM_400000_NS6detail17trampoline_kernelINS0_14default_configENS1_38merge_sort_block_merge_config_selectorItNS0_10empty_typeEEEZZNS1_27merge_sort_block_merge_implIS3_PtPS5_jNS1_19radix_merge_compareILb1ELb0EtNS0_19identity_decomposerEEEEE10hipError_tT0_T1_T2_jT3_P12ihipStream_tbPNSt15iterator_traitsISE_E10value_typeEPNSK_ISF_E10value_typeEPSG_NS1_7vsmem_tEENKUlT_SE_SF_SG_E_clIS8_S8_S9_S9_EESD_ST_SE_SF_SG_EUlST_E0_NS1_11comp_targetILNS1_3genE8ELNS1_11target_archE1030ELNS1_3gpuE2ELNS1_3repE0EEENS1_38merge_mergepath_config_static_selectorELNS0_4arch9wavefront6targetE1EEEvSF_,"axG",@progbits,_ZN7rocprim17ROCPRIM_400000_NS6detail17trampoline_kernelINS0_14default_configENS1_38merge_sort_block_merge_config_selectorItNS0_10empty_typeEEEZZNS1_27merge_sort_block_merge_implIS3_PtPS5_jNS1_19radix_merge_compareILb1ELb0EtNS0_19identity_decomposerEEEEE10hipError_tT0_T1_T2_jT3_P12ihipStream_tbPNSt15iterator_traitsISE_E10value_typeEPNSK_ISF_E10value_typeEPSG_NS1_7vsmem_tEENKUlT_SE_SF_SG_E_clIS8_S8_S9_S9_EESD_ST_SE_SF_SG_EUlST_E0_NS1_11comp_targetILNS1_3genE8ELNS1_11target_archE1030ELNS1_3gpuE2ELNS1_3repE0EEENS1_38merge_mergepath_config_static_selectorELNS0_4arch9wavefront6targetE1EEEvSF_,comdat
	.protected	_ZN7rocprim17ROCPRIM_400000_NS6detail17trampoline_kernelINS0_14default_configENS1_38merge_sort_block_merge_config_selectorItNS0_10empty_typeEEEZZNS1_27merge_sort_block_merge_implIS3_PtPS5_jNS1_19radix_merge_compareILb1ELb0EtNS0_19identity_decomposerEEEEE10hipError_tT0_T1_T2_jT3_P12ihipStream_tbPNSt15iterator_traitsISE_E10value_typeEPNSK_ISF_E10value_typeEPSG_NS1_7vsmem_tEENKUlT_SE_SF_SG_E_clIS8_S8_S9_S9_EESD_ST_SE_SF_SG_EUlST_E0_NS1_11comp_targetILNS1_3genE8ELNS1_11target_archE1030ELNS1_3gpuE2ELNS1_3repE0EEENS1_38merge_mergepath_config_static_selectorELNS0_4arch9wavefront6targetE1EEEvSF_ ; -- Begin function _ZN7rocprim17ROCPRIM_400000_NS6detail17trampoline_kernelINS0_14default_configENS1_38merge_sort_block_merge_config_selectorItNS0_10empty_typeEEEZZNS1_27merge_sort_block_merge_implIS3_PtPS5_jNS1_19radix_merge_compareILb1ELb0EtNS0_19identity_decomposerEEEEE10hipError_tT0_T1_T2_jT3_P12ihipStream_tbPNSt15iterator_traitsISE_E10value_typeEPNSK_ISF_E10value_typeEPSG_NS1_7vsmem_tEENKUlT_SE_SF_SG_E_clIS8_S8_S9_S9_EESD_ST_SE_SF_SG_EUlST_E0_NS1_11comp_targetILNS1_3genE8ELNS1_11target_archE1030ELNS1_3gpuE2ELNS1_3repE0EEENS1_38merge_mergepath_config_static_selectorELNS0_4arch9wavefront6targetE1EEEvSF_
	.globl	_ZN7rocprim17ROCPRIM_400000_NS6detail17trampoline_kernelINS0_14default_configENS1_38merge_sort_block_merge_config_selectorItNS0_10empty_typeEEEZZNS1_27merge_sort_block_merge_implIS3_PtPS5_jNS1_19radix_merge_compareILb1ELb0EtNS0_19identity_decomposerEEEEE10hipError_tT0_T1_T2_jT3_P12ihipStream_tbPNSt15iterator_traitsISE_E10value_typeEPNSK_ISF_E10value_typeEPSG_NS1_7vsmem_tEENKUlT_SE_SF_SG_E_clIS8_S8_S9_S9_EESD_ST_SE_SF_SG_EUlST_E0_NS1_11comp_targetILNS1_3genE8ELNS1_11target_archE1030ELNS1_3gpuE2ELNS1_3repE0EEENS1_38merge_mergepath_config_static_selectorELNS0_4arch9wavefront6targetE1EEEvSF_
	.p2align	8
	.type	_ZN7rocprim17ROCPRIM_400000_NS6detail17trampoline_kernelINS0_14default_configENS1_38merge_sort_block_merge_config_selectorItNS0_10empty_typeEEEZZNS1_27merge_sort_block_merge_implIS3_PtPS5_jNS1_19radix_merge_compareILb1ELb0EtNS0_19identity_decomposerEEEEE10hipError_tT0_T1_T2_jT3_P12ihipStream_tbPNSt15iterator_traitsISE_E10value_typeEPNSK_ISF_E10value_typeEPSG_NS1_7vsmem_tEENKUlT_SE_SF_SG_E_clIS8_S8_S9_S9_EESD_ST_SE_SF_SG_EUlST_E0_NS1_11comp_targetILNS1_3genE8ELNS1_11target_archE1030ELNS1_3gpuE2ELNS1_3repE0EEENS1_38merge_mergepath_config_static_selectorELNS0_4arch9wavefront6targetE1EEEvSF_,@function
_ZN7rocprim17ROCPRIM_400000_NS6detail17trampoline_kernelINS0_14default_configENS1_38merge_sort_block_merge_config_selectorItNS0_10empty_typeEEEZZNS1_27merge_sort_block_merge_implIS3_PtPS5_jNS1_19radix_merge_compareILb1ELb0EtNS0_19identity_decomposerEEEEE10hipError_tT0_T1_T2_jT3_P12ihipStream_tbPNSt15iterator_traitsISE_E10value_typeEPNSK_ISF_E10value_typeEPSG_NS1_7vsmem_tEENKUlT_SE_SF_SG_E_clIS8_S8_S9_S9_EESD_ST_SE_SF_SG_EUlST_E0_NS1_11comp_targetILNS1_3genE8ELNS1_11target_archE1030ELNS1_3gpuE2ELNS1_3repE0EEENS1_38merge_mergepath_config_static_selectorELNS0_4arch9wavefront6targetE1EEEvSF_: ; @_ZN7rocprim17ROCPRIM_400000_NS6detail17trampoline_kernelINS0_14default_configENS1_38merge_sort_block_merge_config_selectorItNS0_10empty_typeEEEZZNS1_27merge_sort_block_merge_implIS3_PtPS5_jNS1_19radix_merge_compareILb1ELb0EtNS0_19identity_decomposerEEEEE10hipError_tT0_T1_T2_jT3_P12ihipStream_tbPNSt15iterator_traitsISE_E10value_typeEPNSK_ISF_E10value_typeEPSG_NS1_7vsmem_tEENKUlT_SE_SF_SG_E_clIS8_S8_S9_S9_EESD_ST_SE_SF_SG_EUlST_E0_NS1_11comp_targetILNS1_3genE8ELNS1_11target_archE1030ELNS1_3gpuE2ELNS1_3repE0EEENS1_38merge_mergepath_config_static_selectorELNS0_4arch9wavefront6targetE1EEEvSF_
; %bb.0:
	.section	.rodata,"a",@progbits
	.p2align	6, 0x0
	.amdhsa_kernel _ZN7rocprim17ROCPRIM_400000_NS6detail17trampoline_kernelINS0_14default_configENS1_38merge_sort_block_merge_config_selectorItNS0_10empty_typeEEEZZNS1_27merge_sort_block_merge_implIS3_PtPS5_jNS1_19radix_merge_compareILb1ELb0EtNS0_19identity_decomposerEEEEE10hipError_tT0_T1_T2_jT3_P12ihipStream_tbPNSt15iterator_traitsISE_E10value_typeEPNSK_ISF_E10value_typeEPSG_NS1_7vsmem_tEENKUlT_SE_SF_SG_E_clIS8_S8_S9_S9_EESD_ST_SE_SF_SG_EUlST_E0_NS1_11comp_targetILNS1_3genE8ELNS1_11target_archE1030ELNS1_3gpuE2ELNS1_3repE0EEENS1_38merge_mergepath_config_static_selectorELNS0_4arch9wavefront6targetE1EEEvSF_
		.amdhsa_group_segment_fixed_size 0
		.amdhsa_private_segment_fixed_size 0
		.amdhsa_kernarg_size 64
		.amdhsa_user_sgpr_count 6
		.amdhsa_user_sgpr_private_segment_buffer 1
		.amdhsa_user_sgpr_dispatch_ptr 0
		.amdhsa_user_sgpr_queue_ptr 0
		.amdhsa_user_sgpr_kernarg_segment_ptr 1
		.amdhsa_user_sgpr_dispatch_id 0
		.amdhsa_user_sgpr_flat_scratch_init 0
		.amdhsa_user_sgpr_kernarg_preload_length 0
		.amdhsa_user_sgpr_kernarg_preload_offset 0
		.amdhsa_user_sgpr_private_segment_size 0
		.amdhsa_uses_dynamic_stack 0
		.amdhsa_system_sgpr_private_segment_wavefront_offset 0
		.amdhsa_system_sgpr_workgroup_id_x 1
		.amdhsa_system_sgpr_workgroup_id_y 0
		.amdhsa_system_sgpr_workgroup_id_z 0
		.amdhsa_system_sgpr_workgroup_info 0
		.amdhsa_system_vgpr_workitem_id 0
		.amdhsa_next_free_vgpr 1
		.amdhsa_next_free_sgpr 0
		.amdhsa_accum_offset 4
		.amdhsa_reserve_vcc 0
		.amdhsa_reserve_flat_scratch 0
		.amdhsa_float_round_mode_32 0
		.amdhsa_float_round_mode_16_64 0
		.amdhsa_float_denorm_mode_32 3
		.amdhsa_float_denorm_mode_16_64 3
		.amdhsa_dx10_clamp 1
		.amdhsa_ieee_mode 1
		.amdhsa_fp16_overflow 0
		.amdhsa_tg_split 0
		.amdhsa_exception_fp_ieee_invalid_op 0
		.amdhsa_exception_fp_denorm_src 0
		.amdhsa_exception_fp_ieee_div_zero 0
		.amdhsa_exception_fp_ieee_overflow 0
		.amdhsa_exception_fp_ieee_underflow 0
		.amdhsa_exception_fp_ieee_inexact 0
		.amdhsa_exception_int_div_zero 0
	.end_amdhsa_kernel
	.section	.text._ZN7rocprim17ROCPRIM_400000_NS6detail17trampoline_kernelINS0_14default_configENS1_38merge_sort_block_merge_config_selectorItNS0_10empty_typeEEEZZNS1_27merge_sort_block_merge_implIS3_PtPS5_jNS1_19radix_merge_compareILb1ELb0EtNS0_19identity_decomposerEEEEE10hipError_tT0_T1_T2_jT3_P12ihipStream_tbPNSt15iterator_traitsISE_E10value_typeEPNSK_ISF_E10value_typeEPSG_NS1_7vsmem_tEENKUlT_SE_SF_SG_E_clIS8_S8_S9_S9_EESD_ST_SE_SF_SG_EUlST_E0_NS1_11comp_targetILNS1_3genE8ELNS1_11target_archE1030ELNS1_3gpuE2ELNS1_3repE0EEENS1_38merge_mergepath_config_static_selectorELNS0_4arch9wavefront6targetE1EEEvSF_,"axG",@progbits,_ZN7rocprim17ROCPRIM_400000_NS6detail17trampoline_kernelINS0_14default_configENS1_38merge_sort_block_merge_config_selectorItNS0_10empty_typeEEEZZNS1_27merge_sort_block_merge_implIS3_PtPS5_jNS1_19radix_merge_compareILb1ELb0EtNS0_19identity_decomposerEEEEE10hipError_tT0_T1_T2_jT3_P12ihipStream_tbPNSt15iterator_traitsISE_E10value_typeEPNSK_ISF_E10value_typeEPSG_NS1_7vsmem_tEENKUlT_SE_SF_SG_E_clIS8_S8_S9_S9_EESD_ST_SE_SF_SG_EUlST_E0_NS1_11comp_targetILNS1_3genE8ELNS1_11target_archE1030ELNS1_3gpuE2ELNS1_3repE0EEENS1_38merge_mergepath_config_static_selectorELNS0_4arch9wavefront6targetE1EEEvSF_,comdat
.Lfunc_end1868:
	.size	_ZN7rocprim17ROCPRIM_400000_NS6detail17trampoline_kernelINS0_14default_configENS1_38merge_sort_block_merge_config_selectorItNS0_10empty_typeEEEZZNS1_27merge_sort_block_merge_implIS3_PtPS5_jNS1_19radix_merge_compareILb1ELb0EtNS0_19identity_decomposerEEEEE10hipError_tT0_T1_T2_jT3_P12ihipStream_tbPNSt15iterator_traitsISE_E10value_typeEPNSK_ISF_E10value_typeEPSG_NS1_7vsmem_tEENKUlT_SE_SF_SG_E_clIS8_S8_S9_S9_EESD_ST_SE_SF_SG_EUlST_E0_NS1_11comp_targetILNS1_3genE8ELNS1_11target_archE1030ELNS1_3gpuE2ELNS1_3repE0EEENS1_38merge_mergepath_config_static_selectorELNS0_4arch9wavefront6targetE1EEEvSF_, .Lfunc_end1868-_ZN7rocprim17ROCPRIM_400000_NS6detail17trampoline_kernelINS0_14default_configENS1_38merge_sort_block_merge_config_selectorItNS0_10empty_typeEEEZZNS1_27merge_sort_block_merge_implIS3_PtPS5_jNS1_19radix_merge_compareILb1ELb0EtNS0_19identity_decomposerEEEEE10hipError_tT0_T1_T2_jT3_P12ihipStream_tbPNSt15iterator_traitsISE_E10value_typeEPNSK_ISF_E10value_typeEPSG_NS1_7vsmem_tEENKUlT_SE_SF_SG_E_clIS8_S8_S9_S9_EESD_ST_SE_SF_SG_EUlST_E0_NS1_11comp_targetILNS1_3genE8ELNS1_11target_archE1030ELNS1_3gpuE2ELNS1_3repE0EEENS1_38merge_mergepath_config_static_selectorELNS0_4arch9wavefront6targetE1EEEvSF_
                                        ; -- End function
	.section	.AMDGPU.csdata,"",@progbits
; Kernel info:
; codeLenInByte = 0
; NumSgprs: 4
; NumVgprs: 0
; NumAgprs: 0
; TotalNumVgprs: 0
; ScratchSize: 0
; MemoryBound: 0
; FloatMode: 240
; IeeeMode: 1
; LDSByteSize: 0 bytes/workgroup (compile time only)
; SGPRBlocks: 0
; VGPRBlocks: 0
; NumSGPRsForWavesPerEU: 4
; NumVGPRsForWavesPerEU: 1
; AccumOffset: 4
; Occupancy: 8
; WaveLimiterHint : 0
; COMPUTE_PGM_RSRC2:SCRATCH_EN: 0
; COMPUTE_PGM_RSRC2:USER_SGPR: 6
; COMPUTE_PGM_RSRC2:TRAP_HANDLER: 0
; COMPUTE_PGM_RSRC2:TGID_X_EN: 1
; COMPUTE_PGM_RSRC2:TGID_Y_EN: 0
; COMPUTE_PGM_RSRC2:TGID_Z_EN: 0
; COMPUTE_PGM_RSRC2:TIDIG_COMP_CNT: 0
; COMPUTE_PGM_RSRC3_GFX90A:ACCUM_OFFSET: 0
; COMPUTE_PGM_RSRC3_GFX90A:TG_SPLIT: 0
	.section	.text._ZN7rocprim17ROCPRIM_400000_NS6detail17trampoline_kernelINS0_14default_configENS1_38merge_sort_block_merge_config_selectorItNS0_10empty_typeEEEZZNS1_27merge_sort_block_merge_implIS3_PtPS5_jNS1_19radix_merge_compareILb1ELb0EtNS0_19identity_decomposerEEEEE10hipError_tT0_T1_T2_jT3_P12ihipStream_tbPNSt15iterator_traitsISE_E10value_typeEPNSK_ISF_E10value_typeEPSG_NS1_7vsmem_tEENKUlT_SE_SF_SG_E_clIS8_S8_S9_S9_EESD_ST_SE_SF_SG_EUlST_E1_NS1_11comp_targetILNS1_3genE0ELNS1_11target_archE4294967295ELNS1_3gpuE0ELNS1_3repE0EEENS1_36merge_oddeven_config_static_selectorELNS0_4arch9wavefront6targetE1EEEvSF_,"axG",@progbits,_ZN7rocprim17ROCPRIM_400000_NS6detail17trampoline_kernelINS0_14default_configENS1_38merge_sort_block_merge_config_selectorItNS0_10empty_typeEEEZZNS1_27merge_sort_block_merge_implIS3_PtPS5_jNS1_19radix_merge_compareILb1ELb0EtNS0_19identity_decomposerEEEEE10hipError_tT0_T1_T2_jT3_P12ihipStream_tbPNSt15iterator_traitsISE_E10value_typeEPNSK_ISF_E10value_typeEPSG_NS1_7vsmem_tEENKUlT_SE_SF_SG_E_clIS8_S8_S9_S9_EESD_ST_SE_SF_SG_EUlST_E1_NS1_11comp_targetILNS1_3genE0ELNS1_11target_archE4294967295ELNS1_3gpuE0ELNS1_3repE0EEENS1_36merge_oddeven_config_static_selectorELNS0_4arch9wavefront6targetE1EEEvSF_,comdat
	.protected	_ZN7rocprim17ROCPRIM_400000_NS6detail17trampoline_kernelINS0_14default_configENS1_38merge_sort_block_merge_config_selectorItNS0_10empty_typeEEEZZNS1_27merge_sort_block_merge_implIS3_PtPS5_jNS1_19radix_merge_compareILb1ELb0EtNS0_19identity_decomposerEEEEE10hipError_tT0_T1_T2_jT3_P12ihipStream_tbPNSt15iterator_traitsISE_E10value_typeEPNSK_ISF_E10value_typeEPSG_NS1_7vsmem_tEENKUlT_SE_SF_SG_E_clIS8_S8_S9_S9_EESD_ST_SE_SF_SG_EUlST_E1_NS1_11comp_targetILNS1_3genE0ELNS1_11target_archE4294967295ELNS1_3gpuE0ELNS1_3repE0EEENS1_36merge_oddeven_config_static_selectorELNS0_4arch9wavefront6targetE1EEEvSF_ ; -- Begin function _ZN7rocprim17ROCPRIM_400000_NS6detail17trampoline_kernelINS0_14default_configENS1_38merge_sort_block_merge_config_selectorItNS0_10empty_typeEEEZZNS1_27merge_sort_block_merge_implIS3_PtPS5_jNS1_19radix_merge_compareILb1ELb0EtNS0_19identity_decomposerEEEEE10hipError_tT0_T1_T2_jT3_P12ihipStream_tbPNSt15iterator_traitsISE_E10value_typeEPNSK_ISF_E10value_typeEPSG_NS1_7vsmem_tEENKUlT_SE_SF_SG_E_clIS8_S8_S9_S9_EESD_ST_SE_SF_SG_EUlST_E1_NS1_11comp_targetILNS1_3genE0ELNS1_11target_archE4294967295ELNS1_3gpuE0ELNS1_3repE0EEENS1_36merge_oddeven_config_static_selectorELNS0_4arch9wavefront6targetE1EEEvSF_
	.globl	_ZN7rocprim17ROCPRIM_400000_NS6detail17trampoline_kernelINS0_14default_configENS1_38merge_sort_block_merge_config_selectorItNS0_10empty_typeEEEZZNS1_27merge_sort_block_merge_implIS3_PtPS5_jNS1_19radix_merge_compareILb1ELb0EtNS0_19identity_decomposerEEEEE10hipError_tT0_T1_T2_jT3_P12ihipStream_tbPNSt15iterator_traitsISE_E10value_typeEPNSK_ISF_E10value_typeEPSG_NS1_7vsmem_tEENKUlT_SE_SF_SG_E_clIS8_S8_S9_S9_EESD_ST_SE_SF_SG_EUlST_E1_NS1_11comp_targetILNS1_3genE0ELNS1_11target_archE4294967295ELNS1_3gpuE0ELNS1_3repE0EEENS1_36merge_oddeven_config_static_selectorELNS0_4arch9wavefront6targetE1EEEvSF_
	.p2align	8
	.type	_ZN7rocprim17ROCPRIM_400000_NS6detail17trampoline_kernelINS0_14default_configENS1_38merge_sort_block_merge_config_selectorItNS0_10empty_typeEEEZZNS1_27merge_sort_block_merge_implIS3_PtPS5_jNS1_19radix_merge_compareILb1ELb0EtNS0_19identity_decomposerEEEEE10hipError_tT0_T1_T2_jT3_P12ihipStream_tbPNSt15iterator_traitsISE_E10value_typeEPNSK_ISF_E10value_typeEPSG_NS1_7vsmem_tEENKUlT_SE_SF_SG_E_clIS8_S8_S9_S9_EESD_ST_SE_SF_SG_EUlST_E1_NS1_11comp_targetILNS1_3genE0ELNS1_11target_archE4294967295ELNS1_3gpuE0ELNS1_3repE0EEENS1_36merge_oddeven_config_static_selectorELNS0_4arch9wavefront6targetE1EEEvSF_,@function
_ZN7rocprim17ROCPRIM_400000_NS6detail17trampoline_kernelINS0_14default_configENS1_38merge_sort_block_merge_config_selectorItNS0_10empty_typeEEEZZNS1_27merge_sort_block_merge_implIS3_PtPS5_jNS1_19radix_merge_compareILb1ELb0EtNS0_19identity_decomposerEEEEE10hipError_tT0_T1_T2_jT3_P12ihipStream_tbPNSt15iterator_traitsISE_E10value_typeEPNSK_ISF_E10value_typeEPSG_NS1_7vsmem_tEENKUlT_SE_SF_SG_E_clIS8_S8_S9_S9_EESD_ST_SE_SF_SG_EUlST_E1_NS1_11comp_targetILNS1_3genE0ELNS1_11target_archE4294967295ELNS1_3gpuE0ELNS1_3repE0EEENS1_36merge_oddeven_config_static_selectorELNS0_4arch9wavefront6targetE1EEEvSF_: ; @_ZN7rocprim17ROCPRIM_400000_NS6detail17trampoline_kernelINS0_14default_configENS1_38merge_sort_block_merge_config_selectorItNS0_10empty_typeEEEZZNS1_27merge_sort_block_merge_implIS3_PtPS5_jNS1_19radix_merge_compareILb1ELb0EtNS0_19identity_decomposerEEEEE10hipError_tT0_T1_T2_jT3_P12ihipStream_tbPNSt15iterator_traitsISE_E10value_typeEPNSK_ISF_E10value_typeEPSG_NS1_7vsmem_tEENKUlT_SE_SF_SG_E_clIS8_S8_S9_S9_EESD_ST_SE_SF_SG_EUlST_E1_NS1_11comp_targetILNS1_3genE0ELNS1_11target_archE4294967295ELNS1_3gpuE0ELNS1_3repE0EEENS1_36merge_oddeven_config_static_selectorELNS0_4arch9wavefront6targetE1EEEvSF_
; %bb.0:
	.section	.rodata,"a",@progbits
	.p2align	6, 0x0
	.amdhsa_kernel _ZN7rocprim17ROCPRIM_400000_NS6detail17trampoline_kernelINS0_14default_configENS1_38merge_sort_block_merge_config_selectorItNS0_10empty_typeEEEZZNS1_27merge_sort_block_merge_implIS3_PtPS5_jNS1_19radix_merge_compareILb1ELb0EtNS0_19identity_decomposerEEEEE10hipError_tT0_T1_T2_jT3_P12ihipStream_tbPNSt15iterator_traitsISE_E10value_typeEPNSK_ISF_E10value_typeEPSG_NS1_7vsmem_tEENKUlT_SE_SF_SG_E_clIS8_S8_S9_S9_EESD_ST_SE_SF_SG_EUlST_E1_NS1_11comp_targetILNS1_3genE0ELNS1_11target_archE4294967295ELNS1_3gpuE0ELNS1_3repE0EEENS1_36merge_oddeven_config_static_selectorELNS0_4arch9wavefront6targetE1EEEvSF_
		.amdhsa_group_segment_fixed_size 0
		.amdhsa_private_segment_fixed_size 0
		.amdhsa_kernarg_size 48
		.amdhsa_user_sgpr_count 6
		.amdhsa_user_sgpr_private_segment_buffer 1
		.amdhsa_user_sgpr_dispatch_ptr 0
		.amdhsa_user_sgpr_queue_ptr 0
		.amdhsa_user_sgpr_kernarg_segment_ptr 1
		.amdhsa_user_sgpr_dispatch_id 0
		.amdhsa_user_sgpr_flat_scratch_init 0
		.amdhsa_user_sgpr_kernarg_preload_length 0
		.amdhsa_user_sgpr_kernarg_preload_offset 0
		.amdhsa_user_sgpr_private_segment_size 0
		.amdhsa_uses_dynamic_stack 0
		.amdhsa_system_sgpr_private_segment_wavefront_offset 0
		.amdhsa_system_sgpr_workgroup_id_x 1
		.amdhsa_system_sgpr_workgroup_id_y 0
		.amdhsa_system_sgpr_workgroup_id_z 0
		.amdhsa_system_sgpr_workgroup_info 0
		.amdhsa_system_vgpr_workitem_id 0
		.amdhsa_next_free_vgpr 1
		.amdhsa_next_free_sgpr 0
		.amdhsa_accum_offset 4
		.amdhsa_reserve_vcc 0
		.amdhsa_reserve_flat_scratch 0
		.amdhsa_float_round_mode_32 0
		.amdhsa_float_round_mode_16_64 0
		.amdhsa_float_denorm_mode_32 3
		.amdhsa_float_denorm_mode_16_64 3
		.amdhsa_dx10_clamp 1
		.amdhsa_ieee_mode 1
		.amdhsa_fp16_overflow 0
		.amdhsa_tg_split 0
		.amdhsa_exception_fp_ieee_invalid_op 0
		.amdhsa_exception_fp_denorm_src 0
		.amdhsa_exception_fp_ieee_div_zero 0
		.amdhsa_exception_fp_ieee_overflow 0
		.amdhsa_exception_fp_ieee_underflow 0
		.amdhsa_exception_fp_ieee_inexact 0
		.amdhsa_exception_int_div_zero 0
	.end_amdhsa_kernel
	.section	.text._ZN7rocprim17ROCPRIM_400000_NS6detail17trampoline_kernelINS0_14default_configENS1_38merge_sort_block_merge_config_selectorItNS0_10empty_typeEEEZZNS1_27merge_sort_block_merge_implIS3_PtPS5_jNS1_19radix_merge_compareILb1ELb0EtNS0_19identity_decomposerEEEEE10hipError_tT0_T1_T2_jT3_P12ihipStream_tbPNSt15iterator_traitsISE_E10value_typeEPNSK_ISF_E10value_typeEPSG_NS1_7vsmem_tEENKUlT_SE_SF_SG_E_clIS8_S8_S9_S9_EESD_ST_SE_SF_SG_EUlST_E1_NS1_11comp_targetILNS1_3genE0ELNS1_11target_archE4294967295ELNS1_3gpuE0ELNS1_3repE0EEENS1_36merge_oddeven_config_static_selectorELNS0_4arch9wavefront6targetE1EEEvSF_,"axG",@progbits,_ZN7rocprim17ROCPRIM_400000_NS6detail17trampoline_kernelINS0_14default_configENS1_38merge_sort_block_merge_config_selectorItNS0_10empty_typeEEEZZNS1_27merge_sort_block_merge_implIS3_PtPS5_jNS1_19radix_merge_compareILb1ELb0EtNS0_19identity_decomposerEEEEE10hipError_tT0_T1_T2_jT3_P12ihipStream_tbPNSt15iterator_traitsISE_E10value_typeEPNSK_ISF_E10value_typeEPSG_NS1_7vsmem_tEENKUlT_SE_SF_SG_E_clIS8_S8_S9_S9_EESD_ST_SE_SF_SG_EUlST_E1_NS1_11comp_targetILNS1_3genE0ELNS1_11target_archE4294967295ELNS1_3gpuE0ELNS1_3repE0EEENS1_36merge_oddeven_config_static_selectorELNS0_4arch9wavefront6targetE1EEEvSF_,comdat
.Lfunc_end1869:
	.size	_ZN7rocprim17ROCPRIM_400000_NS6detail17trampoline_kernelINS0_14default_configENS1_38merge_sort_block_merge_config_selectorItNS0_10empty_typeEEEZZNS1_27merge_sort_block_merge_implIS3_PtPS5_jNS1_19radix_merge_compareILb1ELb0EtNS0_19identity_decomposerEEEEE10hipError_tT0_T1_T2_jT3_P12ihipStream_tbPNSt15iterator_traitsISE_E10value_typeEPNSK_ISF_E10value_typeEPSG_NS1_7vsmem_tEENKUlT_SE_SF_SG_E_clIS8_S8_S9_S9_EESD_ST_SE_SF_SG_EUlST_E1_NS1_11comp_targetILNS1_3genE0ELNS1_11target_archE4294967295ELNS1_3gpuE0ELNS1_3repE0EEENS1_36merge_oddeven_config_static_selectorELNS0_4arch9wavefront6targetE1EEEvSF_, .Lfunc_end1869-_ZN7rocprim17ROCPRIM_400000_NS6detail17trampoline_kernelINS0_14default_configENS1_38merge_sort_block_merge_config_selectorItNS0_10empty_typeEEEZZNS1_27merge_sort_block_merge_implIS3_PtPS5_jNS1_19radix_merge_compareILb1ELb0EtNS0_19identity_decomposerEEEEE10hipError_tT0_T1_T2_jT3_P12ihipStream_tbPNSt15iterator_traitsISE_E10value_typeEPNSK_ISF_E10value_typeEPSG_NS1_7vsmem_tEENKUlT_SE_SF_SG_E_clIS8_S8_S9_S9_EESD_ST_SE_SF_SG_EUlST_E1_NS1_11comp_targetILNS1_3genE0ELNS1_11target_archE4294967295ELNS1_3gpuE0ELNS1_3repE0EEENS1_36merge_oddeven_config_static_selectorELNS0_4arch9wavefront6targetE1EEEvSF_
                                        ; -- End function
	.section	.AMDGPU.csdata,"",@progbits
; Kernel info:
; codeLenInByte = 0
; NumSgprs: 4
; NumVgprs: 0
; NumAgprs: 0
; TotalNumVgprs: 0
; ScratchSize: 0
; MemoryBound: 0
; FloatMode: 240
; IeeeMode: 1
; LDSByteSize: 0 bytes/workgroup (compile time only)
; SGPRBlocks: 0
; VGPRBlocks: 0
; NumSGPRsForWavesPerEU: 4
; NumVGPRsForWavesPerEU: 1
; AccumOffset: 4
; Occupancy: 8
; WaveLimiterHint : 0
; COMPUTE_PGM_RSRC2:SCRATCH_EN: 0
; COMPUTE_PGM_RSRC2:USER_SGPR: 6
; COMPUTE_PGM_RSRC2:TRAP_HANDLER: 0
; COMPUTE_PGM_RSRC2:TGID_X_EN: 1
; COMPUTE_PGM_RSRC2:TGID_Y_EN: 0
; COMPUTE_PGM_RSRC2:TGID_Z_EN: 0
; COMPUTE_PGM_RSRC2:TIDIG_COMP_CNT: 0
; COMPUTE_PGM_RSRC3_GFX90A:ACCUM_OFFSET: 0
; COMPUTE_PGM_RSRC3_GFX90A:TG_SPLIT: 0
	.section	.text._ZN7rocprim17ROCPRIM_400000_NS6detail17trampoline_kernelINS0_14default_configENS1_38merge_sort_block_merge_config_selectorItNS0_10empty_typeEEEZZNS1_27merge_sort_block_merge_implIS3_PtPS5_jNS1_19radix_merge_compareILb1ELb0EtNS0_19identity_decomposerEEEEE10hipError_tT0_T1_T2_jT3_P12ihipStream_tbPNSt15iterator_traitsISE_E10value_typeEPNSK_ISF_E10value_typeEPSG_NS1_7vsmem_tEENKUlT_SE_SF_SG_E_clIS8_S8_S9_S9_EESD_ST_SE_SF_SG_EUlST_E1_NS1_11comp_targetILNS1_3genE10ELNS1_11target_archE1201ELNS1_3gpuE5ELNS1_3repE0EEENS1_36merge_oddeven_config_static_selectorELNS0_4arch9wavefront6targetE1EEEvSF_,"axG",@progbits,_ZN7rocprim17ROCPRIM_400000_NS6detail17trampoline_kernelINS0_14default_configENS1_38merge_sort_block_merge_config_selectorItNS0_10empty_typeEEEZZNS1_27merge_sort_block_merge_implIS3_PtPS5_jNS1_19radix_merge_compareILb1ELb0EtNS0_19identity_decomposerEEEEE10hipError_tT0_T1_T2_jT3_P12ihipStream_tbPNSt15iterator_traitsISE_E10value_typeEPNSK_ISF_E10value_typeEPSG_NS1_7vsmem_tEENKUlT_SE_SF_SG_E_clIS8_S8_S9_S9_EESD_ST_SE_SF_SG_EUlST_E1_NS1_11comp_targetILNS1_3genE10ELNS1_11target_archE1201ELNS1_3gpuE5ELNS1_3repE0EEENS1_36merge_oddeven_config_static_selectorELNS0_4arch9wavefront6targetE1EEEvSF_,comdat
	.protected	_ZN7rocprim17ROCPRIM_400000_NS6detail17trampoline_kernelINS0_14default_configENS1_38merge_sort_block_merge_config_selectorItNS0_10empty_typeEEEZZNS1_27merge_sort_block_merge_implIS3_PtPS5_jNS1_19radix_merge_compareILb1ELb0EtNS0_19identity_decomposerEEEEE10hipError_tT0_T1_T2_jT3_P12ihipStream_tbPNSt15iterator_traitsISE_E10value_typeEPNSK_ISF_E10value_typeEPSG_NS1_7vsmem_tEENKUlT_SE_SF_SG_E_clIS8_S8_S9_S9_EESD_ST_SE_SF_SG_EUlST_E1_NS1_11comp_targetILNS1_3genE10ELNS1_11target_archE1201ELNS1_3gpuE5ELNS1_3repE0EEENS1_36merge_oddeven_config_static_selectorELNS0_4arch9wavefront6targetE1EEEvSF_ ; -- Begin function _ZN7rocprim17ROCPRIM_400000_NS6detail17trampoline_kernelINS0_14default_configENS1_38merge_sort_block_merge_config_selectorItNS0_10empty_typeEEEZZNS1_27merge_sort_block_merge_implIS3_PtPS5_jNS1_19radix_merge_compareILb1ELb0EtNS0_19identity_decomposerEEEEE10hipError_tT0_T1_T2_jT3_P12ihipStream_tbPNSt15iterator_traitsISE_E10value_typeEPNSK_ISF_E10value_typeEPSG_NS1_7vsmem_tEENKUlT_SE_SF_SG_E_clIS8_S8_S9_S9_EESD_ST_SE_SF_SG_EUlST_E1_NS1_11comp_targetILNS1_3genE10ELNS1_11target_archE1201ELNS1_3gpuE5ELNS1_3repE0EEENS1_36merge_oddeven_config_static_selectorELNS0_4arch9wavefront6targetE1EEEvSF_
	.globl	_ZN7rocprim17ROCPRIM_400000_NS6detail17trampoline_kernelINS0_14default_configENS1_38merge_sort_block_merge_config_selectorItNS0_10empty_typeEEEZZNS1_27merge_sort_block_merge_implIS3_PtPS5_jNS1_19radix_merge_compareILb1ELb0EtNS0_19identity_decomposerEEEEE10hipError_tT0_T1_T2_jT3_P12ihipStream_tbPNSt15iterator_traitsISE_E10value_typeEPNSK_ISF_E10value_typeEPSG_NS1_7vsmem_tEENKUlT_SE_SF_SG_E_clIS8_S8_S9_S9_EESD_ST_SE_SF_SG_EUlST_E1_NS1_11comp_targetILNS1_3genE10ELNS1_11target_archE1201ELNS1_3gpuE5ELNS1_3repE0EEENS1_36merge_oddeven_config_static_selectorELNS0_4arch9wavefront6targetE1EEEvSF_
	.p2align	8
	.type	_ZN7rocprim17ROCPRIM_400000_NS6detail17trampoline_kernelINS0_14default_configENS1_38merge_sort_block_merge_config_selectorItNS0_10empty_typeEEEZZNS1_27merge_sort_block_merge_implIS3_PtPS5_jNS1_19radix_merge_compareILb1ELb0EtNS0_19identity_decomposerEEEEE10hipError_tT0_T1_T2_jT3_P12ihipStream_tbPNSt15iterator_traitsISE_E10value_typeEPNSK_ISF_E10value_typeEPSG_NS1_7vsmem_tEENKUlT_SE_SF_SG_E_clIS8_S8_S9_S9_EESD_ST_SE_SF_SG_EUlST_E1_NS1_11comp_targetILNS1_3genE10ELNS1_11target_archE1201ELNS1_3gpuE5ELNS1_3repE0EEENS1_36merge_oddeven_config_static_selectorELNS0_4arch9wavefront6targetE1EEEvSF_,@function
_ZN7rocprim17ROCPRIM_400000_NS6detail17trampoline_kernelINS0_14default_configENS1_38merge_sort_block_merge_config_selectorItNS0_10empty_typeEEEZZNS1_27merge_sort_block_merge_implIS3_PtPS5_jNS1_19radix_merge_compareILb1ELb0EtNS0_19identity_decomposerEEEEE10hipError_tT0_T1_T2_jT3_P12ihipStream_tbPNSt15iterator_traitsISE_E10value_typeEPNSK_ISF_E10value_typeEPSG_NS1_7vsmem_tEENKUlT_SE_SF_SG_E_clIS8_S8_S9_S9_EESD_ST_SE_SF_SG_EUlST_E1_NS1_11comp_targetILNS1_3genE10ELNS1_11target_archE1201ELNS1_3gpuE5ELNS1_3repE0EEENS1_36merge_oddeven_config_static_selectorELNS0_4arch9wavefront6targetE1EEEvSF_: ; @_ZN7rocprim17ROCPRIM_400000_NS6detail17trampoline_kernelINS0_14default_configENS1_38merge_sort_block_merge_config_selectorItNS0_10empty_typeEEEZZNS1_27merge_sort_block_merge_implIS3_PtPS5_jNS1_19radix_merge_compareILb1ELb0EtNS0_19identity_decomposerEEEEE10hipError_tT0_T1_T2_jT3_P12ihipStream_tbPNSt15iterator_traitsISE_E10value_typeEPNSK_ISF_E10value_typeEPSG_NS1_7vsmem_tEENKUlT_SE_SF_SG_E_clIS8_S8_S9_S9_EESD_ST_SE_SF_SG_EUlST_E1_NS1_11comp_targetILNS1_3genE10ELNS1_11target_archE1201ELNS1_3gpuE5ELNS1_3repE0EEENS1_36merge_oddeven_config_static_selectorELNS0_4arch9wavefront6targetE1EEEvSF_
; %bb.0:
	.section	.rodata,"a",@progbits
	.p2align	6, 0x0
	.amdhsa_kernel _ZN7rocprim17ROCPRIM_400000_NS6detail17trampoline_kernelINS0_14default_configENS1_38merge_sort_block_merge_config_selectorItNS0_10empty_typeEEEZZNS1_27merge_sort_block_merge_implIS3_PtPS5_jNS1_19radix_merge_compareILb1ELb0EtNS0_19identity_decomposerEEEEE10hipError_tT0_T1_T2_jT3_P12ihipStream_tbPNSt15iterator_traitsISE_E10value_typeEPNSK_ISF_E10value_typeEPSG_NS1_7vsmem_tEENKUlT_SE_SF_SG_E_clIS8_S8_S9_S9_EESD_ST_SE_SF_SG_EUlST_E1_NS1_11comp_targetILNS1_3genE10ELNS1_11target_archE1201ELNS1_3gpuE5ELNS1_3repE0EEENS1_36merge_oddeven_config_static_selectorELNS0_4arch9wavefront6targetE1EEEvSF_
		.amdhsa_group_segment_fixed_size 0
		.amdhsa_private_segment_fixed_size 0
		.amdhsa_kernarg_size 48
		.amdhsa_user_sgpr_count 6
		.amdhsa_user_sgpr_private_segment_buffer 1
		.amdhsa_user_sgpr_dispatch_ptr 0
		.amdhsa_user_sgpr_queue_ptr 0
		.amdhsa_user_sgpr_kernarg_segment_ptr 1
		.amdhsa_user_sgpr_dispatch_id 0
		.amdhsa_user_sgpr_flat_scratch_init 0
		.amdhsa_user_sgpr_kernarg_preload_length 0
		.amdhsa_user_sgpr_kernarg_preload_offset 0
		.amdhsa_user_sgpr_private_segment_size 0
		.amdhsa_uses_dynamic_stack 0
		.amdhsa_system_sgpr_private_segment_wavefront_offset 0
		.amdhsa_system_sgpr_workgroup_id_x 1
		.amdhsa_system_sgpr_workgroup_id_y 0
		.amdhsa_system_sgpr_workgroup_id_z 0
		.amdhsa_system_sgpr_workgroup_info 0
		.amdhsa_system_vgpr_workitem_id 0
		.amdhsa_next_free_vgpr 1
		.amdhsa_next_free_sgpr 0
		.amdhsa_accum_offset 4
		.amdhsa_reserve_vcc 0
		.amdhsa_reserve_flat_scratch 0
		.amdhsa_float_round_mode_32 0
		.amdhsa_float_round_mode_16_64 0
		.amdhsa_float_denorm_mode_32 3
		.amdhsa_float_denorm_mode_16_64 3
		.amdhsa_dx10_clamp 1
		.amdhsa_ieee_mode 1
		.amdhsa_fp16_overflow 0
		.amdhsa_tg_split 0
		.amdhsa_exception_fp_ieee_invalid_op 0
		.amdhsa_exception_fp_denorm_src 0
		.amdhsa_exception_fp_ieee_div_zero 0
		.amdhsa_exception_fp_ieee_overflow 0
		.amdhsa_exception_fp_ieee_underflow 0
		.amdhsa_exception_fp_ieee_inexact 0
		.amdhsa_exception_int_div_zero 0
	.end_amdhsa_kernel
	.section	.text._ZN7rocprim17ROCPRIM_400000_NS6detail17trampoline_kernelINS0_14default_configENS1_38merge_sort_block_merge_config_selectorItNS0_10empty_typeEEEZZNS1_27merge_sort_block_merge_implIS3_PtPS5_jNS1_19radix_merge_compareILb1ELb0EtNS0_19identity_decomposerEEEEE10hipError_tT0_T1_T2_jT3_P12ihipStream_tbPNSt15iterator_traitsISE_E10value_typeEPNSK_ISF_E10value_typeEPSG_NS1_7vsmem_tEENKUlT_SE_SF_SG_E_clIS8_S8_S9_S9_EESD_ST_SE_SF_SG_EUlST_E1_NS1_11comp_targetILNS1_3genE10ELNS1_11target_archE1201ELNS1_3gpuE5ELNS1_3repE0EEENS1_36merge_oddeven_config_static_selectorELNS0_4arch9wavefront6targetE1EEEvSF_,"axG",@progbits,_ZN7rocprim17ROCPRIM_400000_NS6detail17trampoline_kernelINS0_14default_configENS1_38merge_sort_block_merge_config_selectorItNS0_10empty_typeEEEZZNS1_27merge_sort_block_merge_implIS3_PtPS5_jNS1_19radix_merge_compareILb1ELb0EtNS0_19identity_decomposerEEEEE10hipError_tT0_T1_T2_jT3_P12ihipStream_tbPNSt15iterator_traitsISE_E10value_typeEPNSK_ISF_E10value_typeEPSG_NS1_7vsmem_tEENKUlT_SE_SF_SG_E_clIS8_S8_S9_S9_EESD_ST_SE_SF_SG_EUlST_E1_NS1_11comp_targetILNS1_3genE10ELNS1_11target_archE1201ELNS1_3gpuE5ELNS1_3repE0EEENS1_36merge_oddeven_config_static_selectorELNS0_4arch9wavefront6targetE1EEEvSF_,comdat
.Lfunc_end1870:
	.size	_ZN7rocprim17ROCPRIM_400000_NS6detail17trampoline_kernelINS0_14default_configENS1_38merge_sort_block_merge_config_selectorItNS0_10empty_typeEEEZZNS1_27merge_sort_block_merge_implIS3_PtPS5_jNS1_19radix_merge_compareILb1ELb0EtNS0_19identity_decomposerEEEEE10hipError_tT0_T1_T2_jT3_P12ihipStream_tbPNSt15iterator_traitsISE_E10value_typeEPNSK_ISF_E10value_typeEPSG_NS1_7vsmem_tEENKUlT_SE_SF_SG_E_clIS8_S8_S9_S9_EESD_ST_SE_SF_SG_EUlST_E1_NS1_11comp_targetILNS1_3genE10ELNS1_11target_archE1201ELNS1_3gpuE5ELNS1_3repE0EEENS1_36merge_oddeven_config_static_selectorELNS0_4arch9wavefront6targetE1EEEvSF_, .Lfunc_end1870-_ZN7rocprim17ROCPRIM_400000_NS6detail17trampoline_kernelINS0_14default_configENS1_38merge_sort_block_merge_config_selectorItNS0_10empty_typeEEEZZNS1_27merge_sort_block_merge_implIS3_PtPS5_jNS1_19radix_merge_compareILb1ELb0EtNS0_19identity_decomposerEEEEE10hipError_tT0_T1_T2_jT3_P12ihipStream_tbPNSt15iterator_traitsISE_E10value_typeEPNSK_ISF_E10value_typeEPSG_NS1_7vsmem_tEENKUlT_SE_SF_SG_E_clIS8_S8_S9_S9_EESD_ST_SE_SF_SG_EUlST_E1_NS1_11comp_targetILNS1_3genE10ELNS1_11target_archE1201ELNS1_3gpuE5ELNS1_3repE0EEENS1_36merge_oddeven_config_static_selectorELNS0_4arch9wavefront6targetE1EEEvSF_
                                        ; -- End function
	.section	.AMDGPU.csdata,"",@progbits
; Kernel info:
; codeLenInByte = 0
; NumSgprs: 4
; NumVgprs: 0
; NumAgprs: 0
; TotalNumVgprs: 0
; ScratchSize: 0
; MemoryBound: 0
; FloatMode: 240
; IeeeMode: 1
; LDSByteSize: 0 bytes/workgroup (compile time only)
; SGPRBlocks: 0
; VGPRBlocks: 0
; NumSGPRsForWavesPerEU: 4
; NumVGPRsForWavesPerEU: 1
; AccumOffset: 4
; Occupancy: 8
; WaveLimiterHint : 0
; COMPUTE_PGM_RSRC2:SCRATCH_EN: 0
; COMPUTE_PGM_RSRC2:USER_SGPR: 6
; COMPUTE_PGM_RSRC2:TRAP_HANDLER: 0
; COMPUTE_PGM_RSRC2:TGID_X_EN: 1
; COMPUTE_PGM_RSRC2:TGID_Y_EN: 0
; COMPUTE_PGM_RSRC2:TGID_Z_EN: 0
; COMPUTE_PGM_RSRC2:TIDIG_COMP_CNT: 0
; COMPUTE_PGM_RSRC3_GFX90A:ACCUM_OFFSET: 0
; COMPUTE_PGM_RSRC3_GFX90A:TG_SPLIT: 0
	.section	.text._ZN7rocprim17ROCPRIM_400000_NS6detail17trampoline_kernelINS0_14default_configENS1_38merge_sort_block_merge_config_selectorItNS0_10empty_typeEEEZZNS1_27merge_sort_block_merge_implIS3_PtPS5_jNS1_19radix_merge_compareILb1ELb0EtNS0_19identity_decomposerEEEEE10hipError_tT0_T1_T2_jT3_P12ihipStream_tbPNSt15iterator_traitsISE_E10value_typeEPNSK_ISF_E10value_typeEPSG_NS1_7vsmem_tEENKUlT_SE_SF_SG_E_clIS8_S8_S9_S9_EESD_ST_SE_SF_SG_EUlST_E1_NS1_11comp_targetILNS1_3genE5ELNS1_11target_archE942ELNS1_3gpuE9ELNS1_3repE0EEENS1_36merge_oddeven_config_static_selectorELNS0_4arch9wavefront6targetE1EEEvSF_,"axG",@progbits,_ZN7rocprim17ROCPRIM_400000_NS6detail17trampoline_kernelINS0_14default_configENS1_38merge_sort_block_merge_config_selectorItNS0_10empty_typeEEEZZNS1_27merge_sort_block_merge_implIS3_PtPS5_jNS1_19radix_merge_compareILb1ELb0EtNS0_19identity_decomposerEEEEE10hipError_tT0_T1_T2_jT3_P12ihipStream_tbPNSt15iterator_traitsISE_E10value_typeEPNSK_ISF_E10value_typeEPSG_NS1_7vsmem_tEENKUlT_SE_SF_SG_E_clIS8_S8_S9_S9_EESD_ST_SE_SF_SG_EUlST_E1_NS1_11comp_targetILNS1_3genE5ELNS1_11target_archE942ELNS1_3gpuE9ELNS1_3repE0EEENS1_36merge_oddeven_config_static_selectorELNS0_4arch9wavefront6targetE1EEEvSF_,comdat
	.protected	_ZN7rocprim17ROCPRIM_400000_NS6detail17trampoline_kernelINS0_14default_configENS1_38merge_sort_block_merge_config_selectorItNS0_10empty_typeEEEZZNS1_27merge_sort_block_merge_implIS3_PtPS5_jNS1_19radix_merge_compareILb1ELb0EtNS0_19identity_decomposerEEEEE10hipError_tT0_T1_T2_jT3_P12ihipStream_tbPNSt15iterator_traitsISE_E10value_typeEPNSK_ISF_E10value_typeEPSG_NS1_7vsmem_tEENKUlT_SE_SF_SG_E_clIS8_S8_S9_S9_EESD_ST_SE_SF_SG_EUlST_E1_NS1_11comp_targetILNS1_3genE5ELNS1_11target_archE942ELNS1_3gpuE9ELNS1_3repE0EEENS1_36merge_oddeven_config_static_selectorELNS0_4arch9wavefront6targetE1EEEvSF_ ; -- Begin function _ZN7rocprim17ROCPRIM_400000_NS6detail17trampoline_kernelINS0_14default_configENS1_38merge_sort_block_merge_config_selectorItNS0_10empty_typeEEEZZNS1_27merge_sort_block_merge_implIS3_PtPS5_jNS1_19radix_merge_compareILb1ELb0EtNS0_19identity_decomposerEEEEE10hipError_tT0_T1_T2_jT3_P12ihipStream_tbPNSt15iterator_traitsISE_E10value_typeEPNSK_ISF_E10value_typeEPSG_NS1_7vsmem_tEENKUlT_SE_SF_SG_E_clIS8_S8_S9_S9_EESD_ST_SE_SF_SG_EUlST_E1_NS1_11comp_targetILNS1_3genE5ELNS1_11target_archE942ELNS1_3gpuE9ELNS1_3repE0EEENS1_36merge_oddeven_config_static_selectorELNS0_4arch9wavefront6targetE1EEEvSF_
	.globl	_ZN7rocprim17ROCPRIM_400000_NS6detail17trampoline_kernelINS0_14default_configENS1_38merge_sort_block_merge_config_selectorItNS0_10empty_typeEEEZZNS1_27merge_sort_block_merge_implIS3_PtPS5_jNS1_19radix_merge_compareILb1ELb0EtNS0_19identity_decomposerEEEEE10hipError_tT0_T1_T2_jT3_P12ihipStream_tbPNSt15iterator_traitsISE_E10value_typeEPNSK_ISF_E10value_typeEPSG_NS1_7vsmem_tEENKUlT_SE_SF_SG_E_clIS8_S8_S9_S9_EESD_ST_SE_SF_SG_EUlST_E1_NS1_11comp_targetILNS1_3genE5ELNS1_11target_archE942ELNS1_3gpuE9ELNS1_3repE0EEENS1_36merge_oddeven_config_static_selectorELNS0_4arch9wavefront6targetE1EEEvSF_
	.p2align	8
	.type	_ZN7rocprim17ROCPRIM_400000_NS6detail17trampoline_kernelINS0_14default_configENS1_38merge_sort_block_merge_config_selectorItNS0_10empty_typeEEEZZNS1_27merge_sort_block_merge_implIS3_PtPS5_jNS1_19radix_merge_compareILb1ELb0EtNS0_19identity_decomposerEEEEE10hipError_tT0_T1_T2_jT3_P12ihipStream_tbPNSt15iterator_traitsISE_E10value_typeEPNSK_ISF_E10value_typeEPSG_NS1_7vsmem_tEENKUlT_SE_SF_SG_E_clIS8_S8_S9_S9_EESD_ST_SE_SF_SG_EUlST_E1_NS1_11comp_targetILNS1_3genE5ELNS1_11target_archE942ELNS1_3gpuE9ELNS1_3repE0EEENS1_36merge_oddeven_config_static_selectorELNS0_4arch9wavefront6targetE1EEEvSF_,@function
_ZN7rocprim17ROCPRIM_400000_NS6detail17trampoline_kernelINS0_14default_configENS1_38merge_sort_block_merge_config_selectorItNS0_10empty_typeEEEZZNS1_27merge_sort_block_merge_implIS3_PtPS5_jNS1_19radix_merge_compareILb1ELb0EtNS0_19identity_decomposerEEEEE10hipError_tT0_T1_T2_jT3_P12ihipStream_tbPNSt15iterator_traitsISE_E10value_typeEPNSK_ISF_E10value_typeEPSG_NS1_7vsmem_tEENKUlT_SE_SF_SG_E_clIS8_S8_S9_S9_EESD_ST_SE_SF_SG_EUlST_E1_NS1_11comp_targetILNS1_3genE5ELNS1_11target_archE942ELNS1_3gpuE9ELNS1_3repE0EEENS1_36merge_oddeven_config_static_selectorELNS0_4arch9wavefront6targetE1EEEvSF_: ; @_ZN7rocprim17ROCPRIM_400000_NS6detail17trampoline_kernelINS0_14default_configENS1_38merge_sort_block_merge_config_selectorItNS0_10empty_typeEEEZZNS1_27merge_sort_block_merge_implIS3_PtPS5_jNS1_19radix_merge_compareILb1ELb0EtNS0_19identity_decomposerEEEEE10hipError_tT0_T1_T2_jT3_P12ihipStream_tbPNSt15iterator_traitsISE_E10value_typeEPNSK_ISF_E10value_typeEPSG_NS1_7vsmem_tEENKUlT_SE_SF_SG_E_clIS8_S8_S9_S9_EESD_ST_SE_SF_SG_EUlST_E1_NS1_11comp_targetILNS1_3genE5ELNS1_11target_archE942ELNS1_3gpuE9ELNS1_3repE0EEENS1_36merge_oddeven_config_static_selectorELNS0_4arch9wavefront6targetE1EEEvSF_
; %bb.0:
	.section	.rodata,"a",@progbits
	.p2align	6, 0x0
	.amdhsa_kernel _ZN7rocprim17ROCPRIM_400000_NS6detail17trampoline_kernelINS0_14default_configENS1_38merge_sort_block_merge_config_selectorItNS0_10empty_typeEEEZZNS1_27merge_sort_block_merge_implIS3_PtPS5_jNS1_19radix_merge_compareILb1ELb0EtNS0_19identity_decomposerEEEEE10hipError_tT0_T1_T2_jT3_P12ihipStream_tbPNSt15iterator_traitsISE_E10value_typeEPNSK_ISF_E10value_typeEPSG_NS1_7vsmem_tEENKUlT_SE_SF_SG_E_clIS8_S8_S9_S9_EESD_ST_SE_SF_SG_EUlST_E1_NS1_11comp_targetILNS1_3genE5ELNS1_11target_archE942ELNS1_3gpuE9ELNS1_3repE0EEENS1_36merge_oddeven_config_static_selectorELNS0_4arch9wavefront6targetE1EEEvSF_
		.amdhsa_group_segment_fixed_size 0
		.amdhsa_private_segment_fixed_size 0
		.amdhsa_kernarg_size 48
		.amdhsa_user_sgpr_count 6
		.amdhsa_user_sgpr_private_segment_buffer 1
		.amdhsa_user_sgpr_dispatch_ptr 0
		.amdhsa_user_sgpr_queue_ptr 0
		.amdhsa_user_sgpr_kernarg_segment_ptr 1
		.amdhsa_user_sgpr_dispatch_id 0
		.amdhsa_user_sgpr_flat_scratch_init 0
		.amdhsa_user_sgpr_kernarg_preload_length 0
		.amdhsa_user_sgpr_kernarg_preload_offset 0
		.amdhsa_user_sgpr_private_segment_size 0
		.amdhsa_uses_dynamic_stack 0
		.amdhsa_system_sgpr_private_segment_wavefront_offset 0
		.amdhsa_system_sgpr_workgroup_id_x 1
		.amdhsa_system_sgpr_workgroup_id_y 0
		.amdhsa_system_sgpr_workgroup_id_z 0
		.amdhsa_system_sgpr_workgroup_info 0
		.amdhsa_system_vgpr_workitem_id 0
		.amdhsa_next_free_vgpr 1
		.amdhsa_next_free_sgpr 0
		.amdhsa_accum_offset 4
		.amdhsa_reserve_vcc 0
		.amdhsa_reserve_flat_scratch 0
		.amdhsa_float_round_mode_32 0
		.amdhsa_float_round_mode_16_64 0
		.amdhsa_float_denorm_mode_32 3
		.amdhsa_float_denorm_mode_16_64 3
		.amdhsa_dx10_clamp 1
		.amdhsa_ieee_mode 1
		.amdhsa_fp16_overflow 0
		.amdhsa_tg_split 0
		.amdhsa_exception_fp_ieee_invalid_op 0
		.amdhsa_exception_fp_denorm_src 0
		.amdhsa_exception_fp_ieee_div_zero 0
		.amdhsa_exception_fp_ieee_overflow 0
		.amdhsa_exception_fp_ieee_underflow 0
		.amdhsa_exception_fp_ieee_inexact 0
		.amdhsa_exception_int_div_zero 0
	.end_amdhsa_kernel
	.section	.text._ZN7rocprim17ROCPRIM_400000_NS6detail17trampoline_kernelINS0_14default_configENS1_38merge_sort_block_merge_config_selectorItNS0_10empty_typeEEEZZNS1_27merge_sort_block_merge_implIS3_PtPS5_jNS1_19radix_merge_compareILb1ELb0EtNS0_19identity_decomposerEEEEE10hipError_tT0_T1_T2_jT3_P12ihipStream_tbPNSt15iterator_traitsISE_E10value_typeEPNSK_ISF_E10value_typeEPSG_NS1_7vsmem_tEENKUlT_SE_SF_SG_E_clIS8_S8_S9_S9_EESD_ST_SE_SF_SG_EUlST_E1_NS1_11comp_targetILNS1_3genE5ELNS1_11target_archE942ELNS1_3gpuE9ELNS1_3repE0EEENS1_36merge_oddeven_config_static_selectorELNS0_4arch9wavefront6targetE1EEEvSF_,"axG",@progbits,_ZN7rocprim17ROCPRIM_400000_NS6detail17trampoline_kernelINS0_14default_configENS1_38merge_sort_block_merge_config_selectorItNS0_10empty_typeEEEZZNS1_27merge_sort_block_merge_implIS3_PtPS5_jNS1_19radix_merge_compareILb1ELb0EtNS0_19identity_decomposerEEEEE10hipError_tT0_T1_T2_jT3_P12ihipStream_tbPNSt15iterator_traitsISE_E10value_typeEPNSK_ISF_E10value_typeEPSG_NS1_7vsmem_tEENKUlT_SE_SF_SG_E_clIS8_S8_S9_S9_EESD_ST_SE_SF_SG_EUlST_E1_NS1_11comp_targetILNS1_3genE5ELNS1_11target_archE942ELNS1_3gpuE9ELNS1_3repE0EEENS1_36merge_oddeven_config_static_selectorELNS0_4arch9wavefront6targetE1EEEvSF_,comdat
.Lfunc_end1871:
	.size	_ZN7rocprim17ROCPRIM_400000_NS6detail17trampoline_kernelINS0_14default_configENS1_38merge_sort_block_merge_config_selectorItNS0_10empty_typeEEEZZNS1_27merge_sort_block_merge_implIS3_PtPS5_jNS1_19radix_merge_compareILb1ELb0EtNS0_19identity_decomposerEEEEE10hipError_tT0_T1_T2_jT3_P12ihipStream_tbPNSt15iterator_traitsISE_E10value_typeEPNSK_ISF_E10value_typeEPSG_NS1_7vsmem_tEENKUlT_SE_SF_SG_E_clIS8_S8_S9_S9_EESD_ST_SE_SF_SG_EUlST_E1_NS1_11comp_targetILNS1_3genE5ELNS1_11target_archE942ELNS1_3gpuE9ELNS1_3repE0EEENS1_36merge_oddeven_config_static_selectorELNS0_4arch9wavefront6targetE1EEEvSF_, .Lfunc_end1871-_ZN7rocprim17ROCPRIM_400000_NS6detail17trampoline_kernelINS0_14default_configENS1_38merge_sort_block_merge_config_selectorItNS0_10empty_typeEEEZZNS1_27merge_sort_block_merge_implIS3_PtPS5_jNS1_19radix_merge_compareILb1ELb0EtNS0_19identity_decomposerEEEEE10hipError_tT0_T1_T2_jT3_P12ihipStream_tbPNSt15iterator_traitsISE_E10value_typeEPNSK_ISF_E10value_typeEPSG_NS1_7vsmem_tEENKUlT_SE_SF_SG_E_clIS8_S8_S9_S9_EESD_ST_SE_SF_SG_EUlST_E1_NS1_11comp_targetILNS1_3genE5ELNS1_11target_archE942ELNS1_3gpuE9ELNS1_3repE0EEENS1_36merge_oddeven_config_static_selectorELNS0_4arch9wavefront6targetE1EEEvSF_
                                        ; -- End function
	.section	.AMDGPU.csdata,"",@progbits
; Kernel info:
; codeLenInByte = 0
; NumSgprs: 4
; NumVgprs: 0
; NumAgprs: 0
; TotalNumVgprs: 0
; ScratchSize: 0
; MemoryBound: 0
; FloatMode: 240
; IeeeMode: 1
; LDSByteSize: 0 bytes/workgroup (compile time only)
; SGPRBlocks: 0
; VGPRBlocks: 0
; NumSGPRsForWavesPerEU: 4
; NumVGPRsForWavesPerEU: 1
; AccumOffset: 4
; Occupancy: 8
; WaveLimiterHint : 0
; COMPUTE_PGM_RSRC2:SCRATCH_EN: 0
; COMPUTE_PGM_RSRC2:USER_SGPR: 6
; COMPUTE_PGM_RSRC2:TRAP_HANDLER: 0
; COMPUTE_PGM_RSRC2:TGID_X_EN: 1
; COMPUTE_PGM_RSRC2:TGID_Y_EN: 0
; COMPUTE_PGM_RSRC2:TGID_Z_EN: 0
; COMPUTE_PGM_RSRC2:TIDIG_COMP_CNT: 0
; COMPUTE_PGM_RSRC3_GFX90A:ACCUM_OFFSET: 0
; COMPUTE_PGM_RSRC3_GFX90A:TG_SPLIT: 0
	.section	.text._ZN7rocprim17ROCPRIM_400000_NS6detail17trampoline_kernelINS0_14default_configENS1_38merge_sort_block_merge_config_selectorItNS0_10empty_typeEEEZZNS1_27merge_sort_block_merge_implIS3_PtPS5_jNS1_19radix_merge_compareILb1ELb0EtNS0_19identity_decomposerEEEEE10hipError_tT0_T1_T2_jT3_P12ihipStream_tbPNSt15iterator_traitsISE_E10value_typeEPNSK_ISF_E10value_typeEPSG_NS1_7vsmem_tEENKUlT_SE_SF_SG_E_clIS8_S8_S9_S9_EESD_ST_SE_SF_SG_EUlST_E1_NS1_11comp_targetILNS1_3genE4ELNS1_11target_archE910ELNS1_3gpuE8ELNS1_3repE0EEENS1_36merge_oddeven_config_static_selectorELNS0_4arch9wavefront6targetE1EEEvSF_,"axG",@progbits,_ZN7rocprim17ROCPRIM_400000_NS6detail17trampoline_kernelINS0_14default_configENS1_38merge_sort_block_merge_config_selectorItNS0_10empty_typeEEEZZNS1_27merge_sort_block_merge_implIS3_PtPS5_jNS1_19radix_merge_compareILb1ELb0EtNS0_19identity_decomposerEEEEE10hipError_tT0_T1_T2_jT3_P12ihipStream_tbPNSt15iterator_traitsISE_E10value_typeEPNSK_ISF_E10value_typeEPSG_NS1_7vsmem_tEENKUlT_SE_SF_SG_E_clIS8_S8_S9_S9_EESD_ST_SE_SF_SG_EUlST_E1_NS1_11comp_targetILNS1_3genE4ELNS1_11target_archE910ELNS1_3gpuE8ELNS1_3repE0EEENS1_36merge_oddeven_config_static_selectorELNS0_4arch9wavefront6targetE1EEEvSF_,comdat
	.protected	_ZN7rocprim17ROCPRIM_400000_NS6detail17trampoline_kernelINS0_14default_configENS1_38merge_sort_block_merge_config_selectorItNS0_10empty_typeEEEZZNS1_27merge_sort_block_merge_implIS3_PtPS5_jNS1_19radix_merge_compareILb1ELb0EtNS0_19identity_decomposerEEEEE10hipError_tT0_T1_T2_jT3_P12ihipStream_tbPNSt15iterator_traitsISE_E10value_typeEPNSK_ISF_E10value_typeEPSG_NS1_7vsmem_tEENKUlT_SE_SF_SG_E_clIS8_S8_S9_S9_EESD_ST_SE_SF_SG_EUlST_E1_NS1_11comp_targetILNS1_3genE4ELNS1_11target_archE910ELNS1_3gpuE8ELNS1_3repE0EEENS1_36merge_oddeven_config_static_selectorELNS0_4arch9wavefront6targetE1EEEvSF_ ; -- Begin function _ZN7rocprim17ROCPRIM_400000_NS6detail17trampoline_kernelINS0_14default_configENS1_38merge_sort_block_merge_config_selectorItNS0_10empty_typeEEEZZNS1_27merge_sort_block_merge_implIS3_PtPS5_jNS1_19radix_merge_compareILb1ELb0EtNS0_19identity_decomposerEEEEE10hipError_tT0_T1_T2_jT3_P12ihipStream_tbPNSt15iterator_traitsISE_E10value_typeEPNSK_ISF_E10value_typeEPSG_NS1_7vsmem_tEENKUlT_SE_SF_SG_E_clIS8_S8_S9_S9_EESD_ST_SE_SF_SG_EUlST_E1_NS1_11comp_targetILNS1_3genE4ELNS1_11target_archE910ELNS1_3gpuE8ELNS1_3repE0EEENS1_36merge_oddeven_config_static_selectorELNS0_4arch9wavefront6targetE1EEEvSF_
	.globl	_ZN7rocprim17ROCPRIM_400000_NS6detail17trampoline_kernelINS0_14default_configENS1_38merge_sort_block_merge_config_selectorItNS0_10empty_typeEEEZZNS1_27merge_sort_block_merge_implIS3_PtPS5_jNS1_19radix_merge_compareILb1ELb0EtNS0_19identity_decomposerEEEEE10hipError_tT0_T1_T2_jT3_P12ihipStream_tbPNSt15iterator_traitsISE_E10value_typeEPNSK_ISF_E10value_typeEPSG_NS1_7vsmem_tEENKUlT_SE_SF_SG_E_clIS8_S8_S9_S9_EESD_ST_SE_SF_SG_EUlST_E1_NS1_11comp_targetILNS1_3genE4ELNS1_11target_archE910ELNS1_3gpuE8ELNS1_3repE0EEENS1_36merge_oddeven_config_static_selectorELNS0_4arch9wavefront6targetE1EEEvSF_
	.p2align	8
	.type	_ZN7rocprim17ROCPRIM_400000_NS6detail17trampoline_kernelINS0_14default_configENS1_38merge_sort_block_merge_config_selectorItNS0_10empty_typeEEEZZNS1_27merge_sort_block_merge_implIS3_PtPS5_jNS1_19radix_merge_compareILb1ELb0EtNS0_19identity_decomposerEEEEE10hipError_tT0_T1_T2_jT3_P12ihipStream_tbPNSt15iterator_traitsISE_E10value_typeEPNSK_ISF_E10value_typeEPSG_NS1_7vsmem_tEENKUlT_SE_SF_SG_E_clIS8_S8_S9_S9_EESD_ST_SE_SF_SG_EUlST_E1_NS1_11comp_targetILNS1_3genE4ELNS1_11target_archE910ELNS1_3gpuE8ELNS1_3repE0EEENS1_36merge_oddeven_config_static_selectorELNS0_4arch9wavefront6targetE1EEEvSF_,@function
_ZN7rocprim17ROCPRIM_400000_NS6detail17trampoline_kernelINS0_14default_configENS1_38merge_sort_block_merge_config_selectorItNS0_10empty_typeEEEZZNS1_27merge_sort_block_merge_implIS3_PtPS5_jNS1_19radix_merge_compareILb1ELb0EtNS0_19identity_decomposerEEEEE10hipError_tT0_T1_T2_jT3_P12ihipStream_tbPNSt15iterator_traitsISE_E10value_typeEPNSK_ISF_E10value_typeEPSG_NS1_7vsmem_tEENKUlT_SE_SF_SG_E_clIS8_S8_S9_S9_EESD_ST_SE_SF_SG_EUlST_E1_NS1_11comp_targetILNS1_3genE4ELNS1_11target_archE910ELNS1_3gpuE8ELNS1_3repE0EEENS1_36merge_oddeven_config_static_selectorELNS0_4arch9wavefront6targetE1EEEvSF_: ; @_ZN7rocprim17ROCPRIM_400000_NS6detail17trampoline_kernelINS0_14default_configENS1_38merge_sort_block_merge_config_selectorItNS0_10empty_typeEEEZZNS1_27merge_sort_block_merge_implIS3_PtPS5_jNS1_19radix_merge_compareILb1ELb0EtNS0_19identity_decomposerEEEEE10hipError_tT0_T1_T2_jT3_P12ihipStream_tbPNSt15iterator_traitsISE_E10value_typeEPNSK_ISF_E10value_typeEPSG_NS1_7vsmem_tEENKUlT_SE_SF_SG_E_clIS8_S8_S9_S9_EESD_ST_SE_SF_SG_EUlST_E1_NS1_11comp_targetILNS1_3genE4ELNS1_11target_archE910ELNS1_3gpuE8ELNS1_3repE0EEENS1_36merge_oddeven_config_static_selectorELNS0_4arch9wavefront6targetE1EEEvSF_
; %bb.0:
	s_load_dword s18, s[4:5], 0x20
	s_waitcnt lgkmcnt(0)
	s_lshr_b32 s0, s18, 8
	s_cmp_lg_u32 s6, s0
	s_cselect_b64 s[14:15], -1, 0
	s_cmp_eq_u32 s6, s0
	s_cselect_b64 s[12:13], -1, 0
	s_lshl_b32 s16, s6, 8
	s_sub_i32 s0, s18, s16
	v_cmp_gt_u32_e64 s[2:3], s0, v0
	s_or_b64 s[0:1], s[14:15], s[2:3]
	s_and_saveexec_b64 s[8:9], s[0:1]
	s_cbranch_execz .LBB1872_20
; %bb.1:
	s_load_dwordx4 s[8:11], s[4:5], 0x0
	s_load_dword s19, s[4:5], 0x24
	s_mov_b32 s17, 0
	s_lshl_b64 s[0:1], s[16:17], 1
	v_lshlrev_b32_e32 v1, 1, v0
	s_waitcnt lgkmcnt(0)
	s_add_u32 s0, s8, s0
	s_addc_u32 s1, s9, s1
	global_load_ushort v2, v1, s[0:1]
	s_lshr_b32 s0, s19, 8
	s_sub_i32 s1, 0, s0
	s_and_b32 s1, s6, s1
	s_and_b32 s0, s1, s0
	s_lshl_b32 s20, s1, 8
	s_sub_i32 s6, 0, s19
	s_cmp_eq_u32 s0, 0
	s_cselect_b64 s[0:1], -1, 0
	s_and_b64 s[4:5], s[0:1], exec
	s_cselect_b32 s17, s19, s6
	s_add_i32 s17, s17, s20
	s_cmp_lt_u32 s17, s18
	v_add_u32_e32 v0, s16, v0
	s_cbranch_scc1 .LBB1872_3
; %bb.2:
	v_cmp_gt_u32_e32 vcc, s18, v0
	s_or_b64 s[4:5], vcc, s[14:15]
	s_and_b64 s[4:5], s[4:5], exec
	s_cbranch_execz .LBB1872_4
	s_branch .LBB1872_18
.LBB1872_3:
	s_mov_b64 s[4:5], 0
.LBB1872_4:
	s_min_u32 s14, s17, s18
	s_add_i32 s6, s14, s19
	s_min_u32 s15, s6, s18
	s_min_u32 s6, s20, s14
	s_add_i32 s20, s20, s14
	v_subrev_u32_e32 v0, s20, v0
	v_add_u32_e32 v1, s6, v0
	s_and_b64 vcc, exec, s[12:13]
	s_cbranch_vccz .LBB1872_12
; %bb.5:
                                        ; implicit-def: $vgpr0
	s_and_saveexec_b64 s[6:7], s[2:3]
	s_cbranch_execz .LBB1872_11
; %bb.6:
	s_cmp_ge_u32 s17, s15
	v_mov_b32_e32 v0, s14
	s_cbranch_scc1 .LBB1872_10
; %bb.7:
	s_mov_b64 s[2:3], 0
	v_mov_b32_e32 v3, s15
	v_mov_b32_e32 v0, s14
.LBB1872_8:                             ; =>This Inner Loop Header: Depth=1
	v_add_u32_e32 v4, v0, v3
	v_and_b32_e32 v5, -2, v4
	global_load_ushort v5, v5, s[8:9]
	v_lshrrev_b32_e32 v4, 1, v4
	v_add_u32_e32 v6, 1, v4
	s_waitcnt vmcnt(0)
	v_cmp_gt_u16_e32 vcc, v5, v2
	v_cndmask_b32_e64 v7, 0, 1, vcc
	v_cmp_le_u16_e32 vcc, v2, v5
	v_cndmask_b32_e64 v5, 0, 1, vcc
	v_cndmask_b32_e64 v5, v5, v7, s[0:1]
	v_and_b32_e32 v5, 1, v5
	v_cmp_eq_u32_e32 vcc, 1, v5
	v_cndmask_b32_e32 v3, v4, v3, vcc
	v_cndmask_b32_e32 v0, v0, v6, vcc
	v_cmp_ge_u32_e32 vcc, v0, v3
	s_or_b64 s[2:3], vcc, s[2:3]
	s_andn2_b64 exec, exec, s[2:3]
	s_cbranch_execnz .LBB1872_8
; %bb.9:
	s_or_b64 exec, exec, s[2:3]
.LBB1872_10:
	v_add_u32_e32 v0, v0, v1
	s_or_b64 s[4:5], s[4:5], exec
.LBB1872_11:
	s_or_b64 exec, exec, s[6:7]
	s_branch .LBB1872_18
.LBB1872_12:
                                        ; implicit-def: $vgpr0
	s_cbranch_execz .LBB1872_18
; %bb.13:
	s_cmp_ge_u32 s17, s15
	v_mov_b32_e32 v0, s14
	s_cbranch_scc1 .LBB1872_17
; %bb.14:
	s_mov_b64 s[2:3], 0
	v_mov_b32_e32 v3, s15
	v_mov_b32_e32 v0, s14
.LBB1872_15:                            ; =>This Inner Loop Header: Depth=1
	v_add_u32_e32 v4, v0, v3
	v_and_b32_e32 v5, -2, v4
	global_load_ushort v5, v5, s[8:9]
	v_lshrrev_b32_e32 v4, 1, v4
	v_add_u32_e32 v6, 1, v4
	s_waitcnt vmcnt(0)
	v_cmp_gt_u16_e32 vcc, v5, v2
	v_cndmask_b32_e64 v7, 0, 1, vcc
	v_cmp_le_u16_e32 vcc, v2, v5
	v_cndmask_b32_e64 v5, 0, 1, vcc
	v_cndmask_b32_e64 v5, v5, v7, s[0:1]
	v_and_b32_e32 v5, 1, v5
	v_cmp_eq_u32_e32 vcc, 1, v5
	v_cndmask_b32_e32 v3, v4, v3, vcc
	v_cndmask_b32_e32 v0, v0, v6, vcc
	v_cmp_ge_u32_e32 vcc, v0, v3
	s_or_b64 s[2:3], vcc, s[2:3]
	s_andn2_b64 exec, exec, s[2:3]
	s_cbranch_execnz .LBB1872_15
; %bb.16:
	s_or_b64 exec, exec, s[2:3]
.LBB1872_17:
	v_add_u32_e32 v0, v0, v1
	s_mov_b64 s[4:5], -1
.LBB1872_18:
	s_and_b64 exec, exec, s[4:5]
	s_cbranch_execz .LBB1872_20
; %bb.19:
	v_mov_b32_e32 v1, 0
	v_lshlrev_b64 v[0:1], 1, v[0:1]
	v_mov_b32_e32 v3, s11
	v_add_co_u32_e32 v0, vcc, s10, v0
	v_addc_co_u32_e32 v1, vcc, v3, v1, vcc
	s_waitcnt vmcnt(0)
	global_store_short v[0:1], v2, off
.LBB1872_20:
	s_endpgm
	.section	.rodata,"a",@progbits
	.p2align	6, 0x0
	.amdhsa_kernel _ZN7rocprim17ROCPRIM_400000_NS6detail17trampoline_kernelINS0_14default_configENS1_38merge_sort_block_merge_config_selectorItNS0_10empty_typeEEEZZNS1_27merge_sort_block_merge_implIS3_PtPS5_jNS1_19radix_merge_compareILb1ELb0EtNS0_19identity_decomposerEEEEE10hipError_tT0_T1_T2_jT3_P12ihipStream_tbPNSt15iterator_traitsISE_E10value_typeEPNSK_ISF_E10value_typeEPSG_NS1_7vsmem_tEENKUlT_SE_SF_SG_E_clIS8_S8_S9_S9_EESD_ST_SE_SF_SG_EUlST_E1_NS1_11comp_targetILNS1_3genE4ELNS1_11target_archE910ELNS1_3gpuE8ELNS1_3repE0EEENS1_36merge_oddeven_config_static_selectorELNS0_4arch9wavefront6targetE1EEEvSF_
		.amdhsa_group_segment_fixed_size 0
		.amdhsa_private_segment_fixed_size 0
		.amdhsa_kernarg_size 48
		.amdhsa_user_sgpr_count 6
		.amdhsa_user_sgpr_private_segment_buffer 1
		.amdhsa_user_sgpr_dispatch_ptr 0
		.amdhsa_user_sgpr_queue_ptr 0
		.amdhsa_user_sgpr_kernarg_segment_ptr 1
		.amdhsa_user_sgpr_dispatch_id 0
		.amdhsa_user_sgpr_flat_scratch_init 0
		.amdhsa_user_sgpr_kernarg_preload_length 0
		.amdhsa_user_sgpr_kernarg_preload_offset 0
		.amdhsa_user_sgpr_private_segment_size 0
		.amdhsa_uses_dynamic_stack 0
		.amdhsa_system_sgpr_private_segment_wavefront_offset 0
		.amdhsa_system_sgpr_workgroup_id_x 1
		.amdhsa_system_sgpr_workgroup_id_y 0
		.amdhsa_system_sgpr_workgroup_id_z 0
		.amdhsa_system_sgpr_workgroup_info 0
		.amdhsa_system_vgpr_workitem_id 0
		.amdhsa_next_free_vgpr 8
		.amdhsa_next_free_sgpr 21
		.amdhsa_accum_offset 8
		.amdhsa_reserve_vcc 1
		.amdhsa_reserve_flat_scratch 0
		.amdhsa_float_round_mode_32 0
		.amdhsa_float_round_mode_16_64 0
		.amdhsa_float_denorm_mode_32 3
		.amdhsa_float_denorm_mode_16_64 3
		.amdhsa_dx10_clamp 1
		.amdhsa_ieee_mode 1
		.amdhsa_fp16_overflow 0
		.amdhsa_tg_split 0
		.amdhsa_exception_fp_ieee_invalid_op 0
		.amdhsa_exception_fp_denorm_src 0
		.amdhsa_exception_fp_ieee_div_zero 0
		.amdhsa_exception_fp_ieee_overflow 0
		.amdhsa_exception_fp_ieee_underflow 0
		.amdhsa_exception_fp_ieee_inexact 0
		.amdhsa_exception_int_div_zero 0
	.end_amdhsa_kernel
	.section	.text._ZN7rocprim17ROCPRIM_400000_NS6detail17trampoline_kernelINS0_14default_configENS1_38merge_sort_block_merge_config_selectorItNS0_10empty_typeEEEZZNS1_27merge_sort_block_merge_implIS3_PtPS5_jNS1_19radix_merge_compareILb1ELb0EtNS0_19identity_decomposerEEEEE10hipError_tT0_T1_T2_jT3_P12ihipStream_tbPNSt15iterator_traitsISE_E10value_typeEPNSK_ISF_E10value_typeEPSG_NS1_7vsmem_tEENKUlT_SE_SF_SG_E_clIS8_S8_S9_S9_EESD_ST_SE_SF_SG_EUlST_E1_NS1_11comp_targetILNS1_3genE4ELNS1_11target_archE910ELNS1_3gpuE8ELNS1_3repE0EEENS1_36merge_oddeven_config_static_selectorELNS0_4arch9wavefront6targetE1EEEvSF_,"axG",@progbits,_ZN7rocprim17ROCPRIM_400000_NS6detail17trampoline_kernelINS0_14default_configENS1_38merge_sort_block_merge_config_selectorItNS0_10empty_typeEEEZZNS1_27merge_sort_block_merge_implIS3_PtPS5_jNS1_19radix_merge_compareILb1ELb0EtNS0_19identity_decomposerEEEEE10hipError_tT0_T1_T2_jT3_P12ihipStream_tbPNSt15iterator_traitsISE_E10value_typeEPNSK_ISF_E10value_typeEPSG_NS1_7vsmem_tEENKUlT_SE_SF_SG_E_clIS8_S8_S9_S9_EESD_ST_SE_SF_SG_EUlST_E1_NS1_11comp_targetILNS1_3genE4ELNS1_11target_archE910ELNS1_3gpuE8ELNS1_3repE0EEENS1_36merge_oddeven_config_static_selectorELNS0_4arch9wavefront6targetE1EEEvSF_,comdat
.Lfunc_end1872:
	.size	_ZN7rocprim17ROCPRIM_400000_NS6detail17trampoline_kernelINS0_14default_configENS1_38merge_sort_block_merge_config_selectorItNS0_10empty_typeEEEZZNS1_27merge_sort_block_merge_implIS3_PtPS5_jNS1_19radix_merge_compareILb1ELb0EtNS0_19identity_decomposerEEEEE10hipError_tT0_T1_T2_jT3_P12ihipStream_tbPNSt15iterator_traitsISE_E10value_typeEPNSK_ISF_E10value_typeEPSG_NS1_7vsmem_tEENKUlT_SE_SF_SG_E_clIS8_S8_S9_S9_EESD_ST_SE_SF_SG_EUlST_E1_NS1_11comp_targetILNS1_3genE4ELNS1_11target_archE910ELNS1_3gpuE8ELNS1_3repE0EEENS1_36merge_oddeven_config_static_selectorELNS0_4arch9wavefront6targetE1EEEvSF_, .Lfunc_end1872-_ZN7rocprim17ROCPRIM_400000_NS6detail17trampoline_kernelINS0_14default_configENS1_38merge_sort_block_merge_config_selectorItNS0_10empty_typeEEEZZNS1_27merge_sort_block_merge_implIS3_PtPS5_jNS1_19radix_merge_compareILb1ELb0EtNS0_19identity_decomposerEEEEE10hipError_tT0_T1_T2_jT3_P12ihipStream_tbPNSt15iterator_traitsISE_E10value_typeEPNSK_ISF_E10value_typeEPSG_NS1_7vsmem_tEENKUlT_SE_SF_SG_E_clIS8_S8_S9_S9_EESD_ST_SE_SF_SG_EUlST_E1_NS1_11comp_targetILNS1_3genE4ELNS1_11target_archE910ELNS1_3gpuE8ELNS1_3repE0EEENS1_36merge_oddeven_config_static_selectorELNS0_4arch9wavefront6targetE1EEEvSF_
                                        ; -- End function
	.section	.AMDGPU.csdata,"",@progbits
; Kernel info:
; codeLenInByte = 548
; NumSgprs: 25
; NumVgprs: 8
; NumAgprs: 0
; TotalNumVgprs: 8
; ScratchSize: 0
; MemoryBound: 0
; FloatMode: 240
; IeeeMode: 1
; LDSByteSize: 0 bytes/workgroup (compile time only)
; SGPRBlocks: 3
; VGPRBlocks: 0
; NumSGPRsForWavesPerEU: 25
; NumVGPRsForWavesPerEU: 8
; AccumOffset: 8
; Occupancy: 8
; WaveLimiterHint : 0
; COMPUTE_PGM_RSRC2:SCRATCH_EN: 0
; COMPUTE_PGM_RSRC2:USER_SGPR: 6
; COMPUTE_PGM_RSRC2:TRAP_HANDLER: 0
; COMPUTE_PGM_RSRC2:TGID_X_EN: 1
; COMPUTE_PGM_RSRC2:TGID_Y_EN: 0
; COMPUTE_PGM_RSRC2:TGID_Z_EN: 0
; COMPUTE_PGM_RSRC2:TIDIG_COMP_CNT: 0
; COMPUTE_PGM_RSRC3_GFX90A:ACCUM_OFFSET: 1
; COMPUTE_PGM_RSRC3_GFX90A:TG_SPLIT: 0
	.section	.text._ZN7rocprim17ROCPRIM_400000_NS6detail17trampoline_kernelINS0_14default_configENS1_38merge_sort_block_merge_config_selectorItNS0_10empty_typeEEEZZNS1_27merge_sort_block_merge_implIS3_PtPS5_jNS1_19radix_merge_compareILb1ELb0EtNS0_19identity_decomposerEEEEE10hipError_tT0_T1_T2_jT3_P12ihipStream_tbPNSt15iterator_traitsISE_E10value_typeEPNSK_ISF_E10value_typeEPSG_NS1_7vsmem_tEENKUlT_SE_SF_SG_E_clIS8_S8_S9_S9_EESD_ST_SE_SF_SG_EUlST_E1_NS1_11comp_targetILNS1_3genE3ELNS1_11target_archE908ELNS1_3gpuE7ELNS1_3repE0EEENS1_36merge_oddeven_config_static_selectorELNS0_4arch9wavefront6targetE1EEEvSF_,"axG",@progbits,_ZN7rocprim17ROCPRIM_400000_NS6detail17trampoline_kernelINS0_14default_configENS1_38merge_sort_block_merge_config_selectorItNS0_10empty_typeEEEZZNS1_27merge_sort_block_merge_implIS3_PtPS5_jNS1_19radix_merge_compareILb1ELb0EtNS0_19identity_decomposerEEEEE10hipError_tT0_T1_T2_jT3_P12ihipStream_tbPNSt15iterator_traitsISE_E10value_typeEPNSK_ISF_E10value_typeEPSG_NS1_7vsmem_tEENKUlT_SE_SF_SG_E_clIS8_S8_S9_S9_EESD_ST_SE_SF_SG_EUlST_E1_NS1_11comp_targetILNS1_3genE3ELNS1_11target_archE908ELNS1_3gpuE7ELNS1_3repE0EEENS1_36merge_oddeven_config_static_selectorELNS0_4arch9wavefront6targetE1EEEvSF_,comdat
	.protected	_ZN7rocprim17ROCPRIM_400000_NS6detail17trampoline_kernelINS0_14default_configENS1_38merge_sort_block_merge_config_selectorItNS0_10empty_typeEEEZZNS1_27merge_sort_block_merge_implIS3_PtPS5_jNS1_19radix_merge_compareILb1ELb0EtNS0_19identity_decomposerEEEEE10hipError_tT0_T1_T2_jT3_P12ihipStream_tbPNSt15iterator_traitsISE_E10value_typeEPNSK_ISF_E10value_typeEPSG_NS1_7vsmem_tEENKUlT_SE_SF_SG_E_clIS8_S8_S9_S9_EESD_ST_SE_SF_SG_EUlST_E1_NS1_11comp_targetILNS1_3genE3ELNS1_11target_archE908ELNS1_3gpuE7ELNS1_3repE0EEENS1_36merge_oddeven_config_static_selectorELNS0_4arch9wavefront6targetE1EEEvSF_ ; -- Begin function _ZN7rocprim17ROCPRIM_400000_NS6detail17trampoline_kernelINS0_14default_configENS1_38merge_sort_block_merge_config_selectorItNS0_10empty_typeEEEZZNS1_27merge_sort_block_merge_implIS3_PtPS5_jNS1_19radix_merge_compareILb1ELb0EtNS0_19identity_decomposerEEEEE10hipError_tT0_T1_T2_jT3_P12ihipStream_tbPNSt15iterator_traitsISE_E10value_typeEPNSK_ISF_E10value_typeEPSG_NS1_7vsmem_tEENKUlT_SE_SF_SG_E_clIS8_S8_S9_S9_EESD_ST_SE_SF_SG_EUlST_E1_NS1_11comp_targetILNS1_3genE3ELNS1_11target_archE908ELNS1_3gpuE7ELNS1_3repE0EEENS1_36merge_oddeven_config_static_selectorELNS0_4arch9wavefront6targetE1EEEvSF_
	.globl	_ZN7rocprim17ROCPRIM_400000_NS6detail17trampoline_kernelINS0_14default_configENS1_38merge_sort_block_merge_config_selectorItNS0_10empty_typeEEEZZNS1_27merge_sort_block_merge_implIS3_PtPS5_jNS1_19radix_merge_compareILb1ELb0EtNS0_19identity_decomposerEEEEE10hipError_tT0_T1_T2_jT3_P12ihipStream_tbPNSt15iterator_traitsISE_E10value_typeEPNSK_ISF_E10value_typeEPSG_NS1_7vsmem_tEENKUlT_SE_SF_SG_E_clIS8_S8_S9_S9_EESD_ST_SE_SF_SG_EUlST_E1_NS1_11comp_targetILNS1_3genE3ELNS1_11target_archE908ELNS1_3gpuE7ELNS1_3repE0EEENS1_36merge_oddeven_config_static_selectorELNS0_4arch9wavefront6targetE1EEEvSF_
	.p2align	8
	.type	_ZN7rocprim17ROCPRIM_400000_NS6detail17trampoline_kernelINS0_14default_configENS1_38merge_sort_block_merge_config_selectorItNS0_10empty_typeEEEZZNS1_27merge_sort_block_merge_implIS3_PtPS5_jNS1_19radix_merge_compareILb1ELb0EtNS0_19identity_decomposerEEEEE10hipError_tT0_T1_T2_jT3_P12ihipStream_tbPNSt15iterator_traitsISE_E10value_typeEPNSK_ISF_E10value_typeEPSG_NS1_7vsmem_tEENKUlT_SE_SF_SG_E_clIS8_S8_S9_S9_EESD_ST_SE_SF_SG_EUlST_E1_NS1_11comp_targetILNS1_3genE3ELNS1_11target_archE908ELNS1_3gpuE7ELNS1_3repE0EEENS1_36merge_oddeven_config_static_selectorELNS0_4arch9wavefront6targetE1EEEvSF_,@function
_ZN7rocprim17ROCPRIM_400000_NS6detail17trampoline_kernelINS0_14default_configENS1_38merge_sort_block_merge_config_selectorItNS0_10empty_typeEEEZZNS1_27merge_sort_block_merge_implIS3_PtPS5_jNS1_19radix_merge_compareILb1ELb0EtNS0_19identity_decomposerEEEEE10hipError_tT0_T1_T2_jT3_P12ihipStream_tbPNSt15iterator_traitsISE_E10value_typeEPNSK_ISF_E10value_typeEPSG_NS1_7vsmem_tEENKUlT_SE_SF_SG_E_clIS8_S8_S9_S9_EESD_ST_SE_SF_SG_EUlST_E1_NS1_11comp_targetILNS1_3genE3ELNS1_11target_archE908ELNS1_3gpuE7ELNS1_3repE0EEENS1_36merge_oddeven_config_static_selectorELNS0_4arch9wavefront6targetE1EEEvSF_: ; @_ZN7rocprim17ROCPRIM_400000_NS6detail17trampoline_kernelINS0_14default_configENS1_38merge_sort_block_merge_config_selectorItNS0_10empty_typeEEEZZNS1_27merge_sort_block_merge_implIS3_PtPS5_jNS1_19radix_merge_compareILb1ELb0EtNS0_19identity_decomposerEEEEE10hipError_tT0_T1_T2_jT3_P12ihipStream_tbPNSt15iterator_traitsISE_E10value_typeEPNSK_ISF_E10value_typeEPSG_NS1_7vsmem_tEENKUlT_SE_SF_SG_E_clIS8_S8_S9_S9_EESD_ST_SE_SF_SG_EUlST_E1_NS1_11comp_targetILNS1_3genE3ELNS1_11target_archE908ELNS1_3gpuE7ELNS1_3repE0EEENS1_36merge_oddeven_config_static_selectorELNS0_4arch9wavefront6targetE1EEEvSF_
; %bb.0:
	.section	.rodata,"a",@progbits
	.p2align	6, 0x0
	.amdhsa_kernel _ZN7rocprim17ROCPRIM_400000_NS6detail17trampoline_kernelINS0_14default_configENS1_38merge_sort_block_merge_config_selectorItNS0_10empty_typeEEEZZNS1_27merge_sort_block_merge_implIS3_PtPS5_jNS1_19radix_merge_compareILb1ELb0EtNS0_19identity_decomposerEEEEE10hipError_tT0_T1_T2_jT3_P12ihipStream_tbPNSt15iterator_traitsISE_E10value_typeEPNSK_ISF_E10value_typeEPSG_NS1_7vsmem_tEENKUlT_SE_SF_SG_E_clIS8_S8_S9_S9_EESD_ST_SE_SF_SG_EUlST_E1_NS1_11comp_targetILNS1_3genE3ELNS1_11target_archE908ELNS1_3gpuE7ELNS1_3repE0EEENS1_36merge_oddeven_config_static_selectorELNS0_4arch9wavefront6targetE1EEEvSF_
		.amdhsa_group_segment_fixed_size 0
		.amdhsa_private_segment_fixed_size 0
		.amdhsa_kernarg_size 48
		.amdhsa_user_sgpr_count 6
		.amdhsa_user_sgpr_private_segment_buffer 1
		.amdhsa_user_sgpr_dispatch_ptr 0
		.amdhsa_user_sgpr_queue_ptr 0
		.amdhsa_user_sgpr_kernarg_segment_ptr 1
		.amdhsa_user_sgpr_dispatch_id 0
		.amdhsa_user_sgpr_flat_scratch_init 0
		.amdhsa_user_sgpr_kernarg_preload_length 0
		.amdhsa_user_sgpr_kernarg_preload_offset 0
		.amdhsa_user_sgpr_private_segment_size 0
		.amdhsa_uses_dynamic_stack 0
		.amdhsa_system_sgpr_private_segment_wavefront_offset 0
		.amdhsa_system_sgpr_workgroup_id_x 1
		.amdhsa_system_sgpr_workgroup_id_y 0
		.amdhsa_system_sgpr_workgroup_id_z 0
		.amdhsa_system_sgpr_workgroup_info 0
		.amdhsa_system_vgpr_workitem_id 0
		.amdhsa_next_free_vgpr 1
		.amdhsa_next_free_sgpr 0
		.amdhsa_accum_offset 4
		.amdhsa_reserve_vcc 0
		.amdhsa_reserve_flat_scratch 0
		.amdhsa_float_round_mode_32 0
		.amdhsa_float_round_mode_16_64 0
		.amdhsa_float_denorm_mode_32 3
		.amdhsa_float_denorm_mode_16_64 3
		.amdhsa_dx10_clamp 1
		.amdhsa_ieee_mode 1
		.amdhsa_fp16_overflow 0
		.amdhsa_tg_split 0
		.amdhsa_exception_fp_ieee_invalid_op 0
		.amdhsa_exception_fp_denorm_src 0
		.amdhsa_exception_fp_ieee_div_zero 0
		.amdhsa_exception_fp_ieee_overflow 0
		.amdhsa_exception_fp_ieee_underflow 0
		.amdhsa_exception_fp_ieee_inexact 0
		.amdhsa_exception_int_div_zero 0
	.end_amdhsa_kernel
	.section	.text._ZN7rocprim17ROCPRIM_400000_NS6detail17trampoline_kernelINS0_14default_configENS1_38merge_sort_block_merge_config_selectorItNS0_10empty_typeEEEZZNS1_27merge_sort_block_merge_implIS3_PtPS5_jNS1_19radix_merge_compareILb1ELb0EtNS0_19identity_decomposerEEEEE10hipError_tT0_T1_T2_jT3_P12ihipStream_tbPNSt15iterator_traitsISE_E10value_typeEPNSK_ISF_E10value_typeEPSG_NS1_7vsmem_tEENKUlT_SE_SF_SG_E_clIS8_S8_S9_S9_EESD_ST_SE_SF_SG_EUlST_E1_NS1_11comp_targetILNS1_3genE3ELNS1_11target_archE908ELNS1_3gpuE7ELNS1_3repE0EEENS1_36merge_oddeven_config_static_selectorELNS0_4arch9wavefront6targetE1EEEvSF_,"axG",@progbits,_ZN7rocprim17ROCPRIM_400000_NS6detail17trampoline_kernelINS0_14default_configENS1_38merge_sort_block_merge_config_selectorItNS0_10empty_typeEEEZZNS1_27merge_sort_block_merge_implIS3_PtPS5_jNS1_19radix_merge_compareILb1ELb0EtNS0_19identity_decomposerEEEEE10hipError_tT0_T1_T2_jT3_P12ihipStream_tbPNSt15iterator_traitsISE_E10value_typeEPNSK_ISF_E10value_typeEPSG_NS1_7vsmem_tEENKUlT_SE_SF_SG_E_clIS8_S8_S9_S9_EESD_ST_SE_SF_SG_EUlST_E1_NS1_11comp_targetILNS1_3genE3ELNS1_11target_archE908ELNS1_3gpuE7ELNS1_3repE0EEENS1_36merge_oddeven_config_static_selectorELNS0_4arch9wavefront6targetE1EEEvSF_,comdat
.Lfunc_end1873:
	.size	_ZN7rocprim17ROCPRIM_400000_NS6detail17trampoline_kernelINS0_14default_configENS1_38merge_sort_block_merge_config_selectorItNS0_10empty_typeEEEZZNS1_27merge_sort_block_merge_implIS3_PtPS5_jNS1_19radix_merge_compareILb1ELb0EtNS0_19identity_decomposerEEEEE10hipError_tT0_T1_T2_jT3_P12ihipStream_tbPNSt15iterator_traitsISE_E10value_typeEPNSK_ISF_E10value_typeEPSG_NS1_7vsmem_tEENKUlT_SE_SF_SG_E_clIS8_S8_S9_S9_EESD_ST_SE_SF_SG_EUlST_E1_NS1_11comp_targetILNS1_3genE3ELNS1_11target_archE908ELNS1_3gpuE7ELNS1_3repE0EEENS1_36merge_oddeven_config_static_selectorELNS0_4arch9wavefront6targetE1EEEvSF_, .Lfunc_end1873-_ZN7rocprim17ROCPRIM_400000_NS6detail17trampoline_kernelINS0_14default_configENS1_38merge_sort_block_merge_config_selectorItNS0_10empty_typeEEEZZNS1_27merge_sort_block_merge_implIS3_PtPS5_jNS1_19radix_merge_compareILb1ELb0EtNS0_19identity_decomposerEEEEE10hipError_tT0_T1_T2_jT3_P12ihipStream_tbPNSt15iterator_traitsISE_E10value_typeEPNSK_ISF_E10value_typeEPSG_NS1_7vsmem_tEENKUlT_SE_SF_SG_E_clIS8_S8_S9_S9_EESD_ST_SE_SF_SG_EUlST_E1_NS1_11comp_targetILNS1_3genE3ELNS1_11target_archE908ELNS1_3gpuE7ELNS1_3repE0EEENS1_36merge_oddeven_config_static_selectorELNS0_4arch9wavefront6targetE1EEEvSF_
                                        ; -- End function
	.section	.AMDGPU.csdata,"",@progbits
; Kernel info:
; codeLenInByte = 0
; NumSgprs: 4
; NumVgprs: 0
; NumAgprs: 0
; TotalNumVgprs: 0
; ScratchSize: 0
; MemoryBound: 0
; FloatMode: 240
; IeeeMode: 1
; LDSByteSize: 0 bytes/workgroup (compile time only)
; SGPRBlocks: 0
; VGPRBlocks: 0
; NumSGPRsForWavesPerEU: 4
; NumVGPRsForWavesPerEU: 1
; AccumOffset: 4
; Occupancy: 8
; WaveLimiterHint : 0
; COMPUTE_PGM_RSRC2:SCRATCH_EN: 0
; COMPUTE_PGM_RSRC2:USER_SGPR: 6
; COMPUTE_PGM_RSRC2:TRAP_HANDLER: 0
; COMPUTE_PGM_RSRC2:TGID_X_EN: 1
; COMPUTE_PGM_RSRC2:TGID_Y_EN: 0
; COMPUTE_PGM_RSRC2:TGID_Z_EN: 0
; COMPUTE_PGM_RSRC2:TIDIG_COMP_CNT: 0
; COMPUTE_PGM_RSRC3_GFX90A:ACCUM_OFFSET: 0
; COMPUTE_PGM_RSRC3_GFX90A:TG_SPLIT: 0
	.section	.text._ZN7rocprim17ROCPRIM_400000_NS6detail17trampoline_kernelINS0_14default_configENS1_38merge_sort_block_merge_config_selectorItNS0_10empty_typeEEEZZNS1_27merge_sort_block_merge_implIS3_PtPS5_jNS1_19radix_merge_compareILb1ELb0EtNS0_19identity_decomposerEEEEE10hipError_tT0_T1_T2_jT3_P12ihipStream_tbPNSt15iterator_traitsISE_E10value_typeEPNSK_ISF_E10value_typeEPSG_NS1_7vsmem_tEENKUlT_SE_SF_SG_E_clIS8_S8_S9_S9_EESD_ST_SE_SF_SG_EUlST_E1_NS1_11comp_targetILNS1_3genE2ELNS1_11target_archE906ELNS1_3gpuE6ELNS1_3repE0EEENS1_36merge_oddeven_config_static_selectorELNS0_4arch9wavefront6targetE1EEEvSF_,"axG",@progbits,_ZN7rocprim17ROCPRIM_400000_NS6detail17trampoline_kernelINS0_14default_configENS1_38merge_sort_block_merge_config_selectorItNS0_10empty_typeEEEZZNS1_27merge_sort_block_merge_implIS3_PtPS5_jNS1_19radix_merge_compareILb1ELb0EtNS0_19identity_decomposerEEEEE10hipError_tT0_T1_T2_jT3_P12ihipStream_tbPNSt15iterator_traitsISE_E10value_typeEPNSK_ISF_E10value_typeEPSG_NS1_7vsmem_tEENKUlT_SE_SF_SG_E_clIS8_S8_S9_S9_EESD_ST_SE_SF_SG_EUlST_E1_NS1_11comp_targetILNS1_3genE2ELNS1_11target_archE906ELNS1_3gpuE6ELNS1_3repE0EEENS1_36merge_oddeven_config_static_selectorELNS0_4arch9wavefront6targetE1EEEvSF_,comdat
	.protected	_ZN7rocprim17ROCPRIM_400000_NS6detail17trampoline_kernelINS0_14default_configENS1_38merge_sort_block_merge_config_selectorItNS0_10empty_typeEEEZZNS1_27merge_sort_block_merge_implIS3_PtPS5_jNS1_19radix_merge_compareILb1ELb0EtNS0_19identity_decomposerEEEEE10hipError_tT0_T1_T2_jT3_P12ihipStream_tbPNSt15iterator_traitsISE_E10value_typeEPNSK_ISF_E10value_typeEPSG_NS1_7vsmem_tEENKUlT_SE_SF_SG_E_clIS8_S8_S9_S9_EESD_ST_SE_SF_SG_EUlST_E1_NS1_11comp_targetILNS1_3genE2ELNS1_11target_archE906ELNS1_3gpuE6ELNS1_3repE0EEENS1_36merge_oddeven_config_static_selectorELNS0_4arch9wavefront6targetE1EEEvSF_ ; -- Begin function _ZN7rocprim17ROCPRIM_400000_NS6detail17trampoline_kernelINS0_14default_configENS1_38merge_sort_block_merge_config_selectorItNS0_10empty_typeEEEZZNS1_27merge_sort_block_merge_implIS3_PtPS5_jNS1_19radix_merge_compareILb1ELb0EtNS0_19identity_decomposerEEEEE10hipError_tT0_T1_T2_jT3_P12ihipStream_tbPNSt15iterator_traitsISE_E10value_typeEPNSK_ISF_E10value_typeEPSG_NS1_7vsmem_tEENKUlT_SE_SF_SG_E_clIS8_S8_S9_S9_EESD_ST_SE_SF_SG_EUlST_E1_NS1_11comp_targetILNS1_3genE2ELNS1_11target_archE906ELNS1_3gpuE6ELNS1_3repE0EEENS1_36merge_oddeven_config_static_selectorELNS0_4arch9wavefront6targetE1EEEvSF_
	.globl	_ZN7rocprim17ROCPRIM_400000_NS6detail17trampoline_kernelINS0_14default_configENS1_38merge_sort_block_merge_config_selectorItNS0_10empty_typeEEEZZNS1_27merge_sort_block_merge_implIS3_PtPS5_jNS1_19radix_merge_compareILb1ELb0EtNS0_19identity_decomposerEEEEE10hipError_tT0_T1_T2_jT3_P12ihipStream_tbPNSt15iterator_traitsISE_E10value_typeEPNSK_ISF_E10value_typeEPSG_NS1_7vsmem_tEENKUlT_SE_SF_SG_E_clIS8_S8_S9_S9_EESD_ST_SE_SF_SG_EUlST_E1_NS1_11comp_targetILNS1_3genE2ELNS1_11target_archE906ELNS1_3gpuE6ELNS1_3repE0EEENS1_36merge_oddeven_config_static_selectorELNS0_4arch9wavefront6targetE1EEEvSF_
	.p2align	8
	.type	_ZN7rocprim17ROCPRIM_400000_NS6detail17trampoline_kernelINS0_14default_configENS1_38merge_sort_block_merge_config_selectorItNS0_10empty_typeEEEZZNS1_27merge_sort_block_merge_implIS3_PtPS5_jNS1_19radix_merge_compareILb1ELb0EtNS0_19identity_decomposerEEEEE10hipError_tT0_T1_T2_jT3_P12ihipStream_tbPNSt15iterator_traitsISE_E10value_typeEPNSK_ISF_E10value_typeEPSG_NS1_7vsmem_tEENKUlT_SE_SF_SG_E_clIS8_S8_S9_S9_EESD_ST_SE_SF_SG_EUlST_E1_NS1_11comp_targetILNS1_3genE2ELNS1_11target_archE906ELNS1_3gpuE6ELNS1_3repE0EEENS1_36merge_oddeven_config_static_selectorELNS0_4arch9wavefront6targetE1EEEvSF_,@function
_ZN7rocprim17ROCPRIM_400000_NS6detail17trampoline_kernelINS0_14default_configENS1_38merge_sort_block_merge_config_selectorItNS0_10empty_typeEEEZZNS1_27merge_sort_block_merge_implIS3_PtPS5_jNS1_19radix_merge_compareILb1ELb0EtNS0_19identity_decomposerEEEEE10hipError_tT0_T1_T2_jT3_P12ihipStream_tbPNSt15iterator_traitsISE_E10value_typeEPNSK_ISF_E10value_typeEPSG_NS1_7vsmem_tEENKUlT_SE_SF_SG_E_clIS8_S8_S9_S9_EESD_ST_SE_SF_SG_EUlST_E1_NS1_11comp_targetILNS1_3genE2ELNS1_11target_archE906ELNS1_3gpuE6ELNS1_3repE0EEENS1_36merge_oddeven_config_static_selectorELNS0_4arch9wavefront6targetE1EEEvSF_: ; @_ZN7rocprim17ROCPRIM_400000_NS6detail17trampoline_kernelINS0_14default_configENS1_38merge_sort_block_merge_config_selectorItNS0_10empty_typeEEEZZNS1_27merge_sort_block_merge_implIS3_PtPS5_jNS1_19radix_merge_compareILb1ELb0EtNS0_19identity_decomposerEEEEE10hipError_tT0_T1_T2_jT3_P12ihipStream_tbPNSt15iterator_traitsISE_E10value_typeEPNSK_ISF_E10value_typeEPSG_NS1_7vsmem_tEENKUlT_SE_SF_SG_E_clIS8_S8_S9_S9_EESD_ST_SE_SF_SG_EUlST_E1_NS1_11comp_targetILNS1_3genE2ELNS1_11target_archE906ELNS1_3gpuE6ELNS1_3repE0EEENS1_36merge_oddeven_config_static_selectorELNS0_4arch9wavefront6targetE1EEEvSF_
; %bb.0:
	.section	.rodata,"a",@progbits
	.p2align	6, 0x0
	.amdhsa_kernel _ZN7rocprim17ROCPRIM_400000_NS6detail17trampoline_kernelINS0_14default_configENS1_38merge_sort_block_merge_config_selectorItNS0_10empty_typeEEEZZNS1_27merge_sort_block_merge_implIS3_PtPS5_jNS1_19radix_merge_compareILb1ELb0EtNS0_19identity_decomposerEEEEE10hipError_tT0_T1_T2_jT3_P12ihipStream_tbPNSt15iterator_traitsISE_E10value_typeEPNSK_ISF_E10value_typeEPSG_NS1_7vsmem_tEENKUlT_SE_SF_SG_E_clIS8_S8_S9_S9_EESD_ST_SE_SF_SG_EUlST_E1_NS1_11comp_targetILNS1_3genE2ELNS1_11target_archE906ELNS1_3gpuE6ELNS1_3repE0EEENS1_36merge_oddeven_config_static_selectorELNS0_4arch9wavefront6targetE1EEEvSF_
		.amdhsa_group_segment_fixed_size 0
		.amdhsa_private_segment_fixed_size 0
		.amdhsa_kernarg_size 48
		.amdhsa_user_sgpr_count 6
		.amdhsa_user_sgpr_private_segment_buffer 1
		.amdhsa_user_sgpr_dispatch_ptr 0
		.amdhsa_user_sgpr_queue_ptr 0
		.amdhsa_user_sgpr_kernarg_segment_ptr 1
		.amdhsa_user_sgpr_dispatch_id 0
		.amdhsa_user_sgpr_flat_scratch_init 0
		.amdhsa_user_sgpr_kernarg_preload_length 0
		.amdhsa_user_sgpr_kernarg_preload_offset 0
		.amdhsa_user_sgpr_private_segment_size 0
		.amdhsa_uses_dynamic_stack 0
		.amdhsa_system_sgpr_private_segment_wavefront_offset 0
		.amdhsa_system_sgpr_workgroup_id_x 1
		.amdhsa_system_sgpr_workgroup_id_y 0
		.amdhsa_system_sgpr_workgroup_id_z 0
		.amdhsa_system_sgpr_workgroup_info 0
		.amdhsa_system_vgpr_workitem_id 0
		.amdhsa_next_free_vgpr 1
		.amdhsa_next_free_sgpr 0
		.amdhsa_accum_offset 4
		.amdhsa_reserve_vcc 0
		.amdhsa_reserve_flat_scratch 0
		.amdhsa_float_round_mode_32 0
		.amdhsa_float_round_mode_16_64 0
		.amdhsa_float_denorm_mode_32 3
		.amdhsa_float_denorm_mode_16_64 3
		.amdhsa_dx10_clamp 1
		.amdhsa_ieee_mode 1
		.amdhsa_fp16_overflow 0
		.amdhsa_tg_split 0
		.amdhsa_exception_fp_ieee_invalid_op 0
		.amdhsa_exception_fp_denorm_src 0
		.amdhsa_exception_fp_ieee_div_zero 0
		.amdhsa_exception_fp_ieee_overflow 0
		.amdhsa_exception_fp_ieee_underflow 0
		.amdhsa_exception_fp_ieee_inexact 0
		.amdhsa_exception_int_div_zero 0
	.end_amdhsa_kernel
	.section	.text._ZN7rocprim17ROCPRIM_400000_NS6detail17trampoline_kernelINS0_14default_configENS1_38merge_sort_block_merge_config_selectorItNS0_10empty_typeEEEZZNS1_27merge_sort_block_merge_implIS3_PtPS5_jNS1_19radix_merge_compareILb1ELb0EtNS0_19identity_decomposerEEEEE10hipError_tT0_T1_T2_jT3_P12ihipStream_tbPNSt15iterator_traitsISE_E10value_typeEPNSK_ISF_E10value_typeEPSG_NS1_7vsmem_tEENKUlT_SE_SF_SG_E_clIS8_S8_S9_S9_EESD_ST_SE_SF_SG_EUlST_E1_NS1_11comp_targetILNS1_3genE2ELNS1_11target_archE906ELNS1_3gpuE6ELNS1_3repE0EEENS1_36merge_oddeven_config_static_selectorELNS0_4arch9wavefront6targetE1EEEvSF_,"axG",@progbits,_ZN7rocprim17ROCPRIM_400000_NS6detail17trampoline_kernelINS0_14default_configENS1_38merge_sort_block_merge_config_selectorItNS0_10empty_typeEEEZZNS1_27merge_sort_block_merge_implIS3_PtPS5_jNS1_19radix_merge_compareILb1ELb0EtNS0_19identity_decomposerEEEEE10hipError_tT0_T1_T2_jT3_P12ihipStream_tbPNSt15iterator_traitsISE_E10value_typeEPNSK_ISF_E10value_typeEPSG_NS1_7vsmem_tEENKUlT_SE_SF_SG_E_clIS8_S8_S9_S9_EESD_ST_SE_SF_SG_EUlST_E1_NS1_11comp_targetILNS1_3genE2ELNS1_11target_archE906ELNS1_3gpuE6ELNS1_3repE0EEENS1_36merge_oddeven_config_static_selectorELNS0_4arch9wavefront6targetE1EEEvSF_,comdat
.Lfunc_end1874:
	.size	_ZN7rocprim17ROCPRIM_400000_NS6detail17trampoline_kernelINS0_14default_configENS1_38merge_sort_block_merge_config_selectorItNS0_10empty_typeEEEZZNS1_27merge_sort_block_merge_implIS3_PtPS5_jNS1_19radix_merge_compareILb1ELb0EtNS0_19identity_decomposerEEEEE10hipError_tT0_T1_T2_jT3_P12ihipStream_tbPNSt15iterator_traitsISE_E10value_typeEPNSK_ISF_E10value_typeEPSG_NS1_7vsmem_tEENKUlT_SE_SF_SG_E_clIS8_S8_S9_S9_EESD_ST_SE_SF_SG_EUlST_E1_NS1_11comp_targetILNS1_3genE2ELNS1_11target_archE906ELNS1_3gpuE6ELNS1_3repE0EEENS1_36merge_oddeven_config_static_selectorELNS0_4arch9wavefront6targetE1EEEvSF_, .Lfunc_end1874-_ZN7rocprim17ROCPRIM_400000_NS6detail17trampoline_kernelINS0_14default_configENS1_38merge_sort_block_merge_config_selectorItNS0_10empty_typeEEEZZNS1_27merge_sort_block_merge_implIS3_PtPS5_jNS1_19radix_merge_compareILb1ELb0EtNS0_19identity_decomposerEEEEE10hipError_tT0_T1_T2_jT3_P12ihipStream_tbPNSt15iterator_traitsISE_E10value_typeEPNSK_ISF_E10value_typeEPSG_NS1_7vsmem_tEENKUlT_SE_SF_SG_E_clIS8_S8_S9_S9_EESD_ST_SE_SF_SG_EUlST_E1_NS1_11comp_targetILNS1_3genE2ELNS1_11target_archE906ELNS1_3gpuE6ELNS1_3repE0EEENS1_36merge_oddeven_config_static_selectorELNS0_4arch9wavefront6targetE1EEEvSF_
                                        ; -- End function
	.section	.AMDGPU.csdata,"",@progbits
; Kernel info:
; codeLenInByte = 0
; NumSgprs: 4
; NumVgprs: 0
; NumAgprs: 0
; TotalNumVgprs: 0
; ScratchSize: 0
; MemoryBound: 0
; FloatMode: 240
; IeeeMode: 1
; LDSByteSize: 0 bytes/workgroup (compile time only)
; SGPRBlocks: 0
; VGPRBlocks: 0
; NumSGPRsForWavesPerEU: 4
; NumVGPRsForWavesPerEU: 1
; AccumOffset: 4
; Occupancy: 8
; WaveLimiterHint : 0
; COMPUTE_PGM_RSRC2:SCRATCH_EN: 0
; COMPUTE_PGM_RSRC2:USER_SGPR: 6
; COMPUTE_PGM_RSRC2:TRAP_HANDLER: 0
; COMPUTE_PGM_RSRC2:TGID_X_EN: 1
; COMPUTE_PGM_RSRC2:TGID_Y_EN: 0
; COMPUTE_PGM_RSRC2:TGID_Z_EN: 0
; COMPUTE_PGM_RSRC2:TIDIG_COMP_CNT: 0
; COMPUTE_PGM_RSRC3_GFX90A:ACCUM_OFFSET: 0
; COMPUTE_PGM_RSRC3_GFX90A:TG_SPLIT: 0
	.section	.text._ZN7rocprim17ROCPRIM_400000_NS6detail17trampoline_kernelINS0_14default_configENS1_38merge_sort_block_merge_config_selectorItNS0_10empty_typeEEEZZNS1_27merge_sort_block_merge_implIS3_PtPS5_jNS1_19radix_merge_compareILb1ELb0EtNS0_19identity_decomposerEEEEE10hipError_tT0_T1_T2_jT3_P12ihipStream_tbPNSt15iterator_traitsISE_E10value_typeEPNSK_ISF_E10value_typeEPSG_NS1_7vsmem_tEENKUlT_SE_SF_SG_E_clIS8_S8_S9_S9_EESD_ST_SE_SF_SG_EUlST_E1_NS1_11comp_targetILNS1_3genE9ELNS1_11target_archE1100ELNS1_3gpuE3ELNS1_3repE0EEENS1_36merge_oddeven_config_static_selectorELNS0_4arch9wavefront6targetE1EEEvSF_,"axG",@progbits,_ZN7rocprim17ROCPRIM_400000_NS6detail17trampoline_kernelINS0_14default_configENS1_38merge_sort_block_merge_config_selectorItNS0_10empty_typeEEEZZNS1_27merge_sort_block_merge_implIS3_PtPS5_jNS1_19radix_merge_compareILb1ELb0EtNS0_19identity_decomposerEEEEE10hipError_tT0_T1_T2_jT3_P12ihipStream_tbPNSt15iterator_traitsISE_E10value_typeEPNSK_ISF_E10value_typeEPSG_NS1_7vsmem_tEENKUlT_SE_SF_SG_E_clIS8_S8_S9_S9_EESD_ST_SE_SF_SG_EUlST_E1_NS1_11comp_targetILNS1_3genE9ELNS1_11target_archE1100ELNS1_3gpuE3ELNS1_3repE0EEENS1_36merge_oddeven_config_static_selectorELNS0_4arch9wavefront6targetE1EEEvSF_,comdat
	.protected	_ZN7rocprim17ROCPRIM_400000_NS6detail17trampoline_kernelINS0_14default_configENS1_38merge_sort_block_merge_config_selectorItNS0_10empty_typeEEEZZNS1_27merge_sort_block_merge_implIS3_PtPS5_jNS1_19radix_merge_compareILb1ELb0EtNS0_19identity_decomposerEEEEE10hipError_tT0_T1_T2_jT3_P12ihipStream_tbPNSt15iterator_traitsISE_E10value_typeEPNSK_ISF_E10value_typeEPSG_NS1_7vsmem_tEENKUlT_SE_SF_SG_E_clIS8_S8_S9_S9_EESD_ST_SE_SF_SG_EUlST_E1_NS1_11comp_targetILNS1_3genE9ELNS1_11target_archE1100ELNS1_3gpuE3ELNS1_3repE0EEENS1_36merge_oddeven_config_static_selectorELNS0_4arch9wavefront6targetE1EEEvSF_ ; -- Begin function _ZN7rocprim17ROCPRIM_400000_NS6detail17trampoline_kernelINS0_14default_configENS1_38merge_sort_block_merge_config_selectorItNS0_10empty_typeEEEZZNS1_27merge_sort_block_merge_implIS3_PtPS5_jNS1_19radix_merge_compareILb1ELb0EtNS0_19identity_decomposerEEEEE10hipError_tT0_T1_T2_jT3_P12ihipStream_tbPNSt15iterator_traitsISE_E10value_typeEPNSK_ISF_E10value_typeEPSG_NS1_7vsmem_tEENKUlT_SE_SF_SG_E_clIS8_S8_S9_S9_EESD_ST_SE_SF_SG_EUlST_E1_NS1_11comp_targetILNS1_3genE9ELNS1_11target_archE1100ELNS1_3gpuE3ELNS1_3repE0EEENS1_36merge_oddeven_config_static_selectorELNS0_4arch9wavefront6targetE1EEEvSF_
	.globl	_ZN7rocprim17ROCPRIM_400000_NS6detail17trampoline_kernelINS0_14default_configENS1_38merge_sort_block_merge_config_selectorItNS0_10empty_typeEEEZZNS1_27merge_sort_block_merge_implIS3_PtPS5_jNS1_19radix_merge_compareILb1ELb0EtNS0_19identity_decomposerEEEEE10hipError_tT0_T1_T2_jT3_P12ihipStream_tbPNSt15iterator_traitsISE_E10value_typeEPNSK_ISF_E10value_typeEPSG_NS1_7vsmem_tEENKUlT_SE_SF_SG_E_clIS8_S8_S9_S9_EESD_ST_SE_SF_SG_EUlST_E1_NS1_11comp_targetILNS1_3genE9ELNS1_11target_archE1100ELNS1_3gpuE3ELNS1_3repE0EEENS1_36merge_oddeven_config_static_selectorELNS0_4arch9wavefront6targetE1EEEvSF_
	.p2align	8
	.type	_ZN7rocprim17ROCPRIM_400000_NS6detail17trampoline_kernelINS0_14default_configENS1_38merge_sort_block_merge_config_selectorItNS0_10empty_typeEEEZZNS1_27merge_sort_block_merge_implIS3_PtPS5_jNS1_19radix_merge_compareILb1ELb0EtNS0_19identity_decomposerEEEEE10hipError_tT0_T1_T2_jT3_P12ihipStream_tbPNSt15iterator_traitsISE_E10value_typeEPNSK_ISF_E10value_typeEPSG_NS1_7vsmem_tEENKUlT_SE_SF_SG_E_clIS8_S8_S9_S9_EESD_ST_SE_SF_SG_EUlST_E1_NS1_11comp_targetILNS1_3genE9ELNS1_11target_archE1100ELNS1_3gpuE3ELNS1_3repE0EEENS1_36merge_oddeven_config_static_selectorELNS0_4arch9wavefront6targetE1EEEvSF_,@function
_ZN7rocprim17ROCPRIM_400000_NS6detail17trampoline_kernelINS0_14default_configENS1_38merge_sort_block_merge_config_selectorItNS0_10empty_typeEEEZZNS1_27merge_sort_block_merge_implIS3_PtPS5_jNS1_19radix_merge_compareILb1ELb0EtNS0_19identity_decomposerEEEEE10hipError_tT0_T1_T2_jT3_P12ihipStream_tbPNSt15iterator_traitsISE_E10value_typeEPNSK_ISF_E10value_typeEPSG_NS1_7vsmem_tEENKUlT_SE_SF_SG_E_clIS8_S8_S9_S9_EESD_ST_SE_SF_SG_EUlST_E1_NS1_11comp_targetILNS1_3genE9ELNS1_11target_archE1100ELNS1_3gpuE3ELNS1_3repE0EEENS1_36merge_oddeven_config_static_selectorELNS0_4arch9wavefront6targetE1EEEvSF_: ; @_ZN7rocprim17ROCPRIM_400000_NS6detail17trampoline_kernelINS0_14default_configENS1_38merge_sort_block_merge_config_selectorItNS0_10empty_typeEEEZZNS1_27merge_sort_block_merge_implIS3_PtPS5_jNS1_19radix_merge_compareILb1ELb0EtNS0_19identity_decomposerEEEEE10hipError_tT0_T1_T2_jT3_P12ihipStream_tbPNSt15iterator_traitsISE_E10value_typeEPNSK_ISF_E10value_typeEPSG_NS1_7vsmem_tEENKUlT_SE_SF_SG_E_clIS8_S8_S9_S9_EESD_ST_SE_SF_SG_EUlST_E1_NS1_11comp_targetILNS1_3genE9ELNS1_11target_archE1100ELNS1_3gpuE3ELNS1_3repE0EEENS1_36merge_oddeven_config_static_selectorELNS0_4arch9wavefront6targetE1EEEvSF_
; %bb.0:
	.section	.rodata,"a",@progbits
	.p2align	6, 0x0
	.amdhsa_kernel _ZN7rocprim17ROCPRIM_400000_NS6detail17trampoline_kernelINS0_14default_configENS1_38merge_sort_block_merge_config_selectorItNS0_10empty_typeEEEZZNS1_27merge_sort_block_merge_implIS3_PtPS5_jNS1_19radix_merge_compareILb1ELb0EtNS0_19identity_decomposerEEEEE10hipError_tT0_T1_T2_jT3_P12ihipStream_tbPNSt15iterator_traitsISE_E10value_typeEPNSK_ISF_E10value_typeEPSG_NS1_7vsmem_tEENKUlT_SE_SF_SG_E_clIS8_S8_S9_S9_EESD_ST_SE_SF_SG_EUlST_E1_NS1_11comp_targetILNS1_3genE9ELNS1_11target_archE1100ELNS1_3gpuE3ELNS1_3repE0EEENS1_36merge_oddeven_config_static_selectorELNS0_4arch9wavefront6targetE1EEEvSF_
		.amdhsa_group_segment_fixed_size 0
		.amdhsa_private_segment_fixed_size 0
		.amdhsa_kernarg_size 48
		.amdhsa_user_sgpr_count 6
		.amdhsa_user_sgpr_private_segment_buffer 1
		.amdhsa_user_sgpr_dispatch_ptr 0
		.amdhsa_user_sgpr_queue_ptr 0
		.amdhsa_user_sgpr_kernarg_segment_ptr 1
		.amdhsa_user_sgpr_dispatch_id 0
		.amdhsa_user_sgpr_flat_scratch_init 0
		.amdhsa_user_sgpr_kernarg_preload_length 0
		.amdhsa_user_sgpr_kernarg_preload_offset 0
		.amdhsa_user_sgpr_private_segment_size 0
		.amdhsa_uses_dynamic_stack 0
		.amdhsa_system_sgpr_private_segment_wavefront_offset 0
		.amdhsa_system_sgpr_workgroup_id_x 1
		.amdhsa_system_sgpr_workgroup_id_y 0
		.amdhsa_system_sgpr_workgroup_id_z 0
		.amdhsa_system_sgpr_workgroup_info 0
		.amdhsa_system_vgpr_workitem_id 0
		.amdhsa_next_free_vgpr 1
		.amdhsa_next_free_sgpr 0
		.amdhsa_accum_offset 4
		.amdhsa_reserve_vcc 0
		.amdhsa_reserve_flat_scratch 0
		.amdhsa_float_round_mode_32 0
		.amdhsa_float_round_mode_16_64 0
		.amdhsa_float_denorm_mode_32 3
		.amdhsa_float_denorm_mode_16_64 3
		.amdhsa_dx10_clamp 1
		.amdhsa_ieee_mode 1
		.amdhsa_fp16_overflow 0
		.amdhsa_tg_split 0
		.amdhsa_exception_fp_ieee_invalid_op 0
		.amdhsa_exception_fp_denorm_src 0
		.amdhsa_exception_fp_ieee_div_zero 0
		.amdhsa_exception_fp_ieee_overflow 0
		.amdhsa_exception_fp_ieee_underflow 0
		.amdhsa_exception_fp_ieee_inexact 0
		.amdhsa_exception_int_div_zero 0
	.end_amdhsa_kernel
	.section	.text._ZN7rocprim17ROCPRIM_400000_NS6detail17trampoline_kernelINS0_14default_configENS1_38merge_sort_block_merge_config_selectorItNS0_10empty_typeEEEZZNS1_27merge_sort_block_merge_implIS3_PtPS5_jNS1_19radix_merge_compareILb1ELb0EtNS0_19identity_decomposerEEEEE10hipError_tT0_T1_T2_jT3_P12ihipStream_tbPNSt15iterator_traitsISE_E10value_typeEPNSK_ISF_E10value_typeEPSG_NS1_7vsmem_tEENKUlT_SE_SF_SG_E_clIS8_S8_S9_S9_EESD_ST_SE_SF_SG_EUlST_E1_NS1_11comp_targetILNS1_3genE9ELNS1_11target_archE1100ELNS1_3gpuE3ELNS1_3repE0EEENS1_36merge_oddeven_config_static_selectorELNS0_4arch9wavefront6targetE1EEEvSF_,"axG",@progbits,_ZN7rocprim17ROCPRIM_400000_NS6detail17trampoline_kernelINS0_14default_configENS1_38merge_sort_block_merge_config_selectorItNS0_10empty_typeEEEZZNS1_27merge_sort_block_merge_implIS3_PtPS5_jNS1_19radix_merge_compareILb1ELb0EtNS0_19identity_decomposerEEEEE10hipError_tT0_T1_T2_jT3_P12ihipStream_tbPNSt15iterator_traitsISE_E10value_typeEPNSK_ISF_E10value_typeEPSG_NS1_7vsmem_tEENKUlT_SE_SF_SG_E_clIS8_S8_S9_S9_EESD_ST_SE_SF_SG_EUlST_E1_NS1_11comp_targetILNS1_3genE9ELNS1_11target_archE1100ELNS1_3gpuE3ELNS1_3repE0EEENS1_36merge_oddeven_config_static_selectorELNS0_4arch9wavefront6targetE1EEEvSF_,comdat
.Lfunc_end1875:
	.size	_ZN7rocprim17ROCPRIM_400000_NS6detail17trampoline_kernelINS0_14default_configENS1_38merge_sort_block_merge_config_selectorItNS0_10empty_typeEEEZZNS1_27merge_sort_block_merge_implIS3_PtPS5_jNS1_19radix_merge_compareILb1ELb0EtNS0_19identity_decomposerEEEEE10hipError_tT0_T1_T2_jT3_P12ihipStream_tbPNSt15iterator_traitsISE_E10value_typeEPNSK_ISF_E10value_typeEPSG_NS1_7vsmem_tEENKUlT_SE_SF_SG_E_clIS8_S8_S9_S9_EESD_ST_SE_SF_SG_EUlST_E1_NS1_11comp_targetILNS1_3genE9ELNS1_11target_archE1100ELNS1_3gpuE3ELNS1_3repE0EEENS1_36merge_oddeven_config_static_selectorELNS0_4arch9wavefront6targetE1EEEvSF_, .Lfunc_end1875-_ZN7rocprim17ROCPRIM_400000_NS6detail17trampoline_kernelINS0_14default_configENS1_38merge_sort_block_merge_config_selectorItNS0_10empty_typeEEEZZNS1_27merge_sort_block_merge_implIS3_PtPS5_jNS1_19radix_merge_compareILb1ELb0EtNS0_19identity_decomposerEEEEE10hipError_tT0_T1_T2_jT3_P12ihipStream_tbPNSt15iterator_traitsISE_E10value_typeEPNSK_ISF_E10value_typeEPSG_NS1_7vsmem_tEENKUlT_SE_SF_SG_E_clIS8_S8_S9_S9_EESD_ST_SE_SF_SG_EUlST_E1_NS1_11comp_targetILNS1_3genE9ELNS1_11target_archE1100ELNS1_3gpuE3ELNS1_3repE0EEENS1_36merge_oddeven_config_static_selectorELNS0_4arch9wavefront6targetE1EEEvSF_
                                        ; -- End function
	.section	.AMDGPU.csdata,"",@progbits
; Kernel info:
; codeLenInByte = 0
; NumSgprs: 4
; NumVgprs: 0
; NumAgprs: 0
; TotalNumVgprs: 0
; ScratchSize: 0
; MemoryBound: 0
; FloatMode: 240
; IeeeMode: 1
; LDSByteSize: 0 bytes/workgroup (compile time only)
; SGPRBlocks: 0
; VGPRBlocks: 0
; NumSGPRsForWavesPerEU: 4
; NumVGPRsForWavesPerEU: 1
; AccumOffset: 4
; Occupancy: 8
; WaveLimiterHint : 0
; COMPUTE_PGM_RSRC2:SCRATCH_EN: 0
; COMPUTE_PGM_RSRC2:USER_SGPR: 6
; COMPUTE_PGM_RSRC2:TRAP_HANDLER: 0
; COMPUTE_PGM_RSRC2:TGID_X_EN: 1
; COMPUTE_PGM_RSRC2:TGID_Y_EN: 0
; COMPUTE_PGM_RSRC2:TGID_Z_EN: 0
; COMPUTE_PGM_RSRC2:TIDIG_COMP_CNT: 0
; COMPUTE_PGM_RSRC3_GFX90A:ACCUM_OFFSET: 0
; COMPUTE_PGM_RSRC3_GFX90A:TG_SPLIT: 0
	.section	.text._ZN7rocprim17ROCPRIM_400000_NS6detail17trampoline_kernelINS0_14default_configENS1_38merge_sort_block_merge_config_selectorItNS0_10empty_typeEEEZZNS1_27merge_sort_block_merge_implIS3_PtPS5_jNS1_19radix_merge_compareILb1ELb0EtNS0_19identity_decomposerEEEEE10hipError_tT0_T1_T2_jT3_P12ihipStream_tbPNSt15iterator_traitsISE_E10value_typeEPNSK_ISF_E10value_typeEPSG_NS1_7vsmem_tEENKUlT_SE_SF_SG_E_clIS8_S8_S9_S9_EESD_ST_SE_SF_SG_EUlST_E1_NS1_11comp_targetILNS1_3genE8ELNS1_11target_archE1030ELNS1_3gpuE2ELNS1_3repE0EEENS1_36merge_oddeven_config_static_selectorELNS0_4arch9wavefront6targetE1EEEvSF_,"axG",@progbits,_ZN7rocprim17ROCPRIM_400000_NS6detail17trampoline_kernelINS0_14default_configENS1_38merge_sort_block_merge_config_selectorItNS0_10empty_typeEEEZZNS1_27merge_sort_block_merge_implIS3_PtPS5_jNS1_19radix_merge_compareILb1ELb0EtNS0_19identity_decomposerEEEEE10hipError_tT0_T1_T2_jT3_P12ihipStream_tbPNSt15iterator_traitsISE_E10value_typeEPNSK_ISF_E10value_typeEPSG_NS1_7vsmem_tEENKUlT_SE_SF_SG_E_clIS8_S8_S9_S9_EESD_ST_SE_SF_SG_EUlST_E1_NS1_11comp_targetILNS1_3genE8ELNS1_11target_archE1030ELNS1_3gpuE2ELNS1_3repE0EEENS1_36merge_oddeven_config_static_selectorELNS0_4arch9wavefront6targetE1EEEvSF_,comdat
	.protected	_ZN7rocprim17ROCPRIM_400000_NS6detail17trampoline_kernelINS0_14default_configENS1_38merge_sort_block_merge_config_selectorItNS0_10empty_typeEEEZZNS1_27merge_sort_block_merge_implIS3_PtPS5_jNS1_19radix_merge_compareILb1ELb0EtNS0_19identity_decomposerEEEEE10hipError_tT0_T1_T2_jT3_P12ihipStream_tbPNSt15iterator_traitsISE_E10value_typeEPNSK_ISF_E10value_typeEPSG_NS1_7vsmem_tEENKUlT_SE_SF_SG_E_clIS8_S8_S9_S9_EESD_ST_SE_SF_SG_EUlST_E1_NS1_11comp_targetILNS1_3genE8ELNS1_11target_archE1030ELNS1_3gpuE2ELNS1_3repE0EEENS1_36merge_oddeven_config_static_selectorELNS0_4arch9wavefront6targetE1EEEvSF_ ; -- Begin function _ZN7rocprim17ROCPRIM_400000_NS6detail17trampoline_kernelINS0_14default_configENS1_38merge_sort_block_merge_config_selectorItNS0_10empty_typeEEEZZNS1_27merge_sort_block_merge_implIS3_PtPS5_jNS1_19radix_merge_compareILb1ELb0EtNS0_19identity_decomposerEEEEE10hipError_tT0_T1_T2_jT3_P12ihipStream_tbPNSt15iterator_traitsISE_E10value_typeEPNSK_ISF_E10value_typeEPSG_NS1_7vsmem_tEENKUlT_SE_SF_SG_E_clIS8_S8_S9_S9_EESD_ST_SE_SF_SG_EUlST_E1_NS1_11comp_targetILNS1_3genE8ELNS1_11target_archE1030ELNS1_3gpuE2ELNS1_3repE0EEENS1_36merge_oddeven_config_static_selectorELNS0_4arch9wavefront6targetE1EEEvSF_
	.globl	_ZN7rocprim17ROCPRIM_400000_NS6detail17trampoline_kernelINS0_14default_configENS1_38merge_sort_block_merge_config_selectorItNS0_10empty_typeEEEZZNS1_27merge_sort_block_merge_implIS3_PtPS5_jNS1_19radix_merge_compareILb1ELb0EtNS0_19identity_decomposerEEEEE10hipError_tT0_T1_T2_jT3_P12ihipStream_tbPNSt15iterator_traitsISE_E10value_typeEPNSK_ISF_E10value_typeEPSG_NS1_7vsmem_tEENKUlT_SE_SF_SG_E_clIS8_S8_S9_S9_EESD_ST_SE_SF_SG_EUlST_E1_NS1_11comp_targetILNS1_3genE8ELNS1_11target_archE1030ELNS1_3gpuE2ELNS1_3repE0EEENS1_36merge_oddeven_config_static_selectorELNS0_4arch9wavefront6targetE1EEEvSF_
	.p2align	8
	.type	_ZN7rocprim17ROCPRIM_400000_NS6detail17trampoline_kernelINS0_14default_configENS1_38merge_sort_block_merge_config_selectorItNS0_10empty_typeEEEZZNS1_27merge_sort_block_merge_implIS3_PtPS5_jNS1_19radix_merge_compareILb1ELb0EtNS0_19identity_decomposerEEEEE10hipError_tT0_T1_T2_jT3_P12ihipStream_tbPNSt15iterator_traitsISE_E10value_typeEPNSK_ISF_E10value_typeEPSG_NS1_7vsmem_tEENKUlT_SE_SF_SG_E_clIS8_S8_S9_S9_EESD_ST_SE_SF_SG_EUlST_E1_NS1_11comp_targetILNS1_3genE8ELNS1_11target_archE1030ELNS1_3gpuE2ELNS1_3repE0EEENS1_36merge_oddeven_config_static_selectorELNS0_4arch9wavefront6targetE1EEEvSF_,@function
_ZN7rocprim17ROCPRIM_400000_NS6detail17trampoline_kernelINS0_14default_configENS1_38merge_sort_block_merge_config_selectorItNS0_10empty_typeEEEZZNS1_27merge_sort_block_merge_implIS3_PtPS5_jNS1_19radix_merge_compareILb1ELb0EtNS0_19identity_decomposerEEEEE10hipError_tT0_T1_T2_jT3_P12ihipStream_tbPNSt15iterator_traitsISE_E10value_typeEPNSK_ISF_E10value_typeEPSG_NS1_7vsmem_tEENKUlT_SE_SF_SG_E_clIS8_S8_S9_S9_EESD_ST_SE_SF_SG_EUlST_E1_NS1_11comp_targetILNS1_3genE8ELNS1_11target_archE1030ELNS1_3gpuE2ELNS1_3repE0EEENS1_36merge_oddeven_config_static_selectorELNS0_4arch9wavefront6targetE1EEEvSF_: ; @_ZN7rocprim17ROCPRIM_400000_NS6detail17trampoline_kernelINS0_14default_configENS1_38merge_sort_block_merge_config_selectorItNS0_10empty_typeEEEZZNS1_27merge_sort_block_merge_implIS3_PtPS5_jNS1_19radix_merge_compareILb1ELb0EtNS0_19identity_decomposerEEEEE10hipError_tT0_T1_T2_jT3_P12ihipStream_tbPNSt15iterator_traitsISE_E10value_typeEPNSK_ISF_E10value_typeEPSG_NS1_7vsmem_tEENKUlT_SE_SF_SG_E_clIS8_S8_S9_S9_EESD_ST_SE_SF_SG_EUlST_E1_NS1_11comp_targetILNS1_3genE8ELNS1_11target_archE1030ELNS1_3gpuE2ELNS1_3repE0EEENS1_36merge_oddeven_config_static_selectorELNS0_4arch9wavefront6targetE1EEEvSF_
; %bb.0:
	.section	.rodata,"a",@progbits
	.p2align	6, 0x0
	.amdhsa_kernel _ZN7rocprim17ROCPRIM_400000_NS6detail17trampoline_kernelINS0_14default_configENS1_38merge_sort_block_merge_config_selectorItNS0_10empty_typeEEEZZNS1_27merge_sort_block_merge_implIS3_PtPS5_jNS1_19radix_merge_compareILb1ELb0EtNS0_19identity_decomposerEEEEE10hipError_tT0_T1_T2_jT3_P12ihipStream_tbPNSt15iterator_traitsISE_E10value_typeEPNSK_ISF_E10value_typeEPSG_NS1_7vsmem_tEENKUlT_SE_SF_SG_E_clIS8_S8_S9_S9_EESD_ST_SE_SF_SG_EUlST_E1_NS1_11comp_targetILNS1_3genE8ELNS1_11target_archE1030ELNS1_3gpuE2ELNS1_3repE0EEENS1_36merge_oddeven_config_static_selectorELNS0_4arch9wavefront6targetE1EEEvSF_
		.amdhsa_group_segment_fixed_size 0
		.amdhsa_private_segment_fixed_size 0
		.amdhsa_kernarg_size 48
		.amdhsa_user_sgpr_count 6
		.amdhsa_user_sgpr_private_segment_buffer 1
		.amdhsa_user_sgpr_dispatch_ptr 0
		.amdhsa_user_sgpr_queue_ptr 0
		.amdhsa_user_sgpr_kernarg_segment_ptr 1
		.amdhsa_user_sgpr_dispatch_id 0
		.amdhsa_user_sgpr_flat_scratch_init 0
		.amdhsa_user_sgpr_kernarg_preload_length 0
		.amdhsa_user_sgpr_kernarg_preload_offset 0
		.amdhsa_user_sgpr_private_segment_size 0
		.amdhsa_uses_dynamic_stack 0
		.amdhsa_system_sgpr_private_segment_wavefront_offset 0
		.amdhsa_system_sgpr_workgroup_id_x 1
		.amdhsa_system_sgpr_workgroup_id_y 0
		.amdhsa_system_sgpr_workgroup_id_z 0
		.amdhsa_system_sgpr_workgroup_info 0
		.amdhsa_system_vgpr_workitem_id 0
		.amdhsa_next_free_vgpr 1
		.amdhsa_next_free_sgpr 0
		.amdhsa_accum_offset 4
		.amdhsa_reserve_vcc 0
		.amdhsa_reserve_flat_scratch 0
		.amdhsa_float_round_mode_32 0
		.amdhsa_float_round_mode_16_64 0
		.amdhsa_float_denorm_mode_32 3
		.amdhsa_float_denorm_mode_16_64 3
		.amdhsa_dx10_clamp 1
		.amdhsa_ieee_mode 1
		.amdhsa_fp16_overflow 0
		.amdhsa_tg_split 0
		.amdhsa_exception_fp_ieee_invalid_op 0
		.amdhsa_exception_fp_denorm_src 0
		.amdhsa_exception_fp_ieee_div_zero 0
		.amdhsa_exception_fp_ieee_overflow 0
		.amdhsa_exception_fp_ieee_underflow 0
		.amdhsa_exception_fp_ieee_inexact 0
		.amdhsa_exception_int_div_zero 0
	.end_amdhsa_kernel
	.section	.text._ZN7rocprim17ROCPRIM_400000_NS6detail17trampoline_kernelINS0_14default_configENS1_38merge_sort_block_merge_config_selectorItNS0_10empty_typeEEEZZNS1_27merge_sort_block_merge_implIS3_PtPS5_jNS1_19radix_merge_compareILb1ELb0EtNS0_19identity_decomposerEEEEE10hipError_tT0_T1_T2_jT3_P12ihipStream_tbPNSt15iterator_traitsISE_E10value_typeEPNSK_ISF_E10value_typeEPSG_NS1_7vsmem_tEENKUlT_SE_SF_SG_E_clIS8_S8_S9_S9_EESD_ST_SE_SF_SG_EUlST_E1_NS1_11comp_targetILNS1_3genE8ELNS1_11target_archE1030ELNS1_3gpuE2ELNS1_3repE0EEENS1_36merge_oddeven_config_static_selectorELNS0_4arch9wavefront6targetE1EEEvSF_,"axG",@progbits,_ZN7rocprim17ROCPRIM_400000_NS6detail17trampoline_kernelINS0_14default_configENS1_38merge_sort_block_merge_config_selectorItNS0_10empty_typeEEEZZNS1_27merge_sort_block_merge_implIS3_PtPS5_jNS1_19radix_merge_compareILb1ELb0EtNS0_19identity_decomposerEEEEE10hipError_tT0_T1_T2_jT3_P12ihipStream_tbPNSt15iterator_traitsISE_E10value_typeEPNSK_ISF_E10value_typeEPSG_NS1_7vsmem_tEENKUlT_SE_SF_SG_E_clIS8_S8_S9_S9_EESD_ST_SE_SF_SG_EUlST_E1_NS1_11comp_targetILNS1_3genE8ELNS1_11target_archE1030ELNS1_3gpuE2ELNS1_3repE0EEENS1_36merge_oddeven_config_static_selectorELNS0_4arch9wavefront6targetE1EEEvSF_,comdat
.Lfunc_end1876:
	.size	_ZN7rocprim17ROCPRIM_400000_NS6detail17trampoline_kernelINS0_14default_configENS1_38merge_sort_block_merge_config_selectorItNS0_10empty_typeEEEZZNS1_27merge_sort_block_merge_implIS3_PtPS5_jNS1_19radix_merge_compareILb1ELb0EtNS0_19identity_decomposerEEEEE10hipError_tT0_T1_T2_jT3_P12ihipStream_tbPNSt15iterator_traitsISE_E10value_typeEPNSK_ISF_E10value_typeEPSG_NS1_7vsmem_tEENKUlT_SE_SF_SG_E_clIS8_S8_S9_S9_EESD_ST_SE_SF_SG_EUlST_E1_NS1_11comp_targetILNS1_3genE8ELNS1_11target_archE1030ELNS1_3gpuE2ELNS1_3repE0EEENS1_36merge_oddeven_config_static_selectorELNS0_4arch9wavefront6targetE1EEEvSF_, .Lfunc_end1876-_ZN7rocprim17ROCPRIM_400000_NS6detail17trampoline_kernelINS0_14default_configENS1_38merge_sort_block_merge_config_selectorItNS0_10empty_typeEEEZZNS1_27merge_sort_block_merge_implIS3_PtPS5_jNS1_19radix_merge_compareILb1ELb0EtNS0_19identity_decomposerEEEEE10hipError_tT0_T1_T2_jT3_P12ihipStream_tbPNSt15iterator_traitsISE_E10value_typeEPNSK_ISF_E10value_typeEPSG_NS1_7vsmem_tEENKUlT_SE_SF_SG_E_clIS8_S8_S9_S9_EESD_ST_SE_SF_SG_EUlST_E1_NS1_11comp_targetILNS1_3genE8ELNS1_11target_archE1030ELNS1_3gpuE2ELNS1_3repE0EEENS1_36merge_oddeven_config_static_selectorELNS0_4arch9wavefront6targetE1EEEvSF_
                                        ; -- End function
	.section	.AMDGPU.csdata,"",@progbits
; Kernel info:
; codeLenInByte = 0
; NumSgprs: 4
; NumVgprs: 0
; NumAgprs: 0
; TotalNumVgprs: 0
; ScratchSize: 0
; MemoryBound: 0
; FloatMode: 240
; IeeeMode: 1
; LDSByteSize: 0 bytes/workgroup (compile time only)
; SGPRBlocks: 0
; VGPRBlocks: 0
; NumSGPRsForWavesPerEU: 4
; NumVGPRsForWavesPerEU: 1
; AccumOffset: 4
; Occupancy: 8
; WaveLimiterHint : 0
; COMPUTE_PGM_RSRC2:SCRATCH_EN: 0
; COMPUTE_PGM_RSRC2:USER_SGPR: 6
; COMPUTE_PGM_RSRC2:TRAP_HANDLER: 0
; COMPUTE_PGM_RSRC2:TGID_X_EN: 1
; COMPUTE_PGM_RSRC2:TGID_Y_EN: 0
; COMPUTE_PGM_RSRC2:TGID_Z_EN: 0
; COMPUTE_PGM_RSRC2:TIDIG_COMP_CNT: 0
; COMPUTE_PGM_RSRC3_GFX90A:ACCUM_OFFSET: 0
; COMPUTE_PGM_RSRC3_GFX90A:TG_SPLIT: 0
	.section	.text._ZN7rocprim17ROCPRIM_400000_NS6detail17trampoline_kernelINS0_14default_configENS1_38merge_sort_block_merge_config_selectorItNS0_10empty_typeEEEZZNS1_27merge_sort_block_merge_implIS3_PtPS5_jNS1_19radix_merge_compareILb1ELb1EtNS0_19identity_decomposerEEEEE10hipError_tT0_T1_T2_jT3_P12ihipStream_tbPNSt15iterator_traitsISE_E10value_typeEPNSK_ISF_E10value_typeEPSG_NS1_7vsmem_tEENKUlT_SE_SF_SG_E_clIS8_S8_S9_S9_EESD_ST_SE_SF_SG_EUlST_E_NS1_11comp_targetILNS1_3genE0ELNS1_11target_archE4294967295ELNS1_3gpuE0ELNS1_3repE0EEENS1_48merge_mergepath_partition_config_static_selectorELNS0_4arch9wavefront6targetE1EEEvSF_,"axG",@progbits,_ZN7rocprim17ROCPRIM_400000_NS6detail17trampoline_kernelINS0_14default_configENS1_38merge_sort_block_merge_config_selectorItNS0_10empty_typeEEEZZNS1_27merge_sort_block_merge_implIS3_PtPS5_jNS1_19radix_merge_compareILb1ELb1EtNS0_19identity_decomposerEEEEE10hipError_tT0_T1_T2_jT3_P12ihipStream_tbPNSt15iterator_traitsISE_E10value_typeEPNSK_ISF_E10value_typeEPSG_NS1_7vsmem_tEENKUlT_SE_SF_SG_E_clIS8_S8_S9_S9_EESD_ST_SE_SF_SG_EUlST_E_NS1_11comp_targetILNS1_3genE0ELNS1_11target_archE4294967295ELNS1_3gpuE0ELNS1_3repE0EEENS1_48merge_mergepath_partition_config_static_selectorELNS0_4arch9wavefront6targetE1EEEvSF_,comdat
	.protected	_ZN7rocprim17ROCPRIM_400000_NS6detail17trampoline_kernelINS0_14default_configENS1_38merge_sort_block_merge_config_selectorItNS0_10empty_typeEEEZZNS1_27merge_sort_block_merge_implIS3_PtPS5_jNS1_19radix_merge_compareILb1ELb1EtNS0_19identity_decomposerEEEEE10hipError_tT0_T1_T2_jT3_P12ihipStream_tbPNSt15iterator_traitsISE_E10value_typeEPNSK_ISF_E10value_typeEPSG_NS1_7vsmem_tEENKUlT_SE_SF_SG_E_clIS8_S8_S9_S9_EESD_ST_SE_SF_SG_EUlST_E_NS1_11comp_targetILNS1_3genE0ELNS1_11target_archE4294967295ELNS1_3gpuE0ELNS1_3repE0EEENS1_48merge_mergepath_partition_config_static_selectorELNS0_4arch9wavefront6targetE1EEEvSF_ ; -- Begin function _ZN7rocprim17ROCPRIM_400000_NS6detail17trampoline_kernelINS0_14default_configENS1_38merge_sort_block_merge_config_selectorItNS0_10empty_typeEEEZZNS1_27merge_sort_block_merge_implIS3_PtPS5_jNS1_19radix_merge_compareILb1ELb1EtNS0_19identity_decomposerEEEEE10hipError_tT0_T1_T2_jT3_P12ihipStream_tbPNSt15iterator_traitsISE_E10value_typeEPNSK_ISF_E10value_typeEPSG_NS1_7vsmem_tEENKUlT_SE_SF_SG_E_clIS8_S8_S9_S9_EESD_ST_SE_SF_SG_EUlST_E_NS1_11comp_targetILNS1_3genE0ELNS1_11target_archE4294967295ELNS1_3gpuE0ELNS1_3repE0EEENS1_48merge_mergepath_partition_config_static_selectorELNS0_4arch9wavefront6targetE1EEEvSF_
	.globl	_ZN7rocprim17ROCPRIM_400000_NS6detail17trampoline_kernelINS0_14default_configENS1_38merge_sort_block_merge_config_selectorItNS0_10empty_typeEEEZZNS1_27merge_sort_block_merge_implIS3_PtPS5_jNS1_19radix_merge_compareILb1ELb1EtNS0_19identity_decomposerEEEEE10hipError_tT0_T1_T2_jT3_P12ihipStream_tbPNSt15iterator_traitsISE_E10value_typeEPNSK_ISF_E10value_typeEPSG_NS1_7vsmem_tEENKUlT_SE_SF_SG_E_clIS8_S8_S9_S9_EESD_ST_SE_SF_SG_EUlST_E_NS1_11comp_targetILNS1_3genE0ELNS1_11target_archE4294967295ELNS1_3gpuE0ELNS1_3repE0EEENS1_48merge_mergepath_partition_config_static_selectorELNS0_4arch9wavefront6targetE1EEEvSF_
	.p2align	8
	.type	_ZN7rocprim17ROCPRIM_400000_NS6detail17trampoline_kernelINS0_14default_configENS1_38merge_sort_block_merge_config_selectorItNS0_10empty_typeEEEZZNS1_27merge_sort_block_merge_implIS3_PtPS5_jNS1_19radix_merge_compareILb1ELb1EtNS0_19identity_decomposerEEEEE10hipError_tT0_T1_T2_jT3_P12ihipStream_tbPNSt15iterator_traitsISE_E10value_typeEPNSK_ISF_E10value_typeEPSG_NS1_7vsmem_tEENKUlT_SE_SF_SG_E_clIS8_S8_S9_S9_EESD_ST_SE_SF_SG_EUlST_E_NS1_11comp_targetILNS1_3genE0ELNS1_11target_archE4294967295ELNS1_3gpuE0ELNS1_3repE0EEENS1_48merge_mergepath_partition_config_static_selectorELNS0_4arch9wavefront6targetE1EEEvSF_,@function
_ZN7rocprim17ROCPRIM_400000_NS6detail17trampoline_kernelINS0_14default_configENS1_38merge_sort_block_merge_config_selectorItNS0_10empty_typeEEEZZNS1_27merge_sort_block_merge_implIS3_PtPS5_jNS1_19radix_merge_compareILb1ELb1EtNS0_19identity_decomposerEEEEE10hipError_tT0_T1_T2_jT3_P12ihipStream_tbPNSt15iterator_traitsISE_E10value_typeEPNSK_ISF_E10value_typeEPSG_NS1_7vsmem_tEENKUlT_SE_SF_SG_E_clIS8_S8_S9_S9_EESD_ST_SE_SF_SG_EUlST_E_NS1_11comp_targetILNS1_3genE0ELNS1_11target_archE4294967295ELNS1_3gpuE0ELNS1_3repE0EEENS1_48merge_mergepath_partition_config_static_selectorELNS0_4arch9wavefront6targetE1EEEvSF_: ; @_ZN7rocprim17ROCPRIM_400000_NS6detail17trampoline_kernelINS0_14default_configENS1_38merge_sort_block_merge_config_selectorItNS0_10empty_typeEEEZZNS1_27merge_sort_block_merge_implIS3_PtPS5_jNS1_19radix_merge_compareILb1ELb1EtNS0_19identity_decomposerEEEEE10hipError_tT0_T1_T2_jT3_P12ihipStream_tbPNSt15iterator_traitsISE_E10value_typeEPNSK_ISF_E10value_typeEPSG_NS1_7vsmem_tEENKUlT_SE_SF_SG_E_clIS8_S8_S9_S9_EESD_ST_SE_SF_SG_EUlST_E_NS1_11comp_targetILNS1_3genE0ELNS1_11target_archE4294967295ELNS1_3gpuE0ELNS1_3repE0EEENS1_48merge_mergepath_partition_config_static_selectorELNS0_4arch9wavefront6targetE1EEEvSF_
; %bb.0:
	.section	.rodata,"a",@progbits
	.p2align	6, 0x0
	.amdhsa_kernel _ZN7rocprim17ROCPRIM_400000_NS6detail17trampoline_kernelINS0_14default_configENS1_38merge_sort_block_merge_config_selectorItNS0_10empty_typeEEEZZNS1_27merge_sort_block_merge_implIS3_PtPS5_jNS1_19radix_merge_compareILb1ELb1EtNS0_19identity_decomposerEEEEE10hipError_tT0_T1_T2_jT3_P12ihipStream_tbPNSt15iterator_traitsISE_E10value_typeEPNSK_ISF_E10value_typeEPSG_NS1_7vsmem_tEENKUlT_SE_SF_SG_E_clIS8_S8_S9_S9_EESD_ST_SE_SF_SG_EUlST_E_NS1_11comp_targetILNS1_3genE0ELNS1_11target_archE4294967295ELNS1_3gpuE0ELNS1_3repE0EEENS1_48merge_mergepath_partition_config_static_selectorELNS0_4arch9wavefront6targetE1EEEvSF_
		.amdhsa_group_segment_fixed_size 0
		.amdhsa_private_segment_fixed_size 0
		.amdhsa_kernarg_size 40
		.amdhsa_user_sgpr_count 6
		.amdhsa_user_sgpr_private_segment_buffer 1
		.amdhsa_user_sgpr_dispatch_ptr 0
		.amdhsa_user_sgpr_queue_ptr 0
		.amdhsa_user_sgpr_kernarg_segment_ptr 1
		.amdhsa_user_sgpr_dispatch_id 0
		.amdhsa_user_sgpr_flat_scratch_init 0
		.amdhsa_user_sgpr_kernarg_preload_length 0
		.amdhsa_user_sgpr_kernarg_preload_offset 0
		.amdhsa_user_sgpr_private_segment_size 0
		.amdhsa_uses_dynamic_stack 0
		.amdhsa_system_sgpr_private_segment_wavefront_offset 0
		.amdhsa_system_sgpr_workgroup_id_x 1
		.amdhsa_system_sgpr_workgroup_id_y 0
		.amdhsa_system_sgpr_workgroup_id_z 0
		.amdhsa_system_sgpr_workgroup_info 0
		.amdhsa_system_vgpr_workitem_id 0
		.amdhsa_next_free_vgpr 1
		.amdhsa_next_free_sgpr 0
		.amdhsa_accum_offset 4
		.amdhsa_reserve_vcc 0
		.amdhsa_reserve_flat_scratch 0
		.amdhsa_float_round_mode_32 0
		.amdhsa_float_round_mode_16_64 0
		.amdhsa_float_denorm_mode_32 3
		.amdhsa_float_denorm_mode_16_64 3
		.amdhsa_dx10_clamp 1
		.amdhsa_ieee_mode 1
		.amdhsa_fp16_overflow 0
		.amdhsa_tg_split 0
		.amdhsa_exception_fp_ieee_invalid_op 0
		.amdhsa_exception_fp_denorm_src 0
		.amdhsa_exception_fp_ieee_div_zero 0
		.amdhsa_exception_fp_ieee_overflow 0
		.amdhsa_exception_fp_ieee_underflow 0
		.amdhsa_exception_fp_ieee_inexact 0
		.amdhsa_exception_int_div_zero 0
	.end_amdhsa_kernel
	.section	.text._ZN7rocprim17ROCPRIM_400000_NS6detail17trampoline_kernelINS0_14default_configENS1_38merge_sort_block_merge_config_selectorItNS0_10empty_typeEEEZZNS1_27merge_sort_block_merge_implIS3_PtPS5_jNS1_19radix_merge_compareILb1ELb1EtNS0_19identity_decomposerEEEEE10hipError_tT0_T1_T2_jT3_P12ihipStream_tbPNSt15iterator_traitsISE_E10value_typeEPNSK_ISF_E10value_typeEPSG_NS1_7vsmem_tEENKUlT_SE_SF_SG_E_clIS8_S8_S9_S9_EESD_ST_SE_SF_SG_EUlST_E_NS1_11comp_targetILNS1_3genE0ELNS1_11target_archE4294967295ELNS1_3gpuE0ELNS1_3repE0EEENS1_48merge_mergepath_partition_config_static_selectorELNS0_4arch9wavefront6targetE1EEEvSF_,"axG",@progbits,_ZN7rocprim17ROCPRIM_400000_NS6detail17trampoline_kernelINS0_14default_configENS1_38merge_sort_block_merge_config_selectorItNS0_10empty_typeEEEZZNS1_27merge_sort_block_merge_implIS3_PtPS5_jNS1_19radix_merge_compareILb1ELb1EtNS0_19identity_decomposerEEEEE10hipError_tT0_T1_T2_jT3_P12ihipStream_tbPNSt15iterator_traitsISE_E10value_typeEPNSK_ISF_E10value_typeEPSG_NS1_7vsmem_tEENKUlT_SE_SF_SG_E_clIS8_S8_S9_S9_EESD_ST_SE_SF_SG_EUlST_E_NS1_11comp_targetILNS1_3genE0ELNS1_11target_archE4294967295ELNS1_3gpuE0ELNS1_3repE0EEENS1_48merge_mergepath_partition_config_static_selectorELNS0_4arch9wavefront6targetE1EEEvSF_,comdat
.Lfunc_end1877:
	.size	_ZN7rocprim17ROCPRIM_400000_NS6detail17trampoline_kernelINS0_14default_configENS1_38merge_sort_block_merge_config_selectorItNS0_10empty_typeEEEZZNS1_27merge_sort_block_merge_implIS3_PtPS5_jNS1_19radix_merge_compareILb1ELb1EtNS0_19identity_decomposerEEEEE10hipError_tT0_T1_T2_jT3_P12ihipStream_tbPNSt15iterator_traitsISE_E10value_typeEPNSK_ISF_E10value_typeEPSG_NS1_7vsmem_tEENKUlT_SE_SF_SG_E_clIS8_S8_S9_S9_EESD_ST_SE_SF_SG_EUlST_E_NS1_11comp_targetILNS1_3genE0ELNS1_11target_archE4294967295ELNS1_3gpuE0ELNS1_3repE0EEENS1_48merge_mergepath_partition_config_static_selectorELNS0_4arch9wavefront6targetE1EEEvSF_, .Lfunc_end1877-_ZN7rocprim17ROCPRIM_400000_NS6detail17trampoline_kernelINS0_14default_configENS1_38merge_sort_block_merge_config_selectorItNS0_10empty_typeEEEZZNS1_27merge_sort_block_merge_implIS3_PtPS5_jNS1_19radix_merge_compareILb1ELb1EtNS0_19identity_decomposerEEEEE10hipError_tT0_T1_T2_jT3_P12ihipStream_tbPNSt15iterator_traitsISE_E10value_typeEPNSK_ISF_E10value_typeEPSG_NS1_7vsmem_tEENKUlT_SE_SF_SG_E_clIS8_S8_S9_S9_EESD_ST_SE_SF_SG_EUlST_E_NS1_11comp_targetILNS1_3genE0ELNS1_11target_archE4294967295ELNS1_3gpuE0ELNS1_3repE0EEENS1_48merge_mergepath_partition_config_static_selectorELNS0_4arch9wavefront6targetE1EEEvSF_
                                        ; -- End function
	.section	.AMDGPU.csdata,"",@progbits
; Kernel info:
; codeLenInByte = 0
; NumSgprs: 4
; NumVgprs: 0
; NumAgprs: 0
; TotalNumVgprs: 0
; ScratchSize: 0
; MemoryBound: 0
; FloatMode: 240
; IeeeMode: 1
; LDSByteSize: 0 bytes/workgroup (compile time only)
; SGPRBlocks: 0
; VGPRBlocks: 0
; NumSGPRsForWavesPerEU: 4
; NumVGPRsForWavesPerEU: 1
; AccumOffset: 4
; Occupancy: 8
; WaveLimiterHint : 0
; COMPUTE_PGM_RSRC2:SCRATCH_EN: 0
; COMPUTE_PGM_RSRC2:USER_SGPR: 6
; COMPUTE_PGM_RSRC2:TRAP_HANDLER: 0
; COMPUTE_PGM_RSRC2:TGID_X_EN: 1
; COMPUTE_PGM_RSRC2:TGID_Y_EN: 0
; COMPUTE_PGM_RSRC2:TGID_Z_EN: 0
; COMPUTE_PGM_RSRC2:TIDIG_COMP_CNT: 0
; COMPUTE_PGM_RSRC3_GFX90A:ACCUM_OFFSET: 0
; COMPUTE_PGM_RSRC3_GFX90A:TG_SPLIT: 0
	.section	.text._ZN7rocprim17ROCPRIM_400000_NS6detail17trampoline_kernelINS0_14default_configENS1_38merge_sort_block_merge_config_selectorItNS0_10empty_typeEEEZZNS1_27merge_sort_block_merge_implIS3_PtPS5_jNS1_19radix_merge_compareILb1ELb1EtNS0_19identity_decomposerEEEEE10hipError_tT0_T1_T2_jT3_P12ihipStream_tbPNSt15iterator_traitsISE_E10value_typeEPNSK_ISF_E10value_typeEPSG_NS1_7vsmem_tEENKUlT_SE_SF_SG_E_clIS8_S8_S9_S9_EESD_ST_SE_SF_SG_EUlST_E_NS1_11comp_targetILNS1_3genE10ELNS1_11target_archE1201ELNS1_3gpuE5ELNS1_3repE0EEENS1_48merge_mergepath_partition_config_static_selectorELNS0_4arch9wavefront6targetE1EEEvSF_,"axG",@progbits,_ZN7rocprim17ROCPRIM_400000_NS6detail17trampoline_kernelINS0_14default_configENS1_38merge_sort_block_merge_config_selectorItNS0_10empty_typeEEEZZNS1_27merge_sort_block_merge_implIS3_PtPS5_jNS1_19radix_merge_compareILb1ELb1EtNS0_19identity_decomposerEEEEE10hipError_tT0_T1_T2_jT3_P12ihipStream_tbPNSt15iterator_traitsISE_E10value_typeEPNSK_ISF_E10value_typeEPSG_NS1_7vsmem_tEENKUlT_SE_SF_SG_E_clIS8_S8_S9_S9_EESD_ST_SE_SF_SG_EUlST_E_NS1_11comp_targetILNS1_3genE10ELNS1_11target_archE1201ELNS1_3gpuE5ELNS1_3repE0EEENS1_48merge_mergepath_partition_config_static_selectorELNS0_4arch9wavefront6targetE1EEEvSF_,comdat
	.protected	_ZN7rocprim17ROCPRIM_400000_NS6detail17trampoline_kernelINS0_14default_configENS1_38merge_sort_block_merge_config_selectorItNS0_10empty_typeEEEZZNS1_27merge_sort_block_merge_implIS3_PtPS5_jNS1_19radix_merge_compareILb1ELb1EtNS0_19identity_decomposerEEEEE10hipError_tT0_T1_T2_jT3_P12ihipStream_tbPNSt15iterator_traitsISE_E10value_typeEPNSK_ISF_E10value_typeEPSG_NS1_7vsmem_tEENKUlT_SE_SF_SG_E_clIS8_S8_S9_S9_EESD_ST_SE_SF_SG_EUlST_E_NS1_11comp_targetILNS1_3genE10ELNS1_11target_archE1201ELNS1_3gpuE5ELNS1_3repE0EEENS1_48merge_mergepath_partition_config_static_selectorELNS0_4arch9wavefront6targetE1EEEvSF_ ; -- Begin function _ZN7rocprim17ROCPRIM_400000_NS6detail17trampoline_kernelINS0_14default_configENS1_38merge_sort_block_merge_config_selectorItNS0_10empty_typeEEEZZNS1_27merge_sort_block_merge_implIS3_PtPS5_jNS1_19radix_merge_compareILb1ELb1EtNS0_19identity_decomposerEEEEE10hipError_tT0_T1_T2_jT3_P12ihipStream_tbPNSt15iterator_traitsISE_E10value_typeEPNSK_ISF_E10value_typeEPSG_NS1_7vsmem_tEENKUlT_SE_SF_SG_E_clIS8_S8_S9_S9_EESD_ST_SE_SF_SG_EUlST_E_NS1_11comp_targetILNS1_3genE10ELNS1_11target_archE1201ELNS1_3gpuE5ELNS1_3repE0EEENS1_48merge_mergepath_partition_config_static_selectorELNS0_4arch9wavefront6targetE1EEEvSF_
	.globl	_ZN7rocprim17ROCPRIM_400000_NS6detail17trampoline_kernelINS0_14default_configENS1_38merge_sort_block_merge_config_selectorItNS0_10empty_typeEEEZZNS1_27merge_sort_block_merge_implIS3_PtPS5_jNS1_19radix_merge_compareILb1ELb1EtNS0_19identity_decomposerEEEEE10hipError_tT0_T1_T2_jT3_P12ihipStream_tbPNSt15iterator_traitsISE_E10value_typeEPNSK_ISF_E10value_typeEPSG_NS1_7vsmem_tEENKUlT_SE_SF_SG_E_clIS8_S8_S9_S9_EESD_ST_SE_SF_SG_EUlST_E_NS1_11comp_targetILNS1_3genE10ELNS1_11target_archE1201ELNS1_3gpuE5ELNS1_3repE0EEENS1_48merge_mergepath_partition_config_static_selectorELNS0_4arch9wavefront6targetE1EEEvSF_
	.p2align	8
	.type	_ZN7rocprim17ROCPRIM_400000_NS6detail17trampoline_kernelINS0_14default_configENS1_38merge_sort_block_merge_config_selectorItNS0_10empty_typeEEEZZNS1_27merge_sort_block_merge_implIS3_PtPS5_jNS1_19radix_merge_compareILb1ELb1EtNS0_19identity_decomposerEEEEE10hipError_tT0_T1_T2_jT3_P12ihipStream_tbPNSt15iterator_traitsISE_E10value_typeEPNSK_ISF_E10value_typeEPSG_NS1_7vsmem_tEENKUlT_SE_SF_SG_E_clIS8_S8_S9_S9_EESD_ST_SE_SF_SG_EUlST_E_NS1_11comp_targetILNS1_3genE10ELNS1_11target_archE1201ELNS1_3gpuE5ELNS1_3repE0EEENS1_48merge_mergepath_partition_config_static_selectorELNS0_4arch9wavefront6targetE1EEEvSF_,@function
_ZN7rocprim17ROCPRIM_400000_NS6detail17trampoline_kernelINS0_14default_configENS1_38merge_sort_block_merge_config_selectorItNS0_10empty_typeEEEZZNS1_27merge_sort_block_merge_implIS3_PtPS5_jNS1_19radix_merge_compareILb1ELb1EtNS0_19identity_decomposerEEEEE10hipError_tT0_T1_T2_jT3_P12ihipStream_tbPNSt15iterator_traitsISE_E10value_typeEPNSK_ISF_E10value_typeEPSG_NS1_7vsmem_tEENKUlT_SE_SF_SG_E_clIS8_S8_S9_S9_EESD_ST_SE_SF_SG_EUlST_E_NS1_11comp_targetILNS1_3genE10ELNS1_11target_archE1201ELNS1_3gpuE5ELNS1_3repE0EEENS1_48merge_mergepath_partition_config_static_selectorELNS0_4arch9wavefront6targetE1EEEvSF_: ; @_ZN7rocprim17ROCPRIM_400000_NS6detail17trampoline_kernelINS0_14default_configENS1_38merge_sort_block_merge_config_selectorItNS0_10empty_typeEEEZZNS1_27merge_sort_block_merge_implIS3_PtPS5_jNS1_19radix_merge_compareILb1ELb1EtNS0_19identity_decomposerEEEEE10hipError_tT0_T1_T2_jT3_P12ihipStream_tbPNSt15iterator_traitsISE_E10value_typeEPNSK_ISF_E10value_typeEPSG_NS1_7vsmem_tEENKUlT_SE_SF_SG_E_clIS8_S8_S9_S9_EESD_ST_SE_SF_SG_EUlST_E_NS1_11comp_targetILNS1_3genE10ELNS1_11target_archE1201ELNS1_3gpuE5ELNS1_3repE0EEENS1_48merge_mergepath_partition_config_static_selectorELNS0_4arch9wavefront6targetE1EEEvSF_
; %bb.0:
	.section	.rodata,"a",@progbits
	.p2align	6, 0x0
	.amdhsa_kernel _ZN7rocprim17ROCPRIM_400000_NS6detail17trampoline_kernelINS0_14default_configENS1_38merge_sort_block_merge_config_selectorItNS0_10empty_typeEEEZZNS1_27merge_sort_block_merge_implIS3_PtPS5_jNS1_19radix_merge_compareILb1ELb1EtNS0_19identity_decomposerEEEEE10hipError_tT0_T1_T2_jT3_P12ihipStream_tbPNSt15iterator_traitsISE_E10value_typeEPNSK_ISF_E10value_typeEPSG_NS1_7vsmem_tEENKUlT_SE_SF_SG_E_clIS8_S8_S9_S9_EESD_ST_SE_SF_SG_EUlST_E_NS1_11comp_targetILNS1_3genE10ELNS1_11target_archE1201ELNS1_3gpuE5ELNS1_3repE0EEENS1_48merge_mergepath_partition_config_static_selectorELNS0_4arch9wavefront6targetE1EEEvSF_
		.amdhsa_group_segment_fixed_size 0
		.amdhsa_private_segment_fixed_size 0
		.amdhsa_kernarg_size 40
		.amdhsa_user_sgpr_count 6
		.amdhsa_user_sgpr_private_segment_buffer 1
		.amdhsa_user_sgpr_dispatch_ptr 0
		.amdhsa_user_sgpr_queue_ptr 0
		.amdhsa_user_sgpr_kernarg_segment_ptr 1
		.amdhsa_user_sgpr_dispatch_id 0
		.amdhsa_user_sgpr_flat_scratch_init 0
		.amdhsa_user_sgpr_kernarg_preload_length 0
		.amdhsa_user_sgpr_kernarg_preload_offset 0
		.amdhsa_user_sgpr_private_segment_size 0
		.amdhsa_uses_dynamic_stack 0
		.amdhsa_system_sgpr_private_segment_wavefront_offset 0
		.amdhsa_system_sgpr_workgroup_id_x 1
		.amdhsa_system_sgpr_workgroup_id_y 0
		.amdhsa_system_sgpr_workgroup_id_z 0
		.amdhsa_system_sgpr_workgroup_info 0
		.amdhsa_system_vgpr_workitem_id 0
		.amdhsa_next_free_vgpr 1
		.amdhsa_next_free_sgpr 0
		.amdhsa_accum_offset 4
		.amdhsa_reserve_vcc 0
		.amdhsa_reserve_flat_scratch 0
		.amdhsa_float_round_mode_32 0
		.amdhsa_float_round_mode_16_64 0
		.amdhsa_float_denorm_mode_32 3
		.amdhsa_float_denorm_mode_16_64 3
		.amdhsa_dx10_clamp 1
		.amdhsa_ieee_mode 1
		.amdhsa_fp16_overflow 0
		.amdhsa_tg_split 0
		.amdhsa_exception_fp_ieee_invalid_op 0
		.amdhsa_exception_fp_denorm_src 0
		.amdhsa_exception_fp_ieee_div_zero 0
		.amdhsa_exception_fp_ieee_overflow 0
		.amdhsa_exception_fp_ieee_underflow 0
		.amdhsa_exception_fp_ieee_inexact 0
		.amdhsa_exception_int_div_zero 0
	.end_amdhsa_kernel
	.section	.text._ZN7rocprim17ROCPRIM_400000_NS6detail17trampoline_kernelINS0_14default_configENS1_38merge_sort_block_merge_config_selectorItNS0_10empty_typeEEEZZNS1_27merge_sort_block_merge_implIS3_PtPS5_jNS1_19radix_merge_compareILb1ELb1EtNS0_19identity_decomposerEEEEE10hipError_tT0_T1_T2_jT3_P12ihipStream_tbPNSt15iterator_traitsISE_E10value_typeEPNSK_ISF_E10value_typeEPSG_NS1_7vsmem_tEENKUlT_SE_SF_SG_E_clIS8_S8_S9_S9_EESD_ST_SE_SF_SG_EUlST_E_NS1_11comp_targetILNS1_3genE10ELNS1_11target_archE1201ELNS1_3gpuE5ELNS1_3repE0EEENS1_48merge_mergepath_partition_config_static_selectorELNS0_4arch9wavefront6targetE1EEEvSF_,"axG",@progbits,_ZN7rocprim17ROCPRIM_400000_NS6detail17trampoline_kernelINS0_14default_configENS1_38merge_sort_block_merge_config_selectorItNS0_10empty_typeEEEZZNS1_27merge_sort_block_merge_implIS3_PtPS5_jNS1_19radix_merge_compareILb1ELb1EtNS0_19identity_decomposerEEEEE10hipError_tT0_T1_T2_jT3_P12ihipStream_tbPNSt15iterator_traitsISE_E10value_typeEPNSK_ISF_E10value_typeEPSG_NS1_7vsmem_tEENKUlT_SE_SF_SG_E_clIS8_S8_S9_S9_EESD_ST_SE_SF_SG_EUlST_E_NS1_11comp_targetILNS1_3genE10ELNS1_11target_archE1201ELNS1_3gpuE5ELNS1_3repE0EEENS1_48merge_mergepath_partition_config_static_selectorELNS0_4arch9wavefront6targetE1EEEvSF_,comdat
.Lfunc_end1878:
	.size	_ZN7rocprim17ROCPRIM_400000_NS6detail17trampoline_kernelINS0_14default_configENS1_38merge_sort_block_merge_config_selectorItNS0_10empty_typeEEEZZNS1_27merge_sort_block_merge_implIS3_PtPS5_jNS1_19radix_merge_compareILb1ELb1EtNS0_19identity_decomposerEEEEE10hipError_tT0_T1_T2_jT3_P12ihipStream_tbPNSt15iterator_traitsISE_E10value_typeEPNSK_ISF_E10value_typeEPSG_NS1_7vsmem_tEENKUlT_SE_SF_SG_E_clIS8_S8_S9_S9_EESD_ST_SE_SF_SG_EUlST_E_NS1_11comp_targetILNS1_3genE10ELNS1_11target_archE1201ELNS1_3gpuE5ELNS1_3repE0EEENS1_48merge_mergepath_partition_config_static_selectorELNS0_4arch9wavefront6targetE1EEEvSF_, .Lfunc_end1878-_ZN7rocprim17ROCPRIM_400000_NS6detail17trampoline_kernelINS0_14default_configENS1_38merge_sort_block_merge_config_selectorItNS0_10empty_typeEEEZZNS1_27merge_sort_block_merge_implIS3_PtPS5_jNS1_19radix_merge_compareILb1ELb1EtNS0_19identity_decomposerEEEEE10hipError_tT0_T1_T2_jT3_P12ihipStream_tbPNSt15iterator_traitsISE_E10value_typeEPNSK_ISF_E10value_typeEPSG_NS1_7vsmem_tEENKUlT_SE_SF_SG_E_clIS8_S8_S9_S9_EESD_ST_SE_SF_SG_EUlST_E_NS1_11comp_targetILNS1_3genE10ELNS1_11target_archE1201ELNS1_3gpuE5ELNS1_3repE0EEENS1_48merge_mergepath_partition_config_static_selectorELNS0_4arch9wavefront6targetE1EEEvSF_
                                        ; -- End function
	.section	.AMDGPU.csdata,"",@progbits
; Kernel info:
; codeLenInByte = 0
; NumSgprs: 4
; NumVgprs: 0
; NumAgprs: 0
; TotalNumVgprs: 0
; ScratchSize: 0
; MemoryBound: 0
; FloatMode: 240
; IeeeMode: 1
; LDSByteSize: 0 bytes/workgroup (compile time only)
; SGPRBlocks: 0
; VGPRBlocks: 0
; NumSGPRsForWavesPerEU: 4
; NumVGPRsForWavesPerEU: 1
; AccumOffset: 4
; Occupancy: 8
; WaveLimiterHint : 0
; COMPUTE_PGM_RSRC2:SCRATCH_EN: 0
; COMPUTE_PGM_RSRC2:USER_SGPR: 6
; COMPUTE_PGM_RSRC2:TRAP_HANDLER: 0
; COMPUTE_PGM_RSRC2:TGID_X_EN: 1
; COMPUTE_PGM_RSRC2:TGID_Y_EN: 0
; COMPUTE_PGM_RSRC2:TGID_Z_EN: 0
; COMPUTE_PGM_RSRC2:TIDIG_COMP_CNT: 0
; COMPUTE_PGM_RSRC3_GFX90A:ACCUM_OFFSET: 0
; COMPUTE_PGM_RSRC3_GFX90A:TG_SPLIT: 0
	.section	.text._ZN7rocprim17ROCPRIM_400000_NS6detail17trampoline_kernelINS0_14default_configENS1_38merge_sort_block_merge_config_selectorItNS0_10empty_typeEEEZZNS1_27merge_sort_block_merge_implIS3_PtPS5_jNS1_19radix_merge_compareILb1ELb1EtNS0_19identity_decomposerEEEEE10hipError_tT0_T1_T2_jT3_P12ihipStream_tbPNSt15iterator_traitsISE_E10value_typeEPNSK_ISF_E10value_typeEPSG_NS1_7vsmem_tEENKUlT_SE_SF_SG_E_clIS8_S8_S9_S9_EESD_ST_SE_SF_SG_EUlST_E_NS1_11comp_targetILNS1_3genE5ELNS1_11target_archE942ELNS1_3gpuE9ELNS1_3repE0EEENS1_48merge_mergepath_partition_config_static_selectorELNS0_4arch9wavefront6targetE1EEEvSF_,"axG",@progbits,_ZN7rocprim17ROCPRIM_400000_NS6detail17trampoline_kernelINS0_14default_configENS1_38merge_sort_block_merge_config_selectorItNS0_10empty_typeEEEZZNS1_27merge_sort_block_merge_implIS3_PtPS5_jNS1_19radix_merge_compareILb1ELb1EtNS0_19identity_decomposerEEEEE10hipError_tT0_T1_T2_jT3_P12ihipStream_tbPNSt15iterator_traitsISE_E10value_typeEPNSK_ISF_E10value_typeEPSG_NS1_7vsmem_tEENKUlT_SE_SF_SG_E_clIS8_S8_S9_S9_EESD_ST_SE_SF_SG_EUlST_E_NS1_11comp_targetILNS1_3genE5ELNS1_11target_archE942ELNS1_3gpuE9ELNS1_3repE0EEENS1_48merge_mergepath_partition_config_static_selectorELNS0_4arch9wavefront6targetE1EEEvSF_,comdat
	.protected	_ZN7rocprim17ROCPRIM_400000_NS6detail17trampoline_kernelINS0_14default_configENS1_38merge_sort_block_merge_config_selectorItNS0_10empty_typeEEEZZNS1_27merge_sort_block_merge_implIS3_PtPS5_jNS1_19radix_merge_compareILb1ELb1EtNS0_19identity_decomposerEEEEE10hipError_tT0_T1_T2_jT3_P12ihipStream_tbPNSt15iterator_traitsISE_E10value_typeEPNSK_ISF_E10value_typeEPSG_NS1_7vsmem_tEENKUlT_SE_SF_SG_E_clIS8_S8_S9_S9_EESD_ST_SE_SF_SG_EUlST_E_NS1_11comp_targetILNS1_3genE5ELNS1_11target_archE942ELNS1_3gpuE9ELNS1_3repE0EEENS1_48merge_mergepath_partition_config_static_selectorELNS0_4arch9wavefront6targetE1EEEvSF_ ; -- Begin function _ZN7rocprim17ROCPRIM_400000_NS6detail17trampoline_kernelINS0_14default_configENS1_38merge_sort_block_merge_config_selectorItNS0_10empty_typeEEEZZNS1_27merge_sort_block_merge_implIS3_PtPS5_jNS1_19radix_merge_compareILb1ELb1EtNS0_19identity_decomposerEEEEE10hipError_tT0_T1_T2_jT3_P12ihipStream_tbPNSt15iterator_traitsISE_E10value_typeEPNSK_ISF_E10value_typeEPSG_NS1_7vsmem_tEENKUlT_SE_SF_SG_E_clIS8_S8_S9_S9_EESD_ST_SE_SF_SG_EUlST_E_NS1_11comp_targetILNS1_3genE5ELNS1_11target_archE942ELNS1_3gpuE9ELNS1_3repE0EEENS1_48merge_mergepath_partition_config_static_selectorELNS0_4arch9wavefront6targetE1EEEvSF_
	.globl	_ZN7rocprim17ROCPRIM_400000_NS6detail17trampoline_kernelINS0_14default_configENS1_38merge_sort_block_merge_config_selectorItNS0_10empty_typeEEEZZNS1_27merge_sort_block_merge_implIS3_PtPS5_jNS1_19radix_merge_compareILb1ELb1EtNS0_19identity_decomposerEEEEE10hipError_tT0_T1_T2_jT3_P12ihipStream_tbPNSt15iterator_traitsISE_E10value_typeEPNSK_ISF_E10value_typeEPSG_NS1_7vsmem_tEENKUlT_SE_SF_SG_E_clIS8_S8_S9_S9_EESD_ST_SE_SF_SG_EUlST_E_NS1_11comp_targetILNS1_3genE5ELNS1_11target_archE942ELNS1_3gpuE9ELNS1_3repE0EEENS1_48merge_mergepath_partition_config_static_selectorELNS0_4arch9wavefront6targetE1EEEvSF_
	.p2align	8
	.type	_ZN7rocprim17ROCPRIM_400000_NS6detail17trampoline_kernelINS0_14default_configENS1_38merge_sort_block_merge_config_selectorItNS0_10empty_typeEEEZZNS1_27merge_sort_block_merge_implIS3_PtPS5_jNS1_19radix_merge_compareILb1ELb1EtNS0_19identity_decomposerEEEEE10hipError_tT0_T1_T2_jT3_P12ihipStream_tbPNSt15iterator_traitsISE_E10value_typeEPNSK_ISF_E10value_typeEPSG_NS1_7vsmem_tEENKUlT_SE_SF_SG_E_clIS8_S8_S9_S9_EESD_ST_SE_SF_SG_EUlST_E_NS1_11comp_targetILNS1_3genE5ELNS1_11target_archE942ELNS1_3gpuE9ELNS1_3repE0EEENS1_48merge_mergepath_partition_config_static_selectorELNS0_4arch9wavefront6targetE1EEEvSF_,@function
_ZN7rocprim17ROCPRIM_400000_NS6detail17trampoline_kernelINS0_14default_configENS1_38merge_sort_block_merge_config_selectorItNS0_10empty_typeEEEZZNS1_27merge_sort_block_merge_implIS3_PtPS5_jNS1_19radix_merge_compareILb1ELb1EtNS0_19identity_decomposerEEEEE10hipError_tT0_T1_T2_jT3_P12ihipStream_tbPNSt15iterator_traitsISE_E10value_typeEPNSK_ISF_E10value_typeEPSG_NS1_7vsmem_tEENKUlT_SE_SF_SG_E_clIS8_S8_S9_S9_EESD_ST_SE_SF_SG_EUlST_E_NS1_11comp_targetILNS1_3genE5ELNS1_11target_archE942ELNS1_3gpuE9ELNS1_3repE0EEENS1_48merge_mergepath_partition_config_static_selectorELNS0_4arch9wavefront6targetE1EEEvSF_: ; @_ZN7rocprim17ROCPRIM_400000_NS6detail17trampoline_kernelINS0_14default_configENS1_38merge_sort_block_merge_config_selectorItNS0_10empty_typeEEEZZNS1_27merge_sort_block_merge_implIS3_PtPS5_jNS1_19radix_merge_compareILb1ELb1EtNS0_19identity_decomposerEEEEE10hipError_tT0_T1_T2_jT3_P12ihipStream_tbPNSt15iterator_traitsISE_E10value_typeEPNSK_ISF_E10value_typeEPSG_NS1_7vsmem_tEENKUlT_SE_SF_SG_E_clIS8_S8_S9_S9_EESD_ST_SE_SF_SG_EUlST_E_NS1_11comp_targetILNS1_3genE5ELNS1_11target_archE942ELNS1_3gpuE9ELNS1_3repE0EEENS1_48merge_mergepath_partition_config_static_selectorELNS0_4arch9wavefront6targetE1EEEvSF_
; %bb.0:
	.section	.rodata,"a",@progbits
	.p2align	6, 0x0
	.amdhsa_kernel _ZN7rocprim17ROCPRIM_400000_NS6detail17trampoline_kernelINS0_14default_configENS1_38merge_sort_block_merge_config_selectorItNS0_10empty_typeEEEZZNS1_27merge_sort_block_merge_implIS3_PtPS5_jNS1_19radix_merge_compareILb1ELb1EtNS0_19identity_decomposerEEEEE10hipError_tT0_T1_T2_jT3_P12ihipStream_tbPNSt15iterator_traitsISE_E10value_typeEPNSK_ISF_E10value_typeEPSG_NS1_7vsmem_tEENKUlT_SE_SF_SG_E_clIS8_S8_S9_S9_EESD_ST_SE_SF_SG_EUlST_E_NS1_11comp_targetILNS1_3genE5ELNS1_11target_archE942ELNS1_3gpuE9ELNS1_3repE0EEENS1_48merge_mergepath_partition_config_static_selectorELNS0_4arch9wavefront6targetE1EEEvSF_
		.amdhsa_group_segment_fixed_size 0
		.amdhsa_private_segment_fixed_size 0
		.amdhsa_kernarg_size 40
		.amdhsa_user_sgpr_count 6
		.amdhsa_user_sgpr_private_segment_buffer 1
		.amdhsa_user_sgpr_dispatch_ptr 0
		.amdhsa_user_sgpr_queue_ptr 0
		.amdhsa_user_sgpr_kernarg_segment_ptr 1
		.amdhsa_user_sgpr_dispatch_id 0
		.amdhsa_user_sgpr_flat_scratch_init 0
		.amdhsa_user_sgpr_kernarg_preload_length 0
		.amdhsa_user_sgpr_kernarg_preload_offset 0
		.amdhsa_user_sgpr_private_segment_size 0
		.amdhsa_uses_dynamic_stack 0
		.amdhsa_system_sgpr_private_segment_wavefront_offset 0
		.amdhsa_system_sgpr_workgroup_id_x 1
		.amdhsa_system_sgpr_workgroup_id_y 0
		.amdhsa_system_sgpr_workgroup_id_z 0
		.amdhsa_system_sgpr_workgroup_info 0
		.amdhsa_system_vgpr_workitem_id 0
		.amdhsa_next_free_vgpr 1
		.amdhsa_next_free_sgpr 0
		.amdhsa_accum_offset 4
		.amdhsa_reserve_vcc 0
		.amdhsa_reserve_flat_scratch 0
		.amdhsa_float_round_mode_32 0
		.amdhsa_float_round_mode_16_64 0
		.amdhsa_float_denorm_mode_32 3
		.amdhsa_float_denorm_mode_16_64 3
		.amdhsa_dx10_clamp 1
		.amdhsa_ieee_mode 1
		.amdhsa_fp16_overflow 0
		.amdhsa_tg_split 0
		.amdhsa_exception_fp_ieee_invalid_op 0
		.amdhsa_exception_fp_denorm_src 0
		.amdhsa_exception_fp_ieee_div_zero 0
		.amdhsa_exception_fp_ieee_overflow 0
		.amdhsa_exception_fp_ieee_underflow 0
		.amdhsa_exception_fp_ieee_inexact 0
		.amdhsa_exception_int_div_zero 0
	.end_amdhsa_kernel
	.section	.text._ZN7rocprim17ROCPRIM_400000_NS6detail17trampoline_kernelINS0_14default_configENS1_38merge_sort_block_merge_config_selectorItNS0_10empty_typeEEEZZNS1_27merge_sort_block_merge_implIS3_PtPS5_jNS1_19radix_merge_compareILb1ELb1EtNS0_19identity_decomposerEEEEE10hipError_tT0_T1_T2_jT3_P12ihipStream_tbPNSt15iterator_traitsISE_E10value_typeEPNSK_ISF_E10value_typeEPSG_NS1_7vsmem_tEENKUlT_SE_SF_SG_E_clIS8_S8_S9_S9_EESD_ST_SE_SF_SG_EUlST_E_NS1_11comp_targetILNS1_3genE5ELNS1_11target_archE942ELNS1_3gpuE9ELNS1_3repE0EEENS1_48merge_mergepath_partition_config_static_selectorELNS0_4arch9wavefront6targetE1EEEvSF_,"axG",@progbits,_ZN7rocprim17ROCPRIM_400000_NS6detail17trampoline_kernelINS0_14default_configENS1_38merge_sort_block_merge_config_selectorItNS0_10empty_typeEEEZZNS1_27merge_sort_block_merge_implIS3_PtPS5_jNS1_19radix_merge_compareILb1ELb1EtNS0_19identity_decomposerEEEEE10hipError_tT0_T1_T2_jT3_P12ihipStream_tbPNSt15iterator_traitsISE_E10value_typeEPNSK_ISF_E10value_typeEPSG_NS1_7vsmem_tEENKUlT_SE_SF_SG_E_clIS8_S8_S9_S9_EESD_ST_SE_SF_SG_EUlST_E_NS1_11comp_targetILNS1_3genE5ELNS1_11target_archE942ELNS1_3gpuE9ELNS1_3repE0EEENS1_48merge_mergepath_partition_config_static_selectorELNS0_4arch9wavefront6targetE1EEEvSF_,comdat
.Lfunc_end1879:
	.size	_ZN7rocprim17ROCPRIM_400000_NS6detail17trampoline_kernelINS0_14default_configENS1_38merge_sort_block_merge_config_selectorItNS0_10empty_typeEEEZZNS1_27merge_sort_block_merge_implIS3_PtPS5_jNS1_19radix_merge_compareILb1ELb1EtNS0_19identity_decomposerEEEEE10hipError_tT0_T1_T2_jT3_P12ihipStream_tbPNSt15iterator_traitsISE_E10value_typeEPNSK_ISF_E10value_typeEPSG_NS1_7vsmem_tEENKUlT_SE_SF_SG_E_clIS8_S8_S9_S9_EESD_ST_SE_SF_SG_EUlST_E_NS1_11comp_targetILNS1_3genE5ELNS1_11target_archE942ELNS1_3gpuE9ELNS1_3repE0EEENS1_48merge_mergepath_partition_config_static_selectorELNS0_4arch9wavefront6targetE1EEEvSF_, .Lfunc_end1879-_ZN7rocprim17ROCPRIM_400000_NS6detail17trampoline_kernelINS0_14default_configENS1_38merge_sort_block_merge_config_selectorItNS0_10empty_typeEEEZZNS1_27merge_sort_block_merge_implIS3_PtPS5_jNS1_19radix_merge_compareILb1ELb1EtNS0_19identity_decomposerEEEEE10hipError_tT0_T1_T2_jT3_P12ihipStream_tbPNSt15iterator_traitsISE_E10value_typeEPNSK_ISF_E10value_typeEPSG_NS1_7vsmem_tEENKUlT_SE_SF_SG_E_clIS8_S8_S9_S9_EESD_ST_SE_SF_SG_EUlST_E_NS1_11comp_targetILNS1_3genE5ELNS1_11target_archE942ELNS1_3gpuE9ELNS1_3repE0EEENS1_48merge_mergepath_partition_config_static_selectorELNS0_4arch9wavefront6targetE1EEEvSF_
                                        ; -- End function
	.section	.AMDGPU.csdata,"",@progbits
; Kernel info:
; codeLenInByte = 0
; NumSgprs: 4
; NumVgprs: 0
; NumAgprs: 0
; TotalNumVgprs: 0
; ScratchSize: 0
; MemoryBound: 0
; FloatMode: 240
; IeeeMode: 1
; LDSByteSize: 0 bytes/workgroup (compile time only)
; SGPRBlocks: 0
; VGPRBlocks: 0
; NumSGPRsForWavesPerEU: 4
; NumVGPRsForWavesPerEU: 1
; AccumOffset: 4
; Occupancy: 8
; WaveLimiterHint : 0
; COMPUTE_PGM_RSRC2:SCRATCH_EN: 0
; COMPUTE_PGM_RSRC2:USER_SGPR: 6
; COMPUTE_PGM_RSRC2:TRAP_HANDLER: 0
; COMPUTE_PGM_RSRC2:TGID_X_EN: 1
; COMPUTE_PGM_RSRC2:TGID_Y_EN: 0
; COMPUTE_PGM_RSRC2:TGID_Z_EN: 0
; COMPUTE_PGM_RSRC2:TIDIG_COMP_CNT: 0
; COMPUTE_PGM_RSRC3_GFX90A:ACCUM_OFFSET: 0
; COMPUTE_PGM_RSRC3_GFX90A:TG_SPLIT: 0
	.section	.text._ZN7rocprim17ROCPRIM_400000_NS6detail17trampoline_kernelINS0_14default_configENS1_38merge_sort_block_merge_config_selectorItNS0_10empty_typeEEEZZNS1_27merge_sort_block_merge_implIS3_PtPS5_jNS1_19radix_merge_compareILb1ELb1EtNS0_19identity_decomposerEEEEE10hipError_tT0_T1_T2_jT3_P12ihipStream_tbPNSt15iterator_traitsISE_E10value_typeEPNSK_ISF_E10value_typeEPSG_NS1_7vsmem_tEENKUlT_SE_SF_SG_E_clIS8_S8_S9_S9_EESD_ST_SE_SF_SG_EUlST_E_NS1_11comp_targetILNS1_3genE4ELNS1_11target_archE910ELNS1_3gpuE8ELNS1_3repE0EEENS1_48merge_mergepath_partition_config_static_selectorELNS0_4arch9wavefront6targetE1EEEvSF_,"axG",@progbits,_ZN7rocprim17ROCPRIM_400000_NS6detail17trampoline_kernelINS0_14default_configENS1_38merge_sort_block_merge_config_selectorItNS0_10empty_typeEEEZZNS1_27merge_sort_block_merge_implIS3_PtPS5_jNS1_19radix_merge_compareILb1ELb1EtNS0_19identity_decomposerEEEEE10hipError_tT0_T1_T2_jT3_P12ihipStream_tbPNSt15iterator_traitsISE_E10value_typeEPNSK_ISF_E10value_typeEPSG_NS1_7vsmem_tEENKUlT_SE_SF_SG_E_clIS8_S8_S9_S9_EESD_ST_SE_SF_SG_EUlST_E_NS1_11comp_targetILNS1_3genE4ELNS1_11target_archE910ELNS1_3gpuE8ELNS1_3repE0EEENS1_48merge_mergepath_partition_config_static_selectorELNS0_4arch9wavefront6targetE1EEEvSF_,comdat
	.protected	_ZN7rocprim17ROCPRIM_400000_NS6detail17trampoline_kernelINS0_14default_configENS1_38merge_sort_block_merge_config_selectorItNS0_10empty_typeEEEZZNS1_27merge_sort_block_merge_implIS3_PtPS5_jNS1_19radix_merge_compareILb1ELb1EtNS0_19identity_decomposerEEEEE10hipError_tT0_T1_T2_jT3_P12ihipStream_tbPNSt15iterator_traitsISE_E10value_typeEPNSK_ISF_E10value_typeEPSG_NS1_7vsmem_tEENKUlT_SE_SF_SG_E_clIS8_S8_S9_S9_EESD_ST_SE_SF_SG_EUlST_E_NS1_11comp_targetILNS1_3genE4ELNS1_11target_archE910ELNS1_3gpuE8ELNS1_3repE0EEENS1_48merge_mergepath_partition_config_static_selectorELNS0_4arch9wavefront6targetE1EEEvSF_ ; -- Begin function _ZN7rocprim17ROCPRIM_400000_NS6detail17trampoline_kernelINS0_14default_configENS1_38merge_sort_block_merge_config_selectorItNS0_10empty_typeEEEZZNS1_27merge_sort_block_merge_implIS3_PtPS5_jNS1_19radix_merge_compareILb1ELb1EtNS0_19identity_decomposerEEEEE10hipError_tT0_T1_T2_jT3_P12ihipStream_tbPNSt15iterator_traitsISE_E10value_typeEPNSK_ISF_E10value_typeEPSG_NS1_7vsmem_tEENKUlT_SE_SF_SG_E_clIS8_S8_S9_S9_EESD_ST_SE_SF_SG_EUlST_E_NS1_11comp_targetILNS1_3genE4ELNS1_11target_archE910ELNS1_3gpuE8ELNS1_3repE0EEENS1_48merge_mergepath_partition_config_static_selectorELNS0_4arch9wavefront6targetE1EEEvSF_
	.globl	_ZN7rocprim17ROCPRIM_400000_NS6detail17trampoline_kernelINS0_14default_configENS1_38merge_sort_block_merge_config_selectorItNS0_10empty_typeEEEZZNS1_27merge_sort_block_merge_implIS3_PtPS5_jNS1_19radix_merge_compareILb1ELb1EtNS0_19identity_decomposerEEEEE10hipError_tT0_T1_T2_jT3_P12ihipStream_tbPNSt15iterator_traitsISE_E10value_typeEPNSK_ISF_E10value_typeEPSG_NS1_7vsmem_tEENKUlT_SE_SF_SG_E_clIS8_S8_S9_S9_EESD_ST_SE_SF_SG_EUlST_E_NS1_11comp_targetILNS1_3genE4ELNS1_11target_archE910ELNS1_3gpuE8ELNS1_3repE0EEENS1_48merge_mergepath_partition_config_static_selectorELNS0_4arch9wavefront6targetE1EEEvSF_
	.p2align	8
	.type	_ZN7rocprim17ROCPRIM_400000_NS6detail17trampoline_kernelINS0_14default_configENS1_38merge_sort_block_merge_config_selectorItNS0_10empty_typeEEEZZNS1_27merge_sort_block_merge_implIS3_PtPS5_jNS1_19radix_merge_compareILb1ELb1EtNS0_19identity_decomposerEEEEE10hipError_tT0_T1_T2_jT3_P12ihipStream_tbPNSt15iterator_traitsISE_E10value_typeEPNSK_ISF_E10value_typeEPSG_NS1_7vsmem_tEENKUlT_SE_SF_SG_E_clIS8_S8_S9_S9_EESD_ST_SE_SF_SG_EUlST_E_NS1_11comp_targetILNS1_3genE4ELNS1_11target_archE910ELNS1_3gpuE8ELNS1_3repE0EEENS1_48merge_mergepath_partition_config_static_selectorELNS0_4arch9wavefront6targetE1EEEvSF_,@function
_ZN7rocprim17ROCPRIM_400000_NS6detail17trampoline_kernelINS0_14default_configENS1_38merge_sort_block_merge_config_selectorItNS0_10empty_typeEEEZZNS1_27merge_sort_block_merge_implIS3_PtPS5_jNS1_19radix_merge_compareILb1ELb1EtNS0_19identity_decomposerEEEEE10hipError_tT0_T1_T2_jT3_P12ihipStream_tbPNSt15iterator_traitsISE_E10value_typeEPNSK_ISF_E10value_typeEPSG_NS1_7vsmem_tEENKUlT_SE_SF_SG_E_clIS8_S8_S9_S9_EESD_ST_SE_SF_SG_EUlST_E_NS1_11comp_targetILNS1_3genE4ELNS1_11target_archE910ELNS1_3gpuE8ELNS1_3repE0EEENS1_48merge_mergepath_partition_config_static_selectorELNS0_4arch9wavefront6targetE1EEEvSF_: ; @_ZN7rocprim17ROCPRIM_400000_NS6detail17trampoline_kernelINS0_14default_configENS1_38merge_sort_block_merge_config_selectorItNS0_10empty_typeEEEZZNS1_27merge_sort_block_merge_implIS3_PtPS5_jNS1_19radix_merge_compareILb1ELb1EtNS0_19identity_decomposerEEEEE10hipError_tT0_T1_T2_jT3_P12ihipStream_tbPNSt15iterator_traitsISE_E10value_typeEPNSK_ISF_E10value_typeEPSG_NS1_7vsmem_tEENKUlT_SE_SF_SG_E_clIS8_S8_S9_S9_EESD_ST_SE_SF_SG_EUlST_E_NS1_11comp_targetILNS1_3genE4ELNS1_11target_archE910ELNS1_3gpuE8ELNS1_3repE0EEENS1_48merge_mergepath_partition_config_static_selectorELNS0_4arch9wavefront6targetE1EEEvSF_
; %bb.0:
	s_load_dword s0, s[4:5], 0x0
	v_lshl_or_b32 v0, s6, 7, v0
	s_waitcnt lgkmcnt(0)
	v_cmp_gt_u32_e32 vcc, s0, v0
	s_and_saveexec_b64 s[0:1], vcc
	s_cbranch_execz .LBB1880_6
; %bb.1:
	s_load_dwordx2 s[2:3], s[4:5], 0x4
	s_load_dwordx2 s[0:1], s[4:5], 0x20
	s_waitcnt lgkmcnt(0)
	s_lshr_b32 s6, s2, 9
	s_and_b32 s6, s6, 0x7ffffe
	s_add_i32 s7, s6, -1
	s_sub_i32 s6, 0, s6
	v_and_b32_e32 v1, s6, v0
	v_lshlrev_b32_e32 v1, 10, v1
	v_min_u32_e32 v2, s3, v1
	v_add_u32_e32 v1, s2, v1
	v_min_u32_e32 v4, s3, v1
	v_add_u32_e32 v1, s2, v4
	v_and_b32_e32 v3, s7, v0
	v_min_u32_e32 v1, s3, v1
	v_sub_u32_e32 v5, v1, v2
	v_lshlrev_b32_e32 v3, 10, v3
	v_min_u32_e32 v6, v5, v3
	v_sub_u32_e32 v3, v4, v2
	v_sub_u32_e32 v1, v1, v4
	v_sub_u32_e64 v1, v6, v1 clamp
	v_min_u32_e32 v7, v6, v3
	v_cmp_lt_u32_e32 vcc, v1, v7
	s_and_saveexec_b64 s[2:3], vcc
	s_cbranch_execz .LBB1880_5
; %bb.2:
	s_load_dwordx2 s[8:9], s[4:5], 0x10
	s_load_dword s6, s[4:5], 0x18
	v_mov_b32_e32 v5, 0
	v_mov_b32_e32 v3, v5
	v_lshlrev_b64 v[8:9], 1, v[2:3]
	s_waitcnt lgkmcnt(0)
	v_mov_b32_e32 v12, s9
	v_add_co_u32_e32 v3, vcc, s8, v8
	v_addc_co_u32_e32 v8, vcc, v12, v9, vcc
	v_lshlrev_b64 v[10:11], 1, v[4:5]
	v_add_co_u32_e32 v9, vcc, s8, v10
	v_addc_co_u32_e32 v10, vcc, v12, v11, vcc
	s_mov_b64 s[4:5], 0
.LBB1880_3:                             ; =>This Inner Loop Header: Depth=1
	v_add_u32_e32 v4, v7, v1
	v_and_b32_e32 v12, -2, v4
	v_lshrrev_b32_e32 v11, 1, v4
	v_add_co_u32_e32 v12, vcc, v3, v12
	v_xad_u32 v4, v11, -1, v6
	v_addc_co_u32_e32 v13, vcc, 0, v8, vcc
	global_load_ushort v14, v[12:13], off
	v_lshlrev_b64 v[12:13], 1, v[4:5]
	v_add_co_u32_e32 v12, vcc, v9, v12
	v_addc_co_u32_e32 v13, vcc, v10, v13, vcc
	global_load_ushort v4, v[12:13], off
	v_add_u32_e32 v12, 1, v11
	s_waitcnt vmcnt(1)
	v_and_b32_e32 v13, s6, v14
	s_waitcnt vmcnt(0)
	v_and_b32_e32 v4, s6, v4
	v_cmp_gt_u16_e32 vcc, v4, v13
	v_cndmask_b32_e32 v7, v7, v11, vcc
	v_cndmask_b32_e32 v1, v12, v1, vcc
	v_cmp_ge_u32_e32 vcc, v1, v7
	s_or_b64 s[4:5], vcc, s[4:5]
	s_andn2_b64 exec, exec, s[4:5]
	s_cbranch_execnz .LBB1880_3
; %bb.4:
	s_or_b64 exec, exec, s[4:5]
.LBB1880_5:
	s_or_b64 exec, exec, s[2:3]
	v_add_u32_e32 v2, v1, v2
	v_mov_b32_e32 v1, 0
	v_lshlrev_b64 v[0:1], 2, v[0:1]
	v_mov_b32_e32 v3, s1
	v_add_co_u32_e32 v0, vcc, s0, v0
	v_addc_co_u32_e32 v1, vcc, v3, v1, vcc
	global_store_dword v[0:1], v2, off
.LBB1880_6:
	s_endpgm
	.section	.rodata,"a",@progbits
	.p2align	6, 0x0
	.amdhsa_kernel _ZN7rocprim17ROCPRIM_400000_NS6detail17trampoline_kernelINS0_14default_configENS1_38merge_sort_block_merge_config_selectorItNS0_10empty_typeEEEZZNS1_27merge_sort_block_merge_implIS3_PtPS5_jNS1_19radix_merge_compareILb1ELb1EtNS0_19identity_decomposerEEEEE10hipError_tT0_T1_T2_jT3_P12ihipStream_tbPNSt15iterator_traitsISE_E10value_typeEPNSK_ISF_E10value_typeEPSG_NS1_7vsmem_tEENKUlT_SE_SF_SG_E_clIS8_S8_S9_S9_EESD_ST_SE_SF_SG_EUlST_E_NS1_11comp_targetILNS1_3genE4ELNS1_11target_archE910ELNS1_3gpuE8ELNS1_3repE0EEENS1_48merge_mergepath_partition_config_static_selectorELNS0_4arch9wavefront6targetE1EEEvSF_
		.amdhsa_group_segment_fixed_size 0
		.amdhsa_private_segment_fixed_size 0
		.amdhsa_kernarg_size 40
		.amdhsa_user_sgpr_count 6
		.amdhsa_user_sgpr_private_segment_buffer 1
		.amdhsa_user_sgpr_dispatch_ptr 0
		.amdhsa_user_sgpr_queue_ptr 0
		.amdhsa_user_sgpr_kernarg_segment_ptr 1
		.amdhsa_user_sgpr_dispatch_id 0
		.amdhsa_user_sgpr_flat_scratch_init 0
		.amdhsa_user_sgpr_kernarg_preload_length 0
		.amdhsa_user_sgpr_kernarg_preload_offset 0
		.amdhsa_user_sgpr_private_segment_size 0
		.amdhsa_uses_dynamic_stack 0
		.amdhsa_system_sgpr_private_segment_wavefront_offset 0
		.amdhsa_system_sgpr_workgroup_id_x 1
		.amdhsa_system_sgpr_workgroup_id_y 0
		.amdhsa_system_sgpr_workgroup_id_z 0
		.amdhsa_system_sgpr_workgroup_info 0
		.amdhsa_system_vgpr_workitem_id 0
		.amdhsa_next_free_vgpr 15
		.amdhsa_next_free_sgpr 10
		.amdhsa_accum_offset 16
		.amdhsa_reserve_vcc 1
		.amdhsa_reserve_flat_scratch 0
		.amdhsa_float_round_mode_32 0
		.amdhsa_float_round_mode_16_64 0
		.amdhsa_float_denorm_mode_32 3
		.amdhsa_float_denorm_mode_16_64 3
		.amdhsa_dx10_clamp 1
		.amdhsa_ieee_mode 1
		.amdhsa_fp16_overflow 0
		.amdhsa_tg_split 0
		.amdhsa_exception_fp_ieee_invalid_op 0
		.amdhsa_exception_fp_denorm_src 0
		.amdhsa_exception_fp_ieee_div_zero 0
		.amdhsa_exception_fp_ieee_overflow 0
		.amdhsa_exception_fp_ieee_underflow 0
		.amdhsa_exception_fp_ieee_inexact 0
		.amdhsa_exception_int_div_zero 0
	.end_amdhsa_kernel
	.section	.text._ZN7rocprim17ROCPRIM_400000_NS6detail17trampoline_kernelINS0_14default_configENS1_38merge_sort_block_merge_config_selectorItNS0_10empty_typeEEEZZNS1_27merge_sort_block_merge_implIS3_PtPS5_jNS1_19radix_merge_compareILb1ELb1EtNS0_19identity_decomposerEEEEE10hipError_tT0_T1_T2_jT3_P12ihipStream_tbPNSt15iterator_traitsISE_E10value_typeEPNSK_ISF_E10value_typeEPSG_NS1_7vsmem_tEENKUlT_SE_SF_SG_E_clIS8_S8_S9_S9_EESD_ST_SE_SF_SG_EUlST_E_NS1_11comp_targetILNS1_3genE4ELNS1_11target_archE910ELNS1_3gpuE8ELNS1_3repE0EEENS1_48merge_mergepath_partition_config_static_selectorELNS0_4arch9wavefront6targetE1EEEvSF_,"axG",@progbits,_ZN7rocprim17ROCPRIM_400000_NS6detail17trampoline_kernelINS0_14default_configENS1_38merge_sort_block_merge_config_selectorItNS0_10empty_typeEEEZZNS1_27merge_sort_block_merge_implIS3_PtPS5_jNS1_19radix_merge_compareILb1ELb1EtNS0_19identity_decomposerEEEEE10hipError_tT0_T1_T2_jT3_P12ihipStream_tbPNSt15iterator_traitsISE_E10value_typeEPNSK_ISF_E10value_typeEPSG_NS1_7vsmem_tEENKUlT_SE_SF_SG_E_clIS8_S8_S9_S9_EESD_ST_SE_SF_SG_EUlST_E_NS1_11comp_targetILNS1_3genE4ELNS1_11target_archE910ELNS1_3gpuE8ELNS1_3repE0EEENS1_48merge_mergepath_partition_config_static_selectorELNS0_4arch9wavefront6targetE1EEEvSF_,comdat
.Lfunc_end1880:
	.size	_ZN7rocprim17ROCPRIM_400000_NS6detail17trampoline_kernelINS0_14default_configENS1_38merge_sort_block_merge_config_selectorItNS0_10empty_typeEEEZZNS1_27merge_sort_block_merge_implIS3_PtPS5_jNS1_19radix_merge_compareILb1ELb1EtNS0_19identity_decomposerEEEEE10hipError_tT0_T1_T2_jT3_P12ihipStream_tbPNSt15iterator_traitsISE_E10value_typeEPNSK_ISF_E10value_typeEPSG_NS1_7vsmem_tEENKUlT_SE_SF_SG_E_clIS8_S8_S9_S9_EESD_ST_SE_SF_SG_EUlST_E_NS1_11comp_targetILNS1_3genE4ELNS1_11target_archE910ELNS1_3gpuE8ELNS1_3repE0EEENS1_48merge_mergepath_partition_config_static_selectorELNS0_4arch9wavefront6targetE1EEEvSF_, .Lfunc_end1880-_ZN7rocprim17ROCPRIM_400000_NS6detail17trampoline_kernelINS0_14default_configENS1_38merge_sort_block_merge_config_selectorItNS0_10empty_typeEEEZZNS1_27merge_sort_block_merge_implIS3_PtPS5_jNS1_19radix_merge_compareILb1ELb1EtNS0_19identity_decomposerEEEEE10hipError_tT0_T1_T2_jT3_P12ihipStream_tbPNSt15iterator_traitsISE_E10value_typeEPNSK_ISF_E10value_typeEPSG_NS1_7vsmem_tEENKUlT_SE_SF_SG_E_clIS8_S8_S9_S9_EESD_ST_SE_SF_SG_EUlST_E_NS1_11comp_targetILNS1_3genE4ELNS1_11target_archE910ELNS1_3gpuE8ELNS1_3repE0EEENS1_48merge_mergepath_partition_config_static_selectorELNS0_4arch9wavefront6targetE1EEEvSF_
                                        ; -- End function
	.section	.AMDGPU.csdata,"",@progbits
; Kernel info:
; codeLenInByte = 372
; NumSgprs: 14
; NumVgprs: 15
; NumAgprs: 0
; TotalNumVgprs: 15
; ScratchSize: 0
; MemoryBound: 0
; FloatMode: 240
; IeeeMode: 1
; LDSByteSize: 0 bytes/workgroup (compile time only)
; SGPRBlocks: 1
; VGPRBlocks: 1
; NumSGPRsForWavesPerEU: 14
; NumVGPRsForWavesPerEU: 15
; AccumOffset: 16
; Occupancy: 8
; WaveLimiterHint : 0
; COMPUTE_PGM_RSRC2:SCRATCH_EN: 0
; COMPUTE_PGM_RSRC2:USER_SGPR: 6
; COMPUTE_PGM_RSRC2:TRAP_HANDLER: 0
; COMPUTE_PGM_RSRC2:TGID_X_EN: 1
; COMPUTE_PGM_RSRC2:TGID_Y_EN: 0
; COMPUTE_PGM_RSRC2:TGID_Z_EN: 0
; COMPUTE_PGM_RSRC2:TIDIG_COMP_CNT: 0
; COMPUTE_PGM_RSRC3_GFX90A:ACCUM_OFFSET: 3
; COMPUTE_PGM_RSRC3_GFX90A:TG_SPLIT: 0
	.section	.text._ZN7rocprim17ROCPRIM_400000_NS6detail17trampoline_kernelINS0_14default_configENS1_38merge_sort_block_merge_config_selectorItNS0_10empty_typeEEEZZNS1_27merge_sort_block_merge_implIS3_PtPS5_jNS1_19radix_merge_compareILb1ELb1EtNS0_19identity_decomposerEEEEE10hipError_tT0_T1_T2_jT3_P12ihipStream_tbPNSt15iterator_traitsISE_E10value_typeEPNSK_ISF_E10value_typeEPSG_NS1_7vsmem_tEENKUlT_SE_SF_SG_E_clIS8_S8_S9_S9_EESD_ST_SE_SF_SG_EUlST_E_NS1_11comp_targetILNS1_3genE3ELNS1_11target_archE908ELNS1_3gpuE7ELNS1_3repE0EEENS1_48merge_mergepath_partition_config_static_selectorELNS0_4arch9wavefront6targetE1EEEvSF_,"axG",@progbits,_ZN7rocprim17ROCPRIM_400000_NS6detail17trampoline_kernelINS0_14default_configENS1_38merge_sort_block_merge_config_selectorItNS0_10empty_typeEEEZZNS1_27merge_sort_block_merge_implIS3_PtPS5_jNS1_19radix_merge_compareILb1ELb1EtNS0_19identity_decomposerEEEEE10hipError_tT0_T1_T2_jT3_P12ihipStream_tbPNSt15iterator_traitsISE_E10value_typeEPNSK_ISF_E10value_typeEPSG_NS1_7vsmem_tEENKUlT_SE_SF_SG_E_clIS8_S8_S9_S9_EESD_ST_SE_SF_SG_EUlST_E_NS1_11comp_targetILNS1_3genE3ELNS1_11target_archE908ELNS1_3gpuE7ELNS1_3repE0EEENS1_48merge_mergepath_partition_config_static_selectorELNS0_4arch9wavefront6targetE1EEEvSF_,comdat
	.protected	_ZN7rocprim17ROCPRIM_400000_NS6detail17trampoline_kernelINS0_14default_configENS1_38merge_sort_block_merge_config_selectorItNS0_10empty_typeEEEZZNS1_27merge_sort_block_merge_implIS3_PtPS5_jNS1_19radix_merge_compareILb1ELb1EtNS0_19identity_decomposerEEEEE10hipError_tT0_T1_T2_jT3_P12ihipStream_tbPNSt15iterator_traitsISE_E10value_typeEPNSK_ISF_E10value_typeEPSG_NS1_7vsmem_tEENKUlT_SE_SF_SG_E_clIS8_S8_S9_S9_EESD_ST_SE_SF_SG_EUlST_E_NS1_11comp_targetILNS1_3genE3ELNS1_11target_archE908ELNS1_3gpuE7ELNS1_3repE0EEENS1_48merge_mergepath_partition_config_static_selectorELNS0_4arch9wavefront6targetE1EEEvSF_ ; -- Begin function _ZN7rocprim17ROCPRIM_400000_NS6detail17trampoline_kernelINS0_14default_configENS1_38merge_sort_block_merge_config_selectorItNS0_10empty_typeEEEZZNS1_27merge_sort_block_merge_implIS3_PtPS5_jNS1_19radix_merge_compareILb1ELb1EtNS0_19identity_decomposerEEEEE10hipError_tT0_T1_T2_jT3_P12ihipStream_tbPNSt15iterator_traitsISE_E10value_typeEPNSK_ISF_E10value_typeEPSG_NS1_7vsmem_tEENKUlT_SE_SF_SG_E_clIS8_S8_S9_S9_EESD_ST_SE_SF_SG_EUlST_E_NS1_11comp_targetILNS1_3genE3ELNS1_11target_archE908ELNS1_3gpuE7ELNS1_3repE0EEENS1_48merge_mergepath_partition_config_static_selectorELNS0_4arch9wavefront6targetE1EEEvSF_
	.globl	_ZN7rocprim17ROCPRIM_400000_NS6detail17trampoline_kernelINS0_14default_configENS1_38merge_sort_block_merge_config_selectorItNS0_10empty_typeEEEZZNS1_27merge_sort_block_merge_implIS3_PtPS5_jNS1_19radix_merge_compareILb1ELb1EtNS0_19identity_decomposerEEEEE10hipError_tT0_T1_T2_jT3_P12ihipStream_tbPNSt15iterator_traitsISE_E10value_typeEPNSK_ISF_E10value_typeEPSG_NS1_7vsmem_tEENKUlT_SE_SF_SG_E_clIS8_S8_S9_S9_EESD_ST_SE_SF_SG_EUlST_E_NS1_11comp_targetILNS1_3genE3ELNS1_11target_archE908ELNS1_3gpuE7ELNS1_3repE0EEENS1_48merge_mergepath_partition_config_static_selectorELNS0_4arch9wavefront6targetE1EEEvSF_
	.p2align	8
	.type	_ZN7rocprim17ROCPRIM_400000_NS6detail17trampoline_kernelINS0_14default_configENS1_38merge_sort_block_merge_config_selectorItNS0_10empty_typeEEEZZNS1_27merge_sort_block_merge_implIS3_PtPS5_jNS1_19radix_merge_compareILb1ELb1EtNS0_19identity_decomposerEEEEE10hipError_tT0_T1_T2_jT3_P12ihipStream_tbPNSt15iterator_traitsISE_E10value_typeEPNSK_ISF_E10value_typeEPSG_NS1_7vsmem_tEENKUlT_SE_SF_SG_E_clIS8_S8_S9_S9_EESD_ST_SE_SF_SG_EUlST_E_NS1_11comp_targetILNS1_3genE3ELNS1_11target_archE908ELNS1_3gpuE7ELNS1_3repE0EEENS1_48merge_mergepath_partition_config_static_selectorELNS0_4arch9wavefront6targetE1EEEvSF_,@function
_ZN7rocprim17ROCPRIM_400000_NS6detail17trampoline_kernelINS0_14default_configENS1_38merge_sort_block_merge_config_selectorItNS0_10empty_typeEEEZZNS1_27merge_sort_block_merge_implIS3_PtPS5_jNS1_19radix_merge_compareILb1ELb1EtNS0_19identity_decomposerEEEEE10hipError_tT0_T1_T2_jT3_P12ihipStream_tbPNSt15iterator_traitsISE_E10value_typeEPNSK_ISF_E10value_typeEPSG_NS1_7vsmem_tEENKUlT_SE_SF_SG_E_clIS8_S8_S9_S9_EESD_ST_SE_SF_SG_EUlST_E_NS1_11comp_targetILNS1_3genE3ELNS1_11target_archE908ELNS1_3gpuE7ELNS1_3repE0EEENS1_48merge_mergepath_partition_config_static_selectorELNS0_4arch9wavefront6targetE1EEEvSF_: ; @_ZN7rocprim17ROCPRIM_400000_NS6detail17trampoline_kernelINS0_14default_configENS1_38merge_sort_block_merge_config_selectorItNS0_10empty_typeEEEZZNS1_27merge_sort_block_merge_implIS3_PtPS5_jNS1_19radix_merge_compareILb1ELb1EtNS0_19identity_decomposerEEEEE10hipError_tT0_T1_T2_jT3_P12ihipStream_tbPNSt15iterator_traitsISE_E10value_typeEPNSK_ISF_E10value_typeEPSG_NS1_7vsmem_tEENKUlT_SE_SF_SG_E_clIS8_S8_S9_S9_EESD_ST_SE_SF_SG_EUlST_E_NS1_11comp_targetILNS1_3genE3ELNS1_11target_archE908ELNS1_3gpuE7ELNS1_3repE0EEENS1_48merge_mergepath_partition_config_static_selectorELNS0_4arch9wavefront6targetE1EEEvSF_
; %bb.0:
	.section	.rodata,"a",@progbits
	.p2align	6, 0x0
	.amdhsa_kernel _ZN7rocprim17ROCPRIM_400000_NS6detail17trampoline_kernelINS0_14default_configENS1_38merge_sort_block_merge_config_selectorItNS0_10empty_typeEEEZZNS1_27merge_sort_block_merge_implIS3_PtPS5_jNS1_19radix_merge_compareILb1ELb1EtNS0_19identity_decomposerEEEEE10hipError_tT0_T1_T2_jT3_P12ihipStream_tbPNSt15iterator_traitsISE_E10value_typeEPNSK_ISF_E10value_typeEPSG_NS1_7vsmem_tEENKUlT_SE_SF_SG_E_clIS8_S8_S9_S9_EESD_ST_SE_SF_SG_EUlST_E_NS1_11comp_targetILNS1_3genE3ELNS1_11target_archE908ELNS1_3gpuE7ELNS1_3repE0EEENS1_48merge_mergepath_partition_config_static_selectorELNS0_4arch9wavefront6targetE1EEEvSF_
		.amdhsa_group_segment_fixed_size 0
		.amdhsa_private_segment_fixed_size 0
		.amdhsa_kernarg_size 40
		.amdhsa_user_sgpr_count 6
		.amdhsa_user_sgpr_private_segment_buffer 1
		.amdhsa_user_sgpr_dispatch_ptr 0
		.amdhsa_user_sgpr_queue_ptr 0
		.amdhsa_user_sgpr_kernarg_segment_ptr 1
		.amdhsa_user_sgpr_dispatch_id 0
		.amdhsa_user_sgpr_flat_scratch_init 0
		.amdhsa_user_sgpr_kernarg_preload_length 0
		.amdhsa_user_sgpr_kernarg_preload_offset 0
		.amdhsa_user_sgpr_private_segment_size 0
		.amdhsa_uses_dynamic_stack 0
		.amdhsa_system_sgpr_private_segment_wavefront_offset 0
		.amdhsa_system_sgpr_workgroup_id_x 1
		.amdhsa_system_sgpr_workgroup_id_y 0
		.amdhsa_system_sgpr_workgroup_id_z 0
		.amdhsa_system_sgpr_workgroup_info 0
		.amdhsa_system_vgpr_workitem_id 0
		.amdhsa_next_free_vgpr 1
		.amdhsa_next_free_sgpr 0
		.amdhsa_accum_offset 4
		.amdhsa_reserve_vcc 0
		.amdhsa_reserve_flat_scratch 0
		.amdhsa_float_round_mode_32 0
		.amdhsa_float_round_mode_16_64 0
		.amdhsa_float_denorm_mode_32 3
		.amdhsa_float_denorm_mode_16_64 3
		.amdhsa_dx10_clamp 1
		.amdhsa_ieee_mode 1
		.amdhsa_fp16_overflow 0
		.amdhsa_tg_split 0
		.amdhsa_exception_fp_ieee_invalid_op 0
		.amdhsa_exception_fp_denorm_src 0
		.amdhsa_exception_fp_ieee_div_zero 0
		.amdhsa_exception_fp_ieee_overflow 0
		.amdhsa_exception_fp_ieee_underflow 0
		.amdhsa_exception_fp_ieee_inexact 0
		.amdhsa_exception_int_div_zero 0
	.end_amdhsa_kernel
	.section	.text._ZN7rocprim17ROCPRIM_400000_NS6detail17trampoline_kernelINS0_14default_configENS1_38merge_sort_block_merge_config_selectorItNS0_10empty_typeEEEZZNS1_27merge_sort_block_merge_implIS3_PtPS5_jNS1_19radix_merge_compareILb1ELb1EtNS0_19identity_decomposerEEEEE10hipError_tT0_T1_T2_jT3_P12ihipStream_tbPNSt15iterator_traitsISE_E10value_typeEPNSK_ISF_E10value_typeEPSG_NS1_7vsmem_tEENKUlT_SE_SF_SG_E_clIS8_S8_S9_S9_EESD_ST_SE_SF_SG_EUlST_E_NS1_11comp_targetILNS1_3genE3ELNS1_11target_archE908ELNS1_3gpuE7ELNS1_3repE0EEENS1_48merge_mergepath_partition_config_static_selectorELNS0_4arch9wavefront6targetE1EEEvSF_,"axG",@progbits,_ZN7rocprim17ROCPRIM_400000_NS6detail17trampoline_kernelINS0_14default_configENS1_38merge_sort_block_merge_config_selectorItNS0_10empty_typeEEEZZNS1_27merge_sort_block_merge_implIS3_PtPS5_jNS1_19radix_merge_compareILb1ELb1EtNS0_19identity_decomposerEEEEE10hipError_tT0_T1_T2_jT3_P12ihipStream_tbPNSt15iterator_traitsISE_E10value_typeEPNSK_ISF_E10value_typeEPSG_NS1_7vsmem_tEENKUlT_SE_SF_SG_E_clIS8_S8_S9_S9_EESD_ST_SE_SF_SG_EUlST_E_NS1_11comp_targetILNS1_3genE3ELNS1_11target_archE908ELNS1_3gpuE7ELNS1_3repE0EEENS1_48merge_mergepath_partition_config_static_selectorELNS0_4arch9wavefront6targetE1EEEvSF_,comdat
.Lfunc_end1881:
	.size	_ZN7rocprim17ROCPRIM_400000_NS6detail17trampoline_kernelINS0_14default_configENS1_38merge_sort_block_merge_config_selectorItNS0_10empty_typeEEEZZNS1_27merge_sort_block_merge_implIS3_PtPS5_jNS1_19radix_merge_compareILb1ELb1EtNS0_19identity_decomposerEEEEE10hipError_tT0_T1_T2_jT3_P12ihipStream_tbPNSt15iterator_traitsISE_E10value_typeEPNSK_ISF_E10value_typeEPSG_NS1_7vsmem_tEENKUlT_SE_SF_SG_E_clIS8_S8_S9_S9_EESD_ST_SE_SF_SG_EUlST_E_NS1_11comp_targetILNS1_3genE3ELNS1_11target_archE908ELNS1_3gpuE7ELNS1_3repE0EEENS1_48merge_mergepath_partition_config_static_selectorELNS0_4arch9wavefront6targetE1EEEvSF_, .Lfunc_end1881-_ZN7rocprim17ROCPRIM_400000_NS6detail17trampoline_kernelINS0_14default_configENS1_38merge_sort_block_merge_config_selectorItNS0_10empty_typeEEEZZNS1_27merge_sort_block_merge_implIS3_PtPS5_jNS1_19radix_merge_compareILb1ELb1EtNS0_19identity_decomposerEEEEE10hipError_tT0_T1_T2_jT3_P12ihipStream_tbPNSt15iterator_traitsISE_E10value_typeEPNSK_ISF_E10value_typeEPSG_NS1_7vsmem_tEENKUlT_SE_SF_SG_E_clIS8_S8_S9_S9_EESD_ST_SE_SF_SG_EUlST_E_NS1_11comp_targetILNS1_3genE3ELNS1_11target_archE908ELNS1_3gpuE7ELNS1_3repE0EEENS1_48merge_mergepath_partition_config_static_selectorELNS0_4arch9wavefront6targetE1EEEvSF_
                                        ; -- End function
	.section	.AMDGPU.csdata,"",@progbits
; Kernel info:
; codeLenInByte = 0
; NumSgprs: 4
; NumVgprs: 0
; NumAgprs: 0
; TotalNumVgprs: 0
; ScratchSize: 0
; MemoryBound: 0
; FloatMode: 240
; IeeeMode: 1
; LDSByteSize: 0 bytes/workgroup (compile time only)
; SGPRBlocks: 0
; VGPRBlocks: 0
; NumSGPRsForWavesPerEU: 4
; NumVGPRsForWavesPerEU: 1
; AccumOffset: 4
; Occupancy: 8
; WaveLimiterHint : 0
; COMPUTE_PGM_RSRC2:SCRATCH_EN: 0
; COMPUTE_PGM_RSRC2:USER_SGPR: 6
; COMPUTE_PGM_RSRC2:TRAP_HANDLER: 0
; COMPUTE_PGM_RSRC2:TGID_X_EN: 1
; COMPUTE_PGM_RSRC2:TGID_Y_EN: 0
; COMPUTE_PGM_RSRC2:TGID_Z_EN: 0
; COMPUTE_PGM_RSRC2:TIDIG_COMP_CNT: 0
; COMPUTE_PGM_RSRC3_GFX90A:ACCUM_OFFSET: 0
; COMPUTE_PGM_RSRC3_GFX90A:TG_SPLIT: 0
	.section	.text._ZN7rocprim17ROCPRIM_400000_NS6detail17trampoline_kernelINS0_14default_configENS1_38merge_sort_block_merge_config_selectorItNS0_10empty_typeEEEZZNS1_27merge_sort_block_merge_implIS3_PtPS5_jNS1_19radix_merge_compareILb1ELb1EtNS0_19identity_decomposerEEEEE10hipError_tT0_T1_T2_jT3_P12ihipStream_tbPNSt15iterator_traitsISE_E10value_typeEPNSK_ISF_E10value_typeEPSG_NS1_7vsmem_tEENKUlT_SE_SF_SG_E_clIS8_S8_S9_S9_EESD_ST_SE_SF_SG_EUlST_E_NS1_11comp_targetILNS1_3genE2ELNS1_11target_archE906ELNS1_3gpuE6ELNS1_3repE0EEENS1_48merge_mergepath_partition_config_static_selectorELNS0_4arch9wavefront6targetE1EEEvSF_,"axG",@progbits,_ZN7rocprim17ROCPRIM_400000_NS6detail17trampoline_kernelINS0_14default_configENS1_38merge_sort_block_merge_config_selectorItNS0_10empty_typeEEEZZNS1_27merge_sort_block_merge_implIS3_PtPS5_jNS1_19radix_merge_compareILb1ELb1EtNS0_19identity_decomposerEEEEE10hipError_tT0_T1_T2_jT3_P12ihipStream_tbPNSt15iterator_traitsISE_E10value_typeEPNSK_ISF_E10value_typeEPSG_NS1_7vsmem_tEENKUlT_SE_SF_SG_E_clIS8_S8_S9_S9_EESD_ST_SE_SF_SG_EUlST_E_NS1_11comp_targetILNS1_3genE2ELNS1_11target_archE906ELNS1_3gpuE6ELNS1_3repE0EEENS1_48merge_mergepath_partition_config_static_selectorELNS0_4arch9wavefront6targetE1EEEvSF_,comdat
	.protected	_ZN7rocprim17ROCPRIM_400000_NS6detail17trampoline_kernelINS0_14default_configENS1_38merge_sort_block_merge_config_selectorItNS0_10empty_typeEEEZZNS1_27merge_sort_block_merge_implIS3_PtPS5_jNS1_19radix_merge_compareILb1ELb1EtNS0_19identity_decomposerEEEEE10hipError_tT0_T1_T2_jT3_P12ihipStream_tbPNSt15iterator_traitsISE_E10value_typeEPNSK_ISF_E10value_typeEPSG_NS1_7vsmem_tEENKUlT_SE_SF_SG_E_clIS8_S8_S9_S9_EESD_ST_SE_SF_SG_EUlST_E_NS1_11comp_targetILNS1_3genE2ELNS1_11target_archE906ELNS1_3gpuE6ELNS1_3repE0EEENS1_48merge_mergepath_partition_config_static_selectorELNS0_4arch9wavefront6targetE1EEEvSF_ ; -- Begin function _ZN7rocprim17ROCPRIM_400000_NS6detail17trampoline_kernelINS0_14default_configENS1_38merge_sort_block_merge_config_selectorItNS0_10empty_typeEEEZZNS1_27merge_sort_block_merge_implIS3_PtPS5_jNS1_19radix_merge_compareILb1ELb1EtNS0_19identity_decomposerEEEEE10hipError_tT0_T1_T2_jT3_P12ihipStream_tbPNSt15iterator_traitsISE_E10value_typeEPNSK_ISF_E10value_typeEPSG_NS1_7vsmem_tEENKUlT_SE_SF_SG_E_clIS8_S8_S9_S9_EESD_ST_SE_SF_SG_EUlST_E_NS1_11comp_targetILNS1_3genE2ELNS1_11target_archE906ELNS1_3gpuE6ELNS1_3repE0EEENS1_48merge_mergepath_partition_config_static_selectorELNS0_4arch9wavefront6targetE1EEEvSF_
	.globl	_ZN7rocprim17ROCPRIM_400000_NS6detail17trampoline_kernelINS0_14default_configENS1_38merge_sort_block_merge_config_selectorItNS0_10empty_typeEEEZZNS1_27merge_sort_block_merge_implIS3_PtPS5_jNS1_19radix_merge_compareILb1ELb1EtNS0_19identity_decomposerEEEEE10hipError_tT0_T1_T2_jT3_P12ihipStream_tbPNSt15iterator_traitsISE_E10value_typeEPNSK_ISF_E10value_typeEPSG_NS1_7vsmem_tEENKUlT_SE_SF_SG_E_clIS8_S8_S9_S9_EESD_ST_SE_SF_SG_EUlST_E_NS1_11comp_targetILNS1_3genE2ELNS1_11target_archE906ELNS1_3gpuE6ELNS1_3repE0EEENS1_48merge_mergepath_partition_config_static_selectorELNS0_4arch9wavefront6targetE1EEEvSF_
	.p2align	8
	.type	_ZN7rocprim17ROCPRIM_400000_NS6detail17trampoline_kernelINS0_14default_configENS1_38merge_sort_block_merge_config_selectorItNS0_10empty_typeEEEZZNS1_27merge_sort_block_merge_implIS3_PtPS5_jNS1_19radix_merge_compareILb1ELb1EtNS0_19identity_decomposerEEEEE10hipError_tT0_T1_T2_jT3_P12ihipStream_tbPNSt15iterator_traitsISE_E10value_typeEPNSK_ISF_E10value_typeEPSG_NS1_7vsmem_tEENKUlT_SE_SF_SG_E_clIS8_S8_S9_S9_EESD_ST_SE_SF_SG_EUlST_E_NS1_11comp_targetILNS1_3genE2ELNS1_11target_archE906ELNS1_3gpuE6ELNS1_3repE0EEENS1_48merge_mergepath_partition_config_static_selectorELNS0_4arch9wavefront6targetE1EEEvSF_,@function
_ZN7rocprim17ROCPRIM_400000_NS6detail17trampoline_kernelINS0_14default_configENS1_38merge_sort_block_merge_config_selectorItNS0_10empty_typeEEEZZNS1_27merge_sort_block_merge_implIS3_PtPS5_jNS1_19radix_merge_compareILb1ELb1EtNS0_19identity_decomposerEEEEE10hipError_tT0_T1_T2_jT3_P12ihipStream_tbPNSt15iterator_traitsISE_E10value_typeEPNSK_ISF_E10value_typeEPSG_NS1_7vsmem_tEENKUlT_SE_SF_SG_E_clIS8_S8_S9_S9_EESD_ST_SE_SF_SG_EUlST_E_NS1_11comp_targetILNS1_3genE2ELNS1_11target_archE906ELNS1_3gpuE6ELNS1_3repE0EEENS1_48merge_mergepath_partition_config_static_selectorELNS0_4arch9wavefront6targetE1EEEvSF_: ; @_ZN7rocprim17ROCPRIM_400000_NS6detail17trampoline_kernelINS0_14default_configENS1_38merge_sort_block_merge_config_selectorItNS0_10empty_typeEEEZZNS1_27merge_sort_block_merge_implIS3_PtPS5_jNS1_19radix_merge_compareILb1ELb1EtNS0_19identity_decomposerEEEEE10hipError_tT0_T1_T2_jT3_P12ihipStream_tbPNSt15iterator_traitsISE_E10value_typeEPNSK_ISF_E10value_typeEPSG_NS1_7vsmem_tEENKUlT_SE_SF_SG_E_clIS8_S8_S9_S9_EESD_ST_SE_SF_SG_EUlST_E_NS1_11comp_targetILNS1_3genE2ELNS1_11target_archE906ELNS1_3gpuE6ELNS1_3repE0EEENS1_48merge_mergepath_partition_config_static_selectorELNS0_4arch9wavefront6targetE1EEEvSF_
; %bb.0:
	.section	.rodata,"a",@progbits
	.p2align	6, 0x0
	.amdhsa_kernel _ZN7rocprim17ROCPRIM_400000_NS6detail17trampoline_kernelINS0_14default_configENS1_38merge_sort_block_merge_config_selectorItNS0_10empty_typeEEEZZNS1_27merge_sort_block_merge_implIS3_PtPS5_jNS1_19radix_merge_compareILb1ELb1EtNS0_19identity_decomposerEEEEE10hipError_tT0_T1_T2_jT3_P12ihipStream_tbPNSt15iterator_traitsISE_E10value_typeEPNSK_ISF_E10value_typeEPSG_NS1_7vsmem_tEENKUlT_SE_SF_SG_E_clIS8_S8_S9_S9_EESD_ST_SE_SF_SG_EUlST_E_NS1_11comp_targetILNS1_3genE2ELNS1_11target_archE906ELNS1_3gpuE6ELNS1_3repE0EEENS1_48merge_mergepath_partition_config_static_selectorELNS0_4arch9wavefront6targetE1EEEvSF_
		.amdhsa_group_segment_fixed_size 0
		.amdhsa_private_segment_fixed_size 0
		.amdhsa_kernarg_size 40
		.amdhsa_user_sgpr_count 6
		.amdhsa_user_sgpr_private_segment_buffer 1
		.amdhsa_user_sgpr_dispatch_ptr 0
		.amdhsa_user_sgpr_queue_ptr 0
		.amdhsa_user_sgpr_kernarg_segment_ptr 1
		.amdhsa_user_sgpr_dispatch_id 0
		.amdhsa_user_sgpr_flat_scratch_init 0
		.amdhsa_user_sgpr_kernarg_preload_length 0
		.amdhsa_user_sgpr_kernarg_preload_offset 0
		.amdhsa_user_sgpr_private_segment_size 0
		.amdhsa_uses_dynamic_stack 0
		.amdhsa_system_sgpr_private_segment_wavefront_offset 0
		.amdhsa_system_sgpr_workgroup_id_x 1
		.amdhsa_system_sgpr_workgroup_id_y 0
		.amdhsa_system_sgpr_workgroup_id_z 0
		.amdhsa_system_sgpr_workgroup_info 0
		.amdhsa_system_vgpr_workitem_id 0
		.amdhsa_next_free_vgpr 1
		.amdhsa_next_free_sgpr 0
		.amdhsa_accum_offset 4
		.amdhsa_reserve_vcc 0
		.amdhsa_reserve_flat_scratch 0
		.amdhsa_float_round_mode_32 0
		.amdhsa_float_round_mode_16_64 0
		.amdhsa_float_denorm_mode_32 3
		.amdhsa_float_denorm_mode_16_64 3
		.amdhsa_dx10_clamp 1
		.amdhsa_ieee_mode 1
		.amdhsa_fp16_overflow 0
		.amdhsa_tg_split 0
		.amdhsa_exception_fp_ieee_invalid_op 0
		.amdhsa_exception_fp_denorm_src 0
		.amdhsa_exception_fp_ieee_div_zero 0
		.amdhsa_exception_fp_ieee_overflow 0
		.amdhsa_exception_fp_ieee_underflow 0
		.amdhsa_exception_fp_ieee_inexact 0
		.amdhsa_exception_int_div_zero 0
	.end_amdhsa_kernel
	.section	.text._ZN7rocprim17ROCPRIM_400000_NS6detail17trampoline_kernelINS0_14default_configENS1_38merge_sort_block_merge_config_selectorItNS0_10empty_typeEEEZZNS1_27merge_sort_block_merge_implIS3_PtPS5_jNS1_19radix_merge_compareILb1ELb1EtNS0_19identity_decomposerEEEEE10hipError_tT0_T1_T2_jT3_P12ihipStream_tbPNSt15iterator_traitsISE_E10value_typeEPNSK_ISF_E10value_typeEPSG_NS1_7vsmem_tEENKUlT_SE_SF_SG_E_clIS8_S8_S9_S9_EESD_ST_SE_SF_SG_EUlST_E_NS1_11comp_targetILNS1_3genE2ELNS1_11target_archE906ELNS1_3gpuE6ELNS1_3repE0EEENS1_48merge_mergepath_partition_config_static_selectorELNS0_4arch9wavefront6targetE1EEEvSF_,"axG",@progbits,_ZN7rocprim17ROCPRIM_400000_NS6detail17trampoline_kernelINS0_14default_configENS1_38merge_sort_block_merge_config_selectorItNS0_10empty_typeEEEZZNS1_27merge_sort_block_merge_implIS3_PtPS5_jNS1_19radix_merge_compareILb1ELb1EtNS0_19identity_decomposerEEEEE10hipError_tT0_T1_T2_jT3_P12ihipStream_tbPNSt15iterator_traitsISE_E10value_typeEPNSK_ISF_E10value_typeEPSG_NS1_7vsmem_tEENKUlT_SE_SF_SG_E_clIS8_S8_S9_S9_EESD_ST_SE_SF_SG_EUlST_E_NS1_11comp_targetILNS1_3genE2ELNS1_11target_archE906ELNS1_3gpuE6ELNS1_3repE0EEENS1_48merge_mergepath_partition_config_static_selectorELNS0_4arch9wavefront6targetE1EEEvSF_,comdat
.Lfunc_end1882:
	.size	_ZN7rocprim17ROCPRIM_400000_NS6detail17trampoline_kernelINS0_14default_configENS1_38merge_sort_block_merge_config_selectorItNS0_10empty_typeEEEZZNS1_27merge_sort_block_merge_implIS3_PtPS5_jNS1_19radix_merge_compareILb1ELb1EtNS0_19identity_decomposerEEEEE10hipError_tT0_T1_T2_jT3_P12ihipStream_tbPNSt15iterator_traitsISE_E10value_typeEPNSK_ISF_E10value_typeEPSG_NS1_7vsmem_tEENKUlT_SE_SF_SG_E_clIS8_S8_S9_S9_EESD_ST_SE_SF_SG_EUlST_E_NS1_11comp_targetILNS1_3genE2ELNS1_11target_archE906ELNS1_3gpuE6ELNS1_3repE0EEENS1_48merge_mergepath_partition_config_static_selectorELNS0_4arch9wavefront6targetE1EEEvSF_, .Lfunc_end1882-_ZN7rocprim17ROCPRIM_400000_NS6detail17trampoline_kernelINS0_14default_configENS1_38merge_sort_block_merge_config_selectorItNS0_10empty_typeEEEZZNS1_27merge_sort_block_merge_implIS3_PtPS5_jNS1_19radix_merge_compareILb1ELb1EtNS0_19identity_decomposerEEEEE10hipError_tT0_T1_T2_jT3_P12ihipStream_tbPNSt15iterator_traitsISE_E10value_typeEPNSK_ISF_E10value_typeEPSG_NS1_7vsmem_tEENKUlT_SE_SF_SG_E_clIS8_S8_S9_S9_EESD_ST_SE_SF_SG_EUlST_E_NS1_11comp_targetILNS1_3genE2ELNS1_11target_archE906ELNS1_3gpuE6ELNS1_3repE0EEENS1_48merge_mergepath_partition_config_static_selectorELNS0_4arch9wavefront6targetE1EEEvSF_
                                        ; -- End function
	.section	.AMDGPU.csdata,"",@progbits
; Kernel info:
; codeLenInByte = 0
; NumSgprs: 4
; NumVgprs: 0
; NumAgprs: 0
; TotalNumVgprs: 0
; ScratchSize: 0
; MemoryBound: 0
; FloatMode: 240
; IeeeMode: 1
; LDSByteSize: 0 bytes/workgroup (compile time only)
; SGPRBlocks: 0
; VGPRBlocks: 0
; NumSGPRsForWavesPerEU: 4
; NumVGPRsForWavesPerEU: 1
; AccumOffset: 4
; Occupancy: 8
; WaveLimiterHint : 0
; COMPUTE_PGM_RSRC2:SCRATCH_EN: 0
; COMPUTE_PGM_RSRC2:USER_SGPR: 6
; COMPUTE_PGM_RSRC2:TRAP_HANDLER: 0
; COMPUTE_PGM_RSRC2:TGID_X_EN: 1
; COMPUTE_PGM_RSRC2:TGID_Y_EN: 0
; COMPUTE_PGM_RSRC2:TGID_Z_EN: 0
; COMPUTE_PGM_RSRC2:TIDIG_COMP_CNT: 0
; COMPUTE_PGM_RSRC3_GFX90A:ACCUM_OFFSET: 0
; COMPUTE_PGM_RSRC3_GFX90A:TG_SPLIT: 0
	.section	.text._ZN7rocprim17ROCPRIM_400000_NS6detail17trampoline_kernelINS0_14default_configENS1_38merge_sort_block_merge_config_selectorItNS0_10empty_typeEEEZZNS1_27merge_sort_block_merge_implIS3_PtPS5_jNS1_19radix_merge_compareILb1ELb1EtNS0_19identity_decomposerEEEEE10hipError_tT0_T1_T2_jT3_P12ihipStream_tbPNSt15iterator_traitsISE_E10value_typeEPNSK_ISF_E10value_typeEPSG_NS1_7vsmem_tEENKUlT_SE_SF_SG_E_clIS8_S8_S9_S9_EESD_ST_SE_SF_SG_EUlST_E_NS1_11comp_targetILNS1_3genE9ELNS1_11target_archE1100ELNS1_3gpuE3ELNS1_3repE0EEENS1_48merge_mergepath_partition_config_static_selectorELNS0_4arch9wavefront6targetE1EEEvSF_,"axG",@progbits,_ZN7rocprim17ROCPRIM_400000_NS6detail17trampoline_kernelINS0_14default_configENS1_38merge_sort_block_merge_config_selectorItNS0_10empty_typeEEEZZNS1_27merge_sort_block_merge_implIS3_PtPS5_jNS1_19radix_merge_compareILb1ELb1EtNS0_19identity_decomposerEEEEE10hipError_tT0_T1_T2_jT3_P12ihipStream_tbPNSt15iterator_traitsISE_E10value_typeEPNSK_ISF_E10value_typeEPSG_NS1_7vsmem_tEENKUlT_SE_SF_SG_E_clIS8_S8_S9_S9_EESD_ST_SE_SF_SG_EUlST_E_NS1_11comp_targetILNS1_3genE9ELNS1_11target_archE1100ELNS1_3gpuE3ELNS1_3repE0EEENS1_48merge_mergepath_partition_config_static_selectorELNS0_4arch9wavefront6targetE1EEEvSF_,comdat
	.protected	_ZN7rocprim17ROCPRIM_400000_NS6detail17trampoline_kernelINS0_14default_configENS1_38merge_sort_block_merge_config_selectorItNS0_10empty_typeEEEZZNS1_27merge_sort_block_merge_implIS3_PtPS5_jNS1_19radix_merge_compareILb1ELb1EtNS0_19identity_decomposerEEEEE10hipError_tT0_T1_T2_jT3_P12ihipStream_tbPNSt15iterator_traitsISE_E10value_typeEPNSK_ISF_E10value_typeEPSG_NS1_7vsmem_tEENKUlT_SE_SF_SG_E_clIS8_S8_S9_S9_EESD_ST_SE_SF_SG_EUlST_E_NS1_11comp_targetILNS1_3genE9ELNS1_11target_archE1100ELNS1_3gpuE3ELNS1_3repE0EEENS1_48merge_mergepath_partition_config_static_selectorELNS0_4arch9wavefront6targetE1EEEvSF_ ; -- Begin function _ZN7rocprim17ROCPRIM_400000_NS6detail17trampoline_kernelINS0_14default_configENS1_38merge_sort_block_merge_config_selectorItNS0_10empty_typeEEEZZNS1_27merge_sort_block_merge_implIS3_PtPS5_jNS1_19radix_merge_compareILb1ELb1EtNS0_19identity_decomposerEEEEE10hipError_tT0_T1_T2_jT3_P12ihipStream_tbPNSt15iterator_traitsISE_E10value_typeEPNSK_ISF_E10value_typeEPSG_NS1_7vsmem_tEENKUlT_SE_SF_SG_E_clIS8_S8_S9_S9_EESD_ST_SE_SF_SG_EUlST_E_NS1_11comp_targetILNS1_3genE9ELNS1_11target_archE1100ELNS1_3gpuE3ELNS1_3repE0EEENS1_48merge_mergepath_partition_config_static_selectorELNS0_4arch9wavefront6targetE1EEEvSF_
	.globl	_ZN7rocprim17ROCPRIM_400000_NS6detail17trampoline_kernelINS0_14default_configENS1_38merge_sort_block_merge_config_selectorItNS0_10empty_typeEEEZZNS1_27merge_sort_block_merge_implIS3_PtPS5_jNS1_19radix_merge_compareILb1ELb1EtNS0_19identity_decomposerEEEEE10hipError_tT0_T1_T2_jT3_P12ihipStream_tbPNSt15iterator_traitsISE_E10value_typeEPNSK_ISF_E10value_typeEPSG_NS1_7vsmem_tEENKUlT_SE_SF_SG_E_clIS8_S8_S9_S9_EESD_ST_SE_SF_SG_EUlST_E_NS1_11comp_targetILNS1_3genE9ELNS1_11target_archE1100ELNS1_3gpuE3ELNS1_3repE0EEENS1_48merge_mergepath_partition_config_static_selectorELNS0_4arch9wavefront6targetE1EEEvSF_
	.p2align	8
	.type	_ZN7rocprim17ROCPRIM_400000_NS6detail17trampoline_kernelINS0_14default_configENS1_38merge_sort_block_merge_config_selectorItNS0_10empty_typeEEEZZNS1_27merge_sort_block_merge_implIS3_PtPS5_jNS1_19radix_merge_compareILb1ELb1EtNS0_19identity_decomposerEEEEE10hipError_tT0_T1_T2_jT3_P12ihipStream_tbPNSt15iterator_traitsISE_E10value_typeEPNSK_ISF_E10value_typeEPSG_NS1_7vsmem_tEENKUlT_SE_SF_SG_E_clIS8_S8_S9_S9_EESD_ST_SE_SF_SG_EUlST_E_NS1_11comp_targetILNS1_3genE9ELNS1_11target_archE1100ELNS1_3gpuE3ELNS1_3repE0EEENS1_48merge_mergepath_partition_config_static_selectorELNS0_4arch9wavefront6targetE1EEEvSF_,@function
_ZN7rocprim17ROCPRIM_400000_NS6detail17trampoline_kernelINS0_14default_configENS1_38merge_sort_block_merge_config_selectorItNS0_10empty_typeEEEZZNS1_27merge_sort_block_merge_implIS3_PtPS5_jNS1_19radix_merge_compareILb1ELb1EtNS0_19identity_decomposerEEEEE10hipError_tT0_T1_T2_jT3_P12ihipStream_tbPNSt15iterator_traitsISE_E10value_typeEPNSK_ISF_E10value_typeEPSG_NS1_7vsmem_tEENKUlT_SE_SF_SG_E_clIS8_S8_S9_S9_EESD_ST_SE_SF_SG_EUlST_E_NS1_11comp_targetILNS1_3genE9ELNS1_11target_archE1100ELNS1_3gpuE3ELNS1_3repE0EEENS1_48merge_mergepath_partition_config_static_selectorELNS0_4arch9wavefront6targetE1EEEvSF_: ; @_ZN7rocprim17ROCPRIM_400000_NS6detail17trampoline_kernelINS0_14default_configENS1_38merge_sort_block_merge_config_selectorItNS0_10empty_typeEEEZZNS1_27merge_sort_block_merge_implIS3_PtPS5_jNS1_19radix_merge_compareILb1ELb1EtNS0_19identity_decomposerEEEEE10hipError_tT0_T1_T2_jT3_P12ihipStream_tbPNSt15iterator_traitsISE_E10value_typeEPNSK_ISF_E10value_typeEPSG_NS1_7vsmem_tEENKUlT_SE_SF_SG_E_clIS8_S8_S9_S9_EESD_ST_SE_SF_SG_EUlST_E_NS1_11comp_targetILNS1_3genE9ELNS1_11target_archE1100ELNS1_3gpuE3ELNS1_3repE0EEENS1_48merge_mergepath_partition_config_static_selectorELNS0_4arch9wavefront6targetE1EEEvSF_
; %bb.0:
	.section	.rodata,"a",@progbits
	.p2align	6, 0x0
	.amdhsa_kernel _ZN7rocprim17ROCPRIM_400000_NS6detail17trampoline_kernelINS0_14default_configENS1_38merge_sort_block_merge_config_selectorItNS0_10empty_typeEEEZZNS1_27merge_sort_block_merge_implIS3_PtPS5_jNS1_19radix_merge_compareILb1ELb1EtNS0_19identity_decomposerEEEEE10hipError_tT0_T1_T2_jT3_P12ihipStream_tbPNSt15iterator_traitsISE_E10value_typeEPNSK_ISF_E10value_typeEPSG_NS1_7vsmem_tEENKUlT_SE_SF_SG_E_clIS8_S8_S9_S9_EESD_ST_SE_SF_SG_EUlST_E_NS1_11comp_targetILNS1_3genE9ELNS1_11target_archE1100ELNS1_3gpuE3ELNS1_3repE0EEENS1_48merge_mergepath_partition_config_static_selectorELNS0_4arch9wavefront6targetE1EEEvSF_
		.amdhsa_group_segment_fixed_size 0
		.amdhsa_private_segment_fixed_size 0
		.amdhsa_kernarg_size 40
		.amdhsa_user_sgpr_count 6
		.amdhsa_user_sgpr_private_segment_buffer 1
		.amdhsa_user_sgpr_dispatch_ptr 0
		.amdhsa_user_sgpr_queue_ptr 0
		.amdhsa_user_sgpr_kernarg_segment_ptr 1
		.amdhsa_user_sgpr_dispatch_id 0
		.amdhsa_user_sgpr_flat_scratch_init 0
		.amdhsa_user_sgpr_kernarg_preload_length 0
		.amdhsa_user_sgpr_kernarg_preload_offset 0
		.amdhsa_user_sgpr_private_segment_size 0
		.amdhsa_uses_dynamic_stack 0
		.amdhsa_system_sgpr_private_segment_wavefront_offset 0
		.amdhsa_system_sgpr_workgroup_id_x 1
		.amdhsa_system_sgpr_workgroup_id_y 0
		.amdhsa_system_sgpr_workgroup_id_z 0
		.amdhsa_system_sgpr_workgroup_info 0
		.amdhsa_system_vgpr_workitem_id 0
		.amdhsa_next_free_vgpr 1
		.amdhsa_next_free_sgpr 0
		.amdhsa_accum_offset 4
		.amdhsa_reserve_vcc 0
		.amdhsa_reserve_flat_scratch 0
		.amdhsa_float_round_mode_32 0
		.amdhsa_float_round_mode_16_64 0
		.amdhsa_float_denorm_mode_32 3
		.amdhsa_float_denorm_mode_16_64 3
		.amdhsa_dx10_clamp 1
		.amdhsa_ieee_mode 1
		.amdhsa_fp16_overflow 0
		.amdhsa_tg_split 0
		.amdhsa_exception_fp_ieee_invalid_op 0
		.amdhsa_exception_fp_denorm_src 0
		.amdhsa_exception_fp_ieee_div_zero 0
		.amdhsa_exception_fp_ieee_overflow 0
		.amdhsa_exception_fp_ieee_underflow 0
		.amdhsa_exception_fp_ieee_inexact 0
		.amdhsa_exception_int_div_zero 0
	.end_amdhsa_kernel
	.section	.text._ZN7rocprim17ROCPRIM_400000_NS6detail17trampoline_kernelINS0_14default_configENS1_38merge_sort_block_merge_config_selectorItNS0_10empty_typeEEEZZNS1_27merge_sort_block_merge_implIS3_PtPS5_jNS1_19radix_merge_compareILb1ELb1EtNS0_19identity_decomposerEEEEE10hipError_tT0_T1_T2_jT3_P12ihipStream_tbPNSt15iterator_traitsISE_E10value_typeEPNSK_ISF_E10value_typeEPSG_NS1_7vsmem_tEENKUlT_SE_SF_SG_E_clIS8_S8_S9_S9_EESD_ST_SE_SF_SG_EUlST_E_NS1_11comp_targetILNS1_3genE9ELNS1_11target_archE1100ELNS1_3gpuE3ELNS1_3repE0EEENS1_48merge_mergepath_partition_config_static_selectorELNS0_4arch9wavefront6targetE1EEEvSF_,"axG",@progbits,_ZN7rocprim17ROCPRIM_400000_NS6detail17trampoline_kernelINS0_14default_configENS1_38merge_sort_block_merge_config_selectorItNS0_10empty_typeEEEZZNS1_27merge_sort_block_merge_implIS3_PtPS5_jNS1_19radix_merge_compareILb1ELb1EtNS0_19identity_decomposerEEEEE10hipError_tT0_T1_T2_jT3_P12ihipStream_tbPNSt15iterator_traitsISE_E10value_typeEPNSK_ISF_E10value_typeEPSG_NS1_7vsmem_tEENKUlT_SE_SF_SG_E_clIS8_S8_S9_S9_EESD_ST_SE_SF_SG_EUlST_E_NS1_11comp_targetILNS1_3genE9ELNS1_11target_archE1100ELNS1_3gpuE3ELNS1_3repE0EEENS1_48merge_mergepath_partition_config_static_selectorELNS0_4arch9wavefront6targetE1EEEvSF_,comdat
.Lfunc_end1883:
	.size	_ZN7rocprim17ROCPRIM_400000_NS6detail17trampoline_kernelINS0_14default_configENS1_38merge_sort_block_merge_config_selectorItNS0_10empty_typeEEEZZNS1_27merge_sort_block_merge_implIS3_PtPS5_jNS1_19radix_merge_compareILb1ELb1EtNS0_19identity_decomposerEEEEE10hipError_tT0_T1_T2_jT3_P12ihipStream_tbPNSt15iterator_traitsISE_E10value_typeEPNSK_ISF_E10value_typeEPSG_NS1_7vsmem_tEENKUlT_SE_SF_SG_E_clIS8_S8_S9_S9_EESD_ST_SE_SF_SG_EUlST_E_NS1_11comp_targetILNS1_3genE9ELNS1_11target_archE1100ELNS1_3gpuE3ELNS1_3repE0EEENS1_48merge_mergepath_partition_config_static_selectorELNS0_4arch9wavefront6targetE1EEEvSF_, .Lfunc_end1883-_ZN7rocprim17ROCPRIM_400000_NS6detail17trampoline_kernelINS0_14default_configENS1_38merge_sort_block_merge_config_selectorItNS0_10empty_typeEEEZZNS1_27merge_sort_block_merge_implIS3_PtPS5_jNS1_19radix_merge_compareILb1ELb1EtNS0_19identity_decomposerEEEEE10hipError_tT0_T1_T2_jT3_P12ihipStream_tbPNSt15iterator_traitsISE_E10value_typeEPNSK_ISF_E10value_typeEPSG_NS1_7vsmem_tEENKUlT_SE_SF_SG_E_clIS8_S8_S9_S9_EESD_ST_SE_SF_SG_EUlST_E_NS1_11comp_targetILNS1_3genE9ELNS1_11target_archE1100ELNS1_3gpuE3ELNS1_3repE0EEENS1_48merge_mergepath_partition_config_static_selectorELNS0_4arch9wavefront6targetE1EEEvSF_
                                        ; -- End function
	.section	.AMDGPU.csdata,"",@progbits
; Kernel info:
; codeLenInByte = 0
; NumSgprs: 4
; NumVgprs: 0
; NumAgprs: 0
; TotalNumVgprs: 0
; ScratchSize: 0
; MemoryBound: 0
; FloatMode: 240
; IeeeMode: 1
; LDSByteSize: 0 bytes/workgroup (compile time only)
; SGPRBlocks: 0
; VGPRBlocks: 0
; NumSGPRsForWavesPerEU: 4
; NumVGPRsForWavesPerEU: 1
; AccumOffset: 4
; Occupancy: 8
; WaveLimiterHint : 0
; COMPUTE_PGM_RSRC2:SCRATCH_EN: 0
; COMPUTE_PGM_RSRC2:USER_SGPR: 6
; COMPUTE_PGM_RSRC2:TRAP_HANDLER: 0
; COMPUTE_PGM_RSRC2:TGID_X_EN: 1
; COMPUTE_PGM_RSRC2:TGID_Y_EN: 0
; COMPUTE_PGM_RSRC2:TGID_Z_EN: 0
; COMPUTE_PGM_RSRC2:TIDIG_COMP_CNT: 0
; COMPUTE_PGM_RSRC3_GFX90A:ACCUM_OFFSET: 0
; COMPUTE_PGM_RSRC3_GFX90A:TG_SPLIT: 0
	.section	.text._ZN7rocprim17ROCPRIM_400000_NS6detail17trampoline_kernelINS0_14default_configENS1_38merge_sort_block_merge_config_selectorItNS0_10empty_typeEEEZZNS1_27merge_sort_block_merge_implIS3_PtPS5_jNS1_19radix_merge_compareILb1ELb1EtNS0_19identity_decomposerEEEEE10hipError_tT0_T1_T2_jT3_P12ihipStream_tbPNSt15iterator_traitsISE_E10value_typeEPNSK_ISF_E10value_typeEPSG_NS1_7vsmem_tEENKUlT_SE_SF_SG_E_clIS8_S8_S9_S9_EESD_ST_SE_SF_SG_EUlST_E_NS1_11comp_targetILNS1_3genE8ELNS1_11target_archE1030ELNS1_3gpuE2ELNS1_3repE0EEENS1_48merge_mergepath_partition_config_static_selectorELNS0_4arch9wavefront6targetE1EEEvSF_,"axG",@progbits,_ZN7rocprim17ROCPRIM_400000_NS6detail17trampoline_kernelINS0_14default_configENS1_38merge_sort_block_merge_config_selectorItNS0_10empty_typeEEEZZNS1_27merge_sort_block_merge_implIS3_PtPS5_jNS1_19radix_merge_compareILb1ELb1EtNS0_19identity_decomposerEEEEE10hipError_tT0_T1_T2_jT3_P12ihipStream_tbPNSt15iterator_traitsISE_E10value_typeEPNSK_ISF_E10value_typeEPSG_NS1_7vsmem_tEENKUlT_SE_SF_SG_E_clIS8_S8_S9_S9_EESD_ST_SE_SF_SG_EUlST_E_NS1_11comp_targetILNS1_3genE8ELNS1_11target_archE1030ELNS1_3gpuE2ELNS1_3repE0EEENS1_48merge_mergepath_partition_config_static_selectorELNS0_4arch9wavefront6targetE1EEEvSF_,comdat
	.protected	_ZN7rocprim17ROCPRIM_400000_NS6detail17trampoline_kernelINS0_14default_configENS1_38merge_sort_block_merge_config_selectorItNS0_10empty_typeEEEZZNS1_27merge_sort_block_merge_implIS3_PtPS5_jNS1_19radix_merge_compareILb1ELb1EtNS0_19identity_decomposerEEEEE10hipError_tT0_T1_T2_jT3_P12ihipStream_tbPNSt15iterator_traitsISE_E10value_typeEPNSK_ISF_E10value_typeEPSG_NS1_7vsmem_tEENKUlT_SE_SF_SG_E_clIS8_S8_S9_S9_EESD_ST_SE_SF_SG_EUlST_E_NS1_11comp_targetILNS1_3genE8ELNS1_11target_archE1030ELNS1_3gpuE2ELNS1_3repE0EEENS1_48merge_mergepath_partition_config_static_selectorELNS0_4arch9wavefront6targetE1EEEvSF_ ; -- Begin function _ZN7rocprim17ROCPRIM_400000_NS6detail17trampoline_kernelINS0_14default_configENS1_38merge_sort_block_merge_config_selectorItNS0_10empty_typeEEEZZNS1_27merge_sort_block_merge_implIS3_PtPS5_jNS1_19radix_merge_compareILb1ELb1EtNS0_19identity_decomposerEEEEE10hipError_tT0_T1_T2_jT3_P12ihipStream_tbPNSt15iterator_traitsISE_E10value_typeEPNSK_ISF_E10value_typeEPSG_NS1_7vsmem_tEENKUlT_SE_SF_SG_E_clIS8_S8_S9_S9_EESD_ST_SE_SF_SG_EUlST_E_NS1_11comp_targetILNS1_3genE8ELNS1_11target_archE1030ELNS1_3gpuE2ELNS1_3repE0EEENS1_48merge_mergepath_partition_config_static_selectorELNS0_4arch9wavefront6targetE1EEEvSF_
	.globl	_ZN7rocprim17ROCPRIM_400000_NS6detail17trampoline_kernelINS0_14default_configENS1_38merge_sort_block_merge_config_selectorItNS0_10empty_typeEEEZZNS1_27merge_sort_block_merge_implIS3_PtPS5_jNS1_19radix_merge_compareILb1ELb1EtNS0_19identity_decomposerEEEEE10hipError_tT0_T1_T2_jT3_P12ihipStream_tbPNSt15iterator_traitsISE_E10value_typeEPNSK_ISF_E10value_typeEPSG_NS1_7vsmem_tEENKUlT_SE_SF_SG_E_clIS8_S8_S9_S9_EESD_ST_SE_SF_SG_EUlST_E_NS1_11comp_targetILNS1_3genE8ELNS1_11target_archE1030ELNS1_3gpuE2ELNS1_3repE0EEENS1_48merge_mergepath_partition_config_static_selectorELNS0_4arch9wavefront6targetE1EEEvSF_
	.p2align	8
	.type	_ZN7rocprim17ROCPRIM_400000_NS6detail17trampoline_kernelINS0_14default_configENS1_38merge_sort_block_merge_config_selectorItNS0_10empty_typeEEEZZNS1_27merge_sort_block_merge_implIS3_PtPS5_jNS1_19radix_merge_compareILb1ELb1EtNS0_19identity_decomposerEEEEE10hipError_tT0_T1_T2_jT3_P12ihipStream_tbPNSt15iterator_traitsISE_E10value_typeEPNSK_ISF_E10value_typeEPSG_NS1_7vsmem_tEENKUlT_SE_SF_SG_E_clIS8_S8_S9_S9_EESD_ST_SE_SF_SG_EUlST_E_NS1_11comp_targetILNS1_3genE8ELNS1_11target_archE1030ELNS1_3gpuE2ELNS1_3repE0EEENS1_48merge_mergepath_partition_config_static_selectorELNS0_4arch9wavefront6targetE1EEEvSF_,@function
_ZN7rocprim17ROCPRIM_400000_NS6detail17trampoline_kernelINS0_14default_configENS1_38merge_sort_block_merge_config_selectorItNS0_10empty_typeEEEZZNS1_27merge_sort_block_merge_implIS3_PtPS5_jNS1_19radix_merge_compareILb1ELb1EtNS0_19identity_decomposerEEEEE10hipError_tT0_T1_T2_jT3_P12ihipStream_tbPNSt15iterator_traitsISE_E10value_typeEPNSK_ISF_E10value_typeEPSG_NS1_7vsmem_tEENKUlT_SE_SF_SG_E_clIS8_S8_S9_S9_EESD_ST_SE_SF_SG_EUlST_E_NS1_11comp_targetILNS1_3genE8ELNS1_11target_archE1030ELNS1_3gpuE2ELNS1_3repE0EEENS1_48merge_mergepath_partition_config_static_selectorELNS0_4arch9wavefront6targetE1EEEvSF_: ; @_ZN7rocprim17ROCPRIM_400000_NS6detail17trampoline_kernelINS0_14default_configENS1_38merge_sort_block_merge_config_selectorItNS0_10empty_typeEEEZZNS1_27merge_sort_block_merge_implIS3_PtPS5_jNS1_19radix_merge_compareILb1ELb1EtNS0_19identity_decomposerEEEEE10hipError_tT0_T1_T2_jT3_P12ihipStream_tbPNSt15iterator_traitsISE_E10value_typeEPNSK_ISF_E10value_typeEPSG_NS1_7vsmem_tEENKUlT_SE_SF_SG_E_clIS8_S8_S9_S9_EESD_ST_SE_SF_SG_EUlST_E_NS1_11comp_targetILNS1_3genE8ELNS1_11target_archE1030ELNS1_3gpuE2ELNS1_3repE0EEENS1_48merge_mergepath_partition_config_static_selectorELNS0_4arch9wavefront6targetE1EEEvSF_
; %bb.0:
	.section	.rodata,"a",@progbits
	.p2align	6, 0x0
	.amdhsa_kernel _ZN7rocprim17ROCPRIM_400000_NS6detail17trampoline_kernelINS0_14default_configENS1_38merge_sort_block_merge_config_selectorItNS0_10empty_typeEEEZZNS1_27merge_sort_block_merge_implIS3_PtPS5_jNS1_19radix_merge_compareILb1ELb1EtNS0_19identity_decomposerEEEEE10hipError_tT0_T1_T2_jT3_P12ihipStream_tbPNSt15iterator_traitsISE_E10value_typeEPNSK_ISF_E10value_typeEPSG_NS1_7vsmem_tEENKUlT_SE_SF_SG_E_clIS8_S8_S9_S9_EESD_ST_SE_SF_SG_EUlST_E_NS1_11comp_targetILNS1_3genE8ELNS1_11target_archE1030ELNS1_3gpuE2ELNS1_3repE0EEENS1_48merge_mergepath_partition_config_static_selectorELNS0_4arch9wavefront6targetE1EEEvSF_
		.amdhsa_group_segment_fixed_size 0
		.amdhsa_private_segment_fixed_size 0
		.amdhsa_kernarg_size 40
		.amdhsa_user_sgpr_count 6
		.amdhsa_user_sgpr_private_segment_buffer 1
		.amdhsa_user_sgpr_dispatch_ptr 0
		.amdhsa_user_sgpr_queue_ptr 0
		.amdhsa_user_sgpr_kernarg_segment_ptr 1
		.amdhsa_user_sgpr_dispatch_id 0
		.amdhsa_user_sgpr_flat_scratch_init 0
		.amdhsa_user_sgpr_kernarg_preload_length 0
		.amdhsa_user_sgpr_kernarg_preload_offset 0
		.amdhsa_user_sgpr_private_segment_size 0
		.amdhsa_uses_dynamic_stack 0
		.amdhsa_system_sgpr_private_segment_wavefront_offset 0
		.amdhsa_system_sgpr_workgroup_id_x 1
		.amdhsa_system_sgpr_workgroup_id_y 0
		.amdhsa_system_sgpr_workgroup_id_z 0
		.amdhsa_system_sgpr_workgroup_info 0
		.amdhsa_system_vgpr_workitem_id 0
		.amdhsa_next_free_vgpr 1
		.amdhsa_next_free_sgpr 0
		.amdhsa_accum_offset 4
		.amdhsa_reserve_vcc 0
		.amdhsa_reserve_flat_scratch 0
		.amdhsa_float_round_mode_32 0
		.amdhsa_float_round_mode_16_64 0
		.amdhsa_float_denorm_mode_32 3
		.amdhsa_float_denorm_mode_16_64 3
		.amdhsa_dx10_clamp 1
		.amdhsa_ieee_mode 1
		.amdhsa_fp16_overflow 0
		.amdhsa_tg_split 0
		.amdhsa_exception_fp_ieee_invalid_op 0
		.amdhsa_exception_fp_denorm_src 0
		.amdhsa_exception_fp_ieee_div_zero 0
		.amdhsa_exception_fp_ieee_overflow 0
		.amdhsa_exception_fp_ieee_underflow 0
		.amdhsa_exception_fp_ieee_inexact 0
		.amdhsa_exception_int_div_zero 0
	.end_amdhsa_kernel
	.section	.text._ZN7rocprim17ROCPRIM_400000_NS6detail17trampoline_kernelINS0_14default_configENS1_38merge_sort_block_merge_config_selectorItNS0_10empty_typeEEEZZNS1_27merge_sort_block_merge_implIS3_PtPS5_jNS1_19radix_merge_compareILb1ELb1EtNS0_19identity_decomposerEEEEE10hipError_tT0_T1_T2_jT3_P12ihipStream_tbPNSt15iterator_traitsISE_E10value_typeEPNSK_ISF_E10value_typeEPSG_NS1_7vsmem_tEENKUlT_SE_SF_SG_E_clIS8_S8_S9_S9_EESD_ST_SE_SF_SG_EUlST_E_NS1_11comp_targetILNS1_3genE8ELNS1_11target_archE1030ELNS1_3gpuE2ELNS1_3repE0EEENS1_48merge_mergepath_partition_config_static_selectorELNS0_4arch9wavefront6targetE1EEEvSF_,"axG",@progbits,_ZN7rocprim17ROCPRIM_400000_NS6detail17trampoline_kernelINS0_14default_configENS1_38merge_sort_block_merge_config_selectorItNS0_10empty_typeEEEZZNS1_27merge_sort_block_merge_implIS3_PtPS5_jNS1_19radix_merge_compareILb1ELb1EtNS0_19identity_decomposerEEEEE10hipError_tT0_T1_T2_jT3_P12ihipStream_tbPNSt15iterator_traitsISE_E10value_typeEPNSK_ISF_E10value_typeEPSG_NS1_7vsmem_tEENKUlT_SE_SF_SG_E_clIS8_S8_S9_S9_EESD_ST_SE_SF_SG_EUlST_E_NS1_11comp_targetILNS1_3genE8ELNS1_11target_archE1030ELNS1_3gpuE2ELNS1_3repE0EEENS1_48merge_mergepath_partition_config_static_selectorELNS0_4arch9wavefront6targetE1EEEvSF_,comdat
.Lfunc_end1884:
	.size	_ZN7rocprim17ROCPRIM_400000_NS6detail17trampoline_kernelINS0_14default_configENS1_38merge_sort_block_merge_config_selectorItNS0_10empty_typeEEEZZNS1_27merge_sort_block_merge_implIS3_PtPS5_jNS1_19radix_merge_compareILb1ELb1EtNS0_19identity_decomposerEEEEE10hipError_tT0_T1_T2_jT3_P12ihipStream_tbPNSt15iterator_traitsISE_E10value_typeEPNSK_ISF_E10value_typeEPSG_NS1_7vsmem_tEENKUlT_SE_SF_SG_E_clIS8_S8_S9_S9_EESD_ST_SE_SF_SG_EUlST_E_NS1_11comp_targetILNS1_3genE8ELNS1_11target_archE1030ELNS1_3gpuE2ELNS1_3repE0EEENS1_48merge_mergepath_partition_config_static_selectorELNS0_4arch9wavefront6targetE1EEEvSF_, .Lfunc_end1884-_ZN7rocprim17ROCPRIM_400000_NS6detail17trampoline_kernelINS0_14default_configENS1_38merge_sort_block_merge_config_selectorItNS0_10empty_typeEEEZZNS1_27merge_sort_block_merge_implIS3_PtPS5_jNS1_19radix_merge_compareILb1ELb1EtNS0_19identity_decomposerEEEEE10hipError_tT0_T1_T2_jT3_P12ihipStream_tbPNSt15iterator_traitsISE_E10value_typeEPNSK_ISF_E10value_typeEPSG_NS1_7vsmem_tEENKUlT_SE_SF_SG_E_clIS8_S8_S9_S9_EESD_ST_SE_SF_SG_EUlST_E_NS1_11comp_targetILNS1_3genE8ELNS1_11target_archE1030ELNS1_3gpuE2ELNS1_3repE0EEENS1_48merge_mergepath_partition_config_static_selectorELNS0_4arch9wavefront6targetE1EEEvSF_
                                        ; -- End function
	.section	.AMDGPU.csdata,"",@progbits
; Kernel info:
; codeLenInByte = 0
; NumSgprs: 4
; NumVgprs: 0
; NumAgprs: 0
; TotalNumVgprs: 0
; ScratchSize: 0
; MemoryBound: 0
; FloatMode: 240
; IeeeMode: 1
; LDSByteSize: 0 bytes/workgroup (compile time only)
; SGPRBlocks: 0
; VGPRBlocks: 0
; NumSGPRsForWavesPerEU: 4
; NumVGPRsForWavesPerEU: 1
; AccumOffset: 4
; Occupancy: 8
; WaveLimiterHint : 0
; COMPUTE_PGM_RSRC2:SCRATCH_EN: 0
; COMPUTE_PGM_RSRC2:USER_SGPR: 6
; COMPUTE_PGM_RSRC2:TRAP_HANDLER: 0
; COMPUTE_PGM_RSRC2:TGID_X_EN: 1
; COMPUTE_PGM_RSRC2:TGID_Y_EN: 0
; COMPUTE_PGM_RSRC2:TGID_Z_EN: 0
; COMPUTE_PGM_RSRC2:TIDIG_COMP_CNT: 0
; COMPUTE_PGM_RSRC3_GFX90A:ACCUM_OFFSET: 0
; COMPUTE_PGM_RSRC3_GFX90A:TG_SPLIT: 0
	.section	.text._ZN7rocprim17ROCPRIM_400000_NS6detail17trampoline_kernelINS0_14default_configENS1_38merge_sort_block_merge_config_selectorItNS0_10empty_typeEEEZZNS1_27merge_sort_block_merge_implIS3_PtPS5_jNS1_19radix_merge_compareILb1ELb1EtNS0_19identity_decomposerEEEEE10hipError_tT0_T1_T2_jT3_P12ihipStream_tbPNSt15iterator_traitsISE_E10value_typeEPNSK_ISF_E10value_typeEPSG_NS1_7vsmem_tEENKUlT_SE_SF_SG_E_clIS8_S8_S9_S9_EESD_ST_SE_SF_SG_EUlST_E0_NS1_11comp_targetILNS1_3genE0ELNS1_11target_archE4294967295ELNS1_3gpuE0ELNS1_3repE0EEENS1_38merge_mergepath_config_static_selectorELNS0_4arch9wavefront6targetE1EEEvSF_,"axG",@progbits,_ZN7rocprim17ROCPRIM_400000_NS6detail17trampoline_kernelINS0_14default_configENS1_38merge_sort_block_merge_config_selectorItNS0_10empty_typeEEEZZNS1_27merge_sort_block_merge_implIS3_PtPS5_jNS1_19radix_merge_compareILb1ELb1EtNS0_19identity_decomposerEEEEE10hipError_tT0_T1_T2_jT3_P12ihipStream_tbPNSt15iterator_traitsISE_E10value_typeEPNSK_ISF_E10value_typeEPSG_NS1_7vsmem_tEENKUlT_SE_SF_SG_E_clIS8_S8_S9_S9_EESD_ST_SE_SF_SG_EUlST_E0_NS1_11comp_targetILNS1_3genE0ELNS1_11target_archE4294967295ELNS1_3gpuE0ELNS1_3repE0EEENS1_38merge_mergepath_config_static_selectorELNS0_4arch9wavefront6targetE1EEEvSF_,comdat
	.protected	_ZN7rocprim17ROCPRIM_400000_NS6detail17trampoline_kernelINS0_14default_configENS1_38merge_sort_block_merge_config_selectorItNS0_10empty_typeEEEZZNS1_27merge_sort_block_merge_implIS3_PtPS5_jNS1_19radix_merge_compareILb1ELb1EtNS0_19identity_decomposerEEEEE10hipError_tT0_T1_T2_jT3_P12ihipStream_tbPNSt15iterator_traitsISE_E10value_typeEPNSK_ISF_E10value_typeEPSG_NS1_7vsmem_tEENKUlT_SE_SF_SG_E_clIS8_S8_S9_S9_EESD_ST_SE_SF_SG_EUlST_E0_NS1_11comp_targetILNS1_3genE0ELNS1_11target_archE4294967295ELNS1_3gpuE0ELNS1_3repE0EEENS1_38merge_mergepath_config_static_selectorELNS0_4arch9wavefront6targetE1EEEvSF_ ; -- Begin function _ZN7rocprim17ROCPRIM_400000_NS6detail17trampoline_kernelINS0_14default_configENS1_38merge_sort_block_merge_config_selectorItNS0_10empty_typeEEEZZNS1_27merge_sort_block_merge_implIS3_PtPS5_jNS1_19radix_merge_compareILb1ELb1EtNS0_19identity_decomposerEEEEE10hipError_tT0_T1_T2_jT3_P12ihipStream_tbPNSt15iterator_traitsISE_E10value_typeEPNSK_ISF_E10value_typeEPSG_NS1_7vsmem_tEENKUlT_SE_SF_SG_E_clIS8_S8_S9_S9_EESD_ST_SE_SF_SG_EUlST_E0_NS1_11comp_targetILNS1_3genE0ELNS1_11target_archE4294967295ELNS1_3gpuE0ELNS1_3repE0EEENS1_38merge_mergepath_config_static_selectorELNS0_4arch9wavefront6targetE1EEEvSF_
	.globl	_ZN7rocprim17ROCPRIM_400000_NS6detail17trampoline_kernelINS0_14default_configENS1_38merge_sort_block_merge_config_selectorItNS0_10empty_typeEEEZZNS1_27merge_sort_block_merge_implIS3_PtPS5_jNS1_19radix_merge_compareILb1ELb1EtNS0_19identity_decomposerEEEEE10hipError_tT0_T1_T2_jT3_P12ihipStream_tbPNSt15iterator_traitsISE_E10value_typeEPNSK_ISF_E10value_typeEPSG_NS1_7vsmem_tEENKUlT_SE_SF_SG_E_clIS8_S8_S9_S9_EESD_ST_SE_SF_SG_EUlST_E0_NS1_11comp_targetILNS1_3genE0ELNS1_11target_archE4294967295ELNS1_3gpuE0ELNS1_3repE0EEENS1_38merge_mergepath_config_static_selectorELNS0_4arch9wavefront6targetE1EEEvSF_
	.p2align	8
	.type	_ZN7rocprim17ROCPRIM_400000_NS6detail17trampoline_kernelINS0_14default_configENS1_38merge_sort_block_merge_config_selectorItNS0_10empty_typeEEEZZNS1_27merge_sort_block_merge_implIS3_PtPS5_jNS1_19radix_merge_compareILb1ELb1EtNS0_19identity_decomposerEEEEE10hipError_tT0_T1_T2_jT3_P12ihipStream_tbPNSt15iterator_traitsISE_E10value_typeEPNSK_ISF_E10value_typeEPSG_NS1_7vsmem_tEENKUlT_SE_SF_SG_E_clIS8_S8_S9_S9_EESD_ST_SE_SF_SG_EUlST_E0_NS1_11comp_targetILNS1_3genE0ELNS1_11target_archE4294967295ELNS1_3gpuE0ELNS1_3repE0EEENS1_38merge_mergepath_config_static_selectorELNS0_4arch9wavefront6targetE1EEEvSF_,@function
_ZN7rocprim17ROCPRIM_400000_NS6detail17trampoline_kernelINS0_14default_configENS1_38merge_sort_block_merge_config_selectorItNS0_10empty_typeEEEZZNS1_27merge_sort_block_merge_implIS3_PtPS5_jNS1_19radix_merge_compareILb1ELb1EtNS0_19identity_decomposerEEEEE10hipError_tT0_T1_T2_jT3_P12ihipStream_tbPNSt15iterator_traitsISE_E10value_typeEPNSK_ISF_E10value_typeEPSG_NS1_7vsmem_tEENKUlT_SE_SF_SG_E_clIS8_S8_S9_S9_EESD_ST_SE_SF_SG_EUlST_E0_NS1_11comp_targetILNS1_3genE0ELNS1_11target_archE4294967295ELNS1_3gpuE0ELNS1_3repE0EEENS1_38merge_mergepath_config_static_selectorELNS0_4arch9wavefront6targetE1EEEvSF_: ; @_ZN7rocprim17ROCPRIM_400000_NS6detail17trampoline_kernelINS0_14default_configENS1_38merge_sort_block_merge_config_selectorItNS0_10empty_typeEEEZZNS1_27merge_sort_block_merge_implIS3_PtPS5_jNS1_19radix_merge_compareILb1ELb1EtNS0_19identity_decomposerEEEEE10hipError_tT0_T1_T2_jT3_P12ihipStream_tbPNSt15iterator_traitsISE_E10value_typeEPNSK_ISF_E10value_typeEPSG_NS1_7vsmem_tEENKUlT_SE_SF_SG_E_clIS8_S8_S9_S9_EESD_ST_SE_SF_SG_EUlST_E0_NS1_11comp_targetILNS1_3genE0ELNS1_11target_archE4294967295ELNS1_3gpuE0ELNS1_3repE0EEENS1_38merge_mergepath_config_static_selectorELNS0_4arch9wavefront6targetE1EEEvSF_
; %bb.0:
	.section	.rodata,"a",@progbits
	.p2align	6, 0x0
	.amdhsa_kernel _ZN7rocprim17ROCPRIM_400000_NS6detail17trampoline_kernelINS0_14default_configENS1_38merge_sort_block_merge_config_selectorItNS0_10empty_typeEEEZZNS1_27merge_sort_block_merge_implIS3_PtPS5_jNS1_19radix_merge_compareILb1ELb1EtNS0_19identity_decomposerEEEEE10hipError_tT0_T1_T2_jT3_P12ihipStream_tbPNSt15iterator_traitsISE_E10value_typeEPNSK_ISF_E10value_typeEPSG_NS1_7vsmem_tEENKUlT_SE_SF_SG_E_clIS8_S8_S9_S9_EESD_ST_SE_SF_SG_EUlST_E0_NS1_11comp_targetILNS1_3genE0ELNS1_11target_archE4294967295ELNS1_3gpuE0ELNS1_3repE0EEENS1_38merge_mergepath_config_static_selectorELNS0_4arch9wavefront6targetE1EEEvSF_
		.amdhsa_group_segment_fixed_size 0
		.amdhsa_private_segment_fixed_size 0
		.amdhsa_kernarg_size 64
		.amdhsa_user_sgpr_count 6
		.amdhsa_user_sgpr_private_segment_buffer 1
		.amdhsa_user_sgpr_dispatch_ptr 0
		.amdhsa_user_sgpr_queue_ptr 0
		.amdhsa_user_sgpr_kernarg_segment_ptr 1
		.amdhsa_user_sgpr_dispatch_id 0
		.amdhsa_user_sgpr_flat_scratch_init 0
		.amdhsa_user_sgpr_kernarg_preload_length 0
		.amdhsa_user_sgpr_kernarg_preload_offset 0
		.amdhsa_user_sgpr_private_segment_size 0
		.amdhsa_uses_dynamic_stack 0
		.amdhsa_system_sgpr_private_segment_wavefront_offset 0
		.amdhsa_system_sgpr_workgroup_id_x 1
		.amdhsa_system_sgpr_workgroup_id_y 0
		.amdhsa_system_sgpr_workgroup_id_z 0
		.amdhsa_system_sgpr_workgroup_info 0
		.amdhsa_system_vgpr_workitem_id 0
		.amdhsa_next_free_vgpr 1
		.amdhsa_next_free_sgpr 0
		.amdhsa_accum_offset 4
		.amdhsa_reserve_vcc 0
		.amdhsa_reserve_flat_scratch 0
		.amdhsa_float_round_mode_32 0
		.amdhsa_float_round_mode_16_64 0
		.amdhsa_float_denorm_mode_32 3
		.amdhsa_float_denorm_mode_16_64 3
		.amdhsa_dx10_clamp 1
		.amdhsa_ieee_mode 1
		.amdhsa_fp16_overflow 0
		.amdhsa_tg_split 0
		.amdhsa_exception_fp_ieee_invalid_op 0
		.amdhsa_exception_fp_denorm_src 0
		.amdhsa_exception_fp_ieee_div_zero 0
		.amdhsa_exception_fp_ieee_overflow 0
		.amdhsa_exception_fp_ieee_underflow 0
		.amdhsa_exception_fp_ieee_inexact 0
		.amdhsa_exception_int_div_zero 0
	.end_amdhsa_kernel
	.section	.text._ZN7rocprim17ROCPRIM_400000_NS6detail17trampoline_kernelINS0_14default_configENS1_38merge_sort_block_merge_config_selectorItNS0_10empty_typeEEEZZNS1_27merge_sort_block_merge_implIS3_PtPS5_jNS1_19radix_merge_compareILb1ELb1EtNS0_19identity_decomposerEEEEE10hipError_tT0_T1_T2_jT3_P12ihipStream_tbPNSt15iterator_traitsISE_E10value_typeEPNSK_ISF_E10value_typeEPSG_NS1_7vsmem_tEENKUlT_SE_SF_SG_E_clIS8_S8_S9_S9_EESD_ST_SE_SF_SG_EUlST_E0_NS1_11comp_targetILNS1_3genE0ELNS1_11target_archE4294967295ELNS1_3gpuE0ELNS1_3repE0EEENS1_38merge_mergepath_config_static_selectorELNS0_4arch9wavefront6targetE1EEEvSF_,"axG",@progbits,_ZN7rocprim17ROCPRIM_400000_NS6detail17trampoline_kernelINS0_14default_configENS1_38merge_sort_block_merge_config_selectorItNS0_10empty_typeEEEZZNS1_27merge_sort_block_merge_implIS3_PtPS5_jNS1_19radix_merge_compareILb1ELb1EtNS0_19identity_decomposerEEEEE10hipError_tT0_T1_T2_jT3_P12ihipStream_tbPNSt15iterator_traitsISE_E10value_typeEPNSK_ISF_E10value_typeEPSG_NS1_7vsmem_tEENKUlT_SE_SF_SG_E_clIS8_S8_S9_S9_EESD_ST_SE_SF_SG_EUlST_E0_NS1_11comp_targetILNS1_3genE0ELNS1_11target_archE4294967295ELNS1_3gpuE0ELNS1_3repE0EEENS1_38merge_mergepath_config_static_selectorELNS0_4arch9wavefront6targetE1EEEvSF_,comdat
.Lfunc_end1885:
	.size	_ZN7rocprim17ROCPRIM_400000_NS6detail17trampoline_kernelINS0_14default_configENS1_38merge_sort_block_merge_config_selectorItNS0_10empty_typeEEEZZNS1_27merge_sort_block_merge_implIS3_PtPS5_jNS1_19radix_merge_compareILb1ELb1EtNS0_19identity_decomposerEEEEE10hipError_tT0_T1_T2_jT3_P12ihipStream_tbPNSt15iterator_traitsISE_E10value_typeEPNSK_ISF_E10value_typeEPSG_NS1_7vsmem_tEENKUlT_SE_SF_SG_E_clIS8_S8_S9_S9_EESD_ST_SE_SF_SG_EUlST_E0_NS1_11comp_targetILNS1_3genE0ELNS1_11target_archE4294967295ELNS1_3gpuE0ELNS1_3repE0EEENS1_38merge_mergepath_config_static_selectorELNS0_4arch9wavefront6targetE1EEEvSF_, .Lfunc_end1885-_ZN7rocprim17ROCPRIM_400000_NS6detail17trampoline_kernelINS0_14default_configENS1_38merge_sort_block_merge_config_selectorItNS0_10empty_typeEEEZZNS1_27merge_sort_block_merge_implIS3_PtPS5_jNS1_19radix_merge_compareILb1ELb1EtNS0_19identity_decomposerEEEEE10hipError_tT0_T1_T2_jT3_P12ihipStream_tbPNSt15iterator_traitsISE_E10value_typeEPNSK_ISF_E10value_typeEPSG_NS1_7vsmem_tEENKUlT_SE_SF_SG_E_clIS8_S8_S9_S9_EESD_ST_SE_SF_SG_EUlST_E0_NS1_11comp_targetILNS1_3genE0ELNS1_11target_archE4294967295ELNS1_3gpuE0ELNS1_3repE0EEENS1_38merge_mergepath_config_static_selectorELNS0_4arch9wavefront6targetE1EEEvSF_
                                        ; -- End function
	.section	.AMDGPU.csdata,"",@progbits
; Kernel info:
; codeLenInByte = 0
; NumSgprs: 4
; NumVgprs: 0
; NumAgprs: 0
; TotalNumVgprs: 0
; ScratchSize: 0
; MemoryBound: 0
; FloatMode: 240
; IeeeMode: 1
; LDSByteSize: 0 bytes/workgroup (compile time only)
; SGPRBlocks: 0
; VGPRBlocks: 0
; NumSGPRsForWavesPerEU: 4
; NumVGPRsForWavesPerEU: 1
; AccumOffset: 4
; Occupancy: 8
; WaveLimiterHint : 0
; COMPUTE_PGM_RSRC2:SCRATCH_EN: 0
; COMPUTE_PGM_RSRC2:USER_SGPR: 6
; COMPUTE_PGM_RSRC2:TRAP_HANDLER: 0
; COMPUTE_PGM_RSRC2:TGID_X_EN: 1
; COMPUTE_PGM_RSRC2:TGID_Y_EN: 0
; COMPUTE_PGM_RSRC2:TGID_Z_EN: 0
; COMPUTE_PGM_RSRC2:TIDIG_COMP_CNT: 0
; COMPUTE_PGM_RSRC3_GFX90A:ACCUM_OFFSET: 0
; COMPUTE_PGM_RSRC3_GFX90A:TG_SPLIT: 0
	.section	.text._ZN7rocprim17ROCPRIM_400000_NS6detail17trampoline_kernelINS0_14default_configENS1_38merge_sort_block_merge_config_selectorItNS0_10empty_typeEEEZZNS1_27merge_sort_block_merge_implIS3_PtPS5_jNS1_19radix_merge_compareILb1ELb1EtNS0_19identity_decomposerEEEEE10hipError_tT0_T1_T2_jT3_P12ihipStream_tbPNSt15iterator_traitsISE_E10value_typeEPNSK_ISF_E10value_typeEPSG_NS1_7vsmem_tEENKUlT_SE_SF_SG_E_clIS8_S8_S9_S9_EESD_ST_SE_SF_SG_EUlST_E0_NS1_11comp_targetILNS1_3genE10ELNS1_11target_archE1201ELNS1_3gpuE5ELNS1_3repE0EEENS1_38merge_mergepath_config_static_selectorELNS0_4arch9wavefront6targetE1EEEvSF_,"axG",@progbits,_ZN7rocprim17ROCPRIM_400000_NS6detail17trampoline_kernelINS0_14default_configENS1_38merge_sort_block_merge_config_selectorItNS0_10empty_typeEEEZZNS1_27merge_sort_block_merge_implIS3_PtPS5_jNS1_19radix_merge_compareILb1ELb1EtNS0_19identity_decomposerEEEEE10hipError_tT0_T1_T2_jT3_P12ihipStream_tbPNSt15iterator_traitsISE_E10value_typeEPNSK_ISF_E10value_typeEPSG_NS1_7vsmem_tEENKUlT_SE_SF_SG_E_clIS8_S8_S9_S9_EESD_ST_SE_SF_SG_EUlST_E0_NS1_11comp_targetILNS1_3genE10ELNS1_11target_archE1201ELNS1_3gpuE5ELNS1_3repE0EEENS1_38merge_mergepath_config_static_selectorELNS0_4arch9wavefront6targetE1EEEvSF_,comdat
	.protected	_ZN7rocprim17ROCPRIM_400000_NS6detail17trampoline_kernelINS0_14default_configENS1_38merge_sort_block_merge_config_selectorItNS0_10empty_typeEEEZZNS1_27merge_sort_block_merge_implIS3_PtPS5_jNS1_19radix_merge_compareILb1ELb1EtNS0_19identity_decomposerEEEEE10hipError_tT0_T1_T2_jT3_P12ihipStream_tbPNSt15iterator_traitsISE_E10value_typeEPNSK_ISF_E10value_typeEPSG_NS1_7vsmem_tEENKUlT_SE_SF_SG_E_clIS8_S8_S9_S9_EESD_ST_SE_SF_SG_EUlST_E0_NS1_11comp_targetILNS1_3genE10ELNS1_11target_archE1201ELNS1_3gpuE5ELNS1_3repE0EEENS1_38merge_mergepath_config_static_selectorELNS0_4arch9wavefront6targetE1EEEvSF_ ; -- Begin function _ZN7rocprim17ROCPRIM_400000_NS6detail17trampoline_kernelINS0_14default_configENS1_38merge_sort_block_merge_config_selectorItNS0_10empty_typeEEEZZNS1_27merge_sort_block_merge_implIS3_PtPS5_jNS1_19radix_merge_compareILb1ELb1EtNS0_19identity_decomposerEEEEE10hipError_tT0_T1_T2_jT3_P12ihipStream_tbPNSt15iterator_traitsISE_E10value_typeEPNSK_ISF_E10value_typeEPSG_NS1_7vsmem_tEENKUlT_SE_SF_SG_E_clIS8_S8_S9_S9_EESD_ST_SE_SF_SG_EUlST_E0_NS1_11comp_targetILNS1_3genE10ELNS1_11target_archE1201ELNS1_3gpuE5ELNS1_3repE0EEENS1_38merge_mergepath_config_static_selectorELNS0_4arch9wavefront6targetE1EEEvSF_
	.globl	_ZN7rocprim17ROCPRIM_400000_NS6detail17trampoline_kernelINS0_14default_configENS1_38merge_sort_block_merge_config_selectorItNS0_10empty_typeEEEZZNS1_27merge_sort_block_merge_implIS3_PtPS5_jNS1_19radix_merge_compareILb1ELb1EtNS0_19identity_decomposerEEEEE10hipError_tT0_T1_T2_jT3_P12ihipStream_tbPNSt15iterator_traitsISE_E10value_typeEPNSK_ISF_E10value_typeEPSG_NS1_7vsmem_tEENKUlT_SE_SF_SG_E_clIS8_S8_S9_S9_EESD_ST_SE_SF_SG_EUlST_E0_NS1_11comp_targetILNS1_3genE10ELNS1_11target_archE1201ELNS1_3gpuE5ELNS1_3repE0EEENS1_38merge_mergepath_config_static_selectorELNS0_4arch9wavefront6targetE1EEEvSF_
	.p2align	8
	.type	_ZN7rocprim17ROCPRIM_400000_NS6detail17trampoline_kernelINS0_14default_configENS1_38merge_sort_block_merge_config_selectorItNS0_10empty_typeEEEZZNS1_27merge_sort_block_merge_implIS3_PtPS5_jNS1_19radix_merge_compareILb1ELb1EtNS0_19identity_decomposerEEEEE10hipError_tT0_T1_T2_jT3_P12ihipStream_tbPNSt15iterator_traitsISE_E10value_typeEPNSK_ISF_E10value_typeEPSG_NS1_7vsmem_tEENKUlT_SE_SF_SG_E_clIS8_S8_S9_S9_EESD_ST_SE_SF_SG_EUlST_E0_NS1_11comp_targetILNS1_3genE10ELNS1_11target_archE1201ELNS1_3gpuE5ELNS1_3repE0EEENS1_38merge_mergepath_config_static_selectorELNS0_4arch9wavefront6targetE1EEEvSF_,@function
_ZN7rocprim17ROCPRIM_400000_NS6detail17trampoline_kernelINS0_14default_configENS1_38merge_sort_block_merge_config_selectorItNS0_10empty_typeEEEZZNS1_27merge_sort_block_merge_implIS3_PtPS5_jNS1_19radix_merge_compareILb1ELb1EtNS0_19identity_decomposerEEEEE10hipError_tT0_T1_T2_jT3_P12ihipStream_tbPNSt15iterator_traitsISE_E10value_typeEPNSK_ISF_E10value_typeEPSG_NS1_7vsmem_tEENKUlT_SE_SF_SG_E_clIS8_S8_S9_S9_EESD_ST_SE_SF_SG_EUlST_E0_NS1_11comp_targetILNS1_3genE10ELNS1_11target_archE1201ELNS1_3gpuE5ELNS1_3repE0EEENS1_38merge_mergepath_config_static_selectorELNS0_4arch9wavefront6targetE1EEEvSF_: ; @_ZN7rocprim17ROCPRIM_400000_NS6detail17trampoline_kernelINS0_14default_configENS1_38merge_sort_block_merge_config_selectorItNS0_10empty_typeEEEZZNS1_27merge_sort_block_merge_implIS3_PtPS5_jNS1_19radix_merge_compareILb1ELb1EtNS0_19identity_decomposerEEEEE10hipError_tT0_T1_T2_jT3_P12ihipStream_tbPNSt15iterator_traitsISE_E10value_typeEPNSK_ISF_E10value_typeEPSG_NS1_7vsmem_tEENKUlT_SE_SF_SG_E_clIS8_S8_S9_S9_EESD_ST_SE_SF_SG_EUlST_E0_NS1_11comp_targetILNS1_3genE10ELNS1_11target_archE1201ELNS1_3gpuE5ELNS1_3repE0EEENS1_38merge_mergepath_config_static_selectorELNS0_4arch9wavefront6targetE1EEEvSF_
; %bb.0:
	.section	.rodata,"a",@progbits
	.p2align	6, 0x0
	.amdhsa_kernel _ZN7rocprim17ROCPRIM_400000_NS6detail17trampoline_kernelINS0_14default_configENS1_38merge_sort_block_merge_config_selectorItNS0_10empty_typeEEEZZNS1_27merge_sort_block_merge_implIS3_PtPS5_jNS1_19radix_merge_compareILb1ELb1EtNS0_19identity_decomposerEEEEE10hipError_tT0_T1_T2_jT3_P12ihipStream_tbPNSt15iterator_traitsISE_E10value_typeEPNSK_ISF_E10value_typeEPSG_NS1_7vsmem_tEENKUlT_SE_SF_SG_E_clIS8_S8_S9_S9_EESD_ST_SE_SF_SG_EUlST_E0_NS1_11comp_targetILNS1_3genE10ELNS1_11target_archE1201ELNS1_3gpuE5ELNS1_3repE0EEENS1_38merge_mergepath_config_static_selectorELNS0_4arch9wavefront6targetE1EEEvSF_
		.amdhsa_group_segment_fixed_size 0
		.amdhsa_private_segment_fixed_size 0
		.amdhsa_kernarg_size 64
		.amdhsa_user_sgpr_count 6
		.amdhsa_user_sgpr_private_segment_buffer 1
		.amdhsa_user_sgpr_dispatch_ptr 0
		.amdhsa_user_sgpr_queue_ptr 0
		.amdhsa_user_sgpr_kernarg_segment_ptr 1
		.amdhsa_user_sgpr_dispatch_id 0
		.amdhsa_user_sgpr_flat_scratch_init 0
		.amdhsa_user_sgpr_kernarg_preload_length 0
		.amdhsa_user_sgpr_kernarg_preload_offset 0
		.amdhsa_user_sgpr_private_segment_size 0
		.amdhsa_uses_dynamic_stack 0
		.amdhsa_system_sgpr_private_segment_wavefront_offset 0
		.amdhsa_system_sgpr_workgroup_id_x 1
		.amdhsa_system_sgpr_workgroup_id_y 0
		.amdhsa_system_sgpr_workgroup_id_z 0
		.amdhsa_system_sgpr_workgroup_info 0
		.amdhsa_system_vgpr_workitem_id 0
		.amdhsa_next_free_vgpr 1
		.amdhsa_next_free_sgpr 0
		.amdhsa_accum_offset 4
		.amdhsa_reserve_vcc 0
		.amdhsa_reserve_flat_scratch 0
		.amdhsa_float_round_mode_32 0
		.amdhsa_float_round_mode_16_64 0
		.amdhsa_float_denorm_mode_32 3
		.amdhsa_float_denorm_mode_16_64 3
		.amdhsa_dx10_clamp 1
		.amdhsa_ieee_mode 1
		.amdhsa_fp16_overflow 0
		.amdhsa_tg_split 0
		.amdhsa_exception_fp_ieee_invalid_op 0
		.amdhsa_exception_fp_denorm_src 0
		.amdhsa_exception_fp_ieee_div_zero 0
		.amdhsa_exception_fp_ieee_overflow 0
		.amdhsa_exception_fp_ieee_underflow 0
		.amdhsa_exception_fp_ieee_inexact 0
		.amdhsa_exception_int_div_zero 0
	.end_amdhsa_kernel
	.section	.text._ZN7rocprim17ROCPRIM_400000_NS6detail17trampoline_kernelINS0_14default_configENS1_38merge_sort_block_merge_config_selectorItNS0_10empty_typeEEEZZNS1_27merge_sort_block_merge_implIS3_PtPS5_jNS1_19radix_merge_compareILb1ELb1EtNS0_19identity_decomposerEEEEE10hipError_tT0_T1_T2_jT3_P12ihipStream_tbPNSt15iterator_traitsISE_E10value_typeEPNSK_ISF_E10value_typeEPSG_NS1_7vsmem_tEENKUlT_SE_SF_SG_E_clIS8_S8_S9_S9_EESD_ST_SE_SF_SG_EUlST_E0_NS1_11comp_targetILNS1_3genE10ELNS1_11target_archE1201ELNS1_3gpuE5ELNS1_3repE0EEENS1_38merge_mergepath_config_static_selectorELNS0_4arch9wavefront6targetE1EEEvSF_,"axG",@progbits,_ZN7rocprim17ROCPRIM_400000_NS6detail17trampoline_kernelINS0_14default_configENS1_38merge_sort_block_merge_config_selectorItNS0_10empty_typeEEEZZNS1_27merge_sort_block_merge_implIS3_PtPS5_jNS1_19radix_merge_compareILb1ELb1EtNS0_19identity_decomposerEEEEE10hipError_tT0_T1_T2_jT3_P12ihipStream_tbPNSt15iterator_traitsISE_E10value_typeEPNSK_ISF_E10value_typeEPSG_NS1_7vsmem_tEENKUlT_SE_SF_SG_E_clIS8_S8_S9_S9_EESD_ST_SE_SF_SG_EUlST_E0_NS1_11comp_targetILNS1_3genE10ELNS1_11target_archE1201ELNS1_3gpuE5ELNS1_3repE0EEENS1_38merge_mergepath_config_static_selectorELNS0_4arch9wavefront6targetE1EEEvSF_,comdat
.Lfunc_end1886:
	.size	_ZN7rocprim17ROCPRIM_400000_NS6detail17trampoline_kernelINS0_14default_configENS1_38merge_sort_block_merge_config_selectorItNS0_10empty_typeEEEZZNS1_27merge_sort_block_merge_implIS3_PtPS5_jNS1_19radix_merge_compareILb1ELb1EtNS0_19identity_decomposerEEEEE10hipError_tT0_T1_T2_jT3_P12ihipStream_tbPNSt15iterator_traitsISE_E10value_typeEPNSK_ISF_E10value_typeEPSG_NS1_7vsmem_tEENKUlT_SE_SF_SG_E_clIS8_S8_S9_S9_EESD_ST_SE_SF_SG_EUlST_E0_NS1_11comp_targetILNS1_3genE10ELNS1_11target_archE1201ELNS1_3gpuE5ELNS1_3repE0EEENS1_38merge_mergepath_config_static_selectorELNS0_4arch9wavefront6targetE1EEEvSF_, .Lfunc_end1886-_ZN7rocprim17ROCPRIM_400000_NS6detail17trampoline_kernelINS0_14default_configENS1_38merge_sort_block_merge_config_selectorItNS0_10empty_typeEEEZZNS1_27merge_sort_block_merge_implIS3_PtPS5_jNS1_19radix_merge_compareILb1ELb1EtNS0_19identity_decomposerEEEEE10hipError_tT0_T1_T2_jT3_P12ihipStream_tbPNSt15iterator_traitsISE_E10value_typeEPNSK_ISF_E10value_typeEPSG_NS1_7vsmem_tEENKUlT_SE_SF_SG_E_clIS8_S8_S9_S9_EESD_ST_SE_SF_SG_EUlST_E0_NS1_11comp_targetILNS1_3genE10ELNS1_11target_archE1201ELNS1_3gpuE5ELNS1_3repE0EEENS1_38merge_mergepath_config_static_selectorELNS0_4arch9wavefront6targetE1EEEvSF_
                                        ; -- End function
	.section	.AMDGPU.csdata,"",@progbits
; Kernel info:
; codeLenInByte = 0
; NumSgprs: 4
; NumVgprs: 0
; NumAgprs: 0
; TotalNumVgprs: 0
; ScratchSize: 0
; MemoryBound: 0
; FloatMode: 240
; IeeeMode: 1
; LDSByteSize: 0 bytes/workgroup (compile time only)
; SGPRBlocks: 0
; VGPRBlocks: 0
; NumSGPRsForWavesPerEU: 4
; NumVGPRsForWavesPerEU: 1
; AccumOffset: 4
; Occupancy: 8
; WaveLimiterHint : 0
; COMPUTE_PGM_RSRC2:SCRATCH_EN: 0
; COMPUTE_PGM_RSRC2:USER_SGPR: 6
; COMPUTE_PGM_RSRC2:TRAP_HANDLER: 0
; COMPUTE_PGM_RSRC2:TGID_X_EN: 1
; COMPUTE_PGM_RSRC2:TGID_Y_EN: 0
; COMPUTE_PGM_RSRC2:TGID_Z_EN: 0
; COMPUTE_PGM_RSRC2:TIDIG_COMP_CNT: 0
; COMPUTE_PGM_RSRC3_GFX90A:ACCUM_OFFSET: 0
; COMPUTE_PGM_RSRC3_GFX90A:TG_SPLIT: 0
	.section	.text._ZN7rocprim17ROCPRIM_400000_NS6detail17trampoline_kernelINS0_14default_configENS1_38merge_sort_block_merge_config_selectorItNS0_10empty_typeEEEZZNS1_27merge_sort_block_merge_implIS3_PtPS5_jNS1_19radix_merge_compareILb1ELb1EtNS0_19identity_decomposerEEEEE10hipError_tT0_T1_T2_jT3_P12ihipStream_tbPNSt15iterator_traitsISE_E10value_typeEPNSK_ISF_E10value_typeEPSG_NS1_7vsmem_tEENKUlT_SE_SF_SG_E_clIS8_S8_S9_S9_EESD_ST_SE_SF_SG_EUlST_E0_NS1_11comp_targetILNS1_3genE5ELNS1_11target_archE942ELNS1_3gpuE9ELNS1_3repE0EEENS1_38merge_mergepath_config_static_selectorELNS0_4arch9wavefront6targetE1EEEvSF_,"axG",@progbits,_ZN7rocprim17ROCPRIM_400000_NS6detail17trampoline_kernelINS0_14default_configENS1_38merge_sort_block_merge_config_selectorItNS0_10empty_typeEEEZZNS1_27merge_sort_block_merge_implIS3_PtPS5_jNS1_19radix_merge_compareILb1ELb1EtNS0_19identity_decomposerEEEEE10hipError_tT0_T1_T2_jT3_P12ihipStream_tbPNSt15iterator_traitsISE_E10value_typeEPNSK_ISF_E10value_typeEPSG_NS1_7vsmem_tEENKUlT_SE_SF_SG_E_clIS8_S8_S9_S9_EESD_ST_SE_SF_SG_EUlST_E0_NS1_11comp_targetILNS1_3genE5ELNS1_11target_archE942ELNS1_3gpuE9ELNS1_3repE0EEENS1_38merge_mergepath_config_static_selectorELNS0_4arch9wavefront6targetE1EEEvSF_,comdat
	.protected	_ZN7rocprim17ROCPRIM_400000_NS6detail17trampoline_kernelINS0_14default_configENS1_38merge_sort_block_merge_config_selectorItNS0_10empty_typeEEEZZNS1_27merge_sort_block_merge_implIS3_PtPS5_jNS1_19radix_merge_compareILb1ELb1EtNS0_19identity_decomposerEEEEE10hipError_tT0_T1_T2_jT3_P12ihipStream_tbPNSt15iterator_traitsISE_E10value_typeEPNSK_ISF_E10value_typeEPSG_NS1_7vsmem_tEENKUlT_SE_SF_SG_E_clIS8_S8_S9_S9_EESD_ST_SE_SF_SG_EUlST_E0_NS1_11comp_targetILNS1_3genE5ELNS1_11target_archE942ELNS1_3gpuE9ELNS1_3repE0EEENS1_38merge_mergepath_config_static_selectorELNS0_4arch9wavefront6targetE1EEEvSF_ ; -- Begin function _ZN7rocprim17ROCPRIM_400000_NS6detail17trampoline_kernelINS0_14default_configENS1_38merge_sort_block_merge_config_selectorItNS0_10empty_typeEEEZZNS1_27merge_sort_block_merge_implIS3_PtPS5_jNS1_19radix_merge_compareILb1ELb1EtNS0_19identity_decomposerEEEEE10hipError_tT0_T1_T2_jT3_P12ihipStream_tbPNSt15iterator_traitsISE_E10value_typeEPNSK_ISF_E10value_typeEPSG_NS1_7vsmem_tEENKUlT_SE_SF_SG_E_clIS8_S8_S9_S9_EESD_ST_SE_SF_SG_EUlST_E0_NS1_11comp_targetILNS1_3genE5ELNS1_11target_archE942ELNS1_3gpuE9ELNS1_3repE0EEENS1_38merge_mergepath_config_static_selectorELNS0_4arch9wavefront6targetE1EEEvSF_
	.globl	_ZN7rocprim17ROCPRIM_400000_NS6detail17trampoline_kernelINS0_14default_configENS1_38merge_sort_block_merge_config_selectorItNS0_10empty_typeEEEZZNS1_27merge_sort_block_merge_implIS3_PtPS5_jNS1_19radix_merge_compareILb1ELb1EtNS0_19identity_decomposerEEEEE10hipError_tT0_T1_T2_jT3_P12ihipStream_tbPNSt15iterator_traitsISE_E10value_typeEPNSK_ISF_E10value_typeEPSG_NS1_7vsmem_tEENKUlT_SE_SF_SG_E_clIS8_S8_S9_S9_EESD_ST_SE_SF_SG_EUlST_E0_NS1_11comp_targetILNS1_3genE5ELNS1_11target_archE942ELNS1_3gpuE9ELNS1_3repE0EEENS1_38merge_mergepath_config_static_selectorELNS0_4arch9wavefront6targetE1EEEvSF_
	.p2align	8
	.type	_ZN7rocprim17ROCPRIM_400000_NS6detail17trampoline_kernelINS0_14default_configENS1_38merge_sort_block_merge_config_selectorItNS0_10empty_typeEEEZZNS1_27merge_sort_block_merge_implIS3_PtPS5_jNS1_19radix_merge_compareILb1ELb1EtNS0_19identity_decomposerEEEEE10hipError_tT0_T1_T2_jT3_P12ihipStream_tbPNSt15iterator_traitsISE_E10value_typeEPNSK_ISF_E10value_typeEPSG_NS1_7vsmem_tEENKUlT_SE_SF_SG_E_clIS8_S8_S9_S9_EESD_ST_SE_SF_SG_EUlST_E0_NS1_11comp_targetILNS1_3genE5ELNS1_11target_archE942ELNS1_3gpuE9ELNS1_3repE0EEENS1_38merge_mergepath_config_static_selectorELNS0_4arch9wavefront6targetE1EEEvSF_,@function
_ZN7rocprim17ROCPRIM_400000_NS6detail17trampoline_kernelINS0_14default_configENS1_38merge_sort_block_merge_config_selectorItNS0_10empty_typeEEEZZNS1_27merge_sort_block_merge_implIS3_PtPS5_jNS1_19radix_merge_compareILb1ELb1EtNS0_19identity_decomposerEEEEE10hipError_tT0_T1_T2_jT3_P12ihipStream_tbPNSt15iterator_traitsISE_E10value_typeEPNSK_ISF_E10value_typeEPSG_NS1_7vsmem_tEENKUlT_SE_SF_SG_E_clIS8_S8_S9_S9_EESD_ST_SE_SF_SG_EUlST_E0_NS1_11comp_targetILNS1_3genE5ELNS1_11target_archE942ELNS1_3gpuE9ELNS1_3repE0EEENS1_38merge_mergepath_config_static_selectorELNS0_4arch9wavefront6targetE1EEEvSF_: ; @_ZN7rocprim17ROCPRIM_400000_NS6detail17trampoline_kernelINS0_14default_configENS1_38merge_sort_block_merge_config_selectorItNS0_10empty_typeEEEZZNS1_27merge_sort_block_merge_implIS3_PtPS5_jNS1_19radix_merge_compareILb1ELb1EtNS0_19identity_decomposerEEEEE10hipError_tT0_T1_T2_jT3_P12ihipStream_tbPNSt15iterator_traitsISE_E10value_typeEPNSK_ISF_E10value_typeEPSG_NS1_7vsmem_tEENKUlT_SE_SF_SG_E_clIS8_S8_S9_S9_EESD_ST_SE_SF_SG_EUlST_E0_NS1_11comp_targetILNS1_3genE5ELNS1_11target_archE942ELNS1_3gpuE9ELNS1_3repE0EEENS1_38merge_mergepath_config_static_selectorELNS0_4arch9wavefront6targetE1EEEvSF_
; %bb.0:
	.section	.rodata,"a",@progbits
	.p2align	6, 0x0
	.amdhsa_kernel _ZN7rocprim17ROCPRIM_400000_NS6detail17trampoline_kernelINS0_14default_configENS1_38merge_sort_block_merge_config_selectorItNS0_10empty_typeEEEZZNS1_27merge_sort_block_merge_implIS3_PtPS5_jNS1_19radix_merge_compareILb1ELb1EtNS0_19identity_decomposerEEEEE10hipError_tT0_T1_T2_jT3_P12ihipStream_tbPNSt15iterator_traitsISE_E10value_typeEPNSK_ISF_E10value_typeEPSG_NS1_7vsmem_tEENKUlT_SE_SF_SG_E_clIS8_S8_S9_S9_EESD_ST_SE_SF_SG_EUlST_E0_NS1_11comp_targetILNS1_3genE5ELNS1_11target_archE942ELNS1_3gpuE9ELNS1_3repE0EEENS1_38merge_mergepath_config_static_selectorELNS0_4arch9wavefront6targetE1EEEvSF_
		.amdhsa_group_segment_fixed_size 0
		.amdhsa_private_segment_fixed_size 0
		.amdhsa_kernarg_size 64
		.amdhsa_user_sgpr_count 6
		.amdhsa_user_sgpr_private_segment_buffer 1
		.amdhsa_user_sgpr_dispatch_ptr 0
		.amdhsa_user_sgpr_queue_ptr 0
		.amdhsa_user_sgpr_kernarg_segment_ptr 1
		.amdhsa_user_sgpr_dispatch_id 0
		.amdhsa_user_sgpr_flat_scratch_init 0
		.amdhsa_user_sgpr_kernarg_preload_length 0
		.amdhsa_user_sgpr_kernarg_preload_offset 0
		.amdhsa_user_sgpr_private_segment_size 0
		.amdhsa_uses_dynamic_stack 0
		.amdhsa_system_sgpr_private_segment_wavefront_offset 0
		.amdhsa_system_sgpr_workgroup_id_x 1
		.amdhsa_system_sgpr_workgroup_id_y 0
		.amdhsa_system_sgpr_workgroup_id_z 0
		.amdhsa_system_sgpr_workgroup_info 0
		.amdhsa_system_vgpr_workitem_id 0
		.amdhsa_next_free_vgpr 1
		.amdhsa_next_free_sgpr 0
		.amdhsa_accum_offset 4
		.amdhsa_reserve_vcc 0
		.amdhsa_reserve_flat_scratch 0
		.amdhsa_float_round_mode_32 0
		.amdhsa_float_round_mode_16_64 0
		.amdhsa_float_denorm_mode_32 3
		.amdhsa_float_denorm_mode_16_64 3
		.amdhsa_dx10_clamp 1
		.amdhsa_ieee_mode 1
		.amdhsa_fp16_overflow 0
		.amdhsa_tg_split 0
		.amdhsa_exception_fp_ieee_invalid_op 0
		.amdhsa_exception_fp_denorm_src 0
		.amdhsa_exception_fp_ieee_div_zero 0
		.amdhsa_exception_fp_ieee_overflow 0
		.amdhsa_exception_fp_ieee_underflow 0
		.amdhsa_exception_fp_ieee_inexact 0
		.amdhsa_exception_int_div_zero 0
	.end_amdhsa_kernel
	.section	.text._ZN7rocprim17ROCPRIM_400000_NS6detail17trampoline_kernelINS0_14default_configENS1_38merge_sort_block_merge_config_selectorItNS0_10empty_typeEEEZZNS1_27merge_sort_block_merge_implIS3_PtPS5_jNS1_19radix_merge_compareILb1ELb1EtNS0_19identity_decomposerEEEEE10hipError_tT0_T1_T2_jT3_P12ihipStream_tbPNSt15iterator_traitsISE_E10value_typeEPNSK_ISF_E10value_typeEPSG_NS1_7vsmem_tEENKUlT_SE_SF_SG_E_clIS8_S8_S9_S9_EESD_ST_SE_SF_SG_EUlST_E0_NS1_11comp_targetILNS1_3genE5ELNS1_11target_archE942ELNS1_3gpuE9ELNS1_3repE0EEENS1_38merge_mergepath_config_static_selectorELNS0_4arch9wavefront6targetE1EEEvSF_,"axG",@progbits,_ZN7rocprim17ROCPRIM_400000_NS6detail17trampoline_kernelINS0_14default_configENS1_38merge_sort_block_merge_config_selectorItNS0_10empty_typeEEEZZNS1_27merge_sort_block_merge_implIS3_PtPS5_jNS1_19radix_merge_compareILb1ELb1EtNS0_19identity_decomposerEEEEE10hipError_tT0_T1_T2_jT3_P12ihipStream_tbPNSt15iterator_traitsISE_E10value_typeEPNSK_ISF_E10value_typeEPSG_NS1_7vsmem_tEENKUlT_SE_SF_SG_E_clIS8_S8_S9_S9_EESD_ST_SE_SF_SG_EUlST_E0_NS1_11comp_targetILNS1_3genE5ELNS1_11target_archE942ELNS1_3gpuE9ELNS1_3repE0EEENS1_38merge_mergepath_config_static_selectorELNS0_4arch9wavefront6targetE1EEEvSF_,comdat
.Lfunc_end1887:
	.size	_ZN7rocprim17ROCPRIM_400000_NS6detail17trampoline_kernelINS0_14default_configENS1_38merge_sort_block_merge_config_selectorItNS0_10empty_typeEEEZZNS1_27merge_sort_block_merge_implIS3_PtPS5_jNS1_19radix_merge_compareILb1ELb1EtNS0_19identity_decomposerEEEEE10hipError_tT0_T1_T2_jT3_P12ihipStream_tbPNSt15iterator_traitsISE_E10value_typeEPNSK_ISF_E10value_typeEPSG_NS1_7vsmem_tEENKUlT_SE_SF_SG_E_clIS8_S8_S9_S9_EESD_ST_SE_SF_SG_EUlST_E0_NS1_11comp_targetILNS1_3genE5ELNS1_11target_archE942ELNS1_3gpuE9ELNS1_3repE0EEENS1_38merge_mergepath_config_static_selectorELNS0_4arch9wavefront6targetE1EEEvSF_, .Lfunc_end1887-_ZN7rocprim17ROCPRIM_400000_NS6detail17trampoline_kernelINS0_14default_configENS1_38merge_sort_block_merge_config_selectorItNS0_10empty_typeEEEZZNS1_27merge_sort_block_merge_implIS3_PtPS5_jNS1_19radix_merge_compareILb1ELb1EtNS0_19identity_decomposerEEEEE10hipError_tT0_T1_T2_jT3_P12ihipStream_tbPNSt15iterator_traitsISE_E10value_typeEPNSK_ISF_E10value_typeEPSG_NS1_7vsmem_tEENKUlT_SE_SF_SG_E_clIS8_S8_S9_S9_EESD_ST_SE_SF_SG_EUlST_E0_NS1_11comp_targetILNS1_3genE5ELNS1_11target_archE942ELNS1_3gpuE9ELNS1_3repE0EEENS1_38merge_mergepath_config_static_selectorELNS0_4arch9wavefront6targetE1EEEvSF_
                                        ; -- End function
	.section	.AMDGPU.csdata,"",@progbits
; Kernel info:
; codeLenInByte = 0
; NumSgprs: 4
; NumVgprs: 0
; NumAgprs: 0
; TotalNumVgprs: 0
; ScratchSize: 0
; MemoryBound: 0
; FloatMode: 240
; IeeeMode: 1
; LDSByteSize: 0 bytes/workgroup (compile time only)
; SGPRBlocks: 0
; VGPRBlocks: 0
; NumSGPRsForWavesPerEU: 4
; NumVGPRsForWavesPerEU: 1
; AccumOffset: 4
; Occupancy: 8
; WaveLimiterHint : 0
; COMPUTE_PGM_RSRC2:SCRATCH_EN: 0
; COMPUTE_PGM_RSRC2:USER_SGPR: 6
; COMPUTE_PGM_RSRC2:TRAP_HANDLER: 0
; COMPUTE_PGM_RSRC2:TGID_X_EN: 1
; COMPUTE_PGM_RSRC2:TGID_Y_EN: 0
; COMPUTE_PGM_RSRC2:TGID_Z_EN: 0
; COMPUTE_PGM_RSRC2:TIDIG_COMP_CNT: 0
; COMPUTE_PGM_RSRC3_GFX90A:ACCUM_OFFSET: 0
; COMPUTE_PGM_RSRC3_GFX90A:TG_SPLIT: 0
	.section	.text._ZN7rocprim17ROCPRIM_400000_NS6detail17trampoline_kernelINS0_14default_configENS1_38merge_sort_block_merge_config_selectorItNS0_10empty_typeEEEZZNS1_27merge_sort_block_merge_implIS3_PtPS5_jNS1_19radix_merge_compareILb1ELb1EtNS0_19identity_decomposerEEEEE10hipError_tT0_T1_T2_jT3_P12ihipStream_tbPNSt15iterator_traitsISE_E10value_typeEPNSK_ISF_E10value_typeEPSG_NS1_7vsmem_tEENKUlT_SE_SF_SG_E_clIS8_S8_S9_S9_EESD_ST_SE_SF_SG_EUlST_E0_NS1_11comp_targetILNS1_3genE4ELNS1_11target_archE910ELNS1_3gpuE8ELNS1_3repE0EEENS1_38merge_mergepath_config_static_selectorELNS0_4arch9wavefront6targetE1EEEvSF_,"axG",@progbits,_ZN7rocprim17ROCPRIM_400000_NS6detail17trampoline_kernelINS0_14default_configENS1_38merge_sort_block_merge_config_selectorItNS0_10empty_typeEEEZZNS1_27merge_sort_block_merge_implIS3_PtPS5_jNS1_19radix_merge_compareILb1ELb1EtNS0_19identity_decomposerEEEEE10hipError_tT0_T1_T2_jT3_P12ihipStream_tbPNSt15iterator_traitsISE_E10value_typeEPNSK_ISF_E10value_typeEPSG_NS1_7vsmem_tEENKUlT_SE_SF_SG_E_clIS8_S8_S9_S9_EESD_ST_SE_SF_SG_EUlST_E0_NS1_11comp_targetILNS1_3genE4ELNS1_11target_archE910ELNS1_3gpuE8ELNS1_3repE0EEENS1_38merge_mergepath_config_static_selectorELNS0_4arch9wavefront6targetE1EEEvSF_,comdat
	.protected	_ZN7rocprim17ROCPRIM_400000_NS6detail17trampoline_kernelINS0_14default_configENS1_38merge_sort_block_merge_config_selectorItNS0_10empty_typeEEEZZNS1_27merge_sort_block_merge_implIS3_PtPS5_jNS1_19radix_merge_compareILb1ELb1EtNS0_19identity_decomposerEEEEE10hipError_tT0_T1_T2_jT3_P12ihipStream_tbPNSt15iterator_traitsISE_E10value_typeEPNSK_ISF_E10value_typeEPSG_NS1_7vsmem_tEENKUlT_SE_SF_SG_E_clIS8_S8_S9_S9_EESD_ST_SE_SF_SG_EUlST_E0_NS1_11comp_targetILNS1_3genE4ELNS1_11target_archE910ELNS1_3gpuE8ELNS1_3repE0EEENS1_38merge_mergepath_config_static_selectorELNS0_4arch9wavefront6targetE1EEEvSF_ ; -- Begin function _ZN7rocprim17ROCPRIM_400000_NS6detail17trampoline_kernelINS0_14default_configENS1_38merge_sort_block_merge_config_selectorItNS0_10empty_typeEEEZZNS1_27merge_sort_block_merge_implIS3_PtPS5_jNS1_19radix_merge_compareILb1ELb1EtNS0_19identity_decomposerEEEEE10hipError_tT0_T1_T2_jT3_P12ihipStream_tbPNSt15iterator_traitsISE_E10value_typeEPNSK_ISF_E10value_typeEPSG_NS1_7vsmem_tEENKUlT_SE_SF_SG_E_clIS8_S8_S9_S9_EESD_ST_SE_SF_SG_EUlST_E0_NS1_11comp_targetILNS1_3genE4ELNS1_11target_archE910ELNS1_3gpuE8ELNS1_3repE0EEENS1_38merge_mergepath_config_static_selectorELNS0_4arch9wavefront6targetE1EEEvSF_
	.globl	_ZN7rocprim17ROCPRIM_400000_NS6detail17trampoline_kernelINS0_14default_configENS1_38merge_sort_block_merge_config_selectorItNS0_10empty_typeEEEZZNS1_27merge_sort_block_merge_implIS3_PtPS5_jNS1_19radix_merge_compareILb1ELb1EtNS0_19identity_decomposerEEEEE10hipError_tT0_T1_T2_jT3_P12ihipStream_tbPNSt15iterator_traitsISE_E10value_typeEPNSK_ISF_E10value_typeEPSG_NS1_7vsmem_tEENKUlT_SE_SF_SG_E_clIS8_S8_S9_S9_EESD_ST_SE_SF_SG_EUlST_E0_NS1_11comp_targetILNS1_3genE4ELNS1_11target_archE910ELNS1_3gpuE8ELNS1_3repE0EEENS1_38merge_mergepath_config_static_selectorELNS0_4arch9wavefront6targetE1EEEvSF_
	.p2align	8
	.type	_ZN7rocprim17ROCPRIM_400000_NS6detail17trampoline_kernelINS0_14default_configENS1_38merge_sort_block_merge_config_selectorItNS0_10empty_typeEEEZZNS1_27merge_sort_block_merge_implIS3_PtPS5_jNS1_19radix_merge_compareILb1ELb1EtNS0_19identity_decomposerEEEEE10hipError_tT0_T1_T2_jT3_P12ihipStream_tbPNSt15iterator_traitsISE_E10value_typeEPNSK_ISF_E10value_typeEPSG_NS1_7vsmem_tEENKUlT_SE_SF_SG_E_clIS8_S8_S9_S9_EESD_ST_SE_SF_SG_EUlST_E0_NS1_11comp_targetILNS1_3genE4ELNS1_11target_archE910ELNS1_3gpuE8ELNS1_3repE0EEENS1_38merge_mergepath_config_static_selectorELNS0_4arch9wavefront6targetE1EEEvSF_,@function
_ZN7rocprim17ROCPRIM_400000_NS6detail17trampoline_kernelINS0_14default_configENS1_38merge_sort_block_merge_config_selectorItNS0_10empty_typeEEEZZNS1_27merge_sort_block_merge_implIS3_PtPS5_jNS1_19radix_merge_compareILb1ELb1EtNS0_19identity_decomposerEEEEE10hipError_tT0_T1_T2_jT3_P12ihipStream_tbPNSt15iterator_traitsISE_E10value_typeEPNSK_ISF_E10value_typeEPSG_NS1_7vsmem_tEENKUlT_SE_SF_SG_E_clIS8_S8_S9_S9_EESD_ST_SE_SF_SG_EUlST_E0_NS1_11comp_targetILNS1_3genE4ELNS1_11target_archE910ELNS1_3gpuE8ELNS1_3repE0EEENS1_38merge_mergepath_config_static_selectorELNS0_4arch9wavefront6targetE1EEEvSF_: ; @_ZN7rocprim17ROCPRIM_400000_NS6detail17trampoline_kernelINS0_14default_configENS1_38merge_sort_block_merge_config_selectorItNS0_10empty_typeEEEZZNS1_27merge_sort_block_merge_implIS3_PtPS5_jNS1_19radix_merge_compareILb1ELb1EtNS0_19identity_decomposerEEEEE10hipError_tT0_T1_T2_jT3_P12ihipStream_tbPNSt15iterator_traitsISE_E10value_typeEPNSK_ISF_E10value_typeEPSG_NS1_7vsmem_tEENKUlT_SE_SF_SG_E_clIS8_S8_S9_S9_EESD_ST_SE_SF_SG_EUlST_E0_NS1_11comp_targetILNS1_3genE4ELNS1_11target_archE910ELNS1_3gpuE8ELNS1_3repE0EEENS1_38merge_mergepath_config_static_selectorELNS0_4arch9wavefront6targetE1EEEvSF_
; %bb.0:
	s_load_dwordx2 s[10:11], s[4:5], 0x40
	s_load_dword s3, s[4:5], 0x30
	s_add_u32 s0, s4, 64
	s_addc_u32 s1, s5, 0
	s_waitcnt lgkmcnt(0)
	s_mul_i32 s2, s11, s8
	s_add_i32 s2, s2, s7
	s_mul_i32 s2, s2, s10
	s_add_i32 s2, s2, s6
	s_cmp_ge_u32 s2, s3
	s_cbranch_scc1 .LBB1888_43
; %bb.1:
	s_load_dwordx2 s[14:15], s[4:5], 0x28
	s_load_dwordx2 s[8:9], s[4:5], 0x38
	;; [unrolled: 1-line block ×3, first 2 shown]
	s_mov_b32 s3, 0
	s_mov_b32 s23, s3
	s_waitcnt lgkmcnt(0)
	s_lshr_b32 s17, s14, 10
	s_cmp_lg_u32 s2, s17
	s_cselect_b64 s[18:19], -1, 0
	s_lshl_b64 s[12:13], s[2:3], 2
	s_add_u32 s8, s8, s12
	s_addc_u32 s9, s9, s13
	s_lshr_b32 s7, s15, 9
	s_and_b32 s7, s7, 0x7ffffe
	s_load_dwordx2 s[8:9], s[8:9], 0x0
	s_sub_i32 s7, 0, s7
	s_and_b32 s11, s2, s7
	s_lshl_b32 s12, s11, 10
	s_lshl_b32 s16, s2, 10
	;; [unrolled: 1-line block ×3, first 2 shown]
	s_sub_i32 s13, s16, s12
	s_add_i32 s11, s11, s15
	s_add_i32 s13, s11, s13
	s_waitcnt lgkmcnt(0)
	s_sub_i32 s22, s13, s8
	s_sub_i32 s13, s13, s9
	s_sub_i32 s11, s11, s12
	s_min_u32 s22, s14, s22
	s_addk_i32 s13, 0x400
	s_or_b32 s7, s2, s7
	s_min_u32 s12, s14, s11
	s_add_i32 s11, s11, s15
	s_cmp_eq_u32 s7, -1
	s_cselect_b32 s7, s11, s13
	s_cselect_b32 s9, s12, s9
	s_min_u32 s7, s7, s14
	s_sub_i32 s15, s9, s8
	s_mov_b32 s9, s3
	s_sub_i32 s7, s7, s22
	s_lshl_b64 s[8:9], s[8:9], 1
	s_add_u32 s11, s20, s8
	s_addc_u32 s12, s21, s9
	s_lshl_b64 s[8:9], s[22:23], 1
	s_add_u32 s8, s20, s8
	s_addc_u32 s9, s21, s9
	s_cmp_lt_u32 s6, s10
	v_mov_b32_e32 v3, 0
	s_cselect_b32 s3, 12, 18
	global_load_dword v1, v3, s[0:1] offset:14
	s_add_u32 s0, s0, s3
	s_addc_u32 s1, s1, 0
	global_load_ushort v2, v3, s[0:1]
	s_cmp_eq_u32 s2, s17
	s_waitcnt vmcnt(1)
	v_lshrrev_b32_e32 v4, 16, v1
	v_and_b32_e32 v1, 0xffff, v1
	v_mul_lo_u32 v1, v1, v4
	s_waitcnt vmcnt(0)
	v_mul_lo_u32 v10, v1, v2
	v_add_u32_e32 v8, v10, v0
	v_lshlrev_b32_e32 v1, 1, v0
	v_add_u32_e32 v6, v8, v10
	s_cbranch_scc1 .LBB1888_3
; %bb.2:
	v_mov_b32_e32 v2, s12
	v_add_co_u32_e32 v7, vcc, s11, v1
	v_addc_co_u32_e32 v9, vcc, 0, v2, vcc
	v_subrev_u32_e32 v2, s15, v0
	v_lshlrev_b64 v[4:5], 1, v[2:3]
	v_mov_b32_e32 v2, s9
	v_add_co_u32_e32 v4, vcc, s8, v4
	v_addc_co_u32_e32 v2, vcc, v2, v5, vcc
	v_cmp_gt_u32_e32 vcc, s15, v0
	v_cndmask_b32_e32 v5, v2, v9, vcc
	v_cndmask_b32_e32 v4, v4, v7, vcc
	v_mov_b32_e32 v9, v3
	global_load_ushort v11, v[4:5], off
	v_lshlrev_b64 v[4:5], 1, v[8:9]
	v_mov_b32_e32 v2, s12
	v_add_co_u32_e32 v7, vcc, s11, v4
	v_addc_co_u32_e32 v9, vcc, v2, v5, vcc
	v_subrev_u32_e32 v2, s15, v8
	v_lshlrev_b64 v[4:5], 1, v[2:3]
	v_mov_b32_e32 v2, s9
	v_add_co_u32_e32 v4, vcc, s8, v4
	v_addc_co_u32_e32 v2, vcc, v2, v5, vcc
	v_cmp_gt_u32_e32 vcc, s15, v8
	v_cndmask_b32_e32 v5, v2, v9, vcc
	v_cndmask_b32_e32 v4, v4, v7, vcc
	v_mov_b32_e32 v7, v3
	global_load_ushort v9, v[4:5], off
	v_lshlrev_b64 v[4:5], 1, v[6:7]
	v_mov_b32_e32 v2, s12
	v_add_co_u32_e32 v7, vcc, s11, v4
	v_addc_co_u32_e32 v12, vcc, v2, v5, vcc
	v_subrev_u32_e32 v2, s15, v6
	v_lshlrev_b64 v[4:5], 1, v[2:3]
	v_mov_b32_e32 v2, s9
	v_add_co_u32_e32 v4, vcc, s8, v4
	v_addc_co_u32_e32 v2, vcc, v2, v5, vcc
	v_cmp_gt_u32_e32 vcc, s15, v6
	v_cndmask_b32_e32 v5, v2, v12, vcc
	v_cndmask_b32_e32 v4, v4, v7, vcc
	v_add_u32_e32 v2, v6, v10
	global_load_ushort v7, v[4:5], off
	v_lshlrev_b64 v[4:5], 1, v[2:3]
	v_mov_b32_e32 v12, s12
	v_add_co_u32_e32 v13, vcc, s11, v4
	v_addc_co_u32_e32 v12, vcc, v12, v5, vcc
	v_subrev_u32_e32 v4, s15, v2
	v_mov_b32_e32 v5, v3
	v_lshlrev_b64 v[4:5], 1, v[4:5]
	v_mov_b32_e32 v14, s9
	v_add_co_u32_e32 v4, vcc, s8, v4
	v_addc_co_u32_e32 v5, vcc, v14, v5, vcc
	v_cmp_gt_u32_e32 vcc, s15, v2
	v_cndmask_b32_e32 v5, v5, v12, vcc
	v_cndmask_b32_e32 v4, v4, v13, vcc
	v_add_u32_e32 v2, v2, v10
	global_load_ushort v12, v[4:5], off
	v_lshlrev_b64 v[4:5], 1, v[2:3]
	v_mov_b32_e32 v13, s12
	v_add_co_u32_e32 v14, vcc, s11, v4
	v_addc_co_u32_e32 v13, vcc, v13, v5, vcc
	v_subrev_u32_e32 v4, s15, v2
	v_mov_b32_e32 v5, v3
	;; [unrolled: 15-line block ×4, first 2 shown]
	v_lshlrev_b64 v[4:5], 1, v[4:5]
	v_mov_b32_e32 v17, s9
	v_add_co_u32_e32 v4, vcc, s8, v4
	v_addc_co_u32_e32 v5, vcc, v17, v5, vcc
	v_cmp_gt_u32_e32 vcc, s15, v2
	v_cndmask_b32_e32 v5, v5, v15, vcc
	v_cndmask_b32_e32 v4, v4, v16, vcc
	v_add_u32_e32 v2, v2, v10
	global_load_ushort v15, v[4:5], off
	v_lshlrev_b64 v[4:5], 1, v[2:3]
	v_mov_b32_e32 v16, s12
	v_add_co_u32_e32 v4, vcc, s11, v4
	v_addc_co_u32_e32 v5, vcc, v16, v5, vcc
	v_cmp_gt_u32_e32 vcc, s15, v2
	v_subrev_u32_e32 v2, s15, v2
	v_lshlrev_b64 v[2:3], 1, v[2:3]
	v_mov_b32_e32 v16, s9
	v_add_co_u32_e64 v2, s[0:1], s8, v2
	v_addc_co_u32_e64 v3, s[0:1], v16, v3, s[0:1]
	v_cndmask_b32_e32 v3, v3, v5, vcc
	v_cndmask_b32_e32 v2, v2, v4, vcc
	global_load_ushort v5, v[2:3], off
	s_mov_b32 s0, 0x5040100
	s_waitcnt vmcnt(6)
	v_perm_b32 v2, v9, v11, s0
	s_add_i32 s17, s7, s15
	s_waitcnt vmcnt(4)
	v_perm_b32 v3, v12, v7, s0
	s_waitcnt vmcnt(2)
	v_perm_b32 v4, v14, v13, s0
	;; [unrolled: 2-line block ×3, first 2 shown]
	s_load_dwordx2 s[20:21], s[4:5], 0x10
	s_cbranch_execz .LBB1888_4
	s_branch .LBB1888_19
.LBB1888_3:
                                        ; implicit-def: $vgpr2_vgpr3_vgpr4_vgpr5
                                        ; implicit-def: $sgpr17
	s_load_dwordx2 s[20:21], s[4:5], 0x10
.LBB1888_4:
	s_add_i32 s17, s7, s15
	v_cmp_gt_u32_e32 vcc, s17, v0
                                        ; implicit-def: $vgpr2_vgpr3_vgpr4_vgpr5
	s_and_saveexec_b64 s[0:1], vcc
	s_cbranch_execnz .LBB1888_44
; %bb.5:
	s_or_b64 exec, exec, s[0:1]
	v_cmp_gt_u32_e32 vcc, s17, v8
	s_and_saveexec_b64 s[2:3], vcc
	s_cbranch_execnz .LBB1888_45
.LBB1888_6:
	s_or_b64 exec, exec, s[2:3]
	v_cmp_gt_u32_e32 vcc, s17, v6
	s_and_saveexec_b64 s[0:1], vcc
	s_cbranch_execz .LBB1888_8
.LBB1888_7:
	v_mov_b32_e32 v7, 0
	v_lshlrev_b64 v[8:9], 1, v[6:7]
	v_mov_b32_e32 v11, s12
	v_add_co_u32_e32 v12, vcc, s11, v8
	v_addc_co_u32_e32 v11, vcc, v11, v9, vcc
	v_subrev_u32_e32 v8, s15, v6
	v_mov_b32_e32 v9, v7
	v_lshlrev_b64 v[8:9], 1, v[8:9]
	v_mov_b32_e32 v7, s9
	v_add_co_u32_e32 v8, vcc, s8, v8
	v_addc_co_u32_e32 v7, vcc, v7, v9, vcc
	v_cmp_gt_u32_e32 vcc, s15, v6
	v_cndmask_b32_e32 v9, v7, v11, vcc
	v_cndmask_b32_e32 v8, v8, v12, vcc
	global_load_ushort v7, v[8:9], off
	s_mov_b32 s2, 0xffff
	s_waitcnt vmcnt(0)
	v_bfi_b32 v3, s2, v7, v3
.LBB1888_8:
	s_or_b64 exec, exec, s[0:1]
	v_add_u32_e32 v6, v6, v10
	v_cmp_gt_u32_e32 vcc, s17, v6
	s_and_saveexec_b64 s[0:1], vcc
	s_cbranch_execz .LBB1888_10
; %bb.9:
	v_mov_b32_e32 v7, 0
	v_lshlrev_b64 v[8:9], 1, v[6:7]
	v_mov_b32_e32 v11, s12
	v_add_co_u32_e32 v12, vcc, s11, v8
	v_addc_co_u32_e32 v11, vcc, v11, v9, vcc
	v_subrev_u32_e32 v8, s15, v6
	v_mov_b32_e32 v9, v7
	v_lshlrev_b64 v[8:9], 1, v[8:9]
	v_mov_b32_e32 v7, s9
	v_add_co_u32_e32 v8, vcc, s8, v8
	v_addc_co_u32_e32 v7, vcc, v7, v9, vcc
	v_cmp_gt_u32_e32 vcc, s15, v6
	v_cndmask_b32_e32 v9, v7, v11, vcc
	v_cndmask_b32_e32 v8, v8, v12, vcc
	global_load_ushort v7, v[8:9], off
	s_mov_b32 s2, 0x5040100
	s_waitcnt vmcnt(0)
	v_perm_b32 v3, v7, v3, s2
.LBB1888_10:
	s_or_b64 exec, exec, s[0:1]
	v_add_u32_e32 v6, v6, v10
	v_cmp_gt_u32_e32 vcc, s17, v6
	s_and_saveexec_b64 s[0:1], vcc
	s_cbranch_execz .LBB1888_12
; %bb.11:
	v_mov_b32_e32 v7, 0
	v_lshlrev_b64 v[8:9], 1, v[6:7]
	v_mov_b32_e32 v11, s12
	v_add_co_u32_e32 v12, vcc, s11, v8
	v_addc_co_u32_e32 v11, vcc, v11, v9, vcc
	v_subrev_u32_e32 v8, s15, v6
	v_mov_b32_e32 v9, v7
	v_lshlrev_b64 v[8:9], 1, v[8:9]
	v_mov_b32_e32 v7, s9
	v_add_co_u32_e32 v8, vcc, s8, v8
	v_addc_co_u32_e32 v7, vcc, v7, v9, vcc
	v_cmp_gt_u32_e32 vcc, s15, v6
	v_cndmask_b32_e32 v9, v7, v11, vcc
	v_cndmask_b32_e32 v8, v8, v12, vcc
	global_load_ushort v7, v[8:9], off
	s_mov_b32 s2, 0xffff
	s_waitcnt vmcnt(0)
	v_bfi_b32 v4, s2, v7, v4
.LBB1888_12:
	s_or_b64 exec, exec, s[0:1]
	v_add_u32_e32 v6, v6, v10
	v_cmp_gt_u32_e32 vcc, s17, v6
	s_and_saveexec_b64 s[0:1], vcc
	s_cbranch_execz .LBB1888_14
; %bb.13:
	v_mov_b32_e32 v7, 0
	v_lshlrev_b64 v[8:9], 1, v[6:7]
	v_mov_b32_e32 v11, s12
	v_add_co_u32_e32 v12, vcc, s11, v8
	v_addc_co_u32_e32 v11, vcc, v11, v9, vcc
	v_subrev_u32_e32 v8, s15, v6
	v_mov_b32_e32 v9, v7
	v_lshlrev_b64 v[8:9], 1, v[8:9]
	v_mov_b32_e32 v7, s9
	v_add_co_u32_e32 v8, vcc, s8, v8
	v_addc_co_u32_e32 v7, vcc, v7, v9, vcc
	v_cmp_gt_u32_e32 vcc, s15, v6
	v_cndmask_b32_e32 v9, v7, v11, vcc
	v_cndmask_b32_e32 v8, v8, v12, vcc
	global_load_ushort v7, v[8:9], off
	s_mov_b32 s2, 0x5040100
	s_waitcnt vmcnt(0)
	v_perm_b32 v4, v7, v4, s2
.LBB1888_14:
	s_or_b64 exec, exec, s[0:1]
	v_add_u32_e32 v6, v6, v10
	v_cmp_gt_u32_e32 vcc, s17, v6
	s_and_saveexec_b64 s[0:1], vcc
	s_cbranch_execz .LBB1888_16
; %bb.15:
	v_mov_b32_e32 v7, 0
	v_lshlrev_b64 v[8:9], 1, v[6:7]
	v_mov_b32_e32 v11, s12
	v_add_co_u32_e32 v12, vcc, s11, v8
	v_addc_co_u32_e32 v11, vcc, v11, v9, vcc
	v_subrev_u32_e32 v8, s15, v6
	v_mov_b32_e32 v9, v7
	v_lshlrev_b64 v[8:9], 1, v[8:9]
	v_mov_b32_e32 v7, s9
	v_add_co_u32_e32 v8, vcc, s8, v8
	v_addc_co_u32_e32 v7, vcc, v7, v9, vcc
	v_cmp_gt_u32_e32 vcc, s15, v6
	v_cndmask_b32_e32 v9, v7, v11, vcc
	v_cndmask_b32_e32 v8, v8, v12, vcc
	global_load_ushort v7, v[8:9], off
	s_mov_b32 s2, 0xffff
	s_waitcnt vmcnt(0)
	v_bfi_b32 v5, s2, v7, v5
.LBB1888_16:
	s_or_b64 exec, exec, s[0:1]
	v_add_u32_e32 v6, v6, v10
	v_cmp_gt_u32_e32 vcc, s17, v6
	s_and_saveexec_b64 s[2:3], vcc
	s_cbranch_execz .LBB1888_18
; %bb.17:
	v_mov_b32_e32 v7, 0
	v_lshlrev_b64 v[8:9], 1, v[6:7]
	v_mov_b32_e32 v10, s12
	v_add_co_u32_e32 v8, vcc, s11, v8
	v_addc_co_u32_e32 v9, vcc, v10, v9, vcc
	v_cmp_gt_u32_e32 vcc, s15, v6
	v_subrev_u32_e32 v6, s15, v6
	v_lshlrev_b64 v[6:7], 1, v[6:7]
	v_mov_b32_e32 v10, s9
	v_add_co_u32_e64 v6, s[0:1], s8, v6
	v_addc_co_u32_e64 v7, s[0:1], v10, v7, s[0:1]
	v_cndmask_b32_e32 v7, v7, v9, vcc
	v_cndmask_b32_e32 v6, v6, v8, vcc
	global_load_ushort v6, v[6:7], off
	s_mov_b32 s0, 0x5040100
	s_waitcnt vmcnt(0)
	v_perm_b32 v5, v6, v5, s0
.LBB1888_18:
	s_or_b64 exec, exec, s[2:3]
.LBB1888_19:
	s_load_dword s24, s[4:5], 0x34
	v_lshlrev_b32_e32 v6, 3, v0
	v_min_u32_e32 v12, s17, v6
	v_sub_u32_e64 v10, v12, s7 clamp
	v_min_u32_e32 v13, s15, v12
	s_waitcnt vmcnt(0)
	v_lshrrev_b32_e32 v7, 16, v2
	v_lshrrev_b32_e32 v8, 16, v3
	;; [unrolled: 1-line block ×4, first 2 shown]
	v_cmp_lt_u32_e32 vcc, v10, v13
	ds_write_b16 v1, v2
	ds_write_b16 v1, v7 offset:256
	ds_write_b16 v1, v3 offset:512
	;; [unrolled: 1-line block ×7, first 2 shown]
	s_waitcnt lgkmcnt(0)
	s_barrier
	s_and_saveexec_b64 s[0:1], vcc
	s_cbranch_execz .LBB1888_23
; %bb.20:
	v_lshlrev_b32_e32 v14, 1, v12
	v_lshl_add_u32 v14, s15, 1, v14
	s_mov_b64 s[2:3], 0
.LBB1888_21:                            ; =>This Inner Loop Header: Depth=1
	v_add_u32_e32 v15, v13, v10
	v_lshrrev_b32_e32 v16, 1, v15
	v_not_b32_e32 v17, v16
	v_and_b32_e32 v15, -2, v15
	v_lshl_add_u32 v17, v17, 1, v14
	ds_read_u16 v15, v15
	ds_read_u16 v17, v17
	v_add_u32_e32 v18, 1, v16
	s_waitcnt lgkmcnt(1)
	v_and_b32_e32 v15, s24, v15
	s_waitcnt lgkmcnt(0)
	v_and_b32_e32 v17, s24, v17
	v_cmp_gt_u16_e32 vcc, v17, v15
	v_cndmask_b32_e32 v13, v13, v16, vcc
	v_cndmask_b32_e32 v10, v18, v10, vcc
	v_cmp_ge_u32_e32 vcc, v10, v13
	s_or_b64 s[2:3], vcc, s[2:3]
	s_andn2_b64 exec, exec, s[2:3]
	s_cbranch_execnz .LBB1888_21
; %bb.22:
	s_or_b64 exec, exec, s[2:3]
.LBB1888_23:
	s_or_b64 exec, exec, s[0:1]
	v_sub_u32_e32 v12, v12, v10
	v_add_u32_e32 v12, s15, v12
	v_cmp_ge_u32_e32 vcc, s15, v10
	v_cmp_ge_u32_e64 s[0:1], s17, v12
	s_or_b64 s[0:1], vcc, s[0:1]
	s_and_saveexec_b64 s[22:23], s[0:1]
	s_cbranch_execz .LBB1888_29
; %bb.24:
	v_cmp_gt_u32_e32 vcc, s15, v10
                                        ; implicit-def: $vgpr2
	s_and_saveexec_b64 s[0:1], vcc
	s_cbranch_execz .LBB1888_26
; %bb.25:
	v_lshlrev_b32_e32 v2, 1, v10
	ds_read_u16 v2, v2
.LBB1888_26:
	s_or_b64 exec, exec, s[0:1]
	v_cmp_le_u32_e64 s[0:1], s17, v12
	v_cmp_gt_u32_e64 s[2:3], s17, v12
                                        ; implicit-def: $vgpr3
	s_and_saveexec_b64 s[4:5], s[2:3]
	s_cbranch_execz .LBB1888_28
; %bb.27:
	v_lshlrev_b32_e32 v3, 1, v12
	ds_read_u16 v3, v3
.LBB1888_28:
	s_or_b64 exec, exec, s[4:5]
	s_waitcnt lgkmcnt(0)
	v_and_b32_e32 v4, s24, v3
	v_and_b32_e32 v5, s24, v2
	v_cmp_le_u16_e64 s[2:3], v4, v5
	s_and_b64 s[2:3], vcc, s[2:3]
	s_or_b64 vcc, s[0:1], s[2:3]
	v_mov_b32_e32 v5, s17
	v_mov_b32_e32 v8, s15
	v_cndmask_b32_e32 v4, v12, v10, vcc
	v_cndmask_b32_e32 v7, v5, v8, vcc
	v_add_u32_e32 v4, 1, v4
	v_add_u32_e32 v7, -1, v7
	v_min_u32_e32 v7, v4, v7
	v_lshlrev_b32_e32 v7, 1, v7
	ds_read_u16 v7, v7
	v_cndmask_b32_e32 v11, v4, v12, vcc
	v_cndmask_b32_e32 v4, v10, v4, vcc
	v_cmp_gt_u32_e64 s[2:3], s15, v4
	v_cmp_le_u32_e64 s[0:1], s17, v11
	s_waitcnt lgkmcnt(0)
	v_cndmask_b32_e32 v9, v7, v3, vcc
	v_cndmask_b32_e32 v7, v2, v7, vcc
	v_and_b32_e32 v10, s24, v9
	v_and_b32_e32 v12, s24, v7
	v_cmp_le_u16_e64 s[4:5], v10, v12
	s_and_b64 s[2:3], s[2:3], s[4:5]
	s_or_b64 s[0:1], s[0:1], s[2:3]
	v_cndmask_b32_e64 v10, v11, v4, s[0:1]
	v_cndmask_b32_e64 v12, v5, v8, s[0:1]
	v_add_u32_e32 v10, 1, v10
	v_add_u32_e32 v12, -1, v12
	v_min_u32_e32 v12, v10, v12
	v_lshlrev_b32_e32 v12, 1, v12
	ds_read_u16 v12, v12
	v_cndmask_b32_e64 v11, v10, v11, s[0:1]
	v_cndmask_b32_e64 v4, v4, v10, s[0:1]
	v_cmp_gt_u32_e64 s[4:5], s15, v4
	v_cmp_le_u32_e64 s[2:3], s17, v11
	s_waitcnt lgkmcnt(0)
	v_cndmask_b32_e64 v13, v12, v9, s[0:1]
	v_cndmask_b32_e64 v12, v7, v12, s[0:1]
	v_and_b32_e32 v10, s24, v13
	v_and_b32_e32 v14, s24, v12
	v_cmp_le_u16_e64 s[6:7], v10, v14
	s_and_b64 s[4:5], s[4:5], s[6:7]
	s_or_b64 s[2:3], s[2:3], s[4:5]
	v_cndmask_b32_e64 v10, v11, v4, s[2:3]
	v_cndmask_b32_e64 v14, v5, v8, s[2:3]
	v_add_u32_e32 v10, 1, v10
	v_add_u32_e32 v14, -1, v14
	v_min_u32_e32 v14, v10, v14
	v_lshlrev_b32_e32 v14, 1, v14
	ds_read_u16 v14, v14
	v_cndmask_b32_e64 v11, v10, v11, s[2:3]
	v_cndmask_b32_e64 v4, v4, v10, s[2:3]
	v_cmp_gt_u32_e64 s[6:7], s15, v4
	v_cmp_le_u32_e64 s[4:5], s17, v11
	s_waitcnt lgkmcnt(0)
	v_cndmask_b32_e64 v15, v14, v13, s[2:3]
	v_cndmask_b32_e64 v14, v12, v14, s[2:3]
	;; [unrolled: 19-line block ×4, first 2 shown]
	v_and_b32_e32 v10, s24, v19
	v_and_b32_e32 v20, s24, v18
	v_cmp_le_u16_e64 s[12:13], v10, v20
	s_and_b64 s[10:11], s[10:11], s[12:13]
	s_or_b64 s[8:9], s[8:9], s[10:11]
	v_cndmask_b32_e64 v10, v11, v4, s[8:9]
	v_cndmask_b32_e64 v20, v5, v8, s[8:9]
	v_add_u32_e32 v10, 1, v10
	v_add_u32_e32 v20, -1, v20
	v_min_u32_e32 v20, v10, v20
	v_lshlrev_b32_e32 v20, 1, v20
	ds_read_u16 v20, v20
	v_cndmask_b32_e32 v2, v3, v2, vcc
	v_cndmask_b32_e64 v3, v13, v12, s[2:3]
	v_cndmask_b32_e64 v7, v9, v7, s[0:1]
	;; [unrolled: 1-line block ×3, first 2 shown]
	s_waitcnt lgkmcnt(0)
	v_cndmask_b32_e64 v12, v20, v19, s[8:9]
	v_cndmask_b32_e64 v13, v18, v20, s[8:9]
	;; [unrolled: 1-line block ×3, first 2 shown]
	v_and_b32_e32 v4, s24, v12
	v_and_b32_e32 v9, s24, v13
	v_cmp_gt_u32_e64 s[0:1], s15, v10
	v_cmp_le_u16_e64 s[2:3], v4, v9
	v_cmp_le_u32_e32 vcc, s17, v11
	s_and_b64 s[0:1], s[0:1], s[2:3]
	s_or_b64 vcc, vcc, s[0:1]
	v_cndmask_b32_e32 v4, v11, v10, vcc
	v_cndmask_b32_e32 v5, v5, v8, vcc
	v_add_u32_e32 v20, 1, v4
	v_add_u32_e32 v4, -1, v5
	v_min_u32_e32 v4, v20, v4
	v_lshlrev_b32_e32 v4, 1, v4
	ds_read_u16 v21, v4
	v_cndmask_b32_e32 v5, v12, v13, vcc
	v_cndmask_b32_e32 v11, v20, v11, vcc
	;; [unrolled: 1-line block ×3, first 2 shown]
	v_cmp_gt_u32_e64 s[0:1], s15, v10
	s_waitcnt lgkmcnt(0)
	v_cndmask_b32_e32 v12, v21, v12, vcc
	v_cndmask_b32_e32 v13, v13, v21, vcc
	v_cmp_le_u32_e32 vcc, s17, v11
	v_and_b32_e32 v10, s24, v12
	v_and_b32_e32 v11, s24, v13
	v_cmp_le_u16_e64 s[2:3], v10, v11
	s_and_b64 s[0:1], s[0:1], s[2:3]
	s_or_b64 vcc, vcc, s[0:1]
	v_cndmask_b32_e64 v8, v15, v14, s[4:5]
	v_cndmask_b32_e64 v4, v17, v16, s[6:7]
	v_cndmask_b32_e64 v9, v19, v18, s[8:9]
	v_cndmask_b32_e32 v11, v12, v13, vcc
.LBB1888_29:
	s_or_b64 exec, exec, s[22:23]
	v_lshrrev_b32_e32 v10, 2, v0
	v_and_b32_e32 v10, 30, v10
	s_mov_b32 s2, 0x5040100
	v_add_lshl_u32 v6, v10, v6, 1
	v_perm_b32 v3, v8, v3, s2
	v_perm_b32 v2, v7, v2, s2
	s_barrier
	s_barrier
	ds_write2_b32 v6, v2, v3 offset1:1
	v_perm_b32 v2, v11, v5, s2
	v_perm_b32 v3, v9, v4, s2
	ds_write2_b32 v6, v3, v2 offset0:2 offset1:3
	v_lshrrev_b32_e32 v2, 4, v0
	v_and_b32_e32 v2, 4, v2
	v_or_b32_e32 v10, 0x80, v0
	v_add_u32_e32 v11, v1, v2
	v_lshrrev_b32_e32 v2, 4, v10
	v_and_b32_e32 v2, 12, v2
	v_or_b32_e32 v9, 0x100, v0
	v_add_u32_e32 v12, v1, v2
	;; [unrolled: 4-line block ×5, first 2 shown]
	v_lshrrev_b32_e32 v2, 4, v6
	v_and_b32_e32 v2, 44, v2
	v_or_b32_e32 v5, 0x300, v0
	s_mov_b32 s17, 0
	v_add_u32_e32 v16, v1, v2
	v_lshrrev_b32_e32 v2, 4, v5
	s_lshl_b64 s[0:1], s[16:17], 1
	v_and_b32_e32 v2, 52, v2
	v_or_b32_e32 v4, 0x380, v0
	s_add_u32 s0, s20, s0
	v_add_u32_e32 v17, v1, v2
	v_lshrrev_b32_e32 v2, 4, v4
	s_addc_u32 s1, s21, s1
	v_and_b32_e32 v2, 60, v2
	v_add_u32_e32 v18, v1, v2
	v_mov_b32_e32 v3, s1
	v_add_co_u32_e32 v2, vcc, s0, v1
	v_addc_co_u32_e32 v3, vcc, 0, v3, vcc
	s_and_b64 vcc, exec, s[18:19]
	s_waitcnt lgkmcnt(0)
	s_cbranch_vccz .LBB1888_31
; %bb.30:
	s_barrier
	ds_read_u16 v19, v11
	ds_read_u16 v20, v12 offset:256
	ds_read_u16 v21, v13 offset:512
	;; [unrolled: 1-line block ×7, first 2 shown]
	s_waitcnt lgkmcnt(7)
	global_store_short v[2:3], v19, off
	s_waitcnt lgkmcnt(6)
	global_store_short v[2:3], v20, off offset:256
	s_waitcnt lgkmcnt(5)
	global_store_short v[2:3], v21, off offset:512
	;; [unrolled: 2-line block ×6, first 2 shown]
	s_mov_b64 s[0:1], -1
	s_cbranch_execz .LBB1888_32
	s_branch .LBB1888_41
.LBB1888_31:
	s_mov_b64 s[0:1], 0
                                        ; implicit-def: $vgpr1
.LBB1888_32:
	s_barrier
	s_waitcnt lgkmcnt(0)
	ds_read_u16 v21, v12 offset:256
	ds_read_u16 v20, v13 offset:512
	;; [unrolled: 1-line block ×7, first 2 shown]
	s_sub_i32 s2, s14, s16
	v_cmp_gt_u32_e32 vcc, s2, v0
	s_and_saveexec_b64 s[0:1], vcc
	s_cbranch_execnz .LBB1888_46
; %bb.33:
	s_or_b64 exec, exec, s[0:1]
	v_cmp_gt_u32_e32 vcc, s2, v10
	s_and_saveexec_b64 s[0:1], vcc
	s_cbranch_execnz .LBB1888_47
.LBB1888_34:
	s_or_b64 exec, exec, s[0:1]
	v_cmp_gt_u32_e32 vcc, s2, v9
	s_and_saveexec_b64 s[0:1], vcc
	s_cbranch_execnz .LBB1888_48
.LBB1888_35:
	s_or_b64 exec, exec, s[0:1]
	v_cmp_gt_u32_e32 vcc, s2, v8
	s_and_saveexec_b64 s[0:1], vcc
	s_cbranch_execnz .LBB1888_49
.LBB1888_36:
	s_or_b64 exec, exec, s[0:1]
	v_cmp_gt_u32_e32 vcc, s2, v7
	s_and_saveexec_b64 s[0:1], vcc
	s_cbranch_execnz .LBB1888_50
.LBB1888_37:
	s_or_b64 exec, exec, s[0:1]
	v_cmp_gt_u32_e32 vcc, s2, v6
	s_and_saveexec_b64 s[0:1], vcc
	s_cbranch_execnz .LBB1888_51
.LBB1888_38:
	s_or_b64 exec, exec, s[0:1]
	v_cmp_gt_u32_e32 vcc, s2, v5
	s_and_saveexec_b64 s[0:1], vcc
	s_cbranch_execz .LBB1888_40
.LBB1888_39:
	s_waitcnt lgkmcnt(1)
	global_store_short v[2:3], v12, off offset:1536
.LBB1888_40:
	s_or_b64 exec, exec, s[0:1]
	v_cmp_gt_u32_e64 s[0:1], s2, v4
.LBB1888_41:
	s_and_saveexec_b64 s[2:3], s[0:1]
	s_cbranch_execz .LBB1888_43
; %bb.42:
	s_waitcnt lgkmcnt(0)
	global_store_short v[2:3], v1, off offset:1792
.LBB1888_43:
	s_endpgm
.LBB1888_44:
	v_mov_b32_e32 v2, s12
	v_add_co_u32_e32 v4, vcc, s11, v1
	v_mov_b32_e32 v3, 0
	v_addc_co_u32_e32 v5, vcc, 0, v2, vcc
	v_subrev_u32_e32 v2, s15, v0
	v_lshlrev_b64 v[2:3], 1, v[2:3]
	v_mov_b32_e32 v7, s9
	v_add_co_u32_e32 v2, vcc, s8, v2
	v_addc_co_u32_e32 v3, vcc, v7, v3, vcc
	v_cmp_gt_u32_e32 vcc, s15, v0
	v_cndmask_b32_e32 v3, v3, v5, vcc
	v_cndmask_b32_e32 v2, v2, v4, vcc
	global_load_ushort v2, v[2:3], off
	s_or_b64 exec, exec, s[0:1]
	v_cmp_gt_u32_e32 vcc, s17, v8
	s_and_saveexec_b64 s[2:3], vcc
	s_cbranch_execz .LBB1888_6
.LBB1888_45:
	v_mov_b32_e32 v9, 0
	v_lshlrev_b64 v[12:13], 1, v[8:9]
	v_mov_b32_e32 v7, s12
	v_add_co_u32_e32 v11, vcc, s11, v12
	v_addc_co_u32_e32 v7, vcc, v7, v13, vcc
	v_cmp_gt_u32_e32 vcc, s15, v8
	v_subrev_u32_e32 v8, s15, v8
	v_lshlrev_b64 v[8:9], 1, v[8:9]
	v_mov_b32_e32 v12, s9
	v_add_co_u32_e64 v8, s[0:1], s8, v8
	v_addc_co_u32_e64 v9, s[0:1], v12, v9, s[0:1]
	v_cndmask_b32_e32 v9, v9, v7, vcc
	v_cndmask_b32_e32 v8, v8, v11, vcc
	global_load_ushort v7, v[8:9], off
	s_mov_b32 s0, 0x5040100
	s_waitcnt vmcnt(0)
	v_perm_b32 v2, v7, v2, s0
	s_or_b64 exec, exec, s[2:3]
	v_cmp_gt_u32_e32 vcc, s17, v6
	s_and_saveexec_b64 s[0:1], vcc
	s_cbranch_execnz .LBB1888_7
	s_branch .LBB1888_8
.LBB1888_46:
	ds_read_u16 v0, v11
	s_waitcnt lgkmcnt(0)
	global_store_short v[2:3], v0, off
	s_or_b64 exec, exec, s[0:1]
	v_cmp_gt_u32_e32 vcc, s2, v10
	s_and_saveexec_b64 s[0:1], vcc
	s_cbranch_execz .LBB1888_34
.LBB1888_47:
	s_waitcnt lgkmcnt(6)
	global_store_short v[2:3], v21, off offset:256
	s_or_b64 exec, exec, s[0:1]
	v_cmp_gt_u32_e32 vcc, s2, v9
	s_and_saveexec_b64 s[0:1], vcc
	s_cbranch_execz .LBB1888_35
.LBB1888_48:
	s_waitcnt lgkmcnt(5)
	global_store_short v[2:3], v20, off offset:512
	s_or_b64 exec, exec, s[0:1]
	v_cmp_gt_u32_e32 vcc, s2, v8
	s_and_saveexec_b64 s[0:1], vcc
	s_cbranch_execz .LBB1888_36
.LBB1888_49:
	s_waitcnt lgkmcnt(4)
	global_store_short v[2:3], v19, off offset:768
	s_or_b64 exec, exec, s[0:1]
	v_cmp_gt_u32_e32 vcc, s2, v7
	s_and_saveexec_b64 s[0:1], vcc
	s_cbranch_execz .LBB1888_37
.LBB1888_50:
	s_waitcnt lgkmcnt(3)
	global_store_short v[2:3], v14, off offset:1024
	s_or_b64 exec, exec, s[0:1]
	v_cmp_gt_u32_e32 vcc, s2, v6
	s_and_saveexec_b64 s[0:1], vcc
	s_cbranch_execz .LBB1888_38
.LBB1888_51:
	s_waitcnt lgkmcnt(2)
	global_store_short v[2:3], v13, off offset:1280
	s_or_b64 exec, exec, s[0:1]
	v_cmp_gt_u32_e32 vcc, s2, v5
	s_and_saveexec_b64 s[0:1], vcc
	s_cbranch_execnz .LBB1888_39
	s_branch .LBB1888_40
	.section	.rodata,"a",@progbits
	.p2align	6, 0x0
	.amdhsa_kernel _ZN7rocprim17ROCPRIM_400000_NS6detail17trampoline_kernelINS0_14default_configENS1_38merge_sort_block_merge_config_selectorItNS0_10empty_typeEEEZZNS1_27merge_sort_block_merge_implIS3_PtPS5_jNS1_19radix_merge_compareILb1ELb1EtNS0_19identity_decomposerEEEEE10hipError_tT0_T1_T2_jT3_P12ihipStream_tbPNSt15iterator_traitsISE_E10value_typeEPNSK_ISF_E10value_typeEPSG_NS1_7vsmem_tEENKUlT_SE_SF_SG_E_clIS8_S8_S9_S9_EESD_ST_SE_SF_SG_EUlST_E0_NS1_11comp_targetILNS1_3genE4ELNS1_11target_archE910ELNS1_3gpuE8ELNS1_3repE0EEENS1_38merge_mergepath_config_static_selectorELNS0_4arch9wavefront6targetE1EEEvSF_
		.amdhsa_group_segment_fixed_size 2112
		.amdhsa_private_segment_fixed_size 0
		.amdhsa_kernarg_size 320
		.amdhsa_user_sgpr_count 6
		.amdhsa_user_sgpr_private_segment_buffer 1
		.amdhsa_user_sgpr_dispatch_ptr 0
		.amdhsa_user_sgpr_queue_ptr 0
		.amdhsa_user_sgpr_kernarg_segment_ptr 1
		.amdhsa_user_sgpr_dispatch_id 0
		.amdhsa_user_sgpr_flat_scratch_init 0
		.amdhsa_user_sgpr_kernarg_preload_length 0
		.amdhsa_user_sgpr_kernarg_preload_offset 0
		.amdhsa_user_sgpr_private_segment_size 0
		.amdhsa_uses_dynamic_stack 0
		.amdhsa_system_sgpr_private_segment_wavefront_offset 0
		.amdhsa_system_sgpr_workgroup_id_x 1
		.amdhsa_system_sgpr_workgroup_id_y 1
		.amdhsa_system_sgpr_workgroup_id_z 1
		.amdhsa_system_sgpr_workgroup_info 0
		.amdhsa_system_vgpr_workitem_id 0
		.amdhsa_next_free_vgpr 26
		.amdhsa_next_free_sgpr 25
		.amdhsa_accum_offset 28
		.amdhsa_reserve_vcc 1
		.amdhsa_reserve_flat_scratch 0
		.amdhsa_float_round_mode_32 0
		.amdhsa_float_round_mode_16_64 0
		.amdhsa_float_denorm_mode_32 3
		.amdhsa_float_denorm_mode_16_64 3
		.amdhsa_dx10_clamp 1
		.amdhsa_ieee_mode 1
		.amdhsa_fp16_overflow 0
		.amdhsa_tg_split 0
		.amdhsa_exception_fp_ieee_invalid_op 0
		.amdhsa_exception_fp_denorm_src 0
		.amdhsa_exception_fp_ieee_div_zero 0
		.amdhsa_exception_fp_ieee_overflow 0
		.amdhsa_exception_fp_ieee_underflow 0
		.amdhsa_exception_fp_ieee_inexact 0
		.amdhsa_exception_int_div_zero 0
	.end_amdhsa_kernel
	.section	.text._ZN7rocprim17ROCPRIM_400000_NS6detail17trampoline_kernelINS0_14default_configENS1_38merge_sort_block_merge_config_selectorItNS0_10empty_typeEEEZZNS1_27merge_sort_block_merge_implIS3_PtPS5_jNS1_19radix_merge_compareILb1ELb1EtNS0_19identity_decomposerEEEEE10hipError_tT0_T1_T2_jT3_P12ihipStream_tbPNSt15iterator_traitsISE_E10value_typeEPNSK_ISF_E10value_typeEPSG_NS1_7vsmem_tEENKUlT_SE_SF_SG_E_clIS8_S8_S9_S9_EESD_ST_SE_SF_SG_EUlST_E0_NS1_11comp_targetILNS1_3genE4ELNS1_11target_archE910ELNS1_3gpuE8ELNS1_3repE0EEENS1_38merge_mergepath_config_static_selectorELNS0_4arch9wavefront6targetE1EEEvSF_,"axG",@progbits,_ZN7rocprim17ROCPRIM_400000_NS6detail17trampoline_kernelINS0_14default_configENS1_38merge_sort_block_merge_config_selectorItNS0_10empty_typeEEEZZNS1_27merge_sort_block_merge_implIS3_PtPS5_jNS1_19radix_merge_compareILb1ELb1EtNS0_19identity_decomposerEEEEE10hipError_tT0_T1_T2_jT3_P12ihipStream_tbPNSt15iterator_traitsISE_E10value_typeEPNSK_ISF_E10value_typeEPSG_NS1_7vsmem_tEENKUlT_SE_SF_SG_E_clIS8_S8_S9_S9_EESD_ST_SE_SF_SG_EUlST_E0_NS1_11comp_targetILNS1_3genE4ELNS1_11target_archE910ELNS1_3gpuE8ELNS1_3repE0EEENS1_38merge_mergepath_config_static_selectorELNS0_4arch9wavefront6targetE1EEEvSF_,comdat
.Lfunc_end1888:
	.size	_ZN7rocprim17ROCPRIM_400000_NS6detail17trampoline_kernelINS0_14default_configENS1_38merge_sort_block_merge_config_selectorItNS0_10empty_typeEEEZZNS1_27merge_sort_block_merge_implIS3_PtPS5_jNS1_19radix_merge_compareILb1ELb1EtNS0_19identity_decomposerEEEEE10hipError_tT0_T1_T2_jT3_P12ihipStream_tbPNSt15iterator_traitsISE_E10value_typeEPNSK_ISF_E10value_typeEPSG_NS1_7vsmem_tEENKUlT_SE_SF_SG_E_clIS8_S8_S9_S9_EESD_ST_SE_SF_SG_EUlST_E0_NS1_11comp_targetILNS1_3genE4ELNS1_11target_archE910ELNS1_3gpuE8ELNS1_3repE0EEENS1_38merge_mergepath_config_static_selectorELNS0_4arch9wavefront6targetE1EEEvSF_, .Lfunc_end1888-_ZN7rocprim17ROCPRIM_400000_NS6detail17trampoline_kernelINS0_14default_configENS1_38merge_sort_block_merge_config_selectorItNS0_10empty_typeEEEZZNS1_27merge_sort_block_merge_implIS3_PtPS5_jNS1_19radix_merge_compareILb1ELb1EtNS0_19identity_decomposerEEEEE10hipError_tT0_T1_T2_jT3_P12ihipStream_tbPNSt15iterator_traitsISE_E10value_typeEPNSK_ISF_E10value_typeEPSG_NS1_7vsmem_tEENKUlT_SE_SF_SG_E_clIS8_S8_S9_S9_EESD_ST_SE_SF_SG_EUlST_E0_NS1_11comp_targetILNS1_3genE4ELNS1_11target_archE910ELNS1_3gpuE8ELNS1_3repE0EEENS1_38merge_mergepath_config_static_selectorELNS0_4arch9wavefront6targetE1EEEvSF_
                                        ; -- End function
	.section	.AMDGPU.csdata,"",@progbits
; Kernel info:
; codeLenInByte = 3920
; NumSgprs: 29
; NumVgprs: 26
; NumAgprs: 0
; TotalNumVgprs: 26
; ScratchSize: 0
; MemoryBound: 0
; FloatMode: 240
; IeeeMode: 1
; LDSByteSize: 2112 bytes/workgroup (compile time only)
; SGPRBlocks: 3
; VGPRBlocks: 3
; NumSGPRsForWavesPerEU: 29
; NumVGPRsForWavesPerEU: 26
; AccumOffset: 28
; Occupancy: 8
; WaveLimiterHint : 1
; COMPUTE_PGM_RSRC2:SCRATCH_EN: 0
; COMPUTE_PGM_RSRC2:USER_SGPR: 6
; COMPUTE_PGM_RSRC2:TRAP_HANDLER: 0
; COMPUTE_PGM_RSRC2:TGID_X_EN: 1
; COMPUTE_PGM_RSRC2:TGID_Y_EN: 1
; COMPUTE_PGM_RSRC2:TGID_Z_EN: 1
; COMPUTE_PGM_RSRC2:TIDIG_COMP_CNT: 0
; COMPUTE_PGM_RSRC3_GFX90A:ACCUM_OFFSET: 6
; COMPUTE_PGM_RSRC3_GFX90A:TG_SPLIT: 0
	.section	.text._ZN7rocprim17ROCPRIM_400000_NS6detail17trampoline_kernelINS0_14default_configENS1_38merge_sort_block_merge_config_selectorItNS0_10empty_typeEEEZZNS1_27merge_sort_block_merge_implIS3_PtPS5_jNS1_19radix_merge_compareILb1ELb1EtNS0_19identity_decomposerEEEEE10hipError_tT0_T1_T2_jT3_P12ihipStream_tbPNSt15iterator_traitsISE_E10value_typeEPNSK_ISF_E10value_typeEPSG_NS1_7vsmem_tEENKUlT_SE_SF_SG_E_clIS8_S8_S9_S9_EESD_ST_SE_SF_SG_EUlST_E0_NS1_11comp_targetILNS1_3genE3ELNS1_11target_archE908ELNS1_3gpuE7ELNS1_3repE0EEENS1_38merge_mergepath_config_static_selectorELNS0_4arch9wavefront6targetE1EEEvSF_,"axG",@progbits,_ZN7rocprim17ROCPRIM_400000_NS6detail17trampoline_kernelINS0_14default_configENS1_38merge_sort_block_merge_config_selectorItNS0_10empty_typeEEEZZNS1_27merge_sort_block_merge_implIS3_PtPS5_jNS1_19radix_merge_compareILb1ELb1EtNS0_19identity_decomposerEEEEE10hipError_tT0_T1_T2_jT3_P12ihipStream_tbPNSt15iterator_traitsISE_E10value_typeEPNSK_ISF_E10value_typeEPSG_NS1_7vsmem_tEENKUlT_SE_SF_SG_E_clIS8_S8_S9_S9_EESD_ST_SE_SF_SG_EUlST_E0_NS1_11comp_targetILNS1_3genE3ELNS1_11target_archE908ELNS1_3gpuE7ELNS1_3repE0EEENS1_38merge_mergepath_config_static_selectorELNS0_4arch9wavefront6targetE1EEEvSF_,comdat
	.protected	_ZN7rocprim17ROCPRIM_400000_NS6detail17trampoline_kernelINS0_14default_configENS1_38merge_sort_block_merge_config_selectorItNS0_10empty_typeEEEZZNS1_27merge_sort_block_merge_implIS3_PtPS5_jNS1_19radix_merge_compareILb1ELb1EtNS0_19identity_decomposerEEEEE10hipError_tT0_T1_T2_jT3_P12ihipStream_tbPNSt15iterator_traitsISE_E10value_typeEPNSK_ISF_E10value_typeEPSG_NS1_7vsmem_tEENKUlT_SE_SF_SG_E_clIS8_S8_S9_S9_EESD_ST_SE_SF_SG_EUlST_E0_NS1_11comp_targetILNS1_3genE3ELNS1_11target_archE908ELNS1_3gpuE7ELNS1_3repE0EEENS1_38merge_mergepath_config_static_selectorELNS0_4arch9wavefront6targetE1EEEvSF_ ; -- Begin function _ZN7rocprim17ROCPRIM_400000_NS6detail17trampoline_kernelINS0_14default_configENS1_38merge_sort_block_merge_config_selectorItNS0_10empty_typeEEEZZNS1_27merge_sort_block_merge_implIS3_PtPS5_jNS1_19radix_merge_compareILb1ELb1EtNS0_19identity_decomposerEEEEE10hipError_tT0_T1_T2_jT3_P12ihipStream_tbPNSt15iterator_traitsISE_E10value_typeEPNSK_ISF_E10value_typeEPSG_NS1_7vsmem_tEENKUlT_SE_SF_SG_E_clIS8_S8_S9_S9_EESD_ST_SE_SF_SG_EUlST_E0_NS1_11comp_targetILNS1_3genE3ELNS1_11target_archE908ELNS1_3gpuE7ELNS1_3repE0EEENS1_38merge_mergepath_config_static_selectorELNS0_4arch9wavefront6targetE1EEEvSF_
	.globl	_ZN7rocprim17ROCPRIM_400000_NS6detail17trampoline_kernelINS0_14default_configENS1_38merge_sort_block_merge_config_selectorItNS0_10empty_typeEEEZZNS1_27merge_sort_block_merge_implIS3_PtPS5_jNS1_19radix_merge_compareILb1ELb1EtNS0_19identity_decomposerEEEEE10hipError_tT0_T1_T2_jT3_P12ihipStream_tbPNSt15iterator_traitsISE_E10value_typeEPNSK_ISF_E10value_typeEPSG_NS1_7vsmem_tEENKUlT_SE_SF_SG_E_clIS8_S8_S9_S9_EESD_ST_SE_SF_SG_EUlST_E0_NS1_11comp_targetILNS1_3genE3ELNS1_11target_archE908ELNS1_3gpuE7ELNS1_3repE0EEENS1_38merge_mergepath_config_static_selectorELNS0_4arch9wavefront6targetE1EEEvSF_
	.p2align	8
	.type	_ZN7rocprim17ROCPRIM_400000_NS6detail17trampoline_kernelINS0_14default_configENS1_38merge_sort_block_merge_config_selectorItNS0_10empty_typeEEEZZNS1_27merge_sort_block_merge_implIS3_PtPS5_jNS1_19radix_merge_compareILb1ELb1EtNS0_19identity_decomposerEEEEE10hipError_tT0_T1_T2_jT3_P12ihipStream_tbPNSt15iterator_traitsISE_E10value_typeEPNSK_ISF_E10value_typeEPSG_NS1_7vsmem_tEENKUlT_SE_SF_SG_E_clIS8_S8_S9_S9_EESD_ST_SE_SF_SG_EUlST_E0_NS1_11comp_targetILNS1_3genE3ELNS1_11target_archE908ELNS1_3gpuE7ELNS1_3repE0EEENS1_38merge_mergepath_config_static_selectorELNS0_4arch9wavefront6targetE1EEEvSF_,@function
_ZN7rocprim17ROCPRIM_400000_NS6detail17trampoline_kernelINS0_14default_configENS1_38merge_sort_block_merge_config_selectorItNS0_10empty_typeEEEZZNS1_27merge_sort_block_merge_implIS3_PtPS5_jNS1_19radix_merge_compareILb1ELb1EtNS0_19identity_decomposerEEEEE10hipError_tT0_T1_T2_jT3_P12ihipStream_tbPNSt15iterator_traitsISE_E10value_typeEPNSK_ISF_E10value_typeEPSG_NS1_7vsmem_tEENKUlT_SE_SF_SG_E_clIS8_S8_S9_S9_EESD_ST_SE_SF_SG_EUlST_E0_NS1_11comp_targetILNS1_3genE3ELNS1_11target_archE908ELNS1_3gpuE7ELNS1_3repE0EEENS1_38merge_mergepath_config_static_selectorELNS0_4arch9wavefront6targetE1EEEvSF_: ; @_ZN7rocprim17ROCPRIM_400000_NS6detail17trampoline_kernelINS0_14default_configENS1_38merge_sort_block_merge_config_selectorItNS0_10empty_typeEEEZZNS1_27merge_sort_block_merge_implIS3_PtPS5_jNS1_19radix_merge_compareILb1ELb1EtNS0_19identity_decomposerEEEEE10hipError_tT0_T1_T2_jT3_P12ihipStream_tbPNSt15iterator_traitsISE_E10value_typeEPNSK_ISF_E10value_typeEPSG_NS1_7vsmem_tEENKUlT_SE_SF_SG_E_clIS8_S8_S9_S9_EESD_ST_SE_SF_SG_EUlST_E0_NS1_11comp_targetILNS1_3genE3ELNS1_11target_archE908ELNS1_3gpuE7ELNS1_3repE0EEENS1_38merge_mergepath_config_static_selectorELNS0_4arch9wavefront6targetE1EEEvSF_
; %bb.0:
	.section	.rodata,"a",@progbits
	.p2align	6, 0x0
	.amdhsa_kernel _ZN7rocprim17ROCPRIM_400000_NS6detail17trampoline_kernelINS0_14default_configENS1_38merge_sort_block_merge_config_selectorItNS0_10empty_typeEEEZZNS1_27merge_sort_block_merge_implIS3_PtPS5_jNS1_19radix_merge_compareILb1ELb1EtNS0_19identity_decomposerEEEEE10hipError_tT0_T1_T2_jT3_P12ihipStream_tbPNSt15iterator_traitsISE_E10value_typeEPNSK_ISF_E10value_typeEPSG_NS1_7vsmem_tEENKUlT_SE_SF_SG_E_clIS8_S8_S9_S9_EESD_ST_SE_SF_SG_EUlST_E0_NS1_11comp_targetILNS1_3genE3ELNS1_11target_archE908ELNS1_3gpuE7ELNS1_3repE0EEENS1_38merge_mergepath_config_static_selectorELNS0_4arch9wavefront6targetE1EEEvSF_
		.amdhsa_group_segment_fixed_size 0
		.amdhsa_private_segment_fixed_size 0
		.amdhsa_kernarg_size 64
		.amdhsa_user_sgpr_count 6
		.amdhsa_user_sgpr_private_segment_buffer 1
		.amdhsa_user_sgpr_dispatch_ptr 0
		.amdhsa_user_sgpr_queue_ptr 0
		.amdhsa_user_sgpr_kernarg_segment_ptr 1
		.amdhsa_user_sgpr_dispatch_id 0
		.amdhsa_user_sgpr_flat_scratch_init 0
		.amdhsa_user_sgpr_kernarg_preload_length 0
		.amdhsa_user_sgpr_kernarg_preload_offset 0
		.amdhsa_user_sgpr_private_segment_size 0
		.amdhsa_uses_dynamic_stack 0
		.amdhsa_system_sgpr_private_segment_wavefront_offset 0
		.amdhsa_system_sgpr_workgroup_id_x 1
		.amdhsa_system_sgpr_workgroup_id_y 0
		.amdhsa_system_sgpr_workgroup_id_z 0
		.amdhsa_system_sgpr_workgroup_info 0
		.amdhsa_system_vgpr_workitem_id 0
		.amdhsa_next_free_vgpr 1
		.amdhsa_next_free_sgpr 0
		.amdhsa_accum_offset 4
		.amdhsa_reserve_vcc 0
		.amdhsa_reserve_flat_scratch 0
		.amdhsa_float_round_mode_32 0
		.amdhsa_float_round_mode_16_64 0
		.amdhsa_float_denorm_mode_32 3
		.amdhsa_float_denorm_mode_16_64 3
		.amdhsa_dx10_clamp 1
		.amdhsa_ieee_mode 1
		.amdhsa_fp16_overflow 0
		.amdhsa_tg_split 0
		.amdhsa_exception_fp_ieee_invalid_op 0
		.amdhsa_exception_fp_denorm_src 0
		.amdhsa_exception_fp_ieee_div_zero 0
		.amdhsa_exception_fp_ieee_overflow 0
		.amdhsa_exception_fp_ieee_underflow 0
		.amdhsa_exception_fp_ieee_inexact 0
		.amdhsa_exception_int_div_zero 0
	.end_amdhsa_kernel
	.section	.text._ZN7rocprim17ROCPRIM_400000_NS6detail17trampoline_kernelINS0_14default_configENS1_38merge_sort_block_merge_config_selectorItNS0_10empty_typeEEEZZNS1_27merge_sort_block_merge_implIS3_PtPS5_jNS1_19radix_merge_compareILb1ELb1EtNS0_19identity_decomposerEEEEE10hipError_tT0_T1_T2_jT3_P12ihipStream_tbPNSt15iterator_traitsISE_E10value_typeEPNSK_ISF_E10value_typeEPSG_NS1_7vsmem_tEENKUlT_SE_SF_SG_E_clIS8_S8_S9_S9_EESD_ST_SE_SF_SG_EUlST_E0_NS1_11comp_targetILNS1_3genE3ELNS1_11target_archE908ELNS1_3gpuE7ELNS1_3repE0EEENS1_38merge_mergepath_config_static_selectorELNS0_4arch9wavefront6targetE1EEEvSF_,"axG",@progbits,_ZN7rocprim17ROCPRIM_400000_NS6detail17trampoline_kernelINS0_14default_configENS1_38merge_sort_block_merge_config_selectorItNS0_10empty_typeEEEZZNS1_27merge_sort_block_merge_implIS3_PtPS5_jNS1_19radix_merge_compareILb1ELb1EtNS0_19identity_decomposerEEEEE10hipError_tT0_T1_T2_jT3_P12ihipStream_tbPNSt15iterator_traitsISE_E10value_typeEPNSK_ISF_E10value_typeEPSG_NS1_7vsmem_tEENKUlT_SE_SF_SG_E_clIS8_S8_S9_S9_EESD_ST_SE_SF_SG_EUlST_E0_NS1_11comp_targetILNS1_3genE3ELNS1_11target_archE908ELNS1_3gpuE7ELNS1_3repE0EEENS1_38merge_mergepath_config_static_selectorELNS0_4arch9wavefront6targetE1EEEvSF_,comdat
.Lfunc_end1889:
	.size	_ZN7rocprim17ROCPRIM_400000_NS6detail17trampoline_kernelINS0_14default_configENS1_38merge_sort_block_merge_config_selectorItNS0_10empty_typeEEEZZNS1_27merge_sort_block_merge_implIS3_PtPS5_jNS1_19radix_merge_compareILb1ELb1EtNS0_19identity_decomposerEEEEE10hipError_tT0_T1_T2_jT3_P12ihipStream_tbPNSt15iterator_traitsISE_E10value_typeEPNSK_ISF_E10value_typeEPSG_NS1_7vsmem_tEENKUlT_SE_SF_SG_E_clIS8_S8_S9_S9_EESD_ST_SE_SF_SG_EUlST_E0_NS1_11comp_targetILNS1_3genE3ELNS1_11target_archE908ELNS1_3gpuE7ELNS1_3repE0EEENS1_38merge_mergepath_config_static_selectorELNS0_4arch9wavefront6targetE1EEEvSF_, .Lfunc_end1889-_ZN7rocprim17ROCPRIM_400000_NS6detail17trampoline_kernelINS0_14default_configENS1_38merge_sort_block_merge_config_selectorItNS0_10empty_typeEEEZZNS1_27merge_sort_block_merge_implIS3_PtPS5_jNS1_19radix_merge_compareILb1ELb1EtNS0_19identity_decomposerEEEEE10hipError_tT0_T1_T2_jT3_P12ihipStream_tbPNSt15iterator_traitsISE_E10value_typeEPNSK_ISF_E10value_typeEPSG_NS1_7vsmem_tEENKUlT_SE_SF_SG_E_clIS8_S8_S9_S9_EESD_ST_SE_SF_SG_EUlST_E0_NS1_11comp_targetILNS1_3genE3ELNS1_11target_archE908ELNS1_3gpuE7ELNS1_3repE0EEENS1_38merge_mergepath_config_static_selectorELNS0_4arch9wavefront6targetE1EEEvSF_
                                        ; -- End function
	.section	.AMDGPU.csdata,"",@progbits
; Kernel info:
; codeLenInByte = 0
; NumSgprs: 4
; NumVgprs: 0
; NumAgprs: 0
; TotalNumVgprs: 0
; ScratchSize: 0
; MemoryBound: 0
; FloatMode: 240
; IeeeMode: 1
; LDSByteSize: 0 bytes/workgroup (compile time only)
; SGPRBlocks: 0
; VGPRBlocks: 0
; NumSGPRsForWavesPerEU: 4
; NumVGPRsForWavesPerEU: 1
; AccumOffset: 4
; Occupancy: 8
; WaveLimiterHint : 0
; COMPUTE_PGM_RSRC2:SCRATCH_EN: 0
; COMPUTE_PGM_RSRC2:USER_SGPR: 6
; COMPUTE_PGM_RSRC2:TRAP_HANDLER: 0
; COMPUTE_PGM_RSRC2:TGID_X_EN: 1
; COMPUTE_PGM_RSRC2:TGID_Y_EN: 0
; COMPUTE_PGM_RSRC2:TGID_Z_EN: 0
; COMPUTE_PGM_RSRC2:TIDIG_COMP_CNT: 0
; COMPUTE_PGM_RSRC3_GFX90A:ACCUM_OFFSET: 0
; COMPUTE_PGM_RSRC3_GFX90A:TG_SPLIT: 0
	.section	.text._ZN7rocprim17ROCPRIM_400000_NS6detail17trampoline_kernelINS0_14default_configENS1_38merge_sort_block_merge_config_selectorItNS0_10empty_typeEEEZZNS1_27merge_sort_block_merge_implIS3_PtPS5_jNS1_19radix_merge_compareILb1ELb1EtNS0_19identity_decomposerEEEEE10hipError_tT0_T1_T2_jT3_P12ihipStream_tbPNSt15iterator_traitsISE_E10value_typeEPNSK_ISF_E10value_typeEPSG_NS1_7vsmem_tEENKUlT_SE_SF_SG_E_clIS8_S8_S9_S9_EESD_ST_SE_SF_SG_EUlST_E0_NS1_11comp_targetILNS1_3genE2ELNS1_11target_archE906ELNS1_3gpuE6ELNS1_3repE0EEENS1_38merge_mergepath_config_static_selectorELNS0_4arch9wavefront6targetE1EEEvSF_,"axG",@progbits,_ZN7rocprim17ROCPRIM_400000_NS6detail17trampoline_kernelINS0_14default_configENS1_38merge_sort_block_merge_config_selectorItNS0_10empty_typeEEEZZNS1_27merge_sort_block_merge_implIS3_PtPS5_jNS1_19radix_merge_compareILb1ELb1EtNS0_19identity_decomposerEEEEE10hipError_tT0_T1_T2_jT3_P12ihipStream_tbPNSt15iterator_traitsISE_E10value_typeEPNSK_ISF_E10value_typeEPSG_NS1_7vsmem_tEENKUlT_SE_SF_SG_E_clIS8_S8_S9_S9_EESD_ST_SE_SF_SG_EUlST_E0_NS1_11comp_targetILNS1_3genE2ELNS1_11target_archE906ELNS1_3gpuE6ELNS1_3repE0EEENS1_38merge_mergepath_config_static_selectorELNS0_4arch9wavefront6targetE1EEEvSF_,comdat
	.protected	_ZN7rocprim17ROCPRIM_400000_NS6detail17trampoline_kernelINS0_14default_configENS1_38merge_sort_block_merge_config_selectorItNS0_10empty_typeEEEZZNS1_27merge_sort_block_merge_implIS3_PtPS5_jNS1_19radix_merge_compareILb1ELb1EtNS0_19identity_decomposerEEEEE10hipError_tT0_T1_T2_jT3_P12ihipStream_tbPNSt15iterator_traitsISE_E10value_typeEPNSK_ISF_E10value_typeEPSG_NS1_7vsmem_tEENKUlT_SE_SF_SG_E_clIS8_S8_S9_S9_EESD_ST_SE_SF_SG_EUlST_E0_NS1_11comp_targetILNS1_3genE2ELNS1_11target_archE906ELNS1_3gpuE6ELNS1_3repE0EEENS1_38merge_mergepath_config_static_selectorELNS0_4arch9wavefront6targetE1EEEvSF_ ; -- Begin function _ZN7rocprim17ROCPRIM_400000_NS6detail17trampoline_kernelINS0_14default_configENS1_38merge_sort_block_merge_config_selectorItNS0_10empty_typeEEEZZNS1_27merge_sort_block_merge_implIS3_PtPS5_jNS1_19radix_merge_compareILb1ELb1EtNS0_19identity_decomposerEEEEE10hipError_tT0_T1_T2_jT3_P12ihipStream_tbPNSt15iterator_traitsISE_E10value_typeEPNSK_ISF_E10value_typeEPSG_NS1_7vsmem_tEENKUlT_SE_SF_SG_E_clIS8_S8_S9_S9_EESD_ST_SE_SF_SG_EUlST_E0_NS1_11comp_targetILNS1_3genE2ELNS1_11target_archE906ELNS1_3gpuE6ELNS1_3repE0EEENS1_38merge_mergepath_config_static_selectorELNS0_4arch9wavefront6targetE1EEEvSF_
	.globl	_ZN7rocprim17ROCPRIM_400000_NS6detail17trampoline_kernelINS0_14default_configENS1_38merge_sort_block_merge_config_selectorItNS0_10empty_typeEEEZZNS1_27merge_sort_block_merge_implIS3_PtPS5_jNS1_19radix_merge_compareILb1ELb1EtNS0_19identity_decomposerEEEEE10hipError_tT0_T1_T2_jT3_P12ihipStream_tbPNSt15iterator_traitsISE_E10value_typeEPNSK_ISF_E10value_typeEPSG_NS1_7vsmem_tEENKUlT_SE_SF_SG_E_clIS8_S8_S9_S9_EESD_ST_SE_SF_SG_EUlST_E0_NS1_11comp_targetILNS1_3genE2ELNS1_11target_archE906ELNS1_3gpuE6ELNS1_3repE0EEENS1_38merge_mergepath_config_static_selectorELNS0_4arch9wavefront6targetE1EEEvSF_
	.p2align	8
	.type	_ZN7rocprim17ROCPRIM_400000_NS6detail17trampoline_kernelINS0_14default_configENS1_38merge_sort_block_merge_config_selectorItNS0_10empty_typeEEEZZNS1_27merge_sort_block_merge_implIS3_PtPS5_jNS1_19radix_merge_compareILb1ELb1EtNS0_19identity_decomposerEEEEE10hipError_tT0_T1_T2_jT3_P12ihipStream_tbPNSt15iterator_traitsISE_E10value_typeEPNSK_ISF_E10value_typeEPSG_NS1_7vsmem_tEENKUlT_SE_SF_SG_E_clIS8_S8_S9_S9_EESD_ST_SE_SF_SG_EUlST_E0_NS1_11comp_targetILNS1_3genE2ELNS1_11target_archE906ELNS1_3gpuE6ELNS1_3repE0EEENS1_38merge_mergepath_config_static_selectorELNS0_4arch9wavefront6targetE1EEEvSF_,@function
_ZN7rocprim17ROCPRIM_400000_NS6detail17trampoline_kernelINS0_14default_configENS1_38merge_sort_block_merge_config_selectorItNS0_10empty_typeEEEZZNS1_27merge_sort_block_merge_implIS3_PtPS5_jNS1_19radix_merge_compareILb1ELb1EtNS0_19identity_decomposerEEEEE10hipError_tT0_T1_T2_jT3_P12ihipStream_tbPNSt15iterator_traitsISE_E10value_typeEPNSK_ISF_E10value_typeEPSG_NS1_7vsmem_tEENKUlT_SE_SF_SG_E_clIS8_S8_S9_S9_EESD_ST_SE_SF_SG_EUlST_E0_NS1_11comp_targetILNS1_3genE2ELNS1_11target_archE906ELNS1_3gpuE6ELNS1_3repE0EEENS1_38merge_mergepath_config_static_selectorELNS0_4arch9wavefront6targetE1EEEvSF_: ; @_ZN7rocprim17ROCPRIM_400000_NS6detail17trampoline_kernelINS0_14default_configENS1_38merge_sort_block_merge_config_selectorItNS0_10empty_typeEEEZZNS1_27merge_sort_block_merge_implIS3_PtPS5_jNS1_19radix_merge_compareILb1ELb1EtNS0_19identity_decomposerEEEEE10hipError_tT0_T1_T2_jT3_P12ihipStream_tbPNSt15iterator_traitsISE_E10value_typeEPNSK_ISF_E10value_typeEPSG_NS1_7vsmem_tEENKUlT_SE_SF_SG_E_clIS8_S8_S9_S9_EESD_ST_SE_SF_SG_EUlST_E0_NS1_11comp_targetILNS1_3genE2ELNS1_11target_archE906ELNS1_3gpuE6ELNS1_3repE0EEENS1_38merge_mergepath_config_static_selectorELNS0_4arch9wavefront6targetE1EEEvSF_
; %bb.0:
	.section	.rodata,"a",@progbits
	.p2align	6, 0x0
	.amdhsa_kernel _ZN7rocprim17ROCPRIM_400000_NS6detail17trampoline_kernelINS0_14default_configENS1_38merge_sort_block_merge_config_selectorItNS0_10empty_typeEEEZZNS1_27merge_sort_block_merge_implIS3_PtPS5_jNS1_19radix_merge_compareILb1ELb1EtNS0_19identity_decomposerEEEEE10hipError_tT0_T1_T2_jT3_P12ihipStream_tbPNSt15iterator_traitsISE_E10value_typeEPNSK_ISF_E10value_typeEPSG_NS1_7vsmem_tEENKUlT_SE_SF_SG_E_clIS8_S8_S9_S9_EESD_ST_SE_SF_SG_EUlST_E0_NS1_11comp_targetILNS1_3genE2ELNS1_11target_archE906ELNS1_3gpuE6ELNS1_3repE0EEENS1_38merge_mergepath_config_static_selectorELNS0_4arch9wavefront6targetE1EEEvSF_
		.amdhsa_group_segment_fixed_size 0
		.amdhsa_private_segment_fixed_size 0
		.amdhsa_kernarg_size 64
		.amdhsa_user_sgpr_count 6
		.amdhsa_user_sgpr_private_segment_buffer 1
		.amdhsa_user_sgpr_dispatch_ptr 0
		.amdhsa_user_sgpr_queue_ptr 0
		.amdhsa_user_sgpr_kernarg_segment_ptr 1
		.amdhsa_user_sgpr_dispatch_id 0
		.amdhsa_user_sgpr_flat_scratch_init 0
		.amdhsa_user_sgpr_kernarg_preload_length 0
		.amdhsa_user_sgpr_kernarg_preload_offset 0
		.amdhsa_user_sgpr_private_segment_size 0
		.amdhsa_uses_dynamic_stack 0
		.amdhsa_system_sgpr_private_segment_wavefront_offset 0
		.amdhsa_system_sgpr_workgroup_id_x 1
		.amdhsa_system_sgpr_workgroup_id_y 0
		.amdhsa_system_sgpr_workgroup_id_z 0
		.amdhsa_system_sgpr_workgroup_info 0
		.amdhsa_system_vgpr_workitem_id 0
		.amdhsa_next_free_vgpr 1
		.amdhsa_next_free_sgpr 0
		.amdhsa_accum_offset 4
		.amdhsa_reserve_vcc 0
		.amdhsa_reserve_flat_scratch 0
		.amdhsa_float_round_mode_32 0
		.amdhsa_float_round_mode_16_64 0
		.amdhsa_float_denorm_mode_32 3
		.amdhsa_float_denorm_mode_16_64 3
		.amdhsa_dx10_clamp 1
		.amdhsa_ieee_mode 1
		.amdhsa_fp16_overflow 0
		.amdhsa_tg_split 0
		.amdhsa_exception_fp_ieee_invalid_op 0
		.amdhsa_exception_fp_denorm_src 0
		.amdhsa_exception_fp_ieee_div_zero 0
		.amdhsa_exception_fp_ieee_overflow 0
		.amdhsa_exception_fp_ieee_underflow 0
		.amdhsa_exception_fp_ieee_inexact 0
		.amdhsa_exception_int_div_zero 0
	.end_amdhsa_kernel
	.section	.text._ZN7rocprim17ROCPRIM_400000_NS6detail17trampoline_kernelINS0_14default_configENS1_38merge_sort_block_merge_config_selectorItNS0_10empty_typeEEEZZNS1_27merge_sort_block_merge_implIS3_PtPS5_jNS1_19radix_merge_compareILb1ELb1EtNS0_19identity_decomposerEEEEE10hipError_tT0_T1_T2_jT3_P12ihipStream_tbPNSt15iterator_traitsISE_E10value_typeEPNSK_ISF_E10value_typeEPSG_NS1_7vsmem_tEENKUlT_SE_SF_SG_E_clIS8_S8_S9_S9_EESD_ST_SE_SF_SG_EUlST_E0_NS1_11comp_targetILNS1_3genE2ELNS1_11target_archE906ELNS1_3gpuE6ELNS1_3repE0EEENS1_38merge_mergepath_config_static_selectorELNS0_4arch9wavefront6targetE1EEEvSF_,"axG",@progbits,_ZN7rocprim17ROCPRIM_400000_NS6detail17trampoline_kernelINS0_14default_configENS1_38merge_sort_block_merge_config_selectorItNS0_10empty_typeEEEZZNS1_27merge_sort_block_merge_implIS3_PtPS5_jNS1_19radix_merge_compareILb1ELb1EtNS0_19identity_decomposerEEEEE10hipError_tT0_T1_T2_jT3_P12ihipStream_tbPNSt15iterator_traitsISE_E10value_typeEPNSK_ISF_E10value_typeEPSG_NS1_7vsmem_tEENKUlT_SE_SF_SG_E_clIS8_S8_S9_S9_EESD_ST_SE_SF_SG_EUlST_E0_NS1_11comp_targetILNS1_3genE2ELNS1_11target_archE906ELNS1_3gpuE6ELNS1_3repE0EEENS1_38merge_mergepath_config_static_selectorELNS0_4arch9wavefront6targetE1EEEvSF_,comdat
.Lfunc_end1890:
	.size	_ZN7rocprim17ROCPRIM_400000_NS6detail17trampoline_kernelINS0_14default_configENS1_38merge_sort_block_merge_config_selectorItNS0_10empty_typeEEEZZNS1_27merge_sort_block_merge_implIS3_PtPS5_jNS1_19radix_merge_compareILb1ELb1EtNS0_19identity_decomposerEEEEE10hipError_tT0_T1_T2_jT3_P12ihipStream_tbPNSt15iterator_traitsISE_E10value_typeEPNSK_ISF_E10value_typeEPSG_NS1_7vsmem_tEENKUlT_SE_SF_SG_E_clIS8_S8_S9_S9_EESD_ST_SE_SF_SG_EUlST_E0_NS1_11comp_targetILNS1_3genE2ELNS1_11target_archE906ELNS1_3gpuE6ELNS1_3repE0EEENS1_38merge_mergepath_config_static_selectorELNS0_4arch9wavefront6targetE1EEEvSF_, .Lfunc_end1890-_ZN7rocprim17ROCPRIM_400000_NS6detail17trampoline_kernelINS0_14default_configENS1_38merge_sort_block_merge_config_selectorItNS0_10empty_typeEEEZZNS1_27merge_sort_block_merge_implIS3_PtPS5_jNS1_19radix_merge_compareILb1ELb1EtNS0_19identity_decomposerEEEEE10hipError_tT0_T1_T2_jT3_P12ihipStream_tbPNSt15iterator_traitsISE_E10value_typeEPNSK_ISF_E10value_typeEPSG_NS1_7vsmem_tEENKUlT_SE_SF_SG_E_clIS8_S8_S9_S9_EESD_ST_SE_SF_SG_EUlST_E0_NS1_11comp_targetILNS1_3genE2ELNS1_11target_archE906ELNS1_3gpuE6ELNS1_3repE0EEENS1_38merge_mergepath_config_static_selectorELNS0_4arch9wavefront6targetE1EEEvSF_
                                        ; -- End function
	.section	.AMDGPU.csdata,"",@progbits
; Kernel info:
; codeLenInByte = 0
; NumSgprs: 4
; NumVgprs: 0
; NumAgprs: 0
; TotalNumVgprs: 0
; ScratchSize: 0
; MemoryBound: 0
; FloatMode: 240
; IeeeMode: 1
; LDSByteSize: 0 bytes/workgroup (compile time only)
; SGPRBlocks: 0
; VGPRBlocks: 0
; NumSGPRsForWavesPerEU: 4
; NumVGPRsForWavesPerEU: 1
; AccumOffset: 4
; Occupancy: 8
; WaveLimiterHint : 0
; COMPUTE_PGM_RSRC2:SCRATCH_EN: 0
; COMPUTE_PGM_RSRC2:USER_SGPR: 6
; COMPUTE_PGM_RSRC2:TRAP_HANDLER: 0
; COMPUTE_PGM_RSRC2:TGID_X_EN: 1
; COMPUTE_PGM_RSRC2:TGID_Y_EN: 0
; COMPUTE_PGM_RSRC2:TGID_Z_EN: 0
; COMPUTE_PGM_RSRC2:TIDIG_COMP_CNT: 0
; COMPUTE_PGM_RSRC3_GFX90A:ACCUM_OFFSET: 0
; COMPUTE_PGM_RSRC3_GFX90A:TG_SPLIT: 0
	.section	.text._ZN7rocprim17ROCPRIM_400000_NS6detail17trampoline_kernelINS0_14default_configENS1_38merge_sort_block_merge_config_selectorItNS0_10empty_typeEEEZZNS1_27merge_sort_block_merge_implIS3_PtPS5_jNS1_19radix_merge_compareILb1ELb1EtNS0_19identity_decomposerEEEEE10hipError_tT0_T1_T2_jT3_P12ihipStream_tbPNSt15iterator_traitsISE_E10value_typeEPNSK_ISF_E10value_typeEPSG_NS1_7vsmem_tEENKUlT_SE_SF_SG_E_clIS8_S8_S9_S9_EESD_ST_SE_SF_SG_EUlST_E0_NS1_11comp_targetILNS1_3genE9ELNS1_11target_archE1100ELNS1_3gpuE3ELNS1_3repE0EEENS1_38merge_mergepath_config_static_selectorELNS0_4arch9wavefront6targetE1EEEvSF_,"axG",@progbits,_ZN7rocprim17ROCPRIM_400000_NS6detail17trampoline_kernelINS0_14default_configENS1_38merge_sort_block_merge_config_selectorItNS0_10empty_typeEEEZZNS1_27merge_sort_block_merge_implIS3_PtPS5_jNS1_19radix_merge_compareILb1ELb1EtNS0_19identity_decomposerEEEEE10hipError_tT0_T1_T2_jT3_P12ihipStream_tbPNSt15iterator_traitsISE_E10value_typeEPNSK_ISF_E10value_typeEPSG_NS1_7vsmem_tEENKUlT_SE_SF_SG_E_clIS8_S8_S9_S9_EESD_ST_SE_SF_SG_EUlST_E0_NS1_11comp_targetILNS1_3genE9ELNS1_11target_archE1100ELNS1_3gpuE3ELNS1_3repE0EEENS1_38merge_mergepath_config_static_selectorELNS0_4arch9wavefront6targetE1EEEvSF_,comdat
	.protected	_ZN7rocprim17ROCPRIM_400000_NS6detail17trampoline_kernelINS0_14default_configENS1_38merge_sort_block_merge_config_selectorItNS0_10empty_typeEEEZZNS1_27merge_sort_block_merge_implIS3_PtPS5_jNS1_19radix_merge_compareILb1ELb1EtNS0_19identity_decomposerEEEEE10hipError_tT0_T1_T2_jT3_P12ihipStream_tbPNSt15iterator_traitsISE_E10value_typeEPNSK_ISF_E10value_typeEPSG_NS1_7vsmem_tEENKUlT_SE_SF_SG_E_clIS8_S8_S9_S9_EESD_ST_SE_SF_SG_EUlST_E0_NS1_11comp_targetILNS1_3genE9ELNS1_11target_archE1100ELNS1_3gpuE3ELNS1_3repE0EEENS1_38merge_mergepath_config_static_selectorELNS0_4arch9wavefront6targetE1EEEvSF_ ; -- Begin function _ZN7rocprim17ROCPRIM_400000_NS6detail17trampoline_kernelINS0_14default_configENS1_38merge_sort_block_merge_config_selectorItNS0_10empty_typeEEEZZNS1_27merge_sort_block_merge_implIS3_PtPS5_jNS1_19radix_merge_compareILb1ELb1EtNS0_19identity_decomposerEEEEE10hipError_tT0_T1_T2_jT3_P12ihipStream_tbPNSt15iterator_traitsISE_E10value_typeEPNSK_ISF_E10value_typeEPSG_NS1_7vsmem_tEENKUlT_SE_SF_SG_E_clIS8_S8_S9_S9_EESD_ST_SE_SF_SG_EUlST_E0_NS1_11comp_targetILNS1_3genE9ELNS1_11target_archE1100ELNS1_3gpuE3ELNS1_3repE0EEENS1_38merge_mergepath_config_static_selectorELNS0_4arch9wavefront6targetE1EEEvSF_
	.globl	_ZN7rocprim17ROCPRIM_400000_NS6detail17trampoline_kernelINS0_14default_configENS1_38merge_sort_block_merge_config_selectorItNS0_10empty_typeEEEZZNS1_27merge_sort_block_merge_implIS3_PtPS5_jNS1_19radix_merge_compareILb1ELb1EtNS0_19identity_decomposerEEEEE10hipError_tT0_T1_T2_jT3_P12ihipStream_tbPNSt15iterator_traitsISE_E10value_typeEPNSK_ISF_E10value_typeEPSG_NS1_7vsmem_tEENKUlT_SE_SF_SG_E_clIS8_S8_S9_S9_EESD_ST_SE_SF_SG_EUlST_E0_NS1_11comp_targetILNS1_3genE9ELNS1_11target_archE1100ELNS1_3gpuE3ELNS1_3repE0EEENS1_38merge_mergepath_config_static_selectorELNS0_4arch9wavefront6targetE1EEEvSF_
	.p2align	8
	.type	_ZN7rocprim17ROCPRIM_400000_NS6detail17trampoline_kernelINS0_14default_configENS1_38merge_sort_block_merge_config_selectorItNS0_10empty_typeEEEZZNS1_27merge_sort_block_merge_implIS3_PtPS5_jNS1_19radix_merge_compareILb1ELb1EtNS0_19identity_decomposerEEEEE10hipError_tT0_T1_T2_jT3_P12ihipStream_tbPNSt15iterator_traitsISE_E10value_typeEPNSK_ISF_E10value_typeEPSG_NS1_7vsmem_tEENKUlT_SE_SF_SG_E_clIS8_S8_S9_S9_EESD_ST_SE_SF_SG_EUlST_E0_NS1_11comp_targetILNS1_3genE9ELNS1_11target_archE1100ELNS1_3gpuE3ELNS1_3repE0EEENS1_38merge_mergepath_config_static_selectorELNS0_4arch9wavefront6targetE1EEEvSF_,@function
_ZN7rocprim17ROCPRIM_400000_NS6detail17trampoline_kernelINS0_14default_configENS1_38merge_sort_block_merge_config_selectorItNS0_10empty_typeEEEZZNS1_27merge_sort_block_merge_implIS3_PtPS5_jNS1_19radix_merge_compareILb1ELb1EtNS0_19identity_decomposerEEEEE10hipError_tT0_T1_T2_jT3_P12ihipStream_tbPNSt15iterator_traitsISE_E10value_typeEPNSK_ISF_E10value_typeEPSG_NS1_7vsmem_tEENKUlT_SE_SF_SG_E_clIS8_S8_S9_S9_EESD_ST_SE_SF_SG_EUlST_E0_NS1_11comp_targetILNS1_3genE9ELNS1_11target_archE1100ELNS1_3gpuE3ELNS1_3repE0EEENS1_38merge_mergepath_config_static_selectorELNS0_4arch9wavefront6targetE1EEEvSF_: ; @_ZN7rocprim17ROCPRIM_400000_NS6detail17trampoline_kernelINS0_14default_configENS1_38merge_sort_block_merge_config_selectorItNS0_10empty_typeEEEZZNS1_27merge_sort_block_merge_implIS3_PtPS5_jNS1_19radix_merge_compareILb1ELb1EtNS0_19identity_decomposerEEEEE10hipError_tT0_T1_T2_jT3_P12ihipStream_tbPNSt15iterator_traitsISE_E10value_typeEPNSK_ISF_E10value_typeEPSG_NS1_7vsmem_tEENKUlT_SE_SF_SG_E_clIS8_S8_S9_S9_EESD_ST_SE_SF_SG_EUlST_E0_NS1_11comp_targetILNS1_3genE9ELNS1_11target_archE1100ELNS1_3gpuE3ELNS1_3repE0EEENS1_38merge_mergepath_config_static_selectorELNS0_4arch9wavefront6targetE1EEEvSF_
; %bb.0:
	.section	.rodata,"a",@progbits
	.p2align	6, 0x0
	.amdhsa_kernel _ZN7rocprim17ROCPRIM_400000_NS6detail17trampoline_kernelINS0_14default_configENS1_38merge_sort_block_merge_config_selectorItNS0_10empty_typeEEEZZNS1_27merge_sort_block_merge_implIS3_PtPS5_jNS1_19radix_merge_compareILb1ELb1EtNS0_19identity_decomposerEEEEE10hipError_tT0_T1_T2_jT3_P12ihipStream_tbPNSt15iterator_traitsISE_E10value_typeEPNSK_ISF_E10value_typeEPSG_NS1_7vsmem_tEENKUlT_SE_SF_SG_E_clIS8_S8_S9_S9_EESD_ST_SE_SF_SG_EUlST_E0_NS1_11comp_targetILNS1_3genE9ELNS1_11target_archE1100ELNS1_3gpuE3ELNS1_3repE0EEENS1_38merge_mergepath_config_static_selectorELNS0_4arch9wavefront6targetE1EEEvSF_
		.amdhsa_group_segment_fixed_size 0
		.amdhsa_private_segment_fixed_size 0
		.amdhsa_kernarg_size 64
		.amdhsa_user_sgpr_count 6
		.amdhsa_user_sgpr_private_segment_buffer 1
		.amdhsa_user_sgpr_dispatch_ptr 0
		.amdhsa_user_sgpr_queue_ptr 0
		.amdhsa_user_sgpr_kernarg_segment_ptr 1
		.amdhsa_user_sgpr_dispatch_id 0
		.amdhsa_user_sgpr_flat_scratch_init 0
		.amdhsa_user_sgpr_kernarg_preload_length 0
		.amdhsa_user_sgpr_kernarg_preload_offset 0
		.amdhsa_user_sgpr_private_segment_size 0
		.amdhsa_uses_dynamic_stack 0
		.amdhsa_system_sgpr_private_segment_wavefront_offset 0
		.amdhsa_system_sgpr_workgroup_id_x 1
		.amdhsa_system_sgpr_workgroup_id_y 0
		.amdhsa_system_sgpr_workgroup_id_z 0
		.amdhsa_system_sgpr_workgroup_info 0
		.amdhsa_system_vgpr_workitem_id 0
		.amdhsa_next_free_vgpr 1
		.amdhsa_next_free_sgpr 0
		.amdhsa_accum_offset 4
		.amdhsa_reserve_vcc 0
		.amdhsa_reserve_flat_scratch 0
		.amdhsa_float_round_mode_32 0
		.amdhsa_float_round_mode_16_64 0
		.amdhsa_float_denorm_mode_32 3
		.amdhsa_float_denorm_mode_16_64 3
		.amdhsa_dx10_clamp 1
		.amdhsa_ieee_mode 1
		.amdhsa_fp16_overflow 0
		.amdhsa_tg_split 0
		.amdhsa_exception_fp_ieee_invalid_op 0
		.amdhsa_exception_fp_denorm_src 0
		.amdhsa_exception_fp_ieee_div_zero 0
		.amdhsa_exception_fp_ieee_overflow 0
		.amdhsa_exception_fp_ieee_underflow 0
		.amdhsa_exception_fp_ieee_inexact 0
		.amdhsa_exception_int_div_zero 0
	.end_amdhsa_kernel
	.section	.text._ZN7rocprim17ROCPRIM_400000_NS6detail17trampoline_kernelINS0_14default_configENS1_38merge_sort_block_merge_config_selectorItNS0_10empty_typeEEEZZNS1_27merge_sort_block_merge_implIS3_PtPS5_jNS1_19radix_merge_compareILb1ELb1EtNS0_19identity_decomposerEEEEE10hipError_tT0_T1_T2_jT3_P12ihipStream_tbPNSt15iterator_traitsISE_E10value_typeEPNSK_ISF_E10value_typeEPSG_NS1_7vsmem_tEENKUlT_SE_SF_SG_E_clIS8_S8_S9_S9_EESD_ST_SE_SF_SG_EUlST_E0_NS1_11comp_targetILNS1_3genE9ELNS1_11target_archE1100ELNS1_3gpuE3ELNS1_3repE0EEENS1_38merge_mergepath_config_static_selectorELNS0_4arch9wavefront6targetE1EEEvSF_,"axG",@progbits,_ZN7rocprim17ROCPRIM_400000_NS6detail17trampoline_kernelINS0_14default_configENS1_38merge_sort_block_merge_config_selectorItNS0_10empty_typeEEEZZNS1_27merge_sort_block_merge_implIS3_PtPS5_jNS1_19radix_merge_compareILb1ELb1EtNS0_19identity_decomposerEEEEE10hipError_tT0_T1_T2_jT3_P12ihipStream_tbPNSt15iterator_traitsISE_E10value_typeEPNSK_ISF_E10value_typeEPSG_NS1_7vsmem_tEENKUlT_SE_SF_SG_E_clIS8_S8_S9_S9_EESD_ST_SE_SF_SG_EUlST_E0_NS1_11comp_targetILNS1_3genE9ELNS1_11target_archE1100ELNS1_3gpuE3ELNS1_3repE0EEENS1_38merge_mergepath_config_static_selectorELNS0_4arch9wavefront6targetE1EEEvSF_,comdat
.Lfunc_end1891:
	.size	_ZN7rocprim17ROCPRIM_400000_NS6detail17trampoline_kernelINS0_14default_configENS1_38merge_sort_block_merge_config_selectorItNS0_10empty_typeEEEZZNS1_27merge_sort_block_merge_implIS3_PtPS5_jNS1_19radix_merge_compareILb1ELb1EtNS0_19identity_decomposerEEEEE10hipError_tT0_T1_T2_jT3_P12ihipStream_tbPNSt15iterator_traitsISE_E10value_typeEPNSK_ISF_E10value_typeEPSG_NS1_7vsmem_tEENKUlT_SE_SF_SG_E_clIS8_S8_S9_S9_EESD_ST_SE_SF_SG_EUlST_E0_NS1_11comp_targetILNS1_3genE9ELNS1_11target_archE1100ELNS1_3gpuE3ELNS1_3repE0EEENS1_38merge_mergepath_config_static_selectorELNS0_4arch9wavefront6targetE1EEEvSF_, .Lfunc_end1891-_ZN7rocprim17ROCPRIM_400000_NS6detail17trampoline_kernelINS0_14default_configENS1_38merge_sort_block_merge_config_selectorItNS0_10empty_typeEEEZZNS1_27merge_sort_block_merge_implIS3_PtPS5_jNS1_19radix_merge_compareILb1ELb1EtNS0_19identity_decomposerEEEEE10hipError_tT0_T1_T2_jT3_P12ihipStream_tbPNSt15iterator_traitsISE_E10value_typeEPNSK_ISF_E10value_typeEPSG_NS1_7vsmem_tEENKUlT_SE_SF_SG_E_clIS8_S8_S9_S9_EESD_ST_SE_SF_SG_EUlST_E0_NS1_11comp_targetILNS1_3genE9ELNS1_11target_archE1100ELNS1_3gpuE3ELNS1_3repE0EEENS1_38merge_mergepath_config_static_selectorELNS0_4arch9wavefront6targetE1EEEvSF_
                                        ; -- End function
	.section	.AMDGPU.csdata,"",@progbits
; Kernel info:
; codeLenInByte = 0
; NumSgprs: 4
; NumVgprs: 0
; NumAgprs: 0
; TotalNumVgprs: 0
; ScratchSize: 0
; MemoryBound: 0
; FloatMode: 240
; IeeeMode: 1
; LDSByteSize: 0 bytes/workgroup (compile time only)
; SGPRBlocks: 0
; VGPRBlocks: 0
; NumSGPRsForWavesPerEU: 4
; NumVGPRsForWavesPerEU: 1
; AccumOffset: 4
; Occupancy: 8
; WaveLimiterHint : 0
; COMPUTE_PGM_RSRC2:SCRATCH_EN: 0
; COMPUTE_PGM_RSRC2:USER_SGPR: 6
; COMPUTE_PGM_RSRC2:TRAP_HANDLER: 0
; COMPUTE_PGM_RSRC2:TGID_X_EN: 1
; COMPUTE_PGM_RSRC2:TGID_Y_EN: 0
; COMPUTE_PGM_RSRC2:TGID_Z_EN: 0
; COMPUTE_PGM_RSRC2:TIDIG_COMP_CNT: 0
; COMPUTE_PGM_RSRC3_GFX90A:ACCUM_OFFSET: 0
; COMPUTE_PGM_RSRC3_GFX90A:TG_SPLIT: 0
	.section	.text._ZN7rocprim17ROCPRIM_400000_NS6detail17trampoline_kernelINS0_14default_configENS1_38merge_sort_block_merge_config_selectorItNS0_10empty_typeEEEZZNS1_27merge_sort_block_merge_implIS3_PtPS5_jNS1_19radix_merge_compareILb1ELb1EtNS0_19identity_decomposerEEEEE10hipError_tT0_T1_T2_jT3_P12ihipStream_tbPNSt15iterator_traitsISE_E10value_typeEPNSK_ISF_E10value_typeEPSG_NS1_7vsmem_tEENKUlT_SE_SF_SG_E_clIS8_S8_S9_S9_EESD_ST_SE_SF_SG_EUlST_E0_NS1_11comp_targetILNS1_3genE8ELNS1_11target_archE1030ELNS1_3gpuE2ELNS1_3repE0EEENS1_38merge_mergepath_config_static_selectorELNS0_4arch9wavefront6targetE1EEEvSF_,"axG",@progbits,_ZN7rocprim17ROCPRIM_400000_NS6detail17trampoline_kernelINS0_14default_configENS1_38merge_sort_block_merge_config_selectorItNS0_10empty_typeEEEZZNS1_27merge_sort_block_merge_implIS3_PtPS5_jNS1_19radix_merge_compareILb1ELb1EtNS0_19identity_decomposerEEEEE10hipError_tT0_T1_T2_jT3_P12ihipStream_tbPNSt15iterator_traitsISE_E10value_typeEPNSK_ISF_E10value_typeEPSG_NS1_7vsmem_tEENKUlT_SE_SF_SG_E_clIS8_S8_S9_S9_EESD_ST_SE_SF_SG_EUlST_E0_NS1_11comp_targetILNS1_3genE8ELNS1_11target_archE1030ELNS1_3gpuE2ELNS1_3repE0EEENS1_38merge_mergepath_config_static_selectorELNS0_4arch9wavefront6targetE1EEEvSF_,comdat
	.protected	_ZN7rocprim17ROCPRIM_400000_NS6detail17trampoline_kernelINS0_14default_configENS1_38merge_sort_block_merge_config_selectorItNS0_10empty_typeEEEZZNS1_27merge_sort_block_merge_implIS3_PtPS5_jNS1_19radix_merge_compareILb1ELb1EtNS0_19identity_decomposerEEEEE10hipError_tT0_T1_T2_jT3_P12ihipStream_tbPNSt15iterator_traitsISE_E10value_typeEPNSK_ISF_E10value_typeEPSG_NS1_7vsmem_tEENKUlT_SE_SF_SG_E_clIS8_S8_S9_S9_EESD_ST_SE_SF_SG_EUlST_E0_NS1_11comp_targetILNS1_3genE8ELNS1_11target_archE1030ELNS1_3gpuE2ELNS1_3repE0EEENS1_38merge_mergepath_config_static_selectorELNS0_4arch9wavefront6targetE1EEEvSF_ ; -- Begin function _ZN7rocprim17ROCPRIM_400000_NS6detail17trampoline_kernelINS0_14default_configENS1_38merge_sort_block_merge_config_selectorItNS0_10empty_typeEEEZZNS1_27merge_sort_block_merge_implIS3_PtPS5_jNS1_19radix_merge_compareILb1ELb1EtNS0_19identity_decomposerEEEEE10hipError_tT0_T1_T2_jT3_P12ihipStream_tbPNSt15iterator_traitsISE_E10value_typeEPNSK_ISF_E10value_typeEPSG_NS1_7vsmem_tEENKUlT_SE_SF_SG_E_clIS8_S8_S9_S9_EESD_ST_SE_SF_SG_EUlST_E0_NS1_11comp_targetILNS1_3genE8ELNS1_11target_archE1030ELNS1_3gpuE2ELNS1_3repE0EEENS1_38merge_mergepath_config_static_selectorELNS0_4arch9wavefront6targetE1EEEvSF_
	.globl	_ZN7rocprim17ROCPRIM_400000_NS6detail17trampoline_kernelINS0_14default_configENS1_38merge_sort_block_merge_config_selectorItNS0_10empty_typeEEEZZNS1_27merge_sort_block_merge_implIS3_PtPS5_jNS1_19radix_merge_compareILb1ELb1EtNS0_19identity_decomposerEEEEE10hipError_tT0_T1_T2_jT3_P12ihipStream_tbPNSt15iterator_traitsISE_E10value_typeEPNSK_ISF_E10value_typeEPSG_NS1_7vsmem_tEENKUlT_SE_SF_SG_E_clIS8_S8_S9_S9_EESD_ST_SE_SF_SG_EUlST_E0_NS1_11comp_targetILNS1_3genE8ELNS1_11target_archE1030ELNS1_3gpuE2ELNS1_3repE0EEENS1_38merge_mergepath_config_static_selectorELNS0_4arch9wavefront6targetE1EEEvSF_
	.p2align	8
	.type	_ZN7rocprim17ROCPRIM_400000_NS6detail17trampoline_kernelINS0_14default_configENS1_38merge_sort_block_merge_config_selectorItNS0_10empty_typeEEEZZNS1_27merge_sort_block_merge_implIS3_PtPS5_jNS1_19radix_merge_compareILb1ELb1EtNS0_19identity_decomposerEEEEE10hipError_tT0_T1_T2_jT3_P12ihipStream_tbPNSt15iterator_traitsISE_E10value_typeEPNSK_ISF_E10value_typeEPSG_NS1_7vsmem_tEENKUlT_SE_SF_SG_E_clIS8_S8_S9_S9_EESD_ST_SE_SF_SG_EUlST_E0_NS1_11comp_targetILNS1_3genE8ELNS1_11target_archE1030ELNS1_3gpuE2ELNS1_3repE0EEENS1_38merge_mergepath_config_static_selectorELNS0_4arch9wavefront6targetE1EEEvSF_,@function
_ZN7rocprim17ROCPRIM_400000_NS6detail17trampoline_kernelINS0_14default_configENS1_38merge_sort_block_merge_config_selectorItNS0_10empty_typeEEEZZNS1_27merge_sort_block_merge_implIS3_PtPS5_jNS1_19radix_merge_compareILb1ELb1EtNS0_19identity_decomposerEEEEE10hipError_tT0_T1_T2_jT3_P12ihipStream_tbPNSt15iterator_traitsISE_E10value_typeEPNSK_ISF_E10value_typeEPSG_NS1_7vsmem_tEENKUlT_SE_SF_SG_E_clIS8_S8_S9_S9_EESD_ST_SE_SF_SG_EUlST_E0_NS1_11comp_targetILNS1_3genE8ELNS1_11target_archE1030ELNS1_3gpuE2ELNS1_3repE0EEENS1_38merge_mergepath_config_static_selectorELNS0_4arch9wavefront6targetE1EEEvSF_: ; @_ZN7rocprim17ROCPRIM_400000_NS6detail17trampoline_kernelINS0_14default_configENS1_38merge_sort_block_merge_config_selectorItNS0_10empty_typeEEEZZNS1_27merge_sort_block_merge_implIS3_PtPS5_jNS1_19radix_merge_compareILb1ELb1EtNS0_19identity_decomposerEEEEE10hipError_tT0_T1_T2_jT3_P12ihipStream_tbPNSt15iterator_traitsISE_E10value_typeEPNSK_ISF_E10value_typeEPSG_NS1_7vsmem_tEENKUlT_SE_SF_SG_E_clIS8_S8_S9_S9_EESD_ST_SE_SF_SG_EUlST_E0_NS1_11comp_targetILNS1_3genE8ELNS1_11target_archE1030ELNS1_3gpuE2ELNS1_3repE0EEENS1_38merge_mergepath_config_static_selectorELNS0_4arch9wavefront6targetE1EEEvSF_
; %bb.0:
	.section	.rodata,"a",@progbits
	.p2align	6, 0x0
	.amdhsa_kernel _ZN7rocprim17ROCPRIM_400000_NS6detail17trampoline_kernelINS0_14default_configENS1_38merge_sort_block_merge_config_selectorItNS0_10empty_typeEEEZZNS1_27merge_sort_block_merge_implIS3_PtPS5_jNS1_19radix_merge_compareILb1ELb1EtNS0_19identity_decomposerEEEEE10hipError_tT0_T1_T2_jT3_P12ihipStream_tbPNSt15iterator_traitsISE_E10value_typeEPNSK_ISF_E10value_typeEPSG_NS1_7vsmem_tEENKUlT_SE_SF_SG_E_clIS8_S8_S9_S9_EESD_ST_SE_SF_SG_EUlST_E0_NS1_11comp_targetILNS1_3genE8ELNS1_11target_archE1030ELNS1_3gpuE2ELNS1_3repE0EEENS1_38merge_mergepath_config_static_selectorELNS0_4arch9wavefront6targetE1EEEvSF_
		.amdhsa_group_segment_fixed_size 0
		.amdhsa_private_segment_fixed_size 0
		.amdhsa_kernarg_size 64
		.amdhsa_user_sgpr_count 6
		.amdhsa_user_sgpr_private_segment_buffer 1
		.amdhsa_user_sgpr_dispatch_ptr 0
		.amdhsa_user_sgpr_queue_ptr 0
		.amdhsa_user_sgpr_kernarg_segment_ptr 1
		.amdhsa_user_sgpr_dispatch_id 0
		.amdhsa_user_sgpr_flat_scratch_init 0
		.amdhsa_user_sgpr_kernarg_preload_length 0
		.amdhsa_user_sgpr_kernarg_preload_offset 0
		.amdhsa_user_sgpr_private_segment_size 0
		.amdhsa_uses_dynamic_stack 0
		.amdhsa_system_sgpr_private_segment_wavefront_offset 0
		.amdhsa_system_sgpr_workgroup_id_x 1
		.amdhsa_system_sgpr_workgroup_id_y 0
		.amdhsa_system_sgpr_workgroup_id_z 0
		.amdhsa_system_sgpr_workgroup_info 0
		.amdhsa_system_vgpr_workitem_id 0
		.amdhsa_next_free_vgpr 1
		.amdhsa_next_free_sgpr 0
		.amdhsa_accum_offset 4
		.amdhsa_reserve_vcc 0
		.amdhsa_reserve_flat_scratch 0
		.amdhsa_float_round_mode_32 0
		.amdhsa_float_round_mode_16_64 0
		.amdhsa_float_denorm_mode_32 3
		.amdhsa_float_denorm_mode_16_64 3
		.amdhsa_dx10_clamp 1
		.amdhsa_ieee_mode 1
		.amdhsa_fp16_overflow 0
		.amdhsa_tg_split 0
		.amdhsa_exception_fp_ieee_invalid_op 0
		.amdhsa_exception_fp_denorm_src 0
		.amdhsa_exception_fp_ieee_div_zero 0
		.amdhsa_exception_fp_ieee_overflow 0
		.amdhsa_exception_fp_ieee_underflow 0
		.amdhsa_exception_fp_ieee_inexact 0
		.amdhsa_exception_int_div_zero 0
	.end_amdhsa_kernel
	.section	.text._ZN7rocprim17ROCPRIM_400000_NS6detail17trampoline_kernelINS0_14default_configENS1_38merge_sort_block_merge_config_selectorItNS0_10empty_typeEEEZZNS1_27merge_sort_block_merge_implIS3_PtPS5_jNS1_19radix_merge_compareILb1ELb1EtNS0_19identity_decomposerEEEEE10hipError_tT0_T1_T2_jT3_P12ihipStream_tbPNSt15iterator_traitsISE_E10value_typeEPNSK_ISF_E10value_typeEPSG_NS1_7vsmem_tEENKUlT_SE_SF_SG_E_clIS8_S8_S9_S9_EESD_ST_SE_SF_SG_EUlST_E0_NS1_11comp_targetILNS1_3genE8ELNS1_11target_archE1030ELNS1_3gpuE2ELNS1_3repE0EEENS1_38merge_mergepath_config_static_selectorELNS0_4arch9wavefront6targetE1EEEvSF_,"axG",@progbits,_ZN7rocprim17ROCPRIM_400000_NS6detail17trampoline_kernelINS0_14default_configENS1_38merge_sort_block_merge_config_selectorItNS0_10empty_typeEEEZZNS1_27merge_sort_block_merge_implIS3_PtPS5_jNS1_19radix_merge_compareILb1ELb1EtNS0_19identity_decomposerEEEEE10hipError_tT0_T1_T2_jT3_P12ihipStream_tbPNSt15iterator_traitsISE_E10value_typeEPNSK_ISF_E10value_typeEPSG_NS1_7vsmem_tEENKUlT_SE_SF_SG_E_clIS8_S8_S9_S9_EESD_ST_SE_SF_SG_EUlST_E0_NS1_11comp_targetILNS1_3genE8ELNS1_11target_archE1030ELNS1_3gpuE2ELNS1_3repE0EEENS1_38merge_mergepath_config_static_selectorELNS0_4arch9wavefront6targetE1EEEvSF_,comdat
.Lfunc_end1892:
	.size	_ZN7rocprim17ROCPRIM_400000_NS6detail17trampoline_kernelINS0_14default_configENS1_38merge_sort_block_merge_config_selectorItNS0_10empty_typeEEEZZNS1_27merge_sort_block_merge_implIS3_PtPS5_jNS1_19radix_merge_compareILb1ELb1EtNS0_19identity_decomposerEEEEE10hipError_tT0_T1_T2_jT3_P12ihipStream_tbPNSt15iterator_traitsISE_E10value_typeEPNSK_ISF_E10value_typeEPSG_NS1_7vsmem_tEENKUlT_SE_SF_SG_E_clIS8_S8_S9_S9_EESD_ST_SE_SF_SG_EUlST_E0_NS1_11comp_targetILNS1_3genE8ELNS1_11target_archE1030ELNS1_3gpuE2ELNS1_3repE0EEENS1_38merge_mergepath_config_static_selectorELNS0_4arch9wavefront6targetE1EEEvSF_, .Lfunc_end1892-_ZN7rocprim17ROCPRIM_400000_NS6detail17trampoline_kernelINS0_14default_configENS1_38merge_sort_block_merge_config_selectorItNS0_10empty_typeEEEZZNS1_27merge_sort_block_merge_implIS3_PtPS5_jNS1_19radix_merge_compareILb1ELb1EtNS0_19identity_decomposerEEEEE10hipError_tT0_T1_T2_jT3_P12ihipStream_tbPNSt15iterator_traitsISE_E10value_typeEPNSK_ISF_E10value_typeEPSG_NS1_7vsmem_tEENKUlT_SE_SF_SG_E_clIS8_S8_S9_S9_EESD_ST_SE_SF_SG_EUlST_E0_NS1_11comp_targetILNS1_3genE8ELNS1_11target_archE1030ELNS1_3gpuE2ELNS1_3repE0EEENS1_38merge_mergepath_config_static_selectorELNS0_4arch9wavefront6targetE1EEEvSF_
                                        ; -- End function
	.section	.AMDGPU.csdata,"",@progbits
; Kernel info:
; codeLenInByte = 0
; NumSgprs: 4
; NumVgprs: 0
; NumAgprs: 0
; TotalNumVgprs: 0
; ScratchSize: 0
; MemoryBound: 0
; FloatMode: 240
; IeeeMode: 1
; LDSByteSize: 0 bytes/workgroup (compile time only)
; SGPRBlocks: 0
; VGPRBlocks: 0
; NumSGPRsForWavesPerEU: 4
; NumVGPRsForWavesPerEU: 1
; AccumOffset: 4
; Occupancy: 8
; WaveLimiterHint : 0
; COMPUTE_PGM_RSRC2:SCRATCH_EN: 0
; COMPUTE_PGM_RSRC2:USER_SGPR: 6
; COMPUTE_PGM_RSRC2:TRAP_HANDLER: 0
; COMPUTE_PGM_RSRC2:TGID_X_EN: 1
; COMPUTE_PGM_RSRC2:TGID_Y_EN: 0
; COMPUTE_PGM_RSRC2:TGID_Z_EN: 0
; COMPUTE_PGM_RSRC2:TIDIG_COMP_CNT: 0
; COMPUTE_PGM_RSRC3_GFX90A:ACCUM_OFFSET: 0
; COMPUTE_PGM_RSRC3_GFX90A:TG_SPLIT: 0
	.section	.text._ZN7rocprim17ROCPRIM_400000_NS6detail17trampoline_kernelINS0_14default_configENS1_38merge_sort_block_merge_config_selectorItNS0_10empty_typeEEEZZNS1_27merge_sort_block_merge_implIS3_PtPS5_jNS1_19radix_merge_compareILb1ELb1EtNS0_19identity_decomposerEEEEE10hipError_tT0_T1_T2_jT3_P12ihipStream_tbPNSt15iterator_traitsISE_E10value_typeEPNSK_ISF_E10value_typeEPSG_NS1_7vsmem_tEENKUlT_SE_SF_SG_E_clIS8_S8_S9_S9_EESD_ST_SE_SF_SG_EUlST_E1_NS1_11comp_targetILNS1_3genE0ELNS1_11target_archE4294967295ELNS1_3gpuE0ELNS1_3repE0EEENS1_36merge_oddeven_config_static_selectorELNS0_4arch9wavefront6targetE1EEEvSF_,"axG",@progbits,_ZN7rocprim17ROCPRIM_400000_NS6detail17trampoline_kernelINS0_14default_configENS1_38merge_sort_block_merge_config_selectorItNS0_10empty_typeEEEZZNS1_27merge_sort_block_merge_implIS3_PtPS5_jNS1_19radix_merge_compareILb1ELb1EtNS0_19identity_decomposerEEEEE10hipError_tT0_T1_T2_jT3_P12ihipStream_tbPNSt15iterator_traitsISE_E10value_typeEPNSK_ISF_E10value_typeEPSG_NS1_7vsmem_tEENKUlT_SE_SF_SG_E_clIS8_S8_S9_S9_EESD_ST_SE_SF_SG_EUlST_E1_NS1_11comp_targetILNS1_3genE0ELNS1_11target_archE4294967295ELNS1_3gpuE0ELNS1_3repE0EEENS1_36merge_oddeven_config_static_selectorELNS0_4arch9wavefront6targetE1EEEvSF_,comdat
	.protected	_ZN7rocprim17ROCPRIM_400000_NS6detail17trampoline_kernelINS0_14default_configENS1_38merge_sort_block_merge_config_selectorItNS0_10empty_typeEEEZZNS1_27merge_sort_block_merge_implIS3_PtPS5_jNS1_19radix_merge_compareILb1ELb1EtNS0_19identity_decomposerEEEEE10hipError_tT0_T1_T2_jT3_P12ihipStream_tbPNSt15iterator_traitsISE_E10value_typeEPNSK_ISF_E10value_typeEPSG_NS1_7vsmem_tEENKUlT_SE_SF_SG_E_clIS8_S8_S9_S9_EESD_ST_SE_SF_SG_EUlST_E1_NS1_11comp_targetILNS1_3genE0ELNS1_11target_archE4294967295ELNS1_3gpuE0ELNS1_3repE0EEENS1_36merge_oddeven_config_static_selectorELNS0_4arch9wavefront6targetE1EEEvSF_ ; -- Begin function _ZN7rocprim17ROCPRIM_400000_NS6detail17trampoline_kernelINS0_14default_configENS1_38merge_sort_block_merge_config_selectorItNS0_10empty_typeEEEZZNS1_27merge_sort_block_merge_implIS3_PtPS5_jNS1_19radix_merge_compareILb1ELb1EtNS0_19identity_decomposerEEEEE10hipError_tT0_T1_T2_jT3_P12ihipStream_tbPNSt15iterator_traitsISE_E10value_typeEPNSK_ISF_E10value_typeEPSG_NS1_7vsmem_tEENKUlT_SE_SF_SG_E_clIS8_S8_S9_S9_EESD_ST_SE_SF_SG_EUlST_E1_NS1_11comp_targetILNS1_3genE0ELNS1_11target_archE4294967295ELNS1_3gpuE0ELNS1_3repE0EEENS1_36merge_oddeven_config_static_selectorELNS0_4arch9wavefront6targetE1EEEvSF_
	.globl	_ZN7rocprim17ROCPRIM_400000_NS6detail17trampoline_kernelINS0_14default_configENS1_38merge_sort_block_merge_config_selectorItNS0_10empty_typeEEEZZNS1_27merge_sort_block_merge_implIS3_PtPS5_jNS1_19radix_merge_compareILb1ELb1EtNS0_19identity_decomposerEEEEE10hipError_tT0_T1_T2_jT3_P12ihipStream_tbPNSt15iterator_traitsISE_E10value_typeEPNSK_ISF_E10value_typeEPSG_NS1_7vsmem_tEENKUlT_SE_SF_SG_E_clIS8_S8_S9_S9_EESD_ST_SE_SF_SG_EUlST_E1_NS1_11comp_targetILNS1_3genE0ELNS1_11target_archE4294967295ELNS1_3gpuE0ELNS1_3repE0EEENS1_36merge_oddeven_config_static_selectorELNS0_4arch9wavefront6targetE1EEEvSF_
	.p2align	8
	.type	_ZN7rocprim17ROCPRIM_400000_NS6detail17trampoline_kernelINS0_14default_configENS1_38merge_sort_block_merge_config_selectorItNS0_10empty_typeEEEZZNS1_27merge_sort_block_merge_implIS3_PtPS5_jNS1_19radix_merge_compareILb1ELb1EtNS0_19identity_decomposerEEEEE10hipError_tT0_T1_T2_jT3_P12ihipStream_tbPNSt15iterator_traitsISE_E10value_typeEPNSK_ISF_E10value_typeEPSG_NS1_7vsmem_tEENKUlT_SE_SF_SG_E_clIS8_S8_S9_S9_EESD_ST_SE_SF_SG_EUlST_E1_NS1_11comp_targetILNS1_3genE0ELNS1_11target_archE4294967295ELNS1_3gpuE0ELNS1_3repE0EEENS1_36merge_oddeven_config_static_selectorELNS0_4arch9wavefront6targetE1EEEvSF_,@function
_ZN7rocprim17ROCPRIM_400000_NS6detail17trampoline_kernelINS0_14default_configENS1_38merge_sort_block_merge_config_selectorItNS0_10empty_typeEEEZZNS1_27merge_sort_block_merge_implIS3_PtPS5_jNS1_19radix_merge_compareILb1ELb1EtNS0_19identity_decomposerEEEEE10hipError_tT0_T1_T2_jT3_P12ihipStream_tbPNSt15iterator_traitsISE_E10value_typeEPNSK_ISF_E10value_typeEPSG_NS1_7vsmem_tEENKUlT_SE_SF_SG_E_clIS8_S8_S9_S9_EESD_ST_SE_SF_SG_EUlST_E1_NS1_11comp_targetILNS1_3genE0ELNS1_11target_archE4294967295ELNS1_3gpuE0ELNS1_3repE0EEENS1_36merge_oddeven_config_static_selectorELNS0_4arch9wavefront6targetE1EEEvSF_: ; @_ZN7rocprim17ROCPRIM_400000_NS6detail17trampoline_kernelINS0_14default_configENS1_38merge_sort_block_merge_config_selectorItNS0_10empty_typeEEEZZNS1_27merge_sort_block_merge_implIS3_PtPS5_jNS1_19radix_merge_compareILb1ELb1EtNS0_19identity_decomposerEEEEE10hipError_tT0_T1_T2_jT3_P12ihipStream_tbPNSt15iterator_traitsISE_E10value_typeEPNSK_ISF_E10value_typeEPSG_NS1_7vsmem_tEENKUlT_SE_SF_SG_E_clIS8_S8_S9_S9_EESD_ST_SE_SF_SG_EUlST_E1_NS1_11comp_targetILNS1_3genE0ELNS1_11target_archE4294967295ELNS1_3gpuE0ELNS1_3repE0EEENS1_36merge_oddeven_config_static_selectorELNS0_4arch9wavefront6targetE1EEEvSF_
; %bb.0:
	.section	.rodata,"a",@progbits
	.p2align	6, 0x0
	.amdhsa_kernel _ZN7rocprim17ROCPRIM_400000_NS6detail17trampoline_kernelINS0_14default_configENS1_38merge_sort_block_merge_config_selectorItNS0_10empty_typeEEEZZNS1_27merge_sort_block_merge_implIS3_PtPS5_jNS1_19radix_merge_compareILb1ELb1EtNS0_19identity_decomposerEEEEE10hipError_tT0_T1_T2_jT3_P12ihipStream_tbPNSt15iterator_traitsISE_E10value_typeEPNSK_ISF_E10value_typeEPSG_NS1_7vsmem_tEENKUlT_SE_SF_SG_E_clIS8_S8_S9_S9_EESD_ST_SE_SF_SG_EUlST_E1_NS1_11comp_targetILNS1_3genE0ELNS1_11target_archE4294967295ELNS1_3gpuE0ELNS1_3repE0EEENS1_36merge_oddeven_config_static_selectorELNS0_4arch9wavefront6targetE1EEEvSF_
		.amdhsa_group_segment_fixed_size 0
		.amdhsa_private_segment_fixed_size 0
		.amdhsa_kernarg_size 48
		.amdhsa_user_sgpr_count 6
		.amdhsa_user_sgpr_private_segment_buffer 1
		.amdhsa_user_sgpr_dispatch_ptr 0
		.amdhsa_user_sgpr_queue_ptr 0
		.amdhsa_user_sgpr_kernarg_segment_ptr 1
		.amdhsa_user_sgpr_dispatch_id 0
		.amdhsa_user_sgpr_flat_scratch_init 0
		.amdhsa_user_sgpr_kernarg_preload_length 0
		.amdhsa_user_sgpr_kernarg_preload_offset 0
		.amdhsa_user_sgpr_private_segment_size 0
		.amdhsa_uses_dynamic_stack 0
		.amdhsa_system_sgpr_private_segment_wavefront_offset 0
		.amdhsa_system_sgpr_workgroup_id_x 1
		.amdhsa_system_sgpr_workgroup_id_y 0
		.amdhsa_system_sgpr_workgroup_id_z 0
		.amdhsa_system_sgpr_workgroup_info 0
		.amdhsa_system_vgpr_workitem_id 0
		.amdhsa_next_free_vgpr 1
		.amdhsa_next_free_sgpr 0
		.amdhsa_accum_offset 4
		.amdhsa_reserve_vcc 0
		.amdhsa_reserve_flat_scratch 0
		.amdhsa_float_round_mode_32 0
		.amdhsa_float_round_mode_16_64 0
		.amdhsa_float_denorm_mode_32 3
		.amdhsa_float_denorm_mode_16_64 3
		.amdhsa_dx10_clamp 1
		.amdhsa_ieee_mode 1
		.amdhsa_fp16_overflow 0
		.amdhsa_tg_split 0
		.amdhsa_exception_fp_ieee_invalid_op 0
		.amdhsa_exception_fp_denorm_src 0
		.amdhsa_exception_fp_ieee_div_zero 0
		.amdhsa_exception_fp_ieee_overflow 0
		.amdhsa_exception_fp_ieee_underflow 0
		.amdhsa_exception_fp_ieee_inexact 0
		.amdhsa_exception_int_div_zero 0
	.end_amdhsa_kernel
	.section	.text._ZN7rocprim17ROCPRIM_400000_NS6detail17trampoline_kernelINS0_14default_configENS1_38merge_sort_block_merge_config_selectorItNS0_10empty_typeEEEZZNS1_27merge_sort_block_merge_implIS3_PtPS5_jNS1_19radix_merge_compareILb1ELb1EtNS0_19identity_decomposerEEEEE10hipError_tT0_T1_T2_jT3_P12ihipStream_tbPNSt15iterator_traitsISE_E10value_typeEPNSK_ISF_E10value_typeEPSG_NS1_7vsmem_tEENKUlT_SE_SF_SG_E_clIS8_S8_S9_S9_EESD_ST_SE_SF_SG_EUlST_E1_NS1_11comp_targetILNS1_3genE0ELNS1_11target_archE4294967295ELNS1_3gpuE0ELNS1_3repE0EEENS1_36merge_oddeven_config_static_selectorELNS0_4arch9wavefront6targetE1EEEvSF_,"axG",@progbits,_ZN7rocprim17ROCPRIM_400000_NS6detail17trampoline_kernelINS0_14default_configENS1_38merge_sort_block_merge_config_selectorItNS0_10empty_typeEEEZZNS1_27merge_sort_block_merge_implIS3_PtPS5_jNS1_19radix_merge_compareILb1ELb1EtNS0_19identity_decomposerEEEEE10hipError_tT0_T1_T2_jT3_P12ihipStream_tbPNSt15iterator_traitsISE_E10value_typeEPNSK_ISF_E10value_typeEPSG_NS1_7vsmem_tEENKUlT_SE_SF_SG_E_clIS8_S8_S9_S9_EESD_ST_SE_SF_SG_EUlST_E1_NS1_11comp_targetILNS1_3genE0ELNS1_11target_archE4294967295ELNS1_3gpuE0ELNS1_3repE0EEENS1_36merge_oddeven_config_static_selectorELNS0_4arch9wavefront6targetE1EEEvSF_,comdat
.Lfunc_end1893:
	.size	_ZN7rocprim17ROCPRIM_400000_NS6detail17trampoline_kernelINS0_14default_configENS1_38merge_sort_block_merge_config_selectorItNS0_10empty_typeEEEZZNS1_27merge_sort_block_merge_implIS3_PtPS5_jNS1_19radix_merge_compareILb1ELb1EtNS0_19identity_decomposerEEEEE10hipError_tT0_T1_T2_jT3_P12ihipStream_tbPNSt15iterator_traitsISE_E10value_typeEPNSK_ISF_E10value_typeEPSG_NS1_7vsmem_tEENKUlT_SE_SF_SG_E_clIS8_S8_S9_S9_EESD_ST_SE_SF_SG_EUlST_E1_NS1_11comp_targetILNS1_3genE0ELNS1_11target_archE4294967295ELNS1_3gpuE0ELNS1_3repE0EEENS1_36merge_oddeven_config_static_selectorELNS0_4arch9wavefront6targetE1EEEvSF_, .Lfunc_end1893-_ZN7rocprim17ROCPRIM_400000_NS6detail17trampoline_kernelINS0_14default_configENS1_38merge_sort_block_merge_config_selectorItNS0_10empty_typeEEEZZNS1_27merge_sort_block_merge_implIS3_PtPS5_jNS1_19radix_merge_compareILb1ELb1EtNS0_19identity_decomposerEEEEE10hipError_tT0_T1_T2_jT3_P12ihipStream_tbPNSt15iterator_traitsISE_E10value_typeEPNSK_ISF_E10value_typeEPSG_NS1_7vsmem_tEENKUlT_SE_SF_SG_E_clIS8_S8_S9_S9_EESD_ST_SE_SF_SG_EUlST_E1_NS1_11comp_targetILNS1_3genE0ELNS1_11target_archE4294967295ELNS1_3gpuE0ELNS1_3repE0EEENS1_36merge_oddeven_config_static_selectorELNS0_4arch9wavefront6targetE1EEEvSF_
                                        ; -- End function
	.section	.AMDGPU.csdata,"",@progbits
; Kernel info:
; codeLenInByte = 0
; NumSgprs: 4
; NumVgprs: 0
; NumAgprs: 0
; TotalNumVgprs: 0
; ScratchSize: 0
; MemoryBound: 0
; FloatMode: 240
; IeeeMode: 1
; LDSByteSize: 0 bytes/workgroup (compile time only)
; SGPRBlocks: 0
; VGPRBlocks: 0
; NumSGPRsForWavesPerEU: 4
; NumVGPRsForWavesPerEU: 1
; AccumOffset: 4
; Occupancy: 8
; WaveLimiterHint : 0
; COMPUTE_PGM_RSRC2:SCRATCH_EN: 0
; COMPUTE_PGM_RSRC2:USER_SGPR: 6
; COMPUTE_PGM_RSRC2:TRAP_HANDLER: 0
; COMPUTE_PGM_RSRC2:TGID_X_EN: 1
; COMPUTE_PGM_RSRC2:TGID_Y_EN: 0
; COMPUTE_PGM_RSRC2:TGID_Z_EN: 0
; COMPUTE_PGM_RSRC2:TIDIG_COMP_CNT: 0
; COMPUTE_PGM_RSRC3_GFX90A:ACCUM_OFFSET: 0
; COMPUTE_PGM_RSRC3_GFX90A:TG_SPLIT: 0
	.section	.text._ZN7rocprim17ROCPRIM_400000_NS6detail17trampoline_kernelINS0_14default_configENS1_38merge_sort_block_merge_config_selectorItNS0_10empty_typeEEEZZNS1_27merge_sort_block_merge_implIS3_PtPS5_jNS1_19radix_merge_compareILb1ELb1EtNS0_19identity_decomposerEEEEE10hipError_tT0_T1_T2_jT3_P12ihipStream_tbPNSt15iterator_traitsISE_E10value_typeEPNSK_ISF_E10value_typeEPSG_NS1_7vsmem_tEENKUlT_SE_SF_SG_E_clIS8_S8_S9_S9_EESD_ST_SE_SF_SG_EUlST_E1_NS1_11comp_targetILNS1_3genE10ELNS1_11target_archE1201ELNS1_3gpuE5ELNS1_3repE0EEENS1_36merge_oddeven_config_static_selectorELNS0_4arch9wavefront6targetE1EEEvSF_,"axG",@progbits,_ZN7rocprim17ROCPRIM_400000_NS6detail17trampoline_kernelINS0_14default_configENS1_38merge_sort_block_merge_config_selectorItNS0_10empty_typeEEEZZNS1_27merge_sort_block_merge_implIS3_PtPS5_jNS1_19radix_merge_compareILb1ELb1EtNS0_19identity_decomposerEEEEE10hipError_tT0_T1_T2_jT3_P12ihipStream_tbPNSt15iterator_traitsISE_E10value_typeEPNSK_ISF_E10value_typeEPSG_NS1_7vsmem_tEENKUlT_SE_SF_SG_E_clIS8_S8_S9_S9_EESD_ST_SE_SF_SG_EUlST_E1_NS1_11comp_targetILNS1_3genE10ELNS1_11target_archE1201ELNS1_3gpuE5ELNS1_3repE0EEENS1_36merge_oddeven_config_static_selectorELNS0_4arch9wavefront6targetE1EEEvSF_,comdat
	.protected	_ZN7rocprim17ROCPRIM_400000_NS6detail17trampoline_kernelINS0_14default_configENS1_38merge_sort_block_merge_config_selectorItNS0_10empty_typeEEEZZNS1_27merge_sort_block_merge_implIS3_PtPS5_jNS1_19radix_merge_compareILb1ELb1EtNS0_19identity_decomposerEEEEE10hipError_tT0_T1_T2_jT3_P12ihipStream_tbPNSt15iterator_traitsISE_E10value_typeEPNSK_ISF_E10value_typeEPSG_NS1_7vsmem_tEENKUlT_SE_SF_SG_E_clIS8_S8_S9_S9_EESD_ST_SE_SF_SG_EUlST_E1_NS1_11comp_targetILNS1_3genE10ELNS1_11target_archE1201ELNS1_3gpuE5ELNS1_3repE0EEENS1_36merge_oddeven_config_static_selectorELNS0_4arch9wavefront6targetE1EEEvSF_ ; -- Begin function _ZN7rocprim17ROCPRIM_400000_NS6detail17trampoline_kernelINS0_14default_configENS1_38merge_sort_block_merge_config_selectorItNS0_10empty_typeEEEZZNS1_27merge_sort_block_merge_implIS3_PtPS5_jNS1_19radix_merge_compareILb1ELb1EtNS0_19identity_decomposerEEEEE10hipError_tT0_T1_T2_jT3_P12ihipStream_tbPNSt15iterator_traitsISE_E10value_typeEPNSK_ISF_E10value_typeEPSG_NS1_7vsmem_tEENKUlT_SE_SF_SG_E_clIS8_S8_S9_S9_EESD_ST_SE_SF_SG_EUlST_E1_NS1_11comp_targetILNS1_3genE10ELNS1_11target_archE1201ELNS1_3gpuE5ELNS1_3repE0EEENS1_36merge_oddeven_config_static_selectorELNS0_4arch9wavefront6targetE1EEEvSF_
	.globl	_ZN7rocprim17ROCPRIM_400000_NS6detail17trampoline_kernelINS0_14default_configENS1_38merge_sort_block_merge_config_selectorItNS0_10empty_typeEEEZZNS1_27merge_sort_block_merge_implIS3_PtPS5_jNS1_19radix_merge_compareILb1ELb1EtNS0_19identity_decomposerEEEEE10hipError_tT0_T1_T2_jT3_P12ihipStream_tbPNSt15iterator_traitsISE_E10value_typeEPNSK_ISF_E10value_typeEPSG_NS1_7vsmem_tEENKUlT_SE_SF_SG_E_clIS8_S8_S9_S9_EESD_ST_SE_SF_SG_EUlST_E1_NS1_11comp_targetILNS1_3genE10ELNS1_11target_archE1201ELNS1_3gpuE5ELNS1_3repE0EEENS1_36merge_oddeven_config_static_selectorELNS0_4arch9wavefront6targetE1EEEvSF_
	.p2align	8
	.type	_ZN7rocprim17ROCPRIM_400000_NS6detail17trampoline_kernelINS0_14default_configENS1_38merge_sort_block_merge_config_selectorItNS0_10empty_typeEEEZZNS1_27merge_sort_block_merge_implIS3_PtPS5_jNS1_19radix_merge_compareILb1ELb1EtNS0_19identity_decomposerEEEEE10hipError_tT0_T1_T2_jT3_P12ihipStream_tbPNSt15iterator_traitsISE_E10value_typeEPNSK_ISF_E10value_typeEPSG_NS1_7vsmem_tEENKUlT_SE_SF_SG_E_clIS8_S8_S9_S9_EESD_ST_SE_SF_SG_EUlST_E1_NS1_11comp_targetILNS1_3genE10ELNS1_11target_archE1201ELNS1_3gpuE5ELNS1_3repE0EEENS1_36merge_oddeven_config_static_selectorELNS0_4arch9wavefront6targetE1EEEvSF_,@function
_ZN7rocprim17ROCPRIM_400000_NS6detail17trampoline_kernelINS0_14default_configENS1_38merge_sort_block_merge_config_selectorItNS0_10empty_typeEEEZZNS1_27merge_sort_block_merge_implIS3_PtPS5_jNS1_19radix_merge_compareILb1ELb1EtNS0_19identity_decomposerEEEEE10hipError_tT0_T1_T2_jT3_P12ihipStream_tbPNSt15iterator_traitsISE_E10value_typeEPNSK_ISF_E10value_typeEPSG_NS1_7vsmem_tEENKUlT_SE_SF_SG_E_clIS8_S8_S9_S9_EESD_ST_SE_SF_SG_EUlST_E1_NS1_11comp_targetILNS1_3genE10ELNS1_11target_archE1201ELNS1_3gpuE5ELNS1_3repE0EEENS1_36merge_oddeven_config_static_selectorELNS0_4arch9wavefront6targetE1EEEvSF_: ; @_ZN7rocprim17ROCPRIM_400000_NS6detail17trampoline_kernelINS0_14default_configENS1_38merge_sort_block_merge_config_selectorItNS0_10empty_typeEEEZZNS1_27merge_sort_block_merge_implIS3_PtPS5_jNS1_19radix_merge_compareILb1ELb1EtNS0_19identity_decomposerEEEEE10hipError_tT0_T1_T2_jT3_P12ihipStream_tbPNSt15iterator_traitsISE_E10value_typeEPNSK_ISF_E10value_typeEPSG_NS1_7vsmem_tEENKUlT_SE_SF_SG_E_clIS8_S8_S9_S9_EESD_ST_SE_SF_SG_EUlST_E1_NS1_11comp_targetILNS1_3genE10ELNS1_11target_archE1201ELNS1_3gpuE5ELNS1_3repE0EEENS1_36merge_oddeven_config_static_selectorELNS0_4arch9wavefront6targetE1EEEvSF_
; %bb.0:
	.section	.rodata,"a",@progbits
	.p2align	6, 0x0
	.amdhsa_kernel _ZN7rocprim17ROCPRIM_400000_NS6detail17trampoline_kernelINS0_14default_configENS1_38merge_sort_block_merge_config_selectorItNS0_10empty_typeEEEZZNS1_27merge_sort_block_merge_implIS3_PtPS5_jNS1_19radix_merge_compareILb1ELb1EtNS0_19identity_decomposerEEEEE10hipError_tT0_T1_T2_jT3_P12ihipStream_tbPNSt15iterator_traitsISE_E10value_typeEPNSK_ISF_E10value_typeEPSG_NS1_7vsmem_tEENKUlT_SE_SF_SG_E_clIS8_S8_S9_S9_EESD_ST_SE_SF_SG_EUlST_E1_NS1_11comp_targetILNS1_3genE10ELNS1_11target_archE1201ELNS1_3gpuE5ELNS1_3repE0EEENS1_36merge_oddeven_config_static_selectorELNS0_4arch9wavefront6targetE1EEEvSF_
		.amdhsa_group_segment_fixed_size 0
		.amdhsa_private_segment_fixed_size 0
		.amdhsa_kernarg_size 48
		.amdhsa_user_sgpr_count 6
		.amdhsa_user_sgpr_private_segment_buffer 1
		.amdhsa_user_sgpr_dispatch_ptr 0
		.amdhsa_user_sgpr_queue_ptr 0
		.amdhsa_user_sgpr_kernarg_segment_ptr 1
		.amdhsa_user_sgpr_dispatch_id 0
		.amdhsa_user_sgpr_flat_scratch_init 0
		.amdhsa_user_sgpr_kernarg_preload_length 0
		.amdhsa_user_sgpr_kernarg_preload_offset 0
		.amdhsa_user_sgpr_private_segment_size 0
		.amdhsa_uses_dynamic_stack 0
		.amdhsa_system_sgpr_private_segment_wavefront_offset 0
		.amdhsa_system_sgpr_workgroup_id_x 1
		.amdhsa_system_sgpr_workgroup_id_y 0
		.amdhsa_system_sgpr_workgroup_id_z 0
		.amdhsa_system_sgpr_workgroup_info 0
		.amdhsa_system_vgpr_workitem_id 0
		.amdhsa_next_free_vgpr 1
		.amdhsa_next_free_sgpr 0
		.amdhsa_accum_offset 4
		.amdhsa_reserve_vcc 0
		.amdhsa_reserve_flat_scratch 0
		.amdhsa_float_round_mode_32 0
		.amdhsa_float_round_mode_16_64 0
		.amdhsa_float_denorm_mode_32 3
		.amdhsa_float_denorm_mode_16_64 3
		.amdhsa_dx10_clamp 1
		.amdhsa_ieee_mode 1
		.amdhsa_fp16_overflow 0
		.amdhsa_tg_split 0
		.amdhsa_exception_fp_ieee_invalid_op 0
		.amdhsa_exception_fp_denorm_src 0
		.amdhsa_exception_fp_ieee_div_zero 0
		.amdhsa_exception_fp_ieee_overflow 0
		.amdhsa_exception_fp_ieee_underflow 0
		.amdhsa_exception_fp_ieee_inexact 0
		.amdhsa_exception_int_div_zero 0
	.end_amdhsa_kernel
	.section	.text._ZN7rocprim17ROCPRIM_400000_NS6detail17trampoline_kernelINS0_14default_configENS1_38merge_sort_block_merge_config_selectorItNS0_10empty_typeEEEZZNS1_27merge_sort_block_merge_implIS3_PtPS5_jNS1_19radix_merge_compareILb1ELb1EtNS0_19identity_decomposerEEEEE10hipError_tT0_T1_T2_jT3_P12ihipStream_tbPNSt15iterator_traitsISE_E10value_typeEPNSK_ISF_E10value_typeEPSG_NS1_7vsmem_tEENKUlT_SE_SF_SG_E_clIS8_S8_S9_S9_EESD_ST_SE_SF_SG_EUlST_E1_NS1_11comp_targetILNS1_3genE10ELNS1_11target_archE1201ELNS1_3gpuE5ELNS1_3repE0EEENS1_36merge_oddeven_config_static_selectorELNS0_4arch9wavefront6targetE1EEEvSF_,"axG",@progbits,_ZN7rocprim17ROCPRIM_400000_NS6detail17trampoline_kernelINS0_14default_configENS1_38merge_sort_block_merge_config_selectorItNS0_10empty_typeEEEZZNS1_27merge_sort_block_merge_implIS3_PtPS5_jNS1_19radix_merge_compareILb1ELb1EtNS0_19identity_decomposerEEEEE10hipError_tT0_T1_T2_jT3_P12ihipStream_tbPNSt15iterator_traitsISE_E10value_typeEPNSK_ISF_E10value_typeEPSG_NS1_7vsmem_tEENKUlT_SE_SF_SG_E_clIS8_S8_S9_S9_EESD_ST_SE_SF_SG_EUlST_E1_NS1_11comp_targetILNS1_3genE10ELNS1_11target_archE1201ELNS1_3gpuE5ELNS1_3repE0EEENS1_36merge_oddeven_config_static_selectorELNS0_4arch9wavefront6targetE1EEEvSF_,comdat
.Lfunc_end1894:
	.size	_ZN7rocprim17ROCPRIM_400000_NS6detail17trampoline_kernelINS0_14default_configENS1_38merge_sort_block_merge_config_selectorItNS0_10empty_typeEEEZZNS1_27merge_sort_block_merge_implIS3_PtPS5_jNS1_19radix_merge_compareILb1ELb1EtNS0_19identity_decomposerEEEEE10hipError_tT0_T1_T2_jT3_P12ihipStream_tbPNSt15iterator_traitsISE_E10value_typeEPNSK_ISF_E10value_typeEPSG_NS1_7vsmem_tEENKUlT_SE_SF_SG_E_clIS8_S8_S9_S9_EESD_ST_SE_SF_SG_EUlST_E1_NS1_11comp_targetILNS1_3genE10ELNS1_11target_archE1201ELNS1_3gpuE5ELNS1_3repE0EEENS1_36merge_oddeven_config_static_selectorELNS0_4arch9wavefront6targetE1EEEvSF_, .Lfunc_end1894-_ZN7rocprim17ROCPRIM_400000_NS6detail17trampoline_kernelINS0_14default_configENS1_38merge_sort_block_merge_config_selectorItNS0_10empty_typeEEEZZNS1_27merge_sort_block_merge_implIS3_PtPS5_jNS1_19radix_merge_compareILb1ELb1EtNS0_19identity_decomposerEEEEE10hipError_tT0_T1_T2_jT3_P12ihipStream_tbPNSt15iterator_traitsISE_E10value_typeEPNSK_ISF_E10value_typeEPSG_NS1_7vsmem_tEENKUlT_SE_SF_SG_E_clIS8_S8_S9_S9_EESD_ST_SE_SF_SG_EUlST_E1_NS1_11comp_targetILNS1_3genE10ELNS1_11target_archE1201ELNS1_3gpuE5ELNS1_3repE0EEENS1_36merge_oddeven_config_static_selectorELNS0_4arch9wavefront6targetE1EEEvSF_
                                        ; -- End function
	.section	.AMDGPU.csdata,"",@progbits
; Kernel info:
; codeLenInByte = 0
; NumSgprs: 4
; NumVgprs: 0
; NumAgprs: 0
; TotalNumVgprs: 0
; ScratchSize: 0
; MemoryBound: 0
; FloatMode: 240
; IeeeMode: 1
; LDSByteSize: 0 bytes/workgroup (compile time only)
; SGPRBlocks: 0
; VGPRBlocks: 0
; NumSGPRsForWavesPerEU: 4
; NumVGPRsForWavesPerEU: 1
; AccumOffset: 4
; Occupancy: 8
; WaveLimiterHint : 0
; COMPUTE_PGM_RSRC2:SCRATCH_EN: 0
; COMPUTE_PGM_RSRC2:USER_SGPR: 6
; COMPUTE_PGM_RSRC2:TRAP_HANDLER: 0
; COMPUTE_PGM_RSRC2:TGID_X_EN: 1
; COMPUTE_PGM_RSRC2:TGID_Y_EN: 0
; COMPUTE_PGM_RSRC2:TGID_Z_EN: 0
; COMPUTE_PGM_RSRC2:TIDIG_COMP_CNT: 0
; COMPUTE_PGM_RSRC3_GFX90A:ACCUM_OFFSET: 0
; COMPUTE_PGM_RSRC3_GFX90A:TG_SPLIT: 0
	.section	.text._ZN7rocprim17ROCPRIM_400000_NS6detail17trampoline_kernelINS0_14default_configENS1_38merge_sort_block_merge_config_selectorItNS0_10empty_typeEEEZZNS1_27merge_sort_block_merge_implIS3_PtPS5_jNS1_19radix_merge_compareILb1ELb1EtNS0_19identity_decomposerEEEEE10hipError_tT0_T1_T2_jT3_P12ihipStream_tbPNSt15iterator_traitsISE_E10value_typeEPNSK_ISF_E10value_typeEPSG_NS1_7vsmem_tEENKUlT_SE_SF_SG_E_clIS8_S8_S9_S9_EESD_ST_SE_SF_SG_EUlST_E1_NS1_11comp_targetILNS1_3genE5ELNS1_11target_archE942ELNS1_3gpuE9ELNS1_3repE0EEENS1_36merge_oddeven_config_static_selectorELNS0_4arch9wavefront6targetE1EEEvSF_,"axG",@progbits,_ZN7rocprim17ROCPRIM_400000_NS6detail17trampoline_kernelINS0_14default_configENS1_38merge_sort_block_merge_config_selectorItNS0_10empty_typeEEEZZNS1_27merge_sort_block_merge_implIS3_PtPS5_jNS1_19radix_merge_compareILb1ELb1EtNS0_19identity_decomposerEEEEE10hipError_tT0_T1_T2_jT3_P12ihipStream_tbPNSt15iterator_traitsISE_E10value_typeEPNSK_ISF_E10value_typeEPSG_NS1_7vsmem_tEENKUlT_SE_SF_SG_E_clIS8_S8_S9_S9_EESD_ST_SE_SF_SG_EUlST_E1_NS1_11comp_targetILNS1_3genE5ELNS1_11target_archE942ELNS1_3gpuE9ELNS1_3repE0EEENS1_36merge_oddeven_config_static_selectorELNS0_4arch9wavefront6targetE1EEEvSF_,comdat
	.protected	_ZN7rocprim17ROCPRIM_400000_NS6detail17trampoline_kernelINS0_14default_configENS1_38merge_sort_block_merge_config_selectorItNS0_10empty_typeEEEZZNS1_27merge_sort_block_merge_implIS3_PtPS5_jNS1_19radix_merge_compareILb1ELb1EtNS0_19identity_decomposerEEEEE10hipError_tT0_T1_T2_jT3_P12ihipStream_tbPNSt15iterator_traitsISE_E10value_typeEPNSK_ISF_E10value_typeEPSG_NS1_7vsmem_tEENKUlT_SE_SF_SG_E_clIS8_S8_S9_S9_EESD_ST_SE_SF_SG_EUlST_E1_NS1_11comp_targetILNS1_3genE5ELNS1_11target_archE942ELNS1_3gpuE9ELNS1_3repE0EEENS1_36merge_oddeven_config_static_selectorELNS0_4arch9wavefront6targetE1EEEvSF_ ; -- Begin function _ZN7rocprim17ROCPRIM_400000_NS6detail17trampoline_kernelINS0_14default_configENS1_38merge_sort_block_merge_config_selectorItNS0_10empty_typeEEEZZNS1_27merge_sort_block_merge_implIS3_PtPS5_jNS1_19radix_merge_compareILb1ELb1EtNS0_19identity_decomposerEEEEE10hipError_tT0_T1_T2_jT3_P12ihipStream_tbPNSt15iterator_traitsISE_E10value_typeEPNSK_ISF_E10value_typeEPSG_NS1_7vsmem_tEENKUlT_SE_SF_SG_E_clIS8_S8_S9_S9_EESD_ST_SE_SF_SG_EUlST_E1_NS1_11comp_targetILNS1_3genE5ELNS1_11target_archE942ELNS1_3gpuE9ELNS1_3repE0EEENS1_36merge_oddeven_config_static_selectorELNS0_4arch9wavefront6targetE1EEEvSF_
	.globl	_ZN7rocprim17ROCPRIM_400000_NS6detail17trampoline_kernelINS0_14default_configENS1_38merge_sort_block_merge_config_selectorItNS0_10empty_typeEEEZZNS1_27merge_sort_block_merge_implIS3_PtPS5_jNS1_19radix_merge_compareILb1ELb1EtNS0_19identity_decomposerEEEEE10hipError_tT0_T1_T2_jT3_P12ihipStream_tbPNSt15iterator_traitsISE_E10value_typeEPNSK_ISF_E10value_typeEPSG_NS1_7vsmem_tEENKUlT_SE_SF_SG_E_clIS8_S8_S9_S9_EESD_ST_SE_SF_SG_EUlST_E1_NS1_11comp_targetILNS1_3genE5ELNS1_11target_archE942ELNS1_3gpuE9ELNS1_3repE0EEENS1_36merge_oddeven_config_static_selectorELNS0_4arch9wavefront6targetE1EEEvSF_
	.p2align	8
	.type	_ZN7rocprim17ROCPRIM_400000_NS6detail17trampoline_kernelINS0_14default_configENS1_38merge_sort_block_merge_config_selectorItNS0_10empty_typeEEEZZNS1_27merge_sort_block_merge_implIS3_PtPS5_jNS1_19radix_merge_compareILb1ELb1EtNS0_19identity_decomposerEEEEE10hipError_tT0_T1_T2_jT3_P12ihipStream_tbPNSt15iterator_traitsISE_E10value_typeEPNSK_ISF_E10value_typeEPSG_NS1_7vsmem_tEENKUlT_SE_SF_SG_E_clIS8_S8_S9_S9_EESD_ST_SE_SF_SG_EUlST_E1_NS1_11comp_targetILNS1_3genE5ELNS1_11target_archE942ELNS1_3gpuE9ELNS1_3repE0EEENS1_36merge_oddeven_config_static_selectorELNS0_4arch9wavefront6targetE1EEEvSF_,@function
_ZN7rocprim17ROCPRIM_400000_NS6detail17trampoline_kernelINS0_14default_configENS1_38merge_sort_block_merge_config_selectorItNS0_10empty_typeEEEZZNS1_27merge_sort_block_merge_implIS3_PtPS5_jNS1_19radix_merge_compareILb1ELb1EtNS0_19identity_decomposerEEEEE10hipError_tT0_T1_T2_jT3_P12ihipStream_tbPNSt15iterator_traitsISE_E10value_typeEPNSK_ISF_E10value_typeEPSG_NS1_7vsmem_tEENKUlT_SE_SF_SG_E_clIS8_S8_S9_S9_EESD_ST_SE_SF_SG_EUlST_E1_NS1_11comp_targetILNS1_3genE5ELNS1_11target_archE942ELNS1_3gpuE9ELNS1_3repE0EEENS1_36merge_oddeven_config_static_selectorELNS0_4arch9wavefront6targetE1EEEvSF_: ; @_ZN7rocprim17ROCPRIM_400000_NS6detail17trampoline_kernelINS0_14default_configENS1_38merge_sort_block_merge_config_selectorItNS0_10empty_typeEEEZZNS1_27merge_sort_block_merge_implIS3_PtPS5_jNS1_19radix_merge_compareILb1ELb1EtNS0_19identity_decomposerEEEEE10hipError_tT0_T1_T2_jT3_P12ihipStream_tbPNSt15iterator_traitsISE_E10value_typeEPNSK_ISF_E10value_typeEPSG_NS1_7vsmem_tEENKUlT_SE_SF_SG_E_clIS8_S8_S9_S9_EESD_ST_SE_SF_SG_EUlST_E1_NS1_11comp_targetILNS1_3genE5ELNS1_11target_archE942ELNS1_3gpuE9ELNS1_3repE0EEENS1_36merge_oddeven_config_static_selectorELNS0_4arch9wavefront6targetE1EEEvSF_
; %bb.0:
	.section	.rodata,"a",@progbits
	.p2align	6, 0x0
	.amdhsa_kernel _ZN7rocprim17ROCPRIM_400000_NS6detail17trampoline_kernelINS0_14default_configENS1_38merge_sort_block_merge_config_selectorItNS0_10empty_typeEEEZZNS1_27merge_sort_block_merge_implIS3_PtPS5_jNS1_19radix_merge_compareILb1ELb1EtNS0_19identity_decomposerEEEEE10hipError_tT0_T1_T2_jT3_P12ihipStream_tbPNSt15iterator_traitsISE_E10value_typeEPNSK_ISF_E10value_typeEPSG_NS1_7vsmem_tEENKUlT_SE_SF_SG_E_clIS8_S8_S9_S9_EESD_ST_SE_SF_SG_EUlST_E1_NS1_11comp_targetILNS1_3genE5ELNS1_11target_archE942ELNS1_3gpuE9ELNS1_3repE0EEENS1_36merge_oddeven_config_static_selectorELNS0_4arch9wavefront6targetE1EEEvSF_
		.amdhsa_group_segment_fixed_size 0
		.amdhsa_private_segment_fixed_size 0
		.amdhsa_kernarg_size 48
		.amdhsa_user_sgpr_count 6
		.amdhsa_user_sgpr_private_segment_buffer 1
		.amdhsa_user_sgpr_dispatch_ptr 0
		.amdhsa_user_sgpr_queue_ptr 0
		.amdhsa_user_sgpr_kernarg_segment_ptr 1
		.amdhsa_user_sgpr_dispatch_id 0
		.amdhsa_user_sgpr_flat_scratch_init 0
		.amdhsa_user_sgpr_kernarg_preload_length 0
		.amdhsa_user_sgpr_kernarg_preload_offset 0
		.amdhsa_user_sgpr_private_segment_size 0
		.amdhsa_uses_dynamic_stack 0
		.amdhsa_system_sgpr_private_segment_wavefront_offset 0
		.amdhsa_system_sgpr_workgroup_id_x 1
		.amdhsa_system_sgpr_workgroup_id_y 0
		.amdhsa_system_sgpr_workgroup_id_z 0
		.amdhsa_system_sgpr_workgroup_info 0
		.amdhsa_system_vgpr_workitem_id 0
		.amdhsa_next_free_vgpr 1
		.amdhsa_next_free_sgpr 0
		.amdhsa_accum_offset 4
		.amdhsa_reserve_vcc 0
		.amdhsa_reserve_flat_scratch 0
		.amdhsa_float_round_mode_32 0
		.amdhsa_float_round_mode_16_64 0
		.amdhsa_float_denorm_mode_32 3
		.amdhsa_float_denorm_mode_16_64 3
		.amdhsa_dx10_clamp 1
		.amdhsa_ieee_mode 1
		.amdhsa_fp16_overflow 0
		.amdhsa_tg_split 0
		.amdhsa_exception_fp_ieee_invalid_op 0
		.amdhsa_exception_fp_denorm_src 0
		.amdhsa_exception_fp_ieee_div_zero 0
		.amdhsa_exception_fp_ieee_overflow 0
		.amdhsa_exception_fp_ieee_underflow 0
		.amdhsa_exception_fp_ieee_inexact 0
		.amdhsa_exception_int_div_zero 0
	.end_amdhsa_kernel
	.section	.text._ZN7rocprim17ROCPRIM_400000_NS6detail17trampoline_kernelINS0_14default_configENS1_38merge_sort_block_merge_config_selectorItNS0_10empty_typeEEEZZNS1_27merge_sort_block_merge_implIS3_PtPS5_jNS1_19radix_merge_compareILb1ELb1EtNS0_19identity_decomposerEEEEE10hipError_tT0_T1_T2_jT3_P12ihipStream_tbPNSt15iterator_traitsISE_E10value_typeEPNSK_ISF_E10value_typeEPSG_NS1_7vsmem_tEENKUlT_SE_SF_SG_E_clIS8_S8_S9_S9_EESD_ST_SE_SF_SG_EUlST_E1_NS1_11comp_targetILNS1_3genE5ELNS1_11target_archE942ELNS1_3gpuE9ELNS1_3repE0EEENS1_36merge_oddeven_config_static_selectorELNS0_4arch9wavefront6targetE1EEEvSF_,"axG",@progbits,_ZN7rocprim17ROCPRIM_400000_NS6detail17trampoline_kernelINS0_14default_configENS1_38merge_sort_block_merge_config_selectorItNS0_10empty_typeEEEZZNS1_27merge_sort_block_merge_implIS3_PtPS5_jNS1_19radix_merge_compareILb1ELb1EtNS0_19identity_decomposerEEEEE10hipError_tT0_T1_T2_jT3_P12ihipStream_tbPNSt15iterator_traitsISE_E10value_typeEPNSK_ISF_E10value_typeEPSG_NS1_7vsmem_tEENKUlT_SE_SF_SG_E_clIS8_S8_S9_S9_EESD_ST_SE_SF_SG_EUlST_E1_NS1_11comp_targetILNS1_3genE5ELNS1_11target_archE942ELNS1_3gpuE9ELNS1_3repE0EEENS1_36merge_oddeven_config_static_selectorELNS0_4arch9wavefront6targetE1EEEvSF_,comdat
.Lfunc_end1895:
	.size	_ZN7rocprim17ROCPRIM_400000_NS6detail17trampoline_kernelINS0_14default_configENS1_38merge_sort_block_merge_config_selectorItNS0_10empty_typeEEEZZNS1_27merge_sort_block_merge_implIS3_PtPS5_jNS1_19radix_merge_compareILb1ELb1EtNS0_19identity_decomposerEEEEE10hipError_tT0_T1_T2_jT3_P12ihipStream_tbPNSt15iterator_traitsISE_E10value_typeEPNSK_ISF_E10value_typeEPSG_NS1_7vsmem_tEENKUlT_SE_SF_SG_E_clIS8_S8_S9_S9_EESD_ST_SE_SF_SG_EUlST_E1_NS1_11comp_targetILNS1_3genE5ELNS1_11target_archE942ELNS1_3gpuE9ELNS1_3repE0EEENS1_36merge_oddeven_config_static_selectorELNS0_4arch9wavefront6targetE1EEEvSF_, .Lfunc_end1895-_ZN7rocprim17ROCPRIM_400000_NS6detail17trampoline_kernelINS0_14default_configENS1_38merge_sort_block_merge_config_selectorItNS0_10empty_typeEEEZZNS1_27merge_sort_block_merge_implIS3_PtPS5_jNS1_19radix_merge_compareILb1ELb1EtNS0_19identity_decomposerEEEEE10hipError_tT0_T1_T2_jT3_P12ihipStream_tbPNSt15iterator_traitsISE_E10value_typeEPNSK_ISF_E10value_typeEPSG_NS1_7vsmem_tEENKUlT_SE_SF_SG_E_clIS8_S8_S9_S9_EESD_ST_SE_SF_SG_EUlST_E1_NS1_11comp_targetILNS1_3genE5ELNS1_11target_archE942ELNS1_3gpuE9ELNS1_3repE0EEENS1_36merge_oddeven_config_static_selectorELNS0_4arch9wavefront6targetE1EEEvSF_
                                        ; -- End function
	.section	.AMDGPU.csdata,"",@progbits
; Kernel info:
; codeLenInByte = 0
; NumSgprs: 4
; NumVgprs: 0
; NumAgprs: 0
; TotalNumVgprs: 0
; ScratchSize: 0
; MemoryBound: 0
; FloatMode: 240
; IeeeMode: 1
; LDSByteSize: 0 bytes/workgroup (compile time only)
; SGPRBlocks: 0
; VGPRBlocks: 0
; NumSGPRsForWavesPerEU: 4
; NumVGPRsForWavesPerEU: 1
; AccumOffset: 4
; Occupancy: 8
; WaveLimiterHint : 0
; COMPUTE_PGM_RSRC2:SCRATCH_EN: 0
; COMPUTE_PGM_RSRC2:USER_SGPR: 6
; COMPUTE_PGM_RSRC2:TRAP_HANDLER: 0
; COMPUTE_PGM_RSRC2:TGID_X_EN: 1
; COMPUTE_PGM_RSRC2:TGID_Y_EN: 0
; COMPUTE_PGM_RSRC2:TGID_Z_EN: 0
; COMPUTE_PGM_RSRC2:TIDIG_COMP_CNT: 0
; COMPUTE_PGM_RSRC3_GFX90A:ACCUM_OFFSET: 0
; COMPUTE_PGM_RSRC3_GFX90A:TG_SPLIT: 0
	.section	.text._ZN7rocprim17ROCPRIM_400000_NS6detail17trampoline_kernelINS0_14default_configENS1_38merge_sort_block_merge_config_selectorItNS0_10empty_typeEEEZZNS1_27merge_sort_block_merge_implIS3_PtPS5_jNS1_19radix_merge_compareILb1ELb1EtNS0_19identity_decomposerEEEEE10hipError_tT0_T1_T2_jT3_P12ihipStream_tbPNSt15iterator_traitsISE_E10value_typeEPNSK_ISF_E10value_typeEPSG_NS1_7vsmem_tEENKUlT_SE_SF_SG_E_clIS8_S8_S9_S9_EESD_ST_SE_SF_SG_EUlST_E1_NS1_11comp_targetILNS1_3genE4ELNS1_11target_archE910ELNS1_3gpuE8ELNS1_3repE0EEENS1_36merge_oddeven_config_static_selectorELNS0_4arch9wavefront6targetE1EEEvSF_,"axG",@progbits,_ZN7rocprim17ROCPRIM_400000_NS6detail17trampoline_kernelINS0_14default_configENS1_38merge_sort_block_merge_config_selectorItNS0_10empty_typeEEEZZNS1_27merge_sort_block_merge_implIS3_PtPS5_jNS1_19radix_merge_compareILb1ELb1EtNS0_19identity_decomposerEEEEE10hipError_tT0_T1_T2_jT3_P12ihipStream_tbPNSt15iterator_traitsISE_E10value_typeEPNSK_ISF_E10value_typeEPSG_NS1_7vsmem_tEENKUlT_SE_SF_SG_E_clIS8_S8_S9_S9_EESD_ST_SE_SF_SG_EUlST_E1_NS1_11comp_targetILNS1_3genE4ELNS1_11target_archE910ELNS1_3gpuE8ELNS1_3repE0EEENS1_36merge_oddeven_config_static_selectorELNS0_4arch9wavefront6targetE1EEEvSF_,comdat
	.protected	_ZN7rocprim17ROCPRIM_400000_NS6detail17trampoline_kernelINS0_14default_configENS1_38merge_sort_block_merge_config_selectorItNS0_10empty_typeEEEZZNS1_27merge_sort_block_merge_implIS3_PtPS5_jNS1_19radix_merge_compareILb1ELb1EtNS0_19identity_decomposerEEEEE10hipError_tT0_T1_T2_jT3_P12ihipStream_tbPNSt15iterator_traitsISE_E10value_typeEPNSK_ISF_E10value_typeEPSG_NS1_7vsmem_tEENKUlT_SE_SF_SG_E_clIS8_S8_S9_S9_EESD_ST_SE_SF_SG_EUlST_E1_NS1_11comp_targetILNS1_3genE4ELNS1_11target_archE910ELNS1_3gpuE8ELNS1_3repE0EEENS1_36merge_oddeven_config_static_selectorELNS0_4arch9wavefront6targetE1EEEvSF_ ; -- Begin function _ZN7rocprim17ROCPRIM_400000_NS6detail17trampoline_kernelINS0_14default_configENS1_38merge_sort_block_merge_config_selectorItNS0_10empty_typeEEEZZNS1_27merge_sort_block_merge_implIS3_PtPS5_jNS1_19radix_merge_compareILb1ELb1EtNS0_19identity_decomposerEEEEE10hipError_tT0_T1_T2_jT3_P12ihipStream_tbPNSt15iterator_traitsISE_E10value_typeEPNSK_ISF_E10value_typeEPSG_NS1_7vsmem_tEENKUlT_SE_SF_SG_E_clIS8_S8_S9_S9_EESD_ST_SE_SF_SG_EUlST_E1_NS1_11comp_targetILNS1_3genE4ELNS1_11target_archE910ELNS1_3gpuE8ELNS1_3repE0EEENS1_36merge_oddeven_config_static_selectorELNS0_4arch9wavefront6targetE1EEEvSF_
	.globl	_ZN7rocprim17ROCPRIM_400000_NS6detail17trampoline_kernelINS0_14default_configENS1_38merge_sort_block_merge_config_selectorItNS0_10empty_typeEEEZZNS1_27merge_sort_block_merge_implIS3_PtPS5_jNS1_19radix_merge_compareILb1ELb1EtNS0_19identity_decomposerEEEEE10hipError_tT0_T1_T2_jT3_P12ihipStream_tbPNSt15iterator_traitsISE_E10value_typeEPNSK_ISF_E10value_typeEPSG_NS1_7vsmem_tEENKUlT_SE_SF_SG_E_clIS8_S8_S9_S9_EESD_ST_SE_SF_SG_EUlST_E1_NS1_11comp_targetILNS1_3genE4ELNS1_11target_archE910ELNS1_3gpuE8ELNS1_3repE0EEENS1_36merge_oddeven_config_static_selectorELNS0_4arch9wavefront6targetE1EEEvSF_
	.p2align	8
	.type	_ZN7rocprim17ROCPRIM_400000_NS6detail17trampoline_kernelINS0_14default_configENS1_38merge_sort_block_merge_config_selectorItNS0_10empty_typeEEEZZNS1_27merge_sort_block_merge_implIS3_PtPS5_jNS1_19radix_merge_compareILb1ELb1EtNS0_19identity_decomposerEEEEE10hipError_tT0_T1_T2_jT3_P12ihipStream_tbPNSt15iterator_traitsISE_E10value_typeEPNSK_ISF_E10value_typeEPSG_NS1_7vsmem_tEENKUlT_SE_SF_SG_E_clIS8_S8_S9_S9_EESD_ST_SE_SF_SG_EUlST_E1_NS1_11comp_targetILNS1_3genE4ELNS1_11target_archE910ELNS1_3gpuE8ELNS1_3repE0EEENS1_36merge_oddeven_config_static_selectorELNS0_4arch9wavefront6targetE1EEEvSF_,@function
_ZN7rocprim17ROCPRIM_400000_NS6detail17trampoline_kernelINS0_14default_configENS1_38merge_sort_block_merge_config_selectorItNS0_10empty_typeEEEZZNS1_27merge_sort_block_merge_implIS3_PtPS5_jNS1_19radix_merge_compareILb1ELb1EtNS0_19identity_decomposerEEEEE10hipError_tT0_T1_T2_jT3_P12ihipStream_tbPNSt15iterator_traitsISE_E10value_typeEPNSK_ISF_E10value_typeEPSG_NS1_7vsmem_tEENKUlT_SE_SF_SG_E_clIS8_S8_S9_S9_EESD_ST_SE_SF_SG_EUlST_E1_NS1_11comp_targetILNS1_3genE4ELNS1_11target_archE910ELNS1_3gpuE8ELNS1_3repE0EEENS1_36merge_oddeven_config_static_selectorELNS0_4arch9wavefront6targetE1EEEvSF_: ; @_ZN7rocprim17ROCPRIM_400000_NS6detail17trampoline_kernelINS0_14default_configENS1_38merge_sort_block_merge_config_selectorItNS0_10empty_typeEEEZZNS1_27merge_sort_block_merge_implIS3_PtPS5_jNS1_19radix_merge_compareILb1ELb1EtNS0_19identity_decomposerEEEEE10hipError_tT0_T1_T2_jT3_P12ihipStream_tbPNSt15iterator_traitsISE_E10value_typeEPNSK_ISF_E10value_typeEPSG_NS1_7vsmem_tEENKUlT_SE_SF_SG_E_clIS8_S8_S9_S9_EESD_ST_SE_SF_SG_EUlST_E1_NS1_11comp_targetILNS1_3genE4ELNS1_11target_archE910ELNS1_3gpuE8ELNS1_3repE0EEENS1_36merge_oddeven_config_static_selectorELNS0_4arch9wavefront6targetE1EEEvSF_
; %bb.0:
	s_load_dword s18, s[4:5], 0x20
	s_waitcnt lgkmcnt(0)
	s_lshr_b32 s0, s18, 8
	s_cmp_lg_u32 s6, s0
	s_cselect_b64 s[14:15], -1, 0
	s_cmp_eq_u32 s6, s0
	s_cselect_b64 s[12:13], -1, 0
	s_lshl_b32 s16, s6, 8
	s_sub_i32 s0, s18, s16
	v_cmp_gt_u32_e64 s[2:3], s0, v0
	s_or_b64 s[0:1], s[14:15], s[2:3]
	s_and_saveexec_b64 s[8:9], s[0:1]
	s_cbranch_execz .LBB1896_20
; %bb.1:
	s_load_dwordx4 s[8:11], s[4:5], 0x0
	s_load_dword s19, s[4:5], 0x24
	s_mov_b32 s17, 0
	s_lshl_b64 s[0:1], s[16:17], 1
	v_lshlrev_b32_e32 v1, 1, v0
	s_waitcnt lgkmcnt(0)
	s_add_u32 s0, s8, s0
	s_addc_u32 s1, s9, s1
	global_load_ushort v2, v1, s[0:1]
	s_lshr_b32 s0, s19, 8
	s_sub_i32 s1, 0, s0
	s_and_b32 s1, s6, s1
	s_and_b32 s0, s1, s0
	s_lshl_b32 s20, s1, 8
	s_sub_i32 s17, 0, s19
	s_cmp_eq_u32 s0, 0
	s_cselect_b64 s[0:1], -1, 0
	s_and_b64 s[6:7], s[0:1], exec
	s_cselect_b32 s17, s19, s17
	s_add_i32 s17, s17, s20
	s_cmp_lt_u32 s17, s18
	v_add_u32_e32 v0, s16, v0
	s_cbranch_scc1 .LBB1896_3
; %bb.2:
	v_cmp_gt_u32_e32 vcc, s18, v0
	s_or_b64 s[6:7], vcc, s[14:15]
	s_and_b64 s[6:7], s[6:7], exec
	s_cbranch_execz .LBB1896_4
	s_branch .LBB1896_18
.LBB1896_3:
	s_mov_b64 s[6:7], 0
.LBB1896_4:
	s_load_dword s14, s[4:5], 0x28
	s_min_u32 s15, s17, s18
	s_add_i32 s4, s15, s19
	s_min_u32 s16, s4, s18
	s_min_u32 s4, s20, s15
	s_add_i32 s20, s20, s15
	v_subrev_u32_e32 v0, s20, v0
	v_add_u32_e32 v1, s4, v0
	s_and_b64 vcc, exec, s[12:13]
	s_cbranch_vccz .LBB1896_12
; %bb.5:
                                        ; implicit-def: $vgpr0
	s_and_saveexec_b64 s[4:5], s[2:3]
	s_cbranch_execz .LBB1896_11
; %bb.6:
	s_cmp_ge_u32 s17, s16
	v_mov_b32_e32 v0, s15
	s_cbranch_scc1 .LBB1896_10
; %bb.7:
	s_waitcnt vmcnt(0) lgkmcnt(0)
	v_and_b32_e32 v3, s14, v2
	s_mov_b64 s[2:3], 0
	v_mov_b32_e32 v4, s16
	v_mov_b32_e32 v0, s15
.LBB1896_8:                             ; =>This Inner Loop Header: Depth=1
	v_add_u32_e32 v5, v0, v4
	v_and_b32_e32 v6, -2, v5
	global_load_ushort v6, v6, s[8:9]
	v_lshrrev_b32_e32 v5, 1, v5
	v_add_u32_e32 v7, 1, v5
	s_waitcnt vmcnt(0)
	v_and_b32_e32 v6, s14, v6
	v_cmp_gt_u16_e32 vcc, v6, v3
	v_cndmask_b32_e64 v8, 0, 1, vcc
	v_cmp_le_u16_e32 vcc, v3, v6
	v_cndmask_b32_e64 v6, 0, 1, vcc
	v_cndmask_b32_e64 v6, v6, v8, s[0:1]
	v_and_b32_e32 v6, 1, v6
	v_cmp_eq_u32_e32 vcc, 1, v6
	v_cndmask_b32_e32 v4, v5, v4, vcc
	v_cndmask_b32_e32 v0, v0, v7, vcc
	v_cmp_ge_u32_e32 vcc, v0, v4
	s_or_b64 s[2:3], vcc, s[2:3]
	s_andn2_b64 exec, exec, s[2:3]
	s_cbranch_execnz .LBB1896_8
; %bb.9:
	s_or_b64 exec, exec, s[2:3]
.LBB1896_10:
	v_add_u32_e32 v0, v0, v1
	s_or_b64 s[6:7], s[6:7], exec
.LBB1896_11:
	s_or_b64 exec, exec, s[4:5]
	s_branch .LBB1896_18
.LBB1896_12:
                                        ; implicit-def: $vgpr0
	s_cbranch_execz .LBB1896_18
; %bb.13:
	s_cmp_ge_u32 s17, s16
	v_mov_b32_e32 v0, s15
	s_cbranch_scc1 .LBB1896_17
; %bb.14:
	s_waitcnt vmcnt(0) lgkmcnt(0)
	v_and_b32_e32 v3, s14, v2
	s_mov_b64 s[2:3], 0
	v_mov_b32_e32 v4, s16
	v_mov_b32_e32 v0, s15
.LBB1896_15:                            ; =>This Inner Loop Header: Depth=1
	v_add_u32_e32 v5, v0, v4
	v_and_b32_e32 v6, -2, v5
	global_load_ushort v6, v6, s[8:9]
	v_lshrrev_b32_e32 v5, 1, v5
	v_add_u32_e32 v7, 1, v5
	s_waitcnt vmcnt(0)
	v_and_b32_e32 v6, s14, v6
	v_cmp_gt_u16_e32 vcc, v6, v3
	v_cndmask_b32_e64 v8, 0, 1, vcc
	v_cmp_le_u16_e32 vcc, v3, v6
	v_cndmask_b32_e64 v6, 0, 1, vcc
	v_cndmask_b32_e64 v6, v6, v8, s[0:1]
	v_and_b32_e32 v6, 1, v6
	v_cmp_eq_u32_e32 vcc, 1, v6
	v_cndmask_b32_e32 v4, v5, v4, vcc
	v_cndmask_b32_e32 v0, v0, v7, vcc
	v_cmp_ge_u32_e32 vcc, v0, v4
	s_or_b64 s[2:3], vcc, s[2:3]
	s_andn2_b64 exec, exec, s[2:3]
	s_cbranch_execnz .LBB1896_15
; %bb.16:
	s_or_b64 exec, exec, s[2:3]
.LBB1896_17:
	v_add_u32_e32 v0, v0, v1
	s_mov_b64 s[6:7], -1
.LBB1896_18:
	s_and_b64 exec, exec, s[6:7]
	s_cbranch_execz .LBB1896_20
; %bb.19:
	v_mov_b32_e32 v1, 0
	v_lshlrev_b64 v[0:1], 1, v[0:1]
	v_mov_b32_e32 v3, s11
	v_add_co_u32_e32 v0, vcc, s10, v0
	v_addc_co_u32_e32 v1, vcc, v3, v1, vcc
	s_waitcnt vmcnt(0)
	global_store_short v[0:1], v2, off
.LBB1896_20:
	s_endpgm
	.section	.rodata,"a",@progbits
	.p2align	6, 0x0
	.amdhsa_kernel _ZN7rocprim17ROCPRIM_400000_NS6detail17trampoline_kernelINS0_14default_configENS1_38merge_sort_block_merge_config_selectorItNS0_10empty_typeEEEZZNS1_27merge_sort_block_merge_implIS3_PtPS5_jNS1_19radix_merge_compareILb1ELb1EtNS0_19identity_decomposerEEEEE10hipError_tT0_T1_T2_jT3_P12ihipStream_tbPNSt15iterator_traitsISE_E10value_typeEPNSK_ISF_E10value_typeEPSG_NS1_7vsmem_tEENKUlT_SE_SF_SG_E_clIS8_S8_S9_S9_EESD_ST_SE_SF_SG_EUlST_E1_NS1_11comp_targetILNS1_3genE4ELNS1_11target_archE910ELNS1_3gpuE8ELNS1_3repE0EEENS1_36merge_oddeven_config_static_selectorELNS0_4arch9wavefront6targetE1EEEvSF_
		.amdhsa_group_segment_fixed_size 0
		.amdhsa_private_segment_fixed_size 0
		.amdhsa_kernarg_size 48
		.amdhsa_user_sgpr_count 6
		.amdhsa_user_sgpr_private_segment_buffer 1
		.amdhsa_user_sgpr_dispatch_ptr 0
		.amdhsa_user_sgpr_queue_ptr 0
		.amdhsa_user_sgpr_kernarg_segment_ptr 1
		.amdhsa_user_sgpr_dispatch_id 0
		.amdhsa_user_sgpr_flat_scratch_init 0
		.amdhsa_user_sgpr_kernarg_preload_length 0
		.amdhsa_user_sgpr_kernarg_preload_offset 0
		.amdhsa_user_sgpr_private_segment_size 0
		.amdhsa_uses_dynamic_stack 0
		.amdhsa_system_sgpr_private_segment_wavefront_offset 0
		.amdhsa_system_sgpr_workgroup_id_x 1
		.amdhsa_system_sgpr_workgroup_id_y 0
		.amdhsa_system_sgpr_workgroup_id_z 0
		.amdhsa_system_sgpr_workgroup_info 0
		.amdhsa_system_vgpr_workitem_id 0
		.amdhsa_next_free_vgpr 9
		.amdhsa_next_free_sgpr 21
		.amdhsa_accum_offset 12
		.amdhsa_reserve_vcc 1
		.amdhsa_reserve_flat_scratch 0
		.amdhsa_float_round_mode_32 0
		.amdhsa_float_round_mode_16_64 0
		.amdhsa_float_denorm_mode_32 3
		.amdhsa_float_denorm_mode_16_64 3
		.amdhsa_dx10_clamp 1
		.amdhsa_ieee_mode 1
		.amdhsa_fp16_overflow 0
		.amdhsa_tg_split 0
		.amdhsa_exception_fp_ieee_invalid_op 0
		.amdhsa_exception_fp_denorm_src 0
		.amdhsa_exception_fp_ieee_div_zero 0
		.amdhsa_exception_fp_ieee_overflow 0
		.amdhsa_exception_fp_ieee_underflow 0
		.amdhsa_exception_fp_ieee_inexact 0
		.amdhsa_exception_int_div_zero 0
	.end_amdhsa_kernel
	.section	.text._ZN7rocprim17ROCPRIM_400000_NS6detail17trampoline_kernelINS0_14default_configENS1_38merge_sort_block_merge_config_selectorItNS0_10empty_typeEEEZZNS1_27merge_sort_block_merge_implIS3_PtPS5_jNS1_19radix_merge_compareILb1ELb1EtNS0_19identity_decomposerEEEEE10hipError_tT0_T1_T2_jT3_P12ihipStream_tbPNSt15iterator_traitsISE_E10value_typeEPNSK_ISF_E10value_typeEPSG_NS1_7vsmem_tEENKUlT_SE_SF_SG_E_clIS8_S8_S9_S9_EESD_ST_SE_SF_SG_EUlST_E1_NS1_11comp_targetILNS1_3genE4ELNS1_11target_archE910ELNS1_3gpuE8ELNS1_3repE0EEENS1_36merge_oddeven_config_static_selectorELNS0_4arch9wavefront6targetE1EEEvSF_,"axG",@progbits,_ZN7rocprim17ROCPRIM_400000_NS6detail17trampoline_kernelINS0_14default_configENS1_38merge_sort_block_merge_config_selectorItNS0_10empty_typeEEEZZNS1_27merge_sort_block_merge_implIS3_PtPS5_jNS1_19radix_merge_compareILb1ELb1EtNS0_19identity_decomposerEEEEE10hipError_tT0_T1_T2_jT3_P12ihipStream_tbPNSt15iterator_traitsISE_E10value_typeEPNSK_ISF_E10value_typeEPSG_NS1_7vsmem_tEENKUlT_SE_SF_SG_E_clIS8_S8_S9_S9_EESD_ST_SE_SF_SG_EUlST_E1_NS1_11comp_targetILNS1_3genE4ELNS1_11target_archE910ELNS1_3gpuE8ELNS1_3repE0EEENS1_36merge_oddeven_config_static_selectorELNS0_4arch9wavefront6targetE1EEEvSF_,comdat
.Lfunc_end1896:
	.size	_ZN7rocprim17ROCPRIM_400000_NS6detail17trampoline_kernelINS0_14default_configENS1_38merge_sort_block_merge_config_selectorItNS0_10empty_typeEEEZZNS1_27merge_sort_block_merge_implIS3_PtPS5_jNS1_19radix_merge_compareILb1ELb1EtNS0_19identity_decomposerEEEEE10hipError_tT0_T1_T2_jT3_P12ihipStream_tbPNSt15iterator_traitsISE_E10value_typeEPNSK_ISF_E10value_typeEPSG_NS1_7vsmem_tEENKUlT_SE_SF_SG_E_clIS8_S8_S9_S9_EESD_ST_SE_SF_SG_EUlST_E1_NS1_11comp_targetILNS1_3genE4ELNS1_11target_archE910ELNS1_3gpuE8ELNS1_3repE0EEENS1_36merge_oddeven_config_static_selectorELNS0_4arch9wavefront6targetE1EEEvSF_, .Lfunc_end1896-_ZN7rocprim17ROCPRIM_400000_NS6detail17trampoline_kernelINS0_14default_configENS1_38merge_sort_block_merge_config_selectorItNS0_10empty_typeEEEZZNS1_27merge_sort_block_merge_implIS3_PtPS5_jNS1_19radix_merge_compareILb1ELb1EtNS0_19identity_decomposerEEEEE10hipError_tT0_T1_T2_jT3_P12ihipStream_tbPNSt15iterator_traitsISE_E10value_typeEPNSK_ISF_E10value_typeEPSG_NS1_7vsmem_tEENKUlT_SE_SF_SG_E_clIS8_S8_S9_S9_EESD_ST_SE_SF_SG_EUlST_E1_NS1_11comp_targetILNS1_3genE4ELNS1_11target_archE910ELNS1_3gpuE8ELNS1_3repE0EEENS1_36merge_oddeven_config_static_selectorELNS0_4arch9wavefront6targetE1EEEvSF_
                                        ; -- End function
	.section	.AMDGPU.csdata,"",@progbits
; Kernel info:
; codeLenInByte = 580
; NumSgprs: 25
; NumVgprs: 9
; NumAgprs: 0
; TotalNumVgprs: 9
; ScratchSize: 0
; MemoryBound: 0
; FloatMode: 240
; IeeeMode: 1
; LDSByteSize: 0 bytes/workgroup (compile time only)
; SGPRBlocks: 3
; VGPRBlocks: 1
; NumSGPRsForWavesPerEU: 25
; NumVGPRsForWavesPerEU: 9
; AccumOffset: 12
; Occupancy: 8
; WaveLimiterHint : 0
; COMPUTE_PGM_RSRC2:SCRATCH_EN: 0
; COMPUTE_PGM_RSRC2:USER_SGPR: 6
; COMPUTE_PGM_RSRC2:TRAP_HANDLER: 0
; COMPUTE_PGM_RSRC2:TGID_X_EN: 1
; COMPUTE_PGM_RSRC2:TGID_Y_EN: 0
; COMPUTE_PGM_RSRC2:TGID_Z_EN: 0
; COMPUTE_PGM_RSRC2:TIDIG_COMP_CNT: 0
; COMPUTE_PGM_RSRC3_GFX90A:ACCUM_OFFSET: 2
; COMPUTE_PGM_RSRC3_GFX90A:TG_SPLIT: 0
	.section	.text._ZN7rocprim17ROCPRIM_400000_NS6detail17trampoline_kernelINS0_14default_configENS1_38merge_sort_block_merge_config_selectorItNS0_10empty_typeEEEZZNS1_27merge_sort_block_merge_implIS3_PtPS5_jNS1_19radix_merge_compareILb1ELb1EtNS0_19identity_decomposerEEEEE10hipError_tT0_T1_T2_jT3_P12ihipStream_tbPNSt15iterator_traitsISE_E10value_typeEPNSK_ISF_E10value_typeEPSG_NS1_7vsmem_tEENKUlT_SE_SF_SG_E_clIS8_S8_S9_S9_EESD_ST_SE_SF_SG_EUlST_E1_NS1_11comp_targetILNS1_3genE3ELNS1_11target_archE908ELNS1_3gpuE7ELNS1_3repE0EEENS1_36merge_oddeven_config_static_selectorELNS0_4arch9wavefront6targetE1EEEvSF_,"axG",@progbits,_ZN7rocprim17ROCPRIM_400000_NS6detail17trampoline_kernelINS0_14default_configENS1_38merge_sort_block_merge_config_selectorItNS0_10empty_typeEEEZZNS1_27merge_sort_block_merge_implIS3_PtPS5_jNS1_19radix_merge_compareILb1ELb1EtNS0_19identity_decomposerEEEEE10hipError_tT0_T1_T2_jT3_P12ihipStream_tbPNSt15iterator_traitsISE_E10value_typeEPNSK_ISF_E10value_typeEPSG_NS1_7vsmem_tEENKUlT_SE_SF_SG_E_clIS8_S8_S9_S9_EESD_ST_SE_SF_SG_EUlST_E1_NS1_11comp_targetILNS1_3genE3ELNS1_11target_archE908ELNS1_3gpuE7ELNS1_3repE0EEENS1_36merge_oddeven_config_static_selectorELNS0_4arch9wavefront6targetE1EEEvSF_,comdat
	.protected	_ZN7rocprim17ROCPRIM_400000_NS6detail17trampoline_kernelINS0_14default_configENS1_38merge_sort_block_merge_config_selectorItNS0_10empty_typeEEEZZNS1_27merge_sort_block_merge_implIS3_PtPS5_jNS1_19radix_merge_compareILb1ELb1EtNS0_19identity_decomposerEEEEE10hipError_tT0_T1_T2_jT3_P12ihipStream_tbPNSt15iterator_traitsISE_E10value_typeEPNSK_ISF_E10value_typeEPSG_NS1_7vsmem_tEENKUlT_SE_SF_SG_E_clIS8_S8_S9_S9_EESD_ST_SE_SF_SG_EUlST_E1_NS1_11comp_targetILNS1_3genE3ELNS1_11target_archE908ELNS1_3gpuE7ELNS1_3repE0EEENS1_36merge_oddeven_config_static_selectorELNS0_4arch9wavefront6targetE1EEEvSF_ ; -- Begin function _ZN7rocprim17ROCPRIM_400000_NS6detail17trampoline_kernelINS0_14default_configENS1_38merge_sort_block_merge_config_selectorItNS0_10empty_typeEEEZZNS1_27merge_sort_block_merge_implIS3_PtPS5_jNS1_19radix_merge_compareILb1ELb1EtNS0_19identity_decomposerEEEEE10hipError_tT0_T1_T2_jT3_P12ihipStream_tbPNSt15iterator_traitsISE_E10value_typeEPNSK_ISF_E10value_typeEPSG_NS1_7vsmem_tEENKUlT_SE_SF_SG_E_clIS8_S8_S9_S9_EESD_ST_SE_SF_SG_EUlST_E1_NS1_11comp_targetILNS1_3genE3ELNS1_11target_archE908ELNS1_3gpuE7ELNS1_3repE0EEENS1_36merge_oddeven_config_static_selectorELNS0_4arch9wavefront6targetE1EEEvSF_
	.globl	_ZN7rocprim17ROCPRIM_400000_NS6detail17trampoline_kernelINS0_14default_configENS1_38merge_sort_block_merge_config_selectorItNS0_10empty_typeEEEZZNS1_27merge_sort_block_merge_implIS3_PtPS5_jNS1_19radix_merge_compareILb1ELb1EtNS0_19identity_decomposerEEEEE10hipError_tT0_T1_T2_jT3_P12ihipStream_tbPNSt15iterator_traitsISE_E10value_typeEPNSK_ISF_E10value_typeEPSG_NS1_7vsmem_tEENKUlT_SE_SF_SG_E_clIS8_S8_S9_S9_EESD_ST_SE_SF_SG_EUlST_E1_NS1_11comp_targetILNS1_3genE3ELNS1_11target_archE908ELNS1_3gpuE7ELNS1_3repE0EEENS1_36merge_oddeven_config_static_selectorELNS0_4arch9wavefront6targetE1EEEvSF_
	.p2align	8
	.type	_ZN7rocprim17ROCPRIM_400000_NS6detail17trampoline_kernelINS0_14default_configENS1_38merge_sort_block_merge_config_selectorItNS0_10empty_typeEEEZZNS1_27merge_sort_block_merge_implIS3_PtPS5_jNS1_19radix_merge_compareILb1ELb1EtNS0_19identity_decomposerEEEEE10hipError_tT0_T1_T2_jT3_P12ihipStream_tbPNSt15iterator_traitsISE_E10value_typeEPNSK_ISF_E10value_typeEPSG_NS1_7vsmem_tEENKUlT_SE_SF_SG_E_clIS8_S8_S9_S9_EESD_ST_SE_SF_SG_EUlST_E1_NS1_11comp_targetILNS1_3genE3ELNS1_11target_archE908ELNS1_3gpuE7ELNS1_3repE0EEENS1_36merge_oddeven_config_static_selectorELNS0_4arch9wavefront6targetE1EEEvSF_,@function
_ZN7rocprim17ROCPRIM_400000_NS6detail17trampoline_kernelINS0_14default_configENS1_38merge_sort_block_merge_config_selectorItNS0_10empty_typeEEEZZNS1_27merge_sort_block_merge_implIS3_PtPS5_jNS1_19radix_merge_compareILb1ELb1EtNS0_19identity_decomposerEEEEE10hipError_tT0_T1_T2_jT3_P12ihipStream_tbPNSt15iterator_traitsISE_E10value_typeEPNSK_ISF_E10value_typeEPSG_NS1_7vsmem_tEENKUlT_SE_SF_SG_E_clIS8_S8_S9_S9_EESD_ST_SE_SF_SG_EUlST_E1_NS1_11comp_targetILNS1_3genE3ELNS1_11target_archE908ELNS1_3gpuE7ELNS1_3repE0EEENS1_36merge_oddeven_config_static_selectorELNS0_4arch9wavefront6targetE1EEEvSF_: ; @_ZN7rocprim17ROCPRIM_400000_NS6detail17trampoline_kernelINS0_14default_configENS1_38merge_sort_block_merge_config_selectorItNS0_10empty_typeEEEZZNS1_27merge_sort_block_merge_implIS3_PtPS5_jNS1_19radix_merge_compareILb1ELb1EtNS0_19identity_decomposerEEEEE10hipError_tT0_T1_T2_jT3_P12ihipStream_tbPNSt15iterator_traitsISE_E10value_typeEPNSK_ISF_E10value_typeEPSG_NS1_7vsmem_tEENKUlT_SE_SF_SG_E_clIS8_S8_S9_S9_EESD_ST_SE_SF_SG_EUlST_E1_NS1_11comp_targetILNS1_3genE3ELNS1_11target_archE908ELNS1_3gpuE7ELNS1_3repE0EEENS1_36merge_oddeven_config_static_selectorELNS0_4arch9wavefront6targetE1EEEvSF_
; %bb.0:
	.section	.rodata,"a",@progbits
	.p2align	6, 0x0
	.amdhsa_kernel _ZN7rocprim17ROCPRIM_400000_NS6detail17trampoline_kernelINS0_14default_configENS1_38merge_sort_block_merge_config_selectorItNS0_10empty_typeEEEZZNS1_27merge_sort_block_merge_implIS3_PtPS5_jNS1_19radix_merge_compareILb1ELb1EtNS0_19identity_decomposerEEEEE10hipError_tT0_T1_T2_jT3_P12ihipStream_tbPNSt15iterator_traitsISE_E10value_typeEPNSK_ISF_E10value_typeEPSG_NS1_7vsmem_tEENKUlT_SE_SF_SG_E_clIS8_S8_S9_S9_EESD_ST_SE_SF_SG_EUlST_E1_NS1_11comp_targetILNS1_3genE3ELNS1_11target_archE908ELNS1_3gpuE7ELNS1_3repE0EEENS1_36merge_oddeven_config_static_selectorELNS0_4arch9wavefront6targetE1EEEvSF_
		.amdhsa_group_segment_fixed_size 0
		.amdhsa_private_segment_fixed_size 0
		.amdhsa_kernarg_size 48
		.amdhsa_user_sgpr_count 6
		.amdhsa_user_sgpr_private_segment_buffer 1
		.amdhsa_user_sgpr_dispatch_ptr 0
		.amdhsa_user_sgpr_queue_ptr 0
		.amdhsa_user_sgpr_kernarg_segment_ptr 1
		.amdhsa_user_sgpr_dispatch_id 0
		.amdhsa_user_sgpr_flat_scratch_init 0
		.amdhsa_user_sgpr_kernarg_preload_length 0
		.amdhsa_user_sgpr_kernarg_preload_offset 0
		.amdhsa_user_sgpr_private_segment_size 0
		.amdhsa_uses_dynamic_stack 0
		.amdhsa_system_sgpr_private_segment_wavefront_offset 0
		.amdhsa_system_sgpr_workgroup_id_x 1
		.amdhsa_system_sgpr_workgroup_id_y 0
		.amdhsa_system_sgpr_workgroup_id_z 0
		.amdhsa_system_sgpr_workgroup_info 0
		.amdhsa_system_vgpr_workitem_id 0
		.amdhsa_next_free_vgpr 1
		.amdhsa_next_free_sgpr 0
		.amdhsa_accum_offset 4
		.amdhsa_reserve_vcc 0
		.amdhsa_reserve_flat_scratch 0
		.amdhsa_float_round_mode_32 0
		.amdhsa_float_round_mode_16_64 0
		.amdhsa_float_denorm_mode_32 3
		.amdhsa_float_denorm_mode_16_64 3
		.amdhsa_dx10_clamp 1
		.amdhsa_ieee_mode 1
		.amdhsa_fp16_overflow 0
		.amdhsa_tg_split 0
		.amdhsa_exception_fp_ieee_invalid_op 0
		.amdhsa_exception_fp_denorm_src 0
		.amdhsa_exception_fp_ieee_div_zero 0
		.amdhsa_exception_fp_ieee_overflow 0
		.amdhsa_exception_fp_ieee_underflow 0
		.amdhsa_exception_fp_ieee_inexact 0
		.amdhsa_exception_int_div_zero 0
	.end_amdhsa_kernel
	.section	.text._ZN7rocprim17ROCPRIM_400000_NS6detail17trampoline_kernelINS0_14default_configENS1_38merge_sort_block_merge_config_selectorItNS0_10empty_typeEEEZZNS1_27merge_sort_block_merge_implIS3_PtPS5_jNS1_19radix_merge_compareILb1ELb1EtNS0_19identity_decomposerEEEEE10hipError_tT0_T1_T2_jT3_P12ihipStream_tbPNSt15iterator_traitsISE_E10value_typeEPNSK_ISF_E10value_typeEPSG_NS1_7vsmem_tEENKUlT_SE_SF_SG_E_clIS8_S8_S9_S9_EESD_ST_SE_SF_SG_EUlST_E1_NS1_11comp_targetILNS1_3genE3ELNS1_11target_archE908ELNS1_3gpuE7ELNS1_3repE0EEENS1_36merge_oddeven_config_static_selectorELNS0_4arch9wavefront6targetE1EEEvSF_,"axG",@progbits,_ZN7rocprim17ROCPRIM_400000_NS6detail17trampoline_kernelINS0_14default_configENS1_38merge_sort_block_merge_config_selectorItNS0_10empty_typeEEEZZNS1_27merge_sort_block_merge_implIS3_PtPS5_jNS1_19radix_merge_compareILb1ELb1EtNS0_19identity_decomposerEEEEE10hipError_tT0_T1_T2_jT3_P12ihipStream_tbPNSt15iterator_traitsISE_E10value_typeEPNSK_ISF_E10value_typeEPSG_NS1_7vsmem_tEENKUlT_SE_SF_SG_E_clIS8_S8_S9_S9_EESD_ST_SE_SF_SG_EUlST_E1_NS1_11comp_targetILNS1_3genE3ELNS1_11target_archE908ELNS1_3gpuE7ELNS1_3repE0EEENS1_36merge_oddeven_config_static_selectorELNS0_4arch9wavefront6targetE1EEEvSF_,comdat
.Lfunc_end1897:
	.size	_ZN7rocprim17ROCPRIM_400000_NS6detail17trampoline_kernelINS0_14default_configENS1_38merge_sort_block_merge_config_selectorItNS0_10empty_typeEEEZZNS1_27merge_sort_block_merge_implIS3_PtPS5_jNS1_19radix_merge_compareILb1ELb1EtNS0_19identity_decomposerEEEEE10hipError_tT0_T1_T2_jT3_P12ihipStream_tbPNSt15iterator_traitsISE_E10value_typeEPNSK_ISF_E10value_typeEPSG_NS1_7vsmem_tEENKUlT_SE_SF_SG_E_clIS8_S8_S9_S9_EESD_ST_SE_SF_SG_EUlST_E1_NS1_11comp_targetILNS1_3genE3ELNS1_11target_archE908ELNS1_3gpuE7ELNS1_3repE0EEENS1_36merge_oddeven_config_static_selectorELNS0_4arch9wavefront6targetE1EEEvSF_, .Lfunc_end1897-_ZN7rocprim17ROCPRIM_400000_NS6detail17trampoline_kernelINS0_14default_configENS1_38merge_sort_block_merge_config_selectorItNS0_10empty_typeEEEZZNS1_27merge_sort_block_merge_implIS3_PtPS5_jNS1_19radix_merge_compareILb1ELb1EtNS0_19identity_decomposerEEEEE10hipError_tT0_T1_T2_jT3_P12ihipStream_tbPNSt15iterator_traitsISE_E10value_typeEPNSK_ISF_E10value_typeEPSG_NS1_7vsmem_tEENKUlT_SE_SF_SG_E_clIS8_S8_S9_S9_EESD_ST_SE_SF_SG_EUlST_E1_NS1_11comp_targetILNS1_3genE3ELNS1_11target_archE908ELNS1_3gpuE7ELNS1_3repE0EEENS1_36merge_oddeven_config_static_selectorELNS0_4arch9wavefront6targetE1EEEvSF_
                                        ; -- End function
	.section	.AMDGPU.csdata,"",@progbits
; Kernel info:
; codeLenInByte = 0
; NumSgprs: 4
; NumVgprs: 0
; NumAgprs: 0
; TotalNumVgprs: 0
; ScratchSize: 0
; MemoryBound: 0
; FloatMode: 240
; IeeeMode: 1
; LDSByteSize: 0 bytes/workgroup (compile time only)
; SGPRBlocks: 0
; VGPRBlocks: 0
; NumSGPRsForWavesPerEU: 4
; NumVGPRsForWavesPerEU: 1
; AccumOffset: 4
; Occupancy: 8
; WaveLimiterHint : 0
; COMPUTE_PGM_RSRC2:SCRATCH_EN: 0
; COMPUTE_PGM_RSRC2:USER_SGPR: 6
; COMPUTE_PGM_RSRC2:TRAP_HANDLER: 0
; COMPUTE_PGM_RSRC2:TGID_X_EN: 1
; COMPUTE_PGM_RSRC2:TGID_Y_EN: 0
; COMPUTE_PGM_RSRC2:TGID_Z_EN: 0
; COMPUTE_PGM_RSRC2:TIDIG_COMP_CNT: 0
; COMPUTE_PGM_RSRC3_GFX90A:ACCUM_OFFSET: 0
; COMPUTE_PGM_RSRC3_GFX90A:TG_SPLIT: 0
	.section	.text._ZN7rocprim17ROCPRIM_400000_NS6detail17trampoline_kernelINS0_14default_configENS1_38merge_sort_block_merge_config_selectorItNS0_10empty_typeEEEZZNS1_27merge_sort_block_merge_implIS3_PtPS5_jNS1_19radix_merge_compareILb1ELb1EtNS0_19identity_decomposerEEEEE10hipError_tT0_T1_T2_jT3_P12ihipStream_tbPNSt15iterator_traitsISE_E10value_typeEPNSK_ISF_E10value_typeEPSG_NS1_7vsmem_tEENKUlT_SE_SF_SG_E_clIS8_S8_S9_S9_EESD_ST_SE_SF_SG_EUlST_E1_NS1_11comp_targetILNS1_3genE2ELNS1_11target_archE906ELNS1_3gpuE6ELNS1_3repE0EEENS1_36merge_oddeven_config_static_selectorELNS0_4arch9wavefront6targetE1EEEvSF_,"axG",@progbits,_ZN7rocprim17ROCPRIM_400000_NS6detail17trampoline_kernelINS0_14default_configENS1_38merge_sort_block_merge_config_selectorItNS0_10empty_typeEEEZZNS1_27merge_sort_block_merge_implIS3_PtPS5_jNS1_19radix_merge_compareILb1ELb1EtNS0_19identity_decomposerEEEEE10hipError_tT0_T1_T2_jT3_P12ihipStream_tbPNSt15iterator_traitsISE_E10value_typeEPNSK_ISF_E10value_typeEPSG_NS1_7vsmem_tEENKUlT_SE_SF_SG_E_clIS8_S8_S9_S9_EESD_ST_SE_SF_SG_EUlST_E1_NS1_11comp_targetILNS1_3genE2ELNS1_11target_archE906ELNS1_3gpuE6ELNS1_3repE0EEENS1_36merge_oddeven_config_static_selectorELNS0_4arch9wavefront6targetE1EEEvSF_,comdat
	.protected	_ZN7rocprim17ROCPRIM_400000_NS6detail17trampoline_kernelINS0_14default_configENS1_38merge_sort_block_merge_config_selectorItNS0_10empty_typeEEEZZNS1_27merge_sort_block_merge_implIS3_PtPS5_jNS1_19radix_merge_compareILb1ELb1EtNS0_19identity_decomposerEEEEE10hipError_tT0_T1_T2_jT3_P12ihipStream_tbPNSt15iterator_traitsISE_E10value_typeEPNSK_ISF_E10value_typeEPSG_NS1_7vsmem_tEENKUlT_SE_SF_SG_E_clIS8_S8_S9_S9_EESD_ST_SE_SF_SG_EUlST_E1_NS1_11comp_targetILNS1_3genE2ELNS1_11target_archE906ELNS1_3gpuE6ELNS1_3repE0EEENS1_36merge_oddeven_config_static_selectorELNS0_4arch9wavefront6targetE1EEEvSF_ ; -- Begin function _ZN7rocprim17ROCPRIM_400000_NS6detail17trampoline_kernelINS0_14default_configENS1_38merge_sort_block_merge_config_selectorItNS0_10empty_typeEEEZZNS1_27merge_sort_block_merge_implIS3_PtPS5_jNS1_19radix_merge_compareILb1ELb1EtNS0_19identity_decomposerEEEEE10hipError_tT0_T1_T2_jT3_P12ihipStream_tbPNSt15iterator_traitsISE_E10value_typeEPNSK_ISF_E10value_typeEPSG_NS1_7vsmem_tEENKUlT_SE_SF_SG_E_clIS8_S8_S9_S9_EESD_ST_SE_SF_SG_EUlST_E1_NS1_11comp_targetILNS1_3genE2ELNS1_11target_archE906ELNS1_3gpuE6ELNS1_3repE0EEENS1_36merge_oddeven_config_static_selectorELNS0_4arch9wavefront6targetE1EEEvSF_
	.globl	_ZN7rocprim17ROCPRIM_400000_NS6detail17trampoline_kernelINS0_14default_configENS1_38merge_sort_block_merge_config_selectorItNS0_10empty_typeEEEZZNS1_27merge_sort_block_merge_implIS3_PtPS5_jNS1_19radix_merge_compareILb1ELb1EtNS0_19identity_decomposerEEEEE10hipError_tT0_T1_T2_jT3_P12ihipStream_tbPNSt15iterator_traitsISE_E10value_typeEPNSK_ISF_E10value_typeEPSG_NS1_7vsmem_tEENKUlT_SE_SF_SG_E_clIS8_S8_S9_S9_EESD_ST_SE_SF_SG_EUlST_E1_NS1_11comp_targetILNS1_3genE2ELNS1_11target_archE906ELNS1_3gpuE6ELNS1_3repE0EEENS1_36merge_oddeven_config_static_selectorELNS0_4arch9wavefront6targetE1EEEvSF_
	.p2align	8
	.type	_ZN7rocprim17ROCPRIM_400000_NS6detail17trampoline_kernelINS0_14default_configENS1_38merge_sort_block_merge_config_selectorItNS0_10empty_typeEEEZZNS1_27merge_sort_block_merge_implIS3_PtPS5_jNS1_19radix_merge_compareILb1ELb1EtNS0_19identity_decomposerEEEEE10hipError_tT0_T1_T2_jT3_P12ihipStream_tbPNSt15iterator_traitsISE_E10value_typeEPNSK_ISF_E10value_typeEPSG_NS1_7vsmem_tEENKUlT_SE_SF_SG_E_clIS8_S8_S9_S9_EESD_ST_SE_SF_SG_EUlST_E1_NS1_11comp_targetILNS1_3genE2ELNS1_11target_archE906ELNS1_3gpuE6ELNS1_3repE0EEENS1_36merge_oddeven_config_static_selectorELNS0_4arch9wavefront6targetE1EEEvSF_,@function
_ZN7rocprim17ROCPRIM_400000_NS6detail17trampoline_kernelINS0_14default_configENS1_38merge_sort_block_merge_config_selectorItNS0_10empty_typeEEEZZNS1_27merge_sort_block_merge_implIS3_PtPS5_jNS1_19radix_merge_compareILb1ELb1EtNS0_19identity_decomposerEEEEE10hipError_tT0_T1_T2_jT3_P12ihipStream_tbPNSt15iterator_traitsISE_E10value_typeEPNSK_ISF_E10value_typeEPSG_NS1_7vsmem_tEENKUlT_SE_SF_SG_E_clIS8_S8_S9_S9_EESD_ST_SE_SF_SG_EUlST_E1_NS1_11comp_targetILNS1_3genE2ELNS1_11target_archE906ELNS1_3gpuE6ELNS1_3repE0EEENS1_36merge_oddeven_config_static_selectorELNS0_4arch9wavefront6targetE1EEEvSF_: ; @_ZN7rocprim17ROCPRIM_400000_NS6detail17trampoline_kernelINS0_14default_configENS1_38merge_sort_block_merge_config_selectorItNS0_10empty_typeEEEZZNS1_27merge_sort_block_merge_implIS3_PtPS5_jNS1_19radix_merge_compareILb1ELb1EtNS0_19identity_decomposerEEEEE10hipError_tT0_T1_T2_jT3_P12ihipStream_tbPNSt15iterator_traitsISE_E10value_typeEPNSK_ISF_E10value_typeEPSG_NS1_7vsmem_tEENKUlT_SE_SF_SG_E_clIS8_S8_S9_S9_EESD_ST_SE_SF_SG_EUlST_E1_NS1_11comp_targetILNS1_3genE2ELNS1_11target_archE906ELNS1_3gpuE6ELNS1_3repE0EEENS1_36merge_oddeven_config_static_selectorELNS0_4arch9wavefront6targetE1EEEvSF_
; %bb.0:
	.section	.rodata,"a",@progbits
	.p2align	6, 0x0
	.amdhsa_kernel _ZN7rocprim17ROCPRIM_400000_NS6detail17trampoline_kernelINS0_14default_configENS1_38merge_sort_block_merge_config_selectorItNS0_10empty_typeEEEZZNS1_27merge_sort_block_merge_implIS3_PtPS5_jNS1_19radix_merge_compareILb1ELb1EtNS0_19identity_decomposerEEEEE10hipError_tT0_T1_T2_jT3_P12ihipStream_tbPNSt15iterator_traitsISE_E10value_typeEPNSK_ISF_E10value_typeEPSG_NS1_7vsmem_tEENKUlT_SE_SF_SG_E_clIS8_S8_S9_S9_EESD_ST_SE_SF_SG_EUlST_E1_NS1_11comp_targetILNS1_3genE2ELNS1_11target_archE906ELNS1_3gpuE6ELNS1_3repE0EEENS1_36merge_oddeven_config_static_selectorELNS0_4arch9wavefront6targetE1EEEvSF_
		.amdhsa_group_segment_fixed_size 0
		.amdhsa_private_segment_fixed_size 0
		.amdhsa_kernarg_size 48
		.amdhsa_user_sgpr_count 6
		.amdhsa_user_sgpr_private_segment_buffer 1
		.amdhsa_user_sgpr_dispatch_ptr 0
		.amdhsa_user_sgpr_queue_ptr 0
		.amdhsa_user_sgpr_kernarg_segment_ptr 1
		.amdhsa_user_sgpr_dispatch_id 0
		.amdhsa_user_sgpr_flat_scratch_init 0
		.amdhsa_user_sgpr_kernarg_preload_length 0
		.amdhsa_user_sgpr_kernarg_preload_offset 0
		.amdhsa_user_sgpr_private_segment_size 0
		.amdhsa_uses_dynamic_stack 0
		.amdhsa_system_sgpr_private_segment_wavefront_offset 0
		.amdhsa_system_sgpr_workgroup_id_x 1
		.amdhsa_system_sgpr_workgroup_id_y 0
		.amdhsa_system_sgpr_workgroup_id_z 0
		.amdhsa_system_sgpr_workgroup_info 0
		.amdhsa_system_vgpr_workitem_id 0
		.amdhsa_next_free_vgpr 1
		.amdhsa_next_free_sgpr 0
		.amdhsa_accum_offset 4
		.amdhsa_reserve_vcc 0
		.amdhsa_reserve_flat_scratch 0
		.amdhsa_float_round_mode_32 0
		.amdhsa_float_round_mode_16_64 0
		.amdhsa_float_denorm_mode_32 3
		.amdhsa_float_denorm_mode_16_64 3
		.amdhsa_dx10_clamp 1
		.amdhsa_ieee_mode 1
		.amdhsa_fp16_overflow 0
		.amdhsa_tg_split 0
		.amdhsa_exception_fp_ieee_invalid_op 0
		.amdhsa_exception_fp_denorm_src 0
		.amdhsa_exception_fp_ieee_div_zero 0
		.amdhsa_exception_fp_ieee_overflow 0
		.amdhsa_exception_fp_ieee_underflow 0
		.amdhsa_exception_fp_ieee_inexact 0
		.amdhsa_exception_int_div_zero 0
	.end_amdhsa_kernel
	.section	.text._ZN7rocprim17ROCPRIM_400000_NS6detail17trampoline_kernelINS0_14default_configENS1_38merge_sort_block_merge_config_selectorItNS0_10empty_typeEEEZZNS1_27merge_sort_block_merge_implIS3_PtPS5_jNS1_19radix_merge_compareILb1ELb1EtNS0_19identity_decomposerEEEEE10hipError_tT0_T1_T2_jT3_P12ihipStream_tbPNSt15iterator_traitsISE_E10value_typeEPNSK_ISF_E10value_typeEPSG_NS1_7vsmem_tEENKUlT_SE_SF_SG_E_clIS8_S8_S9_S9_EESD_ST_SE_SF_SG_EUlST_E1_NS1_11comp_targetILNS1_3genE2ELNS1_11target_archE906ELNS1_3gpuE6ELNS1_3repE0EEENS1_36merge_oddeven_config_static_selectorELNS0_4arch9wavefront6targetE1EEEvSF_,"axG",@progbits,_ZN7rocprim17ROCPRIM_400000_NS6detail17trampoline_kernelINS0_14default_configENS1_38merge_sort_block_merge_config_selectorItNS0_10empty_typeEEEZZNS1_27merge_sort_block_merge_implIS3_PtPS5_jNS1_19radix_merge_compareILb1ELb1EtNS0_19identity_decomposerEEEEE10hipError_tT0_T1_T2_jT3_P12ihipStream_tbPNSt15iterator_traitsISE_E10value_typeEPNSK_ISF_E10value_typeEPSG_NS1_7vsmem_tEENKUlT_SE_SF_SG_E_clIS8_S8_S9_S9_EESD_ST_SE_SF_SG_EUlST_E1_NS1_11comp_targetILNS1_3genE2ELNS1_11target_archE906ELNS1_3gpuE6ELNS1_3repE0EEENS1_36merge_oddeven_config_static_selectorELNS0_4arch9wavefront6targetE1EEEvSF_,comdat
.Lfunc_end1898:
	.size	_ZN7rocprim17ROCPRIM_400000_NS6detail17trampoline_kernelINS0_14default_configENS1_38merge_sort_block_merge_config_selectorItNS0_10empty_typeEEEZZNS1_27merge_sort_block_merge_implIS3_PtPS5_jNS1_19radix_merge_compareILb1ELb1EtNS0_19identity_decomposerEEEEE10hipError_tT0_T1_T2_jT3_P12ihipStream_tbPNSt15iterator_traitsISE_E10value_typeEPNSK_ISF_E10value_typeEPSG_NS1_7vsmem_tEENKUlT_SE_SF_SG_E_clIS8_S8_S9_S9_EESD_ST_SE_SF_SG_EUlST_E1_NS1_11comp_targetILNS1_3genE2ELNS1_11target_archE906ELNS1_3gpuE6ELNS1_3repE0EEENS1_36merge_oddeven_config_static_selectorELNS0_4arch9wavefront6targetE1EEEvSF_, .Lfunc_end1898-_ZN7rocprim17ROCPRIM_400000_NS6detail17trampoline_kernelINS0_14default_configENS1_38merge_sort_block_merge_config_selectorItNS0_10empty_typeEEEZZNS1_27merge_sort_block_merge_implIS3_PtPS5_jNS1_19radix_merge_compareILb1ELb1EtNS0_19identity_decomposerEEEEE10hipError_tT0_T1_T2_jT3_P12ihipStream_tbPNSt15iterator_traitsISE_E10value_typeEPNSK_ISF_E10value_typeEPSG_NS1_7vsmem_tEENKUlT_SE_SF_SG_E_clIS8_S8_S9_S9_EESD_ST_SE_SF_SG_EUlST_E1_NS1_11comp_targetILNS1_3genE2ELNS1_11target_archE906ELNS1_3gpuE6ELNS1_3repE0EEENS1_36merge_oddeven_config_static_selectorELNS0_4arch9wavefront6targetE1EEEvSF_
                                        ; -- End function
	.section	.AMDGPU.csdata,"",@progbits
; Kernel info:
; codeLenInByte = 0
; NumSgprs: 4
; NumVgprs: 0
; NumAgprs: 0
; TotalNumVgprs: 0
; ScratchSize: 0
; MemoryBound: 0
; FloatMode: 240
; IeeeMode: 1
; LDSByteSize: 0 bytes/workgroup (compile time only)
; SGPRBlocks: 0
; VGPRBlocks: 0
; NumSGPRsForWavesPerEU: 4
; NumVGPRsForWavesPerEU: 1
; AccumOffset: 4
; Occupancy: 8
; WaveLimiterHint : 0
; COMPUTE_PGM_RSRC2:SCRATCH_EN: 0
; COMPUTE_PGM_RSRC2:USER_SGPR: 6
; COMPUTE_PGM_RSRC2:TRAP_HANDLER: 0
; COMPUTE_PGM_RSRC2:TGID_X_EN: 1
; COMPUTE_PGM_RSRC2:TGID_Y_EN: 0
; COMPUTE_PGM_RSRC2:TGID_Z_EN: 0
; COMPUTE_PGM_RSRC2:TIDIG_COMP_CNT: 0
; COMPUTE_PGM_RSRC3_GFX90A:ACCUM_OFFSET: 0
; COMPUTE_PGM_RSRC3_GFX90A:TG_SPLIT: 0
	.section	.text._ZN7rocprim17ROCPRIM_400000_NS6detail17trampoline_kernelINS0_14default_configENS1_38merge_sort_block_merge_config_selectorItNS0_10empty_typeEEEZZNS1_27merge_sort_block_merge_implIS3_PtPS5_jNS1_19radix_merge_compareILb1ELb1EtNS0_19identity_decomposerEEEEE10hipError_tT0_T1_T2_jT3_P12ihipStream_tbPNSt15iterator_traitsISE_E10value_typeEPNSK_ISF_E10value_typeEPSG_NS1_7vsmem_tEENKUlT_SE_SF_SG_E_clIS8_S8_S9_S9_EESD_ST_SE_SF_SG_EUlST_E1_NS1_11comp_targetILNS1_3genE9ELNS1_11target_archE1100ELNS1_3gpuE3ELNS1_3repE0EEENS1_36merge_oddeven_config_static_selectorELNS0_4arch9wavefront6targetE1EEEvSF_,"axG",@progbits,_ZN7rocprim17ROCPRIM_400000_NS6detail17trampoline_kernelINS0_14default_configENS1_38merge_sort_block_merge_config_selectorItNS0_10empty_typeEEEZZNS1_27merge_sort_block_merge_implIS3_PtPS5_jNS1_19radix_merge_compareILb1ELb1EtNS0_19identity_decomposerEEEEE10hipError_tT0_T1_T2_jT3_P12ihipStream_tbPNSt15iterator_traitsISE_E10value_typeEPNSK_ISF_E10value_typeEPSG_NS1_7vsmem_tEENKUlT_SE_SF_SG_E_clIS8_S8_S9_S9_EESD_ST_SE_SF_SG_EUlST_E1_NS1_11comp_targetILNS1_3genE9ELNS1_11target_archE1100ELNS1_3gpuE3ELNS1_3repE0EEENS1_36merge_oddeven_config_static_selectorELNS0_4arch9wavefront6targetE1EEEvSF_,comdat
	.protected	_ZN7rocprim17ROCPRIM_400000_NS6detail17trampoline_kernelINS0_14default_configENS1_38merge_sort_block_merge_config_selectorItNS0_10empty_typeEEEZZNS1_27merge_sort_block_merge_implIS3_PtPS5_jNS1_19radix_merge_compareILb1ELb1EtNS0_19identity_decomposerEEEEE10hipError_tT0_T1_T2_jT3_P12ihipStream_tbPNSt15iterator_traitsISE_E10value_typeEPNSK_ISF_E10value_typeEPSG_NS1_7vsmem_tEENKUlT_SE_SF_SG_E_clIS8_S8_S9_S9_EESD_ST_SE_SF_SG_EUlST_E1_NS1_11comp_targetILNS1_3genE9ELNS1_11target_archE1100ELNS1_3gpuE3ELNS1_3repE0EEENS1_36merge_oddeven_config_static_selectorELNS0_4arch9wavefront6targetE1EEEvSF_ ; -- Begin function _ZN7rocprim17ROCPRIM_400000_NS6detail17trampoline_kernelINS0_14default_configENS1_38merge_sort_block_merge_config_selectorItNS0_10empty_typeEEEZZNS1_27merge_sort_block_merge_implIS3_PtPS5_jNS1_19radix_merge_compareILb1ELb1EtNS0_19identity_decomposerEEEEE10hipError_tT0_T1_T2_jT3_P12ihipStream_tbPNSt15iterator_traitsISE_E10value_typeEPNSK_ISF_E10value_typeEPSG_NS1_7vsmem_tEENKUlT_SE_SF_SG_E_clIS8_S8_S9_S9_EESD_ST_SE_SF_SG_EUlST_E1_NS1_11comp_targetILNS1_3genE9ELNS1_11target_archE1100ELNS1_3gpuE3ELNS1_3repE0EEENS1_36merge_oddeven_config_static_selectorELNS0_4arch9wavefront6targetE1EEEvSF_
	.globl	_ZN7rocprim17ROCPRIM_400000_NS6detail17trampoline_kernelINS0_14default_configENS1_38merge_sort_block_merge_config_selectorItNS0_10empty_typeEEEZZNS1_27merge_sort_block_merge_implIS3_PtPS5_jNS1_19radix_merge_compareILb1ELb1EtNS0_19identity_decomposerEEEEE10hipError_tT0_T1_T2_jT3_P12ihipStream_tbPNSt15iterator_traitsISE_E10value_typeEPNSK_ISF_E10value_typeEPSG_NS1_7vsmem_tEENKUlT_SE_SF_SG_E_clIS8_S8_S9_S9_EESD_ST_SE_SF_SG_EUlST_E1_NS1_11comp_targetILNS1_3genE9ELNS1_11target_archE1100ELNS1_3gpuE3ELNS1_3repE0EEENS1_36merge_oddeven_config_static_selectorELNS0_4arch9wavefront6targetE1EEEvSF_
	.p2align	8
	.type	_ZN7rocprim17ROCPRIM_400000_NS6detail17trampoline_kernelINS0_14default_configENS1_38merge_sort_block_merge_config_selectorItNS0_10empty_typeEEEZZNS1_27merge_sort_block_merge_implIS3_PtPS5_jNS1_19radix_merge_compareILb1ELb1EtNS0_19identity_decomposerEEEEE10hipError_tT0_T1_T2_jT3_P12ihipStream_tbPNSt15iterator_traitsISE_E10value_typeEPNSK_ISF_E10value_typeEPSG_NS1_7vsmem_tEENKUlT_SE_SF_SG_E_clIS8_S8_S9_S9_EESD_ST_SE_SF_SG_EUlST_E1_NS1_11comp_targetILNS1_3genE9ELNS1_11target_archE1100ELNS1_3gpuE3ELNS1_3repE0EEENS1_36merge_oddeven_config_static_selectorELNS0_4arch9wavefront6targetE1EEEvSF_,@function
_ZN7rocprim17ROCPRIM_400000_NS6detail17trampoline_kernelINS0_14default_configENS1_38merge_sort_block_merge_config_selectorItNS0_10empty_typeEEEZZNS1_27merge_sort_block_merge_implIS3_PtPS5_jNS1_19radix_merge_compareILb1ELb1EtNS0_19identity_decomposerEEEEE10hipError_tT0_T1_T2_jT3_P12ihipStream_tbPNSt15iterator_traitsISE_E10value_typeEPNSK_ISF_E10value_typeEPSG_NS1_7vsmem_tEENKUlT_SE_SF_SG_E_clIS8_S8_S9_S9_EESD_ST_SE_SF_SG_EUlST_E1_NS1_11comp_targetILNS1_3genE9ELNS1_11target_archE1100ELNS1_3gpuE3ELNS1_3repE0EEENS1_36merge_oddeven_config_static_selectorELNS0_4arch9wavefront6targetE1EEEvSF_: ; @_ZN7rocprim17ROCPRIM_400000_NS6detail17trampoline_kernelINS0_14default_configENS1_38merge_sort_block_merge_config_selectorItNS0_10empty_typeEEEZZNS1_27merge_sort_block_merge_implIS3_PtPS5_jNS1_19radix_merge_compareILb1ELb1EtNS0_19identity_decomposerEEEEE10hipError_tT0_T1_T2_jT3_P12ihipStream_tbPNSt15iterator_traitsISE_E10value_typeEPNSK_ISF_E10value_typeEPSG_NS1_7vsmem_tEENKUlT_SE_SF_SG_E_clIS8_S8_S9_S9_EESD_ST_SE_SF_SG_EUlST_E1_NS1_11comp_targetILNS1_3genE9ELNS1_11target_archE1100ELNS1_3gpuE3ELNS1_3repE0EEENS1_36merge_oddeven_config_static_selectorELNS0_4arch9wavefront6targetE1EEEvSF_
; %bb.0:
	.section	.rodata,"a",@progbits
	.p2align	6, 0x0
	.amdhsa_kernel _ZN7rocprim17ROCPRIM_400000_NS6detail17trampoline_kernelINS0_14default_configENS1_38merge_sort_block_merge_config_selectorItNS0_10empty_typeEEEZZNS1_27merge_sort_block_merge_implIS3_PtPS5_jNS1_19radix_merge_compareILb1ELb1EtNS0_19identity_decomposerEEEEE10hipError_tT0_T1_T2_jT3_P12ihipStream_tbPNSt15iterator_traitsISE_E10value_typeEPNSK_ISF_E10value_typeEPSG_NS1_7vsmem_tEENKUlT_SE_SF_SG_E_clIS8_S8_S9_S9_EESD_ST_SE_SF_SG_EUlST_E1_NS1_11comp_targetILNS1_3genE9ELNS1_11target_archE1100ELNS1_3gpuE3ELNS1_3repE0EEENS1_36merge_oddeven_config_static_selectorELNS0_4arch9wavefront6targetE1EEEvSF_
		.amdhsa_group_segment_fixed_size 0
		.amdhsa_private_segment_fixed_size 0
		.amdhsa_kernarg_size 48
		.amdhsa_user_sgpr_count 6
		.amdhsa_user_sgpr_private_segment_buffer 1
		.amdhsa_user_sgpr_dispatch_ptr 0
		.amdhsa_user_sgpr_queue_ptr 0
		.amdhsa_user_sgpr_kernarg_segment_ptr 1
		.amdhsa_user_sgpr_dispatch_id 0
		.amdhsa_user_sgpr_flat_scratch_init 0
		.amdhsa_user_sgpr_kernarg_preload_length 0
		.amdhsa_user_sgpr_kernarg_preload_offset 0
		.amdhsa_user_sgpr_private_segment_size 0
		.amdhsa_uses_dynamic_stack 0
		.amdhsa_system_sgpr_private_segment_wavefront_offset 0
		.amdhsa_system_sgpr_workgroup_id_x 1
		.amdhsa_system_sgpr_workgroup_id_y 0
		.amdhsa_system_sgpr_workgroup_id_z 0
		.amdhsa_system_sgpr_workgroup_info 0
		.amdhsa_system_vgpr_workitem_id 0
		.amdhsa_next_free_vgpr 1
		.amdhsa_next_free_sgpr 0
		.amdhsa_accum_offset 4
		.amdhsa_reserve_vcc 0
		.amdhsa_reserve_flat_scratch 0
		.amdhsa_float_round_mode_32 0
		.amdhsa_float_round_mode_16_64 0
		.amdhsa_float_denorm_mode_32 3
		.amdhsa_float_denorm_mode_16_64 3
		.amdhsa_dx10_clamp 1
		.amdhsa_ieee_mode 1
		.amdhsa_fp16_overflow 0
		.amdhsa_tg_split 0
		.amdhsa_exception_fp_ieee_invalid_op 0
		.amdhsa_exception_fp_denorm_src 0
		.amdhsa_exception_fp_ieee_div_zero 0
		.amdhsa_exception_fp_ieee_overflow 0
		.amdhsa_exception_fp_ieee_underflow 0
		.amdhsa_exception_fp_ieee_inexact 0
		.amdhsa_exception_int_div_zero 0
	.end_amdhsa_kernel
	.section	.text._ZN7rocprim17ROCPRIM_400000_NS6detail17trampoline_kernelINS0_14default_configENS1_38merge_sort_block_merge_config_selectorItNS0_10empty_typeEEEZZNS1_27merge_sort_block_merge_implIS3_PtPS5_jNS1_19radix_merge_compareILb1ELb1EtNS0_19identity_decomposerEEEEE10hipError_tT0_T1_T2_jT3_P12ihipStream_tbPNSt15iterator_traitsISE_E10value_typeEPNSK_ISF_E10value_typeEPSG_NS1_7vsmem_tEENKUlT_SE_SF_SG_E_clIS8_S8_S9_S9_EESD_ST_SE_SF_SG_EUlST_E1_NS1_11comp_targetILNS1_3genE9ELNS1_11target_archE1100ELNS1_3gpuE3ELNS1_3repE0EEENS1_36merge_oddeven_config_static_selectorELNS0_4arch9wavefront6targetE1EEEvSF_,"axG",@progbits,_ZN7rocprim17ROCPRIM_400000_NS6detail17trampoline_kernelINS0_14default_configENS1_38merge_sort_block_merge_config_selectorItNS0_10empty_typeEEEZZNS1_27merge_sort_block_merge_implIS3_PtPS5_jNS1_19radix_merge_compareILb1ELb1EtNS0_19identity_decomposerEEEEE10hipError_tT0_T1_T2_jT3_P12ihipStream_tbPNSt15iterator_traitsISE_E10value_typeEPNSK_ISF_E10value_typeEPSG_NS1_7vsmem_tEENKUlT_SE_SF_SG_E_clIS8_S8_S9_S9_EESD_ST_SE_SF_SG_EUlST_E1_NS1_11comp_targetILNS1_3genE9ELNS1_11target_archE1100ELNS1_3gpuE3ELNS1_3repE0EEENS1_36merge_oddeven_config_static_selectorELNS0_4arch9wavefront6targetE1EEEvSF_,comdat
.Lfunc_end1899:
	.size	_ZN7rocprim17ROCPRIM_400000_NS6detail17trampoline_kernelINS0_14default_configENS1_38merge_sort_block_merge_config_selectorItNS0_10empty_typeEEEZZNS1_27merge_sort_block_merge_implIS3_PtPS5_jNS1_19radix_merge_compareILb1ELb1EtNS0_19identity_decomposerEEEEE10hipError_tT0_T1_T2_jT3_P12ihipStream_tbPNSt15iterator_traitsISE_E10value_typeEPNSK_ISF_E10value_typeEPSG_NS1_7vsmem_tEENKUlT_SE_SF_SG_E_clIS8_S8_S9_S9_EESD_ST_SE_SF_SG_EUlST_E1_NS1_11comp_targetILNS1_3genE9ELNS1_11target_archE1100ELNS1_3gpuE3ELNS1_3repE0EEENS1_36merge_oddeven_config_static_selectorELNS0_4arch9wavefront6targetE1EEEvSF_, .Lfunc_end1899-_ZN7rocprim17ROCPRIM_400000_NS6detail17trampoline_kernelINS0_14default_configENS1_38merge_sort_block_merge_config_selectorItNS0_10empty_typeEEEZZNS1_27merge_sort_block_merge_implIS3_PtPS5_jNS1_19radix_merge_compareILb1ELb1EtNS0_19identity_decomposerEEEEE10hipError_tT0_T1_T2_jT3_P12ihipStream_tbPNSt15iterator_traitsISE_E10value_typeEPNSK_ISF_E10value_typeEPSG_NS1_7vsmem_tEENKUlT_SE_SF_SG_E_clIS8_S8_S9_S9_EESD_ST_SE_SF_SG_EUlST_E1_NS1_11comp_targetILNS1_3genE9ELNS1_11target_archE1100ELNS1_3gpuE3ELNS1_3repE0EEENS1_36merge_oddeven_config_static_selectorELNS0_4arch9wavefront6targetE1EEEvSF_
                                        ; -- End function
	.section	.AMDGPU.csdata,"",@progbits
; Kernel info:
; codeLenInByte = 0
; NumSgprs: 4
; NumVgprs: 0
; NumAgprs: 0
; TotalNumVgprs: 0
; ScratchSize: 0
; MemoryBound: 0
; FloatMode: 240
; IeeeMode: 1
; LDSByteSize: 0 bytes/workgroup (compile time only)
; SGPRBlocks: 0
; VGPRBlocks: 0
; NumSGPRsForWavesPerEU: 4
; NumVGPRsForWavesPerEU: 1
; AccumOffset: 4
; Occupancy: 8
; WaveLimiterHint : 0
; COMPUTE_PGM_RSRC2:SCRATCH_EN: 0
; COMPUTE_PGM_RSRC2:USER_SGPR: 6
; COMPUTE_PGM_RSRC2:TRAP_HANDLER: 0
; COMPUTE_PGM_RSRC2:TGID_X_EN: 1
; COMPUTE_PGM_RSRC2:TGID_Y_EN: 0
; COMPUTE_PGM_RSRC2:TGID_Z_EN: 0
; COMPUTE_PGM_RSRC2:TIDIG_COMP_CNT: 0
; COMPUTE_PGM_RSRC3_GFX90A:ACCUM_OFFSET: 0
; COMPUTE_PGM_RSRC3_GFX90A:TG_SPLIT: 0
	.section	.text._ZN7rocprim17ROCPRIM_400000_NS6detail17trampoline_kernelINS0_14default_configENS1_38merge_sort_block_merge_config_selectorItNS0_10empty_typeEEEZZNS1_27merge_sort_block_merge_implIS3_PtPS5_jNS1_19radix_merge_compareILb1ELb1EtNS0_19identity_decomposerEEEEE10hipError_tT0_T1_T2_jT3_P12ihipStream_tbPNSt15iterator_traitsISE_E10value_typeEPNSK_ISF_E10value_typeEPSG_NS1_7vsmem_tEENKUlT_SE_SF_SG_E_clIS8_S8_S9_S9_EESD_ST_SE_SF_SG_EUlST_E1_NS1_11comp_targetILNS1_3genE8ELNS1_11target_archE1030ELNS1_3gpuE2ELNS1_3repE0EEENS1_36merge_oddeven_config_static_selectorELNS0_4arch9wavefront6targetE1EEEvSF_,"axG",@progbits,_ZN7rocprim17ROCPRIM_400000_NS6detail17trampoline_kernelINS0_14default_configENS1_38merge_sort_block_merge_config_selectorItNS0_10empty_typeEEEZZNS1_27merge_sort_block_merge_implIS3_PtPS5_jNS1_19radix_merge_compareILb1ELb1EtNS0_19identity_decomposerEEEEE10hipError_tT0_T1_T2_jT3_P12ihipStream_tbPNSt15iterator_traitsISE_E10value_typeEPNSK_ISF_E10value_typeEPSG_NS1_7vsmem_tEENKUlT_SE_SF_SG_E_clIS8_S8_S9_S9_EESD_ST_SE_SF_SG_EUlST_E1_NS1_11comp_targetILNS1_3genE8ELNS1_11target_archE1030ELNS1_3gpuE2ELNS1_3repE0EEENS1_36merge_oddeven_config_static_selectorELNS0_4arch9wavefront6targetE1EEEvSF_,comdat
	.protected	_ZN7rocprim17ROCPRIM_400000_NS6detail17trampoline_kernelINS0_14default_configENS1_38merge_sort_block_merge_config_selectorItNS0_10empty_typeEEEZZNS1_27merge_sort_block_merge_implIS3_PtPS5_jNS1_19radix_merge_compareILb1ELb1EtNS0_19identity_decomposerEEEEE10hipError_tT0_T1_T2_jT3_P12ihipStream_tbPNSt15iterator_traitsISE_E10value_typeEPNSK_ISF_E10value_typeEPSG_NS1_7vsmem_tEENKUlT_SE_SF_SG_E_clIS8_S8_S9_S9_EESD_ST_SE_SF_SG_EUlST_E1_NS1_11comp_targetILNS1_3genE8ELNS1_11target_archE1030ELNS1_3gpuE2ELNS1_3repE0EEENS1_36merge_oddeven_config_static_selectorELNS0_4arch9wavefront6targetE1EEEvSF_ ; -- Begin function _ZN7rocprim17ROCPRIM_400000_NS6detail17trampoline_kernelINS0_14default_configENS1_38merge_sort_block_merge_config_selectorItNS0_10empty_typeEEEZZNS1_27merge_sort_block_merge_implIS3_PtPS5_jNS1_19radix_merge_compareILb1ELb1EtNS0_19identity_decomposerEEEEE10hipError_tT0_T1_T2_jT3_P12ihipStream_tbPNSt15iterator_traitsISE_E10value_typeEPNSK_ISF_E10value_typeEPSG_NS1_7vsmem_tEENKUlT_SE_SF_SG_E_clIS8_S8_S9_S9_EESD_ST_SE_SF_SG_EUlST_E1_NS1_11comp_targetILNS1_3genE8ELNS1_11target_archE1030ELNS1_3gpuE2ELNS1_3repE0EEENS1_36merge_oddeven_config_static_selectorELNS0_4arch9wavefront6targetE1EEEvSF_
	.globl	_ZN7rocprim17ROCPRIM_400000_NS6detail17trampoline_kernelINS0_14default_configENS1_38merge_sort_block_merge_config_selectorItNS0_10empty_typeEEEZZNS1_27merge_sort_block_merge_implIS3_PtPS5_jNS1_19radix_merge_compareILb1ELb1EtNS0_19identity_decomposerEEEEE10hipError_tT0_T1_T2_jT3_P12ihipStream_tbPNSt15iterator_traitsISE_E10value_typeEPNSK_ISF_E10value_typeEPSG_NS1_7vsmem_tEENKUlT_SE_SF_SG_E_clIS8_S8_S9_S9_EESD_ST_SE_SF_SG_EUlST_E1_NS1_11comp_targetILNS1_3genE8ELNS1_11target_archE1030ELNS1_3gpuE2ELNS1_3repE0EEENS1_36merge_oddeven_config_static_selectorELNS0_4arch9wavefront6targetE1EEEvSF_
	.p2align	8
	.type	_ZN7rocprim17ROCPRIM_400000_NS6detail17trampoline_kernelINS0_14default_configENS1_38merge_sort_block_merge_config_selectorItNS0_10empty_typeEEEZZNS1_27merge_sort_block_merge_implIS3_PtPS5_jNS1_19radix_merge_compareILb1ELb1EtNS0_19identity_decomposerEEEEE10hipError_tT0_T1_T2_jT3_P12ihipStream_tbPNSt15iterator_traitsISE_E10value_typeEPNSK_ISF_E10value_typeEPSG_NS1_7vsmem_tEENKUlT_SE_SF_SG_E_clIS8_S8_S9_S9_EESD_ST_SE_SF_SG_EUlST_E1_NS1_11comp_targetILNS1_3genE8ELNS1_11target_archE1030ELNS1_3gpuE2ELNS1_3repE0EEENS1_36merge_oddeven_config_static_selectorELNS0_4arch9wavefront6targetE1EEEvSF_,@function
_ZN7rocprim17ROCPRIM_400000_NS6detail17trampoline_kernelINS0_14default_configENS1_38merge_sort_block_merge_config_selectorItNS0_10empty_typeEEEZZNS1_27merge_sort_block_merge_implIS3_PtPS5_jNS1_19radix_merge_compareILb1ELb1EtNS0_19identity_decomposerEEEEE10hipError_tT0_T1_T2_jT3_P12ihipStream_tbPNSt15iterator_traitsISE_E10value_typeEPNSK_ISF_E10value_typeEPSG_NS1_7vsmem_tEENKUlT_SE_SF_SG_E_clIS8_S8_S9_S9_EESD_ST_SE_SF_SG_EUlST_E1_NS1_11comp_targetILNS1_3genE8ELNS1_11target_archE1030ELNS1_3gpuE2ELNS1_3repE0EEENS1_36merge_oddeven_config_static_selectorELNS0_4arch9wavefront6targetE1EEEvSF_: ; @_ZN7rocprim17ROCPRIM_400000_NS6detail17trampoline_kernelINS0_14default_configENS1_38merge_sort_block_merge_config_selectorItNS0_10empty_typeEEEZZNS1_27merge_sort_block_merge_implIS3_PtPS5_jNS1_19radix_merge_compareILb1ELb1EtNS0_19identity_decomposerEEEEE10hipError_tT0_T1_T2_jT3_P12ihipStream_tbPNSt15iterator_traitsISE_E10value_typeEPNSK_ISF_E10value_typeEPSG_NS1_7vsmem_tEENKUlT_SE_SF_SG_E_clIS8_S8_S9_S9_EESD_ST_SE_SF_SG_EUlST_E1_NS1_11comp_targetILNS1_3genE8ELNS1_11target_archE1030ELNS1_3gpuE2ELNS1_3repE0EEENS1_36merge_oddeven_config_static_selectorELNS0_4arch9wavefront6targetE1EEEvSF_
; %bb.0:
	.section	.rodata,"a",@progbits
	.p2align	6, 0x0
	.amdhsa_kernel _ZN7rocprim17ROCPRIM_400000_NS6detail17trampoline_kernelINS0_14default_configENS1_38merge_sort_block_merge_config_selectorItNS0_10empty_typeEEEZZNS1_27merge_sort_block_merge_implIS3_PtPS5_jNS1_19radix_merge_compareILb1ELb1EtNS0_19identity_decomposerEEEEE10hipError_tT0_T1_T2_jT3_P12ihipStream_tbPNSt15iterator_traitsISE_E10value_typeEPNSK_ISF_E10value_typeEPSG_NS1_7vsmem_tEENKUlT_SE_SF_SG_E_clIS8_S8_S9_S9_EESD_ST_SE_SF_SG_EUlST_E1_NS1_11comp_targetILNS1_3genE8ELNS1_11target_archE1030ELNS1_3gpuE2ELNS1_3repE0EEENS1_36merge_oddeven_config_static_selectorELNS0_4arch9wavefront6targetE1EEEvSF_
		.amdhsa_group_segment_fixed_size 0
		.amdhsa_private_segment_fixed_size 0
		.amdhsa_kernarg_size 48
		.amdhsa_user_sgpr_count 6
		.amdhsa_user_sgpr_private_segment_buffer 1
		.amdhsa_user_sgpr_dispatch_ptr 0
		.amdhsa_user_sgpr_queue_ptr 0
		.amdhsa_user_sgpr_kernarg_segment_ptr 1
		.amdhsa_user_sgpr_dispatch_id 0
		.amdhsa_user_sgpr_flat_scratch_init 0
		.amdhsa_user_sgpr_kernarg_preload_length 0
		.amdhsa_user_sgpr_kernarg_preload_offset 0
		.amdhsa_user_sgpr_private_segment_size 0
		.amdhsa_uses_dynamic_stack 0
		.amdhsa_system_sgpr_private_segment_wavefront_offset 0
		.amdhsa_system_sgpr_workgroup_id_x 1
		.amdhsa_system_sgpr_workgroup_id_y 0
		.amdhsa_system_sgpr_workgroup_id_z 0
		.amdhsa_system_sgpr_workgroup_info 0
		.amdhsa_system_vgpr_workitem_id 0
		.amdhsa_next_free_vgpr 1
		.amdhsa_next_free_sgpr 0
		.amdhsa_accum_offset 4
		.amdhsa_reserve_vcc 0
		.amdhsa_reserve_flat_scratch 0
		.amdhsa_float_round_mode_32 0
		.amdhsa_float_round_mode_16_64 0
		.amdhsa_float_denorm_mode_32 3
		.amdhsa_float_denorm_mode_16_64 3
		.amdhsa_dx10_clamp 1
		.amdhsa_ieee_mode 1
		.amdhsa_fp16_overflow 0
		.amdhsa_tg_split 0
		.amdhsa_exception_fp_ieee_invalid_op 0
		.amdhsa_exception_fp_denorm_src 0
		.amdhsa_exception_fp_ieee_div_zero 0
		.amdhsa_exception_fp_ieee_overflow 0
		.amdhsa_exception_fp_ieee_underflow 0
		.amdhsa_exception_fp_ieee_inexact 0
		.amdhsa_exception_int_div_zero 0
	.end_amdhsa_kernel
	.section	.text._ZN7rocprim17ROCPRIM_400000_NS6detail17trampoline_kernelINS0_14default_configENS1_38merge_sort_block_merge_config_selectorItNS0_10empty_typeEEEZZNS1_27merge_sort_block_merge_implIS3_PtPS5_jNS1_19radix_merge_compareILb1ELb1EtNS0_19identity_decomposerEEEEE10hipError_tT0_T1_T2_jT3_P12ihipStream_tbPNSt15iterator_traitsISE_E10value_typeEPNSK_ISF_E10value_typeEPSG_NS1_7vsmem_tEENKUlT_SE_SF_SG_E_clIS8_S8_S9_S9_EESD_ST_SE_SF_SG_EUlST_E1_NS1_11comp_targetILNS1_3genE8ELNS1_11target_archE1030ELNS1_3gpuE2ELNS1_3repE0EEENS1_36merge_oddeven_config_static_selectorELNS0_4arch9wavefront6targetE1EEEvSF_,"axG",@progbits,_ZN7rocprim17ROCPRIM_400000_NS6detail17trampoline_kernelINS0_14default_configENS1_38merge_sort_block_merge_config_selectorItNS0_10empty_typeEEEZZNS1_27merge_sort_block_merge_implIS3_PtPS5_jNS1_19radix_merge_compareILb1ELb1EtNS0_19identity_decomposerEEEEE10hipError_tT0_T1_T2_jT3_P12ihipStream_tbPNSt15iterator_traitsISE_E10value_typeEPNSK_ISF_E10value_typeEPSG_NS1_7vsmem_tEENKUlT_SE_SF_SG_E_clIS8_S8_S9_S9_EESD_ST_SE_SF_SG_EUlST_E1_NS1_11comp_targetILNS1_3genE8ELNS1_11target_archE1030ELNS1_3gpuE2ELNS1_3repE0EEENS1_36merge_oddeven_config_static_selectorELNS0_4arch9wavefront6targetE1EEEvSF_,comdat
.Lfunc_end1900:
	.size	_ZN7rocprim17ROCPRIM_400000_NS6detail17trampoline_kernelINS0_14default_configENS1_38merge_sort_block_merge_config_selectorItNS0_10empty_typeEEEZZNS1_27merge_sort_block_merge_implIS3_PtPS5_jNS1_19radix_merge_compareILb1ELb1EtNS0_19identity_decomposerEEEEE10hipError_tT0_T1_T2_jT3_P12ihipStream_tbPNSt15iterator_traitsISE_E10value_typeEPNSK_ISF_E10value_typeEPSG_NS1_7vsmem_tEENKUlT_SE_SF_SG_E_clIS8_S8_S9_S9_EESD_ST_SE_SF_SG_EUlST_E1_NS1_11comp_targetILNS1_3genE8ELNS1_11target_archE1030ELNS1_3gpuE2ELNS1_3repE0EEENS1_36merge_oddeven_config_static_selectorELNS0_4arch9wavefront6targetE1EEEvSF_, .Lfunc_end1900-_ZN7rocprim17ROCPRIM_400000_NS6detail17trampoline_kernelINS0_14default_configENS1_38merge_sort_block_merge_config_selectorItNS0_10empty_typeEEEZZNS1_27merge_sort_block_merge_implIS3_PtPS5_jNS1_19radix_merge_compareILb1ELb1EtNS0_19identity_decomposerEEEEE10hipError_tT0_T1_T2_jT3_P12ihipStream_tbPNSt15iterator_traitsISE_E10value_typeEPNSK_ISF_E10value_typeEPSG_NS1_7vsmem_tEENKUlT_SE_SF_SG_E_clIS8_S8_S9_S9_EESD_ST_SE_SF_SG_EUlST_E1_NS1_11comp_targetILNS1_3genE8ELNS1_11target_archE1030ELNS1_3gpuE2ELNS1_3repE0EEENS1_36merge_oddeven_config_static_selectorELNS0_4arch9wavefront6targetE1EEEvSF_
                                        ; -- End function
	.section	.AMDGPU.csdata,"",@progbits
; Kernel info:
; codeLenInByte = 0
; NumSgprs: 4
; NumVgprs: 0
; NumAgprs: 0
; TotalNumVgprs: 0
; ScratchSize: 0
; MemoryBound: 0
; FloatMode: 240
; IeeeMode: 1
; LDSByteSize: 0 bytes/workgroup (compile time only)
; SGPRBlocks: 0
; VGPRBlocks: 0
; NumSGPRsForWavesPerEU: 4
; NumVGPRsForWavesPerEU: 1
; AccumOffset: 4
; Occupancy: 8
; WaveLimiterHint : 0
; COMPUTE_PGM_RSRC2:SCRATCH_EN: 0
; COMPUTE_PGM_RSRC2:USER_SGPR: 6
; COMPUTE_PGM_RSRC2:TRAP_HANDLER: 0
; COMPUTE_PGM_RSRC2:TGID_X_EN: 1
; COMPUTE_PGM_RSRC2:TGID_Y_EN: 0
; COMPUTE_PGM_RSRC2:TGID_Z_EN: 0
; COMPUTE_PGM_RSRC2:TIDIG_COMP_CNT: 0
; COMPUTE_PGM_RSRC3_GFX90A:ACCUM_OFFSET: 0
; COMPUTE_PGM_RSRC3_GFX90A:TG_SPLIT: 0
	.section	.text._ZN7rocprim17ROCPRIM_400000_NS6detail17trampoline_kernelINS0_14default_configENS1_35radix_sort_onesweep_config_selectorItNS0_10empty_typeEEEZNS1_34radix_sort_onesweep_global_offsetsIS3_Lb1EPtPS5_mNS0_19identity_decomposerEEE10hipError_tT1_T2_PT3_SE_jT4_jjP12ihipStream_tbEUlT_E_NS1_11comp_targetILNS1_3genE0ELNS1_11target_archE4294967295ELNS1_3gpuE0ELNS1_3repE0EEENS1_52radix_sort_onesweep_histogram_config_static_selectorELNS0_4arch9wavefront6targetE1EEEvSC_,"axG",@progbits,_ZN7rocprim17ROCPRIM_400000_NS6detail17trampoline_kernelINS0_14default_configENS1_35radix_sort_onesweep_config_selectorItNS0_10empty_typeEEEZNS1_34radix_sort_onesweep_global_offsetsIS3_Lb1EPtPS5_mNS0_19identity_decomposerEEE10hipError_tT1_T2_PT3_SE_jT4_jjP12ihipStream_tbEUlT_E_NS1_11comp_targetILNS1_3genE0ELNS1_11target_archE4294967295ELNS1_3gpuE0ELNS1_3repE0EEENS1_52radix_sort_onesweep_histogram_config_static_selectorELNS0_4arch9wavefront6targetE1EEEvSC_,comdat
	.protected	_ZN7rocprim17ROCPRIM_400000_NS6detail17trampoline_kernelINS0_14default_configENS1_35radix_sort_onesweep_config_selectorItNS0_10empty_typeEEEZNS1_34radix_sort_onesweep_global_offsetsIS3_Lb1EPtPS5_mNS0_19identity_decomposerEEE10hipError_tT1_T2_PT3_SE_jT4_jjP12ihipStream_tbEUlT_E_NS1_11comp_targetILNS1_3genE0ELNS1_11target_archE4294967295ELNS1_3gpuE0ELNS1_3repE0EEENS1_52radix_sort_onesweep_histogram_config_static_selectorELNS0_4arch9wavefront6targetE1EEEvSC_ ; -- Begin function _ZN7rocprim17ROCPRIM_400000_NS6detail17trampoline_kernelINS0_14default_configENS1_35radix_sort_onesweep_config_selectorItNS0_10empty_typeEEEZNS1_34radix_sort_onesweep_global_offsetsIS3_Lb1EPtPS5_mNS0_19identity_decomposerEEE10hipError_tT1_T2_PT3_SE_jT4_jjP12ihipStream_tbEUlT_E_NS1_11comp_targetILNS1_3genE0ELNS1_11target_archE4294967295ELNS1_3gpuE0ELNS1_3repE0EEENS1_52radix_sort_onesweep_histogram_config_static_selectorELNS0_4arch9wavefront6targetE1EEEvSC_
	.globl	_ZN7rocprim17ROCPRIM_400000_NS6detail17trampoline_kernelINS0_14default_configENS1_35radix_sort_onesweep_config_selectorItNS0_10empty_typeEEEZNS1_34radix_sort_onesweep_global_offsetsIS3_Lb1EPtPS5_mNS0_19identity_decomposerEEE10hipError_tT1_T2_PT3_SE_jT4_jjP12ihipStream_tbEUlT_E_NS1_11comp_targetILNS1_3genE0ELNS1_11target_archE4294967295ELNS1_3gpuE0ELNS1_3repE0EEENS1_52radix_sort_onesweep_histogram_config_static_selectorELNS0_4arch9wavefront6targetE1EEEvSC_
	.p2align	8
	.type	_ZN7rocprim17ROCPRIM_400000_NS6detail17trampoline_kernelINS0_14default_configENS1_35radix_sort_onesweep_config_selectorItNS0_10empty_typeEEEZNS1_34radix_sort_onesweep_global_offsetsIS3_Lb1EPtPS5_mNS0_19identity_decomposerEEE10hipError_tT1_T2_PT3_SE_jT4_jjP12ihipStream_tbEUlT_E_NS1_11comp_targetILNS1_3genE0ELNS1_11target_archE4294967295ELNS1_3gpuE0ELNS1_3repE0EEENS1_52radix_sort_onesweep_histogram_config_static_selectorELNS0_4arch9wavefront6targetE1EEEvSC_,@function
_ZN7rocprim17ROCPRIM_400000_NS6detail17trampoline_kernelINS0_14default_configENS1_35radix_sort_onesweep_config_selectorItNS0_10empty_typeEEEZNS1_34radix_sort_onesweep_global_offsetsIS3_Lb1EPtPS5_mNS0_19identity_decomposerEEE10hipError_tT1_T2_PT3_SE_jT4_jjP12ihipStream_tbEUlT_E_NS1_11comp_targetILNS1_3genE0ELNS1_11target_archE4294967295ELNS1_3gpuE0ELNS1_3repE0EEENS1_52radix_sort_onesweep_histogram_config_static_selectorELNS0_4arch9wavefront6targetE1EEEvSC_: ; @_ZN7rocprim17ROCPRIM_400000_NS6detail17trampoline_kernelINS0_14default_configENS1_35radix_sort_onesweep_config_selectorItNS0_10empty_typeEEEZNS1_34radix_sort_onesweep_global_offsetsIS3_Lb1EPtPS5_mNS0_19identity_decomposerEEE10hipError_tT1_T2_PT3_SE_jT4_jjP12ihipStream_tbEUlT_E_NS1_11comp_targetILNS1_3genE0ELNS1_11target_archE4294967295ELNS1_3gpuE0ELNS1_3repE0EEENS1_52radix_sort_onesweep_histogram_config_static_selectorELNS0_4arch9wavefront6targetE1EEEvSC_
; %bb.0:
	.section	.rodata,"a",@progbits
	.p2align	6, 0x0
	.amdhsa_kernel _ZN7rocprim17ROCPRIM_400000_NS6detail17trampoline_kernelINS0_14default_configENS1_35radix_sort_onesweep_config_selectorItNS0_10empty_typeEEEZNS1_34radix_sort_onesweep_global_offsetsIS3_Lb1EPtPS5_mNS0_19identity_decomposerEEE10hipError_tT1_T2_PT3_SE_jT4_jjP12ihipStream_tbEUlT_E_NS1_11comp_targetILNS1_3genE0ELNS1_11target_archE4294967295ELNS1_3gpuE0ELNS1_3repE0EEENS1_52radix_sort_onesweep_histogram_config_static_selectorELNS0_4arch9wavefront6targetE1EEEvSC_
		.amdhsa_group_segment_fixed_size 0
		.amdhsa_private_segment_fixed_size 0
		.amdhsa_kernarg_size 48
		.amdhsa_user_sgpr_count 6
		.amdhsa_user_sgpr_private_segment_buffer 1
		.amdhsa_user_sgpr_dispatch_ptr 0
		.amdhsa_user_sgpr_queue_ptr 0
		.amdhsa_user_sgpr_kernarg_segment_ptr 1
		.amdhsa_user_sgpr_dispatch_id 0
		.amdhsa_user_sgpr_flat_scratch_init 0
		.amdhsa_user_sgpr_kernarg_preload_length 0
		.amdhsa_user_sgpr_kernarg_preload_offset 0
		.amdhsa_user_sgpr_private_segment_size 0
		.amdhsa_uses_dynamic_stack 0
		.amdhsa_system_sgpr_private_segment_wavefront_offset 0
		.amdhsa_system_sgpr_workgroup_id_x 1
		.amdhsa_system_sgpr_workgroup_id_y 0
		.amdhsa_system_sgpr_workgroup_id_z 0
		.amdhsa_system_sgpr_workgroup_info 0
		.amdhsa_system_vgpr_workitem_id 0
		.amdhsa_next_free_vgpr 1
		.amdhsa_next_free_sgpr 0
		.amdhsa_accum_offset 4
		.amdhsa_reserve_vcc 0
		.amdhsa_reserve_flat_scratch 0
		.amdhsa_float_round_mode_32 0
		.amdhsa_float_round_mode_16_64 0
		.amdhsa_float_denorm_mode_32 3
		.amdhsa_float_denorm_mode_16_64 3
		.amdhsa_dx10_clamp 1
		.amdhsa_ieee_mode 1
		.amdhsa_fp16_overflow 0
		.amdhsa_tg_split 0
		.amdhsa_exception_fp_ieee_invalid_op 0
		.amdhsa_exception_fp_denorm_src 0
		.amdhsa_exception_fp_ieee_div_zero 0
		.amdhsa_exception_fp_ieee_overflow 0
		.amdhsa_exception_fp_ieee_underflow 0
		.amdhsa_exception_fp_ieee_inexact 0
		.amdhsa_exception_int_div_zero 0
	.end_amdhsa_kernel
	.section	.text._ZN7rocprim17ROCPRIM_400000_NS6detail17trampoline_kernelINS0_14default_configENS1_35radix_sort_onesweep_config_selectorItNS0_10empty_typeEEEZNS1_34radix_sort_onesweep_global_offsetsIS3_Lb1EPtPS5_mNS0_19identity_decomposerEEE10hipError_tT1_T2_PT3_SE_jT4_jjP12ihipStream_tbEUlT_E_NS1_11comp_targetILNS1_3genE0ELNS1_11target_archE4294967295ELNS1_3gpuE0ELNS1_3repE0EEENS1_52radix_sort_onesweep_histogram_config_static_selectorELNS0_4arch9wavefront6targetE1EEEvSC_,"axG",@progbits,_ZN7rocprim17ROCPRIM_400000_NS6detail17trampoline_kernelINS0_14default_configENS1_35radix_sort_onesweep_config_selectorItNS0_10empty_typeEEEZNS1_34radix_sort_onesweep_global_offsetsIS3_Lb1EPtPS5_mNS0_19identity_decomposerEEE10hipError_tT1_T2_PT3_SE_jT4_jjP12ihipStream_tbEUlT_E_NS1_11comp_targetILNS1_3genE0ELNS1_11target_archE4294967295ELNS1_3gpuE0ELNS1_3repE0EEENS1_52radix_sort_onesweep_histogram_config_static_selectorELNS0_4arch9wavefront6targetE1EEEvSC_,comdat
.Lfunc_end1901:
	.size	_ZN7rocprim17ROCPRIM_400000_NS6detail17trampoline_kernelINS0_14default_configENS1_35radix_sort_onesweep_config_selectorItNS0_10empty_typeEEEZNS1_34radix_sort_onesweep_global_offsetsIS3_Lb1EPtPS5_mNS0_19identity_decomposerEEE10hipError_tT1_T2_PT3_SE_jT4_jjP12ihipStream_tbEUlT_E_NS1_11comp_targetILNS1_3genE0ELNS1_11target_archE4294967295ELNS1_3gpuE0ELNS1_3repE0EEENS1_52radix_sort_onesweep_histogram_config_static_selectorELNS0_4arch9wavefront6targetE1EEEvSC_, .Lfunc_end1901-_ZN7rocprim17ROCPRIM_400000_NS6detail17trampoline_kernelINS0_14default_configENS1_35radix_sort_onesweep_config_selectorItNS0_10empty_typeEEEZNS1_34radix_sort_onesweep_global_offsetsIS3_Lb1EPtPS5_mNS0_19identity_decomposerEEE10hipError_tT1_T2_PT3_SE_jT4_jjP12ihipStream_tbEUlT_E_NS1_11comp_targetILNS1_3genE0ELNS1_11target_archE4294967295ELNS1_3gpuE0ELNS1_3repE0EEENS1_52radix_sort_onesweep_histogram_config_static_selectorELNS0_4arch9wavefront6targetE1EEEvSC_
                                        ; -- End function
	.section	.AMDGPU.csdata,"",@progbits
; Kernel info:
; codeLenInByte = 0
; NumSgprs: 4
; NumVgprs: 0
; NumAgprs: 0
; TotalNumVgprs: 0
; ScratchSize: 0
; MemoryBound: 0
; FloatMode: 240
; IeeeMode: 1
; LDSByteSize: 0 bytes/workgroup (compile time only)
; SGPRBlocks: 0
; VGPRBlocks: 0
; NumSGPRsForWavesPerEU: 4
; NumVGPRsForWavesPerEU: 1
; AccumOffset: 4
; Occupancy: 8
; WaveLimiterHint : 0
; COMPUTE_PGM_RSRC2:SCRATCH_EN: 0
; COMPUTE_PGM_RSRC2:USER_SGPR: 6
; COMPUTE_PGM_RSRC2:TRAP_HANDLER: 0
; COMPUTE_PGM_RSRC2:TGID_X_EN: 1
; COMPUTE_PGM_RSRC2:TGID_Y_EN: 0
; COMPUTE_PGM_RSRC2:TGID_Z_EN: 0
; COMPUTE_PGM_RSRC2:TIDIG_COMP_CNT: 0
; COMPUTE_PGM_RSRC3_GFX90A:ACCUM_OFFSET: 0
; COMPUTE_PGM_RSRC3_GFX90A:TG_SPLIT: 0
	.section	.text._ZN7rocprim17ROCPRIM_400000_NS6detail17trampoline_kernelINS0_14default_configENS1_35radix_sort_onesweep_config_selectorItNS0_10empty_typeEEEZNS1_34radix_sort_onesweep_global_offsetsIS3_Lb1EPtPS5_mNS0_19identity_decomposerEEE10hipError_tT1_T2_PT3_SE_jT4_jjP12ihipStream_tbEUlT_E_NS1_11comp_targetILNS1_3genE6ELNS1_11target_archE950ELNS1_3gpuE13ELNS1_3repE0EEENS1_52radix_sort_onesweep_histogram_config_static_selectorELNS0_4arch9wavefront6targetE1EEEvSC_,"axG",@progbits,_ZN7rocprim17ROCPRIM_400000_NS6detail17trampoline_kernelINS0_14default_configENS1_35radix_sort_onesweep_config_selectorItNS0_10empty_typeEEEZNS1_34radix_sort_onesweep_global_offsetsIS3_Lb1EPtPS5_mNS0_19identity_decomposerEEE10hipError_tT1_T2_PT3_SE_jT4_jjP12ihipStream_tbEUlT_E_NS1_11comp_targetILNS1_3genE6ELNS1_11target_archE950ELNS1_3gpuE13ELNS1_3repE0EEENS1_52radix_sort_onesweep_histogram_config_static_selectorELNS0_4arch9wavefront6targetE1EEEvSC_,comdat
	.protected	_ZN7rocprim17ROCPRIM_400000_NS6detail17trampoline_kernelINS0_14default_configENS1_35radix_sort_onesweep_config_selectorItNS0_10empty_typeEEEZNS1_34radix_sort_onesweep_global_offsetsIS3_Lb1EPtPS5_mNS0_19identity_decomposerEEE10hipError_tT1_T2_PT3_SE_jT4_jjP12ihipStream_tbEUlT_E_NS1_11comp_targetILNS1_3genE6ELNS1_11target_archE950ELNS1_3gpuE13ELNS1_3repE0EEENS1_52radix_sort_onesweep_histogram_config_static_selectorELNS0_4arch9wavefront6targetE1EEEvSC_ ; -- Begin function _ZN7rocprim17ROCPRIM_400000_NS6detail17trampoline_kernelINS0_14default_configENS1_35radix_sort_onesweep_config_selectorItNS0_10empty_typeEEEZNS1_34radix_sort_onesweep_global_offsetsIS3_Lb1EPtPS5_mNS0_19identity_decomposerEEE10hipError_tT1_T2_PT3_SE_jT4_jjP12ihipStream_tbEUlT_E_NS1_11comp_targetILNS1_3genE6ELNS1_11target_archE950ELNS1_3gpuE13ELNS1_3repE0EEENS1_52radix_sort_onesweep_histogram_config_static_selectorELNS0_4arch9wavefront6targetE1EEEvSC_
	.globl	_ZN7rocprim17ROCPRIM_400000_NS6detail17trampoline_kernelINS0_14default_configENS1_35radix_sort_onesweep_config_selectorItNS0_10empty_typeEEEZNS1_34radix_sort_onesweep_global_offsetsIS3_Lb1EPtPS5_mNS0_19identity_decomposerEEE10hipError_tT1_T2_PT3_SE_jT4_jjP12ihipStream_tbEUlT_E_NS1_11comp_targetILNS1_3genE6ELNS1_11target_archE950ELNS1_3gpuE13ELNS1_3repE0EEENS1_52radix_sort_onesweep_histogram_config_static_selectorELNS0_4arch9wavefront6targetE1EEEvSC_
	.p2align	8
	.type	_ZN7rocprim17ROCPRIM_400000_NS6detail17trampoline_kernelINS0_14default_configENS1_35radix_sort_onesweep_config_selectorItNS0_10empty_typeEEEZNS1_34radix_sort_onesweep_global_offsetsIS3_Lb1EPtPS5_mNS0_19identity_decomposerEEE10hipError_tT1_T2_PT3_SE_jT4_jjP12ihipStream_tbEUlT_E_NS1_11comp_targetILNS1_3genE6ELNS1_11target_archE950ELNS1_3gpuE13ELNS1_3repE0EEENS1_52radix_sort_onesweep_histogram_config_static_selectorELNS0_4arch9wavefront6targetE1EEEvSC_,@function
_ZN7rocprim17ROCPRIM_400000_NS6detail17trampoline_kernelINS0_14default_configENS1_35radix_sort_onesweep_config_selectorItNS0_10empty_typeEEEZNS1_34radix_sort_onesweep_global_offsetsIS3_Lb1EPtPS5_mNS0_19identity_decomposerEEE10hipError_tT1_T2_PT3_SE_jT4_jjP12ihipStream_tbEUlT_E_NS1_11comp_targetILNS1_3genE6ELNS1_11target_archE950ELNS1_3gpuE13ELNS1_3repE0EEENS1_52radix_sort_onesweep_histogram_config_static_selectorELNS0_4arch9wavefront6targetE1EEEvSC_: ; @_ZN7rocprim17ROCPRIM_400000_NS6detail17trampoline_kernelINS0_14default_configENS1_35radix_sort_onesweep_config_selectorItNS0_10empty_typeEEEZNS1_34radix_sort_onesweep_global_offsetsIS3_Lb1EPtPS5_mNS0_19identity_decomposerEEE10hipError_tT1_T2_PT3_SE_jT4_jjP12ihipStream_tbEUlT_E_NS1_11comp_targetILNS1_3genE6ELNS1_11target_archE950ELNS1_3gpuE13ELNS1_3repE0EEENS1_52radix_sort_onesweep_histogram_config_static_selectorELNS0_4arch9wavefront6targetE1EEEvSC_
; %bb.0:
	.section	.rodata,"a",@progbits
	.p2align	6, 0x0
	.amdhsa_kernel _ZN7rocprim17ROCPRIM_400000_NS6detail17trampoline_kernelINS0_14default_configENS1_35radix_sort_onesweep_config_selectorItNS0_10empty_typeEEEZNS1_34radix_sort_onesweep_global_offsetsIS3_Lb1EPtPS5_mNS0_19identity_decomposerEEE10hipError_tT1_T2_PT3_SE_jT4_jjP12ihipStream_tbEUlT_E_NS1_11comp_targetILNS1_3genE6ELNS1_11target_archE950ELNS1_3gpuE13ELNS1_3repE0EEENS1_52radix_sort_onesweep_histogram_config_static_selectorELNS0_4arch9wavefront6targetE1EEEvSC_
		.amdhsa_group_segment_fixed_size 0
		.amdhsa_private_segment_fixed_size 0
		.amdhsa_kernarg_size 48
		.amdhsa_user_sgpr_count 6
		.amdhsa_user_sgpr_private_segment_buffer 1
		.amdhsa_user_sgpr_dispatch_ptr 0
		.amdhsa_user_sgpr_queue_ptr 0
		.amdhsa_user_sgpr_kernarg_segment_ptr 1
		.amdhsa_user_sgpr_dispatch_id 0
		.amdhsa_user_sgpr_flat_scratch_init 0
		.amdhsa_user_sgpr_kernarg_preload_length 0
		.amdhsa_user_sgpr_kernarg_preload_offset 0
		.amdhsa_user_sgpr_private_segment_size 0
		.amdhsa_uses_dynamic_stack 0
		.amdhsa_system_sgpr_private_segment_wavefront_offset 0
		.amdhsa_system_sgpr_workgroup_id_x 1
		.amdhsa_system_sgpr_workgroup_id_y 0
		.amdhsa_system_sgpr_workgroup_id_z 0
		.amdhsa_system_sgpr_workgroup_info 0
		.amdhsa_system_vgpr_workitem_id 0
		.amdhsa_next_free_vgpr 1
		.amdhsa_next_free_sgpr 0
		.amdhsa_accum_offset 4
		.amdhsa_reserve_vcc 0
		.amdhsa_reserve_flat_scratch 0
		.amdhsa_float_round_mode_32 0
		.amdhsa_float_round_mode_16_64 0
		.amdhsa_float_denorm_mode_32 3
		.amdhsa_float_denorm_mode_16_64 3
		.amdhsa_dx10_clamp 1
		.amdhsa_ieee_mode 1
		.amdhsa_fp16_overflow 0
		.amdhsa_tg_split 0
		.amdhsa_exception_fp_ieee_invalid_op 0
		.amdhsa_exception_fp_denorm_src 0
		.amdhsa_exception_fp_ieee_div_zero 0
		.amdhsa_exception_fp_ieee_overflow 0
		.amdhsa_exception_fp_ieee_underflow 0
		.amdhsa_exception_fp_ieee_inexact 0
		.amdhsa_exception_int_div_zero 0
	.end_amdhsa_kernel
	.section	.text._ZN7rocprim17ROCPRIM_400000_NS6detail17trampoline_kernelINS0_14default_configENS1_35radix_sort_onesweep_config_selectorItNS0_10empty_typeEEEZNS1_34radix_sort_onesweep_global_offsetsIS3_Lb1EPtPS5_mNS0_19identity_decomposerEEE10hipError_tT1_T2_PT3_SE_jT4_jjP12ihipStream_tbEUlT_E_NS1_11comp_targetILNS1_3genE6ELNS1_11target_archE950ELNS1_3gpuE13ELNS1_3repE0EEENS1_52radix_sort_onesweep_histogram_config_static_selectorELNS0_4arch9wavefront6targetE1EEEvSC_,"axG",@progbits,_ZN7rocprim17ROCPRIM_400000_NS6detail17trampoline_kernelINS0_14default_configENS1_35radix_sort_onesweep_config_selectorItNS0_10empty_typeEEEZNS1_34radix_sort_onesweep_global_offsetsIS3_Lb1EPtPS5_mNS0_19identity_decomposerEEE10hipError_tT1_T2_PT3_SE_jT4_jjP12ihipStream_tbEUlT_E_NS1_11comp_targetILNS1_3genE6ELNS1_11target_archE950ELNS1_3gpuE13ELNS1_3repE0EEENS1_52radix_sort_onesweep_histogram_config_static_selectorELNS0_4arch9wavefront6targetE1EEEvSC_,comdat
.Lfunc_end1902:
	.size	_ZN7rocprim17ROCPRIM_400000_NS6detail17trampoline_kernelINS0_14default_configENS1_35radix_sort_onesweep_config_selectorItNS0_10empty_typeEEEZNS1_34radix_sort_onesweep_global_offsetsIS3_Lb1EPtPS5_mNS0_19identity_decomposerEEE10hipError_tT1_T2_PT3_SE_jT4_jjP12ihipStream_tbEUlT_E_NS1_11comp_targetILNS1_3genE6ELNS1_11target_archE950ELNS1_3gpuE13ELNS1_3repE0EEENS1_52radix_sort_onesweep_histogram_config_static_selectorELNS0_4arch9wavefront6targetE1EEEvSC_, .Lfunc_end1902-_ZN7rocprim17ROCPRIM_400000_NS6detail17trampoline_kernelINS0_14default_configENS1_35radix_sort_onesweep_config_selectorItNS0_10empty_typeEEEZNS1_34radix_sort_onesweep_global_offsetsIS3_Lb1EPtPS5_mNS0_19identity_decomposerEEE10hipError_tT1_T2_PT3_SE_jT4_jjP12ihipStream_tbEUlT_E_NS1_11comp_targetILNS1_3genE6ELNS1_11target_archE950ELNS1_3gpuE13ELNS1_3repE0EEENS1_52radix_sort_onesweep_histogram_config_static_selectorELNS0_4arch9wavefront6targetE1EEEvSC_
                                        ; -- End function
	.section	.AMDGPU.csdata,"",@progbits
; Kernel info:
; codeLenInByte = 0
; NumSgprs: 4
; NumVgprs: 0
; NumAgprs: 0
; TotalNumVgprs: 0
; ScratchSize: 0
; MemoryBound: 0
; FloatMode: 240
; IeeeMode: 1
; LDSByteSize: 0 bytes/workgroup (compile time only)
; SGPRBlocks: 0
; VGPRBlocks: 0
; NumSGPRsForWavesPerEU: 4
; NumVGPRsForWavesPerEU: 1
; AccumOffset: 4
; Occupancy: 8
; WaveLimiterHint : 0
; COMPUTE_PGM_RSRC2:SCRATCH_EN: 0
; COMPUTE_PGM_RSRC2:USER_SGPR: 6
; COMPUTE_PGM_RSRC2:TRAP_HANDLER: 0
; COMPUTE_PGM_RSRC2:TGID_X_EN: 1
; COMPUTE_PGM_RSRC2:TGID_Y_EN: 0
; COMPUTE_PGM_RSRC2:TGID_Z_EN: 0
; COMPUTE_PGM_RSRC2:TIDIG_COMP_CNT: 0
; COMPUTE_PGM_RSRC3_GFX90A:ACCUM_OFFSET: 0
; COMPUTE_PGM_RSRC3_GFX90A:TG_SPLIT: 0
	.section	.text._ZN7rocprim17ROCPRIM_400000_NS6detail17trampoline_kernelINS0_14default_configENS1_35radix_sort_onesweep_config_selectorItNS0_10empty_typeEEEZNS1_34radix_sort_onesweep_global_offsetsIS3_Lb1EPtPS5_mNS0_19identity_decomposerEEE10hipError_tT1_T2_PT3_SE_jT4_jjP12ihipStream_tbEUlT_E_NS1_11comp_targetILNS1_3genE5ELNS1_11target_archE942ELNS1_3gpuE9ELNS1_3repE0EEENS1_52radix_sort_onesweep_histogram_config_static_selectorELNS0_4arch9wavefront6targetE1EEEvSC_,"axG",@progbits,_ZN7rocprim17ROCPRIM_400000_NS6detail17trampoline_kernelINS0_14default_configENS1_35radix_sort_onesweep_config_selectorItNS0_10empty_typeEEEZNS1_34radix_sort_onesweep_global_offsetsIS3_Lb1EPtPS5_mNS0_19identity_decomposerEEE10hipError_tT1_T2_PT3_SE_jT4_jjP12ihipStream_tbEUlT_E_NS1_11comp_targetILNS1_3genE5ELNS1_11target_archE942ELNS1_3gpuE9ELNS1_3repE0EEENS1_52radix_sort_onesweep_histogram_config_static_selectorELNS0_4arch9wavefront6targetE1EEEvSC_,comdat
	.protected	_ZN7rocprim17ROCPRIM_400000_NS6detail17trampoline_kernelINS0_14default_configENS1_35radix_sort_onesweep_config_selectorItNS0_10empty_typeEEEZNS1_34radix_sort_onesweep_global_offsetsIS3_Lb1EPtPS5_mNS0_19identity_decomposerEEE10hipError_tT1_T2_PT3_SE_jT4_jjP12ihipStream_tbEUlT_E_NS1_11comp_targetILNS1_3genE5ELNS1_11target_archE942ELNS1_3gpuE9ELNS1_3repE0EEENS1_52radix_sort_onesweep_histogram_config_static_selectorELNS0_4arch9wavefront6targetE1EEEvSC_ ; -- Begin function _ZN7rocprim17ROCPRIM_400000_NS6detail17trampoline_kernelINS0_14default_configENS1_35radix_sort_onesweep_config_selectorItNS0_10empty_typeEEEZNS1_34radix_sort_onesweep_global_offsetsIS3_Lb1EPtPS5_mNS0_19identity_decomposerEEE10hipError_tT1_T2_PT3_SE_jT4_jjP12ihipStream_tbEUlT_E_NS1_11comp_targetILNS1_3genE5ELNS1_11target_archE942ELNS1_3gpuE9ELNS1_3repE0EEENS1_52radix_sort_onesweep_histogram_config_static_selectorELNS0_4arch9wavefront6targetE1EEEvSC_
	.globl	_ZN7rocprim17ROCPRIM_400000_NS6detail17trampoline_kernelINS0_14default_configENS1_35radix_sort_onesweep_config_selectorItNS0_10empty_typeEEEZNS1_34radix_sort_onesweep_global_offsetsIS3_Lb1EPtPS5_mNS0_19identity_decomposerEEE10hipError_tT1_T2_PT3_SE_jT4_jjP12ihipStream_tbEUlT_E_NS1_11comp_targetILNS1_3genE5ELNS1_11target_archE942ELNS1_3gpuE9ELNS1_3repE0EEENS1_52radix_sort_onesweep_histogram_config_static_selectorELNS0_4arch9wavefront6targetE1EEEvSC_
	.p2align	8
	.type	_ZN7rocprim17ROCPRIM_400000_NS6detail17trampoline_kernelINS0_14default_configENS1_35radix_sort_onesweep_config_selectorItNS0_10empty_typeEEEZNS1_34radix_sort_onesweep_global_offsetsIS3_Lb1EPtPS5_mNS0_19identity_decomposerEEE10hipError_tT1_T2_PT3_SE_jT4_jjP12ihipStream_tbEUlT_E_NS1_11comp_targetILNS1_3genE5ELNS1_11target_archE942ELNS1_3gpuE9ELNS1_3repE0EEENS1_52radix_sort_onesweep_histogram_config_static_selectorELNS0_4arch9wavefront6targetE1EEEvSC_,@function
_ZN7rocprim17ROCPRIM_400000_NS6detail17trampoline_kernelINS0_14default_configENS1_35radix_sort_onesweep_config_selectorItNS0_10empty_typeEEEZNS1_34radix_sort_onesweep_global_offsetsIS3_Lb1EPtPS5_mNS0_19identity_decomposerEEE10hipError_tT1_T2_PT3_SE_jT4_jjP12ihipStream_tbEUlT_E_NS1_11comp_targetILNS1_3genE5ELNS1_11target_archE942ELNS1_3gpuE9ELNS1_3repE0EEENS1_52radix_sort_onesweep_histogram_config_static_selectorELNS0_4arch9wavefront6targetE1EEEvSC_: ; @_ZN7rocprim17ROCPRIM_400000_NS6detail17trampoline_kernelINS0_14default_configENS1_35radix_sort_onesweep_config_selectorItNS0_10empty_typeEEEZNS1_34radix_sort_onesweep_global_offsetsIS3_Lb1EPtPS5_mNS0_19identity_decomposerEEE10hipError_tT1_T2_PT3_SE_jT4_jjP12ihipStream_tbEUlT_E_NS1_11comp_targetILNS1_3genE5ELNS1_11target_archE942ELNS1_3gpuE9ELNS1_3repE0EEENS1_52radix_sort_onesweep_histogram_config_static_selectorELNS0_4arch9wavefront6targetE1EEEvSC_
; %bb.0:
	.section	.rodata,"a",@progbits
	.p2align	6, 0x0
	.amdhsa_kernel _ZN7rocprim17ROCPRIM_400000_NS6detail17trampoline_kernelINS0_14default_configENS1_35radix_sort_onesweep_config_selectorItNS0_10empty_typeEEEZNS1_34radix_sort_onesweep_global_offsetsIS3_Lb1EPtPS5_mNS0_19identity_decomposerEEE10hipError_tT1_T2_PT3_SE_jT4_jjP12ihipStream_tbEUlT_E_NS1_11comp_targetILNS1_3genE5ELNS1_11target_archE942ELNS1_3gpuE9ELNS1_3repE0EEENS1_52radix_sort_onesweep_histogram_config_static_selectorELNS0_4arch9wavefront6targetE1EEEvSC_
		.amdhsa_group_segment_fixed_size 0
		.amdhsa_private_segment_fixed_size 0
		.amdhsa_kernarg_size 48
		.amdhsa_user_sgpr_count 6
		.amdhsa_user_sgpr_private_segment_buffer 1
		.amdhsa_user_sgpr_dispatch_ptr 0
		.amdhsa_user_sgpr_queue_ptr 0
		.amdhsa_user_sgpr_kernarg_segment_ptr 1
		.amdhsa_user_sgpr_dispatch_id 0
		.amdhsa_user_sgpr_flat_scratch_init 0
		.amdhsa_user_sgpr_kernarg_preload_length 0
		.amdhsa_user_sgpr_kernarg_preload_offset 0
		.amdhsa_user_sgpr_private_segment_size 0
		.amdhsa_uses_dynamic_stack 0
		.amdhsa_system_sgpr_private_segment_wavefront_offset 0
		.amdhsa_system_sgpr_workgroup_id_x 1
		.amdhsa_system_sgpr_workgroup_id_y 0
		.amdhsa_system_sgpr_workgroup_id_z 0
		.amdhsa_system_sgpr_workgroup_info 0
		.amdhsa_system_vgpr_workitem_id 0
		.amdhsa_next_free_vgpr 1
		.amdhsa_next_free_sgpr 0
		.amdhsa_accum_offset 4
		.amdhsa_reserve_vcc 0
		.amdhsa_reserve_flat_scratch 0
		.amdhsa_float_round_mode_32 0
		.amdhsa_float_round_mode_16_64 0
		.amdhsa_float_denorm_mode_32 3
		.amdhsa_float_denorm_mode_16_64 3
		.amdhsa_dx10_clamp 1
		.amdhsa_ieee_mode 1
		.amdhsa_fp16_overflow 0
		.amdhsa_tg_split 0
		.amdhsa_exception_fp_ieee_invalid_op 0
		.amdhsa_exception_fp_denorm_src 0
		.amdhsa_exception_fp_ieee_div_zero 0
		.amdhsa_exception_fp_ieee_overflow 0
		.amdhsa_exception_fp_ieee_underflow 0
		.amdhsa_exception_fp_ieee_inexact 0
		.amdhsa_exception_int_div_zero 0
	.end_amdhsa_kernel
	.section	.text._ZN7rocprim17ROCPRIM_400000_NS6detail17trampoline_kernelINS0_14default_configENS1_35radix_sort_onesweep_config_selectorItNS0_10empty_typeEEEZNS1_34radix_sort_onesweep_global_offsetsIS3_Lb1EPtPS5_mNS0_19identity_decomposerEEE10hipError_tT1_T2_PT3_SE_jT4_jjP12ihipStream_tbEUlT_E_NS1_11comp_targetILNS1_3genE5ELNS1_11target_archE942ELNS1_3gpuE9ELNS1_3repE0EEENS1_52radix_sort_onesweep_histogram_config_static_selectorELNS0_4arch9wavefront6targetE1EEEvSC_,"axG",@progbits,_ZN7rocprim17ROCPRIM_400000_NS6detail17trampoline_kernelINS0_14default_configENS1_35radix_sort_onesweep_config_selectorItNS0_10empty_typeEEEZNS1_34radix_sort_onesweep_global_offsetsIS3_Lb1EPtPS5_mNS0_19identity_decomposerEEE10hipError_tT1_T2_PT3_SE_jT4_jjP12ihipStream_tbEUlT_E_NS1_11comp_targetILNS1_3genE5ELNS1_11target_archE942ELNS1_3gpuE9ELNS1_3repE0EEENS1_52radix_sort_onesweep_histogram_config_static_selectorELNS0_4arch9wavefront6targetE1EEEvSC_,comdat
.Lfunc_end1903:
	.size	_ZN7rocprim17ROCPRIM_400000_NS6detail17trampoline_kernelINS0_14default_configENS1_35radix_sort_onesweep_config_selectorItNS0_10empty_typeEEEZNS1_34radix_sort_onesweep_global_offsetsIS3_Lb1EPtPS5_mNS0_19identity_decomposerEEE10hipError_tT1_T2_PT3_SE_jT4_jjP12ihipStream_tbEUlT_E_NS1_11comp_targetILNS1_3genE5ELNS1_11target_archE942ELNS1_3gpuE9ELNS1_3repE0EEENS1_52radix_sort_onesweep_histogram_config_static_selectorELNS0_4arch9wavefront6targetE1EEEvSC_, .Lfunc_end1903-_ZN7rocprim17ROCPRIM_400000_NS6detail17trampoline_kernelINS0_14default_configENS1_35radix_sort_onesweep_config_selectorItNS0_10empty_typeEEEZNS1_34radix_sort_onesweep_global_offsetsIS3_Lb1EPtPS5_mNS0_19identity_decomposerEEE10hipError_tT1_T2_PT3_SE_jT4_jjP12ihipStream_tbEUlT_E_NS1_11comp_targetILNS1_3genE5ELNS1_11target_archE942ELNS1_3gpuE9ELNS1_3repE0EEENS1_52radix_sort_onesweep_histogram_config_static_selectorELNS0_4arch9wavefront6targetE1EEEvSC_
                                        ; -- End function
	.section	.AMDGPU.csdata,"",@progbits
; Kernel info:
; codeLenInByte = 0
; NumSgprs: 4
; NumVgprs: 0
; NumAgprs: 0
; TotalNumVgprs: 0
; ScratchSize: 0
; MemoryBound: 0
; FloatMode: 240
; IeeeMode: 1
; LDSByteSize: 0 bytes/workgroup (compile time only)
; SGPRBlocks: 0
; VGPRBlocks: 0
; NumSGPRsForWavesPerEU: 4
; NumVGPRsForWavesPerEU: 1
; AccumOffset: 4
; Occupancy: 8
; WaveLimiterHint : 0
; COMPUTE_PGM_RSRC2:SCRATCH_EN: 0
; COMPUTE_PGM_RSRC2:USER_SGPR: 6
; COMPUTE_PGM_RSRC2:TRAP_HANDLER: 0
; COMPUTE_PGM_RSRC2:TGID_X_EN: 1
; COMPUTE_PGM_RSRC2:TGID_Y_EN: 0
; COMPUTE_PGM_RSRC2:TGID_Z_EN: 0
; COMPUTE_PGM_RSRC2:TIDIG_COMP_CNT: 0
; COMPUTE_PGM_RSRC3_GFX90A:ACCUM_OFFSET: 0
; COMPUTE_PGM_RSRC3_GFX90A:TG_SPLIT: 0
	.section	.text._ZN7rocprim17ROCPRIM_400000_NS6detail17trampoline_kernelINS0_14default_configENS1_35radix_sort_onesweep_config_selectorItNS0_10empty_typeEEEZNS1_34radix_sort_onesweep_global_offsetsIS3_Lb1EPtPS5_mNS0_19identity_decomposerEEE10hipError_tT1_T2_PT3_SE_jT4_jjP12ihipStream_tbEUlT_E_NS1_11comp_targetILNS1_3genE2ELNS1_11target_archE906ELNS1_3gpuE6ELNS1_3repE0EEENS1_52radix_sort_onesweep_histogram_config_static_selectorELNS0_4arch9wavefront6targetE1EEEvSC_,"axG",@progbits,_ZN7rocprim17ROCPRIM_400000_NS6detail17trampoline_kernelINS0_14default_configENS1_35radix_sort_onesweep_config_selectorItNS0_10empty_typeEEEZNS1_34radix_sort_onesweep_global_offsetsIS3_Lb1EPtPS5_mNS0_19identity_decomposerEEE10hipError_tT1_T2_PT3_SE_jT4_jjP12ihipStream_tbEUlT_E_NS1_11comp_targetILNS1_3genE2ELNS1_11target_archE906ELNS1_3gpuE6ELNS1_3repE0EEENS1_52radix_sort_onesweep_histogram_config_static_selectorELNS0_4arch9wavefront6targetE1EEEvSC_,comdat
	.protected	_ZN7rocprim17ROCPRIM_400000_NS6detail17trampoline_kernelINS0_14default_configENS1_35radix_sort_onesweep_config_selectorItNS0_10empty_typeEEEZNS1_34radix_sort_onesweep_global_offsetsIS3_Lb1EPtPS5_mNS0_19identity_decomposerEEE10hipError_tT1_T2_PT3_SE_jT4_jjP12ihipStream_tbEUlT_E_NS1_11comp_targetILNS1_3genE2ELNS1_11target_archE906ELNS1_3gpuE6ELNS1_3repE0EEENS1_52radix_sort_onesweep_histogram_config_static_selectorELNS0_4arch9wavefront6targetE1EEEvSC_ ; -- Begin function _ZN7rocprim17ROCPRIM_400000_NS6detail17trampoline_kernelINS0_14default_configENS1_35radix_sort_onesweep_config_selectorItNS0_10empty_typeEEEZNS1_34radix_sort_onesweep_global_offsetsIS3_Lb1EPtPS5_mNS0_19identity_decomposerEEE10hipError_tT1_T2_PT3_SE_jT4_jjP12ihipStream_tbEUlT_E_NS1_11comp_targetILNS1_3genE2ELNS1_11target_archE906ELNS1_3gpuE6ELNS1_3repE0EEENS1_52radix_sort_onesweep_histogram_config_static_selectorELNS0_4arch9wavefront6targetE1EEEvSC_
	.globl	_ZN7rocprim17ROCPRIM_400000_NS6detail17trampoline_kernelINS0_14default_configENS1_35radix_sort_onesweep_config_selectorItNS0_10empty_typeEEEZNS1_34radix_sort_onesweep_global_offsetsIS3_Lb1EPtPS5_mNS0_19identity_decomposerEEE10hipError_tT1_T2_PT3_SE_jT4_jjP12ihipStream_tbEUlT_E_NS1_11comp_targetILNS1_3genE2ELNS1_11target_archE906ELNS1_3gpuE6ELNS1_3repE0EEENS1_52radix_sort_onesweep_histogram_config_static_selectorELNS0_4arch9wavefront6targetE1EEEvSC_
	.p2align	8
	.type	_ZN7rocprim17ROCPRIM_400000_NS6detail17trampoline_kernelINS0_14default_configENS1_35radix_sort_onesweep_config_selectorItNS0_10empty_typeEEEZNS1_34radix_sort_onesweep_global_offsetsIS3_Lb1EPtPS5_mNS0_19identity_decomposerEEE10hipError_tT1_T2_PT3_SE_jT4_jjP12ihipStream_tbEUlT_E_NS1_11comp_targetILNS1_3genE2ELNS1_11target_archE906ELNS1_3gpuE6ELNS1_3repE0EEENS1_52radix_sort_onesweep_histogram_config_static_selectorELNS0_4arch9wavefront6targetE1EEEvSC_,@function
_ZN7rocprim17ROCPRIM_400000_NS6detail17trampoline_kernelINS0_14default_configENS1_35radix_sort_onesweep_config_selectorItNS0_10empty_typeEEEZNS1_34radix_sort_onesweep_global_offsetsIS3_Lb1EPtPS5_mNS0_19identity_decomposerEEE10hipError_tT1_T2_PT3_SE_jT4_jjP12ihipStream_tbEUlT_E_NS1_11comp_targetILNS1_3genE2ELNS1_11target_archE906ELNS1_3gpuE6ELNS1_3repE0EEENS1_52radix_sort_onesweep_histogram_config_static_selectorELNS0_4arch9wavefront6targetE1EEEvSC_: ; @_ZN7rocprim17ROCPRIM_400000_NS6detail17trampoline_kernelINS0_14default_configENS1_35radix_sort_onesweep_config_selectorItNS0_10empty_typeEEEZNS1_34radix_sort_onesweep_global_offsetsIS3_Lb1EPtPS5_mNS0_19identity_decomposerEEE10hipError_tT1_T2_PT3_SE_jT4_jjP12ihipStream_tbEUlT_E_NS1_11comp_targetILNS1_3genE2ELNS1_11target_archE906ELNS1_3gpuE6ELNS1_3repE0EEENS1_52radix_sort_onesweep_histogram_config_static_selectorELNS0_4arch9wavefront6targetE1EEEvSC_
; %bb.0:
	.section	.rodata,"a",@progbits
	.p2align	6, 0x0
	.amdhsa_kernel _ZN7rocprim17ROCPRIM_400000_NS6detail17trampoline_kernelINS0_14default_configENS1_35radix_sort_onesweep_config_selectorItNS0_10empty_typeEEEZNS1_34radix_sort_onesweep_global_offsetsIS3_Lb1EPtPS5_mNS0_19identity_decomposerEEE10hipError_tT1_T2_PT3_SE_jT4_jjP12ihipStream_tbEUlT_E_NS1_11comp_targetILNS1_3genE2ELNS1_11target_archE906ELNS1_3gpuE6ELNS1_3repE0EEENS1_52radix_sort_onesweep_histogram_config_static_selectorELNS0_4arch9wavefront6targetE1EEEvSC_
		.amdhsa_group_segment_fixed_size 0
		.amdhsa_private_segment_fixed_size 0
		.amdhsa_kernarg_size 48
		.amdhsa_user_sgpr_count 6
		.amdhsa_user_sgpr_private_segment_buffer 1
		.amdhsa_user_sgpr_dispatch_ptr 0
		.amdhsa_user_sgpr_queue_ptr 0
		.amdhsa_user_sgpr_kernarg_segment_ptr 1
		.amdhsa_user_sgpr_dispatch_id 0
		.amdhsa_user_sgpr_flat_scratch_init 0
		.amdhsa_user_sgpr_kernarg_preload_length 0
		.amdhsa_user_sgpr_kernarg_preload_offset 0
		.amdhsa_user_sgpr_private_segment_size 0
		.amdhsa_uses_dynamic_stack 0
		.amdhsa_system_sgpr_private_segment_wavefront_offset 0
		.amdhsa_system_sgpr_workgroup_id_x 1
		.amdhsa_system_sgpr_workgroup_id_y 0
		.amdhsa_system_sgpr_workgroup_id_z 0
		.amdhsa_system_sgpr_workgroup_info 0
		.amdhsa_system_vgpr_workitem_id 0
		.amdhsa_next_free_vgpr 1
		.amdhsa_next_free_sgpr 0
		.amdhsa_accum_offset 4
		.amdhsa_reserve_vcc 0
		.amdhsa_reserve_flat_scratch 0
		.amdhsa_float_round_mode_32 0
		.amdhsa_float_round_mode_16_64 0
		.amdhsa_float_denorm_mode_32 3
		.amdhsa_float_denorm_mode_16_64 3
		.amdhsa_dx10_clamp 1
		.amdhsa_ieee_mode 1
		.amdhsa_fp16_overflow 0
		.amdhsa_tg_split 0
		.amdhsa_exception_fp_ieee_invalid_op 0
		.amdhsa_exception_fp_denorm_src 0
		.amdhsa_exception_fp_ieee_div_zero 0
		.amdhsa_exception_fp_ieee_overflow 0
		.amdhsa_exception_fp_ieee_underflow 0
		.amdhsa_exception_fp_ieee_inexact 0
		.amdhsa_exception_int_div_zero 0
	.end_amdhsa_kernel
	.section	.text._ZN7rocprim17ROCPRIM_400000_NS6detail17trampoline_kernelINS0_14default_configENS1_35radix_sort_onesweep_config_selectorItNS0_10empty_typeEEEZNS1_34radix_sort_onesweep_global_offsetsIS3_Lb1EPtPS5_mNS0_19identity_decomposerEEE10hipError_tT1_T2_PT3_SE_jT4_jjP12ihipStream_tbEUlT_E_NS1_11comp_targetILNS1_3genE2ELNS1_11target_archE906ELNS1_3gpuE6ELNS1_3repE0EEENS1_52radix_sort_onesweep_histogram_config_static_selectorELNS0_4arch9wavefront6targetE1EEEvSC_,"axG",@progbits,_ZN7rocprim17ROCPRIM_400000_NS6detail17trampoline_kernelINS0_14default_configENS1_35radix_sort_onesweep_config_selectorItNS0_10empty_typeEEEZNS1_34radix_sort_onesweep_global_offsetsIS3_Lb1EPtPS5_mNS0_19identity_decomposerEEE10hipError_tT1_T2_PT3_SE_jT4_jjP12ihipStream_tbEUlT_E_NS1_11comp_targetILNS1_3genE2ELNS1_11target_archE906ELNS1_3gpuE6ELNS1_3repE0EEENS1_52radix_sort_onesweep_histogram_config_static_selectorELNS0_4arch9wavefront6targetE1EEEvSC_,comdat
.Lfunc_end1904:
	.size	_ZN7rocprim17ROCPRIM_400000_NS6detail17trampoline_kernelINS0_14default_configENS1_35radix_sort_onesweep_config_selectorItNS0_10empty_typeEEEZNS1_34radix_sort_onesweep_global_offsetsIS3_Lb1EPtPS5_mNS0_19identity_decomposerEEE10hipError_tT1_T2_PT3_SE_jT4_jjP12ihipStream_tbEUlT_E_NS1_11comp_targetILNS1_3genE2ELNS1_11target_archE906ELNS1_3gpuE6ELNS1_3repE0EEENS1_52radix_sort_onesweep_histogram_config_static_selectorELNS0_4arch9wavefront6targetE1EEEvSC_, .Lfunc_end1904-_ZN7rocprim17ROCPRIM_400000_NS6detail17trampoline_kernelINS0_14default_configENS1_35radix_sort_onesweep_config_selectorItNS0_10empty_typeEEEZNS1_34radix_sort_onesweep_global_offsetsIS3_Lb1EPtPS5_mNS0_19identity_decomposerEEE10hipError_tT1_T2_PT3_SE_jT4_jjP12ihipStream_tbEUlT_E_NS1_11comp_targetILNS1_3genE2ELNS1_11target_archE906ELNS1_3gpuE6ELNS1_3repE0EEENS1_52radix_sort_onesweep_histogram_config_static_selectorELNS0_4arch9wavefront6targetE1EEEvSC_
                                        ; -- End function
	.section	.AMDGPU.csdata,"",@progbits
; Kernel info:
; codeLenInByte = 0
; NumSgprs: 4
; NumVgprs: 0
; NumAgprs: 0
; TotalNumVgprs: 0
; ScratchSize: 0
; MemoryBound: 0
; FloatMode: 240
; IeeeMode: 1
; LDSByteSize: 0 bytes/workgroup (compile time only)
; SGPRBlocks: 0
; VGPRBlocks: 0
; NumSGPRsForWavesPerEU: 4
; NumVGPRsForWavesPerEU: 1
; AccumOffset: 4
; Occupancy: 8
; WaveLimiterHint : 0
; COMPUTE_PGM_RSRC2:SCRATCH_EN: 0
; COMPUTE_PGM_RSRC2:USER_SGPR: 6
; COMPUTE_PGM_RSRC2:TRAP_HANDLER: 0
; COMPUTE_PGM_RSRC2:TGID_X_EN: 1
; COMPUTE_PGM_RSRC2:TGID_Y_EN: 0
; COMPUTE_PGM_RSRC2:TGID_Z_EN: 0
; COMPUTE_PGM_RSRC2:TIDIG_COMP_CNT: 0
; COMPUTE_PGM_RSRC3_GFX90A:ACCUM_OFFSET: 0
; COMPUTE_PGM_RSRC3_GFX90A:TG_SPLIT: 0
	.section	.text._ZN7rocprim17ROCPRIM_400000_NS6detail17trampoline_kernelINS0_14default_configENS1_35radix_sort_onesweep_config_selectorItNS0_10empty_typeEEEZNS1_34radix_sort_onesweep_global_offsetsIS3_Lb1EPtPS5_mNS0_19identity_decomposerEEE10hipError_tT1_T2_PT3_SE_jT4_jjP12ihipStream_tbEUlT_E_NS1_11comp_targetILNS1_3genE4ELNS1_11target_archE910ELNS1_3gpuE8ELNS1_3repE0EEENS1_52radix_sort_onesweep_histogram_config_static_selectorELNS0_4arch9wavefront6targetE1EEEvSC_,"axG",@progbits,_ZN7rocprim17ROCPRIM_400000_NS6detail17trampoline_kernelINS0_14default_configENS1_35radix_sort_onesweep_config_selectorItNS0_10empty_typeEEEZNS1_34radix_sort_onesweep_global_offsetsIS3_Lb1EPtPS5_mNS0_19identity_decomposerEEE10hipError_tT1_T2_PT3_SE_jT4_jjP12ihipStream_tbEUlT_E_NS1_11comp_targetILNS1_3genE4ELNS1_11target_archE910ELNS1_3gpuE8ELNS1_3repE0EEENS1_52radix_sort_onesweep_histogram_config_static_selectorELNS0_4arch9wavefront6targetE1EEEvSC_,comdat
	.protected	_ZN7rocprim17ROCPRIM_400000_NS6detail17trampoline_kernelINS0_14default_configENS1_35radix_sort_onesweep_config_selectorItNS0_10empty_typeEEEZNS1_34radix_sort_onesweep_global_offsetsIS3_Lb1EPtPS5_mNS0_19identity_decomposerEEE10hipError_tT1_T2_PT3_SE_jT4_jjP12ihipStream_tbEUlT_E_NS1_11comp_targetILNS1_3genE4ELNS1_11target_archE910ELNS1_3gpuE8ELNS1_3repE0EEENS1_52radix_sort_onesweep_histogram_config_static_selectorELNS0_4arch9wavefront6targetE1EEEvSC_ ; -- Begin function _ZN7rocprim17ROCPRIM_400000_NS6detail17trampoline_kernelINS0_14default_configENS1_35radix_sort_onesweep_config_selectorItNS0_10empty_typeEEEZNS1_34radix_sort_onesweep_global_offsetsIS3_Lb1EPtPS5_mNS0_19identity_decomposerEEE10hipError_tT1_T2_PT3_SE_jT4_jjP12ihipStream_tbEUlT_E_NS1_11comp_targetILNS1_3genE4ELNS1_11target_archE910ELNS1_3gpuE8ELNS1_3repE0EEENS1_52radix_sort_onesweep_histogram_config_static_selectorELNS0_4arch9wavefront6targetE1EEEvSC_
	.globl	_ZN7rocprim17ROCPRIM_400000_NS6detail17trampoline_kernelINS0_14default_configENS1_35radix_sort_onesweep_config_selectorItNS0_10empty_typeEEEZNS1_34radix_sort_onesweep_global_offsetsIS3_Lb1EPtPS5_mNS0_19identity_decomposerEEE10hipError_tT1_T2_PT3_SE_jT4_jjP12ihipStream_tbEUlT_E_NS1_11comp_targetILNS1_3genE4ELNS1_11target_archE910ELNS1_3gpuE8ELNS1_3repE0EEENS1_52radix_sort_onesweep_histogram_config_static_selectorELNS0_4arch9wavefront6targetE1EEEvSC_
	.p2align	8
	.type	_ZN7rocprim17ROCPRIM_400000_NS6detail17trampoline_kernelINS0_14default_configENS1_35radix_sort_onesweep_config_selectorItNS0_10empty_typeEEEZNS1_34radix_sort_onesweep_global_offsetsIS3_Lb1EPtPS5_mNS0_19identity_decomposerEEE10hipError_tT1_T2_PT3_SE_jT4_jjP12ihipStream_tbEUlT_E_NS1_11comp_targetILNS1_3genE4ELNS1_11target_archE910ELNS1_3gpuE8ELNS1_3repE0EEENS1_52radix_sort_onesweep_histogram_config_static_selectorELNS0_4arch9wavefront6targetE1EEEvSC_,@function
_ZN7rocprim17ROCPRIM_400000_NS6detail17trampoline_kernelINS0_14default_configENS1_35radix_sort_onesweep_config_selectorItNS0_10empty_typeEEEZNS1_34radix_sort_onesweep_global_offsetsIS3_Lb1EPtPS5_mNS0_19identity_decomposerEEE10hipError_tT1_T2_PT3_SE_jT4_jjP12ihipStream_tbEUlT_E_NS1_11comp_targetILNS1_3genE4ELNS1_11target_archE910ELNS1_3gpuE8ELNS1_3repE0EEENS1_52radix_sort_onesweep_histogram_config_static_selectorELNS0_4arch9wavefront6targetE1EEEvSC_: ; @_ZN7rocprim17ROCPRIM_400000_NS6detail17trampoline_kernelINS0_14default_configENS1_35radix_sort_onesweep_config_selectorItNS0_10empty_typeEEEZNS1_34radix_sort_onesweep_global_offsetsIS3_Lb1EPtPS5_mNS0_19identity_decomposerEEE10hipError_tT1_T2_PT3_SE_jT4_jjP12ihipStream_tbEUlT_E_NS1_11comp_targetILNS1_3genE4ELNS1_11target_archE910ELNS1_3gpuE8ELNS1_3repE0EEENS1_52radix_sort_onesweep_histogram_config_static_selectorELNS0_4arch9wavefront6targetE1EEEvSC_
; %bb.0:
	s_load_dwordx2 s[10:11], s[4:5], 0x18
	s_load_dwordx4 s[0:3], s[4:5], 0x0
	s_load_dwordx2 s[8:9], s[4:5], 0x24
	v_mov_b32_e32 v2, s6
	v_mov_b32_e32 v3, 0
	s_mul_hi_u32 s7, s6, 0x6000
	s_mulk_i32 s6, 0x6000
	s_waitcnt lgkmcnt(0)
	v_cmp_le_u64_e32 vcc, s[10:11], v[2:3]
	s_add_u32 s6, s0, s6
	s_addc_u32 s7, s1, s7
	s_mov_b64 s[0:1], -1
	s_cbranch_vccz .LBB1905_115
; %bb.1:
	s_load_dword s14, s[4:5], 0x10
	s_mul_i32 s0, s10, 0xffffd000
                                        ; implicit-def: $vgpr2_vgpr3_vgpr4_vgpr5_vgpr6_vgpr7_vgpr8_vgpr9
	s_waitcnt lgkmcnt(0)
	s_add_i32 s14, s14, s0
	v_cmp_gt_u32_e32 vcc, s14, v0
	s_and_saveexec_b64 s[0:1], vcc
	s_cbranch_execz .LBB1905_3
; %bb.2:
	v_lshlrev_b32_e32 v1, 1, v0
	global_load_ushort v2, v1, s[6:7]
.LBB1905_3:
	s_or_b64 exec, exec, s[0:1]
	v_or_b32_e32 v18, 0x400, v0
	v_cmp_gt_u32_e32 vcc, s14, v18
	s_and_saveexec_b64 s[0:1], vcc
	s_cbranch_execz .LBB1905_5
; %bb.4:
	v_lshlrev_b32_e32 v1, 1, v0
	global_load_ushort v1, v1, s[6:7] offset:2048
	s_mov_b32 s4, 0x5040100
	s_waitcnt vmcnt(0)
	v_perm_b32 v2, v1, v2, s4
.LBB1905_5:
	s_or_b64 exec, exec, s[0:1]
	v_or_b32_e32 v17, 0x800, v0
	v_cmp_gt_u32_e32 vcc, s14, v17
	s_and_saveexec_b64 s[0:1], vcc
	s_cbranch_execz .LBB1905_7
; %bb.6:
	v_lshlrev_b32_e32 v1, 1, v17
	global_load_ushort v1, v1, s[6:7]
	s_mov_b32 s4, 0xffff
	s_waitcnt vmcnt(0)
	v_bfi_b32 v3, s4, v1, v3
.LBB1905_7:
	s_or_b64 exec, exec, s[0:1]
	v_or_b32_e32 v16, 0xc00, v0
	v_cmp_gt_u32_e32 vcc, s14, v16
	s_and_saveexec_b64 s[0:1], vcc
	s_cbranch_execz .LBB1905_9
; %bb.8:
	v_lshlrev_b32_e32 v1, 1, v16
	global_load_ushort v1, v1, s[6:7]
	s_mov_b32 s4, 0x5040100
	s_waitcnt vmcnt(0)
	v_perm_b32 v3, v1, v3, s4
.LBB1905_9:
	s_or_b64 exec, exec, s[0:1]
	v_or_b32_e32 v15, 0x1000, v0
	v_cmp_gt_u32_e32 vcc, s14, v15
	s_and_saveexec_b64 s[0:1], vcc
	s_cbranch_execz .LBB1905_11
; %bb.10:
	v_lshlrev_b32_e32 v1, 1, v15
	global_load_ushort v1, v1, s[6:7]
	s_mov_b32 s4, 0xffff
	s_waitcnt vmcnt(0)
	v_bfi_b32 v4, s4, v1, v4
.LBB1905_11:
	s_or_b64 exec, exec, s[0:1]
	v_or_b32_e32 v14, 0x1400, v0
	v_cmp_gt_u32_e32 vcc, s14, v14
	s_and_saveexec_b64 s[0:1], vcc
	s_cbranch_execz .LBB1905_13
; %bb.12:
	v_lshlrev_b32_e32 v1, 1, v14
	global_load_ushort v1, v1, s[6:7]
	s_mov_b32 s4, 0x5040100
	s_waitcnt vmcnt(0)
	v_perm_b32 v4, v1, v4, s4
.LBB1905_13:
	;; [unrolled: 24-line block ×5, first 2 shown]
	s_or_b64 exec, exec, s[0:1]
	s_cmp_le_u32 s9, s8
	s_cselect_b64 s[4:5], -1, 0
	v_cmp_le_u32_e32 vcc, s14, v0
	s_and_b64 s[0:1], s[4:5], exec
	v_lshlrev_b32_e32 v19, 2, v0
	v_mov_b32_e32 v20, 0
	s_cselect_b32 s15, 8, 10
	s_or_b64 s[0:1], s[4:5], vcc
	v_and_b32_e32 v1, 3, v0
	ds_write2st64_b32 v19, v20, v20 offset1:16
	s_waitcnt vmcnt(0)
	v_xor_b32_e32 v19, -1, v2
	s_xor_b64 s[10:11], s[0:1], -1
	v_mov_b32_e32 v20, s15
	s_waitcnt lgkmcnt(0)
	s_barrier
	s_and_saveexec_b64 s[0:1], s[10:11]
	s_cbranch_execz .LBB1905_27
; %bb.26:
	s_sub_i32 s10, s9, s8
	s_min_u32 s10, s10, 8
	v_lshrrev_b32_sdwa v20, s8, v19 dst_sel:DWORD dst_unused:UNUSED_PAD src0_sel:DWORD src1_sel:WORD_0
	v_bfe_u32 v20, v20, 0, s10
	v_lshlrev_b32_e32 v21, 2, v1
	v_lshl_or_b32 v20, v20, 4, v21
	v_mov_b32_e32 v21, 1
	ds_add_u32 v20, v21
	v_mov_b32_e32 v20, 0
.LBB1905_27:
	s_or_b64 exec, exec, s[0:1]
	v_cmp_gt_i32_e64 s[0:1], 10, v20
	s_mov_b64 s[10:11], -1
	s_and_saveexec_b64 s[12:13], s[0:1]
; %bb.28:
	v_cmp_eq_u32_e64 s[0:1], 0, v20
	s_orn2_b64 s[10:11], s[0:1], exec
; %bb.29:
	s_or_b64 exec, exec, s[12:13]
	s_and_saveexec_b64 s[0:1], s[10:11]
	s_cbranch_execz .LBB1905_32
; %bb.30:
	s_add_i32 s10, s8, 8
	s_cmp_gt_u32 s9, s10
	s_cselect_b64 s[12:13], -1, 0
	s_xor_b64 s[16:17], vcc, -1
	s_and_b64 s[12:13], s[12:13], s[16:17]
	s_and_b64 exec, exec, s[12:13]
	s_cbranch_execz .LBB1905_32
; %bb.31:
	s_sub_i32 s11, s9, s10
	s_min_u32 s11, s11, 8
	v_lshrrev_b32_sdwa v19, s10, v19 dst_sel:DWORD dst_unused:UNUSED_PAD src0_sel:DWORD src1_sel:WORD_0
	v_bfe_u32 v19, v19, 0, s11
	v_lshlrev_b32_e32 v20, 2, v1
	v_lshl_or_b32 v19, v19, 4, v20
	v_mov_b32_e32 v20, 1
	ds_add_u32 v19, v20 offset:4096
.LBB1905_32:
	s_or_b64 exec, exec, s[0:1]
	v_cmp_le_u32_e32 vcc, s14, v18
	v_mov_b32_e32 v19, -1
	s_or_b64 s[0:1], s[4:5], vcc
	v_xor_b32_sdwa v2, v2, v19 dst_sel:DWORD dst_unused:UNUSED_PAD src0_sel:WORD_1 src1_sel:DWORD
	s_xor_b64 s[10:11], s[0:1], -1
	v_mov_b32_e32 v18, s15
	s_and_saveexec_b64 s[0:1], s[10:11]
	s_cbranch_execz .LBB1905_34
; %bb.33:
	s_sub_i32 s10, s9, s8
	s_min_u32 s10, s10, 8
	v_lshrrev_b32_sdwa v18, s8, v2 dst_sel:DWORD dst_unused:UNUSED_PAD src0_sel:DWORD src1_sel:WORD_0
	v_bfe_u32 v18, v18, 0, s10
	v_lshlrev_b32_e32 v19, 2, v1
	v_lshl_or_b32 v18, v18, 4, v19
	v_mov_b32_e32 v19, 1
	ds_add_u32 v18, v19
	v_mov_b32_e32 v18, 0
.LBB1905_34:
	s_or_b64 exec, exec, s[0:1]
	v_cmp_gt_i32_e64 s[0:1], 10, v18
	s_mov_b64 s[10:11], -1
	s_and_saveexec_b64 s[12:13], s[0:1]
; %bb.35:
	v_cmp_eq_u32_e64 s[0:1], 0, v18
	s_orn2_b64 s[10:11], s[0:1], exec
; %bb.36:
	s_or_b64 exec, exec, s[12:13]
	s_and_saveexec_b64 s[0:1], s[10:11]
	s_cbranch_execz .LBB1905_39
; %bb.37:
	s_add_i32 s10, s8, 8
	s_cmp_gt_u32 s9, s10
	s_cselect_b64 s[12:13], -1, 0
	s_xor_b64 s[16:17], vcc, -1
	s_and_b64 s[12:13], s[12:13], s[16:17]
	s_and_b64 exec, exec, s[12:13]
	s_cbranch_execz .LBB1905_39
; %bb.38:
	s_sub_i32 s11, s9, s10
	s_min_u32 s11, s11, 8
	v_lshrrev_b32_sdwa v2, s10, v2 dst_sel:DWORD dst_unused:UNUSED_PAD src0_sel:DWORD src1_sel:WORD_0
	v_bfe_u32 v2, v2, 0, s11
	v_lshlrev_b32_e32 v18, 2, v1
	v_lshl_or_b32 v2, v2, 4, v18
	v_mov_b32_e32 v18, 1
	ds_add_u32 v2, v18 offset:4096
.LBB1905_39:
	s_or_b64 exec, exec, s[0:1]
	v_cmp_le_u32_e32 vcc, s14, v17
	s_or_b64 s[0:1], s[4:5], vcc
	v_xor_b32_e32 v2, -1, v3
	s_xor_b64 s[10:11], s[0:1], -1
	v_mov_b32_e32 v17, s15
	s_and_saveexec_b64 s[0:1], s[10:11]
	s_cbranch_execz .LBB1905_41
; %bb.40:
	s_sub_i32 s10, s9, s8
	s_min_u32 s10, s10, 8
	v_lshrrev_b32_sdwa v17, s8, v2 dst_sel:DWORD dst_unused:UNUSED_PAD src0_sel:DWORD src1_sel:WORD_0
	v_bfe_u32 v17, v17, 0, s10
	v_lshlrev_b32_e32 v18, 2, v1
	v_lshl_or_b32 v17, v17, 4, v18
	v_mov_b32_e32 v18, 1
	ds_add_u32 v17, v18
	v_mov_b32_e32 v17, 0
.LBB1905_41:
	s_or_b64 exec, exec, s[0:1]
	v_cmp_gt_i32_e64 s[0:1], 10, v17
	s_mov_b64 s[10:11], -1
	s_and_saveexec_b64 s[12:13], s[0:1]
; %bb.42:
	v_cmp_eq_u32_e64 s[0:1], 0, v17
	s_orn2_b64 s[10:11], s[0:1], exec
; %bb.43:
	s_or_b64 exec, exec, s[12:13]
	s_and_saveexec_b64 s[0:1], s[10:11]
	s_cbranch_execz .LBB1905_46
; %bb.44:
	s_add_i32 s10, s8, 8
	s_cmp_gt_u32 s9, s10
	s_cselect_b64 s[12:13], -1, 0
	s_xor_b64 s[16:17], vcc, -1
	s_and_b64 s[12:13], s[12:13], s[16:17]
	s_and_b64 exec, exec, s[12:13]
	s_cbranch_execz .LBB1905_46
; %bb.45:
	s_sub_i32 s11, s9, s10
	s_min_u32 s11, s11, 8
	v_lshrrev_b32_sdwa v2, s10, v2 dst_sel:DWORD dst_unused:UNUSED_PAD src0_sel:DWORD src1_sel:WORD_0
	v_bfe_u32 v2, v2, 0, s11
	v_lshlrev_b32_e32 v17, 2, v1
	v_lshl_or_b32 v2, v2, 4, v17
	v_mov_b32_e32 v17, 1
	ds_add_u32 v2, v17 offset:4096
.LBB1905_46:
	s_or_b64 exec, exec, s[0:1]
	v_cmp_le_u32_e32 vcc, s14, v16
	v_mov_b32_e32 v2, -1
	s_or_b64 s[0:1], s[4:5], vcc
	v_xor_b32_sdwa v2, v3, v2 dst_sel:DWORD dst_unused:UNUSED_PAD src0_sel:WORD_1 src1_sel:DWORD
	s_xor_b64 s[10:11], s[0:1], -1
	v_mov_b32_e32 v3, s15
	s_and_saveexec_b64 s[0:1], s[10:11]
	s_cbranch_execz .LBB1905_48
; %bb.47:
	s_sub_i32 s10, s9, s8
	s_min_u32 s10, s10, 8
	v_lshrrev_b32_sdwa v3, s8, v2 dst_sel:DWORD dst_unused:UNUSED_PAD src0_sel:DWORD src1_sel:WORD_0
	v_bfe_u32 v3, v3, 0, s10
	v_lshlrev_b32_e32 v16, 2, v1
	v_lshl_or_b32 v3, v3, 4, v16
	v_mov_b32_e32 v16, 1
	ds_add_u32 v3, v16
	v_mov_b32_e32 v3, 0
.LBB1905_48:
	s_or_b64 exec, exec, s[0:1]
	v_cmp_gt_i32_e64 s[0:1], 10, v3
	s_mov_b64 s[10:11], -1
	s_and_saveexec_b64 s[12:13], s[0:1]
; %bb.49:
	v_cmp_eq_u32_e64 s[0:1], 0, v3
	s_orn2_b64 s[10:11], s[0:1], exec
; %bb.50:
	s_or_b64 exec, exec, s[12:13]
	s_and_saveexec_b64 s[0:1], s[10:11]
	s_cbranch_execz .LBB1905_53
; %bb.51:
	s_add_i32 s10, s8, 8
	s_cmp_gt_u32 s9, s10
	s_cselect_b64 s[12:13], -1, 0
	s_xor_b64 s[16:17], vcc, -1
	s_and_b64 s[12:13], s[12:13], s[16:17]
	s_and_b64 exec, exec, s[12:13]
	s_cbranch_execz .LBB1905_53
; %bb.52:
	s_sub_i32 s11, s9, s10
	s_min_u32 s11, s11, 8
	v_lshrrev_b32_sdwa v2, s10, v2 dst_sel:DWORD dst_unused:UNUSED_PAD src0_sel:DWORD src1_sel:WORD_0
	v_bfe_u32 v2, v2, 0, s11
	v_lshlrev_b32_e32 v3, 2, v1
	v_lshl_or_b32 v2, v2, 4, v3
	v_mov_b32_e32 v3, 1
	ds_add_u32 v2, v3 offset:4096
.LBB1905_53:
	s_or_b64 exec, exec, s[0:1]
	v_cmp_le_u32_e32 vcc, s14, v15
	s_or_b64 s[0:1], s[4:5], vcc
	v_xor_b32_e32 v2, -1, v4
	s_xor_b64 s[10:11], s[0:1], -1
	v_mov_b32_e32 v3, s15
	s_and_saveexec_b64 s[0:1], s[10:11]
	s_cbranch_execz .LBB1905_55
; %bb.54:
	s_sub_i32 s10, s9, s8
	s_min_u32 s10, s10, 8
	v_lshrrev_b32_sdwa v3, s8, v2 dst_sel:DWORD dst_unused:UNUSED_PAD src0_sel:DWORD src1_sel:WORD_0
	v_bfe_u32 v3, v3, 0, s10
	v_lshlrev_b32_e32 v15, 2, v1
	v_lshl_or_b32 v3, v3, 4, v15
	v_mov_b32_e32 v15, 1
	ds_add_u32 v3, v15
	v_mov_b32_e32 v3, 0
.LBB1905_55:
	s_or_b64 exec, exec, s[0:1]
	v_cmp_gt_i32_e64 s[0:1], 10, v3
	s_mov_b64 s[10:11], -1
	s_and_saveexec_b64 s[12:13], s[0:1]
; %bb.56:
	v_cmp_eq_u32_e64 s[0:1], 0, v3
	s_orn2_b64 s[10:11], s[0:1], exec
; %bb.57:
	s_or_b64 exec, exec, s[12:13]
	s_and_saveexec_b64 s[0:1], s[10:11]
	s_cbranch_execz .LBB1905_60
; %bb.58:
	s_add_i32 s10, s8, 8
	s_cmp_gt_u32 s9, s10
	s_cselect_b64 s[12:13], -1, 0
	s_xor_b64 s[16:17], vcc, -1
	s_and_b64 s[12:13], s[12:13], s[16:17]
	s_and_b64 exec, exec, s[12:13]
	s_cbranch_execz .LBB1905_60
; %bb.59:
	s_sub_i32 s11, s9, s10
	s_min_u32 s11, s11, 8
	v_lshrrev_b32_sdwa v2, s10, v2 dst_sel:DWORD dst_unused:UNUSED_PAD src0_sel:DWORD src1_sel:WORD_0
	v_bfe_u32 v2, v2, 0, s11
	v_lshlrev_b32_e32 v3, 2, v1
	v_lshl_or_b32 v2, v2, 4, v3
	v_mov_b32_e32 v3, 1
	ds_add_u32 v2, v3 offset:4096
.LBB1905_60:
	s_or_b64 exec, exec, s[0:1]
	v_cmp_le_u32_e32 vcc, s14, v14
	v_mov_b32_e32 v2, -1
	s_or_b64 s[0:1], s[4:5], vcc
	v_xor_b32_sdwa v2, v4, v2 dst_sel:DWORD dst_unused:UNUSED_PAD src0_sel:WORD_1 src1_sel:DWORD
	s_xor_b64 s[10:11], s[0:1], -1
	v_mov_b32_e32 v3, s15
	s_and_saveexec_b64 s[0:1], s[10:11]
	s_cbranch_execz .LBB1905_62
; %bb.61:
	s_sub_i32 s10, s9, s8
	s_min_u32 s10, s10, 8
	v_lshrrev_b32_sdwa v3, s8, v2 dst_sel:DWORD dst_unused:UNUSED_PAD src0_sel:DWORD src1_sel:WORD_0
	v_bfe_u32 v3, v3, 0, s10
	v_lshlrev_b32_e32 v4, 2, v1
	v_lshl_or_b32 v3, v3, 4, v4
	v_mov_b32_e32 v4, 1
	ds_add_u32 v3, v4
	v_mov_b32_e32 v3, 0
.LBB1905_62:
	s_or_b64 exec, exec, s[0:1]
	v_cmp_gt_i32_e64 s[0:1], 10, v3
	s_mov_b64 s[10:11], -1
	s_and_saveexec_b64 s[12:13], s[0:1]
; %bb.63:
	v_cmp_eq_u32_e64 s[0:1], 0, v3
	s_orn2_b64 s[10:11], s[0:1], exec
; %bb.64:
	s_or_b64 exec, exec, s[12:13]
	s_and_saveexec_b64 s[0:1], s[10:11]
	s_cbranch_execz .LBB1905_67
; %bb.65:
	s_add_i32 s10, s8, 8
	s_cmp_gt_u32 s9, s10
	s_cselect_b64 s[12:13], -1, 0
	s_xor_b64 s[16:17], vcc, -1
	s_and_b64 s[12:13], s[12:13], s[16:17]
	s_and_b64 exec, exec, s[12:13]
	s_cbranch_execz .LBB1905_67
; %bb.66:
	s_sub_i32 s11, s9, s10
	s_min_u32 s11, s11, 8
	v_lshrrev_b32_sdwa v2, s10, v2 dst_sel:DWORD dst_unused:UNUSED_PAD src0_sel:DWORD src1_sel:WORD_0
	v_bfe_u32 v2, v2, 0, s11
	v_lshlrev_b32_e32 v3, 2, v1
	v_lshl_or_b32 v2, v2, 4, v3
	v_mov_b32_e32 v3, 1
	ds_add_u32 v2, v3 offset:4096
.LBB1905_67:
	s_or_b64 exec, exec, s[0:1]
	v_cmp_le_u32_e32 vcc, s14, v13
	s_or_b64 s[0:1], s[4:5], vcc
	v_xor_b32_e32 v2, -1, v5
	s_xor_b64 s[10:11], s[0:1], -1
	v_mov_b32_e32 v3, s15
	s_and_saveexec_b64 s[0:1], s[10:11]
	s_cbranch_execz .LBB1905_69
; %bb.68:
	s_sub_i32 s10, s9, s8
	s_min_u32 s10, s10, 8
	v_lshrrev_b32_sdwa v3, s8, v2 dst_sel:DWORD dst_unused:UNUSED_PAD src0_sel:DWORD src1_sel:WORD_0
	v_bfe_u32 v3, v3, 0, s10
	v_lshlrev_b32_e32 v4, 2, v1
	v_lshl_or_b32 v3, v3, 4, v4
	v_mov_b32_e32 v4, 1
	ds_add_u32 v3, v4
	v_mov_b32_e32 v3, 0
.LBB1905_69:
	s_or_b64 exec, exec, s[0:1]
	v_cmp_gt_i32_e64 s[0:1], 10, v3
	s_mov_b64 s[10:11], -1
	s_and_saveexec_b64 s[12:13], s[0:1]
; %bb.70:
	v_cmp_eq_u32_e64 s[0:1], 0, v3
	s_orn2_b64 s[10:11], s[0:1], exec
; %bb.71:
	s_or_b64 exec, exec, s[12:13]
	s_and_saveexec_b64 s[0:1], s[10:11]
	s_cbranch_execz .LBB1905_74
; %bb.72:
	s_add_i32 s10, s8, 8
	s_cmp_gt_u32 s9, s10
	s_cselect_b64 s[12:13], -1, 0
	s_xor_b64 s[16:17], vcc, -1
	s_and_b64 s[12:13], s[12:13], s[16:17]
	s_and_b64 exec, exec, s[12:13]
	s_cbranch_execz .LBB1905_74
; %bb.73:
	s_sub_i32 s11, s9, s10
	s_min_u32 s11, s11, 8
	v_lshrrev_b32_sdwa v2, s10, v2 dst_sel:DWORD dst_unused:UNUSED_PAD src0_sel:DWORD src1_sel:WORD_0
	v_bfe_u32 v2, v2, 0, s11
	v_lshlrev_b32_e32 v3, 2, v1
	v_lshl_or_b32 v2, v2, 4, v3
	v_mov_b32_e32 v3, 1
	ds_add_u32 v2, v3 offset:4096
.LBB1905_74:
	s_or_b64 exec, exec, s[0:1]
	v_cmp_le_u32_e32 vcc, s14, v12
	v_mov_b32_e32 v2, -1
	s_or_b64 s[0:1], s[4:5], vcc
	v_xor_b32_sdwa v2, v5, v2 dst_sel:DWORD dst_unused:UNUSED_PAD src0_sel:WORD_1 src1_sel:DWORD
	s_xor_b64 s[10:11], s[0:1], -1
	v_mov_b32_e32 v3, s15
	s_and_saveexec_b64 s[0:1], s[10:11]
	s_cbranch_execz .LBB1905_76
; %bb.75:
	s_sub_i32 s10, s9, s8
	s_min_u32 s10, s10, 8
	v_lshrrev_b32_sdwa v3, s8, v2 dst_sel:DWORD dst_unused:UNUSED_PAD src0_sel:DWORD src1_sel:WORD_0
	v_bfe_u32 v3, v3, 0, s10
	v_lshlrev_b32_e32 v4, 2, v1
	v_lshl_or_b32 v3, v3, 4, v4
	v_mov_b32_e32 v4, 1
	ds_add_u32 v3, v4
	v_mov_b32_e32 v3, 0
.LBB1905_76:
	s_or_b64 exec, exec, s[0:1]
	v_cmp_gt_i32_e64 s[0:1], 10, v3
	s_mov_b64 s[10:11], -1
	s_and_saveexec_b64 s[12:13], s[0:1]
; %bb.77:
	v_cmp_eq_u32_e64 s[0:1], 0, v3
	s_orn2_b64 s[10:11], s[0:1], exec
; %bb.78:
	s_or_b64 exec, exec, s[12:13]
	s_and_saveexec_b64 s[0:1], s[10:11]
	s_cbranch_execz .LBB1905_81
; %bb.79:
	s_add_i32 s10, s8, 8
	s_cmp_gt_u32 s9, s10
	s_cselect_b64 s[12:13], -1, 0
	s_xor_b64 s[16:17], vcc, -1
	s_and_b64 s[12:13], s[12:13], s[16:17]
	s_and_b64 exec, exec, s[12:13]
	s_cbranch_execz .LBB1905_81
; %bb.80:
	s_sub_i32 s11, s9, s10
	s_min_u32 s11, s11, 8
	v_lshrrev_b32_sdwa v2, s10, v2 dst_sel:DWORD dst_unused:UNUSED_PAD src0_sel:DWORD src1_sel:WORD_0
	v_bfe_u32 v2, v2, 0, s11
	v_lshlrev_b32_e32 v3, 2, v1
	v_lshl_or_b32 v2, v2, 4, v3
	v_mov_b32_e32 v3, 1
	ds_add_u32 v2, v3 offset:4096
.LBB1905_81:
	s_or_b64 exec, exec, s[0:1]
	v_cmp_le_u32_e32 vcc, s14, v11
	s_or_b64 s[0:1], s[4:5], vcc
	v_xor_b32_e32 v2, -1, v6
	s_xor_b64 s[10:11], s[0:1], -1
	v_mov_b32_e32 v3, s15
	s_and_saveexec_b64 s[0:1], s[10:11]
	s_cbranch_execz .LBB1905_83
; %bb.82:
	s_sub_i32 s10, s9, s8
	s_min_u32 s10, s10, 8
	v_lshrrev_b32_sdwa v3, s8, v2 dst_sel:DWORD dst_unused:UNUSED_PAD src0_sel:DWORD src1_sel:WORD_0
	v_bfe_u32 v3, v3, 0, s10
	v_lshlrev_b32_e32 v4, 2, v1
	v_lshl_or_b32 v3, v3, 4, v4
	v_mov_b32_e32 v4, 1
	ds_add_u32 v3, v4
	v_mov_b32_e32 v3, 0
.LBB1905_83:
	s_or_b64 exec, exec, s[0:1]
	v_cmp_gt_i32_e64 s[0:1], 10, v3
	s_mov_b64 s[10:11], -1
	s_and_saveexec_b64 s[12:13], s[0:1]
; %bb.84:
	v_cmp_eq_u32_e64 s[0:1], 0, v3
	s_orn2_b64 s[10:11], s[0:1], exec
; %bb.85:
	s_or_b64 exec, exec, s[12:13]
	s_and_saveexec_b64 s[0:1], s[10:11]
	s_cbranch_execz .LBB1905_88
; %bb.86:
	s_add_i32 s10, s8, 8
	s_cmp_gt_u32 s9, s10
	s_cselect_b64 s[12:13], -1, 0
	s_xor_b64 s[16:17], vcc, -1
	s_and_b64 s[12:13], s[12:13], s[16:17]
	s_and_b64 exec, exec, s[12:13]
	s_cbranch_execz .LBB1905_88
; %bb.87:
	s_sub_i32 s11, s9, s10
	s_min_u32 s11, s11, 8
	v_lshrrev_b32_sdwa v2, s10, v2 dst_sel:DWORD dst_unused:UNUSED_PAD src0_sel:DWORD src1_sel:WORD_0
	v_bfe_u32 v2, v2, 0, s11
	v_lshlrev_b32_e32 v3, 2, v1
	v_lshl_or_b32 v2, v2, 4, v3
	v_mov_b32_e32 v3, 1
	ds_add_u32 v2, v3 offset:4096
.LBB1905_88:
	s_or_b64 exec, exec, s[0:1]
	v_cmp_le_u32_e32 vcc, s14, v10
	v_mov_b32_e32 v2, -1
	s_or_b64 s[0:1], s[4:5], vcc
	v_xor_b32_sdwa v2, v6, v2 dst_sel:DWORD dst_unused:UNUSED_PAD src0_sel:WORD_1 src1_sel:DWORD
	s_xor_b64 s[10:11], s[0:1], -1
	v_mov_b32_e32 v3, s15
	s_and_saveexec_b64 s[0:1], s[10:11]
	s_cbranch_execz .LBB1905_90
; %bb.89:
	s_sub_i32 s10, s9, s8
	s_min_u32 s10, s10, 8
	v_lshrrev_b32_sdwa v3, s8, v2 dst_sel:DWORD dst_unused:UNUSED_PAD src0_sel:DWORD src1_sel:WORD_0
	v_bfe_u32 v3, v3, 0, s10
	v_lshlrev_b32_e32 v4, 2, v1
	v_lshl_or_b32 v3, v3, 4, v4
	v_mov_b32_e32 v4, 1
	ds_add_u32 v3, v4
	v_mov_b32_e32 v3, 0
.LBB1905_90:
	s_or_b64 exec, exec, s[0:1]
	v_cmp_gt_i32_e64 s[0:1], 10, v3
	s_mov_b64 s[10:11], -1
	s_and_saveexec_b64 s[12:13], s[0:1]
; %bb.91:
	v_cmp_eq_u32_e64 s[0:1], 0, v3
	s_orn2_b64 s[10:11], s[0:1], exec
; %bb.92:
	s_or_b64 exec, exec, s[12:13]
	s_and_saveexec_b64 s[0:1], s[10:11]
	s_cbranch_execz .LBB1905_95
; %bb.93:
	s_add_i32 s10, s8, 8
	s_cmp_gt_u32 s9, s10
	s_cselect_b64 s[12:13], -1, 0
	s_xor_b64 s[16:17], vcc, -1
	s_and_b64 s[12:13], s[12:13], s[16:17]
	s_and_b64 exec, exec, s[12:13]
	s_cbranch_execz .LBB1905_95
; %bb.94:
	s_sub_i32 s11, s9, s10
	s_min_u32 s11, s11, 8
	v_lshrrev_b32_sdwa v2, s10, v2 dst_sel:DWORD dst_unused:UNUSED_PAD src0_sel:DWORD src1_sel:WORD_0
	v_bfe_u32 v2, v2, 0, s11
	v_lshlrev_b32_e32 v3, 2, v1
	v_lshl_or_b32 v2, v2, 4, v3
	v_mov_b32_e32 v3, 1
	ds_add_u32 v2, v3 offset:4096
.LBB1905_95:
	s_or_b64 exec, exec, s[0:1]
	v_cmp_le_u32_e32 vcc, s14, v9
	s_or_b64 s[0:1], s[4:5], vcc
	v_xor_b32_e32 v2, -1, v7
	s_xor_b64 s[10:11], s[0:1], -1
	v_mov_b32_e32 v3, s15
	s_and_saveexec_b64 s[0:1], s[10:11]
	s_cbranch_execz .LBB1905_97
; %bb.96:
	s_sub_i32 s10, s9, s8
	s_min_u32 s10, s10, 8
	v_lshrrev_b32_sdwa v3, s8, v2 dst_sel:DWORD dst_unused:UNUSED_PAD src0_sel:DWORD src1_sel:WORD_0
	v_bfe_u32 v3, v3, 0, s10
	v_lshlrev_b32_e32 v4, 2, v1
	v_lshl_or_b32 v3, v3, 4, v4
	v_mov_b32_e32 v4, 1
	ds_add_u32 v3, v4
	v_mov_b32_e32 v3, 0
.LBB1905_97:
	s_or_b64 exec, exec, s[0:1]
	v_cmp_gt_i32_e64 s[0:1], 10, v3
	s_mov_b64 s[10:11], -1
	s_and_saveexec_b64 s[12:13], s[0:1]
; %bb.98:
	v_cmp_eq_u32_e64 s[0:1], 0, v3
	s_orn2_b64 s[10:11], s[0:1], exec
; %bb.99:
	s_or_b64 exec, exec, s[12:13]
	s_and_saveexec_b64 s[0:1], s[10:11]
	s_cbranch_execz .LBB1905_102
; %bb.100:
	s_add_i32 s10, s8, 8
	s_cmp_gt_u32 s9, s10
	s_cselect_b64 s[12:13], -1, 0
	s_xor_b64 s[16:17], vcc, -1
	s_and_b64 s[12:13], s[12:13], s[16:17]
	s_and_b64 exec, exec, s[12:13]
	s_cbranch_execz .LBB1905_102
; %bb.101:
	s_sub_i32 s11, s9, s10
	s_min_u32 s11, s11, 8
	v_lshrrev_b32_sdwa v2, s10, v2 dst_sel:DWORD dst_unused:UNUSED_PAD src0_sel:DWORD src1_sel:WORD_0
	v_bfe_u32 v2, v2, 0, s11
	v_lshlrev_b32_e32 v3, 2, v1
	v_lshl_or_b32 v2, v2, 4, v3
	v_mov_b32_e32 v3, 1
	ds_add_u32 v2, v3 offset:4096
.LBB1905_102:
	s_or_b64 exec, exec, s[0:1]
	v_cmp_le_u32_e32 vcc, s14, v8
	v_mov_b32_e32 v2, -1
	s_or_b64 s[0:1], s[4:5], vcc
	v_xor_b32_sdwa v2, v7, v2 dst_sel:DWORD dst_unused:UNUSED_PAD src0_sel:WORD_1 src1_sel:DWORD
	s_xor_b64 s[4:5], s[0:1], -1
	v_mov_b32_e32 v3, s15
	s_and_saveexec_b64 s[0:1], s[4:5]
	s_cbranch_execz .LBB1905_104
; %bb.103:
	s_sub_i32 s4, s9, s8
	s_min_u32 s4, s4, 8
	v_lshrrev_b32_sdwa v3, s8, v2 dst_sel:DWORD dst_unused:UNUSED_PAD src0_sel:DWORD src1_sel:WORD_0
	v_bfe_u32 v3, v3, 0, s4
	v_lshlrev_b32_e32 v4, 2, v1
	v_lshl_or_b32 v3, v3, 4, v4
	v_mov_b32_e32 v4, 1
	ds_add_u32 v3, v4
	v_mov_b32_e32 v3, 0
.LBB1905_104:
	s_or_b64 exec, exec, s[0:1]
	v_cmp_gt_i32_e64 s[0:1], 10, v3
	s_mov_b64 s[4:5], -1
	s_and_saveexec_b64 s[10:11], s[0:1]
; %bb.105:
	v_cmp_eq_u32_e64 s[0:1], 0, v3
	s_orn2_b64 s[4:5], s[0:1], exec
; %bb.106:
	s_or_b64 exec, exec, s[10:11]
	s_and_saveexec_b64 s[0:1], s[4:5]
	s_cbranch_execz .LBB1905_109
; %bb.107:
	s_add_i32 s4, s8, 8
	s_cmp_gt_u32 s9, s4
	s_cselect_b64 s[10:11], -1, 0
	s_xor_b64 s[12:13], vcc, -1
	s_and_b64 s[10:11], s[10:11], s[12:13]
	s_and_b64 exec, exec, s[10:11]
	s_cbranch_execz .LBB1905_109
; %bb.108:
	s_sub_i32 s5, s9, s4
	s_min_u32 s5, s5, 8
	v_lshrrev_b32_sdwa v2, s4, v2 dst_sel:DWORD dst_unused:UNUSED_PAD src0_sel:DWORD src1_sel:WORD_0
	v_bfe_u32 v2, v2, 0, s5
	v_lshlrev_b32_e32 v1, 2, v1
	v_lshl_or_b32 v1, v2, 4, v1
	v_mov_b32_e32 v2, 1
	ds_add_u32 v1, v2 offset:4096
.LBB1905_109:
	s_or_b64 exec, exec, s[0:1]
	s_cmp_gt_u32 s9, s8
	s_waitcnt lgkmcnt(0)
	s_barrier
	s_cbranch_scc0 .LBB1905_114
; %bb.110:
	s_movk_i32 s0, 0x100
	v_cmp_gt_u32_e32 vcc, s0, v0
	v_lshlrev_b32_e32 v1, 4, v0
	v_mov_b32_e32 v3, 0
	v_mov_b32_e32 v2, v0
	s_mov_b32 s10, s8
	s_branch .LBB1905_112
.LBB1905_111:                           ;   in Loop: Header=BB1905_112 Depth=1
	s_or_b64 exec, exec, s[4:5]
	s_add_i32 s10, s10, 8
	v_add_u32_e32 v2, 0x100, v2
	s_cmp_lt_u32 s10, s9
	v_add_u32_e32 v1, 0x1000, v1
	s_cbranch_scc0 .LBB1905_114
.LBB1905_112:                           ; =>This Inner Loop Header: Depth=1
	s_and_saveexec_b64 s[4:5], vcc
	s_cbranch_execz .LBB1905_111
; %bb.113:                              ;   in Loop: Header=BB1905_112 Depth=1
	ds_read2_b32 v[4:5], v1 offset1:1
	ds_read2_b32 v[6:7], v1 offset0:2 offset1:3
	v_lshlrev_b64 v[8:9], 3, v[2:3]
	v_mov_b32_e32 v10, s3
	s_waitcnt lgkmcnt(1)
	v_add_u32_e32 v4, v5, v4
	s_waitcnt lgkmcnt(0)
	v_add3_u32 v4, v4, v6, v7
	v_add_co_u32_e64 v6, s[0:1], s2, v8
	v_addc_co_u32_e64 v7, s[0:1], v10, v9, s[0:1]
	v_mov_b32_e32 v5, v3
	global_atomic_add_x2 v[6:7], v[4:5], off
	s_branch .LBB1905_111
.LBB1905_114:
	s_mov_b64 s[0:1], 0
.LBB1905_115:
	s_and_b64 vcc, exec, s[0:1]
	s_cbranch_vccz .LBB1905_162
; %bb.116:
	v_lshlrev_b32_e32 v1, 1, v0
	v_mov_b32_e32 v2, s7
	v_add_co_u32_e32 v8, vcc, s6, v1
	v_addc_co_u32_e32 v9, vcc, 0, v2, vcc
	v_add_co_u32_e32 v2, vcc, 0x1000, v8
	v_addc_co_u32_e32 v3, vcc, 0, v9, vcc
	;; [unrolled: 2-line block ×4, first 2 shown]
	global_load_ushort v10, v1, s[6:7]
	global_load_ushort v11, v1, s[6:7] offset:2048
	global_load_ushort v12, v[2:3], off
	global_load_ushort v16, v[2:3], off offset:2048
	global_load_ushort v17, v[4:5], off
	global_load_ushort v18, v[4:5], off offset:2048
	;; [unrolled: 2-line block ×3, first 2 shown]
	v_add_co_u32_e32 v2, vcc, 0x4000, v8
	v_addc_co_u32_e32 v3, vcc, 0, v9, vcc
	v_add_co_u32_e32 v4, vcc, 0x5000, v8
	v_addc_co_u32_e32 v5, vcc, 0, v9, vcc
	global_load_ushort v6, v[2:3], off
	global_load_ushort v21, v[2:3], off offset:2048
	global_load_ushort v22, v[4:5], off
	global_load_ushort v23, v[4:5], off offset:2048
	s_cmp_eq_u32 s8, 0
	s_cselect_b64 s[4:5], -1, 0
	s_cmp_eq_u32 s9, 16
	v_mov_b32_e32 v2, 0
	v_lshlrev_b32_e32 v3, 2, v0
	s_cselect_b64 s[6:7], -1, 0
	ds_write2st64_b32 v3, v2, v2 offset1:16
	s_and_b64 s[4:5], s[4:5], s[6:7]
	v_and_b32_e32 v1, 3, v0
	s_mov_b64 s[0:1], -1
	s_and_b64 vcc, exec, s[4:5]
	s_waitcnt vmcnt(11) lgkmcnt(0)
	v_xor_b32_e32 v2, -1, v10
	s_waitcnt vmcnt(10)
	v_xor_b32_e32 v14, -1, v11
	v_and_b32_e32 v15, 0xffff, v2
	s_waitcnt vmcnt(9)
	v_xor_b32_e32 v13, -1, v12
	s_waitcnt vmcnt(8)
	v_xor_b32_e32 v12, -1, v16
	s_waitcnt vmcnt(7)
	v_xor_b32_e32 v11, -1, v17
	s_waitcnt vmcnt(6)
	v_xor_b32_e32 v10, -1, v18
	s_waitcnt vmcnt(5)
	v_xor_b32_e32 v9, -1, v19
	s_waitcnt vmcnt(4)
	v_xor_b32_e32 v8, -1, v20
	s_waitcnt vmcnt(3)
	v_xor_b32_e32 v7, -1, v6
	s_waitcnt vmcnt(2)
	v_xor_b32_e32 v6, -1, v21
	s_waitcnt vmcnt(1)
	v_xor_b32_e32 v5, -1, v22
	s_waitcnt vmcnt(0)
	v_xor_b32_e32 v4, -1, v23
	s_cbranch_vccnz .LBB1905_159
; %bb.117:
	s_cmp_gt_u32 s9, s8
	s_cselect_b64 s[4:5], -1, 0
	s_and_b64 vcc, exec, s[4:5]
	v_lshlrev_b32_e32 v2, 2, v1
	s_barrier
	s_cbranch_vccz .LBB1905_120
; %bb.118:
	s_sub_i32 s0, s9, s8
	s_min_u32 s0, s0, 8
	v_lshrrev_b32_e32 v3, s8, v15
	v_bfe_u32 v3, v3, 0, s0
	v_lshl_or_b32 v16, v3, 4, v2
	v_mov_b32_e32 v3, 1
	ds_add_u32 v16, v3
	s_add_i32 s0, s8, 8
	s_cmp_le_u32 s9, s0
	s_cbranch_scc1 .LBB1905_120
; %bb.119:
	s_sub_i32 s1, s9, s0
	s_min_u32 s1, s1, 8
	v_lshrrev_b32_e32 v16, s0, v15
	v_bfe_u32 v16, v16, 0, s1
	v_lshl_or_b32 v16, v16, 4, v2
	ds_add_u32 v16, v3 offset:4096
.LBB1905_120:
	v_cndmask_b32_e64 v3, 0, 1, s[4:5]
	v_cmp_ne_u32_e64 s[0:1], 1, v3
	s_andn2_b64 vcc, exec, s[4:5]
	s_cbranch_vccnz .LBB1905_123
; %bb.121:
	s_sub_i32 s6, s9, s8
	s_min_u32 s6, s6, 8
	v_lshrrev_b32_sdwa v3, s8, v14 dst_sel:DWORD dst_unused:UNUSED_PAD src0_sel:DWORD src1_sel:WORD_0
	v_bfe_u32 v3, v3, 0, s6
	v_lshl_or_b32 v16, v3, 4, v2
	v_mov_b32_e32 v3, 1
	ds_add_u32 v16, v3
	s_add_i32 s6, s8, 8
	s_cmp_le_u32 s9, s6
	s_cbranch_scc1 .LBB1905_123
; %bb.122:
	s_sub_i32 s7, s9, s6
	s_min_u32 s7, s7, 8
	v_lshrrev_b32_sdwa v16, s6, v14 dst_sel:DWORD dst_unused:UNUSED_PAD src0_sel:DWORD src1_sel:WORD_0
	v_bfe_u32 v16, v16, 0, s7
	v_lshl_or_b32 v16, v16, 4, v2
	ds_add_u32 v16, v3 offset:4096
.LBB1905_123:
	s_and_b64 vcc, exec, s[0:1]
	s_cbranch_vccnz .LBB1905_126
; %bb.124:
	s_sub_i32 s6, s9, s8
	s_min_u32 s6, s6, 8
	v_lshrrev_b32_sdwa v3, s8, v13 dst_sel:DWORD dst_unused:UNUSED_PAD src0_sel:DWORD src1_sel:WORD_0
	v_bfe_u32 v3, v3, 0, s6
	v_lshl_or_b32 v16, v3, 4, v2
	v_mov_b32_e32 v3, 1
	ds_add_u32 v16, v3
	s_add_i32 s6, s8, 8
	s_cmp_le_u32 s9, s6
	s_cbranch_scc1 .LBB1905_126
; %bb.125:
	s_sub_i32 s7, s9, s6
	s_min_u32 s7, s7, 8
	v_lshrrev_b32_sdwa v16, s6, v13 dst_sel:DWORD dst_unused:UNUSED_PAD src0_sel:DWORD src1_sel:WORD_0
	v_bfe_u32 v16, v16, 0, s7
	v_lshl_or_b32 v16, v16, 4, v2
	ds_add_u32 v16, v3 offset:4096
.LBB1905_126:
	s_and_b64 vcc, exec, s[0:1]
	;; [unrolled: 21-line block ×11, first 2 shown]
	s_waitcnt lgkmcnt(0)
	s_barrier
	s_cbranch_vccz .LBB1905_158
; %bb.154:
	s_movk_i32 s0, 0x100
	v_cmp_gt_u32_e32 vcc, s0, v0
	v_lshlrev_b32_e32 v16, 4, v0
	v_mov_b32_e32 v3, 0
	v_mov_b32_e32 v2, v0
	s_branch .LBB1905_156
.LBB1905_155:                           ;   in Loop: Header=BB1905_156 Depth=1
	s_or_b64 exec, exec, s[4:5]
	s_add_i32 s8, s8, 8
	v_add_u32_e32 v2, 0x100, v2
	s_cmp_ge_u32 s8, s9
	v_add_u32_e32 v16, 0x1000, v16
	s_cbranch_scc1 .LBB1905_158
.LBB1905_156:                           ; =>This Inner Loop Header: Depth=1
	s_and_saveexec_b64 s[4:5], vcc
	s_cbranch_execz .LBB1905_155
; %bb.157:                              ;   in Loop: Header=BB1905_156 Depth=1
	ds_read2_b32 v[18:19], v16 offset1:1
	ds_read2_b32 v[20:21], v16 offset0:2 offset1:3
	v_lshlrev_b64 v[22:23], 3, v[2:3]
	v_mov_b32_e32 v17, s3
	s_waitcnt lgkmcnt(1)
	v_add_u32_e32 v18, v19, v18
	s_waitcnt lgkmcnt(0)
	v_add3_u32 v18, v18, v20, v21
	v_add_co_u32_e64 v20, s[0:1], s2, v22
	v_addc_co_u32_e64 v21, s[0:1], v17, v23, s[0:1]
	v_mov_b32_e32 v19, v3
	global_atomic_add_x2 v[20:21], v[18:19], off
	s_branch .LBB1905_155
.LBB1905_158:
	s_mov_b64 s[0:1], 0
.LBB1905_159:
	s_and_b64 vcc, exec, s[0:1]
	s_cbranch_vccz .LBB1905_162
; %bb.160:
	v_lshlrev_b32_e32 v2, 2, v15
	s_movk_i32 s0, 0x3fc
	v_and_or_b32 v2, v2, s0, v1
	v_lshlrev_b32_e32 v2, 2, v2
	v_mov_b32_e32 v3, 1
	s_barrier
	ds_add_u32 v2, v3
	v_bfe_u32 v2, v15, 8, 8
	v_lshl_or_b32 v2, v2, 2, v1
	v_lshlrev_b32_e32 v2, 2, v2
	ds_add_u32 v2, v3 offset:4096
	v_and_b32_e32 v2, 0xffff, v14
	v_lshlrev_b32_e32 v14, 2, v2
	v_and_or_b32 v14, v14, s0, v1
	v_bfe_u32 v2, v2, 8, 8
	v_lshlrev_b32_e32 v14, 2, v14
	v_lshl_or_b32 v2, v2, 2, v1
	ds_add_u32 v14, v3
	v_lshlrev_b32_e32 v2, 2, v2
	ds_add_u32 v2, v3 offset:4096
	v_and_b32_e32 v2, 0xffff, v13
	v_lshlrev_b32_e32 v13, 2, v2
	v_and_or_b32 v13, v13, s0, v1
	v_bfe_u32 v2, v2, 8, 8
	v_lshlrev_b32_e32 v13, 2, v13
	v_lshl_or_b32 v2, v2, 2, v1
	ds_add_u32 v13, v3
	;; [unrolled: 9-line block ×11, first 2 shown]
	v_lshlrev_b32_e32 v1, 2, v1
	ds_add_u32 v1, v3 offset:4096
	s_movk_i32 s0, 0x100
	v_cmp_gt_u32_e32 vcc, s0, v0
	s_waitcnt lgkmcnt(0)
	s_barrier
	s_and_saveexec_b64 s[0:1], vcc
	s_cbranch_execz .LBB1905_162
; %bb.161:
	v_lshlrev_b32_e32 v6, 4, v0
	ds_read2_b32 v[2:3], v6 offset1:1
	ds_read2_b32 v[4:5], v6 offset0:2 offset1:3
	v_lshlrev_b32_e32 v7, 3, v0
	v_mov_b32_e32 v1, 0
	v_add_u32_e32 v8, 0x1000, v6
	s_waitcnt lgkmcnt(1)
	v_add_u32_e32 v0, v3, v2
	s_waitcnt lgkmcnt(0)
	v_add3_u32 v0, v0, v4, v5
	global_atomic_add_x2 v7, v[0:1], s[2:3]
	v_add_u32_e32 v0, 0x1008, v6
	ds_read2_b32 v[2:3], v8 offset1:1
	ds_read2_b32 v[4:5], v0 offset1:1
	s_waitcnt lgkmcnt(1)
	v_add_u32_e32 v0, v3, v2
	s_waitcnt lgkmcnt(0)
	v_add3_u32 v0, v0, v4, v5
	global_atomic_add_x2 v7, v[0:1], s[2:3] offset:2048
.LBB1905_162:
	s_endpgm
	.section	.rodata,"a",@progbits
	.p2align	6, 0x0
	.amdhsa_kernel _ZN7rocprim17ROCPRIM_400000_NS6detail17trampoline_kernelINS0_14default_configENS1_35radix_sort_onesweep_config_selectorItNS0_10empty_typeEEEZNS1_34radix_sort_onesweep_global_offsetsIS3_Lb1EPtPS5_mNS0_19identity_decomposerEEE10hipError_tT1_T2_PT3_SE_jT4_jjP12ihipStream_tbEUlT_E_NS1_11comp_targetILNS1_3genE4ELNS1_11target_archE910ELNS1_3gpuE8ELNS1_3repE0EEENS1_52radix_sort_onesweep_histogram_config_static_selectorELNS0_4arch9wavefront6targetE1EEEvSC_
		.amdhsa_group_segment_fixed_size 8192
		.amdhsa_private_segment_fixed_size 0
		.amdhsa_kernarg_size 48
		.amdhsa_user_sgpr_count 6
		.amdhsa_user_sgpr_private_segment_buffer 1
		.amdhsa_user_sgpr_dispatch_ptr 0
		.amdhsa_user_sgpr_queue_ptr 0
		.amdhsa_user_sgpr_kernarg_segment_ptr 1
		.amdhsa_user_sgpr_dispatch_id 0
		.amdhsa_user_sgpr_flat_scratch_init 0
		.amdhsa_user_sgpr_kernarg_preload_length 0
		.amdhsa_user_sgpr_kernarg_preload_offset 0
		.amdhsa_user_sgpr_private_segment_size 0
		.amdhsa_uses_dynamic_stack 0
		.amdhsa_system_sgpr_private_segment_wavefront_offset 0
		.amdhsa_system_sgpr_workgroup_id_x 1
		.amdhsa_system_sgpr_workgroup_id_y 0
		.amdhsa_system_sgpr_workgroup_id_z 0
		.amdhsa_system_sgpr_workgroup_info 0
		.amdhsa_system_vgpr_workitem_id 0
		.amdhsa_next_free_vgpr 24
		.amdhsa_next_free_sgpr 18
		.amdhsa_accum_offset 24
		.amdhsa_reserve_vcc 1
		.amdhsa_reserve_flat_scratch 0
		.amdhsa_float_round_mode_32 0
		.amdhsa_float_round_mode_16_64 0
		.amdhsa_float_denorm_mode_32 3
		.amdhsa_float_denorm_mode_16_64 3
		.amdhsa_dx10_clamp 1
		.amdhsa_ieee_mode 1
		.amdhsa_fp16_overflow 0
		.amdhsa_tg_split 0
		.amdhsa_exception_fp_ieee_invalid_op 0
		.amdhsa_exception_fp_denorm_src 0
		.amdhsa_exception_fp_ieee_div_zero 0
		.amdhsa_exception_fp_ieee_overflow 0
		.amdhsa_exception_fp_ieee_underflow 0
		.amdhsa_exception_fp_ieee_inexact 0
		.amdhsa_exception_int_div_zero 0
	.end_amdhsa_kernel
	.section	.text._ZN7rocprim17ROCPRIM_400000_NS6detail17trampoline_kernelINS0_14default_configENS1_35radix_sort_onesweep_config_selectorItNS0_10empty_typeEEEZNS1_34radix_sort_onesweep_global_offsetsIS3_Lb1EPtPS5_mNS0_19identity_decomposerEEE10hipError_tT1_T2_PT3_SE_jT4_jjP12ihipStream_tbEUlT_E_NS1_11comp_targetILNS1_3genE4ELNS1_11target_archE910ELNS1_3gpuE8ELNS1_3repE0EEENS1_52radix_sort_onesweep_histogram_config_static_selectorELNS0_4arch9wavefront6targetE1EEEvSC_,"axG",@progbits,_ZN7rocprim17ROCPRIM_400000_NS6detail17trampoline_kernelINS0_14default_configENS1_35radix_sort_onesweep_config_selectorItNS0_10empty_typeEEEZNS1_34radix_sort_onesweep_global_offsetsIS3_Lb1EPtPS5_mNS0_19identity_decomposerEEE10hipError_tT1_T2_PT3_SE_jT4_jjP12ihipStream_tbEUlT_E_NS1_11comp_targetILNS1_3genE4ELNS1_11target_archE910ELNS1_3gpuE8ELNS1_3repE0EEENS1_52radix_sort_onesweep_histogram_config_static_selectorELNS0_4arch9wavefront6targetE1EEEvSC_,comdat
.Lfunc_end1905:
	.size	_ZN7rocprim17ROCPRIM_400000_NS6detail17trampoline_kernelINS0_14default_configENS1_35radix_sort_onesweep_config_selectorItNS0_10empty_typeEEEZNS1_34radix_sort_onesweep_global_offsetsIS3_Lb1EPtPS5_mNS0_19identity_decomposerEEE10hipError_tT1_T2_PT3_SE_jT4_jjP12ihipStream_tbEUlT_E_NS1_11comp_targetILNS1_3genE4ELNS1_11target_archE910ELNS1_3gpuE8ELNS1_3repE0EEENS1_52radix_sort_onesweep_histogram_config_static_selectorELNS0_4arch9wavefront6targetE1EEEvSC_, .Lfunc_end1905-_ZN7rocprim17ROCPRIM_400000_NS6detail17trampoline_kernelINS0_14default_configENS1_35radix_sort_onesweep_config_selectorItNS0_10empty_typeEEEZNS1_34radix_sort_onesweep_global_offsetsIS3_Lb1EPtPS5_mNS0_19identity_decomposerEEE10hipError_tT1_T2_PT3_SE_jT4_jjP12ihipStream_tbEUlT_E_NS1_11comp_targetILNS1_3genE4ELNS1_11target_archE910ELNS1_3gpuE8ELNS1_3repE0EEENS1_52radix_sort_onesweep_histogram_config_static_selectorELNS0_4arch9wavefront6targetE1EEEvSC_
                                        ; -- End function
	.section	.AMDGPU.csdata,"",@progbits
; Kernel info:
; codeLenInByte = 6096
; NumSgprs: 22
; NumVgprs: 24
; NumAgprs: 0
; TotalNumVgprs: 24
; ScratchSize: 0
; MemoryBound: 0
; FloatMode: 240
; IeeeMode: 1
; LDSByteSize: 8192 bytes/workgroup (compile time only)
; SGPRBlocks: 2
; VGPRBlocks: 2
; NumSGPRsForWavesPerEU: 22
; NumVGPRsForWavesPerEU: 24
; AccumOffset: 24
; Occupancy: 8
; WaveLimiterHint : 1
; COMPUTE_PGM_RSRC2:SCRATCH_EN: 0
; COMPUTE_PGM_RSRC2:USER_SGPR: 6
; COMPUTE_PGM_RSRC2:TRAP_HANDLER: 0
; COMPUTE_PGM_RSRC2:TGID_X_EN: 1
; COMPUTE_PGM_RSRC2:TGID_Y_EN: 0
; COMPUTE_PGM_RSRC2:TGID_Z_EN: 0
; COMPUTE_PGM_RSRC2:TIDIG_COMP_CNT: 0
; COMPUTE_PGM_RSRC3_GFX90A:ACCUM_OFFSET: 5
; COMPUTE_PGM_RSRC3_GFX90A:TG_SPLIT: 0
	.section	.text._ZN7rocprim17ROCPRIM_400000_NS6detail17trampoline_kernelINS0_14default_configENS1_35radix_sort_onesweep_config_selectorItNS0_10empty_typeEEEZNS1_34radix_sort_onesweep_global_offsetsIS3_Lb1EPtPS5_mNS0_19identity_decomposerEEE10hipError_tT1_T2_PT3_SE_jT4_jjP12ihipStream_tbEUlT_E_NS1_11comp_targetILNS1_3genE3ELNS1_11target_archE908ELNS1_3gpuE7ELNS1_3repE0EEENS1_52radix_sort_onesweep_histogram_config_static_selectorELNS0_4arch9wavefront6targetE1EEEvSC_,"axG",@progbits,_ZN7rocprim17ROCPRIM_400000_NS6detail17trampoline_kernelINS0_14default_configENS1_35radix_sort_onesweep_config_selectorItNS0_10empty_typeEEEZNS1_34radix_sort_onesweep_global_offsetsIS3_Lb1EPtPS5_mNS0_19identity_decomposerEEE10hipError_tT1_T2_PT3_SE_jT4_jjP12ihipStream_tbEUlT_E_NS1_11comp_targetILNS1_3genE3ELNS1_11target_archE908ELNS1_3gpuE7ELNS1_3repE0EEENS1_52radix_sort_onesweep_histogram_config_static_selectorELNS0_4arch9wavefront6targetE1EEEvSC_,comdat
	.protected	_ZN7rocprim17ROCPRIM_400000_NS6detail17trampoline_kernelINS0_14default_configENS1_35radix_sort_onesweep_config_selectorItNS0_10empty_typeEEEZNS1_34radix_sort_onesweep_global_offsetsIS3_Lb1EPtPS5_mNS0_19identity_decomposerEEE10hipError_tT1_T2_PT3_SE_jT4_jjP12ihipStream_tbEUlT_E_NS1_11comp_targetILNS1_3genE3ELNS1_11target_archE908ELNS1_3gpuE7ELNS1_3repE0EEENS1_52radix_sort_onesweep_histogram_config_static_selectorELNS0_4arch9wavefront6targetE1EEEvSC_ ; -- Begin function _ZN7rocprim17ROCPRIM_400000_NS6detail17trampoline_kernelINS0_14default_configENS1_35radix_sort_onesweep_config_selectorItNS0_10empty_typeEEEZNS1_34radix_sort_onesweep_global_offsetsIS3_Lb1EPtPS5_mNS0_19identity_decomposerEEE10hipError_tT1_T2_PT3_SE_jT4_jjP12ihipStream_tbEUlT_E_NS1_11comp_targetILNS1_3genE3ELNS1_11target_archE908ELNS1_3gpuE7ELNS1_3repE0EEENS1_52radix_sort_onesweep_histogram_config_static_selectorELNS0_4arch9wavefront6targetE1EEEvSC_
	.globl	_ZN7rocprim17ROCPRIM_400000_NS6detail17trampoline_kernelINS0_14default_configENS1_35radix_sort_onesweep_config_selectorItNS0_10empty_typeEEEZNS1_34radix_sort_onesweep_global_offsetsIS3_Lb1EPtPS5_mNS0_19identity_decomposerEEE10hipError_tT1_T2_PT3_SE_jT4_jjP12ihipStream_tbEUlT_E_NS1_11comp_targetILNS1_3genE3ELNS1_11target_archE908ELNS1_3gpuE7ELNS1_3repE0EEENS1_52radix_sort_onesweep_histogram_config_static_selectorELNS0_4arch9wavefront6targetE1EEEvSC_
	.p2align	8
	.type	_ZN7rocprim17ROCPRIM_400000_NS6detail17trampoline_kernelINS0_14default_configENS1_35radix_sort_onesweep_config_selectorItNS0_10empty_typeEEEZNS1_34radix_sort_onesweep_global_offsetsIS3_Lb1EPtPS5_mNS0_19identity_decomposerEEE10hipError_tT1_T2_PT3_SE_jT4_jjP12ihipStream_tbEUlT_E_NS1_11comp_targetILNS1_3genE3ELNS1_11target_archE908ELNS1_3gpuE7ELNS1_3repE0EEENS1_52radix_sort_onesweep_histogram_config_static_selectorELNS0_4arch9wavefront6targetE1EEEvSC_,@function
_ZN7rocprim17ROCPRIM_400000_NS6detail17trampoline_kernelINS0_14default_configENS1_35radix_sort_onesweep_config_selectorItNS0_10empty_typeEEEZNS1_34radix_sort_onesweep_global_offsetsIS3_Lb1EPtPS5_mNS0_19identity_decomposerEEE10hipError_tT1_T2_PT3_SE_jT4_jjP12ihipStream_tbEUlT_E_NS1_11comp_targetILNS1_3genE3ELNS1_11target_archE908ELNS1_3gpuE7ELNS1_3repE0EEENS1_52radix_sort_onesweep_histogram_config_static_selectorELNS0_4arch9wavefront6targetE1EEEvSC_: ; @_ZN7rocprim17ROCPRIM_400000_NS6detail17trampoline_kernelINS0_14default_configENS1_35radix_sort_onesweep_config_selectorItNS0_10empty_typeEEEZNS1_34radix_sort_onesweep_global_offsetsIS3_Lb1EPtPS5_mNS0_19identity_decomposerEEE10hipError_tT1_T2_PT3_SE_jT4_jjP12ihipStream_tbEUlT_E_NS1_11comp_targetILNS1_3genE3ELNS1_11target_archE908ELNS1_3gpuE7ELNS1_3repE0EEENS1_52radix_sort_onesweep_histogram_config_static_selectorELNS0_4arch9wavefront6targetE1EEEvSC_
; %bb.0:
	.section	.rodata,"a",@progbits
	.p2align	6, 0x0
	.amdhsa_kernel _ZN7rocprim17ROCPRIM_400000_NS6detail17trampoline_kernelINS0_14default_configENS1_35radix_sort_onesweep_config_selectorItNS0_10empty_typeEEEZNS1_34radix_sort_onesweep_global_offsetsIS3_Lb1EPtPS5_mNS0_19identity_decomposerEEE10hipError_tT1_T2_PT3_SE_jT4_jjP12ihipStream_tbEUlT_E_NS1_11comp_targetILNS1_3genE3ELNS1_11target_archE908ELNS1_3gpuE7ELNS1_3repE0EEENS1_52radix_sort_onesweep_histogram_config_static_selectorELNS0_4arch9wavefront6targetE1EEEvSC_
		.amdhsa_group_segment_fixed_size 0
		.amdhsa_private_segment_fixed_size 0
		.amdhsa_kernarg_size 48
		.amdhsa_user_sgpr_count 6
		.amdhsa_user_sgpr_private_segment_buffer 1
		.amdhsa_user_sgpr_dispatch_ptr 0
		.amdhsa_user_sgpr_queue_ptr 0
		.amdhsa_user_sgpr_kernarg_segment_ptr 1
		.amdhsa_user_sgpr_dispatch_id 0
		.amdhsa_user_sgpr_flat_scratch_init 0
		.amdhsa_user_sgpr_kernarg_preload_length 0
		.amdhsa_user_sgpr_kernarg_preload_offset 0
		.amdhsa_user_sgpr_private_segment_size 0
		.amdhsa_uses_dynamic_stack 0
		.amdhsa_system_sgpr_private_segment_wavefront_offset 0
		.amdhsa_system_sgpr_workgroup_id_x 1
		.amdhsa_system_sgpr_workgroup_id_y 0
		.amdhsa_system_sgpr_workgroup_id_z 0
		.amdhsa_system_sgpr_workgroup_info 0
		.amdhsa_system_vgpr_workitem_id 0
		.amdhsa_next_free_vgpr 1
		.amdhsa_next_free_sgpr 0
		.amdhsa_accum_offset 4
		.amdhsa_reserve_vcc 0
		.amdhsa_reserve_flat_scratch 0
		.amdhsa_float_round_mode_32 0
		.amdhsa_float_round_mode_16_64 0
		.amdhsa_float_denorm_mode_32 3
		.amdhsa_float_denorm_mode_16_64 3
		.amdhsa_dx10_clamp 1
		.amdhsa_ieee_mode 1
		.amdhsa_fp16_overflow 0
		.amdhsa_tg_split 0
		.amdhsa_exception_fp_ieee_invalid_op 0
		.amdhsa_exception_fp_denorm_src 0
		.amdhsa_exception_fp_ieee_div_zero 0
		.amdhsa_exception_fp_ieee_overflow 0
		.amdhsa_exception_fp_ieee_underflow 0
		.amdhsa_exception_fp_ieee_inexact 0
		.amdhsa_exception_int_div_zero 0
	.end_amdhsa_kernel
	.section	.text._ZN7rocprim17ROCPRIM_400000_NS6detail17trampoline_kernelINS0_14default_configENS1_35radix_sort_onesweep_config_selectorItNS0_10empty_typeEEEZNS1_34radix_sort_onesweep_global_offsetsIS3_Lb1EPtPS5_mNS0_19identity_decomposerEEE10hipError_tT1_T2_PT3_SE_jT4_jjP12ihipStream_tbEUlT_E_NS1_11comp_targetILNS1_3genE3ELNS1_11target_archE908ELNS1_3gpuE7ELNS1_3repE0EEENS1_52radix_sort_onesweep_histogram_config_static_selectorELNS0_4arch9wavefront6targetE1EEEvSC_,"axG",@progbits,_ZN7rocprim17ROCPRIM_400000_NS6detail17trampoline_kernelINS0_14default_configENS1_35radix_sort_onesweep_config_selectorItNS0_10empty_typeEEEZNS1_34radix_sort_onesweep_global_offsetsIS3_Lb1EPtPS5_mNS0_19identity_decomposerEEE10hipError_tT1_T2_PT3_SE_jT4_jjP12ihipStream_tbEUlT_E_NS1_11comp_targetILNS1_3genE3ELNS1_11target_archE908ELNS1_3gpuE7ELNS1_3repE0EEENS1_52radix_sort_onesweep_histogram_config_static_selectorELNS0_4arch9wavefront6targetE1EEEvSC_,comdat
.Lfunc_end1906:
	.size	_ZN7rocprim17ROCPRIM_400000_NS6detail17trampoline_kernelINS0_14default_configENS1_35radix_sort_onesweep_config_selectorItNS0_10empty_typeEEEZNS1_34radix_sort_onesweep_global_offsetsIS3_Lb1EPtPS5_mNS0_19identity_decomposerEEE10hipError_tT1_T2_PT3_SE_jT4_jjP12ihipStream_tbEUlT_E_NS1_11comp_targetILNS1_3genE3ELNS1_11target_archE908ELNS1_3gpuE7ELNS1_3repE0EEENS1_52radix_sort_onesweep_histogram_config_static_selectorELNS0_4arch9wavefront6targetE1EEEvSC_, .Lfunc_end1906-_ZN7rocprim17ROCPRIM_400000_NS6detail17trampoline_kernelINS0_14default_configENS1_35radix_sort_onesweep_config_selectorItNS0_10empty_typeEEEZNS1_34radix_sort_onesweep_global_offsetsIS3_Lb1EPtPS5_mNS0_19identity_decomposerEEE10hipError_tT1_T2_PT3_SE_jT4_jjP12ihipStream_tbEUlT_E_NS1_11comp_targetILNS1_3genE3ELNS1_11target_archE908ELNS1_3gpuE7ELNS1_3repE0EEENS1_52radix_sort_onesweep_histogram_config_static_selectorELNS0_4arch9wavefront6targetE1EEEvSC_
                                        ; -- End function
	.section	.AMDGPU.csdata,"",@progbits
; Kernel info:
; codeLenInByte = 0
; NumSgprs: 4
; NumVgprs: 0
; NumAgprs: 0
; TotalNumVgprs: 0
; ScratchSize: 0
; MemoryBound: 0
; FloatMode: 240
; IeeeMode: 1
; LDSByteSize: 0 bytes/workgroup (compile time only)
; SGPRBlocks: 0
; VGPRBlocks: 0
; NumSGPRsForWavesPerEU: 4
; NumVGPRsForWavesPerEU: 1
; AccumOffset: 4
; Occupancy: 8
; WaveLimiterHint : 0
; COMPUTE_PGM_RSRC2:SCRATCH_EN: 0
; COMPUTE_PGM_RSRC2:USER_SGPR: 6
; COMPUTE_PGM_RSRC2:TRAP_HANDLER: 0
; COMPUTE_PGM_RSRC2:TGID_X_EN: 1
; COMPUTE_PGM_RSRC2:TGID_Y_EN: 0
; COMPUTE_PGM_RSRC2:TGID_Z_EN: 0
; COMPUTE_PGM_RSRC2:TIDIG_COMP_CNT: 0
; COMPUTE_PGM_RSRC3_GFX90A:ACCUM_OFFSET: 0
; COMPUTE_PGM_RSRC3_GFX90A:TG_SPLIT: 0
	.section	.text._ZN7rocprim17ROCPRIM_400000_NS6detail17trampoline_kernelINS0_14default_configENS1_35radix_sort_onesweep_config_selectorItNS0_10empty_typeEEEZNS1_34radix_sort_onesweep_global_offsetsIS3_Lb1EPtPS5_mNS0_19identity_decomposerEEE10hipError_tT1_T2_PT3_SE_jT4_jjP12ihipStream_tbEUlT_E_NS1_11comp_targetILNS1_3genE10ELNS1_11target_archE1201ELNS1_3gpuE5ELNS1_3repE0EEENS1_52radix_sort_onesweep_histogram_config_static_selectorELNS0_4arch9wavefront6targetE1EEEvSC_,"axG",@progbits,_ZN7rocprim17ROCPRIM_400000_NS6detail17trampoline_kernelINS0_14default_configENS1_35radix_sort_onesweep_config_selectorItNS0_10empty_typeEEEZNS1_34radix_sort_onesweep_global_offsetsIS3_Lb1EPtPS5_mNS0_19identity_decomposerEEE10hipError_tT1_T2_PT3_SE_jT4_jjP12ihipStream_tbEUlT_E_NS1_11comp_targetILNS1_3genE10ELNS1_11target_archE1201ELNS1_3gpuE5ELNS1_3repE0EEENS1_52radix_sort_onesweep_histogram_config_static_selectorELNS0_4arch9wavefront6targetE1EEEvSC_,comdat
	.protected	_ZN7rocprim17ROCPRIM_400000_NS6detail17trampoline_kernelINS0_14default_configENS1_35radix_sort_onesweep_config_selectorItNS0_10empty_typeEEEZNS1_34radix_sort_onesweep_global_offsetsIS3_Lb1EPtPS5_mNS0_19identity_decomposerEEE10hipError_tT1_T2_PT3_SE_jT4_jjP12ihipStream_tbEUlT_E_NS1_11comp_targetILNS1_3genE10ELNS1_11target_archE1201ELNS1_3gpuE5ELNS1_3repE0EEENS1_52radix_sort_onesweep_histogram_config_static_selectorELNS0_4arch9wavefront6targetE1EEEvSC_ ; -- Begin function _ZN7rocprim17ROCPRIM_400000_NS6detail17trampoline_kernelINS0_14default_configENS1_35radix_sort_onesweep_config_selectorItNS0_10empty_typeEEEZNS1_34radix_sort_onesweep_global_offsetsIS3_Lb1EPtPS5_mNS0_19identity_decomposerEEE10hipError_tT1_T2_PT3_SE_jT4_jjP12ihipStream_tbEUlT_E_NS1_11comp_targetILNS1_3genE10ELNS1_11target_archE1201ELNS1_3gpuE5ELNS1_3repE0EEENS1_52radix_sort_onesweep_histogram_config_static_selectorELNS0_4arch9wavefront6targetE1EEEvSC_
	.globl	_ZN7rocprim17ROCPRIM_400000_NS6detail17trampoline_kernelINS0_14default_configENS1_35radix_sort_onesweep_config_selectorItNS0_10empty_typeEEEZNS1_34radix_sort_onesweep_global_offsetsIS3_Lb1EPtPS5_mNS0_19identity_decomposerEEE10hipError_tT1_T2_PT3_SE_jT4_jjP12ihipStream_tbEUlT_E_NS1_11comp_targetILNS1_3genE10ELNS1_11target_archE1201ELNS1_3gpuE5ELNS1_3repE0EEENS1_52radix_sort_onesweep_histogram_config_static_selectorELNS0_4arch9wavefront6targetE1EEEvSC_
	.p2align	8
	.type	_ZN7rocprim17ROCPRIM_400000_NS6detail17trampoline_kernelINS0_14default_configENS1_35radix_sort_onesweep_config_selectorItNS0_10empty_typeEEEZNS1_34radix_sort_onesweep_global_offsetsIS3_Lb1EPtPS5_mNS0_19identity_decomposerEEE10hipError_tT1_T2_PT3_SE_jT4_jjP12ihipStream_tbEUlT_E_NS1_11comp_targetILNS1_3genE10ELNS1_11target_archE1201ELNS1_3gpuE5ELNS1_3repE0EEENS1_52radix_sort_onesweep_histogram_config_static_selectorELNS0_4arch9wavefront6targetE1EEEvSC_,@function
_ZN7rocprim17ROCPRIM_400000_NS6detail17trampoline_kernelINS0_14default_configENS1_35radix_sort_onesweep_config_selectorItNS0_10empty_typeEEEZNS1_34radix_sort_onesweep_global_offsetsIS3_Lb1EPtPS5_mNS0_19identity_decomposerEEE10hipError_tT1_T2_PT3_SE_jT4_jjP12ihipStream_tbEUlT_E_NS1_11comp_targetILNS1_3genE10ELNS1_11target_archE1201ELNS1_3gpuE5ELNS1_3repE0EEENS1_52radix_sort_onesweep_histogram_config_static_selectorELNS0_4arch9wavefront6targetE1EEEvSC_: ; @_ZN7rocprim17ROCPRIM_400000_NS6detail17trampoline_kernelINS0_14default_configENS1_35radix_sort_onesweep_config_selectorItNS0_10empty_typeEEEZNS1_34radix_sort_onesweep_global_offsetsIS3_Lb1EPtPS5_mNS0_19identity_decomposerEEE10hipError_tT1_T2_PT3_SE_jT4_jjP12ihipStream_tbEUlT_E_NS1_11comp_targetILNS1_3genE10ELNS1_11target_archE1201ELNS1_3gpuE5ELNS1_3repE0EEENS1_52radix_sort_onesweep_histogram_config_static_selectorELNS0_4arch9wavefront6targetE1EEEvSC_
; %bb.0:
	.section	.rodata,"a",@progbits
	.p2align	6, 0x0
	.amdhsa_kernel _ZN7rocprim17ROCPRIM_400000_NS6detail17trampoline_kernelINS0_14default_configENS1_35radix_sort_onesweep_config_selectorItNS0_10empty_typeEEEZNS1_34radix_sort_onesweep_global_offsetsIS3_Lb1EPtPS5_mNS0_19identity_decomposerEEE10hipError_tT1_T2_PT3_SE_jT4_jjP12ihipStream_tbEUlT_E_NS1_11comp_targetILNS1_3genE10ELNS1_11target_archE1201ELNS1_3gpuE5ELNS1_3repE0EEENS1_52radix_sort_onesweep_histogram_config_static_selectorELNS0_4arch9wavefront6targetE1EEEvSC_
		.amdhsa_group_segment_fixed_size 0
		.amdhsa_private_segment_fixed_size 0
		.amdhsa_kernarg_size 48
		.amdhsa_user_sgpr_count 6
		.amdhsa_user_sgpr_private_segment_buffer 1
		.amdhsa_user_sgpr_dispatch_ptr 0
		.amdhsa_user_sgpr_queue_ptr 0
		.amdhsa_user_sgpr_kernarg_segment_ptr 1
		.amdhsa_user_sgpr_dispatch_id 0
		.amdhsa_user_sgpr_flat_scratch_init 0
		.amdhsa_user_sgpr_kernarg_preload_length 0
		.amdhsa_user_sgpr_kernarg_preload_offset 0
		.amdhsa_user_sgpr_private_segment_size 0
		.amdhsa_uses_dynamic_stack 0
		.amdhsa_system_sgpr_private_segment_wavefront_offset 0
		.amdhsa_system_sgpr_workgroup_id_x 1
		.amdhsa_system_sgpr_workgroup_id_y 0
		.amdhsa_system_sgpr_workgroup_id_z 0
		.amdhsa_system_sgpr_workgroup_info 0
		.amdhsa_system_vgpr_workitem_id 0
		.amdhsa_next_free_vgpr 1
		.amdhsa_next_free_sgpr 0
		.amdhsa_accum_offset 4
		.amdhsa_reserve_vcc 0
		.amdhsa_reserve_flat_scratch 0
		.amdhsa_float_round_mode_32 0
		.amdhsa_float_round_mode_16_64 0
		.amdhsa_float_denorm_mode_32 3
		.amdhsa_float_denorm_mode_16_64 3
		.amdhsa_dx10_clamp 1
		.amdhsa_ieee_mode 1
		.amdhsa_fp16_overflow 0
		.amdhsa_tg_split 0
		.amdhsa_exception_fp_ieee_invalid_op 0
		.amdhsa_exception_fp_denorm_src 0
		.amdhsa_exception_fp_ieee_div_zero 0
		.amdhsa_exception_fp_ieee_overflow 0
		.amdhsa_exception_fp_ieee_underflow 0
		.amdhsa_exception_fp_ieee_inexact 0
		.amdhsa_exception_int_div_zero 0
	.end_amdhsa_kernel
	.section	.text._ZN7rocprim17ROCPRIM_400000_NS6detail17trampoline_kernelINS0_14default_configENS1_35radix_sort_onesweep_config_selectorItNS0_10empty_typeEEEZNS1_34radix_sort_onesweep_global_offsetsIS3_Lb1EPtPS5_mNS0_19identity_decomposerEEE10hipError_tT1_T2_PT3_SE_jT4_jjP12ihipStream_tbEUlT_E_NS1_11comp_targetILNS1_3genE10ELNS1_11target_archE1201ELNS1_3gpuE5ELNS1_3repE0EEENS1_52radix_sort_onesweep_histogram_config_static_selectorELNS0_4arch9wavefront6targetE1EEEvSC_,"axG",@progbits,_ZN7rocprim17ROCPRIM_400000_NS6detail17trampoline_kernelINS0_14default_configENS1_35radix_sort_onesweep_config_selectorItNS0_10empty_typeEEEZNS1_34radix_sort_onesweep_global_offsetsIS3_Lb1EPtPS5_mNS0_19identity_decomposerEEE10hipError_tT1_T2_PT3_SE_jT4_jjP12ihipStream_tbEUlT_E_NS1_11comp_targetILNS1_3genE10ELNS1_11target_archE1201ELNS1_3gpuE5ELNS1_3repE0EEENS1_52radix_sort_onesweep_histogram_config_static_selectorELNS0_4arch9wavefront6targetE1EEEvSC_,comdat
.Lfunc_end1907:
	.size	_ZN7rocprim17ROCPRIM_400000_NS6detail17trampoline_kernelINS0_14default_configENS1_35radix_sort_onesweep_config_selectorItNS0_10empty_typeEEEZNS1_34radix_sort_onesweep_global_offsetsIS3_Lb1EPtPS5_mNS0_19identity_decomposerEEE10hipError_tT1_T2_PT3_SE_jT4_jjP12ihipStream_tbEUlT_E_NS1_11comp_targetILNS1_3genE10ELNS1_11target_archE1201ELNS1_3gpuE5ELNS1_3repE0EEENS1_52radix_sort_onesweep_histogram_config_static_selectorELNS0_4arch9wavefront6targetE1EEEvSC_, .Lfunc_end1907-_ZN7rocprim17ROCPRIM_400000_NS6detail17trampoline_kernelINS0_14default_configENS1_35radix_sort_onesweep_config_selectorItNS0_10empty_typeEEEZNS1_34radix_sort_onesweep_global_offsetsIS3_Lb1EPtPS5_mNS0_19identity_decomposerEEE10hipError_tT1_T2_PT3_SE_jT4_jjP12ihipStream_tbEUlT_E_NS1_11comp_targetILNS1_3genE10ELNS1_11target_archE1201ELNS1_3gpuE5ELNS1_3repE0EEENS1_52radix_sort_onesweep_histogram_config_static_selectorELNS0_4arch9wavefront6targetE1EEEvSC_
                                        ; -- End function
	.section	.AMDGPU.csdata,"",@progbits
; Kernel info:
; codeLenInByte = 0
; NumSgprs: 4
; NumVgprs: 0
; NumAgprs: 0
; TotalNumVgprs: 0
; ScratchSize: 0
; MemoryBound: 0
; FloatMode: 240
; IeeeMode: 1
; LDSByteSize: 0 bytes/workgroup (compile time only)
; SGPRBlocks: 0
; VGPRBlocks: 0
; NumSGPRsForWavesPerEU: 4
; NumVGPRsForWavesPerEU: 1
; AccumOffset: 4
; Occupancy: 8
; WaveLimiterHint : 0
; COMPUTE_PGM_RSRC2:SCRATCH_EN: 0
; COMPUTE_PGM_RSRC2:USER_SGPR: 6
; COMPUTE_PGM_RSRC2:TRAP_HANDLER: 0
; COMPUTE_PGM_RSRC2:TGID_X_EN: 1
; COMPUTE_PGM_RSRC2:TGID_Y_EN: 0
; COMPUTE_PGM_RSRC2:TGID_Z_EN: 0
; COMPUTE_PGM_RSRC2:TIDIG_COMP_CNT: 0
; COMPUTE_PGM_RSRC3_GFX90A:ACCUM_OFFSET: 0
; COMPUTE_PGM_RSRC3_GFX90A:TG_SPLIT: 0
	.section	.text._ZN7rocprim17ROCPRIM_400000_NS6detail17trampoline_kernelINS0_14default_configENS1_35radix_sort_onesweep_config_selectorItNS0_10empty_typeEEEZNS1_34radix_sort_onesweep_global_offsetsIS3_Lb1EPtPS5_mNS0_19identity_decomposerEEE10hipError_tT1_T2_PT3_SE_jT4_jjP12ihipStream_tbEUlT_E_NS1_11comp_targetILNS1_3genE9ELNS1_11target_archE1100ELNS1_3gpuE3ELNS1_3repE0EEENS1_52radix_sort_onesweep_histogram_config_static_selectorELNS0_4arch9wavefront6targetE1EEEvSC_,"axG",@progbits,_ZN7rocprim17ROCPRIM_400000_NS6detail17trampoline_kernelINS0_14default_configENS1_35radix_sort_onesweep_config_selectorItNS0_10empty_typeEEEZNS1_34radix_sort_onesweep_global_offsetsIS3_Lb1EPtPS5_mNS0_19identity_decomposerEEE10hipError_tT1_T2_PT3_SE_jT4_jjP12ihipStream_tbEUlT_E_NS1_11comp_targetILNS1_3genE9ELNS1_11target_archE1100ELNS1_3gpuE3ELNS1_3repE0EEENS1_52radix_sort_onesweep_histogram_config_static_selectorELNS0_4arch9wavefront6targetE1EEEvSC_,comdat
	.protected	_ZN7rocprim17ROCPRIM_400000_NS6detail17trampoline_kernelINS0_14default_configENS1_35radix_sort_onesweep_config_selectorItNS0_10empty_typeEEEZNS1_34radix_sort_onesweep_global_offsetsIS3_Lb1EPtPS5_mNS0_19identity_decomposerEEE10hipError_tT1_T2_PT3_SE_jT4_jjP12ihipStream_tbEUlT_E_NS1_11comp_targetILNS1_3genE9ELNS1_11target_archE1100ELNS1_3gpuE3ELNS1_3repE0EEENS1_52radix_sort_onesweep_histogram_config_static_selectorELNS0_4arch9wavefront6targetE1EEEvSC_ ; -- Begin function _ZN7rocprim17ROCPRIM_400000_NS6detail17trampoline_kernelINS0_14default_configENS1_35radix_sort_onesweep_config_selectorItNS0_10empty_typeEEEZNS1_34radix_sort_onesweep_global_offsetsIS3_Lb1EPtPS5_mNS0_19identity_decomposerEEE10hipError_tT1_T2_PT3_SE_jT4_jjP12ihipStream_tbEUlT_E_NS1_11comp_targetILNS1_3genE9ELNS1_11target_archE1100ELNS1_3gpuE3ELNS1_3repE0EEENS1_52radix_sort_onesweep_histogram_config_static_selectorELNS0_4arch9wavefront6targetE1EEEvSC_
	.globl	_ZN7rocprim17ROCPRIM_400000_NS6detail17trampoline_kernelINS0_14default_configENS1_35radix_sort_onesweep_config_selectorItNS0_10empty_typeEEEZNS1_34radix_sort_onesweep_global_offsetsIS3_Lb1EPtPS5_mNS0_19identity_decomposerEEE10hipError_tT1_T2_PT3_SE_jT4_jjP12ihipStream_tbEUlT_E_NS1_11comp_targetILNS1_3genE9ELNS1_11target_archE1100ELNS1_3gpuE3ELNS1_3repE0EEENS1_52radix_sort_onesweep_histogram_config_static_selectorELNS0_4arch9wavefront6targetE1EEEvSC_
	.p2align	8
	.type	_ZN7rocprim17ROCPRIM_400000_NS6detail17trampoline_kernelINS0_14default_configENS1_35radix_sort_onesweep_config_selectorItNS0_10empty_typeEEEZNS1_34radix_sort_onesweep_global_offsetsIS3_Lb1EPtPS5_mNS0_19identity_decomposerEEE10hipError_tT1_T2_PT3_SE_jT4_jjP12ihipStream_tbEUlT_E_NS1_11comp_targetILNS1_3genE9ELNS1_11target_archE1100ELNS1_3gpuE3ELNS1_3repE0EEENS1_52radix_sort_onesweep_histogram_config_static_selectorELNS0_4arch9wavefront6targetE1EEEvSC_,@function
_ZN7rocprim17ROCPRIM_400000_NS6detail17trampoline_kernelINS0_14default_configENS1_35radix_sort_onesweep_config_selectorItNS0_10empty_typeEEEZNS1_34radix_sort_onesweep_global_offsetsIS3_Lb1EPtPS5_mNS0_19identity_decomposerEEE10hipError_tT1_T2_PT3_SE_jT4_jjP12ihipStream_tbEUlT_E_NS1_11comp_targetILNS1_3genE9ELNS1_11target_archE1100ELNS1_3gpuE3ELNS1_3repE0EEENS1_52radix_sort_onesweep_histogram_config_static_selectorELNS0_4arch9wavefront6targetE1EEEvSC_: ; @_ZN7rocprim17ROCPRIM_400000_NS6detail17trampoline_kernelINS0_14default_configENS1_35radix_sort_onesweep_config_selectorItNS0_10empty_typeEEEZNS1_34radix_sort_onesweep_global_offsetsIS3_Lb1EPtPS5_mNS0_19identity_decomposerEEE10hipError_tT1_T2_PT3_SE_jT4_jjP12ihipStream_tbEUlT_E_NS1_11comp_targetILNS1_3genE9ELNS1_11target_archE1100ELNS1_3gpuE3ELNS1_3repE0EEENS1_52radix_sort_onesweep_histogram_config_static_selectorELNS0_4arch9wavefront6targetE1EEEvSC_
; %bb.0:
	.section	.rodata,"a",@progbits
	.p2align	6, 0x0
	.amdhsa_kernel _ZN7rocprim17ROCPRIM_400000_NS6detail17trampoline_kernelINS0_14default_configENS1_35radix_sort_onesweep_config_selectorItNS0_10empty_typeEEEZNS1_34radix_sort_onesweep_global_offsetsIS3_Lb1EPtPS5_mNS0_19identity_decomposerEEE10hipError_tT1_T2_PT3_SE_jT4_jjP12ihipStream_tbEUlT_E_NS1_11comp_targetILNS1_3genE9ELNS1_11target_archE1100ELNS1_3gpuE3ELNS1_3repE0EEENS1_52radix_sort_onesweep_histogram_config_static_selectorELNS0_4arch9wavefront6targetE1EEEvSC_
		.amdhsa_group_segment_fixed_size 0
		.amdhsa_private_segment_fixed_size 0
		.amdhsa_kernarg_size 48
		.amdhsa_user_sgpr_count 6
		.amdhsa_user_sgpr_private_segment_buffer 1
		.amdhsa_user_sgpr_dispatch_ptr 0
		.amdhsa_user_sgpr_queue_ptr 0
		.amdhsa_user_sgpr_kernarg_segment_ptr 1
		.amdhsa_user_sgpr_dispatch_id 0
		.amdhsa_user_sgpr_flat_scratch_init 0
		.amdhsa_user_sgpr_kernarg_preload_length 0
		.amdhsa_user_sgpr_kernarg_preload_offset 0
		.amdhsa_user_sgpr_private_segment_size 0
		.amdhsa_uses_dynamic_stack 0
		.amdhsa_system_sgpr_private_segment_wavefront_offset 0
		.amdhsa_system_sgpr_workgroup_id_x 1
		.amdhsa_system_sgpr_workgroup_id_y 0
		.amdhsa_system_sgpr_workgroup_id_z 0
		.amdhsa_system_sgpr_workgroup_info 0
		.amdhsa_system_vgpr_workitem_id 0
		.amdhsa_next_free_vgpr 1
		.amdhsa_next_free_sgpr 0
		.amdhsa_accum_offset 4
		.amdhsa_reserve_vcc 0
		.amdhsa_reserve_flat_scratch 0
		.amdhsa_float_round_mode_32 0
		.amdhsa_float_round_mode_16_64 0
		.amdhsa_float_denorm_mode_32 3
		.amdhsa_float_denorm_mode_16_64 3
		.amdhsa_dx10_clamp 1
		.amdhsa_ieee_mode 1
		.amdhsa_fp16_overflow 0
		.amdhsa_tg_split 0
		.amdhsa_exception_fp_ieee_invalid_op 0
		.amdhsa_exception_fp_denorm_src 0
		.amdhsa_exception_fp_ieee_div_zero 0
		.amdhsa_exception_fp_ieee_overflow 0
		.amdhsa_exception_fp_ieee_underflow 0
		.amdhsa_exception_fp_ieee_inexact 0
		.amdhsa_exception_int_div_zero 0
	.end_amdhsa_kernel
	.section	.text._ZN7rocprim17ROCPRIM_400000_NS6detail17trampoline_kernelINS0_14default_configENS1_35radix_sort_onesweep_config_selectorItNS0_10empty_typeEEEZNS1_34radix_sort_onesweep_global_offsetsIS3_Lb1EPtPS5_mNS0_19identity_decomposerEEE10hipError_tT1_T2_PT3_SE_jT4_jjP12ihipStream_tbEUlT_E_NS1_11comp_targetILNS1_3genE9ELNS1_11target_archE1100ELNS1_3gpuE3ELNS1_3repE0EEENS1_52radix_sort_onesweep_histogram_config_static_selectorELNS0_4arch9wavefront6targetE1EEEvSC_,"axG",@progbits,_ZN7rocprim17ROCPRIM_400000_NS6detail17trampoline_kernelINS0_14default_configENS1_35radix_sort_onesweep_config_selectorItNS0_10empty_typeEEEZNS1_34radix_sort_onesweep_global_offsetsIS3_Lb1EPtPS5_mNS0_19identity_decomposerEEE10hipError_tT1_T2_PT3_SE_jT4_jjP12ihipStream_tbEUlT_E_NS1_11comp_targetILNS1_3genE9ELNS1_11target_archE1100ELNS1_3gpuE3ELNS1_3repE0EEENS1_52radix_sort_onesweep_histogram_config_static_selectorELNS0_4arch9wavefront6targetE1EEEvSC_,comdat
.Lfunc_end1908:
	.size	_ZN7rocprim17ROCPRIM_400000_NS6detail17trampoline_kernelINS0_14default_configENS1_35radix_sort_onesweep_config_selectorItNS0_10empty_typeEEEZNS1_34radix_sort_onesweep_global_offsetsIS3_Lb1EPtPS5_mNS0_19identity_decomposerEEE10hipError_tT1_T2_PT3_SE_jT4_jjP12ihipStream_tbEUlT_E_NS1_11comp_targetILNS1_3genE9ELNS1_11target_archE1100ELNS1_3gpuE3ELNS1_3repE0EEENS1_52radix_sort_onesweep_histogram_config_static_selectorELNS0_4arch9wavefront6targetE1EEEvSC_, .Lfunc_end1908-_ZN7rocprim17ROCPRIM_400000_NS6detail17trampoline_kernelINS0_14default_configENS1_35radix_sort_onesweep_config_selectorItNS0_10empty_typeEEEZNS1_34radix_sort_onesweep_global_offsetsIS3_Lb1EPtPS5_mNS0_19identity_decomposerEEE10hipError_tT1_T2_PT3_SE_jT4_jjP12ihipStream_tbEUlT_E_NS1_11comp_targetILNS1_3genE9ELNS1_11target_archE1100ELNS1_3gpuE3ELNS1_3repE0EEENS1_52radix_sort_onesweep_histogram_config_static_selectorELNS0_4arch9wavefront6targetE1EEEvSC_
                                        ; -- End function
	.section	.AMDGPU.csdata,"",@progbits
; Kernel info:
; codeLenInByte = 0
; NumSgprs: 4
; NumVgprs: 0
; NumAgprs: 0
; TotalNumVgprs: 0
; ScratchSize: 0
; MemoryBound: 0
; FloatMode: 240
; IeeeMode: 1
; LDSByteSize: 0 bytes/workgroup (compile time only)
; SGPRBlocks: 0
; VGPRBlocks: 0
; NumSGPRsForWavesPerEU: 4
; NumVGPRsForWavesPerEU: 1
; AccumOffset: 4
; Occupancy: 8
; WaveLimiterHint : 0
; COMPUTE_PGM_RSRC2:SCRATCH_EN: 0
; COMPUTE_PGM_RSRC2:USER_SGPR: 6
; COMPUTE_PGM_RSRC2:TRAP_HANDLER: 0
; COMPUTE_PGM_RSRC2:TGID_X_EN: 1
; COMPUTE_PGM_RSRC2:TGID_Y_EN: 0
; COMPUTE_PGM_RSRC2:TGID_Z_EN: 0
; COMPUTE_PGM_RSRC2:TIDIG_COMP_CNT: 0
; COMPUTE_PGM_RSRC3_GFX90A:ACCUM_OFFSET: 0
; COMPUTE_PGM_RSRC3_GFX90A:TG_SPLIT: 0
	.section	.text._ZN7rocprim17ROCPRIM_400000_NS6detail17trampoline_kernelINS0_14default_configENS1_35radix_sort_onesweep_config_selectorItNS0_10empty_typeEEEZNS1_34radix_sort_onesweep_global_offsetsIS3_Lb1EPtPS5_mNS0_19identity_decomposerEEE10hipError_tT1_T2_PT3_SE_jT4_jjP12ihipStream_tbEUlT_E_NS1_11comp_targetILNS1_3genE8ELNS1_11target_archE1030ELNS1_3gpuE2ELNS1_3repE0EEENS1_52radix_sort_onesweep_histogram_config_static_selectorELNS0_4arch9wavefront6targetE1EEEvSC_,"axG",@progbits,_ZN7rocprim17ROCPRIM_400000_NS6detail17trampoline_kernelINS0_14default_configENS1_35radix_sort_onesweep_config_selectorItNS0_10empty_typeEEEZNS1_34radix_sort_onesweep_global_offsetsIS3_Lb1EPtPS5_mNS0_19identity_decomposerEEE10hipError_tT1_T2_PT3_SE_jT4_jjP12ihipStream_tbEUlT_E_NS1_11comp_targetILNS1_3genE8ELNS1_11target_archE1030ELNS1_3gpuE2ELNS1_3repE0EEENS1_52radix_sort_onesweep_histogram_config_static_selectorELNS0_4arch9wavefront6targetE1EEEvSC_,comdat
	.protected	_ZN7rocprim17ROCPRIM_400000_NS6detail17trampoline_kernelINS0_14default_configENS1_35radix_sort_onesweep_config_selectorItNS0_10empty_typeEEEZNS1_34radix_sort_onesweep_global_offsetsIS3_Lb1EPtPS5_mNS0_19identity_decomposerEEE10hipError_tT1_T2_PT3_SE_jT4_jjP12ihipStream_tbEUlT_E_NS1_11comp_targetILNS1_3genE8ELNS1_11target_archE1030ELNS1_3gpuE2ELNS1_3repE0EEENS1_52radix_sort_onesweep_histogram_config_static_selectorELNS0_4arch9wavefront6targetE1EEEvSC_ ; -- Begin function _ZN7rocprim17ROCPRIM_400000_NS6detail17trampoline_kernelINS0_14default_configENS1_35radix_sort_onesweep_config_selectorItNS0_10empty_typeEEEZNS1_34radix_sort_onesweep_global_offsetsIS3_Lb1EPtPS5_mNS0_19identity_decomposerEEE10hipError_tT1_T2_PT3_SE_jT4_jjP12ihipStream_tbEUlT_E_NS1_11comp_targetILNS1_3genE8ELNS1_11target_archE1030ELNS1_3gpuE2ELNS1_3repE0EEENS1_52radix_sort_onesweep_histogram_config_static_selectorELNS0_4arch9wavefront6targetE1EEEvSC_
	.globl	_ZN7rocprim17ROCPRIM_400000_NS6detail17trampoline_kernelINS0_14default_configENS1_35radix_sort_onesweep_config_selectorItNS0_10empty_typeEEEZNS1_34radix_sort_onesweep_global_offsetsIS3_Lb1EPtPS5_mNS0_19identity_decomposerEEE10hipError_tT1_T2_PT3_SE_jT4_jjP12ihipStream_tbEUlT_E_NS1_11comp_targetILNS1_3genE8ELNS1_11target_archE1030ELNS1_3gpuE2ELNS1_3repE0EEENS1_52radix_sort_onesweep_histogram_config_static_selectorELNS0_4arch9wavefront6targetE1EEEvSC_
	.p2align	8
	.type	_ZN7rocprim17ROCPRIM_400000_NS6detail17trampoline_kernelINS0_14default_configENS1_35radix_sort_onesweep_config_selectorItNS0_10empty_typeEEEZNS1_34radix_sort_onesweep_global_offsetsIS3_Lb1EPtPS5_mNS0_19identity_decomposerEEE10hipError_tT1_T2_PT3_SE_jT4_jjP12ihipStream_tbEUlT_E_NS1_11comp_targetILNS1_3genE8ELNS1_11target_archE1030ELNS1_3gpuE2ELNS1_3repE0EEENS1_52radix_sort_onesweep_histogram_config_static_selectorELNS0_4arch9wavefront6targetE1EEEvSC_,@function
_ZN7rocprim17ROCPRIM_400000_NS6detail17trampoline_kernelINS0_14default_configENS1_35radix_sort_onesweep_config_selectorItNS0_10empty_typeEEEZNS1_34radix_sort_onesweep_global_offsetsIS3_Lb1EPtPS5_mNS0_19identity_decomposerEEE10hipError_tT1_T2_PT3_SE_jT4_jjP12ihipStream_tbEUlT_E_NS1_11comp_targetILNS1_3genE8ELNS1_11target_archE1030ELNS1_3gpuE2ELNS1_3repE0EEENS1_52radix_sort_onesweep_histogram_config_static_selectorELNS0_4arch9wavefront6targetE1EEEvSC_: ; @_ZN7rocprim17ROCPRIM_400000_NS6detail17trampoline_kernelINS0_14default_configENS1_35radix_sort_onesweep_config_selectorItNS0_10empty_typeEEEZNS1_34radix_sort_onesweep_global_offsetsIS3_Lb1EPtPS5_mNS0_19identity_decomposerEEE10hipError_tT1_T2_PT3_SE_jT4_jjP12ihipStream_tbEUlT_E_NS1_11comp_targetILNS1_3genE8ELNS1_11target_archE1030ELNS1_3gpuE2ELNS1_3repE0EEENS1_52radix_sort_onesweep_histogram_config_static_selectorELNS0_4arch9wavefront6targetE1EEEvSC_
; %bb.0:
	.section	.rodata,"a",@progbits
	.p2align	6, 0x0
	.amdhsa_kernel _ZN7rocprim17ROCPRIM_400000_NS6detail17trampoline_kernelINS0_14default_configENS1_35radix_sort_onesweep_config_selectorItNS0_10empty_typeEEEZNS1_34radix_sort_onesweep_global_offsetsIS3_Lb1EPtPS5_mNS0_19identity_decomposerEEE10hipError_tT1_T2_PT3_SE_jT4_jjP12ihipStream_tbEUlT_E_NS1_11comp_targetILNS1_3genE8ELNS1_11target_archE1030ELNS1_3gpuE2ELNS1_3repE0EEENS1_52radix_sort_onesweep_histogram_config_static_selectorELNS0_4arch9wavefront6targetE1EEEvSC_
		.amdhsa_group_segment_fixed_size 0
		.amdhsa_private_segment_fixed_size 0
		.amdhsa_kernarg_size 48
		.amdhsa_user_sgpr_count 6
		.amdhsa_user_sgpr_private_segment_buffer 1
		.amdhsa_user_sgpr_dispatch_ptr 0
		.amdhsa_user_sgpr_queue_ptr 0
		.amdhsa_user_sgpr_kernarg_segment_ptr 1
		.amdhsa_user_sgpr_dispatch_id 0
		.amdhsa_user_sgpr_flat_scratch_init 0
		.amdhsa_user_sgpr_kernarg_preload_length 0
		.amdhsa_user_sgpr_kernarg_preload_offset 0
		.amdhsa_user_sgpr_private_segment_size 0
		.amdhsa_uses_dynamic_stack 0
		.amdhsa_system_sgpr_private_segment_wavefront_offset 0
		.amdhsa_system_sgpr_workgroup_id_x 1
		.amdhsa_system_sgpr_workgroup_id_y 0
		.amdhsa_system_sgpr_workgroup_id_z 0
		.amdhsa_system_sgpr_workgroup_info 0
		.amdhsa_system_vgpr_workitem_id 0
		.amdhsa_next_free_vgpr 1
		.amdhsa_next_free_sgpr 0
		.amdhsa_accum_offset 4
		.amdhsa_reserve_vcc 0
		.amdhsa_reserve_flat_scratch 0
		.amdhsa_float_round_mode_32 0
		.amdhsa_float_round_mode_16_64 0
		.amdhsa_float_denorm_mode_32 3
		.amdhsa_float_denorm_mode_16_64 3
		.amdhsa_dx10_clamp 1
		.amdhsa_ieee_mode 1
		.amdhsa_fp16_overflow 0
		.amdhsa_tg_split 0
		.amdhsa_exception_fp_ieee_invalid_op 0
		.amdhsa_exception_fp_denorm_src 0
		.amdhsa_exception_fp_ieee_div_zero 0
		.amdhsa_exception_fp_ieee_overflow 0
		.amdhsa_exception_fp_ieee_underflow 0
		.amdhsa_exception_fp_ieee_inexact 0
		.amdhsa_exception_int_div_zero 0
	.end_amdhsa_kernel
	.section	.text._ZN7rocprim17ROCPRIM_400000_NS6detail17trampoline_kernelINS0_14default_configENS1_35radix_sort_onesweep_config_selectorItNS0_10empty_typeEEEZNS1_34radix_sort_onesweep_global_offsetsIS3_Lb1EPtPS5_mNS0_19identity_decomposerEEE10hipError_tT1_T2_PT3_SE_jT4_jjP12ihipStream_tbEUlT_E_NS1_11comp_targetILNS1_3genE8ELNS1_11target_archE1030ELNS1_3gpuE2ELNS1_3repE0EEENS1_52radix_sort_onesweep_histogram_config_static_selectorELNS0_4arch9wavefront6targetE1EEEvSC_,"axG",@progbits,_ZN7rocprim17ROCPRIM_400000_NS6detail17trampoline_kernelINS0_14default_configENS1_35radix_sort_onesweep_config_selectorItNS0_10empty_typeEEEZNS1_34radix_sort_onesweep_global_offsetsIS3_Lb1EPtPS5_mNS0_19identity_decomposerEEE10hipError_tT1_T2_PT3_SE_jT4_jjP12ihipStream_tbEUlT_E_NS1_11comp_targetILNS1_3genE8ELNS1_11target_archE1030ELNS1_3gpuE2ELNS1_3repE0EEENS1_52radix_sort_onesweep_histogram_config_static_selectorELNS0_4arch9wavefront6targetE1EEEvSC_,comdat
.Lfunc_end1909:
	.size	_ZN7rocprim17ROCPRIM_400000_NS6detail17trampoline_kernelINS0_14default_configENS1_35radix_sort_onesweep_config_selectorItNS0_10empty_typeEEEZNS1_34radix_sort_onesweep_global_offsetsIS3_Lb1EPtPS5_mNS0_19identity_decomposerEEE10hipError_tT1_T2_PT3_SE_jT4_jjP12ihipStream_tbEUlT_E_NS1_11comp_targetILNS1_3genE8ELNS1_11target_archE1030ELNS1_3gpuE2ELNS1_3repE0EEENS1_52radix_sort_onesweep_histogram_config_static_selectorELNS0_4arch9wavefront6targetE1EEEvSC_, .Lfunc_end1909-_ZN7rocprim17ROCPRIM_400000_NS6detail17trampoline_kernelINS0_14default_configENS1_35radix_sort_onesweep_config_selectorItNS0_10empty_typeEEEZNS1_34radix_sort_onesweep_global_offsetsIS3_Lb1EPtPS5_mNS0_19identity_decomposerEEE10hipError_tT1_T2_PT3_SE_jT4_jjP12ihipStream_tbEUlT_E_NS1_11comp_targetILNS1_3genE8ELNS1_11target_archE1030ELNS1_3gpuE2ELNS1_3repE0EEENS1_52radix_sort_onesweep_histogram_config_static_selectorELNS0_4arch9wavefront6targetE1EEEvSC_
                                        ; -- End function
	.section	.AMDGPU.csdata,"",@progbits
; Kernel info:
; codeLenInByte = 0
; NumSgprs: 4
; NumVgprs: 0
; NumAgprs: 0
; TotalNumVgprs: 0
; ScratchSize: 0
; MemoryBound: 0
; FloatMode: 240
; IeeeMode: 1
; LDSByteSize: 0 bytes/workgroup (compile time only)
; SGPRBlocks: 0
; VGPRBlocks: 0
; NumSGPRsForWavesPerEU: 4
; NumVGPRsForWavesPerEU: 1
; AccumOffset: 4
; Occupancy: 8
; WaveLimiterHint : 0
; COMPUTE_PGM_RSRC2:SCRATCH_EN: 0
; COMPUTE_PGM_RSRC2:USER_SGPR: 6
; COMPUTE_PGM_RSRC2:TRAP_HANDLER: 0
; COMPUTE_PGM_RSRC2:TGID_X_EN: 1
; COMPUTE_PGM_RSRC2:TGID_Y_EN: 0
; COMPUTE_PGM_RSRC2:TGID_Z_EN: 0
; COMPUTE_PGM_RSRC2:TIDIG_COMP_CNT: 0
; COMPUTE_PGM_RSRC3_GFX90A:ACCUM_OFFSET: 0
; COMPUTE_PGM_RSRC3_GFX90A:TG_SPLIT: 0
	.section	.text._ZN7rocprim17ROCPRIM_400000_NS6detail17trampoline_kernelINS0_14default_configENS1_35radix_sort_onesweep_config_selectorItNS0_10empty_typeEEEZNS1_34radix_sort_onesweep_global_offsetsIS3_Lb1EPtPS5_mNS0_19identity_decomposerEEE10hipError_tT1_T2_PT3_SE_jT4_jjP12ihipStream_tbEUlT_E0_NS1_11comp_targetILNS1_3genE0ELNS1_11target_archE4294967295ELNS1_3gpuE0ELNS1_3repE0EEENS1_52radix_sort_onesweep_histogram_config_static_selectorELNS0_4arch9wavefront6targetE1EEEvSC_,"axG",@progbits,_ZN7rocprim17ROCPRIM_400000_NS6detail17trampoline_kernelINS0_14default_configENS1_35radix_sort_onesweep_config_selectorItNS0_10empty_typeEEEZNS1_34radix_sort_onesweep_global_offsetsIS3_Lb1EPtPS5_mNS0_19identity_decomposerEEE10hipError_tT1_T2_PT3_SE_jT4_jjP12ihipStream_tbEUlT_E0_NS1_11comp_targetILNS1_3genE0ELNS1_11target_archE4294967295ELNS1_3gpuE0ELNS1_3repE0EEENS1_52radix_sort_onesweep_histogram_config_static_selectorELNS0_4arch9wavefront6targetE1EEEvSC_,comdat
	.protected	_ZN7rocprim17ROCPRIM_400000_NS6detail17trampoline_kernelINS0_14default_configENS1_35radix_sort_onesweep_config_selectorItNS0_10empty_typeEEEZNS1_34radix_sort_onesweep_global_offsetsIS3_Lb1EPtPS5_mNS0_19identity_decomposerEEE10hipError_tT1_T2_PT3_SE_jT4_jjP12ihipStream_tbEUlT_E0_NS1_11comp_targetILNS1_3genE0ELNS1_11target_archE4294967295ELNS1_3gpuE0ELNS1_3repE0EEENS1_52radix_sort_onesweep_histogram_config_static_selectorELNS0_4arch9wavefront6targetE1EEEvSC_ ; -- Begin function _ZN7rocprim17ROCPRIM_400000_NS6detail17trampoline_kernelINS0_14default_configENS1_35radix_sort_onesweep_config_selectorItNS0_10empty_typeEEEZNS1_34radix_sort_onesweep_global_offsetsIS3_Lb1EPtPS5_mNS0_19identity_decomposerEEE10hipError_tT1_T2_PT3_SE_jT4_jjP12ihipStream_tbEUlT_E0_NS1_11comp_targetILNS1_3genE0ELNS1_11target_archE4294967295ELNS1_3gpuE0ELNS1_3repE0EEENS1_52radix_sort_onesweep_histogram_config_static_selectorELNS0_4arch9wavefront6targetE1EEEvSC_
	.globl	_ZN7rocprim17ROCPRIM_400000_NS6detail17trampoline_kernelINS0_14default_configENS1_35radix_sort_onesweep_config_selectorItNS0_10empty_typeEEEZNS1_34radix_sort_onesweep_global_offsetsIS3_Lb1EPtPS5_mNS0_19identity_decomposerEEE10hipError_tT1_T2_PT3_SE_jT4_jjP12ihipStream_tbEUlT_E0_NS1_11comp_targetILNS1_3genE0ELNS1_11target_archE4294967295ELNS1_3gpuE0ELNS1_3repE0EEENS1_52radix_sort_onesweep_histogram_config_static_selectorELNS0_4arch9wavefront6targetE1EEEvSC_
	.p2align	8
	.type	_ZN7rocprim17ROCPRIM_400000_NS6detail17trampoline_kernelINS0_14default_configENS1_35radix_sort_onesweep_config_selectorItNS0_10empty_typeEEEZNS1_34radix_sort_onesweep_global_offsetsIS3_Lb1EPtPS5_mNS0_19identity_decomposerEEE10hipError_tT1_T2_PT3_SE_jT4_jjP12ihipStream_tbEUlT_E0_NS1_11comp_targetILNS1_3genE0ELNS1_11target_archE4294967295ELNS1_3gpuE0ELNS1_3repE0EEENS1_52radix_sort_onesweep_histogram_config_static_selectorELNS0_4arch9wavefront6targetE1EEEvSC_,@function
_ZN7rocprim17ROCPRIM_400000_NS6detail17trampoline_kernelINS0_14default_configENS1_35radix_sort_onesweep_config_selectorItNS0_10empty_typeEEEZNS1_34radix_sort_onesweep_global_offsetsIS3_Lb1EPtPS5_mNS0_19identity_decomposerEEE10hipError_tT1_T2_PT3_SE_jT4_jjP12ihipStream_tbEUlT_E0_NS1_11comp_targetILNS1_3genE0ELNS1_11target_archE4294967295ELNS1_3gpuE0ELNS1_3repE0EEENS1_52radix_sort_onesweep_histogram_config_static_selectorELNS0_4arch9wavefront6targetE1EEEvSC_: ; @_ZN7rocprim17ROCPRIM_400000_NS6detail17trampoline_kernelINS0_14default_configENS1_35radix_sort_onesweep_config_selectorItNS0_10empty_typeEEEZNS1_34radix_sort_onesweep_global_offsetsIS3_Lb1EPtPS5_mNS0_19identity_decomposerEEE10hipError_tT1_T2_PT3_SE_jT4_jjP12ihipStream_tbEUlT_E0_NS1_11comp_targetILNS1_3genE0ELNS1_11target_archE4294967295ELNS1_3gpuE0ELNS1_3repE0EEENS1_52radix_sort_onesweep_histogram_config_static_selectorELNS0_4arch9wavefront6targetE1EEEvSC_
; %bb.0:
	.section	.rodata,"a",@progbits
	.p2align	6, 0x0
	.amdhsa_kernel _ZN7rocprim17ROCPRIM_400000_NS6detail17trampoline_kernelINS0_14default_configENS1_35radix_sort_onesweep_config_selectorItNS0_10empty_typeEEEZNS1_34radix_sort_onesweep_global_offsetsIS3_Lb1EPtPS5_mNS0_19identity_decomposerEEE10hipError_tT1_T2_PT3_SE_jT4_jjP12ihipStream_tbEUlT_E0_NS1_11comp_targetILNS1_3genE0ELNS1_11target_archE4294967295ELNS1_3gpuE0ELNS1_3repE0EEENS1_52radix_sort_onesweep_histogram_config_static_selectorELNS0_4arch9wavefront6targetE1EEEvSC_
		.amdhsa_group_segment_fixed_size 0
		.amdhsa_private_segment_fixed_size 0
		.amdhsa_kernarg_size 8
		.amdhsa_user_sgpr_count 6
		.amdhsa_user_sgpr_private_segment_buffer 1
		.amdhsa_user_sgpr_dispatch_ptr 0
		.amdhsa_user_sgpr_queue_ptr 0
		.amdhsa_user_sgpr_kernarg_segment_ptr 1
		.amdhsa_user_sgpr_dispatch_id 0
		.amdhsa_user_sgpr_flat_scratch_init 0
		.amdhsa_user_sgpr_kernarg_preload_length 0
		.amdhsa_user_sgpr_kernarg_preload_offset 0
		.amdhsa_user_sgpr_private_segment_size 0
		.amdhsa_uses_dynamic_stack 0
		.amdhsa_system_sgpr_private_segment_wavefront_offset 0
		.amdhsa_system_sgpr_workgroup_id_x 1
		.amdhsa_system_sgpr_workgroup_id_y 0
		.amdhsa_system_sgpr_workgroup_id_z 0
		.amdhsa_system_sgpr_workgroup_info 0
		.amdhsa_system_vgpr_workitem_id 0
		.amdhsa_next_free_vgpr 1
		.amdhsa_next_free_sgpr 0
		.amdhsa_accum_offset 4
		.amdhsa_reserve_vcc 0
		.amdhsa_reserve_flat_scratch 0
		.amdhsa_float_round_mode_32 0
		.amdhsa_float_round_mode_16_64 0
		.amdhsa_float_denorm_mode_32 3
		.amdhsa_float_denorm_mode_16_64 3
		.amdhsa_dx10_clamp 1
		.amdhsa_ieee_mode 1
		.amdhsa_fp16_overflow 0
		.amdhsa_tg_split 0
		.amdhsa_exception_fp_ieee_invalid_op 0
		.amdhsa_exception_fp_denorm_src 0
		.amdhsa_exception_fp_ieee_div_zero 0
		.amdhsa_exception_fp_ieee_overflow 0
		.amdhsa_exception_fp_ieee_underflow 0
		.amdhsa_exception_fp_ieee_inexact 0
		.amdhsa_exception_int_div_zero 0
	.end_amdhsa_kernel
	.section	.text._ZN7rocprim17ROCPRIM_400000_NS6detail17trampoline_kernelINS0_14default_configENS1_35radix_sort_onesweep_config_selectorItNS0_10empty_typeEEEZNS1_34radix_sort_onesweep_global_offsetsIS3_Lb1EPtPS5_mNS0_19identity_decomposerEEE10hipError_tT1_T2_PT3_SE_jT4_jjP12ihipStream_tbEUlT_E0_NS1_11comp_targetILNS1_3genE0ELNS1_11target_archE4294967295ELNS1_3gpuE0ELNS1_3repE0EEENS1_52radix_sort_onesweep_histogram_config_static_selectorELNS0_4arch9wavefront6targetE1EEEvSC_,"axG",@progbits,_ZN7rocprim17ROCPRIM_400000_NS6detail17trampoline_kernelINS0_14default_configENS1_35radix_sort_onesweep_config_selectorItNS0_10empty_typeEEEZNS1_34radix_sort_onesweep_global_offsetsIS3_Lb1EPtPS5_mNS0_19identity_decomposerEEE10hipError_tT1_T2_PT3_SE_jT4_jjP12ihipStream_tbEUlT_E0_NS1_11comp_targetILNS1_3genE0ELNS1_11target_archE4294967295ELNS1_3gpuE0ELNS1_3repE0EEENS1_52radix_sort_onesweep_histogram_config_static_selectorELNS0_4arch9wavefront6targetE1EEEvSC_,comdat
.Lfunc_end1910:
	.size	_ZN7rocprim17ROCPRIM_400000_NS6detail17trampoline_kernelINS0_14default_configENS1_35radix_sort_onesweep_config_selectorItNS0_10empty_typeEEEZNS1_34radix_sort_onesweep_global_offsetsIS3_Lb1EPtPS5_mNS0_19identity_decomposerEEE10hipError_tT1_T2_PT3_SE_jT4_jjP12ihipStream_tbEUlT_E0_NS1_11comp_targetILNS1_3genE0ELNS1_11target_archE4294967295ELNS1_3gpuE0ELNS1_3repE0EEENS1_52radix_sort_onesweep_histogram_config_static_selectorELNS0_4arch9wavefront6targetE1EEEvSC_, .Lfunc_end1910-_ZN7rocprim17ROCPRIM_400000_NS6detail17trampoline_kernelINS0_14default_configENS1_35radix_sort_onesweep_config_selectorItNS0_10empty_typeEEEZNS1_34radix_sort_onesweep_global_offsetsIS3_Lb1EPtPS5_mNS0_19identity_decomposerEEE10hipError_tT1_T2_PT3_SE_jT4_jjP12ihipStream_tbEUlT_E0_NS1_11comp_targetILNS1_3genE0ELNS1_11target_archE4294967295ELNS1_3gpuE0ELNS1_3repE0EEENS1_52radix_sort_onesweep_histogram_config_static_selectorELNS0_4arch9wavefront6targetE1EEEvSC_
                                        ; -- End function
	.section	.AMDGPU.csdata,"",@progbits
; Kernel info:
; codeLenInByte = 0
; NumSgprs: 4
; NumVgprs: 0
; NumAgprs: 0
; TotalNumVgprs: 0
; ScratchSize: 0
; MemoryBound: 0
; FloatMode: 240
; IeeeMode: 1
; LDSByteSize: 0 bytes/workgroup (compile time only)
; SGPRBlocks: 0
; VGPRBlocks: 0
; NumSGPRsForWavesPerEU: 4
; NumVGPRsForWavesPerEU: 1
; AccumOffset: 4
; Occupancy: 8
; WaveLimiterHint : 0
; COMPUTE_PGM_RSRC2:SCRATCH_EN: 0
; COMPUTE_PGM_RSRC2:USER_SGPR: 6
; COMPUTE_PGM_RSRC2:TRAP_HANDLER: 0
; COMPUTE_PGM_RSRC2:TGID_X_EN: 1
; COMPUTE_PGM_RSRC2:TGID_Y_EN: 0
; COMPUTE_PGM_RSRC2:TGID_Z_EN: 0
; COMPUTE_PGM_RSRC2:TIDIG_COMP_CNT: 0
; COMPUTE_PGM_RSRC3_GFX90A:ACCUM_OFFSET: 0
; COMPUTE_PGM_RSRC3_GFX90A:TG_SPLIT: 0
	.section	.text._ZN7rocprim17ROCPRIM_400000_NS6detail17trampoline_kernelINS0_14default_configENS1_35radix_sort_onesweep_config_selectorItNS0_10empty_typeEEEZNS1_34radix_sort_onesweep_global_offsetsIS3_Lb1EPtPS5_mNS0_19identity_decomposerEEE10hipError_tT1_T2_PT3_SE_jT4_jjP12ihipStream_tbEUlT_E0_NS1_11comp_targetILNS1_3genE6ELNS1_11target_archE950ELNS1_3gpuE13ELNS1_3repE0EEENS1_52radix_sort_onesweep_histogram_config_static_selectorELNS0_4arch9wavefront6targetE1EEEvSC_,"axG",@progbits,_ZN7rocprim17ROCPRIM_400000_NS6detail17trampoline_kernelINS0_14default_configENS1_35radix_sort_onesweep_config_selectorItNS0_10empty_typeEEEZNS1_34radix_sort_onesweep_global_offsetsIS3_Lb1EPtPS5_mNS0_19identity_decomposerEEE10hipError_tT1_T2_PT3_SE_jT4_jjP12ihipStream_tbEUlT_E0_NS1_11comp_targetILNS1_3genE6ELNS1_11target_archE950ELNS1_3gpuE13ELNS1_3repE0EEENS1_52radix_sort_onesweep_histogram_config_static_selectorELNS0_4arch9wavefront6targetE1EEEvSC_,comdat
	.protected	_ZN7rocprim17ROCPRIM_400000_NS6detail17trampoline_kernelINS0_14default_configENS1_35radix_sort_onesweep_config_selectorItNS0_10empty_typeEEEZNS1_34radix_sort_onesweep_global_offsetsIS3_Lb1EPtPS5_mNS0_19identity_decomposerEEE10hipError_tT1_T2_PT3_SE_jT4_jjP12ihipStream_tbEUlT_E0_NS1_11comp_targetILNS1_3genE6ELNS1_11target_archE950ELNS1_3gpuE13ELNS1_3repE0EEENS1_52radix_sort_onesweep_histogram_config_static_selectorELNS0_4arch9wavefront6targetE1EEEvSC_ ; -- Begin function _ZN7rocprim17ROCPRIM_400000_NS6detail17trampoline_kernelINS0_14default_configENS1_35radix_sort_onesweep_config_selectorItNS0_10empty_typeEEEZNS1_34radix_sort_onesweep_global_offsetsIS3_Lb1EPtPS5_mNS0_19identity_decomposerEEE10hipError_tT1_T2_PT3_SE_jT4_jjP12ihipStream_tbEUlT_E0_NS1_11comp_targetILNS1_3genE6ELNS1_11target_archE950ELNS1_3gpuE13ELNS1_3repE0EEENS1_52radix_sort_onesweep_histogram_config_static_selectorELNS0_4arch9wavefront6targetE1EEEvSC_
	.globl	_ZN7rocprim17ROCPRIM_400000_NS6detail17trampoline_kernelINS0_14default_configENS1_35radix_sort_onesweep_config_selectorItNS0_10empty_typeEEEZNS1_34radix_sort_onesweep_global_offsetsIS3_Lb1EPtPS5_mNS0_19identity_decomposerEEE10hipError_tT1_T2_PT3_SE_jT4_jjP12ihipStream_tbEUlT_E0_NS1_11comp_targetILNS1_3genE6ELNS1_11target_archE950ELNS1_3gpuE13ELNS1_3repE0EEENS1_52radix_sort_onesweep_histogram_config_static_selectorELNS0_4arch9wavefront6targetE1EEEvSC_
	.p2align	8
	.type	_ZN7rocprim17ROCPRIM_400000_NS6detail17trampoline_kernelINS0_14default_configENS1_35radix_sort_onesweep_config_selectorItNS0_10empty_typeEEEZNS1_34radix_sort_onesweep_global_offsetsIS3_Lb1EPtPS5_mNS0_19identity_decomposerEEE10hipError_tT1_T2_PT3_SE_jT4_jjP12ihipStream_tbEUlT_E0_NS1_11comp_targetILNS1_3genE6ELNS1_11target_archE950ELNS1_3gpuE13ELNS1_3repE0EEENS1_52radix_sort_onesweep_histogram_config_static_selectorELNS0_4arch9wavefront6targetE1EEEvSC_,@function
_ZN7rocprim17ROCPRIM_400000_NS6detail17trampoline_kernelINS0_14default_configENS1_35radix_sort_onesweep_config_selectorItNS0_10empty_typeEEEZNS1_34radix_sort_onesweep_global_offsetsIS3_Lb1EPtPS5_mNS0_19identity_decomposerEEE10hipError_tT1_T2_PT3_SE_jT4_jjP12ihipStream_tbEUlT_E0_NS1_11comp_targetILNS1_3genE6ELNS1_11target_archE950ELNS1_3gpuE13ELNS1_3repE0EEENS1_52radix_sort_onesweep_histogram_config_static_selectorELNS0_4arch9wavefront6targetE1EEEvSC_: ; @_ZN7rocprim17ROCPRIM_400000_NS6detail17trampoline_kernelINS0_14default_configENS1_35radix_sort_onesweep_config_selectorItNS0_10empty_typeEEEZNS1_34radix_sort_onesweep_global_offsetsIS3_Lb1EPtPS5_mNS0_19identity_decomposerEEE10hipError_tT1_T2_PT3_SE_jT4_jjP12ihipStream_tbEUlT_E0_NS1_11comp_targetILNS1_3genE6ELNS1_11target_archE950ELNS1_3gpuE13ELNS1_3repE0EEENS1_52radix_sort_onesweep_histogram_config_static_selectorELNS0_4arch9wavefront6targetE1EEEvSC_
; %bb.0:
	.section	.rodata,"a",@progbits
	.p2align	6, 0x0
	.amdhsa_kernel _ZN7rocprim17ROCPRIM_400000_NS6detail17trampoline_kernelINS0_14default_configENS1_35radix_sort_onesweep_config_selectorItNS0_10empty_typeEEEZNS1_34radix_sort_onesweep_global_offsetsIS3_Lb1EPtPS5_mNS0_19identity_decomposerEEE10hipError_tT1_T2_PT3_SE_jT4_jjP12ihipStream_tbEUlT_E0_NS1_11comp_targetILNS1_3genE6ELNS1_11target_archE950ELNS1_3gpuE13ELNS1_3repE0EEENS1_52radix_sort_onesweep_histogram_config_static_selectorELNS0_4arch9wavefront6targetE1EEEvSC_
		.amdhsa_group_segment_fixed_size 0
		.amdhsa_private_segment_fixed_size 0
		.amdhsa_kernarg_size 8
		.amdhsa_user_sgpr_count 6
		.amdhsa_user_sgpr_private_segment_buffer 1
		.amdhsa_user_sgpr_dispatch_ptr 0
		.amdhsa_user_sgpr_queue_ptr 0
		.amdhsa_user_sgpr_kernarg_segment_ptr 1
		.amdhsa_user_sgpr_dispatch_id 0
		.amdhsa_user_sgpr_flat_scratch_init 0
		.amdhsa_user_sgpr_kernarg_preload_length 0
		.amdhsa_user_sgpr_kernarg_preload_offset 0
		.amdhsa_user_sgpr_private_segment_size 0
		.amdhsa_uses_dynamic_stack 0
		.amdhsa_system_sgpr_private_segment_wavefront_offset 0
		.amdhsa_system_sgpr_workgroup_id_x 1
		.amdhsa_system_sgpr_workgroup_id_y 0
		.amdhsa_system_sgpr_workgroup_id_z 0
		.amdhsa_system_sgpr_workgroup_info 0
		.amdhsa_system_vgpr_workitem_id 0
		.amdhsa_next_free_vgpr 1
		.amdhsa_next_free_sgpr 0
		.amdhsa_accum_offset 4
		.amdhsa_reserve_vcc 0
		.amdhsa_reserve_flat_scratch 0
		.amdhsa_float_round_mode_32 0
		.amdhsa_float_round_mode_16_64 0
		.amdhsa_float_denorm_mode_32 3
		.amdhsa_float_denorm_mode_16_64 3
		.amdhsa_dx10_clamp 1
		.amdhsa_ieee_mode 1
		.amdhsa_fp16_overflow 0
		.amdhsa_tg_split 0
		.amdhsa_exception_fp_ieee_invalid_op 0
		.amdhsa_exception_fp_denorm_src 0
		.amdhsa_exception_fp_ieee_div_zero 0
		.amdhsa_exception_fp_ieee_overflow 0
		.amdhsa_exception_fp_ieee_underflow 0
		.amdhsa_exception_fp_ieee_inexact 0
		.amdhsa_exception_int_div_zero 0
	.end_amdhsa_kernel
	.section	.text._ZN7rocprim17ROCPRIM_400000_NS6detail17trampoline_kernelINS0_14default_configENS1_35radix_sort_onesweep_config_selectorItNS0_10empty_typeEEEZNS1_34radix_sort_onesweep_global_offsetsIS3_Lb1EPtPS5_mNS0_19identity_decomposerEEE10hipError_tT1_T2_PT3_SE_jT4_jjP12ihipStream_tbEUlT_E0_NS1_11comp_targetILNS1_3genE6ELNS1_11target_archE950ELNS1_3gpuE13ELNS1_3repE0EEENS1_52radix_sort_onesweep_histogram_config_static_selectorELNS0_4arch9wavefront6targetE1EEEvSC_,"axG",@progbits,_ZN7rocprim17ROCPRIM_400000_NS6detail17trampoline_kernelINS0_14default_configENS1_35radix_sort_onesweep_config_selectorItNS0_10empty_typeEEEZNS1_34radix_sort_onesweep_global_offsetsIS3_Lb1EPtPS5_mNS0_19identity_decomposerEEE10hipError_tT1_T2_PT3_SE_jT4_jjP12ihipStream_tbEUlT_E0_NS1_11comp_targetILNS1_3genE6ELNS1_11target_archE950ELNS1_3gpuE13ELNS1_3repE0EEENS1_52radix_sort_onesweep_histogram_config_static_selectorELNS0_4arch9wavefront6targetE1EEEvSC_,comdat
.Lfunc_end1911:
	.size	_ZN7rocprim17ROCPRIM_400000_NS6detail17trampoline_kernelINS0_14default_configENS1_35radix_sort_onesweep_config_selectorItNS0_10empty_typeEEEZNS1_34radix_sort_onesweep_global_offsetsIS3_Lb1EPtPS5_mNS0_19identity_decomposerEEE10hipError_tT1_T2_PT3_SE_jT4_jjP12ihipStream_tbEUlT_E0_NS1_11comp_targetILNS1_3genE6ELNS1_11target_archE950ELNS1_3gpuE13ELNS1_3repE0EEENS1_52radix_sort_onesweep_histogram_config_static_selectorELNS0_4arch9wavefront6targetE1EEEvSC_, .Lfunc_end1911-_ZN7rocprim17ROCPRIM_400000_NS6detail17trampoline_kernelINS0_14default_configENS1_35radix_sort_onesweep_config_selectorItNS0_10empty_typeEEEZNS1_34radix_sort_onesweep_global_offsetsIS3_Lb1EPtPS5_mNS0_19identity_decomposerEEE10hipError_tT1_T2_PT3_SE_jT4_jjP12ihipStream_tbEUlT_E0_NS1_11comp_targetILNS1_3genE6ELNS1_11target_archE950ELNS1_3gpuE13ELNS1_3repE0EEENS1_52radix_sort_onesweep_histogram_config_static_selectorELNS0_4arch9wavefront6targetE1EEEvSC_
                                        ; -- End function
	.section	.AMDGPU.csdata,"",@progbits
; Kernel info:
; codeLenInByte = 0
; NumSgprs: 4
; NumVgprs: 0
; NumAgprs: 0
; TotalNumVgprs: 0
; ScratchSize: 0
; MemoryBound: 0
; FloatMode: 240
; IeeeMode: 1
; LDSByteSize: 0 bytes/workgroup (compile time only)
; SGPRBlocks: 0
; VGPRBlocks: 0
; NumSGPRsForWavesPerEU: 4
; NumVGPRsForWavesPerEU: 1
; AccumOffset: 4
; Occupancy: 8
; WaveLimiterHint : 0
; COMPUTE_PGM_RSRC2:SCRATCH_EN: 0
; COMPUTE_PGM_RSRC2:USER_SGPR: 6
; COMPUTE_PGM_RSRC2:TRAP_HANDLER: 0
; COMPUTE_PGM_RSRC2:TGID_X_EN: 1
; COMPUTE_PGM_RSRC2:TGID_Y_EN: 0
; COMPUTE_PGM_RSRC2:TGID_Z_EN: 0
; COMPUTE_PGM_RSRC2:TIDIG_COMP_CNT: 0
; COMPUTE_PGM_RSRC3_GFX90A:ACCUM_OFFSET: 0
; COMPUTE_PGM_RSRC3_GFX90A:TG_SPLIT: 0
	.section	.text._ZN7rocprim17ROCPRIM_400000_NS6detail17trampoline_kernelINS0_14default_configENS1_35radix_sort_onesweep_config_selectorItNS0_10empty_typeEEEZNS1_34radix_sort_onesweep_global_offsetsIS3_Lb1EPtPS5_mNS0_19identity_decomposerEEE10hipError_tT1_T2_PT3_SE_jT4_jjP12ihipStream_tbEUlT_E0_NS1_11comp_targetILNS1_3genE5ELNS1_11target_archE942ELNS1_3gpuE9ELNS1_3repE0EEENS1_52radix_sort_onesweep_histogram_config_static_selectorELNS0_4arch9wavefront6targetE1EEEvSC_,"axG",@progbits,_ZN7rocprim17ROCPRIM_400000_NS6detail17trampoline_kernelINS0_14default_configENS1_35radix_sort_onesweep_config_selectorItNS0_10empty_typeEEEZNS1_34radix_sort_onesweep_global_offsetsIS3_Lb1EPtPS5_mNS0_19identity_decomposerEEE10hipError_tT1_T2_PT3_SE_jT4_jjP12ihipStream_tbEUlT_E0_NS1_11comp_targetILNS1_3genE5ELNS1_11target_archE942ELNS1_3gpuE9ELNS1_3repE0EEENS1_52radix_sort_onesweep_histogram_config_static_selectorELNS0_4arch9wavefront6targetE1EEEvSC_,comdat
	.protected	_ZN7rocprim17ROCPRIM_400000_NS6detail17trampoline_kernelINS0_14default_configENS1_35radix_sort_onesweep_config_selectorItNS0_10empty_typeEEEZNS1_34radix_sort_onesweep_global_offsetsIS3_Lb1EPtPS5_mNS0_19identity_decomposerEEE10hipError_tT1_T2_PT3_SE_jT4_jjP12ihipStream_tbEUlT_E0_NS1_11comp_targetILNS1_3genE5ELNS1_11target_archE942ELNS1_3gpuE9ELNS1_3repE0EEENS1_52radix_sort_onesweep_histogram_config_static_selectorELNS0_4arch9wavefront6targetE1EEEvSC_ ; -- Begin function _ZN7rocprim17ROCPRIM_400000_NS6detail17trampoline_kernelINS0_14default_configENS1_35radix_sort_onesweep_config_selectorItNS0_10empty_typeEEEZNS1_34radix_sort_onesweep_global_offsetsIS3_Lb1EPtPS5_mNS0_19identity_decomposerEEE10hipError_tT1_T2_PT3_SE_jT4_jjP12ihipStream_tbEUlT_E0_NS1_11comp_targetILNS1_3genE5ELNS1_11target_archE942ELNS1_3gpuE9ELNS1_3repE0EEENS1_52radix_sort_onesweep_histogram_config_static_selectorELNS0_4arch9wavefront6targetE1EEEvSC_
	.globl	_ZN7rocprim17ROCPRIM_400000_NS6detail17trampoline_kernelINS0_14default_configENS1_35radix_sort_onesweep_config_selectorItNS0_10empty_typeEEEZNS1_34radix_sort_onesweep_global_offsetsIS3_Lb1EPtPS5_mNS0_19identity_decomposerEEE10hipError_tT1_T2_PT3_SE_jT4_jjP12ihipStream_tbEUlT_E0_NS1_11comp_targetILNS1_3genE5ELNS1_11target_archE942ELNS1_3gpuE9ELNS1_3repE0EEENS1_52radix_sort_onesweep_histogram_config_static_selectorELNS0_4arch9wavefront6targetE1EEEvSC_
	.p2align	8
	.type	_ZN7rocprim17ROCPRIM_400000_NS6detail17trampoline_kernelINS0_14default_configENS1_35radix_sort_onesweep_config_selectorItNS0_10empty_typeEEEZNS1_34radix_sort_onesweep_global_offsetsIS3_Lb1EPtPS5_mNS0_19identity_decomposerEEE10hipError_tT1_T2_PT3_SE_jT4_jjP12ihipStream_tbEUlT_E0_NS1_11comp_targetILNS1_3genE5ELNS1_11target_archE942ELNS1_3gpuE9ELNS1_3repE0EEENS1_52radix_sort_onesweep_histogram_config_static_selectorELNS0_4arch9wavefront6targetE1EEEvSC_,@function
_ZN7rocprim17ROCPRIM_400000_NS6detail17trampoline_kernelINS0_14default_configENS1_35radix_sort_onesweep_config_selectorItNS0_10empty_typeEEEZNS1_34radix_sort_onesweep_global_offsetsIS3_Lb1EPtPS5_mNS0_19identity_decomposerEEE10hipError_tT1_T2_PT3_SE_jT4_jjP12ihipStream_tbEUlT_E0_NS1_11comp_targetILNS1_3genE5ELNS1_11target_archE942ELNS1_3gpuE9ELNS1_3repE0EEENS1_52radix_sort_onesweep_histogram_config_static_selectorELNS0_4arch9wavefront6targetE1EEEvSC_: ; @_ZN7rocprim17ROCPRIM_400000_NS6detail17trampoline_kernelINS0_14default_configENS1_35radix_sort_onesweep_config_selectorItNS0_10empty_typeEEEZNS1_34radix_sort_onesweep_global_offsetsIS3_Lb1EPtPS5_mNS0_19identity_decomposerEEE10hipError_tT1_T2_PT3_SE_jT4_jjP12ihipStream_tbEUlT_E0_NS1_11comp_targetILNS1_3genE5ELNS1_11target_archE942ELNS1_3gpuE9ELNS1_3repE0EEENS1_52radix_sort_onesweep_histogram_config_static_selectorELNS0_4arch9wavefront6targetE1EEEvSC_
; %bb.0:
	.section	.rodata,"a",@progbits
	.p2align	6, 0x0
	.amdhsa_kernel _ZN7rocprim17ROCPRIM_400000_NS6detail17trampoline_kernelINS0_14default_configENS1_35radix_sort_onesweep_config_selectorItNS0_10empty_typeEEEZNS1_34radix_sort_onesweep_global_offsetsIS3_Lb1EPtPS5_mNS0_19identity_decomposerEEE10hipError_tT1_T2_PT3_SE_jT4_jjP12ihipStream_tbEUlT_E0_NS1_11comp_targetILNS1_3genE5ELNS1_11target_archE942ELNS1_3gpuE9ELNS1_3repE0EEENS1_52radix_sort_onesweep_histogram_config_static_selectorELNS0_4arch9wavefront6targetE1EEEvSC_
		.amdhsa_group_segment_fixed_size 0
		.amdhsa_private_segment_fixed_size 0
		.amdhsa_kernarg_size 8
		.amdhsa_user_sgpr_count 6
		.amdhsa_user_sgpr_private_segment_buffer 1
		.amdhsa_user_sgpr_dispatch_ptr 0
		.amdhsa_user_sgpr_queue_ptr 0
		.amdhsa_user_sgpr_kernarg_segment_ptr 1
		.amdhsa_user_sgpr_dispatch_id 0
		.amdhsa_user_sgpr_flat_scratch_init 0
		.amdhsa_user_sgpr_kernarg_preload_length 0
		.amdhsa_user_sgpr_kernarg_preload_offset 0
		.amdhsa_user_sgpr_private_segment_size 0
		.amdhsa_uses_dynamic_stack 0
		.amdhsa_system_sgpr_private_segment_wavefront_offset 0
		.amdhsa_system_sgpr_workgroup_id_x 1
		.amdhsa_system_sgpr_workgroup_id_y 0
		.amdhsa_system_sgpr_workgroup_id_z 0
		.amdhsa_system_sgpr_workgroup_info 0
		.amdhsa_system_vgpr_workitem_id 0
		.amdhsa_next_free_vgpr 1
		.amdhsa_next_free_sgpr 0
		.amdhsa_accum_offset 4
		.amdhsa_reserve_vcc 0
		.amdhsa_reserve_flat_scratch 0
		.amdhsa_float_round_mode_32 0
		.amdhsa_float_round_mode_16_64 0
		.amdhsa_float_denorm_mode_32 3
		.amdhsa_float_denorm_mode_16_64 3
		.amdhsa_dx10_clamp 1
		.amdhsa_ieee_mode 1
		.amdhsa_fp16_overflow 0
		.amdhsa_tg_split 0
		.amdhsa_exception_fp_ieee_invalid_op 0
		.amdhsa_exception_fp_denorm_src 0
		.amdhsa_exception_fp_ieee_div_zero 0
		.amdhsa_exception_fp_ieee_overflow 0
		.amdhsa_exception_fp_ieee_underflow 0
		.amdhsa_exception_fp_ieee_inexact 0
		.amdhsa_exception_int_div_zero 0
	.end_amdhsa_kernel
	.section	.text._ZN7rocprim17ROCPRIM_400000_NS6detail17trampoline_kernelINS0_14default_configENS1_35radix_sort_onesweep_config_selectorItNS0_10empty_typeEEEZNS1_34radix_sort_onesweep_global_offsetsIS3_Lb1EPtPS5_mNS0_19identity_decomposerEEE10hipError_tT1_T2_PT3_SE_jT4_jjP12ihipStream_tbEUlT_E0_NS1_11comp_targetILNS1_3genE5ELNS1_11target_archE942ELNS1_3gpuE9ELNS1_3repE0EEENS1_52radix_sort_onesweep_histogram_config_static_selectorELNS0_4arch9wavefront6targetE1EEEvSC_,"axG",@progbits,_ZN7rocprim17ROCPRIM_400000_NS6detail17trampoline_kernelINS0_14default_configENS1_35radix_sort_onesweep_config_selectorItNS0_10empty_typeEEEZNS1_34radix_sort_onesweep_global_offsetsIS3_Lb1EPtPS5_mNS0_19identity_decomposerEEE10hipError_tT1_T2_PT3_SE_jT4_jjP12ihipStream_tbEUlT_E0_NS1_11comp_targetILNS1_3genE5ELNS1_11target_archE942ELNS1_3gpuE9ELNS1_3repE0EEENS1_52radix_sort_onesweep_histogram_config_static_selectorELNS0_4arch9wavefront6targetE1EEEvSC_,comdat
.Lfunc_end1912:
	.size	_ZN7rocprim17ROCPRIM_400000_NS6detail17trampoline_kernelINS0_14default_configENS1_35radix_sort_onesweep_config_selectorItNS0_10empty_typeEEEZNS1_34radix_sort_onesweep_global_offsetsIS3_Lb1EPtPS5_mNS0_19identity_decomposerEEE10hipError_tT1_T2_PT3_SE_jT4_jjP12ihipStream_tbEUlT_E0_NS1_11comp_targetILNS1_3genE5ELNS1_11target_archE942ELNS1_3gpuE9ELNS1_3repE0EEENS1_52radix_sort_onesweep_histogram_config_static_selectorELNS0_4arch9wavefront6targetE1EEEvSC_, .Lfunc_end1912-_ZN7rocprim17ROCPRIM_400000_NS6detail17trampoline_kernelINS0_14default_configENS1_35radix_sort_onesweep_config_selectorItNS0_10empty_typeEEEZNS1_34radix_sort_onesweep_global_offsetsIS3_Lb1EPtPS5_mNS0_19identity_decomposerEEE10hipError_tT1_T2_PT3_SE_jT4_jjP12ihipStream_tbEUlT_E0_NS1_11comp_targetILNS1_3genE5ELNS1_11target_archE942ELNS1_3gpuE9ELNS1_3repE0EEENS1_52radix_sort_onesweep_histogram_config_static_selectorELNS0_4arch9wavefront6targetE1EEEvSC_
                                        ; -- End function
	.section	.AMDGPU.csdata,"",@progbits
; Kernel info:
; codeLenInByte = 0
; NumSgprs: 4
; NumVgprs: 0
; NumAgprs: 0
; TotalNumVgprs: 0
; ScratchSize: 0
; MemoryBound: 0
; FloatMode: 240
; IeeeMode: 1
; LDSByteSize: 0 bytes/workgroup (compile time only)
; SGPRBlocks: 0
; VGPRBlocks: 0
; NumSGPRsForWavesPerEU: 4
; NumVGPRsForWavesPerEU: 1
; AccumOffset: 4
; Occupancy: 8
; WaveLimiterHint : 0
; COMPUTE_PGM_RSRC2:SCRATCH_EN: 0
; COMPUTE_PGM_RSRC2:USER_SGPR: 6
; COMPUTE_PGM_RSRC2:TRAP_HANDLER: 0
; COMPUTE_PGM_RSRC2:TGID_X_EN: 1
; COMPUTE_PGM_RSRC2:TGID_Y_EN: 0
; COMPUTE_PGM_RSRC2:TGID_Z_EN: 0
; COMPUTE_PGM_RSRC2:TIDIG_COMP_CNT: 0
; COMPUTE_PGM_RSRC3_GFX90A:ACCUM_OFFSET: 0
; COMPUTE_PGM_RSRC3_GFX90A:TG_SPLIT: 0
	.section	.text._ZN7rocprim17ROCPRIM_400000_NS6detail17trampoline_kernelINS0_14default_configENS1_35radix_sort_onesweep_config_selectorItNS0_10empty_typeEEEZNS1_34radix_sort_onesweep_global_offsetsIS3_Lb1EPtPS5_mNS0_19identity_decomposerEEE10hipError_tT1_T2_PT3_SE_jT4_jjP12ihipStream_tbEUlT_E0_NS1_11comp_targetILNS1_3genE2ELNS1_11target_archE906ELNS1_3gpuE6ELNS1_3repE0EEENS1_52radix_sort_onesweep_histogram_config_static_selectorELNS0_4arch9wavefront6targetE1EEEvSC_,"axG",@progbits,_ZN7rocprim17ROCPRIM_400000_NS6detail17trampoline_kernelINS0_14default_configENS1_35radix_sort_onesweep_config_selectorItNS0_10empty_typeEEEZNS1_34radix_sort_onesweep_global_offsetsIS3_Lb1EPtPS5_mNS0_19identity_decomposerEEE10hipError_tT1_T2_PT3_SE_jT4_jjP12ihipStream_tbEUlT_E0_NS1_11comp_targetILNS1_3genE2ELNS1_11target_archE906ELNS1_3gpuE6ELNS1_3repE0EEENS1_52radix_sort_onesweep_histogram_config_static_selectorELNS0_4arch9wavefront6targetE1EEEvSC_,comdat
	.protected	_ZN7rocprim17ROCPRIM_400000_NS6detail17trampoline_kernelINS0_14default_configENS1_35radix_sort_onesweep_config_selectorItNS0_10empty_typeEEEZNS1_34radix_sort_onesweep_global_offsetsIS3_Lb1EPtPS5_mNS0_19identity_decomposerEEE10hipError_tT1_T2_PT3_SE_jT4_jjP12ihipStream_tbEUlT_E0_NS1_11comp_targetILNS1_3genE2ELNS1_11target_archE906ELNS1_3gpuE6ELNS1_3repE0EEENS1_52radix_sort_onesweep_histogram_config_static_selectorELNS0_4arch9wavefront6targetE1EEEvSC_ ; -- Begin function _ZN7rocprim17ROCPRIM_400000_NS6detail17trampoline_kernelINS0_14default_configENS1_35radix_sort_onesweep_config_selectorItNS0_10empty_typeEEEZNS1_34radix_sort_onesweep_global_offsetsIS3_Lb1EPtPS5_mNS0_19identity_decomposerEEE10hipError_tT1_T2_PT3_SE_jT4_jjP12ihipStream_tbEUlT_E0_NS1_11comp_targetILNS1_3genE2ELNS1_11target_archE906ELNS1_3gpuE6ELNS1_3repE0EEENS1_52radix_sort_onesweep_histogram_config_static_selectorELNS0_4arch9wavefront6targetE1EEEvSC_
	.globl	_ZN7rocprim17ROCPRIM_400000_NS6detail17trampoline_kernelINS0_14default_configENS1_35radix_sort_onesweep_config_selectorItNS0_10empty_typeEEEZNS1_34radix_sort_onesweep_global_offsetsIS3_Lb1EPtPS5_mNS0_19identity_decomposerEEE10hipError_tT1_T2_PT3_SE_jT4_jjP12ihipStream_tbEUlT_E0_NS1_11comp_targetILNS1_3genE2ELNS1_11target_archE906ELNS1_3gpuE6ELNS1_3repE0EEENS1_52radix_sort_onesweep_histogram_config_static_selectorELNS0_4arch9wavefront6targetE1EEEvSC_
	.p2align	8
	.type	_ZN7rocprim17ROCPRIM_400000_NS6detail17trampoline_kernelINS0_14default_configENS1_35radix_sort_onesweep_config_selectorItNS0_10empty_typeEEEZNS1_34radix_sort_onesweep_global_offsetsIS3_Lb1EPtPS5_mNS0_19identity_decomposerEEE10hipError_tT1_T2_PT3_SE_jT4_jjP12ihipStream_tbEUlT_E0_NS1_11comp_targetILNS1_3genE2ELNS1_11target_archE906ELNS1_3gpuE6ELNS1_3repE0EEENS1_52radix_sort_onesweep_histogram_config_static_selectorELNS0_4arch9wavefront6targetE1EEEvSC_,@function
_ZN7rocprim17ROCPRIM_400000_NS6detail17trampoline_kernelINS0_14default_configENS1_35radix_sort_onesweep_config_selectorItNS0_10empty_typeEEEZNS1_34radix_sort_onesweep_global_offsetsIS3_Lb1EPtPS5_mNS0_19identity_decomposerEEE10hipError_tT1_T2_PT3_SE_jT4_jjP12ihipStream_tbEUlT_E0_NS1_11comp_targetILNS1_3genE2ELNS1_11target_archE906ELNS1_3gpuE6ELNS1_3repE0EEENS1_52radix_sort_onesweep_histogram_config_static_selectorELNS0_4arch9wavefront6targetE1EEEvSC_: ; @_ZN7rocprim17ROCPRIM_400000_NS6detail17trampoline_kernelINS0_14default_configENS1_35radix_sort_onesweep_config_selectorItNS0_10empty_typeEEEZNS1_34radix_sort_onesweep_global_offsetsIS3_Lb1EPtPS5_mNS0_19identity_decomposerEEE10hipError_tT1_T2_PT3_SE_jT4_jjP12ihipStream_tbEUlT_E0_NS1_11comp_targetILNS1_3genE2ELNS1_11target_archE906ELNS1_3gpuE6ELNS1_3repE0EEENS1_52radix_sort_onesweep_histogram_config_static_selectorELNS0_4arch9wavefront6targetE1EEEvSC_
; %bb.0:
	.section	.rodata,"a",@progbits
	.p2align	6, 0x0
	.amdhsa_kernel _ZN7rocprim17ROCPRIM_400000_NS6detail17trampoline_kernelINS0_14default_configENS1_35radix_sort_onesweep_config_selectorItNS0_10empty_typeEEEZNS1_34radix_sort_onesweep_global_offsetsIS3_Lb1EPtPS5_mNS0_19identity_decomposerEEE10hipError_tT1_T2_PT3_SE_jT4_jjP12ihipStream_tbEUlT_E0_NS1_11comp_targetILNS1_3genE2ELNS1_11target_archE906ELNS1_3gpuE6ELNS1_3repE0EEENS1_52radix_sort_onesweep_histogram_config_static_selectorELNS0_4arch9wavefront6targetE1EEEvSC_
		.amdhsa_group_segment_fixed_size 0
		.amdhsa_private_segment_fixed_size 0
		.amdhsa_kernarg_size 8
		.amdhsa_user_sgpr_count 6
		.amdhsa_user_sgpr_private_segment_buffer 1
		.amdhsa_user_sgpr_dispatch_ptr 0
		.amdhsa_user_sgpr_queue_ptr 0
		.amdhsa_user_sgpr_kernarg_segment_ptr 1
		.amdhsa_user_sgpr_dispatch_id 0
		.amdhsa_user_sgpr_flat_scratch_init 0
		.amdhsa_user_sgpr_kernarg_preload_length 0
		.amdhsa_user_sgpr_kernarg_preload_offset 0
		.amdhsa_user_sgpr_private_segment_size 0
		.amdhsa_uses_dynamic_stack 0
		.amdhsa_system_sgpr_private_segment_wavefront_offset 0
		.amdhsa_system_sgpr_workgroup_id_x 1
		.amdhsa_system_sgpr_workgroup_id_y 0
		.amdhsa_system_sgpr_workgroup_id_z 0
		.amdhsa_system_sgpr_workgroup_info 0
		.amdhsa_system_vgpr_workitem_id 0
		.amdhsa_next_free_vgpr 1
		.amdhsa_next_free_sgpr 0
		.amdhsa_accum_offset 4
		.amdhsa_reserve_vcc 0
		.amdhsa_reserve_flat_scratch 0
		.amdhsa_float_round_mode_32 0
		.amdhsa_float_round_mode_16_64 0
		.amdhsa_float_denorm_mode_32 3
		.amdhsa_float_denorm_mode_16_64 3
		.amdhsa_dx10_clamp 1
		.amdhsa_ieee_mode 1
		.amdhsa_fp16_overflow 0
		.amdhsa_tg_split 0
		.amdhsa_exception_fp_ieee_invalid_op 0
		.amdhsa_exception_fp_denorm_src 0
		.amdhsa_exception_fp_ieee_div_zero 0
		.amdhsa_exception_fp_ieee_overflow 0
		.amdhsa_exception_fp_ieee_underflow 0
		.amdhsa_exception_fp_ieee_inexact 0
		.amdhsa_exception_int_div_zero 0
	.end_amdhsa_kernel
	.section	.text._ZN7rocprim17ROCPRIM_400000_NS6detail17trampoline_kernelINS0_14default_configENS1_35radix_sort_onesweep_config_selectorItNS0_10empty_typeEEEZNS1_34radix_sort_onesweep_global_offsetsIS3_Lb1EPtPS5_mNS0_19identity_decomposerEEE10hipError_tT1_T2_PT3_SE_jT4_jjP12ihipStream_tbEUlT_E0_NS1_11comp_targetILNS1_3genE2ELNS1_11target_archE906ELNS1_3gpuE6ELNS1_3repE0EEENS1_52radix_sort_onesweep_histogram_config_static_selectorELNS0_4arch9wavefront6targetE1EEEvSC_,"axG",@progbits,_ZN7rocprim17ROCPRIM_400000_NS6detail17trampoline_kernelINS0_14default_configENS1_35radix_sort_onesweep_config_selectorItNS0_10empty_typeEEEZNS1_34radix_sort_onesweep_global_offsetsIS3_Lb1EPtPS5_mNS0_19identity_decomposerEEE10hipError_tT1_T2_PT3_SE_jT4_jjP12ihipStream_tbEUlT_E0_NS1_11comp_targetILNS1_3genE2ELNS1_11target_archE906ELNS1_3gpuE6ELNS1_3repE0EEENS1_52radix_sort_onesweep_histogram_config_static_selectorELNS0_4arch9wavefront6targetE1EEEvSC_,comdat
.Lfunc_end1913:
	.size	_ZN7rocprim17ROCPRIM_400000_NS6detail17trampoline_kernelINS0_14default_configENS1_35radix_sort_onesweep_config_selectorItNS0_10empty_typeEEEZNS1_34radix_sort_onesweep_global_offsetsIS3_Lb1EPtPS5_mNS0_19identity_decomposerEEE10hipError_tT1_T2_PT3_SE_jT4_jjP12ihipStream_tbEUlT_E0_NS1_11comp_targetILNS1_3genE2ELNS1_11target_archE906ELNS1_3gpuE6ELNS1_3repE0EEENS1_52radix_sort_onesweep_histogram_config_static_selectorELNS0_4arch9wavefront6targetE1EEEvSC_, .Lfunc_end1913-_ZN7rocprim17ROCPRIM_400000_NS6detail17trampoline_kernelINS0_14default_configENS1_35radix_sort_onesweep_config_selectorItNS0_10empty_typeEEEZNS1_34radix_sort_onesweep_global_offsetsIS3_Lb1EPtPS5_mNS0_19identity_decomposerEEE10hipError_tT1_T2_PT3_SE_jT4_jjP12ihipStream_tbEUlT_E0_NS1_11comp_targetILNS1_3genE2ELNS1_11target_archE906ELNS1_3gpuE6ELNS1_3repE0EEENS1_52radix_sort_onesweep_histogram_config_static_selectorELNS0_4arch9wavefront6targetE1EEEvSC_
                                        ; -- End function
	.section	.AMDGPU.csdata,"",@progbits
; Kernel info:
; codeLenInByte = 0
; NumSgprs: 4
; NumVgprs: 0
; NumAgprs: 0
; TotalNumVgprs: 0
; ScratchSize: 0
; MemoryBound: 0
; FloatMode: 240
; IeeeMode: 1
; LDSByteSize: 0 bytes/workgroup (compile time only)
; SGPRBlocks: 0
; VGPRBlocks: 0
; NumSGPRsForWavesPerEU: 4
; NumVGPRsForWavesPerEU: 1
; AccumOffset: 4
; Occupancy: 8
; WaveLimiterHint : 0
; COMPUTE_PGM_RSRC2:SCRATCH_EN: 0
; COMPUTE_PGM_RSRC2:USER_SGPR: 6
; COMPUTE_PGM_RSRC2:TRAP_HANDLER: 0
; COMPUTE_PGM_RSRC2:TGID_X_EN: 1
; COMPUTE_PGM_RSRC2:TGID_Y_EN: 0
; COMPUTE_PGM_RSRC2:TGID_Z_EN: 0
; COMPUTE_PGM_RSRC2:TIDIG_COMP_CNT: 0
; COMPUTE_PGM_RSRC3_GFX90A:ACCUM_OFFSET: 0
; COMPUTE_PGM_RSRC3_GFX90A:TG_SPLIT: 0
	.section	.text._ZN7rocprim17ROCPRIM_400000_NS6detail17trampoline_kernelINS0_14default_configENS1_35radix_sort_onesweep_config_selectorItNS0_10empty_typeEEEZNS1_34radix_sort_onesweep_global_offsetsIS3_Lb1EPtPS5_mNS0_19identity_decomposerEEE10hipError_tT1_T2_PT3_SE_jT4_jjP12ihipStream_tbEUlT_E0_NS1_11comp_targetILNS1_3genE4ELNS1_11target_archE910ELNS1_3gpuE8ELNS1_3repE0EEENS1_52radix_sort_onesweep_histogram_config_static_selectorELNS0_4arch9wavefront6targetE1EEEvSC_,"axG",@progbits,_ZN7rocprim17ROCPRIM_400000_NS6detail17trampoline_kernelINS0_14default_configENS1_35radix_sort_onesweep_config_selectorItNS0_10empty_typeEEEZNS1_34radix_sort_onesweep_global_offsetsIS3_Lb1EPtPS5_mNS0_19identity_decomposerEEE10hipError_tT1_T2_PT3_SE_jT4_jjP12ihipStream_tbEUlT_E0_NS1_11comp_targetILNS1_3genE4ELNS1_11target_archE910ELNS1_3gpuE8ELNS1_3repE0EEENS1_52radix_sort_onesweep_histogram_config_static_selectorELNS0_4arch9wavefront6targetE1EEEvSC_,comdat
	.protected	_ZN7rocprim17ROCPRIM_400000_NS6detail17trampoline_kernelINS0_14default_configENS1_35radix_sort_onesweep_config_selectorItNS0_10empty_typeEEEZNS1_34radix_sort_onesweep_global_offsetsIS3_Lb1EPtPS5_mNS0_19identity_decomposerEEE10hipError_tT1_T2_PT3_SE_jT4_jjP12ihipStream_tbEUlT_E0_NS1_11comp_targetILNS1_3genE4ELNS1_11target_archE910ELNS1_3gpuE8ELNS1_3repE0EEENS1_52radix_sort_onesweep_histogram_config_static_selectorELNS0_4arch9wavefront6targetE1EEEvSC_ ; -- Begin function _ZN7rocprim17ROCPRIM_400000_NS6detail17trampoline_kernelINS0_14default_configENS1_35radix_sort_onesweep_config_selectorItNS0_10empty_typeEEEZNS1_34radix_sort_onesweep_global_offsetsIS3_Lb1EPtPS5_mNS0_19identity_decomposerEEE10hipError_tT1_T2_PT3_SE_jT4_jjP12ihipStream_tbEUlT_E0_NS1_11comp_targetILNS1_3genE4ELNS1_11target_archE910ELNS1_3gpuE8ELNS1_3repE0EEENS1_52radix_sort_onesweep_histogram_config_static_selectorELNS0_4arch9wavefront6targetE1EEEvSC_
	.globl	_ZN7rocprim17ROCPRIM_400000_NS6detail17trampoline_kernelINS0_14default_configENS1_35radix_sort_onesweep_config_selectorItNS0_10empty_typeEEEZNS1_34radix_sort_onesweep_global_offsetsIS3_Lb1EPtPS5_mNS0_19identity_decomposerEEE10hipError_tT1_T2_PT3_SE_jT4_jjP12ihipStream_tbEUlT_E0_NS1_11comp_targetILNS1_3genE4ELNS1_11target_archE910ELNS1_3gpuE8ELNS1_3repE0EEENS1_52radix_sort_onesweep_histogram_config_static_selectorELNS0_4arch9wavefront6targetE1EEEvSC_
	.p2align	8
	.type	_ZN7rocprim17ROCPRIM_400000_NS6detail17trampoline_kernelINS0_14default_configENS1_35radix_sort_onesweep_config_selectorItNS0_10empty_typeEEEZNS1_34radix_sort_onesweep_global_offsetsIS3_Lb1EPtPS5_mNS0_19identity_decomposerEEE10hipError_tT1_T2_PT3_SE_jT4_jjP12ihipStream_tbEUlT_E0_NS1_11comp_targetILNS1_3genE4ELNS1_11target_archE910ELNS1_3gpuE8ELNS1_3repE0EEENS1_52radix_sort_onesweep_histogram_config_static_selectorELNS0_4arch9wavefront6targetE1EEEvSC_,@function
_ZN7rocprim17ROCPRIM_400000_NS6detail17trampoline_kernelINS0_14default_configENS1_35radix_sort_onesweep_config_selectorItNS0_10empty_typeEEEZNS1_34radix_sort_onesweep_global_offsetsIS3_Lb1EPtPS5_mNS0_19identity_decomposerEEE10hipError_tT1_T2_PT3_SE_jT4_jjP12ihipStream_tbEUlT_E0_NS1_11comp_targetILNS1_3genE4ELNS1_11target_archE910ELNS1_3gpuE8ELNS1_3repE0EEENS1_52radix_sort_onesweep_histogram_config_static_selectorELNS0_4arch9wavefront6targetE1EEEvSC_: ; @_ZN7rocprim17ROCPRIM_400000_NS6detail17trampoline_kernelINS0_14default_configENS1_35radix_sort_onesweep_config_selectorItNS0_10empty_typeEEEZNS1_34radix_sort_onesweep_global_offsetsIS3_Lb1EPtPS5_mNS0_19identity_decomposerEEE10hipError_tT1_T2_PT3_SE_jT4_jjP12ihipStream_tbEUlT_E0_NS1_11comp_targetILNS1_3genE4ELNS1_11target_archE910ELNS1_3gpuE8ELNS1_3repE0EEENS1_52radix_sort_onesweep_histogram_config_static_selectorELNS0_4arch9wavefront6targetE1EEEvSC_
; %bb.0:
	s_load_dwordx2 s[0:1], s[4:5], 0x0
	s_lshl_b32 s2, s6, 8
	s_mov_b32 s3, 0
	s_lshl_b64 s[2:3], s[2:3], 3
	v_lshlrev_b32_e32 v5, 3, v0
	s_waitcnt lgkmcnt(0)
	s_add_u32 s14, s0, s2
	s_movk_i32 s0, 0x100
	s_addc_u32 s15, s1, s3
	v_cmp_gt_u32_e32 vcc, s0, v0
                                        ; implicit-def: $vgpr2_vgpr3
	s_and_saveexec_b64 s[0:1], vcc
	s_cbranch_execz .LBB1914_2
; %bb.1:
	global_load_dwordx2 v[2:3], v5, s[14:15]
.LBB1914_2:
	s_or_b64 exec, exec, s[0:1]
	s_waitcnt vmcnt(0)
	v_mov_b32_dpp v4, v2 row_shr:1 row_mask:0xf bank_mask:0xf
	v_add_co_u32_e64 v4, s[0:1], v2, v4
	v_mbcnt_lo_u32_b32 v1, -1, 0
	v_addc_co_u32_e64 v8, s[0:1], 0, v3, s[0:1]
	v_mbcnt_hi_u32_b32 v6, -1, v1
	v_mov_b32_dpp v7, v3 row_shr:1 row_mask:0xf bank_mask:0xf
	v_add_co_u32_e64 v9, s[0:1], 0, v4
	v_and_b32_e32 v1, 15, v6
	v_addc_co_u32_e64 v7, s[0:1], v7, v8, s[0:1]
	v_cmp_eq_u32_e64 s[0:1], 0, v1
	v_cndmask_b32_e64 v4, v4, v2, s[0:1]
	v_cndmask_b32_e64 v7, v7, v3, s[0:1]
	v_cndmask_b32_e64 v8, v9, v2, s[0:1]
	v_mov_b32_dpp v9, v4 row_shr:2 row_mask:0xf bank_mask:0xf
	v_mov_b32_dpp v10, v7 row_shr:2 row_mask:0xf bank_mask:0xf
	v_add_co_u32_e64 v9, s[2:3], v9, v8
	v_cmp_lt_u32_e64 s[4:5], 1, v1
	v_addc_co_u32_e64 v10, s[2:3], v10, v7, s[2:3]
	v_cndmask_b32_e64 v4, v4, v9, s[4:5]
	v_cndmask_b32_e64 v7, v7, v10, s[4:5]
	v_cndmask_b32_e64 v8, v8, v9, s[4:5]
	v_mov_b32_dpp v9, v4 row_shr:4 row_mask:0xf bank_mask:0xf
	v_mov_b32_dpp v10, v7 row_shr:4 row_mask:0xf bank_mask:0xf
	v_add_co_u32_e64 v9, s[2:3], v9, v8
	v_cmp_lt_u32_e64 s[6:7], 3, v1
	v_addc_co_u32_e64 v10, s[2:3], v10, v7, s[2:3]
	;; [unrolled: 8-line block ×3, first 2 shown]
	v_cndmask_b32_e64 v11, v4, v9, s[8:9]
	v_cndmask_b32_e64 v1, v7, v10, s[8:9]
	;; [unrolled: 1-line block ×3, first 2 shown]
	v_mov_b32_dpp v7, v11 row_bcast:15 row_mask:0xf bank_mask:0xf
	v_mov_b32_dpp v8, v1 row_bcast:15 row_mask:0xf bank_mask:0xf
	v_and_b32_e32 v10, 16, v6
	v_add_co_u32_e64 v7, s[2:3], v7, v4
	v_addc_co_u32_e64 v9, s[2:3], v8, v1, s[2:3]
	v_cmp_eq_u32_e64 s[10:11], 0, v10
	v_cndmask_b32_e64 v10, v9, v1, s[10:11]
	v_cndmask_b32_e64 v8, v7, v11, s[10:11]
	v_cmp_eq_u32_e64 s[2:3], 0, v6
	v_mov_b32_dpp v10, v10 row_bcast:31 row_mask:0xf bank_mask:0xf
	v_mov_b32_dpp v8, v8 row_bcast:31 row_mask:0xf bank_mask:0xf
	v_cmp_ne_u32_e64 s[12:13], 0, v6
	s_and_saveexec_b64 s[16:17], s[12:13]
; %bb.3:
	v_cndmask_b32_e64 v1, v9, v1, s[10:11]
	v_cndmask_b32_e64 v2, v7, v4, s[10:11]
	v_cmp_lt_u32_e64 s[10:11], 31, v6
	v_cndmask_b32_e64 v4, 0, v8, s[10:11]
	v_cndmask_b32_e64 v3, 0, v10, s[10:11]
	v_add_co_u32_e64 v2, s[10:11], v4, v2
	v_addc_co_u32_e64 v3, s[10:11], v3, v1, s[10:11]
; %bb.4:
	s_or_b64 exec, exec, s[16:17]
	v_and_b32_e32 v1, 63, v0
	v_lshrrev_b32_e32 v4, 6, v0
	v_cmp_eq_u32_e64 s[10:11], 63, v1
	s_and_saveexec_b64 s[12:13], s[10:11]
	s_cbranch_execz .LBB1914_6
; %bb.5:
	v_lshlrev_b32_e32 v1, 3, v4
	ds_write_b64 v1, v[2:3]
.LBB1914_6:
	s_or_b64 exec, exec, s[12:13]
	v_cmp_gt_u32_e64 s[10:11], 16, v0
	s_waitcnt lgkmcnt(0)
	s_barrier
	s_and_saveexec_b64 s[12:13], s[10:11]
	s_cbranch_execz .LBB1914_8
; %bb.7:
	ds_read_b64 v[8:9], v5
	s_waitcnt lgkmcnt(0)
	s_nop 0
	v_mov_b32_dpp v1, v8 row_shr:1 row_mask:0xf bank_mask:0xf
	v_add_co_u32_e64 v1, s[10:11], v8, v1
	v_addc_co_u32_e64 v10, s[10:11], 0, v9, s[10:11]
	v_mov_b32_dpp v7, v9 row_shr:1 row_mask:0xf bank_mask:0xf
	v_add_co_u32_e64 v11, s[10:11], 0, v1
	v_addc_co_u32_e64 v7, s[10:11], v7, v10, s[10:11]
	v_cndmask_b32_e64 v1, v1, v8, s[0:1]
	v_cndmask_b32_e64 v7, v7, v9, s[0:1]
	v_cndmask_b32_e64 v10, v11, v8, s[0:1]
	v_mov_b32_dpp v11, v1 row_shr:2 row_mask:0xf bank_mask:0xf
	v_mov_b32_dpp v12, v7 row_shr:2 row_mask:0xf bank_mask:0xf
	v_add_co_u32_e64 v11, s[10:11], v11, v10
	v_addc_co_u32_e64 v12, s[10:11], v12, v7, s[10:11]
	v_cndmask_b32_e64 v1, v1, v11, s[4:5]
	v_cndmask_b32_e64 v7, v7, v12, s[4:5]
	v_cndmask_b32_e64 v10, v10, v11, s[4:5]
	v_mov_b32_dpp v11, v1 row_shr:4 row_mask:0xf bank_mask:0xf
	;; [unrolled: 7-line block ×3, first 2 shown]
	v_mov_b32_dpp v12, v7 row_shr:8 row_mask:0xf bank_mask:0xf
	v_cndmask_b32_e64 v1, 0, v1, s[8:9]
	v_cndmask_b32_e64 v11, 0, v12, s[8:9]
	v_add_co_u32_e64 v1, s[4:5], v1, v10
	v_addc_co_u32_e64 v7, s[4:5], v11, v7, s[4:5]
	v_cndmask_b32_e64 v9, v7, v9, s[0:1]
	v_cndmask_b32_e64 v8, v1, v8, s[0:1]
	ds_write_b64 v5, v[8:9]
.LBB1914_8:
	s_or_b64 exec, exec, s[12:13]
	v_cmp_lt_u32_e64 s[0:1], 63, v0
	v_pk_mov_b32 v[0:1], 0, 0
	s_waitcnt lgkmcnt(0)
	s_barrier
	s_and_saveexec_b64 s[4:5], s[0:1]
	s_cbranch_execz .LBB1914_10
; %bb.9:
	v_lshl_add_u32 v0, v4, 3, -8
	ds_read_b64 v[0:1], v0
.LBB1914_10:
	s_or_b64 exec, exec, s[4:5]
	s_waitcnt lgkmcnt(0)
	v_add_co_u32_e64 v2, s[0:1], v0, v2
	v_addc_co_u32_e64 v3, s[0:1], v1, v3, s[0:1]
	v_add_u32_e32 v4, -1, v6
	v_and_b32_e32 v7, 64, v6
	v_cmp_lt_i32_e64 s[0:1], v4, v7
	v_cndmask_b32_e64 v4, v4, v6, s[0:1]
	v_lshlrev_b32_e32 v4, 2, v4
	ds_bpermute_b32 v2, v4, v2
	ds_bpermute_b32 v3, v4, v3
	s_and_saveexec_b64 s[0:1], vcc
	s_cbranch_execz .LBB1914_12
; %bb.11:
	s_waitcnt lgkmcnt(0)
	v_cndmask_b32_e64 v1, v3, v1, s[2:3]
	v_cndmask_b32_e64 v0, v2, v0, s[2:3]
	global_store_dwordx2 v5, v[0:1], s[14:15]
.LBB1914_12:
	s_endpgm
	.section	.rodata,"a",@progbits
	.p2align	6, 0x0
	.amdhsa_kernel _ZN7rocprim17ROCPRIM_400000_NS6detail17trampoline_kernelINS0_14default_configENS1_35radix_sort_onesweep_config_selectorItNS0_10empty_typeEEEZNS1_34radix_sort_onesweep_global_offsetsIS3_Lb1EPtPS5_mNS0_19identity_decomposerEEE10hipError_tT1_T2_PT3_SE_jT4_jjP12ihipStream_tbEUlT_E0_NS1_11comp_targetILNS1_3genE4ELNS1_11target_archE910ELNS1_3gpuE8ELNS1_3repE0EEENS1_52radix_sort_onesweep_histogram_config_static_selectorELNS0_4arch9wavefront6targetE1EEEvSC_
		.amdhsa_group_segment_fixed_size 128
		.amdhsa_private_segment_fixed_size 0
		.amdhsa_kernarg_size 8
		.amdhsa_user_sgpr_count 6
		.amdhsa_user_sgpr_private_segment_buffer 1
		.amdhsa_user_sgpr_dispatch_ptr 0
		.amdhsa_user_sgpr_queue_ptr 0
		.amdhsa_user_sgpr_kernarg_segment_ptr 1
		.amdhsa_user_sgpr_dispatch_id 0
		.amdhsa_user_sgpr_flat_scratch_init 0
		.amdhsa_user_sgpr_kernarg_preload_length 0
		.amdhsa_user_sgpr_kernarg_preload_offset 0
		.amdhsa_user_sgpr_private_segment_size 0
		.amdhsa_uses_dynamic_stack 0
		.amdhsa_system_sgpr_private_segment_wavefront_offset 0
		.amdhsa_system_sgpr_workgroup_id_x 1
		.amdhsa_system_sgpr_workgroup_id_y 0
		.amdhsa_system_sgpr_workgroup_id_z 0
		.amdhsa_system_sgpr_workgroup_info 0
		.amdhsa_system_vgpr_workitem_id 0
		.amdhsa_next_free_vgpr 13
		.amdhsa_next_free_sgpr 18
		.amdhsa_accum_offset 16
		.amdhsa_reserve_vcc 1
		.amdhsa_reserve_flat_scratch 0
		.amdhsa_float_round_mode_32 0
		.amdhsa_float_round_mode_16_64 0
		.amdhsa_float_denorm_mode_32 3
		.amdhsa_float_denorm_mode_16_64 3
		.amdhsa_dx10_clamp 1
		.amdhsa_ieee_mode 1
		.amdhsa_fp16_overflow 0
		.amdhsa_tg_split 0
		.amdhsa_exception_fp_ieee_invalid_op 0
		.amdhsa_exception_fp_denorm_src 0
		.amdhsa_exception_fp_ieee_div_zero 0
		.amdhsa_exception_fp_ieee_overflow 0
		.amdhsa_exception_fp_ieee_underflow 0
		.amdhsa_exception_fp_ieee_inexact 0
		.amdhsa_exception_int_div_zero 0
	.end_amdhsa_kernel
	.section	.text._ZN7rocprim17ROCPRIM_400000_NS6detail17trampoline_kernelINS0_14default_configENS1_35radix_sort_onesweep_config_selectorItNS0_10empty_typeEEEZNS1_34radix_sort_onesweep_global_offsetsIS3_Lb1EPtPS5_mNS0_19identity_decomposerEEE10hipError_tT1_T2_PT3_SE_jT4_jjP12ihipStream_tbEUlT_E0_NS1_11comp_targetILNS1_3genE4ELNS1_11target_archE910ELNS1_3gpuE8ELNS1_3repE0EEENS1_52radix_sort_onesweep_histogram_config_static_selectorELNS0_4arch9wavefront6targetE1EEEvSC_,"axG",@progbits,_ZN7rocprim17ROCPRIM_400000_NS6detail17trampoline_kernelINS0_14default_configENS1_35radix_sort_onesweep_config_selectorItNS0_10empty_typeEEEZNS1_34radix_sort_onesweep_global_offsetsIS3_Lb1EPtPS5_mNS0_19identity_decomposerEEE10hipError_tT1_T2_PT3_SE_jT4_jjP12ihipStream_tbEUlT_E0_NS1_11comp_targetILNS1_3genE4ELNS1_11target_archE910ELNS1_3gpuE8ELNS1_3repE0EEENS1_52radix_sort_onesweep_histogram_config_static_selectorELNS0_4arch9wavefront6targetE1EEEvSC_,comdat
.Lfunc_end1914:
	.size	_ZN7rocprim17ROCPRIM_400000_NS6detail17trampoline_kernelINS0_14default_configENS1_35radix_sort_onesweep_config_selectorItNS0_10empty_typeEEEZNS1_34radix_sort_onesweep_global_offsetsIS3_Lb1EPtPS5_mNS0_19identity_decomposerEEE10hipError_tT1_T2_PT3_SE_jT4_jjP12ihipStream_tbEUlT_E0_NS1_11comp_targetILNS1_3genE4ELNS1_11target_archE910ELNS1_3gpuE8ELNS1_3repE0EEENS1_52radix_sort_onesweep_histogram_config_static_selectorELNS0_4arch9wavefront6targetE1EEEvSC_, .Lfunc_end1914-_ZN7rocprim17ROCPRIM_400000_NS6detail17trampoline_kernelINS0_14default_configENS1_35radix_sort_onesweep_config_selectorItNS0_10empty_typeEEEZNS1_34radix_sort_onesweep_global_offsetsIS3_Lb1EPtPS5_mNS0_19identity_decomposerEEE10hipError_tT1_T2_PT3_SE_jT4_jjP12ihipStream_tbEUlT_E0_NS1_11comp_targetILNS1_3genE4ELNS1_11target_archE910ELNS1_3gpuE8ELNS1_3repE0EEENS1_52radix_sort_onesweep_histogram_config_static_selectorELNS0_4arch9wavefront6targetE1EEEvSC_
                                        ; -- End function
	.section	.AMDGPU.csdata,"",@progbits
; Kernel info:
; codeLenInByte = 1012
; NumSgprs: 22
; NumVgprs: 13
; NumAgprs: 0
; TotalNumVgprs: 13
; ScratchSize: 0
; MemoryBound: 0
; FloatMode: 240
; IeeeMode: 1
; LDSByteSize: 128 bytes/workgroup (compile time only)
; SGPRBlocks: 2
; VGPRBlocks: 1
; NumSGPRsForWavesPerEU: 22
; NumVGPRsForWavesPerEU: 13
; AccumOffset: 16
; Occupancy: 8
; WaveLimiterHint : 0
; COMPUTE_PGM_RSRC2:SCRATCH_EN: 0
; COMPUTE_PGM_RSRC2:USER_SGPR: 6
; COMPUTE_PGM_RSRC2:TRAP_HANDLER: 0
; COMPUTE_PGM_RSRC2:TGID_X_EN: 1
; COMPUTE_PGM_RSRC2:TGID_Y_EN: 0
; COMPUTE_PGM_RSRC2:TGID_Z_EN: 0
; COMPUTE_PGM_RSRC2:TIDIG_COMP_CNT: 0
; COMPUTE_PGM_RSRC3_GFX90A:ACCUM_OFFSET: 3
; COMPUTE_PGM_RSRC3_GFX90A:TG_SPLIT: 0
	.section	.text._ZN7rocprim17ROCPRIM_400000_NS6detail17trampoline_kernelINS0_14default_configENS1_35radix_sort_onesweep_config_selectorItNS0_10empty_typeEEEZNS1_34radix_sort_onesweep_global_offsetsIS3_Lb1EPtPS5_mNS0_19identity_decomposerEEE10hipError_tT1_T2_PT3_SE_jT4_jjP12ihipStream_tbEUlT_E0_NS1_11comp_targetILNS1_3genE3ELNS1_11target_archE908ELNS1_3gpuE7ELNS1_3repE0EEENS1_52radix_sort_onesweep_histogram_config_static_selectorELNS0_4arch9wavefront6targetE1EEEvSC_,"axG",@progbits,_ZN7rocprim17ROCPRIM_400000_NS6detail17trampoline_kernelINS0_14default_configENS1_35radix_sort_onesweep_config_selectorItNS0_10empty_typeEEEZNS1_34radix_sort_onesweep_global_offsetsIS3_Lb1EPtPS5_mNS0_19identity_decomposerEEE10hipError_tT1_T2_PT3_SE_jT4_jjP12ihipStream_tbEUlT_E0_NS1_11comp_targetILNS1_3genE3ELNS1_11target_archE908ELNS1_3gpuE7ELNS1_3repE0EEENS1_52radix_sort_onesweep_histogram_config_static_selectorELNS0_4arch9wavefront6targetE1EEEvSC_,comdat
	.protected	_ZN7rocprim17ROCPRIM_400000_NS6detail17trampoline_kernelINS0_14default_configENS1_35radix_sort_onesweep_config_selectorItNS0_10empty_typeEEEZNS1_34radix_sort_onesweep_global_offsetsIS3_Lb1EPtPS5_mNS0_19identity_decomposerEEE10hipError_tT1_T2_PT3_SE_jT4_jjP12ihipStream_tbEUlT_E0_NS1_11comp_targetILNS1_3genE3ELNS1_11target_archE908ELNS1_3gpuE7ELNS1_3repE0EEENS1_52radix_sort_onesweep_histogram_config_static_selectorELNS0_4arch9wavefront6targetE1EEEvSC_ ; -- Begin function _ZN7rocprim17ROCPRIM_400000_NS6detail17trampoline_kernelINS0_14default_configENS1_35radix_sort_onesweep_config_selectorItNS0_10empty_typeEEEZNS1_34radix_sort_onesweep_global_offsetsIS3_Lb1EPtPS5_mNS0_19identity_decomposerEEE10hipError_tT1_T2_PT3_SE_jT4_jjP12ihipStream_tbEUlT_E0_NS1_11comp_targetILNS1_3genE3ELNS1_11target_archE908ELNS1_3gpuE7ELNS1_3repE0EEENS1_52radix_sort_onesweep_histogram_config_static_selectorELNS0_4arch9wavefront6targetE1EEEvSC_
	.globl	_ZN7rocprim17ROCPRIM_400000_NS6detail17trampoline_kernelINS0_14default_configENS1_35radix_sort_onesweep_config_selectorItNS0_10empty_typeEEEZNS1_34radix_sort_onesweep_global_offsetsIS3_Lb1EPtPS5_mNS0_19identity_decomposerEEE10hipError_tT1_T2_PT3_SE_jT4_jjP12ihipStream_tbEUlT_E0_NS1_11comp_targetILNS1_3genE3ELNS1_11target_archE908ELNS1_3gpuE7ELNS1_3repE0EEENS1_52radix_sort_onesweep_histogram_config_static_selectorELNS0_4arch9wavefront6targetE1EEEvSC_
	.p2align	8
	.type	_ZN7rocprim17ROCPRIM_400000_NS6detail17trampoline_kernelINS0_14default_configENS1_35radix_sort_onesweep_config_selectorItNS0_10empty_typeEEEZNS1_34radix_sort_onesweep_global_offsetsIS3_Lb1EPtPS5_mNS0_19identity_decomposerEEE10hipError_tT1_T2_PT3_SE_jT4_jjP12ihipStream_tbEUlT_E0_NS1_11comp_targetILNS1_3genE3ELNS1_11target_archE908ELNS1_3gpuE7ELNS1_3repE0EEENS1_52radix_sort_onesweep_histogram_config_static_selectorELNS0_4arch9wavefront6targetE1EEEvSC_,@function
_ZN7rocprim17ROCPRIM_400000_NS6detail17trampoline_kernelINS0_14default_configENS1_35radix_sort_onesweep_config_selectorItNS0_10empty_typeEEEZNS1_34radix_sort_onesweep_global_offsetsIS3_Lb1EPtPS5_mNS0_19identity_decomposerEEE10hipError_tT1_T2_PT3_SE_jT4_jjP12ihipStream_tbEUlT_E0_NS1_11comp_targetILNS1_3genE3ELNS1_11target_archE908ELNS1_3gpuE7ELNS1_3repE0EEENS1_52radix_sort_onesweep_histogram_config_static_selectorELNS0_4arch9wavefront6targetE1EEEvSC_: ; @_ZN7rocprim17ROCPRIM_400000_NS6detail17trampoline_kernelINS0_14default_configENS1_35radix_sort_onesweep_config_selectorItNS0_10empty_typeEEEZNS1_34radix_sort_onesweep_global_offsetsIS3_Lb1EPtPS5_mNS0_19identity_decomposerEEE10hipError_tT1_T2_PT3_SE_jT4_jjP12ihipStream_tbEUlT_E0_NS1_11comp_targetILNS1_3genE3ELNS1_11target_archE908ELNS1_3gpuE7ELNS1_3repE0EEENS1_52radix_sort_onesweep_histogram_config_static_selectorELNS0_4arch9wavefront6targetE1EEEvSC_
; %bb.0:
	.section	.rodata,"a",@progbits
	.p2align	6, 0x0
	.amdhsa_kernel _ZN7rocprim17ROCPRIM_400000_NS6detail17trampoline_kernelINS0_14default_configENS1_35radix_sort_onesweep_config_selectorItNS0_10empty_typeEEEZNS1_34radix_sort_onesweep_global_offsetsIS3_Lb1EPtPS5_mNS0_19identity_decomposerEEE10hipError_tT1_T2_PT3_SE_jT4_jjP12ihipStream_tbEUlT_E0_NS1_11comp_targetILNS1_3genE3ELNS1_11target_archE908ELNS1_3gpuE7ELNS1_3repE0EEENS1_52radix_sort_onesweep_histogram_config_static_selectorELNS0_4arch9wavefront6targetE1EEEvSC_
		.amdhsa_group_segment_fixed_size 0
		.amdhsa_private_segment_fixed_size 0
		.amdhsa_kernarg_size 8
		.amdhsa_user_sgpr_count 6
		.amdhsa_user_sgpr_private_segment_buffer 1
		.amdhsa_user_sgpr_dispatch_ptr 0
		.amdhsa_user_sgpr_queue_ptr 0
		.amdhsa_user_sgpr_kernarg_segment_ptr 1
		.amdhsa_user_sgpr_dispatch_id 0
		.amdhsa_user_sgpr_flat_scratch_init 0
		.amdhsa_user_sgpr_kernarg_preload_length 0
		.amdhsa_user_sgpr_kernarg_preload_offset 0
		.amdhsa_user_sgpr_private_segment_size 0
		.amdhsa_uses_dynamic_stack 0
		.amdhsa_system_sgpr_private_segment_wavefront_offset 0
		.amdhsa_system_sgpr_workgroup_id_x 1
		.amdhsa_system_sgpr_workgroup_id_y 0
		.amdhsa_system_sgpr_workgroup_id_z 0
		.amdhsa_system_sgpr_workgroup_info 0
		.amdhsa_system_vgpr_workitem_id 0
		.amdhsa_next_free_vgpr 1
		.amdhsa_next_free_sgpr 0
		.amdhsa_accum_offset 4
		.amdhsa_reserve_vcc 0
		.amdhsa_reserve_flat_scratch 0
		.amdhsa_float_round_mode_32 0
		.amdhsa_float_round_mode_16_64 0
		.amdhsa_float_denorm_mode_32 3
		.amdhsa_float_denorm_mode_16_64 3
		.amdhsa_dx10_clamp 1
		.amdhsa_ieee_mode 1
		.amdhsa_fp16_overflow 0
		.amdhsa_tg_split 0
		.amdhsa_exception_fp_ieee_invalid_op 0
		.amdhsa_exception_fp_denorm_src 0
		.amdhsa_exception_fp_ieee_div_zero 0
		.amdhsa_exception_fp_ieee_overflow 0
		.amdhsa_exception_fp_ieee_underflow 0
		.amdhsa_exception_fp_ieee_inexact 0
		.amdhsa_exception_int_div_zero 0
	.end_amdhsa_kernel
	.section	.text._ZN7rocprim17ROCPRIM_400000_NS6detail17trampoline_kernelINS0_14default_configENS1_35radix_sort_onesweep_config_selectorItNS0_10empty_typeEEEZNS1_34radix_sort_onesweep_global_offsetsIS3_Lb1EPtPS5_mNS0_19identity_decomposerEEE10hipError_tT1_T2_PT3_SE_jT4_jjP12ihipStream_tbEUlT_E0_NS1_11comp_targetILNS1_3genE3ELNS1_11target_archE908ELNS1_3gpuE7ELNS1_3repE0EEENS1_52radix_sort_onesweep_histogram_config_static_selectorELNS0_4arch9wavefront6targetE1EEEvSC_,"axG",@progbits,_ZN7rocprim17ROCPRIM_400000_NS6detail17trampoline_kernelINS0_14default_configENS1_35radix_sort_onesweep_config_selectorItNS0_10empty_typeEEEZNS1_34radix_sort_onesweep_global_offsetsIS3_Lb1EPtPS5_mNS0_19identity_decomposerEEE10hipError_tT1_T2_PT3_SE_jT4_jjP12ihipStream_tbEUlT_E0_NS1_11comp_targetILNS1_3genE3ELNS1_11target_archE908ELNS1_3gpuE7ELNS1_3repE0EEENS1_52radix_sort_onesweep_histogram_config_static_selectorELNS0_4arch9wavefront6targetE1EEEvSC_,comdat
.Lfunc_end1915:
	.size	_ZN7rocprim17ROCPRIM_400000_NS6detail17trampoline_kernelINS0_14default_configENS1_35radix_sort_onesweep_config_selectorItNS0_10empty_typeEEEZNS1_34radix_sort_onesweep_global_offsetsIS3_Lb1EPtPS5_mNS0_19identity_decomposerEEE10hipError_tT1_T2_PT3_SE_jT4_jjP12ihipStream_tbEUlT_E0_NS1_11comp_targetILNS1_3genE3ELNS1_11target_archE908ELNS1_3gpuE7ELNS1_3repE0EEENS1_52radix_sort_onesweep_histogram_config_static_selectorELNS0_4arch9wavefront6targetE1EEEvSC_, .Lfunc_end1915-_ZN7rocprim17ROCPRIM_400000_NS6detail17trampoline_kernelINS0_14default_configENS1_35radix_sort_onesweep_config_selectorItNS0_10empty_typeEEEZNS1_34radix_sort_onesweep_global_offsetsIS3_Lb1EPtPS5_mNS0_19identity_decomposerEEE10hipError_tT1_T2_PT3_SE_jT4_jjP12ihipStream_tbEUlT_E0_NS1_11comp_targetILNS1_3genE3ELNS1_11target_archE908ELNS1_3gpuE7ELNS1_3repE0EEENS1_52radix_sort_onesweep_histogram_config_static_selectorELNS0_4arch9wavefront6targetE1EEEvSC_
                                        ; -- End function
	.section	.AMDGPU.csdata,"",@progbits
; Kernel info:
; codeLenInByte = 0
; NumSgprs: 4
; NumVgprs: 0
; NumAgprs: 0
; TotalNumVgprs: 0
; ScratchSize: 0
; MemoryBound: 0
; FloatMode: 240
; IeeeMode: 1
; LDSByteSize: 0 bytes/workgroup (compile time only)
; SGPRBlocks: 0
; VGPRBlocks: 0
; NumSGPRsForWavesPerEU: 4
; NumVGPRsForWavesPerEU: 1
; AccumOffset: 4
; Occupancy: 8
; WaveLimiterHint : 0
; COMPUTE_PGM_RSRC2:SCRATCH_EN: 0
; COMPUTE_PGM_RSRC2:USER_SGPR: 6
; COMPUTE_PGM_RSRC2:TRAP_HANDLER: 0
; COMPUTE_PGM_RSRC2:TGID_X_EN: 1
; COMPUTE_PGM_RSRC2:TGID_Y_EN: 0
; COMPUTE_PGM_RSRC2:TGID_Z_EN: 0
; COMPUTE_PGM_RSRC2:TIDIG_COMP_CNT: 0
; COMPUTE_PGM_RSRC3_GFX90A:ACCUM_OFFSET: 0
; COMPUTE_PGM_RSRC3_GFX90A:TG_SPLIT: 0
	.section	.text._ZN7rocprim17ROCPRIM_400000_NS6detail17trampoline_kernelINS0_14default_configENS1_35radix_sort_onesweep_config_selectorItNS0_10empty_typeEEEZNS1_34radix_sort_onesweep_global_offsetsIS3_Lb1EPtPS5_mNS0_19identity_decomposerEEE10hipError_tT1_T2_PT3_SE_jT4_jjP12ihipStream_tbEUlT_E0_NS1_11comp_targetILNS1_3genE10ELNS1_11target_archE1201ELNS1_3gpuE5ELNS1_3repE0EEENS1_52radix_sort_onesweep_histogram_config_static_selectorELNS0_4arch9wavefront6targetE1EEEvSC_,"axG",@progbits,_ZN7rocprim17ROCPRIM_400000_NS6detail17trampoline_kernelINS0_14default_configENS1_35radix_sort_onesweep_config_selectorItNS0_10empty_typeEEEZNS1_34radix_sort_onesweep_global_offsetsIS3_Lb1EPtPS5_mNS0_19identity_decomposerEEE10hipError_tT1_T2_PT3_SE_jT4_jjP12ihipStream_tbEUlT_E0_NS1_11comp_targetILNS1_3genE10ELNS1_11target_archE1201ELNS1_3gpuE5ELNS1_3repE0EEENS1_52radix_sort_onesweep_histogram_config_static_selectorELNS0_4arch9wavefront6targetE1EEEvSC_,comdat
	.protected	_ZN7rocprim17ROCPRIM_400000_NS6detail17trampoline_kernelINS0_14default_configENS1_35radix_sort_onesweep_config_selectorItNS0_10empty_typeEEEZNS1_34radix_sort_onesweep_global_offsetsIS3_Lb1EPtPS5_mNS0_19identity_decomposerEEE10hipError_tT1_T2_PT3_SE_jT4_jjP12ihipStream_tbEUlT_E0_NS1_11comp_targetILNS1_3genE10ELNS1_11target_archE1201ELNS1_3gpuE5ELNS1_3repE0EEENS1_52radix_sort_onesweep_histogram_config_static_selectorELNS0_4arch9wavefront6targetE1EEEvSC_ ; -- Begin function _ZN7rocprim17ROCPRIM_400000_NS6detail17trampoline_kernelINS0_14default_configENS1_35radix_sort_onesweep_config_selectorItNS0_10empty_typeEEEZNS1_34radix_sort_onesweep_global_offsetsIS3_Lb1EPtPS5_mNS0_19identity_decomposerEEE10hipError_tT1_T2_PT3_SE_jT4_jjP12ihipStream_tbEUlT_E0_NS1_11comp_targetILNS1_3genE10ELNS1_11target_archE1201ELNS1_3gpuE5ELNS1_3repE0EEENS1_52radix_sort_onesweep_histogram_config_static_selectorELNS0_4arch9wavefront6targetE1EEEvSC_
	.globl	_ZN7rocprim17ROCPRIM_400000_NS6detail17trampoline_kernelINS0_14default_configENS1_35radix_sort_onesweep_config_selectorItNS0_10empty_typeEEEZNS1_34radix_sort_onesweep_global_offsetsIS3_Lb1EPtPS5_mNS0_19identity_decomposerEEE10hipError_tT1_T2_PT3_SE_jT4_jjP12ihipStream_tbEUlT_E0_NS1_11comp_targetILNS1_3genE10ELNS1_11target_archE1201ELNS1_3gpuE5ELNS1_3repE0EEENS1_52radix_sort_onesweep_histogram_config_static_selectorELNS0_4arch9wavefront6targetE1EEEvSC_
	.p2align	8
	.type	_ZN7rocprim17ROCPRIM_400000_NS6detail17trampoline_kernelINS0_14default_configENS1_35radix_sort_onesweep_config_selectorItNS0_10empty_typeEEEZNS1_34radix_sort_onesweep_global_offsetsIS3_Lb1EPtPS5_mNS0_19identity_decomposerEEE10hipError_tT1_T2_PT3_SE_jT4_jjP12ihipStream_tbEUlT_E0_NS1_11comp_targetILNS1_3genE10ELNS1_11target_archE1201ELNS1_3gpuE5ELNS1_3repE0EEENS1_52radix_sort_onesweep_histogram_config_static_selectorELNS0_4arch9wavefront6targetE1EEEvSC_,@function
_ZN7rocprim17ROCPRIM_400000_NS6detail17trampoline_kernelINS0_14default_configENS1_35radix_sort_onesweep_config_selectorItNS0_10empty_typeEEEZNS1_34radix_sort_onesweep_global_offsetsIS3_Lb1EPtPS5_mNS0_19identity_decomposerEEE10hipError_tT1_T2_PT3_SE_jT4_jjP12ihipStream_tbEUlT_E0_NS1_11comp_targetILNS1_3genE10ELNS1_11target_archE1201ELNS1_3gpuE5ELNS1_3repE0EEENS1_52radix_sort_onesweep_histogram_config_static_selectorELNS0_4arch9wavefront6targetE1EEEvSC_: ; @_ZN7rocprim17ROCPRIM_400000_NS6detail17trampoline_kernelINS0_14default_configENS1_35radix_sort_onesweep_config_selectorItNS0_10empty_typeEEEZNS1_34radix_sort_onesweep_global_offsetsIS3_Lb1EPtPS5_mNS0_19identity_decomposerEEE10hipError_tT1_T2_PT3_SE_jT4_jjP12ihipStream_tbEUlT_E0_NS1_11comp_targetILNS1_3genE10ELNS1_11target_archE1201ELNS1_3gpuE5ELNS1_3repE0EEENS1_52radix_sort_onesweep_histogram_config_static_selectorELNS0_4arch9wavefront6targetE1EEEvSC_
; %bb.0:
	.section	.rodata,"a",@progbits
	.p2align	6, 0x0
	.amdhsa_kernel _ZN7rocprim17ROCPRIM_400000_NS6detail17trampoline_kernelINS0_14default_configENS1_35radix_sort_onesweep_config_selectorItNS0_10empty_typeEEEZNS1_34radix_sort_onesweep_global_offsetsIS3_Lb1EPtPS5_mNS0_19identity_decomposerEEE10hipError_tT1_T2_PT3_SE_jT4_jjP12ihipStream_tbEUlT_E0_NS1_11comp_targetILNS1_3genE10ELNS1_11target_archE1201ELNS1_3gpuE5ELNS1_3repE0EEENS1_52radix_sort_onesweep_histogram_config_static_selectorELNS0_4arch9wavefront6targetE1EEEvSC_
		.amdhsa_group_segment_fixed_size 0
		.amdhsa_private_segment_fixed_size 0
		.amdhsa_kernarg_size 8
		.amdhsa_user_sgpr_count 6
		.amdhsa_user_sgpr_private_segment_buffer 1
		.amdhsa_user_sgpr_dispatch_ptr 0
		.amdhsa_user_sgpr_queue_ptr 0
		.amdhsa_user_sgpr_kernarg_segment_ptr 1
		.amdhsa_user_sgpr_dispatch_id 0
		.amdhsa_user_sgpr_flat_scratch_init 0
		.amdhsa_user_sgpr_kernarg_preload_length 0
		.amdhsa_user_sgpr_kernarg_preload_offset 0
		.amdhsa_user_sgpr_private_segment_size 0
		.amdhsa_uses_dynamic_stack 0
		.amdhsa_system_sgpr_private_segment_wavefront_offset 0
		.amdhsa_system_sgpr_workgroup_id_x 1
		.amdhsa_system_sgpr_workgroup_id_y 0
		.amdhsa_system_sgpr_workgroup_id_z 0
		.amdhsa_system_sgpr_workgroup_info 0
		.amdhsa_system_vgpr_workitem_id 0
		.amdhsa_next_free_vgpr 1
		.amdhsa_next_free_sgpr 0
		.amdhsa_accum_offset 4
		.amdhsa_reserve_vcc 0
		.amdhsa_reserve_flat_scratch 0
		.amdhsa_float_round_mode_32 0
		.amdhsa_float_round_mode_16_64 0
		.amdhsa_float_denorm_mode_32 3
		.amdhsa_float_denorm_mode_16_64 3
		.amdhsa_dx10_clamp 1
		.amdhsa_ieee_mode 1
		.amdhsa_fp16_overflow 0
		.amdhsa_tg_split 0
		.amdhsa_exception_fp_ieee_invalid_op 0
		.amdhsa_exception_fp_denorm_src 0
		.amdhsa_exception_fp_ieee_div_zero 0
		.amdhsa_exception_fp_ieee_overflow 0
		.amdhsa_exception_fp_ieee_underflow 0
		.amdhsa_exception_fp_ieee_inexact 0
		.amdhsa_exception_int_div_zero 0
	.end_amdhsa_kernel
	.section	.text._ZN7rocprim17ROCPRIM_400000_NS6detail17trampoline_kernelINS0_14default_configENS1_35radix_sort_onesweep_config_selectorItNS0_10empty_typeEEEZNS1_34radix_sort_onesweep_global_offsetsIS3_Lb1EPtPS5_mNS0_19identity_decomposerEEE10hipError_tT1_T2_PT3_SE_jT4_jjP12ihipStream_tbEUlT_E0_NS1_11comp_targetILNS1_3genE10ELNS1_11target_archE1201ELNS1_3gpuE5ELNS1_3repE0EEENS1_52radix_sort_onesweep_histogram_config_static_selectorELNS0_4arch9wavefront6targetE1EEEvSC_,"axG",@progbits,_ZN7rocprim17ROCPRIM_400000_NS6detail17trampoline_kernelINS0_14default_configENS1_35radix_sort_onesweep_config_selectorItNS0_10empty_typeEEEZNS1_34radix_sort_onesweep_global_offsetsIS3_Lb1EPtPS5_mNS0_19identity_decomposerEEE10hipError_tT1_T2_PT3_SE_jT4_jjP12ihipStream_tbEUlT_E0_NS1_11comp_targetILNS1_3genE10ELNS1_11target_archE1201ELNS1_3gpuE5ELNS1_3repE0EEENS1_52radix_sort_onesweep_histogram_config_static_selectorELNS0_4arch9wavefront6targetE1EEEvSC_,comdat
.Lfunc_end1916:
	.size	_ZN7rocprim17ROCPRIM_400000_NS6detail17trampoline_kernelINS0_14default_configENS1_35radix_sort_onesweep_config_selectorItNS0_10empty_typeEEEZNS1_34radix_sort_onesweep_global_offsetsIS3_Lb1EPtPS5_mNS0_19identity_decomposerEEE10hipError_tT1_T2_PT3_SE_jT4_jjP12ihipStream_tbEUlT_E0_NS1_11comp_targetILNS1_3genE10ELNS1_11target_archE1201ELNS1_3gpuE5ELNS1_3repE0EEENS1_52radix_sort_onesweep_histogram_config_static_selectorELNS0_4arch9wavefront6targetE1EEEvSC_, .Lfunc_end1916-_ZN7rocprim17ROCPRIM_400000_NS6detail17trampoline_kernelINS0_14default_configENS1_35radix_sort_onesweep_config_selectorItNS0_10empty_typeEEEZNS1_34radix_sort_onesweep_global_offsetsIS3_Lb1EPtPS5_mNS0_19identity_decomposerEEE10hipError_tT1_T2_PT3_SE_jT4_jjP12ihipStream_tbEUlT_E0_NS1_11comp_targetILNS1_3genE10ELNS1_11target_archE1201ELNS1_3gpuE5ELNS1_3repE0EEENS1_52radix_sort_onesweep_histogram_config_static_selectorELNS0_4arch9wavefront6targetE1EEEvSC_
                                        ; -- End function
	.section	.AMDGPU.csdata,"",@progbits
; Kernel info:
; codeLenInByte = 0
; NumSgprs: 4
; NumVgprs: 0
; NumAgprs: 0
; TotalNumVgprs: 0
; ScratchSize: 0
; MemoryBound: 0
; FloatMode: 240
; IeeeMode: 1
; LDSByteSize: 0 bytes/workgroup (compile time only)
; SGPRBlocks: 0
; VGPRBlocks: 0
; NumSGPRsForWavesPerEU: 4
; NumVGPRsForWavesPerEU: 1
; AccumOffset: 4
; Occupancy: 8
; WaveLimiterHint : 0
; COMPUTE_PGM_RSRC2:SCRATCH_EN: 0
; COMPUTE_PGM_RSRC2:USER_SGPR: 6
; COMPUTE_PGM_RSRC2:TRAP_HANDLER: 0
; COMPUTE_PGM_RSRC2:TGID_X_EN: 1
; COMPUTE_PGM_RSRC2:TGID_Y_EN: 0
; COMPUTE_PGM_RSRC2:TGID_Z_EN: 0
; COMPUTE_PGM_RSRC2:TIDIG_COMP_CNT: 0
; COMPUTE_PGM_RSRC3_GFX90A:ACCUM_OFFSET: 0
; COMPUTE_PGM_RSRC3_GFX90A:TG_SPLIT: 0
	.section	.text._ZN7rocprim17ROCPRIM_400000_NS6detail17trampoline_kernelINS0_14default_configENS1_35radix_sort_onesweep_config_selectorItNS0_10empty_typeEEEZNS1_34radix_sort_onesweep_global_offsetsIS3_Lb1EPtPS5_mNS0_19identity_decomposerEEE10hipError_tT1_T2_PT3_SE_jT4_jjP12ihipStream_tbEUlT_E0_NS1_11comp_targetILNS1_3genE9ELNS1_11target_archE1100ELNS1_3gpuE3ELNS1_3repE0EEENS1_52radix_sort_onesweep_histogram_config_static_selectorELNS0_4arch9wavefront6targetE1EEEvSC_,"axG",@progbits,_ZN7rocprim17ROCPRIM_400000_NS6detail17trampoline_kernelINS0_14default_configENS1_35radix_sort_onesweep_config_selectorItNS0_10empty_typeEEEZNS1_34radix_sort_onesweep_global_offsetsIS3_Lb1EPtPS5_mNS0_19identity_decomposerEEE10hipError_tT1_T2_PT3_SE_jT4_jjP12ihipStream_tbEUlT_E0_NS1_11comp_targetILNS1_3genE9ELNS1_11target_archE1100ELNS1_3gpuE3ELNS1_3repE0EEENS1_52radix_sort_onesweep_histogram_config_static_selectorELNS0_4arch9wavefront6targetE1EEEvSC_,comdat
	.protected	_ZN7rocprim17ROCPRIM_400000_NS6detail17trampoline_kernelINS0_14default_configENS1_35radix_sort_onesweep_config_selectorItNS0_10empty_typeEEEZNS1_34radix_sort_onesweep_global_offsetsIS3_Lb1EPtPS5_mNS0_19identity_decomposerEEE10hipError_tT1_T2_PT3_SE_jT4_jjP12ihipStream_tbEUlT_E0_NS1_11comp_targetILNS1_3genE9ELNS1_11target_archE1100ELNS1_3gpuE3ELNS1_3repE0EEENS1_52radix_sort_onesweep_histogram_config_static_selectorELNS0_4arch9wavefront6targetE1EEEvSC_ ; -- Begin function _ZN7rocprim17ROCPRIM_400000_NS6detail17trampoline_kernelINS0_14default_configENS1_35radix_sort_onesweep_config_selectorItNS0_10empty_typeEEEZNS1_34radix_sort_onesweep_global_offsetsIS3_Lb1EPtPS5_mNS0_19identity_decomposerEEE10hipError_tT1_T2_PT3_SE_jT4_jjP12ihipStream_tbEUlT_E0_NS1_11comp_targetILNS1_3genE9ELNS1_11target_archE1100ELNS1_3gpuE3ELNS1_3repE0EEENS1_52radix_sort_onesweep_histogram_config_static_selectorELNS0_4arch9wavefront6targetE1EEEvSC_
	.globl	_ZN7rocprim17ROCPRIM_400000_NS6detail17trampoline_kernelINS0_14default_configENS1_35radix_sort_onesweep_config_selectorItNS0_10empty_typeEEEZNS1_34radix_sort_onesweep_global_offsetsIS3_Lb1EPtPS5_mNS0_19identity_decomposerEEE10hipError_tT1_T2_PT3_SE_jT4_jjP12ihipStream_tbEUlT_E0_NS1_11comp_targetILNS1_3genE9ELNS1_11target_archE1100ELNS1_3gpuE3ELNS1_3repE0EEENS1_52radix_sort_onesweep_histogram_config_static_selectorELNS0_4arch9wavefront6targetE1EEEvSC_
	.p2align	8
	.type	_ZN7rocprim17ROCPRIM_400000_NS6detail17trampoline_kernelINS0_14default_configENS1_35radix_sort_onesweep_config_selectorItNS0_10empty_typeEEEZNS1_34radix_sort_onesweep_global_offsetsIS3_Lb1EPtPS5_mNS0_19identity_decomposerEEE10hipError_tT1_T2_PT3_SE_jT4_jjP12ihipStream_tbEUlT_E0_NS1_11comp_targetILNS1_3genE9ELNS1_11target_archE1100ELNS1_3gpuE3ELNS1_3repE0EEENS1_52radix_sort_onesweep_histogram_config_static_selectorELNS0_4arch9wavefront6targetE1EEEvSC_,@function
_ZN7rocprim17ROCPRIM_400000_NS6detail17trampoline_kernelINS0_14default_configENS1_35radix_sort_onesweep_config_selectorItNS0_10empty_typeEEEZNS1_34radix_sort_onesweep_global_offsetsIS3_Lb1EPtPS5_mNS0_19identity_decomposerEEE10hipError_tT1_T2_PT3_SE_jT4_jjP12ihipStream_tbEUlT_E0_NS1_11comp_targetILNS1_3genE9ELNS1_11target_archE1100ELNS1_3gpuE3ELNS1_3repE0EEENS1_52radix_sort_onesweep_histogram_config_static_selectorELNS0_4arch9wavefront6targetE1EEEvSC_: ; @_ZN7rocprim17ROCPRIM_400000_NS6detail17trampoline_kernelINS0_14default_configENS1_35radix_sort_onesweep_config_selectorItNS0_10empty_typeEEEZNS1_34radix_sort_onesweep_global_offsetsIS3_Lb1EPtPS5_mNS0_19identity_decomposerEEE10hipError_tT1_T2_PT3_SE_jT4_jjP12ihipStream_tbEUlT_E0_NS1_11comp_targetILNS1_3genE9ELNS1_11target_archE1100ELNS1_3gpuE3ELNS1_3repE0EEENS1_52radix_sort_onesweep_histogram_config_static_selectorELNS0_4arch9wavefront6targetE1EEEvSC_
; %bb.0:
	.section	.rodata,"a",@progbits
	.p2align	6, 0x0
	.amdhsa_kernel _ZN7rocprim17ROCPRIM_400000_NS6detail17trampoline_kernelINS0_14default_configENS1_35radix_sort_onesweep_config_selectorItNS0_10empty_typeEEEZNS1_34radix_sort_onesweep_global_offsetsIS3_Lb1EPtPS5_mNS0_19identity_decomposerEEE10hipError_tT1_T2_PT3_SE_jT4_jjP12ihipStream_tbEUlT_E0_NS1_11comp_targetILNS1_3genE9ELNS1_11target_archE1100ELNS1_3gpuE3ELNS1_3repE0EEENS1_52radix_sort_onesweep_histogram_config_static_selectorELNS0_4arch9wavefront6targetE1EEEvSC_
		.amdhsa_group_segment_fixed_size 0
		.amdhsa_private_segment_fixed_size 0
		.amdhsa_kernarg_size 8
		.amdhsa_user_sgpr_count 6
		.amdhsa_user_sgpr_private_segment_buffer 1
		.amdhsa_user_sgpr_dispatch_ptr 0
		.amdhsa_user_sgpr_queue_ptr 0
		.amdhsa_user_sgpr_kernarg_segment_ptr 1
		.amdhsa_user_sgpr_dispatch_id 0
		.amdhsa_user_sgpr_flat_scratch_init 0
		.amdhsa_user_sgpr_kernarg_preload_length 0
		.amdhsa_user_sgpr_kernarg_preload_offset 0
		.amdhsa_user_sgpr_private_segment_size 0
		.amdhsa_uses_dynamic_stack 0
		.amdhsa_system_sgpr_private_segment_wavefront_offset 0
		.amdhsa_system_sgpr_workgroup_id_x 1
		.amdhsa_system_sgpr_workgroup_id_y 0
		.amdhsa_system_sgpr_workgroup_id_z 0
		.amdhsa_system_sgpr_workgroup_info 0
		.amdhsa_system_vgpr_workitem_id 0
		.amdhsa_next_free_vgpr 1
		.amdhsa_next_free_sgpr 0
		.amdhsa_accum_offset 4
		.amdhsa_reserve_vcc 0
		.amdhsa_reserve_flat_scratch 0
		.amdhsa_float_round_mode_32 0
		.amdhsa_float_round_mode_16_64 0
		.amdhsa_float_denorm_mode_32 3
		.amdhsa_float_denorm_mode_16_64 3
		.amdhsa_dx10_clamp 1
		.amdhsa_ieee_mode 1
		.amdhsa_fp16_overflow 0
		.amdhsa_tg_split 0
		.amdhsa_exception_fp_ieee_invalid_op 0
		.amdhsa_exception_fp_denorm_src 0
		.amdhsa_exception_fp_ieee_div_zero 0
		.amdhsa_exception_fp_ieee_overflow 0
		.amdhsa_exception_fp_ieee_underflow 0
		.amdhsa_exception_fp_ieee_inexact 0
		.amdhsa_exception_int_div_zero 0
	.end_amdhsa_kernel
	.section	.text._ZN7rocprim17ROCPRIM_400000_NS6detail17trampoline_kernelINS0_14default_configENS1_35radix_sort_onesweep_config_selectorItNS0_10empty_typeEEEZNS1_34radix_sort_onesweep_global_offsetsIS3_Lb1EPtPS5_mNS0_19identity_decomposerEEE10hipError_tT1_T2_PT3_SE_jT4_jjP12ihipStream_tbEUlT_E0_NS1_11comp_targetILNS1_3genE9ELNS1_11target_archE1100ELNS1_3gpuE3ELNS1_3repE0EEENS1_52radix_sort_onesweep_histogram_config_static_selectorELNS0_4arch9wavefront6targetE1EEEvSC_,"axG",@progbits,_ZN7rocprim17ROCPRIM_400000_NS6detail17trampoline_kernelINS0_14default_configENS1_35radix_sort_onesweep_config_selectorItNS0_10empty_typeEEEZNS1_34radix_sort_onesweep_global_offsetsIS3_Lb1EPtPS5_mNS0_19identity_decomposerEEE10hipError_tT1_T2_PT3_SE_jT4_jjP12ihipStream_tbEUlT_E0_NS1_11comp_targetILNS1_3genE9ELNS1_11target_archE1100ELNS1_3gpuE3ELNS1_3repE0EEENS1_52radix_sort_onesweep_histogram_config_static_selectorELNS0_4arch9wavefront6targetE1EEEvSC_,comdat
.Lfunc_end1917:
	.size	_ZN7rocprim17ROCPRIM_400000_NS6detail17trampoline_kernelINS0_14default_configENS1_35radix_sort_onesweep_config_selectorItNS0_10empty_typeEEEZNS1_34radix_sort_onesweep_global_offsetsIS3_Lb1EPtPS5_mNS0_19identity_decomposerEEE10hipError_tT1_T2_PT3_SE_jT4_jjP12ihipStream_tbEUlT_E0_NS1_11comp_targetILNS1_3genE9ELNS1_11target_archE1100ELNS1_3gpuE3ELNS1_3repE0EEENS1_52radix_sort_onesweep_histogram_config_static_selectorELNS0_4arch9wavefront6targetE1EEEvSC_, .Lfunc_end1917-_ZN7rocprim17ROCPRIM_400000_NS6detail17trampoline_kernelINS0_14default_configENS1_35radix_sort_onesweep_config_selectorItNS0_10empty_typeEEEZNS1_34radix_sort_onesweep_global_offsetsIS3_Lb1EPtPS5_mNS0_19identity_decomposerEEE10hipError_tT1_T2_PT3_SE_jT4_jjP12ihipStream_tbEUlT_E0_NS1_11comp_targetILNS1_3genE9ELNS1_11target_archE1100ELNS1_3gpuE3ELNS1_3repE0EEENS1_52radix_sort_onesweep_histogram_config_static_selectorELNS0_4arch9wavefront6targetE1EEEvSC_
                                        ; -- End function
	.section	.AMDGPU.csdata,"",@progbits
; Kernel info:
; codeLenInByte = 0
; NumSgprs: 4
; NumVgprs: 0
; NumAgprs: 0
; TotalNumVgprs: 0
; ScratchSize: 0
; MemoryBound: 0
; FloatMode: 240
; IeeeMode: 1
; LDSByteSize: 0 bytes/workgroup (compile time only)
; SGPRBlocks: 0
; VGPRBlocks: 0
; NumSGPRsForWavesPerEU: 4
; NumVGPRsForWavesPerEU: 1
; AccumOffset: 4
; Occupancy: 8
; WaveLimiterHint : 0
; COMPUTE_PGM_RSRC2:SCRATCH_EN: 0
; COMPUTE_PGM_RSRC2:USER_SGPR: 6
; COMPUTE_PGM_RSRC2:TRAP_HANDLER: 0
; COMPUTE_PGM_RSRC2:TGID_X_EN: 1
; COMPUTE_PGM_RSRC2:TGID_Y_EN: 0
; COMPUTE_PGM_RSRC2:TGID_Z_EN: 0
; COMPUTE_PGM_RSRC2:TIDIG_COMP_CNT: 0
; COMPUTE_PGM_RSRC3_GFX90A:ACCUM_OFFSET: 0
; COMPUTE_PGM_RSRC3_GFX90A:TG_SPLIT: 0
	.section	.text._ZN7rocprim17ROCPRIM_400000_NS6detail17trampoline_kernelINS0_14default_configENS1_35radix_sort_onesweep_config_selectorItNS0_10empty_typeEEEZNS1_34radix_sort_onesweep_global_offsetsIS3_Lb1EPtPS5_mNS0_19identity_decomposerEEE10hipError_tT1_T2_PT3_SE_jT4_jjP12ihipStream_tbEUlT_E0_NS1_11comp_targetILNS1_3genE8ELNS1_11target_archE1030ELNS1_3gpuE2ELNS1_3repE0EEENS1_52radix_sort_onesweep_histogram_config_static_selectorELNS0_4arch9wavefront6targetE1EEEvSC_,"axG",@progbits,_ZN7rocprim17ROCPRIM_400000_NS6detail17trampoline_kernelINS0_14default_configENS1_35radix_sort_onesweep_config_selectorItNS0_10empty_typeEEEZNS1_34radix_sort_onesweep_global_offsetsIS3_Lb1EPtPS5_mNS0_19identity_decomposerEEE10hipError_tT1_T2_PT3_SE_jT4_jjP12ihipStream_tbEUlT_E0_NS1_11comp_targetILNS1_3genE8ELNS1_11target_archE1030ELNS1_3gpuE2ELNS1_3repE0EEENS1_52radix_sort_onesweep_histogram_config_static_selectorELNS0_4arch9wavefront6targetE1EEEvSC_,comdat
	.protected	_ZN7rocprim17ROCPRIM_400000_NS6detail17trampoline_kernelINS0_14default_configENS1_35radix_sort_onesweep_config_selectorItNS0_10empty_typeEEEZNS1_34radix_sort_onesweep_global_offsetsIS3_Lb1EPtPS5_mNS0_19identity_decomposerEEE10hipError_tT1_T2_PT3_SE_jT4_jjP12ihipStream_tbEUlT_E0_NS1_11comp_targetILNS1_3genE8ELNS1_11target_archE1030ELNS1_3gpuE2ELNS1_3repE0EEENS1_52radix_sort_onesweep_histogram_config_static_selectorELNS0_4arch9wavefront6targetE1EEEvSC_ ; -- Begin function _ZN7rocprim17ROCPRIM_400000_NS6detail17trampoline_kernelINS0_14default_configENS1_35radix_sort_onesweep_config_selectorItNS0_10empty_typeEEEZNS1_34radix_sort_onesweep_global_offsetsIS3_Lb1EPtPS5_mNS0_19identity_decomposerEEE10hipError_tT1_T2_PT3_SE_jT4_jjP12ihipStream_tbEUlT_E0_NS1_11comp_targetILNS1_3genE8ELNS1_11target_archE1030ELNS1_3gpuE2ELNS1_3repE0EEENS1_52radix_sort_onesweep_histogram_config_static_selectorELNS0_4arch9wavefront6targetE1EEEvSC_
	.globl	_ZN7rocprim17ROCPRIM_400000_NS6detail17trampoline_kernelINS0_14default_configENS1_35radix_sort_onesweep_config_selectorItNS0_10empty_typeEEEZNS1_34radix_sort_onesweep_global_offsetsIS3_Lb1EPtPS5_mNS0_19identity_decomposerEEE10hipError_tT1_T2_PT3_SE_jT4_jjP12ihipStream_tbEUlT_E0_NS1_11comp_targetILNS1_3genE8ELNS1_11target_archE1030ELNS1_3gpuE2ELNS1_3repE0EEENS1_52radix_sort_onesweep_histogram_config_static_selectorELNS0_4arch9wavefront6targetE1EEEvSC_
	.p2align	8
	.type	_ZN7rocprim17ROCPRIM_400000_NS6detail17trampoline_kernelINS0_14default_configENS1_35radix_sort_onesweep_config_selectorItNS0_10empty_typeEEEZNS1_34radix_sort_onesweep_global_offsetsIS3_Lb1EPtPS5_mNS0_19identity_decomposerEEE10hipError_tT1_T2_PT3_SE_jT4_jjP12ihipStream_tbEUlT_E0_NS1_11comp_targetILNS1_3genE8ELNS1_11target_archE1030ELNS1_3gpuE2ELNS1_3repE0EEENS1_52radix_sort_onesweep_histogram_config_static_selectorELNS0_4arch9wavefront6targetE1EEEvSC_,@function
_ZN7rocprim17ROCPRIM_400000_NS6detail17trampoline_kernelINS0_14default_configENS1_35radix_sort_onesweep_config_selectorItNS0_10empty_typeEEEZNS1_34radix_sort_onesweep_global_offsetsIS3_Lb1EPtPS5_mNS0_19identity_decomposerEEE10hipError_tT1_T2_PT3_SE_jT4_jjP12ihipStream_tbEUlT_E0_NS1_11comp_targetILNS1_3genE8ELNS1_11target_archE1030ELNS1_3gpuE2ELNS1_3repE0EEENS1_52radix_sort_onesweep_histogram_config_static_selectorELNS0_4arch9wavefront6targetE1EEEvSC_: ; @_ZN7rocprim17ROCPRIM_400000_NS6detail17trampoline_kernelINS0_14default_configENS1_35radix_sort_onesweep_config_selectorItNS0_10empty_typeEEEZNS1_34radix_sort_onesweep_global_offsetsIS3_Lb1EPtPS5_mNS0_19identity_decomposerEEE10hipError_tT1_T2_PT3_SE_jT4_jjP12ihipStream_tbEUlT_E0_NS1_11comp_targetILNS1_3genE8ELNS1_11target_archE1030ELNS1_3gpuE2ELNS1_3repE0EEENS1_52radix_sort_onesweep_histogram_config_static_selectorELNS0_4arch9wavefront6targetE1EEEvSC_
; %bb.0:
	.section	.rodata,"a",@progbits
	.p2align	6, 0x0
	.amdhsa_kernel _ZN7rocprim17ROCPRIM_400000_NS6detail17trampoline_kernelINS0_14default_configENS1_35radix_sort_onesweep_config_selectorItNS0_10empty_typeEEEZNS1_34radix_sort_onesweep_global_offsetsIS3_Lb1EPtPS5_mNS0_19identity_decomposerEEE10hipError_tT1_T2_PT3_SE_jT4_jjP12ihipStream_tbEUlT_E0_NS1_11comp_targetILNS1_3genE8ELNS1_11target_archE1030ELNS1_3gpuE2ELNS1_3repE0EEENS1_52radix_sort_onesweep_histogram_config_static_selectorELNS0_4arch9wavefront6targetE1EEEvSC_
		.amdhsa_group_segment_fixed_size 0
		.amdhsa_private_segment_fixed_size 0
		.amdhsa_kernarg_size 8
		.amdhsa_user_sgpr_count 6
		.amdhsa_user_sgpr_private_segment_buffer 1
		.amdhsa_user_sgpr_dispatch_ptr 0
		.amdhsa_user_sgpr_queue_ptr 0
		.amdhsa_user_sgpr_kernarg_segment_ptr 1
		.amdhsa_user_sgpr_dispatch_id 0
		.amdhsa_user_sgpr_flat_scratch_init 0
		.amdhsa_user_sgpr_kernarg_preload_length 0
		.amdhsa_user_sgpr_kernarg_preload_offset 0
		.amdhsa_user_sgpr_private_segment_size 0
		.amdhsa_uses_dynamic_stack 0
		.amdhsa_system_sgpr_private_segment_wavefront_offset 0
		.amdhsa_system_sgpr_workgroup_id_x 1
		.amdhsa_system_sgpr_workgroup_id_y 0
		.amdhsa_system_sgpr_workgroup_id_z 0
		.amdhsa_system_sgpr_workgroup_info 0
		.amdhsa_system_vgpr_workitem_id 0
		.amdhsa_next_free_vgpr 1
		.amdhsa_next_free_sgpr 0
		.amdhsa_accum_offset 4
		.amdhsa_reserve_vcc 0
		.amdhsa_reserve_flat_scratch 0
		.amdhsa_float_round_mode_32 0
		.amdhsa_float_round_mode_16_64 0
		.amdhsa_float_denorm_mode_32 3
		.amdhsa_float_denorm_mode_16_64 3
		.amdhsa_dx10_clamp 1
		.amdhsa_ieee_mode 1
		.amdhsa_fp16_overflow 0
		.amdhsa_tg_split 0
		.amdhsa_exception_fp_ieee_invalid_op 0
		.amdhsa_exception_fp_denorm_src 0
		.amdhsa_exception_fp_ieee_div_zero 0
		.amdhsa_exception_fp_ieee_overflow 0
		.amdhsa_exception_fp_ieee_underflow 0
		.amdhsa_exception_fp_ieee_inexact 0
		.amdhsa_exception_int_div_zero 0
	.end_amdhsa_kernel
	.section	.text._ZN7rocprim17ROCPRIM_400000_NS6detail17trampoline_kernelINS0_14default_configENS1_35radix_sort_onesweep_config_selectorItNS0_10empty_typeEEEZNS1_34radix_sort_onesweep_global_offsetsIS3_Lb1EPtPS5_mNS0_19identity_decomposerEEE10hipError_tT1_T2_PT3_SE_jT4_jjP12ihipStream_tbEUlT_E0_NS1_11comp_targetILNS1_3genE8ELNS1_11target_archE1030ELNS1_3gpuE2ELNS1_3repE0EEENS1_52radix_sort_onesweep_histogram_config_static_selectorELNS0_4arch9wavefront6targetE1EEEvSC_,"axG",@progbits,_ZN7rocprim17ROCPRIM_400000_NS6detail17trampoline_kernelINS0_14default_configENS1_35radix_sort_onesweep_config_selectorItNS0_10empty_typeEEEZNS1_34radix_sort_onesweep_global_offsetsIS3_Lb1EPtPS5_mNS0_19identity_decomposerEEE10hipError_tT1_T2_PT3_SE_jT4_jjP12ihipStream_tbEUlT_E0_NS1_11comp_targetILNS1_3genE8ELNS1_11target_archE1030ELNS1_3gpuE2ELNS1_3repE0EEENS1_52radix_sort_onesweep_histogram_config_static_selectorELNS0_4arch9wavefront6targetE1EEEvSC_,comdat
.Lfunc_end1918:
	.size	_ZN7rocprim17ROCPRIM_400000_NS6detail17trampoline_kernelINS0_14default_configENS1_35radix_sort_onesweep_config_selectorItNS0_10empty_typeEEEZNS1_34radix_sort_onesweep_global_offsetsIS3_Lb1EPtPS5_mNS0_19identity_decomposerEEE10hipError_tT1_T2_PT3_SE_jT4_jjP12ihipStream_tbEUlT_E0_NS1_11comp_targetILNS1_3genE8ELNS1_11target_archE1030ELNS1_3gpuE2ELNS1_3repE0EEENS1_52radix_sort_onesweep_histogram_config_static_selectorELNS0_4arch9wavefront6targetE1EEEvSC_, .Lfunc_end1918-_ZN7rocprim17ROCPRIM_400000_NS6detail17trampoline_kernelINS0_14default_configENS1_35radix_sort_onesweep_config_selectorItNS0_10empty_typeEEEZNS1_34radix_sort_onesweep_global_offsetsIS3_Lb1EPtPS5_mNS0_19identity_decomposerEEE10hipError_tT1_T2_PT3_SE_jT4_jjP12ihipStream_tbEUlT_E0_NS1_11comp_targetILNS1_3genE8ELNS1_11target_archE1030ELNS1_3gpuE2ELNS1_3repE0EEENS1_52radix_sort_onesweep_histogram_config_static_selectorELNS0_4arch9wavefront6targetE1EEEvSC_
                                        ; -- End function
	.section	.AMDGPU.csdata,"",@progbits
; Kernel info:
; codeLenInByte = 0
; NumSgprs: 4
; NumVgprs: 0
; NumAgprs: 0
; TotalNumVgprs: 0
; ScratchSize: 0
; MemoryBound: 0
; FloatMode: 240
; IeeeMode: 1
; LDSByteSize: 0 bytes/workgroup (compile time only)
; SGPRBlocks: 0
; VGPRBlocks: 0
; NumSGPRsForWavesPerEU: 4
; NumVGPRsForWavesPerEU: 1
; AccumOffset: 4
; Occupancy: 8
; WaveLimiterHint : 0
; COMPUTE_PGM_RSRC2:SCRATCH_EN: 0
; COMPUTE_PGM_RSRC2:USER_SGPR: 6
; COMPUTE_PGM_RSRC2:TRAP_HANDLER: 0
; COMPUTE_PGM_RSRC2:TGID_X_EN: 1
; COMPUTE_PGM_RSRC2:TGID_Y_EN: 0
; COMPUTE_PGM_RSRC2:TGID_Z_EN: 0
; COMPUTE_PGM_RSRC2:TIDIG_COMP_CNT: 0
; COMPUTE_PGM_RSRC3_GFX90A:ACCUM_OFFSET: 0
; COMPUTE_PGM_RSRC3_GFX90A:TG_SPLIT: 0
	.section	.text._ZN7rocprim17ROCPRIM_400000_NS6detail17trampoline_kernelINS0_14default_configENS1_35radix_sort_onesweep_config_selectorItNS0_10empty_typeEEEZZNS1_29radix_sort_onesweep_iterationIS3_Lb1EPtS8_PS5_S9_mNS0_19identity_decomposerENS1_16block_id_wrapperIjLb1EEEEE10hipError_tT1_PNSt15iterator_traitsISE_E10value_typeET2_T3_PNSF_ISK_E10value_typeET4_T5_PSP_SQ_PNS1_23onesweep_lookback_stateEbbT6_jjT7_P12ihipStream_tbENKUlT_T0_SE_SJ_E_clIS8_S8_S9_S9_EEDaSX_SY_SE_SJ_EUlSX_E_NS1_11comp_targetILNS1_3genE0ELNS1_11target_archE4294967295ELNS1_3gpuE0ELNS1_3repE0EEENS1_47radix_sort_onesweep_sort_config_static_selectorELNS0_4arch9wavefront6targetE1EEEvSE_,"axG",@progbits,_ZN7rocprim17ROCPRIM_400000_NS6detail17trampoline_kernelINS0_14default_configENS1_35radix_sort_onesweep_config_selectorItNS0_10empty_typeEEEZZNS1_29radix_sort_onesweep_iterationIS3_Lb1EPtS8_PS5_S9_mNS0_19identity_decomposerENS1_16block_id_wrapperIjLb1EEEEE10hipError_tT1_PNSt15iterator_traitsISE_E10value_typeET2_T3_PNSF_ISK_E10value_typeET4_T5_PSP_SQ_PNS1_23onesweep_lookback_stateEbbT6_jjT7_P12ihipStream_tbENKUlT_T0_SE_SJ_E_clIS8_S8_S9_S9_EEDaSX_SY_SE_SJ_EUlSX_E_NS1_11comp_targetILNS1_3genE0ELNS1_11target_archE4294967295ELNS1_3gpuE0ELNS1_3repE0EEENS1_47radix_sort_onesweep_sort_config_static_selectorELNS0_4arch9wavefront6targetE1EEEvSE_,comdat
	.protected	_ZN7rocprim17ROCPRIM_400000_NS6detail17trampoline_kernelINS0_14default_configENS1_35radix_sort_onesweep_config_selectorItNS0_10empty_typeEEEZZNS1_29radix_sort_onesweep_iterationIS3_Lb1EPtS8_PS5_S9_mNS0_19identity_decomposerENS1_16block_id_wrapperIjLb1EEEEE10hipError_tT1_PNSt15iterator_traitsISE_E10value_typeET2_T3_PNSF_ISK_E10value_typeET4_T5_PSP_SQ_PNS1_23onesweep_lookback_stateEbbT6_jjT7_P12ihipStream_tbENKUlT_T0_SE_SJ_E_clIS8_S8_S9_S9_EEDaSX_SY_SE_SJ_EUlSX_E_NS1_11comp_targetILNS1_3genE0ELNS1_11target_archE4294967295ELNS1_3gpuE0ELNS1_3repE0EEENS1_47radix_sort_onesweep_sort_config_static_selectorELNS0_4arch9wavefront6targetE1EEEvSE_ ; -- Begin function _ZN7rocprim17ROCPRIM_400000_NS6detail17trampoline_kernelINS0_14default_configENS1_35radix_sort_onesweep_config_selectorItNS0_10empty_typeEEEZZNS1_29radix_sort_onesweep_iterationIS3_Lb1EPtS8_PS5_S9_mNS0_19identity_decomposerENS1_16block_id_wrapperIjLb1EEEEE10hipError_tT1_PNSt15iterator_traitsISE_E10value_typeET2_T3_PNSF_ISK_E10value_typeET4_T5_PSP_SQ_PNS1_23onesweep_lookback_stateEbbT6_jjT7_P12ihipStream_tbENKUlT_T0_SE_SJ_E_clIS8_S8_S9_S9_EEDaSX_SY_SE_SJ_EUlSX_E_NS1_11comp_targetILNS1_3genE0ELNS1_11target_archE4294967295ELNS1_3gpuE0ELNS1_3repE0EEENS1_47radix_sort_onesweep_sort_config_static_selectorELNS0_4arch9wavefront6targetE1EEEvSE_
	.globl	_ZN7rocprim17ROCPRIM_400000_NS6detail17trampoline_kernelINS0_14default_configENS1_35radix_sort_onesweep_config_selectorItNS0_10empty_typeEEEZZNS1_29radix_sort_onesweep_iterationIS3_Lb1EPtS8_PS5_S9_mNS0_19identity_decomposerENS1_16block_id_wrapperIjLb1EEEEE10hipError_tT1_PNSt15iterator_traitsISE_E10value_typeET2_T3_PNSF_ISK_E10value_typeET4_T5_PSP_SQ_PNS1_23onesweep_lookback_stateEbbT6_jjT7_P12ihipStream_tbENKUlT_T0_SE_SJ_E_clIS8_S8_S9_S9_EEDaSX_SY_SE_SJ_EUlSX_E_NS1_11comp_targetILNS1_3genE0ELNS1_11target_archE4294967295ELNS1_3gpuE0ELNS1_3repE0EEENS1_47radix_sort_onesweep_sort_config_static_selectorELNS0_4arch9wavefront6targetE1EEEvSE_
	.p2align	8
	.type	_ZN7rocprim17ROCPRIM_400000_NS6detail17trampoline_kernelINS0_14default_configENS1_35radix_sort_onesweep_config_selectorItNS0_10empty_typeEEEZZNS1_29radix_sort_onesweep_iterationIS3_Lb1EPtS8_PS5_S9_mNS0_19identity_decomposerENS1_16block_id_wrapperIjLb1EEEEE10hipError_tT1_PNSt15iterator_traitsISE_E10value_typeET2_T3_PNSF_ISK_E10value_typeET4_T5_PSP_SQ_PNS1_23onesweep_lookback_stateEbbT6_jjT7_P12ihipStream_tbENKUlT_T0_SE_SJ_E_clIS8_S8_S9_S9_EEDaSX_SY_SE_SJ_EUlSX_E_NS1_11comp_targetILNS1_3genE0ELNS1_11target_archE4294967295ELNS1_3gpuE0ELNS1_3repE0EEENS1_47radix_sort_onesweep_sort_config_static_selectorELNS0_4arch9wavefront6targetE1EEEvSE_,@function
_ZN7rocprim17ROCPRIM_400000_NS6detail17trampoline_kernelINS0_14default_configENS1_35radix_sort_onesweep_config_selectorItNS0_10empty_typeEEEZZNS1_29radix_sort_onesweep_iterationIS3_Lb1EPtS8_PS5_S9_mNS0_19identity_decomposerENS1_16block_id_wrapperIjLb1EEEEE10hipError_tT1_PNSt15iterator_traitsISE_E10value_typeET2_T3_PNSF_ISK_E10value_typeET4_T5_PSP_SQ_PNS1_23onesweep_lookback_stateEbbT6_jjT7_P12ihipStream_tbENKUlT_T0_SE_SJ_E_clIS8_S8_S9_S9_EEDaSX_SY_SE_SJ_EUlSX_E_NS1_11comp_targetILNS1_3genE0ELNS1_11target_archE4294967295ELNS1_3gpuE0ELNS1_3repE0EEENS1_47radix_sort_onesweep_sort_config_static_selectorELNS0_4arch9wavefront6targetE1EEEvSE_: ; @_ZN7rocprim17ROCPRIM_400000_NS6detail17trampoline_kernelINS0_14default_configENS1_35radix_sort_onesweep_config_selectorItNS0_10empty_typeEEEZZNS1_29radix_sort_onesweep_iterationIS3_Lb1EPtS8_PS5_S9_mNS0_19identity_decomposerENS1_16block_id_wrapperIjLb1EEEEE10hipError_tT1_PNSt15iterator_traitsISE_E10value_typeET2_T3_PNSF_ISK_E10value_typeET4_T5_PSP_SQ_PNS1_23onesweep_lookback_stateEbbT6_jjT7_P12ihipStream_tbENKUlT_T0_SE_SJ_E_clIS8_S8_S9_S9_EEDaSX_SY_SE_SJ_EUlSX_E_NS1_11comp_targetILNS1_3genE0ELNS1_11target_archE4294967295ELNS1_3gpuE0ELNS1_3repE0EEENS1_47radix_sort_onesweep_sort_config_static_selectorELNS0_4arch9wavefront6targetE1EEEvSE_
; %bb.0:
	.section	.rodata,"a",@progbits
	.p2align	6, 0x0
	.amdhsa_kernel _ZN7rocprim17ROCPRIM_400000_NS6detail17trampoline_kernelINS0_14default_configENS1_35radix_sort_onesweep_config_selectorItNS0_10empty_typeEEEZZNS1_29radix_sort_onesweep_iterationIS3_Lb1EPtS8_PS5_S9_mNS0_19identity_decomposerENS1_16block_id_wrapperIjLb1EEEEE10hipError_tT1_PNSt15iterator_traitsISE_E10value_typeET2_T3_PNSF_ISK_E10value_typeET4_T5_PSP_SQ_PNS1_23onesweep_lookback_stateEbbT6_jjT7_P12ihipStream_tbENKUlT_T0_SE_SJ_E_clIS8_S8_S9_S9_EEDaSX_SY_SE_SJ_EUlSX_E_NS1_11comp_targetILNS1_3genE0ELNS1_11target_archE4294967295ELNS1_3gpuE0ELNS1_3repE0EEENS1_47radix_sort_onesweep_sort_config_static_selectorELNS0_4arch9wavefront6targetE1EEEvSE_
		.amdhsa_group_segment_fixed_size 0
		.amdhsa_private_segment_fixed_size 0
		.amdhsa_kernarg_size 88
		.amdhsa_user_sgpr_count 6
		.amdhsa_user_sgpr_private_segment_buffer 1
		.amdhsa_user_sgpr_dispatch_ptr 0
		.amdhsa_user_sgpr_queue_ptr 0
		.amdhsa_user_sgpr_kernarg_segment_ptr 1
		.amdhsa_user_sgpr_dispatch_id 0
		.amdhsa_user_sgpr_flat_scratch_init 0
		.amdhsa_user_sgpr_kernarg_preload_length 0
		.amdhsa_user_sgpr_kernarg_preload_offset 0
		.amdhsa_user_sgpr_private_segment_size 0
		.amdhsa_uses_dynamic_stack 0
		.amdhsa_system_sgpr_private_segment_wavefront_offset 0
		.amdhsa_system_sgpr_workgroup_id_x 1
		.amdhsa_system_sgpr_workgroup_id_y 0
		.amdhsa_system_sgpr_workgroup_id_z 0
		.amdhsa_system_sgpr_workgroup_info 0
		.amdhsa_system_vgpr_workitem_id 0
		.amdhsa_next_free_vgpr 1
		.amdhsa_next_free_sgpr 0
		.amdhsa_accum_offset 4
		.amdhsa_reserve_vcc 0
		.amdhsa_reserve_flat_scratch 0
		.amdhsa_float_round_mode_32 0
		.amdhsa_float_round_mode_16_64 0
		.amdhsa_float_denorm_mode_32 3
		.amdhsa_float_denorm_mode_16_64 3
		.amdhsa_dx10_clamp 1
		.amdhsa_ieee_mode 1
		.amdhsa_fp16_overflow 0
		.amdhsa_tg_split 0
		.amdhsa_exception_fp_ieee_invalid_op 0
		.amdhsa_exception_fp_denorm_src 0
		.amdhsa_exception_fp_ieee_div_zero 0
		.amdhsa_exception_fp_ieee_overflow 0
		.amdhsa_exception_fp_ieee_underflow 0
		.amdhsa_exception_fp_ieee_inexact 0
		.amdhsa_exception_int_div_zero 0
	.end_amdhsa_kernel
	.section	.text._ZN7rocprim17ROCPRIM_400000_NS6detail17trampoline_kernelINS0_14default_configENS1_35radix_sort_onesweep_config_selectorItNS0_10empty_typeEEEZZNS1_29radix_sort_onesweep_iterationIS3_Lb1EPtS8_PS5_S9_mNS0_19identity_decomposerENS1_16block_id_wrapperIjLb1EEEEE10hipError_tT1_PNSt15iterator_traitsISE_E10value_typeET2_T3_PNSF_ISK_E10value_typeET4_T5_PSP_SQ_PNS1_23onesweep_lookback_stateEbbT6_jjT7_P12ihipStream_tbENKUlT_T0_SE_SJ_E_clIS8_S8_S9_S9_EEDaSX_SY_SE_SJ_EUlSX_E_NS1_11comp_targetILNS1_3genE0ELNS1_11target_archE4294967295ELNS1_3gpuE0ELNS1_3repE0EEENS1_47radix_sort_onesweep_sort_config_static_selectorELNS0_4arch9wavefront6targetE1EEEvSE_,"axG",@progbits,_ZN7rocprim17ROCPRIM_400000_NS6detail17trampoline_kernelINS0_14default_configENS1_35radix_sort_onesweep_config_selectorItNS0_10empty_typeEEEZZNS1_29radix_sort_onesweep_iterationIS3_Lb1EPtS8_PS5_S9_mNS0_19identity_decomposerENS1_16block_id_wrapperIjLb1EEEEE10hipError_tT1_PNSt15iterator_traitsISE_E10value_typeET2_T3_PNSF_ISK_E10value_typeET4_T5_PSP_SQ_PNS1_23onesweep_lookback_stateEbbT6_jjT7_P12ihipStream_tbENKUlT_T0_SE_SJ_E_clIS8_S8_S9_S9_EEDaSX_SY_SE_SJ_EUlSX_E_NS1_11comp_targetILNS1_3genE0ELNS1_11target_archE4294967295ELNS1_3gpuE0ELNS1_3repE0EEENS1_47radix_sort_onesweep_sort_config_static_selectorELNS0_4arch9wavefront6targetE1EEEvSE_,comdat
.Lfunc_end1919:
	.size	_ZN7rocprim17ROCPRIM_400000_NS6detail17trampoline_kernelINS0_14default_configENS1_35radix_sort_onesweep_config_selectorItNS0_10empty_typeEEEZZNS1_29radix_sort_onesweep_iterationIS3_Lb1EPtS8_PS5_S9_mNS0_19identity_decomposerENS1_16block_id_wrapperIjLb1EEEEE10hipError_tT1_PNSt15iterator_traitsISE_E10value_typeET2_T3_PNSF_ISK_E10value_typeET4_T5_PSP_SQ_PNS1_23onesweep_lookback_stateEbbT6_jjT7_P12ihipStream_tbENKUlT_T0_SE_SJ_E_clIS8_S8_S9_S9_EEDaSX_SY_SE_SJ_EUlSX_E_NS1_11comp_targetILNS1_3genE0ELNS1_11target_archE4294967295ELNS1_3gpuE0ELNS1_3repE0EEENS1_47radix_sort_onesweep_sort_config_static_selectorELNS0_4arch9wavefront6targetE1EEEvSE_, .Lfunc_end1919-_ZN7rocprim17ROCPRIM_400000_NS6detail17trampoline_kernelINS0_14default_configENS1_35radix_sort_onesweep_config_selectorItNS0_10empty_typeEEEZZNS1_29radix_sort_onesweep_iterationIS3_Lb1EPtS8_PS5_S9_mNS0_19identity_decomposerENS1_16block_id_wrapperIjLb1EEEEE10hipError_tT1_PNSt15iterator_traitsISE_E10value_typeET2_T3_PNSF_ISK_E10value_typeET4_T5_PSP_SQ_PNS1_23onesweep_lookback_stateEbbT6_jjT7_P12ihipStream_tbENKUlT_T0_SE_SJ_E_clIS8_S8_S9_S9_EEDaSX_SY_SE_SJ_EUlSX_E_NS1_11comp_targetILNS1_3genE0ELNS1_11target_archE4294967295ELNS1_3gpuE0ELNS1_3repE0EEENS1_47radix_sort_onesweep_sort_config_static_selectorELNS0_4arch9wavefront6targetE1EEEvSE_
                                        ; -- End function
	.section	.AMDGPU.csdata,"",@progbits
; Kernel info:
; codeLenInByte = 0
; NumSgprs: 4
; NumVgprs: 0
; NumAgprs: 0
; TotalNumVgprs: 0
; ScratchSize: 0
; MemoryBound: 0
; FloatMode: 240
; IeeeMode: 1
; LDSByteSize: 0 bytes/workgroup (compile time only)
; SGPRBlocks: 0
; VGPRBlocks: 0
; NumSGPRsForWavesPerEU: 4
; NumVGPRsForWavesPerEU: 1
; AccumOffset: 4
; Occupancy: 8
; WaveLimiterHint : 0
; COMPUTE_PGM_RSRC2:SCRATCH_EN: 0
; COMPUTE_PGM_RSRC2:USER_SGPR: 6
; COMPUTE_PGM_RSRC2:TRAP_HANDLER: 0
; COMPUTE_PGM_RSRC2:TGID_X_EN: 1
; COMPUTE_PGM_RSRC2:TGID_Y_EN: 0
; COMPUTE_PGM_RSRC2:TGID_Z_EN: 0
; COMPUTE_PGM_RSRC2:TIDIG_COMP_CNT: 0
; COMPUTE_PGM_RSRC3_GFX90A:ACCUM_OFFSET: 0
; COMPUTE_PGM_RSRC3_GFX90A:TG_SPLIT: 0
	.section	.text._ZN7rocprim17ROCPRIM_400000_NS6detail17trampoline_kernelINS0_14default_configENS1_35radix_sort_onesweep_config_selectorItNS0_10empty_typeEEEZZNS1_29radix_sort_onesweep_iterationIS3_Lb1EPtS8_PS5_S9_mNS0_19identity_decomposerENS1_16block_id_wrapperIjLb1EEEEE10hipError_tT1_PNSt15iterator_traitsISE_E10value_typeET2_T3_PNSF_ISK_E10value_typeET4_T5_PSP_SQ_PNS1_23onesweep_lookback_stateEbbT6_jjT7_P12ihipStream_tbENKUlT_T0_SE_SJ_E_clIS8_S8_S9_S9_EEDaSX_SY_SE_SJ_EUlSX_E_NS1_11comp_targetILNS1_3genE6ELNS1_11target_archE950ELNS1_3gpuE13ELNS1_3repE0EEENS1_47radix_sort_onesweep_sort_config_static_selectorELNS0_4arch9wavefront6targetE1EEEvSE_,"axG",@progbits,_ZN7rocprim17ROCPRIM_400000_NS6detail17trampoline_kernelINS0_14default_configENS1_35radix_sort_onesweep_config_selectorItNS0_10empty_typeEEEZZNS1_29radix_sort_onesweep_iterationIS3_Lb1EPtS8_PS5_S9_mNS0_19identity_decomposerENS1_16block_id_wrapperIjLb1EEEEE10hipError_tT1_PNSt15iterator_traitsISE_E10value_typeET2_T3_PNSF_ISK_E10value_typeET4_T5_PSP_SQ_PNS1_23onesweep_lookback_stateEbbT6_jjT7_P12ihipStream_tbENKUlT_T0_SE_SJ_E_clIS8_S8_S9_S9_EEDaSX_SY_SE_SJ_EUlSX_E_NS1_11comp_targetILNS1_3genE6ELNS1_11target_archE950ELNS1_3gpuE13ELNS1_3repE0EEENS1_47radix_sort_onesweep_sort_config_static_selectorELNS0_4arch9wavefront6targetE1EEEvSE_,comdat
	.protected	_ZN7rocprim17ROCPRIM_400000_NS6detail17trampoline_kernelINS0_14default_configENS1_35radix_sort_onesweep_config_selectorItNS0_10empty_typeEEEZZNS1_29radix_sort_onesweep_iterationIS3_Lb1EPtS8_PS5_S9_mNS0_19identity_decomposerENS1_16block_id_wrapperIjLb1EEEEE10hipError_tT1_PNSt15iterator_traitsISE_E10value_typeET2_T3_PNSF_ISK_E10value_typeET4_T5_PSP_SQ_PNS1_23onesweep_lookback_stateEbbT6_jjT7_P12ihipStream_tbENKUlT_T0_SE_SJ_E_clIS8_S8_S9_S9_EEDaSX_SY_SE_SJ_EUlSX_E_NS1_11comp_targetILNS1_3genE6ELNS1_11target_archE950ELNS1_3gpuE13ELNS1_3repE0EEENS1_47radix_sort_onesweep_sort_config_static_selectorELNS0_4arch9wavefront6targetE1EEEvSE_ ; -- Begin function _ZN7rocprim17ROCPRIM_400000_NS6detail17trampoline_kernelINS0_14default_configENS1_35radix_sort_onesweep_config_selectorItNS0_10empty_typeEEEZZNS1_29radix_sort_onesweep_iterationIS3_Lb1EPtS8_PS5_S9_mNS0_19identity_decomposerENS1_16block_id_wrapperIjLb1EEEEE10hipError_tT1_PNSt15iterator_traitsISE_E10value_typeET2_T3_PNSF_ISK_E10value_typeET4_T5_PSP_SQ_PNS1_23onesweep_lookback_stateEbbT6_jjT7_P12ihipStream_tbENKUlT_T0_SE_SJ_E_clIS8_S8_S9_S9_EEDaSX_SY_SE_SJ_EUlSX_E_NS1_11comp_targetILNS1_3genE6ELNS1_11target_archE950ELNS1_3gpuE13ELNS1_3repE0EEENS1_47radix_sort_onesweep_sort_config_static_selectorELNS0_4arch9wavefront6targetE1EEEvSE_
	.globl	_ZN7rocprim17ROCPRIM_400000_NS6detail17trampoline_kernelINS0_14default_configENS1_35radix_sort_onesweep_config_selectorItNS0_10empty_typeEEEZZNS1_29radix_sort_onesweep_iterationIS3_Lb1EPtS8_PS5_S9_mNS0_19identity_decomposerENS1_16block_id_wrapperIjLb1EEEEE10hipError_tT1_PNSt15iterator_traitsISE_E10value_typeET2_T3_PNSF_ISK_E10value_typeET4_T5_PSP_SQ_PNS1_23onesweep_lookback_stateEbbT6_jjT7_P12ihipStream_tbENKUlT_T0_SE_SJ_E_clIS8_S8_S9_S9_EEDaSX_SY_SE_SJ_EUlSX_E_NS1_11comp_targetILNS1_3genE6ELNS1_11target_archE950ELNS1_3gpuE13ELNS1_3repE0EEENS1_47radix_sort_onesweep_sort_config_static_selectorELNS0_4arch9wavefront6targetE1EEEvSE_
	.p2align	8
	.type	_ZN7rocprim17ROCPRIM_400000_NS6detail17trampoline_kernelINS0_14default_configENS1_35radix_sort_onesweep_config_selectorItNS0_10empty_typeEEEZZNS1_29radix_sort_onesweep_iterationIS3_Lb1EPtS8_PS5_S9_mNS0_19identity_decomposerENS1_16block_id_wrapperIjLb1EEEEE10hipError_tT1_PNSt15iterator_traitsISE_E10value_typeET2_T3_PNSF_ISK_E10value_typeET4_T5_PSP_SQ_PNS1_23onesweep_lookback_stateEbbT6_jjT7_P12ihipStream_tbENKUlT_T0_SE_SJ_E_clIS8_S8_S9_S9_EEDaSX_SY_SE_SJ_EUlSX_E_NS1_11comp_targetILNS1_3genE6ELNS1_11target_archE950ELNS1_3gpuE13ELNS1_3repE0EEENS1_47radix_sort_onesweep_sort_config_static_selectorELNS0_4arch9wavefront6targetE1EEEvSE_,@function
_ZN7rocprim17ROCPRIM_400000_NS6detail17trampoline_kernelINS0_14default_configENS1_35radix_sort_onesweep_config_selectorItNS0_10empty_typeEEEZZNS1_29radix_sort_onesweep_iterationIS3_Lb1EPtS8_PS5_S9_mNS0_19identity_decomposerENS1_16block_id_wrapperIjLb1EEEEE10hipError_tT1_PNSt15iterator_traitsISE_E10value_typeET2_T3_PNSF_ISK_E10value_typeET4_T5_PSP_SQ_PNS1_23onesweep_lookback_stateEbbT6_jjT7_P12ihipStream_tbENKUlT_T0_SE_SJ_E_clIS8_S8_S9_S9_EEDaSX_SY_SE_SJ_EUlSX_E_NS1_11comp_targetILNS1_3genE6ELNS1_11target_archE950ELNS1_3gpuE13ELNS1_3repE0EEENS1_47radix_sort_onesweep_sort_config_static_selectorELNS0_4arch9wavefront6targetE1EEEvSE_: ; @_ZN7rocprim17ROCPRIM_400000_NS6detail17trampoline_kernelINS0_14default_configENS1_35radix_sort_onesweep_config_selectorItNS0_10empty_typeEEEZZNS1_29radix_sort_onesweep_iterationIS3_Lb1EPtS8_PS5_S9_mNS0_19identity_decomposerENS1_16block_id_wrapperIjLb1EEEEE10hipError_tT1_PNSt15iterator_traitsISE_E10value_typeET2_T3_PNSF_ISK_E10value_typeET4_T5_PSP_SQ_PNS1_23onesweep_lookback_stateEbbT6_jjT7_P12ihipStream_tbENKUlT_T0_SE_SJ_E_clIS8_S8_S9_S9_EEDaSX_SY_SE_SJ_EUlSX_E_NS1_11comp_targetILNS1_3genE6ELNS1_11target_archE950ELNS1_3gpuE13ELNS1_3repE0EEENS1_47radix_sort_onesweep_sort_config_static_selectorELNS0_4arch9wavefront6targetE1EEEvSE_
; %bb.0:
	.section	.rodata,"a",@progbits
	.p2align	6, 0x0
	.amdhsa_kernel _ZN7rocprim17ROCPRIM_400000_NS6detail17trampoline_kernelINS0_14default_configENS1_35radix_sort_onesweep_config_selectorItNS0_10empty_typeEEEZZNS1_29radix_sort_onesweep_iterationIS3_Lb1EPtS8_PS5_S9_mNS0_19identity_decomposerENS1_16block_id_wrapperIjLb1EEEEE10hipError_tT1_PNSt15iterator_traitsISE_E10value_typeET2_T3_PNSF_ISK_E10value_typeET4_T5_PSP_SQ_PNS1_23onesweep_lookback_stateEbbT6_jjT7_P12ihipStream_tbENKUlT_T0_SE_SJ_E_clIS8_S8_S9_S9_EEDaSX_SY_SE_SJ_EUlSX_E_NS1_11comp_targetILNS1_3genE6ELNS1_11target_archE950ELNS1_3gpuE13ELNS1_3repE0EEENS1_47radix_sort_onesweep_sort_config_static_selectorELNS0_4arch9wavefront6targetE1EEEvSE_
		.amdhsa_group_segment_fixed_size 0
		.amdhsa_private_segment_fixed_size 0
		.amdhsa_kernarg_size 88
		.amdhsa_user_sgpr_count 6
		.amdhsa_user_sgpr_private_segment_buffer 1
		.amdhsa_user_sgpr_dispatch_ptr 0
		.amdhsa_user_sgpr_queue_ptr 0
		.amdhsa_user_sgpr_kernarg_segment_ptr 1
		.amdhsa_user_sgpr_dispatch_id 0
		.amdhsa_user_sgpr_flat_scratch_init 0
		.amdhsa_user_sgpr_kernarg_preload_length 0
		.amdhsa_user_sgpr_kernarg_preload_offset 0
		.amdhsa_user_sgpr_private_segment_size 0
		.amdhsa_uses_dynamic_stack 0
		.amdhsa_system_sgpr_private_segment_wavefront_offset 0
		.amdhsa_system_sgpr_workgroup_id_x 1
		.amdhsa_system_sgpr_workgroup_id_y 0
		.amdhsa_system_sgpr_workgroup_id_z 0
		.amdhsa_system_sgpr_workgroup_info 0
		.amdhsa_system_vgpr_workitem_id 0
		.amdhsa_next_free_vgpr 1
		.amdhsa_next_free_sgpr 0
		.amdhsa_accum_offset 4
		.amdhsa_reserve_vcc 0
		.amdhsa_reserve_flat_scratch 0
		.amdhsa_float_round_mode_32 0
		.amdhsa_float_round_mode_16_64 0
		.amdhsa_float_denorm_mode_32 3
		.amdhsa_float_denorm_mode_16_64 3
		.amdhsa_dx10_clamp 1
		.amdhsa_ieee_mode 1
		.amdhsa_fp16_overflow 0
		.amdhsa_tg_split 0
		.amdhsa_exception_fp_ieee_invalid_op 0
		.amdhsa_exception_fp_denorm_src 0
		.amdhsa_exception_fp_ieee_div_zero 0
		.amdhsa_exception_fp_ieee_overflow 0
		.amdhsa_exception_fp_ieee_underflow 0
		.amdhsa_exception_fp_ieee_inexact 0
		.amdhsa_exception_int_div_zero 0
	.end_amdhsa_kernel
	.section	.text._ZN7rocprim17ROCPRIM_400000_NS6detail17trampoline_kernelINS0_14default_configENS1_35radix_sort_onesweep_config_selectorItNS0_10empty_typeEEEZZNS1_29radix_sort_onesweep_iterationIS3_Lb1EPtS8_PS5_S9_mNS0_19identity_decomposerENS1_16block_id_wrapperIjLb1EEEEE10hipError_tT1_PNSt15iterator_traitsISE_E10value_typeET2_T3_PNSF_ISK_E10value_typeET4_T5_PSP_SQ_PNS1_23onesweep_lookback_stateEbbT6_jjT7_P12ihipStream_tbENKUlT_T0_SE_SJ_E_clIS8_S8_S9_S9_EEDaSX_SY_SE_SJ_EUlSX_E_NS1_11comp_targetILNS1_3genE6ELNS1_11target_archE950ELNS1_3gpuE13ELNS1_3repE0EEENS1_47radix_sort_onesweep_sort_config_static_selectorELNS0_4arch9wavefront6targetE1EEEvSE_,"axG",@progbits,_ZN7rocprim17ROCPRIM_400000_NS6detail17trampoline_kernelINS0_14default_configENS1_35radix_sort_onesweep_config_selectorItNS0_10empty_typeEEEZZNS1_29radix_sort_onesweep_iterationIS3_Lb1EPtS8_PS5_S9_mNS0_19identity_decomposerENS1_16block_id_wrapperIjLb1EEEEE10hipError_tT1_PNSt15iterator_traitsISE_E10value_typeET2_T3_PNSF_ISK_E10value_typeET4_T5_PSP_SQ_PNS1_23onesweep_lookback_stateEbbT6_jjT7_P12ihipStream_tbENKUlT_T0_SE_SJ_E_clIS8_S8_S9_S9_EEDaSX_SY_SE_SJ_EUlSX_E_NS1_11comp_targetILNS1_3genE6ELNS1_11target_archE950ELNS1_3gpuE13ELNS1_3repE0EEENS1_47radix_sort_onesweep_sort_config_static_selectorELNS0_4arch9wavefront6targetE1EEEvSE_,comdat
.Lfunc_end1920:
	.size	_ZN7rocprim17ROCPRIM_400000_NS6detail17trampoline_kernelINS0_14default_configENS1_35radix_sort_onesweep_config_selectorItNS0_10empty_typeEEEZZNS1_29radix_sort_onesweep_iterationIS3_Lb1EPtS8_PS5_S9_mNS0_19identity_decomposerENS1_16block_id_wrapperIjLb1EEEEE10hipError_tT1_PNSt15iterator_traitsISE_E10value_typeET2_T3_PNSF_ISK_E10value_typeET4_T5_PSP_SQ_PNS1_23onesweep_lookback_stateEbbT6_jjT7_P12ihipStream_tbENKUlT_T0_SE_SJ_E_clIS8_S8_S9_S9_EEDaSX_SY_SE_SJ_EUlSX_E_NS1_11comp_targetILNS1_3genE6ELNS1_11target_archE950ELNS1_3gpuE13ELNS1_3repE0EEENS1_47radix_sort_onesweep_sort_config_static_selectorELNS0_4arch9wavefront6targetE1EEEvSE_, .Lfunc_end1920-_ZN7rocprim17ROCPRIM_400000_NS6detail17trampoline_kernelINS0_14default_configENS1_35radix_sort_onesweep_config_selectorItNS0_10empty_typeEEEZZNS1_29radix_sort_onesweep_iterationIS3_Lb1EPtS8_PS5_S9_mNS0_19identity_decomposerENS1_16block_id_wrapperIjLb1EEEEE10hipError_tT1_PNSt15iterator_traitsISE_E10value_typeET2_T3_PNSF_ISK_E10value_typeET4_T5_PSP_SQ_PNS1_23onesweep_lookback_stateEbbT6_jjT7_P12ihipStream_tbENKUlT_T0_SE_SJ_E_clIS8_S8_S9_S9_EEDaSX_SY_SE_SJ_EUlSX_E_NS1_11comp_targetILNS1_3genE6ELNS1_11target_archE950ELNS1_3gpuE13ELNS1_3repE0EEENS1_47radix_sort_onesweep_sort_config_static_selectorELNS0_4arch9wavefront6targetE1EEEvSE_
                                        ; -- End function
	.section	.AMDGPU.csdata,"",@progbits
; Kernel info:
; codeLenInByte = 0
; NumSgprs: 4
; NumVgprs: 0
; NumAgprs: 0
; TotalNumVgprs: 0
; ScratchSize: 0
; MemoryBound: 0
; FloatMode: 240
; IeeeMode: 1
; LDSByteSize: 0 bytes/workgroup (compile time only)
; SGPRBlocks: 0
; VGPRBlocks: 0
; NumSGPRsForWavesPerEU: 4
; NumVGPRsForWavesPerEU: 1
; AccumOffset: 4
; Occupancy: 8
; WaveLimiterHint : 0
; COMPUTE_PGM_RSRC2:SCRATCH_EN: 0
; COMPUTE_PGM_RSRC2:USER_SGPR: 6
; COMPUTE_PGM_RSRC2:TRAP_HANDLER: 0
; COMPUTE_PGM_RSRC2:TGID_X_EN: 1
; COMPUTE_PGM_RSRC2:TGID_Y_EN: 0
; COMPUTE_PGM_RSRC2:TGID_Z_EN: 0
; COMPUTE_PGM_RSRC2:TIDIG_COMP_CNT: 0
; COMPUTE_PGM_RSRC3_GFX90A:ACCUM_OFFSET: 0
; COMPUTE_PGM_RSRC3_GFX90A:TG_SPLIT: 0
	.section	.text._ZN7rocprim17ROCPRIM_400000_NS6detail17trampoline_kernelINS0_14default_configENS1_35radix_sort_onesweep_config_selectorItNS0_10empty_typeEEEZZNS1_29radix_sort_onesweep_iterationIS3_Lb1EPtS8_PS5_S9_mNS0_19identity_decomposerENS1_16block_id_wrapperIjLb1EEEEE10hipError_tT1_PNSt15iterator_traitsISE_E10value_typeET2_T3_PNSF_ISK_E10value_typeET4_T5_PSP_SQ_PNS1_23onesweep_lookback_stateEbbT6_jjT7_P12ihipStream_tbENKUlT_T0_SE_SJ_E_clIS8_S8_S9_S9_EEDaSX_SY_SE_SJ_EUlSX_E_NS1_11comp_targetILNS1_3genE5ELNS1_11target_archE942ELNS1_3gpuE9ELNS1_3repE0EEENS1_47radix_sort_onesweep_sort_config_static_selectorELNS0_4arch9wavefront6targetE1EEEvSE_,"axG",@progbits,_ZN7rocprim17ROCPRIM_400000_NS6detail17trampoline_kernelINS0_14default_configENS1_35radix_sort_onesweep_config_selectorItNS0_10empty_typeEEEZZNS1_29radix_sort_onesweep_iterationIS3_Lb1EPtS8_PS5_S9_mNS0_19identity_decomposerENS1_16block_id_wrapperIjLb1EEEEE10hipError_tT1_PNSt15iterator_traitsISE_E10value_typeET2_T3_PNSF_ISK_E10value_typeET4_T5_PSP_SQ_PNS1_23onesweep_lookback_stateEbbT6_jjT7_P12ihipStream_tbENKUlT_T0_SE_SJ_E_clIS8_S8_S9_S9_EEDaSX_SY_SE_SJ_EUlSX_E_NS1_11comp_targetILNS1_3genE5ELNS1_11target_archE942ELNS1_3gpuE9ELNS1_3repE0EEENS1_47radix_sort_onesweep_sort_config_static_selectorELNS0_4arch9wavefront6targetE1EEEvSE_,comdat
	.protected	_ZN7rocprim17ROCPRIM_400000_NS6detail17trampoline_kernelINS0_14default_configENS1_35radix_sort_onesweep_config_selectorItNS0_10empty_typeEEEZZNS1_29radix_sort_onesweep_iterationIS3_Lb1EPtS8_PS5_S9_mNS0_19identity_decomposerENS1_16block_id_wrapperIjLb1EEEEE10hipError_tT1_PNSt15iterator_traitsISE_E10value_typeET2_T3_PNSF_ISK_E10value_typeET4_T5_PSP_SQ_PNS1_23onesweep_lookback_stateEbbT6_jjT7_P12ihipStream_tbENKUlT_T0_SE_SJ_E_clIS8_S8_S9_S9_EEDaSX_SY_SE_SJ_EUlSX_E_NS1_11comp_targetILNS1_3genE5ELNS1_11target_archE942ELNS1_3gpuE9ELNS1_3repE0EEENS1_47radix_sort_onesweep_sort_config_static_selectorELNS0_4arch9wavefront6targetE1EEEvSE_ ; -- Begin function _ZN7rocprim17ROCPRIM_400000_NS6detail17trampoline_kernelINS0_14default_configENS1_35radix_sort_onesweep_config_selectorItNS0_10empty_typeEEEZZNS1_29radix_sort_onesweep_iterationIS3_Lb1EPtS8_PS5_S9_mNS0_19identity_decomposerENS1_16block_id_wrapperIjLb1EEEEE10hipError_tT1_PNSt15iterator_traitsISE_E10value_typeET2_T3_PNSF_ISK_E10value_typeET4_T5_PSP_SQ_PNS1_23onesweep_lookback_stateEbbT6_jjT7_P12ihipStream_tbENKUlT_T0_SE_SJ_E_clIS8_S8_S9_S9_EEDaSX_SY_SE_SJ_EUlSX_E_NS1_11comp_targetILNS1_3genE5ELNS1_11target_archE942ELNS1_3gpuE9ELNS1_3repE0EEENS1_47radix_sort_onesweep_sort_config_static_selectorELNS0_4arch9wavefront6targetE1EEEvSE_
	.globl	_ZN7rocprim17ROCPRIM_400000_NS6detail17trampoline_kernelINS0_14default_configENS1_35radix_sort_onesweep_config_selectorItNS0_10empty_typeEEEZZNS1_29radix_sort_onesweep_iterationIS3_Lb1EPtS8_PS5_S9_mNS0_19identity_decomposerENS1_16block_id_wrapperIjLb1EEEEE10hipError_tT1_PNSt15iterator_traitsISE_E10value_typeET2_T3_PNSF_ISK_E10value_typeET4_T5_PSP_SQ_PNS1_23onesweep_lookback_stateEbbT6_jjT7_P12ihipStream_tbENKUlT_T0_SE_SJ_E_clIS8_S8_S9_S9_EEDaSX_SY_SE_SJ_EUlSX_E_NS1_11comp_targetILNS1_3genE5ELNS1_11target_archE942ELNS1_3gpuE9ELNS1_3repE0EEENS1_47radix_sort_onesweep_sort_config_static_selectorELNS0_4arch9wavefront6targetE1EEEvSE_
	.p2align	8
	.type	_ZN7rocprim17ROCPRIM_400000_NS6detail17trampoline_kernelINS0_14default_configENS1_35radix_sort_onesweep_config_selectorItNS0_10empty_typeEEEZZNS1_29radix_sort_onesweep_iterationIS3_Lb1EPtS8_PS5_S9_mNS0_19identity_decomposerENS1_16block_id_wrapperIjLb1EEEEE10hipError_tT1_PNSt15iterator_traitsISE_E10value_typeET2_T3_PNSF_ISK_E10value_typeET4_T5_PSP_SQ_PNS1_23onesweep_lookback_stateEbbT6_jjT7_P12ihipStream_tbENKUlT_T0_SE_SJ_E_clIS8_S8_S9_S9_EEDaSX_SY_SE_SJ_EUlSX_E_NS1_11comp_targetILNS1_3genE5ELNS1_11target_archE942ELNS1_3gpuE9ELNS1_3repE0EEENS1_47radix_sort_onesweep_sort_config_static_selectorELNS0_4arch9wavefront6targetE1EEEvSE_,@function
_ZN7rocprim17ROCPRIM_400000_NS6detail17trampoline_kernelINS0_14default_configENS1_35radix_sort_onesweep_config_selectorItNS0_10empty_typeEEEZZNS1_29radix_sort_onesweep_iterationIS3_Lb1EPtS8_PS5_S9_mNS0_19identity_decomposerENS1_16block_id_wrapperIjLb1EEEEE10hipError_tT1_PNSt15iterator_traitsISE_E10value_typeET2_T3_PNSF_ISK_E10value_typeET4_T5_PSP_SQ_PNS1_23onesweep_lookback_stateEbbT6_jjT7_P12ihipStream_tbENKUlT_T0_SE_SJ_E_clIS8_S8_S9_S9_EEDaSX_SY_SE_SJ_EUlSX_E_NS1_11comp_targetILNS1_3genE5ELNS1_11target_archE942ELNS1_3gpuE9ELNS1_3repE0EEENS1_47radix_sort_onesweep_sort_config_static_selectorELNS0_4arch9wavefront6targetE1EEEvSE_: ; @_ZN7rocprim17ROCPRIM_400000_NS6detail17trampoline_kernelINS0_14default_configENS1_35radix_sort_onesweep_config_selectorItNS0_10empty_typeEEEZZNS1_29radix_sort_onesweep_iterationIS3_Lb1EPtS8_PS5_S9_mNS0_19identity_decomposerENS1_16block_id_wrapperIjLb1EEEEE10hipError_tT1_PNSt15iterator_traitsISE_E10value_typeET2_T3_PNSF_ISK_E10value_typeET4_T5_PSP_SQ_PNS1_23onesweep_lookback_stateEbbT6_jjT7_P12ihipStream_tbENKUlT_T0_SE_SJ_E_clIS8_S8_S9_S9_EEDaSX_SY_SE_SJ_EUlSX_E_NS1_11comp_targetILNS1_3genE5ELNS1_11target_archE942ELNS1_3gpuE9ELNS1_3repE0EEENS1_47radix_sort_onesweep_sort_config_static_selectorELNS0_4arch9wavefront6targetE1EEEvSE_
; %bb.0:
	.section	.rodata,"a",@progbits
	.p2align	6, 0x0
	.amdhsa_kernel _ZN7rocprim17ROCPRIM_400000_NS6detail17trampoline_kernelINS0_14default_configENS1_35radix_sort_onesweep_config_selectorItNS0_10empty_typeEEEZZNS1_29radix_sort_onesweep_iterationIS3_Lb1EPtS8_PS5_S9_mNS0_19identity_decomposerENS1_16block_id_wrapperIjLb1EEEEE10hipError_tT1_PNSt15iterator_traitsISE_E10value_typeET2_T3_PNSF_ISK_E10value_typeET4_T5_PSP_SQ_PNS1_23onesweep_lookback_stateEbbT6_jjT7_P12ihipStream_tbENKUlT_T0_SE_SJ_E_clIS8_S8_S9_S9_EEDaSX_SY_SE_SJ_EUlSX_E_NS1_11comp_targetILNS1_3genE5ELNS1_11target_archE942ELNS1_3gpuE9ELNS1_3repE0EEENS1_47radix_sort_onesweep_sort_config_static_selectorELNS0_4arch9wavefront6targetE1EEEvSE_
		.amdhsa_group_segment_fixed_size 0
		.amdhsa_private_segment_fixed_size 0
		.amdhsa_kernarg_size 88
		.amdhsa_user_sgpr_count 6
		.amdhsa_user_sgpr_private_segment_buffer 1
		.amdhsa_user_sgpr_dispatch_ptr 0
		.amdhsa_user_sgpr_queue_ptr 0
		.amdhsa_user_sgpr_kernarg_segment_ptr 1
		.amdhsa_user_sgpr_dispatch_id 0
		.amdhsa_user_sgpr_flat_scratch_init 0
		.amdhsa_user_sgpr_kernarg_preload_length 0
		.amdhsa_user_sgpr_kernarg_preload_offset 0
		.amdhsa_user_sgpr_private_segment_size 0
		.amdhsa_uses_dynamic_stack 0
		.amdhsa_system_sgpr_private_segment_wavefront_offset 0
		.amdhsa_system_sgpr_workgroup_id_x 1
		.amdhsa_system_sgpr_workgroup_id_y 0
		.amdhsa_system_sgpr_workgroup_id_z 0
		.amdhsa_system_sgpr_workgroup_info 0
		.amdhsa_system_vgpr_workitem_id 0
		.amdhsa_next_free_vgpr 1
		.amdhsa_next_free_sgpr 0
		.amdhsa_accum_offset 4
		.amdhsa_reserve_vcc 0
		.amdhsa_reserve_flat_scratch 0
		.amdhsa_float_round_mode_32 0
		.amdhsa_float_round_mode_16_64 0
		.amdhsa_float_denorm_mode_32 3
		.amdhsa_float_denorm_mode_16_64 3
		.amdhsa_dx10_clamp 1
		.amdhsa_ieee_mode 1
		.amdhsa_fp16_overflow 0
		.amdhsa_tg_split 0
		.amdhsa_exception_fp_ieee_invalid_op 0
		.amdhsa_exception_fp_denorm_src 0
		.amdhsa_exception_fp_ieee_div_zero 0
		.amdhsa_exception_fp_ieee_overflow 0
		.amdhsa_exception_fp_ieee_underflow 0
		.amdhsa_exception_fp_ieee_inexact 0
		.amdhsa_exception_int_div_zero 0
	.end_amdhsa_kernel
	.section	.text._ZN7rocprim17ROCPRIM_400000_NS6detail17trampoline_kernelINS0_14default_configENS1_35radix_sort_onesweep_config_selectorItNS0_10empty_typeEEEZZNS1_29radix_sort_onesweep_iterationIS3_Lb1EPtS8_PS5_S9_mNS0_19identity_decomposerENS1_16block_id_wrapperIjLb1EEEEE10hipError_tT1_PNSt15iterator_traitsISE_E10value_typeET2_T3_PNSF_ISK_E10value_typeET4_T5_PSP_SQ_PNS1_23onesweep_lookback_stateEbbT6_jjT7_P12ihipStream_tbENKUlT_T0_SE_SJ_E_clIS8_S8_S9_S9_EEDaSX_SY_SE_SJ_EUlSX_E_NS1_11comp_targetILNS1_3genE5ELNS1_11target_archE942ELNS1_3gpuE9ELNS1_3repE0EEENS1_47radix_sort_onesweep_sort_config_static_selectorELNS0_4arch9wavefront6targetE1EEEvSE_,"axG",@progbits,_ZN7rocprim17ROCPRIM_400000_NS6detail17trampoline_kernelINS0_14default_configENS1_35radix_sort_onesweep_config_selectorItNS0_10empty_typeEEEZZNS1_29radix_sort_onesweep_iterationIS3_Lb1EPtS8_PS5_S9_mNS0_19identity_decomposerENS1_16block_id_wrapperIjLb1EEEEE10hipError_tT1_PNSt15iterator_traitsISE_E10value_typeET2_T3_PNSF_ISK_E10value_typeET4_T5_PSP_SQ_PNS1_23onesweep_lookback_stateEbbT6_jjT7_P12ihipStream_tbENKUlT_T0_SE_SJ_E_clIS8_S8_S9_S9_EEDaSX_SY_SE_SJ_EUlSX_E_NS1_11comp_targetILNS1_3genE5ELNS1_11target_archE942ELNS1_3gpuE9ELNS1_3repE0EEENS1_47radix_sort_onesweep_sort_config_static_selectorELNS0_4arch9wavefront6targetE1EEEvSE_,comdat
.Lfunc_end1921:
	.size	_ZN7rocprim17ROCPRIM_400000_NS6detail17trampoline_kernelINS0_14default_configENS1_35radix_sort_onesweep_config_selectorItNS0_10empty_typeEEEZZNS1_29radix_sort_onesweep_iterationIS3_Lb1EPtS8_PS5_S9_mNS0_19identity_decomposerENS1_16block_id_wrapperIjLb1EEEEE10hipError_tT1_PNSt15iterator_traitsISE_E10value_typeET2_T3_PNSF_ISK_E10value_typeET4_T5_PSP_SQ_PNS1_23onesweep_lookback_stateEbbT6_jjT7_P12ihipStream_tbENKUlT_T0_SE_SJ_E_clIS8_S8_S9_S9_EEDaSX_SY_SE_SJ_EUlSX_E_NS1_11comp_targetILNS1_3genE5ELNS1_11target_archE942ELNS1_3gpuE9ELNS1_3repE0EEENS1_47radix_sort_onesweep_sort_config_static_selectorELNS0_4arch9wavefront6targetE1EEEvSE_, .Lfunc_end1921-_ZN7rocprim17ROCPRIM_400000_NS6detail17trampoline_kernelINS0_14default_configENS1_35radix_sort_onesweep_config_selectorItNS0_10empty_typeEEEZZNS1_29radix_sort_onesweep_iterationIS3_Lb1EPtS8_PS5_S9_mNS0_19identity_decomposerENS1_16block_id_wrapperIjLb1EEEEE10hipError_tT1_PNSt15iterator_traitsISE_E10value_typeET2_T3_PNSF_ISK_E10value_typeET4_T5_PSP_SQ_PNS1_23onesweep_lookback_stateEbbT6_jjT7_P12ihipStream_tbENKUlT_T0_SE_SJ_E_clIS8_S8_S9_S9_EEDaSX_SY_SE_SJ_EUlSX_E_NS1_11comp_targetILNS1_3genE5ELNS1_11target_archE942ELNS1_3gpuE9ELNS1_3repE0EEENS1_47radix_sort_onesweep_sort_config_static_selectorELNS0_4arch9wavefront6targetE1EEEvSE_
                                        ; -- End function
	.section	.AMDGPU.csdata,"",@progbits
; Kernel info:
; codeLenInByte = 0
; NumSgprs: 4
; NumVgprs: 0
; NumAgprs: 0
; TotalNumVgprs: 0
; ScratchSize: 0
; MemoryBound: 0
; FloatMode: 240
; IeeeMode: 1
; LDSByteSize: 0 bytes/workgroup (compile time only)
; SGPRBlocks: 0
; VGPRBlocks: 0
; NumSGPRsForWavesPerEU: 4
; NumVGPRsForWavesPerEU: 1
; AccumOffset: 4
; Occupancy: 8
; WaveLimiterHint : 0
; COMPUTE_PGM_RSRC2:SCRATCH_EN: 0
; COMPUTE_PGM_RSRC2:USER_SGPR: 6
; COMPUTE_PGM_RSRC2:TRAP_HANDLER: 0
; COMPUTE_PGM_RSRC2:TGID_X_EN: 1
; COMPUTE_PGM_RSRC2:TGID_Y_EN: 0
; COMPUTE_PGM_RSRC2:TGID_Z_EN: 0
; COMPUTE_PGM_RSRC2:TIDIG_COMP_CNT: 0
; COMPUTE_PGM_RSRC3_GFX90A:ACCUM_OFFSET: 0
; COMPUTE_PGM_RSRC3_GFX90A:TG_SPLIT: 0
	.section	.text._ZN7rocprim17ROCPRIM_400000_NS6detail17trampoline_kernelINS0_14default_configENS1_35radix_sort_onesweep_config_selectorItNS0_10empty_typeEEEZZNS1_29radix_sort_onesweep_iterationIS3_Lb1EPtS8_PS5_S9_mNS0_19identity_decomposerENS1_16block_id_wrapperIjLb1EEEEE10hipError_tT1_PNSt15iterator_traitsISE_E10value_typeET2_T3_PNSF_ISK_E10value_typeET4_T5_PSP_SQ_PNS1_23onesweep_lookback_stateEbbT6_jjT7_P12ihipStream_tbENKUlT_T0_SE_SJ_E_clIS8_S8_S9_S9_EEDaSX_SY_SE_SJ_EUlSX_E_NS1_11comp_targetILNS1_3genE2ELNS1_11target_archE906ELNS1_3gpuE6ELNS1_3repE0EEENS1_47radix_sort_onesweep_sort_config_static_selectorELNS0_4arch9wavefront6targetE1EEEvSE_,"axG",@progbits,_ZN7rocprim17ROCPRIM_400000_NS6detail17trampoline_kernelINS0_14default_configENS1_35radix_sort_onesweep_config_selectorItNS0_10empty_typeEEEZZNS1_29radix_sort_onesweep_iterationIS3_Lb1EPtS8_PS5_S9_mNS0_19identity_decomposerENS1_16block_id_wrapperIjLb1EEEEE10hipError_tT1_PNSt15iterator_traitsISE_E10value_typeET2_T3_PNSF_ISK_E10value_typeET4_T5_PSP_SQ_PNS1_23onesweep_lookback_stateEbbT6_jjT7_P12ihipStream_tbENKUlT_T0_SE_SJ_E_clIS8_S8_S9_S9_EEDaSX_SY_SE_SJ_EUlSX_E_NS1_11comp_targetILNS1_3genE2ELNS1_11target_archE906ELNS1_3gpuE6ELNS1_3repE0EEENS1_47radix_sort_onesweep_sort_config_static_selectorELNS0_4arch9wavefront6targetE1EEEvSE_,comdat
	.protected	_ZN7rocprim17ROCPRIM_400000_NS6detail17trampoline_kernelINS0_14default_configENS1_35radix_sort_onesweep_config_selectorItNS0_10empty_typeEEEZZNS1_29radix_sort_onesweep_iterationIS3_Lb1EPtS8_PS5_S9_mNS0_19identity_decomposerENS1_16block_id_wrapperIjLb1EEEEE10hipError_tT1_PNSt15iterator_traitsISE_E10value_typeET2_T3_PNSF_ISK_E10value_typeET4_T5_PSP_SQ_PNS1_23onesweep_lookback_stateEbbT6_jjT7_P12ihipStream_tbENKUlT_T0_SE_SJ_E_clIS8_S8_S9_S9_EEDaSX_SY_SE_SJ_EUlSX_E_NS1_11comp_targetILNS1_3genE2ELNS1_11target_archE906ELNS1_3gpuE6ELNS1_3repE0EEENS1_47radix_sort_onesweep_sort_config_static_selectorELNS0_4arch9wavefront6targetE1EEEvSE_ ; -- Begin function _ZN7rocprim17ROCPRIM_400000_NS6detail17trampoline_kernelINS0_14default_configENS1_35radix_sort_onesweep_config_selectorItNS0_10empty_typeEEEZZNS1_29radix_sort_onesweep_iterationIS3_Lb1EPtS8_PS5_S9_mNS0_19identity_decomposerENS1_16block_id_wrapperIjLb1EEEEE10hipError_tT1_PNSt15iterator_traitsISE_E10value_typeET2_T3_PNSF_ISK_E10value_typeET4_T5_PSP_SQ_PNS1_23onesweep_lookback_stateEbbT6_jjT7_P12ihipStream_tbENKUlT_T0_SE_SJ_E_clIS8_S8_S9_S9_EEDaSX_SY_SE_SJ_EUlSX_E_NS1_11comp_targetILNS1_3genE2ELNS1_11target_archE906ELNS1_3gpuE6ELNS1_3repE0EEENS1_47radix_sort_onesweep_sort_config_static_selectorELNS0_4arch9wavefront6targetE1EEEvSE_
	.globl	_ZN7rocprim17ROCPRIM_400000_NS6detail17trampoline_kernelINS0_14default_configENS1_35radix_sort_onesweep_config_selectorItNS0_10empty_typeEEEZZNS1_29radix_sort_onesweep_iterationIS3_Lb1EPtS8_PS5_S9_mNS0_19identity_decomposerENS1_16block_id_wrapperIjLb1EEEEE10hipError_tT1_PNSt15iterator_traitsISE_E10value_typeET2_T3_PNSF_ISK_E10value_typeET4_T5_PSP_SQ_PNS1_23onesweep_lookback_stateEbbT6_jjT7_P12ihipStream_tbENKUlT_T0_SE_SJ_E_clIS8_S8_S9_S9_EEDaSX_SY_SE_SJ_EUlSX_E_NS1_11comp_targetILNS1_3genE2ELNS1_11target_archE906ELNS1_3gpuE6ELNS1_3repE0EEENS1_47radix_sort_onesweep_sort_config_static_selectorELNS0_4arch9wavefront6targetE1EEEvSE_
	.p2align	8
	.type	_ZN7rocprim17ROCPRIM_400000_NS6detail17trampoline_kernelINS0_14default_configENS1_35radix_sort_onesweep_config_selectorItNS0_10empty_typeEEEZZNS1_29radix_sort_onesweep_iterationIS3_Lb1EPtS8_PS5_S9_mNS0_19identity_decomposerENS1_16block_id_wrapperIjLb1EEEEE10hipError_tT1_PNSt15iterator_traitsISE_E10value_typeET2_T3_PNSF_ISK_E10value_typeET4_T5_PSP_SQ_PNS1_23onesweep_lookback_stateEbbT6_jjT7_P12ihipStream_tbENKUlT_T0_SE_SJ_E_clIS8_S8_S9_S9_EEDaSX_SY_SE_SJ_EUlSX_E_NS1_11comp_targetILNS1_3genE2ELNS1_11target_archE906ELNS1_3gpuE6ELNS1_3repE0EEENS1_47radix_sort_onesweep_sort_config_static_selectorELNS0_4arch9wavefront6targetE1EEEvSE_,@function
_ZN7rocprim17ROCPRIM_400000_NS6detail17trampoline_kernelINS0_14default_configENS1_35radix_sort_onesweep_config_selectorItNS0_10empty_typeEEEZZNS1_29radix_sort_onesweep_iterationIS3_Lb1EPtS8_PS5_S9_mNS0_19identity_decomposerENS1_16block_id_wrapperIjLb1EEEEE10hipError_tT1_PNSt15iterator_traitsISE_E10value_typeET2_T3_PNSF_ISK_E10value_typeET4_T5_PSP_SQ_PNS1_23onesweep_lookback_stateEbbT6_jjT7_P12ihipStream_tbENKUlT_T0_SE_SJ_E_clIS8_S8_S9_S9_EEDaSX_SY_SE_SJ_EUlSX_E_NS1_11comp_targetILNS1_3genE2ELNS1_11target_archE906ELNS1_3gpuE6ELNS1_3repE0EEENS1_47radix_sort_onesweep_sort_config_static_selectorELNS0_4arch9wavefront6targetE1EEEvSE_: ; @_ZN7rocprim17ROCPRIM_400000_NS6detail17trampoline_kernelINS0_14default_configENS1_35radix_sort_onesweep_config_selectorItNS0_10empty_typeEEEZZNS1_29radix_sort_onesweep_iterationIS3_Lb1EPtS8_PS5_S9_mNS0_19identity_decomposerENS1_16block_id_wrapperIjLb1EEEEE10hipError_tT1_PNSt15iterator_traitsISE_E10value_typeET2_T3_PNSF_ISK_E10value_typeET4_T5_PSP_SQ_PNS1_23onesweep_lookback_stateEbbT6_jjT7_P12ihipStream_tbENKUlT_T0_SE_SJ_E_clIS8_S8_S9_S9_EEDaSX_SY_SE_SJ_EUlSX_E_NS1_11comp_targetILNS1_3genE2ELNS1_11target_archE906ELNS1_3gpuE6ELNS1_3repE0EEENS1_47radix_sort_onesweep_sort_config_static_selectorELNS0_4arch9wavefront6targetE1EEEvSE_
; %bb.0:
	.section	.rodata,"a",@progbits
	.p2align	6, 0x0
	.amdhsa_kernel _ZN7rocprim17ROCPRIM_400000_NS6detail17trampoline_kernelINS0_14default_configENS1_35radix_sort_onesweep_config_selectorItNS0_10empty_typeEEEZZNS1_29radix_sort_onesweep_iterationIS3_Lb1EPtS8_PS5_S9_mNS0_19identity_decomposerENS1_16block_id_wrapperIjLb1EEEEE10hipError_tT1_PNSt15iterator_traitsISE_E10value_typeET2_T3_PNSF_ISK_E10value_typeET4_T5_PSP_SQ_PNS1_23onesweep_lookback_stateEbbT6_jjT7_P12ihipStream_tbENKUlT_T0_SE_SJ_E_clIS8_S8_S9_S9_EEDaSX_SY_SE_SJ_EUlSX_E_NS1_11comp_targetILNS1_3genE2ELNS1_11target_archE906ELNS1_3gpuE6ELNS1_3repE0EEENS1_47radix_sort_onesweep_sort_config_static_selectorELNS0_4arch9wavefront6targetE1EEEvSE_
		.amdhsa_group_segment_fixed_size 0
		.amdhsa_private_segment_fixed_size 0
		.amdhsa_kernarg_size 88
		.amdhsa_user_sgpr_count 6
		.amdhsa_user_sgpr_private_segment_buffer 1
		.amdhsa_user_sgpr_dispatch_ptr 0
		.amdhsa_user_sgpr_queue_ptr 0
		.amdhsa_user_sgpr_kernarg_segment_ptr 1
		.amdhsa_user_sgpr_dispatch_id 0
		.amdhsa_user_sgpr_flat_scratch_init 0
		.amdhsa_user_sgpr_kernarg_preload_length 0
		.amdhsa_user_sgpr_kernarg_preload_offset 0
		.amdhsa_user_sgpr_private_segment_size 0
		.amdhsa_uses_dynamic_stack 0
		.amdhsa_system_sgpr_private_segment_wavefront_offset 0
		.amdhsa_system_sgpr_workgroup_id_x 1
		.amdhsa_system_sgpr_workgroup_id_y 0
		.amdhsa_system_sgpr_workgroup_id_z 0
		.amdhsa_system_sgpr_workgroup_info 0
		.amdhsa_system_vgpr_workitem_id 0
		.amdhsa_next_free_vgpr 1
		.amdhsa_next_free_sgpr 0
		.amdhsa_accum_offset 4
		.amdhsa_reserve_vcc 0
		.amdhsa_reserve_flat_scratch 0
		.amdhsa_float_round_mode_32 0
		.amdhsa_float_round_mode_16_64 0
		.amdhsa_float_denorm_mode_32 3
		.amdhsa_float_denorm_mode_16_64 3
		.amdhsa_dx10_clamp 1
		.amdhsa_ieee_mode 1
		.amdhsa_fp16_overflow 0
		.amdhsa_tg_split 0
		.amdhsa_exception_fp_ieee_invalid_op 0
		.amdhsa_exception_fp_denorm_src 0
		.amdhsa_exception_fp_ieee_div_zero 0
		.amdhsa_exception_fp_ieee_overflow 0
		.amdhsa_exception_fp_ieee_underflow 0
		.amdhsa_exception_fp_ieee_inexact 0
		.amdhsa_exception_int_div_zero 0
	.end_amdhsa_kernel
	.section	.text._ZN7rocprim17ROCPRIM_400000_NS6detail17trampoline_kernelINS0_14default_configENS1_35radix_sort_onesweep_config_selectorItNS0_10empty_typeEEEZZNS1_29radix_sort_onesweep_iterationIS3_Lb1EPtS8_PS5_S9_mNS0_19identity_decomposerENS1_16block_id_wrapperIjLb1EEEEE10hipError_tT1_PNSt15iterator_traitsISE_E10value_typeET2_T3_PNSF_ISK_E10value_typeET4_T5_PSP_SQ_PNS1_23onesweep_lookback_stateEbbT6_jjT7_P12ihipStream_tbENKUlT_T0_SE_SJ_E_clIS8_S8_S9_S9_EEDaSX_SY_SE_SJ_EUlSX_E_NS1_11comp_targetILNS1_3genE2ELNS1_11target_archE906ELNS1_3gpuE6ELNS1_3repE0EEENS1_47radix_sort_onesweep_sort_config_static_selectorELNS0_4arch9wavefront6targetE1EEEvSE_,"axG",@progbits,_ZN7rocprim17ROCPRIM_400000_NS6detail17trampoline_kernelINS0_14default_configENS1_35radix_sort_onesweep_config_selectorItNS0_10empty_typeEEEZZNS1_29radix_sort_onesweep_iterationIS3_Lb1EPtS8_PS5_S9_mNS0_19identity_decomposerENS1_16block_id_wrapperIjLb1EEEEE10hipError_tT1_PNSt15iterator_traitsISE_E10value_typeET2_T3_PNSF_ISK_E10value_typeET4_T5_PSP_SQ_PNS1_23onesweep_lookback_stateEbbT6_jjT7_P12ihipStream_tbENKUlT_T0_SE_SJ_E_clIS8_S8_S9_S9_EEDaSX_SY_SE_SJ_EUlSX_E_NS1_11comp_targetILNS1_3genE2ELNS1_11target_archE906ELNS1_3gpuE6ELNS1_3repE0EEENS1_47radix_sort_onesweep_sort_config_static_selectorELNS0_4arch9wavefront6targetE1EEEvSE_,comdat
.Lfunc_end1922:
	.size	_ZN7rocprim17ROCPRIM_400000_NS6detail17trampoline_kernelINS0_14default_configENS1_35radix_sort_onesweep_config_selectorItNS0_10empty_typeEEEZZNS1_29radix_sort_onesweep_iterationIS3_Lb1EPtS8_PS5_S9_mNS0_19identity_decomposerENS1_16block_id_wrapperIjLb1EEEEE10hipError_tT1_PNSt15iterator_traitsISE_E10value_typeET2_T3_PNSF_ISK_E10value_typeET4_T5_PSP_SQ_PNS1_23onesweep_lookback_stateEbbT6_jjT7_P12ihipStream_tbENKUlT_T0_SE_SJ_E_clIS8_S8_S9_S9_EEDaSX_SY_SE_SJ_EUlSX_E_NS1_11comp_targetILNS1_3genE2ELNS1_11target_archE906ELNS1_3gpuE6ELNS1_3repE0EEENS1_47radix_sort_onesweep_sort_config_static_selectorELNS0_4arch9wavefront6targetE1EEEvSE_, .Lfunc_end1922-_ZN7rocprim17ROCPRIM_400000_NS6detail17trampoline_kernelINS0_14default_configENS1_35radix_sort_onesweep_config_selectorItNS0_10empty_typeEEEZZNS1_29radix_sort_onesweep_iterationIS3_Lb1EPtS8_PS5_S9_mNS0_19identity_decomposerENS1_16block_id_wrapperIjLb1EEEEE10hipError_tT1_PNSt15iterator_traitsISE_E10value_typeET2_T3_PNSF_ISK_E10value_typeET4_T5_PSP_SQ_PNS1_23onesweep_lookback_stateEbbT6_jjT7_P12ihipStream_tbENKUlT_T0_SE_SJ_E_clIS8_S8_S9_S9_EEDaSX_SY_SE_SJ_EUlSX_E_NS1_11comp_targetILNS1_3genE2ELNS1_11target_archE906ELNS1_3gpuE6ELNS1_3repE0EEENS1_47radix_sort_onesweep_sort_config_static_selectorELNS0_4arch9wavefront6targetE1EEEvSE_
                                        ; -- End function
	.section	.AMDGPU.csdata,"",@progbits
; Kernel info:
; codeLenInByte = 0
; NumSgprs: 4
; NumVgprs: 0
; NumAgprs: 0
; TotalNumVgprs: 0
; ScratchSize: 0
; MemoryBound: 0
; FloatMode: 240
; IeeeMode: 1
; LDSByteSize: 0 bytes/workgroup (compile time only)
; SGPRBlocks: 0
; VGPRBlocks: 0
; NumSGPRsForWavesPerEU: 4
; NumVGPRsForWavesPerEU: 1
; AccumOffset: 4
; Occupancy: 8
; WaveLimiterHint : 0
; COMPUTE_PGM_RSRC2:SCRATCH_EN: 0
; COMPUTE_PGM_RSRC2:USER_SGPR: 6
; COMPUTE_PGM_RSRC2:TRAP_HANDLER: 0
; COMPUTE_PGM_RSRC2:TGID_X_EN: 1
; COMPUTE_PGM_RSRC2:TGID_Y_EN: 0
; COMPUTE_PGM_RSRC2:TGID_Z_EN: 0
; COMPUTE_PGM_RSRC2:TIDIG_COMP_CNT: 0
; COMPUTE_PGM_RSRC3_GFX90A:ACCUM_OFFSET: 0
; COMPUTE_PGM_RSRC3_GFX90A:TG_SPLIT: 0
	.section	.text._ZN7rocprim17ROCPRIM_400000_NS6detail17trampoline_kernelINS0_14default_configENS1_35radix_sort_onesweep_config_selectorItNS0_10empty_typeEEEZZNS1_29radix_sort_onesweep_iterationIS3_Lb1EPtS8_PS5_S9_mNS0_19identity_decomposerENS1_16block_id_wrapperIjLb1EEEEE10hipError_tT1_PNSt15iterator_traitsISE_E10value_typeET2_T3_PNSF_ISK_E10value_typeET4_T5_PSP_SQ_PNS1_23onesweep_lookback_stateEbbT6_jjT7_P12ihipStream_tbENKUlT_T0_SE_SJ_E_clIS8_S8_S9_S9_EEDaSX_SY_SE_SJ_EUlSX_E_NS1_11comp_targetILNS1_3genE4ELNS1_11target_archE910ELNS1_3gpuE8ELNS1_3repE0EEENS1_47radix_sort_onesweep_sort_config_static_selectorELNS0_4arch9wavefront6targetE1EEEvSE_,"axG",@progbits,_ZN7rocprim17ROCPRIM_400000_NS6detail17trampoline_kernelINS0_14default_configENS1_35radix_sort_onesweep_config_selectorItNS0_10empty_typeEEEZZNS1_29radix_sort_onesweep_iterationIS3_Lb1EPtS8_PS5_S9_mNS0_19identity_decomposerENS1_16block_id_wrapperIjLb1EEEEE10hipError_tT1_PNSt15iterator_traitsISE_E10value_typeET2_T3_PNSF_ISK_E10value_typeET4_T5_PSP_SQ_PNS1_23onesweep_lookback_stateEbbT6_jjT7_P12ihipStream_tbENKUlT_T0_SE_SJ_E_clIS8_S8_S9_S9_EEDaSX_SY_SE_SJ_EUlSX_E_NS1_11comp_targetILNS1_3genE4ELNS1_11target_archE910ELNS1_3gpuE8ELNS1_3repE0EEENS1_47radix_sort_onesweep_sort_config_static_selectorELNS0_4arch9wavefront6targetE1EEEvSE_,comdat
	.protected	_ZN7rocprim17ROCPRIM_400000_NS6detail17trampoline_kernelINS0_14default_configENS1_35radix_sort_onesweep_config_selectorItNS0_10empty_typeEEEZZNS1_29radix_sort_onesweep_iterationIS3_Lb1EPtS8_PS5_S9_mNS0_19identity_decomposerENS1_16block_id_wrapperIjLb1EEEEE10hipError_tT1_PNSt15iterator_traitsISE_E10value_typeET2_T3_PNSF_ISK_E10value_typeET4_T5_PSP_SQ_PNS1_23onesweep_lookback_stateEbbT6_jjT7_P12ihipStream_tbENKUlT_T0_SE_SJ_E_clIS8_S8_S9_S9_EEDaSX_SY_SE_SJ_EUlSX_E_NS1_11comp_targetILNS1_3genE4ELNS1_11target_archE910ELNS1_3gpuE8ELNS1_3repE0EEENS1_47radix_sort_onesweep_sort_config_static_selectorELNS0_4arch9wavefront6targetE1EEEvSE_ ; -- Begin function _ZN7rocprim17ROCPRIM_400000_NS6detail17trampoline_kernelINS0_14default_configENS1_35radix_sort_onesweep_config_selectorItNS0_10empty_typeEEEZZNS1_29radix_sort_onesweep_iterationIS3_Lb1EPtS8_PS5_S9_mNS0_19identity_decomposerENS1_16block_id_wrapperIjLb1EEEEE10hipError_tT1_PNSt15iterator_traitsISE_E10value_typeET2_T3_PNSF_ISK_E10value_typeET4_T5_PSP_SQ_PNS1_23onesweep_lookback_stateEbbT6_jjT7_P12ihipStream_tbENKUlT_T0_SE_SJ_E_clIS8_S8_S9_S9_EEDaSX_SY_SE_SJ_EUlSX_E_NS1_11comp_targetILNS1_3genE4ELNS1_11target_archE910ELNS1_3gpuE8ELNS1_3repE0EEENS1_47radix_sort_onesweep_sort_config_static_selectorELNS0_4arch9wavefront6targetE1EEEvSE_
	.globl	_ZN7rocprim17ROCPRIM_400000_NS6detail17trampoline_kernelINS0_14default_configENS1_35radix_sort_onesweep_config_selectorItNS0_10empty_typeEEEZZNS1_29radix_sort_onesweep_iterationIS3_Lb1EPtS8_PS5_S9_mNS0_19identity_decomposerENS1_16block_id_wrapperIjLb1EEEEE10hipError_tT1_PNSt15iterator_traitsISE_E10value_typeET2_T3_PNSF_ISK_E10value_typeET4_T5_PSP_SQ_PNS1_23onesweep_lookback_stateEbbT6_jjT7_P12ihipStream_tbENKUlT_T0_SE_SJ_E_clIS8_S8_S9_S9_EEDaSX_SY_SE_SJ_EUlSX_E_NS1_11comp_targetILNS1_3genE4ELNS1_11target_archE910ELNS1_3gpuE8ELNS1_3repE0EEENS1_47radix_sort_onesweep_sort_config_static_selectorELNS0_4arch9wavefront6targetE1EEEvSE_
	.p2align	8
	.type	_ZN7rocprim17ROCPRIM_400000_NS6detail17trampoline_kernelINS0_14default_configENS1_35radix_sort_onesweep_config_selectorItNS0_10empty_typeEEEZZNS1_29radix_sort_onesweep_iterationIS3_Lb1EPtS8_PS5_S9_mNS0_19identity_decomposerENS1_16block_id_wrapperIjLb1EEEEE10hipError_tT1_PNSt15iterator_traitsISE_E10value_typeET2_T3_PNSF_ISK_E10value_typeET4_T5_PSP_SQ_PNS1_23onesweep_lookback_stateEbbT6_jjT7_P12ihipStream_tbENKUlT_T0_SE_SJ_E_clIS8_S8_S9_S9_EEDaSX_SY_SE_SJ_EUlSX_E_NS1_11comp_targetILNS1_3genE4ELNS1_11target_archE910ELNS1_3gpuE8ELNS1_3repE0EEENS1_47radix_sort_onesweep_sort_config_static_selectorELNS0_4arch9wavefront6targetE1EEEvSE_,@function
_ZN7rocprim17ROCPRIM_400000_NS6detail17trampoline_kernelINS0_14default_configENS1_35radix_sort_onesweep_config_selectorItNS0_10empty_typeEEEZZNS1_29radix_sort_onesweep_iterationIS3_Lb1EPtS8_PS5_S9_mNS0_19identity_decomposerENS1_16block_id_wrapperIjLb1EEEEE10hipError_tT1_PNSt15iterator_traitsISE_E10value_typeET2_T3_PNSF_ISK_E10value_typeET4_T5_PSP_SQ_PNS1_23onesweep_lookback_stateEbbT6_jjT7_P12ihipStream_tbENKUlT_T0_SE_SJ_E_clIS8_S8_S9_S9_EEDaSX_SY_SE_SJ_EUlSX_E_NS1_11comp_targetILNS1_3genE4ELNS1_11target_archE910ELNS1_3gpuE8ELNS1_3repE0EEENS1_47radix_sort_onesweep_sort_config_static_selectorELNS0_4arch9wavefront6targetE1EEEvSE_: ; @_ZN7rocprim17ROCPRIM_400000_NS6detail17trampoline_kernelINS0_14default_configENS1_35radix_sort_onesweep_config_selectorItNS0_10empty_typeEEEZZNS1_29radix_sort_onesweep_iterationIS3_Lb1EPtS8_PS5_S9_mNS0_19identity_decomposerENS1_16block_id_wrapperIjLb1EEEEE10hipError_tT1_PNSt15iterator_traitsISE_E10value_typeET2_T3_PNSF_ISK_E10value_typeET4_T5_PSP_SQ_PNS1_23onesweep_lookback_stateEbbT6_jjT7_P12ihipStream_tbENKUlT_T0_SE_SJ_E_clIS8_S8_S9_S9_EEDaSX_SY_SE_SJ_EUlSX_E_NS1_11comp_targetILNS1_3genE4ELNS1_11target_archE910ELNS1_3gpuE8ELNS1_3repE0EEENS1_47radix_sort_onesweep_sort_config_static_selectorELNS0_4arch9wavefront6targetE1EEEvSE_
; %bb.0:
	s_load_dwordx4 s[16:19], s[4:5], 0x28
	s_load_dwordx2 s[14:15], s[4:5], 0x38
	s_load_dwordx4 s[20:23], s[4:5], 0x44
	v_and_b32_e32 v10, 0x3ff, v0
	v_cmp_eq_u32_e64 s[0:1], 0, v10
	s_and_saveexec_b64 s[2:3], s[0:1]
	s_cbranch_execz .LBB1923_4
; %bb.1:
	s_mov_b64 s[10:11], exec
	v_mbcnt_lo_u32_b32 v1, s10, 0
	v_mbcnt_hi_u32_b32 v1, s11, v1
	v_cmp_eq_u32_e32 vcc, 0, v1
                                        ; implicit-def: $vgpr2
	s_and_saveexec_b64 s[8:9], vcc
	s_cbranch_execz .LBB1923_3
; %bb.2:
	s_load_dwordx2 s[12:13], s[4:5], 0x50
	s_bcnt1_i32_b64 s7, s[10:11]
	v_mov_b32_e32 v2, 0
	v_mov_b32_e32 v3, s7
	s_waitcnt lgkmcnt(0)
	global_atomic_add v2, v2, v3, s[12:13] glc
.LBB1923_3:
	s_or_b64 exec, exec, s[8:9]
	s_waitcnt vmcnt(0)
	v_readfirstlane_b32 s7, v2
	v_add_u32_e32 v1, s7, v1
	v_mov_b32_e32 v2, 0
	ds_write_b32 v2, v1 offset:26624
.LBB1923_4:
	s_or_b64 exec, exec, s[2:3]
	v_mov_b32_e32 v1, 0
	s_load_dwordx4 s[24:27], s[4:5], 0x0
	s_load_dword s2, s[4:5], 0x20
	s_waitcnt lgkmcnt(0)
	s_barrier
	ds_read_b32 v1, v1 offset:26624
	s_waitcnt lgkmcnt(0)
	s_barrier
	v_readfirstlane_b32 s30, v1
	v_cmp_le_u32_e32 vcc, s22, v1
	s_mul_i32 s28, s30, 0x3000
	v_mbcnt_lo_u32_b32 v1, -1, 0
	s_cbranch_vccz .LBB1923_100
; %bb.5:
	s_mul_i32 s7, s22, 0xffffd000
	s_mov_b32 s29, 0
	s_add_i32 s7, s7, s2
	s_lshl_b64 s[2:3], s[28:29], 1
	v_mbcnt_hi_u32_b32 v11, -1, v1
	s_add_u32 s2, s24, s2
	v_and_b32_e32 v2, 63, v11
	s_addc_u32 s3, s25, s3
	v_and_b32_e32 v3, 0x3c0, v10
	v_lshlrev_b32_e32 v4, 1, v2
	v_mul_u32_u24_e32 v3, 12, v3
	v_mov_b32_e32 v5, s3
	v_add_co_u32_e32 v4, vcc, s2, v4
	v_addc_co_u32_e32 v5, vcc, 0, v5, vcc
	v_lshlrev_b32_e32 v6, 1, v3
	v_add_co_u32_e32 v12, vcc, v4, v6
	s_mov_b32 s8, s29
	s_mov_b32 s9, s29
	v_addc_co_u32_e32 v13, vcc, 0, v5, vcc
	v_or_b32_e32 v14, v2, v3
	s_mov_b32 s10, s29
	s_mov_b32 s11, s29
	s_mov_b32 s12, s29
	s_mov_b32 s13, s29
	v_pk_mov_b32 v[2:3], s[8:9], s[8:9] op_sel:[0,1]
	v_cmp_gt_u32_e32 vcc, s7, v14
	v_pk_mov_b32 v[4:5], s[10:11], s[10:11] op_sel:[0,1]
	v_pk_mov_b32 v[6:7], s[12:13], s[12:13] op_sel:[0,1]
	;; [unrolled: 1-line block ×3, first 2 shown]
	s_and_saveexec_b64 s[2:3], vcc
	s_cbranch_execz .LBB1923_7
; %bb.6:
	global_load_ushort v2, v[12:13], off
	v_mov_b32_e32 v3, 0
	v_mov_b32_e32 v4, v3
	;; [unrolled: 1-line block ×5, first 2 shown]
	s_waitcnt vmcnt(0)
	v_and_b32_e32 v2, 0xffff, v2
.LBB1923_7:
	s_or_b64 exec, exec, s[2:3]
	v_or_b32_e32 v8, 64, v14
	v_cmp_gt_u32_e32 vcc, s7, v8
	s_and_saveexec_b64 s[2:3], vcc
	s_cbranch_execz .LBB1923_9
; %bb.8:
	global_load_ushort v8, v[12:13], off offset:128
	s_mov_b32 s8, 0x5040100
	s_waitcnt vmcnt(0)
	v_perm_b32 v2, v8, v2, s8
.LBB1923_9:
	s_or_b64 exec, exec, s[2:3]
	v_or_b32_e32 v8, 0x80, v14
	v_cmp_gt_u32_e32 vcc, s7, v8
	s_and_saveexec_b64 s[2:3], vcc
	s_cbranch_execz .LBB1923_11
; %bb.10:
	global_load_ushort v8, v[12:13], off offset:256
	s_mov_b32 s8, 0xffff
	s_waitcnt vmcnt(0)
	v_bfi_b32 v3, s8, v8, v3
.LBB1923_11:
	s_or_b64 exec, exec, s[2:3]
	v_or_b32_e32 v8, 0xc0, v14
	v_cmp_gt_u32_e32 vcc, s7, v8
	s_and_saveexec_b64 s[2:3], vcc
	s_cbranch_execz .LBB1923_13
; %bb.12:
	global_load_ushort v8, v[12:13], off offset:384
	s_mov_b32 s8, 0x5040100
	s_waitcnt vmcnt(0)
	v_perm_b32 v3, v8, v3, s8
.LBB1923_13:
	s_or_b64 exec, exec, s[2:3]
	v_add_u32_e32 v8, 0x100, v14
	v_cmp_gt_u32_e32 vcc, s7, v8
	s_and_saveexec_b64 s[2:3], vcc
	s_cbranch_execz .LBB1923_15
; %bb.14:
	global_load_ushort v8, v[12:13], off offset:512
	s_mov_b32 s8, 0xffff
	s_waitcnt vmcnt(0)
	v_bfi_b32 v4, s8, v8, v4
.LBB1923_15:
	s_or_b64 exec, exec, s[2:3]
	v_add_u32_e32 v8, 0x140, v14
	v_cmp_gt_u32_e32 vcc, s7, v8
	s_and_saveexec_b64 s[2:3], vcc
	s_cbranch_execz .LBB1923_17
; %bb.16:
	global_load_ushort v8, v[12:13], off offset:640
	s_mov_b32 s8, 0x5040100
	s_waitcnt vmcnt(0)
	v_perm_b32 v4, v8, v4, s8
.LBB1923_17:
	s_or_b64 exec, exec, s[2:3]
	v_add_u32_e32 v8, 0x180, v14
	v_cmp_gt_u32_e32 vcc, s7, v8
	s_and_saveexec_b64 s[2:3], vcc
	s_cbranch_execz .LBB1923_19
; %bb.18:
	global_load_ushort v8, v[12:13], off offset:768
	s_mov_b32 s8, 0xffff
	s_waitcnt vmcnt(0)
	v_bfi_b32 v5, s8, v8, v5
.LBB1923_19:
	s_or_b64 exec, exec, s[2:3]
	v_add_u32_e32 v8, 0x1c0, v14
	;; [unrolled: 22-line block ×4, first 2 shown]
	v_cmp_gt_u32_e32 vcc, s7, v8
	s_and_saveexec_b64 s[2:3], vcc
	s_cbranch_execz .LBB1923_29
; %bb.28:
	global_load_ushort v8, v[12:13], off offset:1408
	s_mov_b32 s8, 0x5040100
	s_waitcnt vmcnt(0)
	v_perm_b32 v7, v8, v7, s8
.LBB1923_29:
	s_or_b64 exec, exec, s[2:3]
	s_load_dword s2, s[4:5], 0x64
	s_load_dword s29, s[4:5], 0x58
	s_add_u32 s3, s4, 0x58
	s_addc_u32 s8, s5, 0
	v_mov_b32_e32 v8, 0
	s_waitcnt lgkmcnt(0)
	s_lshr_b32 s9, s2, 16
	s_cmp_lt_u32 s6, s29
	s_cselect_b32 s2, 12, 18
	s_add_u32 s2, s3, s2
	s_addc_u32 s3, s8, 0
	global_load_ushort v12, v8, s[2:3]
	v_xor_b32_e32 v14, -1, v2
	s_lshl_b32 s2, -1, s21
	v_lshrrev_b32_sdwa v16, s20, v14 dst_sel:DWORD dst_unused:UNUSED_PAD src0_sel:DWORD src1_sel:WORD_0
	s_not_b32 s31, s2
	v_and_b32_e32 v16, s31, v16
	v_and_b32_e32 v18, 1, v16
	v_bfe_u32 v9, v0, 10, 10
	v_bfe_u32 v13, v0, 20, 10
	v_add_co_u32_e32 v19, vcc, -1, v18
	v_mad_u32_u24 v13, v13, s9, v9
	v_lshlrev_b32_e32 v9, 30, v16
	v_addc_co_u32_e64 v20, s[2:3], 0, -1, vcc
	v_cmp_ne_u32_e32 vcc, 0, v18
	v_cmp_gt_i64_e64 s[2:3], 0, v[8:9]
	v_not_b32_e32 v18, v9
	v_lshlrev_b32_e32 v9, 29, v16
	v_xor_b32_e32 v20, vcc_hi, v20
	v_xor_b32_e32 v19, vcc_lo, v19
	v_ashrrev_i32_e32 v18, 31, v18
	v_cmp_gt_i64_e32 vcc, 0, v[8:9]
	v_not_b32_e32 v21, v9
	v_lshlrev_b32_e32 v9, 28, v16
	v_and_b32_e32 v20, exec_hi, v20
	v_and_b32_e32 v19, exec_lo, v19
	v_xor_b32_e32 v22, s3, v18
	v_xor_b32_e32 v18, s2, v18
	v_ashrrev_i32_e32 v21, 31, v21
	v_cmp_gt_i64_e64 s[2:3], 0, v[8:9]
	v_not_b32_e32 v23, v9
	v_lshlrev_b32_e32 v9, 27, v16
	v_and_b32_e32 v20, v20, v22
	v_and_b32_e32 v18, v19, v18
	v_xor_b32_e32 v19, vcc_hi, v21
	v_xor_b32_e32 v21, vcc_lo, v21
	v_ashrrev_i32_e32 v22, 31, v23
	v_cmp_gt_i64_e32 vcc, 0, v[8:9]
	v_not_b32_e32 v23, v9
	v_lshlrev_b32_e32 v9, 26, v16
	v_and_b32_e32 v19, v20, v19
	v_and_b32_e32 v18, v18, v21
	v_xor_b32_e32 v20, s3, v22
	v_xor_b32_e32 v21, s2, v22
	v_ashrrev_i32_e32 v22, 31, v23
	v_cmp_gt_i64_e64 s[2:3], 0, v[8:9]
	v_not_b32_e32 v23, v9
	v_lshlrev_b32_e32 v9, 25, v16
	v_and_b32_e32 v19, v19, v20
	v_and_b32_e32 v18, v18, v21
	v_xor_b32_e32 v20, vcc_hi, v22
	v_xor_b32_e32 v21, vcc_lo, v22
	v_ashrrev_i32_e32 v22, 31, v23
	v_cmp_gt_i64_e32 vcc, 0, v[8:9]
	v_not_b32_e32 v23, v9
	v_lshlrev_b32_e32 v9, 24, v16
	v_mul_u32_u24_e32 v17, 17, v16
	v_and_b32_e32 v16, v19, v20
	v_and_b32_e32 v18, v18, v21
	v_xor_b32_e32 v19, s3, v22
	v_xor_b32_e32 v20, s2, v22
	v_ashrrev_i32_e32 v21, 31, v23
	v_cmp_gt_i64_e64 s[2:3], 0, v[8:9]
	v_not_b32_e32 v9, v9
	v_and_b32_e32 v16, v16, v19
	v_and_b32_e32 v18, v18, v20
	v_xor_b32_e32 v19, vcc_hi, v21
	v_xor_b32_e32 v20, vcc_lo, v21
	v_ashrrev_i32_e32 v9, 31, v9
	v_and_b32_e32 v16, v16, v19
	v_and_b32_e32 v18, v18, v20
	v_mul_u32_u24_e32 v15, 5, v10
	v_lshlrev_b32_e32 v15, 2, v15
	ds_write2_b32 v15, v8, v8 offset0:16 offset1:17
	ds_write2_b32 v15, v8, v8 offset0:18 offset1:19
	ds_write_b32 v15, v8 offset:80
	s_waitcnt lgkmcnt(0)
	s_barrier
	s_waitcnt lgkmcnt(0)
	; wave barrier
	s_waitcnt vmcnt(0)
	v_mad_u64_u32 v[12:13], s[8:9], v13, v12, v[10:11]
	v_lshrrev_b32_e32 v26, 6, v12
	v_xor_b32_e32 v12, s3, v9
	v_xor_b32_e32 v9, s2, v9
	v_and_b32_e32 v13, v16, v12
	v_and_b32_e32 v12, v18, v9
	v_mbcnt_lo_u32_b32 v9, v12, 0
	v_mbcnt_hi_u32_b32 v16, v13, v9
	v_cmp_eq_u32_e32 vcc, 0, v16
	v_cmp_ne_u64_e64 s[2:3], 0, v[12:13]
	v_add_lshl_u32 v19, v26, v17, 2
	s_and_b64 s[8:9], s[2:3], vcc
	s_and_saveexec_b64 s[2:3], s[8:9]
	s_cbranch_execz .LBB1923_31
; %bb.30:
	v_bcnt_u32_b32 v9, v12, 0
	v_bcnt_u32_b32 v9, v13, v9
	ds_write_b32 v19, v9 offset:64
.LBB1923_31:
	s_or_b64 exec, exec, s[2:3]
	v_mov_b32_e32 v9, -1
	v_xor_b32_sdwa v17, v2, v9 dst_sel:DWORD dst_unused:UNUSED_PAD src0_sel:WORD_1 src1_sel:DWORD
	v_lshrrev_b32_sdwa v2, s20, v17 dst_sel:DWORD dst_unused:UNUSED_PAD src0_sel:DWORD src1_sel:WORD_0
	v_and_b32_e32 v2, s31, v2
	v_mul_u32_u24_e32 v9, 17, v2
	v_add_lshl_u32 v20, v26, v9, 2
	v_and_b32_e32 v9, 1, v2
	v_add_co_u32_e32 v12, vcc, -1, v9
	v_addc_co_u32_e64 v13, s[2:3], 0, -1, vcc
	v_cmp_ne_u32_e32 vcc, 0, v9
	v_xor_b32_e32 v9, vcc_hi, v13
	v_and_b32_e32 v13, exec_hi, v9
	v_lshlrev_b32_e32 v9, 30, v2
	v_xor_b32_e32 v12, vcc_lo, v12
	v_cmp_gt_i64_e32 vcc, 0, v[8:9]
	v_not_b32_e32 v9, v9
	v_ashrrev_i32_e32 v9, 31, v9
	v_and_b32_e32 v12, exec_lo, v12
	v_xor_b32_e32 v21, vcc_hi, v9
	v_xor_b32_e32 v9, vcc_lo, v9
	v_and_b32_e32 v12, v12, v9
	v_lshlrev_b32_e32 v9, 29, v2
	v_cmp_gt_i64_e32 vcc, 0, v[8:9]
	v_not_b32_e32 v9, v9
	v_ashrrev_i32_e32 v9, 31, v9
	v_and_b32_e32 v13, v13, v21
	v_xor_b32_e32 v21, vcc_hi, v9
	v_xor_b32_e32 v9, vcc_lo, v9
	v_and_b32_e32 v12, v12, v9
	v_lshlrev_b32_e32 v9, 28, v2
	v_cmp_gt_i64_e32 vcc, 0, v[8:9]
	v_not_b32_e32 v9, v9
	v_ashrrev_i32_e32 v9, 31, v9
	v_and_b32_e32 v13, v13, v21
	;; [unrolled: 8-line block ×5, first 2 shown]
	v_xor_b32_e32 v21, vcc_hi, v9
	v_xor_b32_e32 v9, vcc_lo, v9
	v_and_b32_e32 v12, v12, v9
	v_lshlrev_b32_e32 v9, 24, v2
	v_not_b32_e32 v2, v9
	v_cmp_gt_i64_e32 vcc, 0, v[8:9]
	v_ashrrev_i32_e32 v2, 31, v2
	v_and_b32_e32 v13, v13, v21
	v_xor_b32_e32 v8, vcc_hi, v2
	v_xor_b32_e32 v2, vcc_lo, v2
	; wave barrier
	ds_read_b32 v18, v20 offset:64
	v_and_b32_e32 v9, v13, v8
	v_and_b32_e32 v8, v12, v2
	v_mbcnt_lo_u32_b32 v2, v8, 0
	v_mbcnt_hi_u32_b32 v21, v9, v2
	v_cmp_eq_u32_e32 vcc, 0, v21
	v_cmp_ne_u64_e64 s[2:3], 0, v[8:9]
	s_and_b64 s[8:9], s[2:3], vcc
	; wave barrier
	s_and_saveexec_b64 s[2:3], s[8:9]
	s_cbranch_execz .LBB1923_33
; %bb.32:
	v_bcnt_u32_b32 v2, v8, 0
	v_bcnt_u32_b32 v2, v9, v2
	s_waitcnt lgkmcnt(0)
	v_add_u32_e32 v2, v18, v2
	ds_write_b32 v20, v2 offset:64
.LBB1923_33:
	s_or_b64 exec, exec, s[2:3]
	v_xor_b32_e32 v22, -1, v3
	v_lshrrev_b32_sdwa v2, s20, v22 dst_sel:DWORD dst_unused:UNUSED_PAD src0_sel:DWORD src1_sel:WORD_0
	v_and_b32_e32 v2, s31, v2
	v_and_b32_e32 v9, 1, v2
	v_add_co_u32_e32 v12, vcc, -1, v9
	v_addc_co_u32_e64 v13, s[2:3], 0, -1, vcc
	v_cmp_ne_u32_e32 vcc, 0, v9
	v_mul_u32_u24_e32 v8, 17, v2
	v_xor_b32_e32 v9, vcc_hi, v13
	v_add_lshl_u32 v24, v26, v8, 2
	v_mov_b32_e32 v8, 0
	v_and_b32_e32 v13, exec_hi, v9
	v_lshlrev_b32_e32 v9, 30, v2
	v_xor_b32_e32 v12, vcc_lo, v12
	v_cmp_gt_i64_e32 vcc, 0, v[8:9]
	v_not_b32_e32 v9, v9
	v_ashrrev_i32_e32 v9, 31, v9
	v_and_b32_e32 v12, exec_lo, v12
	v_xor_b32_e32 v25, vcc_hi, v9
	v_xor_b32_e32 v9, vcc_lo, v9
	v_and_b32_e32 v12, v12, v9
	v_lshlrev_b32_e32 v9, 29, v2
	v_cmp_gt_i64_e32 vcc, 0, v[8:9]
	v_not_b32_e32 v9, v9
	v_ashrrev_i32_e32 v9, 31, v9
	v_and_b32_e32 v13, v13, v25
	v_xor_b32_e32 v25, vcc_hi, v9
	v_xor_b32_e32 v9, vcc_lo, v9
	v_and_b32_e32 v12, v12, v9
	v_lshlrev_b32_e32 v9, 28, v2
	v_cmp_gt_i64_e32 vcc, 0, v[8:9]
	v_not_b32_e32 v9, v9
	v_ashrrev_i32_e32 v9, 31, v9
	v_and_b32_e32 v13, v13, v25
	v_xor_b32_e32 v25, vcc_hi, v9
	v_xor_b32_e32 v9, vcc_lo, v9
	v_and_b32_e32 v12, v12, v9
	v_lshlrev_b32_e32 v9, 27, v2
	v_cmp_gt_i64_e32 vcc, 0, v[8:9]
	v_not_b32_e32 v9, v9
	v_ashrrev_i32_e32 v9, 31, v9
	v_and_b32_e32 v13, v13, v25
	v_xor_b32_e32 v25, vcc_hi, v9
	v_xor_b32_e32 v9, vcc_lo, v9
	v_and_b32_e32 v12, v12, v9
	v_lshlrev_b32_e32 v9, 26, v2
	v_cmp_gt_i64_e32 vcc, 0, v[8:9]
	v_not_b32_e32 v9, v9
	v_ashrrev_i32_e32 v9, 31, v9
	v_and_b32_e32 v13, v13, v25
	v_xor_b32_e32 v25, vcc_hi, v9
	v_xor_b32_e32 v9, vcc_lo, v9
	v_and_b32_e32 v12, v12, v9
	v_lshlrev_b32_e32 v9, 25, v2
	v_cmp_gt_i64_e32 vcc, 0, v[8:9]
	v_not_b32_e32 v9, v9
	v_ashrrev_i32_e32 v9, 31, v9
	v_and_b32_e32 v13, v13, v25
	v_xor_b32_e32 v25, vcc_hi, v9
	v_xor_b32_e32 v9, vcc_lo, v9
	v_and_b32_e32 v12, v12, v9
	v_lshlrev_b32_e32 v9, 24, v2
	v_not_b32_e32 v2, v9
	v_cmp_gt_i64_e32 vcc, 0, v[8:9]
	v_ashrrev_i32_e32 v2, 31, v2
	v_xor_b32_e32 v9, vcc_hi, v2
	v_xor_b32_e32 v2, vcc_lo, v2
	; wave barrier
	ds_read_b32 v23, v24 offset:64
	v_and_b32_e32 v13, v13, v25
	v_and_b32_e32 v12, v12, v2
	;; [unrolled: 1-line block ×3, first 2 shown]
	v_mbcnt_lo_u32_b32 v2, v12, 0
	v_mbcnt_hi_u32_b32 v25, v13, v2
	v_cmp_eq_u32_e32 vcc, 0, v25
	v_cmp_ne_u64_e64 s[2:3], 0, v[12:13]
	s_and_b64 s[8:9], s[2:3], vcc
	; wave barrier
	s_and_saveexec_b64 s[2:3], s[8:9]
	s_cbranch_execz .LBB1923_35
; %bb.34:
	v_bcnt_u32_b32 v2, v12, 0
	v_bcnt_u32_b32 v2, v13, v2
	s_waitcnt lgkmcnt(0)
	v_add_u32_e32 v2, v23, v2
	ds_write_b32 v24, v2 offset:64
.LBB1923_35:
	s_or_b64 exec, exec, s[2:3]
	v_mov_b32_e32 v2, -1
	v_xor_b32_sdwa v12, v3, v2 dst_sel:DWORD dst_unused:UNUSED_PAD src0_sel:WORD_1 src1_sel:DWORD
	v_lshrrev_b32_sdwa v2, s20, v12 dst_sel:DWORD dst_unused:UNUSED_PAD src0_sel:DWORD src1_sel:WORD_0
	v_and_b32_e32 v2, s31, v2
	v_mul_u32_u24_e32 v3, 17, v2
	v_add_lshl_u32 v27, v26, v3, 2
	v_and_b32_e32 v3, 1, v2
	v_add_co_u32_e32 v9, vcc, -1, v3
	v_addc_co_u32_e64 v28, s[2:3], 0, -1, vcc
	v_cmp_ne_u32_e32 vcc, 0, v3
	v_xor_b32_e32 v9, vcc_lo, v9
	v_xor_b32_e32 v3, vcc_hi, v28
	v_and_b32_e32 v28, exec_lo, v9
	v_lshlrev_b32_e32 v9, 30, v2
	v_cmp_gt_i64_e32 vcc, 0, v[8:9]
	v_not_b32_e32 v9, v9
	v_ashrrev_i32_e32 v9, 31, v9
	v_xor_b32_e32 v29, vcc_hi, v9
	v_xor_b32_e32 v9, vcc_lo, v9
	v_and_b32_e32 v28, v28, v9
	v_lshlrev_b32_e32 v9, 29, v2
	v_cmp_gt_i64_e32 vcc, 0, v[8:9]
	v_not_b32_e32 v9, v9
	v_and_b32_e32 v3, exec_hi, v3
	v_ashrrev_i32_e32 v9, 31, v9
	v_and_b32_e32 v3, v3, v29
	v_xor_b32_e32 v29, vcc_hi, v9
	v_xor_b32_e32 v9, vcc_lo, v9
	v_and_b32_e32 v28, v28, v9
	v_lshlrev_b32_e32 v9, 28, v2
	v_cmp_gt_i64_e32 vcc, 0, v[8:9]
	v_not_b32_e32 v9, v9
	v_ashrrev_i32_e32 v9, 31, v9
	v_and_b32_e32 v3, v3, v29
	v_xor_b32_e32 v29, vcc_hi, v9
	v_xor_b32_e32 v9, vcc_lo, v9
	v_and_b32_e32 v28, v28, v9
	v_lshlrev_b32_e32 v9, 27, v2
	v_cmp_gt_i64_e32 vcc, 0, v[8:9]
	v_not_b32_e32 v9, v9
	;; [unrolled: 8-line block ×4, first 2 shown]
	v_ashrrev_i32_e32 v9, 31, v9
	v_and_b32_e32 v3, v3, v29
	v_xor_b32_e32 v29, vcc_hi, v9
	v_xor_b32_e32 v9, vcc_lo, v9
	v_and_b32_e32 v28, v28, v9
	v_lshlrev_b32_e32 v9, 24, v2
	v_not_b32_e32 v2, v9
	v_cmp_gt_i64_e32 vcc, 0, v[8:9]
	v_ashrrev_i32_e32 v2, 31, v2
	v_xor_b32_e32 v8, vcc_hi, v2
	v_xor_b32_e32 v2, vcc_lo, v2
	; wave barrier
	ds_read_b32 v13, v27 offset:64
	v_and_b32_e32 v3, v3, v29
	v_and_b32_e32 v2, v28, v2
	;; [unrolled: 1-line block ×3, first 2 shown]
	v_mbcnt_lo_u32_b32 v8, v2, 0
	v_mbcnt_hi_u32_b32 v28, v3, v8
	v_cmp_eq_u32_e32 vcc, 0, v28
	v_cmp_ne_u64_e64 s[2:3], 0, v[2:3]
	s_and_b64 s[8:9], s[2:3], vcc
	; wave barrier
	s_and_saveexec_b64 s[2:3], s[8:9]
	s_cbranch_execz .LBB1923_37
; %bb.36:
	v_bcnt_u32_b32 v2, v2, 0
	v_bcnt_u32_b32 v2, v3, v2
	s_waitcnt lgkmcnt(0)
	v_add_u32_e32 v2, v13, v2
	ds_write_b32 v27, v2 offset:64
.LBB1923_37:
	s_or_b64 exec, exec, s[2:3]
	v_xor_b32_e32 v29, -1, v4
	v_lshrrev_b32_sdwa v2, s20, v29 dst_sel:DWORD dst_unused:UNUSED_PAD src0_sel:DWORD src1_sel:WORD_0
	v_and_b32_e32 v8, s31, v2
	v_and_b32_e32 v3, 1, v8
	v_add_co_u32_e32 v9, vcc, -1, v3
	v_addc_co_u32_e64 v32, s[2:3], 0, -1, vcc
	v_cmp_ne_u32_e32 vcc, 0, v3
	v_mul_u32_u24_e32 v2, 17, v8
	v_xor_b32_e32 v3, vcc_hi, v32
	v_add_lshl_u32 v31, v26, v2, 2
	v_mov_b32_e32 v2, 0
	v_and_b32_e32 v32, exec_hi, v3
	v_lshlrev_b32_e32 v3, 30, v8
	v_xor_b32_e32 v9, vcc_lo, v9
	v_cmp_gt_i64_e32 vcc, 0, v[2:3]
	v_not_b32_e32 v3, v3
	v_ashrrev_i32_e32 v3, 31, v3
	v_and_b32_e32 v9, exec_lo, v9
	v_xor_b32_e32 v33, vcc_hi, v3
	v_xor_b32_e32 v3, vcc_lo, v3
	v_and_b32_e32 v9, v9, v3
	v_lshlrev_b32_e32 v3, 29, v8
	v_cmp_gt_i64_e32 vcc, 0, v[2:3]
	v_not_b32_e32 v3, v3
	v_ashrrev_i32_e32 v3, 31, v3
	v_and_b32_e32 v32, v32, v33
	v_xor_b32_e32 v33, vcc_hi, v3
	v_xor_b32_e32 v3, vcc_lo, v3
	v_and_b32_e32 v9, v9, v3
	v_lshlrev_b32_e32 v3, 28, v8
	v_cmp_gt_i64_e32 vcc, 0, v[2:3]
	v_not_b32_e32 v3, v3
	v_ashrrev_i32_e32 v3, 31, v3
	v_and_b32_e32 v32, v32, v33
	;; [unrolled: 8-line block ×5, first 2 shown]
	v_xor_b32_e32 v33, vcc_hi, v3
	v_xor_b32_e32 v3, vcc_lo, v3
	v_and_b32_e32 v32, v32, v33
	v_and_b32_e32 v33, v9, v3
	v_lshlrev_b32_e32 v3, 24, v8
	v_cmp_gt_i64_e32 vcc, 0, v[2:3]
	v_not_b32_e32 v3, v3
	v_ashrrev_i32_e32 v3, 31, v3
	v_xor_b32_e32 v8, vcc_hi, v3
	v_xor_b32_e32 v3, vcc_lo, v3
	; wave barrier
	ds_read_b32 v30, v31 offset:64
	v_and_b32_e32 v9, v32, v8
	v_and_b32_e32 v8, v33, v3
	v_mbcnt_lo_u32_b32 v3, v8, 0
	v_mbcnt_hi_u32_b32 v33, v9, v3
	v_cmp_eq_u32_e32 vcc, 0, v33
	v_cmp_ne_u64_e64 s[2:3], 0, v[8:9]
	s_and_b64 s[8:9], s[2:3], vcc
	; wave barrier
	s_and_saveexec_b64 s[2:3], s[8:9]
	s_cbranch_execz .LBB1923_39
; %bb.38:
	v_bcnt_u32_b32 v3, v8, 0
	v_bcnt_u32_b32 v3, v9, v3
	s_waitcnt lgkmcnt(0)
	v_add_u32_e32 v3, v30, v3
	ds_write_b32 v31, v3 offset:64
.LBB1923_39:
	s_or_b64 exec, exec, s[2:3]
	v_mov_b32_e32 v3, -1
	v_xor_b32_sdwa v32, v4, v3 dst_sel:DWORD dst_unused:UNUSED_PAD src0_sel:WORD_1 src1_sel:DWORD
	v_lshrrev_b32_sdwa v3, s20, v32 dst_sel:DWORD dst_unused:UNUSED_PAD src0_sel:DWORD src1_sel:WORD_0
	v_and_b32_e32 v4, s31, v3
	v_mul_u32_u24_e32 v3, 17, v4
	v_add_lshl_u32 v35, v26, v3, 2
	v_and_b32_e32 v3, 1, v4
	v_add_co_u32_e32 v8, vcc, -1, v3
	v_addc_co_u32_e64 v9, s[2:3], 0, -1, vcc
	v_cmp_ne_u32_e32 vcc, 0, v3
	v_xor_b32_e32 v3, vcc_hi, v9
	v_and_b32_e32 v9, exec_hi, v3
	v_lshlrev_b32_e32 v3, 30, v4
	v_xor_b32_e32 v8, vcc_lo, v8
	v_cmp_gt_i64_e32 vcc, 0, v[2:3]
	v_not_b32_e32 v3, v3
	v_ashrrev_i32_e32 v3, 31, v3
	v_and_b32_e32 v8, exec_lo, v8
	v_xor_b32_e32 v36, vcc_hi, v3
	v_xor_b32_e32 v3, vcc_lo, v3
	v_and_b32_e32 v8, v8, v3
	v_lshlrev_b32_e32 v3, 29, v4
	v_cmp_gt_i64_e32 vcc, 0, v[2:3]
	v_not_b32_e32 v3, v3
	v_ashrrev_i32_e32 v3, 31, v3
	v_and_b32_e32 v9, v9, v36
	v_xor_b32_e32 v36, vcc_hi, v3
	v_xor_b32_e32 v3, vcc_lo, v3
	v_and_b32_e32 v8, v8, v3
	v_lshlrev_b32_e32 v3, 28, v4
	v_cmp_gt_i64_e32 vcc, 0, v[2:3]
	v_not_b32_e32 v3, v3
	v_ashrrev_i32_e32 v3, 31, v3
	v_and_b32_e32 v9, v9, v36
	;; [unrolled: 8-line block ×5, first 2 shown]
	v_xor_b32_e32 v36, vcc_hi, v3
	v_xor_b32_e32 v3, vcc_lo, v3
	v_and_b32_e32 v8, v8, v3
	v_lshlrev_b32_e32 v3, 24, v4
	v_cmp_gt_i64_e32 vcc, 0, v[2:3]
	v_not_b32_e32 v2, v3
	v_ashrrev_i32_e32 v2, 31, v2
	v_xor_b32_e32 v3, vcc_hi, v2
	v_xor_b32_e32 v2, vcc_lo, v2
	; wave barrier
	ds_read_b32 v34, v35 offset:64
	v_and_b32_e32 v9, v9, v36
	v_and_b32_e32 v2, v8, v2
	;; [unrolled: 1-line block ×3, first 2 shown]
	v_mbcnt_lo_u32_b32 v4, v2, 0
	v_mbcnt_hi_u32_b32 v37, v3, v4
	v_cmp_eq_u32_e32 vcc, 0, v37
	v_cmp_ne_u64_e64 s[2:3], 0, v[2:3]
	s_and_b64 s[8:9], s[2:3], vcc
	; wave barrier
	s_and_saveexec_b64 s[2:3], s[8:9]
	s_cbranch_execz .LBB1923_41
; %bb.40:
	v_bcnt_u32_b32 v2, v2, 0
	v_bcnt_u32_b32 v2, v3, v2
	s_waitcnt lgkmcnt(0)
	v_add_u32_e32 v2, v34, v2
	ds_write_b32 v35, v2 offset:64
.LBB1923_41:
	s_or_b64 exec, exec, s[2:3]
	v_xor_b32_e32 v36, -1, v5
	v_lshrrev_b32_sdwa v2, s20, v36 dst_sel:DWORD dst_unused:UNUSED_PAD src0_sel:DWORD src1_sel:WORD_0
	v_and_b32_e32 v4, s31, v2
	v_and_b32_e32 v3, 1, v4
	v_add_co_u32_e32 v8, vcc, -1, v3
	v_addc_co_u32_e64 v9, s[2:3], 0, -1, vcc
	v_cmp_ne_u32_e32 vcc, 0, v3
	v_mul_u32_u24_e32 v2, 17, v4
	v_xor_b32_e32 v3, vcc_hi, v9
	v_add_lshl_u32 v39, v26, v2, 2
	v_mov_b32_e32 v2, 0
	v_and_b32_e32 v9, exec_hi, v3
	v_lshlrev_b32_e32 v3, 30, v4
	v_xor_b32_e32 v8, vcc_lo, v8
	v_cmp_gt_i64_e32 vcc, 0, v[2:3]
	v_not_b32_e32 v3, v3
	v_ashrrev_i32_e32 v3, 31, v3
	v_and_b32_e32 v8, exec_lo, v8
	v_xor_b32_e32 v40, vcc_hi, v3
	v_xor_b32_e32 v3, vcc_lo, v3
	v_and_b32_e32 v8, v8, v3
	v_lshlrev_b32_e32 v3, 29, v4
	v_cmp_gt_i64_e32 vcc, 0, v[2:3]
	v_not_b32_e32 v3, v3
	v_ashrrev_i32_e32 v3, 31, v3
	v_and_b32_e32 v9, v9, v40
	v_xor_b32_e32 v40, vcc_hi, v3
	v_xor_b32_e32 v3, vcc_lo, v3
	v_and_b32_e32 v8, v8, v3
	v_lshlrev_b32_e32 v3, 28, v4
	v_cmp_gt_i64_e32 vcc, 0, v[2:3]
	v_not_b32_e32 v3, v3
	v_ashrrev_i32_e32 v3, 31, v3
	v_and_b32_e32 v9, v9, v40
	v_xor_b32_e32 v40, vcc_hi, v3
	v_xor_b32_e32 v3, vcc_lo, v3
	v_and_b32_e32 v8, v8, v3
	v_lshlrev_b32_e32 v3, 27, v4
	v_cmp_gt_i64_e32 vcc, 0, v[2:3]
	v_not_b32_e32 v3, v3
	v_ashrrev_i32_e32 v3, 31, v3
	v_and_b32_e32 v9, v9, v40
	v_xor_b32_e32 v40, vcc_hi, v3
	v_xor_b32_e32 v3, vcc_lo, v3
	v_and_b32_e32 v8, v8, v3
	v_lshlrev_b32_e32 v3, 26, v4
	v_cmp_gt_i64_e32 vcc, 0, v[2:3]
	v_not_b32_e32 v3, v3
	v_ashrrev_i32_e32 v3, 31, v3
	v_and_b32_e32 v9, v9, v40
	v_xor_b32_e32 v40, vcc_hi, v3
	v_xor_b32_e32 v3, vcc_lo, v3
	v_and_b32_e32 v8, v8, v3
	v_lshlrev_b32_e32 v3, 25, v4
	v_cmp_gt_i64_e32 vcc, 0, v[2:3]
	v_not_b32_e32 v3, v3
	v_ashrrev_i32_e32 v3, 31, v3
	v_and_b32_e32 v9, v9, v40
	v_xor_b32_e32 v40, vcc_hi, v3
	v_xor_b32_e32 v3, vcc_lo, v3
	v_and_b32_e32 v8, v8, v3
	v_lshlrev_b32_e32 v3, 24, v4
	v_cmp_gt_i64_e32 vcc, 0, v[2:3]
	v_not_b32_e32 v3, v3
	v_ashrrev_i32_e32 v3, 31, v3
	v_xor_b32_e32 v4, vcc_hi, v3
	v_xor_b32_e32 v3, vcc_lo, v3
	; wave barrier
	ds_read_b32 v38, v39 offset:64
	v_and_b32_e32 v9, v9, v40
	v_and_b32_e32 v8, v8, v3
	;; [unrolled: 1-line block ×3, first 2 shown]
	v_mbcnt_lo_u32_b32 v3, v8, 0
	v_mbcnt_hi_u32_b32 v40, v9, v3
	v_cmp_eq_u32_e32 vcc, 0, v40
	v_cmp_ne_u64_e64 s[2:3], 0, v[8:9]
	s_and_b64 s[8:9], s[2:3], vcc
	; wave barrier
	s_and_saveexec_b64 s[2:3], s[8:9]
	s_cbranch_execz .LBB1923_43
; %bb.42:
	v_bcnt_u32_b32 v3, v8, 0
	v_bcnt_u32_b32 v3, v9, v3
	s_waitcnt lgkmcnt(0)
	v_add_u32_e32 v3, v38, v3
	ds_write_b32 v39, v3 offset:64
.LBB1923_43:
	s_or_b64 exec, exec, s[2:3]
	v_mov_b32_e32 v3, -1
	v_xor_b32_sdwa v8, v5, v3 dst_sel:DWORD dst_unused:UNUSED_PAD src0_sel:WORD_1 src1_sel:DWORD
	v_lshrrev_b32_sdwa v3, s20, v8 dst_sel:DWORD dst_unused:UNUSED_PAD src0_sel:DWORD src1_sel:WORD_0
	v_and_b32_e32 v4, s31, v3
	v_mul_u32_u24_e32 v3, 17, v4
	v_add_lshl_u32 v41, v26, v3, 2
	v_and_b32_e32 v3, 1, v4
	v_add_co_u32_e32 v5, vcc, -1, v3
	v_addc_co_u32_e64 v42, s[2:3], 0, -1, vcc
	v_cmp_ne_u32_e32 vcc, 0, v3
	v_xor_b32_e32 v3, vcc_hi, v42
	v_and_b32_e32 v42, exec_hi, v3
	v_lshlrev_b32_e32 v3, 30, v4
	v_xor_b32_e32 v5, vcc_lo, v5
	v_cmp_gt_i64_e32 vcc, 0, v[2:3]
	v_not_b32_e32 v3, v3
	v_ashrrev_i32_e32 v3, 31, v3
	v_and_b32_e32 v5, exec_lo, v5
	v_xor_b32_e32 v43, vcc_hi, v3
	v_xor_b32_e32 v3, vcc_lo, v3
	v_and_b32_e32 v5, v5, v3
	v_lshlrev_b32_e32 v3, 29, v4
	v_cmp_gt_i64_e32 vcc, 0, v[2:3]
	v_not_b32_e32 v3, v3
	v_ashrrev_i32_e32 v3, 31, v3
	v_and_b32_e32 v42, v42, v43
	v_xor_b32_e32 v43, vcc_hi, v3
	v_xor_b32_e32 v3, vcc_lo, v3
	v_and_b32_e32 v5, v5, v3
	v_lshlrev_b32_e32 v3, 28, v4
	v_cmp_gt_i64_e32 vcc, 0, v[2:3]
	v_not_b32_e32 v3, v3
	v_ashrrev_i32_e32 v3, 31, v3
	v_and_b32_e32 v42, v42, v43
	;; [unrolled: 8-line block ×5, first 2 shown]
	v_xor_b32_e32 v43, vcc_hi, v3
	v_xor_b32_e32 v3, vcc_lo, v3
	v_and_b32_e32 v5, v5, v3
	v_lshlrev_b32_e32 v3, 24, v4
	v_cmp_gt_i64_e32 vcc, 0, v[2:3]
	v_not_b32_e32 v2, v3
	v_ashrrev_i32_e32 v2, 31, v2
	v_xor_b32_e32 v3, vcc_hi, v2
	v_xor_b32_e32 v2, vcc_lo, v2
	; wave barrier
	ds_read_b32 v9, v41 offset:64
	v_and_b32_e32 v42, v42, v43
	v_and_b32_e32 v2, v5, v2
	;; [unrolled: 1-line block ×3, first 2 shown]
	v_mbcnt_lo_u32_b32 v4, v2, 0
	v_mbcnt_hi_u32_b32 v43, v3, v4
	v_cmp_eq_u32_e32 vcc, 0, v43
	v_cmp_ne_u64_e64 s[2:3], 0, v[2:3]
	s_and_b64 s[8:9], s[2:3], vcc
	; wave barrier
	s_and_saveexec_b64 s[2:3], s[8:9]
	s_cbranch_execz .LBB1923_45
; %bb.44:
	v_bcnt_u32_b32 v2, v2, 0
	v_bcnt_u32_b32 v2, v3, v2
	s_waitcnt lgkmcnt(0)
	v_add_u32_e32 v2, v9, v2
	ds_write_b32 v41, v2 offset:64
.LBB1923_45:
	s_or_b64 exec, exec, s[2:3]
	v_xor_b32_e32 v42, -1, v6
	v_lshrrev_b32_sdwa v2, s20, v42 dst_sel:DWORD dst_unused:UNUSED_PAD src0_sel:DWORD src1_sel:WORD_0
	v_and_b32_e32 v4, s31, v2
	v_and_b32_e32 v3, 1, v4
	v_add_co_u32_e32 v5, vcc, -1, v3
	v_addc_co_u32_e64 v46, s[2:3], 0, -1, vcc
	v_cmp_ne_u32_e32 vcc, 0, v3
	v_mul_u32_u24_e32 v2, 17, v4
	v_xor_b32_e32 v3, vcc_hi, v46
	v_add_lshl_u32 v45, v26, v2, 2
	v_mov_b32_e32 v2, 0
	v_and_b32_e32 v46, exec_hi, v3
	v_lshlrev_b32_e32 v3, 30, v4
	v_xor_b32_e32 v5, vcc_lo, v5
	v_cmp_gt_i64_e32 vcc, 0, v[2:3]
	v_not_b32_e32 v3, v3
	v_ashrrev_i32_e32 v3, 31, v3
	v_and_b32_e32 v5, exec_lo, v5
	v_xor_b32_e32 v47, vcc_hi, v3
	v_xor_b32_e32 v3, vcc_lo, v3
	v_and_b32_e32 v5, v5, v3
	v_lshlrev_b32_e32 v3, 29, v4
	v_cmp_gt_i64_e32 vcc, 0, v[2:3]
	v_not_b32_e32 v3, v3
	v_ashrrev_i32_e32 v3, 31, v3
	v_and_b32_e32 v46, v46, v47
	v_xor_b32_e32 v47, vcc_hi, v3
	v_xor_b32_e32 v3, vcc_lo, v3
	v_and_b32_e32 v5, v5, v3
	v_lshlrev_b32_e32 v3, 28, v4
	v_cmp_gt_i64_e32 vcc, 0, v[2:3]
	v_not_b32_e32 v3, v3
	v_ashrrev_i32_e32 v3, 31, v3
	v_and_b32_e32 v46, v46, v47
	;; [unrolled: 8-line block ×5, first 2 shown]
	v_xor_b32_e32 v47, vcc_hi, v3
	v_xor_b32_e32 v3, vcc_lo, v3
	v_and_b32_e32 v46, v46, v47
	v_and_b32_e32 v47, v5, v3
	v_lshlrev_b32_e32 v3, 24, v4
	v_cmp_gt_i64_e32 vcc, 0, v[2:3]
	v_not_b32_e32 v3, v3
	v_ashrrev_i32_e32 v3, 31, v3
	v_xor_b32_e32 v4, vcc_hi, v3
	v_xor_b32_e32 v3, vcc_lo, v3
	; wave barrier
	ds_read_b32 v44, v45 offset:64
	v_and_b32_e32 v5, v46, v4
	v_and_b32_e32 v4, v47, v3
	v_mbcnt_lo_u32_b32 v3, v4, 0
	v_mbcnt_hi_u32_b32 v46, v5, v3
	v_cmp_eq_u32_e32 vcc, 0, v46
	v_cmp_ne_u64_e64 s[2:3], 0, v[4:5]
	s_and_b64 s[8:9], s[2:3], vcc
	; wave barrier
	s_and_saveexec_b64 s[2:3], s[8:9]
	s_cbranch_execz .LBB1923_47
; %bb.46:
	v_bcnt_u32_b32 v3, v4, 0
	v_bcnt_u32_b32 v3, v5, v3
	s_waitcnt lgkmcnt(0)
	v_add_u32_e32 v3, v44, v3
	ds_write_b32 v45, v3 offset:64
.LBB1923_47:
	s_or_b64 exec, exec, s[2:3]
	v_mov_b32_e32 v3, -1
	v_xor_b32_sdwa v6, v6, v3 dst_sel:DWORD dst_unused:UNUSED_PAD src0_sel:WORD_1 src1_sel:DWORD
	v_lshrrev_b32_sdwa v3, s20, v6 dst_sel:DWORD dst_unused:UNUSED_PAD src0_sel:DWORD src1_sel:WORD_0
	v_and_b32_e32 v4, s31, v3
	v_mul_u32_u24_e32 v3, 17, v4
	v_add_lshl_u32 v48, v26, v3, 2
	v_and_b32_e32 v3, 1, v4
	v_add_co_u32_e32 v5, vcc, -1, v3
	v_addc_co_u32_e64 v49, s[2:3], 0, -1, vcc
	v_cmp_ne_u32_e32 vcc, 0, v3
	v_xor_b32_e32 v3, vcc_hi, v49
	v_and_b32_e32 v49, exec_hi, v3
	v_lshlrev_b32_e32 v3, 30, v4
	v_xor_b32_e32 v5, vcc_lo, v5
	v_cmp_gt_i64_e32 vcc, 0, v[2:3]
	v_not_b32_e32 v3, v3
	v_ashrrev_i32_e32 v3, 31, v3
	v_and_b32_e32 v5, exec_lo, v5
	v_xor_b32_e32 v50, vcc_hi, v3
	v_xor_b32_e32 v3, vcc_lo, v3
	v_and_b32_e32 v5, v5, v3
	v_lshlrev_b32_e32 v3, 29, v4
	v_cmp_gt_i64_e32 vcc, 0, v[2:3]
	v_not_b32_e32 v3, v3
	v_ashrrev_i32_e32 v3, 31, v3
	v_and_b32_e32 v49, v49, v50
	v_xor_b32_e32 v50, vcc_hi, v3
	v_xor_b32_e32 v3, vcc_lo, v3
	v_and_b32_e32 v5, v5, v3
	v_lshlrev_b32_e32 v3, 28, v4
	v_cmp_gt_i64_e32 vcc, 0, v[2:3]
	v_not_b32_e32 v3, v3
	v_ashrrev_i32_e32 v3, 31, v3
	v_and_b32_e32 v49, v49, v50
	;; [unrolled: 8-line block ×5, first 2 shown]
	v_xor_b32_e32 v50, vcc_hi, v3
	v_xor_b32_e32 v3, vcc_lo, v3
	v_and_b32_e32 v5, v5, v3
	v_lshlrev_b32_e32 v3, 24, v4
	v_cmp_gt_i64_e32 vcc, 0, v[2:3]
	v_not_b32_e32 v2, v3
	v_ashrrev_i32_e32 v2, 31, v2
	v_xor_b32_e32 v3, vcc_hi, v2
	v_xor_b32_e32 v2, vcc_lo, v2
	; wave barrier
	ds_read_b32 v47, v48 offset:64
	v_and_b32_e32 v49, v49, v50
	v_and_b32_e32 v2, v5, v2
	;; [unrolled: 1-line block ×3, first 2 shown]
	v_mbcnt_lo_u32_b32 v4, v2, 0
	v_mbcnt_hi_u32_b32 v50, v3, v4
	v_cmp_eq_u32_e32 vcc, 0, v50
	v_cmp_ne_u64_e64 s[2:3], 0, v[2:3]
	s_and_b64 s[8:9], s[2:3], vcc
	; wave barrier
	s_and_saveexec_b64 s[2:3], s[8:9]
	s_cbranch_execz .LBB1923_49
; %bb.48:
	v_bcnt_u32_b32 v2, v2, 0
	v_bcnt_u32_b32 v2, v3, v2
	s_waitcnt lgkmcnt(0)
	v_add_u32_e32 v2, v47, v2
	ds_write_b32 v48, v2 offset:64
.LBB1923_49:
	s_or_b64 exec, exec, s[2:3]
	v_xor_b32_e32 v49, -1, v7
	v_lshrrev_b32_sdwa v2, s20, v49 dst_sel:DWORD dst_unused:UNUSED_PAD src0_sel:DWORD src1_sel:WORD_0
	v_and_b32_e32 v4, s31, v2
	v_and_b32_e32 v3, 1, v4
	v_add_co_u32_e32 v5, vcc, -1, v3
	v_addc_co_u32_e64 v53, s[2:3], 0, -1, vcc
	v_cmp_ne_u32_e32 vcc, 0, v3
	v_mul_u32_u24_e32 v2, 17, v4
	v_xor_b32_e32 v3, vcc_hi, v53
	v_add_lshl_u32 v52, v26, v2, 2
	v_mov_b32_e32 v2, 0
	v_and_b32_e32 v53, exec_hi, v3
	v_lshlrev_b32_e32 v3, 30, v4
	v_xor_b32_e32 v5, vcc_lo, v5
	v_cmp_gt_i64_e32 vcc, 0, v[2:3]
	v_not_b32_e32 v3, v3
	v_ashrrev_i32_e32 v3, 31, v3
	v_and_b32_e32 v5, exec_lo, v5
	v_xor_b32_e32 v54, vcc_hi, v3
	v_xor_b32_e32 v3, vcc_lo, v3
	v_and_b32_e32 v5, v5, v3
	v_lshlrev_b32_e32 v3, 29, v4
	v_cmp_gt_i64_e32 vcc, 0, v[2:3]
	v_not_b32_e32 v3, v3
	v_ashrrev_i32_e32 v3, 31, v3
	v_and_b32_e32 v53, v53, v54
	v_xor_b32_e32 v54, vcc_hi, v3
	v_xor_b32_e32 v3, vcc_lo, v3
	v_and_b32_e32 v5, v5, v3
	v_lshlrev_b32_e32 v3, 28, v4
	v_cmp_gt_i64_e32 vcc, 0, v[2:3]
	v_not_b32_e32 v3, v3
	v_ashrrev_i32_e32 v3, 31, v3
	v_and_b32_e32 v53, v53, v54
	;; [unrolled: 8-line block ×5, first 2 shown]
	v_xor_b32_e32 v54, vcc_hi, v3
	v_xor_b32_e32 v3, vcc_lo, v3
	v_and_b32_e32 v53, v53, v54
	v_and_b32_e32 v54, v5, v3
	v_lshlrev_b32_e32 v3, 24, v4
	v_cmp_gt_i64_e32 vcc, 0, v[2:3]
	v_not_b32_e32 v3, v3
	v_ashrrev_i32_e32 v3, 31, v3
	v_xor_b32_e32 v4, vcc_hi, v3
	v_xor_b32_e32 v3, vcc_lo, v3
	; wave barrier
	ds_read_b32 v51, v52 offset:64
	v_and_b32_e32 v5, v53, v4
	v_and_b32_e32 v4, v54, v3
	v_mbcnt_lo_u32_b32 v3, v4, 0
	v_mbcnt_hi_u32_b32 v53, v5, v3
	v_cmp_eq_u32_e32 vcc, 0, v53
	v_cmp_ne_u64_e64 s[2:3], 0, v[4:5]
	s_and_b64 s[8:9], s[2:3], vcc
	; wave barrier
	s_and_saveexec_b64 s[2:3], s[8:9]
	s_cbranch_execz .LBB1923_51
; %bb.50:
	v_bcnt_u32_b32 v3, v4, 0
	v_bcnt_u32_b32 v3, v5, v3
	s_waitcnt lgkmcnt(0)
	v_add_u32_e32 v3, v51, v3
	ds_write_b32 v52, v3 offset:64
.LBB1923_51:
	s_or_b64 exec, exec, s[2:3]
	v_mov_b32_e32 v3, -1
	v_xor_b32_sdwa v7, v7, v3 dst_sel:DWORD dst_unused:UNUSED_PAD src0_sel:WORD_1 src1_sel:DWORD
	v_lshrrev_b32_sdwa v3, s20, v7 dst_sel:DWORD dst_unused:UNUSED_PAD src0_sel:DWORD src1_sel:WORD_0
	v_and_b32_e32 v4, s31, v3
	v_mul_u32_u24_e32 v3, 17, v4
	v_add_lshl_u32 v54, v26, v3, 2
	v_and_b32_e32 v3, 1, v4
	v_add_co_u32_e32 v5, vcc, -1, v3
	v_addc_co_u32_e64 v56, s[2:3], 0, -1, vcc
	v_cmp_ne_u32_e32 vcc, 0, v3
	v_xor_b32_e32 v3, vcc_hi, v56
	v_and_b32_e32 v56, exec_hi, v3
	v_lshlrev_b32_e32 v3, 30, v4
	v_xor_b32_e32 v5, vcc_lo, v5
	v_cmp_gt_i64_e32 vcc, 0, v[2:3]
	v_not_b32_e32 v3, v3
	v_ashrrev_i32_e32 v3, 31, v3
	v_and_b32_e32 v5, exec_lo, v5
	v_xor_b32_e32 v57, vcc_hi, v3
	v_xor_b32_e32 v3, vcc_lo, v3
	v_and_b32_e32 v5, v5, v3
	v_lshlrev_b32_e32 v3, 29, v4
	v_cmp_gt_i64_e32 vcc, 0, v[2:3]
	v_not_b32_e32 v3, v3
	v_ashrrev_i32_e32 v3, 31, v3
	v_and_b32_e32 v56, v56, v57
	v_xor_b32_e32 v57, vcc_hi, v3
	v_xor_b32_e32 v3, vcc_lo, v3
	v_and_b32_e32 v5, v5, v3
	v_lshlrev_b32_e32 v3, 28, v4
	v_cmp_gt_i64_e32 vcc, 0, v[2:3]
	v_not_b32_e32 v3, v3
	v_ashrrev_i32_e32 v3, 31, v3
	v_and_b32_e32 v56, v56, v57
	v_xor_b32_e32 v57, vcc_hi, v3
	v_xor_b32_e32 v3, vcc_lo, v3
	v_and_b32_e32 v5, v5, v3
	v_lshlrev_b32_e32 v3, 27, v4
	v_cmp_gt_i64_e32 vcc, 0, v[2:3]
	v_not_b32_e32 v3, v3
	v_ashrrev_i32_e32 v3, 31, v3
	v_and_b32_e32 v56, v56, v57
	v_xor_b32_e32 v57, vcc_hi, v3
	v_xor_b32_e32 v3, vcc_lo, v3
	v_and_b32_e32 v5, v5, v3
	v_lshlrev_b32_e32 v3, 26, v4
	v_cmp_gt_i64_e32 vcc, 0, v[2:3]
	v_not_b32_e32 v3, v3
	v_ashrrev_i32_e32 v3, 31, v3
	v_and_b32_e32 v56, v56, v57
	v_xor_b32_e32 v57, vcc_hi, v3
	v_xor_b32_e32 v3, vcc_lo, v3
	v_and_b32_e32 v5, v5, v3
	v_lshlrev_b32_e32 v3, 25, v4
	v_cmp_gt_i64_e32 vcc, 0, v[2:3]
	v_not_b32_e32 v3, v3
	v_ashrrev_i32_e32 v3, 31, v3
	v_and_b32_e32 v56, v56, v57
	v_xor_b32_e32 v57, vcc_hi, v3
	v_xor_b32_e32 v3, vcc_lo, v3
	v_and_b32_e32 v5, v5, v3
	v_lshlrev_b32_e32 v3, 24, v4
	v_cmp_gt_i64_e32 vcc, 0, v[2:3]
	v_not_b32_e32 v2, v3
	v_ashrrev_i32_e32 v2, 31, v2
	v_xor_b32_e32 v3, vcc_hi, v2
	v_xor_b32_e32 v2, vcc_lo, v2
	; wave barrier
	ds_read_b32 v26, v54 offset:64
	v_and_b32_e32 v56, v56, v57
	v_and_b32_e32 v2, v5, v2
	;; [unrolled: 1-line block ×3, first 2 shown]
	v_mbcnt_lo_u32_b32 v4, v2, 0
	v_mbcnt_hi_u32_b32 v56, v3, v4
	v_cmp_eq_u32_e32 vcc, 0, v56
	v_cmp_ne_u64_e64 s[2:3], 0, v[2:3]
	v_add_u32_e32 v55, 64, v15
	s_and_b64 s[8:9], s[2:3], vcc
	; wave barrier
	s_and_saveexec_b64 s[2:3], s[8:9]
	s_cbranch_execz .LBB1923_53
; %bb.52:
	v_bcnt_u32_b32 v2, v2, 0
	v_bcnt_u32_b32 v2, v3, v2
	s_waitcnt lgkmcnt(0)
	v_add_u32_e32 v2, v26, v2
	ds_write_b32 v54, v2 offset:64
.LBB1923_53:
	s_or_b64 exec, exec, s[2:3]
	; wave barrier
	s_waitcnt lgkmcnt(0)
	s_barrier
	ds_read2_b32 v[4:5], v15 offset0:16 offset1:17
	ds_read2_b32 v[2:3], v55 offset0:2 offset1:3
	ds_read_b32 v57, v55 offset:16
	v_cmp_lt_u32_e64 s[12:13], 31, v11
	s_waitcnt lgkmcnt(1)
	v_add3_u32 v58, v5, v4, v2
	s_waitcnt lgkmcnt(0)
	v_add3_u32 v57, v58, v3, v57
	v_and_b32_e32 v58, 15, v11
	v_cmp_eq_u32_e32 vcc, 0, v58
	v_mov_b32_dpp v59, v57 row_shr:1 row_mask:0xf bank_mask:0xf
	v_cndmask_b32_e64 v59, v59, 0, vcc
	v_add_u32_e32 v57, v59, v57
	v_cmp_lt_u32_e64 s[2:3], 1, v58
	v_cmp_lt_u32_e64 s[10:11], 3, v58
	v_mov_b32_dpp v59, v57 row_shr:2 row_mask:0xf bank_mask:0xf
	v_cndmask_b32_e64 v59, 0, v59, s[2:3]
	v_add_u32_e32 v57, v57, v59
	v_cmp_lt_u32_e64 s[8:9], 7, v58
	s_nop 0
	v_mov_b32_dpp v59, v57 row_shr:4 row_mask:0xf bank_mask:0xf
	v_cndmask_b32_e64 v59, 0, v59, s[10:11]
	v_add_u32_e32 v57, v57, v59
	s_nop 1
	v_mov_b32_dpp v59, v57 row_shr:8 row_mask:0xf bank_mask:0xf
	v_cndmask_b32_e64 v58, 0, v59, s[8:9]
	v_add_u32_e32 v57, v57, v58
	v_bfe_i32 v59, v11, 4, 1
	s_nop 0
	v_mov_b32_dpp v58, v57 row_bcast:15 row_mask:0xf bank_mask:0xf
	v_and_b32_e32 v58, v59, v58
	v_add_u32_e32 v57, v57, v58
	v_and_b32_e32 v59, 63, v10
	s_nop 0
	v_mov_b32_dpp v58, v57 row_bcast:31 row_mask:0xf bank_mask:0xf
	v_cndmask_b32_e64 v58, 0, v58, s[12:13]
	v_add_u32_e32 v57, v57, v58
	v_lshrrev_b32_e32 v58, 6, v10
	v_cmp_eq_u32_e64 s[12:13], 63, v59
	s_and_saveexec_b64 s[22:23], s[12:13]
	s_cbranch_execz .LBB1923_55
; %bb.54:
	v_lshlrev_b32_e32 v59, 2, v58
	ds_write_b32 v59, v57
.LBB1923_55:
	s_or_b64 exec, exec, s[22:23]
	v_cmp_gt_u32_e64 s[12:13], 16, v10
	s_waitcnt lgkmcnt(0)
	s_barrier
	s_and_saveexec_b64 s[22:23], s[12:13]
	s_cbranch_execz .LBB1923_57
; %bb.56:
	v_lshlrev_b32_e32 v59, 2, v10
	ds_read_b32 v60, v59
	s_waitcnt lgkmcnt(0)
	s_nop 0
	v_mov_b32_dpp v61, v60 row_shr:1 row_mask:0xf bank_mask:0xf
	v_cndmask_b32_e64 v61, v61, 0, vcc
	v_add_u32_e32 v60, v61, v60
	s_nop 1
	v_mov_b32_dpp v61, v60 row_shr:2 row_mask:0xf bank_mask:0xf
	v_cndmask_b32_e64 v61, 0, v61, s[2:3]
	v_add_u32_e32 v60, v60, v61
	s_nop 1
	v_mov_b32_dpp v61, v60 row_shr:4 row_mask:0xf bank_mask:0xf
	v_cndmask_b32_e64 v61, 0, v61, s[10:11]
	v_add_u32_e32 v60, v60, v61
	s_nop 1
	v_mov_b32_dpp v61, v60 row_shr:8 row_mask:0xf bank_mask:0xf
	v_cndmask_b32_e64 v61, 0, v61, s[8:9]
	v_add_u32_e32 v60, v60, v61
	ds_write_b32 v59, v60
.LBB1923_57:
	s_or_b64 exec, exec, s[22:23]
	v_cmp_lt_u32_e32 vcc, 63, v10
	v_mov_b32_e32 v59, 0
	s_waitcnt lgkmcnt(0)
	s_barrier
	s_and_saveexec_b64 s[2:3], vcc
	s_cbranch_execz .LBB1923_59
; %bb.58:
	v_lshl_add_u32 v58, v58, 2, -4
	ds_read_b32 v59, v58
.LBB1923_59:
	s_or_b64 exec, exec, s[2:3]
	v_add_u32_e32 v58, -1, v11
	v_and_b32_e32 v60, 64, v11
	v_cmp_lt_i32_e32 vcc, v58, v60
	v_cndmask_b32_e32 v58, v58, v11, vcc
	s_waitcnt lgkmcnt(0)
	v_add_u32_e32 v57, v59, v57
	v_lshlrev_b32_e32 v58, 2, v58
	ds_bpermute_b32 v57, v58, v57
	v_cmp_eq_u32_e32 vcc, 0, v11
	s_movk_i32 s2, 0x100
	s_waitcnt lgkmcnt(0)
	v_cndmask_b32_e32 v11, v57, v59, vcc
	v_cndmask_b32_e64 v11, v11, 0, s[0:1]
	v_add_u32_e32 v4, v11, v4
	v_add_u32_e32 v5, v4, v5
	v_add_u32_e32 v2, v5, v2
	v_add_u32_e32 v3, v2, v3
	ds_write2_b32 v15, v11, v4 offset0:16 offset1:17
	ds_write2_b32 v55, v5, v2 offset0:2 offset1:3
	ds_write_b32 v55, v3 offset:16
	s_waitcnt lgkmcnt(0)
	s_barrier
	ds_read_b32 v59, v19 offset:64
	ds_read_b32 v58, v20 offset:64
	;; [unrolled: 1-line block ×12, first 2 shown]
	v_cmp_gt_u32_e32 vcc, s2, v10
	v_pk_mov_b32 v[2:3], 0, 0
                                        ; implicit-def: $vgpr15
	s_and_saveexec_b64 s[8:9], vcc
	s_cbranch_execz .LBB1923_63
; %bb.60:
	v_mul_u32_u24_e32 v2, 17, v10
	v_lshlrev_b32_e32 v15, 2, v2
	ds_read_b32 v2, v15 offset:64
	s_movk_i32 s2, 0xff
	v_cmp_ne_u32_e64 s[2:3], s2, v10
	v_mov_b32_e32 v3, 0x3000
	s_and_saveexec_b64 s[10:11], s[2:3]
	s_cbranch_execz .LBB1923_62
; %bb.61:
	ds_read_b32 v3, v15 offset:132
.LBB1923_62:
	s_or_b64 exec, exec, s[10:11]
	s_waitcnt lgkmcnt(0)
	v_sub_u32_e32 v15, v3, v2
	v_mov_b32_e32 v3, 0
.LBB1923_63:
	s_or_b64 exec, exec, s[8:9]
	v_add_u32_e32 v18, v21, v18
	s_waitcnt lgkmcnt(11)
	v_add_lshl_u32 v16, v59, v16, 1
	v_add_u32_e32 v13, v28, v13
	v_add_u32_e32 v23, v25, v23
	s_waitcnt lgkmcnt(0)
	s_barrier
	ds_write_b16 v16, v14 offset:2048
	v_add_lshl_u32 v14, v18, v58, 1
	v_add_u32_e32 v30, v33, v30
	ds_write_b16 v14, v17 offset:2048
	v_add_lshl_u32 v14, v23, v57, 1
	v_add_lshl_u32 v13, v13, v55, 1
	v_add_u32_e32 v34, v37, v34
	ds_write_b16 v14, v22 offset:2048
	ds_write_b16 v13, v12 offset:2048
	v_add_lshl_u32 v12, v30, v31, 1
	v_add_u32_e32 v9, v43, v9
	v_add_u32_e32 v38, v40, v38
	ds_write_b16 v12, v29 offset:2048
	v_add_lshl_u32 v12, v34, v27, 1
	v_add_u32_e32 v41, v46, v44
	ds_write_b16 v12, v32 offset:2048
	v_add_lshl_u32 v12, v38, v24, 1
	v_add_lshl_u32 v9, v9, v20, 1
	v_add_u32_e32 v26, v56, v26
	v_add_u32_e32 v35, v53, v51
	;; [unrolled: 1-line block ×3, first 2 shown]
	ds_write_b16 v12, v36 offset:2048
	ds_write_b16 v9, v8 offset:2048
	v_add_lshl_u32 v8, v41, v19, 1
	ds_write_b16 v8, v42 offset:2048
	v_add_lshl_u32 v8, v39, v11, 1
	v_add_lshl_u32 v5, v35, v5, 1
	;; [unrolled: 1-line block ×3, first 2 shown]
	ds_write_b16 v8, v6 offset:2048
	ds_write_b16 v5, v49 offset:2048
	;; [unrolled: 1-line block ×3, first 2 shown]
	s_and_saveexec_b64 s[8:9], vcc
	s_cbranch_execz .LBB1923_73
; %bb.64:
	v_lshl_or_b32 v4, s30, 8, v10
	v_mov_b32_e32 v5, 0
	v_lshlrev_b64 v[6:7], 2, v[4:5]
	v_mov_b32_e32 v11, s15
	v_add_co_u32_e64 v6, s[2:3], s14, v6
	v_addc_co_u32_e64 v7, s[2:3], v11, v7, s[2:3]
	v_or_b32_e32 v4, 2.0, v15
	s_mov_b64 s[10:11], 0
	s_brev_b32 s33, 1
	s_mov_b32 s34, s30
	v_mov_b32_e32 v12, 0
	global_store_dword v[6:7], v4, off
                                        ; implicit-def: $sgpr2_sgpr3
	s_branch .LBB1923_66
.LBB1923_65:                            ;   in Loop: Header=BB1923_66 Depth=1
	s_or_b64 exec, exec, s[12:13]
	v_and_b32_e32 v8, 0x3fffffff, v13
	v_add_u32_e32 v12, v8, v12
	v_cmp_eq_u32_e64 s[2:3], s33, v4
	s_and_b64 s[12:13], exec, s[2:3]
	s_or_b64 s[10:11], s[12:13], s[10:11]
	s_andn2_b64 exec, exec, s[10:11]
	s_cbranch_execz .LBB1923_72
.LBB1923_66:                            ; =>This Loop Header: Depth=1
                                        ;     Child Loop BB1923_69 Depth 2
	s_or_b64 s[2:3], s[2:3], exec
	s_cmp_eq_u32 s34, 0
	s_cbranch_scc1 .LBB1923_71
; %bb.67:                               ;   in Loop: Header=BB1923_66 Depth=1
	s_add_i32 s34, s34, -1
	v_lshl_or_b32 v4, s34, 8, v10
	v_lshlrev_b64 v[8:9], 2, v[4:5]
	v_add_co_u32_e64 v8, s[2:3], s14, v8
	v_addc_co_u32_e64 v9, s[2:3], v11, v9, s[2:3]
	global_load_dword v13, v[8:9], off glc
	s_waitcnt vmcnt(0)
	v_and_b32_e32 v4, -2.0, v13
	v_cmp_eq_u32_e64 s[2:3], 0, v4
	s_and_saveexec_b64 s[12:13], s[2:3]
	s_cbranch_execz .LBB1923_65
; %bb.68:                               ;   in Loop: Header=BB1923_66 Depth=1
	s_mov_b64 s[22:23], 0
.LBB1923_69:                            ;   Parent Loop BB1923_66 Depth=1
                                        ; =>  This Inner Loop Header: Depth=2
	global_load_dword v13, v[8:9], off glc
	s_waitcnt vmcnt(0)
	v_and_b32_e32 v4, -2.0, v13
	v_cmp_ne_u32_e64 s[2:3], 0, v4
	s_or_b64 s[22:23], s[2:3], s[22:23]
	s_andn2_b64 exec, exec, s[22:23]
	s_cbranch_execnz .LBB1923_69
; %bb.70:                               ;   in Loop: Header=BB1923_66 Depth=1
	s_or_b64 exec, exec, s[22:23]
	s_branch .LBB1923_65
.LBB1923_71:                            ;   in Loop: Header=BB1923_66 Depth=1
                                        ; implicit-def: $sgpr34
	s_and_b64 s[12:13], exec, s[2:3]
	s_or_b64 s[10:11], s[12:13], s[10:11]
	s_andn2_b64 exec, exec, s[10:11]
	s_cbranch_execnz .LBB1923_66
.LBB1923_72:
	s_or_b64 exec, exec, s[10:11]
	v_add_u32_e32 v4, v12, v15
	v_or_b32_e32 v4, 0x80000000, v4
	global_store_dword v[6:7], v4, off
	v_lshlrev_b32_e32 v6, 3, v10
	global_load_dwordx2 v[4:5], v6, s[16:17]
	v_sub_co_u32_e64 v7, s[2:3], v12, v2
	v_subb_co_u32_e64 v8, s[2:3], 0, v3, s[2:3]
	s_waitcnt vmcnt(0)
	v_add_co_u32_e64 v4, s[2:3], v7, v4
	v_addc_co_u32_e64 v5, s[2:3], v8, v5, s[2:3]
	ds_write_b64 v6, v[4:5]
.LBB1923_73:
	s_or_b64 exec, exec, s[8:9]
	v_cmp_gt_u32_e64 s[2:3], s7, v10
	s_waitcnt lgkmcnt(0)
	s_barrier
	s_and_saveexec_b64 s[8:9], s[2:3]
	s_cbranch_execz .LBB1923_75
; %bb.74:
	v_lshlrev_b32_e32 v6, 1, v10
	ds_read_u16 v7, v6 offset:2048
	v_mov_b32_e32 v8, s27
	s_waitcnt lgkmcnt(0)
	v_lshrrev_b32_sdwa v4, s20, v7 dst_sel:DWORD dst_unused:UNUSED_PAD src0_sel:DWORD src1_sel:WORD_0
	v_and_b32_e32 v4, s31, v4
	v_lshlrev_b32_e32 v4, 3, v4
	ds_read_b64 v[4:5], v4
	v_xor_b32_e32 v7, -1, v7
	s_waitcnt lgkmcnt(0)
	v_lshlrev_b64 v[4:5], 1, v[4:5]
	v_add_co_u32_e64 v4, s[2:3], s26, v4
	v_addc_co_u32_e64 v5, s[2:3], v8, v5, s[2:3]
	v_add_co_u32_e64 v4, s[2:3], v4, v6
	v_addc_co_u32_e64 v5, s[2:3], 0, v5, s[2:3]
	global_store_short v[4:5], v7, off
.LBB1923_75:
	s_or_b64 exec, exec, s[8:9]
	v_or_b32_e32 v4, 0x400, v10
	v_cmp_gt_u32_e64 s[2:3], s7, v4
	s_and_saveexec_b64 s[8:9], s[2:3]
	s_cbranch_execz .LBB1923_77
; %bb.76:
	v_lshlrev_b32_e32 v6, 1, v10
	ds_read_u16 v7, v6 offset:4096
	v_mov_b32_e32 v8, s27
	s_waitcnt lgkmcnt(0)
	v_lshrrev_b32_sdwa v4, s20, v7 dst_sel:DWORD dst_unused:UNUSED_PAD src0_sel:DWORD src1_sel:WORD_0
	v_and_b32_e32 v4, s31, v4
	v_lshlrev_b32_e32 v4, 3, v4
	ds_read_b64 v[4:5], v4
	v_xor_b32_e32 v7, -1, v7
	s_waitcnt lgkmcnt(0)
	v_lshlrev_b64 v[4:5], 1, v[4:5]
	v_add_co_u32_e64 v4, s[2:3], s26, v4
	v_addc_co_u32_e64 v5, s[2:3], v8, v5, s[2:3]
	v_add_co_u32_e64 v4, s[2:3], v4, v6
	v_addc_co_u32_e64 v5, s[2:3], 0, v5, s[2:3]
	global_store_short v[4:5], v7, off offset:2048
.LBB1923_77:
	s_or_b64 exec, exec, s[8:9]
	v_or_b32_e32 v4, 0x800, v10
	v_cmp_gt_u32_e64 s[2:3], s7, v4
	s_and_saveexec_b64 s[8:9], s[2:3]
	s_cbranch_execz .LBB1923_79
; %bb.78:
	v_lshlrev_b32_e32 v5, 1, v10
	ds_read_u16 v5, v5 offset:6144
	v_lshlrev_b32_e32 v9, 1, v4
	v_mov_b32_e32 v8, s27
	s_waitcnt lgkmcnt(0)
	v_lshrrev_b32_sdwa v6, s20, v5 dst_sel:DWORD dst_unused:UNUSED_PAD src0_sel:DWORD src1_sel:WORD_0
	v_and_b32_e32 v6, s31, v6
	v_lshlrev_b32_e32 v6, 3, v6
	ds_read_b64 v[6:7], v6
	v_xor_b32_e32 v11, -1, v5
	s_waitcnt lgkmcnt(0)
	v_lshlrev_b64 v[4:5], 1, v[6:7]
	v_add_co_u32_e64 v4, s[2:3], s26, v4
	v_addc_co_u32_e64 v5, s[2:3], v8, v5, s[2:3]
	v_add_co_u32_e64 v4, s[2:3], v4, v9
	v_addc_co_u32_e64 v5, s[2:3], 0, v5, s[2:3]
	global_store_short v[4:5], v11, off
.LBB1923_79:
	s_or_b64 exec, exec, s[8:9]
	v_or_b32_e32 v4, 0xc00, v10
	v_cmp_gt_u32_e64 s[2:3], s7, v4
	s_and_saveexec_b64 s[8:9], s[2:3]
	s_cbranch_execz .LBB1923_81
; %bb.80:
	v_lshlrev_b32_e32 v5, 1, v10
	ds_read_u16 v5, v5 offset:8192
	v_lshlrev_b32_e32 v9, 1, v4
	v_mov_b32_e32 v8, s27
	s_waitcnt lgkmcnt(0)
	v_lshrrev_b32_sdwa v6, s20, v5 dst_sel:DWORD dst_unused:UNUSED_PAD src0_sel:DWORD src1_sel:WORD_0
	v_and_b32_e32 v6, s31, v6
	v_lshlrev_b32_e32 v6, 3, v6
	ds_read_b64 v[6:7], v6
	v_xor_b32_e32 v11, -1, v5
	s_waitcnt lgkmcnt(0)
	v_lshlrev_b64 v[4:5], 1, v[6:7]
	v_add_co_u32_e64 v4, s[2:3], s26, v4
	v_addc_co_u32_e64 v5, s[2:3], v8, v5, s[2:3]
	v_add_co_u32_e64 v4, s[2:3], v4, v9
	v_addc_co_u32_e64 v5, s[2:3], 0, v5, s[2:3]
	global_store_short v[4:5], v11, off
.LBB1923_81:
	;; [unrolled: 24-line block ×10, first 2 shown]
	s_or_b64 exec, exec, s[8:9]
	s_add_i32 s29, s29, -1
	s_cmp_eq_u32 s29, s30
	s_cselect_b64 s[2:3], -1, 0
	s_and_b64 s[8:9], vcc, s[2:3]
	s_mov_b64 s[2:3], 0
	s_mov_b64 s[10:11], 0
                                        ; implicit-def: $vgpr4_vgpr5
	s_and_saveexec_b64 s[12:13], s[8:9]
	s_xor_b64 s[8:9], exec, s[12:13]
; %bb.98:
	v_add_co_u32_e32 v4, vcc, v2, v15
	s_mov_b64 s[10:11], exec
	v_mov_b32_e32 v11, 0
	v_addc_co_u32_e32 v5, vcc, 0, v3, vcc
; %bb.99:
	s_or_b64 exec, exec, s[8:9]
	s_and_b64 vcc, exec, s[2:3]
	s_cbranch_vccnz .LBB1923_101
	s_branch .LBB1923_150
.LBB1923_100:
	s_mov_b64 s[10:11], 0
                                        ; implicit-def: $vgpr4_vgpr5
	s_cbranch_execz .LBB1923_150
.LBB1923_101:
	s_mov_b32 s29, 0
	v_mbcnt_hi_u32_b32 v5, -1, v1
	s_lshl_b64 s[2:3], s[28:29], 1
	v_and_b32_e32 v1, 63, v5
	s_add_u32 s2, s24, s2
	v_lshlrev_b32_e32 v1, 1, v1
	v_add_co_u32_e32 v1, vcc, s2, v1
	s_load_dword s22, s[4:5], 0x58
	s_load_dword s2, s[4:5], 0x64
	s_addc_u32 s3, s25, s3
	v_and_b32_e32 v3, 0x3c0, v10
	v_mul_u32_u24_e32 v3, 12, v3
	v_mov_b32_e32 v4, s3
	v_addc_co_u32_e32 v4, vcc, 0, v4, vcc
	v_lshlrev_b32_e32 v3, 1, v3
	s_add_u32 s3, s4, 0x58
	v_add_co_u32_e32 v12, vcc, v1, v3
	s_addc_u32 s4, s5, 0
	s_waitcnt lgkmcnt(0)
	s_lshr_b32 s5, s2, 16
	v_addc_co_u32_e32 v13, vcc, 0, v4, vcc
	s_cmp_lt_u32 s6, s22
	global_load_ushort v1, v[12:13], off
	s_cselect_b32 s2, 12, 18
	s_add_u32 s2, s3, s2
	v_mov_b32_e32 v2, 0
	s_addc_u32 s3, s4, 0
	global_load_ushort v3, v2, s[2:3]
	v_mul_u32_u24_e32 v6, 5, v10
	v_lshlrev_b32_e32 v6, 2, v6
	ds_write2_b32 v6, v2, v2 offset0:16 offset1:17
	ds_write2_b32 v6, v2, v2 offset0:18 offset1:19
	ds_write_b32 v6, v2 offset:80
	global_load_ushort v9, v[12:13], off offset:128
	global_load_ushort v14, v[12:13], off offset:256
	global_load_ushort v20, v[12:13], off offset:384
	global_load_ushort v25, v[12:13], off offset:512
	global_load_ushort v29, v[12:13], off offset:640
	global_load_ushort v34, v[12:13], off offset:768
	global_load_ushort v37, v[12:13], off offset:896
	global_load_ushort v32, v[12:13], off offset:1024
	global_load_ushort v27, v[12:13], off offset:1152
	global_load_ushort v22, v[12:13], off offset:1280
	global_load_ushort v16, v[12:13], off offset:1408
	v_bfe_u32 v4, v0, 10, 10
	v_bfe_u32 v0, v0, 20, 10
	v_mad_u32_u24 v0, v0, s5, v4
	s_lshl_b32 s2, -1, s21
	s_not_b32 s21, s2
	s_waitcnt lgkmcnt(0)
	s_barrier
	s_waitcnt lgkmcnt(0)
	; wave barrier
	s_waitcnt vmcnt(12)
	v_xor_b32_e32 v4, -1, v1
	v_lshrrev_b32_sdwa v1, s20, v4 dst_sel:DWORD dst_unused:UNUSED_PAD src0_sel:DWORD src1_sel:WORD_0
	v_and_b32_e32 v8, s21, v1
	v_and_b32_e32 v7, 1, v8
	s_waitcnt vmcnt(11)
	v_mad_u64_u32 v[0:1], s[2:3], v0, v3, v[10:11]
	v_lshrrev_b32_e32 v17, 6, v0
	v_add_co_u32_e32 v0, vcc, -1, v7
	v_lshlrev_b32_e32 v3, 30, v8
	v_addc_co_u32_e64 v11, s[2:3], 0, -1, vcc
	v_mul_u32_u24_e32 v1, 17, v8
	v_cmp_ne_u32_e32 vcc, 0, v7
	v_cmp_gt_i64_e64 s[2:3], 0, v[2:3]
	v_not_b32_e32 v12, v3
	v_lshlrev_b32_e32 v3, 29, v8
	v_add_lshl_u32 v7, v17, v1, 2
	v_xor_b32_e32 v1, vcc_hi, v11
	v_xor_b32_e32 v0, vcc_lo, v0
	v_ashrrev_i32_e32 v11, 31, v12
	v_cmp_gt_i64_e32 vcc, 0, v[2:3]
	v_not_b32_e32 v12, v3
	v_lshlrev_b32_e32 v3, 28, v8
	v_and_b32_e32 v1, exec_hi, v1
	v_and_b32_e32 v0, exec_lo, v0
	v_xor_b32_e32 v13, s3, v11
	v_xor_b32_e32 v11, s2, v11
	v_ashrrev_i32_e32 v12, 31, v12
	v_cmp_gt_i64_e64 s[2:3], 0, v[2:3]
	v_not_b32_e32 v3, v3
	v_and_b32_e32 v1, v1, v13
	v_and_b32_e32 v0, v0, v11
	v_xor_b32_e32 v11, vcc_hi, v12
	v_xor_b32_e32 v12, vcc_lo, v12
	v_ashrrev_i32_e32 v3, 31, v3
	v_and_b32_e32 v1, v1, v11
	v_and_b32_e32 v0, v0, v12
	v_xor_b32_e32 v11, s3, v3
	v_xor_b32_e32 v3, s2, v3
	v_and_b32_e32 v0, v0, v3
	v_lshlrev_b32_e32 v3, 27, v8
	v_cmp_gt_i64_e32 vcc, 0, v[2:3]
	v_not_b32_e32 v3, v3
	v_ashrrev_i32_e32 v3, 31, v3
	v_and_b32_e32 v1, v1, v11
	v_xor_b32_e32 v11, vcc_hi, v3
	v_xor_b32_e32 v3, vcc_lo, v3
	v_and_b32_e32 v0, v0, v3
	v_lshlrev_b32_e32 v3, 26, v8
	v_cmp_gt_i64_e32 vcc, 0, v[2:3]
	v_not_b32_e32 v3, v3
	v_ashrrev_i32_e32 v3, 31, v3
	v_and_b32_e32 v1, v1, v11
	v_xor_b32_e32 v11, vcc_hi, v3
	v_xor_b32_e32 v3, vcc_lo, v3
	;; [unrolled: 8-line block ×3, first 2 shown]
	v_and_b32_e32 v0, v0, v3
	v_lshlrev_b32_e32 v3, 24, v8
	v_cmp_gt_i64_e32 vcc, 0, v[2:3]
	v_not_b32_e32 v3, v3
	v_ashrrev_i32_e32 v3, 31, v3
	v_xor_b32_e32 v8, vcc_hi, v3
	v_xor_b32_e32 v3, vcc_lo, v3
	v_and_b32_e32 v1, v1, v11
	v_and_b32_e32 v0, v0, v3
	;; [unrolled: 1-line block ×3, first 2 shown]
	v_mbcnt_lo_u32_b32 v3, v0, 0
	v_mbcnt_hi_u32_b32 v8, v1, v3
	v_cmp_eq_u32_e32 vcc, 0, v8
	v_cmp_ne_u64_e64 s[2:3], 0, v[0:1]
	s_and_b64 s[4:5], s[2:3], vcc
	s_and_saveexec_b64 s[2:3], s[4:5]
	s_cbranch_execz .LBB1923_103
; %bb.102:
	v_bcnt_u32_b32 v0, v0, 0
	v_bcnt_u32_b32 v0, v1, v0
	ds_write_b32 v7, v0 offset:64
.LBB1923_103:
	s_or_b64 exec, exec, s[2:3]
	s_waitcnt vmcnt(10)
	v_xor_b32_e32 v9, -1, v9
	v_lshrrev_b32_sdwa v0, s20, v9 dst_sel:DWORD dst_unused:UNUSED_PAD src0_sel:DWORD src1_sel:WORD_0
	v_and_b32_e32 v0, s21, v0
	v_mul_u32_u24_e32 v1, 17, v0
	v_add_lshl_u32 v12, v17, v1, 2
	v_and_b32_e32 v1, 1, v0
	v_add_co_u32_e32 v3, vcc, -1, v1
	v_addc_co_u32_e64 v13, s[2:3], 0, -1, vcc
	v_cmp_ne_u32_e32 vcc, 0, v1
	v_xor_b32_e32 v3, vcc_lo, v3
	v_xor_b32_e32 v1, vcc_hi, v13
	v_and_b32_e32 v13, exec_lo, v3
	v_lshlrev_b32_e32 v3, 30, v0
	v_cmp_gt_i64_e32 vcc, 0, v[2:3]
	v_not_b32_e32 v3, v3
	v_ashrrev_i32_e32 v3, 31, v3
	v_xor_b32_e32 v15, vcc_hi, v3
	v_xor_b32_e32 v3, vcc_lo, v3
	v_and_b32_e32 v13, v13, v3
	v_lshlrev_b32_e32 v3, 29, v0
	v_cmp_gt_i64_e32 vcc, 0, v[2:3]
	v_not_b32_e32 v3, v3
	v_and_b32_e32 v1, exec_hi, v1
	v_ashrrev_i32_e32 v3, 31, v3
	v_and_b32_e32 v1, v1, v15
	v_xor_b32_e32 v15, vcc_hi, v3
	v_xor_b32_e32 v3, vcc_lo, v3
	v_and_b32_e32 v13, v13, v3
	v_lshlrev_b32_e32 v3, 28, v0
	v_cmp_gt_i64_e32 vcc, 0, v[2:3]
	v_not_b32_e32 v3, v3
	v_ashrrev_i32_e32 v3, 31, v3
	v_and_b32_e32 v1, v1, v15
	v_xor_b32_e32 v15, vcc_hi, v3
	v_xor_b32_e32 v3, vcc_lo, v3
	v_and_b32_e32 v13, v13, v3
	v_lshlrev_b32_e32 v3, 27, v0
	v_cmp_gt_i64_e32 vcc, 0, v[2:3]
	v_not_b32_e32 v3, v3
	;; [unrolled: 8-line block ×4, first 2 shown]
	v_ashrrev_i32_e32 v3, 31, v3
	v_and_b32_e32 v1, v1, v15
	v_xor_b32_e32 v15, vcc_hi, v3
	v_xor_b32_e32 v3, vcc_lo, v3
	v_and_b32_e32 v13, v13, v3
	v_lshlrev_b32_e32 v3, 24, v0
	v_not_b32_e32 v0, v3
	v_cmp_gt_i64_e32 vcc, 0, v[2:3]
	v_ashrrev_i32_e32 v0, 31, v0
	v_xor_b32_e32 v2, vcc_hi, v0
	v_xor_b32_e32 v0, vcc_lo, v0
	; wave barrier
	ds_read_b32 v11, v12 offset:64
	v_and_b32_e32 v1, v1, v15
	v_and_b32_e32 v0, v13, v0
	;; [unrolled: 1-line block ×3, first 2 shown]
	v_mbcnt_lo_u32_b32 v2, v0, 0
	v_mbcnt_hi_u32_b32 v13, v1, v2
	v_cmp_eq_u32_e32 vcc, 0, v13
	v_cmp_ne_u64_e64 s[2:3], 0, v[0:1]
	s_and_b64 s[4:5], s[2:3], vcc
	; wave barrier
	s_and_saveexec_b64 s[2:3], s[4:5]
	s_cbranch_execz .LBB1923_105
; %bb.104:
	v_bcnt_u32_b32 v0, v0, 0
	v_bcnt_u32_b32 v0, v1, v0
	s_waitcnt lgkmcnt(0)
	v_add_u32_e32 v0, v11, v0
	ds_write_b32 v12, v0 offset:64
.LBB1923_105:
	s_or_b64 exec, exec, s[2:3]
	s_waitcnt vmcnt(9)
	v_xor_b32_e32 v14, -1, v14
	v_lshrrev_b32_sdwa v0, s20, v14 dst_sel:DWORD dst_unused:UNUSED_PAD src0_sel:DWORD src1_sel:WORD_0
	v_and_b32_e32 v2, s21, v0
	v_and_b32_e32 v1, 1, v2
	v_add_co_u32_e32 v3, vcc, -1, v1
	v_addc_co_u32_e64 v19, s[2:3], 0, -1, vcc
	v_cmp_ne_u32_e32 vcc, 0, v1
	v_mul_u32_u24_e32 v0, 17, v2
	v_xor_b32_e32 v1, vcc_hi, v19
	v_add_lshl_u32 v18, v17, v0, 2
	v_mov_b32_e32 v0, 0
	v_and_b32_e32 v19, exec_hi, v1
	v_lshlrev_b32_e32 v1, 30, v2
	v_xor_b32_e32 v3, vcc_lo, v3
	v_cmp_gt_i64_e32 vcc, 0, v[0:1]
	v_not_b32_e32 v1, v1
	v_ashrrev_i32_e32 v1, 31, v1
	v_and_b32_e32 v3, exec_lo, v3
	v_xor_b32_e32 v21, vcc_hi, v1
	v_xor_b32_e32 v1, vcc_lo, v1
	v_and_b32_e32 v3, v3, v1
	v_lshlrev_b32_e32 v1, 29, v2
	v_cmp_gt_i64_e32 vcc, 0, v[0:1]
	v_not_b32_e32 v1, v1
	v_ashrrev_i32_e32 v1, 31, v1
	v_and_b32_e32 v19, v19, v21
	v_xor_b32_e32 v21, vcc_hi, v1
	v_xor_b32_e32 v1, vcc_lo, v1
	v_and_b32_e32 v3, v3, v1
	v_lshlrev_b32_e32 v1, 28, v2
	v_cmp_gt_i64_e32 vcc, 0, v[0:1]
	v_not_b32_e32 v1, v1
	v_ashrrev_i32_e32 v1, 31, v1
	v_and_b32_e32 v19, v19, v21
	;; [unrolled: 8-line block ×5, first 2 shown]
	v_xor_b32_e32 v21, vcc_hi, v1
	v_xor_b32_e32 v1, vcc_lo, v1
	v_and_b32_e32 v19, v19, v21
	v_and_b32_e32 v21, v3, v1
	v_lshlrev_b32_e32 v1, 24, v2
	v_cmp_gt_i64_e32 vcc, 0, v[0:1]
	v_not_b32_e32 v1, v1
	v_ashrrev_i32_e32 v1, 31, v1
	v_xor_b32_e32 v2, vcc_hi, v1
	v_xor_b32_e32 v1, vcc_lo, v1
	; wave barrier
	ds_read_b32 v15, v18 offset:64
	v_and_b32_e32 v3, v19, v2
	v_and_b32_e32 v2, v21, v1
	v_mbcnt_lo_u32_b32 v1, v2, 0
	v_mbcnt_hi_u32_b32 v19, v3, v1
	v_cmp_eq_u32_e32 vcc, 0, v19
	v_cmp_ne_u64_e64 s[2:3], 0, v[2:3]
	s_and_b64 s[4:5], s[2:3], vcc
	; wave barrier
	s_and_saveexec_b64 s[2:3], s[4:5]
	s_cbranch_execz .LBB1923_107
; %bb.106:
	v_bcnt_u32_b32 v1, v2, 0
	v_bcnt_u32_b32 v1, v3, v1
	s_waitcnt lgkmcnt(0)
	v_add_u32_e32 v1, v15, v1
	ds_write_b32 v18, v1 offset:64
.LBB1923_107:
	s_or_b64 exec, exec, s[2:3]
	s_waitcnt vmcnt(8)
	v_xor_b32_e32 v20, -1, v20
	v_lshrrev_b32_sdwa v1, s20, v20 dst_sel:DWORD dst_unused:UNUSED_PAD src0_sel:DWORD src1_sel:WORD_0
	v_and_b32_e32 v2, s21, v1
	v_mul_u32_u24_e32 v1, 17, v2
	v_add_lshl_u32 v23, v17, v1, 2
	v_and_b32_e32 v1, 1, v2
	v_add_co_u32_e32 v3, vcc, -1, v1
	v_addc_co_u32_e64 v24, s[2:3], 0, -1, vcc
	v_cmp_ne_u32_e32 vcc, 0, v1
	v_xor_b32_e32 v1, vcc_hi, v24
	v_and_b32_e32 v24, exec_hi, v1
	v_lshlrev_b32_e32 v1, 30, v2
	v_xor_b32_e32 v3, vcc_lo, v3
	v_cmp_gt_i64_e32 vcc, 0, v[0:1]
	v_not_b32_e32 v1, v1
	v_ashrrev_i32_e32 v1, 31, v1
	v_and_b32_e32 v3, exec_lo, v3
	v_xor_b32_e32 v26, vcc_hi, v1
	v_xor_b32_e32 v1, vcc_lo, v1
	v_and_b32_e32 v3, v3, v1
	v_lshlrev_b32_e32 v1, 29, v2
	v_cmp_gt_i64_e32 vcc, 0, v[0:1]
	v_not_b32_e32 v1, v1
	v_ashrrev_i32_e32 v1, 31, v1
	v_and_b32_e32 v24, v24, v26
	v_xor_b32_e32 v26, vcc_hi, v1
	v_xor_b32_e32 v1, vcc_lo, v1
	v_and_b32_e32 v3, v3, v1
	v_lshlrev_b32_e32 v1, 28, v2
	v_cmp_gt_i64_e32 vcc, 0, v[0:1]
	v_not_b32_e32 v1, v1
	v_ashrrev_i32_e32 v1, 31, v1
	v_and_b32_e32 v24, v24, v26
	;; [unrolled: 8-line block ×5, first 2 shown]
	v_xor_b32_e32 v26, vcc_hi, v1
	v_xor_b32_e32 v1, vcc_lo, v1
	v_and_b32_e32 v3, v3, v1
	v_lshlrev_b32_e32 v1, 24, v2
	v_cmp_gt_i64_e32 vcc, 0, v[0:1]
	v_not_b32_e32 v0, v1
	v_ashrrev_i32_e32 v0, 31, v0
	v_xor_b32_e32 v1, vcc_hi, v0
	v_xor_b32_e32 v0, vcc_lo, v0
	; wave barrier
	ds_read_b32 v21, v23 offset:64
	v_and_b32_e32 v24, v24, v26
	v_and_b32_e32 v0, v3, v0
	;; [unrolled: 1-line block ×3, first 2 shown]
	v_mbcnt_lo_u32_b32 v2, v0, 0
	v_mbcnt_hi_u32_b32 v24, v1, v2
	v_cmp_eq_u32_e32 vcc, 0, v24
	v_cmp_ne_u64_e64 s[2:3], 0, v[0:1]
	s_and_b64 s[4:5], s[2:3], vcc
	; wave barrier
	s_and_saveexec_b64 s[2:3], s[4:5]
	s_cbranch_execz .LBB1923_109
; %bb.108:
	v_bcnt_u32_b32 v0, v0, 0
	v_bcnt_u32_b32 v0, v1, v0
	s_waitcnt lgkmcnt(0)
	v_add_u32_e32 v0, v21, v0
	ds_write_b32 v23, v0 offset:64
.LBB1923_109:
	s_or_b64 exec, exec, s[2:3]
	s_waitcnt vmcnt(7)
	v_xor_b32_e32 v25, -1, v25
	v_lshrrev_b32_sdwa v0, s20, v25 dst_sel:DWORD dst_unused:UNUSED_PAD src0_sel:DWORD src1_sel:WORD_0
	v_and_b32_e32 v2, s21, v0
	v_and_b32_e32 v1, 1, v2
	v_add_co_u32_e32 v3, vcc, -1, v1
	v_addc_co_u32_e64 v30, s[2:3], 0, -1, vcc
	v_cmp_ne_u32_e32 vcc, 0, v1
	v_mul_u32_u24_e32 v0, 17, v2
	v_xor_b32_e32 v1, vcc_hi, v30
	v_add_lshl_u32 v28, v17, v0, 2
	v_mov_b32_e32 v0, 0
	v_and_b32_e32 v30, exec_hi, v1
	v_lshlrev_b32_e32 v1, 30, v2
	v_xor_b32_e32 v3, vcc_lo, v3
	v_cmp_gt_i64_e32 vcc, 0, v[0:1]
	v_not_b32_e32 v1, v1
	v_ashrrev_i32_e32 v1, 31, v1
	v_and_b32_e32 v3, exec_lo, v3
	v_xor_b32_e32 v31, vcc_hi, v1
	v_xor_b32_e32 v1, vcc_lo, v1
	v_and_b32_e32 v3, v3, v1
	v_lshlrev_b32_e32 v1, 29, v2
	v_cmp_gt_i64_e32 vcc, 0, v[0:1]
	v_not_b32_e32 v1, v1
	v_ashrrev_i32_e32 v1, 31, v1
	v_and_b32_e32 v30, v30, v31
	v_xor_b32_e32 v31, vcc_hi, v1
	v_xor_b32_e32 v1, vcc_lo, v1
	v_and_b32_e32 v3, v3, v1
	v_lshlrev_b32_e32 v1, 28, v2
	v_cmp_gt_i64_e32 vcc, 0, v[0:1]
	v_not_b32_e32 v1, v1
	v_ashrrev_i32_e32 v1, 31, v1
	v_and_b32_e32 v30, v30, v31
	v_xor_b32_e32 v31, vcc_hi, v1
	v_xor_b32_e32 v1, vcc_lo, v1
	v_and_b32_e32 v3, v3, v1
	v_lshlrev_b32_e32 v1, 27, v2
	v_cmp_gt_i64_e32 vcc, 0, v[0:1]
	v_not_b32_e32 v1, v1
	v_ashrrev_i32_e32 v1, 31, v1
	v_and_b32_e32 v30, v30, v31
	v_xor_b32_e32 v31, vcc_hi, v1
	v_xor_b32_e32 v1, vcc_lo, v1
	v_and_b32_e32 v3, v3, v1
	v_lshlrev_b32_e32 v1, 26, v2
	v_cmp_gt_i64_e32 vcc, 0, v[0:1]
	v_not_b32_e32 v1, v1
	v_ashrrev_i32_e32 v1, 31, v1
	v_and_b32_e32 v30, v30, v31
	v_xor_b32_e32 v31, vcc_hi, v1
	v_xor_b32_e32 v1, vcc_lo, v1
	v_and_b32_e32 v3, v3, v1
	v_lshlrev_b32_e32 v1, 25, v2
	v_cmp_gt_i64_e32 vcc, 0, v[0:1]
	v_not_b32_e32 v1, v1
	v_ashrrev_i32_e32 v1, 31, v1
	v_and_b32_e32 v30, v30, v31
	v_xor_b32_e32 v31, vcc_hi, v1
	v_xor_b32_e32 v1, vcc_lo, v1
	v_and_b32_e32 v30, v30, v31
	v_and_b32_e32 v31, v3, v1
	v_lshlrev_b32_e32 v1, 24, v2
	v_cmp_gt_i64_e32 vcc, 0, v[0:1]
	v_not_b32_e32 v1, v1
	v_ashrrev_i32_e32 v1, 31, v1
	v_xor_b32_e32 v2, vcc_hi, v1
	v_xor_b32_e32 v1, vcc_lo, v1
	; wave barrier
	ds_read_b32 v26, v28 offset:64
	v_and_b32_e32 v3, v30, v2
	v_and_b32_e32 v2, v31, v1
	v_mbcnt_lo_u32_b32 v1, v2, 0
	v_mbcnt_hi_u32_b32 v30, v3, v1
	v_cmp_eq_u32_e32 vcc, 0, v30
	v_cmp_ne_u64_e64 s[2:3], 0, v[2:3]
	s_and_b64 s[4:5], s[2:3], vcc
	; wave barrier
	s_and_saveexec_b64 s[2:3], s[4:5]
	s_cbranch_execz .LBB1923_111
; %bb.110:
	v_bcnt_u32_b32 v1, v2, 0
	v_bcnt_u32_b32 v1, v3, v1
	s_waitcnt lgkmcnt(0)
	v_add_u32_e32 v1, v26, v1
	ds_write_b32 v28, v1 offset:64
.LBB1923_111:
	s_or_b64 exec, exec, s[2:3]
	s_waitcnt vmcnt(6)
	v_xor_b32_e32 v29, -1, v29
	v_lshrrev_b32_sdwa v1, s20, v29 dst_sel:DWORD dst_unused:UNUSED_PAD src0_sel:DWORD src1_sel:WORD_0
	v_and_b32_e32 v2, s21, v1
	v_mul_u32_u24_e32 v1, 17, v2
	v_add_lshl_u32 v33, v17, v1, 2
	v_and_b32_e32 v1, 1, v2
	v_add_co_u32_e32 v3, vcc, -1, v1
	v_addc_co_u32_e64 v35, s[2:3], 0, -1, vcc
	v_cmp_ne_u32_e32 vcc, 0, v1
	v_xor_b32_e32 v1, vcc_hi, v35
	v_and_b32_e32 v35, exec_hi, v1
	v_lshlrev_b32_e32 v1, 30, v2
	v_xor_b32_e32 v3, vcc_lo, v3
	v_cmp_gt_i64_e32 vcc, 0, v[0:1]
	v_not_b32_e32 v1, v1
	v_ashrrev_i32_e32 v1, 31, v1
	v_and_b32_e32 v3, exec_lo, v3
	v_xor_b32_e32 v36, vcc_hi, v1
	v_xor_b32_e32 v1, vcc_lo, v1
	v_and_b32_e32 v3, v3, v1
	v_lshlrev_b32_e32 v1, 29, v2
	v_cmp_gt_i64_e32 vcc, 0, v[0:1]
	v_not_b32_e32 v1, v1
	v_ashrrev_i32_e32 v1, 31, v1
	v_and_b32_e32 v35, v35, v36
	v_xor_b32_e32 v36, vcc_hi, v1
	v_xor_b32_e32 v1, vcc_lo, v1
	v_and_b32_e32 v3, v3, v1
	v_lshlrev_b32_e32 v1, 28, v2
	v_cmp_gt_i64_e32 vcc, 0, v[0:1]
	v_not_b32_e32 v1, v1
	v_ashrrev_i32_e32 v1, 31, v1
	v_and_b32_e32 v35, v35, v36
	;; [unrolled: 8-line block ×5, first 2 shown]
	v_xor_b32_e32 v36, vcc_hi, v1
	v_xor_b32_e32 v1, vcc_lo, v1
	v_and_b32_e32 v3, v3, v1
	v_lshlrev_b32_e32 v1, 24, v2
	v_cmp_gt_i64_e32 vcc, 0, v[0:1]
	v_not_b32_e32 v0, v1
	v_ashrrev_i32_e32 v0, 31, v0
	v_xor_b32_e32 v1, vcc_hi, v0
	v_xor_b32_e32 v0, vcc_lo, v0
	; wave barrier
	ds_read_b32 v31, v33 offset:64
	v_and_b32_e32 v35, v35, v36
	v_and_b32_e32 v0, v3, v0
	;; [unrolled: 1-line block ×3, first 2 shown]
	v_mbcnt_lo_u32_b32 v2, v0, 0
	v_mbcnt_hi_u32_b32 v35, v1, v2
	v_cmp_eq_u32_e32 vcc, 0, v35
	v_cmp_ne_u64_e64 s[2:3], 0, v[0:1]
	s_and_b64 s[4:5], s[2:3], vcc
	; wave barrier
	s_and_saveexec_b64 s[2:3], s[4:5]
	s_cbranch_execz .LBB1923_113
; %bb.112:
	v_bcnt_u32_b32 v0, v0, 0
	v_bcnt_u32_b32 v0, v1, v0
	s_waitcnt lgkmcnt(0)
	v_add_u32_e32 v0, v31, v0
	ds_write_b32 v33, v0 offset:64
.LBB1923_113:
	s_or_b64 exec, exec, s[2:3]
	s_waitcnt vmcnt(5)
	v_xor_b32_e32 v34, -1, v34
	v_lshrrev_b32_sdwa v0, s20, v34 dst_sel:DWORD dst_unused:UNUSED_PAD src0_sel:DWORD src1_sel:WORD_0
	v_and_b32_e32 v2, s21, v0
	v_and_b32_e32 v1, 1, v2
	v_add_co_u32_e32 v3, vcc, -1, v1
	v_addc_co_u32_e64 v39, s[2:3], 0, -1, vcc
	v_cmp_ne_u32_e32 vcc, 0, v1
	v_mul_u32_u24_e32 v0, 17, v2
	v_xor_b32_e32 v1, vcc_hi, v39
	v_add_lshl_u32 v38, v17, v0, 2
	v_mov_b32_e32 v0, 0
	v_and_b32_e32 v39, exec_hi, v1
	v_lshlrev_b32_e32 v1, 30, v2
	v_xor_b32_e32 v3, vcc_lo, v3
	v_cmp_gt_i64_e32 vcc, 0, v[0:1]
	v_not_b32_e32 v1, v1
	v_ashrrev_i32_e32 v1, 31, v1
	v_and_b32_e32 v3, exec_lo, v3
	v_xor_b32_e32 v40, vcc_hi, v1
	v_xor_b32_e32 v1, vcc_lo, v1
	v_and_b32_e32 v3, v3, v1
	v_lshlrev_b32_e32 v1, 29, v2
	v_cmp_gt_i64_e32 vcc, 0, v[0:1]
	v_not_b32_e32 v1, v1
	v_ashrrev_i32_e32 v1, 31, v1
	v_and_b32_e32 v39, v39, v40
	v_xor_b32_e32 v40, vcc_hi, v1
	v_xor_b32_e32 v1, vcc_lo, v1
	v_and_b32_e32 v3, v3, v1
	v_lshlrev_b32_e32 v1, 28, v2
	v_cmp_gt_i64_e32 vcc, 0, v[0:1]
	v_not_b32_e32 v1, v1
	v_ashrrev_i32_e32 v1, 31, v1
	v_and_b32_e32 v39, v39, v40
	;; [unrolled: 8-line block ×5, first 2 shown]
	v_xor_b32_e32 v40, vcc_hi, v1
	v_xor_b32_e32 v1, vcc_lo, v1
	v_and_b32_e32 v39, v39, v40
	v_and_b32_e32 v40, v3, v1
	v_lshlrev_b32_e32 v1, 24, v2
	v_cmp_gt_i64_e32 vcc, 0, v[0:1]
	v_not_b32_e32 v1, v1
	v_ashrrev_i32_e32 v1, 31, v1
	v_xor_b32_e32 v2, vcc_hi, v1
	v_xor_b32_e32 v1, vcc_lo, v1
	; wave barrier
	ds_read_b32 v36, v38 offset:64
	v_and_b32_e32 v3, v39, v2
	v_and_b32_e32 v2, v40, v1
	v_mbcnt_lo_u32_b32 v1, v2, 0
	v_mbcnt_hi_u32_b32 v39, v3, v1
	v_cmp_eq_u32_e32 vcc, 0, v39
	v_cmp_ne_u64_e64 s[2:3], 0, v[2:3]
	s_and_b64 s[4:5], s[2:3], vcc
	; wave barrier
	s_and_saveexec_b64 s[2:3], s[4:5]
	s_cbranch_execz .LBB1923_115
; %bb.114:
	v_bcnt_u32_b32 v1, v2, 0
	v_bcnt_u32_b32 v1, v3, v1
	s_waitcnt lgkmcnt(0)
	v_add_u32_e32 v1, v36, v1
	ds_write_b32 v38, v1 offset:64
.LBB1923_115:
	s_or_b64 exec, exec, s[2:3]
	s_waitcnt vmcnt(4)
	v_xor_b32_e32 v37, -1, v37
	v_lshrrev_b32_sdwa v1, s20, v37 dst_sel:DWORD dst_unused:UNUSED_PAD src0_sel:DWORD src1_sel:WORD_0
	v_and_b32_e32 v2, s21, v1
	v_mul_u32_u24_e32 v1, 17, v2
	v_add_lshl_u32 v41, v17, v1, 2
	v_and_b32_e32 v1, 1, v2
	v_add_co_u32_e32 v3, vcc, -1, v1
	v_addc_co_u32_e64 v42, s[2:3], 0, -1, vcc
	v_cmp_ne_u32_e32 vcc, 0, v1
	v_xor_b32_e32 v1, vcc_hi, v42
	v_and_b32_e32 v42, exec_hi, v1
	v_lshlrev_b32_e32 v1, 30, v2
	v_xor_b32_e32 v3, vcc_lo, v3
	v_cmp_gt_i64_e32 vcc, 0, v[0:1]
	v_not_b32_e32 v1, v1
	v_ashrrev_i32_e32 v1, 31, v1
	v_and_b32_e32 v3, exec_lo, v3
	v_xor_b32_e32 v43, vcc_hi, v1
	v_xor_b32_e32 v1, vcc_lo, v1
	v_and_b32_e32 v3, v3, v1
	v_lshlrev_b32_e32 v1, 29, v2
	v_cmp_gt_i64_e32 vcc, 0, v[0:1]
	v_not_b32_e32 v1, v1
	v_ashrrev_i32_e32 v1, 31, v1
	v_and_b32_e32 v42, v42, v43
	v_xor_b32_e32 v43, vcc_hi, v1
	v_xor_b32_e32 v1, vcc_lo, v1
	v_and_b32_e32 v3, v3, v1
	v_lshlrev_b32_e32 v1, 28, v2
	v_cmp_gt_i64_e32 vcc, 0, v[0:1]
	v_not_b32_e32 v1, v1
	v_ashrrev_i32_e32 v1, 31, v1
	v_and_b32_e32 v42, v42, v43
	;; [unrolled: 8-line block ×5, first 2 shown]
	v_xor_b32_e32 v43, vcc_hi, v1
	v_xor_b32_e32 v1, vcc_lo, v1
	v_and_b32_e32 v3, v3, v1
	v_lshlrev_b32_e32 v1, 24, v2
	v_cmp_gt_i64_e32 vcc, 0, v[0:1]
	v_not_b32_e32 v0, v1
	v_ashrrev_i32_e32 v0, 31, v0
	v_xor_b32_e32 v1, vcc_hi, v0
	v_xor_b32_e32 v0, vcc_lo, v0
	; wave barrier
	ds_read_b32 v40, v41 offset:64
	v_and_b32_e32 v42, v42, v43
	v_and_b32_e32 v0, v3, v0
	;; [unrolled: 1-line block ×3, first 2 shown]
	v_mbcnt_lo_u32_b32 v2, v0, 0
	v_mbcnt_hi_u32_b32 v42, v1, v2
	v_cmp_eq_u32_e32 vcc, 0, v42
	v_cmp_ne_u64_e64 s[2:3], 0, v[0:1]
	s_and_b64 s[4:5], s[2:3], vcc
	; wave barrier
	s_and_saveexec_b64 s[2:3], s[4:5]
	s_cbranch_execz .LBB1923_117
; %bb.116:
	v_bcnt_u32_b32 v0, v0, 0
	v_bcnt_u32_b32 v0, v1, v0
	s_waitcnt lgkmcnt(0)
	v_add_u32_e32 v0, v40, v0
	ds_write_b32 v41, v0 offset:64
.LBB1923_117:
	s_or_b64 exec, exec, s[2:3]
	s_waitcnt vmcnt(3)
	v_xor_b32_e32 v32, -1, v32
	v_lshrrev_b32_sdwa v0, s20, v32 dst_sel:DWORD dst_unused:UNUSED_PAD src0_sel:DWORD src1_sel:WORD_0
	v_and_b32_e32 v2, s21, v0
	v_and_b32_e32 v1, 1, v2
	v_add_co_u32_e32 v3, vcc, -1, v1
	v_addc_co_u32_e64 v45, s[2:3], 0, -1, vcc
	v_cmp_ne_u32_e32 vcc, 0, v1
	v_mul_u32_u24_e32 v0, 17, v2
	v_xor_b32_e32 v1, vcc_hi, v45
	v_add_lshl_u32 v44, v17, v0, 2
	v_mov_b32_e32 v0, 0
	v_and_b32_e32 v45, exec_hi, v1
	v_lshlrev_b32_e32 v1, 30, v2
	v_xor_b32_e32 v3, vcc_lo, v3
	v_cmp_gt_i64_e32 vcc, 0, v[0:1]
	v_not_b32_e32 v1, v1
	v_ashrrev_i32_e32 v1, 31, v1
	v_and_b32_e32 v3, exec_lo, v3
	v_xor_b32_e32 v46, vcc_hi, v1
	v_xor_b32_e32 v1, vcc_lo, v1
	v_and_b32_e32 v3, v3, v1
	v_lshlrev_b32_e32 v1, 29, v2
	v_cmp_gt_i64_e32 vcc, 0, v[0:1]
	v_not_b32_e32 v1, v1
	v_ashrrev_i32_e32 v1, 31, v1
	v_and_b32_e32 v45, v45, v46
	v_xor_b32_e32 v46, vcc_hi, v1
	v_xor_b32_e32 v1, vcc_lo, v1
	v_and_b32_e32 v3, v3, v1
	v_lshlrev_b32_e32 v1, 28, v2
	v_cmp_gt_i64_e32 vcc, 0, v[0:1]
	v_not_b32_e32 v1, v1
	v_ashrrev_i32_e32 v1, 31, v1
	v_and_b32_e32 v45, v45, v46
	;; [unrolled: 8-line block ×5, first 2 shown]
	v_xor_b32_e32 v46, vcc_hi, v1
	v_xor_b32_e32 v1, vcc_lo, v1
	v_and_b32_e32 v45, v45, v46
	v_and_b32_e32 v46, v3, v1
	v_lshlrev_b32_e32 v1, 24, v2
	v_cmp_gt_i64_e32 vcc, 0, v[0:1]
	v_not_b32_e32 v1, v1
	v_ashrrev_i32_e32 v1, 31, v1
	v_xor_b32_e32 v2, vcc_hi, v1
	v_xor_b32_e32 v1, vcc_lo, v1
	; wave barrier
	ds_read_b32 v43, v44 offset:64
	v_and_b32_e32 v3, v45, v2
	v_and_b32_e32 v2, v46, v1
	v_mbcnt_lo_u32_b32 v1, v2, 0
	v_mbcnt_hi_u32_b32 v45, v3, v1
	v_cmp_eq_u32_e32 vcc, 0, v45
	v_cmp_ne_u64_e64 s[2:3], 0, v[2:3]
	s_and_b64 s[4:5], s[2:3], vcc
	; wave barrier
	s_and_saveexec_b64 s[2:3], s[4:5]
	s_cbranch_execz .LBB1923_119
; %bb.118:
	v_bcnt_u32_b32 v1, v2, 0
	v_bcnt_u32_b32 v1, v3, v1
	s_waitcnt lgkmcnt(0)
	v_add_u32_e32 v1, v43, v1
	ds_write_b32 v44, v1 offset:64
.LBB1923_119:
	s_or_b64 exec, exec, s[2:3]
	s_waitcnt vmcnt(2)
	v_xor_b32_e32 v27, -1, v27
	v_lshrrev_b32_sdwa v1, s20, v27 dst_sel:DWORD dst_unused:UNUSED_PAD src0_sel:DWORD src1_sel:WORD_0
	v_and_b32_e32 v2, s21, v1
	v_mul_u32_u24_e32 v1, 17, v2
	v_add_lshl_u32 v47, v17, v1, 2
	v_and_b32_e32 v1, 1, v2
	v_add_co_u32_e32 v3, vcc, -1, v1
	v_addc_co_u32_e64 v48, s[2:3], 0, -1, vcc
	v_cmp_ne_u32_e32 vcc, 0, v1
	v_xor_b32_e32 v1, vcc_hi, v48
	v_and_b32_e32 v48, exec_hi, v1
	v_lshlrev_b32_e32 v1, 30, v2
	v_xor_b32_e32 v3, vcc_lo, v3
	v_cmp_gt_i64_e32 vcc, 0, v[0:1]
	v_not_b32_e32 v1, v1
	v_ashrrev_i32_e32 v1, 31, v1
	v_and_b32_e32 v3, exec_lo, v3
	v_xor_b32_e32 v49, vcc_hi, v1
	v_xor_b32_e32 v1, vcc_lo, v1
	v_and_b32_e32 v3, v3, v1
	v_lshlrev_b32_e32 v1, 29, v2
	v_cmp_gt_i64_e32 vcc, 0, v[0:1]
	v_not_b32_e32 v1, v1
	v_ashrrev_i32_e32 v1, 31, v1
	v_and_b32_e32 v48, v48, v49
	v_xor_b32_e32 v49, vcc_hi, v1
	v_xor_b32_e32 v1, vcc_lo, v1
	v_and_b32_e32 v3, v3, v1
	v_lshlrev_b32_e32 v1, 28, v2
	v_cmp_gt_i64_e32 vcc, 0, v[0:1]
	v_not_b32_e32 v1, v1
	v_ashrrev_i32_e32 v1, 31, v1
	v_and_b32_e32 v48, v48, v49
	;; [unrolled: 8-line block ×5, first 2 shown]
	v_xor_b32_e32 v49, vcc_hi, v1
	v_xor_b32_e32 v1, vcc_lo, v1
	v_and_b32_e32 v3, v3, v1
	v_lshlrev_b32_e32 v1, 24, v2
	v_cmp_gt_i64_e32 vcc, 0, v[0:1]
	v_not_b32_e32 v0, v1
	v_ashrrev_i32_e32 v0, 31, v0
	v_xor_b32_e32 v1, vcc_hi, v0
	v_xor_b32_e32 v0, vcc_lo, v0
	; wave barrier
	ds_read_b32 v46, v47 offset:64
	v_and_b32_e32 v48, v48, v49
	v_and_b32_e32 v0, v3, v0
	;; [unrolled: 1-line block ×3, first 2 shown]
	v_mbcnt_lo_u32_b32 v2, v0, 0
	v_mbcnt_hi_u32_b32 v48, v1, v2
	v_cmp_eq_u32_e32 vcc, 0, v48
	v_cmp_ne_u64_e64 s[2:3], 0, v[0:1]
	s_and_b64 s[4:5], s[2:3], vcc
	; wave barrier
	s_and_saveexec_b64 s[2:3], s[4:5]
	s_cbranch_execz .LBB1923_121
; %bb.120:
	v_bcnt_u32_b32 v0, v0, 0
	v_bcnt_u32_b32 v0, v1, v0
	s_waitcnt lgkmcnt(0)
	v_add_u32_e32 v0, v46, v0
	ds_write_b32 v47, v0 offset:64
.LBB1923_121:
	s_or_b64 exec, exec, s[2:3]
	s_waitcnt vmcnt(1)
	v_xor_b32_e32 v22, -1, v22
	v_lshrrev_b32_sdwa v0, s20, v22 dst_sel:DWORD dst_unused:UNUSED_PAD src0_sel:DWORD src1_sel:WORD_0
	v_and_b32_e32 v2, s21, v0
	v_and_b32_e32 v1, 1, v2
	v_add_co_u32_e32 v3, vcc, -1, v1
	v_addc_co_u32_e64 v51, s[2:3], 0, -1, vcc
	v_cmp_ne_u32_e32 vcc, 0, v1
	v_mul_u32_u24_e32 v0, 17, v2
	v_xor_b32_e32 v1, vcc_hi, v51
	v_add_lshl_u32 v50, v17, v0, 2
	v_mov_b32_e32 v0, 0
	v_and_b32_e32 v51, exec_hi, v1
	v_lshlrev_b32_e32 v1, 30, v2
	v_xor_b32_e32 v3, vcc_lo, v3
	v_cmp_gt_i64_e32 vcc, 0, v[0:1]
	v_not_b32_e32 v1, v1
	v_ashrrev_i32_e32 v1, 31, v1
	v_and_b32_e32 v3, exec_lo, v3
	v_xor_b32_e32 v52, vcc_hi, v1
	v_xor_b32_e32 v1, vcc_lo, v1
	v_and_b32_e32 v3, v3, v1
	v_lshlrev_b32_e32 v1, 29, v2
	v_cmp_gt_i64_e32 vcc, 0, v[0:1]
	v_not_b32_e32 v1, v1
	v_ashrrev_i32_e32 v1, 31, v1
	v_and_b32_e32 v51, v51, v52
	v_xor_b32_e32 v52, vcc_hi, v1
	v_xor_b32_e32 v1, vcc_lo, v1
	v_and_b32_e32 v3, v3, v1
	v_lshlrev_b32_e32 v1, 28, v2
	v_cmp_gt_i64_e32 vcc, 0, v[0:1]
	v_not_b32_e32 v1, v1
	v_ashrrev_i32_e32 v1, 31, v1
	v_and_b32_e32 v51, v51, v52
	;; [unrolled: 8-line block ×5, first 2 shown]
	v_xor_b32_e32 v52, vcc_hi, v1
	v_xor_b32_e32 v1, vcc_lo, v1
	v_and_b32_e32 v51, v51, v52
	v_and_b32_e32 v52, v3, v1
	v_lshlrev_b32_e32 v1, 24, v2
	v_cmp_gt_i64_e32 vcc, 0, v[0:1]
	v_not_b32_e32 v1, v1
	v_ashrrev_i32_e32 v1, 31, v1
	v_xor_b32_e32 v2, vcc_hi, v1
	v_xor_b32_e32 v1, vcc_lo, v1
	; wave barrier
	ds_read_b32 v49, v50 offset:64
	v_and_b32_e32 v3, v51, v2
	v_and_b32_e32 v2, v52, v1
	v_mbcnt_lo_u32_b32 v1, v2, 0
	v_mbcnt_hi_u32_b32 v51, v3, v1
	v_cmp_eq_u32_e32 vcc, 0, v51
	v_cmp_ne_u64_e64 s[2:3], 0, v[2:3]
	s_and_b64 s[4:5], s[2:3], vcc
	; wave barrier
	s_and_saveexec_b64 s[2:3], s[4:5]
	s_cbranch_execz .LBB1923_123
; %bb.122:
	v_bcnt_u32_b32 v1, v2, 0
	v_bcnt_u32_b32 v1, v3, v1
	s_waitcnt lgkmcnt(0)
	v_add_u32_e32 v1, v49, v1
	ds_write_b32 v50, v1 offset:64
.LBB1923_123:
	s_or_b64 exec, exec, s[2:3]
	s_waitcnt vmcnt(0)
	v_xor_b32_e32 v16, -1, v16
	v_lshrrev_b32_sdwa v1, s20, v16 dst_sel:DWORD dst_unused:UNUSED_PAD src0_sel:DWORD src1_sel:WORD_0
	v_and_b32_e32 v2, s21, v1
	v_mul_u32_u24_e32 v1, 17, v2
	v_add_lshl_u32 v52, v17, v1, 2
	v_and_b32_e32 v1, 1, v2
	v_add_co_u32_e32 v3, vcc, -1, v1
	v_addc_co_u32_e64 v54, s[2:3], 0, -1, vcc
	v_cmp_ne_u32_e32 vcc, 0, v1
	v_xor_b32_e32 v1, vcc_hi, v54
	v_and_b32_e32 v54, exec_hi, v1
	v_lshlrev_b32_e32 v1, 30, v2
	v_xor_b32_e32 v3, vcc_lo, v3
	v_cmp_gt_i64_e32 vcc, 0, v[0:1]
	v_not_b32_e32 v1, v1
	v_ashrrev_i32_e32 v1, 31, v1
	v_and_b32_e32 v3, exec_lo, v3
	v_xor_b32_e32 v55, vcc_hi, v1
	v_xor_b32_e32 v1, vcc_lo, v1
	v_and_b32_e32 v3, v3, v1
	v_lshlrev_b32_e32 v1, 29, v2
	v_cmp_gt_i64_e32 vcc, 0, v[0:1]
	v_not_b32_e32 v1, v1
	v_ashrrev_i32_e32 v1, 31, v1
	v_and_b32_e32 v54, v54, v55
	v_xor_b32_e32 v55, vcc_hi, v1
	v_xor_b32_e32 v1, vcc_lo, v1
	v_and_b32_e32 v3, v3, v1
	v_lshlrev_b32_e32 v1, 28, v2
	v_cmp_gt_i64_e32 vcc, 0, v[0:1]
	v_not_b32_e32 v1, v1
	v_ashrrev_i32_e32 v1, 31, v1
	v_and_b32_e32 v54, v54, v55
	;; [unrolled: 8-line block ×5, first 2 shown]
	v_xor_b32_e32 v55, vcc_hi, v1
	v_xor_b32_e32 v1, vcc_lo, v1
	v_and_b32_e32 v3, v3, v1
	v_lshlrev_b32_e32 v1, 24, v2
	v_cmp_gt_i64_e32 vcc, 0, v[0:1]
	v_not_b32_e32 v0, v1
	v_ashrrev_i32_e32 v0, 31, v0
	v_xor_b32_e32 v1, vcc_hi, v0
	v_xor_b32_e32 v0, vcc_lo, v0
	; wave barrier
	ds_read_b32 v17, v52 offset:64
	v_and_b32_e32 v54, v54, v55
	v_and_b32_e32 v0, v3, v0
	v_and_b32_e32 v1, v54, v1
	v_mbcnt_lo_u32_b32 v2, v0, 0
	v_mbcnt_hi_u32_b32 v54, v1, v2
	v_cmp_eq_u32_e32 vcc, 0, v54
	v_cmp_ne_u64_e64 s[2:3], 0, v[0:1]
	v_add_u32_e32 v53, 64, v6
	s_and_b64 s[4:5], s[2:3], vcc
	; wave barrier
	s_and_saveexec_b64 s[2:3], s[4:5]
	s_cbranch_execz .LBB1923_125
; %bb.124:
	v_bcnt_u32_b32 v0, v0, 0
	v_bcnt_u32_b32 v0, v1, v0
	s_waitcnt lgkmcnt(0)
	v_add_u32_e32 v0, v17, v0
	ds_write_b32 v52, v0 offset:64
.LBB1923_125:
	s_or_b64 exec, exec, s[2:3]
	; wave barrier
	s_waitcnt lgkmcnt(0)
	s_barrier
	ds_read2_b32 v[2:3], v6 offset0:16 offset1:17
	ds_read2_b32 v[0:1], v53 offset0:2 offset1:3
	ds_read_b32 v55, v53 offset:16
	v_cmp_lt_u32_e64 s[8:9], 31, v5
	s_waitcnt lgkmcnt(1)
	v_add3_u32 v56, v3, v2, v0
	s_waitcnt lgkmcnt(0)
	v_add3_u32 v55, v56, v1, v55
	v_and_b32_e32 v56, 15, v5
	v_cmp_eq_u32_e32 vcc, 0, v56
	v_mov_b32_dpp v57, v55 row_shr:1 row_mask:0xf bank_mask:0xf
	v_cndmask_b32_e64 v57, v57, 0, vcc
	v_add_u32_e32 v55, v57, v55
	v_cmp_lt_u32_e64 s[2:3], 1, v56
	v_cmp_lt_u32_e64 s[4:5], 3, v56
	v_mov_b32_dpp v57, v55 row_shr:2 row_mask:0xf bank_mask:0xf
	v_cndmask_b32_e64 v57, 0, v57, s[2:3]
	v_add_u32_e32 v55, v55, v57
	v_cmp_lt_u32_e64 s[6:7], 7, v56
	s_nop 0
	v_mov_b32_dpp v57, v55 row_shr:4 row_mask:0xf bank_mask:0xf
	v_cndmask_b32_e64 v57, 0, v57, s[4:5]
	v_add_u32_e32 v55, v55, v57
	s_nop 1
	v_mov_b32_dpp v57, v55 row_shr:8 row_mask:0xf bank_mask:0xf
	v_cndmask_b32_e64 v56, 0, v57, s[6:7]
	v_add_u32_e32 v55, v55, v56
	v_bfe_i32 v57, v5, 4, 1
	s_nop 0
	v_mov_b32_dpp v56, v55 row_bcast:15 row_mask:0xf bank_mask:0xf
	v_and_b32_e32 v56, v57, v56
	v_add_u32_e32 v55, v55, v56
	v_and_b32_e32 v57, 63, v10
	s_nop 0
	v_mov_b32_dpp v56, v55 row_bcast:31 row_mask:0xf bank_mask:0xf
	v_cndmask_b32_e64 v56, 0, v56, s[8:9]
	v_add_u32_e32 v55, v55, v56
	v_lshrrev_b32_e32 v56, 6, v10
	v_cmp_eq_u32_e64 s[8:9], 63, v57
	s_and_saveexec_b64 s[12:13], s[8:9]
	s_cbranch_execz .LBB1923_127
; %bb.126:
	v_lshlrev_b32_e32 v57, 2, v56
	ds_write_b32 v57, v55
.LBB1923_127:
	s_or_b64 exec, exec, s[12:13]
	v_cmp_gt_u32_e64 s[8:9], 16, v10
	s_waitcnt lgkmcnt(0)
	s_barrier
	s_and_saveexec_b64 s[12:13], s[8:9]
	s_cbranch_execz .LBB1923_129
; %bb.128:
	v_lshlrev_b32_e32 v57, 2, v10
	ds_read_b32 v58, v57
	s_waitcnt lgkmcnt(0)
	s_nop 0
	v_mov_b32_dpp v59, v58 row_shr:1 row_mask:0xf bank_mask:0xf
	v_cndmask_b32_e64 v59, v59, 0, vcc
	v_add_u32_e32 v58, v59, v58
	s_nop 1
	v_mov_b32_dpp v59, v58 row_shr:2 row_mask:0xf bank_mask:0xf
	v_cndmask_b32_e64 v59, 0, v59, s[2:3]
	v_add_u32_e32 v58, v58, v59
	s_nop 1
	v_mov_b32_dpp v59, v58 row_shr:4 row_mask:0xf bank_mask:0xf
	v_cndmask_b32_e64 v59, 0, v59, s[4:5]
	;; [unrolled: 4-line block ×3, first 2 shown]
	v_add_u32_e32 v58, v58, v59
	ds_write_b32 v57, v58
.LBB1923_129:
	s_or_b64 exec, exec, s[12:13]
	v_cmp_lt_u32_e32 vcc, 63, v10
	v_mov_b32_e32 v57, 0
	s_waitcnt lgkmcnt(0)
	s_barrier
	s_and_saveexec_b64 s[2:3], vcc
	s_cbranch_execz .LBB1923_131
; %bb.130:
	v_lshl_add_u32 v56, v56, 2, -4
	ds_read_b32 v57, v56
.LBB1923_131:
	s_or_b64 exec, exec, s[2:3]
	v_add_u32_e32 v56, -1, v5
	v_and_b32_e32 v58, 64, v5
	v_cmp_lt_i32_e32 vcc, v56, v58
	v_cndmask_b32_e32 v56, v56, v5, vcc
	s_waitcnt lgkmcnt(0)
	v_add_u32_e32 v55, v57, v55
	v_lshlrev_b32_e32 v56, 2, v56
	ds_bpermute_b32 v55, v56, v55
	v_cmp_eq_u32_e32 vcc, 0, v5
	s_movk_i32 s2, 0xff
	s_movk_i32 s3, 0x100
	s_waitcnt lgkmcnt(0)
	v_cndmask_b32_e32 v5, v55, v57, vcc
	v_cndmask_b32_e64 v5, v5, 0, s[0:1]
	v_add_u32_e32 v2, v5, v2
	v_add_u32_e32 v3, v2, v3
	;; [unrolled: 1-line block ×4, first 2 shown]
	ds_write2_b32 v6, v5, v2 offset0:16 offset1:17
	ds_write2_b32 v53, v3, v0 offset0:2 offset1:3
	ds_write_b32 v53, v1 offset:16
	s_waitcnt lgkmcnt(0)
	s_barrier
	ds_read_b32 v57, v7 offset:64
	ds_read_b32 v56, v12 offset:64
	;; [unrolled: 1-line block ×12, first 2 shown]
	v_cmp_lt_u32_e64 s[0:1], s2, v10
	v_cmp_gt_u32_e32 vcc, s3, v10
	v_pk_mov_b32 v[0:1], 0, 0
                                        ; implicit-def: $vgpr12
	s_and_saveexec_b64 s[4:5], vcc
	s_cbranch_execz .LBB1923_135
; %bb.132:
	v_mul_u32_u24_e32 v0, 17, v10
	v_lshlrev_b32_e32 v12, 2, v0
	ds_read_b32 v0, v12 offset:64
	v_cmp_ne_u32_e64 s[2:3], s2, v10
	v_mov_b32_e32 v1, 0x3000
	s_and_saveexec_b64 s[6:7], s[2:3]
	s_cbranch_execz .LBB1923_134
; %bb.133:
	ds_read_b32 v1, v12 offset:132
.LBB1923_134:
	s_or_b64 exec, exec, s[6:7]
	s_waitcnt lgkmcnt(0)
	v_sub_u32_e32 v12, v1, v0
	v_mov_b32_e32 v1, 0
.LBB1923_135:
	s_or_b64 exec, exec, s[4:5]
	v_add_u32_e32 v11, v13, v11
	s_waitcnt lgkmcnt(11)
	v_add_lshl_u32 v8, v57, v8, 1
	v_add_u32_e32 v15, v19, v15
	s_waitcnt lgkmcnt(0)
	s_barrier
	ds_write_b16 v8, v4 offset:2048
	v_add_lshl_u32 v4, v11, v56, 1
	v_add_u32_e32 v21, v24, v21
	ds_write_b16 v4, v9 offset:2048
	v_add_lshl_u32 v4, v15, v55, 1
	v_add_u32_e32 v26, v30, v26
	;; [unrolled: 3-line block ×7, first 2 shown]
	v_add_u32_e32 v33, v51, v49
	v_add_u32_e32 v38, v48, v46
	ds_write_b16 v4, v37 offset:2048
	v_add_lshl_u32 v4, v41, v6, 1
	ds_write_b16 v4, v32 offset:2048
	v_add_lshl_u32 v4, v38, v5, 1
	v_add_lshl_u32 v3, v33, v3, 1
	;; [unrolled: 1-line block ×3, first 2 shown]
	ds_write_b16 v4, v27 offset:2048
	ds_write_b16 v3, v22 offset:2048
	;; [unrolled: 1-line block ×3, first 2 shown]
	s_and_saveexec_b64 s[2:3], s[0:1]
	s_xor_b64 s[0:1], exec, s[2:3]
; %bb.136:
	v_mov_b32_e32 v11, 0
; %bb.137:
	s_andn2_saveexec_b64 s[2:3], s[0:1]
	s_cbranch_execz .LBB1923_147
; %bb.138:
	v_lshl_or_b32 v2, s30, 8, v10
	v_mov_b32_e32 v3, 0
	v_lshlrev_b64 v[4:5], 2, v[2:3]
	v_mov_b32_e32 v9, s15
	v_add_co_u32_e64 v4, s[0:1], s14, v4
	v_addc_co_u32_e64 v5, s[0:1], v9, v5, s[0:1]
	v_or_b32_e32 v2, 2.0, v12
	s_mov_b64 s[4:5], 0
	s_brev_b32 s12, 1
	s_mov_b32 s13, s30
	v_mov_b32_e32 v8, 0
	global_store_dword v[4:5], v2, off
                                        ; implicit-def: $sgpr0_sgpr1
	s_branch .LBB1923_141
.LBB1923_139:                           ;   in Loop: Header=BB1923_141 Depth=1
	s_or_b64 exec, exec, s[8:9]
.LBB1923_140:                           ;   in Loop: Header=BB1923_141 Depth=1
	s_or_b64 exec, exec, s[6:7]
	v_and_b32_e32 v6, 0x3fffffff, v11
	v_add_u32_e32 v8, v6, v8
	v_cmp_eq_u32_e64 s[0:1], s12, v2
	s_and_b64 s[6:7], exec, s[0:1]
	s_or_b64 s[4:5], s[6:7], s[4:5]
	s_andn2_b64 exec, exec, s[4:5]
	s_cbranch_execz .LBB1923_146
.LBB1923_141:                           ; =>This Loop Header: Depth=1
                                        ;     Child Loop BB1923_144 Depth 2
	s_or_b64 s[0:1], s[0:1], exec
	s_cmp_eq_u32 s13, 0
	s_cbranch_scc1 .LBB1923_145
; %bb.142:                              ;   in Loop: Header=BB1923_141 Depth=1
	s_add_i32 s13, s13, -1
	v_lshl_or_b32 v2, s13, 8, v10
	v_lshlrev_b64 v[6:7], 2, v[2:3]
	v_add_co_u32_e64 v6, s[0:1], s14, v6
	v_addc_co_u32_e64 v7, s[0:1], v9, v7, s[0:1]
	global_load_dword v11, v[6:7], off glc
	s_waitcnt vmcnt(0)
	v_and_b32_e32 v2, -2.0, v11
	v_cmp_eq_u32_e64 s[0:1], 0, v2
	s_and_saveexec_b64 s[6:7], s[0:1]
	s_cbranch_execz .LBB1923_140
; %bb.143:                              ;   in Loop: Header=BB1923_141 Depth=1
	s_mov_b64 s[8:9], 0
.LBB1923_144:                           ;   Parent Loop BB1923_141 Depth=1
                                        ; =>  This Inner Loop Header: Depth=2
	global_load_dword v11, v[6:7], off glc
	s_waitcnt vmcnt(0)
	v_and_b32_e32 v2, -2.0, v11
	v_cmp_ne_u32_e64 s[0:1], 0, v2
	s_or_b64 s[8:9], s[0:1], s[8:9]
	s_andn2_b64 exec, exec, s[8:9]
	s_cbranch_execnz .LBB1923_144
	s_branch .LBB1923_139
.LBB1923_145:                           ;   in Loop: Header=BB1923_141 Depth=1
                                        ; implicit-def: $sgpr13
	s_and_b64 s[6:7], exec, s[0:1]
	s_or_b64 s[4:5], s[6:7], s[4:5]
	s_andn2_b64 exec, exec, s[4:5]
	s_cbranch_execnz .LBB1923_141
.LBB1923_146:
	s_or_b64 exec, exec, s[4:5]
	v_add_u32_e32 v2, v8, v12
	v_or_b32_e32 v2, 0x80000000, v2
	global_store_dword v[4:5], v2, off
	v_lshlrev_b32_e32 v4, 3, v10
	global_load_dwordx2 v[2:3], v4, s[16:17]
	v_sub_co_u32_e64 v5, s[0:1], v8, v0
	v_subb_co_u32_e64 v6, s[0:1], 0, v1, s[0:1]
	v_mov_b32_e32 v11, 0
	s_waitcnt vmcnt(0)
	v_add_co_u32_e64 v2, s[0:1], v5, v2
	v_addc_co_u32_e64 v3, s[0:1], v6, v3, s[0:1]
	ds_write_b64 v4, v[2:3]
.LBB1923_147:
	s_or_b64 exec, exec, s[2:3]
	v_lshlrev_b32_e32 v2, 1, v10
	s_waitcnt lgkmcnt(0)
	s_barrier
	ds_read_u16 v3, v2 offset:2048
	ds_read_u16 v8, v2 offset:4096
	;; [unrolled: 1-line block ×8, first 2 shown]
	s_waitcnt lgkmcnt(7)
	v_lshrrev_b32_sdwa v4, s20, v3 dst_sel:DWORD dst_unused:UNUSED_PAD src0_sel:DWORD src1_sel:WORD_0
	v_and_b32_e32 v4, s21, v4
	v_lshlrev_b32_e32 v4, 3, v4
	ds_read_b64 v[4:5], v4
	ds_read_u16 v23, v2 offset:18432
	ds_read_u16 v24, v2 offset:20480
	;; [unrolled: 1-line block ×4, first 2 shown]
	s_waitcnt lgkmcnt(4)
	v_lshlrev_b64 v[4:5], 1, v[4:5]
	v_mov_b32_e32 v6, s27
	v_add_co_u32_e64 v7, s[0:1], s26, v4
	v_addc_co_u32_e64 v9, s[0:1], v6, v5, s[0:1]
	v_lshlrev_b64 v[4:5], 1, v[10:11]
	v_add_co_u32_e64 v6, s[0:1], v7, v4
	v_xor_b32_e32 v3, -1, v3
	v_addc_co_u32_e64 v7, s[0:1], v9, v5, s[0:1]
	global_store_short v[6:7], v3, off
	v_lshrrev_b32_sdwa v6, s20, v13 dst_sel:DWORD dst_unused:UNUSED_PAD src0_sel:DWORD src1_sel:WORD_0
	v_and_b32_e32 v6, s21, v6
	v_lshrrev_b32_sdwa v3, s20, v8 dst_sel:DWORD dst_unused:UNUSED_PAD src0_sel:DWORD src1_sel:WORD_0
	v_xor_b32_e32 v27, -1, v8
	v_lshlrev_b32_e32 v8, 3, v6
	v_lshrrev_b32_sdwa v6, s20, v18 dst_sel:DWORD dst_unused:UNUSED_PAD src0_sel:DWORD src1_sel:WORD_0
	v_and_b32_e32 v3, s21, v3
	v_and_b32_e32 v6, s21, v6
	v_lshlrev_b32_e32 v3, 3, v3
	v_lshlrev_b32_e32 v14, 3, v6
	v_lshrrev_b32_sdwa v6, s20, v19 dst_sel:DWORD dst_unused:UNUSED_PAD src0_sel:DWORD src1_sel:WORD_0
	v_and_b32_e32 v9, s21, v6
	ds_read_b64 v[6:7], v3
	v_lshlrev_b32_e32 v3, 3, v9
	ds_read_b64 v[8:9], v8
	ds_read_b64 v[14:15], v14
	ds_read_b64 v[16:17], v3
	v_mov_b32_e32 v3, s27
	s_add_i32 s22, s22, -1
	s_waitcnt lgkmcnt(3)
	v_lshlrev_b64 v[6:7], 1, v[6:7]
	v_add_co_u32_e64 v6, s[0:1], s26, v6
	v_addc_co_u32_e64 v3, s[0:1], v3, v7, s[0:1]
	v_add_co_u32_e64 v4, s[0:1], v6, v4
	v_addc_co_u32_e64 v5, s[0:1], v3, v5, s[0:1]
	global_store_short v[4:5], v27, off offset:2048
	s_waitcnt lgkmcnt(2)
	v_lshlrev_b64 v[4:5], 1, v[8:9]
	v_mov_b32_e32 v6, s27
	v_add_co_u32_e64 v4, s[0:1], s26, v4
	v_addc_co_u32_e64 v5, s[0:1], v6, v5, s[0:1]
	v_or_b32_e32 v6, 0x1000, v2
	v_add_co_u32_e64 v4, s[0:1], v4, v6
	v_xor_b32_e32 v3, -1, v13
	v_addc_co_u32_e64 v5, s[0:1], 0, v5, s[0:1]
	global_store_short v[4:5], v3, off
	s_waitcnt lgkmcnt(1)
	v_lshlrev_b64 v[4:5], 1, v[14:15]
	v_mov_b32_e32 v6, s27
	v_add_co_u32_e64 v4, s[0:1], s26, v4
	v_addc_co_u32_e64 v5, s[0:1], v6, v5, s[0:1]
	v_or_b32_e32 v6, 0x1800, v2
	v_add_co_u32_e64 v4, s[0:1], v4, v6
	v_xor_b32_e32 v3, -1, v18
	v_addc_co_u32_e64 v5, s[0:1], 0, v5, s[0:1]
	global_store_short v[4:5], v3, off
	;; [unrolled: 10-line block ×3, first 2 shown]
	v_lshrrev_b32_sdwa v4, s20, v21 dst_sel:DWORD dst_unused:UNUSED_PAD src0_sel:DWORD src1_sel:WORD_0
	v_and_b32_e32 v4, s21, v4
	v_lshrrev_b32_sdwa v3, s20, v20 dst_sel:DWORD dst_unused:UNUSED_PAD src0_sel:DWORD src1_sel:WORD_0
	v_lshlrev_b32_e32 v6, 3, v4
	v_lshrrev_b32_sdwa v4, s20, v22 dst_sel:DWORD dst_unused:UNUSED_PAD src0_sel:DWORD src1_sel:WORD_0
	v_and_b32_e32 v3, s21, v3
	v_and_b32_e32 v4, s21, v4
	v_lshlrev_b32_e32 v3, 3, v3
	v_lshlrev_b32_e32 v8, 3, v4
	v_lshrrev_b32_sdwa v4, s20, v23 dst_sel:DWORD dst_unused:UNUSED_PAD src0_sel:DWORD src1_sel:WORD_0
	v_and_b32_e32 v7, s21, v4
	ds_read_b64 v[4:5], v3
	v_lshlrev_b32_e32 v3, 3, v7
	ds_read_b64 v[6:7], v6
	ds_read_b64 v[8:9], v8
	;; [unrolled: 1-line block ×3, first 2 shown]
	v_mov_b32_e32 v3, s27
	v_xor_b32_e32 v13, -1, v20
	s_waitcnt lgkmcnt(3)
	v_lshlrev_b64 v[4:5], 1, v[4:5]
	v_add_co_u32_e64 v4, s[0:1], s26, v4
	v_addc_co_u32_e64 v3, s[0:1], v3, v5, s[0:1]
	v_or_b32_e32 v5, 0x2800, v2
	v_add_co_u32_e64 v4, s[0:1], v4, v5
	v_addc_co_u32_e64 v5, s[0:1], 0, v3, s[0:1]
	global_store_short v[4:5], v13, off
	s_waitcnt lgkmcnt(2)
	v_lshlrev_b64 v[4:5], 1, v[6:7]
	v_mov_b32_e32 v6, s27
	v_add_co_u32_e64 v4, s[0:1], s26, v4
	v_addc_co_u32_e64 v5, s[0:1], v6, v5, s[0:1]
	v_or_b32_e32 v6, 0x3000, v2
	v_add_co_u32_e64 v4, s[0:1], v4, v6
	v_xor_b32_e32 v3, -1, v21
	v_addc_co_u32_e64 v5, s[0:1], 0, v5, s[0:1]
	global_store_short v[4:5], v3, off
	s_waitcnt lgkmcnt(1)
	v_lshlrev_b64 v[4:5], 1, v[8:9]
	v_mov_b32_e32 v6, s27
	v_add_co_u32_e64 v4, s[0:1], s26, v4
	v_addc_co_u32_e64 v5, s[0:1], v6, v5, s[0:1]
	v_or_b32_e32 v6, 0x3800, v2
	v_add_co_u32_e64 v4, s[0:1], v4, v6
	v_xor_b32_e32 v3, -1, v22
	;; [unrolled: 10-line block ×3, first 2 shown]
	v_addc_co_u32_e64 v5, s[0:1], 0, v5, s[0:1]
	global_store_short v[4:5], v3, off
	v_lshrrev_b32_sdwa v3, s20, v24 dst_sel:DWORD dst_unused:UNUSED_PAD src0_sel:DWORD src1_sel:WORD_0
	v_and_b32_e32 v3, s21, v3
	v_lshrrev_b32_sdwa v4, s20, v25 dst_sel:DWORD dst_unused:UNUSED_PAD src0_sel:DWORD src1_sel:WORD_0
	v_lshlrev_b32_e32 v3, 3, v3
	v_and_b32_e32 v4, s21, v4
	v_lshlrev_b32_e32 v6, 3, v4
	ds_read_b64 v[4:5], v3
	v_lshrrev_b32_sdwa v7, s20, v26 dst_sel:DWORD dst_unused:UNUSED_PAD src0_sel:DWORD src1_sel:WORD_0
	v_and_b32_e32 v3, s21, v7
	v_lshlrev_b32_e32 v3, 3, v3
	ds_read_b64 v[6:7], v6
	ds_read_b64 v[8:9], v3
	s_waitcnt lgkmcnt(2)
	v_lshlrev_b64 v[4:5], 1, v[4:5]
	v_mov_b32_e32 v3, s27
	v_add_co_u32_e64 v4, s[0:1], s26, v4
	v_addc_co_u32_e64 v3, s[0:1], v3, v5, s[0:1]
	v_or_b32_e32 v5, 0x4800, v2
	v_add_co_u32_e64 v4, s[0:1], v4, v5
	v_xor_b32_e32 v13, -1, v24
	v_addc_co_u32_e64 v5, s[0:1], 0, v3, s[0:1]
	global_store_short v[4:5], v13, off
	s_waitcnt lgkmcnt(1)
	v_lshlrev_b64 v[4:5], 1, v[6:7]
	v_mov_b32_e32 v6, s27
	v_add_co_u32_e64 v4, s[0:1], s26, v4
	v_addc_co_u32_e64 v5, s[0:1], v6, v5, s[0:1]
	v_or_b32_e32 v6, 0x5000, v2
	v_add_co_u32_e64 v4, s[0:1], v4, v6
	v_xor_b32_e32 v3, -1, v25
	v_addc_co_u32_e64 v5, s[0:1], 0, v5, s[0:1]
	global_store_short v[4:5], v3, off
	s_waitcnt lgkmcnt(0)
	v_lshlrev_b64 v[4:5], 1, v[8:9]
	v_mov_b32_e32 v3, s27
	v_add_co_u32_e64 v4, s[0:1], s26, v4
	v_addc_co_u32_e64 v3, s[0:1], v3, v5, s[0:1]
	v_or_b32_e32 v2, 0x5800, v2
	v_add_co_u32_e64 v2, s[0:1], v4, v2
	v_addc_co_u32_e64 v3, s[0:1], 0, v3, s[0:1]
	s_cmp_eq_u32 s22, s30
	s_cselect_b64 s[0:1], -1, 0
	v_xor_b32_e32 v6, -1, v26
	s_and_b64 s[2:3], vcc, s[0:1]
	global_store_short v[2:3], v6, off
                                        ; implicit-def: $vgpr4_vgpr5
	s_and_saveexec_b64 s[0:1], s[2:3]
; %bb.148:
	v_add_co_u32_e32 v4, vcc, v0, v12
	v_addc_co_u32_e32 v5, vcc, 0, v1, vcc
	s_or_b64 s[10:11], s[10:11], exec
; %bb.149:
	s_or_b64 exec, exec, s[0:1]
.LBB1923_150:
	s_and_saveexec_b64 s[0:1], s[10:11]
	s_cbranch_execnz .LBB1923_152
; %bb.151:
	s_endpgm
.LBB1923_152:
	v_lshlrev_b32_e32 v2, 3, v10
	ds_read_b64 v[2:3], v2
	v_lshlrev_b64 v[0:1], 3, v[10:11]
	v_mov_b32_e32 v6, s19
	v_add_co_u32_e32 v0, vcc, s18, v0
	v_addc_co_u32_e32 v1, vcc, v6, v1, vcc
	s_waitcnt lgkmcnt(0)
	v_add_co_u32_e32 v2, vcc, v2, v4
	v_addc_co_u32_e32 v3, vcc, v3, v5, vcc
	global_store_dwordx2 v[0:1], v[2:3], off
	s_endpgm
	.section	.rodata,"a",@progbits
	.p2align	6, 0x0
	.amdhsa_kernel _ZN7rocprim17ROCPRIM_400000_NS6detail17trampoline_kernelINS0_14default_configENS1_35radix_sort_onesweep_config_selectorItNS0_10empty_typeEEEZZNS1_29radix_sort_onesweep_iterationIS3_Lb1EPtS8_PS5_S9_mNS0_19identity_decomposerENS1_16block_id_wrapperIjLb1EEEEE10hipError_tT1_PNSt15iterator_traitsISE_E10value_typeET2_T3_PNSF_ISK_E10value_typeET4_T5_PSP_SQ_PNS1_23onesweep_lookback_stateEbbT6_jjT7_P12ihipStream_tbENKUlT_T0_SE_SJ_E_clIS8_S8_S9_S9_EEDaSX_SY_SE_SJ_EUlSX_E_NS1_11comp_targetILNS1_3genE4ELNS1_11target_archE910ELNS1_3gpuE8ELNS1_3repE0EEENS1_47radix_sort_onesweep_sort_config_static_selectorELNS0_4arch9wavefront6targetE1EEEvSE_
		.amdhsa_group_segment_fixed_size 26632
		.amdhsa_private_segment_fixed_size 0
		.amdhsa_kernarg_size 344
		.amdhsa_user_sgpr_count 6
		.amdhsa_user_sgpr_private_segment_buffer 1
		.amdhsa_user_sgpr_dispatch_ptr 0
		.amdhsa_user_sgpr_queue_ptr 0
		.amdhsa_user_sgpr_kernarg_segment_ptr 1
		.amdhsa_user_sgpr_dispatch_id 0
		.amdhsa_user_sgpr_flat_scratch_init 0
		.amdhsa_user_sgpr_kernarg_preload_length 0
		.amdhsa_user_sgpr_kernarg_preload_offset 0
		.amdhsa_user_sgpr_private_segment_size 0
		.amdhsa_uses_dynamic_stack 0
		.amdhsa_system_sgpr_private_segment_wavefront_offset 0
		.amdhsa_system_sgpr_workgroup_id_x 1
		.amdhsa_system_sgpr_workgroup_id_y 0
		.amdhsa_system_sgpr_workgroup_id_z 0
		.amdhsa_system_sgpr_workgroup_info 0
		.amdhsa_system_vgpr_workitem_id 2
		.amdhsa_next_free_vgpr 62
		.amdhsa_next_free_sgpr 35
		.amdhsa_accum_offset 64
		.amdhsa_reserve_vcc 1
		.amdhsa_reserve_flat_scratch 0
		.amdhsa_float_round_mode_32 0
		.amdhsa_float_round_mode_16_64 0
		.amdhsa_float_denorm_mode_32 3
		.amdhsa_float_denorm_mode_16_64 3
		.amdhsa_dx10_clamp 1
		.amdhsa_ieee_mode 1
		.amdhsa_fp16_overflow 0
		.amdhsa_tg_split 0
		.amdhsa_exception_fp_ieee_invalid_op 0
		.amdhsa_exception_fp_denorm_src 0
		.amdhsa_exception_fp_ieee_div_zero 0
		.amdhsa_exception_fp_ieee_overflow 0
		.amdhsa_exception_fp_ieee_underflow 0
		.amdhsa_exception_fp_ieee_inexact 0
		.amdhsa_exception_int_div_zero 0
	.end_amdhsa_kernel
	.section	.text._ZN7rocprim17ROCPRIM_400000_NS6detail17trampoline_kernelINS0_14default_configENS1_35radix_sort_onesweep_config_selectorItNS0_10empty_typeEEEZZNS1_29radix_sort_onesweep_iterationIS3_Lb1EPtS8_PS5_S9_mNS0_19identity_decomposerENS1_16block_id_wrapperIjLb1EEEEE10hipError_tT1_PNSt15iterator_traitsISE_E10value_typeET2_T3_PNSF_ISK_E10value_typeET4_T5_PSP_SQ_PNS1_23onesweep_lookback_stateEbbT6_jjT7_P12ihipStream_tbENKUlT_T0_SE_SJ_E_clIS8_S8_S9_S9_EEDaSX_SY_SE_SJ_EUlSX_E_NS1_11comp_targetILNS1_3genE4ELNS1_11target_archE910ELNS1_3gpuE8ELNS1_3repE0EEENS1_47radix_sort_onesweep_sort_config_static_selectorELNS0_4arch9wavefront6targetE1EEEvSE_,"axG",@progbits,_ZN7rocprim17ROCPRIM_400000_NS6detail17trampoline_kernelINS0_14default_configENS1_35radix_sort_onesweep_config_selectorItNS0_10empty_typeEEEZZNS1_29radix_sort_onesweep_iterationIS3_Lb1EPtS8_PS5_S9_mNS0_19identity_decomposerENS1_16block_id_wrapperIjLb1EEEEE10hipError_tT1_PNSt15iterator_traitsISE_E10value_typeET2_T3_PNSF_ISK_E10value_typeET4_T5_PSP_SQ_PNS1_23onesweep_lookback_stateEbbT6_jjT7_P12ihipStream_tbENKUlT_T0_SE_SJ_E_clIS8_S8_S9_S9_EEDaSX_SY_SE_SJ_EUlSX_E_NS1_11comp_targetILNS1_3genE4ELNS1_11target_archE910ELNS1_3gpuE8ELNS1_3repE0EEENS1_47radix_sort_onesweep_sort_config_static_selectorELNS0_4arch9wavefront6targetE1EEEvSE_,comdat
.Lfunc_end1923:
	.size	_ZN7rocprim17ROCPRIM_400000_NS6detail17trampoline_kernelINS0_14default_configENS1_35radix_sort_onesweep_config_selectorItNS0_10empty_typeEEEZZNS1_29radix_sort_onesweep_iterationIS3_Lb1EPtS8_PS5_S9_mNS0_19identity_decomposerENS1_16block_id_wrapperIjLb1EEEEE10hipError_tT1_PNSt15iterator_traitsISE_E10value_typeET2_T3_PNSF_ISK_E10value_typeET4_T5_PSP_SQ_PNS1_23onesweep_lookback_stateEbbT6_jjT7_P12ihipStream_tbENKUlT_T0_SE_SJ_E_clIS8_S8_S9_S9_EEDaSX_SY_SE_SJ_EUlSX_E_NS1_11comp_targetILNS1_3genE4ELNS1_11target_archE910ELNS1_3gpuE8ELNS1_3repE0EEENS1_47radix_sort_onesweep_sort_config_static_selectorELNS0_4arch9wavefront6targetE1EEEvSE_, .Lfunc_end1923-_ZN7rocprim17ROCPRIM_400000_NS6detail17trampoline_kernelINS0_14default_configENS1_35radix_sort_onesweep_config_selectorItNS0_10empty_typeEEEZZNS1_29radix_sort_onesweep_iterationIS3_Lb1EPtS8_PS5_S9_mNS0_19identity_decomposerENS1_16block_id_wrapperIjLb1EEEEE10hipError_tT1_PNSt15iterator_traitsISE_E10value_typeET2_T3_PNSF_ISK_E10value_typeET4_T5_PSP_SQ_PNS1_23onesweep_lookback_stateEbbT6_jjT7_P12ihipStream_tbENKUlT_T0_SE_SJ_E_clIS8_S8_S9_S9_EEDaSX_SY_SE_SJ_EUlSX_E_NS1_11comp_targetILNS1_3genE4ELNS1_11target_archE910ELNS1_3gpuE8ELNS1_3repE0EEENS1_47radix_sort_onesweep_sort_config_static_selectorELNS0_4arch9wavefront6targetE1EEEvSE_
                                        ; -- End function
	.section	.AMDGPU.csdata,"",@progbits
; Kernel info:
; codeLenInByte = 16224
; NumSgprs: 39
; NumVgprs: 62
; NumAgprs: 0
; TotalNumVgprs: 62
; ScratchSize: 0
; MemoryBound: 0
; FloatMode: 240
; IeeeMode: 1
; LDSByteSize: 26632 bytes/workgroup (compile time only)
; SGPRBlocks: 4
; VGPRBlocks: 7
; NumSGPRsForWavesPerEU: 39
; NumVGPRsForWavesPerEU: 62
; AccumOffset: 64
; Occupancy: 8
; WaveLimiterHint : 1
; COMPUTE_PGM_RSRC2:SCRATCH_EN: 0
; COMPUTE_PGM_RSRC2:USER_SGPR: 6
; COMPUTE_PGM_RSRC2:TRAP_HANDLER: 0
; COMPUTE_PGM_RSRC2:TGID_X_EN: 1
; COMPUTE_PGM_RSRC2:TGID_Y_EN: 0
; COMPUTE_PGM_RSRC2:TGID_Z_EN: 0
; COMPUTE_PGM_RSRC2:TIDIG_COMP_CNT: 2
; COMPUTE_PGM_RSRC3_GFX90A:ACCUM_OFFSET: 15
; COMPUTE_PGM_RSRC3_GFX90A:TG_SPLIT: 0
	.section	.text._ZN7rocprim17ROCPRIM_400000_NS6detail17trampoline_kernelINS0_14default_configENS1_35radix_sort_onesweep_config_selectorItNS0_10empty_typeEEEZZNS1_29radix_sort_onesweep_iterationIS3_Lb1EPtS8_PS5_S9_mNS0_19identity_decomposerENS1_16block_id_wrapperIjLb1EEEEE10hipError_tT1_PNSt15iterator_traitsISE_E10value_typeET2_T3_PNSF_ISK_E10value_typeET4_T5_PSP_SQ_PNS1_23onesweep_lookback_stateEbbT6_jjT7_P12ihipStream_tbENKUlT_T0_SE_SJ_E_clIS8_S8_S9_S9_EEDaSX_SY_SE_SJ_EUlSX_E_NS1_11comp_targetILNS1_3genE3ELNS1_11target_archE908ELNS1_3gpuE7ELNS1_3repE0EEENS1_47radix_sort_onesweep_sort_config_static_selectorELNS0_4arch9wavefront6targetE1EEEvSE_,"axG",@progbits,_ZN7rocprim17ROCPRIM_400000_NS6detail17trampoline_kernelINS0_14default_configENS1_35radix_sort_onesweep_config_selectorItNS0_10empty_typeEEEZZNS1_29radix_sort_onesweep_iterationIS3_Lb1EPtS8_PS5_S9_mNS0_19identity_decomposerENS1_16block_id_wrapperIjLb1EEEEE10hipError_tT1_PNSt15iterator_traitsISE_E10value_typeET2_T3_PNSF_ISK_E10value_typeET4_T5_PSP_SQ_PNS1_23onesweep_lookback_stateEbbT6_jjT7_P12ihipStream_tbENKUlT_T0_SE_SJ_E_clIS8_S8_S9_S9_EEDaSX_SY_SE_SJ_EUlSX_E_NS1_11comp_targetILNS1_3genE3ELNS1_11target_archE908ELNS1_3gpuE7ELNS1_3repE0EEENS1_47radix_sort_onesweep_sort_config_static_selectorELNS0_4arch9wavefront6targetE1EEEvSE_,comdat
	.protected	_ZN7rocprim17ROCPRIM_400000_NS6detail17trampoline_kernelINS0_14default_configENS1_35radix_sort_onesweep_config_selectorItNS0_10empty_typeEEEZZNS1_29radix_sort_onesweep_iterationIS3_Lb1EPtS8_PS5_S9_mNS0_19identity_decomposerENS1_16block_id_wrapperIjLb1EEEEE10hipError_tT1_PNSt15iterator_traitsISE_E10value_typeET2_T3_PNSF_ISK_E10value_typeET4_T5_PSP_SQ_PNS1_23onesweep_lookback_stateEbbT6_jjT7_P12ihipStream_tbENKUlT_T0_SE_SJ_E_clIS8_S8_S9_S9_EEDaSX_SY_SE_SJ_EUlSX_E_NS1_11comp_targetILNS1_3genE3ELNS1_11target_archE908ELNS1_3gpuE7ELNS1_3repE0EEENS1_47radix_sort_onesweep_sort_config_static_selectorELNS0_4arch9wavefront6targetE1EEEvSE_ ; -- Begin function _ZN7rocprim17ROCPRIM_400000_NS6detail17trampoline_kernelINS0_14default_configENS1_35radix_sort_onesweep_config_selectorItNS0_10empty_typeEEEZZNS1_29radix_sort_onesweep_iterationIS3_Lb1EPtS8_PS5_S9_mNS0_19identity_decomposerENS1_16block_id_wrapperIjLb1EEEEE10hipError_tT1_PNSt15iterator_traitsISE_E10value_typeET2_T3_PNSF_ISK_E10value_typeET4_T5_PSP_SQ_PNS1_23onesweep_lookback_stateEbbT6_jjT7_P12ihipStream_tbENKUlT_T0_SE_SJ_E_clIS8_S8_S9_S9_EEDaSX_SY_SE_SJ_EUlSX_E_NS1_11comp_targetILNS1_3genE3ELNS1_11target_archE908ELNS1_3gpuE7ELNS1_3repE0EEENS1_47radix_sort_onesweep_sort_config_static_selectorELNS0_4arch9wavefront6targetE1EEEvSE_
	.globl	_ZN7rocprim17ROCPRIM_400000_NS6detail17trampoline_kernelINS0_14default_configENS1_35radix_sort_onesweep_config_selectorItNS0_10empty_typeEEEZZNS1_29radix_sort_onesweep_iterationIS3_Lb1EPtS8_PS5_S9_mNS0_19identity_decomposerENS1_16block_id_wrapperIjLb1EEEEE10hipError_tT1_PNSt15iterator_traitsISE_E10value_typeET2_T3_PNSF_ISK_E10value_typeET4_T5_PSP_SQ_PNS1_23onesweep_lookback_stateEbbT6_jjT7_P12ihipStream_tbENKUlT_T0_SE_SJ_E_clIS8_S8_S9_S9_EEDaSX_SY_SE_SJ_EUlSX_E_NS1_11comp_targetILNS1_3genE3ELNS1_11target_archE908ELNS1_3gpuE7ELNS1_3repE0EEENS1_47radix_sort_onesweep_sort_config_static_selectorELNS0_4arch9wavefront6targetE1EEEvSE_
	.p2align	8
	.type	_ZN7rocprim17ROCPRIM_400000_NS6detail17trampoline_kernelINS0_14default_configENS1_35radix_sort_onesweep_config_selectorItNS0_10empty_typeEEEZZNS1_29radix_sort_onesweep_iterationIS3_Lb1EPtS8_PS5_S9_mNS0_19identity_decomposerENS1_16block_id_wrapperIjLb1EEEEE10hipError_tT1_PNSt15iterator_traitsISE_E10value_typeET2_T3_PNSF_ISK_E10value_typeET4_T5_PSP_SQ_PNS1_23onesweep_lookback_stateEbbT6_jjT7_P12ihipStream_tbENKUlT_T0_SE_SJ_E_clIS8_S8_S9_S9_EEDaSX_SY_SE_SJ_EUlSX_E_NS1_11comp_targetILNS1_3genE3ELNS1_11target_archE908ELNS1_3gpuE7ELNS1_3repE0EEENS1_47radix_sort_onesweep_sort_config_static_selectorELNS0_4arch9wavefront6targetE1EEEvSE_,@function
_ZN7rocprim17ROCPRIM_400000_NS6detail17trampoline_kernelINS0_14default_configENS1_35radix_sort_onesweep_config_selectorItNS0_10empty_typeEEEZZNS1_29radix_sort_onesweep_iterationIS3_Lb1EPtS8_PS5_S9_mNS0_19identity_decomposerENS1_16block_id_wrapperIjLb1EEEEE10hipError_tT1_PNSt15iterator_traitsISE_E10value_typeET2_T3_PNSF_ISK_E10value_typeET4_T5_PSP_SQ_PNS1_23onesweep_lookback_stateEbbT6_jjT7_P12ihipStream_tbENKUlT_T0_SE_SJ_E_clIS8_S8_S9_S9_EEDaSX_SY_SE_SJ_EUlSX_E_NS1_11comp_targetILNS1_3genE3ELNS1_11target_archE908ELNS1_3gpuE7ELNS1_3repE0EEENS1_47radix_sort_onesweep_sort_config_static_selectorELNS0_4arch9wavefront6targetE1EEEvSE_: ; @_ZN7rocprim17ROCPRIM_400000_NS6detail17trampoline_kernelINS0_14default_configENS1_35radix_sort_onesweep_config_selectorItNS0_10empty_typeEEEZZNS1_29radix_sort_onesweep_iterationIS3_Lb1EPtS8_PS5_S9_mNS0_19identity_decomposerENS1_16block_id_wrapperIjLb1EEEEE10hipError_tT1_PNSt15iterator_traitsISE_E10value_typeET2_T3_PNSF_ISK_E10value_typeET4_T5_PSP_SQ_PNS1_23onesweep_lookback_stateEbbT6_jjT7_P12ihipStream_tbENKUlT_T0_SE_SJ_E_clIS8_S8_S9_S9_EEDaSX_SY_SE_SJ_EUlSX_E_NS1_11comp_targetILNS1_3genE3ELNS1_11target_archE908ELNS1_3gpuE7ELNS1_3repE0EEENS1_47radix_sort_onesweep_sort_config_static_selectorELNS0_4arch9wavefront6targetE1EEEvSE_
; %bb.0:
	.section	.rodata,"a",@progbits
	.p2align	6, 0x0
	.amdhsa_kernel _ZN7rocprim17ROCPRIM_400000_NS6detail17trampoline_kernelINS0_14default_configENS1_35radix_sort_onesweep_config_selectorItNS0_10empty_typeEEEZZNS1_29radix_sort_onesweep_iterationIS3_Lb1EPtS8_PS5_S9_mNS0_19identity_decomposerENS1_16block_id_wrapperIjLb1EEEEE10hipError_tT1_PNSt15iterator_traitsISE_E10value_typeET2_T3_PNSF_ISK_E10value_typeET4_T5_PSP_SQ_PNS1_23onesweep_lookback_stateEbbT6_jjT7_P12ihipStream_tbENKUlT_T0_SE_SJ_E_clIS8_S8_S9_S9_EEDaSX_SY_SE_SJ_EUlSX_E_NS1_11comp_targetILNS1_3genE3ELNS1_11target_archE908ELNS1_3gpuE7ELNS1_3repE0EEENS1_47radix_sort_onesweep_sort_config_static_selectorELNS0_4arch9wavefront6targetE1EEEvSE_
		.amdhsa_group_segment_fixed_size 0
		.amdhsa_private_segment_fixed_size 0
		.amdhsa_kernarg_size 88
		.amdhsa_user_sgpr_count 6
		.amdhsa_user_sgpr_private_segment_buffer 1
		.amdhsa_user_sgpr_dispatch_ptr 0
		.amdhsa_user_sgpr_queue_ptr 0
		.amdhsa_user_sgpr_kernarg_segment_ptr 1
		.amdhsa_user_sgpr_dispatch_id 0
		.amdhsa_user_sgpr_flat_scratch_init 0
		.amdhsa_user_sgpr_kernarg_preload_length 0
		.amdhsa_user_sgpr_kernarg_preload_offset 0
		.amdhsa_user_sgpr_private_segment_size 0
		.amdhsa_uses_dynamic_stack 0
		.amdhsa_system_sgpr_private_segment_wavefront_offset 0
		.amdhsa_system_sgpr_workgroup_id_x 1
		.amdhsa_system_sgpr_workgroup_id_y 0
		.amdhsa_system_sgpr_workgroup_id_z 0
		.amdhsa_system_sgpr_workgroup_info 0
		.amdhsa_system_vgpr_workitem_id 0
		.amdhsa_next_free_vgpr 1
		.amdhsa_next_free_sgpr 0
		.amdhsa_accum_offset 4
		.amdhsa_reserve_vcc 0
		.amdhsa_reserve_flat_scratch 0
		.amdhsa_float_round_mode_32 0
		.amdhsa_float_round_mode_16_64 0
		.amdhsa_float_denorm_mode_32 3
		.amdhsa_float_denorm_mode_16_64 3
		.amdhsa_dx10_clamp 1
		.amdhsa_ieee_mode 1
		.amdhsa_fp16_overflow 0
		.amdhsa_tg_split 0
		.amdhsa_exception_fp_ieee_invalid_op 0
		.amdhsa_exception_fp_denorm_src 0
		.amdhsa_exception_fp_ieee_div_zero 0
		.amdhsa_exception_fp_ieee_overflow 0
		.amdhsa_exception_fp_ieee_underflow 0
		.amdhsa_exception_fp_ieee_inexact 0
		.amdhsa_exception_int_div_zero 0
	.end_amdhsa_kernel
	.section	.text._ZN7rocprim17ROCPRIM_400000_NS6detail17trampoline_kernelINS0_14default_configENS1_35radix_sort_onesweep_config_selectorItNS0_10empty_typeEEEZZNS1_29radix_sort_onesweep_iterationIS3_Lb1EPtS8_PS5_S9_mNS0_19identity_decomposerENS1_16block_id_wrapperIjLb1EEEEE10hipError_tT1_PNSt15iterator_traitsISE_E10value_typeET2_T3_PNSF_ISK_E10value_typeET4_T5_PSP_SQ_PNS1_23onesweep_lookback_stateEbbT6_jjT7_P12ihipStream_tbENKUlT_T0_SE_SJ_E_clIS8_S8_S9_S9_EEDaSX_SY_SE_SJ_EUlSX_E_NS1_11comp_targetILNS1_3genE3ELNS1_11target_archE908ELNS1_3gpuE7ELNS1_3repE0EEENS1_47radix_sort_onesweep_sort_config_static_selectorELNS0_4arch9wavefront6targetE1EEEvSE_,"axG",@progbits,_ZN7rocprim17ROCPRIM_400000_NS6detail17trampoline_kernelINS0_14default_configENS1_35radix_sort_onesweep_config_selectorItNS0_10empty_typeEEEZZNS1_29radix_sort_onesweep_iterationIS3_Lb1EPtS8_PS5_S9_mNS0_19identity_decomposerENS1_16block_id_wrapperIjLb1EEEEE10hipError_tT1_PNSt15iterator_traitsISE_E10value_typeET2_T3_PNSF_ISK_E10value_typeET4_T5_PSP_SQ_PNS1_23onesweep_lookback_stateEbbT6_jjT7_P12ihipStream_tbENKUlT_T0_SE_SJ_E_clIS8_S8_S9_S9_EEDaSX_SY_SE_SJ_EUlSX_E_NS1_11comp_targetILNS1_3genE3ELNS1_11target_archE908ELNS1_3gpuE7ELNS1_3repE0EEENS1_47radix_sort_onesweep_sort_config_static_selectorELNS0_4arch9wavefront6targetE1EEEvSE_,comdat
.Lfunc_end1924:
	.size	_ZN7rocprim17ROCPRIM_400000_NS6detail17trampoline_kernelINS0_14default_configENS1_35radix_sort_onesweep_config_selectorItNS0_10empty_typeEEEZZNS1_29radix_sort_onesweep_iterationIS3_Lb1EPtS8_PS5_S9_mNS0_19identity_decomposerENS1_16block_id_wrapperIjLb1EEEEE10hipError_tT1_PNSt15iterator_traitsISE_E10value_typeET2_T3_PNSF_ISK_E10value_typeET4_T5_PSP_SQ_PNS1_23onesweep_lookback_stateEbbT6_jjT7_P12ihipStream_tbENKUlT_T0_SE_SJ_E_clIS8_S8_S9_S9_EEDaSX_SY_SE_SJ_EUlSX_E_NS1_11comp_targetILNS1_3genE3ELNS1_11target_archE908ELNS1_3gpuE7ELNS1_3repE0EEENS1_47radix_sort_onesweep_sort_config_static_selectorELNS0_4arch9wavefront6targetE1EEEvSE_, .Lfunc_end1924-_ZN7rocprim17ROCPRIM_400000_NS6detail17trampoline_kernelINS0_14default_configENS1_35radix_sort_onesweep_config_selectorItNS0_10empty_typeEEEZZNS1_29radix_sort_onesweep_iterationIS3_Lb1EPtS8_PS5_S9_mNS0_19identity_decomposerENS1_16block_id_wrapperIjLb1EEEEE10hipError_tT1_PNSt15iterator_traitsISE_E10value_typeET2_T3_PNSF_ISK_E10value_typeET4_T5_PSP_SQ_PNS1_23onesweep_lookback_stateEbbT6_jjT7_P12ihipStream_tbENKUlT_T0_SE_SJ_E_clIS8_S8_S9_S9_EEDaSX_SY_SE_SJ_EUlSX_E_NS1_11comp_targetILNS1_3genE3ELNS1_11target_archE908ELNS1_3gpuE7ELNS1_3repE0EEENS1_47radix_sort_onesweep_sort_config_static_selectorELNS0_4arch9wavefront6targetE1EEEvSE_
                                        ; -- End function
	.section	.AMDGPU.csdata,"",@progbits
; Kernel info:
; codeLenInByte = 0
; NumSgprs: 4
; NumVgprs: 0
; NumAgprs: 0
; TotalNumVgprs: 0
; ScratchSize: 0
; MemoryBound: 0
; FloatMode: 240
; IeeeMode: 1
; LDSByteSize: 0 bytes/workgroup (compile time only)
; SGPRBlocks: 0
; VGPRBlocks: 0
; NumSGPRsForWavesPerEU: 4
; NumVGPRsForWavesPerEU: 1
; AccumOffset: 4
; Occupancy: 8
; WaveLimiterHint : 0
; COMPUTE_PGM_RSRC2:SCRATCH_EN: 0
; COMPUTE_PGM_RSRC2:USER_SGPR: 6
; COMPUTE_PGM_RSRC2:TRAP_HANDLER: 0
; COMPUTE_PGM_RSRC2:TGID_X_EN: 1
; COMPUTE_PGM_RSRC2:TGID_Y_EN: 0
; COMPUTE_PGM_RSRC2:TGID_Z_EN: 0
; COMPUTE_PGM_RSRC2:TIDIG_COMP_CNT: 0
; COMPUTE_PGM_RSRC3_GFX90A:ACCUM_OFFSET: 0
; COMPUTE_PGM_RSRC3_GFX90A:TG_SPLIT: 0
	.section	.text._ZN7rocprim17ROCPRIM_400000_NS6detail17trampoline_kernelINS0_14default_configENS1_35radix_sort_onesweep_config_selectorItNS0_10empty_typeEEEZZNS1_29radix_sort_onesweep_iterationIS3_Lb1EPtS8_PS5_S9_mNS0_19identity_decomposerENS1_16block_id_wrapperIjLb1EEEEE10hipError_tT1_PNSt15iterator_traitsISE_E10value_typeET2_T3_PNSF_ISK_E10value_typeET4_T5_PSP_SQ_PNS1_23onesweep_lookback_stateEbbT6_jjT7_P12ihipStream_tbENKUlT_T0_SE_SJ_E_clIS8_S8_S9_S9_EEDaSX_SY_SE_SJ_EUlSX_E_NS1_11comp_targetILNS1_3genE10ELNS1_11target_archE1201ELNS1_3gpuE5ELNS1_3repE0EEENS1_47radix_sort_onesweep_sort_config_static_selectorELNS0_4arch9wavefront6targetE1EEEvSE_,"axG",@progbits,_ZN7rocprim17ROCPRIM_400000_NS6detail17trampoline_kernelINS0_14default_configENS1_35radix_sort_onesweep_config_selectorItNS0_10empty_typeEEEZZNS1_29radix_sort_onesweep_iterationIS3_Lb1EPtS8_PS5_S9_mNS0_19identity_decomposerENS1_16block_id_wrapperIjLb1EEEEE10hipError_tT1_PNSt15iterator_traitsISE_E10value_typeET2_T3_PNSF_ISK_E10value_typeET4_T5_PSP_SQ_PNS1_23onesweep_lookback_stateEbbT6_jjT7_P12ihipStream_tbENKUlT_T0_SE_SJ_E_clIS8_S8_S9_S9_EEDaSX_SY_SE_SJ_EUlSX_E_NS1_11comp_targetILNS1_3genE10ELNS1_11target_archE1201ELNS1_3gpuE5ELNS1_3repE0EEENS1_47radix_sort_onesweep_sort_config_static_selectorELNS0_4arch9wavefront6targetE1EEEvSE_,comdat
	.protected	_ZN7rocprim17ROCPRIM_400000_NS6detail17trampoline_kernelINS0_14default_configENS1_35radix_sort_onesweep_config_selectorItNS0_10empty_typeEEEZZNS1_29radix_sort_onesweep_iterationIS3_Lb1EPtS8_PS5_S9_mNS0_19identity_decomposerENS1_16block_id_wrapperIjLb1EEEEE10hipError_tT1_PNSt15iterator_traitsISE_E10value_typeET2_T3_PNSF_ISK_E10value_typeET4_T5_PSP_SQ_PNS1_23onesweep_lookback_stateEbbT6_jjT7_P12ihipStream_tbENKUlT_T0_SE_SJ_E_clIS8_S8_S9_S9_EEDaSX_SY_SE_SJ_EUlSX_E_NS1_11comp_targetILNS1_3genE10ELNS1_11target_archE1201ELNS1_3gpuE5ELNS1_3repE0EEENS1_47radix_sort_onesweep_sort_config_static_selectorELNS0_4arch9wavefront6targetE1EEEvSE_ ; -- Begin function _ZN7rocprim17ROCPRIM_400000_NS6detail17trampoline_kernelINS0_14default_configENS1_35radix_sort_onesweep_config_selectorItNS0_10empty_typeEEEZZNS1_29radix_sort_onesweep_iterationIS3_Lb1EPtS8_PS5_S9_mNS0_19identity_decomposerENS1_16block_id_wrapperIjLb1EEEEE10hipError_tT1_PNSt15iterator_traitsISE_E10value_typeET2_T3_PNSF_ISK_E10value_typeET4_T5_PSP_SQ_PNS1_23onesweep_lookback_stateEbbT6_jjT7_P12ihipStream_tbENKUlT_T0_SE_SJ_E_clIS8_S8_S9_S9_EEDaSX_SY_SE_SJ_EUlSX_E_NS1_11comp_targetILNS1_3genE10ELNS1_11target_archE1201ELNS1_3gpuE5ELNS1_3repE0EEENS1_47radix_sort_onesweep_sort_config_static_selectorELNS0_4arch9wavefront6targetE1EEEvSE_
	.globl	_ZN7rocprim17ROCPRIM_400000_NS6detail17trampoline_kernelINS0_14default_configENS1_35radix_sort_onesweep_config_selectorItNS0_10empty_typeEEEZZNS1_29radix_sort_onesweep_iterationIS3_Lb1EPtS8_PS5_S9_mNS0_19identity_decomposerENS1_16block_id_wrapperIjLb1EEEEE10hipError_tT1_PNSt15iterator_traitsISE_E10value_typeET2_T3_PNSF_ISK_E10value_typeET4_T5_PSP_SQ_PNS1_23onesweep_lookback_stateEbbT6_jjT7_P12ihipStream_tbENKUlT_T0_SE_SJ_E_clIS8_S8_S9_S9_EEDaSX_SY_SE_SJ_EUlSX_E_NS1_11comp_targetILNS1_3genE10ELNS1_11target_archE1201ELNS1_3gpuE5ELNS1_3repE0EEENS1_47radix_sort_onesweep_sort_config_static_selectorELNS0_4arch9wavefront6targetE1EEEvSE_
	.p2align	8
	.type	_ZN7rocprim17ROCPRIM_400000_NS6detail17trampoline_kernelINS0_14default_configENS1_35radix_sort_onesweep_config_selectorItNS0_10empty_typeEEEZZNS1_29radix_sort_onesweep_iterationIS3_Lb1EPtS8_PS5_S9_mNS0_19identity_decomposerENS1_16block_id_wrapperIjLb1EEEEE10hipError_tT1_PNSt15iterator_traitsISE_E10value_typeET2_T3_PNSF_ISK_E10value_typeET4_T5_PSP_SQ_PNS1_23onesweep_lookback_stateEbbT6_jjT7_P12ihipStream_tbENKUlT_T0_SE_SJ_E_clIS8_S8_S9_S9_EEDaSX_SY_SE_SJ_EUlSX_E_NS1_11comp_targetILNS1_3genE10ELNS1_11target_archE1201ELNS1_3gpuE5ELNS1_3repE0EEENS1_47radix_sort_onesweep_sort_config_static_selectorELNS0_4arch9wavefront6targetE1EEEvSE_,@function
_ZN7rocprim17ROCPRIM_400000_NS6detail17trampoline_kernelINS0_14default_configENS1_35radix_sort_onesweep_config_selectorItNS0_10empty_typeEEEZZNS1_29radix_sort_onesweep_iterationIS3_Lb1EPtS8_PS5_S9_mNS0_19identity_decomposerENS1_16block_id_wrapperIjLb1EEEEE10hipError_tT1_PNSt15iterator_traitsISE_E10value_typeET2_T3_PNSF_ISK_E10value_typeET4_T5_PSP_SQ_PNS1_23onesweep_lookback_stateEbbT6_jjT7_P12ihipStream_tbENKUlT_T0_SE_SJ_E_clIS8_S8_S9_S9_EEDaSX_SY_SE_SJ_EUlSX_E_NS1_11comp_targetILNS1_3genE10ELNS1_11target_archE1201ELNS1_3gpuE5ELNS1_3repE0EEENS1_47radix_sort_onesweep_sort_config_static_selectorELNS0_4arch9wavefront6targetE1EEEvSE_: ; @_ZN7rocprim17ROCPRIM_400000_NS6detail17trampoline_kernelINS0_14default_configENS1_35radix_sort_onesweep_config_selectorItNS0_10empty_typeEEEZZNS1_29radix_sort_onesweep_iterationIS3_Lb1EPtS8_PS5_S9_mNS0_19identity_decomposerENS1_16block_id_wrapperIjLb1EEEEE10hipError_tT1_PNSt15iterator_traitsISE_E10value_typeET2_T3_PNSF_ISK_E10value_typeET4_T5_PSP_SQ_PNS1_23onesweep_lookback_stateEbbT6_jjT7_P12ihipStream_tbENKUlT_T0_SE_SJ_E_clIS8_S8_S9_S9_EEDaSX_SY_SE_SJ_EUlSX_E_NS1_11comp_targetILNS1_3genE10ELNS1_11target_archE1201ELNS1_3gpuE5ELNS1_3repE0EEENS1_47radix_sort_onesweep_sort_config_static_selectorELNS0_4arch9wavefront6targetE1EEEvSE_
; %bb.0:
	.section	.rodata,"a",@progbits
	.p2align	6, 0x0
	.amdhsa_kernel _ZN7rocprim17ROCPRIM_400000_NS6detail17trampoline_kernelINS0_14default_configENS1_35radix_sort_onesweep_config_selectorItNS0_10empty_typeEEEZZNS1_29radix_sort_onesweep_iterationIS3_Lb1EPtS8_PS5_S9_mNS0_19identity_decomposerENS1_16block_id_wrapperIjLb1EEEEE10hipError_tT1_PNSt15iterator_traitsISE_E10value_typeET2_T3_PNSF_ISK_E10value_typeET4_T5_PSP_SQ_PNS1_23onesweep_lookback_stateEbbT6_jjT7_P12ihipStream_tbENKUlT_T0_SE_SJ_E_clIS8_S8_S9_S9_EEDaSX_SY_SE_SJ_EUlSX_E_NS1_11comp_targetILNS1_3genE10ELNS1_11target_archE1201ELNS1_3gpuE5ELNS1_3repE0EEENS1_47radix_sort_onesweep_sort_config_static_selectorELNS0_4arch9wavefront6targetE1EEEvSE_
		.amdhsa_group_segment_fixed_size 0
		.amdhsa_private_segment_fixed_size 0
		.amdhsa_kernarg_size 88
		.amdhsa_user_sgpr_count 6
		.amdhsa_user_sgpr_private_segment_buffer 1
		.amdhsa_user_sgpr_dispatch_ptr 0
		.amdhsa_user_sgpr_queue_ptr 0
		.amdhsa_user_sgpr_kernarg_segment_ptr 1
		.amdhsa_user_sgpr_dispatch_id 0
		.amdhsa_user_sgpr_flat_scratch_init 0
		.amdhsa_user_sgpr_kernarg_preload_length 0
		.amdhsa_user_sgpr_kernarg_preload_offset 0
		.amdhsa_user_sgpr_private_segment_size 0
		.amdhsa_uses_dynamic_stack 0
		.amdhsa_system_sgpr_private_segment_wavefront_offset 0
		.amdhsa_system_sgpr_workgroup_id_x 1
		.amdhsa_system_sgpr_workgroup_id_y 0
		.amdhsa_system_sgpr_workgroup_id_z 0
		.amdhsa_system_sgpr_workgroup_info 0
		.amdhsa_system_vgpr_workitem_id 0
		.amdhsa_next_free_vgpr 1
		.amdhsa_next_free_sgpr 0
		.amdhsa_accum_offset 4
		.amdhsa_reserve_vcc 0
		.amdhsa_reserve_flat_scratch 0
		.amdhsa_float_round_mode_32 0
		.amdhsa_float_round_mode_16_64 0
		.amdhsa_float_denorm_mode_32 3
		.amdhsa_float_denorm_mode_16_64 3
		.amdhsa_dx10_clamp 1
		.amdhsa_ieee_mode 1
		.amdhsa_fp16_overflow 0
		.amdhsa_tg_split 0
		.amdhsa_exception_fp_ieee_invalid_op 0
		.amdhsa_exception_fp_denorm_src 0
		.amdhsa_exception_fp_ieee_div_zero 0
		.amdhsa_exception_fp_ieee_overflow 0
		.amdhsa_exception_fp_ieee_underflow 0
		.amdhsa_exception_fp_ieee_inexact 0
		.amdhsa_exception_int_div_zero 0
	.end_amdhsa_kernel
	.section	.text._ZN7rocprim17ROCPRIM_400000_NS6detail17trampoline_kernelINS0_14default_configENS1_35radix_sort_onesweep_config_selectorItNS0_10empty_typeEEEZZNS1_29radix_sort_onesweep_iterationIS3_Lb1EPtS8_PS5_S9_mNS0_19identity_decomposerENS1_16block_id_wrapperIjLb1EEEEE10hipError_tT1_PNSt15iterator_traitsISE_E10value_typeET2_T3_PNSF_ISK_E10value_typeET4_T5_PSP_SQ_PNS1_23onesweep_lookback_stateEbbT6_jjT7_P12ihipStream_tbENKUlT_T0_SE_SJ_E_clIS8_S8_S9_S9_EEDaSX_SY_SE_SJ_EUlSX_E_NS1_11comp_targetILNS1_3genE10ELNS1_11target_archE1201ELNS1_3gpuE5ELNS1_3repE0EEENS1_47radix_sort_onesweep_sort_config_static_selectorELNS0_4arch9wavefront6targetE1EEEvSE_,"axG",@progbits,_ZN7rocprim17ROCPRIM_400000_NS6detail17trampoline_kernelINS0_14default_configENS1_35radix_sort_onesweep_config_selectorItNS0_10empty_typeEEEZZNS1_29radix_sort_onesweep_iterationIS3_Lb1EPtS8_PS5_S9_mNS0_19identity_decomposerENS1_16block_id_wrapperIjLb1EEEEE10hipError_tT1_PNSt15iterator_traitsISE_E10value_typeET2_T3_PNSF_ISK_E10value_typeET4_T5_PSP_SQ_PNS1_23onesweep_lookback_stateEbbT6_jjT7_P12ihipStream_tbENKUlT_T0_SE_SJ_E_clIS8_S8_S9_S9_EEDaSX_SY_SE_SJ_EUlSX_E_NS1_11comp_targetILNS1_3genE10ELNS1_11target_archE1201ELNS1_3gpuE5ELNS1_3repE0EEENS1_47radix_sort_onesweep_sort_config_static_selectorELNS0_4arch9wavefront6targetE1EEEvSE_,comdat
.Lfunc_end1925:
	.size	_ZN7rocprim17ROCPRIM_400000_NS6detail17trampoline_kernelINS0_14default_configENS1_35radix_sort_onesweep_config_selectorItNS0_10empty_typeEEEZZNS1_29radix_sort_onesweep_iterationIS3_Lb1EPtS8_PS5_S9_mNS0_19identity_decomposerENS1_16block_id_wrapperIjLb1EEEEE10hipError_tT1_PNSt15iterator_traitsISE_E10value_typeET2_T3_PNSF_ISK_E10value_typeET4_T5_PSP_SQ_PNS1_23onesweep_lookback_stateEbbT6_jjT7_P12ihipStream_tbENKUlT_T0_SE_SJ_E_clIS8_S8_S9_S9_EEDaSX_SY_SE_SJ_EUlSX_E_NS1_11comp_targetILNS1_3genE10ELNS1_11target_archE1201ELNS1_3gpuE5ELNS1_3repE0EEENS1_47radix_sort_onesweep_sort_config_static_selectorELNS0_4arch9wavefront6targetE1EEEvSE_, .Lfunc_end1925-_ZN7rocprim17ROCPRIM_400000_NS6detail17trampoline_kernelINS0_14default_configENS1_35radix_sort_onesweep_config_selectorItNS0_10empty_typeEEEZZNS1_29radix_sort_onesweep_iterationIS3_Lb1EPtS8_PS5_S9_mNS0_19identity_decomposerENS1_16block_id_wrapperIjLb1EEEEE10hipError_tT1_PNSt15iterator_traitsISE_E10value_typeET2_T3_PNSF_ISK_E10value_typeET4_T5_PSP_SQ_PNS1_23onesweep_lookback_stateEbbT6_jjT7_P12ihipStream_tbENKUlT_T0_SE_SJ_E_clIS8_S8_S9_S9_EEDaSX_SY_SE_SJ_EUlSX_E_NS1_11comp_targetILNS1_3genE10ELNS1_11target_archE1201ELNS1_3gpuE5ELNS1_3repE0EEENS1_47radix_sort_onesweep_sort_config_static_selectorELNS0_4arch9wavefront6targetE1EEEvSE_
                                        ; -- End function
	.section	.AMDGPU.csdata,"",@progbits
; Kernel info:
; codeLenInByte = 0
; NumSgprs: 4
; NumVgprs: 0
; NumAgprs: 0
; TotalNumVgprs: 0
; ScratchSize: 0
; MemoryBound: 0
; FloatMode: 240
; IeeeMode: 1
; LDSByteSize: 0 bytes/workgroup (compile time only)
; SGPRBlocks: 0
; VGPRBlocks: 0
; NumSGPRsForWavesPerEU: 4
; NumVGPRsForWavesPerEU: 1
; AccumOffset: 4
; Occupancy: 8
; WaveLimiterHint : 0
; COMPUTE_PGM_RSRC2:SCRATCH_EN: 0
; COMPUTE_PGM_RSRC2:USER_SGPR: 6
; COMPUTE_PGM_RSRC2:TRAP_HANDLER: 0
; COMPUTE_PGM_RSRC2:TGID_X_EN: 1
; COMPUTE_PGM_RSRC2:TGID_Y_EN: 0
; COMPUTE_PGM_RSRC2:TGID_Z_EN: 0
; COMPUTE_PGM_RSRC2:TIDIG_COMP_CNT: 0
; COMPUTE_PGM_RSRC3_GFX90A:ACCUM_OFFSET: 0
; COMPUTE_PGM_RSRC3_GFX90A:TG_SPLIT: 0
	.section	.text._ZN7rocprim17ROCPRIM_400000_NS6detail17trampoline_kernelINS0_14default_configENS1_35radix_sort_onesweep_config_selectorItNS0_10empty_typeEEEZZNS1_29radix_sort_onesweep_iterationIS3_Lb1EPtS8_PS5_S9_mNS0_19identity_decomposerENS1_16block_id_wrapperIjLb1EEEEE10hipError_tT1_PNSt15iterator_traitsISE_E10value_typeET2_T3_PNSF_ISK_E10value_typeET4_T5_PSP_SQ_PNS1_23onesweep_lookback_stateEbbT6_jjT7_P12ihipStream_tbENKUlT_T0_SE_SJ_E_clIS8_S8_S9_S9_EEDaSX_SY_SE_SJ_EUlSX_E_NS1_11comp_targetILNS1_3genE9ELNS1_11target_archE1100ELNS1_3gpuE3ELNS1_3repE0EEENS1_47radix_sort_onesweep_sort_config_static_selectorELNS0_4arch9wavefront6targetE1EEEvSE_,"axG",@progbits,_ZN7rocprim17ROCPRIM_400000_NS6detail17trampoline_kernelINS0_14default_configENS1_35radix_sort_onesweep_config_selectorItNS0_10empty_typeEEEZZNS1_29radix_sort_onesweep_iterationIS3_Lb1EPtS8_PS5_S9_mNS0_19identity_decomposerENS1_16block_id_wrapperIjLb1EEEEE10hipError_tT1_PNSt15iterator_traitsISE_E10value_typeET2_T3_PNSF_ISK_E10value_typeET4_T5_PSP_SQ_PNS1_23onesweep_lookback_stateEbbT6_jjT7_P12ihipStream_tbENKUlT_T0_SE_SJ_E_clIS8_S8_S9_S9_EEDaSX_SY_SE_SJ_EUlSX_E_NS1_11comp_targetILNS1_3genE9ELNS1_11target_archE1100ELNS1_3gpuE3ELNS1_3repE0EEENS1_47radix_sort_onesweep_sort_config_static_selectorELNS0_4arch9wavefront6targetE1EEEvSE_,comdat
	.protected	_ZN7rocprim17ROCPRIM_400000_NS6detail17trampoline_kernelINS0_14default_configENS1_35radix_sort_onesweep_config_selectorItNS0_10empty_typeEEEZZNS1_29radix_sort_onesweep_iterationIS3_Lb1EPtS8_PS5_S9_mNS0_19identity_decomposerENS1_16block_id_wrapperIjLb1EEEEE10hipError_tT1_PNSt15iterator_traitsISE_E10value_typeET2_T3_PNSF_ISK_E10value_typeET4_T5_PSP_SQ_PNS1_23onesweep_lookback_stateEbbT6_jjT7_P12ihipStream_tbENKUlT_T0_SE_SJ_E_clIS8_S8_S9_S9_EEDaSX_SY_SE_SJ_EUlSX_E_NS1_11comp_targetILNS1_3genE9ELNS1_11target_archE1100ELNS1_3gpuE3ELNS1_3repE0EEENS1_47radix_sort_onesweep_sort_config_static_selectorELNS0_4arch9wavefront6targetE1EEEvSE_ ; -- Begin function _ZN7rocprim17ROCPRIM_400000_NS6detail17trampoline_kernelINS0_14default_configENS1_35radix_sort_onesweep_config_selectorItNS0_10empty_typeEEEZZNS1_29radix_sort_onesweep_iterationIS3_Lb1EPtS8_PS5_S9_mNS0_19identity_decomposerENS1_16block_id_wrapperIjLb1EEEEE10hipError_tT1_PNSt15iterator_traitsISE_E10value_typeET2_T3_PNSF_ISK_E10value_typeET4_T5_PSP_SQ_PNS1_23onesweep_lookback_stateEbbT6_jjT7_P12ihipStream_tbENKUlT_T0_SE_SJ_E_clIS8_S8_S9_S9_EEDaSX_SY_SE_SJ_EUlSX_E_NS1_11comp_targetILNS1_3genE9ELNS1_11target_archE1100ELNS1_3gpuE3ELNS1_3repE0EEENS1_47radix_sort_onesweep_sort_config_static_selectorELNS0_4arch9wavefront6targetE1EEEvSE_
	.globl	_ZN7rocprim17ROCPRIM_400000_NS6detail17trampoline_kernelINS0_14default_configENS1_35radix_sort_onesweep_config_selectorItNS0_10empty_typeEEEZZNS1_29radix_sort_onesweep_iterationIS3_Lb1EPtS8_PS5_S9_mNS0_19identity_decomposerENS1_16block_id_wrapperIjLb1EEEEE10hipError_tT1_PNSt15iterator_traitsISE_E10value_typeET2_T3_PNSF_ISK_E10value_typeET4_T5_PSP_SQ_PNS1_23onesweep_lookback_stateEbbT6_jjT7_P12ihipStream_tbENKUlT_T0_SE_SJ_E_clIS8_S8_S9_S9_EEDaSX_SY_SE_SJ_EUlSX_E_NS1_11comp_targetILNS1_3genE9ELNS1_11target_archE1100ELNS1_3gpuE3ELNS1_3repE0EEENS1_47radix_sort_onesweep_sort_config_static_selectorELNS0_4arch9wavefront6targetE1EEEvSE_
	.p2align	8
	.type	_ZN7rocprim17ROCPRIM_400000_NS6detail17trampoline_kernelINS0_14default_configENS1_35radix_sort_onesweep_config_selectorItNS0_10empty_typeEEEZZNS1_29radix_sort_onesweep_iterationIS3_Lb1EPtS8_PS5_S9_mNS0_19identity_decomposerENS1_16block_id_wrapperIjLb1EEEEE10hipError_tT1_PNSt15iterator_traitsISE_E10value_typeET2_T3_PNSF_ISK_E10value_typeET4_T5_PSP_SQ_PNS1_23onesweep_lookback_stateEbbT6_jjT7_P12ihipStream_tbENKUlT_T0_SE_SJ_E_clIS8_S8_S9_S9_EEDaSX_SY_SE_SJ_EUlSX_E_NS1_11comp_targetILNS1_3genE9ELNS1_11target_archE1100ELNS1_3gpuE3ELNS1_3repE0EEENS1_47radix_sort_onesweep_sort_config_static_selectorELNS0_4arch9wavefront6targetE1EEEvSE_,@function
_ZN7rocprim17ROCPRIM_400000_NS6detail17trampoline_kernelINS0_14default_configENS1_35radix_sort_onesweep_config_selectorItNS0_10empty_typeEEEZZNS1_29radix_sort_onesweep_iterationIS3_Lb1EPtS8_PS5_S9_mNS0_19identity_decomposerENS1_16block_id_wrapperIjLb1EEEEE10hipError_tT1_PNSt15iterator_traitsISE_E10value_typeET2_T3_PNSF_ISK_E10value_typeET4_T5_PSP_SQ_PNS1_23onesweep_lookback_stateEbbT6_jjT7_P12ihipStream_tbENKUlT_T0_SE_SJ_E_clIS8_S8_S9_S9_EEDaSX_SY_SE_SJ_EUlSX_E_NS1_11comp_targetILNS1_3genE9ELNS1_11target_archE1100ELNS1_3gpuE3ELNS1_3repE0EEENS1_47radix_sort_onesweep_sort_config_static_selectorELNS0_4arch9wavefront6targetE1EEEvSE_: ; @_ZN7rocprim17ROCPRIM_400000_NS6detail17trampoline_kernelINS0_14default_configENS1_35radix_sort_onesweep_config_selectorItNS0_10empty_typeEEEZZNS1_29radix_sort_onesweep_iterationIS3_Lb1EPtS8_PS5_S9_mNS0_19identity_decomposerENS1_16block_id_wrapperIjLb1EEEEE10hipError_tT1_PNSt15iterator_traitsISE_E10value_typeET2_T3_PNSF_ISK_E10value_typeET4_T5_PSP_SQ_PNS1_23onesweep_lookback_stateEbbT6_jjT7_P12ihipStream_tbENKUlT_T0_SE_SJ_E_clIS8_S8_S9_S9_EEDaSX_SY_SE_SJ_EUlSX_E_NS1_11comp_targetILNS1_3genE9ELNS1_11target_archE1100ELNS1_3gpuE3ELNS1_3repE0EEENS1_47radix_sort_onesweep_sort_config_static_selectorELNS0_4arch9wavefront6targetE1EEEvSE_
; %bb.0:
	.section	.rodata,"a",@progbits
	.p2align	6, 0x0
	.amdhsa_kernel _ZN7rocprim17ROCPRIM_400000_NS6detail17trampoline_kernelINS0_14default_configENS1_35radix_sort_onesweep_config_selectorItNS0_10empty_typeEEEZZNS1_29radix_sort_onesweep_iterationIS3_Lb1EPtS8_PS5_S9_mNS0_19identity_decomposerENS1_16block_id_wrapperIjLb1EEEEE10hipError_tT1_PNSt15iterator_traitsISE_E10value_typeET2_T3_PNSF_ISK_E10value_typeET4_T5_PSP_SQ_PNS1_23onesweep_lookback_stateEbbT6_jjT7_P12ihipStream_tbENKUlT_T0_SE_SJ_E_clIS8_S8_S9_S9_EEDaSX_SY_SE_SJ_EUlSX_E_NS1_11comp_targetILNS1_3genE9ELNS1_11target_archE1100ELNS1_3gpuE3ELNS1_3repE0EEENS1_47radix_sort_onesweep_sort_config_static_selectorELNS0_4arch9wavefront6targetE1EEEvSE_
		.amdhsa_group_segment_fixed_size 0
		.amdhsa_private_segment_fixed_size 0
		.amdhsa_kernarg_size 88
		.amdhsa_user_sgpr_count 6
		.amdhsa_user_sgpr_private_segment_buffer 1
		.amdhsa_user_sgpr_dispatch_ptr 0
		.amdhsa_user_sgpr_queue_ptr 0
		.amdhsa_user_sgpr_kernarg_segment_ptr 1
		.amdhsa_user_sgpr_dispatch_id 0
		.amdhsa_user_sgpr_flat_scratch_init 0
		.amdhsa_user_sgpr_kernarg_preload_length 0
		.amdhsa_user_sgpr_kernarg_preload_offset 0
		.amdhsa_user_sgpr_private_segment_size 0
		.amdhsa_uses_dynamic_stack 0
		.amdhsa_system_sgpr_private_segment_wavefront_offset 0
		.amdhsa_system_sgpr_workgroup_id_x 1
		.amdhsa_system_sgpr_workgroup_id_y 0
		.amdhsa_system_sgpr_workgroup_id_z 0
		.amdhsa_system_sgpr_workgroup_info 0
		.amdhsa_system_vgpr_workitem_id 0
		.amdhsa_next_free_vgpr 1
		.amdhsa_next_free_sgpr 0
		.amdhsa_accum_offset 4
		.amdhsa_reserve_vcc 0
		.amdhsa_reserve_flat_scratch 0
		.amdhsa_float_round_mode_32 0
		.amdhsa_float_round_mode_16_64 0
		.amdhsa_float_denorm_mode_32 3
		.amdhsa_float_denorm_mode_16_64 3
		.amdhsa_dx10_clamp 1
		.amdhsa_ieee_mode 1
		.amdhsa_fp16_overflow 0
		.amdhsa_tg_split 0
		.amdhsa_exception_fp_ieee_invalid_op 0
		.amdhsa_exception_fp_denorm_src 0
		.amdhsa_exception_fp_ieee_div_zero 0
		.amdhsa_exception_fp_ieee_overflow 0
		.amdhsa_exception_fp_ieee_underflow 0
		.amdhsa_exception_fp_ieee_inexact 0
		.amdhsa_exception_int_div_zero 0
	.end_amdhsa_kernel
	.section	.text._ZN7rocprim17ROCPRIM_400000_NS6detail17trampoline_kernelINS0_14default_configENS1_35radix_sort_onesweep_config_selectorItNS0_10empty_typeEEEZZNS1_29radix_sort_onesweep_iterationIS3_Lb1EPtS8_PS5_S9_mNS0_19identity_decomposerENS1_16block_id_wrapperIjLb1EEEEE10hipError_tT1_PNSt15iterator_traitsISE_E10value_typeET2_T3_PNSF_ISK_E10value_typeET4_T5_PSP_SQ_PNS1_23onesweep_lookback_stateEbbT6_jjT7_P12ihipStream_tbENKUlT_T0_SE_SJ_E_clIS8_S8_S9_S9_EEDaSX_SY_SE_SJ_EUlSX_E_NS1_11comp_targetILNS1_3genE9ELNS1_11target_archE1100ELNS1_3gpuE3ELNS1_3repE0EEENS1_47radix_sort_onesweep_sort_config_static_selectorELNS0_4arch9wavefront6targetE1EEEvSE_,"axG",@progbits,_ZN7rocprim17ROCPRIM_400000_NS6detail17trampoline_kernelINS0_14default_configENS1_35radix_sort_onesweep_config_selectorItNS0_10empty_typeEEEZZNS1_29radix_sort_onesweep_iterationIS3_Lb1EPtS8_PS5_S9_mNS0_19identity_decomposerENS1_16block_id_wrapperIjLb1EEEEE10hipError_tT1_PNSt15iterator_traitsISE_E10value_typeET2_T3_PNSF_ISK_E10value_typeET4_T5_PSP_SQ_PNS1_23onesweep_lookback_stateEbbT6_jjT7_P12ihipStream_tbENKUlT_T0_SE_SJ_E_clIS8_S8_S9_S9_EEDaSX_SY_SE_SJ_EUlSX_E_NS1_11comp_targetILNS1_3genE9ELNS1_11target_archE1100ELNS1_3gpuE3ELNS1_3repE0EEENS1_47radix_sort_onesweep_sort_config_static_selectorELNS0_4arch9wavefront6targetE1EEEvSE_,comdat
.Lfunc_end1926:
	.size	_ZN7rocprim17ROCPRIM_400000_NS6detail17trampoline_kernelINS0_14default_configENS1_35radix_sort_onesweep_config_selectorItNS0_10empty_typeEEEZZNS1_29radix_sort_onesweep_iterationIS3_Lb1EPtS8_PS5_S9_mNS0_19identity_decomposerENS1_16block_id_wrapperIjLb1EEEEE10hipError_tT1_PNSt15iterator_traitsISE_E10value_typeET2_T3_PNSF_ISK_E10value_typeET4_T5_PSP_SQ_PNS1_23onesweep_lookback_stateEbbT6_jjT7_P12ihipStream_tbENKUlT_T0_SE_SJ_E_clIS8_S8_S9_S9_EEDaSX_SY_SE_SJ_EUlSX_E_NS1_11comp_targetILNS1_3genE9ELNS1_11target_archE1100ELNS1_3gpuE3ELNS1_3repE0EEENS1_47radix_sort_onesweep_sort_config_static_selectorELNS0_4arch9wavefront6targetE1EEEvSE_, .Lfunc_end1926-_ZN7rocprim17ROCPRIM_400000_NS6detail17trampoline_kernelINS0_14default_configENS1_35radix_sort_onesweep_config_selectorItNS0_10empty_typeEEEZZNS1_29radix_sort_onesweep_iterationIS3_Lb1EPtS8_PS5_S9_mNS0_19identity_decomposerENS1_16block_id_wrapperIjLb1EEEEE10hipError_tT1_PNSt15iterator_traitsISE_E10value_typeET2_T3_PNSF_ISK_E10value_typeET4_T5_PSP_SQ_PNS1_23onesweep_lookback_stateEbbT6_jjT7_P12ihipStream_tbENKUlT_T0_SE_SJ_E_clIS8_S8_S9_S9_EEDaSX_SY_SE_SJ_EUlSX_E_NS1_11comp_targetILNS1_3genE9ELNS1_11target_archE1100ELNS1_3gpuE3ELNS1_3repE0EEENS1_47radix_sort_onesweep_sort_config_static_selectorELNS0_4arch9wavefront6targetE1EEEvSE_
                                        ; -- End function
	.section	.AMDGPU.csdata,"",@progbits
; Kernel info:
; codeLenInByte = 0
; NumSgprs: 4
; NumVgprs: 0
; NumAgprs: 0
; TotalNumVgprs: 0
; ScratchSize: 0
; MemoryBound: 0
; FloatMode: 240
; IeeeMode: 1
; LDSByteSize: 0 bytes/workgroup (compile time only)
; SGPRBlocks: 0
; VGPRBlocks: 0
; NumSGPRsForWavesPerEU: 4
; NumVGPRsForWavesPerEU: 1
; AccumOffset: 4
; Occupancy: 8
; WaveLimiterHint : 0
; COMPUTE_PGM_RSRC2:SCRATCH_EN: 0
; COMPUTE_PGM_RSRC2:USER_SGPR: 6
; COMPUTE_PGM_RSRC2:TRAP_HANDLER: 0
; COMPUTE_PGM_RSRC2:TGID_X_EN: 1
; COMPUTE_PGM_RSRC2:TGID_Y_EN: 0
; COMPUTE_PGM_RSRC2:TGID_Z_EN: 0
; COMPUTE_PGM_RSRC2:TIDIG_COMP_CNT: 0
; COMPUTE_PGM_RSRC3_GFX90A:ACCUM_OFFSET: 0
; COMPUTE_PGM_RSRC3_GFX90A:TG_SPLIT: 0
	.section	.text._ZN7rocprim17ROCPRIM_400000_NS6detail17trampoline_kernelINS0_14default_configENS1_35radix_sort_onesweep_config_selectorItNS0_10empty_typeEEEZZNS1_29radix_sort_onesweep_iterationIS3_Lb1EPtS8_PS5_S9_mNS0_19identity_decomposerENS1_16block_id_wrapperIjLb1EEEEE10hipError_tT1_PNSt15iterator_traitsISE_E10value_typeET2_T3_PNSF_ISK_E10value_typeET4_T5_PSP_SQ_PNS1_23onesweep_lookback_stateEbbT6_jjT7_P12ihipStream_tbENKUlT_T0_SE_SJ_E_clIS8_S8_S9_S9_EEDaSX_SY_SE_SJ_EUlSX_E_NS1_11comp_targetILNS1_3genE8ELNS1_11target_archE1030ELNS1_3gpuE2ELNS1_3repE0EEENS1_47radix_sort_onesweep_sort_config_static_selectorELNS0_4arch9wavefront6targetE1EEEvSE_,"axG",@progbits,_ZN7rocprim17ROCPRIM_400000_NS6detail17trampoline_kernelINS0_14default_configENS1_35radix_sort_onesweep_config_selectorItNS0_10empty_typeEEEZZNS1_29radix_sort_onesweep_iterationIS3_Lb1EPtS8_PS5_S9_mNS0_19identity_decomposerENS1_16block_id_wrapperIjLb1EEEEE10hipError_tT1_PNSt15iterator_traitsISE_E10value_typeET2_T3_PNSF_ISK_E10value_typeET4_T5_PSP_SQ_PNS1_23onesweep_lookback_stateEbbT6_jjT7_P12ihipStream_tbENKUlT_T0_SE_SJ_E_clIS8_S8_S9_S9_EEDaSX_SY_SE_SJ_EUlSX_E_NS1_11comp_targetILNS1_3genE8ELNS1_11target_archE1030ELNS1_3gpuE2ELNS1_3repE0EEENS1_47radix_sort_onesweep_sort_config_static_selectorELNS0_4arch9wavefront6targetE1EEEvSE_,comdat
	.protected	_ZN7rocprim17ROCPRIM_400000_NS6detail17trampoline_kernelINS0_14default_configENS1_35radix_sort_onesweep_config_selectorItNS0_10empty_typeEEEZZNS1_29radix_sort_onesweep_iterationIS3_Lb1EPtS8_PS5_S9_mNS0_19identity_decomposerENS1_16block_id_wrapperIjLb1EEEEE10hipError_tT1_PNSt15iterator_traitsISE_E10value_typeET2_T3_PNSF_ISK_E10value_typeET4_T5_PSP_SQ_PNS1_23onesweep_lookback_stateEbbT6_jjT7_P12ihipStream_tbENKUlT_T0_SE_SJ_E_clIS8_S8_S9_S9_EEDaSX_SY_SE_SJ_EUlSX_E_NS1_11comp_targetILNS1_3genE8ELNS1_11target_archE1030ELNS1_3gpuE2ELNS1_3repE0EEENS1_47radix_sort_onesweep_sort_config_static_selectorELNS0_4arch9wavefront6targetE1EEEvSE_ ; -- Begin function _ZN7rocprim17ROCPRIM_400000_NS6detail17trampoline_kernelINS0_14default_configENS1_35radix_sort_onesweep_config_selectorItNS0_10empty_typeEEEZZNS1_29radix_sort_onesweep_iterationIS3_Lb1EPtS8_PS5_S9_mNS0_19identity_decomposerENS1_16block_id_wrapperIjLb1EEEEE10hipError_tT1_PNSt15iterator_traitsISE_E10value_typeET2_T3_PNSF_ISK_E10value_typeET4_T5_PSP_SQ_PNS1_23onesweep_lookback_stateEbbT6_jjT7_P12ihipStream_tbENKUlT_T0_SE_SJ_E_clIS8_S8_S9_S9_EEDaSX_SY_SE_SJ_EUlSX_E_NS1_11comp_targetILNS1_3genE8ELNS1_11target_archE1030ELNS1_3gpuE2ELNS1_3repE0EEENS1_47radix_sort_onesweep_sort_config_static_selectorELNS0_4arch9wavefront6targetE1EEEvSE_
	.globl	_ZN7rocprim17ROCPRIM_400000_NS6detail17trampoline_kernelINS0_14default_configENS1_35radix_sort_onesweep_config_selectorItNS0_10empty_typeEEEZZNS1_29radix_sort_onesweep_iterationIS3_Lb1EPtS8_PS5_S9_mNS0_19identity_decomposerENS1_16block_id_wrapperIjLb1EEEEE10hipError_tT1_PNSt15iterator_traitsISE_E10value_typeET2_T3_PNSF_ISK_E10value_typeET4_T5_PSP_SQ_PNS1_23onesweep_lookback_stateEbbT6_jjT7_P12ihipStream_tbENKUlT_T0_SE_SJ_E_clIS8_S8_S9_S9_EEDaSX_SY_SE_SJ_EUlSX_E_NS1_11comp_targetILNS1_3genE8ELNS1_11target_archE1030ELNS1_3gpuE2ELNS1_3repE0EEENS1_47radix_sort_onesweep_sort_config_static_selectorELNS0_4arch9wavefront6targetE1EEEvSE_
	.p2align	8
	.type	_ZN7rocprim17ROCPRIM_400000_NS6detail17trampoline_kernelINS0_14default_configENS1_35radix_sort_onesweep_config_selectorItNS0_10empty_typeEEEZZNS1_29radix_sort_onesweep_iterationIS3_Lb1EPtS8_PS5_S9_mNS0_19identity_decomposerENS1_16block_id_wrapperIjLb1EEEEE10hipError_tT1_PNSt15iterator_traitsISE_E10value_typeET2_T3_PNSF_ISK_E10value_typeET4_T5_PSP_SQ_PNS1_23onesweep_lookback_stateEbbT6_jjT7_P12ihipStream_tbENKUlT_T0_SE_SJ_E_clIS8_S8_S9_S9_EEDaSX_SY_SE_SJ_EUlSX_E_NS1_11comp_targetILNS1_3genE8ELNS1_11target_archE1030ELNS1_3gpuE2ELNS1_3repE0EEENS1_47radix_sort_onesweep_sort_config_static_selectorELNS0_4arch9wavefront6targetE1EEEvSE_,@function
_ZN7rocprim17ROCPRIM_400000_NS6detail17trampoline_kernelINS0_14default_configENS1_35radix_sort_onesweep_config_selectorItNS0_10empty_typeEEEZZNS1_29radix_sort_onesweep_iterationIS3_Lb1EPtS8_PS5_S9_mNS0_19identity_decomposerENS1_16block_id_wrapperIjLb1EEEEE10hipError_tT1_PNSt15iterator_traitsISE_E10value_typeET2_T3_PNSF_ISK_E10value_typeET4_T5_PSP_SQ_PNS1_23onesweep_lookback_stateEbbT6_jjT7_P12ihipStream_tbENKUlT_T0_SE_SJ_E_clIS8_S8_S9_S9_EEDaSX_SY_SE_SJ_EUlSX_E_NS1_11comp_targetILNS1_3genE8ELNS1_11target_archE1030ELNS1_3gpuE2ELNS1_3repE0EEENS1_47radix_sort_onesweep_sort_config_static_selectorELNS0_4arch9wavefront6targetE1EEEvSE_: ; @_ZN7rocprim17ROCPRIM_400000_NS6detail17trampoline_kernelINS0_14default_configENS1_35radix_sort_onesweep_config_selectorItNS0_10empty_typeEEEZZNS1_29radix_sort_onesweep_iterationIS3_Lb1EPtS8_PS5_S9_mNS0_19identity_decomposerENS1_16block_id_wrapperIjLb1EEEEE10hipError_tT1_PNSt15iterator_traitsISE_E10value_typeET2_T3_PNSF_ISK_E10value_typeET4_T5_PSP_SQ_PNS1_23onesweep_lookback_stateEbbT6_jjT7_P12ihipStream_tbENKUlT_T0_SE_SJ_E_clIS8_S8_S9_S9_EEDaSX_SY_SE_SJ_EUlSX_E_NS1_11comp_targetILNS1_3genE8ELNS1_11target_archE1030ELNS1_3gpuE2ELNS1_3repE0EEENS1_47radix_sort_onesweep_sort_config_static_selectorELNS0_4arch9wavefront6targetE1EEEvSE_
; %bb.0:
	.section	.rodata,"a",@progbits
	.p2align	6, 0x0
	.amdhsa_kernel _ZN7rocprim17ROCPRIM_400000_NS6detail17trampoline_kernelINS0_14default_configENS1_35radix_sort_onesweep_config_selectorItNS0_10empty_typeEEEZZNS1_29radix_sort_onesweep_iterationIS3_Lb1EPtS8_PS5_S9_mNS0_19identity_decomposerENS1_16block_id_wrapperIjLb1EEEEE10hipError_tT1_PNSt15iterator_traitsISE_E10value_typeET2_T3_PNSF_ISK_E10value_typeET4_T5_PSP_SQ_PNS1_23onesweep_lookback_stateEbbT6_jjT7_P12ihipStream_tbENKUlT_T0_SE_SJ_E_clIS8_S8_S9_S9_EEDaSX_SY_SE_SJ_EUlSX_E_NS1_11comp_targetILNS1_3genE8ELNS1_11target_archE1030ELNS1_3gpuE2ELNS1_3repE0EEENS1_47radix_sort_onesweep_sort_config_static_selectorELNS0_4arch9wavefront6targetE1EEEvSE_
		.amdhsa_group_segment_fixed_size 0
		.amdhsa_private_segment_fixed_size 0
		.amdhsa_kernarg_size 88
		.amdhsa_user_sgpr_count 6
		.amdhsa_user_sgpr_private_segment_buffer 1
		.amdhsa_user_sgpr_dispatch_ptr 0
		.amdhsa_user_sgpr_queue_ptr 0
		.amdhsa_user_sgpr_kernarg_segment_ptr 1
		.amdhsa_user_sgpr_dispatch_id 0
		.amdhsa_user_sgpr_flat_scratch_init 0
		.amdhsa_user_sgpr_kernarg_preload_length 0
		.amdhsa_user_sgpr_kernarg_preload_offset 0
		.amdhsa_user_sgpr_private_segment_size 0
		.amdhsa_uses_dynamic_stack 0
		.amdhsa_system_sgpr_private_segment_wavefront_offset 0
		.amdhsa_system_sgpr_workgroup_id_x 1
		.amdhsa_system_sgpr_workgroup_id_y 0
		.amdhsa_system_sgpr_workgroup_id_z 0
		.amdhsa_system_sgpr_workgroup_info 0
		.amdhsa_system_vgpr_workitem_id 0
		.amdhsa_next_free_vgpr 1
		.amdhsa_next_free_sgpr 0
		.amdhsa_accum_offset 4
		.amdhsa_reserve_vcc 0
		.amdhsa_reserve_flat_scratch 0
		.amdhsa_float_round_mode_32 0
		.amdhsa_float_round_mode_16_64 0
		.amdhsa_float_denorm_mode_32 3
		.amdhsa_float_denorm_mode_16_64 3
		.amdhsa_dx10_clamp 1
		.amdhsa_ieee_mode 1
		.amdhsa_fp16_overflow 0
		.amdhsa_tg_split 0
		.amdhsa_exception_fp_ieee_invalid_op 0
		.amdhsa_exception_fp_denorm_src 0
		.amdhsa_exception_fp_ieee_div_zero 0
		.amdhsa_exception_fp_ieee_overflow 0
		.amdhsa_exception_fp_ieee_underflow 0
		.amdhsa_exception_fp_ieee_inexact 0
		.amdhsa_exception_int_div_zero 0
	.end_amdhsa_kernel
	.section	.text._ZN7rocprim17ROCPRIM_400000_NS6detail17trampoline_kernelINS0_14default_configENS1_35radix_sort_onesweep_config_selectorItNS0_10empty_typeEEEZZNS1_29radix_sort_onesweep_iterationIS3_Lb1EPtS8_PS5_S9_mNS0_19identity_decomposerENS1_16block_id_wrapperIjLb1EEEEE10hipError_tT1_PNSt15iterator_traitsISE_E10value_typeET2_T3_PNSF_ISK_E10value_typeET4_T5_PSP_SQ_PNS1_23onesweep_lookback_stateEbbT6_jjT7_P12ihipStream_tbENKUlT_T0_SE_SJ_E_clIS8_S8_S9_S9_EEDaSX_SY_SE_SJ_EUlSX_E_NS1_11comp_targetILNS1_3genE8ELNS1_11target_archE1030ELNS1_3gpuE2ELNS1_3repE0EEENS1_47radix_sort_onesweep_sort_config_static_selectorELNS0_4arch9wavefront6targetE1EEEvSE_,"axG",@progbits,_ZN7rocprim17ROCPRIM_400000_NS6detail17trampoline_kernelINS0_14default_configENS1_35radix_sort_onesweep_config_selectorItNS0_10empty_typeEEEZZNS1_29radix_sort_onesweep_iterationIS3_Lb1EPtS8_PS5_S9_mNS0_19identity_decomposerENS1_16block_id_wrapperIjLb1EEEEE10hipError_tT1_PNSt15iterator_traitsISE_E10value_typeET2_T3_PNSF_ISK_E10value_typeET4_T5_PSP_SQ_PNS1_23onesweep_lookback_stateEbbT6_jjT7_P12ihipStream_tbENKUlT_T0_SE_SJ_E_clIS8_S8_S9_S9_EEDaSX_SY_SE_SJ_EUlSX_E_NS1_11comp_targetILNS1_3genE8ELNS1_11target_archE1030ELNS1_3gpuE2ELNS1_3repE0EEENS1_47radix_sort_onesweep_sort_config_static_selectorELNS0_4arch9wavefront6targetE1EEEvSE_,comdat
.Lfunc_end1927:
	.size	_ZN7rocprim17ROCPRIM_400000_NS6detail17trampoline_kernelINS0_14default_configENS1_35radix_sort_onesweep_config_selectorItNS0_10empty_typeEEEZZNS1_29radix_sort_onesweep_iterationIS3_Lb1EPtS8_PS5_S9_mNS0_19identity_decomposerENS1_16block_id_wrapperIjLb1EEEEE10hipError_tT1_PNSt15iterator_traitsISE_E10value_typeET2_T3_PNSF_ISK_E10value_typeET4_T5_PSP_SQ_PNS1_23onesweep_lookback_stateEbbT6_jjT7_P12ihipStream_tbENKUlT_T0_SE_SJ_E_clIS8_S8_S9_S9_EEDaSX_SY_SE_SJ_EUlSX_E_NS1_11comp_targetILNS1_3genE8ELNS1_11target_archE1030ELNS1_3gpuE2ELNS1_3repE0EEENS1_47radix_sort_onesweep_sort_config_static_selectorELNS0_4arch9wavefront6targetE1EEEvSE_, .Lfunc_end1927-_ZN7rocprim17ROCPRIM_400000_NS6detail17trampoline_kernelINS0_14default_configENS1_35radix_sort_onesweep_config_selectorItNS0_10empty_typeEEEZZNS1_29radix_sort_onesweep_iterationIS3_Lb1EPtS8_PS5_S9_mNS0_19identity_decomposerENS1_16block_id_wrapperIjLb1EEEEE10hipError_tT1_PNSt15iterator_traitsISE_E10value_typeET2_T3_PNSF_ISK_E10value_typeET4_T5_PSP_SQ_PNS1_23onesweep_lookback_stateEbbT6_jjT7_P12ihipStream_tbENKUlT_T0_SE_SJ_E_clIS8_S8_S9_S9_EEDaSX_SY_SE_SJ_EUlSX_E_NS1_11comp_targetILNS1_3genE8ELNS1_11target_archE1030ELNS1_3gpuE2ELNS1_3repE0EEENS1_47radix_sort_onesweep_sort_config_static_selectorELNS0_4arch9wavefront6targetE1EEEvSE_
                                        ; -- End function
	.section	.AMDGPU.csdata,"",@progbits
; Kernel info:
; codeLenInByte = 0
; NumSgprs: 4
; NumVgprs: 0
; NumAgprs: 0
; TotalNumVgprs: 0
; ScratchSize: 0
; MemoryBound: 0
; FloatMode: 240
; IeeeMode: 1
; LDSByteSize: 0 bytes/workgroup (compile time only)
; SGPRBlocks: 0
; VGPRBlocks: 0
; NumSGPRsForWavesPerEU: 4
; NumVGPRsForWavesPerEU: 1
; AccumOffset: 4
; Occupancy: 8
; WaveLimiterHint : 0
; COMPUTE_PGM_RSRC2:SCRATCH_EN: 0
; COMPUTE_PGM_RSRC2:USER_SGPR: 6
; COMPUTE_PGM_RSRC2:TRAP_HANDLER: 0
; COMPUTE_PGM_RSRC2:TGID_X_EN: 1
; COMPUTE_PGM_RSRC2:TGID_Y_EN: 0
; COMPUTE_PGM_RSRC2:TGID_Z_EN: 0
; COMPUTE_PGM_RSRC2:TIDIG_COMP_CNT: 0
; COMPUTE_PGM_RSRC3_GFX90A:ACCUM_OFFSET: 0
; COMPUTE_PGM_RSRC3_GFX90A:TG_SPLIT: 0
	.section	.text._ZN7rocprim17ROCPRIM_400000_NS6detail17trampoline_kernelINS0_14default_configENS1_35radix_sort_onesweep_config_selectorItNS0_10empty_typeEEEZZNS1_29radix_sort_onesweep_iterationIS3_Lb1EPtS8_PS5_S9_mNS0_19identity_decomposerENS1_16block_id_wrapperIjLb0EEEEE10hipError_tT1_PNSt15iterator_traitsISE_E10value_typeET2_T3_PNSF_ISK_E10value_typeET4_T5_PSP_SQ_PNS1_23onesweep_lookback_stateEbbT6_jjT7_P12ihipStream_tbENKUlT_T0_SE_SJ_E_clIS8_S8_S9_S9_EEDaSX_SY_SE_SJ_EUlSX_E_NS1_11comp_targetILNS1_3genE0ELNS1_11target_archE4294967295ELNS1_3gpuE0ELNS1_3repE0EEENS1_47radix_sort_onesweep_sort_config_static_selectorELNS0_4arch9wavefront6targetE1EEEvSE_,"axG",@progbits,_ZN7rocprim17ROCPRIM_400000_NS6detail17trampoline_kernelINS0_14default_configENS1_35radix_sort_onesweep_config_selectorItNS0_10empty_typeEEEZZNS1_29radix_sort_onesweep_iterationIS3_Lb1EPtS8_PS5_S9_mNS0_19identity_decomposerENS1_16block_id_wrapperIjLb0EEEEE10hipError_tT1_PNSt15iterator_traitsISE_E10value_typeET2_T3_PNSF_ISK_E10value_typeET4_T5_PSP_SQ_PNS1_23onesweep_lookback_stateEbbT6_jjT7_P12ihipStream_tbENKUlT_T0_SE_SJ_E_clIS8_S8_S9_S9_EEDaSX_SY_SE_SJ_EUlSX_E_NS1_11comp_targetILNS1_3genE0ELNS1_11target_archE4294967295ELNS1_3gpuE0ELNS1_3repE0EEENS1_47radix_sort_onesweep_sort_config_static_selectorELNS0_4arch9wavefront6targetE1EEEvSE_,comdat
	.protected	_ZN7rocprim17ROCPRIM_400000_NS6detail17trampoline_kernelINS0_14default_configENS1_35radix_sort_onesweep_config_selectorItNS0_10empty_typeEEEZZNS1_29radix_sort_onesweep_iterationIS3_Lb1EPtS8_PS5_S9_mNS0_19identity_decomposerENS1_16block_id_wrapperIjLb0EEEEE10hipError_tT1_PNSt15iterator_traitsISE_E10value_typeET2_T3_PNSF_ISK_E10value_typeET4_T5_PSP_SQ_PNS1_23onesweep_lookback_stateEbbT6_jjT7_P12ihipStream_tbENKUlT_T0_SE_SJ_E_clIS8_S8_S9_S9_EEDaSX_SY_SE_SJ_EUlSX_E_NS1_11comp_targetILNS1_3genE0ELNS1_11target_archE4294967295ELNS1_3gpuE0ELNS1_3repE0EEENS1_47radix_sort_onesweep_sort_config_static_selectorELNS0_4arch9wavefront6targetE1EEEvSE_ ; -- Begin function _ZN7rocprim17ROCPRIM_400000_NS6detail17trampoline_kernelINS0_14default_configENS1_35radix_sort_onesweep_config_selectorItNS0_10empty_typeEEEZZNS1_29radix_sort_onesweep_iterationIS3_Lb1EPtS8_PS5_S9_mNS0_19identity_decomposerENS1_16block_id_wrapperIjLb0EEEEE10hipError_tT1_PNSt15iterator_traitsISE_E10value_typeET2_T3_PNSF_ISK_E10value_typeET4_T5_PSP_SQ_PNS1_23onesweep_lookback_stateEbbT6_jjT7_P12ihipStream_tbENKUlT_T0_SE_SJ_E_clIS8_S8_S9_S9_EEDaSX_SY_SE_SJ_EUlSX_E_NS1_11comp_targetILNS1_3genE0ELNS1_11target_archE4294967295ELNS1_3gpuE0ELNS1_3repE0EEENS1_47radix_sort_onesweep_sort_config_static_selectorELNS0_4arch9wavefront6targetE1EEEvSE_
	.globl	_ZN7rocprim17ROCPRIM_400000_NS6detail17trampoline_kernelINS0_14default_configENS1_35radix_sort_onesweep_config_selectorItNS0_10empty_typeEEEZZNS1_29radix_sort_onesweep_iterationIS3_Lb1EPtS8_PS5_S9_mNS0_19identity_decomposerENS1_16block_id_wrapperIjLb0EEEEE10hipError_tT1_PNSt15iterator_traitsISE_E10value_typeET2_T3_PNSF_ISK_E10value_typeET4_T5_PSP_SQ_PNS1_23onesweep_lookback_stateEbbT6_jjT7_P12ihipStream_tbENKUlT_T0_SE_SJ_E_clIS8_S8_S9_S9_EEDaSX_SY_SE_SJ_EUlSX_E_NS1_11comp_targetILNS1_3genE0ELNS1_11target_archE4294967295ELNS1_3gpuE0ELNS1_3repE0EEENS1_47radix_sort_onesweep_sort_config_static_selectorELNS0_4arch9wavefront6targetE1EEEvSE_
	.p2align	8
	.type	_ZN7rocprim17ROCPRIM_400000_NS6detail17trampoline_kernelINS0_14default_configENS1_35radix_sort_onesweep_config_selectorItNS0_10empty_typeEEEZZNS1_29radix_sort_onesweep_iterationIS3_Lb1EPtS8_PS5_S9_mNS0_19identity_decomposerENS1_16block_id_wrapperIjLb0EEEEE10hipError_tT1_PNSt15iterator_traitsISE_E10value_typeET2_T3_PNSF_ISK_E10value_typeET4_T5_PSP_SQ_PNS1_23onesweep_lookback_stateEbbT6_jjT7_P12ihipStream_tbENKUlT_T0_SE_SJ_E_clIS8_S8_S9_S9_EEDaSX_SY_SE_SJ_EUlSX_E_NS1_11comp_targetILNS1_3genE0ELNS1_11target_archE4294967295ELNS1_3gpuE0ELNS1_3repE0EEENS1_47radix_sort_onesweep_sort_config_static_selectorELNS0_4arch9wavefront6targetE1EEEvSE_,@function
_ZN7rocprim17ROCPRIM_400000_NS6detail17trampoline_kernelINS0_14default_configENS1_35radix_sort_onesweep_config_selectorItNS0_10empty_typeEEEZZNS1_29radix_sort_onesweep_iterationIS3_Lb1EPtS8_PS5_S9_mNS0_19identity_decomposerENS1_16block_id_wrapperIjLb0EEEEE10hipError_tT1_PNSt15iterator_traitsISE_E10value_typeET2_T3_PNSF_ISK_E10value_typeET4_T5_PSP_SQ_PNS1_23onesweep_lookback_stateEbbT6_jjT7_P12ihipStream_tbENKUlT_T0_SE_SJ_E_clIS8_S8_S9_S9_EEDaSX_SY_SE_SJ_EUlSX_E_NS1_11comp_targetILNS1_3genE0ELNS1_11target_archE4294967295ELNS1_3gpuE0ELNS1_3repE0EEENS1_47radix_sort_onesweep_sort_config_static_selectorELNS0_4arch9wavefront6targetE1EEEvSE_: ; @_ZN7rocprim17ROCPRIM_400000_NS6detail17trampoline_kernelINS0_14default_configENS1_35radix_sort_onesweep_config_selectorItNS0_10empty_typeEEEZZNS1_29radix_sort_onesweep_iterationIS3_Lb1EPtS8_PS5_S9_mNS0_19identity_decomposerENS1_16block_id_wrapperIjLb0EEEEE10hipError_tT1_PNSt15iterator_traitsISE_E10value_typeET2_T3_PNSF_ISK_E10value_typeET4_T5_PSP_SQ_PNS1_23onesweep_lookback_stateEbbT6_jjT7_P12ihipStream_tbENKUlT_T0_SE_SJ_E_clIS8_S8_S9_S9_EEDaSX_SY_SE_SJ_EUlSX_E_NS1_11comp_targetILNS1_3genE0ELNS1_11target_archE4294967295ELNS1_3gpuE0ELNS1_3repE0EEENS1_47radix_sort_onesweep_sort_config_static_selectorELNS0_4arch9wavefront6targetE1EEEvSE_
; %bb.0:
	.section	.rodata,"a",@progbits
	.p2align	6, 0x0
	.amdhsa_kernel _ZN7rocprim17ROCPRIM_400000_NS6detail17trampoline_kernelINS0_14default_configENS1_35radix_sort_onesweep_config_selectorItNS0_10empty_typeEEEZZNS1_29radix_sort_onesweep_iterationIS3_Lb1EPtS8_PS5_S9_mNS0_19identity_decomposerENS1_16block_id_wrapperIjLb0EEEEE10hipError_tT1_PNSt15iterator_traitsISE_E10value_typeET2_T3_PNSF_ISK_E10value_typeET4_T5_PSP_SQ_PNS1_23onesweep_lookback_stateEbbT6_jjT7_P12ihipStream_tbENKUlT_T0_SE_SJ_E_clIS8_S8_S9_S9_EEDaSX_SY_SE_SJ_EUlSX_E_NS1_11comp_targetILNS1_3genE0ELNS1_11target_archE4294967295ELNS1_3gpuE0ELNS1_3repE0EEENS1_47radix_sort_onesweep_sort_config_static_selectorELNS0_4arch9wavefront6targetE1EEEvSE_
		.amdhsa_group_segment_fixed_size 0
		.amdhsa_private_segment_fixed_size 0
		.amdhsa_kernarg_size 88
		.amdhsa_user_sgpr_count 6
		.amdhsa_user_sgpr_private_segment_buffer 1
		.amdhsa_user_sgpr_dispatch_ptr 0
		.amdhsa_user_sgpr_queue_ptr 0
		.amdhsa_user_sgpr_kernarg_segment_ptr 1
		.amdhsa_user_sgpr_dispatch_id 0
		.amdhsa_user_sgpr_flat_scratch_init 0
		.amdhsa_user_sgpr_kernarg_preload_length 0
		.amdhsa_user_sgpr_kernarg_preload_offset 0
		.amdhsa_user_sgpr_private_segment_size 0
		.amdhsa_uses_dynamic_stack 0
		.amdhsa_system_sgpr_private_segment_wavefront_offset 0
		.amdhsa_system_sgpr_workgroup_id_x 1
		.amdhsa_system_sgpr_workgroup_id_y 0
		.amdhsa_system_sgpr_workgroup_id_z 0
		.amdhsa_system_sgpr_workgroup_info 0
		.amdhsa_system_vgpr_workitem_id 0
		.amdhsa_next_free_vgpr 1
		.amdhsa_next_free_sgpr 0
		.amdhsa_accum_offset 4
		.amdhsa_reserve_vcc 0
		.amdhsa_reserve_flat_scratch 0
		.amdhsa_float_round_mode_32 0
		.amdhsa_float_round_mode_16_64 0
		.amdhsa_float_denorm_mode_32 3
		.amdhsa_float_denorm_mode_16_64 3
		.amdhsa_dx10_clamp 1
		.amdhsa_ieee_mode 1
		.amdhsa_fp16_overflow 0
		.amdhsa_tg_split 0
		.amdhsa_exception_fp_ieee_invalid_op 0
		.amdhsa_exception_fp_denorm_src 0
		.amdhsa_exception_fp_ieee_div_zero 0
		.amdhsa_exception_fp_ieee_overflow 0
		.amdhsa_exception_fp_ieee_underflow 0
		.amdhsa_exception_fp_ieee_inexact 0
		.amdhsa_exception_int_div_zero 0
	.end_amdhsa_kernel
	.section	.text._ZN7rocprim17ROCPRIM_400000_NS6detail17trampoline_kernelINS0_14default_configENS1_35radix_sort_onesweep_config_selectorItNS0_10empty_typeEEEZZNS1_29radix_sort_onesweep_iterationIS3_Lb1EPtS8_PS5_S9_mNS0_19identity_decomposerENS1_16block_id_wrapperIjLb0EEEEE10hipError_tT1_PNSt15iterator_traitsISE_E10value_typeET2_T3_PNSF_ISK_E10value_typeET4_T5_PSP_SQ_PNS1_23onesweep_lookback_stateEbbT6_jjT7_P12ihipStream_tbENKUlT_T0_SE_SJ_E_clIS8_S8_S9_S9_EEDaSX_SY_SE_SJ_EUlSX_E_NS1_11comp_targetILNS1_3genE0ELNS1_11target_archE4294967295ELNS1_3gpuE0ELNS1_3repE0EEENS1_47radix_sort_onesweep_sort_config_static_selectorELNS0_4arch9wavefront6targetE1EEEvSE_,"axG",@progbits,_ZN7rocprim17ROCPRIM_400000_NS6detail17trampoline_kernelINS0_14default_configENS1_35radix_sort_onesweep_config_selectorItNS0_10empty_typeEEEZZNS1_29radix_sort_onesweep_iterationIS3_Lb1EPtS8_PS5_S9_mNS0_19identity_decomposerENS1_16block_id_wrapperIjLb0EEEEE10hipError_tT1_PNSt15iterator_traitsISE_E10value_typeET2_T3_PNSF_ISK_E10value_typeET4_T5_PSP_SQ_PNS1_23onesweep_lookback_stateEbbT6_jjT7_P12ihipStream_tbENKUlT_T0_SE_SJ_E_clIS8_S8_S9_S9_EEDaSX_SY_SE_SJ_EUlSX_E_NS1_11comp_targetILNS1_3genE0ELNS1_11target_archE4294967295ELNS1_3gpuE0ELNS1_3repE0EEENS1_47radix_sort_onesweep_sort_config_static_selectorELNS0_4arch9wavefront6targetE1EEEvSE_,comdat
.Lfunc_end1928:
	.size	_ZN7rocprim17ROCPRIM_400000_NS6detail17trampoline_kernelINS0_14default_configENS1_35radix_sort_onesweep_config_selectorItNS0_10empty_typeEEEZZNS1_29radix_sort_onesweep_iterationIS3_Lb1EPtS8_PS5_S9_mNS0_19identity_decomposerENS1_16block_id_wrapperIjLb0EEEEE10hipError_tT1_PNSt15iterator_traitsISE_E10value_typeET2_T3_PNSF_ISK_E10value_typeET4_T5_PSP_SQ_PNS1_23onesweep_lookback_stateEbbT6_jjT7_P12ihipStream_tbENKUlT_T0_SE_SJ_E_clIS8_S8_S9_S9_EEDaSX_SY_SE_SJ_EUlSX_E_NS1_11comp_targetILNS1_3genE0ELNS1_11target_archE4294967295ELNS1_3gpuE0ELNS1_3repE0EEENS1_47radix_sort_onesweep_sort_config_static_selectorELNS0_4arch9wavefront6targetE1EEEvSE_, .Lfunc_end1928-_ZN7rocprim17ROCPRIM_400000_NS6detail17trampoline_kernelINS0_14default_configENS1_35radix_sort_onesweep_config_selectorItNS0_10empty_typeEEEZZNS1_29radix_sort_onesweep_iterationIS3_Lb1EPtS8_PS5_S9_mNS0_19identity_decomposerENS1_16block_id_wrapperIjLb0EEEEE10hipError_tT1_PNSt15iterator_traitsISE_E10value_typeET2_T3_PNSF_ISK_E10value_typeET4_T5_PSP_SQ_PNS1_23onesweep_lookback_stateEbbT6_jjT7_P12ihipStream_tbENKUlT_T0_SE_SJ_E_clIS8_S8_S9_S9_EEDaSX_SY_SE_SJ_EUlSX_E_NS1_11comp_targetILNS1_3genE0ELNS1_11target_archE4294967295ELNS1_3gpuE0ELNS1_3repE0EEENS1_47radix_sort_onesweep_sort_config_static_selectorELNS0_4arch9wavefront6targetE1EEEvSE_
                                        ; -- End function
	.section	.AMDGPU.csdata,"",@progbits
; Kernel info:
; codeLenInByte = 0
; NumSgprs: 4
; NumVgprs: 0
; NumAgprs: 0
; TotalNumVgprs: 0
; ScratchSize: 0
; MemoryBound: 0
; FloatMode: 240
; IeeeMode: 1
; LDSByteSize: 0 bytes/workgroup (compile time only)
; SGPRBlocks: 0
; VGPRBlocks: 0
; NumSGPRsForWavesPerEU: 4
; NumVGPRsForWavesPerEU: 1
; AccumOffset: 4
; Occupancy: 8
; WaveLimiterHint : 0
; COMPUTE_PGM_RSRC2:SCRATCH_EN: 0
; COMPUTE_PGM_RSRC2:USER_SGPR: 6
; COMPUTE_PGM_RSRC2:TRAP_HANDLER: 0
; COMPUTE_PGM_RSRC2:TGID_X_EN: 1
; COMPUTE_PGM_RSRC2:TGID_Y_EN: 0
; COMPUTE_PGM_RSRC2:TGID_Z_EN: 0
; COMPUTE_PGM_RSRC2:TIDIG_COMP_CNT: 0
; COMPUTE_PGM_RSRC3_GFX90A:ACCUM_OFFSET: 0
; COMPUTE_PGM_RSRC3_GFX90A:TG_SPLIT: 0
	.section	.text._ZN7rocprim17ROCPRIM_400000_NS6detail17trampoline_kernelINS0_14default_configENS1_35radix_sort_onesweep_config_selectorItNS0_10empty_typeEEEZZNS1_29radix_sort_onesweep_iterationIS3_Lb1EPtS8_PS5_S9_mNS0_19identity_decomposerENS1_16block_id_wrapperIjLb0EEEEE10hipError_tT1_PNSt15iterator_traitsISE_E10value_typeET2_T3_PNSF_ISK_E10value_typeET4_T5_PSP_SQ_PNS1_23onesweep_lookback_stateEbbT6_jjT7_P12ihipStream_tbENKUlT_T0_SE_SJ_E_clIS8_S8_S9_S9_EEDaSX_SY_SE_SJ_EUlSX_E_NS1_11comp_targetILNS1_3genE6ELNS1_11target_archE950ELNS1_3gpuE13ELNS1_3repE0EEENS1_47radix_sort_onesweep_sort_config_static_selectorELNS0_4arch9wavefront6targetE1EEEvSE_,"axG",@progbits,_ZN7rocprim17ROCPRIM_400000_NS6detail17trampoline_kernelINS0_14default_configENS1_35radix_sort_onesweep_config_selectorItNS0_10empty_typeEEEZZNS1_29radix_sort_onesweep_iterationIS3_Lb1EPtS8_PS5_S9_mNS0_19identity_decomposerENS1_16block_id_wrapperIjLb0EEEEE10hipError_tT1_PNSt15iterator_traitsISE_E10value_typeET2_T3_PNSF_ISK_E10value_typeET4_T5_PSP_SQ_PNS1_23onesweep_lookback_stateEbbT6_jjT7_P12ihipStream_tbENKUlT_T0_SE_SJ_E_clIS8_S8_S9_S9_EEDaSX_SY_SE_SJ_EUlSX_E_NS1_11comp_targetILNS1_3genE6ELNS1_11target_archE950ELNS1_3gpuE13ELNS1_3repE0EEENS1_47radix_sort_onesweep_sort_config_static_selectorELNS0_4arch9wavefront6targetE1EEEvSE_,comdat
	.protected	_ZN7rocprim17ROCPRIM_400000_NS6detail17trampoline_kernelINS0_14default_configENS1_35radix_sort_onesweep_config_selectorItNS0_10empty_typeEEEZZNS1_29radix_sort_onesweep_iterationIS3_Lb1EPtS8_PS5_S9_mNS0_19identity_decomposerENS1_16block_id_wrapperIjLb0EEEEE10hipError_tT1_PNSt15iterator_traitsISE_E10value_typeET2_T3_PNSF_ISK_E10value_typeET4_T5_PSP_SQ_PNS1_23onesweep_lookback_stateEbbT6_jjT7_P12ihipStream_tbENKUlT_T0_SE_SJ_E_clIS8_S8_S9_S9_EEDaSX_SY_SE_SJ_EUlSX_E_NS1_11comp_targetILNS1_3genE6ELNS1_11target_archE950ELNS1_3gpuE13ELNS1_3repE0EEENS1_47radix_sort_onesweep_sort_config_static_selectorELNS0_4arch9wavefront6targetE1EEEvSE_ ; -- Begin function _ZN7rocprim17ROCPRIM_400000_NS6detail17trampoline_kernelINS0_14default_configENS1_35radix_sort_onesweep_config_selectorItNS0_10empty_typeEEEZZNS1_29radix_sort_onesweep_iterationIS3_Lb1EPtS8_PS5_S9_mNS0_19identity_decomposerENS1_16block_id_wrapperIjLb0EEEEE10hipError_tT1_PNSt15iterator_traitsISE_E10value_typeET2_T3_PNSF_ISK_E10value_typeET4_T5_PSP_SQ_PNS1_23onesweep_lookback_stateEbbT6_jjT7_P12ihipStream_tbENKUlT_T0_SE_SJ_E_clIS8_S8_S9_S9_EEDaSX_SY_SE_SJ_EUlSX_E_NS1_11comp_targetILNS1_3genE6ELNS1_11target_archE950ELNS1_3gpuE13ELNS1_3repE0EEENS1_47radix_sort_onesweep_sort_config_static_selectorELNS0_4arch9wavefront6targetE1EEEvSE_
	.globl	_ZN7rocprim17ROCPRIM_400000_NS6detail17trampoline_kernelINS0_14default_configENS1_35radix_sort_onesweep_config_selectorItNS0_10empty_typeEEEZZNS1_29radix_sort_onesweep_iterationIS3_Lb1EPtS8_PS5_S9_mNS0_19identity_decomposerENS1_16block_id_wrapperIjLb0EEEEE10hipError_tT1_PNSt15iterator_traitsISE_E10value_typeET2_T3_PNSF_ISK_E10value_typeET4_T5_PSP_SQ_PNS1_23onesweep_lookback_stateEbbT6_jjT7_P12ihipStream_tbENKUlT_T0_SE_SJ_E_clIS8_S8_S9_S9_EEDaSX_SY_SE_SJ_EUlSX_E_NS1_11comp_targetILNS1_3genE6ELNS1_11target_archE950ELNS1_3gpuE13ELNS1_3repE0EEENS1_47radix_sort_onesweep_sort_config_static_selectorELNS0_4arch9wavefront6targetE1EEEvSE_
	.p2align	8
	.type	_ZN7rocprim17ROCPRIM_400000_NS6detail17trampoline_kernelINS0_14default_configENS1_35radix_sort_onesweep_config_selectorItNS0_10empty_typeEEEZZNS1_29radix_sort_onesweep_iterationIS3_Lb1EPtS8_PS5_S9_mNS0_19identity_decomposerENS1_16block_id_wrapperIjLb0EEEEE10hipError_tT1_PNSt15iterator_traitsISE_E10value_typeET2_T3_PNSF_ISK_E10value_typeET4_T5_PSP_SQ_PNS1_23onesweep_lookback_stateEbbT6_jjT7_P12ihipStream_tbENKUlT_T0_SE_SJ_E_clIS8_S8_S9_S9_EEDaSX_SY_SE_SJ_EUlSX_E_NS1_11comp_targetILNS1_3genE6ELNS1_11target_archE950ELNS1_3gpuE13ELNS1_3repE0EEENS1_47radix_sort_onesweep_sort_config_static_selectorELNS0_4arch9wavefront6targetE1EEEvSE_,@function
_ZN7rocprim17ROCPRIM_400000_NS6detail17trampoline_kernelINS0_14default_configENS1_35radix_sort_onesweep_config_selectorItNS0_10empty_typeEEEZZNS1_29radix_sort_onesweep_iterationIS3_Lb1EPtS8_PS5_S9_mNS0_19identity_decomposerENS1_16block_id_wrapperIjLb0EEEEE10hipError_tT1_PNSt15iterator_traitsISE_E10value_typeET2_T3_PNSF_ISK_E10value_typeET4_T5_PSP_SQ_PNS1_23onesweep_lookback_stateEbbT6_jjT7_P12ihipStream_tbENKUlT_T0_SE_SJ_E_clIS8_S8_S9_S9_EEDaSX_SY_SE_SJ_EUlSX_E_NS1_11comp_targetILNS1_3genE6ELNS1_11target_archE950ELNS1_3gpuE13ELNS1_3repE0EEENS1_47radix_sort_onesweep_sort_config_static_selectorELNS0_4arch9wavefront6targetE1EEEvSE_: ; @_ZN7rocprim17ROCPRIM_400000_NS6detail17trampoline_kernelINS0_14default_configENS1_35radix_sort_onesweep_config_selectorItNS0_10empty_typeEEEZZNS1_29radix_sort_onesweep_iterationIS3_Lb1EPtS8_PS5_S9_mNS0_19identity_decomposerENS1_16block_id_wrapperIjLb0EEEEE10hipError_tT1_PNSt15iterator_traitsISE_E10value_typeET2_T3_PNSF_ISK_E10value_typeET4_T5_PSP_SQ_PNS1_23onesweep_lookback_stateEbbT6_jjT7_P12ihipStream_tbENKUlT_T0_SE_SJ_E_clIS8_S8_S9_S9_EEDaSX_SY_SE_SJ_EUlSX_E_NS1_11comp_targetILNS1_3genE6ELNS1_11target_archE950ELNS1_3gpuE13ELNS1_3repE0EEENS1_47radix_sort_onesweep_sort_config_static_selectorELNS0_4arch9wavefront6targetE1EEEvSE_
; %bb.0:
	.section	.rodata,"a",@progbits
	.p2align	6, 0x0
	.amdhsa_kernel _ZN7rocprim17ROCPRIM_400000_NS6detail17trampoline_kernelINS0_14default_configENS1_35radix_sort_onesweep_config_selectorItNS0_10empty_typeEEEZZNS1_29radix_sort_onesweep_iterationIS3_Lb1EPtS8_PS5_S9_mNS0_19identity_decomposerENS1_16block_id_wrapperIjLb0EEEEE10hipError_tT1_PNSt15iterator_traitsISE_E10value_typeET2_T3_PNSF_ISK_E10value_typeET4_T5_PSP_SQ_PNS1_23onesweep_lookback_stateEbbT6_jjT7_P12ihipStream_tbENKUlT_T0_SE_SJ_E_clIS8_S8_S9_S9_EEDaSX_SY_SE_SJ_EUlSX_E_NS1_11comp_targetILNS1_3genE6ELNS1_11target_archE950ELNS1_3gpuE13ELNS1_3repE0EEENS1_47radix_sort_onesweep_sort_config_static_selectorELNS0_4arch9wavefront6targetE1EEEvSE_
		.amdhsa_group_segment_fixed_size 0
		.amdhsa_private_segment_fixed_size 0
		.amdhsa_kernarg_size 88
		.amdhsa_user_sgpr_count 6
		.amdhsa_user_sgpr_private_segment_buffer 1
		.amdhsa_user_sgpr_dispatch_ptr 0
		.amdhsa_user_sgpr_queue_ptr 0
		.amdhsa_user_sgpr_kernarg_segment_ptr 1
		.amdhsa_user_sgpr_dispatch_id 0
		.amdhsa_user_sgpr_flat_scratch_init 0
		.amdhsa_user_sgpr_kernarg_preload_length 0
		.amdhsa_user_sgpr_kernarg_preload_offset 0
		.amdhsa_user_sgpr_private_segment_size 0
		.amdhsa_uses_dynamic_stack 0
		.amdhsa_system_sgpr_private_segment_wavefront_offset 0
		.amdhsa_system_sgpr_workgroup_id_x 1
		.amdhsa_system_sgpr_workgroup_id_y 0
		.amdhsa_system_sgpr_workgroup_id_z 0
		.amdhsa_system_sgpr_workgroup_info 0
		.amdhsa_system_vgpr_workitem_id 0
		.amdhsa_next_free_vgpr 1
		.amdhsa_next_free_sgpr 0
		.amdhsa_accum_offset 4
		.amdhsa_reserve_vcc 0
		.amdhsa_reserve_flat_scratch 0
		.amdhsa_float_round_mode_32 0
		.amdhsa_float_round_mode_16_64 0
		.amdhsa_float_denorm_mode_32 3
		.amdhsa_float_denorm_mode_16_64 3
		.amdhsa_dx10_clamp 1
		.amdhsa_ieee_mode 1
		.amdhsa_fp16_overflow 0
		.amdhsa_tg_split 0
		.amdhsa_exception_fp_ieee_invalid_op 0
		.amdhsa_exception_fp_denorm_src 0
		.amdhsa_exception_fp_ieee_div_zero 0
		.amdhsa_exception_fp_ieee_overflow 0
		.amdhsa_exception_fp_ieee_underflow 0
		.amdhsa_exception_fp_ieee_inexact 0
		.amdhsa_exception_int_div_zero 0
	.end_amdhsa_kernel
	.section	.text._ZN7rocprim17ROCPRIM_400000_NS6detail17trampoline_kernelINS0_14default_configENS1_35radix_sort_onesweep_config_selectorItNS0_10empty_typeEEEZZNS1_29radix_sort_onesweep_iterationIS3_Lb1EPtS8_PS5_S9_mNS0_19identity_decomposerENS1_16block_id_wrapperIjLb0EEEEE10hipError_tT1_PNSt15iterator_traitsISE_E10value_typeET2_T3_PNSF_ISK_E10value_typeET4_T5_PSP_SQ_PNS1_23onesweep_lookback_stateEbbT6_jjT7_P12ihipStream_tbENKUlT_T0_SE_SJ_E_clIS8_S8_S9_S9_EEDaSX_SY_SE_SJ_EUlSX_E_NS1_11comp_targetILNS1_3genE6ELNS1_11target_archE950ELNS1_3gpuE13ELNS1_3repE0EEENS1_47radix_sort_onesweep_sort_config_static_selectorELNS0_4arch9wavefront6targetE1EEEvSE_,"axG",@progbits,_ZN7rocprim17ROCPRIM_400000_NS6detail17trampoline_kernelINS0_14default_configENS1_35radix_sort_onesweep_config_selectorItNS0_10empty_typeEEEZZNS1_29radix_sort_onesweep_iterationIS3_Lb1EPtS8_PS5_S9_mNS0_19identity_decomposerENS1_16block_id_wrapperIjLb0EEEEE10hipError_tT1_PNSt15iterator_traitsISE_E10value_typeET2_T3_PNSF_ISK_E10value_typeET4_T5_PSP_SQ_PNS1_23onesweep_lookback_stateEbbT6_jjT7_P12ihipStream_tbENKUlT_T0_SE_SJ_E_clIS8_S8_S9_S9_EEDaSX_SY_SE_SJ_EUlSX_E_NS1_11comp_targetILNS1_3genE6ELNS1_11target_archE950ELNS1_3gpuE13ELNS1_3repE0EEENS1_47radix_sort_onesweep_sort_config_static_selectorELNS0_4arch9wavefront6targetE1EEEvSE_,comdat
.Lfunc_end1929:
	.size	_ZN7rocprim17ROCPRIM_400000_NS6detail17trampoline_kernelINS0_14default_configENS1_35radix_sort_onesweep_config_selectorItNS0_10empty_typeEEEZZNS1_29radix_sort_onesweep_iterationIS3_Lb1EPtS8_PS5_S9_mNS0_19identity_decomposerENS1_16block_id_wrapperIjLb0EEEEE10hipError_tT1_PNSt15iterator_traitsISE_E10value_typeET2_T3_PNSF_ISK_E10value_typeET4_T5_PSP_SQ_PNS1_23onesweep_lookback_stateEbbT6_jjT7_P12ihipStream_tbENKUlT_T0_SE_SJ_E_clIS8_S8_S9_S9_EEDaSX_SY_SE_SJ_EUlSX_E_NS1_11comp_targetILNS1_3genE6ELNS1_11target_archE950ELNS1_3gpuE13ELNS1_3repE0EEENS1_47radix_sort_onesweep_sort_config_static_selectorELNS0_4arch9wavefront6targetE1EEEvSE_, .Lfunc_end1929-_ZN7rocprim17ROCPRIM_400000_NS6detail17trampoline_kernelINS0_14default_configENS1_35radix_sort_onesweep_config_selectorItNS0_10empty_typeEEEZZNS1_29radix_sort_onesweep_iterationIS3_Lb1EPtS8_PS5_S9_mNS0_19identity_decomposerENS1_16block_id_wrapperIjLb0EEEEE10hipError_tT1_PNSt15iterator_traitsISE_E10value_typeET2_T3_PNSF_ISK_E10value_typeET4_T5_PSP_SQ_PNS1_23onesweep_lookback_stateEbbT6_jjT7_P12ihipStream_tbENKUlT_T0_SE_SJ_E_clIS8_S8_S9_S9_EEDaSX_SY_SE_SJ_EUlSX_E_NS1_11comp_targetILNS1_3genE6ELNS1_11target_archE950ELNS1_3gpuE13ELNS1_3repE0EEENS1_47radix_sort_onesweep_sort_config_static_selectorELNS0_4arch9wavefront6targetE1EEEvSE_
                                        ; -- End function
	.section	.AMDGPU.csdata,"",@progbits
; Kernel info:
; codeLenInByte = 0
; NumSgprs: 4
; NumVgprs: 0
; NumAgprs: 0
; TotalNumVgprs: 0
; ScratchSize: 0
; MemoryBound: 0
; FloatMode: 240
; IeeeMode: 1
; LDSByteSize: 0 bytes/workgroup (compile time only)
; SGPRBlocks: 0
; VGPRBlocks: 0
; NumSGPRsForWavesPerEU: 4
; NumVGPRsForWavesPerEU: 1
; AccumOffset: 4
; Occupancy: 8
; WaveLimiterHint : 0
; COMPUTE_PGM_RSRC2:SCRATCH_EN: 0
; COMPUTE_PGM_RSRC2:USER_SGPR: 6
; COMPUTE_PGM_RSRC2:TRAP_HANDLER: 0
; COMPUTE_PGM_RSRC2:TGID_X_EN: 1
; COMPUTE_PGM_RSRC2:TGID_Y_EN: 0
; COMPUTE_PGM_RSRC2:TGID_Z_EN: 0
; COMPUTE_PGM_RSRC2:TIDIG_COMP_CNT: 0
; COMPUTE_PGM_RSRC3_GFX90A:ACCUM_OFFSET: 0
; COMPUTE_PGM_RSRC3_GFX90A:TG_SPLIT: 0
	.section	.text._ZN7rocprim17ROCPRIM_400000_NS6detail17trampoline_kernelINS0_14default_configENS1_35radix_sort_onesweep_config_selectorItNS0_10empty_typeEEEZZNS1_29radix_sort_onesweep_iterationIS3_Lb1EPtS8_PS5_S9_mNS0_19identity_decomposerENS1_16block_id_wrapperIjLb0EEEEE10hipError_tT1_PNSt15iterator_traitsISE_E10value_typeET2_T3_PNSF_ISK_E10value_typeET4_T5_PSP_SQ_PNS1_23onesweep_lookback_stateEbbT6_jjT7_P12ihipStream_tbENKUlT_T0_SE_SJ_E_clIS8_S8_S9_S9_EEDaSX_SY_SE_SJ_EUlSX_E_NS1_11comp_targetILNS1_3genE5ELNS1_11target_archE942ELNS1_3gpuE9ELNS1_3repE0EEENS1_47radix_sort_onesweep_sort_config_static_selectorELNS0_4arch9wavefront6targetE1EEEvSE_,"axG",@progbits,_ZN7rocprim17ROCPRIM_400000_NS6detail17trampoline_kernelINS0_14default_configENS1_35radix_sort_onesweep_config_selectorItNS0_10empty_typeEEEZZNS1_29radix_sort_onesweep_iterationIS3_Lb1EPtS8_PS5_S9_mNS0_19identity_decomposerENS1_16block_id_wrapperIjLb0EEEEE10hipError_tT1_PNSt15iterator_traitsISE_E10value_typeET2_T3_PNSF_ISK_E10value_typeET4_T5_PSP_SQ_PNS1_23onesweep_lookback_stateEbbT6_jjT7_P12ihipStream_tbENKUlT_T0_SE_SJ_E_clIS8_S8_S9_S9_EEDaSX_SY_SE_SJ_EUlSX_E_NS1_11comp_targetILNS1_3genE5ELNS1_11target_archE942ELNS1_3gpuE9ELNS1_3repE0EEENS1_47radix_sort_onesweep_sort_config_static_selectorELNS0_4arch9wavefront6targetE1EEEvSE_,comdat
	.protected	_ZN7rocprim17ROCPRIM_400000_NS6detail17trampoline_kernelINS0_14default_configENS1_35radix_sort_onesweep_config_selectorItNS0_10empty_typeEEEZZNS1_29radix_sort_onesweep_iterationIS3_Lb1EPtS8_PS5_S9_mNS0_19identity_decomposerENS1_16block_id_wrapperIjLb0EEEEE10hipError_tT1_PNSt15iterator_traitsISE_E10value_typeET2_T3_PNSF_ISK_E10value_typeET4_T5_PSP_SQ_PNS1_23onesweep_lookback_stateEbbT6_jjT7_P12ihipStream_tbENKUlT_T0_SE_SJ_E_clIS8_S8_S9_S9_EEDaSX_SY_SE_SJ_EUlSX_E_NS1_11comp_targetILNS1_3genE5ELNS1_11target_archE942ELNS1_3gpuE9ELNS1_3repE0EEENS1_47radix_sort_onesweep_sort_config_static_selectorELNS0_4arch9wavefront6targetE1EEEvSE_ ; -- Begin function _ZN7rocprim17ROCPRIM_400000_NS6detail17trampoline_kernelINS0_14default_configENS1_35radix_sort_onesweep_config_selectorItNS0_10empty_typeEEEZZNS1_29radix_sort_onesweep_iterationIS3_Lb1EPtS8_PS5_S9_mNS0_19identity_decomposerENS1_16block_id_wrapperIjLb0EEEEE10hipError_tT1_PNSt15iterator_traitsISE_E10value_typeET2_T3_PNSF_ISK_E10value_typeET4_T5_PSP_SQ_PNS1_23onesweep_lookback_stateEbbT6_jjT7_P12ihipStream_tbENKUlT_T0_SE_SJ_E_clIS8_S8_S9_S9_EEDaSX_SY_SE_SJ_EUlSX_E_NS1_11comp_targetILNS1_3genE5ELNS1_11target_archE942ELNS1_3gpuE9ELNS1_3repE0EEENS1_47radix_sort_onesweep_sort_config_static_selectorELNS0_4arch9wavefront6targetE1EEEvSE_
	.globl	_ZN7rocprim17ROCPRIM_400000_NS6detail17trampoline_kernelINS0_14default_configENS1_35radix_sort_onesweep_config_selectorItNS0_10empty_typeEEEZZNS1_29radix_sort_onesweep_iterationIS3_Lb1EPtS8_PS5_S9_mNS0_19identity_decomposerENS1_16block_id_wrapperIjLb0EEEEE10hipError_tT1_PNSt15iterator_traitsISE_E10value_typeET2_T3_PNSF_ISK_E10value_typeET4_T5_PSP_SQ_PNS1_23onesweep_lookback_stateEbbT6_jjT7_P12ihipStream_tbENKUlT_T0_SE_SJ_E_clIS8_S8_S9_S9_EEDaSX_SY_SE_SJ_EUlSX_E_NS1_11comp_targetILNS1_3genE5ELNS1_11target_archE942ELNS1_3gpuE9ELNS1_3repE0EEENS1_47radix_sort_onesweep_sort_config_static_selectorELNS0_4arch9wavefront6targetE1EEEvSE_
	.p2align	8
	.type	_ZN7rocprim17ROCPRIM_400000_NS6detail17trampoline_kernelINS0_14default_configENS1_35radix_sort_onesweep_config_selectorItNS0_10empty_typeEEEZZNS1_29radix_sort_onesweep_iterationIS3_Lb1EPtS8_PS5_S9_mNS0_19identity_decomposerENS1_16block_id_wrapperIjLb0EEEEE10hipError_tT1_PNSt15iterator_traitsISE_E10value_typeET2_T3_PNSF_ISK_E10value_typeET4_T5_PSP_SQ_PNS1_23onesweep_lookback_stateEbbT6_jjT7_P12ihipStream_tbENKUlT_T0_SE_SJ_E_clIS8_S8_S9_S9_EEDaSX_SY_SE_SJ_EUlSX_E_NS1_11comp_targetILNS1_3genE5ELNS1_11target_archE942ELNS1_3gpuE9ELNS1_3repE0EEENS1_47radix_sort_onesweep_sort_config_static_selectorELNS0_4arch9wavefront6targetE1EEEvSE_,@function
_ZN7rocprim17ROCPRIM_400000_NS6detail17trampoline_kernelINS0_14default_configENS1_35radix_sort_onesweep_config_selectorItNS0_10empty_typeEEEZZNS1_29radix_sort_onesweep_iterationIS3_Lb1EPtS8_PS5_S9_mNS0_19identity_decomposerENS1_16block_id_wrapperIjLb0EEEEE10hipError_tT1_PNSt15iterator_traitsISE_E10value_typeET2_T3_PNSF_ISK_E10value_typeET4_T5_PSP_SQ_PNS1_23onesweep_lookback_stateEbbT6_jjT7_P12ihipStream_tbENKUlT_T0_SE_SJ_E_clIS8_S8_S9_S9_EEDaSX_SY_SE_SJ_EUlSX_E_NS1_11comp_targetILNS1_3genE5ELNS1_11target_archE942ELNS1_3gpuE9ELNS1_3repE0EEENS1_47radix_sort_onesweep_sort_config_static_selectorELNS0_4arch9wavefront6targetE1EEEvSE_: ; @_ZN7rocprim17ROCPRIM_400000_NS6detail17trampoline_kernelINS0_14default_configENS1_35radix_sort_onesweep_config_selectorItNS0_10empty_typeEEEZZNS1_29radix_sort_onesweep_iterationIS3_Lb1EPtS8_PS5_S9_mNS0_19identity_decomposerENS1_16block_id_wrapperIjLb0EEEEE10hipError_tT1_PNSt15iterator_traitsISE_E10value_typeET2_T3_PNSF_ISK_E10value_typeET4_T5_PSP_SQ_PNS1_23onesweep_lookback_stateEbbT6_jjT7_P12ihipStream_tbENKUlT_T0_SE_SJ_E_clIS8_S8_S9_S9_EEDaSX_SY_SE_SJ_EUlSX_E_NS1_11comp_targetILNS1_3genE5ELNS1_11target_archE942ELNS1_3gpuE9ELNS1_3repE0EEENS1_47radix_sort_onesweep_sort_config_static_selectorELNS0_4arch9wavefront6targetE1EEEvSE_
; %bb.0:
	.section	.rodata,"a",@progbits
	.p2align	6, 0x0
	.amdhsa_kernel _ZN7rocprim17ROCPRIM_400000_NS6detail17trampoline_kernelINS0_14default_configENS1_35radix_sort_onesweep_config_selectorItNS0_10empty_typeEEEZZNS1_29radix_sort_onesweep_iterationIS3_Lb1EPtS8_PS5_S9_mNS0_19identity_decomposerENS1_16block_id_wrapperIjLb0EEEEE10hipError_tT1_PNSt15iterator_traitsISE_E10value_typeET2_T3_PNSF_ISK_E10value_typeET4_T5_PSP_SQ_PNS1_23onesweep_lookback_stateEbbT6_jjT7_P12ihipStream_tbENKUlT_T0_SE_SJ_E_clIS8_S8_S9_S9_EEDaSX_SY_SE_SJ_EUlSX_E_NS1_11comp_targetILNS1_3genE5ELNS1_11target_archE942ELNS1_3gpuE9ELNS1_3repE0EEENS1_47radix_sort_onesweep_sort_config_static_selectorELNS0_4arch9wavefront6targetE1EEEvSE_
		.amdhsa_group_segment_fixed_size 0
		.amdhsa_private_segment_fixed_size 0
		.amdhsa_kernarg_size 88
		.amdhsa_user_sgpr_count 6
		.amdhsa_user_sgpr_private_segment_buffer 1
		.amdhsa_user_sgpr_dispatch_ptr 0
		.amdhsa_user_sgpr_queue_ptr 0
		.amdhsa_user_sgpr_kernarg_segment_ptr 1
		.amdhsa_user_sgpr_dispatch_id 0
		.amdhsa_user_sgpr_flat_scratch_init 0
		.amdhsa_user_sgpr_kernarg_preload_length 0
		.amdhsa_user_sgpr_kernarg_preload_offset 0
		.amdhsa_user_sgpr_private_segment_size 0
		.amdhsa_uses_dynamic_stack 0
		.amdhsa_system_sgpr_private_segment_wavefront_offset 0
		.amdhsa_system_sgpr_workgroup_id_x 1
		.amdhsa_system_sgpr_workgroup_id_y 0
		.amdhsa_system_sgpr_workgroup_id_z 0
		.amdhsa_system_sgpr_workgroup_info 0
		.amdhsa_system_vgpr_workitem_id 0
		.amdhsa_next_free_vgpr 1
		.amdhsa_next_free_sgpr 0
		.amdhsa_accum_offset 4
		.amdhsa_reserve_vcc 0
		.amdhsa_reserve_flat_scratch 0
		.amdhsa_float_round_mode_32 0
		.amdhsa_float_round_mode_16_64 0
		.amdhsa_float_denorm_mode_32 3
		.amdhsa_float_denorm_mode_16_64 3
		.amdhsa_dx10_clamp 1
		.amdhsa_ieee_mode 1
		.amdhsa_fp16_overflow 0
		.amdhsa_tg_split 0
		.amdhsa_exception_fp_ieee_invalid_op 0
		.amdhsa_exception_fp_denorm_src 0
		.amdhsa_exception_fp_ieee_div_zero 0
		.amdhsa_exception_fp_ieee_overflow 0
		.amdhsa_exception_fp_ieee_underflow 0
		.amdhsa_exception_fp_ieee_inexact 0
		.amdhsa_exception_int_div_zero 0
	.end_amdhsa_kernel
	.section	.text._ZN7rocprim17ROCPRIM_400000_NS6detail17trampoline_kernelINS0_14default_configENS1_35radix_sort_onesweep_config_selectorItNS0_10empty_typeEEEZZNS1_29radix_sort_onesweep_iterationIS3_Lb1EPtS8_PS5_S9_mNS0_19identity_decomposerENS1_16block_id_wrapperIjLb0EEEEE10hipError_tT1_PNSt15iterator_traitsISE_E10value_typeET2_T3_PNSF_ISK_E10value_typeET4_T5_PSP_SQ_PNS1_23onesweep_lookback_stateEbbT6_jjT7_P12ihipStream_tbENKUlT_T0_SE_SJ_E_clIS8_S8_S9_S9_EEDaSX_SY_SE_SJ_EUlSX_E_NS1_11comp_targetILNS1_3genE5ELNS1_11target_archE942ELNS1_3gpuE9ELNS1_3repE0EEENS1_47radix_sort_onesweep_sort_config_static_selectorELNS0_4arch9wavefront6targetE1EEEvSE_,"axG",@progbits,_ZN7rocprim17ROCPRIM_400000_NS6detail17trampoline_kernelINS0_14default_configENS1_35radix_sort_onesweep_config_selectorItNS0_10empty_typeEEEZZNS1_29radix_sort_onesweep_iterationIS3_Lb1EPtS8_PS5_S9_mNS0_19identity_decomposerENS1_16block_id_wrapperIjLb0EEEEE10hipError_tT1_PNSt15iterator_traitsISE_E10value_typeET2_T3_PNSF_ISK_E10value_typeET4_T5_PSP_SQ_PNS1_23onesweep_lookback_stateEbbT6_jjT7_P12ihipStream_tbENKUlT_T0_SE_SJ_E_clIS8_S8_S9_S9_EEDaSX_SY_SE_SJ_EUlSX_E_NS1_11comp_targetILNS1_3genE5ELNS1_11target_archE942ELNS1_3gpuE9ELNS1_3repE0EEENS1_47radix_sort_onesweep_sort_config_static_selectorELNS0_4arch9wavefront6targetE1EEEvSE_,comdat
.Lfunc_end1930:
	.size	_ZN7rocprim17ROCPRIM_400000_NS6detail17trampoline_kernelINS0_14default_configENS1_35radix_sort_onesweep_config_selectorItNS0_10empty_typeEEEZZNS1_29radix_sort_onesweep_iterationIS3_Lb1EPtS8_PS5_S9_mNS0_19identity_decomposerENS1_16block_id_wrapperIjLb0EEEEE10hipError_tT1_PNSt15iterator_traitsISE_E10value_typeET2_T3_PNSF_ISK_E10value_typeET4_T5_PSP_SQ_PNS1_23onesweep_lookback_stateEbbT6_jjT7_P12ihipStream_tbENKUlT_T0_SE_SJ_E_clIS8_S8_S9_S9_EEDaSX_SY_SE_SJ_EUlSX_E_NS1_11comp_targetILNS1_3genE5ELNS1_11target_archE942ELNS1_3gpuE9ELNS1_3repE0EEENS1_47radix_sort_onesweep_sort_config_static_selectorELNS0_4arch9wavefront6targetE1EEEvSE_, .Lfunc_end1930-_ZN7rocprim17ROCPRIM_400000_NS6detail17trampoline_kernelINS0_14default_configENS1_35radix_sort_onesweep_config_selectorItNS0_10empty_typeEEEZZNS1_29radix_sort_onesweep_iterationIS3_Lb1EPtS8_PS5_S9_mNS0_19identity_decomposerENS1_16block_id_wrapperIjLb0EEEEE10hipError_tT1_PNSt15iterator_traitsISE_E10value_typeET2_T3_PNSF_ISK_E10value_typeET4_T5_PSP_SQ_PNS1_23onesweep_lookback_stateEbbT6_jjT7_P12ihipStream_tbENKUlT_T0_SE_SJ_E_clIS8_S8_S9_S9_EEDaSX_SY_SE_SJ_EUlSX_E_NS1_11comp_targetILNS1_3genE5ELNS1_11target_archE942ELNS1_3gpuE9ELNS1_3repE0EEENS1_47radix_sort_onesweep_sort_config_static_selectorELNS0_4arch9wavefront6targetE1EEEvSE_
                                        ; -- End function
	.section	.AMDGPU.csdata,"",@progbits
; Kernel info:
; codeLenInByte = 0
; NumSgprs: 4
; NumVgprs: 0
; NumAgprs: 0
; TotalNumVgprs: 0
; ScratchSize: 0
; MemoryBound: 0
; FloatMode: 240
; IeeeMode: 1
; LDSByteSize: 0 bytes/workgroup (compile time only)
; SGPRBlocks: 0
; VGPRBlocks: 0
; NumSGPRsForWavesPerEU: 4
; NumVGPRsForWavesPerEU: 1
; AccumOffset: 4
; Occupancy: 8
; WaveLimiterHint : 0
; COMPUTE_PGM_RSRC2:SCRATCH_EN: 0
; COMPUTE_PGM_RSRC2:USER_SGPR: 6
; COMPUTE_PGM_RSRC2:TRAP_HANDLER: 0
; COMPUTE_PGM_RSRC2:TGID_X_EN: 1
; COMPUTE_PGM_RSRC2:TGID_Y_EN: 0
; COMPUTE_PGM_RSRC2:TGID_Z_EN: 0
; COMPUTE_PGM_RSRC2:TIDIG_COMP_CNT: 0
; COMPUTE_PGM_RSRC3_GFX90A:ACCUM_OFFSET: 0
; COMPUTE_PGM_RSRC3_GFX90A:TG_SPLIT: 0
	.section	.text._ZN7rocprim17ROCPRIM_400000_NS6detail17trampoline_kernelINS0_14default_configENS1_35radix_sort_onesweep_config_selectorItNS0_10empty_typeEEEZZNS1_29radix_sort_onesweep_iterationIS3_Lb1EPtS8_PS5_S9_mNS0_19identity_decomposerENS1_16block_id_wrapperIjLb0EEEEE10hipError_tT1_PNSt15iterator_traitsISE_E10value_typeET2_T3_PNSF_ISK_E10value_typeET4_T5_PSP_SQ_PNS1_23onesweep_lookback_stateEbbT6_jjT7_P12ihipStream_tbENKUlT_T0_SE_SJ_E_clIS8_S8_S9_S9_EEDaSX_SY_SE_SJ_EUlSX_E_NS1_11comp_targetILNS1_3genE2ELNS1_11target_archE906ELNS1_3gpuE6ELNS1_3repE0EEENS1_47radix_sort_onesweep_sort_config_static_selectorELNS0_4arch9wavefront6targetE1EEEvSE_,"axG",@progbits,_ZN7rocprim17ROCPRIM_400000_NS6detail17trampoline_kernelINS0_14default_configENS1_35radix_sort_onesweep_config_selectorItNS0_10empty_typeEEEZZNS1_29radix_sort_onesweep_iterationIS3_Lb1EPtS8_PS5_S9_mNS0_19identity_decomposerENS1_16block_id_wrapperIjLb0EEEEE10hipError_tT1_PNSt15iterator_traitsISE_E10value_typeET2_T3_PNSF_ISK_E10value_typeET4_T5_PSP_SQ_PNS1_23onesweep_lookback_stateEbbT6_jjT7_P12ihipStream_tbENKUlT_T0_SE_SJ_E_clIS8_S8_S9_S9_EEDaSX_SY_SE_SJ_EUlSX_E_NS1_11comp_targetILNS1_3genE2ELNS1_11target_archE906ELNS1_3gpuE6ELNS1_3repE0EEENS1_47radix_sort_onesweep_sort_config_static_selectorELNS0_4arch9wavefront6targetE1EEEvSE_,comdat
	.protected	_ZN7rocprim17ROCPRIM_400000_NS6detail17trampoline_kernelINS0_14default_configENS1_35radix_sort_onesweep_config_selectorItNS0_10empty_typeEEEZZNS1_29radix_sort_onesweep_iterationIS3_Lb1EPtS8_PS5_S9_mNS0_19identity_decomposerENS1_16block_id_wrapperIjLb0EEEEE10hipError_tT1_PNSt15iterator_traitsISE_E10value_typeET2_T3_PNSF_ISK_E10value_typeET4_T5_PSP_SQ_PNS1_23onesweep_lookback_stateEbbT6_jjT7_P12ihipStream_tbENKUlT_T0_SE_SJ_E_clIS8_S8_S9_S9_EEDaSX_SY_SE_SJ_EUlSX_E_NS1_11comp_targetILNS1_3genE2ELNS1_11target_archE906ELNS1_3gpuE6ELNS1_3repE0EEENS1_47radix_sort_onesweep_sort_config_static_selectorELNS0_4arch9wavefront6targetE1EEEvSE_ ; -- Begin function _ZN7rocprim17ROCPRIM_400000_NS6detail17trampoline_kernelINS0_14default_configENS1_35radix_sort_onesweep_config_selectorItNS0_10empty_typeEEEZZNS1_29radix_sort_onesweep_iterationIS3_Lb1EPtS8_PS5_S9_mNS0_19identity_decomposerENS1_16block_id_wrapperIjLb0EEEEE10hipError_tT1_PNSt15iterator_traitsISE_E10value_typeET2_T3_PNSF_ISK_E10value_typeET4_T5_PSP_SQ_PNS1_23onesweep_lookback_stateEbbT6_jjT7_P12ihipStream_tbENKUlT_T0_SE_SJ_E_clIS8_S8_S9_S9_EEDaSX_SY_SE_SJ_EUlSX_E_NS1_11comp_targetILNS1_3genE2ELNS1_11target_archE906ELNS1_3gpuE6ELNS1_3repE0EEENS1_47radix_sort_onesweep_sort_config_static_selectorELNS0_4arch9wavefront6targetE1EEEvSE_
	.globl	_ZN7rocprim17ROCPRIM_400000_NS6detail17trampoline_kernelINS0_14default_configENS1_35radix_sort_onesweep_config_selectorItNS0_10empty_typeEEEZZNS1_29radix_sort_onesweep_iterationIS3_Lb1EPtS8_PS5_S9_mNS0_19identity_decomposerENS1_16block_id_wrapperIjLb0EEEEE10hipError_tT1_PNSt15iterator_traitsISE_E10value_typeET2_T3_PNSF_ISK_E10value_typeET4_T5_PSP_SQ_PNS1_23onesweep_lookback_stateEbbT6_jjT7_P12ihipStream_tbENKUlT_T0_SE_SJ_E_clIS8_S8_S9_S9_EEDaSX_SY_SE_SJ_EUlSX_E_NS1_11comp_targetILNS1_3genE2ELNS1_11target_archE906ELNS1_3gpuE6ELNS1_3repE0EEENS1_47radix_sort_onesweep_sort_config_static_selectorELNS0_4arch9wavefront6targetE1EEEvSE_
	.p2align	8
	.type	_ZN7rocprim17ROCPRIM_400000_NS6detail17trampoline_kernelINS0_14default_configENS1_35radix_sort_onesweep_config_selectorItNS0_10empty_typeEEEZZNS1_29radix_sort_onesweep_iterationIS3_Lb1EPtS8_PS5_S9_mNS0_19identity_decomposerENS1_16block_id_wrapperIjLb0EEEEE10hipError_tT1_PNSt15iterator_traitsISE_E10value_typeET2_T3_PNSF_ISK_E10value_typeET4_T5_PSP_SQ_PNS1_23onesweep_lookback_stateEbbT6_jjT7_P12ihipStream_tbENKUlT_T0_SE_SJ_E_clIS8_S8_S9_S9_EEDaSX_SY_SE_SJ_EUlSX_E_NS1_11comp_targetILNS1_3genE2ELNS1_11target_archE906ELNS1_3gpuE6ELNS1_3repE0EEENS1_47radix_sort_onesweep_sort_config_static_selectorELNS0_4arch9wavefront6targetE1EEEvSE_,@function
_ZN7rocprim17ROCPRIM_400000_NS6detail17trampoline_kernelINS0_14default_configENS1_35radix_sort_onesweep_config_selectorItNS0_10empty_typeEEEZZNS1_29radix_sort_onesweep_iterationIS3_Lb1EPtS8_PS5_S9_mNS0_19identity_decomposerENS1_16block_id_wrapperIjLb0EEEEE10hipError_tT1_PNSt15iterator_traitsISE_E10value_typeET2_T3_PNSF_ISK_E10value_typeET4_T5_PSP_SQ_PNS1_23onesweep_lookback_stateEbbT6_jjT7_P12ihipStream_tbENKUlT_T0_SE_SJ_E_clIS8_S8_S9_S9_EEDaSX_SY_SE_SJ_EUlSX_E_NS1_11comp_targetILNS1_3genE2ELNS1_11target_archE906ELNS1_3gpuE6ELNS1_3repE0EEENS1_47radix_sort_onesweep_sort_config_static_selectorELNS0_4arch9wavefront6targetE1EEEvSE_: ; @_ZN7rocprim17ROCPRIM_400000_NS6detail17trampoline_kernelINS0_14default_configENS1_35radix_sort_onesweep_config_selectorItNS0_10empty_typeEEEZZNS1_29radix_sort_onesweep_iterationIS3_Lb1EPtS8_PS5_S9_mNS0_19identity_decomposerENS1_16block_id_wrapperIjLb0EEEEE10hipError_tT1_PNSt15iterator_traitsISE_E10value_typeET2_T3_PNSF_ISK_E10value_typeET4_T5_PSP_SQ_PNS1_23onesweep_lookback_stateEbbT6_jjT7_P12ihipStream_tbENKUlT_T0_SE_SJ_E_clIS8_S8_S9_S9_EEDaSX_SY_SE_SJ_EUlSX_E_NS1_11comp_targetILNS1_3genE2ELNS1_11target_archE906ELNS1_3gpuE6ELNS1_3repE0EEENS1_47radix_sort_onesweep_sort_config_static_selectorELNS0_4arch9wavefront6targetE1EEEvSE_
; %bb.0:
	.section	.rodata,"a",@progbits
	.p2align	6, 0x0
	.amdhsa_kernel _ZN7rocprim17ROCPRIM_400000_NS6detail17trampoline_kernelINS0_14default_configENS1_35radix_sort_onesweep_config_selectorItNS0_10empty_typeEEEZZNS1_29radix_sort_onesweep_iterationIS3_Lb1EPtS8_PS5_S9_mNS0_19identity_decomposerENS1_16block_id_wrapperIjLb0EEEEE10hipError_tT1_PNSt15iterator_traitsISE_E10value_typeET2_T3_PNSF_ISK_E10value_typeET4_T5_PSP_SQ_PNS1_23onesweep_lookback_stateEbbT6_jjT7_P12ihipStream_tbENKUlT_T0_SE_SJ_E_clIS8_S8_S9_S9_EEDaSX_SY_SE_SJ_EUlSX_E_NS1_11comp_targetILNS1_3genE2ELNS1_11target_archE906ELNS1_3gpuE6ELNS1_3repE0EEENS1_47radix_sort_onesweep_sort_config_static_selectorELNS0_4arch9wavefront6targetE1EEEvSE_
		.amdhsa_group_segment_fixed_size 0
		.amdhsa_private_segment_fixed_size 0
		.amdhsa_kernarg_size 88
		.amdhsa_user_sgpr_count 6
		.amdhsa_user_sgpr_private_segment_buffer 1
		.amdhsa_user_sgpr_dispatch_ptr 0
		.amdhsa_user_sgpr_queue_ptr 0
		.amdhsa_user_sgpr_kernarg_segment_ptr 1
		.amdhsa_user_sgpr_dispatch_id 0
		.amdhsa_user_sgpr_flat_scratch_init 0
		.amdhsa_user_sgpr_kernarg_preload_length 0
		.amdhsa_user_sgpr_kernarg_preload_offset 0
		.amdhsa_user_sgpr_private_segment_size 0
		.amdhsa_uses_dynamic_stack 0
		.amdhsa_system_sgpr_private_segment_wavefront_offset 0
		.amdhsa_system_sgpr_workgroup_id_x 1
		.amdhsa_system_sgpr_workgroup_id_y 0
		.amdhsa_system_sgpr_workgroup_id_z 0
		.amdhsa_system_sgpr_workgroup_info 0
		.amdhsa_system_vgpr_workitem_id 0
		.amdhsa_next_free_vgpr 1
		.amdhsa_next_free_sgpr 0
		.amdhsa_accum_offset 4
		.amdhsa_reserve_vcc 0
		.amdhsa_reserve_flat_scratch 0
		.amdhsa_float_round_mode_32 0
		.amdhsa_float_round_mode_16_64 0
		.amdhsa_float_denorm_mode_32 3
		.amdhsa_float_denorm_mode_16_64 3
		.amdhsa_dx10_clamp 1
		.amdhsa_ieee_mode 1
		.amdhsa_fp16_overflow 0
		.amdhsa_tg_split 0
		.amdhsa_exception_fp_ieee_invalid_op 0
		.amdhsa_exception_fp_denorm_src 0
		.amdhsa_exception_fp_ieee_div_zero 0
		.amdhsa_exception_fp_ieee_overflow 0
		.amdhsa_exception_fp_ieee_underflow 0
		.amdhsa_exception_fp_ieee_inexact 0
		.amdhsa_exception_int_div_zero 0
	.end_amdhsa_kernel
	.section	.text._ZN7rocprim17ROCPRIM_400000_NS6detail17trampoline_kernelINS0_14default_configENS1_35radix_sort_onesweep_config_selectorItNS0_10empty_typeEEEZZNS1_29radix_sort_onesweep_iterationIS3_Lb1EPtS8_PS5_S9_mNS0_19identity_decomposerENS1_16block_id_wrapperIjLb0EEEEE10hipError_tT1_PNSt15iterator_traitsISE_E10value_typeET2_T3_PNSF_ISK_E10value_typeET4_T5_PSP_SQ_PNS1_23onesweep_lookback_stateEbbT6_jjT7_P12ihipStream_tbENKUlT_T0_SE_SJ_E_clIS8_S8_S9_S9_EEDaSX_SY_SE_SJ_EUlSX_E_NS1_11comp_targetILNS1_3genE2ELNS1_11target_archE906ELNS1_3gpuE6ELNS1_3repE0EEENS1_47radix_sort_onesweep_sort_config_static_selectorELNS0_4arch9wavefront6targetE1EEEvSE_,"axG",@progbits,_ZN7rocprim17ROCPRIM_400000_NS6detail17trampoline_kernelINS0_14default_configENS1_35radix_sort_onesweep_config_selectorItNS0_10empty_typeEEEZZNS1_29radix_sort_onesweep_iterationIS3_Lb1EPtS8_PS5_S9_mNS0_19identity_decomposerENS1_16block_id_wrapperIjLb0EEEEE10hipError_tT1_PNSt15iterator_traitsISE_E10value_typeET2_T3_PNSF_ISK_E10value_typeET4_T5_PSP_SQ_PNS1_23onesweep_lookback_stateEbbT6_jjT7_P12ihipStream_tbENKUlT_T0_SE_SJ_E_clIS8_S8_S9_S9_EEDaSX_SY_SE_SJ_EUlSX_E_NS1_11comp_targetILNS1_3genE2ELNS1_11target_archE906ELNS1_3gpuE6ELNS1_3repE0EEENS1_47radix_sort_onesweep_sort_config_static_selectorELNS0_4arch9wavefront6targetE1EEEvSE_,comdat
.Lfunc_end1931:
	.size	_ZN7rocprim17ROCPRIM_400000_NS6detail17trampoline_kernelINS0_14default_configENS1_35radix_sort_onesweep_config_selectorItNS0_10empty_typeEEEZZNS1_29radix_sort_onesweep_iterationIS3_Lb1EPtS8_PS5_S9_mNS0_19identity_decomposerENS1_16block_id_wrapperIjLb0EEEEE10hipError_tT1_PNSt15iterator_traitsISE_E10value_typeET2_T3_PNSF_ISK_E10value_typeET4_T5_PSP_SQ_PNS1_23onesweep_lookback_stateEbbT6_jjT7_P12ihipStream_tbENKUlT_T0_SE_SJ_E_clIS8_S8_S9_S9_EEDaSX_SY_SE_SJ_EUlSX_E_NS1_11comp_targetILNS1_3genE2ELNS1_11target_archE906ELNS1_3gpuE6ELNS1_3repE0EEENS1_47radix_sort_onesweep_sort_config_static_selectorELNS0_4arch9wavefront6targetE1EEEvSE_, .Lfunc_end1931-_ZN7rocprim17ROCPRIM_400000_NS6detail17trampoline_kernelINS0_14default_configENS1_35radix_sort_onesweep_config_selectorItNS0_10empty_typeEEEZZNS1_29radix_sort_onesweep_iterationIS3_Lb1EPtS8_PS5_S9_mNS0_19identity_decomposerENS1_16block_id_wrapperIjLb0EEEEE10hipError_tT1_PNSt15iterator_traitsISE_E10value_typeET2_T3_PNSF_ISK_E10value_typeET4_T5_PSP_SQ_PNS1_23onesweep_lookback_stateEbbT6_jjT7_P12ihipStream_tbENKUlT_T0_SE_SJ_E_clIS8_S8_S9_S9_EEDaSX_SY_SE_SJ_EUlSX_E_NS1_11comp_targetILNS1_3genE2ELNS1_11target_archE906ELNS1_3gpuE6ELNS1_3repE0EEENS1_47radix_sort_onesweep_sort_config_static_selectorELNS0_4arch9wavefront6targetE1EEEvSE_
                                        ; -- End function
	.section	.AMDGPU.csdata,"",@progbits
; Kernel info:
; codeLenInByte = 0
; NumSgprs: 4
; NumVgprs: 0
; NumAgprs: 0
; TotalNumVgprs: 0
; ScratchSize: 0
; MemoryBound: 0
; FloatMode: 240
; IeeeMode: 1
; LDSByteSize: 0 bytes/workgroup (compile time only)
; SGPRBlocks: 0
; VGPRBlocks: 0
; NumSGPRsForWavesPerEU: 4
; NumVGPRsForWavesPerEU: 1
; AccumOffset: 4
; Occupancy: 8
; WaveLimiterHint : 0
; COMPUTE_PGM_RSRC2:SCRATCH_EN: 0
; COMPUTE_PGM_RSRC2:USER_SGPR: 6
; COMPUTE_PGM_RSRC2:TRAP_HANDLER: 0
; COMPUTE_PGM_RSRC2:TGID_X_EN: 1
; COMPUTE_PGM_RSRC2:TGID_Y_EN: 0
; COMPUTE_PGM_RSRC2:TGID_Z_EN: 0
; COMPUTE_PGM_RSRC2:TIDIG_COMP_CNT: 0
; COMPUTE_PGM_RSRC3_GFX90A:ACCUM_OFFSET: 0
; COMPUTE_PGM_RSRC3_GFX90A:TG_SPLIT: 0
	.section	.text._ZN7rocprim17ROCPRIM_400000_NS6detail17trampoline_kernelINS0_14default_configENS1_35radix_sort_onesweep_config_selectorItNS0_10empty_typeEEEZZNS1_29radix_sort_onesweep_iterationIS3_Lb1EPtS8_PS5_S9_mNS0_19identity_decomposerENS1_16block_id_wrapperIjLb0EEEEE10hipError_tT1_PNSt15iterator_traitsISE_E10value_typeET2_T3_PNSF_ISK_E10value_typeET4_T5_PSP_SQ_PNS1_23onesweep_lookback_stateEbbT6_jjT7_P12ihipStream_tbENKUlT_T0_SE_SJ_E_clIS8_S8_S9_S9_EEDaSX_SY_SE_SJ_EUlSX_E_NS1_11comp_targetILNS1_3genE4ELNS1_11target_archE910ELNS1_3gpuE8ELNS1_3repE0EEENS1_47radix_sort_onesweep_sort_config_static_selectorELNS0_4arch9wavefront6targetE1EEEvSE_,"axG",@progbits,_ZN7rocprim17ROCPRIM_400000_NS6detail17trampoline_kernelINS0_14default_configENS1_35radix_sort_onesweep_config_selectorItNS0_10empty_typeEEEZZNS1_29radix_sort_onesweep_iterationIS3_Lb1EPtS8_PS5_S9_mNS0_19identity_decomposerENS1_16block_id_wrapperIjLb0EEEEE10hipError_tT1_PNSt15iterator_traitsISE_E10value_typeET2_T3_PNSF_ISK_E10value_typeET4_T5_PSP_SQ_PNS1_23onesweep_lookback_stateEbbT6_jjT7_P12ihipStream_tbENKUlT_T0_SE_SJ_E_clIS8_S8_S9_S9_EEDaSX_SY_SE_SJ_EUlSX_E_NS1_11comp_targetILNS1_3genE4ELNS1_11target_archE910ELNS1_3gpuE8ELNS1_3repE0EEENS1_47radix_sort_onesweep_sort_config_static_selectorELNS0_4arch9wavefront6targetE1EEEvSE_,comdat
	.protected	_ZN7rocprim17ROCPRIM_400000_NS6detail17trampoline_kernelINS0_14default_configENS1_35radix_sort_onesweep_config_selectorItNS0_10empty_typeEEEZZNS1_29radix_sort_onesweep_iterationIS3_Lb1EPtS8_PS5_S9_mNS0_19identity_decomposerENS1_16block_id_wrapperIjLb0EEEEE10hipError_tT1_PNSt15iterator_traitsISE_E10value_typeET2_T3_PNSF_ISK_E10value_typeET4_T5_PSP_SQ_PNS1_23onesweep_lookback_stateEbbT6_jjT7_P12ihipStream_tbENKUlT_T0_SE_SJ_E_clIS8_S8_S9_S9_EEDaSX_SY_SE_SJ_EUlSX_E_NS1_11comp_targetILNS1_3genE4ELNS1_11target_archE910ELNS1_3gpuE8ELNS1_3repE0EEENS1_47radix_sort_onesweep_sort_config_static_selectorELNS0_4arch9wavefront6targetE1EEEvSE_ ; -- Begin function _ZN7rocprim17ROCPRIM_400000_NS6detail17trampoline_kernelINS0_14default_configENS1_35radix_sort_onesweep_config_selectorItNS0_10empty_typeEEEZZNS1_29radix_sort_onesweep_iterationIS3_Lb1EPtS8_PS5_S9_mNS0_19identity_decomposerENS1_16block_id_wrapperIjLb0EEEEE10hipError_tT1_PNSt15iterator_traitsISE_E10value_typeET2_T3_PNSF_ISK_E10value_typeET4_T5_PSP_SQ_PNS1_23onesweep_lookback_stateEbbT6_jjT7_P12ihipStream_tbENKUlT_T0_SE_SJ_E_clIS8_S8_S9_S9_EEDaSX_SY_SE_SJ_EUlSX_E_NS1_11comp_targetILNS1_3genE4ELNS1_11target_archE910ELNS1_3gpuE8ELNS1_3repE0EEENS1_47radix_sort_onesweep_sort_config_static_selectorELNS0_4arch9wavefront6targetE1EEEvSE_
	.globl	_ZN7rocprim17ROCPRIM_400000_NS6detail17trampoline_kernelINS0_14default_configENS1_35radix_sort_onesweep_config_selectorItNS0_10empty_typeEEEZZNS1_29radix_sort_onesweep_iterationIS3_Lb1EPtS8_PS5_S9_mNS0_19identity_decomposerENS1_16block_id_wrapperIjLb0EEEEE10hipError_tT1_PNSt15iterator_traitsISE_E10value_typeET2_T3_PNSF_ISK_E10value_typeET4_T5_PSP_SQ_PNS1_23onesweep_lookback_stateEbbT6_jjT7_P12ihipStream_tbENKUlT_T0_SE_SJ_E_clIS8_S8_S9_S9_EEDaSX_SY_SE_SJ_EUlSX_E_NS1_11comp_targetILNS1_3genE4ELNS1_11target_archE910ELNS1_3gpuE8ELNS1_3repE0EEENS1_47radix_sort_onesweep_sort_config_static_selectorELNS0_4arch9wavefront6targetE1EEEvSE_
	.p2align	8
	.type	_ZN7rocprim17ROCPRIM_400000_NS6detail17trampoline_kernelINS0_14default_configENS1_35radix_sort_onesweep_config_selectorItNS0_10empty_typeEEEZZNS1_29radix_sort_onesweep_iterationIS3_Lb1EPtS8_PS5_S9_mNS0_19identity_decomposerENS1_16block_id_wrapperIjLb0EEEEE10hipError_tT1_PNSt15iterator_traitsISE_E10value_typeET2_T3_PNSF_ISK_E10value_typeET4_T5_PSP_SQ_PNS1_23onesweep_lookback_stateEbbT6_jjT7_P12ihipStream_tbENKUlT_T0_SE_SJ_E_clIS8_S8_S9_S9_EEDaSX_SY_SE_SJ_EUlSX_E_NS1_11comp_targetILNS1_3genE4ELNS1_11target_archE910ELNS1_3gpuE8ELNS1_3repE0EEENS1_47radix_sort_onesweep_sort_config_static_selectorELNS0_4arch9wavefront6targetE1EEEvSE_,@function
_ZN7rocprim17ROCPRIM_400000_NS6detail17trampoline_kernelINS0_14default_configENS1_35radix_sort_onesweep_config_selectorItNS0_10empty_typeEEEZZNS1_29radix_sort_onesweep_iterationIS3_Lb1EPtS8_PS5_S9_mNS0_19identity_decomposerENS1_16block_id_wrapperIjLb0EEEEE10hipError_tT1_PNSt15iterator_traitsISE_E10value_typeET2_T3_PNSF_ISK_E10value_typeET4_T5_PSP_SQ_PNS1_23onesweep_lookback_stateEbbT6_jjT7_P12ihipStream_tbENKUlT_T0_SE_SJ_E_clIS8_S8_S9_S9_EEDaSX_SY_SE_SJ_EUlSX_E_NS1_11comp_targetILNS1_3genE4ELNS1_11target_archE910ELNS1_3gpuE8ELNS1_3repE0EEENS1_47radix_sort_onesweep_sort_config_static_selectorELNS0_4arch9wavefront6targetE1EEEvSE_: ; @_ZN7rocprim17ROCPRIM_400000_NS6detail17trampoline_kernelINS0_14default_configENS1_35radix_sort_onesweep_config_selectorItNS0_10empty_typeEEEZZNS1_29radix_sort_onesweep_iterationIS3_Lb1EPtS8_PS5_S9_mNS0_19identity_decomposerENS1_16block_id_wrapperIjLb0EEEEE10hipError_tT1_PNSt15iterator_traitsISE_E10value_typeET2_T3_PNSF_ISK_E10value_typeET4_T5_PSP_SQ_PNS1_23onesweep_lookback_stateEbbT6_jjT7_P12ihipStream_tbENKUlT_T0_SE_SJ_E_clIS8_S8_S9_S9_EEDaSX_SY_SE_SJ_EUlSX_E_NS1_11comp_targetILNS1_3genE4ELNS1_11target_archE910ELNS1_3gpuE8ELNS1_3repE0EEENS1_47radix_sort_onesweep_sort_config_static_selectorELNS0_4arch9wavefront6targetE1EEEvSE_
; %bb.0:
	s_load_dwordx4 s[20:23], s[4:5], 0x44
	s_load_dwordx2 s[24:25], s[4:5], 0x38
	s_load_dwordx4 s[16:19], s[4:5], 0x0
	s_load_dwordx4 s[12:15], s[4:5], 0x28
	s_mul_i32 s26, s6, 0x3000
	s_waitcnt lgkmcnt(0)
	s_cmp_ge_u32 s6, s22
	v_mbcnt_lo_u32_b32 v1, -1, 0
	s_cbranch_scc0 .LBB1932_96
; %bb.1:
	s_load_dword s7, s[4:5], 0x20
	s_mul_i32 s2, s22, 0xffffd000
	s_mov_b32 s27, 0
	s_lshl_b64 s[0:1], s[26:27], 1
	v_mbcnt_hi_u32_b32 v11, -1, v1
	s_waitcnt lgkmcnt(0)
	s_add_i32 s7, s7, s2
	v_and_b32_e32 v10, 0x3ff, v0
	s_add_u32 s0, s16, s0
	v_and_b32_e32 v2, 63, v11
	s_addc_u32 s1, s17, s1
	v_and_b32_e32 v3, 0x3c0, v10
	v_lshlrev_b32_e32 v4, 1, v2
	v_mul_u32_u24_e32 v3, 12, v3
	v_mov_b32_e32 v5, s1
	v_add_co_u32_e32 v4, vcc, s0, v4
	v_addc_co_u32_e32 v5, vcc, 0, v5, vcc
	v_lshlrev_b32_e32 v6, 1, v3
	v_add_co_u32_e32 v12, vcc, v4, v6
	s_mov_b32 s36, s27
	s_mov_b32 s37, s27
	v_addc_co_u32_e32 v13, vcc, 0, v5, vcc
	v_or_b32_e32 v14, v2, v3
	s_mov_b32 s38, s27
	s_mov_b32 s39, s27
	s_mov_b32 s40, s27
	s_mov_b32 s41, s27
	v_pk_mov_b32 v[2:3], s[36:37], s[36:37] op_sel:[0,1]
	v_cmp_gt_u32_e32 vcc, s7, v14
	v_pk_mov_b32 v[4:5], s[38:39], s[38:39] op_sel:[0,1]
	v_pk_mov_b32 v[6:7], s[40:41], s[40:41] op_sel:[0,1]
	;; [unrolled: 1-line block ×3, first 2 shown]
	s_and_saveexec_b64 s[0:1], vcc
	s_cbranch_execz .LBB1932_3
; %bb.2:
	global_load_ushort v2, v[12:13], off
	v_mov_b32_e32 v3, 0
	v_mov_b32_e32 v4, v3
	;; [unrolled: 1-line block ×5, first 2 shown]
	s_waitcnt vmcnt(0)
	v_and_b32_e32 v2, 0xffff, v2
.LBB1932_3:
	s_or_b64 exec, exec, s[0:1]
	v_or_b32_e32 v8, 64, v14
	v_cmp_gt_u32_e32 vcc, s7, v8
	s_and_saveexec_b64 s[0:1], vcc
	s_cbranch_execz .LBB1932_5
; %bb.4:
	global_load_ushort v8, v[12:13], off offset:128
	s_mov_b32 s2, 0x5040100
	s_waitcnt vmcnt(0)
	v_perm_b32 v2, v8, v2, s2
.LBB1932_5:
	s_or_b64 exec, exec, s[0:1]
	v_or_b32_e32 v8, 0x80, v14
	v_cmp_gt_u32_e32 vcc, s7, v8
	s_and_saveexec_b64 s[0:1], vcc
	s_cbranch_execz .LBB1932_7
; %bb.6:
	global_load_ushort v8, v[12:13], off offset:256
	s_mov_b32 s2, 0xffff
	s_waitcnt vmcnt(0)
	v_bfi_b32 v3, s2, v8, v3
.LBB1932_7:
	s_or_b64 exec, exec, s[0:1]
	v_or_b32_e32 v8, 0xc0, v14
	v_cmp_gt_u32_e32 vcc, s7, v8
	s_and_saveexec_b64 s[0:1], vcc
	s_cbranch_execz .LBB1932_9
; %bb.8:
	global_load_ushort v8, v[12:13], off offset:384
	s_mov_b32 s2, 0x5040100
	s_waitcnt vmcnt(0)
	v_perm_b32 v3, v8, v3, s2
.LBB1932_9:
	s_or_b64 exec, exec, s[0:1]
	v_add_u32_e32 v8, 0x100, v14
	v_cmp_gt_u32_e32 vcc, s7, v8
	s_and_saveexec_b64 s[0:1], vcc
	s_cbranch_execz .LBB1932_11
; %bb.10:
	global_load_ushort v8, v[12:13], off offset:512
	s_mov_b32 s2, 0xffff
	s_waitcnt vmcnt(0)
	v_bfi_b32 v4, s2, v8, v4
.LBB1932_11:
	s_or_b64 exec, exec, s[0:1]
	v_add_u32_e32 v8, 0x140, v14
	v_cmp_gt_u32_e32 vcc, s7, v8
	s_and_saveexec_b64 s[0:1], vcc
	s_cbranch_execz .LBB1932_13
; %bb.12:
	global_load_ushort v8, v[12:13], off offset:640
	s_mov_b32 s2, 0x5040100
	s_waitcnt vmcnt(0)
	v_perm_b32 v4, v8, v4, s2
.LBB1932_13:
	s_or_b64 exec, exec, s[0:1]
	v_add_u32_e32 v8, 0x180, v14
	v_cmp_gt_u32_e32 vcc, s7, v8
	s_and_saveexec_b64 s[0:1], vcc
	s_cbranch_execz .LBB1932_15
; %bb.14:
	global_load_ushort v8, v[12:13], off offset:768
	s_mov_b32 s2, 0xffff
	s_waitcnt vmcnt(0)
	v_bfi_b32 v5, s2, v8, v5
.LBB1932_15:
	s_or_b64 exec, exec, s[0:1]
	v_add_u32_e32 v8, 0x1c0, v14
	v_cmp_gt_u32_e32 vcc, s7, v8
	s_and_saveexec_b64 s[0:1], vcc
	s_cbranch_execz .LBB1932_17
; %bb.16:
	global_load_ushort v8, v[12:13], off offset:896
	s_mov_b32 s2, 0x5040100
	s_waitcnt vmcnt(0)
	v_perm_b32 v5, v8, v5, s2
.LBB1932_17:
	s_or_b64 exec, exec, s[0:1]
	v_add_u32_e32 v8, 0x200, v14
	v_cmp_gt_u32_e32 vcc, s7, v8
	s_and_saveexec_b64 s[0:1], vcc
	s_cbranch_execz .LBB1932_19
; %bb.18:
	global_load_ushort v8, v[12:13], off offset:1024
	s_mov_b32 s2, 0xffff
	s_waitcnt vmcnt(0)
	v_bfi_b32 v6, s2, v8, v6
.LBB1932_19:
	s_or_b64 exec, exec, s[0:1]
	v_add_u32_e32 v8, 0x240, v14
	v_cmp_gt_u32_e32 vcc, s7, v8
	s_and_saveexec_b64 s[0:1], vcc
	s_cbranch_execz .LBB1932_21
; %bb.20:
	global_load_ushort v8, v[12:13], off offset:1152
	s_mov_b32 s2, 0x5040100
	s_waitcnt vmcnt(0)
	v_perm_b32 v6, v8, v6, s2
.LBB1932_21:
	s_or_b64 exec, exec, s[0:1]
	v_add_u32_e32 v8, 0x280, v14
	v_cmp_gt_u32_e32 vcc, s7, v8
	s_and_saveexec_b64 s[0:1], vcc
	s_cbranch_execz .LBB1932_23
; %bb.22:
	global_load_ushort v8, v[12:13], off offset:1280
	s_mov_b32 s2, 0xffff
	s_waitcnt vmcnt(0)
	v_bfi_b32 v7, s2, v8, v7
.LBB1932_23:
	s_or_b64 exec, exec, s[0:1]
	v_add_u32_e32 v8, 0x2c0, v14
	v_cmp_gt_u32_e32 vcc, s7, v8
	s_and_saveexec_b64 s[0:1], vcc
	s_cbranch_execz .LBB1932_25
; %bb.24:
	global_load_ushort v8, v[12:13], off offset:1408
	s_mov_b32 s2, 0x5040100
	s_waitcnt vmcnt(0)
	v_perm_b32 v7, v8, v7, s2
.LBB1932_25:
	s_or_b64 exec, exec, s[0:1]
	s_load_dword s0, s[4:5], 0x64
	s_load_dword s27, s[4:5], 0x58
	s_add_u32 s1, s4, 0x58
	s_addc_u32 s2, s5, 0
	v_mov_b32_e32 v8, 0
	s_waitcnt lgkmcnt(0)
	s_lshr_b32 s3, s0, 16
	s_cmp_lt_u32 s6, s27
	s_cselect_b32 s0, 12, 18
	s_add_u32 s0, s1, s0
	s_addc_u32 s1, s2, 0
	global_load_ushort v12, v8, s[0:1]
	v_xor_b32_e32 v14, -1, v2
	s_lshl_b32 s0, -1, s21
	v_lshrrev_b32_sdwa v16, s20, v14 dst_sel:DWORD dst_unused:UNUSED_PAD src0_sel:DWORD src1_sel:WORD_0
	s_not_b32 s28, s0
	v_and_b32_e32 v16, s28, v16
	v_and_b32_e32 v18, 1, v16
	v_bfe_u32 v9, v0, 10, 10
	v_bfe_u32 v13, v0, 20, 10
	v_add_co_u32_e32 v19, vcc, -1, v18
	v_mad_u32_u24 v13, v13, s3, v9
	v_lshlrev_b32_e32 v9, 30, v16
	v_addc_co_u32_e64 v20, s[0:1], 0, -1, vcc
	v_cmp_ne_u32_e32 vcc, 0, v18
	v_cmp_gt_i64_e64 s[0:1], 0, v[8:9]
	v_not_b32_e32 v18, v9
	v_lshlrev_b32_e32 v9, 29, v16
	v_xor_b32_e32 v20, vcc_hi, v20
	v_xor_b32_e32 v19, vcc_lo, v19
	v_ashrrev_i32_e32 v18, 31, v18
	v_cmp_gt_i64_e32 vcc, 0, v[8:9]
	v_not_b32_e32 v21, v9
	v_lshlrev_b32_e32 v9, 28, v16
	v_and_b32_e32 v20, exec_hi, v20
	v_and_b32_e32 v19, exec_lo, v19
	v_xor_b32_e32 v22, s1, v18
	v_xor_b32_e32 v18, s0, v18
	v_ashrrev_i32_e32 v21, 31, v21
	v_cmp_gt_i64_e64 s[0:1], 0, v[8:9]
	v_not_b32_e32 v23, v9
	v_lshlrev_b32_e32 v9, 27, v16
	v_and_b32_e32 v20, v20, v22
	v_and_b32_e32 v18, v19, v18
	v_xor_b32_e32 v19, vcc_hi, v21
	v_xor_b32_e32 v21, vcc_lo, v21
	v_ashrrev_i32_e32 v22, 31, v23
	v_cmp_gt_i64_e32 vcc, 0, v[8:9]
	v_not_b32_e32 v23, v9
	v_lshlrev_b32_e32 v9, 26, v16
	v_and_b32_e32 v19, v20, v19
	v_and_b32_e32 v18, v18, v21
	v_xor_b32_e32 v20, s1, v22
	v_xor_b32_e32 v21, s0, v22
	v_ashrrev_i32_e32 v22, 31, v23
	v_cmp_gt_i64_e64 s[0:1], 0, v[8:9]
	v_not_b32_e32 v23, v9
	v_lshlrev_b32_e32 v9, 25, v16
	v_and_b32_e32 v19, v19, v20
	v_and_b32_e32 v18, v18, v21
	v_xor_b32_e32 v20, vcc_hi, v22
	v_xor_b32_e32 v21, vcc_lo, v22
	v_ashrrev_i32_e32 v22, 31, v23
	v_cmp_gt_i64_e32 vcc, 0, v[8:9]
	v_not_b32_e32 v23, v9
	v_lshlrev_b32_e32 v9, 24, v16
	v_mul_u32_u24_e32 v17, 17, v16
	v_and_b32_e32 v16, v19, v20
	v_and_b32_e32 v18, v18, v21
	v_xor_b32_e32 v19, s1, v22
	v_xor_b32_e32 v20, s0, v22
	v_ashrrev_i32_e32 v21, 31, v23
	v_cmp_gt_i64_e64 s[0:1], 0, v[8:9]
	v_not_b32_e32 v9, v9
	v_and_b32_e32 v16, v16, v19
	v_and_b32_e32 v18, v18, v20
	v_xor_b32_e32 v19, vcc_hi, v21
	v_xor_b32_e32 v20, vcc_lo, v21
	v_ashrrev_i32_e32 v9, 31, v9
	v_and_b32_e32 v16, v16, v19
	v_and_b32_e32 v18, v18, v20
	v_mul_u32_u24_e32 v15, 5, v10
	v_lshlrev_b32_e32 v15, 2, v15
	ds_write2_b32 v15, v8, v8 offset0:16 offset1:17
	ds_write2_b32 v15, v8, v8 offset0:18 offset1:19
	ds_write_b32 v15, v8 offset:80
	s_waitcnt lgkmcnt(0)
	s_barrier
	s_waitcnt lgkmcnt(0)
	; wave barrier
	s_waitcnt vmcnt(0)
	v_mad_u64_u32 v[12:13], s[2:3], v13, v12, v[10:11]
	v_lshrrev_b32_e32 v26, 6, v12
	v_xor_b32_e32 v12, s1, v9
	v_xor_b32_e32 v9, s0, v9
	v_and_b32_e32 v13, v16, v12
	v_and_b32_e32 v12, v18, v9
	v_mbcnt_lo_u32_b32 v9, v12, 0
	v_mbcnt_hi_u32_b32 v16, v13, v9
	v_cmp_eq_u32_e32 vcc, 0, v16
	v_cmp_ne_u64_e64 s[0:1], 0, v[12:13]
	v_add_lshl_u32 v19, v26, v17, 2
	s_and_b64 s[2:3], s[0:1], vcc
	s_and_saveexec_b64 s[0:1], s[2:3]
	s_cbranch_execz .LBB1932_27
; %bb.26:
	v_bcnt_u32_b32 v9, v12, 0
	v_bcnt_u32_b32 v9, v13, v9
	ds_write_b32 v19, v9 offset:64
.LBB1932_27:
	s_or_b64 exec, exec, s[0:1]
	v_mov_b32_e32 v9, -1
	v_xor_b32_sdwa v17, v2, v9 dst_sel:DWORD dst_unused:UNUSED_PAD src0_sel:WORD_1 src1_sel:DWORD
	v_lshrrev_b32_sdwa v2, s20, v17 dst_sel:DWORD dst_unused:UNUSED_PAD src0_sel:DWORD src1_sel:WORD_0
	v_and_b32_e32 v2, s28, v2
	v_mul_u32_u24_e32 v9, 17, v2
	v_add_lshl_u32 v20, v26, v9, 2
	v_and_b32_e32 v9, 1, v2
	v_add_co_u32_e32 v12, vcc, -1, v9
	v_addc_co_u32_e64 v13, s[0:1], 0, -1, vcc
	v_cmp_ne_u32_e32 vcc, 0, v9
	v_xor_b32_e32 v9, vcc_hi, v13
	v_and_b32_e32 v13, exec_hi, v9
	v_lshlrev_b32_e32 v9, 30, v2
	v_xor_b32_e32 v12, vcc_lo, v12
	v_cmp_gt_i64_e32 vcc, 0, v[8:9]
	v_not_b32_e32 v9, v9
	v_ashrrev_i32_e32 v9, 31, v9
	v_and_b32_e32 v12, exec_lo, v12
	v_xor_b32_e32 v21, vcc_hi, v9
	v_xor_b32_e32 v9, vcc_lo, v9
	v_and_b32_e32 v12, v12, v9
	v_lshlrev_b32_e32 v9, 29, v2
	v_cmp_gt_i64_e32 vcc, 0, v[8:9]
	v_not_b32_e32 v9, v9
	v_ashrrev_i32_e32 v9, 31, v9
	v_and_b32_e32 v13, v13, v21
	v_xor_b32_e32 v21, vcc_hi, v9
	v_xor_b32_e32 v9, vcc_lo, v9
	v_and_b32_e32 v12, v12, v9
	v_lshlrev_b32_e32 v9, 28, v2
	v_cmp_gt_i64_e32 vcc, 0, v[8:9]
	v_not_b32_e32 v9, v9
	v_ashrrev_i32_e32 v9, 31, v9
	v_and_b32_e32 v13, v13, v21
	;; [unrolled: 8-line block ×5, first 2 shown]
	v_xor_b32_e32 v21, vcc_hi, v9
	v_xor_b32_e32 v9, vcc_lo, v9
	v_and_b32_e32 v12, v12, v9
	v_lshlrev_b32_e32 v9, 24, v2
	v_not_b32_e32 v2, v9
	v_cmp_gt_i64_e32 vcc, 0, v[8:9]
	v_ashrrev_i32_e32 v2, 31, v2
	v_and_b32_e32 v13, v13, v21
	v_xor_b32_e32 v8, vcc_hi, v2
	v_xor_b32_e32 v2, vcc_lo, v2
	; wave barrier
	ds_read_b32 v18, v20 offset:64
	v_and_b32_e32 v9, v13, v8
	v_and_b32_e32 v8, v12, v2
	v_mbcnt_lo_u32_b32 v2, v8, 0
	v_mbcnt_hi_u32_b32 v21, v9, v2
	v_cmp_eq_u32_e32 vcc, 0, v21
	v_cmp_ne_u64_e64 s[0:1], 0, v[8:9]
	s_and_b64 s[2:3], s[0:1], vcc
	; wave barrier
	s_and_saveexec_b64 s[0:1], s[2:3]
	s_cbranch_execz .LBB1932_29
; %bb.28:
	v_bcnt_u32_b32 v2, v8, 0
	v_bcnt_u32_b32 v2, v9, v2
	s_waitcnt lgkmcnt(0)
	v_add_u32_e32 v2, v18, v2
	ds_write_b32 v20, v2 offset:64
.LBB1932_29:
	s_or_b64 exec, exec, s[0:1]
	v_xor_b32_e32 v22, -1, v3
	v_lshrrev_b32_sdwa v2, s20, v22 dst_sel:DWORD dst_unused:UNUSED_PAD src0_sel:DWORD src1_sel:WORD_0
	v_and_b32_e32 v2, s28, v2
	v_and_b32_e32 v9, 1, v2
	v_add_co_u32_e32 v12, vcc, -1, v9
	v_addc_co_u32_e64 v13, s[0:1], 0, -1, vcc
	v_cmp_ne_u32_e32 vcc, 0, v9
	v_mul_u32_u24_e32 v8, 17, v2
	v_xor_b32_e32 v9, vcc_hi, v13
	v_add_lshl_u32 v24, v26, v8, 2
	v_mov_b32_e32 v8, 0
	v_and_b32_e32 v13, exec_hi, v9
	v_lshlrev_b32_e32 v9, 30, v2
	v_xor_b32_e32 v12, vcc_lo, v12
	v_cmp_gt_i64_e32 vcc, 0, v[8:9]
	v_not_b32_e32 v9, v9
	v_ashrrev_i32_e32 v9, 31, v9
	v_and_b32_e32 v12, exec_lo, v12
	v_xor_b32_e32 v25, vcc_hi, v9
	v_xor_b32_e32 v9, vcc_lo, v9
	v_and_b32_e32 v12, v12, v9
	v_lshlrev_b32_e32 v9, 29, v2
	v_cmp_gt_i64_e32 vcc, 0, v[8:9]
	v_not_b32_e32 v9, v9
	v_ashrrev_i32_e32 v9, 31, v9
	v_and_b32_e32 v13, v13, v25
	v_xor_b32_e32 v25, vcc_hi, v9
	v_xor_b32_e32 v9, vcc_lo, v9
	v_and_b32_e32 v12, v12, v9
	v_lshlrev_b32_e32 v9, 28, v2
	v_cmp_gt_i64_e32 vcc, 0, v[8:9]
	v_not_b32_e32 v9, v9
	v_ashrrev_i32_e32 v9, 31, v9
	v_and_b32_e32 v13, v13, v25
	;; [unrolled: 8-line block ×5, first 2 shown]
	v_xor_b32_e32 v25, vcc_hi, v9
	v_xor_b32_e32 v9, vcc_lo, v9
	v_and_b32_e32 v12, v12, v9
	v_lshlrev_b32_e32 v9, 24, v2
	v_not_b32_e32 v2, v9
	v_cmp_gt_i64_e32 vcc, 0, v[8:9]
	v_ashrrev_i32_e32 v2, 31, v2
	v_xor_b32_e32 v9, vcc_hi, v2
	v_xor_b32_e32 v2, vcc_lo, v2
	; wave barrier
	ds_read_b32 v23, v24 offset:64
	v_and_b32_e32 v13, v13, v25
	v_and_b32_e32 v12, v12, v2
	;; [unrolled: 1-line block ×3, first 2 shown]
	v_mbcnt_lo_u32_b32 v2, v12, 0
	v_mbcnt_hi_u32_b32 v25, v13, v2
	v_cmp_eq_u32_e32 vcc, 0, v25
	v_cmp_ne_u64_e64 s[0:1], 0, v[12:13]
	s_and_b64 s[2:3], s[0:1], vcc
	; wave barrier
	s_and_saveexec_b64 s[0:1], s[2:3]
	s_cbranch_execz .LBB1932_31
; %bb.30:
	v_bcnt_u32_b32 v2, v12, 0
	v_bcnt_u32_b32 v2, v13, v2
	s_waitcnt lgkmcnt(0)
	v_add_u32_e32 v2, v23, v2
	ds_write_b32 v24, v2 offset:64
.LBB1932_31:
	s_or_b64 exec, exec, s[0:1]
	v_mov_b32_e32 v2, -1
	v_xor_b32_sdwa v12, v3, v2 dst_sel:DWORD dst_unused:UNUSED_PAD src0_sel:WORD_1 src1_sel:DWORD
	v_lshrrev_b32_sdwa v2, s20, v12 dst_sel:DWORD dst_unused:UNUSED_PAD src0_sel:DWORD src1_sel:WORD_0
	v_and_b32_e32 v2, s28, v2
	v_mul_u32_u24_e32 v3, 17, v2
	v_add_lshl_u32 v27, v26, v3, 2
	v_and_b32_e32 v3, 1, v2
	v_add_co_u32_e32 v9, vcc, -1, v3
	v_addc_co_u32_e64 v28, s[0:1], 0, -1, vcc
	v_cmp_ne_u32_e32 vcc, 0, v3
	v_xor_b32_e32 v9, vcc_lo, v9
	v_xor_b32_e32 v3, vcc_hi, v28
	v_and_b32_e32 v28, exec_lo, v9
	v_lshlrev_b32_e32 v9, 30, v2
	v_cmp_gt_i64_e32 vcc, 0, v[8:9]
	v_not_b32_e32 v9, v9
	v_ashrrev_i32_e32 v9, 31, v9
	v_xor_b32_e32 v29, vcc_hi, v9
	v_xor_b32_e32 v9, vcc_lo, v9
	v_and_b32_e32 v28, v28, v9
	v_lshlrev_b32_e32 v9, 29, v2
	v_cmp_gt_i64_e32 vcc, 0, v[8:9]
	v_not_b32_e32 v9, v9
	v_and_b32_e32 v3, exec_hi, v3
	v_ashrrev_i32_e32 v9, 31, v9
	v_and_b32_e32 v3, v3, v29
	v_xor_b32_e32 v29, vcc_hi, v9
	v_xor_b32_e32 v9, vcc_lo, v9
	v_and_b32_e32 v28, v28, v9
	v_lshlrev_b32_e32 v9, 28, v2
	v_cmp_gt_i64_e32 vcc, 0, v[8:9]
	v_not_b32_e32 v9, v9
	v_ashrrev_i32_e32 v9, 31, v9
	v_and_b32_e32 v3, v3, v29
	v_xor_b32_e32 v29, vcc_hi, v9
	v_xor_b32_e32 v9, vcc_lo, v9
	v_and_b32_e32 v28, v28, v9
	v_lshlrev_b32_e32 v9, 27, v2
	v_cmp_gt_i64_e32 vcc, 0, v[8:9]
	v_not_b32_e32 v9, v9
	;; [unrolled: 8-line block ×4, first 2 shown]
	v_ashrrev_i32_e32 v9, 31, v9
	v_and_b32_e32 v3, v3, v29
	v_xor_b32_e32 v29, vcc_hi, v9
	v_xor_b32_e32 v9, vcc_lo, v9
	v_and_b32_e32 v28, v28, v9
	v_lshlrev_b32_e32 v9, 24, v2
	v_not_b32_e32 v2, v9
	v_cmp_gt_i64_e32 vcc, 0, v[8:9]
	v_ashrrev_i32_e32 v2, 31, v2
	v_xor_b32_e32 v8, vcc_hi, v2
	v_xor_b32_e32 v2, vcc_lo, v2
	; wave barrier
	ds_read_b32 v13, v27 offset:64
	v_and_b32_e32 v3, v3, v29
	v_and_b32_e32 v2, v28, v2
	;; [unrolled: 1-line block ×3, first 2 shown]
	v_mbcnt_lo_u32_b32 v8, v2, 0
	v_mbcnt_hi_u32_b32 v28, v3, v8
	v_cmp_eq_u32_e32 vcc, 0, v28
	v_cmp_ne_u64_e64 s[0:1], 0, v[2:3]
	s_and_b64 s[2:3], s[0:1], vcc
	; wave barrier
	s_and_saveexec_b64 s[0:1], s[2:3]
	s_cbranch_execz .LBB1932_33
; %bb.32:
	v_bcnt_u32_b32 v2, v2, 0
	v_bcnt_u32_b32 v2, v3, v2
	s_waitcnt lgkmcnt(0)
	v_add_u32_e32 v2, v13, v2
	ds_write_b32 v27, v2 offset:64
.LBB1932_33:
	s_or_b64 exec, exec, s[0:1]
	v_xor_b32_e32 v29, -1, v4
	v_lshrrev_b32_sdwa v2, s20, v29 dst_sel:DWORD dst_unused:UNUSED_PAD src0_sel:DWORD src1_sel:WORD_0
	v_and_b32_e32 v8, s28, v2
	v_and_b32_e32 v3, 1, v8
	v_add_co_u32_e32 v9, vcc, -1, v3
	v_addc_co_u32_e64 v32, s[0:1], 0, -1, vcc
	v_cmp_ne_u32_e32 vcc, 0, v3
	v_mul_u32_u24_e32 v2, 17, v8
	v_xor_b32_e32 v3, vcc_hi, v32
	v_add_lshl_u32 v31, v26, v2, 2
	v_mov_b32_e32 v2, 0
	v_and_b32_e32 v32, exec_hi, v3
	v_lshlrev_b32_e32 v3, 30, v8
	v_xor_b32_e32 v9, vcc_lo, v9
	v_cmp_gt_i64_e32 vcc, 0, v[2:3]
	v_not_b32_e32 v3, v3
	v_ashrrev_i32_e32 v3, 31, v3
	v_and_b32_e32 v9, exec_lo, v9
	v_xor_b32_e32 v33, vcc_hi, v3
	v_xor_b32_e32 v3, vcc_lo, v3
	v_and_b32_e32 v9, v9, v3
	v_lshlrev_b32_e32 v3, 29, v8
	v_cmp_gt_i64_e32 vcc, 0, v[2:3]
	v_not_b32_e32 v3, v3
	v_ashrrev_i32_e32 v3, 31, v3
	v_and_b32_e32 v32, v32, v33
	v_xor_b32_e32 v33, vcc_hi, v3
	v_xor_b32_e32 v3, vcc_lo, v3
	v_and_b32_e32 v9, v9, v3
	v_lshlrev_b32_e32 v3, 28, v8
	v_cmp_gt_i64_e32 vcc, 0, v[2:3]
	v_not_b32_e32 v3, v3
	v_ashrrev_i32_e32 v3, 31, v3
	v_and_b32_e32 v32, v32, v33
	;; [unrolled: 8-line block ×5, first 2 shown]
	v_xor_b32_e32 v33, vcc_hi, v3
	v_xor_b32_e32 v3, vcc_lo, v3
	v_and_b32_e32 v32, v32, v33
	v_and_b32_e32 v33, v9, v3
	v_lshlrev_b32_e32 v3, 24, v8
	v_cmp_gt_i64_e32 vcc, 0, v[2:3]
	v_not_b32_e32 v3, v3
	v_ashrrev_i32_e32 v3, 31, v3
	v_xor_b32_e32 v8, vcc_hi, v3
	v_xor_b32_e32 v3, vcc_lo, v3
	; wave barrier
	ds_read_b32 v30, v31 offset:64
	v_and_b32_e32 v9, v32, v8
	v_and_b32_e32 v8, v33, v3
	v_mbcnt_lo_u32_b32 v3, v8, 0
	v_mbcnt_hi_u32_b32 v33, v9, v3
	v_cmp_eq_u32_e32 vcc, 0, v33
	v_cmp_ne_u64_e64 s[0:1], 0, v[8:9]
	s_and_b64 s[2:3], s[0:1], vcc
	; wave barrier
	s_and_saveexec_b64 s[0:1], s[2:3]
	s_cbranch_execz .LBB1932_35
; %bb.34:
	v_bcnt_u32_b32 v3, v8, 0
	v_bcnt_u32_b32 v3, v9, v3
	s_waitcnt lgkmcnt(0)
	v_add_u32_e32 v3, v30, v3
	ds_write_b32 v31, v3 offset:64
.LBB1932_35:
	s_or_b64 exec, exec, s[0:1]
	v_mov_b32_e32 v3, -1
	v_xor_b32_sdwa v32, v4, v3 dst_sel:DWORD dst_unused:UNUSED_PAD src0_sel:WORD_1 src1_sel:DWORD
	v_lshrrev_b32_sdwa v3, s20, v32 dst_sel:DWORD dst_unused:UNUSED_PAD src0_sel:DWORD src1_sel:WORD_0
	v_and_b32_e32 v4, s28, v3
	v_mul_u32_u24_e32 v3, 17, v4
	v_add_lshl_u32 v35, v26, v3, 2
	v_and_b32_e32 v3, 1, v4
	v_add_co_u32_e32 v8, vcc, -1, v3
	v_addc_co_u32_e64 v9, s[0:1], 0, -1, vcc
	v_cmp_ne_u32_e32 vcc, 0, v3
	v_xor_b32_e32 v3, vcc_hi, v9
	v_and_b32_e32 v9, exec_hi, v3
	v_lshlrev_b32_e32 v3, 30, v4
	v_xor_b32_e32 v8, vcc_lo, v8
	v_cmp_gt_i64_e32 vcc, 0, v[2:3]
	v_not_b32_e32 v3, v3
	v_ashrrev_i32_e32 v3, 31, v3
	v_and_b32_e32 v8, exec_lo, v8
	v_xor_b32_e32 v36, vcc_hi, v3
	v_xor_b32_e32 v3, vcc_lo, v3
	v_and_b32_e32 v8, v8, v3
	v_lshlrev_b32_e32 v3, 29, v4
	v_cmp_gt_i64_e32 vcc, 0, v[2:3]
	v_not_b32_e32 v3, v3
	v_ashrrev_i32_e32 v3, 31, v3
	v_and_b32_e32 v9, v9, v36
	v_xor_b32_e32 v36, vcc_hi, v3
	v_xor_b32_e32 v3, vcc_lo, v3
	v_and_b32_e32 v8, v8, v3
	v_lshlrev_b32_e32 v3, 28, v4
	v_cmp_gt_i64_e32 vcc, 0, v[2:3]
	v_not_b32_e32 v3, v3
	v_ashrrev_i32_e32 v3, 31, v3
	v_and_b32_e32 v9, v9, v36
	v_xor_b32_e32 v36, vcc_hi, v3
	v_xor_b32_e32 v3, vcc_lo, v3
	v_and_b32_e32 v8, v8, v3
	v_lshlrev_b32_e32 v3, 27, v4
	v_cmp_gt_i64_e32 vcc, 0, v[2:3]
	v_not_b32_e32 v3, v3
	v_ashrrev_i32_e32 v3, 31, v3
	v_and_b32_e32 v9, v9, v36
	v_xor_b32_e32 v36, vcc_hi, v3
	v_xor_b32_e32 v3, vcc_lo, v3
	v_and_b32_e32 v8, v8, v3
	v_lshlrev_b32_e32 v3, 26, v4
	v_cmp_gt_i64_e32 vcc, 0, v[2:3]
	v_not_b32_e32 v3, v3
	v_ashrrev_i32_e32 v3, 31, v3
	v_and_b32_e32 v9, v9, v36
	v_xor_b32_e32 v36, vcc_hi, v3
	v_xor_b32_e32 v3, vcc_lo, v3
	v_and_b32_e32 v8, v8, v3
	v_lshlrev_b32_e32 v3, 25, v4
	v_cmp_gt_i64_e32 vcc, 0, v[2:3]
	v_not_b32_e32 v3, v3
	v_ashrrev_i32_e32 v3, 31, v3
	v_and_b32_e32 v9, v9, v36
	v_xor_b32_e32 v36, vcc_hi, v3
	v_xor_b32_e32 v3, vcc_lo, v3
	v_and_b32_e32 v8, v8, v3
	v_lshlrev_b32_e32 v3, 24, v4
	v_cmp_gt_i64_e32 vcc, 0, v[2:3]
	v_not_b32_e32 v2, v3
	v_ashrrev_i32_e32 v2, 31, v2
	v_xor_b32_e32 v3, vcc_hi, v2
	v_xor_b32_e32 v2, vcc_lo, v2
	; wave barrier
	ds_read_b32 v34, v35 offset:64
	v_and_b32_e32 v9, v9, v36
	v_and_b32_e32 v2, v8, v2
	;; [unrolled: 1-line block ×3, first 2 shown]
	v_mbcnt_lo_u32_b32 v4, v2, 0
	v_mbcnt_hi_u32_b32 v37, v3, v4
	v_cmp_eq_u32_e32 vcc, 0, v37
	v_cmp_ne_u64_e64 s[0:1], 0, v[2:3]
	s_and_b64 s[2:3], s[0:1], vcc
	; wave barrier
	s_and_saveexec_b64 s[0:1], s[2:3]
	s_cbranch_execz .LBB1932_37
; %bb.36:
	v_bcnt_u32_b32 v2, v2, 0
	v_bcnt_u32_b32 v2, v3, v2
	s_waitcnt lgkmcnt(0)
	v_add_u32_e32 v2, v34, v2
	ds_write_b32 v35, v2 offset:64
.LBB1932_37:
	s_or_b64 exec, exec, s[0:1]
	v_xor_b32_e32 v36, -1, v5
	v_lshrrev_b32_sdwa v2, s20, v36 dst_sel:DWORD dst_unused:UNUSED_PAD src0_sel:DWORD src1_sel:WORD_0
	v_and_b32_e32 v4, s28, v2
	v_and_b32_e32 v3, 1, v4
	v_add_co_u32_e32 v8, vcc, -1, v3
	v_addc_co_u32_e64 v9, s[0:1], 0, -1, vcc
	v_cmp_ne_u32_e32 vcc, 0, v3
	v_mul_u32_u24_e32 v2, 17, v4
	v_xor_b32_e32 v3, vcc_hi, v9
	v_add_lshl_u32 v39, v26, v2, 2
	v_mov_b32_e32 v2, 0
	v_and_b32_e32 v9, exec_hi, v3
	v_lshlrev_b32_e32 v3, 30, v4
	v_xor_b32_e32 v8, vcc_lo, v8
	v_cmp_gt_i64_e32 vcc, 0, v[2:3]
	v_not_b32_e32 v3, v3
	v_ashrrev_i32_e32 v3, 31, v3
	v_and_b32_e32 v8, exec_lo, v8
	v_xor_b32_e32 v40, vcc_hi, v3
	v_xor_b32_e32 v3, vcc_lo, v3
	v_and_b32_e32 v8, v8, v3
	v_lshlrev_b32_e32 v3, 29, v4
	v_cmp_gt_i64_e32 vcc, 0, v[2:3]
	v_not_b32_e32 v3, v3
	v_ashrrev_i32_e32 v3, 31, v3
	v_and_b32_e32 v9, v9, v40
	v_xor_b32_e32 v40, vcc_hi, v3
	v_xor_b32_e32 v3, vcc_lo, v3
	v_and_b32_e32 v8, v8, v3
	v_lshlrev_b32_e32 v3, 28, v4
	v_cmp_gt_i64_e32 vcc, 0, v[2:3]
	v_not_b32_e32 v3, v3
	v_ashrrev_i32_e32 v3, 31, v3
	v_and_b32_e32 v9, v9, v40
	;; [unrolled: 8-line block ×5, first 2 shown]
	v_xor_b32_e32 v40, vcc_hi, v3
	v_xor_b32_e32 v3, vcc_lo, v3
	v_and_b32_e32 v8, v8, v3
	v_lshlrev_b32_e32 v3, 24, v4
	v_cmp_gt_i64_e32 vcc, 0, v[2:3]
	v_not_b32_e32 v3, v3
	v_ashrrev_i32_e32 v3, 31, v3
	v_xor_b32_e32 v4, vcc_hi, v3
	v_xor_b32_e32 v3, vcc_lo, v3
	; wave barrier
	ds_read_b32 v38, v39 offset:64
	v_and_b32_e32 v9, v9, v40
	v_and_b32_e32 v8, v8, v3
	;; [unrolled: 1-line block ×3, first 2 shown]
	v_mbcnt_lo_u32_b32 v3, v8, 0
	v_mbcnt_hi_u32_b32 v40, v9, v3
	v_cmp_eq_u32_e32 vcc, 0, v40
	v_cmp_ne_u64_e64 s[0:1], 0, v[8:9]
	s_and_b64 s[2:3], s[0:1], vcc
	; wave barrier
	s_and_saveexec_b64 s[0:1], s[2:3]
	s_cbranch_execz .LBB1932_39
; %bb.38:
	v_bcnt_u32_b32 v3, v8, 0
	v_bcnt_u32_b32 v3, v9, v3
	s_waitcnt lgkmcnt(0)
	v_add_u32_e32 v3, v38, v3
	ds_write_b32 v39, v3 offset:64
.LBB1932_39:
	s_or_b64 exec, exec, s[0:1]
	v_mov_b32_e32 v3, -1
	v_xor_b32_sdwa v8, v5, v3 dst_sel:DWORD dst_unused:UNUSED_PAD src0_sel:WORD_1 src1_sel:DWORD
	v_lshrrev_b32_sdwa v3, s20, v8 dst_sel:DWORD dst_unused:UNUSED_PAD src0_sel:DWORD src1_sel:WORD_0
	v_and_b32_e32 v4, s28, v3
	v_mul_u32_u24_e32 v3, 17, v4
	v_add_lshl_u32 v41, v26, v3, 2
	v_and_b32_e32 v3, 1, v4
	v_add_co_u32_e32 v5, vcc, -1, v3
	v_addc_co_u32_e64 v42, s[0:1], 0, -1, vcc
	v_cmp_ne_u32_e32 vcc, 0, v3
	v_xor_b32_e32 v3, vcc_hi, v42
	v_and_b32_e32 v42, exec_hi, v3
	v_lshlrev_b32_e32 v3, 30, v4
	v_xor_b32_e32 v5, vcc_lo, v5
	v_cmp_gt_i64_e32 vcc, 0, v[2:3]
	v_not_b32_e32 v3, v3
	v_ashrrev_i32_e32 v3, 31, v3
	v_and_b32_e32 v5, exec_lo, v5
	v_xor_b32_e32 v43, vcc_hi, v3
	v_xor_b32_e32 v3, vcc_lo, v3
	v_and_b32_e32 v5, v5, v3
	v_lshlrev_b32_e32 v3, 29, v4
	v_cmp_gt_i64_e32 vcc, 0, v[2:3]
	v_not_b32_e32 v3, v3
	v_ashrrev_i32_e32 v3, 31, v3
	v_and_b32_e32 v42, v42, v43
	v_xor_b32_e32 v43, vcc_hi, v3
	v_xor_b32_e32 v3, vcc_lo, v3
	v_and_b32_e32 v5, v5, v3
	v_lshlrev_b32_e32 v3, 28, v4
	v_cmp_gt_i64_e32 vcc, 0, v[2:3]
	v_not_b32_e32 v3, v3
	v_ashrrev_i32_e32 v3, 31, v3
	v_and_b32_e32 v42, v42, v43
	;; [unrolled: 8-line block ×5, first 2 shown]
	v_xor_b32_e32 v43, vcc_hi, v3
	v_xor_b32_e32 v3, vcc_lo, v3
	v_and_b32_e32 v5, v5, v3
	v_lshlrev_b32_e32 v3, 24, v4
	v_cmp_gt_i64_e32 vcc, 0, v[2:3]
	v_not_b32_e32 v2, v3
	v_ashrrev_i32_e32 v2, 31, v2
	v_xor_b32_e32 v3, vcc_hi, v2
	v_xor_b32_e32 v2, vcc_lo, v2
	; wave barrier
	ds_read_b32 v9, v41 offset:64
	v_and_b32_e32 v42, v42, v43
	v_and_b32_e32 v2, v5, v2
	;; [unrolled: 1-line block ×3, first 2 shown]
	v_mbcnt_lo_u32_b32 v4, v2, 0
	v_mbcnt_hi_u32_b32 v43, v3, v4
	v_cmp_eq_u32_e32 vcc, 0, v43
	v_cmp_ne_u64_e64 s[0:1], 0, v[2:3]
	s_and_b64 s[2:3], s[0:1], vcc
	; wave barrier
	s_and_saveexec_b64 s[0:1], s[2:3]
	s_cbranch_execz .LBB1932_41
; %bb.40:
	v_bcnt_u32_b32 v2, v2, 0
	v_bcnt_u32_b32 v2, v3, v2
	s_waitcnt lgkmcnt(0)
	v_add_u32_e32 v2, v9, v2
	ds_write_b32 v41, v2 offset:64
.LBB1932_41:
	s_or_b64 exec, exec, s[0:1]
	v_xor_b32_e32 v42, -1, v6
	v_lshrrev_b32_sdwa v2, s20, v42 dst_sel:DWORD dst_unused:UNUSED_PAD src0_sel:DWORD src1_sel:WORD_0
	v_and_b32_e32 v4, s28, v2
	v_and_b32_e32 v3, 1, v4
	v_add_co_u32_e32 v5, vcc, -1, v3
	v_addc_co_u32_e64 v46, s[0:1], 0, -1, vcc
	v_cmp_ne_u32_e32 vcc, 0, v3
	v_mul_u32_u24_e32 v2, 17, v4
	v_xor_b32_e32 v3, vcc_hi, v46
	v_add_lshl_u32 v45, v26, v2, 2
	v_mov_b32_e32 v2, 0
	v_and_b32_e32 v46, exec_hi, v3
	v_lshlrev_b32_e32 v3, 30, v4
	v_xor_b32_e32 v5, vcc_lo, v5
	v_cmp_gt_i64_e32 vcc, 0, v[2:3]
	v_not_b32_e32 v3, v3
	v_ashrrev_i32_e32 v3, 31, v3
	v_and_b32_e32 v5, exec_lo, v5
	v_xor_b32_e32 v47, vcc_hi, v3
	v_xor_b32_e32 v3, vcc_lo, v3
	v_and_b32_e32 v5, v5, v3
	v_lshlrev_b32_e32 v3, 29, v4
	v_cmp_gt_i64_e32 vcc, 0, v[2:3]
	v_not_b32_e32 v3, v3
	v_ashrrev_i32_e32 v3, 31, v3
	v_and_b32_e32 v46, v46, v47
	v_xor_b32_e32 v47, vcc_hi, v3
	v_xor_b32_e32 v3, vcc_lo, v3
	v_and_b32_e32 v5, v5, v3
	v_lshlrev_b32_e32 v3, 28, v4
	v_cmp_gt_i64_e32 vcc, 0, v[2:3]
	v_not_b32_e32 v3, v3
	v_ashrrev_i32_e32 v3, 31, v3
	v_and_b32_e32 v46, v46, v47
	;; [unrolled: 8-line block ×5, first 2 shown]
	v_xor_b32_e32 v47, vcc_hi, v3
	v_xor_b32_e32 v3, vcc_lo, v3
	v_and_b32_e32 v46, v46, v47
	v_and_b32_e32 v47, v5, v3
	v_lshlrev_b32_e32 v3, 24, v4
	v_cmp_gt_i64_e32 vcc, 0, v[2:3]
	v_not_b32_e32 v3, v3
	v_ashrrev_i32_e32 v3, 31, v3
	v_xor_b32_e32 v4, vcc_hi, v3
	v_xor_b32_e32 v3, vcc_lo, v3
	; wave barrier
	ds_read_b32 v44, v45 offset:64
	v_and_b32_e32 v5, v46, v4
	v_and_b32_e32 v4, v47, v3
	v_mbcnt_lo_u32_b32 v3, v4, 0
	v_mbcnt_hi_u32_b32 v46, v5, v3
	v_cmp_eq_u32_e32 vcc, 0, v46
	v_cmp_ne_u64_e64 s[0:1], 0, v[4:5]
	s_and_b64 s[2:3], s[0:1], vcc
	; wave barrier
	s_and_saveexec_b64 s[0:1], s[2:3]
	s_cbranch_execz .LBB1932_43
; %bb.42:
	v_bcnt_u32_b32 v3, v4, 0
	v_bcnt_u32_b32 v3, v5, v3
	s_waitcnt lgkmcnt(0)
	v_add_u32_e32 v3, v44, v3
	ds_write_b32 v45, v3 offset:64
.LBB1932_43:
	s_or_b64 exec, exec, s[0:1]
	v_mov_b32_e32 v3, -1
	v_xor_b32_sdwa v6, v6, v3 dst_sel:DWORD dst_unused:UNUSED_PAD src0_sel:WORD_1 src1_sel:DWORD
	v_lshrrev_b32_sdwa v3, s20, v6 dst_sel:DWORD dst_unused:UNUSED_PAD src0_sel:DWORD src1_sel:WORD_0
	v_and_b32_e32 v4, s28, v3
	v_mul_u32_u24_e32 v3, 17, v4
	v_add_lshl_u32 v48, v26, v3, 2
	v_and_b32_e32 v3, 1, v4
	v_add_co_u32_e32 v5, vcc, -1, v3
	v_addc_co_u32_e64 v49, s[0:1], 0, -1, vcc
	v_cmp_ne_u32_e32 vcc, 0, v3
	v_xor_b32_e32 v3, vcc_hi, v49
	v_and_b32_e32 v49, exec_hi, v3
	v_lshlrev_b32_e32 v3, 30, v4
	v_xor_b32_e32 v5, vcc_lo, v5
	v_cmp_gt_i64_e32 vcc, 0, v[2:3]
	v_not_b32_e32 v3, v3
	v_ashrrev_i32_e32 v3, 31, v3
	v_and_b32_e32 v5, exec_lo, v5
	v_xor_b32_e32 v50, vcc_hi, v3
	v_xor_b32_e32 v3, vcc_lo, v3
	v_and_b32_e32 v5, v5, v3
	v_lshlrev_b32_e32 v3, 29, v4
	v_cmp_gt_i64_e32 vcc, 0, v[2:3]
	v_not_b32_e32 v3, v3
	v_ashrrev_i32_e32 v3, 31, v3
	v_and_b32_e32 v49, v49, v50
	v_xor_b32_e32 v50, vcc_hi, v3
	v_xor_b32_e32 v3, vcc_lo, v3
	v_and_b32_e32 v5, v5, v3
	v_lshlrev_b32_e32 v3, 28, v4
	v_cmp_gt_i64_e32 vcc, 0, v[2:3]
	v_not_b32_e32 v3, v3
	v_ashrrev_i32_e32 v3, 31, v3
	v_and_b32_e32 v49, v49, v50
	;; [unrolled: 8-line block ×5, first 2 shown]
	v_xor_b32_e32 v50, vcc_hi, v3
	v_xor_b32_e32 v3, vcc_lo, v3
	v_and_b32_e32 v5, v5, v3
	v_lshlrev_b32_e32 v3, 24, v4
	v_cmp_gt_i64_e32 vcc, 0, v[2:3]
	v_not_b32_e32 v2, v3
	v_ashrrev_i32_e32 v2, 31, v2
	v_xor_b32_e32 v3, vcc_hi, v2
	v_xor_b32_e32 v2, vcc_lo, v2
	; wave barrier
	ds_read_b32 v47, v48 offset:64
	v_and_b32_e32 v49, v49, v50
	v_and_b32_e32 v2, v5, v2
	;; [unrolled: 1-line block ×3, first 2 shown]
	v_mbcnt_lo_u32_b32 v4, v2, 0
	v_mbcnt_hi_u32_b32 v50, v3, v4
	v_cmp_eq_u32_e32 vcc, 0, v50
	v_cmp_ne_u64_e64 s[0:1], 0, v[2:3]
	s_and_b64 s[2:3], s[0:1], vcc
	; wave barrier
	s_and_saveexec_b64 s[0:1], s[2:3]
	s_cbranch_execz .LBB1932_45
; %bb.44:
	v_bcnt_u32_b32 v2, v2, 0
	v_bcnt_u32_b32 v2, v3, v2
	s_waitcnt lgkmcnt(0)
	v_add_u32_e32 v2, v47, v2
	ds_write_b32 v48, v2 offset:64
.LBB1932_45:
	s_or_b64 exec, exec, s[0:1]
	v_xor_b32_e32 v49, -1, v7
	v_lshrrev_b32_sdwa v2, s20, v49 dst_sel:DWORD dst_unused:UNUSED_PAD src0_sel:DWORD src1_sel:WORD_0
	v_and_b32_e32 v4, s28, v2
	v_and_b32_e32 v3, 1, v4
	v_add_co_u32_e32 v5, vcc, -1, v3
	v_addc_co_u32_e64 v53, s[0:1], 0, -1, vcc
	v_cmp_ne_u32_e32 vcc, 0, v3
	v_mul_u32_u24_e32 v2, 17, v4
	v_xor_b32_e32 v3, vcc_hi, v53
	v_add_lshl_u32 v52, v26, v2, 2
	v_mov_b32_e32 v2, 0
	v_and_b32_e32 v53, exec_hi, v3
	v_lshlrev_b32_e32 v3, 30, v4
	v_xor_b32_e32 v5, vcc_lo, v5
	v_cmp_gt_i64_e32 vcc, 0, v[2:3]
	v_not_b32_e32 v3, v3
	v_ashrrev_i32_e32 v3, 31, v3
	v_and_b32_e32 v5, exec_lo, v5
	v_xor_b32_e32 v54, vcc_hi, v3
	v_xor_b32_e32 v3, vcc_lo, v3
	v_and_b32_e32 v5, v5, v3
	v_lshlrev_b32_e32 v3, 29, v4
	v_cmp_gt_i64_e32 vcc, 0, v[2:3]
	v_not_b32_e32 v3, v3
	v_ashrrev_i32_e32 v3, 31, v3
	v_and_b32_e32 v53, v53, v54
	v_xor_b32_e32 v54, vcc_hi, v3
	v_xor_b32_e32 v3, vcc_lo, v3
	v_and_b32_e32 v5, v5, v3
	v_lshlrev_b32_e32 v3, 28, v4
	v_cmp_gt_i64_e32 vcc, 0, v[2:3]
	v_not_b32_e32 v3, v3
	v_ashrrev_i32_e32 v3, 31, v3
	v_and_b32_e32 v53, v53, v54
	;; [unrolled: 8-line block ×5, first 2 shown]
	v_xor_b32_e32 v54, vcc_hi, v3
	v_xor_b32_e32 v3, vcc_lo, v3
	v_and_b32_e32 v53, v53, v54
	v_and_b32_e32 v54, v5, v3
	v_lshlrev_b32_e32 v3, 24, v4
	v_cmp_gt_i64_e32 vcc, 0, v[2:3]
	v_not_b32_e32 v3, v3
	v_ashrrev_i32_e32 v3, 31, v3
	v_xor_b32_e32 v4, vcc_hi, v3
	v_xor_b32_e32 v3, vcc_lo, v3
	; wave barrier
	ds_read_b32 v51, v52 offset:64
	v_and_b32_e32 v5, v53, v4
	v_and_b32_e32 v4, v54, v3
	v_mbcnt_lo_u32_b32 v3, v4, 0
	v_mbcnt_hi_u32_b32 v53, v5, v3
	v_cmp_eq_u32_e32 vcc, 0, v53
	v_cmp_ne_u64_e64 s[0:1], 0, v[4:5]
	s_and_b64 s[2:3], s[0:1], vcc
	; wave barrier
	s_and_saveexec_b64 s[0:1], s[2:3]
	s_cbranch_execz .LBB1932_47
; %bb.46:
	v_bcnt_u32_b32 v3, v4, 0
	v_bcnt_u32_b32 v3, v5, v3
	s_waitcnt lgkmcnt(0)
	v_add_u32_e32 v3, v51, v3
	ds_write_b32 v52, v3 offset:64
.LBB1932_47:
	s_or_b64 exec, exec, s[0:1]
	v_mov_b32_e32 v3, -1
	v_xor_b32_sdwa v7, v7, v3 dst_sel:DWORD dst_unused:UNUSED_PAD src0_sel:WORD_1 src1_sel:DWORD
	v_lshrrev_b32_sdwa v3, s20, v7 dst_sel:DWORD dst_unused:UNUSED_PAD src0_sel:DWORD src1_sel:WORD_0
	v_and_b32_e32 v4, s28, v3
	v_mul_u32_u24_e32 v3, 17, v4
	v_add_lshl_u32 v54, v26, v3, 2
	v_and_b32_e32 v3, 1, v4
	v_add_co_u32_e32 v5, vcc, -1, v3
	v_addc_co_u32_e64 v56, s[0:1], 0, -1, vcc
	v_cmp_ne_u32_e32 vcc, 0, v3
	v_xor_b32_e32 v3, vcc_hi, v56
	v_and_b32_e32 v56, exec_hi, v3
	v_lshlrev_b32_e32 v3, 30, v4
	v_xor_b32_e32 v5, vcc_lo, v5
	v_cmp_gt_i64_e32 vcc, 0, v[2:3]
	v_not_b32_e32 v3, v3
	v_ashrrev_i32_e32 v3, 31, v3
	v_and_b32_e32 v5, exec_lo, v5
	v_xor_b32_e32 v57, vcc_hi, v3
	v_xor_b32_e32 v3, vcc_lo, v3
	v_and_b32_e32 v5, v5, v3
	v_lshlrev_b32_e32 v3, 29, v4
	v_cmp_gt_i64_e32 vcc, 0, v[2:3]
	v_not_b32_e32 v3, v3
	v_ashrrev_i32_e32 v3, 31, v3
	v_and_b32_e32 v56, v56, v57
	v_xor_b32_e32 v57, vcc_hi, v3
	v_xor_b32_e32 v3, vcc_lo, v3
	v_and_b32_e32 v5, v5, v3
	v_lshlrev_b32_e32 v3, 28, v4
	v_cmp_gt_i64_e32 vcc, 0, v[2:3]
	v_not_b32_e32 v3, v3
	v_ashrrev_i32_e32 v3, 31, v3
	v_and_b32_e32 v56, v56, v57
	;; [unrolled: 8-line block ×5, first 2 shown]
	v_xor_b32_e32 v57, vcc_hi, v3
	v_xor_b32_e32 v3, vcc_lo, v3
	v_and_b32_e32 v5, v5, v3
	v_lshlrev_b32_e32 v3, 24, v4
	v_cmp_gt_i64_e32 vcc, 0, v[2:3]
	v_not_b32_e32 v2, v3
	v_ashrrev_i32_e32 v2, 31, v2
	v_xor_b32_e32 v3, vcc_hi, v2
	v_xor_b32_e32 v2, vcc_lo, v2
	; wave barrier
	ds_read_b32 v26, v54 offset:64
	v_and_b32_e32 v56, v56, v57
	v_and_b32_e32 v2, v5, v2
	v_and_b32_e32 v3, v56, v3
	v_mbcnt_lo_u32_b32 v4, v2, 0
	v_mbcnt_hi_u32_b32 v56, v3, v4
	v_cmp_eq_u32_e32 vcc, 0, v56
	v_cmp_ne_u64_e64 s[0:1], 0, v[2:3]
	v_add_u32_e32 v55, 64, v15
	s_and_b64 s[2:3], s[0:1], vcc
	; wave barrier
	s_and_saveexec_b64 s[0:1], s[2:3]
	s_cbranch_execz .LBB1932_49
; %bb.48:
	v_bcnt_u32_b32 v2, v2, 0
	v_bcnt_u32_b32 v2, v3, v2
	s_waitcnt lgkmcnt(0)
	v_add_u32_e32 v2, v26, v2
	ds_write_b32 v54, v2 offset:64
.LBB1932_49:
	s_or_b64 exec, exec, s[0:1]
	; wave barrier
	s_waitcnt lgkmcnt(0)
	s_barrier
	ds_read2_b32 v[4:5], v15 offset0:16 offset1:17
	ds_read2_b32 v[2:3], v55 offset0:2 offset1:3
	ds_read_b32 v57, v55 offset:16
	v_cmp_lt_u32_e64 s[10:11], 31, v11
	s_waitcnt lgkmcnt(1)
	v_add3_u32 v58, v5, v4, v2
	s_waitcnt lgkmcnt(0)
	v_add3_u32 v57, v58, v3, v57
	v_and_b32_e32 v58, 15, v11
	v_cmp_eq_u32_e32 vcc, 0, v58
	v_mov_b32_dpp v59, v57 row_shr:1 row_mask:0xf bank_mask:0xf
	v_cndmask_b32_e64 v59, v59, 0, vcc
	v_add_u32_e32 v57, v59, v57
	v_cmp_lt_u32_e64 s[0:1], 1, v58
	v_cmp_lt_u32_e64 s[2:3], 3, v58
	v_mov_b32_dpp v59, v57 row_shr:2 row_mask:0xf bank_mask:0xf
	v_cndmask_b32_e64 v59, 0, v59, s[0:1]
	v_add_u32_e32 v57, v57, v59
	v_cmp_lt_u32_e64 s[8:9], 7, v58
	s_nop 0
	v_mov_b32_dpp v59, v57 row_shr:4 row_mask:0xf bank_mask:0xf
	v_cndmask_b32_e64 v59, 0, v59, s[2:3]
	v_add_u32_e32 v57, v57, v59
	s_nop 1
	v_mov_b32_dpp v59, v57 row_shr:8 row_mask:0xf bank_mask:0xf
	v_cndmask_b32_e64 v58, 0, v59, s[8:9]
	v_add_u32_e32 v57, v57, v58
	v_bfe_i32 v59, v11, 4, 1
	s_nop 0
	v_mov_b32_dpp v58, v57 row_bcast:15 row_mask:0xf bank_mask:0xf
	v_and_b32_e32 v58, v59, v58
	v_add_u32_e32 v57, v57, v58
	v_and_b32_e32 v59, 63, v10
	s_nop 0
	v_mov_b32_dpp v58, v57 row_bcast:31 row_mask:0xf bank_mask:0xf
	v_cndmask_b32_e64 v58, 0, v58, s[10:11]
	v_add_u32_e32 v57, v57, v58
	v_lshrrev_b32_e32 v58, 6, v10
	v_cmp_eq_u32_e64 s[10:11], 63, v59
	s_and_saveexec_b64 s[22:23], s[10:11]
	s_cbranch_execz .LBB1932_51
; %bb.50:
	v_lshlrev_b32_e32 v59, 2, v58
	ds_write_b32 v59, v57
.LBB1932_51:
	s_or_b64 exec, exec, s[22:23]
	v_cmp_gt_u32_e64 s[10:11], 16, v10
	s_waitcnt lgkmcnt(0)
	s_barrier
	s_and_saveexec_b64 s[22:23], s[10:11]
	s_cbranch_execz .LBB1932_53
; %bb.52:
	v_lshlrev_b32_e32 v59, 2, v10
	ds_read_b32 v60, v59
	s_waitcnt lgkmcnt(0)
	s_nop 0
	v_mov_b32_dpp v61, v60 row_shr:1 row_mask:0xf bank_mask:0xf
	v_cndmask_b32_e64 v61, v61, 0, vcc
	v_add_u32_e32 v60, v61, v60
	s_nop 1
	v_mov_b32_dpp v61, v60 row_shr:2 row_mask:0xf bank_mask:0xf
	v_cndmask_b32_e64 v61, 0, v61, s[0:1]
	v_add_u32_e32 v60, v60, v61
	s_nop 1
	v_mov_b32_dpp v61, v60 row_shr:4 row_mask:0xf bank_mask:0xf
	v_cndmask_b32_e64 v61, 0, v61, s[2:3]
	;; [unrolled: 4-line block ×3, first 2 shown]
	v_add_u32_e32 v60, v60, v61
	ds_write_b32 v59, v60
.LBB1932_53:
	s_or_b64 exec, exec, s[22:23]
	v_cmp_lt_u32_e32 vcc, 63, v10
	v_mov_b32_e32 v59, 0
	s_waitcnt lgkmcnt(0)
	s_barrier
	s_and_saveexec_b64 s[0:1], vcc
	s_cbranch_execz .LBB1932_55
; %bb.54:
	v_lshl_add_u32 v58, v58, 2, -4
	ds_read_b32 v59, v58
.LBB1932_55:
	s_or_b64 exec, exec, s[0:1]
	v_add_u32_e32 v58, -1, v11
	v_and_b32_e32 v60, 64, v11
	v_cmp_lt_i32_e32 vcc, v58, v60
	v_cndmask_b32_e32 v58, v58, v11, vcc
	s_waitcnt lgkmcnt(0)
	v_add_u32_e32 v57, v59, v57
	v_lshlrev_b32_e32 v58, 2, v58
	ds_bpermute_b32 v57, v58, v57
	v_cmp_eq_u32_e32 vcc, 0, v11
	s_movk_i32 s0, 0x100
	s_waitcnt lgkmcnt(0)
	v_cndmask_b32_e32 v11, v57, v59, vcc
	v_cmp_ne_u32_e32 vcc, 0, v10
	v_cndmask_b32_e32 v11, 0, v11, vcc
	v_add_u32_e32 v4, v11, v4
	v_add_u32_e32 v5, v4, v5
	;; [unrolled: 1-line block ×4, first 2 shown]
	ds_write2_b32 v15, v11, v4 offset0:16 offset1:17
	ds_write2_b32 v55, v5, v2 offset0:2 offset1:3
	ds_write_b32 v55, v3 offset:16
	s_waitcnt lgkmcnt(0)
	s_barrier
	ds_read_b32 v59, v19 offset:64
	ds_read_b32 v58, v20 offset:64
	;; [unrolled: 1-line block ×12, first 2 shown]
	v_cmp_gt_u32_e32 vcc, s0, v10
	v_pk_mov_b32 v[2:3], 0, 0
                                        ; implicit-def: $vgpr15
	s_and_saveexec_b64 s[2:3], vcc
	s_cbranch_execz .LBB1932_59
; %bb.56:
	v_mul_u32_u24_e32 v2, 17, v10
	v_lshlrev_b32_e32 v15, 2, v2
	ds_read_b32 v2, v15 offset:64
	s_movk_i32 s0, 0xff
	v_cmp_ne_u32_e64 s[0:1], s0, v10
	v_mov_b32_e32 v3, 0x3000
	s_and_saveexec_b64 s[8:9], s[0:1]
	s_cbranch_execz .LBB1932_58
; %bb.57:
	ds_read_b32 v3, v15 offset:132
.LBB1932_58:
	s_or_b64 exec, exec, s[8:9]
	s_waitcnt lgkmcnt(0)
	v_sub_u32_e32 v15, v3, v2
	v_mov_b32_e32 v3, 0
.LBB1932_59:
	s_or_b64 exec, exec, s[2:3]
	v_add_u32_e32 v18, v21, v18
	s_waitcnt lgkmcnt(11)
	v_add_lshl_u32 v16, v59, v16, 1
	v_add_u32_e32 v13, v28, v13
	v_add_u32_e32 v23, v25, v23
	s_waitcnt lgkmcnt(0)
	s_barrier
	ds_write_b16 v16, v14 offset:2048
	v_add_lshl_u32 v14, v18, v58, 1
	v_add_u32_e32 v30, v33, v30
	ds_write_b16 v14, v17 offset:2048
	v_add_lshl_u32 v14, v23, v57, 1
	v_add_lshl_u32 v13, v13, v55, 1
	v_add_u32_e32 v34, v37, v34
	ds_write_b16 v14, v22 offset:2048
	ds_write_b16 v13, v12 offset:2048
	v_add_lshl_u32 v12, v30, v31, 1
	v_add_u32_e32 v9, v43, v9
	v_add_u32_e32 v38, v40, v38
	ds_write_b16 v12, v29 offset:2048
	v_add_lshl_u32 v12, v34, v27, 1
	v_add_u32_e32 v41, v46, v44
	ds_write_b16 v12, v32 offset:2048
	v_add_lshl_u32 v12, v38, v24, 1
	v_add_lshl_u32 v9, v9, v20, 1
	v_add_u32_e32 v26, v56, v26
	v_add_u32_e32 v35, v53, v51
	;; [unrolled: 1-line block ×3, first 2 shown]
	ds_write_b16 v12, v36 offset:2048
	ds_write_b16 v9, v8 offset:2048
	v_add_lshl_u32 v8, v41, v19, 1
	ds_write_b16 v8, v42 offset:2048
	v_add_lshl_u32 v8, v39, v11, 1
	v_add_lshl_u32 v5, v35, v5, 1
	;; [unrolled: 1-line block ×3, first 2 shown]
	ds_write_b16 v8, v6 offset:2048
	ds_write_b16 v5, v49 offset:2048
	;; [unrolled: 1-line block ×3, first 2 shown]
	s_and_saveexec_b64 s[2:3], vcc
	s_cbranch_execz .LBB1932_69
; %bb.60:
	v_lshl_or_b32 v4, s6, 8, v10
	v_mov_b32_e32 v5, 0
	v_lshlrev_b64 v[6:7], 2, v[4:5]
	v_mov_b32_e32 v11, s25
	v_add_co_u32_e64 v6, s[0:1], s24, v6
	v_addc_co_u32_e64 v7, s[0:1], v11, v7, s[0:1]
	v_or_b32_e32 v4, 2.0, v15
	s_mov_b64 s[8:9], 0
	s_brev_b32 s29, 1
	s_mov_b32 s30, s6
	v_mov_b32_e32 v12, 0
	global_store_dword v[6:7], v4, off
                                        ; implicit-def: $sgpr0_sgpr1
	s_branch .LBB1932_62
.LBB1932_61:                            ;   in Loop: Header=BB1932_62 Depth=1
	s_or_b64 exec, exec, s[10:11]
	v_and_b32_e32 v8, 0x3fffffff, v13
	v_add_u32_e32 v12, v8, v12
	v_cmp_eq_u32_e64 s[0:1], s29, v4
	s_and_b64 s[10:11], exec, s[0:1]
	s_or_b64 s[8:9], s[10:11], s[8:9]
	s_andn2_b64 exec, exec, s[8:9]
	s_cbranch_execz .LBB1932_68
.LBB1932_62:                            ; =>This Loop Header: Depth=1
                                        ;     Child Loop BB1932_65 Depth 2
	s_or_b64 s[0:1], s[0:1], exec
	s_cmp_eq_u32 s30, 0
	s_cbranch_scc1 .LBB1932_67
; %bb.63:                               ;   in Loop: Header=BB1932_62 Depth=1
	s_add_i32 s30, s30, -1
	v_lshl_or_b32 v4, s30, 8, v10
	v_lshlrev_b64 v[8:9], 2, v[4:5]
	v_add_co_u32_e64 v8, s[0:1], s24, v8
	v_addc_co_u32_e64 v9, s[0:1], v11, v9, s[0:1]
	global_load_dword v13, v[8:9], off glc
	s_waitcnt vmcnt(0)
	v_and_b32_e32 v4, -2.0, v13
	v_cmp_eq_u32_e64 s[0:1], 0, v4
	s_and_saveexec_b64 s[10:11], s[0:1]
	s_cbranch_execz .LBB1932_61
; %bb.64:                               ;   in Loop: Header=BB1932_62 Depth=1
	s_mov_b64 s[22:23], 0
.LBB1932_65:                            ;   Parent Loop BB1932_62 Depth=1
                                        ; =>  This Inner Loop Header: Depth=2
	global_load_dword v13, v[8:9], off glc
	s_waitcnt vmcnt(0)
	v_and_b32_e32 v4, -2.0, v13
	v_cmp_ne_u32_e64 s[0:1], 0, v4
	s_or_b64 s[22:23], s[0:1], s[22:23]
	s_andn2_b64 exec, exec, s[22:23]
	s_cbranch_execnz .LBB1932_65
; %bb.66:                               ;   in Loop: Header=BB1932_62 Depth=1
	s_or_b64 exec, exec, s[22:23]
	s_branch .LBB1932_61
.LBB1932_67:                            ;   in Loop: Header=BB1932_62 Depth=1
                                        ; implicit-def: $sgpr30
	s_and_b64 s[10:11], exec, s[0:1]
	s_or_b64 s[8:9], s[10:11], s[8:9]
	s_andn2_b64 exec, exec, s[8:9]
	s_cbranch_execnz .LBB1932_62
.LBB1932_68:
	s_or_b64 exec, exec, s[8:9]
	v_add_u32_e32 v4, v12, v15
	v_or_b32_e32 v4, 0x80000000, v4
	global_store_dword v[6:7], v4, off
	v_lshlrev_b32_e32 v6, 3, v10
	global_load_dwordx2 v[4:5], v6, s[12:13]
	v_sub_co_u32_e64 v7, s[0:1], v12, v2
	v_subb_co_u32_e64 v8, s[0:1], 0, v3, s[0:1]
	s_waitcnt vmcnt(0)
	v_add_co_u32_e64 v4, s[0:1], v7, v4
	v_addc_co_u32_e64 v5, s[0:1], v8, v5, s[0:1]
	ds_write_b64 v6, v[4:5]
.LBB1932_69:
	s_or_b64 exec, exec, s[2:3]
	v_cmp_gt_u32_e64 s[0:1], s7, v10
	v_lshlrev_b32_e32 v4, 1, v10
	s_waitcnt lgkmcnt(0)
	s_barrier
	s_and_saveexec_b64 s[2:3], s[0:1]
	s_cbranch_execz .LBB1932_71
; %bb.70:
	ds_read_u16 v5, v4 offset:2048
	v_mov_b32_e32 v8, s19
	s_waitcnt lgkmcnt(0)
	v_lshrrev_b32_sdwa v6, s20, v5 dst_sel:DWORD dst_unused:UNUSED_PAD src0_sel:DWORD src1_sel:WORD_0
	v_and_b32_e32 v6, s28, v6
	v_lshlrev_b32_e32 v6, 3, v6
	ds_read_b64 v[6:7], v6
	v_xor_b32_e32 v5, -1, v5
	s_waitcnt lgkmcnt(0)
	v_lshlrev_b64 v[6:7], 1, v[6:7]
	v_add_co_u32_e64 v6, s[0:1], s18, v6
	v_addc_co_u32_e64 v7, s[0:1], v8, v7, s[0:1]
	v_add_co_u32_e64 v6, s[0:1], v6, v4
	v_addc_co_u32_e64 v7, s[0:1], 0, v7, s[0:1]
	global_store_short v[6:7], v5, off
.LBB1932_71:
	s_or_b64 exec, exec, s[2:3]
	v_or_b32_e32 v5, 0x400, v10
	v_cmp_gt_u32_e64 s[0:1], s7, v5
	s_and_saveexec_b64 s[2:3], s[0:1]
	s_cbranch_execz .LBB1932_73
; %bb.72:
	ds_read_u16 v5, v4 offset:4096
	v_mov_b32_e32 v8, s19
	s_waitcnt lgkmcnt(0)
	v_lshrrev_b32_sdwa v6, s20, v5 dst_sel:DWORD dst_unused:UNUSED_PAD src0_sel:DWORD src1_sel:WORD_0
	v_and_b32_e32 v6, s28, v6
	v_lshlrev_b32_e32 v6, 3, v6
	ds_read_b64 v[6:7], v6
	v_xor_b32_e32 v5, -1, v5
	s_waitcnt lgkmcnt(0)
	v_lshlrev_b64 v[6:7], 1, v[6:7]
	v_add_co_u32_e64 v6, s[0:1], s18, v6
	v_addc_co_u32_e64 v7, s[0:1], v8, v7, s[0:1]
	v_add_co_u32_e64 v6, s[0:1], v6, v4
	v_addc_co_u32_e64 v7, s[0:1], 0, v7, s[0:1]
	global_store_short v[6:7], v5, off offset:2048
.LBB1932_73:
	s_or_b64 exec, exec, s[2:3]
	v_or_b32_e32 v5, 0x800, v10
	v_cmp_gt_u32_e64 s[0:1], s7, v5
	s_and_saveexec_b64 s[2:3], s[0:1]
	s_cbranch_execz .LBB1932_75
; %bb.74:
	ds_read_u16 v8, v4 offset:6144
	v_mov_b32_e32 v9, s19
	v_lshlrev_b32_e32 v5, 1, v5
	s_waitcnt lgkmcnt(0)
	v_lshrrev_b32_sdwa v6, s20, v8 dst_sel:DWORD dst_unused:UNUSED_PAD src0_sel:DWORD src1_sel:WORD_0
	v_and_b32_e32 v6, s28, v6
	v_lshlrev_b32_e32 v6, 3, v6
	ds_read_b64 v[6:7], v6
	v_xor_b32_e32 v8, -1, v8
	s_waitcnt lgkmcnt(0)
	v_lshlrev_b64 v[6:7], 1, v[6:7]
	v_add_co_u32_e64 v6, s[0:1], s18, v6
	v_addc_co_u32_e64 v7, s[0:1], v9, v7, s[0:1]
	v_add_co_u32_e64 v6, s[0:1], v6, v5
	v_addc_co_u32_e64 v7, s[0:1], 0, v7, s[0:1]
	global_store_short v[6:7], v8, off
.LBB1932_75:
	s_or_b64 exec, exec, s[2:3]
	v_or_b32_e32 v5, 0xc00, v10
	v_cmp_gt_u32_e64 s[0:1], s7, v5
	s_and_saveexec_b64 s[2:3], s[0:1]
	s_cbranch_execz .LBB1932_77
; %bb.76:
	ds_read_u16 v8, v4 offset:8192
	v_mov_b32_e32 v9, s19
	v_lshlrev_b32_e32 v5, 1, v5
	s_waitcnt lgkmcnt(0)
	v_lshrrev_b32_sdwa v6, s20, v8 dst_sel:DWORD dst_unused:UNUSED_PAD src0_sel:DWORD src1_sel:WORD_0
	v_and_b32_e32 v6, s28, v6
	v_lshlrev_b32_e32 v6, 3, v6
	ds_read_b64 v[6:7], v6
	v_xor_b32_e32 v8, -1, v8
	s_waitcnt lgkmcnt(0)
	v_lshlrev_b64 v[6:7], 1, v[6:7]
	v_add_co_u32_e64 v6, s[0:1], s18, v6
	v_addc_co_u32_e64 v7, s[0:1], v9, v7, s[0:1]
	v_add_co_u32_e64 v6, s[0:1], v6, v5
	v_addc_co_u32_e64 v7, s[0:1], 0, v7, s[0:1]
	global_store_short v[6:7], v8, off
.LBB1932_77:
	;; [unrolled: 23-line block ×9, first 2 shown]
	s_or_b64 exec, exec, s[2:3]
	v_or_b32_e32 v5, 0x2c00, v10
	v_cmp_gt_u32_e64 s[0:1], s7, v5
	s_and_saveexec_b64 s[2:3], s[0:1]
	s_cbranch_execz .LBB1932_93
; %bb.92:
	ds_read_u16 v4, v4 offset:24576
	v_lshlrev_b32_e32 v9, 1, v5
	v_mov_b32_e32 v8, s19
	s_waitcnt lgkmcnt(0)
	v_lshrrev_b32_sdwa v6, s20, v4 dst_sel:DWORD dst_unused:UNUSED_PAD src0_sel:DWORD src1_sel:WORD_0
	v_and_b32_e32 v6, s28, v6
	v_lshlrev_b32_e32 v6, 3, v6
	ds_read_b64 v[6:7], v6
	v_xor_b32_e32 v11, -1, v4
	s_waitcnt lgkmcnt(0)
	v_lshlrev_b64 v[4:5], 1, v[6:7]
	v_add_co_u32_e64 v4, s[0:1], s18, v4
	v_addc_co_u32_e64 v5, s[0:1], v8, v5, s[0:1]
	v_add_co_u32_e64 v4, s[0:1], v4, v9
	v_addc_co_u32_e64 v5, s[0:1], 0, v5, s[0:1]
	global_store_short v[4:5], v11, off
.LBB1932_93:
	s_or_b64 exec, exec, s[2:3]
	s_add_i32 s27, s27, -1
	s_cmp_eq_u32 s27, s6
	s_cselect_b64 s[0:1], -1, 0
	s_and_b64 s[2:3], vcc, s[0:1]
	s_mov_b64 s[0:1], 0
	s_mov_b64 s[10:11], 0
                                        ; implicit-def: $vgpr4_vgpr5
	s_and_saveexec_b64 s[8:9], s[2:3]
	s_xor_b64 s[2:3], exec, s[8:9]
; %bb.94:
	v_add_co_u32_e32 v4, vcc, v2, v15
	s_mov_b64 s[10:11], exec
	v_mov_b32_e32 v11, 0
	v_addc_co_u32_e32 v5, vcc, 0, v3, vcc
; %bb.95:
	s_or_b64 exec, exec, s[2:3]
	s_and_b64 vcc, exec, s[0:1]
	s_cbranch_vccnz .LBB1932_97
	s_branch .LBB1932_146
.LBB1932_96:
	s_mov_b64 s[10:11], 0
                                        ; implicit-def: $vgpr4_vgpr5
                                        ; implicit-def: $vgpr10
	s_cbranch_execz .LBB1932_146
.LBB1932_97:
	s_mov_b32 s27, 0
	v_mbcnt_hi_u32_b32 v5, -1, v1
	s_lshl_b64 s[0:1], s[26:27], 1
	v_and_b32_e32 v1, 63, v5
	s_add_u32 s0, s16, s0
	v_lshlrev_b32_e32 v1, 1, v1
	v_add_co_u32_e32 v1, vcc, s0, v1
	s_load_dword s7, s[4:5], 0x58
	s_load_dword s0, s[4:5], 0x64
	v_and_b32_e32 v10, 0x3ff, v0
	s_addc_u32 s1, s17, s1
	v_and_b32_e32 v3, 0x3c0, v10
	v_mul_u32_u24_e32 v3, 12, v3
	v_mov_b32_e32 v4, s1
	v_addc_co_u32_e32 v4, vcc, 0, v4, vcc
	v_lshlrev_b32_e32 v3, 1, v3
	s_add_u32 s1, s4, 0x58
	v_add_co_u32_e32 v12, vcc, v1, v3
	s_addc_u32 s2, s5, 0
	s_waitcnt lgkmcnt(0)
	s_lshr_b32 s3, s0, 16
	v_addc_co_u32_e32 v13, vcc, 0, v4, vcc
	s_cmp_lt_u32 s6, s7
	global_load_ushort v1, v[12:13], off
	s_cselect_b32 s0, 12, 18
	s_add_u32 s0, s1, s0
	v_mov_b32_e32 v2, 0
	s_addc_u32 s1, s2, 0
	global_load_ushort v3, v2, s[0:1]
	v_mul_u32_u24_e32 v6, 5, v10
	v_lshlrev_b32_e32 v6, 2, v6
	ds_write2_b32 v6, v2, v2 offset0:16 offset1:17
	ds_write2_b32 v6, v2, v2 offset0:18 offset1:19
	ds_write_b32 v6, v2 offset:80
	global_load_ushort v9, v[12:13], off offset:128
	global_load_ushort v14, v[12:13], off offset:256
	;; [unrolled: 1-line block ×11, first 2 shown]
	v_bfe_u32 v4, v0, 10, 10
	v_bfe_u32 v0, v0, 20, 10
	v_mad_u32_u24 v0, v0, s3, v4
	s_lshl_b32 s0, -1, s21
	s_not_b32 s21, s0
	s_waitcnt lgkmcnt(0)
	s_barrier
	s_waitcnt lgkmcnt(0)
	; wave barrier
	s_waitcnt vmcnt(12)
	v_xor_b32_e32 v4, -1, v1
	v_lshrrev_b32_sdwa v1, s20, v4 dst_sel:DWORD dst_unused:UNUSED_PAD src0_sel:DWORD src1_sel:WORD_0
	v_and_b32_e32 v8, s21, v1
	v_and_b32_e32 v7, 1, v8
	s_waitcnt vmcnt(11)
	v_mad_u64_u32 v[0:1], s[0:1], v0, v3, v[10:11]
	v_lshrrev_b32_e32 v17, 6, v0
	v_add_co_u32_e32 v0, vcc, -1, v7
	v_lshlrev_b32_e32 v3, 30, v8
	v_addc_co_u32_e64 v11, s[0:1], 0, -1, vcc
	v_mul_u32_u24_e32 v1, 17, v8
	v_cmp_ne_u32_e32 vcc, 0, v7
	v_cmp_gt_i64_e64 s[0:1], 0, v[2:3]
	v_not_b32_e32 v12, v3
	v_lshlrev_b32_e32 v3, 29, v8
	v_add_lshl_u32 v7, v17, v1, 2
	v_xor_b32_e32 v1, vcc_hi, v11
	v_xor_b32_e32 v0, vcc_lo, v0
	v_ashrrev_i32_e32 v11, 31, v12
	v_cmp_gt_i64_e32 vcc, 0, v[2:3]
	v_not_b32_e32 v12, v3
	v_lshlrev_b32_e32 v3, 28, v8
	v_and_b32_e32 v1, exec_hi, v1
	v_and_b32_e32 v0, exec_lo, v0
	v_xor_b32_e32 v13, s1, v11
	v_xor_b32_e32 v11, s0, v11
	v_ashrrev_i32_e32 v12, 31, v12
	v_cmp_gt_i64_e64 s[0:1], 0, v[2:3]
	v_not_b32_e32 v3, v3
	v_and_b32_e32 v1, v1, v13
	v_and_b32_e32 v0, v0, v11
	v_xor_b32_e32 v11, vcc_hi, v12
	v_xor_b32_e32 v12, vcc_lo, v12
	v_ashrrev_i32_e32 v3, 31, v3
	v_and_b32_e32 v1, v1, v11
	v_and_b32_e32 v0, v0, v12
	v_xor_b32_e32 v11, s1, v3
	v_xor_b32_e32 v3, s0, v3
	v_and_b32_e32 v0, v0, v3
	v_lshlrev_b32_e32 v3, 27, v8
	v_cmp_gt_i64_e32 vcc, 0, v[2:3]
	v_not_b32_e32 v3, v3
	v_ashrrev_i32_e32 v3, 31, v3
	v_and_b32_e32 v1, v1, v11
	v_xor_b32_e32 v11, vcc_hi, v3
	v_xor_b32_e32 v3, vcc_lo, v3
	v_and_b32_e32 v0, v0, v3
	v_lshlrev_b32_e32 v3, 26, v8
	v_cmp_gt_i64_e32 vcc, 0, v[2:3]
	v_not_b32_e32 v3, v3
	v_ashrrev_i32_e32 v3, 31, v3
	v_and_b32_e32 v1, v1, v11
	v_xor_b32_e32 v11, vcc_hi, v3
	v_xor_b32_e32 v3, vcc_lo, v3
	;; [unrolled: 8-line block ×3, first 2 shown]
	v_and_b32_e32 v0, v0, v3
	v_lshlrev_b32_e32 v3, 24, v8
	v_cmp_gt_i64_e32 vcc, 0, v[2:3]
	v_not_b32_e32 v3, v3
	v_ashrrev_i32_e32 v3, 31, v3
	v_xor_b32_e32 v8, vcc_hi, v3
	v_xor_b32_e32 v3, vcc_lo, v3
	v_and_b32_e32 v1, v1, v11
	v_and_b32_e32 v0, v0, v3
	;; [unrolled: 1-line block ×3, first 2 shown]
	v_mbcnt_lo_u32_b32 v3, v0, 0
	v_mbcnt_hi_u32_b32 v8, v1, v3
	v_cmp_eq_u32_e32 vcc, 0, v8
	v_cmp_ne_u64_e64 s[0:1], 0, v[0:1]
	s_and_b64 s[2:3], s[0:1], vcc
	s_and_saveexec_b64 s[0:1], s[2:3]
	s_cbranch_execz .LBB1932_99
; %bb.98:
	v_bcnt_u32_b32 v0, v0, 0
	v_bcnt_u32_b32 v0, v1, v0
	ds_write_b32 v7, v0 offset:64
.LBB1932_99:
	s_or_b64 exec, exec, s[0:1]
	s_waitcnt vmcnt(10)
	v_xor_b32_e32 v9, -1, v9
	v_lshrrev_b32_sdwa v0, s20, v9 dst_sel:DWORD dst_unused:UNUSED_PAD src0_sel:DWORD src1_sel:WORD_0
	v_and_b32_e32 v0, s21, v0
	v_mul_u32_u24_e32 v1, 17, v0
	v_add_lshl_u32 v12, v17, v1, 2
	v_and_b32_e32 v1, 1, v0
	v_add_co_u32_e32 v3, vcc, -1, v1
	v_addc_co_u32_e64 v13, s[0:1], 0, -1, vcc
	v_cmp_ne_u32_e32 vcc, 0, v1
	v_xor_b32_e32 v3, vcc_lo, v3
	v_xor_b32_e32 v1, vcc_hi, v13
	v_and_b32_e32 v13, exec_lo, v3
	v_lshlrev_b32_e32 v3, 30, v0
	v_cmp_gt_i64_e32 vcc, 0, v[2:3]
	v_not_b32_e32 v3, v3
	v_ashrrev_i32_e32 v3, 31, v3
	v_xor_b32_e32 v15, vcc_hi, v3
	v_xor_b32_e32 v3, vcc_lo, v3
	v_and_b32_e32 v13, v13, v3
	v_lshlrev_b32_e32 v3, 29, v0
	v_cmp_gt_i64_e32 vcc, 0, v[2:3]
	v_not_b32_e32 v3, v3
	v_and_b32_e32 v1, exec_hi, v1
	v_ashrrev_i32_e32 v3, 31, v3
	v_and_b32_e32 v1, v1, v15
	v_xor_b32_e32 v15, vcc_hi, v3
	v_xor_b32_e32 v3, vcc_lo, v3
	v_and_b32_e32 v13, v13, v3
	v_lshlrev_b32_e32 v3, 28, v0
	v_cmp_gt_i64_e32 vcc, 0, v[2:3]
	v_not_b32_e32 v3, v3
	v_ashrrev_i32_e32 v3, 31, v3
	v_and_b32_e32 v1, v1, v15
	v_xor_b32_e32 v15, vcc_hi, v3
	v_xor_b32_e32 v3, vcc_lo, v3
	v_and_b32_e32 v13, v13, v3
	v_lshlrev_b32_e32 v3, 27, v0
	v_cmp_gt_i64_e32 vcc, 0, v[2:3]
	v_not_b32_e32 v3, v3
	;; [unrolled: 8-line block ×4, first 2 shown]
	v_ashrrev_i32_e32 v3, 31, v3
	v_and_b32_e32 v1, v1, v15
	v_xor_b32_e32 v15, vcc_hi, v3
	v_xor_b32_e32 v3, vcc_lo, v3
	v_and_b32_e32 v13, v13, v3
	v_lshlrev_b32_e32 v3, 24, v0
	v_not_b32_e32 v0, v3
	v_cmp_gt_i64_e32 vcc, 0, v[2:3]
	v_ashrrev_i32_e32 v0, 31, v0
	v_xor_b32_e32 v2, vcc_hi, v0
	v_xor_b32_e32 v0, vcc_lo, v0
	; wave barrier
	ds_read_b32 v11, v12 offset:64
	v_and_b32_e32 v1, v1, v15
	v_and_b32_e32 v0, v13, v0
	;; [unrolled: 1-line block ×3, first 2 shown]
	v_mbcnt_lo_u32_b32 v2, v0, 0
	v_mbcnt_hi_u32_b32 v13, v1, v2
	v_cmp_eq_u32_e32 vcc, 0, v13
	v_cmp_ne_u64_e64 s[0:1], 0, v[0:1]
	s_and_b64 s[2:3], s[0:1], vcc
	; wave barrier
	s_and_saveexec_b64 s[0:1], s[2:3]
	s_cbranch_execz .LBB1932_101
; %bb.100:
	v_bcnt_u32_b32 v0, v0, 0
	v_bcnt_u32_b32 v0, v1, v0
	s_waitcnt lgkmcnt(0)
	v_add_u32_e32 v0, v11, v0
	ds_write_b32 v12, v0 offset:64
.LBB1932_101:
	s_or_b64 exec, exec, s[0:1]
	s_waitcnt vmcnt(9)
	v_xor_b32_e32 v14, -1, v14
	v_lshrrev_b32_sdwa v0, s20, v14 dst_sel:DWORD dst_unused:UNUSED_PAD src0_sel:DWORD src1_sel:WORD_0
	v_and_b32_e32 v2, s21, v0
	v_and_b32_e32 v1, 1, v2
	v_add_co_u32_e32 v3, vcc, -1, v1
	v_addc_co_u32_e64 v19, s[0:1], 0, -1, vcc
	v_cmp_ne_u32_e32 vcc, 0, v1
	v_mul_u32_u24_e32 v0, 17, v2
	v_xor_b32_e32 v1, vcc_hi, v19
	v_add_lshl_u32 v18, v17, v0, 2
	v_mov_b32_e32 v0, 0
	v_and_b32_e32 v19, exec_hi, v1
	v_lshlrev_b32_e32 v1, 30, v2
	v_xor_b32_e32 v3, vcc_lo, v3
	v_cmp_gt_i64_e32 vcc, 0, v[0:1]
	v_not_b32_e32 v1, v1
	v_ashrrev_i32_e32 v1, 31, v1
	v_and_b32_e32 v3, exec_lo, v3
	v_xor_b32_e32 v21, vcc_hi, v1
	v_xor_b32_e32 v1, vcc_lo, v1
	v_and_b32_e32 v3, v3, v1
	v_lshlrev_b32_e32 v1, 29, v2
	v_cmp_gt_i64_e32 vcc, 0, v[0:1]
	v_not_b32_e32 v1, v1
	v_ashrrev_i32_e32 v1, 31, v1
	v_and_b32_e32 v19, v19, v21
	v_xor_b32_e32 v21, vcc_hi, v1
	v_xor_b32_e32 v1, vcc_lo, v1
	v_and_b32_e32 v3, v3, v1
	v_lshlrev_b32_e32 v1, 28, v2
	v_cmp_gt_i64_e32 vcc, 0, v[0:1]
	v_not_b32_e32 v1, v1
	v_ashrrev_i32_e32 v1, 31, v1
	v_and_b32_e32 v19, v19, v21
	;; [unrolled: 8-line block ×5, first 2 shown]
	v_xor_b32_e32 v21, vcc_hi, v1
	v_xor_b32_e32 v1, vcc_lo, v1
	v_and_b32_e32 v19, v19, v21
	v_and_b32_e32 v21, v3, v1
	v_lshlrev_b32_e32 v1, 24, v2
	v_cmp_gt_i64_e32 vcc, 0, v[0:1]
	v_not_b32_e32 v1, v1
	v_ashrrev_i32_e32 v1, 31, v1
	v_xor_b32_e32 v2, vcc_hi, v1
	v_xor_b32_e32 v1, vcc_lo, v1
	; wave barrier
	ds_read_b32 v15, v18 offset:64
	v_and_b32_e32 v3, v19, v2
	v_and_b32_e32 v2, v21, v1
	v_mbcnt_lo_u32_b32 v1, v2, 0
	v_mbcnt_hi_u32_b32 v19, v3, v1
	v_cmp_eq_u32_e32 vcc, 0, v19
	v_cmp_ne_u64_e64 s[0:1], 0, v[2:3]
	s_and_b64 s[2:3], s[0:1], vcc
	; wave barrier
	s_and_saveexec_b64 s[0:1], s[2:3]
	s_cbranch_execz .LBB1932_103
; %bb.102:
	v_bcnt_u32_b32 v1, v2, 0
	v_bcnt_u32_b32 v1, v3, v1
	s_waitcnt lgkmcnt(0)
	v_add_u32_e32 v1, v15, v1
	ds_write_b32 v18, v1 offset:64
.LBB1932_103:
	s_or_b64 exec, exec, s[0:1]
	s_waitcnt vmcnt(8)
	v_xor_b32_e32 v20, -1, v20
	v_lshrrev_b32_sdwa v1, s20, v20 dst_sel:DWORD dst_unused:UNUSED_PAD src0_sel:DWORD src1_sel:WORD_0
	v_and_b32_e32 v2, s21, v1
	v_mul_u32_u24_e32 v1, 17, v2
	v_add_lshl_u32 v23, v17, v1, 2
	v_and_b32_e32 v1, 1, v2
	v_add_co_u32_e32 v3, vcc, -1, v1
	v_addc_co_u32_e64 v24, s[0:1], 0, -1, vcc
	v_cmp_ne_u32_e32 vcc, 0, v1
	v_xor_b32_e32 v1, vcc_hi, v24
	v_and_b32_e32 v24, exec_hi, v1
	v_lshlrev_b32_e32 v1, 30, v2
	v_xor_b32_e32 v3, vcc_lo, v3
	v_cmp_gt_i64_e32 vcc, 0, v[0:1]
	v_not_b32_e32 v1, v1
	v_ashrrev_i32_e32 v1, 31, v1
	v_and_b32_e32 v3, exec_lo, v3
	v_xor_b32_e32 v26, vcc_hi, v1
	v_xor_b32_e32 v1, vcc_lo, v1
	v_and_b32_e32 v3, v3, v1
	v_lshlrev_b32_e32 v1, 29, v2
	v_cmp_gt_i64_e32 vcc, 0, v[0:1]
	v_not_b32_e32 v1, v1
	v_ashrrev_i32_e32 v1, 31, v1
	v_and_b32_e32 v24, v24, v26
	v_xor_b32_e32 v26, vcc_hi, v1
	v_xor_b32_e32 v1, vcc_lo, v1
	v_and_b32_e32 v3, v3, v1
	v_lshlrev_b32_e32 v1, 28, v2
	v_cmp_gt_i64_e32 vcc, 0, v[0:1]
	v_not_b32_e32 v1, v1
	v_ashrrev_i32_e32 v1, 31, v1
	v_and_b32_e32 v24, v24, v26
	;; [unrolled: 8-line block ×5, first 2 shown]
	v_xor_b32_e32 v26, vcc_hi, v1
	v_xor_b32_e32 v1, vcc_lo, v1
	v_and_b32_e32 v3, v3, v1
	v_lshlrev_b32_e32 v1, 24, v2
	v_cmp_gt_i64_e32 vcc, 0, v[0:1]
	v_not_b32_e32 v0, v1
	v_ashrrev_i32_e32 v0, 31, v0
	v_xor_b32_e32 v1, vcc_hi, v0
	v_xor_b32_e32 v0, vcc_lo, v0
	; wave barrier
	ds_read_b32 v21, v23 offset:64
	v_and_b32_e32 v24, v24, v26
	v_and_b32_e32 v0, v3, v0
	v_and_b32_e32 v1, v24, v1
	v_mbcnt_lo_u32_b32 v2, v0, 0
	v_mbcnt_hi_u32_b32 v24, v1, v2
	v_cmp_eq_u32_e32 vcc, 0, v24
	v_cmp_ne_u64_e64 s[0:1], 0, v[0:1]
	s_and_b64 s[2:3], s[0:1], vcc
	; wave barrier
	s_and_saveexec_b64 s[0:1], s[2:3]
	s_cbranch_execz .LBB1932_105
; %bb.104:
	v_bcnt_u32_b32 v0, v0, 0
	v_bcnt_u32_b32 v0, v1, v0
	s_waitcnt lgkmcnt(0)
	v_add_u32_e32 v0, v21, v0
	ds_write_b32 v23, v0 offset:64
.LBB1932_105:
	s_or_b64 exec, exec, s[0:1]
	s_waitcnt vmcnt(7)
	v_xor_b32_e32 v25, -1, v25
	v_lshrrev_b32_sdwa v0, s20, v25 dst_sel:DWORD dst_unused:UNUSED_PAD src0_sel:DWORD src1_sel:WORD_0
	v_and_b32_e32 v2, s21, v0
	v_and_b32_e32 v1, 1, v2
	v_add_co_u32_e32 v3, vcc, -1, v1
	v_addc_co_u32_e64 v30, s[0:1], 0, -1, vcc
	v_cmp_ne_u32_e32 vcc, 0, v1
	v_mul_u32_u24_e32 v0, 17, v2
	v_xor_b32_e32 v1, vcc_hi, v30
	v_add_lshl_u32 v28, v17, v0, 2
	v_mov_b32_e32 v0, 0
	v_and_b32_e32 v30, exec_hi, v1
	v_lshlrev_b32_e32 v1, 30, v2
	v_xor_b32_e32 v3, vcc_lo, v3
	v_cmp_gt_i64_e32 vcc, 0, v[0:1]
	v_not_b32_e32 v1, v1
	v_ashrrev_i32_e32 v1, 31, v1
	v_and_b32_e32 v3, exec_lo, v3
	v_xor_b32_e32 v31, vcc_hi, v1
	v_xor_b32_e32 v1, vcc_lo, v1
	v_and_b32_e32 v3, v3, v1
	v_lshlrev_b32_e32 v1, 29, v2
	v_cmp_gt_i64_e32 vcc, 0, v[0:1]
	v_not_b32_e32 v1, v1
	v_ashrrev_i32_e32 v1, 31, v1
	v_and_b32_e32 v30, v30, v31
	v_xor_b32_e32 v31, vcc_hi, v1
	v_xor_b32_e32 v1, vcc_lo, v1
	v_and_b32_e32 v3, v3, v1
	v_lshlrev_b32_e32 v1, 28, v2
	v_cmp_gt_i64_e32 vcc, 0, v[0:1]
	v_not_b32_e32 v1, v1
	v_ashrrev_i32_e32 v1, 31, v1
	v_and_b32_e32 v30, v30, v31
	;; [unrolled: 8-line block ×5, first 2 shown]
	v_xor_b32_e32 v31, vcc_hi, v1
	v_xor_b32_e32 v1, vcc_lo, v1
	v_and_b32_e32 v30, v30, v31
	v_and_b32_e32 v31, v3, v1
	v_lshlrev_b32_e32 v1, 24, v2
	v_cmp_gt_i64_e32 vcc, 0, v[0:1]
	v_not_b32_e32 v1, v1
	v_ashrrev_i32_e32 v1, 31, v1
	v_xor_b32_e32 v2, vcc_hi, v1
	v_xor_b32_e32 v1, vcc_lo, v1
	; wave barrier
	ds_read_b32 v26, v28 offset:64
	v_and_b32_e32 v3, v30, v2
	v_and_b32_e32 v2, v31, v1
	v_mbcnt_lo_u32_b32 v1, v2, 0
	v_mbcnt_hi_u32_b32 v30, v3, v1
	v_cmp_eq_u32_e32 vcc, 0, v30
	v_cmp_ne_u64_e64 s[0:1], 0, v[2:3]
	s_and_b64 s[2:3], s[0:1], vcc
	; wave barrier
	s_and_saveexec_b64 s[0:1], s[2:3]
	s_cbranch_execz .LBB1932_107
; %bb.106:
	v_bcnt_u32_b32 v1, v2, 0
	v_bcnt_u32_b32 v1, v3, v1
	s_waitcnt lgkmcnt(0)
	v_add_u32_e32 v1, v26, v1
	ds_write_b32 v28, v1 offset:64
.LBB1932_107:
	s_or_b64 exec, exec, s[0:1]
	s_waitcnt vmcnt(6)
	v_xor_b32_e32 v29, -1, v29
	v_lshrrev_b32_sdwa v1, s20, v29 dst_sel:DWORD dst_unused:UNUSED_PAD src0_sel:DWORD src1_sel:WORD_0
	v_and_b32_e32 v2, s21, v1
	v_mul_u32_u24_e32 v1, 17, v2
	v_add_lshl_u32 v33, v17, v1, 2
	v_and_b32_e32 v1, 1, v2
	v_add_co_u32_e32 v3, vcc, -1, v1
	v_addc_co_u32_e64 v35, s[0:1], 0, -1, vcc
	v_cmp_ne_u32_e32 vcc, 0, v1
	v_xor_b32_e32 v1, vcc_hi, v35
	v_and_b32_e32 v35, exec_hi, v1
	v_lshlrev_b32_e32 v1, 30, v2
	v_xor_b32_e32 v3, vcc_lo, v3
	v_cmp_gt_i64_e32 vcc, 0, v[0:1]
	v_not_b32_e32 v1, v1
	v_ashrrev_i32_e32 v1, 31, v1
	v_and_b32_e32 v3, exec_lo, v3
	v_xor_b32_e32 v36, vcc_hi, v1
	v_xor_b32_e32 v1, vcc_lo, v1
	v_and_b32_e32 v3, v3, v1
	v_lshlrev_b32_e32 v1, 29, v2
	v_cmp_gt_i64_e32 vcc, 0, v[0:1]
	v_not_b32_e32 v1, v1
	v_ashrrev_i32_e32 v1, 31, v1
	v_and_b32_e32 v35, v35, v36
	v_xor_b32_e32 v36, vcc_hi, v1
	v_xor_b32_e32 v1, vcc_lo, v1
	v_and_b32_e32 v3, v3, v1
	v_lshlrev_b32_e32 v1, 28, v2
	v_cmp_gt_i64_e32 vcc, 0, v[0:1]
	v_not_b32_e32 v1, v1
	v_ashrrev_i32_e32 v1, 31, v1
	v_and_b32_e32 v35, v35, v36
	;; [unrolled: 8-line block ×5, first 2 shown]
	v_xor_b32_e32 v36, vcc_hi, v1
	v_xor_b32_e32 v1, vcc_lo, v1
	v_and_b32_e32 v3, v3, v1
	v_lshlrev_b32_e32 v1, 24, v2
	v_cmp_gt_i64_e32 vcc, 0, v[0:1]
	v_not_b32_e32 v0, v1
	v_ashrrev_i32_e32 v0, 31, v0
	v_xor_b32_e32 v1, vcc_hi, v0
	v_xor_b32_e32 v0, vcc_lo, v0
	; wave barrier
	ds_read_b32 v31, v33 offset:64
	v_and_b32_e32 v35, v35, v36
	v_and_b32_e32 v0, v3, v0
	;; [unrolled: 1-line block ×3, first 2 shown]
	v_mbcnt_lo_u32_b32 v2, v0, 0
	v_mbcnt_hi_u32_b32 v35, v1, v2
	v_cmp_eq_u32_e32 vcc, 0, v35
	v_cmp_ne_u64_e64 s[0:1], 0, v[0:1]
	s_and_b64 s[2:3], s[0:1], vcc
	; wave barrier
	s_and_saveexec_b64 s[0:1], s[2:3]
	s_cbranch_execz .LBB1932_109
; %bb.108:
	v_bcnt_u32_b32 v0, v0, 0
	v_bcnt_u32_b32 v0, v1, v0
	s_waitcnt lgkmcnt(0)
	v_add_u32_e32 v0, v31, v0
	ds_write_b32 v33, v0 offset:64
.LBB1932_109:
	s_or_b64 exec, exec, s[0:1]
	s_waitcnt vmcnt(5)
	v_xor_b32_e32 v34, -1, v34
	v_lshrrev_b32_sdwa v0, s20, v34 dst_sel:DWORD dst_unused:UNUSED_PAD src0_sel:DWORD src1_sel:WORD_0
	v_and_b32_e32 v2, s21, v0
	v_and_b32_e32 v1, 1, v2
	v_add_co_u32_e32 v3, vcc, -1, v1
	v_addc_co_u32_e64 v39, s[0:1], 0, -1, vcc
	v_cmp_ne_u32_e32 vcc, 0, v1
	v_mul_u32_u24_e32 v0, 17, v2
	v_xor_b32_e32 v1, vcc_hi, v39
	v_add_lshl_u32 v38, v17, v0, 2
	v_mov_b32_e32 v0, 0
	v_and_b32_e32 v39, exec_hi, v1
	v_lshlrev_b32_e32 v1, 30, v2
	v_xor_b32_e32 v3, vcc_lo, v3
	v_cmp_gt_i64_e32 vcc, 0, v[0:1]
	v_not_b32_e32 v1, v1
	v_ashrrev_i32_e32 v1, 31, v1
	v_and_b32_e32 v3, exec_lo, v3
	v_xor_b32_e32 v40, vcc_hi, v1
	v_xor_b32_e32 v1, vcc_lo, v1
	v_and_b32_e32 v3, v3, v1
	v_lshlrev_b32_e32 v1, 29, v2
	v_cmp_gt_i64_e32 vcc, 0, v[0:1]
	v_not_b32_e32 v1, v1
	v_ashrrev_i32_e32 v1, 31, v1
	v_and_b32_e32 v39, v39, v40
	v_xor_b32_e32 v40, vcc_hi, v1
	v_xor_b32_e32 v1, vcc_lo, v1
	v_and_b32_e32 v3, v3, v1
	v_lshlrev_b32_e32 v1, 28, v2
	v_cmp_gt_i64_e32 vcc, 0, v[0:1]
	v_not_b32_e32 v1, v1
	v_ashrrev_i32_e32 v1, 31, v1
	v_and_b32_e32 v39, v39, v40
	;; [unrolled: 8-line block ×5, first 2 shown]
	v_xor_b32_e32 v40, vcc_hi, v1
	v_xor_b32_e32 v1, vcc_lo, v1
	v_and_b32_e32 v39, v39, v40
	v_and_b32_e32 v40, v3, v1
	v_lshlrev_b32_e32 v1, 24, v2
	v_cmp_gt_i64_e32 vcc, 0, v[0:1]
	v_not_b32_e32 v1, v1
	v_ashrrev_i32_e32 v1, 31, v1
	v_xor_b32_e32 v2, vcc_hi, v1
	v_xor_b32_e32 v1, vcc_lo, v1
	; wave barrier
	ds_read_b32 v36, v38 offset:64
	v_and_b32_e32 v3, v39, v2
	v_and_b32_e32 v2, v40, v1
	v_mbcnt_lo_u32_b32 v1, v2, 0
	v_mbcnt_hi_u32_b32 v39, v3, v1
	v_cmp_eq_u32_e32 vcc, 0, v39
	v_cmp_ne_u64_e64 s[0:1], 0, v[2:3]
	s_and_b64 s[2:3], s[0:1], vcc
	; wave barrier
	s_and_saveexec_b64 s[0:1], s[2:3]
	s_cbranch_execz .LBB1932_111
; %bb.110:
	v_bcnt_u32_b32 v1, v2, 0
	v_bcnt_u32_b32 v1, v3, v1
	s_waitcnt lgkmcnt(0)
	v_add_u32_e32 v1, v36, v1
	ds_write_b32 v38, v1 offset:64
.LBB1932_111:
	s_or_b64 exec, exec, s[0:1]
	s_waitcnt vmcnt(4)
	v_xor_b32_e32 v37, -1, v37
	v_lshrrev_b32_sdwa v1, s20, v37 dst_sel:DWORD dst_unused:UNUSED_PAD src0_sel:DWORD src1_sel:WORD_0
	v_and_b32_e32 v2, s21, v1
	v_mul_u32_u24_e32 v1, 17, v2
	v_add_lshl_u32 v41, v17, v1, 2
	v_and_b32_e32 v1, 1, v2
	v_add_co_u32_e32 v3, vcc, -1, v1
	v_addc_co_u32_e64 v42, s[0:1], 0, -1, vcc
	v_cmp_ne_u32_e32 vcc, 0, v1
	v_xor_b32_e32 v1, vcc_hi, v42
	v_and_b32_e32 v42, exec_hi, v1
	v_lshlrev_b32_e32 v1, 30, v2
	v_xor_b32_e32 v3, vcc_lo, v3
	v_cmp_gt_i64_e32 vcc, 0, v[0:1]
	v_not_b32_e32 v1, v1
	v_ashrrev_i32_e32 v1, 31, v1
	v_and_b32_e32 v3, exec_lo, v3
	v_xor_b32_e32 v43, vcc_hi, v1
	v_xor_b32_e32 v1, vcc_lo, v1
	v_and_b32_e32 v3, v3, v1
	v_lshlrev_b32_e32 v1, 29, v2
	v_cmp_gt_i64_e32 vcc, 0, v[0:1]
	v_not_b32_e32 v1, v1
	v_ashrrev_i32_e32 v1, 31, v1
	v_and_b32_e32 v42, v42, v43
	v_xor_b32_e32 v43, vcc_hi, v1
	v_xor_b32_e32 v1, vcc_lo, v1
	v_and_b32_e32 v3, v3, v1
	v_lshlrev_b32_e32 v1, 28, v2
	v_cmp_gt_i64_e32 vcc, 0, v[0:1]
	v_not_b32_e32 v1, v1
	v_ashrrev_i32_e32 v1, 31, v1
	v_and_b32_e32 v42, v42, v43
	;; [unrolled: 8-line block ×5, first 2 shown]
	v_xor_b32_e32 v43, vcc_hi, v1
	v_xor_b32_e32 v1, vcc_lo, v1
	v_and_b32_e32 v3, v3, v1
	v_lshlrev_b32_e32 v1, 24, v2
	v_cmp_gt_i64_e32 vcc, 0, v[0:1]
	v_not_b32_e32 v0, v1
	v_ashrrev_i32_e32 v0, 31, v0
	v_xor_b32_e32 v1, vcc_hi, v0
	v_xor_b32_e32 v0, vcc_lo, v0
	; wave barrier
	ds_read_b32 v40, v41 offset:64
	v_and_b32_e32 v42, v42, v43
	v_and_b32_e32 v0, v3, v0
	;; [unrolled: 1-line block ×3, first 2 shown]
	v_mbcnt_lo_u32_b32 v2, v0, 0
	v_mbcnt_hi_u32_b32 v42, v1, v2
	v_cmp_eq_u32_e32 vcc, 0, v42
	v_cmp_ne_u64_e64 s[0:1], 0, v[0:1]
	s_and_b64 s[2:3], s[0:1], vcc
	; wave barrier
	s_and_saveexec_b64 s[0:1], s[2:3]
	s_cbranch_execz .LBB1932_113
; %bb.112:
	v_bcnt_u32_b32 v0, v0, 0
	v_bcnt_u32_b32 v0, v1, v0
	s_waitcnt lgkmcnt(0)
	v_add_u32_e32 v0, v40, v0
	ds_write_b32 v41, v0 offset:64
.LBB1932_113:
	s_or_b64 exec, exec, s[0:1]
	s_waitcnt vmcnt(3)
	v_xor_b32_e32 v32, -1, v32
	v_lshrrev_b32_sdwa v0, s20, v32 dst_sel:DWORD dst_unused:UNUSED_PAD src0_sel:DWORD src1_sel:WORD_0
	v_and_b32_e32 v2, s21, v0
	v_and_b32_e32 v1, 1, v2
	v_add_co_u32_e32 v3, vcc, -1, v1
	v_addc_co_u32_e64 v45, s[0:1], 0, -1, vcc
	v_cmp_ne_u32_e32 vcc, 0, v1
	v_mul_u32_u24_e32 v0, 17, v2
	v_xor_b32_e32 v1, vcc_hi, v45
	v_add_lshl_u32 v44, v17, v0, 2
	v_mov_b32_e32 v0, 0
	v_and_b32_e32 v45, exec_hi, v1
	v_lshlrev_b32_e32 v1, 30, v2
	v_xor_b32_e32 v3, vcc_lo, v3
	v_cmp_gt_i64_e32 vcc, 0, v[0:1]
	v_not_b32_e32 v1, v1
	v_ashrrev_i32_e32 v1, 31, v1
	v_and_b32_e32 v3, exec_lo, v3
	v_xor_b32_e32 v46, vcc_hi, v1
	v_xor_b32_e32 v1, vcc_lo, v1
	v_and_b32_e32 v3, v3, v1
	v_lshlrev_b32_e32 v1, 29, v2
	v_cmp_gt_i64_e32 vcc, 0, v[0:1]
	v_not_b32_e32 v1, v1
	v_ashrrev_i32_e32 v1, 31, v1
	v_and_b32_e32 v45, v45, v46
	v_xor_b32_e32 v46, vcc_hi, v1
	v_xor_b32_e32 v1, vcc_lo, v1
	v_and_b32_e32 v3, v3, v1
	v_lshlrev_b32_e32 v1, 28, v2
	v_cmp_gt_i64_e32 vcc, 0, v[0:1]
	v_not_b32_e32 v1, v1
	v_ashrrev_i32_e32 v1, 31, v1
	v_and_b32_e32 v45, v45, v46
	;; [unrolled: 8-line block ×5, first 2 shown]
	v_xor_b32_e32 v46, vcc_hi, v1
	v_xor_b32_e32 v1, vcc_lo, v1
	v_and_b32_e32 v45, v45, v46
	v_and_b32_e32 v46, v3, v1
	v_lshlrev_b32_e32 v1, 24, v2
	v_cmp_gt_i64_e32 vcc, 0, v[0:1]
	v_not_b32_e32 v1, v1
	v_ashrrev_i32_e32 v1, 31, v1
	v_xor_b32_e32 v2, vcc_hi, v1
	v_xor_b32_e32 v1, vcc_lo, v1
	; wave barrier
	ds_read_b32 v43, v44 offset:64
	v_and_b32_e32 v3, v45, v2
	v_and_b32_e32 v2, v46, v1
	v_mbcnt_lo_u32_b32 v1, v2, 0
	v_mbcnt_hi_u32_b32 v45, v3, v1
	v_cmp_eq_u32_e32 vcc, 0, v45
	v_cmp_ne_u64_e64 s[0:1], 0, v[2:3]
	s_and_b64 s[2:3], s[0:1], vcc
	; wave barrier
	s_and_saveexec_b64 s[0:1], s[2:3]
	s_cbranch_execz .LBB1932_115
; %bb.114:
	v_bcnt_u32_b32 v1, v2, 0
	v_bcnt_u32_b32 v1, v3, v1
	s_waitcnt lgkmcnt(0)
	v_add_u32_e32 v1, v43, v1
	ds_write_b32 v44, v1 offset:64
.LBB1932_115:
	s_or_b64 exec, exec, s[0:1]
	s_waitcnt vmcnt(2)
	v_xor_b32_e32 v27, -1, v27
	v_lshrrev_b32_sdwa v1, s20, v27 dst_sel:DWORD dst_unused:UNUSED_PAD src0_sel:DWORD src1_sel:WORD_0
	v_and_b32_e32 v2, s21, v1
	v_mul_u32_u24_e32 v1, 17, v2
	v_add_lshl_u32 v47, v17, v1, 2
	v_and_b32_e32 v1, 1, v2
	v_add_co_u32_e32 v3, vcc, -1, v1
	v_addc_co_u32_e64 v48, s[0:1], 0, -1, vcc
	v_cmp_ne_u32_e32 vcc, 0, v1
	v_xor_b32_e32 v1, vcc_hi, v48
	v_and_b32_e32 v48, exec_hi, v1
	v_lshlrev_b32_e32 v1, 30, v2
	v_xor_b32_e32 v3, vcc_lo, v3
	v_cmp_gt_i64_e32 vcc, 0, v[0:1]
	v_not_b32_e32 v1, v1
	v_ashrrev_i32_e32 v1, 31, v1
	v_and_b32_e32 v3, exec_lo, v3
	v_xor_b32_e32 v49, vcc_hi, v1
	v_xor_b32_e32 v1, vcc_lo, v1
	v_and_b32_e32 v3, v3, v1
	v_lshlrev_b32_e32 v1, 29, v2
	v_cmp_gt_i64_e32 vcc, 0, v[0:1]
	v_not_b32_e32 v1, v1
	v_ashrrev_i32_e32 v1, 31, v1
	v_and_b32_e32 v48, v48, v49
	v_xor_b32_e32 v49, vcc_hi, v1
	v_xor_b32_e32 v1, vcc_lo, v1
	v_and_b32_e32 v3, v3, v1
	v_lshlrev_b32_e32 v1, 28, v2
	v_cmp_gt_i64_e32 vcc, 0, v[0:1]
	v_not_b32_e32 v1, v1
	v_ashrrev_i32_e32 v1, 31, v1
	v_and_b32_e32 v48, v48, v49
	;; [unrolled: 8-line block ×5, first 2 shown]
	v_xor_b32_e32 v49, vcc_hi, v1
	v_xor_b32_e32 v1, vcc_lo, v1
	v_and_b32_e32 v3, v3, v1
	v_lshlrev_b32_e32 v1, 24, v2
	v_cmp_gt_i64_e32 vcc, 0, v[0:1]
	v_not_b32_e32 v0, v1
	v_ashrrev_i32_e32 v0, 31, v0
	v_xor_b32_e32 v1, vcc_hi, v0
	v_xor_b32_e32 v0, vcc_lo, v0
	; wave barrier
	ds_read_b32 v46, v47 offset:64
	v_and_b32_e32 v48, v48, v49
	v_and_b32_e32 v0, v3, v0
	v_and_b32_e32 v1, v48, v1
	v_mbcnt_lo_u32_b32 v2, v0, 0
	v_mbcnt_hi_u32_b32 v48, v1, v2
	v_cmp_eq_u32_e32 vcc, 0, v48
	v_cmp_ne_u64_e64 s[0:1], 0, v[0:1]
	s_and_b64 s[2:3], s[0:1], vcc
	; wave barrier
	s_and_saveexec_b64 s[0:1], s[2:3]
	s_cbranch_execz .LBB1932_117
; %bb.116:
	v_bcnt_u32_b32 v0, v0, 0
	v_bcnt_u32_b32 v0, v1, v0
	s_waitcnt lgkmcnt(0)
	v_add_u32_e32 v0, v46, v0
	ds_write_b32 v47, v0 offset:64
.LBB1932_117:
	s_or_b64 exec, exec, s[0:1]
	s_waitcnt vmcnt(1)
	v_xor_b32_e32 v22, -1, v22
	v_lshrrev_b32_sdwa v0, s20, v22 dst_sel:DWORD dst_unused:UNUSED_PAD src0_sel:DWORD src1_sel:WORD_0
	v_and_b32_e32 v2, s21, v0
	v_and_b32_e32 v1, 1, v2
	v_add_co_u32_e32 v3, vcc, -1, v1
	v_addc_co_u32_e64 v51, s[0:1], 0, -1, vcc
	v_cmp_ne_u32_e32 vcc, 0, v1
	v_mul_u32_u24_e32 v0, 17, v2
	v_xor_b32_e32 v1, vcc_hi, v51
	v_add_lshl_u32 v50, v17, v0, 2
	v_mov_b32_e32 v0, 0
	v_and_b32_e32 v51, exec_hi, v1
	v_lshlrev_b32_e32 v1, 30, v2
	v_xor_b32_e32 v3, vcc_lo, v3
	v_cmp_gt_i64_e32 vcc, 0, v[0:1]
	v_not_b32_e32 v1, v1
	v_ashrrev_i32_e32 v1, 31, v1
	v_and_b32_e32 v3, exec_lo, v3
	v_xor_b32_e32 v52, vcc_hi, v1
	v_xor_b32_e32 v1, vcc_lo, v1
	v_and_b32_e32 v3, v3, v1
	v_lshlrev_b32_e32 v1, 29, v2
	v_cmp_gt_i64_e32 vcc, 0, v[0:1]
	v_not_b32_e32 v1, v1
	v_ashrrev_i32_e32 v1, 31, v1
	v_and_b32_e32 v51, v51, v52
	v_xor_b32_e32 v52, vcc_hi, v1
	v_xor_b32_e32 v1, vcc_lo, v1
	v_and_b32_e32 v3, v3, v1
	v_lshlrev_b32_e32 v1, 28, v2
	v_cmp_gt_i64_e32 vcc, 0, v[0:1]
	v_not_b32_e32 v1, v1
	v_ashrrev_i32_e32 v1, 31, v1
	v_and_b32_e32 v51, v51, v52
	;; [unrolled: 8-line block ×5, first 2 shown]
	v_xor_b32_e32 v52, vcc_hi, v1
	v_xor_b32_e32 v1, vcc_lo, v1
	v_and_b32_e32 v51, v51, v52
	v_and_b32_e32 v52, v3, v1
	v_lshlrev_b32_e32 v1, 24, v2
	v_cmp_gt_i64_e32 vcc, 0, v[0:1]
	v_not_b32_e32 v1, v1
	v_ashrrev_i32_e32 v1, 31, v1
	v_xor_b32_e32 v2, vcc_hi, v1
	v_xor_b32_e32 v1, vcc_lo, v1
	; wave barrier
	ds_read_b32 v49, v50 offset:64
	v_and_b32_e32 v3, v51, v2
	v_and_b32_e32 v2, v52, v1
	v_mbcnt_lo_u32_b32 v1, v2, 0
	v_mbcnt_hi_u32_b32 v51, v3, v1
	v_cmp_eq_u32_e32 vcc, 0, v51
	v_cmp_ne_u64_e64 s[0:1], 0, v[2:3]
	s_and_b64 s[2:3], s[0:1], vcc
	; wave barrier
	s_and_saveexec_b64 s[0:1], s[2:3]
	s_cbranch_execz .LBB1932_119
; %bb.118:
	v_bcnt_u32_b32 v1, v2, 0
	v_bcnt_u32_b32 v1, v3, v1
	s_waitcnt lgkmcnt(0)
	v_add_u32_e32 v1, v49, v1
	ds_write_b32 v50, v1 offset:64
.LBB1932_119:
	s_or_b64 exec, exec, s[0:1]
	s_waitcnt vmcnt(0)
	v_xor_b32_e32 v16, -1, v16
	v_lshrrev_b32_sdwa v1, s20, v16 dst_sel:DWORD dst_unused:UNUSED_PAD src0_sel:DWORD src1_sel:WORD_0
	v_and_b32_e32 v2, s21, v1
	v_mul_u32_u24_e32 v1, 17, v2
	v_add_lshl_u32 v52, v17, v1, 2
	v_and_b32_e32 v1, 1, v2
	v_add_co_u32_e32 v3, vcc, -1, v1
	v_addc_co_u32_e64 v54, s[0:1], 0, -1, vcc
	v_cmp_ne_u32_e32 vcc, 0, v1
	v_xor_b32_e32 v1, vcc_hi, v54
	v_and_b32_e32 v54, exec_hi, v1
	v_lshlrev_b32_e32 v1, 30, v2
	v_xor_b32_e32 v3, vcc_lo, v3
	v_cmp_gt_i64_e32 vcc, 0, v[0:1]
	v_not_b32_e32 v1, v1
	v_ashrrev_i32_e32 v1, 31, v1
	v_and_b32_e32 v3, exec_lo, v3
	v_xor_b32_e32 v55, vcc_hi, v1
	v_xor_b32_e32 v1, vcc_lo, v1
	v_and_b32_e32 v3, v3, v1
	v_lshlrev_b32_e32 v1, 29, v2
	v_cmp_gt_i64_e32 vcc, 0, v[0:1]
	v_not_b32_e32 v1, v1
	v_ashrrev_i32_e32 v1, 31, v1
	v_and_b32_e32 v54, v54, v55
	v_xor_b32_e32 v55, vcc_hi, v1
	v_xor_b32_e32 v1, vcc_lo, v1
	v_and_b32_e32 v3, v3, v1
	v_lshlrev_b32_e32 v1, 28, v2
	v_cmp_gt_i64_e32 vcc, 0, v[0:1]
	v_not_b32_e32 v1, v1
	v_ashrrev_i32_e32 v1, 31, v1
	v_and_b32_e32 v54, v54, v55
	;; [unrolled: 8-line block ×5, first 2 shown]
	v_xor_b32_e32 v55, vcc_hi, v1
	v_xor_b32_e32 v1, vcc_lo, v1
	v_and_b32_e32 v3, v3, v1
	v_lshlrev_b32_e32 v1, 24, v2
	v_cmp_gt_i64_e32 vcc, 0, v[0:1]
	v_not_b32_e32 v0, v1
	v_ashrrev_i32_e32 v0, 31, v0
	v_xor_b32_e32 v1, vcc_hi, v0
	v_xor_b32_e32 v0, vcc_lo, v0
	; wave barrier
	ds_read_b32 v17, v52 offset:64
	v_and_b32_e32 v54, v54, v55
	v_and_b32_e32 v0, v3, v0
	;; [unrolled: 1-line block ×3, first 2 shown]
	v_mbcnt_lo_u32_b32 v2, v0, 0
	v_mbcnt_hi_u32_b32 v54, v1, v2
	v_cmp_eq_u32_e32 vcc, 0, v54
	v_cmp_ne_u64_e64 s[0:1], 0, v[0:1]
	v_add_u32_e32 v53, 64, v6
	s_and_b64 s[2:3], s[0:1], vcc
	; wave barrier
	s_and_saveexec_b64 s[0:1], s[2:3]
	s_cbranch_execz .LBB1932_121
; %bb.120:
	v_bcnt_u32_b32 v0, v0, 0
	v_bcnt_u32_b32 v0, v1, v0
	s_waitcnt lgkmcnt(0)
	v_add_u32_e32 v0, v17, v0
	ds_write_b32 v52, v0 offset:64
.LBB1932_121:
	s_or_b64 exec, exec, s[0:1]
	; wave barrier
	s_waitcnt lgkmcnt(0)
	s_barrier
	ds_read2_b32 v[2:3], v6 offset0:16 offset1:17
	ds_read2_b32 v[0:1], v53 offset0:2 offset1:3
	ds_read_b32 v55, v53 offset:16
	v_cmp_lt_u32_e64 s[8:9], 31, v5
	s_waitcnt lgkmcnt(1)
	v_add3_u32 v56, v3, v2, v0
	s_waitcnt lgkmcnt(0)
	v_add3_u32 v55, v56, v1, v55
	v_and_b32_e32 v56, 15, v5
	v_cmp_eq_u32_e32 vcc, 0, v56
	v_mov_b32_dpp v57, v55 row_shr:1 row_mask:0xf bank_mask:0xf
	v_cndmask_b32_e64 v57, v57, 0, vcc
	v_add_u32_e32 v55, v57, v55
	v_cmp_lt_u32_e64 s[0:1], 1, v56
	v_cmp_lt_u32_e64 s[2:3], 3, v56
	v_mov_b32_dpp v57, v55 row_shr:2 row_mask:0xf bank_mask:0xf
	v_cndmask_b32_e64 v57, 0, v57, s[0:1]
	v_add_u32_e32 v55, v55, v57
	v_cmp_lt_u32_e64 s[4:5], 7, v56
	s_nop 0
	v_mov_b32_dpp v57, v55 row_shr:4 row_mask:0xf bank_mask:0xf
	v_cndmask_b32_e64 v57, 0, v57, s[2:3]
	v_add_u32_e32 v55, v55, v57
	s_nop 1
	v_mov_b32_dpp v57, v55 row_shr:8 row_mask:0xf bank_mask:0xf
	v_cndmask_b32_e64 v56, 0, v57, s[4:5]
	v_add_u32_e32 v55, v55, v56
	v_bfe_i32 v57, v5, 4, 1
	s_nop 0
	v_mov_b32_dpp v56, v55 row_bcast:15 row_mask:0xf bank_mask:0xf
	v_and_b32_e32 v56, v57, v56
	v_add_u32_e32 v55, v55, v56
	v_and_b32_e32 v57, 63, v10
	s_nop 0
	v_mov_b32_dpp v56, v55 row_bcast:31 row_mask:0xf bank_mask:0xf
	v_cndmask_b32_e64 v56, 0, v56, s[8:9]
	v_add_u32_e32 v55, v55, v56
	v_lshrrev_b32_e32 v56, 6, v10
	v_cmp_eq_u32_e64 s[8:9], 63, v57
	s_and_saveexec_b64 s[16:17], s[8:9]
	s_cbranch_execz .LBB1932_123
; %bb.122:
	v_lshlrev_b32_e32 v57, 2, v56
	ds_write_b32 v57, v55
.LBB1932_123:
	s_or_b64 exec, exec, s[16:17]
	v_cmp_gt_u32_e64 s[8:9], 16, v10
	s_waitcnt lgkmcnt(0)
	s_barrier
	s_and_saveexec_b64 s[16:17], s[8:9]
	s_cbranch_execz .LBB1932_125
; %bb.124:
	v_lshlrev_b32_e32 v57, 2, v10
	ds_read_b32 v58, v57
	s_waitcnt lgkmcnt(0)
	s_nop 0
	v_mov_b32_dpp v59, v58 row_shr:1 row_mask:0xf bank_mask:0xf
	v_cndmask_b32_e64 v59, v59, 0, vcc
	v_add_u32_e32 v58, v59, v58
	s_nop 1
	v_mov_b32_dpp v59, v58 row_shr:2 row_mask:0xf bank_mask:0xf
	v_cndmask_b32_e64 v59, 0, v59, s[0:1]
	v_add_u32_e32 v58, v58, v59
	s_nop 1
	v_mov_b32_dpp v59, v58 row_shr:4 row_mask:0xf bank_mask:0xf
	v_cndmask_b32_e64 v59, 0, v59, s[2:3]
	;; [unrolled: 4-line block ×3, first 2 shown]
	v_add_u32_e32 v58, v58, v59
	ds_write_b32 v57, v58
.LBB1932_125:
	s_or_b64 exec, exec, s[16:17]
	v_cmp_lt_u32_e32 vcc, 63, v10
	v_mov_b32_e32 v57, 0
	s_waitcnt lgkmcnt(0)
	s_barrier
	s_and_saveexec_b64 s[0:1], vcc
	s_cbranch_execz .LBB1932_127
; %bb.126:
	v_lshl_add_u32 v56, v56, 2, -4
	ds_read_b32 v57, v56
.LBB1932_127:
	s_or_b64 exec, exec, s[0:1]
	v_add_u32_e32 v56, -1, v5
	v_and_b32_e32 v58, 64, v5
	v_cmp_lt_i32_e32 vcc, v56, v58
	v_cndmask_b32_e32 v56, v56, v5, vcc
	s_waitcnt lgkmcnt(0)
	v_add_u32_e32 v55, v57, v55
	v_lshlrev_b32_e32 v56, 2, v56
	ds_bpermute_b32 v55, v56, v55
	v_cmp_eq_u32_e32 vcc, 0, v5
	s_movk_i32 s2, 0xff
	s_movk_i32 s3, 0x100
	v_cmp_lt_u32_e64 s[0:1], s2, v10
	s_waitcnt lgkmcnt(0)
	v_cndmask_b32_e32 v5, v55, v57, vcc
	v_cmp_ne_u32_e32 vcc, 0, v10
	v_cndmask_b32_e32 v5, 0, v5, vcc
	v_add_u32_e32 v2, v5, v2
	v_add_u32_e32 v3, v2, v3
	v_add_u32_e32 v0, v3, v0
	v_add_u32_e32 v1, v0, v1
	ds_write2_b32 v6, v5, v2 offset0:16 offset1:17
	ds_write2_b32 v53, v3, v0 offset0:2 offset1:3
	ds_write_b32 v53, v1 offset:16
	s_waitcnt lgkmcnt(0)
	s_barrier
	ds_read_b32 v57, v7 offset:64
	ds_read_b32 v56, v12 offset:64
	;; [unrolled: 1-line block ×12, first 2 shown]
	v_cmp_gt_u32_e32 vcc, s3, v10
	v_pk_mov_b32 v[0:1], 0, 0
                                        ; implicit-def: $vgpr12
	s_and_saveexec_b64 s[4:5], vcc
	s_cbranch_execz .LBB1932_131
; %bb.128:
	v_mul_u32_u24_e32 v0, 17, v10
	v_lshlrev_b32_e32 v12, 2, v0
	ds_read_b32 v0, v12 offset:64
	v_cmp_ne_u32_e64 s[2:3], s2, v10
	v_mov_b32_e32 v1, 0x3000
	s_and_saveexec_b64 s[8:9], s[2:3]
	s_cbranch_execz .LBB1932_130
; %bb.129:
	ds_read_b32 v1, v12 offset:132
.LBB1932_130:
	s_or_b64 exec, exec, s[8:9]
	s_waitcnt lgkmcnt(0)
	v_sub_u32_e32 v12, v1, v0
	v_mov_b32_e32 v1, 0
.LBB1932_131:
	s_or_b64 exec, exec, s[4:5]
	v_add_u32_e32 v11, v13, v11
	s_waitcnt lgkmcnt(11)
	v_add_lshl_u32 v8, v57, v8, 1
	v_add_u32_e32 v15, v19, v15
	s_waitcnt lgkmcnt(0)
	s_barrier
	ds_write_b16 v8, v4 offset:2048
	v_add_lshl_u32 v4, v11, v56, 1
	v_add_u32_e32 v21, v24, v21
	ds_write_b16 v4, v9 offset:2048
	v_add_lshl_u32 v4, v15, v55, 1
	v_add_u32_e32 v26, v30, v26
	;; [unrolled: 3-line block ×7, first 2 shown]
	v_add_u32_e32 v33, v51, v49
	v_add_u32_e32 v38, v48, v46
	ds_write_b16 v4, v37 offset:2048
	v_add_lshl_u32 v4, v41, v6, 1
	ds_write_b16 v4, v32 offset:2048
	v_add_lshl_u32 v4, v38, v5, 1
	v_add_lshl_u32 v3, v33, v3, 1
	;; [unrolled: 1-line block ×3, first 2 shown]
	ds_write_b16 v4, v27 offset:2048
	ds_write_b16 v3, v22 offset:2048
	ds_write_b16 v2, v16 offset:2048
	s_and_saveexec_b64 s[2:3], s[0:1]
	s_xor_b64 s[0:1], exec, s[2:3]
; %bb.132:
	v_mov_b32_e32 v11, 0
; %bb.133:
	s_andn2_saveexec_b64 s[2:3], s[0:1]
	s_cbranch_execz .LBB1932_143
; %bb.134:
	v_lshl_or_b32 v2, s6, 8, v10
	v_mov_b32_e32 v3, 0
	v_lshlrev_b64 v[4:5], 2, v[2:3]
	v_mov_b32_e32 v9, s25
	v_add_co_u32_e64 v4, s[0:1], s24, v4
	v_addc_co_u32_e64 v5, s[0:1], v9, v5, s[0:1]
	v_or_b32_e32 v2, 2.0, v12
	s_mov_b64 s[4:5], 0
	s_brev_b32 s22, 1
	s_mov_b32 s23, s6
	v_mov_b32_e32 v8, 0
	global_store_dword v[4:5], v2, off
                                        ; implicit-def: $sgpr0_sgpr1
	s_branch .LBB1932_137
.LBB1932_135:                           ;   in Loop: Header=BB1932_137 Depth=1
	s_or_b64 exec, exec, s[16:17]
.LBB1932_136:                           ;   in Loop: Header=BB1932_137 Depth=1
	s_or_b64 exec, exec, s[8:9]
	v_and_b32_e32 v6, 0x3fffffff, v11
	v_add_u32_e32 v8, v6, v8
	v_cmp_eq_u32_e64 s[0:1], s22, v2
	s_and_b64 s[8:9], exec, s[0:1]
	s_or_b64 s[4:5], s[8:9], s[4:5]
	s_andn2_b64 exec, exec, s[4:5]
	s_cbranch_execz .LBB1932_142
.LBB1932_137:                           ; =>This Loop Header: Depth=1
                                        ;     Child Loop BB1932_140 Depth 2
	s_or_b64 s[0:1], s[0:1], exec
	s_cmp_eq_u32 s23, 0
	s_cbranch_scc1 .LBB1932_141
; %bb.138:                              ;   in Loop: Header=BB1932_137 Depth=1
	s_add_i32 s23, s23, -1
	v_lshl_or_b32 v2, s23, 8, v10
	v_lshlrev_b64 v[6:7], 2, v[2:3]
	v_add_co_u32_e64 v6, s[0:1], s24, v6
	v_addc_co_u32_e64 v7, s[0:1], v9, v7, s[0:1]
	global_load_dword v11, v[6:7], off glc
	s_waitcnt vmcnt(0)
	v_and_b32_e32 v2, -2.0, v11
	v_cmp_eq_u32_e64 s[0:1], 0, v2
	s_and_saveexec_b64 s[8:9], s[0:1]
	s_cbranch_execz .LBB1932_136
; %bb.139:                              ;   in Loop: Header=BB1932_137 Depth=1
	s_mov_b64 s[16:17], 0
.LBB1932_140:                           ;   Parent Loop BB1932_137 Depth=1
                                        ; =>  This Inner Loop Header: Depth=2
	global_load_dword v11, v[6:7], off glc
	s_waitcnt vmcnt(0)
	v_and_b32_e32 v2, -2.0, v11
	v_cmp_ne_u32_e64 s[0:1], 0, v2
	s_or_b64 s[16:17], s[0:1], s[16:17]
	s_andn2_b64 exec, exec, s[16:17]
	s_cbranch_execnz .LBB1932_140
	s_branch .LBB1932_135
.LBB1932_141:                           ;   in Loop: Header=BB1932_137 Depth=1
                                        ; implicit-def: $sgpr23
	s_and_b64 s[8:9], exec, s[0:1]
	s_or_b64 s[4:5], s[8:9], s[4:5]
	s_andn2_b64 exec, exec, s[4:5]
	s_cbranch_execnz .LBB1932_137
.LBB1932_142:
	s_or_b64 exec, exec, s[4:5]
	v_add_u32_e32 v2, v8, v12
	v_or_b32_e32 v2, 0x80000000, v2
	global_store_dword v[4:5], v2, off
	v_lshlrev_b32_e32 v4, 3, v10
	global_load_dwordx2 v[2:3], v4, s[12:13]
	v_sub_co_u32_e64 v5, s[0:1], v8, v0
	v_subb_co_u32_e64 v6, s[0:1], 0, v1, s[0:1]
	v_mov_b32_e32 v11, 0
	s_waitcnt vmcnt(0)
	v_add_co_u32_e64 v2, s[0:1], v5, v2
	v_addc_co_u32_e64 v3, s[0:1], v6, v3, s[0:1]
	ds_write_b64 v4, v[2:3]
.LBB1932_143:
	s_or_b64 exec, exec, s[2:3]
	v_lshlrev_b32_e32 v2, 1, v10
	s_waitcnt lgkmcnt(0)
	s_barrier
	ds_read_u16 v3, v2 offset:2048
	ds_read_u16 v8, v2 offset:4096
	;; [unrolled: 1-line block ×8, first 2 shown]
	s_waitcnt lgkmcnt(7)
	v_lshrrev_b32_sdwa v4, s20, v3 dst_sel:DWORD dst_unused:UNUSED_PAD src0_sel:DWORD src1_sel:WORD_0
	v_and_b32_e32 v4, s21, v4
	v_lshlrev_b32_e32 v4, 3, v4
	ds_read_b64 v[4:5], v4
	ds_read_u16 v23, v2 offset:18432
	ds_read_u16 v24, v2 offset:20480
	;; [unrolled: 1-line block ×4, first 2 shown]
	s_waitcnt lgkmcnt(4)
	v_lshlrev_b64 v[4:5], 1, v[4:5]
	v_mov_b32_e32 v6, s19
	v_add_co_u32_e64 v7, s[0:1], s18, v4
	v_addc_co_u32_e64 v9, s[0:1], v6, v5, s[0:1]
	v_lshlrev_b64 v[4:5], 1, v[10:11]
	v_add_co_u32_e64 v6, s[0:1], v7, v4
	v_xor_b32_e32 v3, -1, v3
	v_addc_co_u32_e64 v7, s[0:1], v9, v5, s[0:1]
	global_store_short v[6:7], v3, off
	v_lshrrev_b32_sdwa v6, s20, v13 dst_sel:DWORD dst_unused:UNUSED_PAD src0_sel:DWORD src1_sel:WORD_0
	v_and_b32_e32 v6, s21, v6
	v_lshrrev_b32_sdwa v3, s20, v8 dst_sel:DWORD dst_unused:UNUSED_PAD src0_sel:DWORD src1_sel:WORD_0
	v_xor_b32_e32 v27, -1, v8
	v_lshlrev_b32_e32 v8, 3, v6
	v_lshrrev_b32_sdwa v6, s20, v18 dst_sel:DWORD dst_unused:UNUSED_PAD src0_sel:DWORD src1_sel:WORD_0
	v_and_b32_e32 v3, s21, v3
	v_and_b32_e32 v6, s21, v6
	v_lshlrev_b32_e32 v3, 3, v3
	v_lshlrev_b32_e32 v14, 3, v6
	v_lshrrev_b32_sdwa v6, s20, v19 dst_sel:DWORD dst_unused:UNUSED_PAD src0_sel:DWORD src1_sel:WORD_0
	v_and_b32_e32 v9, s21, v6
	ds_read_b64 v[6:7], v3
	v_lshlrev_b32_e32 v3, 3, v9
	ds_read_b64 v[8:9], v8
	ds_read_b64 v[14:15], v14
	;; [unrolled: 1-line block ×3, first 2 shown]
	v_mov_b32_e32 v3, s19
	s_add_i32 s7, s7, -1
	s_waitcnt lgkmcnt(3)
	v_lshlrev_b64 v[6:7], 1, v[6:7]
	v_add_co_u32_e64 v6, s[0:1], s18, v6
	v_addc_co_u32_e64 v3, s[0:1], v3, v7, s[0:1]
	v_add_co_u32_e64 v4, s[0:1], v6, v4
	v_addc_co_u32_e64 v5, s[0:1], v3, v5, s[0:1]
	global_store_short v[4:5], v27, off offset:2048
	s_waitcnt lgkmcnt(2)
	v_lshlrev_b64 v[4:5], 1, v[8:9]
	v_mov_b32_e32 v6, s19
	v_add_co_u32_e64 v4, s[0:1], s18, v4
	v_addc_co_u32_e64 v5, s[0:1], v6, v5, s[0:1]
	v_or_b32_e32 v6, 0x1000, v2
	v_add_co_u32_e64 v4, s[0:1], v4, v6
	v_xor_b32_e32 v3, -1, v13
	v_addc_co_u32_e64 v5, s[0:1], 0, v5, s[0:1]
	global_store_short v[4:5], v3, off
	s_waitcnt lgkmcnt(1)
	v_lshlrev_b64 v[4:5], 1, v[14:15]
	v_mov_b32_e32 v6, s19
	v_add_co_u32_e64 v4, s[0:1], s18, v4
	v_addc_co_u32_e64 v5, s[0:1], v6, v5, s[0:1]
	v_or_b32_e32 v6, 0x1800, v2
	v_add_co_u32_e64 v4, s[0:1], v4, v6
	v_xor_b32_e32 v3, -1, v18
	v_addc_co_u32_e64 v5, s[0:1], 0, v5, s[0:1]
	global_store_short v[4:5], v3, off
	;; [unrolled: 10-line block ×3, first 2 shown]
	v_lshrrev_b32_sdwa v4, s20, v21 dst_sel:DWORD dst_unused:UNUSED_PAD src0_sel:DWORD src1_sel:WORD_0
	v_and_b32_e32 v4, s21, v4
	v_lshrrev_b32_sdwa v3, s20, v20 dst_sel:DWORD dst_unused:UNUSED_PAD src0_sel:DWORD src1_sel:WORD_0
	v_lshlrev_b32_e32 v6, 3, v4
	v_lshrrev_b32_sdwa v4, s20, v22 dst_sel:DWORD dst_unused:UNUSED_PAD src0_sel:DWORD src1_sel:WORD_0
	v_and_b32_e32 v3, s21, v3
	v_and_b32_e32 v4, s21, v4
	v_lshlrev_b32_e32 v3, 3, v3
	v_lshlrev_b32_e32 v8, 3, v4
	v_lshrrev_b32_sdwa v4, s20, v23 dst_sel:DWORD dst_unused:UNUSED_PAD src0_sel:DWORD src1_sel:WORD_0
	v_and_b32_e32 v7, s21, v4
	ds_read_b64 v[4:5], v3
	v_lshlrev_b32_e32 v3, 3, v7
	ds_read_b64 v[6:7], v6
	ds_read_b64 v[8:9], v8
	;; [unrolled: 1-line block ×3, first 2 shown]
	v_mov_b32_e32 v3, s19
	v_xor_b32_e32 v13, -1, v20
	s_waitcnt lgkmcnt(3)
	v_lshlrev_b64 v[4:5], 1, v[4:5]
	v_add_co_u32_e64 v4, s[0:1], s18, v4
	v_addc_co_u32_e64 v3, s[0:1], v3, v5, s[0:1]
	v_or_b32_e32 v5, 0x2800, v2
	v_add_co_u32_e64 v4, s[0:1], v4, v5
	v_addc_co_u32_e64 v5, s[0:1], 0, v3, s[0:1]
	global_store_short v[4:5], v13, off
	s_waitcnt lgkmcnt(2)
	v_lshlrev_b64 v[4:5], 1, v[6:7]
	v_mov_b32_e32 v6, s19
	v_add_co_u32_e64 v4, s[0:1], s18, v4
	v_addc_co_u32_e64 v5, s[0:1], v6, v5, s[0:1]
	v_or_b32_e32 v6, 0x3000, v2
	v_add_co_u32_e64 v4, s[0:1], v4, v6
	v_xor_b32_e32 v3, -1, v21
	v_addc_co_u32_e64 v5, s[0:1], 0, v5, s[0:1]
	global_store_short v[4:5], v3, off
	s_waitcnt lgkmcnt(1)
	v_lshlrev_b64 v[4:5], 1, v[8:9]
	v_mov_b32_e32 v6, s19
	v_add_co_u32_e64 v4, s[0:1], s18, v4
	v_addc_co_u32_e64 v5, s[0:1], v6, v5, s[0:1]
	v_or_b32_e32 v6, 0x3800, v2
	v_add_co_u32_e64 v4, s[0:1], v4, v6
	v_xor_b32_e32 v3, -1, v22
	;; [unrolled: 10-line block ×3, first 2 shown]
	v_addc_co_u32_e64 v5, s[0:1], 0, v5, s[0:1]
	global_store_short v[4:5], v3, off
	v_lshrrev_b32_sdwa v3, s20, v24 dst_sel:DWORD dst_unused:UNUSED_PAD src0_sel:DWORD src1_sel:WORD_0
	v_and_b32_e32 v3, s21, v3
	v_lshrrev_b32_sdwa v4, s20, v25 dst_sel:DWORD dst_unused:UNUSED_PAD src0_sel:DWORD src1_sel:WORD_0
	v_lshlrev_b32_e32 v3, 3, v3
	v_and_b32_e32 v4, s21, v4
	v_lshlrev_b32_e32 v6, 3, v4
	ds_read_b64 v[4:5], v3
	v_lshrrev_b32_sdwa v7, s20, v26 dst_sel:DWORD dst_unused:UNUSED_PAD src0_sel:DWORD src1_sel:WORD_0
	v_and_b32_e32 v3, s21, v7
	v_lshlrev_b32_e32 v3, 3, v3
	ds_read_b64 v[6:7], v6
	ds_read_b64 v[8:9], v3
	s_waitcnt lgkmcnt(2)
	v_lshlrev_b64 v[4:5], 1, v[4:5]
	v_mov_b32_e32 v3, s19
	v_add_co_u32_e64 v4, s[0:1], s18, v4
	v_addc_co_u32_e64 v3, s[0:1], v3, v5, s[0:1]
	v_or_b32_e32 v5, 0x4800, v2
	v_add_co_u32_e64 v4, s[0:1], v4, v5
	v_xor_b32_e32 v13, -1, v24
	v_addc_co_u32_e64 v5, s[0:1], 0, v3, s[0:1]
	global_store_short v[4:5], v13, off
	s_waitcnt lgkmcnt(1)
	v_lshlrev_b64 v[4:5], 1, v[6:7]
	v_mov_b32_e32 v6, s19
	v_add_co_u32_e64 v4, s[0:1], s18, v4
	v_addc_co_u32_e64 v5, s[0:1], v6, v5, s[0:1]
	v_or_b32_e32 v6, 0x5000, v2
	v_add_co_u32_e64 v4, s[0:1], v4, v6
	v_xor_b32_e32 v3, -1, v25
	v_addc_co_u32_e64 v5, s[0:1], 0, v5, s[0:1]
	global_store_short v[4:5], v3, off
	s_waitcnt lgkmcnt(0)
	v_lshlrev_b64 v[4:5], 1, v[8:9]
	v_mov_b32_e32 v3, s19
	v_add_co_u32_e64 v4, s[0:1], s18, v4
	v_addc_co_u32_e64 v3, s[0:1], v3, v5, s[0:1]
	v_or_b32_e32 v2, 0x5800, v2
	v_add_co_u32_e64 v2, s[0:1], v4, v2
	v_addc_co_u32_e64 v3, s[0:1], 0, v3, s[0:1]
	s_cmp_eq_u32 s7, s6
	s_cselect_b64 s[0:1], -1, 0
	v_xor_b32_e32 v6, -1, v26
	s_and_b64 s[2:3], vcc, s[0:1]
	global_store_short v[2:3], v6, off
                                        ; implicit-def: $vgpr4_vgpr5
	s_and_saveexec_b64 s[0:1], s[2:3]
; %bb.144:
	v_add_co_u32_e32 v4, vcc, v0, v12
	v_addc_co_u32_e32 v5, vcc, 0, v1, vcc
	s_or_b64 s[10:11], s[10:11], exec
; %bb.145:
	s_or_b64 exec, exec, s[0:1]
.LBB1932_146:
	s_and_saveexec_b64 s[0:1], s[10:11]
	s_cbranch_execnz .LBB1932_148
; %bb.147:
	s_endpgm
.LBB1932_148:
	v_lshlrev_b32_e32 v2, 3, v10
	ds_read_b64 v[2:3], v2
	v_lshlrev_b64 v[0:1], 3, v[10:11]
	v_mov_b32_e32 v6, s15
	v_add_co_u32_e32 v0, vcc, s14, v0
	v_addc_co_u32_e32 v1, vcc, v6, v1, vcc
	s_waitcnt lgkmcnt(0)
	v_add_co_u32_e32 v2, vcc, v2, v4
	v_addc_co_u32_e32 v3, vcc, v3, v5, vcc
	global_store_dwordx2 v[0:1], v[2:3], off
	s_endpgm
	.section	.rodata,"a",@progbits
	.p2align	6, 0x0
	.amdhsa_kernel _ZN7rocprim17ROCPRIM_400000_NS6detail17trampoline_kernelINS0_14default_configENS1_35radix_sort_onesweep_config_selectorItNS0_10empty_typeEEEZZNS1_29radix_sort_onesweep_iterationIS3_Lb1EPtS8_PS5_S9_mNS0_19identity_decomposerENS1_16block_id_wrapperIjLb0EEEEE10hipError_tT1_PNSt15iterator_traitsISE_E10value_typeET2_T3_PNSF_ISK_E10value_typeET4_T5_PSP_SQ_PNS1_23onesweep_lookback_stateEbbT6_jjT7_P12ihipStream_tbENKUlT_T0_SE_SJ_E_clIS8_S8_S9_S9_EEDaSX_SY_SE_SJ_EUlSX_E_NS1_11comp_targetILNS1_3genE4ELNS1_11target_archE910ELNS1_3gpuE8ELNS1_3repE0EEENS1_47radix_sort_onesweep_sort_config_static_selectorELNS0_4arch9wavefront6targetE1EEEvSE_
		.amdhsa_group_segment_fixed_size 26632
		.amdhsa_private_segment_fixed_size 0
		.amdhsa_kernarg_size 344
		.amdhsa_user_sgpr_count 6
		.amdhsa_user_sgpr_private_segment_buffer 1
		.amdhsa_user_sgpr_dispatch_ptr 0
		.amdhsa_user_sgpr_queue_ptr 0
		.amdhsa_user_sgpr_kernarg_segment_ptr 1
		.amdhsa_user_sgpr_dispatch_id 0
		.amdhsa_user_sgpr_flat_scratch_init 0
		.amdhsa_user_sgpr_kernarg_preload_length 0
		.amdhsa_user_sgpr_kernarg_preload_offset 0
		.amdhsa_user_sgpr_private_segment_size 0
		.amdhsa_uses_dynamic_stack 0
		.amdhsa_system_sgpr_private_segment_wavefront_offset 0
		.amdhsa_system_sgpr_workgroup_id_x 1
		.amdhsa_system_sgpr_workgroup_id_y 0
		.amdhsa_system_sgpr_workgroup_id_z 0
		.amdhsa_system_sgpr_workgroup_info 0
		.amdhsa_system_vgpr_workitem_id 2
		.amdhsa_next_free_vgpr 62
		.amdhsa_next_free_sgpr 44
		.amdhsa_accum_offset 64
		.amdhsa_reserve_vcc 1
		.amdhsa_reserve_flat_scratch 0
		.amdhsa_float_round_mode_32 0
		.amdhsa_float_round_mode_16_64 0
		.amdhsa_float_denorm_mode_32 3
		.amdhsa_float_denorm_mode_16_64 3
		.amdhsa_dx10_clamp 1
		.amdhsa_ieee_mode 1
		.amdhsa_fp16_overflow 0
		.amdhsa_tg_split 0
		.amdhsa_exception_fp_ieee_invalid_op 0
		.amdhsa_exception_fp_denorm_src 0
		.amdhsa_exception_fp_ieee_div_zero 0
		.amdhsa_exception_fp_ieee_overflow 0
		.amdhsa_exception_fp_ieee_underflow 0
		.amdhsa_exception_fp_ieee_inexact 0
		.amdhsa_exception_int_div_zero 0
	.end_amdhsa_kernel
	.section	.text._ZN7rocprim17ROCPRIM_400000_NS6detail17trampoline_kernelINS0_14default_configENS1_35radix_sort_onesweep_config_selectorItNS0_10empty_typeEEEZZNS1_29radix_sort_onesweep_iterationIS3_Lb1EPtS8_PS5_S9_mNS0_19identity_decomposerENS1_16block_id_wrapperIjLb0EEEEE10hipError_tT1_PNSt15iterator_traitsISE_E10value_typeET2_T3_PNSF_ISK_E10value_typeET4_T5_PSP_SQ_PNS1_23onesweep_lookback_stateEbbT6_jjT7_P12ihipStream_tbENKUlT_T0_SE_SJ_E_clIS8_S8_S9_S9_EEDaSX_SY_SE_SJ_EUlSX_E_NS1_11comp_targetILNS1_3genE4ELNS1_11target_archE910ELNS1_3gpuE8ELNS1_3repE0EEENS1_47radix_sort_onesweep_sort_config_static_selectorELNS0_4arch9wavefront6targetE1EEEvSE_,"axG",@progbits,_ZN7rocprim17ROCPRIM_400000_NS6detail17trampoline_kernelINS0_14default_configENS1_35radix_sort_onesweep_config_selectorItNS0_10empty_typeEEEZZNS1_29radix_sort_onesweep_iterationIS3_Lb1EPtS8_PS5_S9_mNS0_19identity_decomposerENS1_16block_id_wrapperIjLb0EEEEE10hipError_tT1_PNSt15iterator_traitsISE_E10value_typeET2_T3_PNSF_ISK_E10value_typeET4_T5_PSP_SQ_PNS1_23onesweep_lookback_stateEbbT6_jjT7_P12ihipStream_tbENKUlT_T0_SE_SJ_E_clIS8_S8_S9_S9_EEDaSX_SY_SE_SJ_EUlSX_E_NS1_11comp_targetILNS1_3genE4ELNS1_11target_archE910ELNS1_3gpuE8ELNS1_3repE0EEENS1_47radix_sort_onesweep_sort_config_static_selectorELNS0_4arch9wavefront6targetE1EEEvSE_,comdat
.Lfunc_end1932:
	.size	_ZN7rocprim17ROCPRIM_400000_NS6detail17trampoline_kernelINS0_14default_configENS1_35radix_sort_onesweep_config_selectorItNS0_10empty_typeEEEZZNS1_29radix_sort_onesweep_iterationIS3_Lb1EPtS8_PS5_S9_mNS0_19identity_decomposerENS1_16block_id_wrapperIjLb0EEEEE10hipError_tT1_PNSt15iterator_traitsISE_E10value_typeET2_T3_PNSF_ISK_E10value_typeET4_T5_PSP_SQ_PNS1_23onesweep_lookback_stateEbbT6_jjT7_P12ihipStream_tbENKUlT_T0_SE_SJ_E_clIS8_S8_S9_S9_EEDaSX_SY_SE_SJ_EUlSX_E_NS1_11comp_targetILNS1_3genE4ELNS1_11target_archE910ELNS1_3gpuE8ELNS1_3repE0EEENS1_47radix_sort_onesweep_sort_config_static_selectorELNS0_4arch9wavefront6targetE1EEEvSE_, .Lfunc_end1932-_ZN7rocprim17ROCPRIM_400000_NS6detail17trampoline_kernelINS0_14default_configENS1_35radix_sort_onesweep_config_selectorItNS0_10empty_typeEEEZZNS1_29radix_sort_onesweep_iterationIS3_Lb1EPtS8_PS5_S9_mNS0_19identity_decomposerENS1_16block_id_wrapperIjLb0EEEEE10hipError_tT1_PNSt15iterator_traitsISE_E10value_typeET2_T3_PNSF_ISK_E10value_typeET4_T5_PSP_SQ_PNS1_23onesweep_lookback_stateEbbT6_jjT7_P12ihipStream_tbENKUlT_T0_SE_SJ_E_clIS8_S8_S9_S9_EEDaSX_SY_SE_SJ_EUlSX_E_NS1_11comp_targetILNS1_3genE4ELNS1_11target_archE910ELNS1_3gpuE8ELNS1_3repE0EEENS1_47radix_sort_onesweep_sort_config_static_selectorELNS0_4arch9wavefront6targetE1EEEvSE_
                                        ; -- End function
	.section	.AMDGPU.csdata,"",@progbits
; Kernel info:
; codeLenInByte = 16052
; NumSgprs: 48
; NumVgprs: 62
; NumAgprs: 0
; TotalNumVgprs: 62
; ScratchSize: 0
; MemoryBound: 0
; FloatMode: 240
; IeeeMode: 1
; LDSByteSize: 26632 bytes/workgroup (compile time only)
; SGPRBlocks: 5
; VGPRBlocks: 7
; NumSGPRsForWavesPerEU: 48
; NumVGPRsForWavesPerEU: 62
; AccumOffset: 64
; Occupancy: 8
; WaveLimiterHint : 1
; COMPUTE_PGM_RSRC2:SCRATCH_EN: 0
; COMPUTE_PGM_RSRC2:USER_SGPR: 6
; COMPUTE_PGM_RSRC2:TRAP_HANDLER: 0
; COMPUTE_PGM_RSRC2:TGID_X_EN: 1
; COMPUTE_PGM_RSRC2:TGID_Y_EN: 0
; COMPUTE_PGM_RSRC2:TGID_Z_EN: 0
; COMPUTE_PGM_RSRC2:TIDIG_COMP_CNT: 2
; COMPUTE_PGM_RSRC3_GFX90A:ACCUM_OFFSET: 15
; COMPUTE_PGM_RSRC3_GFX90A:TG_SPLIT: 0
	.section	.text._ZN7rocprim17ROCPRIM_400000_NS6detail17trampoline_kernelINS0_14default_configENS1_35radix_sort_onesweep_config_selectorItNS0_10empty_typeEEEZZNS1_29radix_sort_onesweep_iterationIS3_Lb1EPtS8_PS5_S9_mNS0_19identity_decomposerENS1_16block_id_wrapperIjLb0EEEEE10hipError_tT1_PNSt15iterator_traitsISE_E10value_typeET2_T3_PNSF_ISK_E10value_typeET4_T5_PSP_SQ_PNS1_23onesweep_lookback_stateEbbT6_jjT7_P12ihipStream_tbENKUlT_T0_SE_SJ_E_clIS8_S8_S9_S9_EEDaSX_SY_SE_SJ_EUlSX_E_NS1_11comp_targetILNS1_3genE3ELNS1_11target_archE908ELNS1_3gpuE7ELNS1_3repE0EEENS1_47radix_sort_onesweep_sort_config_static_selectorELNS0_4arch9wavefront6targetE1EEEvSE_,"axG",@progbits,_ZN7rocprim17ROCPRIM_400000_NS6detail17trampoline_kernelINS0_14default_configENS1_35radix_sort_onesweep_config_selectorItNS0_10empty_typeEEEZZNS1_29radix_sort_onesweep_iterationIS3_Lb1EPtS8_PS5_S9_mNS0_19identity_decomposerENS1_16block_id_wrapperIjLb0EEEEE10hipError_tT1_PNSt15iterator_traitsISE_E10value_typeET2_T3_PNSF_ISK_E10value_typeET4_T5_PSP_SQ_PNS1_23onesweep_lookback_stateEbbT6_jjT7_P12ihipStream_tbENKUlT_T0_SE_SJ_E_clIS8_S8_S9_S9_EEDaSX_SY_SE_SJ_EUlSX_E_NS1_11comp_targetILNS1_3genE3ELNS1_11target_archE908ELNS1_3gpuE7ELNS1_3repE0EEENS1_47radix_sort_onesweep_sort_config_static_selectorELNS0_4arch9wavefront6targetE1EEEvSE_,comdat
	.protected	_ZN7rocprim17ROCPRIM_400000_NS6detail17trampoline_kernelINS0_14default_configENS1_35radix_sort_onesweep_config_selectorItNS0_10empty_typeEEEZZNS1_29radix_sort_onesweep_iterationIS3_Lb1EPtS8_PS5_S9_mNS0_19identity_decomposerENS1_16block_id_wrapperIjLb0EEEEE10hipError_tT1_PNSt15iterator_traitsISE_E10value_typeET2_T3_PNSF_ISK_E10value_typeET4_T5_PSP_SQ_PNS1_23onesweep_lookback_stateEbbT6_jjT7_P12ihipStream_tbENKUlT_T0_SE_SJ_E_clIS8_S8_S9_S9_EEDaSX_SY_SE_SJ_EUlSX_E_NS1_11comp_targetILNS1_3genE3ELNS1_11target_archE908ELNS1_3gpuE7ELNS1_3repE0EEENS1_47radix_sort_onesweep_sort_config_static_selectorELNS0_4arch9wavefront6targetE1EEEvSE_ ; -- Begin function _ZN7rocprim17ROCPRIM_400000_NS6detail17trampoline_kernelINS0_14default_configENS1_35radix_sort_onesweep_config_selectorItNS0_10empty_typeEEEZZNS1_29radix_sort_onesweep_iterationIS3_Lb1EPtS8_PS5_S9_mNS0_19identity_decomposerENS1_16block_id_wrapperIjLb0EEEEE10hipError_tT1_PNSt15iterator_traitsISE_E10value_typeET2_T3_PNSF_ISK_E10value_typeET4_T5_PSP_SQ_PNS1_23onesweep_lookback_stateEbbT6_jjT7_P12ihipStream_tbENKUlT_T0_SE_SJ_E_clIS8_S8_S9_S9_EEDaSX_SY_SE_SJ_EUlSX_E_NS1_11comp_targetILNS1_3genE3ELNS1_11target_archE908ELNS1_3gpuE7ELNS1_3repE0EEENS1_47radix_sort_onesweep_sort_config_static_selectorELNS0_4arch9wavefront6targetE1EEEvSE_
	.globl	_ZN7rocprim17ROCPRIM_400000_NS6detail17trampoline_kernelINS0_14default_configENS1_35radix_sort_onesweep_config_selectorItNS0_10empty_typeEEEZZNS1_29radix_sort_onesweep_iterationIS3_Lb1EPtS8_PS5_S9_mNS0_19identity_decomposerENS1_16block_id_wrapperIjLb0EEEEE10hipError_tT1_PNSt15iterator_traitsISE_E10value_typeET2_T3_PNSF_ISK_E10value_typeET4_T5_PSP_SQ_PNS1_23onesweep_lookback_stateEbbT6_jjT7_P12ihipStream_tbENKUlT_T0_SE_SJ_E_clIS8_S8_S9_S9_EEDaSX_SY_SE_SJ_EUlSX_E_NS1_11comp_targetILNS1_3genE3ELNS1_11target_archE908ELNS1_3gpuE7ELNS1_3repE0EEENS1_47radix_sort_onesweep_sort_config_static_selectorELNS0_4arch9wavefront6targetE1EEEvSE_
	.p2align	8
	.type	_ZN7rocprim17ROCPRIM_400000_NS6detail17trampoline_kernelINS0_14default_configENS1_35radix_sort_onesweep_config_selectorItNS0_10empty_typeEEEZZNS1_29radix_sort_onesweep_iterationIS3_Lb1EPtS8_PS5_S9_mNS0_19identity_decomposerENS1_16block_id_wrapperIjLb0EEEEE10hipError_tT1_PNSt15iterator_traitsISE_E10value_typeET2_T3_PNSF_ISK_E10value_typeET4_T5_PSP_SQ_PNS1_23onesweep_lookback_stateEbbT6_jjT7_P12ihipStream_tbENKUlT_T0_SE_SJ_E_clIS8_S8_S9_S9_EEDaSX_SY_SE_SJ_EUlSX_E_NS1_11comp_targetILNS1_3genE3ELNS1_11target_archE908ELNS1_3gpuE7ELNS1_3repE0EEENS1_47radix_sort_onesweep_sort_config_static_selectorELNS0_4arch9wavefront6targetE1EEEvSE_,@function
_ZN7rocprim17ROCPRIM_400000_NS6detail17trampoline_kernelINS0_14default_configENS1_35radix_sort_onesweep_config_selectorItNS0_10empty_typeEEEZZNS1_29radix_sort_onesweep_iterationIS3_Lb1EPtS8_PS5_S9_mNS0_19identity_decomposerENS1_16block_id_wrapperIjLb0EEEEE10hipError_tT1_PNSt15iterator_traitsISE_E10value_typeET2_T3_PNSF_ISK_E10value_typeET4_T5_PSP_SQ_PNS1_23onesweep_lookback_stateEbbT6_jjT7_P12ihipStream_tbENKUlT_T0_SE_SJ_E_clIS8_S8_S9_S9_EEDaSX_SY_SE_SJ_EUlSX_E_NS1_11comp_targetILNS1_3genE3ELNS1_11target_archE908ELNS1_3gpuE7ELNS1_3repE0EEENS1_47radix_sort_onesweep_sort_config_static_selectorELNS0_4arch9wavefront6targetE1EEEvSE_: ; @_ZN7rocprim17ROCPRIM_400000_NS6detail17trampoline_kernelINS0_14default_configENS1_35radix_sort_onesweep_config_selectorItNS0_10empty_typeEEEZZNS1_29radix_sort_onesweep_iterationIS3_Lb1EPtS8_PS5_S9_mNS0_19identity_decomposerENS1_16block_id_wrapperIjLb0EEEEE10hipError_tT1_PNSt15iterator_traitsISE_E10value_typeET2_T3_PNSF_ISK_E10value_typeET4_T5_PSP_SQ_PNS1_23onesweep_lookback_stateEbbT6_jjT7_P12ihipStream_tbENKUlT_T0_SE_SJ_E_clIS8_S8_S9_S9_EEDaSX_SY_SE_SJ_EUlSX_E_NS1_11comp_targetILNS1_3genE3ELNS1_11target_archE908ELNS1_3gpuE7ELNS1_3repE0EEENS1_47radix_sort_onesweep_sort_config_static_selectorELNS0_4arch9wavefront6targetE1EEEvSE_
; %bb.0:
	.section	.rodata,"a",@progbits
	.p2align	6, 0x0
	.amdhsa_kernel _ZN7rocprim17ROCPRIM_400000_NS6detail17trampoline_kernelINS0_14default_configENS1_35radix_sort_onesweep_config_selectorItNS0_10empty_typeEEEZZNS1_29radix_sort_onesweep_iterationIS3_Lb1EPtS8_PS5_S9_mNS0_19identity_decomposerENS1_16block_id_wrapperIjLb0EEEEE10hipError_tT1_PNSt15iterator_traitsISE_E10value_typeET2_T3_PNSF_ISK_E10value_typeET4_T5_PSP_SQ_PNS1_23onesweep_lookback_stateEbbT6_jjT7_P12ihipStream_tbENKUlT_T0_SE_SJ_E_clIS8_S8_S9_S9_EEDaSX_SY_SE_SJ_EUlSX_E_NS1_11comp_targetILNS1_3genE3ELNS1_11target_archE908ELNS1_3gpuE7ELNS1_3repE0EEENS1_47radix_sort_onesweep_sort_config_static_selectorELNS0_4arch9wavefront6targetE1EEEvSE_
		.amdhsa_group_segment_fixed_size 0
		.amdhsa_private_segment_fixed_size 0
		.amdhsa_kernarg_size 88
		.amdhsa_user_sgpr_count 6
		.amdhsa_user_sgpr_private_segment_buffer 1
		.amdhsa_user_sgpr_dispatch_ptr 0
		.amdhsa_user_sgpr_queue_ptr 0
		.amdhsa_user_sgpr_kernarg_segment_ptr 1
		.amdhsa_user_sgpr_dispatch_id 0
		.amdhsa_user_sgpr_flat_scratch_init 0
		.amdhsa_user_sgpr_kernarg_preload_length 0
		.amdhsa_user_sgpr_kernarg_preload_offset 0
		.amdhsa_user_sgpr_private_segment_size 0
		.amdhsa_uses_dynamic_stack 0
		.amdhsa_system_sgpr_private_segment_wavefront_offset 0
		.amdhsa_system_sgpr_workgroup_id_x 1
		.amdhsa_system_sgpr_workgroup_id_y 0
		.amdhsa_system_sgpr_workgroup_id_z 0
		.amdhsa_system_sgpr_workgroup_info 0
		.amdhsa_system_vgpr_workitem_id 0
		.amdhsa_next_free_vgpr 1
		.amdhsa_next_free_sgpr 0
		.amdhsa_accum_offset 4
		.amdhsa_reserve_vcc 0
		.amdhsa_reserve_flat_scratch 0
		.amdhsa_float_round_mode_32 0
		.amdhsa_float_round_mode_16_64 0
		.amdhsa_float_denorm_mode_32 3
		.amdhsa_float_denorm_mode_16_64 3
		.amdhsa_dx10_clamp 1
		.amdhsa_ieee_mode 1
		.amdhsa_fp16_overflow 0
		.amdhsa_tg_split 0
		.amdhsa_exception_fp_ieee_invalid_op 0
		.amdhsa_exception_fp_denorm_src 0
		.amdhsa_exception_fp_ieee_div_zero 0
		.amdhsa_exception_fp_ieee_overflow 0
		.amdhsa_exception_fp_ieee_underflow 0
		.amdhsa_exception_fp_ieee_inexact 0
		.amdhsa_exception_int_div_zero 0
	.end_amdhsa_kernel
	.section	.text._ZN7rocprim17ROCPRIM_400000_NS6detail17trampoline_kernelINS0_14default_configENS1_35radix_sort_onesweep_config_selectorItNS0_10empty_typeEEEZZNS1_29radix_sort_onesweep_iterationIS3_Lb1EPtS8_PS5_S9_mNS0_19identity_decomposerENS1_16block_id_wrapperIjLb0EEEEE10hipError_tT1_PNSt15iterator_traitsISE_E10value_typeET2_T3_PNSF_ISK_E10value_typeET4_T5_PSP_SQ_PNS1_23onesweep_lookback_stateEbbT6_jjT7_P12ihipStream_tbENKUlT_T0_SE_SJ_E_clIS8_S8_S9_S9_EEDaSX_SY_SE_SJ_EUlSX_E_NS1_11comp_targetILNS1_3genE3ELNS1_11target_archE908ELNS1_3gpuE7ELNS1_3repE0EEENS1_47radix_sort_onesweep_sort_config_static_selectorELNS0_4arch9wavefront6targetE1EEEvSE_,"axG",@progbits,_ZN7rocprim17ROCPRIM_400000_NS6detail17trampoline_kernelINS0_14default_configENS1_35radix_sort_onesweep_config_selectorItNS0_10empty_typeEEEZZNS1_29radix_sort_onesweep_iterationIS3_Lb1EPtS8_PS5_S9_mNS0_19identity_decomposerENS1_16block_id_wrapperIjLb0EEEEE10hipError_tT1_PNSt15iterator_traitsISE_E10value_typeET2_T3_PNSF_ISK_E10value_typeET4_T5_PSP_SQ_PNS1_23onesweep_lookback_stateEbbT6_jjT7_P12ihipStream_tbENKUlT_T0_SE_SJ_E_clIS8_S8_S9_S9_EEDaSX_SY_SE_SJ_EUlSX_E_NS1_11comp_targetILNS1_3genE3ELNS1_11target_archE908ELNS1_3gpuE7ELNS1_3repE0EEENS1_47radix_sort_onesweep_sort_config_static_selectorELNS0_4arch9wavefront6targetE1EEEvSE_,comdat
.Lfunc_end1933:
	.size	_ZN7rocprim17ROCPRIM_400000_NS6detail17trampoline_kernelINS0_14default_configENS1_35radix_sort_onesweep_config_selectorItNS0_10empty_typeEEEZZNS1_29radix_sort_onesweep_iterationIS3_Lb1EPtS8_PS5_S9_mNS0_19identity_decomposerENS1_16block_id_wrapperIjLb0EEEEE10hipError_tT1_PNSt15iterator_traitsISE_E10value_typeET2_T3_PNSF_ISK_E10value_typeET4_T5_PSP_SQ_PNS1_23onesweep_lookback_stateEbbT6_jjT7_P12ihipStream_tbENKUlT_T0_SE_SJ_E_clIS8_S8_S9_S9_EEDaSX_SY_SE_SJ_EUlSX_E_NS1_11comp_targetILNS1_3genE3ELNS1_11target_archE908ELNS1_3gpuE7ELNS1_3repE0EEENS1_47radix_sort_onesweep_sort_config_static_selectorELNS0_4arch9wavefront6targetE1EEEvSE_, .Lfunc_end1933-_ZN7rocprim17ROCPRIM_400000_NS6detail17trampoline_kernelINS0_14default_configENS1_35radix_sort_onesweep_config_selectorItNS0_10empty_typeEEEZZNS1_29radix_sort_onesweep_iterationIS3_Lb1EPtS8_PS5_S9_mNS0_19identity_decomposerENS1_16block_id_wrapperIjLb0EEEEE10hipError_tT1_PNSt15iterator_traitsISE_E10value_typeET2_T3_PNSF_ISK_E10value_typeET4_T5_PSP_SQ_PNS1_23onesweep_lookback_stateEbbT6_jjT7_P12ihipStream_tbENKUlT_T0_SE_SJ_E_clIS8_S8_S9_S9_EEDaSX_SY_SE_SJ_EUlSX_E_NS1_11comp_targetILNS1_3genE3ELNS1_11target_archE908ELNS1_3gpuE7ELNS1_3repE0EEENS1_47radix_sort_onesweep_sort_config_static_selectorELNS0_4arch9wavefront6targetE1EEEvSE_
                                        ; -- End function
	.section	.AMDGPU.csdata,"",@progbits
; Kernel info:
; codeLenInByte = 0
; NumSgprs: 4
; NumVgprs: 0
; NumAgprs: 0
; TotalNumVgprs: 0
; ScratchSize: 0
; MemoryBound: 0
; FloatMode: 240
; IeeeMode: 1
; LDSByteSize: 0 bytes/workgroup (compile time only)
; SGPRBlocks: 0
; VGPRBlocks: 0
; NumSGPRsForWavesPerEU: 4
; NumVGPRsForWavesPerEU: 1
; AccumOffset: 4
; Occupancy: 8
; WaveLimiterHint : 0
; COMPUTE_PGM_RSRC2:SCRATCH_EN: 0
; COMPUTE_PGM_RSRC2:USER_SGPR: 6
; COMPUTE_PGM_RSRC2:TRAP_HANDLER: 0
; COMPUTE_PGM_RSRC2:TGID_X_EN: 1
; COMPUTE_PGM_RSRC2:TGID_Y_EN: 0
; COMPUTE_PGM_RSRC2:TGID_Z_EN: 0
; COMPUTE_PGM_RSRC2:TIDIG_COMP_CNT: 0
; COMPUTE_PGM_RSRC3_GFX90A:ACCUM_OFFSET: 0
; COMPUTE_PGM_RSRC3_GFX90A:TG_SPLIT: 0
	.section	.text._ZN7rocprim17ROCPRIM_400000_NS6detail17trampoline_kernelINS0_14default_configENS1_35radix_sort_onesweep_config_selectorItNS0_10empty_typeEEEZZNS1_29radix_sort_onesweep_iterationIS3_Lb1EPtS8_PS5_S9_mNS0_19identity_decomposerENS1_16block_id_wrapperIjLb0EEEEE10hipError_tT1_PNSt15iterator_traitsISE_E10value_typeET2_T3_PNSF_ISK_E10value_typeET4_T5_PSP_SQ_PNS1_23onesweep_lookback_stateEbbT6_jjT7_P12ihipStream_tbENKUlT_T0_SE_SJ_E_clIS8_S8_S9_S9_EEDaSX_SY_SE_SJ_EUlSX_E_NS1_11comp_targetILNS1_3genE10ELNS1_11target_archE1201ELNS1_3gpuE5ELNS1_3repE0EEENS1_47radix_sort_onesweep_sort_config_static_selectorELNS0_4arch9wavefront6targetE1EEEvSE_,"axG",@progbits,_ZN7rocprim17ROCPRIM_400000_NS6detail17trampoline_kernelINS0_14default_configENS1_35radix_sort_onesweep_config_selectorItNS0_10empty_typeEEEZZNS1_29radix_sort_onesweep_iterationIS3_Lb1EPtS8_PS5_S9_mNS0_19identity_decomposerENS1_16block_id_wrapperIjLb0EEEEE10hipError_tT1_PNSt15iterator_traitsISE_E10value_typeET2_T3_PNSF_ISK_E10value_typeET4_T5_PSP_SQ_PNS1_23onesweep_lookback_stateEbbT6_jjT7_P12ihipStream_tbENKUlT_T0_SE_SJ_E_clIS8_S8_S9_S9_EEDaSX_SY_SE_SJ_EUlSX_E_NS1_11comp_targetILNS1_3genE10ELNS1_11target_archE1201ELNS1_3gpuE5ELNS1_3repE0EEENS1_47radix_sort_onesweep_sort_config_static_selectorELNS0_4arch9wavefront6targetE1EEEvSE_,comdat
	.protected	_ZN7rocprim17ROCPRIM_400000_NS6detail17trampoline_kernelINS0_14default_configENS1_35radix_sort_onesweep_config_selectorItNS0_10empty_typeEEEZZNS1_29radix_sort_onesweep_iterationIS3_Lb1EPtS8_PS5_S9_mNS0_19identity_decomposerENS1_16block_id_wrapperIjLb0EEEEE10hipError_tT1_PNSt15iterator_traitsISE_E10value_typeET2_T3_PNSF_ISK_E10value_typeET4_T5_PSP_SQ_PNS1_23onesweep_lookback_stateEbbT6_jjT7_P12ihipStream_tbENKUlT_T0_SE_SJ_E_clIS8_S8_S9_S9_EEDaSX_SY_SE_SJ_EUlSX_E_NS1_11comp_targetILNS1_3genE10ELNS1_11target_archE1201ELNS1_3gpuE5ELNS1_3repE0EEENS1_47radix_sort_onesweep_sort_config_static_selectorELNS0_4arch9wavefront6targetE1EEEvSE_ ; -- Begin function _ZN7rocprim17ROCPRIM_400000_NS6detail17trampoline_kernelINS0_14default_configENS1_35radix_sort_onesweep_config_selectorItNS0_10empty_typeEEEZZNS1_29radix_sort_onesweep_iterationIS3_Lb1EPtS8_PS5_S9_mNS0_19identity_decomposerENS1_16block_id_wrapperIjLb0EEEEE10hipError_tT1_PNSt15iterator_traitsISE_E10value_typeET2_T3_PNSF_ISK_E10value_typeET4_T5_PSP_SQ_PNS1_23onesweep_lookback_stateEbbT6_jjT7_P12ihipStream_tbENKUlT_T0_SE_SJ_E_clIS8_S8_S9_S9_EEDaSX_SY_SE_SJ_EUlSX_E_NS1_11comp_targetILNS1_3genE10ELNS1_11target_archE1201ELNS1_3gpuE5ELNS1_3repE0EEENS1_47radix_sort_onesweep_sort_config_static_selectorELNS0_4arch9wavefront6targetE1EEEvSE_
	.globl	_ZN7rocprim17ROCPRIM_400000_NS6detail17trampoline_kernelINS0_14default_configENS1_35radix_sort_onesweep_config_selectorItNS0_10empty_typeEEEZZNS1_29radix_sort_onesweep_iterationIS3_Lb1EPtS8_PS5_S9_mNS0_19identity_decomposerENS1_16block_id_wrapperIjLb0EEEEE10hipError_tT1_PNSt15iterator_traitsISE_E10value_typeET2_T3_PNSF_ISK_E10value_typeET4_T5_PSP_SQ_PNS1_23onesweep_lookback_stateEbbT6_jjT7_P12ihipStream_tbENKUlT_T0_SE_SJ_E_clIS8_S8_S9_S9_EEDaSX_SY_SE_SJ_EUlSX_E_NS1_11comp_targetILNS1_3genE10ELNS1_11target_archE1201ELNS1_3gpuE5ELNS1_3repE0EEENS1_47radix_sort_onesweep_sort_config_static_selectorELNS0_4arch9wavefront6targetE1EEEvSE_
	.p2align	8
	.type	_ZN7rocprim17ROCPRIM_400000_NS6detail17trampoline_kernelINS0_14default_configENS1_35radix_sort_onesweep_config_selectorItNS0_10empty_typeEEEZZNS1_29radix_sort_onesweep_iterationIS3_Lb1EPtS8_PS5_S9_mNS0_19identity_decomposerENS1_16block_id_wrapperIjLb0EEEEE10hipError_tT1_PNSt15iterator_traitsISE_E10value_typeET2_T3_PNSF_ISK_E10value_typeET4_T5_PSP_SQ_PNS1_23onesweep_lookback_stateEbbT6_jjT7_P12ihipStream_tbENKUlT_T0_SE_SJ_E_clIS8_S8_S9_S9_EEDaSX_SY_SE_SJ_EUlSX_E_NS1_11comp_targetILNS1_3genE10ELNS1_11target_archE1201ELNS1_3gpuE5ELNS1_3repE0EEENS1_47radix_sort_onesweep_sort_config_static_selectorELNS0_4arch9wavefront6targetE1EEEvSE_,@function
_ZN7rocprim17ROCPRIM_400000_NS6detail17trampoline_kernelINS0_14default_configENS1_35radix_sort_onesweep_config_selectorItNS0_10empty_typeEEEZZNS1_29radix_sort_onesweep_iterationIS3_Lb1EPtS8_PS5_S9_mNS0_19identity_decomposerENS1_16block_id_wrapperIjLb0EEEEE10hipError_tT1_PNSt15iterator_traitsISE_E10value_typeET2_T3_PNSF_ISK_E10value_typeET4_T5_PSP_SQ_PNS1_23onesweep_lookback_stateEbbT6_jjT7_P12ihipStream_tbENKUlT_T0_SE_SJ_E_clIS8_S8_S9_S9_EEDaSX_SY_SE_SJ_EUlSX_E_NS1_11comp_targetILNS1_3genE10ELNS1_11target_archE1201ELNS1_3gpuE5ELNS1_3repE0EEENS1_47radix_sort_onesweep_sort_config_static_selectorELNS0_4arch9wavefront6targetE1EEEvSE_: ; @_ZN7rocprim17ROCPRIM_400000_NS6detail17trampoline_kernelINS0_14default_configENS1_35radix_sort_onesweep_config_selectorItNS0_10empty_typeEEEZZNS1_29radix_sort_onesweep_iterationIS3_Lb1EPtS8_PS5_S9_mNS0_19identity_decomposerENS1_16block_id_wrapperIjLb0EEEEE10hipError_tT1_PNSt15iterator_traitsISE_E10value_typeET2_T3_PNSF_ISK_E10value_typeET4_T5_PSP_SQ_PNS1_23onesweep_lookback_stateEbbT6_jjT7_P12ihipStream_tbENKUlT_T0_SE_SJ_E_clIS8_S8_S9_S9_EEDaSX_SY_SE_SJ_EUlSX_E_NS1_11comp_targetILNS1_3genE10ELNS1_11target_archE1201ELNS1_3gpuE5ELNS1_3repE0EEENS1_47radix_sort_onesweep_sort_config_static_selectorELNS0_4arch9wavefront6targetE1EEEvSE_
; %bb.0:
	.section	.rodata,"a",@progbits
	.p2align	6, 0x0
	.amdhsa_kernel _ZN7rocprim17ROCPRIM_400000_NS6detail17trampoline_kernelINS0_14default_configENS1_35radix_sort_onesweep_config_selectorItNS0_10empty_typeEEEZZNS1_29radix_sort_onesweep_iterationIS3_Lb1EPtS8_PS5_S9_mNS0_19identity_decomposerENS1_16block_id_wrapperIjLb0EEEEE10hipError_tT1_PNSt15iterator_traitsISE_E10value_typeET2_T3_PNSF_ISK_E10value_typeET4_T5_PSP_SQ_PNS1_23onesweep_lookback_stateEbbT6_jjT7_P12ihipStream_tbENKUlT_T0_SE_SJ_E_clIS8_S8_S9_S9_EEDaSX_SY_SE_SJ_EUlSX_E_NS1_11comp_targetILNS1_3genE10ELNS1_11target_archE1201ELNS1_3gpuE5ELNS1_3repE0EEENS1_47radix_sort_onesweep_sort_config_static_selectorELNS0_4arch9wavefront6targetE1EEEvSE_
		.amdhsa_group_segment_fixed_size 0
		.amdhsa_private_segment_fixed_size 0
		.amdhsa_kernarg_size 88
		.amdhsa_user_sgpr_count 6
		.amdhsa_user_sgpr_private_segment_buffer 1
		.amdhsa_user_sgpr_dispatch_ptr 0
		.amdhsa_user_sgpr_queue_ptr 0
		.amdhsa_user_sgpr_kernarg_segment_ptr 1
		.amdhsa_user_sgpr_dispatch_id 0
		.amdhsa_user_sgpr_flat_scratch_init 0
		.amdhsa_user_sgpr_kernarg_preload_length 0
		.amdhsa_user_sgpr_kernarg_preload_offset 0
		.amdhsa_user_sgpr_private_segment_size 0
		.amdhsa_uses_dynamic_stack 0
		.amdhsa_system_sgpr_private_segment_wavefront_offset 0
		.amdhsa_system_sgpr_workgroup_id_x 1
		.amdhsa_system_sgpr_workgroup_id_y 0
		.amdhsa_system_sgpr_workgroup_id_z 0
		.amdhsa_system_sgpr_workgroup_info 0
		.amdhsa_system_vgpr_workitem_id 0
		.amdhsa_next_free_vgpr 1
		.amdhsa_next_free_sgpr 0
		.amdhsa_accum_offset 4
		.amdhsa_reserve_vcc 0
		.amdhsa_reserve_flat_scratch 0
		.amdhsa_float_round_mode_32 0
		.amdhsa_float_round_mode_16_64 0
		.amdhsa_float_denorm_mode_32 3
		.amdhsa_float_denorm_mode_16_64 3
		.amdhsa_dx10_clamp 1
		.amdhsa_ieee_mode 1
		.amdhsa_fp16_overflow 0
		.amdhsa_tg_split 0
		.amdhsa_exception_fp_ieee_invalid_op 0
		.amdhsa_exception_fp_denorm_src 0
		.amdhsa_exception_fp_ieee_div_zero 0
		.amdhsa_exception_fp_ieee_overflow 0
		.amdhsa_exception_fp_ieee_underflow 0
		.amdhsa_exception_fp_ieee_inexact 0
		.amdhsa_exception_int_div_zero 0
	.end_amdhsa_kernel
	.section	.text._ZN7rocprim17ROCPRIM_400000_NS6detail17trampoline_kernelINS0_14default_configENS1_35radix_sort_onesweep_config_selectorItNS0_10empty_typeEEEZZNS1_29radix_sort_onesweep_iterationIS3_Lb1EPtS8_PS5_S9_mNS0_19identity_decomposerENS1_16block_id_wrapperIjLb0EEEEE10hipError_tT1_PNSt15iterator_traitsISE_E10value_typeET2_T3_PNSF_ISK_E10value_typeET4_T5_PSP_SQ_PNS1_23onesweep_lookback_stateEbbT6_jjT7_P12ihipStream_tbENKUlT_T0_SE_SJ_E_clIS8_S8_S9_S9_EEDaSX_SY_SE_SJ_EUlSX_E_NS1_11comp_targetILNS1_3genE10ELNS1_11target_archE1201ELNS1_3gpuE5ELNS1_3repE0EEENS1_47radix_sort_onesweep_sort_config_static_selectorELNS0_4arch9wavefront6targetE1EEEvSE_,"axG",@progbits,_ZN7rocprim17ROCPRIM_400000_NS6detail17trampoline_kernelINS0_14default_configENS1_35radix_sort_onesweep_config_selectorItNS0_10empty_typeEEEZZNS1_29radix_sort_onesweep_iterationIS3_Lb1EPtS8_PS5_S9_mNS0_19identity_decomposerENS1_16block_id_wrapperIjLb0EEEEE10hipError_tT1_PNSt15iterator_traitsISE_E10value_typeET2_T3_PNSF_ISK_E10value_typeET4_T5_PSP_SQ_PNS1_23onesweep_lookback_stateEbbT6_jjT7_P12ihipStream_tbENKUlT_T0_SE_SJ_E_clIS8_S8_S9_S9_EEDaSX_SY_SE_SJ_EUlSX_E_NS1_11comp_targetILNS1_3genE10ELNS1_11target_archE1201ELNS1_3gpuE5ELNS1_3repE0EEENS1_47radix_sort_onesweep_sort_config_static_selectorELNS0_4arch9wavefront6targetE1EEEvSE_,comdat
.Lfunc_end1934:
	.size	_ZN7rocprim17ROCPRIM_400000_NS6detail17trampoline_kernelINS0_14default_configENS1_35radix_sort_onesweep_config_selectorItNS0_10empty_typeEEEZZNS1_29radix_sort_onesweep_iterationIS3_Lb1EPtS8_PS5_S9_mNS0_19identity_decomposerENS1_16block_id_wrapperIjLb0EEEEE10hipError_tT1_PNSt15iterator_traitsISE_E10value_typeET2_T3_PNSF_ISK_E10value_typeET4_T5_PSP_SQ_PNS1_23onesweep_lookback_stateEbbT6_jjT7_P12ihipStream_tbENKUlT_T0_SE_SJ_E_clIS8_S8_S9_S9_EEDaSX_SY_SE_SJ_EUlSX_E_NS1_11comp_targetILNS1_3genE10ELNS1_11target_archE1201ELNS1_3gpuE5ELNS1_3repE0EEENS1_47radix_sort_onesweep_sort_config_static_selectorELNS0_4arch9wavefront6targetE1EEEvSE_, .Lfunc_end1934-_ZN7rocprim17ROCPRIM_400000_NS6detail17trampoline_kernelINS0_14default_configENS1_35radix_sort_onesweep_config_selectorItNS0_10empty_typeEEEZZNS1_29radix_sort_onesweep_iterationIS3_Lb1EPtS8_PS5_S9_mNS0_19identity_decomposerENS1_16block_id_wrapperIjLb0EEEEE10hipError_tT1_PNSt15iterator_traitsISE_E10value_typeET2_T3_PNSF_ISK_E10value_typeET4_T5_PSP_SQ_PNS1_23onesweep_lookback_stateEbbT6_jjT7_P12ihipStream_tbENKUlT_T0_SE_SJ_E_clIS8_S8_S9_S9_EEDaSX_SY_SE_SJ_EUlSX_E_NS1_11comp_targetILNS1_3genE10ELNS1_11target_archE1201ELNS1_3gpuE5ELNS1_3repE0EEENS1_47radix_sort_onesweep_sort_config_static_selectorELNS0_4arch9wavefront6targetE1EEEvSE_
                                        ; -- End function
	.section	.AMDGPU.csdata,"",@progbits
; Kernel info:
; codeLenInByte = 0
; NumSgprs: 4
; NumVgprs: 0
; NumAgprs: 0
; TotalNumVgprs: 0
; ScratchSize: 0
; MemoryBound: 0
; FloatMode: 240
; IeeeMode: 1
; LDSByteSize: 0 bytes/workgroup (compile time only)
; SGPRBlocks: 0
; VGPRBlocks: 0
; NumSGPRsForWavesPerEU: 4
; NumVGPRsForWavesPerEU: 1
; AccumOffset: 4
; Occupancy: 8
; WaveLimiterHint : 0
; COMPUTE_PGM_RSRC2:SCRATCH_EN: 0
; COMPUTE_PGM_RSRC2:USER_SGPR: 6
; COMPUTE_PGM_RSRC2:TRAP_HANDLER: 0
; COMPUTE_PGM_RSRC2:TGID_X_EN: 1
; COMPUTE_PGM_RSRC2:TGID_Y_EN: 0
; COMPUTE_PGM_RSRC2:TGID_Z_EN: 0
; COMPUTE_PGM_RSRC2:TIDIG_COMP_CNT: 0
; COMPUTE_PGM_RSRC3_GFX90A:ACCUM_OFFSET: 0
; COMPUTE_PGM_RSRC3_GFX90A:TG_SPLIT: 0
	.section	.text._ZN7rocprim17ROCPRIM_400000_NS6detail17trampoline_kernelINS0_14default_configENS1_35radix_sort_onesweep_config_selectorItNS0_10empty_typeEEEZZNS1_29radix_sort_onesweep_iterationIS3_Lb1EPtS8_PS5_S9_mNS0_19identity_decomposerENS1_16block_id_wrapperIjLb0EEEEE10hipError_tT1_PNSt15iterator_traitsISE_E10value_typeET2_T3_PNSF_ISK_E10value_typeET4_T5_PSP_SQ_PNS1_23onesweep_lookback_stateEbbT6_jjT7_P12ihipStream_tbENKUlT_T0_SE_SJ_E_clIS8_S8_S9_S9_EEDaSX_SY_SE_SJ_EUlSX_E_NS1_11comp_targetILNS1_3genE9ELNS1_11target_archE1100ELNS1_3gpuE3ELNS1_3repE0EEENS1_47radix_sort_onesweep_sort_config_static_selectorELNS0_4arch9wavefront6targetE1EEEvSE_,"axG",@progbits,_ZN7rocprim17ROCPRIM_400000_NS6detail17trampoline_kernelINS0_14default_configENS1_35radix_sort_onesweep_config_selectorItNS0_10empty_typeEEEZZNS1_29radix_sort_onesweep_iterationIS3_Lb1EPtS8_PS5_S9_mNS0_19identity_decomposerENS1_16block_id_wrapperIjLb0EEEEE10hipError_tT1_PNSt15iterator_traitsISE_E10value_typeET2_T3_PNSF_ISK_E10value_typeET4_T5_PSP_SQ_PNS1_23onesweep_lookback_stateEbbT6_jjT7_P12ihipStream_tbENKUlT_T0_SE_SJ_E_clIS8_S8_S9_S9_EEDaSX_SY_SE_SJ_EUlSX_E_NS1_11comp_targetILNS1_3genE9ELNS1_11target_archE1100ELNS1_3gpuE3ELNS1_3repE0EEENS1_47radix_sort_onesweep_sort_config_static_selectorELNS0_4arch9wavefront6targetE1EEEvSE_,comdat
	.protected	_ZN7rocprim17ROCPRIM_400000_NS6detail17trampoline_kernelINS0_14default_configENS1_35radix_sort_onesweep_config_selectorItNS0_10empty_typeEEEZZNS1_29radix_sort_onesweep_iterationIS3_Lb1EPtS8_PS5_S9_mNS0_19identity_decomposerENS1_16block_id_wrapperIjLb0EEEEE10hipError_tT1_PNSt15iterator_traitsISE_E10value_typeET2_T3_PNSF_ISK_E10value_typeET4_T5_PSP_SQ_PNS1_23onesweep_lookback_stateEbbT6_jjT7_P12ihipStream_tbENKUlT_T0_SE_SJ_E_clIS8_S8_S9_S9_EEDaSX_SY_SE_SJ_EUlSX_E_NS1_11comp_targetILNS1_3genE9ELNS1_11target_archE1100ELNS1_3gpuE3ELNS1_3repE0EEENS1_47radix_sort_onesweep_sort_config_static_selectorELNS0_4arch9wavefront6targetE1EEEvSE_ ; -- Begin function _ZN7rocprim17ROCPRIM_400000_NS6detail17trampoline_kernelINS0_14default_configENS1_35radix_sort_onesweep_config_selectorItNS0_10empty_typeEEEZZNS1_29radix_sort_onesweep_iterationIS3_Lb1EPtS8_PS5_S9_mNS0_19identity_decomposerENS1_16block_id_wrapperIjLb0EEEEE10hipError_tT1_PNSt15iterator_traitsISE_E10value_typeET2_T3_PNSF_ISK_E10value_typeET4_T5_PSP_SQ_PNS1_23onesweep_lookback_stateEbbT6_jjT7_P12ihipStream_tbENKUlT_T0_SE_SJ_E_clIS8_S8_S9_S9_EEDaSX_SY_SE_SJ_EUlSX_E_NS1_11comp_targetILNS1_3genE9ELNS1_11target_archE1100ELNS1_3gpuE3ELNS1_3repE0EEENS1_47radix_sort_onesweep_sort_config_static_selectorELNS0_4arch9wavefront6targetE1EEEvSE_
	.globl	_ZN7rocprim17ROCPRIM_400000_NS6detail17trampoline_kernelINS0_14default_configENS1_35radix_sort_onesweep_config_selectorItNS0_10empty_typeEEEZZNS1_29radix_sort_onesweep_iterationIS3_Lb1EPtS8_PS5_S9_mNS0_19identity_decomposerENS1_16block_id_wrapperIjLb0EEEEE10hipError_tT1_PNSt15iterator_traitsISE_E10value_typeET2_T3_PNSF_ISK_E10value_typeET4_T5_PSP_SQ_PNS1_23onesweep_lookback_stateEbbT6_jjT7_P12ihipStream_tbENKUlT_T0_SE_SJ_E_clIS8_S8_S9_S9_EEDaSX_SY_SE_SJ_EUlSX_E_NS1_11comp_targetILNS1_3genE9ELNS1_11target_archE1100ELNS1_3gpuE3ELNS1_3repE0EEENS1_47radix_sort_onesweep_sort_config_static_selectorELNS0_4arch9wavefront6targetE1EEEvSE_
	.p2align	8
	.type	_ZN7rocprim17ROCPRIM_400000_NS6detail17trampoline_kernelINS0_14default_configENS1_35radix_sort_onesweep_config_selectorItNS0_10empty_typeEEEZZNS1_29radix_sort_onesweep_iterationIS3_Lb1EPtS8_PS5_S9_mNS0_19identity_decomposerENS1_16block_id_wrapperIjLb0EEEEE10hipError_tT1_PNSt15iterator_traitsISE_E10value_typeET2_T3_PNSF_ISK_E10value_typeET4_T5_PSP_SQ_PNS1_23onesweep_lookback_stateEbbT6_jjT7_P12ihipStream_tbENKUlT_T0_SE_SJ_E_clIS8_S8_S9_S9_EEDaSX_SY_SE_SJ_EUlSX_E_NS1_11comp_targetILNS1_3genE9ELNS1_11target_archE1100ELNS1_3gpuE3ELNS1_3repE0EEENS1_47radix_sort_onesweep_sort_config_static_selectorELNS0_4arch9wavefront6targetE1EEEvSE_,@function
_ZN7rocprim17ROCPRIM_400000_NS6detail17trampoline_kernelINS0_14default_configENS1_35radix_sort_onesweep_config_selectorItNS0_10empty_typeEEEZZNS1_29radix_sort_onesweep_iterationIS3_Lb1EPtS8_PS5_S9_mNS0_19identity_decomposerENS1_16block_id_wrapperIjLb0EEEEE10hipError_tT1_PNSt15iterator_traitsISE_E10value_typeET2_T3_PNSF_ISK_E10value_typeET4_T5_PSP_SQ_PNS1_23onesweep_lookback_stateEbbT6_jjT7_P12ihipStream_tbENKUlT_T0_SE_SJ_E_clIS8_S8_S9_S9_EEDaSX_SY_SE_SJ_EUlSX_E_NS1_11comp_targetILNS1_3genE9ELNS1_11target_archE1100ELNS1_3gpuE3ELNS1_3repE0EEENS1_47radix_sort_onesweep_sort_config_static_selectorELNS0_4arch9wavefront6targetE1EEEvSE_: ; @_ZN7rocprim17ROCPRIM_400000_NS6detail17trampoline_kernelINS0_14default_configENS1_35radix_sort_onesweep_config_selectorItNS0_10empty_typeEEEZZNS1_29radix_sort_onesweep_iterationIS3_Lb1EPtS8_PS5_S9_mNS0_19identity_decomposerENS1_16block_id_wrapperIjLb0EEEEE10hipError_tT1_PNSt15iterator_traitsISE_E10value_typeET2_T3_PNSF_ISK_E10value_typeET4_T5_PSP_SQ_PNS1_23onesweep_lookback_stateEbbT6_jjT7_P12ihipStream_tbENKUlT_T0_SE_SJ_E_clIS8_S8_S9_S9_EEDaSX_SY_SE_SJ_EUlSX_E_NS1_11comp_targetILNS1_3genE9ELNS1_11target_archE1100ELNS1_3gpuE3ELNS1_3repE0EEENS1_47radix_sort_onesweep_sort_config_static_selectorELNS0_4arch9wavefront6targetE1EEEvSE_
; %bb.0:
	.section	.rodata,"a",@progbits
	.p2align	6, 0x0
	.amdhsa_kernel _ZN7rocprim17ROCPRIM_400000_NS6detail17trampoline_kernelINS0_14default_configENS1_35radix_sort_onesweep_config_selectorItNS0_10empty_typeEEEZZNS1_29radix_sort_onesweep_iterationIS3_Lb1EPtS8_PS5_S9_mNS0_19identity_decomposerENS1_16block_id_wrapperIjLb0EEEEE10hipError_tT1_PNSt15iterator_traitsISE_E10value_typeET2_T3_PNSF_ISK_E10value_typeET4_T5_PSP_SQ_PNS1_23onesweep_lookback_stateEbbT6_jjT7_P12ihipStream_tbENKUlT_T0_SE_SJ_E_clIS8_S8_S9_S9_EEDaSX_SY_SE_SJ_EUlSX_E_NS1_11comp_targetILNS1_3genE9ELNS1_11target_archE1100ELNS1_3gpuE3ELNS1_3repE0EEENS1_47radix_sort_onesweep_sort_config_static_selectorELNS0_4arch9wavefront6targetE1EEEvSE_
		.amdhsa_group_segment_fixed_size 0
		.amdhsa_private_segment_fixed_size 0
		.amdhsa_kernarg_size 88
		.amdhsa_user_sgpr_count 6
		.amdhsa_user_sgpr_private_segment_buffer 1
		.amdhsa_user_sgpr_dispatch_ptr 0
		.amdhsa_user_sgpr_queue_ptr 0
		.amdhsa_user_sgpr_kernarg_segment_ptr 1
		.amdhsa_user_sgpr_dispatch_id 0
		.amdhsa_user_sgpr_flat_scratch_init 0
		.amdhsa_user_sgpr_kernarg_preload_length 0
		.amdhsa_user_sgpr_kernarg_preload_offset 0
		.amdhsa_user_sgpr_private_segment_size 0
		.amdhsa_uses_dynamic_stack 0
		.amdhsa_system_sgpr_private_segment_wavefront_offset 0
		.amdhsa_system_sgpr_workgroup_id_x 1
		.amdhsa_system_sgpr_workgroup_id_y 0
		.amdhsa_system_sgpr_workgroup_id_z 0
		.amdhsa_system_sgpr_workgroup_info 0
		.amdhsa_system_vgpr_workitem_id 0
		.amdhsa_next_free_vgpr 1
		.amdhsa_next_free_sgpr 0
		.amdhsa_accum_offset 4
		.amdhsa_reserve_vcc 0
		.amdhsa_reserve_flat_scratch 0
		.amdhsa_float_round_mode_32 0
		.amdhsa_float_round_mode_16_64 0
		.amdhsa_float_denorm_mode_32 3
		.amdhsa_float_denorm_mode_16_64 3
		.amdhsa_dx10_clamp 1
		.amdhsa_ieee_mode 1
		.amdhsa_fp16_overflow 0
		.amdhsa_tg_split 0
		.amdhsa_exception_fp_ieee_invalid_op 0
		.amdhsa_exception_fp_denorm_src 0
		.amdhsa_exception_fp_ieee_div_zero 0
		.amdhsa_exception_fp_ieee_overflow 0
		.amdhsa_exception_fp_ieee_underflow 0
		.amdhsa_exception_fp_ieee_inexact 0
		.amdhsa_exception_int_div_zero 0
	.end_amdhsa_kernel
	.section	.text._ZN7rocprim17ROCPRIM_400000_NS6detail17trampoline_kernelINS0_14default_configENS1_35radix_sort_onesweep_config_selectorItNS0_10empty_typeEEEZZNS1_29radix_sort_onesweep_iterationIS3_Lb1EPtS8_PS5_S9_mNS0_19identity_decomposerENS1_16block_id_wrapperIjLb0EEEEE10hipError_tT1_PNSt15iterator_traitsISE_E10value_typeET2_T3_PNSF_ISK_E10value_typeET4_T5_PSP_SQ_PNS1_23onesweep_lookback_stateEbbT6_jjT7_P12ihipStream_tbENKUlT_T0_SE_SJ_E_clIS8_S8_S9_S9_EEDaSX_SY_SE_SJ_EUlSX_E_NS1_11comp_targetILNS1_3genE9ELNS1_11target_archE1100ELNS1_3gpuE3ELNS1_3repE0EEENS1_47radix_sort_onesweep_sort_config_static_selectorELNS0_4arch9wavefront6targetE1EEEvSE_,"axG",@progbits,_ZN7rocprim17ROCPRIM_400000_NS6detail17trampoline_kernelINS0_14default_configENS1_35radix_sort_onesweep_config_selectorItNS0_10empty_typeEEEZZNS1_29radix_sort_onesweep_iterationIS3_Lb1EPtS8_PS5_S9_mNS0_19identity_decomposerENS1_16block_id_wrapperIjLb0EEEEE10hipError_tT1_PNSt15iterator_traitsISE_E10value_typeET2_T3_PNSF_ISK_E10value_typeET4_T5_PSP_SQ_PNS1_23onesweep_lookback_stateEbbT6_jjT7_P12ihipStream_tbENKUlT_T0_SE_SJ_E_clIS8_S8_S9_S9_EEDaSX_SY_SE_SJ_EUlSX_E_NS1_11comp_targetILNS1_3genE9ELNS1_11target_archE1100ELNS1_3gpuE3ELNS1_3repE0EEENS1_47radix_sort_onesweep_sort_config_static_selectorELNS0_4arch9wavefront6targetE1EEEvSE_,comdat
.Lfunc_end1935:
	.size	_ZN7rocprim17ROCPRIM_400000_NS6detail17trampoline_kernelINS0_14default_configENS1_35radix_sort_onesweep_config_selectorItNS0_10empty_typeEEEZZNS1_29radix_sort_onesweep_iterationIS3_Lb1EPtS8_PS5_S9_mNS0_19identity_decomposerENS1_16block_id_wrapperIjLb0EEEEE10hipError_tT1_PNSt15iterator_traitsISE_E10value_typeET2_T3_PNSF_ISK_E10value_typeET4_T5_PSP_SQ_PNS1_23onesweep_lookback_stateEbbT6_jjT7_P12ihipStream_tbENKUlT_T0_SE_SJ_E_clIS8_S8_S9_S9_EEDaSX_SY_SE_SJ_EUlSX_E_NS1_11comp_targetILNS1_3genE9ELNS1_11target_archE1100ELNS1_3gpuE3ELNS1_3repE0EEENS1_47radix_sort_onesweep_sort_config_static_selectorELNS0_4arch9wavefront6targetE1EEEvSE_, .Lfunc_end1935-_ZN7rocprim17ROCPRIM_400000_NS6detail17trampoline_kernelINS0_14default_configENS1_35radix_sort_onesweep_config_selectorItNS0_10empty_typeEEEZZNS1_29radix_sort_onesweep_iterationIS3_Lb1EPtS8_PS5_S9_mNS0_19identity_decomposerENS1_16block_id_wrapperIjLb0EEEEE10hipError_tT1_PNSt15iterator_traitsISE_E10value_typeET2_T3_PNSF_ISK_E10value_typeET4_T5_PSP_SQ_PNS1_23onesweep_lookback_stateEbbT6_jjT7_P12ihipStream_tbENKUlT_T0_SE_SJ_E_clIS8_S8_S9_S9_EEDaSX_SY_SE_SJ_EUlSX_E_NS1_11comp_targetILNS1_3genE9ELNS1_11target_archE1100ELNS1_3gpuE3ELNS1_3repE0EEENS1_47radix_sort_onesweep_sort_config_static_selectorELNS0_4arch9wavefront6targetE1EEEvSE_
                                        ; -- End function
	.section	.AMDGPU.csdata,"",@progbits
; Kernel info:
; codeLenInByte = 0
; NumSgprs: 4
; NumVgprs: 0
; NumAgprs: 0
; TotalNumVgprs: 0
; ScratchSize: 0
; MemoryBound: 0
; FloatMode: 240
; IeeeMode: 1
; LDSByteSize: 0 bytes/workgroup (compile time only)
; SGPRBlocks: 0
; VGPRBlocks: 0
; NumSGPRsForWavesPerEU: 4
; NumVGPRsForWavesPerEU: 1
; AccumOffset: 4
; Occupancy: 8
; WaveLimiterHint : 0
; COMPUTE_PGM_RSRC2:SCRATCH_EN: 0
; COMPUTE_PGM_RSRC2:USER_SGPR: 6
; COMPUTE_PGM_RSRC2:TRAP_HANDLER: 0
; COMPUTE_PGM_RSRC2:TGID_X_EN: 1
; COMPUTE_PGM_RSRC2:TGID_Y_EN: 0
; COMPUTE_PGM_RSRC2:TGID_Z_EN: 0
; COMPUTE_PGM_RSRC2:TIDIG_COMP_CNT: 0
; COMPUTE_PGM_RSRC3_GFX90A:ACCUM_OFFSET: 0
; COMPUTE_PGM_RSRC3_GFX90A:TG_SPLIT: 0
	.section	.text._ZN7rocprim17ROCPRIM_400000_NS6detail17trampoline_kernelINS0_14default_configENS1_35radix_sort_onesweep_config_selectorItNS0_10empty_typeEEEZZNS1_29radix_sort_onesweep_iterationIS3_Lb1EPtS8_PS5_S9_mNS0_19identity_decomposerENS1_16block_id_wrapperIjLb0EEEEE10hipError_tT1_PNSt15iterator_traitsISE_E10value_typeET2_T3_PNSF_ISK_E10value_typeET4_T5_PSP_SQ_PNS1_23onesweep_lookback_stateEbbT6_jjT7_P12ihipStream_tbENKUlT_T0_SE_SJ_E_clIS8_S8_S9_S9_EEDaSX_SY_SE_SJ_EUlSX_E_NS1_11comp_targetILNS1_3genE8ELNS1_11target_archE1030ELNS1_3gpuE2ELNS1_3repE0EEENS1_47radix_sort_onesweep_sort_config_static_selectorELNS0_4arch9wavefront6targetE1EEEvSE_,"axG",@progbits,_ZN7rocprim17ROCPRIM_400000_NS6detail17trampoline_kernelINS0_14default_configENS1_35radix_sort_onesweep_config_selectorItNS0_10empty_typeEEEZZNS1_29radix_sort_onesweep_iterationIS3_Lb1EPtS8_PS5_S9_mNS0_19identity_decomposerENS1_16block_id_wrapperIjLb0EEEEE10hipError_tT1_PNSt15iterator_traitsISE_E10value_typeET2_T3_PNSF_ISK_E10value_typeET4_T5_PSP_SQ_PNS1_23onesweep_lookback_stateEbbT6_jjT7_P12ihipStream_tbENKUlT_T0_SE_SJ_E_clIS8_S8_S9_S9_EEDaSX_SY_SE_SJ_EUlSX_E_NS1_11comp_targetILNS1_3genE8ELNS1_11target_archE1030ELNS1_3gpuE2ELNS1_3repE0EEENS1_47radix_sort_onesweep_sort_config_static_selectorELNS0_4arch9wavefront6targetE1EEEvSE_,comdat
	.protected	_ZN7rocprim17ROCPRIM_400000_NS6detail17trampoline_kernelINS0_14default_configENS1_35radix_sort_onesweep_config_selectorItNS0_10empty_typeEEEZZNS1_29radix_sort_onesweep_iterationIS3_Lb1EPtS8_PS5_S9_mNS0_19identity_decomposerENS1_16block_id_wrapperIjLb0EEEEE10hipError_tT1_PNSt15iterator_traitsISE_E10value_typeET2_T3_PNSF_ISK_E10value_typeET4_T5_PSP_SQ_PNS1_23onesweep_lookback_stateEbbT6_jjT7_P12ihipStream_tbENKUlT_T0_SE_SJ_E_clIS8_S8_S9_S9_EEDaSX_SY_SE_SJ_EUlSX_E_NS1_11comp_targetILNS1_3genE8ELNS1_11target_archE1030ELNS1_3gpuE2ELNS1_3repE0EEENS1_47radix_sort_onesweep_sort_config_static_selectorELNS0_4arch9wavefront6targetE1EEEvSE_ ; -- Begin function _ZN7rocprim17ROCPRIM_400000_NS6detail17trampoline_kernelINS0_14default_configENS1_35radix_sort_onesweep_config_selectorItNS0_10empty_typeEEEZZNS1_29radix_sort_onesweep_iterationIS3_Lb1EPtS8_PS5_S9_mNS0_19identity_decomposerENS1_16block_id_wrapperIjLb0EEEEE10hipError_tT1_PNSt15iterator_traitsISE_E10value_typeET2_T3_PNSF_ISK_E10value_typeET4_T5_PSP_SQ_PNS1_23onesweep_lookback_stateEbbT6_jjT7_P12ihipStream_tbENKUlT_T0_SE_SJ_E_clIS8_S8_S9_S9_EEDaSX_SY_SE_SJ_EUlSX_E_NS1_11comp_targetILNS1_3genE8ELNS1_11target_archE1030ELNS1_3gpuE2ELNS1_3repE0EEENS1_47radix_sort_onesweep_sort_config_static_selectorELNS0_4arch9wavefront6targetE1EEEvSE_
	.globl	_ZN7rocprim17ROCPRIM_400000_NS6detail17trampoline_kernelINS0_14default_configENS1_35radix_sort_onesweep_config_selectorItNS0_10empty_typeEEEZZNS1_29radix_sort_onesweep_iterationIS3_Lb1EPtS8_PS5_S9_mNS0_19identity_decomposerENS1_16block_id_wrapperIjLb0EEEEE10hipError_tT1_PNSt15iterator_traitsISE_E10value_typeET2_T3_PNSF_ISK_E10value_typeET4_T5_PSP_SQ_PNS1_23onesweep_lookback_stateEbbT6_jjT7_P12ihipStream_tbENKUlT_T0_SE_SJ_E_clIS8_S8_S9_S9_EEDaSX_SY_SE_SJ_EUlSX_E_NS1_11comp_targetILNS1_3genE8ELNS1_11target_archE1030ELNS1_3gpuE2ELNS1_3repE0EEENS1_47radix_sort_onesweep_sort_config_static_selectorELNS0_4arch9wavefront6targetE1EEEvSE_
	.p2align	8
	.type	_ZN7rocprim17ROCPRIM_400000_NS6detail17trampoline_kernelINS0_14default_configENS1_35radix_sort_onesweep_config_selectorItNS0_10empty_typeEEEZZNS1_29radix_sort_onesweep_iterationIS3_Lb1EPtS8_PS5_S9_mNS0_19identity_decomposerENS1_16block_id_wrapperIjLb0EEEEE10hipError_tT1_PNSt15iterator_traitsISE_E10value_typeET2_T3_PNSF_ISK_E10value_typeET4_T5_PSP_SQ_PNS1_23onesweep_lookback_stateEbbT6_jjT7_P12ihipStream_tbENKUlT_T0_SE_SJ_E_clIS8_S8_S9_S9_EEDaSX_SY_SE_SJ_EUlSX_E_NS1_11comp_targetILNS1_3genE8ELNS1_11target_archE1030ELNS1_3gpuE2ELNS1_3repE0EEENS1_47radix_sort_onesweep_sort_config_static_selectorELNS0_4arch9wavefront6targetE1EEEvSE_,@function
_ZN7rocprim17ROCPRIM_400000_NS6detail17trampoline_kernelINS0_14default_configENS1_35radix_sort_onesweep_config_selectorItNS0_10empty_typeEEEZZNS1_29radix_sort_onesweep_iterationIS3_Lb1EPtS8_PS5_S9_mNS0_19identity_decomposerENS1_16block_id_wrapperIjLb0EEEEE10hipError_tT1_PNSt15iterator_traitsISE_E10value_typeET2_T3_PNSF_ISK_E10value_typeET4_T5_PSP_SQ_PNS1_23onesweep_lookback_stateEbbT6_jjT7_P12ihipStream_tbENKUlT_T0_SE_SJ_E_clIS8_S8_S9_S9_EEDaSX_SY_SE_SJ_EUlSX_E_NS1_11comp_targetILNS1_3genE8ELNS1_11target_archE1030ELNS1_3gpuE2ELNS1_3repE0EEENS1_47radix_sort_onesweep_sort_config_static_selectorELNS0_4arch9wavefront6targetE1EEEvSE_: ; @_ZN7rocprim17ROCPRIM_400000_NS6detail17trampoline_kernelINS0_14default_configENS1_35radix_sort_onesweep_config_selectorItNS0_10empty_typeEEEZZNS1_29radix_sort_onesweep_iterationIS3_Lb1EPtS8_PS5_S9_mNS0_19identity_decomposerENS1_16block_id_wrapperIjLb0EEEEE10hipError_tT1_PNSt15iterator_traitsISE_E10value_typeET2_T3_PNSF_ISK_E10value_typeET4_T5_PSP_SQ_PNS1_23onesweep_lookback_stateEbbT6_jjT7_P12ihipStream_tbENKUlT_T0_SE_SJ_E_clIS8_S8_S9_S9_EEDaSX_SY_SE_SJ_EUlSX_E_NS1_11comp_targetILNS1_3genE8ELNS1_11target_archE1030ELNS1_3gpuE2ELNS1_3repE0EEENS1_47radix_sort_onesweep_sort_config_static_selectorELNS0_4arch9wavefront6targetE1EEEvSE_
; %bb.0:
	.section	.rodata,"a",@progbits
	.p2align	6, 0x0
	.amdhsa_kernel _ZN7rocprim17ROCPRIM_400000_NS6detail17trampoline_kernelINS0_14default_configENS1_35radix_sort_onesweep_config_selectorItNS0_10empty_typeEEEZZNS1_29radix_sort_onesweep_iterationIS3_Lb1EPtS8_PS5_S9_mNS0_19identity_decomposerENS1_16block_id_wrapperIjLb0EEEEE10hipError_tT1_PNSt15iterator_traitsISE_E10value_typeET2_T3_PNSF_ISK_E10value_typeET4_T5_PSP_SQ_PNS1_23onesweep_lookback_stateEbbT6_jjT7_P12ihipStream_tbENKUlT_T0_SE_SJ_E_clIS8_S8_S9_S9_EEDaSX_SY_SE_SJ_EUlSX_E_NS1_11comp_targetILNS1_3genE8ELNS1_11target_archE1030ELNS1_3gpuE2ELNS1_3repE0EEENS1_47radix_sort_onesweep_sort_config_static_selectorELNS0_4arch9wavefront6targetE1EEEvSE_
		.amdhsa_group_segment_fixed_size 0
		.amdhsa_private_segment_fixed_size 0
		.amdhsa_kernarg_size 88
		.amdhsa_user_sgpr_count 6
		.amdhsa_user_sgpr_private_segment_buffer 1
		.amdhsa_user_sgpr_dispatch_ptr 0
		.amdhsa_user_sgpr_queue_ptr 0
		.amdhsa_user_sgpr_kernarg_segment_ptr 1
		.amdhsa_user_sgpr_dispatch_id 0
		.amdhsa_user_sgpr_flat_scratch_init 0
		.amdhsa_user_sgpr_kernarg_preload_length 0
		.amdhsa_user_sgpr_kernarg_preload_offset 0
		.amdhsa_user_sgpr_private_segment_size 0
		.amdhsa_uses_dynamic_stack 0
		.amdhsa_system_sgpr_private_segment_wavefront_offset 0
		.amdhsa_system_sgpr_workgroup_id_x 1
		.amdhsa_system_sgpr_workgroup_id_y 0
		.amdhsa_system_sgpr_workgroup_id_z 0
		.amdhsa_system_sgpr_workgroup_info 0
		.amdhsa_system_vgpr_workitem_id 0
		.amdhsa_next_free_vgpr 1
		.amdhsa_next_free_sgpr 0
		.amdhsa_accum_offset 4
		.amdhsa_reserve_vcc 0
		.amdhsa_reserve_flat_scratch 0
		.amdhsa_float_round_mode_32 0
		.amdhsa_float_round_mode_16_64 0
		.amdhsa_float_denorm_mode_32 3
		.amdhsa_float_denorm_mode_16_64 3
		.amdhsa_dx10_clamp 1
		.amdhsa_ieee_mode 1
		.amdhsa_fp16_overflow 0
		.amdhsa_tg_split 0
		.amdhsa_exception_fp_ieee_invalid_op 0
		.amdhsa_exception_fp_denorm_src 0
		.amdhsa_exception_fp_ieee_div_zero 0
		.amdhsa_exception_fp_ieee_overflow 0
		.amdhsa_exception_fp_ieee_underflow 0
		.amdhsa_exception_fp_ieee_inexact 0
		.amdhsa_exception_int_div_zero 0
	.end_amdhsa_kernel
	.section	.text._ZN7rocprim17ROCPRIM_400000_NS6detail17trampoline_kernelINS0_14default_configENS1_35radix_sort_onesweep_config_selectorItNS0_10empty_typeEEEZZNS1_29radix_sort_onesweep_iterationIS3_Lb1EPtS8_PS5_S9_mNS0_19identity_decomposerENS1_16block_id_wrapperIjLb0EEEEE10hipError_tT1_PNSt15iterator_traitsISE_E10value_typeET2_T3_PNSF_ISK_E10value_typeET4_T5_PSP_SQ_PNS1_23onesweep_lookback_stateEbbT6_jjT7_P12ihipStream_tbENKUlT_T0_SE_SJ_E_clIS8_S8_S9_S9_EEDaSX_SY_SE_SJ_EUlSX_E_NS1_11comp_targetILNS1_3genE8ELNS1_11target_archE1030ELNS1_3gpuE2ELNS1_3repE0EEENS1_47radix_sort_onesweep_sort_config_static_selectorELNS0_4arch9wavefront6targetE1EEEvSE_,"axG",@progbits,_ZN7rocprim17ROCPRIM_400000_NS6detail17trampoline_kernelINS0_14default_configENS1_35radix_sort_onesweep_config_selectorItNS0_10empty_typeEEEZZNS1_29radix_sort_onesweep_iterationIS3_Lb1EPtS8_PS5_S9_mNS0_19identity_decomposerENS1_16block_id_wrapperIjLb0EEEEE10hipError_tT1_PNSt15iterator_traitsISE_E10value_typeET2_T3_PNSF_ISK_E10value_typeET4_T5_PSP_SQ_PNS1_23onesweep_lookback_stateEbbT6_jjT7_P12ihipStream_tbENKUlT_T0_SE_SJ_E_clIS8_S8_S9_S9_EEDaSX_SY_SE_SJ_EUlSX_E_NS1_11comp_targetILNS1_3genE8ELNS1_11target_archE1030ELNS1_3gpuE2ELNS1_3repE0EEENS1_47radix_sort_onesweep_sort_config_static_selectorELNS0_4arch9wavefront6targetE1EEEvSE_,comdat
.Lfunc_end1936:
	.size	_ZN7rocprim17ROCPRIM_400000_NS6detail17trampoline_kernelINS0_14default_configENS1_35radix_sort_onesweep_config_selectorItNS0_10empty_typeEEEZZNS1_29radix_sort_onesweep_iterationIS3_Lb1EPtS8_PS5_S9_mNS0_19identity_decomposerENS1_16block_id_wrapperIjLb0EEEEE10hipError_tT1_PNSt15iterator_traitsISE_E10value_typeET2_T3_PNSF_ISK_E10value_typeET4_T5_PSP_SQ_PNS1_23onesweep_lookback_stateEbbT6_jjT7_P12ihipStream_tbENKUlT_T0_SE_SJ_E_clIS8_S8_S9_S9_EEDaSX_SY_SE_SJ_EUlSX_E_NS1_11comp_targetILNS1_3genE8ELNS1_11target_archE1030ELNS1_3gpuE2ELNS1_3repE0EEENS1_47radix_sort_onesweep_sort_config_static_selectorELNS0_4arch9wavefront6targetE1EEEvSE_, .Lfunc_end1936-_ZN7rocprim17ROCPRIM_400000_NS6detail17trampoline_kernelINS0_14default_configENS1_35radix_sort_onesweep_config_selectorItNS0_10empty_typeEEEZZNS1_29radix_sort_onesweep_iterationIS3_Lb1EPtS8_PS5_S9_mNS0_19identity_decomposerENS1_16block_id_wrapperIjLb0EEEEE10hipError_tT1_PNSt15iterator_traitsISE_E10value_typeET2_T3_PNSF_ISK_E10value_typeET4_T5_PSP_SQ_PNS1_23onesweep_lookback_stateEbbT6_jjT7_P12ihipStream_tbENKUlT_T0_SE_SJ_E_clIS8_S8_S9_S9_EEDaSX_SY_SE_SJ_EUlSX_E_NS1_11comp_targetILNS1_3genE8ELNS1_11target_archE1030ELNS1_3gpuE2ELNS1_3repE0EEENS1_47radix_sort_onesweep_sort_config_static_selectorELNS0_4arch9wavefront6targetE1EEEvSE_
                                        ; -- End function
	.section	.AMDGPU.csdata,"",@progbits
; Kernel info:
; codeLenInByte = 0
; NumSgprs: 4
; NumVgprs: 0
; NumAgprs: 0
; TotalNumVgprs: 0
; ScratchSize: 0
; MemoryBound: 0
; FloatMode: 240
; IeeeMode: 1
; LDSByteSize: 0 bytes/workgroup (compile time only)
; SGPRBlocks: 0
; VGPRBlocks: 0
; NumSGPRsForWavesPerEU: 4
; NumVGPRsForWavesPerEU: 1
; AccumOffset: 4
; Occupancy: 8
; WaveLimiterHint : 0
; COMPUTE_PGM_RSRC2:SCRATCH_EN: 0
; COMPUTE_PGM_RSRC2:USER_SGPR: 6
; COMPUTE_PGM_RSRC2:TRAP_HANDLER: 0
; COMPUTE_PGM_RSRC2:TGID_X_EN: 1
; COMPUTE_PGM_RSRC2:TGID_Y_EN: 0
; COMPUTE_PGM_RSRC2:TGID_Z_EN: 0
; COMPUTE_PGM_RSRC2:TIDIG_COMP_CNT: 0
; COMPUTE_PGM_RSRC3_GFX90A:ACCUM_OFFSET: 0
; COMPUTE_PGM_RSRC3_GFX90A:TG_SPLIT: 0
	.section	.text._ZN7rocprim17ROCPRIM_400000_NS6detail17trampoline_kernelINS0_13kernel_configILj256ELj4ELj4294967295EEENS1_37radix_sort_block_sort_config_selectorIiNS0_10empty_typeEEEZNS1_21radix_sort_block_sortIS4_Lb1EPiS9_PS6_SA_NS0_19identity_decomposerEEE10hipError_tT1_T2_T3_T4_jRjT5_jjP12ihipStream_tbEUlT_E_NS1_11comp_targetILNS1_3genE0ELNS1_11target_archE4294967295ELNS1_3gpuE0ELNS1_3repE0EEENS1_44radix_sort_block_sort_config_static_selectorELNS0_4arch9wavefront6targetE1EEEvSD_,"axG",@progbits,_ZN7rocprim17ROCPRIM_400000_NS6detail17trampoline_kernelINS0_13kernel_configILj256ELj4ELj4294967295EEENS1_37radix_sort_block_sort_config_selectorIiNS0_10empty_typeEEEZNS1_21radix_sort_block_sortIS4_Lb1EPiS9_PS6_SA_NS0_19identity_decomposerEEE10hipError_tT1_T2_T3_T4_jRjT5_jjP12ihipStream_tbEUlT_E_NS1_11comp_targetILNS1_3genE0ELNS1_11target_archE4294967295ELNS1_3gpuE0ELNS1_3repE0EEENS1_44radix_sort_block_sort_config_static_selectorELNS0_4arch9wavefront6targetE1EEEvSD_,comdat
	.protected	_ZN7rocprim17ROCPRIM_400000_NS6detail17trampoline_kernelINS0_13kernel_configILj256ELj4ELj4294967295EEENS1_37radix_sort_block_sort_config_selectorIiNS0_10empty_typeEEEZNS1_21radix_sort_block_sortIS4_Lb1EPiS9_PS6_SA_NS0_19identity_decomposerEEE10hipError_tT1_T2_T3_T4_jRjT5_jjP12ihipStream_tbEUlT_E_NS1_11comp_targetILNS1_3genE0ELNS1_11target_archE4294967295ELNS1_3gpuE0ELNS1_3repE0EEENS1_44radix_sort_block_sort_config_static_selectorELNS0_4arch9wavefront6targetE1EEEvSD_ ; -- Begin function _ZN7rocprim17ROCPRIM_400000_NS6detail17trampoline_kernelINS0_13kernel_configILj256ELj4ELj4294967295EEENS1_37radix_sort_block_sort_config_selectorIiNS0_10empty_typeEEEZNS1_21radix_sort_block_sortIS4_Lb1EPiS9_PS6_SA_NS0_19identity_decomposerEEE10hipError_tT1_T2_T3_T4_jRjT5_jjP12ihipStream_tbEUlT_E_NS1_11comp_targetILNS1_3genE0ELNS1_11target_archE4294967295ELNS1_3gpuE0ELNS1_3repE0EEENS1_44radix_sort_block_sort_config_static_selectorELNS0_4arch9wavefront6targetE1EEEvSD_
	.globl	_ZN7rocprim17ROCPRIM_400000_NS6detail17trampoline_kernelINS0_13kernel_configILj256ELj4ELj4294967295EEENS1_37radix_sort_block_sort_config_selectorIiNS0_10empty_typeEEEZNS1_21radix_sort_block_sortIS4_Lb1EPiS9_PS6_SA_NS0_19identity_decomposerEEE10hipError_tT1_T2_T3_T4_jRjT5_jjP12ihipStream_tbEUlT_E_NS1_11comp_targetILNS1_3genE0ELNS1_11target_archE4294967295ELNS1_3gpuE0ELNS1_3repE0EEENS1_44radix_sort_block_sort_config_static_selectorELNS0_4arch9wavefront6targetE1EEEvSD_
	.p2align	8
	.type	_ZN7rocprim17ROCPRIM_400000_NS6detail17trampoline_kernelINS0_13kernel_configILj256ELj4ELj4294967295EEENS1_37radix_sort_block_sort_config_selectorIiNS0_10empty_typeEEEZNS1_21radix_sort_block_sortIS4_Lb1EPiS9_PS6_SA_NS0_19identity_decomposerEEE10hipError_tT1_T2_T3_T4_jRjT5_jjP12ihipStream_tbEUlT_E_NS1_11comp_targetILNS1_3genE0ELNS1_11target_archE4294967295ELNS1_3gpuE0ELNS1_3repE0EEENS1_44radix_sort_block_sort_config_static_selectorELNS0_4arch9wavefront6targetE1EEEvSD_,@function
_ZN7rocprim17ROCPRIM_400000_NS6detail17trampoline_kernelINS0_13kernel_configILj256ELj4ELj4294967295EEENS1_37radix_sort_block_sort_config_selectorIiNS0_10empty_typeEEEZNS1_21radix_sort_block_sortIS4_Lb1EPiS9_PS6_SA_NS0_19identity_decomposerEEE10hipError_tT1_T2_T3_T4_jRjT5_jjP12ihipStream_tbEUlT_E_NS1_11comp_targetILNS1_3genE0ELNS1_11target_archE4294967295ELNS1_3gpuE0ELNS1_3repE0EEENS1_44radix_sort_block_sort_config_static_selectorELNS0_4arch9wavefront6targetE1EEEvSD_: ; @_ZN7rocprim17ROCPRIM_400000_NS6detail17trampoline_kernelINS0_13kernel_configILj256ELj4ELj4294967295EEENS1_37radix_sort_block_sort_config_selectorIiNS0_10empty_typeEEEZNS1_21radix_sort_block_sortIS4_Lb1EPiS9_PS6_SA_NS0_19identity_decomposerEEE10hipError_tT1_T2_T3_T4_jRjT5_jjP12ihipStream_tbEUlT_E_NS1_11comp_targetILNS1_3genE0ELNS1_11target_archE4294967295ELNS1_3gpuE0ELNS1_3repE0EEENS1_44radix_sort_block_sort_config_static_selectorELNS0_4arch9wavefront6targetE1EEEvSD_
; %bb.0:
	.section	.rodata,"a",@progbits
	.p2align	6, 0x0
	.amdhsa_kernel _ZN7rocprim17ROCPRIM_400000_NS6detail17trampoline_kernelINS0_13kernel_configILj256ELj4ELj4294967295EEENS1_37radix_sort_block_sort_config_selectorIiNS0_10empty_typeEEEZNS1_21radix_sort_block_sortIS4_Lb1EPiS9_PS6_SA_NS0_19identity_decomposerEEE10hipError_tT1_T2_T3_T4_jRjT5_jjP12ihipStream_tbEUlT_E_NS1_11comp_targetILNS1_3genE0ELNS1_11target_archE4294967295ELNS1_3gpuE0ELNS1_3repE0EEENS1_44radix_sort_block_sort_config_static_selectorELNS0_4arch9wavefront6targetE1EEEvSD_
		.amdhsa_group_segment_fixed_size 0
		.amdhsa_private_segment_fixed_size 0
		.amdhsa_kernarg_size 48
		.amdhsa_user_sgpr_count 6
		.amdhsa_user_sgpr_private_segment_buffer 1
		.amdhsa_user_sgpr_dispatch_ptr 0
		.amdhsa_user_sgpr_queue_ptr 0
		.amdhsa_user_sgpr_kernarg_segment_ptr 1
		.amdhsa_user_sgpr_dispatch_id 0
		.amdhsa_user_sgpr_flat_scratch_init 0
		.amdhsa_user_sgpr_kernarg_preload_length 0
		.amdhsa_user_sgpr_kernarg_preload_offset 0
		.amdhsa_user_sgpr_private_segment_size 0
		.amdhsa_uses_dynamic_stack 0
		.amdhsa_system_sgpr_private_segment_wavefront_offset 0
		.amdhsa_system_sgpr_workgroup_id_x 1
		.amdhsa_system_sgpr_workgroup_id_y 0
		.amdhsa_system_sgpr_workgroup_id_z 0
		.amdhsa_system_sgpr_workgroup_info 0
		.amdhsa_system_vgpr_workitem_id 0
		.amdhsa_next_free_vgpr 1
		.amdhsa_next_free_sgpr 0
		.amdhsa_accum_offset 4
		.amdhsa_reserve_vcc 0
		.amdhsa_reserve_flat_scratch 0
		.amdhsa_float_round_mode_32 0
		.amdhsa_float_round_mode_16_64 0
		.amdhsa_float_denorm_mode_32 3
		.amdhsa_float_denorm_mode_16_64 3
		.amdhsa_dx10_clamp 1
		.amdhsa_ieee_mode 1
		.amdhsa_fp16_overflow 0
		.amdhsa_tg_split 0
		.amdhsa_exception_fp_ieee_invalid_op 0
		.amdhsa_exception_fp_denorm_src 0
		.amdhsa_exception_fp_ieee_div_zero 0
		.amdhsa_exception_fp_ieee_overflow 0
		.amdhsa_exception_fp_ieee_underflow 0
		.amdhsa_exception_fp_ieee_inexact 0
		.amdhsa_exception_int_div_zero 0
	.end_amdhsa_kernel
	.section	.text._ZN7rocprim17ROCPRIM_400000_NS6detail17trampoline_kernelINS0_13kernel_configILj256ELj4ELj4294967295EEENS1_37radix_sort_block_sort_config_selectorIiNS0_10empty_typeEEEZNS1_21radix_sort_block_sortIS4_Lb1EPiS9_PS6_SA_NS0_19identity_decomposerEEE10hipError_tT1_T2_T3_T4_jRjT5_jjP12ihipStream_tbEUlT_E_NS1_11comp_targetILNS1_3genE0ELNS1_11target_archE4294967295ELNS1_3gpuE0ELNS1_3repE0EEENS1_44radix_sort_block_sort_config_static_selectorELNS0_4arch9wavefront6targetE1EEEvSD_,"axG",@progbits,_ZN7rocprim17ROCPRIM_400000_NS6detail17trampoline_kernelINS0_13kernel_configILj256ELj4ELj4294967295EEENS1_37radix_sort_block_sort_config_selectorIiNS0_10empty_typeEEEZNS1_21radix_sort_block_sortIS4_Lb1EPiS9_PS6_SA_NS0_19identity_decomposerEEE10hipError_tT1_T2_T3_T4_jRjT5_jjP12ihipStream_tbEUlT_E_NS1_11comp_targetILNS1_3genE0ELNS1_11target_archE4294967295ELNS1_3gpuE0ELNS1_3repE0EEENS1_44radix_sort_block_sort_config_static_selectorELNS0_4arch9wavefront6targetE1EEEvSD_,comdat
.Lfunc_end1937:
	.size	_ZN7rocprim17ROCPRIM_400000_NS6detail17trampoline_kernelINS0_13kernel_configILj256ELj4ELj4294967295EEENS1_37radix_sort_block_sort_config_selectorIiNS0_10empty_typeEEEZNS1_21radix_sort_block_sortIS4_Lb1EPiS9_PS6_SA_NS0_19identity_decomposerEEE10hipError_tT1_T2_T3_T4_jRjT5_jjP12ihipStream_tbEUlT_E_NS1_11comp_targetILNS1_3genE0ELNS1_11target_archE4294967295ELNS1_3gpuE0ELNS1_3repE0EEENS1_44radix_sort_block_sort_config_static_selectorELNS0_4arch9wavefront6targetE1EEEvSD_, .Lfunc_end1937-_ZN7rocprim17ROCPRIM_400000_NS6detail17trampoline_kernelINS0_13kernel_configILj256ELj4ELj4294967295EEENS1_37radix_sort_block_sort_config_selectorIiNS0_10empty_typeEEEZNS1_21radix_sort_block_sortIS4_Lb1EPiS9_PS6_SA_NS0_19identity_decomposerEEE10hipError_tT1_T2_T3_T4_jRjT5_jjP12ihipStream_tbEUlT_E_NS1_11comp_targetILNS1_3genE0ELNS1_11target_archE4294967295ELNS1_3gpuE0ELNS1_3repE0EEENS1_44radix_sort_block_sort_config_static_selectorELNS0_4arch9wavefront6targetE1EEEvSD_
                                        ; -- End function
	.section	.AMDGPU.csdata,"",@progbits
; Kernel info:
; codeLenInByte = 0
; NumSgprs: 4
; NumVgprs: 0
; NumAgprs: 0
; TotalNumVgprs: 0
; ScratchSize: 0
; MemoryBound: 0
; FloatMode: 240
; IeeeMode: 1
; LDSByteSize: 0 bytes/workgroup (compile time only)
; SGPRBlocks: 0
; VGPRBlocks: 0
; NumSGPRsForWavesPerEU: 4
; NumVGPRsForWavesPerEU: 1
; AccumOffset: 4
; Occupancy: 8
; WaveLimiterHint : 0
; COMPUTE_PGM_RSRC2:SCRATCH_EN: 0
; COMPUTE_PGM_RSRC2:USER_SGPR: 6
; COMPUTE_PGM_RSRC2:TRAP_HANDLER: 0
; COMPUTE_PGM_RSRC2:TGID_X_EN: 1
; COMPUTE_PGM_RSRC2:TGID_Y_EN: 0
; COMPUTE_PGM_RSRC2:TGID_Z_EN: 0
; COMPUTE_PGM_RSRC2:TIDIG_COMP_CNT: 0
; COMPUTE_PGM_RSRC3_GFX90A:ACCUM_OFFSET: 0
; COMPUTE_PGM_RSRC3_GFX90A:TG_SPLIT: 0
	.section	.text._ZN7rocprim17ROCPRIM_400000_NS6detail17trampoline_kernelINS0_13kernel_configILj256ELj4ELj4294967295EEENS1_37radix_sort_block_sort_config_selectorIiNS0_10empty_typeEEEZNS1_21radix_sort_block_sortIS4_Lb1EPiS9_PS6_SA_NS0_19identity_decomposerEEE10hipError_tT1_T2_T3_T4_jRjT5_jjP12ihipStream_tbEUlT_E_NS1_11comp_targetILNS1_3genE5ELNS1_11target_archE942ELNS1_3gpuE9ELNS1_3repE0EEENS1_44radix_sort_block_sort_config_static_selectorELNS0_4arch9wavefront6targetE1EEEvSD_,"axG",@progbits,_ZN7rocprim17ROCPRIM_400000_NS6detail17trampoline_kernelINS0_13kernel_configILj256ELj4ELj4294967295EEENS1_37radix_sort_block_sort_config_selectorIiNS0_10empty_typeEEEZNS1_21radix_sort_block_sortIS4_Lb1EPiS9_PS6_SA_NS0_19identity_decomposerEEE10hipError_tT1_T2_T3_T4_jRjT5_jjP12ihipStream_tbEUlT_E_NS1_11comp_targetILNS1_3genE5ELNS1_11target_archE942ELNS1_3gpuE9ELNS1_3repE0EEENS1_44radix_sort_block_sort_config_static_selectorELNS0_4arch9wavefront6targetE1EEEvSD_,comdat
	.protected	_ZN7rocprim17ROCPRIM_400000_NS6detail17trampoline_kernelINS0_13kernel_configILj256ELj4ELj4294967295EEENS1_37radix_sort_block_sort_config_selectorIiNS0_10empty_typeEEEZNS1_21radix_sort_block_sortIS4_Lb1EPiS9_PS6_SA_NS0_19identity_decomposerEEE10hipError_tT1_T2_T3_T4_jRjT5_jjP12ihipStream_tbEUlT_E_NS1_11comp_targetILNS1_3genE5ELNS1_11target_archE942ELNS1_3gpuE9ELNS1_3repE0EEENS1_44radix_sort_block_sort_config_static_selectorELNS0_4arch9wavefront6targetE1EEEvSD_ ; -- Begin function _ZN7rocprim17ROCPRIM_400000_NS6detail17trampoline_kernelINS0_13kernel_configILj256ELj4ELj4294967295EEENS1_37radix_sort_block_sort_config_selectorIiNS0_10empty_typeEEEZNS1_21radix_sort_block_sortIS4_Lb1EPiS9_PS6_SA_NS0_19identity_decomposerEEE10hipError_tT1_T2_T3_T4_jRjT5_jjP12ihipStream_tbEUlT_E_NS1_11comp_targetILNS1_3genE5ELNS1_11target_archE942ELNS1_3gpuE9ELNS1_3repE0EEENS1_44radix_sort_block_sort_config_static_selectorELNS0_4arch9wavefront6targetE1EEEvSD_
	.globl	_ZN7rocprim17ROCPRIM_400000_NS6detail17trampoline_kernelINS0_13kernel_configILj256ELj4ELj4294967295EEENS1_37radix_sort_block_sort_config_selectorIiNS0_10empty_typeEEEZNS1_21radix_sort_block_sortIS4_Lb1EPiS9_PS6_SA_NS0_19identity_decomposerEEE10hipError_tT1_T2_T3_T4_jRjT5_jjP12ihipStream_tbEUlT_E_NS1_11comp_targetILNS1_3genE5ELNS1_11target_archE942ELNS1_3gpuE9ELNS1_3repE0EEENS1_44radix_sort_block_sort_config_static_selectorELNS0_4arch9wavefront6targetE1EEEvSD_
	.p2align	8
	.type	_ZN7rocprim17ROCPRIM_400000_NS6detail17trampoline_kernelINS0_13kernel_configILj256ELj4ELj4294967295EEENS1_37radix_sort_block_sort_config_selectorIiNS0_10empty_typeEEEZNS1_21radix_sort_block_sortIS4_Lb1EPiS9_PS6_SA_NS0_19identity_decomposerEEE10hipError_tT1_T2_T3_T4_jRjT5_jjP12ihipStream_tbEUlT_E_NS1_11comp_targetILNS1_3genE5ELNS1_11target_archE942ELNS1_3gpuE9ELNS1_3repE0EEENS1_44radix_sort_block_sort_config_static_selectorELNS0_4arch9wavefront6targetE1EEEvSD_,@function
_ZN7rocprim17ROCPRIM_400000_NS6detail17trampoline_kernelINS0_13kernel_configILj256ELj4ELj4294967295EEENS1_37radix_sort_block_sort_config_selectorIiNS0_10empty_typeEEEZNS1_21radix_sort_block_sortIS4_Lb1EPiS9_PS6_SA_NS0_19identity_decomposerEEE10hipError_tT1_T2_T3_T4_jRjT5_jjP12ihipStream_tbEUlT_E_NS1_11comp_targetILNS1_3genE5ELNS1_11target_archE942ELNS1_3gpuE9ELNS1_3repE0EEENS1_44radix_sort_block_sort_config_static_selectorELNS0_4arch9wavefront6targetE1EEEvSD_: ; @_ZN7rocprim17ROCPRIM_400000_NS6detail17trampoline_kernelINS0_13kernel_configILj256ELj4ELj4294967295EEENS1_37radix_sort_block_sort_config_selectorIiNS0_10empty_typeEEEZNS1_21radix_sort_block_sortIS4_Lb1EPiS9_PS6_SA_NS0_19identity_decomposerEEE10hipError_tT1_T2_T3_T4_jRjT5_jjP12ihipStream_tbEUlT_E_NS1_11comp_targetILNS1_3genE5ELNS1_11target_archE942ELNS1_3gpuE9ELNS1_3repE0EEENS1_44radix_sort_block_sort_config_static_selectorELNS0_4arch9wavefront6targetE1EEEvSD_
; %bb.0:
	.section	.rodata,"a",@progbits
	.p2align	6, 0x0
	.amdhsa_kernel _ZN7rocprim17ROCPRIM_400000_NS6detail17trampoline_kernelINS0_13kernel_configILj256ELj4ELj4294967295EEENS1_37radix_sort_block_sort_config_selectorIiNS0_10empty_typeEEEZNS1_21radix_sort_block_sortIS4_Lb1EPiS9_PS6_SA_NS0_19identity_decomposerEEE10hipError_tT1_T2_T3_T4_jRjT5_jjP12ihipStream_tbEUlT_E_NS1_11comp_targetILNS1_3genE5ELNS1_11target_archE942ELNS1_3gpuE9ELNS1_3repE0EEENS1_44radix_sort_block_sort_config_static_selectorELNS0_4arch9wavefront6targetE1EEEvSD_
		.amdhsa_group_segment_fixed_size 0
		.amdhsa_private_segment_fixed_size 0
		.amdhsa_kernarg_size 48
		.amdhsa_user_sgpr_count 6
		.amdhsa_user_sgpr_private_segment_buffer 1
		.amdhsa_user_sgpr_dispatch_ptr 0
		.amdhsa_user_sgpr_queue_ptr 0
		.amdhsa_user_sgpr_kernarg_segment_ptr 1
		.amdhsa_user_sgpr_dispatch_id 0
		.amdhsa_user_sgpr_flat_scratch_init 0
		.amdhsa_user_sgpr_kernarg_preload_length 0
		.amdhsa_user_sgpr_kernarg_preload_offset 0
		.amdhsa_user_sgpr_private_segment_size 0
		.amdhsa_uses_dynamic_stack 0
		.amdhsa_system_sgpr_private_segment_wavefront_offset 0
		.amdhsa_system_sgpr_workgroup_id_x 1
		.amdhsa_system_sgpr_workgroup_id_y 0
		.amdhsa_system_sgpr_workgroup_id_z 0
		.amdhsa_system_sgpr_workgroup_info 0
		.amdhsa_system_vgpr_workitem_id 0
		.amdhsa_next_free_vgpr 1
		.amdhsa_next_free_sgpr 0
		.amdhsa_accum_offset 4
		.amdhsa_reserve_vcc 0
		.amdhsa_reserve_flat_scratch 0
		.amdhsa_float_round_mode_32 0
		.amdhsa_float_round_mode_16_64 0
		.amdhsa_float_denorm_mode_32 3
		.amdhsa_float_denorm_mode_16_64 3
		.amdhsa_dx10_clamp 1
		.amdhsa_ieee_mode 1
		.amdhsa_fp16_overflow 0
		.amdhsa_tg_split 0
		.amdhsa_exception_fp_ieee_invalid_op 0
		.amdhsa_exception_fp_denorm_src 0
		.amdhsa_exception_fp_ieee_div_zero 0
		.amdhsa_exception_fp_ieee_overflow 0
		.amdhsa_exception_fp_ieee_underflow 0
		.amdhsa_exception_fp_ieee_inexact 0
		.amdhsa_exception_int_div_zero 0
	.end_amdhsa_kernel
	.section	.text._ZN7rocprim17ROCPRIM_400000_NS6detail17trampoline_kernelINS0_13kernel_configILj256ELj4ELj4294967295EEENS1_37radix_sort_block_sort_config_selectorIiNS0_10empty_typeEEEZNS1_21radix_sort_block_sortIS4_Lb1EPiS9_PS6_SA_NS0_19identity_decomposerEEE10hipError_tT1_T2_T3_T4_jRjT5_jjP12ihipStream_tbEUlT_E_NS1_11comp_targetILNS1_3genE5ELNS1_11target_archE942ELNS1_3gpuE9ELNS1_3repE0EEENS1_44radix_sort_block_sort_config_static_selectorELNS0_4arch9wavefront6targetE1EEEvSD_,"axG",@progbits,_ZN7rocprim17ROCPRIM_400000_NS6detail17trampoline_kernelINS0_13kernel_configILj256ELj4ELj4294967295EEENS1_37radix_sort_block_sort_config_selectorIiNS0_10empty_typeEEEZNS1_21radix_sort_block_sortIS4_Lb1EPiS9_PS6_SA_NS0_19identity_decomposerEEE10hipError_tT1_T2_T3_T4_jRjT5_jjP12ihipStream_tbEUlT_E_NS1_11comp_targetILNS1_3genE5ELNS1_11target_archE942ELNS1_3gpuE9ELNS1_3repE0EEENS1_44radix_sort_block_sort_config_static_selectorELNS0_4arch9wavefront6targetE1EEEvSD_,comdat
.Lfunc_end1938:
	.size	_ZN7rocprim17ROCPRIM_400000_NS6detail17trampoline_kernelINS0_13kernel_configILj256ELj4ELj4294967295EEENS1_37radix_sort_block_sort_config_selectorIiNS0_10empty_typeEEEZNS1_21radix_sort_block_sortIS4_Lb1EPiS9_PS6_SA_NS0_19identity_decomposerEEE10hipError_tT1_T2_T3_T4_jRjT5_jjP12ihipStream_tbEUlT_E_NS1_11comp_targetILNS1_3genE5ELNS1_11target_archE942ELNS1_3gpuE9ELNS1_3repE0EEENS1_44radix_sort_block_sort_config_static_selectorELNS0_4arch9wavefront6targetE1EEEvSD_, .Lfunc_end1938-_ZN7rocprim17ROCPRIM_400000_NS6detail17trampoline_kernelINS0_13kernel_configILj256ELj4ELj4294967295EEENS1_37radix_sort_block_sort_config_selectorIiNS0_10empty_typeEEEZNS1_21radix_sort_block_sortIS4_Lb1EPiS9_PS6_SA_NS0_19identity_decomposerEEE10hipError_tT1_T2_T3_T4_jRjT5_jjP12ihipStream_tbEUlT_E_NS1_11comp_targetILNS1_3genE5ELNS1_11target_archE942ELNS1_3gpuE9ELNS1_3repE0EEENS1_44radix_sort_block_sort_config_static_selectorELNS0_4arch9wavefront6targetE1EEEvSD_
                                        ; -- End function
	.section	.AMDGPU.csdata,"",@progbits
; Kernel info:
; codeLenInByte = 0
; NumSgprs: 4
; NumVgprs: 0
; NumAgprs: 0
; TotalNumVgprs: 0
; ScratchSize: 0
; MemoryBound: 0
; FloatMode: 240
; IeeeMode: 1
; LDSByteSize: 0 bytes/workgroup (compile time only)
; SGPRBlocks: 0
; VGPRBlocks: 0
; NumSGPRsForWavesPerEU: 4
; NumVGPRsForWavesPerEU: 1
; AccumOffset: 4
; Occupancy: 8
; WaveLimiterHint : 0
; COMPUTE_PGM_RSRC2:SCRATCH_EN: 0
; COMPUTE_PGM_RSRC2:USER_SGPR: 6
; COMPUTE_PGM_RSRC2:TRAP_HANDLER: 0
; COMPUTE_PGM_RSRC2:TGID_X_EN: 1
; COMPUTE_PGM_RSRC2:TGID_Y_EN: 0
; COMPUTE_PGM_RSRC2:TGID_Z_EN: 0
; COMPUTE_PGM_RSRC2:TIDIG_COMP_CNT: 0
; COMPUTE_PGM_RSRC3_GFX90A:ACCUM_OFFSET: 0
; COMPUTE_PGM_RSRC3_GFX90A:TG_SPLIT: 0
	.section	.text._ZN7rocprim17ROCPRIM_400000_NS6detail17trampoline_kernelINS0_13kernel_configILj256ELj4ELj4294967295EEENS1_37radix_sort_block_sort_config_selectorIiNS0_10empty_typeEEEZNS1_21radix_sort_block_sortIS4_Lb1EPiS9_PS6_SA_NS0_19identity_decomposerEEE10hipError_tT1_T2_T3_T4_jRjT5_jjP12ihipStream_tbEUlT_E_NS1_11comp_targetILNS1_3genE4ELNS1_11target_archE910ELNS1_3gpuE8ELNS1_3repE0EEENS1_44radix_sort_block_sort_config_static_selectorELNS0_4arch9wavefront6targetE1EEEvSD_,"axG",@progbits,_ZN7rocprim17ROCPRIM_400000_NS6detail17trampoline_kernelINS0_13kernel_configILj256ELj4ELj4294967295EEENS1_37radix_sort_block_sort_config_selectorIiNS0_10empty_typeEEEZNS1_21radix_sort_block_sortIS4_Lb1EPiS9_PS6_SA_NS0_19identity_decomposerEEE10hipError_tT1_T2_T3_T4_jRjT5_jjP12ihipStream_tbEUlT_E_NS1_11comp_targetILNS1_3genE4ELNS1_11target_archE910ELNS1_3gpuE8ELNS1_3repE0EEENS1_44radix_sort_block_sort_config_static_selectorELNS0_4arch9wavefront6targetE1EEEvSD_,comdat
	.protected	_ZN7rocprim17ROCPRIM_400000_NS6detail17trampoline_kernelINS0_13kernel_configILj256ELj4ELj4294967295EEENS1_37radix_sort_block_sort_config_selectorIiNS0_10empty_typeEEEZNS1_21radix_sort_block_sortIS4_Lb1EPiS9_PS6_SA_NS0_19identity_decomposerEEE10hipError_tT1_T2_T3_T4_jRjT5_jjP12ihipStream_tbEUlT_E_NS1_11comp_targetILNS1_3genE4ELNS1_11target_archE910ELNS1_3gpuE8ELNS1_3repE0EEENS1_44radix_sort_block_sort_config_static_selectorELNS0_4arch9wavefront6targetE1EEEvSD_ ; -- Begin function _ZN7rocprim17ROCPRIM_400000_NS6detail17trampoline_kernelINS0_13kernel_configILj256ELj4ELj4294967295EEENS1_37radix_sort_block_sort_config_selectorIiNS0_10empty_typeEEEZNS1_21radix_sort_block_sortIS4_Lb1EPiS9_PS6_SA_NS0_19identity_decomposerEEE10hipError_tT1_T2_T3_T4_jRjT5_jjP12ihipStream_tbEUlT_E_NS1_11comp_targetILNS1_3genE4ELNS1_11target_archE910ELNS1_3gpuE8ELNS1_3repE0EEENS1_44radix_sort_block_sort_config_static_selectorELNS0_4arch9wavefront6targetE1EEEvSD_
	.globl	_ZN7rocprim17ROCPRIM_400000_NS6detail17trampoline_kernelINS0_13kernel_configILj256ELj4ELj4294967295EEENS1_37radix_sort_block_sort_config_selectorIiNS0_10empty_typeEEEZNS1_21radix_sort_block_sortIS4_Lb1EPiS9_PS6_SA_NS0_19identity_decomposerEEE10hipError_tT1_T2_T3_T4_jRjT5_jjP12ihipStream_tbEUlT_E_NS1_11comp_targetILNS1_3genE4ELNS1_11target_archE910ELNS1_3gpuE8ELNS1_3repE0EEENS1_44radix_sort_block_sort_config_static_selectorELNS0_4arch9wavefront6targetE1EEEvSD_
	.p2align	8
	.type	_ZN7rocprim17ROCPRIM_400000_NS6detail17trampoline_kernelINS0_13kernel_configILj256ELj4ELj4294967295EEENS1_37radix_sort_block_sort_config_selectorIiNS0_10empty_typeEEEZNS1_21radix_sort_block_sortIS4_Lb1EPiS9_PS6_SA_NS0_19identity_decomposerEEE10hipError_tT1_T2_T3_T4_jRjT5_jjP12ihipStream_tbEUlT_E_NS1_11comp_targetILNS1_3genE4ELNS1_11target_archE910ELNS1_3gpuE8ELNS1_3repE0EEENS1_44radix_sort_block_sort_config_static_selectorELNS0_4arch9wavefront6targetE1EEEvSD_,@function
_ZN7rocprim17ROCPRIM_400000_NS6detail17trampoline_kernelINS0_13kernel_configILj256ELj4ELj4294967295EEENS1_37radix_sort_block_sort_config_selectorIiNS0_10empty_typeEEEZNS1_21radix_sort_block_sortIS4_Lb1EPiS9_PS6_SA_NS0_19identity_decomposerEEE10hipError_tT1_T2_T3_T4_jRjT5_jjP12ihipStream_tbEUlT_E_NS1_11comp_targetILNS1_3genE4ELNS1_11target_archE910ELNS1_3gpuE8ELNS1_3repE0EEENS1_44radix_sort_block_sort_config_static_selectorELNS0_4arch9wavefront6targetE1EEEvSD_: ; @_ZN7rocprim17ROCPRIM_400000_NS6detail17trampoline_kernelINS0_13kernel_configILj256ELj4ELj4294967295EEENS1_37radix_sort_block_sort_config_selectorIiNS0_10empty_typeEEEZNS1_21radix_sort_block_sortIS4_Lb1EPiS9_PS6_SA_NS0_19identity_decomposerEEE10hipError_tT1_T2_T3_T4_jRjT5_jjP12ihipStream_tbEUlT_E_NS1_11comp_targetILNS1_3genE4ELNS1_11target_archE910ELNS1_3gpuE8ELNS1_3repE0EEENS1_44radix_sort_block_sort_config_static_selectorELNS0_4arch9wavefront6targetE1EEEvSD_
; %bb.0:
	s_load_dword s7, s[4:5], 0x20
	s_load_dwordx4 s[28:31], s[4:5], 0x0
	s_lshl_b32 s0, s6, 10
	s_mov_b32 s1, 0
	v_mbcnt_lo_u32_b32 v1, -1, 0
	s_waitcnt lgkmcnt(0)
	s_lshr_b32 s2, s7, 10
	s_cmp_lg_u32 s6, s2
	s_cselect_b64 s[34:35], -1, 0
	s_lshl_b64 s[36:37], s[0:1], 2
	v_mbcnt_hi_u32_b32 v1, -1, v1
	v_and_b32_e32 v6, 0x3ff, v0
	s_add_u32 s1, s28, s36
	v_and_b32_e32 v10, 63, v1
	s_addc_u32 s3, s29, s37
	v_lshlrev_b32_e32 v7, 2, v6
	v_lshlrev_b32_e32 v2, 2, v10
	v_and_b32_e32 v11, 0x300, v7
	v_mov_b32_e32 v3, s3
	v_add_co_u32_e32 v2, vcc, s1, v2
	v_addc_co_u32_e32 v3, vcc, 0, v3, vcc
	v_lshlrev_b32_e32 v4, 2, v11
	v_add_co_u32_e32 v8, vcc, v2, v4
	s_cmp_eq_u32 s6, s2
	v_addc_co_u32_e32 v9, vcc, 0, v3, vcc
	v_or_b32_e32 v12, v10, v11
	s_cbranch_scc1 .LBB1939_2
; %bb.1:
	global_load_dword v2, v[8:9], off
	global_load_dword v3, v[8:9], off offset:256
	global_load_dword v4, v[8:9], off offset:512
	;; [unrolled: 1-line block ×3, first 2 shown]
	v_or_b32_e32 v18, v10, v11
	v_or_b32_e32 v10, 64, v18
	;; [unrolled: 1-line block ×4, first 2 shown]
	s_load_dwordx2 s[28:29], s[4:5], 0x28
	s_sub_i32 s33, s7, s0
	s_cbranch_execz .LBB1939_3
	s_branch .LBB1939_12
.LBB1939_2:
                                        ; implicit-def: $vgpr2_vgpr3_vgpr4_vgpr5
                                        ; implicit-def: $vgpr18
                                        ; implicit-def: $vgpr10
                                        ; implicit-def: $vgpr11
                                        ; implicit-def: $vgpr21
	s_load_dwordx2 s[28:29], s[4:5], 0x28
	s_sub_i32 s33, s7, s0
.LBB1939_3:
	s_brev_b32 s0, 1
	s_mov_b32 s2, s0
	s_mov_b32 s3, s0
	;; [unrolled: 1-line block ×3, first 2 shown]
	s_waitcnt vmcnt(0)
	v_pk_mov_b32 v[4:5], s[2:3], s[2:3] op_sel:[0,1]
	v_cmp_gt_u32_e32 vcc, s33, v12
	v_pk_mov_b32 v[2:3], s[0:1], s[0:1] op_sel:[0,1]
	s_and_saveexec_b64 s[0:1], vcc
	s_cbranch_execz .LBB1939_5
; %bb.4:
	global_load_dword v2, v[8:9], off
	v_bfrev_b32_e32 v3, 1
	v_mov_b32_e32 v4, v3
	v_mov_b32_e32 v5, v3
.LBB1939_5:
	s_or_b64 exec, exec, s[0:1]
	v_or_b32_e32 v10, 64, v12
	v_cmp_gt_u32_e32 vcc, s33, v10
	s_and_saveexec_b64 s[0:1], vcc
	s_cbranch_execz .LBB1939_7
; %bb.6:
	global_load_dword v3, v[8:9], off offset:256
.LBB1939_7:
	s_or_b64 exec, exec, s[0:1]
	v_or_b32_e32 v11, 0x80, v12
	v_cmp_gt_u32_e32 vcc, s33, v11
	s_and_saveexec_b64 s[0:1], vcc
	s_cbranch_execz .LBB1939_9
; %bb.8:
	global_load_dword v4, v[8:9], off offset:512
.LBB1939_9:
	;; [unrolled: 8-line block ×3, first 2 shown]
	s_or_b64 exec, exec, s[0:1]
	v_mov_b32_e32 v18, v12
.LBB1939_12:
	s_load_dword s2, s[4:5], 0x3c
	s_waitcnt lgkmcnt(0)
	s_add_i32 s38, s29, s28
	s_getpc_b64 s[0:1]
	s_add_u32 s0, s0, _ZN7rocprim17ROCPRIM_400000_NS16block_radix_sortIiLj256ELj4ENS0_10empty_typeELj1ELj1ELj0ELNS0_26block_radix_rank_algorithmE1ELNS0_18block_padding_hintE2ELNS0_4arch9wavefront6targetE1EE19radix_bits_per_passE@rel32@lo+4
	s_addc_u32 s1, s1, _ZN7rocprim17ROCPRIM_400000_NS16block_radix_sortIiLj256ELj4ENS0_10empty_typeELj1ELj1ELj0ELNS0_26block_radix_rank_algorithmE1ELNS0_18block_padding_hintE2ELNS0_4arch9wavefront6targetE1EE19radix_bits_per_passE@rel32@hi+12
	s_waitcnt vmcnt(0)
	v_xor_b32_e32 v26, 0x7fffffff, v4
	s_load_dword s39, s[0:1], 0x0
	s_lshr_b32 s0, s2, 16
	v_bfe_u32 v4, v0, 10, 10
	v_bfe_u32 v0, v0, 20, 10
	s_and_b32 s1, s2, 0xffff
	v_mad_u32_u24 v0, v0, s0, v4
	v_xor_b32_e32 v27, 0x7fffffff, v5
	v_mad_u64_u32 v[4:5], s[0:1], v0, s1, v[6:7]
	v_and_b32_e32 v0, 15, v1
	v_cmp_eq_u32_e64 s[0:1], 0, v0
	v_cmp_lt_u32_e64 s[2:3], 1, v0
	v_cmp_lt_u32_e64 s[4:5], 3, v0
	;; [unrolled: 1-line block ×3, first 2 shown]
	v_and_b32_e32 v0, 16, v1
	v_cmp_eq_u32_e64 s[8:9], 0, v0
	v_and_b32_e32 v0, 0x3c0, v6
	v_min_u32_e32 v0, 0xc0, v0
	v_or_b32_e32 v0, 63, v0
	v_lshrrev_b32_e32 v13, 6, v4
	v_cmp_eq_u32_e64 s[12:13], v0, v6
	v_add_u32_e32 v0, -1, v1
	v_and_b32_e32 v4, 64, v1
	v_cmp_lt_i32_e32 vcc, v0, v4
	v_cndmask_b32_e32 v0, v0, v1, vcc
	s_mov_b32 s26, 0
	v_lshlrev_b32_e32 v15, 2, v0
	v_lshrrev_b32_e32 v0, 4, v6
	v_and_b32_e32 v16, 60, v0
	v_and_b32_e32 v0, 3, v1
	s_mov_b32 s27, s26
	s_mov_b32 s40, s26
	;; [unrolled: 1-line block ×3, first 2 shown]
	v_xor_b32_e32 v2, 0x7fffffff, v2
	v_xor_b32_e32 v3, 0x7fffffff, v3
	v_lshlrev_b32_e32 v12, 2, v7
	v_cmp_lt_u32_e64 s[10:11], 31, v1
	v_cmp_gt_u32_e64 s[14:15], 4, v6
	v_cmp_lt_u32_e64 s[16:17], 63, v6
	v_cmp_eq_u32_e64 s[18:19], 0, v1
	v_cmp_eq_u32_e64 s[20:21], 0, v6
	v_mul_i32_i24_e32 v14, -12, v6
	v_cmp_eq_u32_e64 s[22:23], 0, v0
	v_cmp_lt_u32_e64 s[24:25], 1, v0
	v_add_u32_e32 v17, -4, v16
	v_lshlrev_b32_e32 v18, 2, v18
	v_lshlrev_b32_e32 v19, 2, v10
	;; [unrolled: 1-line block ×4, first 2 shown]
	v_pk_mov_b32 v[4:5], s[26:27], s[26:27] op_sel:[0,1]
	v_pk_mov_b32 v[8:9], s[40:41], s[40:41] op_sel:[0,1]
	v_mov_b32_e32 v10, 0
	s_branch .LBB1939_14
.LBB1939_13:                            ;   in Loop: Header=BB1939_14 Depth=1
	s_barrier
	ds_write_b32 v0, v25
	ds_write_b32 v1, v24
	;; [unrolled: 1-line block ×4, first 2 shown]
	s_waitcnt lgkmcnt(0)
	s_barrier
	ds_read_b32 v2, v18
	ds_read_b32 v3, v19
	;; [unrolled: 1-line block ×4, first 2 shown]
	s_add_i32 s29, s29, -8
	s_waitcnt lgkmcnt(0)
	s_barrier
	s_cbranch_execz .LBB1939_30
.LBB1939_14:                            ; =>This Inner Loop Header: Depth=1
	s_waitcnt lgkmcnt(0)
	s_min_u32 s26, s39, s29
	v_mov_b32_e32 v25, v2
	s_lshl_b32 s26, -1, s26
	s_not_b32 s40, s26
	v_lshrrev_b32_e32 v0, s28, v25
	v_and_b32_e32 v0, s40, v0
	v_lshl_add_u32 v1, v0, 2, v13
	v_mov_b32_e32 v23, v26
	v_lshl_add_u32 v26, v1, 2, 16
	v_and_b32_e32 v1, 1, v0
	v_add_co_u32_e32 v2, vcc, -1, v1
	v_mov_b32_e32 v24, v3
	v_addc_co_u32_e64 v3, s[26:27], 0, -1, vcc
	v_cmp_ne_u32_e32 vcc, 0, v1
	v_lshlrev_b32_e32 v11, 30, v0
	v_xor_b32_e32 v1, vcc_hi, v3
	v_not_b32_e32 v3, v11
	v_xor_b32_e32 v2, vcc_lo, v2
	v_cmp_gt_i64_e32 vcc, 0, v[10:11]
	v_ashrrev_i32_e32 v3, 31, v3
	v_and_b32_e32 v1, exec_hi, v1
	v_xor_b32_e32 v11, vcc_hi, v3
	v_and_b32_e32 v2, exec_lo, v2
	v_xor_b32_e32 v3, vcc_lo, v3
	v_and_b32_e32 v1, v1, v11
	v_lshlrev_b32_e32 v11, 29, v0
	v_and_b32_e32 v2, v2, v3
	v_not_b32_e32 v3, v11
	v_cmp_gt_i64_e32 vcc, 0, v[10:11]
	v_ashrrev_i32_e32 v3, 31, v3
	v_xor_b32_e32 v11, vcc_hi, v3
	v_xor_b32_e32 v3, vcc_lo, v3
	v_and_b32_e32 v1, v1, v11
	v_lshlrev_b32_e32 v11, 28, v0
	v_and_b32_e32 v2, v2, v3
	v_not_b32_e32 v3, v11
	v_cmp_gt_i64_e32 vcc, 0, v[10:11]
	v_ashrrev_i32_e32 v3, 31, v3
	v_xor_b32_e32 v11, vcc_hi, v3
	;; [unrolled: 8-line block ×5, first 2 shown]
	v_and_b32_e32 v1, v1, v11
	v_lshlrev_b32_e32 v11, 24, v0
	v_not_b32_e32 v0, v11
	v_xor_b32_e32 v3, vcc_lo, v3
	v_cmp_gt_i64_e32 vcc, 0, v[10:11]
	v_ashrrev_i32_e32 v0, 31, v0
	v_and_b32_e32 v2, v2, v3
	v_xor_b32_e32 v3, vcc_hi, v0
	v_xor_b32_e32 v0, vcc_lo, v0
	v_and_b32_e32 v0, v2, v0
	v_and_b32_e32 v1, v1, v3
	v_mbcnt_lo_u32_b32 v2, v0, 0
	v_mov_b32_e32 v22, v27
	v_mbcnt_hi_u32_b32 v27, v1, v2
	v_cmp_eq_u32_e32 vcc, 0, v27
	v_cmp_ne_u64_e64 s[26:27], 0, v[0:1]
	s_and_b64 s[42:43], s[26:27], vcc
	ds_write2_b64 v12, v[4:5], v[8:9] offset0:2 offset1:3
	s_waitcnt lgkmcnt(0)
	s_barrier
	s_waitcnt lgkmcnt(0)
	; wave barrier
	s_and_saveexec_b64 s[26:27], s[42:43]
	s_cbranch_execz .LBB1939_16
; %bb.15:                               ;   in Loop: Header=BB1939_14 Depth=1
	v_bcnt_u32_b32 v0, v0, 0
	v_bcnt_u32_b32 v0, v1, v0
	ds_write_b32 v26, v0
.LBB1939_16:                            ;   in Loop: Header=BB1939_14 Depth=1
	s_or_b64 exec, exec, s[26:27]
	v_lshrrev_b32_e32 v0, s28, v24
	v_and_b32_e32 v0, s40, v0
	v_lshlrev_b32_e32 v1, 2, v0
	v_add_lshl_u32 v1, v1, v13, 2
	; wave barrier
	v_add_u32_e32 v29, 16, v1
	ds_read_b32 v28, v1 offset:16
	v_and_b32_e32 v1, 1, v0
	v_add_co_u32_e32 v2, vcc, -1, v1
	v_addc_co_u32_e64 v3, s[26:27], 0, -1, vcc
	v_cmp_ne_u32_e32 vcc, 0, v1
	v_lshlrev_b32_e32 v11, 30, v0
	v_xor_b32_e32 v1, vcc_hi, v3
	v_not_b32_e32 v3, v11
	v_xor_b32_e32 v2, vcc_lo, v2
	v_cmp_gt_i64_e32 vcc, 0, v[10:11]
	v_ashrrev_i32_e32 v3, 31, v3
	v_and_b32_e32 v1, exec_hi, v1
	v_xor_b32_e32 v11, vcc_hi, v3
	v_and_b32_e32 v2, exec_lo, v2
	v_xor_b32_e32 v3, vcc_lo, v3
	v_and_b32_e32 v1, v1, v11
	v_lshlrev_b32_e32 v11, 29, v0
	v_and_b32_e32 v2, v2, v3
	v_not_b32_e32 v3, v11
	v_cmp_gt_i64_e32 vcc, 0, v[10:11]
	v_ashrrev_i32_e32 v3, 31, v3
	v_xor_b32_e32 v11, vcc_hi, v3
	v_xor_b32_e32 v3, vcc_lo, v3
	v_and_b32_e32 v1, v1, v11
	v_lshlrev_b32_e32 v11, 28, v0
	v_and_b32_e32 v2, v2, v3
	v_not_b32_e32 v3, v11
	v_cmp_gt_i64_e32 vcc, 0, v[10:11]
	v_ashrrev_i32_e32 v3, 31, v3
	v_xor_b32_e32 v11, vcc_hi, v3
	;; [unrolled: 8-line block ×5, first 2 shown]
	v_and_b32_e32 v1, v1, v11
	v_lshlrev_b32_e32 v11, 24, v0
	v_not_b32_e32 v0, v11
	v_xor_b32_e32 v3, vcc_lo, v3
	v_cmp_gt_i64_e32 vcc, 0, v[10:11]
	v_ashrrev_i32_e32 v0, 31, v0
	v_and_b32_e32 v2, v2, v3
	v_xor_b32_e32 v3, vcc_hi, v0
	v_xor_b32_e32 v0, vcc_lo, v0
	v_and_b32_e32 v0, v2, v0
	v_and_b32_e32 v1, v1, v3
	v_mbcnt_lo_u32_b32 v2, v0, 0
	v_mbcnt_hi_u32_b32 v30, v1, v2
	v_cmp_eq_u32_e32 vcc, 0, v30
	v_cmp_ne_u64_e64 s[26:27], 0, v[0:1]
	s_and_b64 s[42:43], s[26:27], vcc
	; wave barrier
	s_and_saveexec_b64 s[26:27], s[42:43]
	s_cbranch_execz .LBB1939_18
; %bb.17:                               ;   in Loop: Header=BB1939_14 Depth=1
	v_bcnt_u32_b32 v0, v0, 0
	v_bcnt_u32_b32 v0, v1, v0
	s_waitcnt lgkmcnt(0)
	v_add_u32_e32 v0, v28, v0
	ds_write_b32 v29, v0
.LBB1939_18:                            ;   in Loop: Header=BB1939_14 Depth=1
	s_or_b64 exec, exec, s[26:27]
	v_lshrrev_b32_e32 v0, s28, v23
	v_and_b32_e32 v0, s40, v0
	v_lshlrev_b32_e32 v1, 2, v0
	v_add_lshl_u32 v1, v1, v13, 2
	; wave barrier
	v_add_u32_e32 v32, 16, v1
	ds_read_b32 v31, v1 offset:16
	v_and_b32_e32 v1, 1, v0
	v_add_co_u32_e32 v2, vcc, -1, v1
	v_addc_co_u32_e64 v3, s[26:27], 0, -1, vcc
	v_cmp_ne_u32_e32 vcc, 0, v1
	v_lshlrev_b32_e32 v11, 30, v0
	v_xor_b32_e32 v1, vcc_hi, v3
	v_not_b32_e32 v3, v11
	v_xor_b32_e32 v2, vcc_lo, v2
	v_cmp_gt_i64_e32 vcc, 0, v[10:11]
	v_ashrrev_i32_e32 v3, 31, v3
	v_and_b32_e32 v1, exec_hi, v1
	v_xor_b32_e32 v11, vcc_hi, v3
	v_and_b32_e32 v2, exec_lo, v2
	v_xor_b32_e32 v3, vcc_lo, v3
	v_and_b32_e32 v1, v1, v11
	v_lshlrev_b32_e32 v11, 29, v0
	v_and_b32_e32 v2, v2, v3
	v_not_b32_e32 v3, v11
	v_cmp_gt_i64_e32 vcc, 0, v[10:11]
	v_ashrrev_i32_e32 v3, 31, v3
	v_xor_b32_e32 v11, vcc_hi, v3
	v_xor_b32_e32 v3, vcc_lo, v3
	v_and_b32_e32 v1, v1, v11
	v_lshlrev_b32_e32 v11, 28, v0
	v_and_b32_e32 v2, v2, v3
	v_not_b32_e32 v3, v11
	v_cmp_gt_i64_e32 vcc, 0, v[10:11]
	v_ashrrev_i32_e32 v3, 31, v3
	v_xor_b32_e32 v11, vcc_hi, v3
	;; [unrolled: 8-line block ×5, first 2 shown]
	v_and_b32_e32 v1, v1, v11
	v_lshlrev_b32_e32 v11, 24, v0
	v_not_b32_e32 v0, v11
	v_xor_b32_e32 v3, vcc_lo, v3
	v_cmp_gt_i64_e32 vcc, 0, v[10:11]
	v_ashrrev_i32_e32 v0, 31, v0
	v_and_b32_e32 v2, v2, v3
	v_xor_b32_e32 v3, vcc_hi, v0
	v_xor_b32_e32 v0, vcc_lo, v0
	v_and_b32_e32 v0, v2, v0
	v_and_b32_e32 v1, v1, v3
	v_mbcnt_lo_u32_b32 v2, v0, 0
	v_mbcnt_hi_u32_b32 v33, v1, v2
	v_cmp_eq_u32_e32 vcc, 0, v33
	v_cmp_ne_u64_e64 s[26:27], 0, v[0:1]
	s_and_b64 s[42:43], s[26:27], vcc
	; wave barrier
	s_and_saveexec_b64 s[26:27], s[42:43]
	s_cbranch_execz .LBB1939_20
; %bb.19:                               ;   in Loop: Header=BB1939_14 Depth=1
	v_bcnt_u32_b32 v0, v0, 0
	v_bcnt_u32_b32 v0, v1, v0
	s_waitcnt lgkmcnt(0)
	v_add_u32_e32 v0, v31, v0
	ds_write_b32 v32, v0
.LBB1939_20:                            ;   in Loop: Header=BB1939_14 Depth=1
	s_or_b64 exec, exec, s[26:27]
	v_lshrrev_b32_e32 v0, s28, v22
	v_and_b32_e32 v0, s40, v0
	v_lshlrev_b32_e32 v1, 2, v0
	v_add_lshl_u32 v1, v1, v13, 2
	; wave barrier
	v_add_u32_e32 v35, 16, v1
	ds_read_b32 v34, v1 offset:16
	v_and_b32_e32 v1, 1, v0
	v_add_co_u32_e32 v2, vcc, -1, v1
	v_addc_co_u32_e64 v3, s[26:27], 0, -1, vcc
	v_cmp_ne_u32_e32 vcc, 0, v1
	v_lshlrev_b32_e32 v11, 30, v0
	v_xor_b32_e32 v1, vcc_hi, v3
	v_not_b32_e32 v3, v11
	v_xor_b32_e32 v2, vcc_lo, v2
	v_cmp_gt_i64_e32 vcc, 0, v[10:11]
	v_ashrrev_i32_e32 v3, 31, v3
	v_and_b32_e32 v1, exec_hi, v1
	v_xor_b32_e32 v11, vcc_hi, v3
	v_and_b32_e32 v2, exec_lo, v2
	v_xor_b32_e32 v3, vcc_lo, v3
	v_and_b32_e32 v1, v1, v11
	v_lshlrev_b32_e32 v11, 29, v0
	v_and_b32_e32 v2, v2, v3
	v_not_b32_e32 v3, v11
	v_cmp_gt_i64_e32 vcc, 0, v[10:11]
	v_ashrrev_i32_e32 v3, 31, v3
	v_xor_b32_e32 v11, vcc_hi, v3
	v_xor_b32_e32 v3, vcc_lo, v3
	v_and_b32_e32 v1, v1, v11
	v_lshlrev_b32_e32 v11, 28, v0
	v_and_b32_e32 v2, v2, v3
	v_not_b32_e32 v3, v11
	v_cmp_gt_i64_e32 vcc, 0, v[10:11]
	v_ashrrev_i32_e32 v3, 31, v3
	v_xor_b32_e32 v11, vcc_hi, v3
	;; [unrolled: 8-line block ×5, first 2 shown]
	v_and_b32_e32 v1, v1, v11
	v_lshlrev_b32_e32 v11, 24, v0
	v_not_b32_e32 v0, v11
	v_xor_b32_e32 v3, vcc_lo, v3
	v_cmp_gt_i64_e32 vcc, 0, v[10:11]
	v_ashrrev_i32_e32 v0, 31, v0
	v_and_b32_e32 v2, v2, v3
	v_xor_b32_e32 v3, vcc_hi, v0
	v_xor_b32_e32 v0, vcc_lo, v0
	v_and_b32_e32 v0, v2, v0
	v_and_b32_e32 v1, v1, v3
	v_mbcnt_lo_u32_b32 v2, v0, 0
	v_mbcnt_hi_u32_b32 v11, v1, v2
	v_cmp_eq_u32_e32 vcc, 0, v11
	v_cmp_ne_u64_e64 s[26:27], 0, v[0:1]
	s_and_b64 s[40:41], s[26:27], vcc
	; wave barrier
	s_and_saveexec_b64 s[26:27], s[40:41]
	s_cbranch_execz .LBB1939_22
; %bb.21:                               ;   in Loop: Header=BB1939_14 Depth=1
	v_bcnt_u32_b32 v0, v0, 0
	v_bcnt_u32_b32 v0, v1, v0
	s_waitcnt lgkmcnt(0)
	v_add_u32_e32 v0, v34, v0
	ds_write_b32 v35, v0
.LBB1939_22:                            ;   in Loop: Header=BB1939_14 Depth=1
	s_or_b64 exec, exec, s[26:27]
	; wave barrier
	s_waitcnt lgkmcnt(0)
	s_barrier
	ds_read2_b64 v[0:3], v12 offset0:2 offset1:3
	s_waitcnt lgkmcnt(0)
	v_add_u32_e32 v36, v1, v0
	v_add3_u32 v3, v36, v2, v3
	s_nop 1
	v_mov_b32_dpp v36, v3 row_shr:1 row_mask:0xf bank_mask:0xf
	v_cndmask_b32_e64 v36, v36, 0, s[0:1]
	v_add_u32_e32 v3, v36, v3
	s_nop 1
	v_mov_b32_dpp v36, v3 row_shr:2 row_mask:0xf bank_mask:0xf
	v_cndmask_b32_e64 v36, 0, v36, s[2:3]
	v_add_u32_e32 v3, v3, v36
	;; [unrolled: 4-line block ×4, first 2 shown]
	s_nop 1
	v_mov_b32_dpp v36, v3 row_bcast:15 row_mask:0xf bank_mask:0xf
	v_cndmask_b32_e64 v36, v36, 0, s[8:9]
	v_add_u32_e32 v3, v3, v36
	s_nop 1
	v_mov_b32_dpp v36, v3 row_bcast:31 row_mask:0xf bank_mask:0xf
	v_cndmask_b32_e64 v36, 0, v36, s[10:11]
	v_add_u32_e32 v3, v3, v36
	s_and_saveexec_b64 s[26:27], s[12:13]
	s_cbranch_execz .LBB1939_24
; %bb.23:                               ;   in Loop: Header=BB1939_14 Depth=1
	ds_write_b32 v16, v3
.LBB1939_24:                            ;   in Loop: Header=BB1939_14 Depth=1
	s_or_b64 exec, exec, s[26:27]
	s_waitcnt lgkmcnt(0)
	s_barrier
	s_and_saveexec_b64 s[26:27], s[14:15]
	s_cbranch_execz .LBB1939_26
; %bb.25:                               ;   in Loop: Header=BB1939_14 Depth=1
	v_add_u32_e32 v36, v12, v14
	ds_read_b32 v37, v36
	s_waitcnt lgkmcnt(0)
	s_nop 0
	v_mov_b32_dpp v38, v37 row_shr:1 row_mask:0xf bank_mask:0xf
	v_cndmask_b32_e64 v38, v38, 0, s[22:23]
	v_add_u32_e32 v37, v38, v37
	s_nop 1
	v_mov_b32_dpp v38, v37 row_shr:2 row_mask:0xf bank_mask:0xf
	v_cndmask_b32_e64 v38, 0, v38, s[24:25]
	v_add_u32_e32 v37, v37, v38
	ds_write_b32 v36, v37
.LBB1939_26:                            ;   in Loop: Header=BB1939_14 Depth=1
	s_or_b64 exec, exec, s[26:27]
	v_mov_b32_e32 v36, 0
	s_waitcnt lgkmcnt(0)
	s_barrier
	s_and_saveexec_b64 s[26:27], s[16:17]
	s_cbranch_execz .LBB1939_28
; %bb.27:                               ;   in Loop: Header=BB1939_14 Depth=1
	ds_read_b32 v36, v17
.LBB1939_28:                            ;   in Loop: Header=BB1939_14 Depth=1
	s_or_b64 exec, exec, s[26:27]
	s_waitcnt lgkmcnt(0)
	v_add_u32_e32 v3, v36, v3
	ds_bpermute_b32 v3, v15, v3
	s_add_i32 s28, s28, 8
	s_cmp_ge_u32 s28, s38
	s_waitcnt lgkmcnt(0)
	v_cndmask_b32_e64 v3, v3, v36, s[18:19]
	v_cndmask_b32_e64 v36, v3, 0, s[20:21]
	v_add_u32_e32 v37, v36, v0
	v_add_u32_e32 v0, v37, v1
	;; [unrolled: 1-line block ×3, first 2 shown]
	ds_write2_b64 v12, v[36:37], v[0:1] offset0:2 offset1:3
	s_waitcnt lgkmcnt(0)
	s_barrier
	ds_read_b32 v0, v26
	ds_read_b32 v1, v29
	;; [unrolled: 1-line block ×4, first 2 shown]
	v_lshlrev_b32_e32 v26, 2, v27
	s_waitcnt lgkmcnt(3)
	v_lshl_add_u32 v0, v0, 2, v26
	v_lshlrev_b32_e32 v26, 2, v30
	v_lshlrev_b32_e32 v27, 2, v28
	s_waitcnt lgkmcnt(2)
	v_lshlrev_b32_e32 v1, 2, v1
	v_add3_u32 v1, v26, v27, v1
	v_lshlrev_b32_e32 v26, 2, v33
	v_lshlrev_b32_e32 v27, 2, v31
	s_waitcnt lgkmcnt(1)
	v_lshlrev_b32_e32 v2, 2, v2
	v_add3_u32 v28, v26, v27, v2
	;; [unrolled: 5-line block ×3, first 2 shown]
	s_cbranch_scc0 .LBB1939_13
; %bb.29:
                                        ; implicit-def: $vgpr27
                                        ; implicit-def: $vgpr26
                                        ; implicit-def: $vgpr3
                                        ; implicit-def: $vgpr2
                                        ; implicit-def: $sgpr28
.LBB1939_30:
	s_barrier
	ds_write_b32 v0, v25
	ds_write_b32 v1, v24
	;; [unrolled: 1-line block ×4, first 2 shown]
	v_add_u32_e32 v0, v12, v14
	s_waitcnt lgkmcnt(0)
	s_barrier
	ds_read_b32 v3, v0
	ds_read2st64_b32 v[0:1], v7 offset0:4 offset1:8
	ds_read_b32 v2, v7 offset:3072
	s_add_u32 s0, s30, s36
	s_addc_u32 s1, s31, s37
	s_waitcnt lgkmcnt(2)
	v_xor_b32_e32 v5, 0x7fffffff, v3
	s_waitcnt lgkmcnt(1)
	v_xor_b32_e32 v4, 0x7fffffff, v0
	v_xor_b32_e32 v3, 0x7fffffff, v1
	v_mov_b32_e32 v1, s1
	v_add_co_u32_e64 v0, s[0:1], s0, v7
	s_andn2_b64 vcc, exec, s[34:35]
	v_addc_co_u32_e64 v1, s[0:1], 0, v1, s[0:1]
	s_cbranch_vccnz .LBB1939_32
; %bb.31:
	s_mov_b64 s[0:1], -1
	global_store_dword v[0:1], v5, off
	global_store_dword v[0:1], v4, off offset:1024
	global_store_dword v[0:1], v3, off offset:2048
	s_cbranch_execz .LBB1939_33
	s_branch .LBB1939_40
.LBB1939_32:
	s_mov_b64 s[0:1], 0
.LBB1939_33:
	v_cmp_gt_u32_e32 vcc, s33, v6
	s_and_saveexec_b64 s[0:1], vcc
	s_cbranch_execz .LBB1939_35
; %bb.34:
	global_store_dword v[0:1], v5, off
.LBB1939_35:
	s_or_b64 exec, exec, s[0:1]
	v_add_u32_e32 v5, 0x100, v6
	v_cmp_gt_u32_e32 vcc, s33, v5
	s_and_saveexec_b64 s[0:1], vcc
	s_cbranch_execz .LBB1939_37
; %bb.36:
	global_store_dword v[0:1], v4, off offset:1024
.LBB1939_37:
	s_or_b64 exec, exec, s[0:1]
	v_add_u32_e32 v4, 0x200, v6
	v_cmp_gt_u32_e32 vcc, s33, v4
	s_and_saveexec_b64 s[0:1], vcc
	s_cbranch_execz .LBB1939_39
; %bb.38:
	global_store_dword v[0:1], v3, off offset:2048
.LBB1939_39:
	s_or_b64 exec, exec, s[0:1]
	v_add_u32_e32 v3, 0x300, v6
	v_cmp_gt_u32_e64 s[0:1], s33, v3
.LBB1939_40:
	s_and_saveexec_b64 s[2:3], s[0:1]
	s_cbranch_execnz .LBB1939_42
; %bb.41:
	s_endpgm
.LBB1939_42:
	s_waitcnt lgkmcnt(0)
	v_xor_b32_e32 v2, 0x7fffffff, v2
	global_store_dword v[0:1], v2, off offset:3072
	s_endpgm
	.section	.rodata,"a",@progbits
	.p2align	6, 0x0
	.amdhsa_kernel _ZN7rocprim17ROCPRIM_400000_NS6detail17trampoline_kernelINS0_13kernel_configILj256ELj4ELj4294967295EEENS1_37radix_sort_block_sort_config_selectorIiNS0_10empty_typeEEEZNS1_21radix_sort_block_sortIS4_Lb1EPiS9_PS6_SA_NS0_19identity_decomposerEEE10hipError_tT1_T2_T3_T4_jRjT5_jjP12ihipStream_tbEUlT_E_NS1_11comp_targetILNS1_3genE4ELNS1_11target_archE910ELNS1_3gpuE8ELNS1_3repE0EEENS1_44radix_sort_block_sort_config_static_selectorELNS0_4arch9wavefront6targetE1EEEvSD_
		.amdhsa_group_segment_fixed_size 4112
		.amdhsa_private_segment_fixed_size 0
		.amdhsa_kernarg_size 304
		.amdhsa_user_sgpr_count 6
		.amdhsa_user_sgpr_private_segment_buffer 1
		.amdhsa_user_sgpr_dispatch_ptr 0
		.amdhsa_user_sgpr_queue_ptr 0
		.amdhsa_user_sgpr_kernarg_segment_ptr 1
		.amdhsa_user_sgpr_dispatch_id 0
		.amdhsa_user_sgpr_flat_scratch_init 0
		.amdhsa_user_sgpr_kernarg_preload_length 0
		.amdhsa_user_sgpr_kernarg_preload_offset 0
		.amdhsa_user_sgpr_private_segment_size 0
		.amdhsa_uses_dynamic_stack 0
		.amdhsa_system_sgpr_private_segment_wavefront_offset 0
		.amdhsa_system_sgpr_workgroup_id_x 1
		.amdhsa_system_sgpr_workgroup_id_y 0
		.amdhsa_system_sgpr_workgroup_id_z 0
		.amdhsa_system_sgpr_workgroup_info 0
		.amdhsa_system_vgpr_workitem_id 2
		.amdhsa_next_free_vgpr 39
		.amdhsa_next_free_sgpr 44
		.amdhsa_accum_offset 40
		.amdhsa_reserve_vcc 1
		.amdhsa_reserve_flat_scratch 0
		.amdhsa_float_round_mode_32 0
		.amdhsa_float_round_mode_16_64 0
		.amdhsa_float_denorm_mode_32 3
		.amdhsa_float_denorm_mode_16_64 3
		.amdhsa_dx10_clamp 1
		.amdhsa_ieee_mode 1
		.amdhsa_fp16_overflow 0
		.amdhsa_tg_split 0
		.amdhsa_exception_fp_ieee_invalid_op 0
		.amdhsa_exception_fp_denorm_src 0
		.amdhsa_exception_fp_ieee_div_zero 0
		.amdhsa_exception_fp_ieee_overflow 0
		.amdhsa_exception_fp_ieee_underflow 0
		.amdhsa_exception_fp_ieee_inexact 0
		.amdhsa_exception_int_div_zero 0
	.end_amdhsa_kernel
	.section	.text._ZN7rocprim17ROCPRIM_400000_NS6detail17trampoline_kernelINS0_13kernel_configILj256ELj4ELj4294967295EEENS1_37radix_sort_block_sort_config_selectorIiNS0_10empty_typeEEEZNS1_21radix_sort_block_sortIS4_Lb1EPiS9_PS6_SA_NS0_19identity_decomposerEEE10hipError_tT1_T2_T3_T4_jRjT5_jjP12ihipStream_tbEUlT_E_NS1_11comp_targetILNS1_3genE4ELNS1_11target_archE910ELNS1_3gpuE8ELNS1_3repE0EEENS1_44radix_sort_block_sort_config_static_selectorELNS0_4arch9wavefront6targetE1EEEvSD_,"axG",@progbits,_ZN7rocprim17ROCPRIM_400000_NS6detail17trampoline_kernelINS0_13kernel_configILj256ELj4ELj4294967295EEENS1_37radix_sort_block_sort_config_selectorIiNS0_10empty_typeEEEZNS1_21radix_sort_block_sortIS4_Lb1EPiS9_PS6_SA_NS0_19identity_decomposerEEE10hipError_tT1_T2_T3_T4_jRjT5_jjP12ihipStream_tbEUlT_E_NS1_11comp_targetILNS1_3genE4ELNS1_11target_archE910ELNS1_3gpuE8ELNS1_3repE0EEENS1_44radix_sort_block_sort_config_static_selectorELNS0_4arch9wavefront6targetE1EEEvSD_,comdat
.Lfunc_end1939:
	.size	_ZN7rocprim17ROCPRIM_400000_NS6detail17trampoline_kernelINS0_13kernel_configILj256ELj4ELj4294967295EEENS1_37radix_sort_block_sort_config_selectorIiNS0_10empty_typeEEEZNS1_21radix_sort_block_sortIS4_Lb1EPiS9_PS6_SA_NS0_19identity_decomposerEEE10hipError_tT1_T2_T3_T4_jRjT5_jjP12ihipStream_tbEUlT_E_NS1_11comp_targetILNS1_3genE4ELNS1_11target_archE910ELNS1_3gpuE8ELNS1_3repE0EEENS1_44radix_sort_block_sort_config_static_selectorELNS0_4arch9wavefront6targetE1EEEvSD_, .Lfunc_end1939-_ZN7rocprim17ROCPRIM_400000_NS6detail17trampoline_kernelINS0_13kernel_configILj256ELj4ELj4294967295EEENS1_37radix_sort_block_sort_config_selectorIiNS0_10empty_typeEEEZNS1_21radix_sort_block_sortIS4_Lb1EPiS9_PS6_SA_NS0_19identity_decomposerEEE10hipError_tT1_T2_T3_T4_jRjT5_jjP12ihipStream_tbEUlT_E_NS1_11comp_targetILNS1_3genE4ELNS1_11target_archE910ELNS1_3gpuE8ELNS1_3repE0EEENS1_44radix_sort_block_sort_config_static_selectorELNS0_4arch9wavefront6targetE1EEEvSD_
                                        ; -- End function
	.section	.AMDGPU.csdata,"",@progbits
; Kernel info:
; codeLenInByte = 3184
; NumSgprs: 48
; NumVgprs: 39
; NumAgprs: 0
; TotalNumVgprs: 39
; ScratchSize: 0
; MemoryBound: 0
; FloatMode: 240
; IeeeMode: 1
; LDSByteSize: 4112 bytes/workgroup (compile time only)
; SGPRBlocks: 5
; VGPRBlocks: 4
; NumSGPRsForWavesPerEU: 48
; NumVGPRsForWavesPerEU: 39
; AccumOffset: 40
; Occupancy: 8
; WaveLimiterHint : 1
; COMPUTE_PGM_RSRC2:SCRATCH_EN: 0
; COMPUTE_PGM_RSRC2:USER_SGPR: 6
; COMPUTE_PGM_RSRC2:TRAP_HANDLER: 0
; COMPUTE_PGM_RSRC2:TGID_X_EN: 1
; COMPUTE_PGM_RSRC2:TGID_Y_EN: 0
; COMPUTE_PGM_RSRC2:TGID_Z_EN: 0
; COMPUTE_PGM_RSRC2:TIDIG_COMP_CNT: 2
; COMPUTE_PGM_RSRC3_GFX90A:ACCUM_OFFSET: 9
; COMPUTE_PGM_RSRC3_GFX90A:TG_SPLIT: 0
	.section	.text._ZN7rocprim17ROCPRIM_400000_NS6detail17trampoline_kernelINS0_13kernel_configILj256ELj4ELj4294967295EEENS1_37radix_sort_block_sort_config_selectorIiNS0_10empty_typeEEEZNS1_21radix_sort_block_sortIS4_Lb1EPiS9_PS6_SA_NS0_19identity_decomposerEEE10hipError_tT1_T2_T3_T4_jRjT5_jjP12ihipStream_tbEUlT_E_NS1_11comp_targetILNS1_3genE3ELNS1_11target_archE908ELNS1_3gpuE7ELNS1_3repE0EEENS1_44radix_sort_block_sort_config_static_selectorELNS0_4arch9wavefront6targetE1EEEvSD_,"axG",@progbits,_ZN7rocprim17ROCPRIM_400000_NS6detail17trampoline_kernelINS0_13kernel_configILj256ELj4ELj4294967295EEENS1_37radix_sort_block_sort_config_selectorIiNS0_10empty_typeEEEZNS1_21radix_sort_block_sortIS4_Lb1EPiS9_PS6_SA_NS0_19identity_decomposerEEE10hipError_tT1_T2_T3_T4_jRjT5_jjP12ihipStream_tbEUlT_E_NS1_11comp_targetILNS1_3genE3ELNS1_11target_archE908ELNS1_3gpuE7ELNS1_3repE0EEENS1_44radix_sort_block_sort_config_static_selectorELNS0_4arch9wavefront6targetE1EEEvSD_,comdat
	.protected	_ZN7rocprim17ROCPRIM_400000_NS6detail17trampoline_kernelINS0_13kernel_configILj256ELj4ELj4294967295EEENS1_37radix_sort_block_sort_config_selectorIiNS0_10empty_typeEEEZNS1_21radix_sort_block_sortIS4_Lb1EPiS9_PS6_SA_NS0_19identity_decomposerEEE10hipError_tT1_T2_T3_T4_jRjT5_jjP12ihipStream_tbEUlT_E_NS1_11comp_targetILNS1_3genE3ELNS1_11target_archE908ELNS1_3gpuE7ELNS1_3repE0EEENS1_44radix_sort_block_sort_config_static_selectorELNS0_4arch9wavefront6targetE1EEEvSD_ ; -- Begin function _ZN7rocprim17ROCPRIM_400000_NS6detail17trampoline_kernelINS0_13kernel_configILj256ELj4ELj4294967295EEENS1_37radix_sort_block_sort_config_selectorIiNS0_10empty_typeEEEZNS1_21radix_sort_block_sortIS4_Lb1EPiS9_PS6_SA_NS0_19identity_decomposerEEE10hipError_tT1_T2_T3_T4_jRjT5_jjP12ihipStream_tbEUlT_E_NS1_11comp_targetILNS1_3genE3ELNS1_11target_archE908ELNS1_3gpuE7ELNS1_3repE0EEENS1_44radix_sort_block_sort_config_static_selectorELNS0_4arch9wavefront6targetE1EEEvSD_
	.globl	_ZN7rocprim17ROCPRIM_400000_NS6detail17trampoline_kernelINS0_13kernel_configILj256ELj4ELj4294967295EEENS1_37radix_sort_block_sort_config_selectorIiNS0_10empty_typeEEEZNS1_21radix_sort_block_sortIS4_Lb1EPiS9_PS6_SA_NS0_19identity_decomposerEEE10hipError_tT1_T2_T3_T4_jRjT5_jjP12ihipStream_tbEUlT_E_NS1_11comp_targetILNS1_3genE3ELNS1_11target_archE908ELNS1_3gpuE7ELNS1_3repE0EEENS1_44radix_sort_block_sort_config_static_selectorELNS0_4arch9wavefront6targetE1EEEvSD_
	.p2align	8
	.type	_ZN7rocprim17ROCPRIM_400000_NS6detail17trampoline_kernelINS0_13kernel_configILj256ELj4ELj4294967295EEENS1_37radix_sort_block_sort_config_selectorIiNS0_10empty_typeEEEZNS1_21radix_sort_block_sortIS4_Lb1EPiS9_PS6_SA_NS0_19identity_decomposerEEE10hipError_tT1_T2_T3_T4_jRjT5_jjP12ihipStream_tbEUlT_E_NS1_11comp_targetILNS1_3genE3ELNS1_11target_archE908ELNS1_3gpuE7ELNS1_3repE0EEENS1_44radix_sort_block_sort_config_static_selectorELNS0_4arch9wavefront6targetE1EEEvSD_,@function
_ZN7rocprim17ROCPRIM_400000_NS6detail17trampoline_kernelINS0_13kernel_configILj256ELj4ELj4294967295EEENS1_37radix_sort_block_sort_config_selectorIiNS0_10empty_typeEEEZNS1_21radix_sort_block_sortIS4_Lb1EPiS9_PS6_SA_NS0_19identity_decomposerEEE10hipError_tT1_T2_T3_T4_jRjT5_jjP12ihipStream_tbEUlT_E_NS1_11comp_targetILNS1_3genE3ELNS1_11target_archE908ELNS1_3gpuE7ELNS1_3repE0EEENS1_44radix_sort_block_sort_config_static_selectorELNS0_4arch9wavefront6targetE1EEEvSD_: ; @_ZN7rocprim17ROCPRIM_400000_NS6detail17trampoline_kernelINS0_13kernel_configILj256ELj4ELj4294967295EEENS1_37radix_sort_block_sort_config_selectorIiNS0_10empty_typeEEEZNS1_21radix_sort_block_sortIS4_Lb1EPiS9_PS6_SA_NS0_19identity_decomposerEEE10hipError_tT1_T2_T3_T4_jRjT5_jjP12ihipStream_tbEUlT_E_NS1_11comp_targetILNS1_3genE3ELNS1_11target_archE908ELNS1_3gpuE7ELNS1_3repE0EEENS1_44radix_sort_block_sort_config_static_selectorELNS0_4arch9wavefront6targetE1EEEvSD_
; %bb.0:
	.section	.rodata,"a",@progbits
	.p2align	6, 0x0
	.amdhsa_kernel _ZN7rocprim17ROCPRIM_400000_NS6detail17trampoline_kernelINS0_13kernel_configILj256ELj4ELj4294967295EEENS1_37radix_sort_block_sort_config_selectorIiNS0_10empty_typeEEEZNS1_21radix_sort_block_sortIS4_Lb1EPiS9_PS6_SA_NS0_19identity_decomposerEEE10hipError_tT1_T2_T3_T4_jRjT5_jjP12ihipStream_tbEUlT_E_NS1_11comp_targetILNS1_3genE3ELNS1_11target_archE908ELNS1_3gpuE7ELNS1_3repE0EEENS1_44radix_sort_block_sort_config_static_selectorELNS0_4arch9wavefront6targetE1EEEvSD_
		.amdhsa_group_segment_fixed_size 0
		.amdhsa_private_segment_fixed_size 0
		.amdhsa_kernarg_size 48
		.amdhsa_user_sgpr_count 6
		.amdhsa_user_sgpr_private_segment_buffer 1
		.amdhsa_user_sgpr_dispatch_ptr 0
		.amdhsa_user_sgpr_queue_ptr 0
		.amdhsa_user_sgpr_kernarg_segment_ptr 1
		.amdhsa_user_sgpr_dispatch_id 0
		.amdhsa_user_sgpr_flat_scratch_init 0
		.amdhsa_user_sgpr_kernarg_preload_length 0
		.amdhsa_user_sgpr_kernarg_preload_offset 0
		.amdhsa_user_sgpr_private_segment_size 0
		.amdhsa_uses_dynamic_stack 0
		.amdhsa_system_sgpr_private_segment_wavefront_offset 0
		.amdhsa_system_sgpr_workgroup_id_x 1
		.amdhsa_system_sgpr_workgroup_id_y 0
		.amdhsa_system_sgpr_workgroup_id_z 0
		.amdhsa_system_sgpr_workgroup_info 0
		.amdhsa_system_vgpr_workitem_id 0
		.amdhsa_next_free_vgpr 1
		.amdhsa_next_free_sgpr 0
		.amdhsa_accum_offset 4
		.amdhsa_reserve_vcc 0
		.amdhsa_reserve_flat_scratch 0
		.amdhsa_float_round_mode_32 0
		.amdhsa_float_round_mode_16_64 0
		.amdhsa_float_denorm_mode_32 3
		.amdhsa_float_denorm_mode_16_64 3
		.amdhsa_dx10_clamp 1
		.amdhsa_ieee_mode 1
		.amdhsa_fp16_overflow 0
		.amdhsa_tg_split 0
		.amdhsa_exception_fp_ieee_invalid_op 0
		.amdhsa_exception_fp_denorm_src 0
		.amdhsa_exception_fp_ieee_div_zero 0
		.amdhsa_exception_fp_ieee_overflow 0
		.amdhsa_exception_fp_ieee_underflow 0
		.amdhsa_exception_fp_ieee_inexact 0
		.amdhsa_exception_int_div_zero 0
	.end_amdhsa_kernel
	.section	.text._ZN7rocprim17ROCPRIM_400000_NS6detail17trampoline_kernelINS0_13kernel_configILj256ELj4ELj4294967295EEENS1_37radix_sort_block_sort_config_selectorIiNS0_10empty_typeEEEZNS1_21radix_sort_block_sortIS4_Lb1EPiS9_PS6_SA_NS0_19identity_decomposerEEE10hipError_tT1_T2_T3_T4_jRjT5_jjP12ihipStream_tbEUlT_E_NS1_11comp_targetILNS1_3genE3ELNS1_11target_archE908ELNS1_3gpuE7ELNS1_3repE0EEENS1_44radix_sort_block_sort_config_static_selectorELNS0_4arch9wavefront6targetE1EEEvSD_,"axG",@progbits,_ZN7rocprim17ROCPRIM_400000_NS6detail17trampoline_kernelINS0_13kernel_configILj256ELj4ELj4294967295EEENS1_37radix_sort_block_sort_config_selectorIiNS0_10empty_typeEEEZNS1_21radix_sort_block_sortIS4_Lb1EPiS9_PS6_SA_NS0_19identity_decomposerEEE10hipError_tT1_T2_T3_T4_jRjT5_jjP12ihipStream_tbEUlT_E_NS1_11comp_targetILNS1_3genE3ELNS1_11target_archE908ELNS1_3gpuE7ELNS1_3repE0EEENS1_44radix_sort_block_sort_config_static_selectorELNS0_4arch9wavefront6targetE1EEEvSD_,comdat
.Lfunc_end1940:
	.size	_ZN7rocprim17ROCPRIM_400000_NS6detail17trampoline_kernelINS0_13kernel_configILj256ELj4ELj4294967295EEENS1_37radix_sort_block_sort_config_selectorIiNS0_10empty_typeEEEZNS1_21radix_sort_block_sortIS4_Lb1EPiS9_PS6_SA_NS0_19identity_decomposerEEE10hipError_tT1_T2_T3_T4_jRjT5_jjP12ihipStream_tbEUlT_E_NS1_11comp_targetILNS1_3genE3ELNS1_11target_archE908ELNS1_3gpuE7ELNS1_3repE0EEENS1_44radix_sort_block_sort_config_static_selectorELNS0_4arch9wavefront6targetE1EEEvSD_, .Lfunc_end1940-_ZN7rocprim17ROCPRIM_400000_NS6detail17trampoline_kernelINS0_13kernel_configILj256ELj4ELj4294967295EEENS1_37radix_sort_block_sort_config_selectorIiNS0_10empty_typeEEEZNS1_21radix_sort_block_sortIS4_Lb1EPiS9_PS6_SA_NS0_19identity_decomposerEEE10hipError_tT1_T2_T3_T4_jRjT5_jjP12ihipStream_tbEUlT_E_NS1_11comp_targetILNS1_3genE3ELNS1_11target_archE908ELNS1_3gpuE7ELNS1_3repE0EEENS1_44radix_sort_block_sort_config_static_selectorELNS0_4arch9wavefront6targetE1EEEvSD_
                                        ; -- End function
	.section	.AMDGPU.csdata,"",@progbits
; Kernel info:
; codeLenInByte = 0
; NumSgprs: 4
; NumVgprs: 0
; NumAgprs: 0
; TotalNumVgprs: 0
; ScratchSize: 0
; MemoryBound: 0
; FloatMode: 240
; IeeeMode: 1
; LDSByteSize: 0 bytes/workgroup (compile time only)
; SGPRBlocks: 0
; VGPRBlocks: 0
; NumSGPRsForWavesPerEU: 4
; NumVGPRsForWavesPerEU: 1
; AccumOffset: 4
; Occupancy: 8
; WaveLimiterHint : 0
; COMPUTE_PGM_RSRC2:SCRATCH_EN: 0
; COMPUTE_PGM_RSRC2:USER_SGPR: 6
; COMPUTE_PGM_RSRC2:TRAP_HANDLER: 0
; COMPUTE_PGM_RSRC2:TGID_X_EN: 1
; COMPUTE_PGM_RSRC2:TGID_Y_EN: 0
; COMPUTE_PGM_RSRC2:TGID_Z_EN: 0
; COMPUTE_PGM_RSRC2:TIDIG_COMP_CNT: 0
; COMPUTE_PGM_RSRC3_GFX90A:ACCUM_OFFSET: 0
; COMPUTE_PGM_RSRC3_GFX90A:TG_SPLIT: 0
	.section	.text._ZN7rocprim17ROCPRIM_400000_NS6detail17trampoline_kernelINS0_13kernel_configILj256ELj4ELj4294967295EEENS1_37radix_sort_block_sort_config_selectorIiNS0_10empty_typeEEEZNS1_21radix_sort_block_sortIS4_Lb1EPiS9_PS6_SA_NS0_19identity_decomposerEEE10hipError_tT1_T2_T3_T4_jRjT5_jjP12ihipStream_tbEUlT_E_NS1_11comp_targetILNS1_3genE2ELNS1_11target_archE906ELNS1_3gpuE6ELNS1_3repE0EEENS1_44radix_sort_block_sort_config_static_selectorELNS0_4arch9wavefront6targetE1EEEvSD_,"axG",@progbits,_ZN7rocprim17ROCPRIM_400000_NS6detail17trampoline_kernelINS0_13kernel_configILj256ELj4ELj4294967295EEENS1_37radix_sort_block_sort_config_selectorIiNS0_10empty_typeEEEZNS1_21radix_sort_block_sortIS4_Lb1EPiS9_PS6_SA_NS0_19identity_decomposerEEE10hipError_tT1_T2_T3_T4_jRjT5_jjP12ihipStream_tbEUlT_E_NS1_11comp_targetILNS1_3genE2ELNS1_11target_archE906ELNS1_3gpuE6ELNS1_3repE0EEENS1_44radix_sort_block_sort_config_static_selectorELNS0_4arch9wavefront6targetE1EEEvSD_,comdat
	.protected	_ZN7rocprim17ROCPRIM_400000_NS6detail17trampoline_kernelINS0_13kernel_configILj256ELj4ELj4294967295EEENS1_37radix_sort_block_sort_config_selectorIiNS0_10empty_typeEEEZNS1_21radix_sort_block_sortIS4_Lb1EPiS9_PS6_SA_NS0_19identity_decomposerEEE10hipError_tT1_T2_T3_T4_jRjT5_jjP12ihipStream_tbEUlT_E_NS1_11comp_targetILNS1_3genE2ELNS1_11target_archE906ELNS1_3gpuE6ELNS1_3repE0EEENS1_44radix_sort_block_sort_config_static_selectorELNS0_4arch9wavefront6targetE1EEEvSD_ ; -- Begin function _ZN7rocprim17ROCPRIM_400000_NS6detail17trampoline_kernelINS0_13kernel_configILj256ELj4ELj4294967295EEENS1_37radix_sort_block_sort_config_selectorIiNS0_10empty_typeEEEZNS1_21radix_sort_block_sortIS4_Lb1EPiS9_PS6_SA_NS0_19identity_decomposerEEE10hipError_tT1_T2_T3_T4_jRjT5_jjP12ihipStream_tbEUlT_E_NS1_11comp_targetILNS1_3genE2ELNS1_11target_archE906ELNS1_3gpuE6ELNS1_3repE0EEENS1_44radix_sort_block_sort_config_static_selectorELNS0_4arch9wavefront6targetE1EEEvSD_
	.globl	_ZN7rocprim17ROCPRIM_400000_NS6detail17trampoline_kernelINS0_13kernel_configILj256ELj4ELj4294967295EEENS1_37radix_sort_block_sort_config_selectorIiNS0_10empty_typeEEEZNS1_21radix_sort_block_sortIS4_Lb1EPiS9_PS6_SA_NS0_19identity_decomposerEEE10hipError_tT1_T2_T3_T4_jRjT5_jjP12ihipStream_tbEUlT_E_NS1_11comp_targetILNS1_3genE2ELNS1_11target_archE906ELNS1_3gpuE6ELNS1_3repE0EEENS1_44radix_sort_block_sort_config_static_selectorELNS0_4arch9wavefront6targetE1EEEvSD_
	.p2align	8
	.type	_ZN7rocprim17ROCPRIM_400000_NS6detail17trampoline_kernelINS0_13kernel_configILj256ELj4ELj4294967295EEENS1_37radix_sort_block_sort_config_selectorIiNS0_10empty_typeEEEZNS1_21radix_sort_block_sortIS4_Lb1EPiS9_PS6_SA_NS0_19identity_decomposerEEE10hipError_tT1_T2_T3_T4_jRjT5_jjP12ihipStream_tbEUlT_E_NS1_11comp_targetILNS1_3genE2ELNS1_11target_archE906ELNS1_3gpuE6ELNS1_3repE0EEENS1_44radix_sort_block_sort_config_static_selectorELNS0_4arch9wavefront6targetE1EEEvSD_,@function
_ZN7rocprim17ROCPRIM_400000_NS6detail17trampoline_kernelINS0_13kernel_configILj256ELj4ELj4294967295EEENS1_37radix_sort_block_sort_config_selectorIiNS0_10empty_typeEEEZNS1_21radix_sort_block_sortIS4_Lb1EPiS9_PS6_SA_NS0_19identity_decomposerEEE10hipError_tT1_T2_T3_T4_jRjT5_jjP12ihipStream_tbEUlT_E_NS1_11comp_targetILNS1_3genE2ELNS1_11target_archE906ELNS1_3gpuE6ELNS1_3repE0EEENS1_44radix_sort_block_sort_config_static_selectorELNS0_4arch9wavefront6targetE1EEEvSD_: ; @_ZN7rocprim17ROCPRIM_400000_NS6detail17trampoline_kernelINS0_13kernel_configILj256ELj4ELj4294967295EEENS1_37radix_sort_block_sort_config_selectorIiNS0_10empty_typeEEEZNS1_21radix_sort_block_sortIS4_Lb1EPiS9_PS6_SA_NS0_19identity_decomposerEEE10hipError_tT1_T2_T3_T4_jRjT5_jjP12ihipStream_tbEUlT_E_NS1_11comp_targetILNS1_3genE2ELNS1_11target_archE906ELNS1_3gpuE6ELNS1_3repE0EEENS1_44radix_sort_block_sort_config_static_selectorELNS0_4arch9wavefront6targetE1EEEvSD_
; %bb.0:
	.section	.rodata,"a",@progbits
	.p2align	6, 0x0
	.amdhsa_kernel _ZN7rocprim17ROCPRIM_400000_NS6detail17trampoline_kernelINS0_13kernel_configILj256ELj4ELj4294967295EEENS1_37radix_sort_block_sort_config_selectorIiNS0_10empty_typeEEEZNS1_21radix_sort_block_sortIS4_Lb1EPiS9_PS6_SA_NS0_19identity_decomposerEEE10hipError_tT1_T2_T3_T4_jRjT5_jjP12ihipStream_tbEUlT_E_NS1_11comp_targetILNS1_3genE2ELNS1_11target_archE906ELNS1_3gpuE6ELNS1_3repE0EEENS1_44radix_sort_block_sort_config_static_selectorELNS0_4arch9wavefront6targetE1EEEvSD_
		.amdhsa_group_segment_fixed_size 0
		.amdhsa_private_segment_fixed_size 0
		.amdhsa_kernarg_size 48
		.amdhsa_user_sgpr_count 6
		.amdhsa_user_sgpr_private_segment_buffer 1
		.amdhsa_user_sgpr_dispatch_ptr 0
		.amdhsa_user_sgpr_queue_ptr 0
		.amdhsa_user_sgpr_kernarg_segment_ptr 1
		.amdhsa_user_sgpr_dispatch_id 0
		.amdhsa_user_sgpr_flat_scratch_init 0
		.amdhsa_user_sgpr_kernarg_preload_length 0
		.amdhsa_user_sgpr_kernarg_preload_offset 0
		.amdhsa_user_sgpr_private_segment_size 0
		.amdhsa_uses_dynamic_stack 0
		.amdhsa_system_sgpr_private_segment_wavefront_offset 0
		.amdhsa_system_sgpr_workgroup_id_x 1
		.amdhsa_system_sgpr_workgroup_id_y 0
		.amdhsa_system_sgpr_workgroup_id_z 0
		.amdhsa_system_sgpr_workgroup_info 0
		.amdhsa_system_vgpr_workitem_id 0
		.amdhsa_next_free_vgpr 1
		.amdhsa_next_free_sgpr 0
		.amdhsa_accum_offset 4
		.amdhsa_reserve_vcc 0
		.amdhsa_reserve_flat_scratch 0
		.amdhsa_float_round_mode_32 0
		.amdhsa_float_round_mode_16_64 0
		.amdhsa_float_denorm_mode_32 3
		.amdhsa_float_denorm_mode_16_64 3
		.amdhsa_dx10_clamp 1
		.amdhsa_ieee_mode 1
		.amdhsa_fp16_overflow 0
		.amdhsa_tg_split 0
		.amdhsa_exception_fp_ieee_invalid_op 0
		.amdhsa_exception_fp_denorm_src 0
		.amdhsa_exception_fp_ieee_div_zero 0
		.amdhsa_exception_fp_ieee_overflow 0
		.amdhsa_exception_fp_ieee_underflow 0
		.amdhsa_exception_fp_ieee_inexact 0
		.amdhsa_exception_int_div_zero 0
	.end_amdhsa_kernel
	.section	.text._ZN7rocprim17ROCPRIM_400000_NS6detail17trampoline_kernelINS0_13kernel_configILj256ELj4ELj4294967295EEENS1_37radix_sort_block_sort_config_selectorIiNS0_10empty_typeEEEZNS1_21radix_sort_block_sortIS4_Lb1EPiS9_PS6_SA_NS0_19identity_decomposerEEE10hipError_tT1_T2_T3_T4_jRjT5_jjP12ihipStream_tbEUlT_E_NS1_11comp_targetILNS1_3genE2ELNS1_11target_archE906ELNS1_3gpuE6ELNS1_3repE0EEENS1_44radix_sort_block_sort_config_static_selectorELNS0_4arch9wavefront6targetE1EEEvSD_,"axG",@progbits,_ZN7rocprim17ROCPRIM_400000_NS6detail17trampoline_kernelINS0_13kernel_configILj256ELj4ELj4294967295EEENS1_37radix_sort_block_sort_config_selectorIiNS0_10empty_typeEEEZNS1_21radix_sort_block_sortIS4_Lb1EPiS9_PS6_SA_NS0_19identity_decomposerEEE10hipError_tT1_T2_T3_T4_jRjT5_jjP12ihipStream_tbEUlT_E_NS1_11comp_targetILNS1_3genE2ELNS1_11target_archE906ELNS1_3gpuE6ELNS1_3repE0EEENS1_44radix_sort_block_sort_config_static_selectorELNS0_4arch9wavefront6targetE1EEEvSD_,comdat
.Lfunc_end1941:
	.size	_ZN7rocprim17ROCPRIM_400000_NS6detail17trampoline_kernelINS0_13kernel_configILj256ELj4ELj4294967295EEENS1_37radix_sort_block_sort_config_selectorIiNS0_10empty_typeEEEZNS1_21radix_sort_block_sortIS4_Lb1EPiS9_PS6_SA_NS0_19identity_decomposerEEE10hipError_tT1_T2_T3_T4_jRjT5_jjP12ihipStream_tbEUlT_E_NS1_11comp_targetILNS1_3genE2ELNS1_11target_archE906ELNS1_3gpuE6ELNS1_3repE0EEENS1_44radix_sort_block_sort_config_static_selectorELNS0_4arch9wavefront6targetE1EEEvSD_, .Lfunc_end1941-_ZN7rocprim17ROCPRIM_400000_NS6detail17trampoline_kernelINS0_13kernel_configILj256ELj4ELj4294967295EEENS1_37radix_sort_block_sort_config_selectorIiNS0_10empty_typeEEEZNS1_21radix_sort_block_sortIS4_Lb1EPiS9_PS6_SA_NS0_19identity_decomposerEEE10hipError_tT1_T2_T3_T4_jRjT5_jjP12ihipStream_tbEUlT_E_NS1_11comp_targetILNS1_3genE2ELNS1_11target_archE906ELNS1_3gpuE6ELNS1_3repE0EEENS1_44radix_sort_block_sort_config_static_selectorELNS0_4arch9wavefront6targetE1EEEvSD_
                                        ; -- End function
	.section	.AMDGPU.csdata,"",@progbits
; Kernel info:
; codeLenInByte = 0
; NumSgprs: 4
; NumVgprs: 0
; NumAgprs: 0
; TotalNumVgprs: 0
; ScratchSize: 0
; MemoryBound: 0
; FloatMode: 240
; IeeeMode: 1
; LDSByteSize: 0 bytes/workgroup (compile time only)
; SGPRBlocks: 0
; VGPRBlocks: 0
; NumSGPRsForWavesPerEU: 4
; NumVGPRsForWavesPerEU: 1
; AccumOffset: 4
; Occupancy: 8
; WaveLimiterHint : 0
; COMPUTE_PGM_RSRC2:SCRATCH_EN: 0
; COMPUTE_PGM_RSRC2:USER_SGPR: 6
; COMPUTE_PGM_RSRC2:TRAP_HANDLER: 0
; COMPUTE_PGM_RSRC2:TGID_X_EN: 1
; COMPUTE_PGM_RSRC2:TGID_Y_EN: 0
; COMPUTE_PGM_RSRC2:TGID_Z_EN: 0
; COMPUTE_PGM_RSRC2:TIDIG_COMP_CNT: 0
; COMPUTE_PGM_RSRC3_GFX90A:ACCUM_OFFSET: 0
; COMPUTE_PGM_RSRC3_GFX90A:TG_SPLIT: 0
	.section	.text._ZN7rocprim17ROCPRIM_400000_NS6detail17trampoline_kernelINS0_13kernel_configILj256ELj4ELj4294967295EEENS1_37radix_sort_block_sort_config_selectorIiNS0_10empty_typeEEEZNS1_21radix_sort_block_sortIS4_Lb1EPiS9_PS6_SA_NS0_19identity_decomposerEEE10hipError_tT1_T2_T3_T4_jRjT5_jjP12ihipStream_tbEUlT_E_NS1_11comp_targetILNS1_3genE10ELNS1_11target_archE1201ELNS1_3gpuE5ELNS1_3repE0EEENS1_44radix_sort_block_sort_config_static_selectorELNS0_4arch9wavefront6targetE1EEEvSD_,"axG",@progbits,_ZN7rocprim17ROCPRIM_400000_NS6detail17trampoline_kernelINS0_13kernel_configILj256ELj4ELj4294967295EEENS1_37radix_sort_block_sort_config_selectorIiNS0_10empty_typeEEEZNS1_21radix_sort_block_sortIS4_Lb1EPiS9_PS6_SA_NS0_19identity_decomposerEEE10hipError_tT1_T2_T3_T4_jRjT5_jjP12ihipStream_tbEUlT_E_NS1_11comp_targetILNS1_3genE10ELNS1_11target_archE1201ELNS1_3gpuE5ELNS1_3repE0EEENS1_44radix_sort_block_sort_config_static_selectorELNS0_4arch9wavefront6targetE1EEEvSD_,comdat
	.protected	_ZN7rocprim17ROCPRIM_400000_NS6detail17trampoline_kernelINS0_13kernel_configILj256ELj4ELj4294967295EEENS1_37radix_sort_block_sort_config_selectorIiNS0_10empty_typeEEEZNS1_21radix_sort_block_sortIS4_Lb1EPiS9_PS6_SA_NS0_19identity_decomposerEEE10hipError_tT1_T2_T3_T4_jRjT5_jjP12ihipStream_tbEUlT_E_NS1_11comp_targetILNS1_3genE10ELNS1_11target_archE1201ELNS1_3gpuE5ELNS1_3repE0EEENS1_44radix_sort_block_sort_config_static_selectorELNS0_4arch9wavefront6targetE1EEEvSD_ ; -- Begin function _ZN7rocprim17ROCPRIM_400000_NS6detail17trampoline_kernelINS0_13kernel_configILj256ELj4ELj4294967295EEENS1_37radix_sort_block_sort_config_selectorIiNS0_10empty_typeEEEZNS1_21radix_sort_block_sortIS4_Lb1EPiS9_PS6_SA_NS0_19identity_decomposerEEE10hipError_tT1_T2_T3_T4_jRjT5_jjP12ihipStream_tbEUlT_E_NS1_11comp_targetILNS1_3genE10ELNS1_11target_archE1201ELNS1_3gpuE5ELNS1_3repE0EEENS1_44radix_sort_block_sort_config_static_selectorELNS0_4arch9wavefront6targetE1EEEvSD_
	.globl	_ZN7rocprim17ROCPRIM_400000_NS6detail17trampoline_kernelINS0_13kernel_configILj256ELj4ELj4294967295EEENS1_37radix_sort_block_sort_config_selectorIiNS0_10empty_typeEEEZNS1_21radix_sort_block_sortIS4_Lb1EPiS9_PS6_SA_NS0_19identity_decomposerEEE10hipError_tT1_T2_T3_T4_jRjT5_jjP12ihipStream_tbEUlT_E_NS1_11comp_targetILNS1_3genE10ELNS1_11target_archE1201ELNS1_3gpuE5ELNS1_3repE0EEENS1_44radix_sort_block_sort_config_static_selectorELNS0_4arch9wavefront6targetE1EEEvSD_
	.p2align	8
	.type	_ZN7rocprim17ROCPRIM_400000_NS6detail17trampoline_kernelINS0_13kernel_configILj256ELj4ELj4294967295EEENS1_37radix_sort_block_sort_config_selectorIiNS0_10empty_typeEEEZNS1_21radix_sort_block_sortIS4_Lb1EPiS9_PS6_SA_NS0_19identity_decomposerEEE10hipError_tT1_T2_T3_T4_jRjT5_jjP12ihipStream_tbEUlT_E_NS1_11comp_targetILNS1_3genE10ELNS1_11target_archE1201ELNS1_3gpuE5ELNS1_3repE0EEENS1_44radix_sort_block_sort_config_static_selectorELNS0_4arch9wavefront6targetE1EEEvSD_,@function
_ZN7rocprim17ROCPRIM_400000_NS6detail17trampoline_kernelINS0_13kernel_configILj256ELj4ELj4294967295EEENS1_37radix_sort_block_sort_config_selectorIiNS0_10empty_typeEEEZNS1_21radix_sort_block_sortIS4_Lb1EPiS9_PS6_SA_NS0_19identity_decomposerEEE10hipError_tT1_T2_T3_T4_jRjT5_jjP12ihipStream_tbEUlT_E_NS1_11comp_targetILNS1_3genE10ELNS1_11target_archE1201ELNS1_3gpuE5ELNS1_3repE0EEENS1_44radix_sort_block_sort_config_static_selectorELNS0_4arch9wavefront6targetE1EEEvSD_: ; @_ZN7rocprim17ROCPRIM_400000_NS6detail17trampoline_kernelINS0_13kernel_configILj256ELj4ELj4294967295EEENS1_37radix_sort_block_sort_config_selectorIiNS0_10empty_typeEEEZNS1_21radix_sort_block_sortIS4_Lb1EPiS9_PS6_SA_NS0_19identity_decomposerEEE10hipError_tT1_T2_T3_T4_jRjT5_jjP12ihipStream_tbEUlT_E_NS1_11comp_targetILNS1_3genE10ELNS1_11target_archE1201ELNS1_3gpuE5ELNS1_3repE0EEENS1_44radix_sort_block_sort_config_static_selectorELNS0_4arch9wavefront6targetE1EEEvSD_
; %bb.0:
	.section	.rodata,"a",@progbits
	.p2align	6, 0x0
	.amdhsa_kernel _ZN7rocprim17ROCPRIM_400000_NS6detail17trampoline_kernelINS0_13kernel_configILj256ELj4ELj4294967295EEENS1_37radix_sort_block_sort_config_selectorIiNS0_10empty_typeEEEZNS1_21radix_sort_block_sortIS4_Lb1EPiS9_PS6_SA_NS0_19identity_decomposerEEE10hipError_tT1_T2_T3_T4_jRjT5_jjP12ihipStream_tbEUlT_E_NS1_11comp_targetILNS1_3genE10ELNS1_11target_archE1201ELNS1_3gpuE5ELNS1_3repE0EEENS1_44radix_sort_block_sort_config_static_selectorELNS0_4arch9wavefront6targetE1EEEvSD_
		.amdhsa_group_segment_fixed_size 0
		.amdhsa_private_segment_fixed_size 0
		.amdhsa_kernarg_size 48
		.amdhsa_user_sgpr_count 6
		.amdhsa_user_sgpr_private_segment_buffer 1
		.amdhsa_user_sgpr_dispatch_ptr 0
		.amdhsa_user_sgpr_queue_ptr 0
		.amdhsa_user_sgpr_kernarg_segment_ptr 1
		.amdhsa_user_sgpr_dispatch_id 0
		.amdhsa_user_sgpr_flat_scratch_init 0
		.amdhsa_user_sgpr_kernarg_preload_length 0
		.amdhsa_user_sgpr_kernarg_preload_offset 0
		.amdhsa_user_sgpr_private_segment_size 0
		.amdhsa_uses_dynamic_stack 0
		.amdhsa_system_sgpr_private_segment_wavefront_offset 0
		.amdhsa_system_sgpr_workgroup_id_x 1
		.amdhsa_system_sgpr_workgroup_id_y 0
		.amdhsa_system_sgpr_workgroup_id_z 0
		.amdhsa_system_sgpr_workgroup_info 0
		.amdhsa_system_vgpr_workitem_id 0
		.amdhsa_next_free_vgpr 1
		.amdhsa_next_free_sgpr 0
		.amdhsa_accum_offset 4
		.amdhsa_reserve_vcc 0
		.amdhsa_reserve_flat_scratch 0
		.amdhsa_float_round_mode_32 0
		.amdhsa_float_round_mode_16_64 0
		.amdhsa_float_denorm_mode_32 3
		.amdhsa_float_denorm_mode_16_64 3
		.amdhsa_dx10_clamp 1
		.amdhsa_ieee_mode 1
		.amdhsa_fp16_overflow 0
		.amdhsa_tg_split 0
		.amdhsa_exception_fp_ieee_invalid_op 0
		.amdhsa_exception_fp_denorm_src 0
		.amdhsa_exception_fp_ieee_div_zero 0
		.amdhsa_exception_fp_ieee_overflow 0
		.amdhsa_exception_fp_ieee_underflow 0
		.amdhsa_exception_fp_ieee_inexact 0
		.amdhsa_exception_int_div_zero 0
	.end_amdhsa_kernel
	.section	.text._ZN7rocprim17ROCPRIM_400000_NS6detail17trampoline_kernelINS0_13kernel_configILj256ELj4ELj4294967295EEENS1_37radix_sort_block_sort_config_selectorIiNS0_10empty_typeEEEZNS1_21radix_sort_block_sortIS4_Lb1EPiS9_PS6_SA_NS0_19identity_decomposerEEE10hipError_tT1_T2_T3_T4_jRjT5_jjP12ihipStream_tbEUlT_E_NS1_11comp_targetILNS1_3genE10ELNS1_11target_archE1201ELNS1_3gpuE5ELNS1_3repE0EEENS1_44radix_sort_block_sort_config_static_selectorELNS0_4arch9wavefront6targetE1EEEvSD_,"axG",@progbits,_ZN7rocprim17ROCPRIM_400000_NS6detail17trampoline_kernelINS0_13kernel_configILj256ELj4ELj4294967295EEENS1_37radix_sort_block_sort_config_selectorIiNS0_10empty_typeEEEZNS1_21radix_sort_block_sortIS4_Lb1EPiS9_PS6_SA_NS0_19identity_decomposerEEE10hipError_tT1_T2_T3_T4_jRjT5_jjP12ihipStream_tbEUlT_E_NS1_11comp_targetILNS1_3genE10ELNS1_11target_archE1201ELNS1_3gpuE5ELNS1_3repE0EEENS1_44radix_sort_block_sort_config_static_selectorELNS0_4arch9wavefront6targetE1EEEvSD_,comdat
.Lfunc_end1942:
	.size	_ZN7rocprim17ROCPRIM_400000_NS6detail17trampoline_kernelINS0_13kernel_configILj256ELj4ELj4294967295EEENS1_37radix_sort_block_sort_config_selectorIiNS0_10empty_typeEEEZNS1_21radix_sort_block_sortIS4_Lb1EPiS9_PS6_SA_NS0_19identity_decomposerEEE10hipError_tT1_T2_T3_T4_jRjT5_jjP12ihipStream_tbEUlT_E_NS1_11comp_targetILNS1_3genE10ELNS1_11target_archE1201ELNS1_3gpuE5ELNS1_3repE0EEENS1_44radix_sort_block_sort_config_static_selectorELNS0_4arch9wavefront6targetE1EEEvSD_, .Lfunc_end1942-_ZN7rocprim17ROCPRIM_400000_NS6detail17trampoline_kernelINS0_13kernel_configILj256ELj4ELj4294967295EEENS1_37radix_sort_block_sort_config_selectorIiNS0_10empty_typeEEEZNS1_21radix_sort_block_sortIS4_Lb1EPiS9_PS6_SA_NS0_19identity_decomposerEEE10hipError_tT1_T2_T3_T4_jRjT5_jjP12ihipStream_tbEUlT_E_NS1_11comp_targetILNS1_3genE10ELNS1_11target_archE1201ELNS1_3gpuE5ELNS1_3repE0EEENS1_44radix_sort_block_sort_config_static_selectorELNS0_4arch9wavefront6targetE1EEEvSD_
                                        ; -- End function
	.section	.AMDGPU.csdata,"",@progbits
; Kernel info:
; codeLenInByte = 0
; NumSgprs: 4
; NumVgprs: 0
; NumAgprs: 0
; TotalNumVgprs: 0
; ScratchSize: 0
; MemoryBound: 0
; FloatMode: 240
; IeeeMode: 1
; LDSByteSize: 0 bytes/workgroup (compile time only)
; SGPRBlocks: 0
; VGPRBlocks: 0
; NumSGPRsForWavesPerEU: 4
; NumVGPRsForWavesPerEU: 1
; AccumOffset: 4
; Occupancy: 8
; WaveLimiterHint : 0
; COMPUTE_PGM_RSRC2:SCRATCH_EN: 0
; COMPUTE_PGM_RSRC2:USER_SGPR: 6
; COMPUTE_PGM_RSRC2:TRAP_HANDLER: 0
; COMPUTE_PGM_RSRC2:TGID_X_EN: 1
; COMPUTE_PGM_RSRC2:TGID_Y_EN: 0
; COMPUTE_PGM_RSRC2:TGID_Z_EN: 0
; COMPUTE_PGM_RSRC2:TIDIG_COMP_CNT: 0
; COMPUTE_PGM_RSRC3_GFX90A:ACCUM_OFFSET: 0
; COMPUTE_PGM_RSRC3_GFX90A:TG_SPLIT: 0
	.section	.text._ZN7rocprim17ROCPRIM_400000_NS6detail17trampoline_kernelINS0_13kernel_configILj256ELj4ELj4294967295EEENS1_37radix_sort_block_sort_config_selectorIiNS0_10empty_typeEEEZNS1_21radix_sort_block_sortIS4_Lb1EPiS9_PS6_SA_NS0_19identity_decomposerEEE10hipError_tT1_T2_T3_T4_jRjT5_jjP12ihipStream_tbEUlT_E_NS1_11comp_targetILNS1_3genE10ELNS1_11target_archE1200ELNS1_3gpuE4ELNS1_3repE0EEENS1_44radix_sort_block_sort_config_static_selectorELNS0_4arch9wavefront6targetE1EEEvSD_,"axG",@progbits,_ZN7rocprim17ROCPRIM_400000_NS6detail17trampoline_kernelINS0_13kernel_configILj256ELj4ELj4294967295EEENS1_37radix_sort_block_sort_config_selectorIiNS0_10empty_typeEEEZNS1_21radix_sort_block_sortIS4_Lb1EPiS9_PS6_SA_NS0_19identity_decomposerEEE10hipError_tT1_T2_T3_T4_jRjT5_jjP12ihipStream_tbEUlT_E_NS1_11comp_targetILNS1_3genE10ELNS1_11target_archE1200ELNS1_3gpuE4ELNS1_3repE0EEENS1_44radix_sort_block_sort_config_static_selectorELNS0_4arch9wavefront6targetE1EEEvSD_,comdat
	.protected	_ZN7rocprim17ROCPRIM_400000_NS6detail17trampoline_kernelINS0_13kernel_configILj256ELj4ELj4294967295EEENS1_37radix_sort_block_sort_config_selectorIiNS0_10empty_typeEEEZNS1_21radix_sort_block_sortIS4_Lb1EPiS9_PS6_SA_NS0_19identity_decomposerEEE10hipError_tT1_T2_T3_T4_jRjT5_jjP12ihipStream_tbEUlT_E_NS1_11comp_targetILNS1_3genE10ELNS1_11target_archE1200ELNS1_3gpuE4ELNS1_3repE0EEENS1_44radix_sort_block_sort_config_static_selectorELNS0_4arch9wavefront6targetE1EEEvSD_ ; -- Begin function _ZN7rocprim17ROCPRIM_400000_NS6detail17trampoline_kernelINS0_13kernel_configILj256ELj4ELj4294967295EEENS1_37radix_sort_block_sort_config_selectorIiNS0_10empty_typeEEEZNS1_21radix_sort_block_sortIS4_Lb1EPiS9_PS6_SA_NS0_19identity_decomposerEEE10hipError_tT1_T2_T3_T4_jRjT5_jjP12ihipStream_tbEUlT_E_NS1_11comp_targetILNS1_3genE10ELNS1_11target_archE1200ELNS1_3gpuE4ELNS1_3repE0EEENS1_44radix_sort_block_sort_config_static_selectorELNS0_4arch9wavefront6targetE1EEEvSD_
	.globl	_ZN7rocprim17ROCPRIM_400000_NS6detail17trampoline_kernelINS0_13kernel_configILj256ELj4ELj4294967295EEENS1_37radix_sort_block_sort_config_selectorIiNS0_10empty_typeEEEZNS1_21radix_sort_block_sortIS4_Lb1EPiS9_PS6_SA_NS0_19identity_decomposerEEE10hipError_tT1_T2_T3_T4_jRjT5_jjP12ihipStream_tbEUlT_E_NS1_11comp_targetILNS1_3genE10ELNS1_11target_archE1200ELNS1_3gpuE4ELNS1_3repE0EEENS1_44radix_sort_block_sort_config_static_selectorELNS0_4arch9wavefront6targetE1EEEvSD_
	.p2align	8
	.type	_ZN7rocprim17ROCPRIM_400000_NS6detail17trampoline_kernelINS0_13kernel_configILj256ELj4ELj4294967295EEENS1_37radix_sort_block_sort_config_selectorIiNS0_10empty_typeEEEZNS1_21radix_sort_block_sortIS4_Lb1EPiS9_PS6_SA_NS0_19identity_decomposerEEE10hipError_tT1_T2_T3_T4_jRjT5_jjP12ihipStream_tbEUlT_E_NS1_11comp_targetILNS1_3genE10ELNS1_11target_archE1200ELNS1_3gpuE4ELNS1_3repE0EEENS1_44radix_sort_block_sort_config_static_selectorELNS0_4arch9wavefront6targetE1EEEvSD_,@function
_ZN7rocprim17ROCPRIM_400000_NS6detail17trampoline_kernelINS0_13kernel_configILj256ELj4ELj4294967295EEENS1_37radix_sort_block_sort_config_selectorIiNS0_10empty_typeEEEZNS1_21radix_sort_block_sortIS4_Lb1EPiS9_PS6_SA_NS0_19identity_decomposerEEE10hipError_tT1_T2_T3_T4_jRjT5_jjP12ihipStream_tbEUlT_E_NS1_11comp_targetILNS1_3genE10ELNS1_11target_archE1200ELNS1_3gpuE4ELNS1_3repE0EEENS1_44radix_sort_block_sort_config_static_selectorELNS0_4arch9wavefront6targetE1EEEvSD_: ; @_ZN7rocprim17ROCPRIM_400000_NS6detail17trampoline_kernelINS0_13kernel_configILj256ELj4ELj4294967295EEENS1_37radix_sort_block_sort_config_selectorIiNS0_10empty_typeEEEZNS1_21radix_sort_block_sortIS4_Lb1EPiS9_PS6_SA_NS0_19identity_decomposerEEE10hipError_tT1_T2_T3_T4_jRjT5_jjP12ihipStream_tbEUlT_E_NS1_11comp_targetILNS1_3genE10ELNS1_11target_archE1200ELNS1_3gpuE4ELNS1_3repE0EEENS1_44radix_sort_block_sort_config_static_selectorELNS0_4arch9wavefront6targetE1EEEvSD_
; %bb.0:
	.section	.rodata,"a",@progbits
	.p2align	6, 0x0
	.amdhsa_kernel _ZN7rocprim17ROCPRIM_400000_NS6detail17trampoline_kernelINS0_13kernel_configILj256ELj4ELj4294967295EEENS1_37radix_sort_block_sort_config_selectorIiNS0_10empty_typeEEEZNS1_21radix_sort_block_sortIS4_Lb1EPiS9_PS6_SA_NS0_19identity_decomposerEEE10hipError_tT1_T2_T3_T4_jRjT5_jjP12ihipStream_tbEUlT_E_NS1_11comp_targetILNS1_3genE10ELNS1_11target_archE1200ELNS1_3gpuE4ELNS1_3repE0EEENS1_44radix_sort_block_sort_config_static_selectorELNS0_4arch9wavefront6targetE1EEEvSD_
		.amdhsa_group_segment_fixed_size 0
		.amdhsa_private_segment_fixed_size 0
		.amdhsa_kernarg_size 48
		.amdhsa_user_sgpr_count 6
		.amdhsa_user_sgpr_private_segment_buffer 1
		.amdhsa_user_sgpr_dispatch_ptr 0
		.amdhsa_user_sgpr_queue_ptr 0
		.amdhsa_user_sgpr_kernarg_segment_ptr 1
		.amdhsa_user_sgpr_dispatch_id 0
		.amdhsa_user_sgpr_flat_scratch_init 0
		.amdhsa_user_sgpr_kernarg_preload_length 0
		.amdhsa_user_sgpr_kernarg_preload_offset 0
		.amdhsa_user_sgpr_private_segment_size 0
		.amdhsa_uses_dynamic_stack 0
		.amdhsa_system_sgpr_private_segment_wavefront_offset 0
		.amdhsa_system_sgpr_workgroup_id_x 1
		.amdhsa_system_sgpr_workgroup_id_y 0
		.amdhsa_system_sgpr_workgroup_id_z 0
		.amdhsa_system_sgpr_workgroup_info 0
		.amdhsa_system_vgpr_workitem_id 0
		.amdhsa_next_free_vgpr 1
		.amdhsa_next_free_sgpr 0
		.amdhsa_accum_offset 4
		.amdhsa_reserve_vcc 0
		.amdhsa_reserve_flat_scratch 0
		.amdhsa_float_round_mode_32 0
		.amdhsa_float_round_mode_16_64 0
		.amdhsa_float_denorm_mode_32 3
		.amdhsa_float_denorm_mode_16_64 3
		.amdhsa_dx10_clamp 1
		.amdhsa_ieee_mode 1
		.amdhsa_fp16_overflow 0
		.amdhsa_tg_split 0
		.amdhsa_exception_fp_ieee_invalid_op 0
		.amdhsa_exception_fp_denorm_src 0
		.amdhsa_exception_fp_ieee_div_zero 0
		.amdhsa_exception_fp_ieee_overflow 0
		.amdhsa_exception_fp_ieee_underflow 0
		.amdhsa_exception_fp_ieee_inexact 0
		.amdhsa_exception_int_div_zero 0
	.end_amdhsa_kernel
	.section	.text._ZN7rocprim17ROCPRIM_400000_NS6detail17trampoline_kernelINS0_13kernel_configILj256ELj4ELj4294967295EEENS1_37radix_sort_block_sort_config_selectorIiNS0_10empty_typeEEEZNS1_21radix_sort_block_sortIS4_Lb1EPiS9_PS6_SA_NS0_19identity_decomposerEEE10hipError_tT1_T2_T3_T4_jRjT5_jjP12ihipStream_tbEUlT_E_NS1_11comp_targetILNS1_3genE10ELNS1_11target_archE1200ELNS1_3gpuE4ELNS1_3repE0EEENS1_44radix_sort_block_sort_config_static_selectorELNS0_4arch9wavefront6targetE1EEEvSD_,"axG",@progbits,_ZN7rocprim17ROCPRIM_400000_NS6detail17trampoline_kernelINS0_13kernel_configILj256ELj4ELj4294967295EEENS1_37radix_sort_block_sort_config_selectorIiNS0_10empty_typeEEEZNS1_21radix_sort_block_sortIS4_Lb1EPiS9_PS6_SA_NS0_19identity_decomposerEEE10hipError_tT1_T2_T3_T4_jRjT5_jjP12ihipStream_tbEUlT_E_NS1_11comp_targetILNS1_3genE10ELNS1_11target_archE1200ELNS1_3gpuE4ELNS1_3repE0EEENS1_44radix_sort_block_sort_config_static_selectorELNS0_4arch9wavefront6targetE1EEEvSD_,comdat
.Lfunc_end1943:
	.size	_ZN7rocprim17ROCPRIM_400000_NS6detail17trampoline_kernelINS0_13kernel_configILj256ELj4ELj4294967295EEENS1_37radix_sort_block_sort_config_selectorIiNS0_10empty_typeEEEZNS1_21radix_sort_block_sortIS4_Lb1EPiS9_PS6_SA_NS0_19identity_decomposerEEE10hipError_tT1_T2_T3_T4_jRjT5_jjP12ihipStream_tbEUlT_E_NS1_11comp_targetILNS1_3genE10ELNS1_11target_archE1200ELNS1_3gpuE4ELNS1_3repE0EEENS1_44radix_sort_block_sort_config_static_selectorELNS0_4arch9wavefront6targetE1EEEvSD_, .Lfunc_end1943-_ZN7rocprim17ROCPRIM_400000_NS6detail17trampoline_kernelINS0_13kernel_configILj256ELj4ELj4294967295EEENS1_37radix_sort_block_sort_config_selectorIiNS0_10empty_typeEEEZNS1_21radix_sort_block_sortIS4_Lb1EPiS9_PS6_SA_NS0_19identity_decomposerEEE10hipError_tT1_T2_T3_T4_jRjT5_jjP12ihipStream_tbEUlT_E_NS1_11comp_targetILNS1_3genE10ELNS1_11target_archE1200ELNS1_3gpuE4ELNS1_3repE0EEENS1_44radix_sort_block_sort_config_static_selectorELNS0_4arch9wavefront6targetE1EEEvSD_
                                        ; -- End function
	.section	.AMDGPU.csdata,"",@progbits
; Kernel info:
; codeLenInByte = 0
; NumSgprs: 4
; NumVgprs: 0
; NumAgprs: 0
; TotalNumVgprs: 0
; ScratchSize: 0
; MemoryBound: 0
; FloatMode: 240
; IeeeMode: 1
; LDSByteSize: 0 bytes/workgroup (compile time only)
; SGPRBlocks: 0
; VGPRBlocks: 0
; NumSGPRsForWavesPerEU: 4
; NumVGPRsForWavesPerEU: 1
; AccumOffset: 4
; Occupancy: 8
; WaveLimiterHint : 0
; COMPUTE_PGM_RSRC2:SCRATCH_EN: 0
; COMPUTE_PGM_RSRC2:USER_SGPR: 6
; COMPUTE_PGM_RSRC2:TRAP_HANDLER: 0
; COMPUTE_PGM_RSRC2:TGID_X_EN: 1
; COMPUTE_PGM_RSRC2:TGID_Y_EN: 0
; COMPUTE_PGM_RSRC2:TGID_Z_EN: 0
; COMPUTE_PGM_RSRC2:TIDIG_COMP_CNT: 0
; COMPUTE_PGM_RSRC3_GFX90A:ACCUM_OFFSET: 0
; COMPUTE_PGM_RSRC3_GFX90A:TG_SPLIT: 0
	.section	.text._ZN7rocprim17ROCPRIM_400000_NS6detail17trampoline_kernelINS0_13kernel_configILj256ELj4ELj4294967295EEENS1_37radix_sort_block_sort_config_selectorIiNS0_10empty_typeEEEZNS1_21radix_sort_block_sortIS4_Lb1EPiS9_PS6_SA_NS0_19identity_decomposerEEE10hipError_tT1_T2_T3_T4_jRjT5_jjP12ihipStream_tbEUlT_E_NS1_11comp_targetILNS1_3genE9ELNS1_11target_archE1100ELNS1_3gpuE3ELNS1_3repE0EEENS1_44radix_sort_block_sort_config_static_selectorELNS0_4arch9wavefront6targetE1EEEvSD_,"axG",@progbits,_ZN7rocprim17ROCPRIM_400000_NS6detail17trampoline_kernelINS0_13kernel_configILj256ELj4ELj4294967295EEENS1_37radix_sort_block_sort_config_selectorIiNS0_10empty_typeEEEZNS1_21radix_sort_block_sortIS4_Lb1EPiS9_PS6_SA_NS0_19identity_decomposerEEE10hipError_tT1_T2_T3_T4_jRjT5_jjP12ihipStream_tbEUlT_E_NS1_11comp_targetILNS1_3genE9ELNS1_11target_archE1100ELNS1_3gpuE3ELNS1_3repE0EEENS1_44radix_sort_block_sort_config_static_selectorELNS0_4arch9wavefront6targetE1EEEvSD_,comdat
	.protected	_ZN7rocprim17ROCPRIM_400000_NS6detail17trampoline_kernelINS0_13kernel_configILj256ELj4ELj4294967295EEENS1_37radix_sort_block_sort_config_selectorIiNS0_10empty_typeEEEZNS1_21radix_sort_block_sortIS4_Lb1EPiS9_PS6_SA_NS0_19identity_decomposerEEE10hipError_tT1_T2_T3_T4_jRjT5_jjP12ihipStream_tbEUlT_E_NS1_11comp_targetILNS1_3genE9ELNS1_11target_archE1100ELNS1_3gpuE3ELNS1_3repE0EEENS1_44radix_sort_block_sort_config_static_selectorELNS0_4arch9wavefront6targetE1EEEvSD_ ; -- Begin function _ZN7rocprim17ROCPRIM_400000_NS6detail17trampoline_kernelINS0_13kernel_configILj256ELj4ELj4294967295EEENS1_37radix_sort_block_sort_config_selectorIiNS0_10empty_typeEEEZNS1_21radix_sort_block_sortIS4_Lb1EPiS9_PS6_SA_NS0_19identity_decomposerEEE10hipError_tT1_T2_T3_T4_jRjT5_jjP12ihipStream_tbEUlT_E_NS1_11comp_targetILNS1_3genE9ELNS1_11target_archE1100ELNS1_3gpuE3ELNS1_3repE0EEENS1_44radix_sort_block_sort_config_static_selectorELNS0_4arch9wavefront6targetE1EEEvSD_
	.globl	_ZN7rocprim17ROCPRIM_400000_NS6detail17trampoline_kernelINS0_13kernel_configILj256ELj4ELj4294967295EEENS1_37radix_sort_block_sort_config_selectorIiNS0_10empty_typeEEEZNS1_21radix_sort_block_sortIS4_Lb1EPiS9_PS6_SA_NS0_19identity_decomposerEEE10hipError_tT1_T2_T3_T4_jRjT5_jjP12ihipStream_tbEUlT_E_NS1_11comp_targetILNS1_3genE9ELNS1_11target_archE1100ELNS1_3gpuE3ELNS1_3repE0EEENS1_44radix_sort_block_sort_config_static_selectorELNS0_4arch9wavefront6targetE1EEEvSD_
	.p2align	8
	.type	_ZN7rocprim17ROCPRIM_400000_NS6detail17trampoline_kernelINS0_13kernel_configILj256ELj4ELj4294967295EEENS1_37radix_sort_block_sort_config_selectorIiNS0_10empty_typeEEEZNS1_21radix_sort_block_sortIS4_Lb1EPiS9_PS6_SA_NS0_19identity_decomposerEEE10hipError_tT1_T2_T3_T4_jRjT5_jjP12ihipStream_tbEUlT_E_NS1_11comp_targetILNS1_3genE9ELNS1_11target_archE1100ELNS1_3gpuE3ELNS1_3repE0EEENS1_44radix_sort_block_sort_config_static_selectorELNS0_4arch9wavefront6targetE1EEEvSD_,@function
_ZN7rocprim17ROCPRIM_400000_NS6detail17trampoline_kernelINS0_13kernel_configILj256ELj4ELj4294967295EEENS1_37radix_sort_block_sort_config_selectorIiNS0_10empty_typeEEEZNS1_21radix_sort_block_sortIS4_Lb1EPiS9_PS6_SA_NS0_19identity_decomposerEEE10hipError_tT1_T2_T3_T4_jRjT5_jjP12ihipStream_tbEUlT_E_NS1_11comp_targetILNS1_3genE9ELNS1_11target_archE1100ELNS1_3gpuE3ELNS1_3repE0EEENS1_44radix_sort_block_sort_config_static_selectorELNS0_4arch9wavefront6targetE1EEEvSD_: ; @_ZN7rocprim17ROCPRIM_400000_NS6detail17trampoline_kernelINS0_13kernel_configILj256ELj4ELj4294967295EEENS1_37radix_sort_block_sort_config_selectorIiNS0_10empty_typeEEEZNS1_21radix_sort_block_sortIS4_Lb1EPiS9_PS6_SA_NS0_19identity_decomposerEEE10hipError_tT1_T2_T3_T4_jRjT5_jjP12ihipStream_tbEUlT_E_NS1_11comp_targetILNS1_3genE9ELNS1_11target_archE1100ELNS1_3gpuE3ELNS1_3repE0EEENS1_44radix_sort_block_sort_config_static_selectorELNS0_4arch9wavefront6targetE1EEEvSD_
; %bb.0:
	.section	.rodata,"a",@progbits
	.p2align	6, 0x0
	.amdhsa_kernel _ZN7rocprim17ROCPRIM_400000_NS6detail17trampoline_kernelINS0_13kernel_configILj256ELj4ELj4294967295EEENS1_37radix_sort_block_sort_config_selectorIiNS0_10empty_typeEEEZNS1_21radix_sort_block_sortIS4_Lb1EPiS9_PS6_SA_NS0_19identity_decomposerEEE10hipError_tT1_T2_T3_T4_jRjT5_jjP12ihipStream_tbEUlT_E_NS1_11comp_targetILNS1_3genE9ELNS1_11target_archE1100ELNS1_3gpuE3ELNS1_3repE0EEENS1_44radix_sort_block_sort_config_static_selectorELNS0_4arch9wavefront6targetE1EEEvSD_
		.amdhsa_group_segment_fixed_size 0
		.amdhsa_private_segment_fixed_size 0
		.amdhsa_kernarg_size 48
		.amdhsa_user_sgpr_count 6
		.amdhsa_user_sgpr_private_segment_buffer 1
		.amdhsa_user_sgpr_dispatch_ptr 0
		.amdhsa_user_sgpr_queue_ptr 0
		.amdhsa_user_sgpr_kernarg_segment_ptr 1
		.amdhsa_user_sgpr_dispatch_id 0
		.amdhsa_user_sgpr_flat_scratch_init 0
		.amdhsa_user_sgpr_kernarg_preload_length 0
		.amdhsa_user_sgpr_kernarg_preload_offset 0
		.amdhsa_user_sgpr_private_segment_size 0
		.amdhsa_uses_dynamic_stack 0
		.amdhsa_system_sgpr_private_segment_wavefront_offset 0
		.amdhsa_system_sgpr_workgroup_id_x 1
		.amdhsa_system_sgpr_workgroup_id_y 0
		.amdhsa_system_sgpr_workgroup_id_z 0
		.amdhsa_system_sgpr_workgroup_info 0
		.amdhsa_system_vgpr_workitem_id 0
		.amdhsa_next_free_vgpr 1
		.amdhsa_next_free_sgpr 0
		.amdhsa_accum_offset 4
		.amdhsa_reserve_vcc 0
		.amdhsa_reserve_flat_scratch 0
		.amdhsa_float_round_mode_32 0
		.amdhsa_float_round_mode_16_64 0
		.amdhsa_float_denorm_mode_32 3
		.amdhsa_float_denorm_mode_16_64 3
		.amdhsa_dx10_clamp 1
		.amdhsa_ieee_mode 1
		.amdhsa_fp16_overflow 0
		.amdhsa_tg_split 0
		.amdhsa_exception_fp_ieee_invalid_op 0
		.amdhsa_exception_fp_denorm_src 0
		.amdhsa_exception_fp_ieee_div_zero 0
		.amdhsa_exception_fp_ieee_overflow 0
		.amdhsa_exception_fp_ieee_underflow 0
		.amdhsa_exception_fp_ieee_inexact 0
		.amdhsa_exception_int_div_zero 0
	.end_amdhsa_kernel
	.section	.text._ZN7rocprim17ROCPRIM_400000_NS6detail17trampoline_kernelINS0_13kernel_configILj256ELj4ELj4294967295EEENS1_37radix_sort_block_sort_config_selectorIiNS0_10empty_typeEEEZNS1_21radix_sort_block_sortIS4_Lb1EPiS9_PS6_SA_NS0_19identity_decomposerEEE10hipError_tT1_T2_T3_T4_jRjT5_jjP12ihipStream_tbEUlT_E_NS1_11comp_targetILNS1_3genE9ELNS1_11target_archE1100ELNS1_3gpuE3ELNS1_3repE0EEENS1_44radix_sort_block_sort_config_static_selectorELNS0_4arch9wavefront6targetE1EEEvSD_,"axG",@progbits,_ZN7rocprim17ROCPRIM_400000_NS6detail17trampoline_kernelINS0_13kernel_configILj256ELj4ELj4294967295EEENS1_37radix_sort_block_sort_config_selectorIiNS0_10empty_typeEEEZNS1_21radix_sort_block_sortIS4_Lb1EPiS9_PS6_SA_NS0_19identity_decomposerEEE10hipError_tT1_T2_T3_T4_jRjT5_jjP12ihipStream_tbEUlT_E_NS1_11comp_targetILNS1_3genE9ELNS1_11target_archE1100ELNS1_3gpuE3ELNS1_3repE0EEENS1_44radix_sort_block_sort_config_static_selectorELNS0_4arch9wavefront6targetE1EEEvSD_,comdat
.Lfunc_end1944:
	.size	_ZN7rocprim17ROCPRIM_400000_NS6detail17trampoline_kernelINS0_13kernel_configILj256ELj4ELj4294967295EEENS1_37radix_sort_block_sort_config_selectorIiNS0_10empty_typeEEEZNS1_21radix_sort_block_sortIS4_Lb1EPiS9_PS6_SA_NS0_19identity_decomposerEEE10hipError_tT1_T2_T3_T4_jRjT5_jjP12ihipStream_tbEUlT_E_NS1_11comp_targetILNS1_3genE9ELNS1_11target_archE1100ELNS1_3gpuE3ELNS1_3repE0EEENS1_44radix_sort_block_sort_config_static_selectorELNS0_4arch9wavefront6targetE1EEEvSD_, .Lfunc_end1944-_ZN7rocprim17ROCPRIM_400000_NS6detail17trampoline_kernelINS0_13kernel_configILj256ELj4ELj4294967295EEENS1_37radix_sort_block_sort_config_selectorIiNS0_10empty_typeEEEZNS1_21radix_sort_block_sortIS4_Lb1EPiS9_PS6_SA_NS0_19identity_decomposerEEE10hipError_tT1_T2_T3_T4_jRjT5_jjP12ihipStream_tbEUlT_E_NS1_11comp_targetILNS1_3genE9ELNS1_11target_archE1100ELNS1_3gpuE3ELNS1_3repE0EEENS1_44radix_sort_block_sort_config_static_selectorELNS0_4arch9wavefront6targetE1EEEvSD_
                                        ; -- End function
	.section	.AMDGPU.csdata,"",@progbits
; Kernel info:
; codeLenInByte = 0
; NumSgprs: 4
; NumVgprs: 0
; NumAgprs: 0
; TotalNumVgprs: 0
; ScratchSize: 0
; MemoryBound: 0
; FloatMode: 240
; IeeeMode: 1
; LDSByteSize: 0 bytes/workgroup (compile time only)
; SGPRBlocks: 0
; VGPRBlocks: 0
; NumSGPRsForWavesPerEU: 4
; NumVGPRsForWavesPerEU: 1
; AccumOffset: 4
; Occupancy: 8
; WaveLimiterHint : 0
; COMPUTE_PGM_RSRC2:SCRATCH_EN: 0
; COMPUTE_PGM_RSRC2:USER_SGPR: 6
; COMPUTE_PGM_RSRC2:TRAP_HANDLER: 0
; COMPUTE_PGM_RSRC2:TGID_X_EN: 1
; COMPUTE_PGM_RSRC2:TGID_Y_EN: 0
; COMPUTE_PGM_RSRC2:TGID_Z_EN: 0
; COMPUTE_PGM_RSRC2:TIDIG_COMP_CNT: 0
; COMPUTE_PGM_RSRC3_GFX90A:ACCUM_OFFSET: 0
; COMPUTE_PGM_RSRC3_GFX90A:TG_SPLIT: 0
	.section	.text._ZN7rocprim17ROCPRIM_400000_NS6detail17trampoline_kernelINS0_13kernel_configILj256ELj4ELj4294967295EEENS1_37radix_sort_block_sort_config_selectorIiNS0_10empty_typeEEEZNS1_21radix_sort_block_sortIS4_Lb1EPiS9_PS6_SA_NS0_19identity_decomposerEEE10hipError_tT1_T2_T3_T4_jRjT5_jjP12ihipStream_tbEUlT_E_NS1_11comp_targetILNS1_3genE8ELNS1_11target_archE1030ELNS1_3gpuE2ELNS1_3repE0EEENS1_44radix_sort_block_sort_config_static_selectorELNS0_4arch9wavefront6targetE1EEEvSD_,"axG",@progbits,_ZN7rocprim17ROCPRIM_400000_NS6detail17trampoline_kernelINS0_13kernel_configILj256ELj4ELj4294967295EEENS1_37radix_sort_block_sort_config_selectorIiNS0_10empty_typeEEEZNS1_21radix_sort_block_sortIS4_Lb1EPiS9_PS6_SA_NS0_19identity_decomposerEEE10hipError_tT1_T2_T3_T4_jRjT5_jjP12ihipStream_tbEUlT_E_NS1_11comp_targetILNS1_3genE8ELNS1_11target_archE1030ELNS1_3gpuE2ELNS1_3repE0EEENS1_44radix_sort_block_sort_config_static_selectorELNS0_4arch9wavefront6targetE1EEEvSD_,comdat
	.protected	_ZN7rocprim17ROCPRIM_400000_NS6detail17trampoline_kernelINS0_13kernel_configILj256ELj4ELj4294967295EEENS1_37radix_sort_block_sort_config_selectorIiNS0_10empty_typeEEEZNS1_21radix_sort_block_sortIS4_Lb1EPiS9_PS6_SA_NS0_19identity_decomposerEEE10hipError_tT1_T2_T3_T4_jRjT5_jjP12ihipStream_tbEUlT_E_NS1_11comp_targetILNS1_3genE8ELNS1_11target_archE1030ELNS1_3gpuE2ELNS1_3repE0EEENS1_44radix_sort_block_sort_config_static_selectorELNS0_4arch9wavefront6targetE1EEEvSD_ ; -- Begin function _ZN7rocprim17ROCPRIM_400000_NS6detail17trampoline_kernelINS0_13kernel_configILj256ELj4ELj4294967295EEENS1_37radix_sort_block_sort_config_selectorIiNS0_10empty_typeEEEZNS1_21radix_sort_block_sortIS4_Lb1EPiS9_PS6_SA_NS0_19identity_decomposerEEE10hipError_tT1_T2_T3_T4_jRjT5_jjP12ihipStream_tbEUlT_E_NS1_11comp_targetILNS1_3genE8ELNS1_11target_archE1030ELNS1_3gpuE2ELNS1_3repE0EEENS1_44radix_sort_block_sort_config_static_selectorELNS0_4arch9wavefront6targetE1EEEvSD_
	.globl	_ZN7rocprim17ROCPRIM_400000_NS6detail17trampoline_kernelINS0_13kernel_configILj256ELj4ELj4294967295EEENS1_37radix_sort_block_sort_config_selectorIiNS0_10empty_typeEEEZNS1_21radix_sort_block_sortIS4_Lb1EPiS9_PS6_SA_NS0_19identity_decomposerEEE10hipError_tT1_T2_T3_T4_jRjT5_jjP12ihipStream_tbEUlT_E_NS1_11comp_targetILNS1_3genE8ELNS1_11target_archE1030ELNS1_3gpuE2ELNS1_3repE0EEENS1_44radix_sort_block_sort_config_static_selectorELNS0_4arch9wavefront6targetE1EEEvSD_
	.p2align	8
	.type	_ZN7rocprim17ROCPRIM_400000_NS6detail17trampoline_kernelINS0_13kernel_configILj256ELj4ELj4294967295EEENS1_37radix_sort_block_sort_config_selectorIiNS0_10empty_typeEEEZNS1_21radix_sort_block_sortIS4_Lb1EPiS9_PS6_SA_NS0_19identity_decomposerEEE10hipError_tT1_T2_T3_T4_jRjT5_jjP12ihipStream_tbEUlT_E_NS1_11comp_targetILNS1_3genE8ELNS1_11target_archE1030ELNS1_3gpuE2ELNS1_3repE0EEENS1_44radix_sort_block_sort_config_static_selectorELNS0_4arch9wavefront6targetE1EEEvSD_,@function
_ZN7rocprim17ROCPRIM_400000_NS6detail17trampoline_kernelINS0_13kernel_configILj256ELj4ELj4294967295EEENS1_37radix_sort_block_sort_config_selectorIiNS0_10empty_typeEEEZNS1_21radix_sort_block_sortIS4_Lb1EPiS9_PS6_SA_NS0_19identity_decomposerEEE10hipError_tT1_T2_T3_T4_jRjT5_jjP12ihipStream_tbEUlT_E_NS1_11comp_targetILNS1_3genE8ELNS1_11target_archE1030ELNS1_3gpuE2ELNS1_3repE0EEENS1_44radix_sort_block_sort_config_static_selectorELNS0_4arch9wavefront6targetE1EEEvSD_: ; @_ZN7rocprim17ROCPRIM_400000_NS6detail17trampoline_kernelINS0_13kernel_configILj256ELj4ELj4294967295EEENS1_37radix_sort_block_sort_config_selectorIiNS0_10empty_typeEEEZNS1_21radix_sort_block_sortIS4_Lb1EPiS9_PS6_SA_NS0_19identity_decomposerEEE10hipError_tT1_T2_T3_T4_jRjT5_jjP12ihipStream_tbEUlT_E_NS1_11comp_targetILNS1_3genE8ELNS1_11target_archE1030ELNS1_3gpuE2ELNS1_3repE0EEENS1_44radix_sort_block_sort_config_static_selectorELNS0_4arch9wavefront6targetE1EEEvSD_
; %bb.0:
	.section	.rodata,"a",@progbits
	.p2align	6, 0x0
	.amdhsa_kernel _ZN7rocprim17ROCPRIM_400000_NS6detail17trampoline_kernelINS0_13kernel_configILj256ELj4ELj4294967295EEENS1_37radix_sort_block_sort_config_selectorIiNS0_10empty_typeEEEZNS1_21radix_sort_block_sortIS4_Lb1EPiS9_PS6_SA_NS0_19identity_decomposerEEE10hipError_tT1_T2_T3_T4_jRjT5_jjP12ihipStream_tbEUlT_E_NS1_11comp_targetILNS1_3genE8ELNS1_11target_archE1030ELNS1_3gpuE2ELNS1_3repE0EEENS1_44radix_sort_block_sort_config_static_selectorELNS0_4arch9wavefront6targetE1EEEvSD_
		.amdhsa_group_segment_fixed_size 0
		.amdhsa_private_segment_fixed_size 0
		.amdhsa_kernarg_size 48
		.amdhsa_user_sgpr_count 6
		.amdhsa_user_sgpr_private_segment_buffer 1
		.amdhsa_user_sgpr_dispatch_ptr 0
		.amdhsa_user_sgpr_queue_ptr 0
		.amdhsa_user_sgpr_kernarg_segment_ptr 1
		.amdhsa_user_sgpr_dispatch_id 0
		.amdhsa_user_sgpr_flat_scratch_init 0
		.amdhsa_user_sgpr_kernarg_preload_length 0
		.amdhsa_user_sgpr_kernarg_preload_offset 0
		.amdhsa_user_sgpr_private_segment_size 0
		.amdhsa_uses_dynamic_stack 0
		.amdhsa_system_sgpr_private_segment_wavefront_offset 0
		.amdhsa_system_sgpr_workgroup_id_x 1
		.amdhsa_system_sgpr_workgroup_id_y 0
		.amdhsa_system_sgpr_workgroup_id_z 0
		.amdhsa_system_sgpr_workgroup_info 0
		.amdhsa_system_vgpr_workitem_id 0
		.amdhsa_next_free_vgpr 1
		.amdhsa_next_free_sgpr 0
		.amdhsa_accum_offset 4
		.amdhsa_reserve_vcc 0
		.amdhsa_reserve_flat_scratch 0
		.amdhsa_float_round_mode_32 0
		.amdhsa_float_round_mode_16_64 0
		.amdhsa_float_denorm_mode_32 3
		.amdhsa_float_denorm_mode_16_64 3
		.amdhsa_dx10_clamp 1
		.amdhsa_ieee_mode 1
		.amdhsa_fp16_overflow 0
		.amdhsa_tg_split 0
		.amdhsa_exception_fp_ieee_invalid_op 0
		.amdhsa_exception_fp_denorm_src 0
		.amdhsa_exception_fp_ieee_div_zero 0
		.amdhsa_exception_fp_ieee_overflow 0
		.amdhsa_exception_fp_ieee_underflow 0
		.amdhsa_exception_fp_ieee_inexact 0
		.amdhsa_exception_int_div_zero 0
	.end_amdhsa_kernel
	.section	.text._ZN7rocprim17ROCPRIM_400000_NS6detail17trampoline_kernelINS0_13kernel_configILj256ELj4ELj4294967295EEENS1_37radix_sort_block_sort_config_selectorIiNS0_10empty_typeEEEZNS1_21radix_sort_block_sortIS4_Lb1EPiS9_PS6_SA_NS0_19identity_decomposerEEE10hipError_tT1_T2_T3_T4_jRjT5_jjP12ihipStream_tbEUlT_E_NS1_11comp_targetILNS1_3genE8ELNS1_11target_archE1030ELNS1_3gpuE2ELNS1_3repE0EEENS1_44radix_sort_block_sort_config_static_selectorELNS0_4arch9wavefront6targetE1EEEvSD_,"axG",@progbits,_ZN7rocprim17ROCPRIM_400000_NS6detail17trampoline_kernelINS0_13kernel_configILj256ELj4ELj4294967295EEENS1_37radix_sort_block_sort_config_selectorIiNS0_10empty_typeEEEZNS1_21radix_sort_block_sortIS4_Lb1EPiS9_PS6_SA_NS0_19identity_decomposerEEE10hipError_tT1_T2_T3_T4_jRjT5_jjP12ihipStream_tbEUlT_E_NS1_11comp_targetILNS1_3genE8ELNS1_11target_archE1030ELNS1_3gpuE2ELNS1_3repE0EEENS1_44radix_sort_block_sort_config_static_selectorELNS0_4arch9wavefront6targetE1EEEvSD_,comdat
.Lfunc_end1945:
	.size	_ZN7rocprim17ROCPRIM_400000_NS6detail17trampoline_kernelINS0_13kernel_configILj256ELj4ELj4294967295EEENS1_37radix_sort_block_sort_config_selectorIiNS0_10empty_typeEEEZNS1_21radix_sort_block_sortIS4_Lb1EPiS9_PS6_SA_NS0_19identity_decomposerEEE10hipError_tT1_T2_T3_T4_jRjT5_jjP12ihipStream_tbEUlT_E_NS1_11comp_targetILNS1_3genE8ELNS1_11target_archE1030ELNS1_3gpuE2ELNS1_3repE0EEENS1_44radix_sort_block_sort_config_static_selectorELNS0_4arch9wavefront6targetE1EEEvSD_, .Lfunc_end1945-_ZN7rocprim17ROCPRIM_400000_NS6detail17trampoline_kernelINS0_13kernel_configILj256ELj4ELj4294967295EEENS1_37radix_sort_block_sort_config_selectorIiNS0_10empty_typeEEEZNS1_21radix_sort_block_sortIS4_Lb1EPiS9_PS6_SA_NS0_19identity_decomposerEEE10hipError_tT1_T2_T3_T4_jRjT5_jjP12ihipStream_tbEUlT_E_NS1_11comp_targetILNS1_3genE8ELNS1_11target_archE1030ELNS1_3gpuE2ELNS1_3repE0EEENS1_44radix_sort_block_sort_config_static_selectorELNS0_4arch9wavefront6targetE1EEEvSD_
                                        ; -- End function
	.section	.AMDGPU.csdata,"",@progbits
; Kernel info:
; codeLenInByte = 0
; NumSgprs: 4
; NumVgprs: 0
; NumAgprs: 0
; TotalNumVgprs: 0
; ScratchSize: 0
; MemoryBound: 0
; FloatMode: 240
; IeeeMode: 1
; LDSByteSize: 0 bytes/workgroup (compile time only)
; SGPRBlocks: 0
; VGPRBlocks: 0
; NumSGPRsForWavesPerEU: 4
; NumVGPRsForWavesPerEU: 1
; AccumOffset: 4
; Occupancy: 8
; WaveLimiterHint : 0
; COMPUTE_PGM_RSRC2:SCRATCH_EN: 0
; COMPUTE_PGM_RSRC2:USER_SGPR: 6
; COMPUTE_PGM_RSRC2:TRAP_HANDLER: 0
; COMPUTE_PGM_RSRC2:TGID_X_EN: 1
; COMPUTE_PGM_RSRC2:TGID_Y_EN: 0
; COMPUTE_PGM_RSRC2:TGID_Z_EN: 0
; COMPUTE_PGM_RSRC2:TIDIG_COMP_CNT: 0
; COMPUTE_PGM_RSRC3_GFX90A:ACCUM_OFFSET: 0
; COMPUTE_PGM_RSRC3_GFX90A:TG_SPLIT: 0
	.section	.text._ZN7rocprim17ROCPRIM_400000_NS6detail17trampoline_kernelINS0_14default_configENS1_38merge_sort_block_merge_config_selectorIiNS0_10empty_typeEEEZZNS1_27merge_sort_block_merge_implIS3_PiPS5_jNS1_19radix_merge_compareILb1ELb0EiNS0_19identity_decomposerEEEEE10hipError_tT0_T1_T2_jT3_P12ihipStream_tbPNSt15iterator_traitsISE_E10value_typeEPNSK_ISF_E10value_typeEPSG_NS1_7vsmem_tEENKUlT_SE_SF_SG_E_clIS8_S8_S9_S9_EESD_ST_SE_SF_SG_EUlST_E_NS1_11comp_targetILNS1_3genE0ELNS1_11target_archE4294967295ELNS1_3gpuE0ELNS1_3repE0EEENS1_48merge_mergepath_partition_config_static_selectorELNS0_4arch9wavefront6targetE1EEEvSF_,"axG",@progbits,_ZN7rocprim17ROCPRIM_400000_NS6detail17trampoline_kernelINS0_14default_configENS1_38merge_sort_block_merge_config_selectorIiNS0_10empty_typeEEEZZNS1_27merge_sort_block_merge_implIS3_PiPS5_jNS1_19radix_merge_compareILb1ELb0EiNS0_19identity_decomposerEEEEE10hipError_tT0_T1_T2_jT3_P12ihipStream_tbPNSt15iterator_traitsISE_E10value_typeEPNSK_ISF_E10value_typeEPSG_NS1_7vsmem_tEENKUlT_SE_SF_SG_E_clIS8_S8_S9_S9_EESD_ST_SE_SF_SG_EUlST_E_NS1_11comp_targetILNS1_3genE0ELNS1_11target_archE4294967295ELNS1_3gpuE0ELNS1_3repE0EEENS1_48merge_mergepath_partition_config_static_selectorELNS0_4arch9wavefront6targetE1EEEvSF_,comdat
	.protected	_ZN7rocprim17ROCPRIM_400000_NS6detail17trampoline_kernelINS0_14default_configENS1_38merge_sort_block_merge_config_selectorIiNS0_10empty_typeEEEZZNS1_27merge_sort_block_merge_implIS3_PiPS5_jNS1_19radix_merge_compareILb1ELb0EiNS0_19identity_decomposerEEEEE10hipError_tT0_T1_T2_jT3_P12ihipStream_tbPNSt15iterator_traitsISE_E10value_typeEPNSK_ISF_E10value_typeEPSG_NS1_7vsmem_tEENKUlT_SE_SF_SG_E_clIS8_S8_S9_S9_EESD_ST_SE_SF_SG_EUlST_E_NS1_11comp_targetILNS1_3genE0ELNS1_11target_archE4294967295ELNS1_3gpuE0ELNS1_3repE0EEENS1_48merge_mergepath_partition_config_static_selectorELNS0_4arch9wavefront6targetE1EEEvSF_ ; -- Begin function _ZN7rocprim17ROCPRIM_400000_NS6detail17trampoline_kernelINS0_14default_configENS1_38merge_sort_block_merge_config_selectorIiNS0_10empty_typeEEEZZNS1_27merge_sort_block_merge_implIS3_PiPS5_jNS1_19radix_merge_compareILb1ELb0EiNS0_19identity_decomposerEEEEE10hipError_tT0_T1_T2_jT3_P12ihipStream_tbPNSt15iterator_traitsISE_E10value_typeEPNSK_ISF_E10value_typeEPSG_NS1_7vsmem_tEENKUlT_SE_SF_SG_E_clIS8_S8_S9_S9_EESD_ST_SE_SF_SG_EUlST_E_NS1_11comp_targetILNS1_3genE0ELNS1_11target_archE4294967295ELNS1_3gpuE0ELNS1_3repE0EEENS1_48merge_mergepath_partition_config_static_selectorELNS0_4arch9wavefront6targetE1EEEvSF_
	.globl	_ZN7rocprim17ROCPRIM_400000_NS6detail17trampoline_kernelINS0_14default_configENS1_38merge_sort_block_merge_config_selectorIiNS0_10empty_typeEEEZZNS1_27merge_sort_block_merge_implIS3_PiPS5_jNS1_19radix_merge_compareILb1ELb0EiNS0_19identity_decomposerEEEEE10hipError_tT0_T1_T2_jT3_P12ihipStream_tbPNSt15iterator_traitsISE_E10value_typeEPNSK_ISF_E10value_typeEPSG_NS1_7vsmem_tEENKUlT_SE_SF_SG_E_clIS8_S8_S9_S9_EESD_ST_SE_SF_SG_EUlST_E_NS1_11comp_targetILNS1_3genE0ELNS1_11target_archE4294967295ELNS1_3gpuE0ELNS1_3repE0EEENS1_48merge_mergepath_partition_config_static_selectorELNS0_4arch9wavefront6targetE1EEEvSF_
	.p2align	8
	.type	_ZN7rocprim17ROCPRIM_400000_NS6detail17trampoline_kernelINS0_14default_configENS1_38merge_sort_block_merge_config_selectorIiNS0_10empty_typeEEEZZNS1_27merge_sort_block_merge_implIS3_PiPS5_jNS1_19radix_merge_compareILb1ELb0EiNS0_19identity_decomposerEEEEE10hipError_tT0_T1_T2_jT3_P12ihipStream_tbPNSt15iterator_traitsISE_E10value_typeEPNSK_ISF_E10value_typeEPSG_NS1_7vsmem_tEENKUlT_SE_SF_SG_E_clIS8_S8_S9_S9_EESD_ST_SE_SF_SG_EUlST_E_NS1_11comp_targetILNS1_3genE0ELNS1_11target_archE4294967295ELNS1_3gpuE0ELNS1_3repE0EEENS1_48merge_mergepath_partition_config_static_selectorELNS0_4arch9wavefront6targetE1EEEvSF_,@function
_ZN7rocprim17ROCPRIM_400000_NS6detail17trampoline_kernelINS0_14default_configENS1_38merge_sort_block_merge_config_selectorIiNS0_10empty_typeEEEZZNS1_27merge_sort_block_merge_implIS3_PiPS5_jNS1_19radix_merge_compareILb1ELb0EiNS0_19identity_decomposerEEEEE10hipError_tT0_T1_T2_jT3_P12ihipStream_tbPNSt15iterator_traitsISE_E10value_typeEPNSK_ISF_E10value_typeEPSG_NS1_7vsmem_tEENKUlT_SE_SF_SG_E_clIS8_S8_S9_S9_EESD_ST_SE_SF_SG_EUlST_E_NS1_11comp_targetILNS1_3genE0ELNS1_11target_archE4294967295ELNS1_3gpuE0ELNS1_3repE0EEENS1_48merge_mergepath_partition_config_static_selectorELNS0_4arch9wavefront6targetE1EEEvSF_: ; @_ZN7rocprim17ROCPRIM_400000_NS6detail17trampoline_kernelINS0_14default_configENS1_38merge_sort_block_merge_config_selectorIiNS0_10empty_typeEEEZZNS1_27merge_sort_block_merge_implIS3_PiPS5_jNS1_19radix_merge_compareILb1ELb0EiNS0_19identity_decomposerEEEEE10hipError_tT0_T1_T2_jT3_P12ihipStream_tbPNSt15iterator_traitsISE_E10value_typeEPNSK_ISF_E10value_typeEPSG_NS1_7vsmem_tEENKUlT_SE_SF_SG_E_clIS8_S8_S9_S9_EESD_ST_SE_SF_SG_EUlST_E_NS1_11comp_targetILNS1_3genE0ELNS1_11target_archE4294967295ELNS1_3gpuE0ELNS1_3repE0EEENS1_48merge_mergepath_partition_config_static_selectorELNS0_4arch9wavefront6targetE1EEEvSF_
; %bb.0:
	.section	.rodata,"a",@progbits
	.p2align	6, 0x0
	.amdhsa_kernel _ZN7rocprim17ROCPRIM_400000_NS6detail17trampoline_kernelINS0_14default_configENS1_38merge_sort_block_merge_config_selectorIiNS0_10empty_typeEEEZZNS1_27merge_sort_block_merge_implIS3_PiPS5_jNS1_19radix_merge_compareILb1ELb0EiNS0_19identity_decomposerEEEEE10hipError_tT0_T1_T2_jT3_P12ihipStream_tbPNSt15iterator_traitsISE_E10value_typeEPNSK_ISF_E10value_typeEPSG_NS1_7vsmem_tEENKUlT_SE_SF_SG_E_clIS8_S8_S9_S9_EESD_ST_SE_SF_SG_EUlST_E_NS1_11comp_targetILNS1_3genE0ELNS1_11target_archE4294967295ELNS1_3gpuE0ELNS1_3repE0EEENS1_48merge_mergepath_partition_config_static_selectorELNS0_4arch9wavefront6targetE1EEEvSF_
		.amdhsa_group_segment_fixed_size 0
		.amdhsa_private_segment_fixed_size 0
		.amdhsa_kernarg_size 40
		.amdhsa_user_sgpr_count 6
		.amdhsa_user_sgpr_private_segment_buffer 1
		.amdhsa_user_sgpr_dispatch_ptr 0
		.amdhsa_user_sgpr_queue_ptr 0
		.amdhsa_user_sgpr_kernarg_segment_ptr 1
		.amdhsa_user_sgpr_dispatch_id 0
		.amdhsa_user_sgpr_flat_scratch_init 0
		.amdhsa_user_sgpr_kernarg_preload_length 0
		.amdhsa_user_sgpr_kernarg_preload_offset 0
		.amdhsa_user_sgpr_private_segment_size 0
		.amdhsa_uses_dynamic_stack 0
		.amdhsa_system_sgpr_private_segment_wavefront_offset 0
		.amdhsa_system_sgpr_workgroup_id_x 1
		.amdhsa_system_sgpr_workgroup_id_y 0
		.amdhsa_system_sgpr_workgroup_id_z 0
		.amdhsa_system_sgpr_workgroup_info 0
		.amdhsa_system_vgpr_workitem_id 0
		.amdhsa_next_free_vgpr 1
		.amdhsa_next_free_sgpr 0
		.amdhsa_accum_offset 4
		.amdhsa_reserve_vcc 0
		.amdhsa_reserve_flat_scratch 0
		.amdhsa_float_round_mode_32 0
		.amdhsa_float_round_mode_16_64 0
		.amdhsa_float_denorm_mode_32 3
		.amdhsa_float_denorm_mode_16_64 3
		.amdhsa_dx10_clamp 1
		.amdhsa_ieee_mode 1
		.amdhsa_fp16_overflow 0
		.amdhsa_tg_split 0
		.amdhsa_exception_fp_ieee_invalid_op 0
		.amdhsa_exception_fp_denorm_src 0
		.amdhsa_exception_fp_ieee_div_zero 0
		.amdhsa_exception_fp_ieee_overflow 0
		.amdhsa_exception_fp_ieee_underflow 0
		.amdhsa_exception_fp_ieee_inexact 0
		.amdhsa_exception_int_div_zero 0
	.end_amdhsa_kernel
	.section	.text._ZN7rocprim17ROCPRIM_400000_NS6detail17trampoline_kernelINS0_14default_configENS1_38merge_sort_block_merge_config_selectorIiNS0_10empty_typeEEEZZNS1_27merge_sort_block_merge_implIS3_PiPS5_jNS1_19radix_merge_compareILb1ELb0EiNS0_19identity_decomposerEEEEE10hipError_tT0_T1_T2_jT3_P12ihipStream_tbPNSt15iterator_traitsISE_E10value_typeEPNSK_ISF_E10value_typeEPSG_NS1_7vsmem_tEENKUlT_SE_SF_SG_E_clIS8_S8_S9_S9_EESD_ST_SE_SF_SG_EUlST_E_NS1_11comp_targetILNS1_3genE0ELNS1_11target_archE4294967295ELNS1_3gpuE0ELNS1_3repE0EEENS1_48merge_mergepath_partition_config_static_selectorELNS0_4arch9wavefront6targetE1EEEvSF_,"axG",@progbits,_ZN7rocprim17ROCPRIM_400000_NS6detail17trampoline_kernelINS0_14default_configENS1_38merge_sort_block_merge_config_selectorIiNS0_10empty_typeEEEZZNS1_27merge_sort_block_merge_implIS3_PiPS5_jNS1_19radix_merge_compareILb1ELb0EiNS0_19identity_decomposerEEEEE10hipError_tT0_T1_T2_jT3_P12ihipStream_tbPNSt15iterator_traitsISE_E10value_typeEPNSK_ISF_E10value_typeEPSG_NS1_7vsmem_tEENKUlT_SE_SF_SG_E_clIS8_S8_S9_S9_EESD_ST_SE_SF_SG_EUlST_E_NS1_11comp_targetILNS1_3genE0ELNS1_11target_archE4294967295ELNS1_3gpuE0ELNS1_3repE0EEENS1_48merge_mergepath_partition_config_static_selectorELNS0_4arch9wavefront6targetE1EEEvSF_,comdat
.Lfunc_end1946:
	.size	_ZN7rocprim17ROCPRIM_400000_NS6detail17trampoline_kernelINS0_14default_configENS1_38merge_sort_block_merge_config_selectorIiNS0_10empty_typeEEEZZNS1_27merge_sort_block_merge_implIS3_PiPS5_jNS1_19radix_merge_compareILb1ELb0EiNS0_19identity_decomposerEEEEE10hipError_tT0_T1_T2_jT3_P12ihipStream_tbPNSt15iterator_traitsISE_E10value_typeEPNSK_ISF_E10value_typeEPSG_NS1_7vsmem_tEENKUlT_SE_SF_SG_E_clIS8_S8_S9_S9_EESD_ST_SE_SF_SG_EUlST_E_NS1_11comp_targetILNS1_3genE0ELNS1_11target_archE4294967295ELNS1_3gpuE0ELNS1_3repE0EEENS1_48merge_mergepath_partition_config_static_selectorELNS0_4arch9wavefront6targetE1EEEvSF_, .Lfunc_end1946-_ZN7rocprim17ROCPRIM_400000_NS6detail17trampoline_kernelINS0_14default_configENS1_38merge_sort_block_merge_config_selectorIiNS0_10empty_typeEEEZZNS1_27merge_sort_block_merge_implIS3_PiPS5_jNS1_19radix_merge_compareILb1ELb0EiNS0_19identity_decomposerEEEEE10hipError_tT0_T1_T2_jT3_P12ihipStream_tbPNSt15iterator_traitsISE_E10value_typeEPNSK_ISF_E10value_typeEPSG_NS1_7vsmem_tEENKUlT_SE_SF_SG_E_clIS8_S8_S9_S9_EESD_ST_SE_SF_SG_EUlST_E_NS1_11comp_targetILNS1_3genE0ELNS1_11target_archE4294967295ELNS1_3gpuE0ELNS1_3repE0EEENS1_48merge_mergepath_partition_config_static_selectorELNS0_4arch9wavefront6targetE1EEEvSF_
                                        ; -- End function
	.section	.AMDGPU.csdata,"",@progbits
; Kernel info:
; codeLenInByte = 0
; NumSgprs: 4
; NumVgprs: 0
; NumAgprs: 0
; TotalNumVgprs: 0
; ScratchSize: 0
; MemoryBound: 0
; FloatMode: 240
; IeeeMode: 1
; LDSByteSize: 0 bytes/workgroup (compile time only)
; SGPRBlocks: 0
; VGPRBlocks: 0
; NumSGPRsForWavesPerEU: 4
; NumVGPRsForWavesPerEU: 1
; AccumOffset: 4
; Occupancy: 8
; WaveLimiterHint : 0
; COMPUTE_PGM_RSRC2:SCRATCH_EN: 0
; COMPUTE_PGM_RSRC2:USER_SGPR: 6
; COMPUTE_PGM_RSRC2:TRAP_HANDLER: 0
; COMPUTE_PGM_RSRC2:TGID_X_EN: 1
; COMPUTE_PGM_RSRC2:TGID_Y_EN: 0
; COMPUTE_PGM_RSRC2:TGID_Z_EN: 0
; COMPUTE_PGM_RSRC2:TIDIG_COMP_CNT: 0
; COMPUTE_PGM_RSRC3_GFX90A:ACCUM_OFFSET: 0
; COMPUTE_PGM_RSRC3_GFX90A:TG_SPLIT: 0
	.section	.text._ZN7rocprim17ROCPRIM_400000_NS6detail17trampoline_kernelINS0_14default_configENS1_38merge_sort_block_merge_config_selectorIiNS0_10empty_typeEEEZZNS1_27merge_sort_block_merge_implIS3_PiPS5_jNS1_19radix_merge_compareILb1ELb0EiNS0_19identity_decomposerEEEEE10hipError_tT0_T1_T2_jT3_P12ihipStream_tbPNSt15iterator_traitsISE_E10value_typeEPNSK_ISF_E10value_typeEPSG_NS1_7vsmem_tEENKUlT_SE_SF_SG_E_clIS8_S8_S9_S9_EESD_ST_SE_SF_SG_EUlST_E_NS1_11comp_targetILNS1_3genE10ELNS1_11target_archE1201ELNS1_3gpuE5ELNS1_3repE0EEENS1_48merge_mergepath_partition_config_static_selectorELNS0_4arch9wavefront6targetE1EEEvSF_,"axG",@progbits,_ZN7rocprim17ROCPRIM_400000_NS6detail17trampoline_kernelINS0_14default_configENS1_38merge_sort_block_merge_config_selectorIiNS0_10empty_typeEEEZZNS1_27merge_sort_block_merge_implIS3_PiPS5_jNS1_19radix_merge_compareILb1ELb0EiNS0_19identity_decomposerEEEEE10hipError_tT0_T1_T2_jT3_P12ihipStream_tbPNSt15iterator_traitsISE_E10value_typeEPNSK_ISF_E10value_typeEPSG_NS1_7vsmem_tEENKUlT_SE_SF_SG_E_clIS8_S8_S9_S9_EESD_ST_SE_SF_SG_EUlST_E_NS1_11comp_targetILNS1_3genE10ELNS1_11target_archE1201ELNS1_3gpuE5ELNS1_3repE0EEENS1_48merge_mergepath_partition_config_static_selectorELNS0_4arch9wavefront6targetE1EEEvSF_,comdat
	.protected	_ZN7rocprim17ROCPRIM_400000_NS6detail17trampoline_kernelINS0_14default_configENS1_38merge_sort_block_merge_config_selectorIiNS0_10empty_typeEEEZZNS1_27merge_sort_block_merge_implIS3_PiPS5_jNS1_19radix_merge_compareILb1ELb0EiNS0_19identity_decomposerEEEEE10hipError_tT0_T1_T2_jT3_P12ihipStream_tbPNSt15iterator_traitsISE_E10value_typeEPNSK_ISF_E10value_typeEPSG_NS1_7vsmem_tEENKUlT_SE_SF_SG_E_clIS8_S8_S9_S9_EESD_ST_SE_SF_SG_EUlST_E_NS1_11comp_targetILNS1_3genE10ELNS1_11target_archE1201ELNS1_3gpuE5ELNS1_3repE0EEENS1_48merge_mergepath_partition_config_static_selectorELNS0_4arch9wavefront6targetE1EEEvSF_ ; -- Begin function _ZN7rocprim17ROCPRIM_400000_NS6detail17trampoline_kernelINS0_14default_configENS1_38merge_sort_block_merge_config_selectorIiNS0_10empty_typeEEEZZNS1_27merge_sort_block_merge_implIS3_PiPS5_jNS1_19radix_merge_compareILb1ELb0EiNS0_19identity_decomposerEEEEE10hipError_tT0_T1_T2_jT3_P12ihipStream_tbPNSt15iterator_traitsISE_E10value_typeEPNSK_ISF_E10value_typeEPSG_NS1_7vsmem_tEENKUlT_SE_SF_SG_E_clIS8_S8_S9_S9_EESD_ST_SE_SF_SG_EUlST_E_NS1_11comp_targetILNS1_3genE10ELNS1_11target_archE1201ELNS1_3gpuE5ELNS1_3repE0EEENS1_48merge_mergepath_partition_config_static_selectorELNS0_4arch9wavefront6targetE1EEEvSF_
	.globl	_ZN7rocprim17ROCPRIM_400000_NS6detail17trampoline_kernelINS0_14default_configENS1_38merge_sort_block_merge_config_selectorIiNS0_10empty_typeEEEZZNS1_27merge_sort_block_merge_implIS3_PiPS5_jNS1_19radix_merge_compareILb1ELb0EiNS0_19identity_decomposerEEEEE10hipError_tT0_T1_T2_jT3_P12ihipStream_tbPNSt15iterator_traitsISE_E10value_typeEPNSK_ISF_E10value_typeEPSG_NS1_7vsmem_tEENKUlT_SE_SF_SG_E_clIS8_S8_S9_S9_EESD_ST_SE_SF_SG_EUlST_E_NS1_11comp_targetILNS1_3genE10ELNS1_11target_archE1201ELNS1_3gpuE5ELNS1_3repE0EEENS1_48merge_mergepath_partition_config_static_selectorELNS0_4arch9wavefront6targetE1EEEvSF_
	.p2align	8
	.type	_ZN7rocprim17ROCPRIM_400000_NS6detail17trampoline_kernelINS0_14default_configENS1_38merge_sort_block_merge_config_selectorIiNS0_10empty_typeEEEZZNS1_27merge_sort_block_merge_implIS3_PiPS5_jNS1_19radix_merge_compareILb1ELb0EiNS0_19identity_decomposerEEEEE10hipError_tT0_T1_T2_jT3_P12ihipStream_tbPNSt15iterator_traitsISE_E10value_typeEPNSK_ISF_E10value_typeEPSG_NS1_7vsmem_tEENKUlT_SE_SF_SG_E_clIS8_S8_S9_S9_EESD_ST_SE_SF_SG_EUlST_E_NS1_11comp_targetILNS1_3genE10ELNS1_11target_archE1201ELNS1_3gpuE5ELNS1_3repE0EEENS1_48merge_mergepath_partition_config_static_selectorELNS0_4arch9wavefront6targetE1EEEvSF_,@function
_ZN7rocprim17ROCPRIM_400000_NS6detail17trampoline_kernelINS0_14default_configENS1_38merge_sort_block_merge_config_selectorIiNS0_10empty_typeEEEZZNS1_27merge_sort_block_merge_implIS3_PiPS5_jNS1_19radix_merge_compareILb1ELb0EiNS0_19identity_decomposerEEEEE10hipError_tT0_T1_T2_jT3_P12ihipStream_tbPNSt15iterator_traitsISE_E10value_typeEPNSK_ISF_E10value_typeEPSG_NS1_7vsmem_tEENKUlT_SE_SF_SG_E_clIS8_S8_S9_S9_EESD_ST_SE_SF_SG_EUlST_E_NS1_11comp_targetILNS1_3genE10ELNS1_11target_archE1201ELNS1_3gpuE5ELNS1_3repE0EEENS1_48merge_mergepath_partition_config_static_selectorELNS0_4arch9wavefront6targetE1EEEvSF_: ; @_ZN7rocprim17ROCPRIM_400000_NS6detail17trampoline_kernelINS0_14default_configENS1_38merge_sort_block_merge_config_selectorIiNS0_10empty_typeEEEZZNS1_27merge_sort_block_merge_implIS3_PiPS5_jNS1_19radix_merge_compareILb1ELb0EiNS0_19identity_decomposerEEEEE10hipError_tT0_T1_T2_jT3_P12ihipStream_tbPNSt15iterator_traitsISE_E10value_typeEPNSK_ISF_E10value_typeEPSG_NS1_7vsmem_tEENKUlT_SE_SF_SG_E_clIS8_S8_S9_S9_EESD_ST_SE_SF_SG_EUlST_E_NS1_11comp_targetILNS1_3genE10ELNS1_11target_archE1201ELNS1_3gpuE5ELNS1_3repE0EEENS1_48merge_mergepath_partition_config_static_selectorELNS0_4arch9wavefront6targetE1EEEvSF_
; %bb.0:
	.section	.rodata,"a",@progbits
	.p2align	6, 0x0
	.amdhsa_kernel _ZN7rocprim17ROCPRIM_400000_NS6detail17trampoline_kernelINS0_14default_configENS1_38merge_sort_block_merge_config_selectorIiNS0_10empty_typeEEEZZNS1_27merge_sort_block_merge_implIS3_PiPS5_jNS1_19radix_merge_compareILb1ELb0EiNS0_19identity_decomposerEEEEE10hipError_tT0_T1_T2_jT3_P12ihipStream_tbPNSt15iterator_traitsISE_E10value_typeEPNSK_ISF_E10value_typeEPSG_NS1_7vsmem_tEENKUlT_SE_SF_SG_E_clIS8_S8_S9_S9_EESD_ST_SE_SF_SG_EUlST_E_NS1_11comp_targetILNS1_3genE10ELNS1_11target_archE1201ELNS1_3gpuE5ELNS1_3repE0EEENS1_48merge_mergepath_partition_config_static_selectorELNS0_4arch9wavefront6targetE1EEEvSF_
		.amdhsa_group_segment_fixed_size 0
		.amdhsa_private_segment_fixed_size 0
		.amdhsa_kernarg_size 40
		.amdhsa_user_sgpr_count 6
		.amdhsa_user_sgpr_private_segment_buffer 1
		.amdhsa_user_sgpr_dispatch_ptr 0
		.amdhsa_user_sgpr_queue_ptr 0
		.amdhsa_user_sgpr_kernarg_segment_ptr 1
		.amdhsa_user_sgpr_dispatch_id 0
		.amdhsa_user_sgpr_flat_scratch_init 0
		.amdhsa_user_sgpr_kernarg_preload_length 0
		.amdhsa_user_sgpr_kernarg_preload_offset 0
		.amdhsa_user_sgpr_private_segment_size 0
		.amdhsa_uses_dynamic_stack 0
		.amdhsa_system_sgpr_private_segment_wavefront_offset 0
		.amdhsa_system_sgpr_workgroup_id_x 1
		.amdhsa_system_sgpr_workgroup_id_y 0
		.amdhsa_system_sgpr_workgroup_id_z 0
		.amdhsa_system_sgpr_workgroup_info 0
		.amdhsa_system_vgpr_workitem_id 0
		.amdhsa_next_free_vgpr 1
		.amdhsa_next_free_sgpr 0
		.amdhsa_accum_offset 4
		.amdhsa_reserve_vcc 0
		.amdhsa_reserve_flat_scratch 0
		.amdhsa_float_round_mode_32 0
		.amdhsa_float_round_mode_16_64 0
		.amdhsa_float_denorm_mode_32 3
		.amdhsa_float_denorm_mode_16_64 3
		.amdhsa_dx10_clamp 1
		.amdhsa_ieee_mode 1
		.amdhsa_fp16_overflow 0
		.amdhsa_tg_split 0
		.amdhsa_exception_fp_ieee_invalid_op 0
		.amdhsa_exception_fp_denorm_src 0
		.amdhsa_exception_fp_ieee_div_zero 0
		.amdhsa_exception_fp_ieee_overflow 0
		.amdhsa_exception_fp_ieee_underflow 0
		.amdhsa_exception_fp_ieee_inexact 0
		.amdhsa_exception_int_div_zero 0
	.end_amdhsa_kernel
	.section	.text._ZN7rocprim17ROCPRIM_400000_NS6detail17trampoline_kernelINS0_14default_configENS1_38merge_sort_block_merge_config_selectorIiNS0_10empty_typeEEEZZNS1_27merge_sort_block_merge_implIS3_PiPS5_jNS1_19radix_merge_compareILb1ELb0EiNS0_19identity_decomposerEEEEE10hipError_tT0_T1_T2_jT3_P12ihipStream_tbPNSt15iterator_traitsISE_E10value_typeEPNSK_ISF_E10value_typeEPSG_NS1_7vsmem_tEENKUlT_SE_SF_SG_E_clIS8_S8_S9_S9_EESD_ST_SE_SF_SG_EUlST_E_NS1_11comp_targetILNS1_3genE10ELNS1_11target_archE1201ELNS1_3gpuE5ELNS1_3repE0EEENS1_48merge_mergepath_partition_config_static_selectorELNS0_4arch9wavefront6targetE1EEEvSF_,"axG",@progbits,_ZN7rocprim17ROCPRIM_400000_NS6detail17trampoline_kernelINS0_14default_configENS1_38merge_sort_block_merge_config_selectorIiNS0_10empty_typeEEEZZNS1_27merge_sort_block_merge_implIS3_PiPS5_jNS1_19radix_merge_compareILb1ELb0EiNS0_19identity_decomposerEEEEE10hipError_tT0_T1_T2_jT3_P12ihipStream_tbPNSt15iterator_traitsISE_E10value_typeEPNSK_ISF_E10value_typeEPSG_NS1_7vsmem_tEENKUlT_SE_SF_SG_E_clIS8_S8_S9_S9_EESD_ST_SE_SF_SG_EUlST_E_NS1_11comp_targetILNS1_3genE10ELNS1_11target_archE1201ELNS1_3gpuE5ELNS1_3repE0EEENS1_48merge_mergepath_partition_config_static_selectorELNS0_4arch9wavefront6targetE1EEEvSF_,comdat
.Lfunc_end1947:
	.size	_ZN7rocprim17ROCPRIM_400000_NS6detail17trampoline_kernelINS0_14default_configENS1_38merge_sort_block_merge_config_selectorIiNS0_10empty_typeEEEZZNS1_27merge_sort_block_merge_implIS3_PiPS5_jNS1_19radix_merge_compareILb1ELb0EiNS0_19identity_decomposerEEEEE10hipError_tT0_T1_T2_jT3_P12ihipStream_tbPNSt15iterator_traitsISE_E10value_typeEPNSK_ISF_E10value_typeEPSG_NS1_7vsmem_tEENKUlT_SE_SF_SG_E_clIS8_S8_S9_S9_EESD_ST_SE_SF_SG_EUlST_E_NS1_11comp_targetILNS1_3genE10ELNS1_11target_archE1201ELNS1_3gpuE5ELNS1_3repE0EEENS1_48merge_mergepath_partition_config_static_selectorELNS0_4arch9wavefront6targetE1EEEvSF_, .Lfunc_end1947-_ZN7rocprim17ROCPRIM_400000_NS6detail17trampoline_kernelINS0_14default_configENS1_38merge_sort_block_merge_config_selectorIiNS0_10empty_typeEEEZZNS1_27merge_sort_block_merge_implIS3_PiPS5_jNS1_19radix_merge_compareILb1ELb0EiNS0_19identity_decomposerEEEEE10hipError_tT0_T1_T2_jT3_P12ihipStream_tbPNSt15iterator_traitsISE_E10value_typeEPNSK_ISF_E10value_typeEPSG_NS1_7vsmem_tEENKUlT_SE_SF_SG_E_clIS8_S8_S9_S9_EESD_ST_SE_SF_SG_EUlST_E_NS1_11comp_targetILNS1_3genE10ELNS1_11target_archE1201ELNS1_3gpuE5ELNS1_3repE0EEENS1_48merge_mergepath_partition_config_static_selectorELNS0_4arch9wavefront6targetE1EEEvSF_
                                        ; -- End function
	.section	.AMDGPU.csdata,"",@progbits
; Kernel info:
; codeLenInByte = 0
; NumSgprs: 4
; NumVgprs: 0
; NumAgprs: 0
; TotalNumVgprs: 0
; ScratchSize: 0
; MemoryBound: 0
; FloatMode: 240
; IeeeMode: 1
; LDSByteSize: 0 bytes/workgroup (compile time only)
; SGPRBlocks: 0
; VGPRBlocks: 0
; NumSGPRsForWavesPerEU: 4
; NumVGPRsForWavesPerEU: 1
; AccumOffset: 4
; Occupancy: 8
; WaveLimiterHint : 0
; COMPUTE_PGM_RSRC2:SCRATCH_EN: 0
; COMPUTE_PGM_RSRC2:USER_SGPR: 6
; COMPUTE_PGM_RSRC2:TRAP_HANDLER: 0
; COMPUTE_PGM_RSRC2:TGID_X_EN: 1
; COMPUTE_PGM_RSRC2:TGID_Y_EN: 0
; COMPUTE_PGM_RSRC2:TGID_Z_EN: 0
; COMPUTE_PGM_RSRC2:TIDIG_COMP_CNT: 0
; COMPUTE_PGM_RSRC3_GFX90A:ACCUM_OFFSET: 0
; COMPUTE_PGM_RSRC3_GFX90A:TG_SPLIT: 0
	.section	.text._ZN7rocprim17ROCPRIM_400000_NS6detail17trampoline_kernelINS0_14default_configENS1_38merge_sort_block_merge_config_selectorIiNS0_10empty_typeEEEZZNS1_27merge_sort_block_merge_implIS3_PiPS5_jNS1_19radix_merge_compareILb1ELb0EiNS0_19identity_decomposerEEEEE10hipError_tT0_T1_T2_jT3_P12ihipStream_tbPNSt15iterator_traitsISE_E10value_typeEPNSK_ISF_E10value_typeEPSG_NS1_7vsmem_tEENKUlT_SE_SF_SG_E_clIS8_S8_S9_S9_EESD_ST_SE_SF_SG_EUlST_E_NS1_11comp_targetILNS1_3genE5ELNS1_11target_archE942ELNS1_3gpuE9ELNS1_3repE0EEENS1_48merge_mergepath_partition_config_static_selectorELNS0_4arch9wavefront6targetE1EEEvSF_,"axG",@progbits,_ZN7rocprim17ROCPRIM_400000_NS6detail17trampoline_kernelINS0_14default_configENS1_38merge_sort_block_merge_config_selectorIiNS0_10empty_typeEEEZZNS1_27merge_sort_block_merge_implIS3_PiPS5_jNS1_19radix_merge_compareILb1ELb0EiNS0_19identity_decomposerEEEEE10hipError_tT0_T1_T2_jT3_P12ihipStream_tbPNSt15iterator_traitsISE_E10value_typeEPNSK_ISF_E10value_typeEPSG_NS1_7vsmem_tEENKUlT_SE_SF_SG_E_clIS8_S8_S9_S9_EESD_ST_SE_SF_SG_EUlST_E_NS1_11comp_targetILNS1_3genE5ELNS1_11target_archE942ELNS1_3gpuE9ELNS1_3repE0EEENS1_48merge_mergepath_partition_config_static_selectorELNS0_4arch9wavefront6targetE1EEEvSF_,comdat
	.protected	_ZN7rocprim17ROCPRIM_400000_NS6detail17trampoline_kernelINS0_14default_configENS1_38merge_sort_block_merge_config_selectorIiNS0_10empty_typeEEEZZNS1_27merge_sort_block_merge_implIS3_PiPS5_jNS1_19radix_merge_compareILb1ELb0EiNS0_19identity_decomposerEEEEE10hipError_tT0_T1_T2_jT3_P12ihipStream_tbPNSt15iterator_traitsISE_E10value_typeEPNSK_ISF_E10value_typeEPSG_NS1_7vsmem_tEENKUlT_SE_SF_SG_E_clIS8_S8_S9_S9_EESD_ST_SE_SF_SG_EUlST_E_NS1_11comp_targetILNS1_3genE5ELNS1_11target_archE942ELNS1_3gpuE9ELNS1_3repE0EEENS1_48merge_mergepath_partition_config_static_selectorELNS0_4arch9wavefront6targetE1EEEvSF_ ; -- Begin function _ZN7rocprim17ROCPRIM_400000_NS6detail17trampoline_kernelINS0_14default_configENS1_38merge_sort_block_merge_config_selectorIiNS0_10empty_typeEEEZZNS1_27merge_sort_block_merge_implIS3_PiPS5_jNS1_19radix_merge_compareILb1ELb0EiNS0_19identity_decomposerEEEEE10hipError_tT0_T1_T2_jT3_P12ihipStream_tbPNSt15iterator_traitsISE_E10value_typeEPNSK_ISF_E10value_typeEPSG_NS1_7vsmem_tEENKUlT_SE_SF_SG_E_clIS8_S8_S9_S9_EESD_ST_SE_SF_SG_EUlST_E_NS1_11comp_targetILNS1_3genE5ELNS1_11target_archE942ELNS1_3gpuE9ELNS1_3repE0EEENS1_48merge_mergepath_partition_config_static_selectorELNS0_4arch9wavefront6targetE1EEEvSF_
	.globl	_ZN7rocprim17ROCPRIM_400000_NS6detail17trampoline_kernelINS0_14default_configENS1_38merge_sort_block_merge_config_selectorIiNS0_10empty_typeEEEZZNS1_27merge_sort_block_merge_implIS3_PiPS5_jNS1_19radix_merge_compareILb1ELb0EiNS0_19identity_decomposerEEEEE10hipError_tT0_T1_T2_jT3_P12ihipStream_tbPNSt15iterator_traitsISE_E10value_typeEPNSK_ISF_E10value_typeEPSG_NS1_7vsmem_tEENKUlT_SE_SF_SG_E_clIS8_S8_S9_S9_EESD_ST_SE_SF_SG_EUlST_E_NS1_11comp_targetILNS1_3genE5ELNS1_11target_archE942ELNS1_3gpuE9ELNS1_3repE0EEENS1_48merge_mergepath_partition_config_static_selectorELNS0_4arch9wavefront6targetE1EEEvSF_
	.p2align	8
	.type	_ZN7rocprim17ROCPRIM_400000_NS6detail17trampoline_kernelINS0_14default_configENS1_38merge_sort_block_merge_config_selectorIiNS0_10empty_typeEEEZZNS1_27merge_sort_block_merge_implIS3_PiPS5_jNS1_19radix_merge_compareILb1ELb0EiNS0_19identity_decomposerEEEEE10hipError_tT0_T1_T2_jT3_P12ihipStream_tbPNSt15iterator_traitsISE_E10value_typeEPNSK_ISF_E10value_typeEPSG_NS1_7vsmem_tEENKUlT_SE_SF_SG_E_clIS8_S8_S9_S9_EESD_ST_SE_SF_SG_EUlST_E_NS1_11comp_targetILNS1_3genE5ELNS1_11target_archE942ELNS1_3gpuE9ELNS1_3repE0EEENS1_48merge_mergepath_partition_config_static_selectorELNS0_4arch9wavefront6targetE1EEEvSF_,@function
_ZN7rocprim17ROCPRIM_400000_NS6detail17trampoline_kernelINS0_14default_configENS1_38merge_sort_block_merge_config_selectorIiNS0_10empty_typeEEEZZNS1_27merge_sort_block_merge_implIS3_PiPS5_jNS1_19radix_merge_compareILb1ELb0EiNS0_19identity_decomposerEEEEE10hipError_tT0_T1_T2_jT3_P12ihipStream_tbPNSt15iterator_traitsISE_E10value_typeEPNSK_ISF_E10value_typeEPSG_NS1_7vsmem_tEENKUlT_SE_SF_SG_E_clIS8_S8_S9_S9_EESD_ST_SE_SF_SG_EUlST_E_NS1_11comp_targetILNS1_3genE5ELNS1_11target_archE942ELNS1_3gpuE9ELNS1_3repE0EEENS1_48merge_mergepath_partition_config_static_selectorELNS0_4arch9wavefront6targetE1EEEvSF_: ; @_ZN7rocprim17ROCPRIM_400000_NS6detail17trampoline_kernelINS0_14default_configENS1_38merge_sort_block_merge_config_selectorIiNS0_10empty_typeEEEZZNS1_27merge_sort_block_merge_implIS3_PiPS5_jNS1_19radix_merge_compareILb1ELb0EiNS0_19identity_decomposerEEEEE10hipError_tT0_T1_T2_jT3_P12ihipStream_tbPNSt15iterator_traitsISE_E10value_typeEPNSK_ISF_E10value_typeEPSG_NS1_7vsmem_tEENKUlT_SE_SF_SG_E_clIS8_S8_S9_S9_EESD_ST_SE_SF_SG_EUlST_E_NS1_11comp_targetILNS1_3genE5ELNS1_11target_archE942ELNS1_3gpuE9ELNS1_3repE0EEENS1_48merge_mergepath_partition_config_static_selectorELNS0_4arch9wavefront6targetE1EEEvSF_
; %bb.0:
	.section	.rodata,"a",@progbits
	.p2align	6, 0x0
	.amdhsa_kernel _ZN7rocprim17ROCPRIM_400000_NS6detail17trampoline_kernelINS0_14default_configENS1_38merge_sort_block_merge_config_selectorIiNS0_10empty_typeEEEZZNS1_27merge_sort_block_merge_implIS3_PiPS5_jNS1_19radix_merge_compareILb1ELb0EiNS0_19identity_decomposerEEEEE10hipError_tT0_T1_T2_jT3_P12ihipStream_tbPNSt15iterator_traitsISE_E10value_typeEPNSK_ISF_E10value_typeEPSG_NS1_7vsmem_tEENKUlT_SE_SF_SG_E_clIS8_S8_S9_S9_EESD_ST_SE_SF_SG_EUlST_E_NS1_11comp_targetILNS1_3genE5ELNS1_11target_archE942ELNS1_3gpuE9ELNS1_3repE0EEENS1_48merge_mergepath_partition_config_static_selectorELNS0_4arch9wavefront6targetE1EEEvSF_
		.amdhsa_group_segment_fixed_size 0
		.amdhsa_private_segment_fixed_size 0
		.amdhsa_kernarg_size 40
		.amdhsa_user_sgpr_count 6
		.amdhsa_user_sgpr_private_segment_buffer 1
		.amdhsa_user_sgpr_dispatch_ptr 0
		.amdhsa_user_sgpr_queue_ptr 0
		.amdhsa_user_sgpr_kernarg_segment_ptr 1
		.amdhsa_user_sgpr_dispatch_id 0
		.amdhsa_user_sgpr_flat_scratch_init 0
		.amdhsa_user_sgpr_kernarg_preload_length 0
		.amdhsa_user_sgpr_kernarg_preload_offset 0
		.amdhsa_user_sgpr_private_segment_size 0
		.amdhsa_uses_dynamic_stack 0
		.amdhsa_system_sgpr_private_segment_wavefront_offset 0
		.amdhsa_system_sgpr_workgroup_id_x 1
		.amdhsa_system_sgpr_workgroup_id_y 0
		.amdhsa_system_sgpr_workgroup_id_z 0
		.amdhsa_system_sgpr_workgroup_info 0
		.amdhsa_system_vgpr_workitem_id 0
		.amdhsa_next_free_vgpr 1
		.amdhsa_next_free_sgpr 0
		.amdhsa_accum_offset 4
		.amdhsa_reserve_vcc 0
		.amdhsa_reserve_flat_scratch 0
		.amdhsa_float_round_mode_32 0
		.amdhsa_float_round_mode_16_64 0
		.amdhsa_float_denorm_mode_32 3
		.amdhsa_float_denorm_mode_16_64 3
		.amdhsa_dx10_clamp 1
		.amdhsa_ieee_mode 1
		.amdhsa_fp16_overflow 0
		.amdhsa_tg_split 0
		.amdhsa_exception_fp_ieee_invalid_op 0
		.amdhsa_exception_fp_denorm_src 0
		.amdhsa_exception_fp_ieee_div_zero 0
		.amdhsa_exception_fp_ieee_overflow 0
		.amdhsa_exception_fp_ieee_underflow 0
		.amdhsa_exception_fp_ieee_inexact 0
		.amdhsa_exception_int_div_zero 0
	.end_amdhsa_kernel
	.section	.text._ZN7rocprim17ROCPRIM_400000_NS6detail17trampoline_kernelINS0_14default_configENS1_38merge_sort_block_merge_config_selectorIiNS0_10empty_typeEEEZZNS1_27merge_sort_block_merge_implIS3_PiPS5_jNS1_19radix_merge_compareILb1ELb0EiNS0_19identity_decomposerEEEEE10hipError_tT0_T1_T2_jT3_P12ihipStream_tbPNSt15iterator_traitsISE_E10value_typeEPNSK_ISF_E10value_typeEPSG_NS1_7vsmem_tEENKUlT_SE_SF_SG_E_clIS8_S8_S9_S9_EESD_ST_SE_SF_SG_EUlST_E_NS1_11comp_targetILNS1_3genE5ELNS1_11target_archE942ELNS1_3gpuE9ELNS1_3repE0EEENS1_48merge_mergepath_partition_config_static_selectorELNS0_4arch9wavefront6targetE1EEEvSF_,"axG",@progbits,_ZN7rocprim17ROCPRIM_400000_NS6detail17trampoline_kernelINS0_14default_configENS1_38merge_sort_block_merge_config_selectorIiNS0_10empty_typeEEEZZNS1_27merge_sort_block_merge_implIS3_PiPS5_jNS1_19radix_merge_compareILb1ELb0EiNS0_19identity_decomposerEEEEE10hipError_tT0_T1_T2_jT3_P12ihipStream_tbPNSt15iterator_traitsISE_E10value_typeEPNSK_ISF_E10value_typeEPSG_NS1_7vsmem_tEENKUlT_SE_SF_SG_E_clIS8_S8_S9_S9_EESD_ST_SE_SF_SG_EUlST_E_NS1_11comp_targetILNS1_3genE5ELNS1_11target_archE942ELNS1_3gpuE9ELNS1_3repE0EEENS1_48merge_mergepath_partition_config_static_selectorELNS0_4arch9wavefront6targetE1EEEvSF_,comdat
.Lfunc_end1948:
	.size	_ZN7rocprim17ROCPRIM_400000_NS6detail17trampoline_kernelINS0_14default_configENS1_38merge_sort_block_merge_config_selectorIiNS0_10empty_typeEEEZZNS1_27merge_sort_block_merge_implIS3_PiPS5_jNS1_19radix_merge_compareILb1ELb0EiNS0_19identity_decomposerEEEEE10hipError_tT0_T1_T2_jT3_P12ihipStream_tbPNSt15iterator_traitsISE_E10value_typeEPNSK_ISF_E10value_typeEPSG_NS1_7vsmem_tEENKUlT_SE_SF_SG_E_clIS8_S8_S9_S9_EESD_ST_SE_SF_SG_EUlST_E_NS1_11comp_targetILNS1_3genE5ELNS1_11target_archE942ELNS1_3gpuE9ELNS1_3repE0EEENS1_48merge_mergepath_partition_config_static_selectorELNS0_4arch9wavefront6targetE1EEEvSF_, .Lfunc_end1948-_ZN7rocprim17ROCPRIM_400000_NS6detail17trampoline_kernelINS0_14default_configENS1_38merge_sort_block_merge_config_selectorIiNS0_10empty_typeEEEZZNS1_27merge_sort_block_merge_implIS3_PiPS5_jNS1_19radix_merge_compareILb1ELb0EiNS0_19identity_decomposerEEEEE10hipError_tT0_T1_T2_jT3_P12ihipStream_tbPNSt15iterator_traitsISE_E10value_typeEPNSK_ISF_E10value_typeEPSG_NS1_7vsmem_tEENKUlT_SE_SF_SG_E_clIS8_S8_S9_S9_EESD_ST_SE_SF_SG_EUlST_E_NS1_11comp_targetILNS1_3genE5ELNS1_11target_archE942ELNS1_3gpuE9ELNS1_3repE0EEENS1_48merge_mergepath_partition_config_static_selectorELNS0_4arch9wavefront6targetE1EEEvSF_
                                        ; -- End function
	.section	.AMDGPU.csdata,"",@progbits
; Kernel info:
; codeLenInByte = 0
; NumSgprs: 4
; NumVgprs: 0
; NumAgprs: 0
; TotalNumVgprs: 0
; ScratchSize: 0
; MemoryBound: 0
; FloatMode: 240
; IeeeMode: 1
; LDSByteSize: 0 bytes/workgroup (compile time only)
; SGPRBlocks: 0
; VGPRBlocks: 0
; NumSGPRsForWavesPerEU: 4
; NumVGPRsForWavesPerEU: 1
; AccumOffset: 4
; Occupancy: 8
; WaveLimiterHint : 0
; COMPUTE_PGM_RSRC2:SCRATCH_EN: 0
; COMPUTE_PGM_RSRC2:USER_SGPR: 6
; COMPUTE_PGM_RSRC2:TRAP_HANDLER: 0
; COMPUTE_PGM_RSRC2:TGID_X_EN: 1
; COMPUTE_PGM_RSRC2:TGID_Y_EN: 0
; COMPUTE_PGM_RSRC2:TGID_Z_EN: 0
; COMPUTE_PGM_RSRC2:TIDIG_COMP_CNT: 0
; COMPUTE_PGM_RSRC3_GFX90A:ACCUM_OFFSET: 0
; COMPUTE_PGM_RSRC3_GFX90A:TG_SPLIT: 0
	.section	.text._ZN7rocprim17ROCPRIM_400000_NS6detail17trampoline_kernelINS0_14default_configENS1_38merge_sort_block_merge_config_selectorIiNS0_10empty_typeEEEZZNS1_27merge_sort_block_merge_implIS3_PiPS5_jNS1_19radix_merge_compareILb1ELb0EiNS0_19identity_decomposerEEEEE10hipError_tT0_T1_T2_jT3_P12ihipStream_tbPNSt15iterator_traitsISE_E10value_typeEPNSK_ISF_E10value_typeEPSG_NS1_7vsmem_tEENKUlT_SE_SF_SG_E_clIS8_S8_S9_S9_EESD_ST_SE_SF_SG_EUlST_E_NS1_11comp_targetILNS1_3genE4ELNS1_11target_archE910ELNS1_3gpuE8ELNS1_3repE0EEENS1_48merge_mergepath_partition_config_static_selectorELNS0_4arch9wavefront6targetE1EEEvSF_,"axG",@progbits,_ZN7rocprim17ROCPRIM_400000_NS6detail17trampoline_kernelINS0_14default_configENS1_38merge_sort_block_merge_config_selectorIiNS0_10empty_typeEEEZZNS1_27merge_sort_block_merge_implIS3_PiPS5_jNS1_19radix_merge_compareILb1ELb0EiNS0_19identity_decomposerEEEEE10hipError_tT0_T1_T2_jT3_P12ihipStream_tbPNSt15iterator_traitsISE_E10value_typeEPNSK_ISF_E10value_typeEPSG_NS1_7vsmem_tEENKUlT_SE_SF_SG_E_clIS8_S8_S9_S9_EESD_ST_SE_SF_SG_EUlST_E_NS1_11comp_targetILNS1_3genE4ELNS1_11target_archE910ELNS1_3gpuE8ELNS1_3repE0EEENS1_48merge_mergepath_partition_config_static_selectorELNS0_4arch9wavefront6targetE1EEEvSF_,comdat
	.protected	_ZN7rocprim17ROCPRIM_400000_NS6detail17trampoline_kernelINS0_14default_configENS1_38merge_sort_block_merge_config_selectorIiNS0_10empty_typeEEEZZNS1_27merge_sort_block_merge_implIS3_PiPS5_jNS1_19radix_merge_compareILb1ELb0EiNS0_19identity_decomposerEEEEE10hipError_tT0_T1_T2_jT3_P12ihipStream_tbPNSt15iterator_traitsISE_E10value_typeEPNSK_ISF_E10value_typeEPSG_NS1_7vsmem_tEENKUlT_SE_SF_SG_E_clIS8_S8_S9_S9_EESD_ST_SE_SF_SG_EUlST_E_NS1_11comp_targetILNS1_3genE4ELNS1_11target_archE910ELNS1_3gpuE8ELNS1_3repE0EEENS1_48merge_mergepath_partition_config_static_selectorELNS0_4arch9wavefront6targetE1EEEvSF_ ; -- Begin function _ZN7rocprim17ROCPRIM_400000_NS6detail17trampoline_kernelINS0_14default_configENS1_38merge_sort_block_merge_config_selectorIiNS0_10empty_typeEEEZZNS1_27merge_sort_block_merge_implIS3_PiPS5_jNS1_19radix_merge_compareILb1ELb0EiNS0_19identity_decomposerEEEEE10hipError_tT0_T1_T2_jT3_P12ihipStream_tbPNSt15iterator_traitsISE_E10value_typeEPNSK_ISF_E10value_typeEPSG_NS1_7vsmem_tEENKUlT_SE_SF_SG_E_clIS8_S8_S9_S9_EESD_ST_SE_SF_SG_EUlST_E_NS1_11comp_targetILNS1_3genE4ELNS1_11target_archE910ELNS1_3gpuE8ELNS1_3repE0EEENS1_48merge_mergepath_partition_config_static_selectorELNS0_4arch9wavefront6targetE1EEEvSF_
	.globl	_ZN7rocprim17ROCPRIM_400000_NS6detail17trampoline_kernelINS0_14default_configENS1_38merge_sort_block_merge_config_selectorIiNS0_10empty_typeEEEZZNS1_27merge_sort_block_merge_implIS3_PiPS5_jNS1_19radix_merge_compareILb1ELb0EiNS0_19identity_decomposerEEEEE10hipError_tT0_T1_T2_jT3_P12ihipStream_tbPNSt15iterator_traitsISE_E10value_typeEPNSK_ISF_E10value_typeEPSG_NS1_7vsmem_tEENKUlT_SE_SF_SG_E_clIS8_S8_S9_S9_EESD_ST_SE_SF_SG_EUlST_E_NS1_11comp_targetILNS1_3genE4ELNS1_11target_archE910ELNS1_3gpuE8ELNS1_3repE0EEENS1_48merge_mergepath_partition_config_static_selectorELNS0_4arch9wavefront6targetE1EEEvSF_
	.p2align	8
	.type	_ZN7rocprim17ROCPRIM_400000_NS6detail17trampoline_kernelINS0_14default_configENS1_38merge_sort_block_merge_config_selectorIiNS0_10empty_typeEEEZZNS1_27merge_sort_block_merge_implIS3_PiPS5_jNS1_19radix_merge_compareILb1ELb0EiNS0_19identity_decomposerEEEEE10hipError_tT0_T1_T2_jT3_P12ihipStream_tbPNSt15iterator_traitsISE_E10value_typeEPNSK_ISF_E10value_typeEPSG_NS1_7vsmem_tEENKUlT_SE_SF_SG_E_clIS8_S8_S9_S9_EESD_ST_SE_SF_SG_EUlST_E_NS1_11comp_targetILNS1_3genE4ELNS1_11target_archE910ELNS1_3gpuE8ELNS1_3repE0EEENS1_48merge_mergepath_partition_config_static_selectorELNS0_4arch9wavefront6targetE1EEEvSF_,@function
_ZN7rocprim17ROCPRIM_400000_NS6detail17trampoline_kernelINS0_14default_configENS1_38merge_sort_block_merge_config_selectorIiNS0_10empty_typeEEEZZNS1_27merge_sort_block_merge_implIS3_PiPS5_jNS1_19radix_merge_compareILb1ELb0EiNS0_19identity_decomposerEEEEE10hipError_tT0_T1_T2_jT3_P12ihipStream_tbPNSt15iterator_traitsISE_E10value_typeEPNSK_ISF_E10value_typeEPSG_NS1_7vsmem_tEENKUlT_SE_SF_SG_E_clIS8_S8_S9_S9_EESD_ST_SE_SF_SG_EUlST_E_NS1_11comp_targetILNS1_3genE4ELNS1_11target_archE910ELNS1_3gpuE8ELNS1_3repE0EEENS1_48merge_mergepath_partition_config_static_selectorELNS0_4arch9wavefront6targetE1EEEvSF_: ; @_ZN7rocprim17ROCPRIM_400000_NS6detail17trampoline_kernelINS0_14default_configENS1_38merge_sort_block_merge_config_selectorIiNS0_10empty_typeEEEZZNS1_27merge_sort_block_merge_implIS3_PiPS5_jNS1_19radix_merge_compareILb1ELb0EiNS0_19identity_decomposerEEEEE10hipError_tT0_T1_T2_jT3_P12ihipStream_tbPNSt15iterator_traitsISE_E10value_typeEPNSK_ISF_E10value_typeEPSG_NS1_7vsmem_tEENKUlT_SE_SF_SG_E_clIS8_S8_S9_S9_EESD_ST_SE_SF_SG_EUlST_E_NS1_11comp_targetILNS1_3genE4ELNS1_11target_archE910ELNS1_3gpuE8ELNS1_3repE0EEENS1_48merge_mergepath_partition_config_static_selectorELNS0_4arch9wavefront6targetE1EEEvSF_
; %bb.0:
	s_load_dword s0, s[4:5], 0x0
	v_lshl_or_b32 v0, s6, 7, v0
	s_waitcnt lgkmcnt(0)
	v_cmp_gt_u32_e32 vcc, s0, v0
	s_and_saveexec_b64 s[0:1], vcc
	s_cbranch_execz .LBB1949_6
; %bb.1:
	s_load_dwordx2 s[2:3], s[4:5], 0x4
	s_load_dwordx2 s[0:1], s[4:5], 0x20
	s_waitcnt lgkmcnt(0)
	s_lshr_b32 s6, s2, 9
	s_and_b32 s6, s6, 0x7ffffe
	s_add_i32 s7, s6, -1
	s_sub_i32 s6, 0, s6
	v_and_b32_e32 v1, s6, v0
	v_lshlrev_b32_e32 v1, 10, v1
	v_min_u32_e32 v2, s3, v1
	v_add_u32_e32 v1, s2, v1
	v_min_u32_e32 v4, s3, v1
	v_add_u32_e32 v1, s2, v4
	v_and_b32_e32 v3, s7, v0
	v_min_u32_e32 v1, s3, v1
	v_sub_u32_e32 v5, v1, v2
	v_lshlrev_b32_e32 v3, 10, v3
	v_min_u32_e32 v6, v5, v3
	v_sub_u32_e32 v3, v4, v2
	v_sub_u32_e32 v1, v1, v4
	v_sub_u32_e64 v1, v6, v1 clamp
	v_min_u32_e32 v7, v6, v3
	v_cmp_lt_u32_e32 vcc, v1, v7
	s_and_saveexec_b64 s[2:3], vcc
	s_cbranch_execz .LBB1949_5
; %bb.2:
	s_load_dwordx2 s[4:5], s[4:5], 0x10
	v_mov_b32_e32 v5, 0
	v_mov_b32_e32 v3, v5
	v_lshlrev_b64 v[8:9], 2, v[2:3]
	v_lshlrev_b64 v[10:11], 2, v[4:5]
	s_waitcnt lgkmcnt(0)
	v_mov_b32_e32 v12, s5
	v_add_co_u32_e32 v3, vcc, s4, v8
	v_addc_co_u32_e32 v8, vcc, v12, v9, vcc
	v_add_co_u32_e32 v9, vcc, s4, v10
	v_addc_co_u32_e32 v10, vcc, v12, v11, vcc
	s_mov_b64 s[4:5], 0
.LBB1949_3:                             ; =>This Inner Loop Header: Depth=1
	v_add_u32_e32 v4, v7, v1
	v_lshrrev_b32_e32 v4, 1, v4
	v_lshlrev_b64 v[14:15], 2, v[4:5]
	v_mov_b32_e32 v13, v5
	v_xad_u32 v12, v4, -1, v6
	v_add_co_u32_e32 v14, vcc, v3, v14
	v_addc_co_u32_e32 v15, vcc, v8, v15, vcc
	v_lshlrev_b64 v[12:13], 2, v[12:13]
	v_add_co_u32_e32 v12, vcc, v9, v12
	v_addc_co_u32_e32 v13, vcc, v10, v13, vcc
	global_load_dword v11, v[14:15], off
	global_load_dword v16, v[12:13], off
	v_add_u32_e32 v12, 1, v4
	s_waitcnt vmcnt(0)
	v_cmp_gt_i32_e32 vcc, v16, v11
	v_cndmask_b32_e32 v7, v7, v4, vcc
	v_cndmask_b32_e32 v1, v12, v1, vcc
	v_cmp_ge_u32_e32 vcc, v1, v7
	s_or_b64 s[4:5], vcc, s[4:5]
	s_andn2_b64 exec, exec, s[4:5]
	s_cbranch_execnz .LBB1949_3
; %bb.4:
	s_or_b64 exec, exec, s[4:5]
.LBB1949_5:
	s_or_b64 exec, exec, s[2:3]
	v_add_u32_e32 v2, v1, v2
	v_mov_b32_e32 v1, 0
	v_lshlrev_b64 v[0:1], 2, v[0:1]
	v_mov_b32_e32 v3, s1
	v_add_co_u32_e32 v0, vcc, s0, v0
	v_addc_co_u32_e32 v1, vcc, v3, v1, vcc
	global_store_dword v[0:1], v2, off
.LBB1949_6:
	s_endpgm
	.section	.rodata,"a",@progbits
	.p2align	6, 0x0
	.amdhsa_kernel _ZN7rocprim17ROCPRIM_400000_NS6detail17trampoline_kernelINS0_14default_configENS1_38merge_sort_block_merge_config_selectorIiNS0_10empty_typeEEEZZNS1_27merge_sort_block_merge_implIS3_PiPS5_jNS1_19radix_merge_compareILb1ELb0EiNS0_19identity_decomposerEEEEE10hipError_tT0_T1_T2_jT3_P12ihipStream_tbPNSt15iterator_traitsISE_E10value_typeEPNSK_ISF_E10value_typeEPSG_NS1_7vsmem_tEENKUlT_SE_SF_SG_E_clIS8_S8_S9_S9_EESD_ST_SE_SF_SG_EUlST_E_NS1_11comp_targetILNS1_3genE4ELNS1_11target_archE910ELNS1_3gpuE8ELNS1_3repE0EEENS1_48merge_mergepath_partition_config_static_selectorELNS0_4arch9wavefront6targetE1EEEvSF_
		.amdhsa_group_segment_fixed_size 0
		.amdhsa_private_segment_fixed_size 0
		.amdhsa_kernarg_size 40
		.amdhsa_user_sgpr_count 6
		.amdhsa_user_sgpr_private_segment_buffer 1
		.amdhsa_user_sgpr_dispatch_ptr 0
		.amdhsa_user_sgpr_queue_ptr 0
		.amdhsa_user_sgpr_kernarg_segment_ptr 1
		.amdhsa_user_sgpr_dispatch_id 0
		.amdhsa_user_sgpr_flat_scratch_init 0
		.amdhsa_user_sgpr_kernarg_preload_length 0
		.amdhsa_user_sgpr_kernarg_preload_offset 0
		.amdhsa_user_sgpr_private_segment_size 0
		.amdhsa_uses_dynamic_stack 0
		.amdhsa_system_sgpr_private_segment_wavefront_offset 0
		.amdhsa_system_sgpr_workgroup_id_x 1
		.amdhsa_system_sgpr_workgroup_id_y 0
		.amdhsa_system_sgpr_workgroup_id_z 0
		.amdhsa_system_sgpr_workgroup_info 0
		.amdhsa_system_vgpr_workitem_id 0
		.amdhsa_next_free_vgpr 17
		.amdhsa_next_free_sgpr 8
		.amdhsa_accum_offset 20
		.amdhsa_reserve_vcc 1
		.amdhsa_reserve_flat_scratch 0
		.amdhsa_float_round_mode_32 0
		.amdhsa_float_round_mode_16_64 0
		.amdhsa_float_denorm_mode_32 3
		.amdhsa_float_denorm_mode_16_64 3
		.amdhsa_dx10_clamp 1
		.amdhsa_ieee_mode 1
		.amdhsa_fp16_overflow 0
		.amdhsa_tg_split 0
		.amdhsa_exception_fp_ieee_invalid_op 0
		.amdhsa_exception_fp_denorm_src 0
		.amdhsa_exception_fp_ieee_div_zero 0
		.amdhsa_exception_fp_ieee_overflow 0
		.amdhsa_exception_fp_ieee_underflow 0
		.amdhsa_exception_fp_ieee_inexact 0
		.amdhsa_exception_int_div_zero 0
	.end_amdhsa_kernel
	.section	.text._ZN7rocprim17ROCPRIM_400000_NS6detail17trampoline_kernelINS0_14default_configENS1_38merge_sort_block_merge_config_selectorIiNS0_10empty_typeEEEZZNS1_27merge_sort_block_merge_implIS3_PiPS5_jNS1_19radix_merge_compareILb1ELb0EiNS0_19identity_decomposerEEEEE10hipError_tT0_T1_T2_jT3_P12ihipStream_tbPNSt15iterator_traitsISE_E10value_typeEPNSK_ISF_E10value_typeEPSG_NS1_7vsmem_tEENKUlT_SE_SF_SG_E_clIS8_S8_S9_S9_EESD_ST_SE_SF_SG_EUlST_E_NS1_11comp_targetILNS1_3genE4ELNS1_11target_archE910ELNS1_3gpuE8ELNS1_3repE0EEENS1_48merge_mergepath_partition_config_static_selectorELNS0_4arch9wavefront6targetE1EEEvSF_,"axG",@progbits,_ZN7rocprim17ROCPRIM_400000_NS6detail17trampoline_kernelINS0_14default_configENS1_38merge_sort_block_merge_config_selectorIiNS0_10empty_typeEEEZZNS1_27merge_sort_block_merge_implIS3_PiPS5_jNS1_19radix_merge_compareILb1ELb0EiNS0_19identity_decomposerEEEEE10hipError_tT0_T1_T2_jT3_P12ihipStream_tbPNSt15iterator_traitsISE_E10value_typeEPNSK_ISF_E10value_typeEPSG_NS1_7vsmem_tEENKUlT_SE_SF_SG_E_clIS8_S8_S9_S9_EESD_ST_SE_SF_SG_EUlST_E_NS1_11comp_targetILNS1_3genE4ELNS1_11target_archE910ELNS1_3gpuE8ELNS1_3repE0EEENS1_48merge_mergepath_partition_config_static_selectorELNS0_4arch9wavefront6targetE1EEEvSF_,comdat
.Lfunc_end1949:
	.size	_ZN7rocprim17ROCPRIM_400000_NS6detail17trampoline_kernelINS0_14default_configENS1_38merge_sort_block_merge_config_selectorIiNS0_10empty_typeEEEZZNS1_27merge_sort_block_merge_implIS3_PiPS5_jNS1_19radix_merge_compareILb1ELb0EiNS0_19identity_decomposerEEEEE10hipError_tT0_T1_T2_jT3_P12ihipStream_tbPNSt15iterator_traitsISE_E10value_typeEPNSK_ISF_E10value_typeEPSG_NS1_7vsmem_tEENKUlT_SE_SF_SG_E_clIS8_S8_S9_S9_EESD_ST_SE_SF_SG_EUlST_E_NS1_11comp_targetILNS1_3genE4ELNS1_11target_archE910ELNS1_3gpuE8ELNS1_3repE0EEENS1_48merge_mergepath_partition_config_static_selectorELNS0_4arch9wavefront6targetE1EEEvSF_, .Lfunc_end1949-_ZN7rocprim17ROCPRIM_400000_NS6detail17trampoline_kernelINS0_14default_configENS1_38merge_sort_block_merge_config_selectorIiNS0_10empty_typeEEEZZNS1_27merge_sort_block_merge_implIS3_PiPS5_jNS1_19radix_merge_compareILb1ELb0EiNS0_19identity_decomposerEEEEE10hipError_tT0_T1_T2_jT3_P12ihipStream_tbPNSt15iterator_traitsISE_E10value_typeEPNSK_ISF_E10value_typeEPSG_NS1_7vsmem_tEENKUlT_SE_SF_SG_E_clIS8_S8_S9_S9_EESD_ST_SE_SF_SG_EUlST_E_NS1_11comp_targetILNS1_3genE4ELNS1_11target_archE910ELNS1_3gpuE8ELNS1_3repE0EEENS1_48merge_mergepath_partition_config_static_selectorELNS0_4arch9wavefront6targetE1EEEvSF_
                                        ; -- End function
	.section	.AMDGPU.csdata,"",@progbits
; Kernel info:
; codeLenInByte = 360
; NumSgprs: 12
; NumVgprs: 17
; NumAgprs: 0
; TotalNumVgprs: 17
; ScratchSize: 0
; MemoryBound: 0
; FloatMode: 240
; IeeeMode: 1
; LDSByteSize: 0 bytes/workgroup (compile time only)
; SGPRBlocks: 1
; VGPRBlocks: 2
; NumSGPRsForWavesPerEU: 12
; NumVGPRsForWavesPerEU: 17
; AccumOffset: 20
; Occupancy: 8
; WaveLimiterHint : 0
; COMPUTE_PGM_RSRC2:SCRATCH_EN: 0
; COMPUTE_PGM_RSRC2:USER_SGPR: 6
; COMPUTE_PGM_RSRC2:TRAP_HANDLER: 0
; COMPUTE_PGM_RSRC2:TGID_X_EN: 1
; COMPUTE_PGM_RSRC2:TGID_Y_EN: 0
; COMPUTE_PGM_RSRC2:TGID_Z_EN: 0
; COMPUTE_PGM_RSRC2:TIDIG_COMP_CNT: 0
; COMPUTE_PGM_RSRC3_GFX90A:ACCUM_OFFSET: 4
; COMPUTE_PGM_RSRC3_GFX90A:TG_SPLIT: 0
	.section	.text._ZN7rocprim17ROCPRIM_400000_NS6detail17trampoline_kernelINS0_14default_configENS1_38merge_sort_block_merge_config_selectorIiNS0_10empty_typeEEEZZNS1_27merge_sort_block_merge_implIS3_PiPS5_jNS1_19radix_merge_compareILb1ELb0EiNS0_19identity_decomposerEEEEE10hipError_tT0_T1_T2_jT3_P12ihipStream_tbPNSt15iterator_traitsISE_E10value_typeEPNSK_ISF_E10value_typeEPSG_NS1_7vsmem_tEENKUlT_SE_SF_SG_E_clIS8_S8_S9_S9_EESD_ST_SE_SF_SG_EUlST_E_NS1_11comp_targetILNS1_3genE3ELNS1_11target_archE908ELNS1_3gpuE7ELNS1_3repE0EEENS1_48merge_mergepath_partition_config_static_selectorELNS0_4arch9wavefront6targetE1EEEvSF_,"axG",@progbits,_ZN7rocprim17ROCPRIM_400000_NS6detail17trampoline_kernelINS0_14default_configENS1_38merge_sort_block_merge_config_selectorIiNS0_10empty_typeEEEZZNS1_27merge_sort_block_merge_implIS3_PiPS5_jNS1_19radix_merge_compareILb1ELb0EiNS0_19identity_decomposerEEEEE10hipError_tT0_T1_T2_jT3_P12ihipStream_tbPNSt15iterator_traitsISE_E10value_typeEPNSK_ISF_E10value_typeEPSG_NS1_7vsmem_tEENKUlT_SE_SF_SG_E_clIS8_S8_S9_S9_EESD_ST_SE_SF_SG_EUlST_E_NS1_11comp_targetILNS1_3genE3ELNS1_11target_archE908ELNS1_3gpuE7ELNS1_3repE0EEENS1_48merge_mergepath_partition_config_static_selectorELNS0_4arch9wavefront6targetE1EEEvSF_,comdat
	.protected	_ZN7rocprim17ROCPRIM_400000_NS6detail17trampoline_kernelINS0_14default_configENS1_38merge_sort_block_merge_config_selectorIiNS0_10empty_typeEEEZZNS1_27merge_sort_block_merge_implIS3_PiPS5_jNS1_19radix_merge_compareILb1ELb0EiNS0_19identity_decomposerEEEEE10hipError_tT0_T1_T2_jT3_P12ihipStream_tbPNSt15iterator_traitsISE_E10value_typeEPNSK_ISF_E10value_typeEPSG_NS1_7vsmem_tEENKUlT_SE_SF_SG_E_clIS8_S8_S9_S9_EESD_ST_SE_SF_SG_EUlST_E_NS1_11comp_targetILNS1_3genE3ELNS1_11target_archE908ELNS1_3gpuE7ELNS1_3repE0EEENS1_48merge_mergepath_partition_config_static_selectorELNS0_4arch9wavefront6targetE1EEEvSF_ ; -- Begin function _ZN7rocprim17ROCPRIM_400000_NS6detail17trampoline_kernelINS0_14default_configENS1_38merge_sort_block_merge_config_selectorIiNS0_10empty_typeEEEZZNS1_27merge_sort_block_merge_implIS3_PiPS5_jNS1_19radix_merge_compareILb1ELb0EiNS0_19identity_decomposerEEEEE10hipError_tT0_T1_T2_jT3_P12ihipStream_tbPNSt15iterator_traitsISE_E10value_typeEPNSK_ISF_E10value_typeEPSG_NS1_7vsmem_tEENKUlT_SE_SF_SG_E_clIS8_S8_S9_S9_EESD_ST_SE_SF_SG_EUlST_E_NS1_11comp_targetILNS1_3genE3ELNS1_11target_archE908ELNS1_3gpuE7ELNS1_3repE0EEENS1_48merge_mergepath_partition_config_static_selectorELNS0_4arch9wavefront6targetE1EEEvSF_
	.globl	_ZN7rocprim17ROCPRIM_400000_NS6detail17trampoline_kernelINS0_14default_configENS1_38merge_sort_block_merge_config_selectorIiNS0_10empty_typeEEEZZNS1_27merge_sort_block_merge_implIS3_PiPS5_jNS1_19radix_merge_compareILb1ELb0EiNS0_19identity_decomposerEEEEE10hipError_tT0_T1_T2_jT3_P12ihipStream_tbPNSt15iterator_traitsISE_E10value_typeEPNSK_ISF_E10value_typeEPSG_NS1_7vsmem_tEENKUlT_SE_SF_SG_E_clIS8_S8_S9_S9_EESD_ST_SE_SF_SG_EUlST_E_NS1_11comp_targetILNS1_3genE3ELNS1_11target_archE908ELNS1_3gpuE7ELNS1_3repE0EEENS1_48merge_mergepath_partition_config_static_selectorELNS0_4arch9wavefront6targetE1EEEvSF_
	.p2align	8
	.type	_ZN7rocprim17ROCPRIM_400000_NS6detail17trampoline_kernelINS0_14default_configENS1_38merge_sort_block_merge_config_selectorIiNS0_10empty_typeEEEZZNS1_27merge_sort_block_merge_implIS3_PiPS5_jNS1_19radix_merge_compareILb1ELb0EiNS0_19identity_decomposerEEEEE10hipError_tT0_T1_T2_jT3_P12ihipStream_tbPNSt15iterator_traitsISE_E10value_typeEPNSK_ISF_E10value_typeEPSG_NS1_7vsmem_tEENKUlT_SE_SF_SG_E_clIS8_S8_S9_S9_EESD_ST_SE_SF_SG_EUlST_E_NS1_11comp_targetILNS1_3genE3ELNS1_11target_archE908ELNS1_3gpuE7ELNS1_3repE0EEENS1_48merge_mergepath_partition_config_static_selectorELNS0_4arch9wavefront6targetE1EEEvSF_,@function
_ZN7rocprim17ROCPRIM_400000_NS6detail17trampoline_kernelINS0_14default_configENS1_38merge_sort_block_merge_config_selectorIiNS0_10empty_typeEEEZZNS1_27merge_sort_block_merge_implIS3_PiPS5_jNS1_19radix_merge_compareILb1ELb0EiNS0_19identity_decomposerEEEEE10hipError_tT0_T1_T2_jT3_P12ihipStream_tbPNSt15iterator_traitsISE_E10value_typeEPNSK_ISF_E10value_typeEPSG_NS1_7vsmem_tEENKUlT_SE_SF_SG_E_clIS8_S8_S9_S9_EESD_ST_SE_SF_SG_EUlST_E_NS1_11comp_targetILNS1_3genE3ELNS1_11target_archE908ELNS1_3gpuE7ELNS1_3repE0EEENS1_48merge_mergepath_partition_config_static_selectorELNS0_4arch9wavefront6targetE1EEEvSF_: ; @_ZN7rocprim17ROCPRIM_400000_NS6detail17trampoline_kernelINS0_14default_configENS1_38merge_sort_block_merge_config_selectorIiNS0_10empty_typeEEEZZNS1_27merge_sort_block_merge_implIS3_PiPS5_jNS1_19radix_merge_compareILb1ELb0EiNS0_19identity_decomposerEEEEE10hipError_tT0_T1_T2_jT3_P12ihipStream_tbPNSt15iterator_traitsISE_E10value_typeEPNSK_ISF_E10value_typeEPSG_NS1_7vsmem_tEENKUlT_SE_SF_SG_E_clIS8_S8_S9_S9_EESD_ST_SE_SF_SG_EUlST_E_NS1_11comp_targetILNS1_3genE3ELNS1_11target_archE908ELNS1_3gpuE7ELNS1_3repE0EEENS1_48merge_mergepath_partition_config_static_selectorELNS0_4arch9wavefront6targetE1EEEvSF_
; %bb.0:
	.section	.rodata,"a",@progbits
	.p2align	6, 0x0
	.amdhsa_kernel _ZN7rocprim17ROCPRIM_400000_NS6detail17trampoline_kernelINS0_14default_configENS1_38merge_sort_block_merge_config_selectorIiNS0_10empty_typeEEEZZNS1_27merge_sort_block_merge_implIS3_PiPS5_jNS1_19radix_merge_compareILb1ELb0EiNS0_19identity_decomposerEEEEE10hipError_tT0_T1_T2_jT3_P12ihipStream_tbPNSt15iterator_traitsISE_E10value_typeEPNSK_ISF_E10value_typeEPSG_NS1_7vsmem_tEENKUlT_SE_SF_SG_E_clIS8_S8_S9_S9_EESD_ST_SE_SF_SG_EUlST_E_NS1_11comp_targetILNS1_3genE3ELNS1_11target_archE908ELNS1_3gpuE7ELNS1_3repE0EEENS1_48merge_mergepath_partition_config_static_selectorELNS0_4arch9wavefront6targetE1EEEvSF_
		.amdhsa_group_segment_fixed_size 0
		.amdhsa_private_segment_fixed_size 0
		.amdhsa_kernarg_size 40
		.amdhsa_user_sgpr_count 6
		.amdhsa_user_sgpr_private_segment_buffer 1
		.amdhsa_user_sgpr_dispatch_ptr 0
		.amdhsa_user_sgpr_queue_ptr 0
		.amdhsa_user_sgpr_kernarg_segment_ptr 1
		.amdhsa_user_sgpr_dispatch_id 0
		.amdhsa_user_sgpr_flat_scratch_init 0
		.amdhsa_user_sgpr_kernarg_preload_length 0
		.amdhsa_user_sgpr_kernarg_preload_offset 0
		.amdhsa_user_sgpr_private_segment_size 0
		.amdhsa_uses_dynamic_stack 0
		.amdhsa_system_sgpr_private_segment_wavefront_offset 0
		.amdhsa_system_sgpr_workgroup_id_x 1
		.amdhsa_system_sgpr_workgroup_id_y 0
		.amdhsa_system_sgpr_workgroup_id_z 0
		.amdhsa_system_sgpr_workgroup_info 0
		.amdhsa_system_vgpr_workitem_id 0
		.amdhsa_next_free_vgpr 1
		.amdhsa_next_free_sgpr 0
		.amdhsa_accum_offset 4
		.amdhsa_reserve_vcc 0
		.amdhsa_reserve_flat_scratch 0
		.amdhsa_float_round_mode_32 0
		.amdhsa_float_round_mode_16_64 0
		.amdhsa_float_denorm_mode_32 3
		.amdhsa_float_denorm_mode_16_64 3
		.amdhsa_dx10_clamp 1
		.amdhsa_ieee_mode 1
		.amdhsa_fp16_overflow 0
		.amdhsa_tg_split 0
		.amdhsa_exception_fp_ieee_invalid_op 0
		.amdhsa_exception_fp_denorm_src 0
		.amdhsa_exception_fp_ieee_div_zero 0
		.amdhsa_exception_fp_ieee_overflow 0
		.amdhsa_exception_fp_ieee_underflow 0
		.amdhsa_exception_fp_ieee_inexact 0
		.amdhsa_exception_int_div_zero 0
	.end_amdhsa_kernel
	.section	.text._ZN7rocprim17ROCPRIM_400000_NS6detail17trampoline_kernelINS0_14default_configENS1_38merge_sort_block_merge_config_selectorIiNS0_10empty_typeEEEZZNS1_27merge_sort_block_merge_implIS3_PiPS5_jNS1_19radix_merge_compareILb1ELb0EiNS0_19identity_decomposerEEEEE10hipError_tT0_T1_T2_jT3_P12ihipStream_tbPNSt15iterator_traitsISE_E10value_typeEPNSK_ISF_E10value_typeEPSG_NS1_7vsmem_tEENKUlT_SE_SF_SG_E_clIS8_S8_S9_S9_EESD_ST_SE_SF_SG_EUlST_E_NS1_11comp_targetILNS1_3genE3ELNS1_11target_archE908ELNS1_3gpuE7ELNS1_3repE0EEENS1_48merge_mergepath_partition_config_static_selectorELNS0_4arch9wavefront6targetE1EEEvSF_,"axG",@progbits,_ZN7rocprim17ROCPRIM_400000_NS6detail17trampoline_kernelINS0_14default_configENS1_38merge_sort_block_merge_config_selectorIiNS0_10empty_typeEEEZZNS1_27merge_sort_block_merge_implIS3_PiPS5_jNS1_19radix_merge_compareILb1ELb0EiNS0_19identity_decomposerEEEEE10hipError_tT0_T1_T2_jT3_P12ihipStream_tbPNSt15iterator_traitsISE_E10value_typeEPNSK_ISF_E10value_typeEPSG_NS1_7vsmem_tEENKUlT_SE_SF_SG_E_clIS8_S8_S9_S9_EESD_ST_SE_SF_SG_EUlST_E_NS1_11comp_targetILNS1_3genE3ELNS1_11target_archE908ELNS1_3gpuE7ELNS1_3repE0EEENS1_48merge_mergepath_partition_config_static_selectorELNS0_4arch9wavefront6targetE1EEEvSF_,comdat
.Lfunc_end1950:
	.size	_ZN7rocprim17ROCPRIM_400000_NS6detail17trampoline_kernelINS0_14default_configENS1_38merge_sort_block_merge_config_selectorIiNS0_10empty_typeEEEZZNS1_27merge_sort_block_merge_implIS3_PiPS5_jNS1_19radix_merge_compareILb1ELb0EiNS0_19identity_decomposerEEEEE10hipError_tT0_T1_T2_jT3_P12ihipStream_tbPNSt15iterator_traitsISE_E10value_typeEPNSK_ISF_E10value_typeEPSG_NS1_7vsmem_tEENKUlT_SE_SF_SG_E_clIS8_S8_S9_S9_EESD_ST_SE_SF_SG_EUlST_E_NS1_11comp_targetILNS1_3genE3ELNS1_11target_archE908ELNS1_3gpuE7ELNS1_3repE0EEENS1_48merge_mergepath_partition_config_static_selectorELNS0_4arch9wavefront6targetE1EEEvSF_, .Lfunc_end1950-_ZN7rocprim17ROCPRIM_400000_NS6detail17trampoline_kernelINS0_14default_configENS1_38merge_sort_block_merge_config_selectorIiNS0_10empty_typeEEEZZNS1_27merge_sort_block_merge_implIS3_PiPS5_jNS1_19radix_merge_compareILb1ELb0EiNS0_19identity_decomposerEEEEE10hipError_tT0_T1_T2_jT3_P12ihipStream_tbPNSt15iterator_traitsISE_E10value_typeEPNSK_ISF_E10value_typeEPSG_NS1_7vsmem_tEENKUlT_SE_SF_SG_E_clIS8_S8_S9_S9_EESD_ST_SE_SF_SG_EUlST_E_NS1_11comp_targetILNS1_3genE3ELNS1_11target_archE908ELNS1_3gpuE7ELNS1_3repE0EEENS1_48merge_mergepath_partition_config_static_selectorELNS0_4arch9wavefront6targetE1EEEvSF_
                                        ; -- End function
	.section	.AMDGPU.csdata,"",@progbits
; Kernel info:
; codeLenInByte = 0
; NumSgprs: 4
; NumVgprs: 0
; NumAgprs: 0
; TotalNumVgprs: 0
; ScratchSize: 0
; MemoryBound: 0
; FloatMode: 240
; IeeeMode: 1
; LDSByteSize: 0 bytes/workgroup (compile time only)
; SGPRBlocks: 0
; VGPRBlocks: 0
; NumSGPRsForWavesPerEU: 4
; NumVGPRsForWavesPerEU: 1
; AccumOffset: 4
; Occupancy: 8
; WaveLimiterHint : 0
; COMPUTE_PGM_RSRC2:SCRATCH_EN: 0
; COMPUTE_PGM_RSRC2:USER_SGPR: 6
; COMPUTE_PGM_RSRC2:TRAP_HANDLER: 0
; COMPUTE_PGM_RSRC2:TGID_X_EN: 1
; COMPUTE_PGM_RSRC2:TGID_Y_EN: 0
; COMPUTE_PGM_RSRC2:TGID_Z_EN: 0
; COMPUTE_PGM_RSRC2:TIDIG_COMP_CNT: 0
; COMPUTE_PGM_RSRC3_GFX90A:ACCUM_OFFSET: 0
; COMPUTE_PGM_RSRC3_GFX90A:TG_SPLIT: 0
	.section	.text._ZN7rocprim17ROCPRIM_400000_NS6detail17trampoline_kernelINS0_14default_configENS1_38merge_sort_block_merge_config_selectorIiNS0_10empty_typeEEEZZNS1_27merge_sort_block_merge_implIS3_PiPS5_jNS1_19radix_merge_compareILb1ELb0EiNS0_19identity_decomposerEEEEE10hipError_tT0_T1_T2_jT3_P12ihipStream_tbPNSt15iterator_traitsISE_E10value_typeEPNSK_ISF_E10value_typeEPSG_NS1_7vsmem_tEENKUlT_SE_SF_SG_E_clIS8_S8_S9_S9_EESD_ST_SE_SF_SG_EUlST_E_NS1_11comp_targetILNS1_3genE2ELNS1_11target_archE906ELNS1_3gpuE6ELNS1_3repE0EEENS1_48merge_mergepath_partition_config_static_selectorELNS0_4arch9wavefront6targetE1EEEvSF_,"axG",@progbits,_ZN7rocprim17ROCPRIM_400000_NS6detail17trampoline_kernelINS0_14default_configENS1_38merge_sort_block_merge_config_selectorIiNS0_10empty_typeEEEZZNS1_27merge_sort_block_merge_implIS3_PiPS5_jNS1_19radix_merge_compareILb1ELb0EiNS0_19identity_decomposerEEEEE10hipError_tT0_T1_T2_jT3_P12ihipStream_tbPNSt15iterator_traitsISE_E10value_typeEPNSK_ISF_E10value_typeEPSG_NS1_7vsmem_tEENKUlT_SE_SF_SG_E_clIS8_S8_S9_S9_EESD_ST_SE_SF_SG_EUlST_E_NS1_11comp_targetILNS1_3genE2ELNS1_11target_archE906ELNS1_3gpuE6ELNS1_3repE0EEENS1_48merge_mergepath_partition_config_static_selectorELNS0_4arch9wavefront6targetE1EEEvSF_,comdat
	.protected	_ZN7rocprim17ROCPRIM_400000_NS6detail17trampoline_kernelINS0_14default_configENS1_38merge_sort_block_merge_config_selectorIiNS0_10empty_typeEEEZZNS1_27merge_sort_block_merge_implIS3_PiPS5_jNS1_19radix_merge_compareILb1ELb0EiNS0_19identity_decomposerEEEEE10hipError_tT0_T1_T2_jT3_P12ihipStream_tbPNSt15iterator_traitsISE_E10value_typeEPNSK_ISF_E10value_typeEPSG_NS1_7vsmem_tEENKUlT_SE_SF_SG_E_clIS8_S8_S9_S9_EESD_ST_SE_SF_SG_EUlST_E_NS1_11comp_targetILNS1_3genE2ELNS1_11target_archE906ELNS1_3gpuE6ELNS1_3repE0EEENS1_48merge_mergepath_partition_config_static_selectorELNS0_4arch9wavefront6targetE1EEEvSF_ ; -- Begin function _ZN7rocprim17ROCPRIM_400000_NS6detail17trampoline_kernelINS0_14default_configENS1_38merge_sort_block_merge_config_selectorIiNS0_10empty_typeEEEZZNS1_27merge_sort_block_merge_implIS3_PiPS5_jNS1_19radix_merge_compareILb1ELb0EiNS0_19identity_decomposerEEEEE10hipError_tT0_T1_T2_jT3_P12ihipStream_tbPNSt15iterator_traitsISE_E10value_typeEPNSK_ISF_E10value_typeEPSG_NS1_7vsmem_tEENKUlT_SE_SF_SG_E_clIS8_S8_S9_S9_EESD_ST_SE_SF_SG_EUlST_E_NS1_11comp_targetILNS1_3genE2ELNS1_11target_archE906ELNS1_3gpuE6ELNS1_3repE0EEENS1_48merge_mergepath_partition_config_static_selectorELNS0_4arch9wavefront6targetE1EEEvSF_
	.globl	_ZN7rocprim17ROCPRIM_400000_NS6detail17trampoline_kernelINS0_14default_configENS1_38merge_sort_block_merge_config_selectorIiNS0_10empty_typeEEEZZNS1_27merge_sort_block_merge_implIS3_PiPS5_jNS1_19radix_merge_compareILb1ELb0EiNS0_19identity_decomposerEEEEE10hipError_tT0_T1_T2_jT3_P12ihipStream_tbPNSt15iterator_traitsISE_E10value_typeEPNSK_ISF_E10value_typeEPSG_NS1_7vsmem_tEENKUlT_SE_SF_SG_E_clIS8_S8_S9_S9_EESD_ST_SE_SF_SG_EUlST_E_NS1_11comp_targetILNS1_3genE2ELNS1_11target_archE906ELNS1_3gpuE6ELNS1_3repE0EEENS1_48merge_mergepath_partition_config_static_selectorELNS0_4arch9wavefront6targetE1EEEvSF_
	.p2align	8
	.type	_ZN7rocprim17ROCPRIM_400000_NS6detail17trampoline_kernelINS0_14default_configENS1_38merge_sort_block_merge_config_selectorIiNS0_10empty_typeEEEZZNS1_27merge_sort_block_merge_implIS3_PiPS5_jNS1_19radix_merge_compareILb1ELb0EiNS0_19identity_decomposerEEEEE10hipError_tT0_T1_T2_jT3_P12ihipStream_tbPNSt15iterator_traitsISE_E10value_typeEPNSK_ISF_E10value_typeEPSG_NS1_7vsmem_tEENKUlT_SE_SF_SG_E_clIS8_S8_S9_S9_EESD_ST_SE_SF_SG_EUlST_E_NS1_11comp_targetILNS1_3genE2ELNS1_11target_archE906ELNS1_3gpuE6ELNS1_3repE0EEENS1_48merge_mergepath_partition_config_static_selectorELNS0_4arch9wavefront6targetE1EEEvSF_,@function
_ZN7rocprim17ROCPRIM_400000_NS6detail17trampoline_kernelINS0_14default_configENS1_38merge_sort_block_merge_config_selectorIiNS0_10empty_typeEEEZZNS1_27merge_sort_block_merge_implIS3_PiPS5_jNS1_19radix_merge_compareILb1ELb0EiNS0_19identity_decomposerEEEEE10hipError_tT0_T1_T2_jT3_P12ihipStream_tbPNSt15iterator_traitsISE_E10value_typeEPNSK_ISF_E10value_typeEPSG_NS1_7vsmem_tEENKUlT_SE_SF_SG_E_clIS8_S8_S9_S9_EESD_ST_SE_SF_SG_EUlST_E_NS1_11comp_targetILNS1_3genE2ELNS1_11target_archE906ELNS1_3gpuE6ELNS1_3repE0EEENS1_48merge_mergepath_partition_config_static_selectorELNS0_4arch9wavefront6targetE1EEEvSF_: ; @_ZN7rocprim17ROCPRIM_400000_NS6detail17trampoline_kernelINS0_14default_configENS1_38merge_sort_block_merge_config_selectorIiNS0_10empty_typeEEEZZNS1_27merge_sort_block_merge_implIS3_PiPS5_jNS1_19radix_merge_compareILb1ELb0EiNS0_19identity_decomposerEEEEE10hipError_tT0_T1_T2_jT3_P12ihipStream_tbPNSt15iterator_traitsISE_E10value_typeEPNSK_ISF_E10value_typeEPSG_NS1_7vsmem_tEENKUlT_SE_SF_SG_E_clIS8_S8_S9_S9_EESD_ST_SE_SF_SG_EUlST_E_NS1_11comp_targetILNS1_3genE2ELNS1_11target_archE906ELNS1_3gpuE6ELNS1_3repE0EEENS1_48merge_mergepath_partition_config_static_selectorELNS0_4arch9wavefront6targetE1EEEvSF_
; %bb.0:
	.section	.rodata,"a",@progbits
	.p2align	6, 0x0
	.amdhsa_kernel _ZN7rocprim17ROCPRIM_400000_NS6detail17trampoline_kernelINS0_14default_configENS1_38merge_sort_block_merge_config_selectorIiNS0_10empty_typeEEEZZNS1_27merge_sort_block_merge_implIS3_PiPS5_jNS1_19radix_merge_compareILb1ELb0EiNS0_19identity_decomposerEEEEE10hipError_tT0_T1_T2_jT3_P12ihipStream_tbPNSt15iterator_traitsISE_E10value_typeEPNSK_ISF_E10value_typeEPSG_NS1_7vsmem_tEENKUlT_SE_SF_SG_E_clIS8_S8_S9_S9_EESD_ST_SE_SF_SG_EUlST_E_NS1_11comp_targetILNS1_3genE2ELNS1_11target_archE906ELNS1_3gpuE6ELNS1_3repE0EEENS1_48merge_mergepath_partition_config_static_selectorELNS0_4arch9wavefront6targetE1EEEvSF_
		.amdhsa_group_segment_fixed_size 0
		.amdhsa_private_segment_fixed_size 0
		.amdhsa_kernarg_size 40
		.amdhsa_user_sgpr_count 6
		.amdhsa_user_sgpr_private_segment_buffer 1
		.amdhsa_user_sgpr_dispatch_ptr 0
		.amdhsa_user_sgpr_queue_ptr 0
		.amdhsa_user_sgpr_kernarg_segment_ptr 1
		.amdhsa_user_sgpr_dispatch_id 0
		.amdhsa_user_sgpr_flat_scratch_init 0
		.amdhsa_user_sgpr_kernarg_preload_length 0
		.amdhsa_user_sgpr_kernarg_preload_offset 0
		.amdhsa_user_sgpr_private_segment_size 0
		.amdhsa_uses_dynamic_stack 0
		.amdhsa_system_sgpr_private_segment_wavefront_offset 0
		.amdhsa_system_sgpr_workgroup_id_x 1
		.amdhsa_system_sgpr_workgroup_id_y 0
		.amdhsa_system_sgpr_workgroup_id_z 0
		.amdhsa_system_sgpr_workgroup_info 0
		.amdhsa_system_vgpr_workitem_id 0
		.amdhsa_next_free_vgpr 1
		.amdhsa_next_free_sgpr 0
		.amdhsa_accum_offset 4
		.amdhsa_reserve_vcc 0
		.amdhsa_reserve_flat_scratch 0
		.amdhsa_float_round_mode_32 0
		.amdhsa_float_round_mode_16_64 0
		.amdhsa_float_denorm_mode_32 3
		.amdhsa_float_denorm_mode_16_64 3
		.amdhsa_dx10_clamp 1
		.amdhsa_ieee_mode 1
		.amdhsa_fp16_overflow 0
		.amdhsa_tg_split 0
		.amdhsa_exception_fp_ieee_invalid_op 0
		.amdhsa_exception_fp_denorm_src 0
		.amdhsa_exception_fp_ieee_div_zero 0
		.amdhsa_exception_fp_ieee_overflow 0
		.amdhsa_exception_fp_ieee_underflow 0
		.amdhsa_exception_fp_ieee_inexact 0
		.amdhsa_exception_int_div_zero 0
	.end_amdhsa_kernel
	.section	.text._ZN7rocprim17ROCPRIM_400000_NS6detail17trampoline_kernelINS0_14default_configENS1_38merge_sort_block_merge_config_selectorIiNS0_10empty_typeEEEZZNS1_27merge_sort_block_merge_implIS3_PiPS5_jNS1_19radix_merge_compareILb1ELb0EiNS0_19identity_decomposerEEEEE10hipError_tT0_T1_T2_jT3_P12ihipStream_tbPNSt15iterator_traitsISE_E10value_typeEPNSK_ISF_E10value_typeEPSG_NS1_7vsmem_tEENKUlT_SE_SF_SG_E_clIS8_S8_S9_S9_EESD_ST_SE_SF_SG_EUlST_E_NS1_11comp_targetILNS1_3genE2ELNS1_11target_archE906ELNS1_3gpuE6ELNS1_3repE0EEENS1_48merge_mergepath_partition_config_static_selectorELNS0_4arch9wavefront6targetE1EEEvSF_,"axG",@progbits,_ZN7rocprim17ROCPRIM_400000_NS6detail17trampoline_kernelINS0_14default_configENS1_38merge_sort_block_merge_config_selectorIiNS0_10empty_typeEEEZZNS1_27merge_sort_block_merge_implIS3_PiPS5_jNS1_19radix_merge_compareILb1ELb0EiNS0_19identity_decomposerEEEEE10hipError_tT0_T1_T2_jT3_P12ihipStream_tbPNSt15iterator_traitsISE_E10value_typeEPNSK_ISF_E10value_typeEPSG_NS1_7vsmem_tEENKUlT_SE_SF_SG_E_clIS8_S8_S9_S9_EESD_ST_SE_SF_SG_EUlST_E_NS1_11comp_targetILNS1_3genE2ELNS1_11target_archE906ELNS1_3gpuE6ELNS1_3repE0EEENS1_48merge_mergepath_partition_config_static_selectorELNS0_4arch9wavefront6targetE1EEEvSF_,comdat
.Lfunc_end1951:
	.size	_ZN7rocprim17ROCPRIM_400000_NS6detail17trampoline_kernelINS0_14default_configENS1_38merge_sort_block_merge_config_selectorIiNS0_10empty_typeEEEZZNS1_27merge_sort_block_merge_implIS3_PiPS5_jNS1_19radix_merge_compareILb1ELb0EiNS0_19identity_decomposerEEEEE10hipError_tT0_T1_T2_jT3_P12ihipStream_tbPNSt15iterator_traitsISE_E10value_typeEPNSK_ISF_E10value_typeEPSG_NS1_7vsmem_tEENKUlT_SE_SF_SG_E_clIS8_S8_S9_S9_EESD_ST_SE_SF_SG_EUlST_E_NS1_11comp_targetILNS1_3genE2ELNS1_11target_archE906ELNS1_3gpuE6ELNS1_3repE0EEENS1_48merge_mergepath_partition_config_static_selectorELNS0_4arch9wavefront6targetE1EEEvSF_, .Lfunc_end1951-_ZN7rocprim17ROCPRIM_400000_NS6detail17trampoline_kernelINS0_14default_configENS1_38merge_sort_block_merge_config_selectorIiNS0_10empty_typeEEEZZNS1_27merge_sort_block_merge_implIS3_PiPS5_jNS1_19radix_merge_compareILb1ELb0EiNS0_19identity_decomposerEEEEE10hipError_tT0_T1_T2_jT3_P12ihipStream_tbPNSt15iterator_traitsISE_E10value_typeEPNSK_ISF_E10value_typeEPSG_NS1_7vsmem_tEENKUlT_SE_SF_SG_E_clIS8_S8_S9_S9_EESD_ST_SE_SF_SG_EUlST_E_NS1_11comp_targetILNS1_3genE2ELNS1_11target_archE906ELNS1_3gpuE6ELNS1_3repE0EEENS1_48merge_mergepath_partition_config_static_selectorELNS0_4arch9wavefront6targetE1EEEvSF_
                                        ; -- End function
	.section	.AMDGPU.csdata,"",@progbits
; Kernel info:
; codeLenInByte = 0
; NumSgprs: 4
; NumVgprs: 0
; NumAgprs: 0
; TotalNumVgprs: 0
; ScratchSize: 0
; MemoryBound: 0
; FloatMode: 240
; IeeeMode: 1
; LDSByteSize: 0 bytes/workgroup (compile time only)
; SGPRBlocks: 0
; VGPRBlocks: 0
; NumSGPRsForWavesPerEU: 4
; NumVGPRsForWavesPerEU: 1
; AccumOffset: 4
; Occupancy: 8
; WaveLimiterHint : 0
; COMPUTE_PGM_RSRC2:SCRATCH_EN: 0
; COMPUTE_PGM_RSRC2:USER_SGPR: 6
; COMPUTE_PGM_RSRC2:TRAP_HANDLER: 0
; COMPUTE_PGM_RSRC2:TGID_X_EN: 1
; COMPUTE_PGM_RSRC2:TGID_Y_EN: 0
; COMPUTE_PGM_RSRC2:TGID_Z_EN: 0
; COMPUTE_PGM_RSRC2:TIDIG_COMP_CNT: 0
; COMPUTE_PGM_RSRC3_GFX90A:ACCUM_OFFSET: 0
; COMPUTE_PGM_RSRC3_GFX90A:TG_SPLIT: 0
	.section	.text._ZN7rocprim17ROCPRIM_400000_NS6detail17trampoline_kernelINS0_14default_configENS1_38merge_sort_block_merge_config_selectorIiNS0_10empty_typeEEEZZNS1_27merge_sort_block_merge_implIS3_PiPS5_jNS1_19radix_merge_compareILb1ELb0EiNS0_19identity_decomposerEEEEE10hipError_tT0_T1_T2_jT3_P12ihipStream_tbPNSt15iterator_traitsISE_E10value_typeEPNSK_ISF_E10value_typeEPSG_NS1_7vsmem_tEENKUlT_SE_SF_SG_E_clIS8_S8_S9_S9_EESD_ST_SE_SF_SG_EUlST_E_NS1_11comp_targetILNS1_3genE9ELNS1_11target_archE1100ELNS1_3gpuE3ELNS1_3repE0EEENS1_48merge_mergepath_partition_config_static_selectorELNS0_4arch9wavefront6targetE1EEEvSF_,"axG",@progbits,_ZN7rocprim17ROCPRIM_400000_NS6detail17trampoline_kernelINS0_14default_configENS1_38merge_sort_block_merge_config_selectorIiNS0_10empty_typeEEEZZNS1_27merge_sort_block_merge_implIS3_PiPS5_jNS1_19radix_merge_compareILb1ELb0EiNS0_19identity_decomposerEEEEE10hipError_tT0_T1_T2_jT3_P12ihipStream_tbPNSt15iterator_traitsISE_E10value_typeEPNSK_ISF_E10value_typeEPSG_NS1_7vsmem_tEENKUlT_SE_SF_SG_E_clIS8_S8_S9_S9_EESD_ST_SE_SF_SG_EUlST_E_NS1_11comp_targetILNS1_3genE9ELNS1_11target_archE1100ELNS1_3gpuE3ELNS1_3repE0EEENS1_48merge_mergepath_partition_config_static_selectorELNS0_4arch9wavefront6targetE1EEEvSF_,comdat
	.protected	_ZN7rocprim17ROCPRIM_400000_NS6detail17trampoline_kernelINS0_14default_configENS1_38merge_sort_block_merge_config_selectorIiNS0_10empty_typeEEEZZNS1_27merge_sort_block_merge_implIS3_PiPS5_jNS1_19radix_merge_compareILb1ELb0EiNS0_19identity_decomposerEEEEE10hipError_tT0_T1_T2_jT3_P12ihipStream_tbPNSt15iterator_traitsISE_E10value_typeEPNSK_ISF_E10value_typeEPSG_NS1_7vsmem_tEENKUlT_SE_SF_SG_E_clIS8_S8_S9_S9_EESD_ST_SE_SF_SG_EUlST_E_NS1_11comp_targetILNS1_3genE9ELNS1_11target_archE1100ELNS1_3gpuE3ELNS1_3repE0EEENS1_48merge_mergepath_partition_config_static_selectorELNS0_4arch9wavefront6targetE1EEEvSF_ ; -- Begin function _ZN7rocprim17ROCPRIM_400000_NS6detail17trampoline_kernelINS0_14default_configENS1_38merge_sort_block_merge_config_selectorIiNS0_10empty_typeEEEZZNS1_27merge_sort_block_merge_implIS3_PiPS5_jNS1_19radix_merge_compareILb1ELb0EiNS0_19identity_decomposerEEEEE10hipError_tT0_T1_T2_jT3_P12ihipStream_tbPNSt15iterator_traitsISE_E10value_typeEPNSK_ISF_E10value_typeEPSG_NS1_7vsmem_tEENKUlT_SE_SF_SG_E_clIS8_S8_S9_S9_EESD_ST_SE_SF_SG_EUlST_E_NS1_11comp_targetILNS1_3genE9ELNS1_11target_archE1100ELNS1_3gpuE3ELNS1_3repE0EEENS1_48merge_mergepath_partition_config_static_selectorELNS0_4arch9wavefront6targetE1EEEvSF_
	.globl	_ZN7rocprim17ROCPRIM_400000_NS6detail17trampoline_kernelINS0_14default_configENS1_38merge_sort_block_merge_config_selectorIiNS0_10empty_typeEEEZZNS1_27merge_sort_block_merge_implIS3_PiPS5_jNS1_19radix_merge_compareILb1ELb0EiNS0_19identity_decomposerEEEEE10hipError_tT0_T1_T2_jT3_P12ihipStream_tbPNSt15iterator_traitsISE_E10value_typeEPNSK_ISF_E10value_typeEPSG_NS1_7vsmem_tEENKUlT_SE_SF_SG_E_clIS8_S8_S9_S9_EESD_ST_SE_SF_SG_EUlST_E_NS1_11comp_targetILNS1_3genE9ELNS1_11target_archE1100ELNS1_3gpuE3ELNS1_3repE0EEENS1_48merge_mergepath_partition_config_static_selectorELNS0_4arch9wavefront6targetE1EEEvSF_
	.p2align	8
	.type	_ZN7rocprim17ROCPRIM_400000_NS6detail17trampoline_kernelINS0_14default_configENS1_38merge_sort_block_merge_config_selectorIiNS0_10empty_typeEEEZZNS1_27merge_sort_block_merge_implIS3_PiPS5_jNS1_19radix_merge_compareILb1ELb0EiNS0_19identity_decomposerEEEEE10hipError_tT0_T1_T2_jT3_P12ihipStream_tbPNSt15iterator_traitsISE_E10value_typeEPNSK_ISF_E10value_typeEPSG_NS1_7vsmem_tEENKUlT_SE_SF_SG_E_clIS8_S8_S9_S9_EESD_ST_SE_SF_SG_EUlST_E_NS1_11comp_targetILNS1_3genE9ELNS1_11target_archE1100ELNS1_3gpuE3ELNS1_3repE0EEENS1_48merge_mergepath_partition_config_static_selectorELNS0_4arch9wavefront6targetE1EEEvSF_,@function
_ZN7rocprim17ROCPRIM_400000_NS6detail17trampoline_kernelINS0_14default_configENS1_38merge_sort_block_merge_config_selectorIiNS0_10empty_typeEEEZZNS1_27merge_sort_block_merge_implIS3_PiPS5_jNS1_19radix_merge_compareILb1ELb0EiNS0_19identity_decomposerEEEEE10hipError_tT0_T1_T2_jT3_P12ihipStream_tbPNSt15iterator_traitsISE_E10value_typeEPNSK_ISF_E10value_typeEPSG_NS1_7vsmem_tEENKUlT_SE_SF_SG_E_clIS8_S8_S9_S9_EESD_ST_SE_SF_SG_EUlST_E_NS1_11comp_targetILNS1_3genE9ELNS1_11target_archE1100ELNS1_3gpuE3ELNS1_3repE0EEENS1_48merge_mergepath_partition_config_static_selectorELNS0_4arch9wavefront6targetE1EEEvSF_: ; @_ZN7rocprim17ROCPRIM_400000_NS6detail17trampoline_kernelINS0_14default_configENS1_38merge_sort_block_merge_config_selectorIiNS0_10empty_typeEEEZZNS1_27merge_sort_block_merge_implIS3_PiPS5_jNS1_19radix_merge_compareILb1ELb0EiNS0_19identity_decomposerEEEEE10hipError_tT0_T1_T2_jT3_P12ihipStream_tbPNSt15iterator_traitsISE_E10value_typeEPNSK_ISF_E10value_typeEPSG_NS1_7vsmem_tEENKUlT_SE_SF_SG_E_clIS8_S8_S9_S9_EESD_ST_SE_SF_SG_EUlST_E_NS1_11comp_targetILNS1_3genE9ELNS1_11target_archE1100ELNS1_3gpuE3ELNS1_3repE0EEENS1_48merge_mergepath_partition_config_static_selectorELNS0_4arch9wavefront6targetE1EEEvSF_
; %bb.0:
	.section	.rodata,"a",@progbits
	.p2align	6, 0x0
	.amdhsa_kernel _ZN7rocprim17ROCPRIM_400000_NS6detail17trampoline_kernelINS0_14default_configENS1_38merge_sort_block_merge_config_selectorIiNS0_10empty_typeEEEZZNS1_27merge_sort_block_merge_implIS3_PiPS5_jNS1_19radix_merge_compareILb1ELb0EiNS0_19identity_decomposerEEEEE10hipError_tT0_T1_T2_jT3_P12ihipStream_tbPNSt15iterator_traitsISE_E10value_typeEPNSK_ISF_E10value_typeEPSG_NS1_7vsmem_tEENKUlT_SE_SF_SG_E_clIS8_S8_S9_S9_EESD_ST_SE_SF_SG_EUlST_E_NS1_11comp_targetILNS1_3genE9ELNS1_11target_archE1100ELNS1_3gpuE3ELNS1_3repE0EEENS1_48merge_mergepath_partition_config_static_selectorELNS0_4arch9wavefront6targetE1EEEvSF_
		.amdhsa_group_segment_fixed_size 0
		.amdhsa_private_segment_fixed_size 0
		.amdhsa_kernarg_size 40
		.amdhsa_user_sgpr_count 6
		.amdhsa_user_sgpr_private_segment_buffer 1
		.amdhsa_user_sgpr_dispatch_ptr 0
		.amdhsa_user_sgpr_queue_ptr 0
		.amdhsa_user_sgpr_kernarg_segment_ptr 1
		.amdhsa_user_sgpr_dispatch_id 0
		.amdhsa_user_sgpr_flat_scratch_init 0
		.amdhsa_user_sgpr_kernarg_preload_length 0
		.amdhsa_user_sgpr_kernarg_preload_offset 0
		.amdhsa_user_sgpr_private_segment_size 0
		.amdhsa_uses_dynamic_stack 0
		.amdhsa_system_sgpr_private_segment_wavefront_offset 0
		.amdhsa_system_sgpr_workgroup_id_x 1
		.amdhsa_system_sgpr_workgroup_id_y 0
		.amdhsa_system_sgpr_workgroup_id_z 0
		.amdhsa_system_sgpr_workgroup_info 0
		.amdhsa_system_vgpr_workitem_id 0
		.amdhsa_next_free_vgpr 1
		.amdhsa_next_free_sgpr 0
		.amdhsa_accum_offset 4
		.amdhsa_reserve_vcc 0
		.amdhsa_reserve_flat_scratch 0
		.amdhsa_float_round_mode_32 0
		.amdhsa_float_round_mode_16_64 0
		.amdhsa_float_denorm_mode_32 3
		.amdhsa_float_denorm_mode_16_64 3
		.amdhsa_dx10_clamp 1
		.amdhsa_ieee_mode 1
		.amdhsa_fp16_overflow 0
		.amdhsa_tg_split 0
		.amdhsa_exception_fp_ieee_invalid_op 0
		.amdhsa_exception_fp_denorm_src 0
		.amdhsa_exception_fp_ieee_div_zero 0
		.amdhsa_exception_fp_ieee_overflow 0
		.amdhsa_exception_fp_ieee_underflow 0
		.amdhsa_exception_fp_ieee_inexact 0
		.amdhsa_exception_int_div_zero 0
	.end_amdhsa_kernel
	.section	.text._ZN7rocprim17ROCPRIM_400000_NS6detail17trampoline_kernelINS0_14default_configENS1_38merge_sort_block_merge_config_selectorIiNS0_10empty_typeEEEZZNS1_27merge_sort_block_merge_implIS3_PiPS5_jNS1_19radix_merge_compareILb1ELb0EiNS0_19identity_decomposerEEEEE10hipError_tT0_T1_T2_jT3_P12ihipStream_tbPNSt15iterator_traitsISE_E10value_typeEPNSK_ISF_E10value_typeEPSG_NS1_7vsmem_tEENKUlT_SE_SF_SG_E_clIS8_S8_S9_S9_EESD_ST_SE_SF_SG_EUlST_E_NS1_11comp_targetILNS1_3genE9ELNS1_11target_archE1100ELNS1_3gpuE3ELNS1_3repE0EEENS1_48merge_mergepath_partition_config_static_selectorELNS0_4arch9wavefront6targetE1EEEvSF_,"axG",@progbits,_ZN7rocprim17ROCPRIM_400000_NS6detail17trampoline_kernelINS0_14default_configENS1_38merge_sort_block_merge_config_selectorIiNS0_10empty_typeEEEZZNS1_27merge_sort_block_merge_implIS3_PiPS5_jNS1_19radix_merge_compareILb1ELb0EiNS0_19identity_decomposerEEEEE10hipError_tT0_T1_T2_jT3_P12ihipStream_tbPNSt15iterator_traitsISE_E10value_typeEPNSK_ISF_E10value_typeEPSG_NS1_7vsmem_tEENKUlT_SE_SF_SG_E_clIS8_S8_S9_S9_EESD_ST_SE_SF_SG_EUlST_E_NS1_11comp_targetILNS1_3genE9ELNS1_11target_archE1100ELNS1_3gpuE3ELNS1_3repE0EEENS1_48merge_mergepath_partition_config_static_selectorELNS0_4arch9wavefront6targetE1EEEvSF_,comdat
.Lfunc_end1952:
	.size	_ZN7rocprim17ROCPRIM_400000_NS6detail17trampoline_kernelINS0_14default_configENS1_38merge_sort_block_merge_config_selectorIiNS0_10empty_typeEEEZZNS1_27merge_sort_block_merge_implIS3_PiPS5_jNS1_19radix_merge_compareILb1ELb0EiNS0_19identity_decomposerEEEEE10hipError_tT0_T1_T2_jT3_P12ihipStream_tbPNSt15iterator_traitsISE_E10value_typeEPNSK_ISF_E10value_typeEPSG_NS1_7vsmem_tEENKUlT_SE_SF_SG_E_clIS8_S8_S9_S9_EESD_ST_SE_SF_SG_EUlST_E_NS1_11comp_targetILNS1_3genE9ELNS1_11target_archE1100ELNS1_3gpuE3ELNS1_3repE0EEENS1_48merge_mergepath_partition_config_static_selectorELNS0_4arch9wavefront6targetE1EEEvSF_, .Lfunc_end1952-_ZN7rocprim17ROCPRIM_400000_NS6detail17trampoline_kernelINS0_14default_configENS1_38merge_sort_block_merge_config_selectorIiNS0_10empty_typeEEEZZNS1_27merge_sort_block_merge_implIS3_PiPS5_jNS1_19radix_merge_compareILb1ELb0EiNS0_19identity_decomposerEEEEE10hipError_tT0_T1_T2_jT3_P12ihipStream_tbPNSt15iterator_traitsISE_E10value_typeEPNSK_ISF_E10value_typeEPSG_NS1_7vsmem_tEENKUlT_SE_SF_SG_E_clIS8_S8_S9_S9_EESD_ST_SE_SF_SG_EUlST_E_NS1_11comp_targetILNS1_3genE9ELNS1_11target_archE1100ELNS1_3gpuE3ELNS1_3repE0EEENS1_48merge_mergepath_partition_config_static_selectorELNS0_4arch9wavefront6targetE1EEEvSF_
                                        ; -- End function
	.section	.AMDGPU.csdata,"",@progbits
; Kernel info:
; codeLenInByte = 0
; NumSgprs: 4
; NumVgprs: 0
; NumAgprs: 0
; TotalNumVgprs: 0
; ScratchSize: 0
; MemoryBound: 0
; FloatMode: 240
; IeeeMode: 1
; LDSByteSize: 0 bytes/workgroup (compile time only)
; SGPRBlocks: 0
; VGPRBlocks: 0
; NumSGPRsForWavesPerEU: 4
; NumVGPRsForWavesPerEU: 1
; AccumOffset: 4
; Occupancy: 8
; WaveLimiterHint : 0
; COMPUTE_PGM_RSRC2:SCRATCH_EN: 0
; COMPUTE_PGM_RSRC2:USER_SGPR: 6
; COMPUTE_PGM_RSRC2:TRAP_HANDLER: 0
; COMPUTE_PGM_RSRC2:TGID_X_EN: 1
; COMPUTE_PGM_RSRC2:TGID_Y_EN: 0
; COMPUTE_PGM_RSRC2:TGID_Z_EN: 0
; COMPUTE_PGM_RSRC2:TIDIG_COMP_CNT: 0
; COMPUTE_PGM_RSRC3_GFX90A:ACCUM_OFFSET: 0
; COMPUTE_PGM_RSRC3_GFX90A:TG_SPLIT: 0
	.section	.text._ZN7rocprim17ROCPRIM_400000_NS6detail17trampoline_kernelINS0_14default_configENS1_38merge_sort_block_merge_config_selectorIiNS0_10empty_typeEEEZZNS1_27merge_sort_block_merge_implIS3_PiPS5_jNS1_19radix_merge_compareILb1ELb0EiNS0_19identity_decomposerEEEEE10hipError_tT0_T1_T2_jT3_P12ihipStream_tbPNSt15iterator_traitsISE_E10value_typeEPNSK_ISF_E10value_typeEPSG_NS1_7vsmem_tEENKUlT_SE_SF_SG_E_clIS8_S8_S9_S9_EESD_ST_SE_SF_SG_EUlST_E_NS1_11comp_targetILNS1_3genE8ELNS1_11target_archE1030ELNS1_3gpuE2ELNS1_3repE0EEENS1_48merge_mergepath_partition_config_static_selectorELNS0_4arch9wavefront6targetE1EEEvSF_,"axG",@progbits,_ZN7rocprim17ROCPRIM_400000_NS6detail17trampoline_kernelINS0_14default_configENS1_38merge_sort_block_merge_config_selectorIiNS0_10empty_typeEEEZZNS1_27merge_sort_block_merge_implIS3_PiPS5_jNS1_19radix_merge_compareILb1ELb0EiNS0_19identity_decomposerEEEEE10hipError_tT0_T1_T2_jT3_P12ihipStream_tbPNSt15iterator_traitsISE_E10value_typeEPNSK_ISF_E10value_typeEPSG_NS1_7vsmem_tEENKUlT_SE_SF_SG_E_clIS8_S8_S9_S9_EESD_ST_SE_SF_SG_EUlST_E_NS1_11comp_targetILNS1_3genE8ELNS1_11target_archE1030ELNS1_3gpuE2ELNS1_3repE0EEENS1_48merge_mergepath_partition_config_static_selectorELNS0_4arch9wavefront6targetE1EEEvSF_,comdat
	.protected	_ZN7rocprim17ROCPRIM_400000_NS6detail17trampoline_kernelINS0_14default_configENS1_38merge_sort_block_merge_config_selectorIiNS0_10empty_typeEEEZZNS1_27merge_sort_block_merge_implIS3_PiPS5_jNS1_19radix_merge_compareILb1ELb0EiNS0_19identity_decomposerEEEEE10hipError_tT0_T1_T2_jT3_P12ihipStream_tbPNSt15iterator_traitsISE_E10value_typeEPNSK_ISF_E10value_typeEPSG_NS1_7vsmem_tEENKUlT_SE_SF_SG_E_clIS8_S8_S9_S9_EESD_ST_SE_SF_SG_EUlST_E_NS1_11comp_targetILNS1_3genE8ELNS1_11target_archE1030ELNS1_3gpuE2ELNS1_3repE0EEENS1_48merge_mergepath_partition_config_static_selectorELNS0_4arch9wavefront6targetE1EEEvSF_ ; -- Begin function _ZN7rocprim17ROCPRIM_400000_NS6detail17trampoline_kernelINS0_14default_configENS1_38merge_sort_block_merge_config_selectorIiNS0_10empty_typeEEEZZNS1_27merge_sort_block_merge_implIS3_PiPS5_jNS1_19radix_merge_compareILb1ELb0EiNS0_19identity_decomposerEEEEE10hipError_tT0_T1_T2_jT3_P12ihipStream_tbPNSt15iterator_traitsISE_E10value_typeEPNSK_ISF_E10value_typeEPSG_NS1_7vsmem_tEENKUlT_SE_SF_SG_E_clIS8_S8_S9_S9_EESD_ST_SE_SF_SG_EUlST_E_NS1_11comp_targetILNS1_3genE8ELNS1_11target_archE1030ELNS1_3gpuE2ELNS1_3repE0EEENS1_48merge_mergepath_partition_config_static_selectorELNS0_4arch9wavefront6targetE1EEEvSF_
	.globl	_ZN7rocprim17ROCPRIM_400000_NS6detail17trampoline_kernelINS0_14default_configENS1_38merge_sort_block_merge_config_selectorIiNS0_10empty_typeEEEZZNS1_27merge_sort_block_merge_implIS3_PiPS5_jNS1_19radix_merge_compareILb1ELb0EiNS0_19identity_decomposerEEEEE10hipError_tT0_T1_T2_jT3_P12ihipStream_tbPNSt15iterator_traitsISE_E10value_typeEPNSK_ISF_E10value_typeEPSG_NS1_7vsmem_tEENKUlT_SE_SF_SG_E_clIS8_S8_S9_S9_EESD_ST_SE_SF_SG_EUlST_E_NS1_11comp_targetILNS1_3genE8ELNS1_11target_archE1030ELNS1_3gpuE2ELNS1_3repE0EEENS1_48merge_mergepath_partition_config_static_selectorELNS0_4arch9wavefront6targetE1EEEvSF_
	.p2align	8
	.type	_ZN7rocprim17ROCPRIM_400000_NS6detail17trampoline_kernelINS0_14default_configENS1_38merge_sort_block_merge_config_selectorIiNS0_10empty_typeEEEZZNS1_27merge_sort_block_merge_implIS3_PiPS5_jNS1_19radix_merge_compareILb1ELb0EiNS0_19identity_decomposerEEEEE10hipError_tT0_T1_T2_jT3_P12ihipStream_tbPNSt15iterator_traitsISE_E10value_typeEPNSK_ISF_E10value_typeEPSG_NS1_7vsmem_tEENKUlT_SE_SF_SG_E_clIS8_S8_S9_S9_EESD_ST_SE_SF_SG_EUlST_E_NS1_11comp_targetILNS1_3genE8ELNS1_11target_archE1030ELNS1_3gpuE2ELNS1_3repE0EEENS1_48merge_mergepath_partition_config_static_selectorELNS0_4arch9wavefront6targetE1EEEvSF_,@function
_ZN7rocprim17ROCPRIM_400000_NS6detail17trampoline_kernelINS0_14default_configENS1_38merge_sort_block_merge_config_selectorIiNS0_10empty_typeEEEZZNS1_27merge_sort_block_merge_implIS3_PiPS5_jNS1_19radix_merge_compareILb1ELb0EiNS0_19identity_decomposerEEEEE10hipError_tT0_T1_T2_jT3_P12ihipStream_tbPNSt15iterator_traitsISE_E10value_typeEPNSK_ISF_E10value_typeEPSG_NS1_7vsmem_tEENKUlT_SE_SF_SG_E_clIS8_S8_S9_S9_EESD_ST_SE_SF_SG_EUlST_E_NS1_11comp_targetILNS1_3genE8ELNS1_11target_archE1030ELNS1_3gpuE2ELNS1_3repE0EEENS1_48merge_mergepath_partition_config_static_selectorELNS0_4arch9wavefront6targetE1EEEvSF_: ; @_ZN7rocprim17ROCPRIM_400000_NS6detail17trampoline_kernelINS0_14default_configENS1_38merge_sort_block_merge_config_selectorIiNS0_10empty_typeEEEZZNS1_27merge_sort_block_merge_implIS3_PiPS5_jNS1_19radix_merge_compareILb1ELb0EiNS0_19identity_decomposerEEEEE10hipError_tT0_T1_T2_jT3_P12ihipStream_tbPNSt15iterator_traitsISE_E10value_typeEPNSK_ISF_E10value_typeEPSG_NS1_7vsmem_tEENKUlT_SE_SF_SG_E_clIS8_S8_S9_S9_EESD_ST_SE_SF_SG_EUlST_E_NS1_11comp_targetILNS1_3genE8ELNS1_11target_archE1030ELNS1_3gpuE2ELNS1_3repE0EEENS1_48merge_mergepath_partition_config_static_selectorELNS0_4arch9wavefront6targetE1EEEvSF_
; %bb.0:
	.section	.rodata,"a",@progbits
	.p2align	6, 0x0
	.amdhsa_kernel _ZN7rocprim17ROCPRIM_400000_NS6detail17trampoline_kernelINS0_14default_configENS1_38merge_sort_block_merge_config_selectorIiNS0_10empty_typeEEEZZNS1_27merge_sort_block_merge_implIS3_PiPS5_jNS1_19radix_merge_compareILb1ELb0EiNS0_19identity_decomposerEEEEE10hipError_tT0_T1_T2_jT3_P12ihipStream_tbPNSt15iterator_traitsISE_E10value_typeEPNSK_ISF_E10value_typeEPSG_NS1_7vsmem_tEENKUlT_SE_SF_SG_E_clIS8_S8_S9_S9_EESD_ST_SE_SF_SG_EUlST_E_NS1_11comp_targetILNS1_3genE8ELNS1_11target_archE1030ELNS1_3gpuE2ELNS1_3repE0EEENS1_48merge_mergepath_partition_config_static_selectorELNS0_4arch9wavefront6targetE1EEEvSF_
		.amdhsa_group_segment_fixed_size 0
		.amdhsa_private_segment_fixed_size 0
		.amdhsa_kernarg_size 40
		.amdhsa_user_sgpr_count 6
		.amdhsa_user_sgpr_private_segment_buffer 1
		.amdhsa_user_sgpr_dispatch_ptr 0
		.amdhsa_user_sgpr_queue_ptr 0
		.amdhsa_user_sgpr_kernarg_segment_ptr 1
		.amdhsa_user_sgpr_dispatch_id 0
		.amdhsa_user_sgpr_flat_scratch_init 0
		.amdhsa_user_sgpr_kernarg_preload_length 0
		.amdhsa_user_sgpr_kernarg_preload_offset 0
		.amdhsa_user_sgpr_private_segment_size 0
		.amdhsa_uses_dynamic_stack 0
		.amdhsa_system_sgpr_private_segment_wavefront_offset 0
		.amdhsa_system_sgpr_workgroup_id_x 1
		.amdhsa_system_sgpr_workgroup_id_y 0
		.amdhsa_system_sgpr_workgroup_id_z 0
		.amdhsa_system_sgpr_workgroup_info 0
		.amdhsa_system_vgpr_workitem_id 0
		.amdhsa_next_free_vgpr 1
		.amdhsa_next_free_sgpr 0
		.amdhsa_accum_offset 4
		.amdhsa_reserve_vcc 0
		.amdhsa_reserve_flat_scratch 0
		.amdhsa_float_round_mode_32 0
		.amdhsa_float_round_mode_16_64 0
		.amdhsa_float_denorm_mode_32 3
		.amdhsa_float_denorm_mode_16_64 3
		.amdhsa_dx10_clamp 1
		.amdhsa_ieee_mode 1
		.amdhsa_fp16_overflow 0
		.amdhsa_tg_split 0
		.amdhsa_exception_fp_ieee_invalid_op 0
		.amdhsa_exception_fp_denorm_src 0
		.amdhsa_exception_fp_ieee_div_zero 0
		.amdhsa_exception_fp_ieee_overflow 0
		.amdhsa_exception_fp_ieee_underflow 0
		.amdhsa_exception_fp_ieee_inexact 0
		.amdhsa_exception_int_div_zero 0
	.end_amdhsa_kernel
	.section	.text._ZN7rocprim17ROCPRIM_400000_NS6detail17trampoline_kernelINS0_14default_configENS1_38merge_sort_block_merge_config_selectorIiNS0_10empty_typeEEEZZNS1_27merge_sort_block_merge_implIS3_PiPS5_jNS1_19radix_merge_compareILb1ELb0EiNS0_19identity_decomposerEEEEE10hipError_tT0_T1_T2_jT3_P12ihipStream_tbPNSt15iterator_traitsISE_E10value_typeEPNSK_ISF_E10value_typeEPSG_NS1_7vsmem_tEENKUlT_SE_SF_SG_E_clIS8_S8_S9_S9_EESD_ST_SE_SF_SG_EUlST_E_NS1_11comp_targetILNS1_3genE8ELNS1_11target_archE1030ELNS1_3gpuE2ELNS1_3repE0EEENS1_48merge_mergepath_partition_config_static_selectorELNS0_4arch9wavefront6targetE1EEEvSF_,"axG",@progbits,_ZN7rocprim17ROCPRIM_400000_NS6detail17trampoline_kernelINS0_14default_configENS1_38merge_sort_block_merge_config_selectorIiNS0_10empty_typeEEEZZNS1_27merge_sort_block_merge_implIS3_PiPS5_jNS1_19radix_merge_compareILb1ELb0EiNS0_19identity_decomposerEEEEE10hipError_tT0_T1_T2_jT3_P12ihipStream_tbPNSt15iterator_traitsISE_E10value_typeEPNSK_ISF_E10value_typeEPSG_NS1_7vsmem_tEENKUlT_SE_SF_SG_E_clIS8_S8_S9_S9_EESD_ST_SE_SF_SG_EUlST_E_NS1_11comp_targetILNS1_3genE8ELNS1_11target_archE1030ELNS1_3gpuE2ELNS1_3repE0EEENS1_48merge_mergepath_partition_config_static_selectorELNS0_4arch9wavefront6targetE1EEEvSF_,comdat
.Lfunc_end1953:
	.size	_ZN7rocprim17ROCPRIM_400000_NS6detail17trampoline_kernelINS0_14default_configENS1_38merge_sort_block_merge_config_selectorIiNS0_10empty_typeEEEZZNS1_27merge_sort_block_merge_implIS3_PiPS5_jNS1_19radix_merge_compareILb1ELb0EiNS0_19identity_decomposerEEEEE10hipError_tT0_T1_T2_jT3_P12ihipStream_tbPNSt15iterator_traitsISE_E10value_typeEPNSK_ISF_E10value_typeEPSG_NS1_7vsmem_tEENKUlT_SE_SF_SG_E_clIS8_S8_S9_S9_EESD_ST_SE_SF_SG_EUlST_E_NS1_11comp_targetILNS1_3genE8ELNS1_11target_archE1030ELNS1_3gpuE2ELNS1_3repE0EEENS1_48merge_mergepath_partition_config_static_selectorELNS0_4arch9wavefront6targetE1EEEvSF_, .Lfunc_end1953-_ZN7rocprim17ROCPRIM_400000_NS6detail17trampoline_kernelINS0_14default_configENS1_38merge_sort_block_merge_config_selectorIiNS0_10empty_typeEEEZZNS1_27merge_sort_block_merge_implIS3_PiPS5_jNS1_19radix_merge_compareILb1ELb0EiNS0_19identity_decomposerEEEEE10hipError_tT0_T1_T2_jT3_P12ihipStream_tbPNSt15iterator_traitsISE_E10value_typeEPNSK_ISF_E10value_typeEPSG_NS1_7vsmem_tEENKUlT_SE_SF_SG_E_clIS8_S8_S9_S9_EESD_ST_SE_SF_SG_EUlST_E_NS1_11comp_targetILNS1_3genE8ELNS1_11target_archE1030ELNS1_3gpuE2ELNS1_3repE0EEENS1_48merge_mergepath_partition_config_static_selectorELNS0_4arch9wavefront6targetE1EEEvSF_
                                        ; -- End function
	.section	.AMDGPU.csdata,"",@progbits
; Kernel info:
; codeLenInByte = 0
; NumSgprs: 4
; NumVgprs: 0
; NumAgprs: 0
; TotalNumVgprs: 0
; ScratchSize: 0
; MemoryBound: 0
; FloatMode: 240
; IeeeMode: 1
; LDSByteSize: 0 bytes/workgroup (compile time only)
; SGPRBlocks: 0
; VGPRBlocks: 0
; NumSGPRsForWavesPerEU: 4
; NumVGPRsForWavesPerEU: 1
; AccumOffset: 4
; Occupancy: 8
; WaveLimiterHint : 0
; COMPUTE_PGM_RSRC2:SCRATCH_EN: 0
; COMPUTE_PGM_RSRC2:USER_SGPR: 6
; COMPUTE_PGM_RSRC2:TRAP_HANDLER: 0
; COMPUTE_PGM_RSRC2:TGID_X_EN: 1
; COMPUTE_PGM_RSRC2:TGID_Y_EN: 0
; COMPUTE_PGM_RSRC2:TGID_Z_EN: 0
; COMPUTE_PGM_RSRC2:TIDIG_COMP_CNT: 0
; COMPUTE_PGM_RSRC3_GFX90A:ACCUM_OFFSET: 0
; COMPUTE_PGM_RSRC3_GFX90A:TG_SPLIT: 0
	.section	.text._ZN7rocprim17ROCPRIM_400000_NS6detail17trampoline_kernelINS0_14default_configENS1_38merge_sort_block_merge_config_selectorIiNS0_10empty_typeEEEZZNS1_27merge_sort_block_merge_implIS3_PiPS5_jNS1_19radix_merge_compareILb1ELb0EiNS0_19identity_decomposerEEEEE10hipError_tT0_T1_T2_jT3_P12ihipStream_tbPNSt15iterator_traitsISE_E10value_typeEPNSK_ISF_E10value_typeEPSG_NS1_7vsmem_tEENKUlT_SE_SF_SG_E_clIS8_S8_S9_S9_EESD_ST_SE_SF_SG_EUlST_E0_NS1_11comp_targetILNS1_3genE0ELNS1_11target_archE4294967295ELNS1_3gpuE0ELNS1_3repE0EEENS1_38merge_mergepath_config_static_selectorELNS0_4arch9wavefront6targetE1EEEvSF_,"axG",@progbits,_ZN7rocprim17ROCPRIM_400000_NS6detail17trampoline_kernelINS0_14default_configENS1_38merge_sort_block_merge_config_selectorIiNS0_10empty_typeEEEZZNS1_27merge_sort_block_merge_implIS3_PiPS5_jNS1_19radix_merge_compareILb1ELb0EiNS0_19identity_decomposerEEEEE10hipError_tT0_T1_T2_jT3_P12ihipStream_tbPNSt15iterator_traitsISE_E10value_typeEPNSK_ISF_E10value_typeEPSG_NS1_7vsmem_tEENKUlT_SE_SF_SG_E_clIS8_S8_S9_S9_EESD_ST_SE_SF_SG_EUlST_E0_NS1_11comp_targetILNS1_3genE0ELNS1_11target_archE4294967295ELNS1_3gpuE0ELNS1_3repE0EEENS1_38merge_mergepath_config_static_selectorELNS0_4arch9wavefront6targetE1EEEvSF_,comdat
	.protected	_ZN7rocprim17ROCPRIM_400000_NS6detail17trampoline_kernelINS0_14default_configENS1_38merge_sort_block_merge_config_selectorIiNS0_10empty_typeEEEZZNS1_27merge_sort_block_merge_implIS3_PiPS5_jNS1_19radix_merge_compareILb1ELb0EiNS0_19identity_decomposerEEEEE10hipError_tT0_T1_T2_jT3_P12ihipStream_tbPNSt15iterator_traitsISE_E10value_typeEPNSK_ISF_E10value_typeEPSG_NS1_7vsmem_tEENKUlT_SE_SF_SG_E_clIS8_S8_S9_S9_EESD_ST_SE_SF_SG_EUlST_E0_NS1_11comp_targetILNS1_3genE0ELNS1_11target_archE4294967295ELNS1_3gpuE0ELNS1_3repE0EEENS1_38merge_mergepath_config_static_selectorELNS0_4arch9wavefront6targetE1EEEvSF_ ; -- Begin function _ZN7rocprim17ROCPRIM_400000_NS6detail17trampoline_kernelINS0_14default_configENS1_38merge_sort_block_merge_config_selectorIiNS0_10empty_typeEEEZZNS1_27merge_sort_block_merge_implIS3_PiPS5_jNS1_19radix_merge_compareILb1ELb0EiNS0_19identity_decomposerEEEEE10hipError_tT0_T1_T2_jT3_P12ihipStream_tbPNSt15iterator_traitsISE_E10value_typeEPNSK_ISF_E10value_typeEPSG_NS1_7vsmem_tEENKUlT_SE_SF_SG_E_clIS8_S8_S9_S9_EESD_ST_SE_SF_SG_EUlST_E0_NS1_11comp_targetILNS1_3genE0ELNS1_11target_archE4294967295ELNS1_3gpuE0ELNS1_3repE0EEENS1_38merge_mergepath_config_static_selectorELNS0_4arch9wavefront6targetE1EEEvSF_
	.globl	_ZN7rocprim17ROCPRIM_400000_NS6detail17trampoline_kernelINS0_14default_configENS1_38merge_sort_block_merge_config_selectorIiNS0_10empty_typeEEEZZNS1_27merge_sort_block_merge_implIS3_PiPS5_jNS1_19radix_merge_compareILb1ELb0EiNS0_19identity_decomposerEEEEE10hipError_tT0_T1_T2_jT3_P12ihipStream_tbPNSt15iterator_traitsISE_E10value_typeEPNSK_ISF_E10value_typeEPSG_NS1_7vsmem_tEENKUlT_SE_SF_SG_E_clIS8_S8_S9_S9_EESD_ST_SE_SF_SG_EUlST_E0_NS1_11comp_targetILNS1_3genE0ELNS1_11target_archE4294967295ELNS1_3gpuE0ELNS1_3repE0EEENS1_38merge_mergepath_config_static_selectorELNS0_4arch9wavefront6targetE1EEEvSF_
	.p2align	8
	.type	_ZN7rocprim17ROCPRIM_400000_NS6detail17trampoline_kernelINS0_14default_configENS1_38merge_sort_block_merge_config_selectorIiNS0_10empty_typeEEEZZNS1_27merge_sort_block_merge_implIS3_PiPS5_jNS1_19radix_merge_compareILb1ELb0EiNS0_19identity_decomposerEEEEE10hipError_tT0_T1_T2_jT3_P12ihipStream_tbPNSt15iterator_traitsISE_E10value_typeEPNSK_ISF_E10value_typeEPSG_NS1_7vsmem_tEENKUlT_SE_SF_SG_E_clIS8_S8_S9_S9_EESD_ST_SE_SF_SG_EUlST_E0_NS1_11comp_targetILNS1_3genE0ELNS1_11target_archE4294967295ELNS1_3gpuE0ELNS1_3repE0EEENS1_38merge_mergepath_config_static_selectorELNS0_4arch9wavefront6targetE1EEEvSF_,@function
_ZN7rocprim17ROCPRIM_400000_NS6detail17trampoline_kernelINS0_14default_configENS1_38merge_sort_block_merge_config_selectorIiNS0_10empty_typeEEEZZNS1_27merge_sort_block_merge_implIS3_PiPS5_jNS1_19radix_merge_compareILb1ELb0EiNS0_19identity_decomposerEEEEE10hipError_tT0_T1_T2_jT3_P12ihipStream_tbPNSt15iterator_traitsISE_E10value_typeEPNSK_ISF_E10value_typeEPSG_NS1_7vsmem_tEENKUlT_SE_SF_SG_E_clIS8_S8_S9_S9_EESD_ST_SE_SF_SG_EUlST_E0_NS1_11comp_targetILNS1_3genE0ELNS1_11target_archE4294967295ELNS1_3gpuE0ELNS1_3repE0EEENS1_38merge_mergepath_config_static_selectorELNS0_4arch9wavefront6targetE1EEEvSF_: ; @_ZN7rocprim17ROCPRIM_400000_NS6detail17trampoline_kernelINS0_14default_configENS1_38merge_sort_block_merge_config_selectorIiNS0_10empty_typeEEEZZNS1_27merge_sort_block_merge_implIS3_PiPS5_jNS1_19radix_merge_compareILb1ELb0EiNS0_19identity_decomposerEEEEE10hipError_tT0_T1_T2_jT3_P12ihipStream_tbPNSt15iterator_traitsISE_E10value_typeEPNSK_ISF_E10value_typeEPSG_NS1_7vsmem_tEENKUlT_SE_SF_SG_E_clIS8_S8_S9_S9_EESD_ST_SE_SF_SG_EUlST_E0_NS1_11comp_targetILNS1_3genE0ELNS1_11target_archE4294967295ELNS1_3gpuE0ELNS1_3repE0EEENS1_38merge_mergepath_config_static_selectorELNS0_4arch9wavefront6targetE1EEEvSF_
; %bb.0:
	.section	.rodata,"a",@progbits
	.p2align	6, 0x0
	.amdhsa_kernel _ZN7rocprim17ROCPRIM_400000_NS6detail17trampoline_kernelINS0_14default_configENS1_38merge_sort_block_merge_config_selectorIiNS0_10empty_typeEEEZZNS1_27merge_sort_block_merge_implIS3_PiPS5_jNS1_19radix_merge_compareILb1ELb0EiNS0_19identity_decomposerEEEEE10hipError_tT0_T1_T2_jT3_P12ihipStream_tbPNSt15iterator_traitsISE_E10value_typeEPNSK_ISF_E10value_typeEPSG_NS1_7vsmem_tEENKUlT_SE_SF_SG_E_clIS8_S8_S9_S9_EESD_ST_SE_SF_SG_EUlST_E0_NS1_11comp_targetILNS1_3genE0ELNS1_11target_archE4294967295ELNS1_3gpuE0ELNS1_3repE0EEENS1_38merge_mergepath_config_static_selectorELNS0_4arch9wavefront6targetE1EEEvSF_
		.amdhsa_group_segment_fixed_size 0
		.amdhsa_private_segment_fixed_size 0
		.amdhsa_kernarg_size 64
		.amdhsa_user_sgpr_count 6
		.amdhsa_user_sgpr_private_segment_buffer 1
		.amdhsa_user_sgpr_dispatch_ptr 0
		.amdhsa_user_sgpr_queue_ptr 0
		.amdhsa_user_sgpr_kernarg_segment_ptr 1
		.amdhsa_user_sgpr_dispatch_id 0
		.amdhsa_user_sgpr_flat_scratch_init 0
		.amdhsa_user_sgpr_kernarg_preload_length 0
		.amdhsa_user_sgpr_kernarg_preload_offset 0
		.amdhsa_user_sgpr_private_segment_size 0
		.amdhsa_uses_dynamic_stack 0
		.amdhsa_system_sgpr_private_segment_wavefront_offset 0
		.amdhsa_system_sgpr_workgroup_id_x 1
		.amdhsa_system_sgpr_workgroup_id_y 0
		.amdhsa_system_sgpr_workgroup_id_z 0
		.amdhsa_system_sgpr_workgroup_info 0
		.amdhsa_system_vgpr_workitem_id 0
		.amdhsa_next_free_vgpr 1
		.amdhsa_next_free_sgpr 0
		.amdhsa_accum_offset 4
		.amdhsa_reserve_vcc 0
		.amdhsa_reserve_flat_scratch 0
		.amdhsa_float_round_mode_32 0
		.amdhsa_float_round_mode_16_64 0
		.amdhsa_float_denorm_mode_32 3
		.amdhsa_float_denorm_mode_16_64 3
		.amdhsa_dx10_clamp 1
		.amdhsa_ieee_mode 1
		.amdhsa_fp16_overflow 0
		.amdhsa_tg_split 0
		.amdhsa_exception_fp_ieee_invalid_op 0
		.amdhsa_exception_fp_denorm_src 0
		.amdhsa_exception_fp_ieee_div_zero 0
		.amdhsa_exception_fp_ieee_overflow 0
		.amdhsa_exception_fp_ieee_underflow 0
		.amdhsa_exception_fp_ieee_inexact 0
		.amdhsa_exception_int_div_zero 0
	.end_amdhsa_kernel
	.section	.text._ZN7rocprim17ROCPRIM_400000_NS6detail17trampoline_kernelINS0_14default_configENS1_38merge_sort_block_merge_config_selectorIiNS0_10empty_typeEEEZZNS1_27merge_sort_block_merge_implIS3_PiPS5_jNS1_19radix_merge_compareILb1ELb0EiNS0_19identity_decomposerEEEEE10hipError_tT0_T1_T2_jT3_P12ihipStream_tbPNSt15iterator_traitsISE_E10value_typeEPNSK_ISF_E10value_typeEPSG_NS1_7vsmem_tEENKUlT_SE_SF_SG_E_clIS8_S8_S9_S9_EESD_ST_SE_SF_SG_EUlST_E0_NS1_11comp_targetILNS1_3genE0ELNS1_11target_archE4294967295ELNS1_3gpuE0ELNS1_3repE0EEENS1_38merge_mergepath_config_static_selectorELNS0_4arch9wavefront6targetE1EEEvSF_,"axG",@progbits,_ZN7rocprim17ROCPRIM_400000_NS6detail17trampoline_kernelINS0_14default_configENS1_38merge_sort_block_merge_config_selectorIiNS0_10empty_typeEEEZZNS1_27merge_sort_block_merge_implIS3_PiPS5_jNS1_19radix_merge_compareILb1ELb0EiNS0_19identity_decomposerEEEEE10hipError_tT0_T1_T2_jT3_P12ihipStream_tbPNSt15iterator_traitsISE_E10value_typeEPNSK_ISF_E10value_typeEPSG_NS1_7vsmem_tEENKUlT_SE_SF_SG_E_clIS8_S8_S9_S9_EESD_ST_SE_SF_SG_EUlST_E0_NS1_11comp_targetILNS1_3genE0ELNS1_11target_archE4294967295ELNS1_3gpuE0ELNS1_3repE0EEENS1_38merge_mergepath_config_static_selectorELNS0_4arch9wavefront6targetE1EEEvSF_,comdat
.Lfunc_end1954:
	.size	_ZN7rocprim17ROCPRIM_400000_NS6detail17trampoline_kernelINS0_14default_configENS1_38merge_sort_block_merge_config_selectorIiNS0_10empty_typeEEEZZNS1_27merge_sort_block_merge_implIS3_PiPS5_jNS1_19radix_merge_compareILb1ELb0EiNS0_19identity_decomposerEEEEE10hipError_tT0_T1_T2_jT3_P12ihipStream_tbPNSt15iterator_traitsISE_E10value_typeEPNSK_ISF_E10value_typeEPSG_NS1_7vsmem_tEENKUlT_SE_SF_SG_E_clIS8_S8_S9_S9_EESD_ST_SE_SF_SG_EUlST_E0_NS1_11comp_targetILNS1_3genE0ELNS1_11target_archE4294967295ELNS1_3gpuE0ELNS1_3repE0EEENS1_38merge_mergepath_config_static_selectorELNS0_4arch9wavefront6targetE1EEEvSF_, .Lfunc_end1954-_ZN7rocprim17ROCPRIM_400000_NS6detail17trampoline_kernelINS0_14default_configENS1_38merge_sort_block_merge_config_selectorIiNS0_10empty_typeEEEZZNS1_27merge_sort_block_merge_implIS3_PiPS5_jNS1_19radix_merge_compareILb1ELb0EiNS0_19identity_decomposerEEEEE10hipError_tT0_T1_T2_jT3_P12ihipStream_tbPNSt15iterator_traitsISE_E10value_typeEPNSK_ISF_E10value_typeEPSG_NS1_7vsmem_tEENKUlT_SE_SF_SG_E_clIS8_S8_S9_S9_EESD_ST_SE_SF_SG_EUlST_E0_NS1_11comp_targetILNS1_3genE0ELNS1_11target_archE4294967295ELNS1_3gpuE0ELNS1_3repE0EEENS1_38merge_mergepath_config_static_selectorELNS0_4arch9wavefront6targetE1EEEvSF_
                                        ; -- End function
	.section	.AMDGPU.csdata,"",@progbits
; Kernel info:
; codeLenInByte = 0
; NumSgprs: 4
; NumVgprs: 0
; NumAgprs: 0
; TotalNumVgprs: 0
; ScratchSize: 0
; MemoryBound: 0
; FloatMode: 240
; IeeeMode: 1
; LDSByteSize: 0 bytes/workgroup (compile time only)
; SGPRBlocks: 0
; VGPRBlocks: 0
; NumSGPRsForWavesPerEU: 4
; NumVGPRsForWavesPerEU: 1
; AccumOffset: 4
; Occupancy: 8
; WaveLimiterHint : 0
; COMPUTE_PGM_RSRC2:SCRATCH_EN: 0
; COMPUTE_PGM_RSRC2:USER_SGPR: 6
; COMPUTE_PGM_RSRC2:TRAP_HANDLER: 0
; COMPUTE_PGM_RSRC2:TGID_X_EN: 1
; COMPUTE_PGM_RSRC2:TGID_Y_EN: 0
; COMPUTE_PGM_RSRC2:TGID_Z_EN: 0
; COMPUTE_PGM_RSRC2:TIDIG_COMP_CNT: 0
; COMPUTE_PGM_RSRC3_GFX90A:ACCUM_OFFSET: 0
; COMPUTE_PGM_RSRC3_GFX90A:TG_SPLIT: 0
	.section	.text._ZN7rocprim17ROCPRIM_400000_NS6detail17trampoline_kernelINS0_14default_configENS1_38merge_sort_block_merge_config_selectorIiNS0_10empty_typeEEEZZNS1_27merge_sort_block_merge_implIS3_PiPS5_jNS1_19radix_merge_compareILb1ELb0EiNS0_19identity_decomposerEEEEE10hipError_tT0_T1_T2_jT3_P12ihipStream_tbPNSt15iterator_traitsISE_E10value_typeEPNSK_ISF_E10value_typeEPSG_NS1_7vsmem_tEENKUlT_SE_SF_SG_E_clIS8_S8_S9_S9_EESD_ST_SE_SF_SG_EUlST_E0_NS1_11comp_targetILNS1_3genE10ELNS1_11target_archE1201ELNS1_3gpuE5ELNS1_3repE0EEENS1_38merge_mergepath_config_static_selectorELNS0_4arch9wavefront6targetE1EEEvSF_,"axG",@progbits,_ZN7rocprim17ROCPRIM_400000_NS6detail17trampoline_kernelINS0_14default_configENS1_38merge_sort_block_merge_config_selectorIiNS0_10empty_typeEEEZZNS1_27merge_sort_block_merge_implIS3_PiPS5_jNS1_19radix_merge_compareILb1ELb0EiNS0_19identity_decomposerEEEEE10hipError_tT0_T1_T2_jT3_P12ihipStream_tbPNSt15iterator_traitsISE_E10value_typeEPNSK_ISF_E10value_typeEPSG_NS1_7vsmem_tEENKUlT_SE_SF_SG_E_clIS8_S8_S9_S9_EESD_ST_SE_SF_SG_EUlST_E0_NS1_11comp_targetILNS1_3genE10ELNS1_11target_archE1201ELNS1_3gpuE5ELNS1_3repE0EEENS1_38merge_mergepath_config_static_selectorELNS0_4arch9wavefront6targetE1EEEvSF_,comdat
	.protected	_ZN7rocprim17ROCPRIM_400000_NS6detail17trampoline_kernelINS0_14default_configENS1_38merge_sort_block_merge_config_selectorIiNS0_10empty_typeEEEZZNS1_27merge_sort_block_merge_implIS3_PiPS5_jNS1_19radix_merge_compareILb1ELb0EiNS0_19identity_decomposerEEEEE10hipError_tT0_T1_T2_jT3_P12ihipStream_tbPNSt15iterator_traitsISE_E10value_typeEPNSK_ISF_E10value_typeEPSG_NS1_7vsmem_tEENKUlT_SE_SF_SG_E_clIS8_S8_S9_S9_EESD_ST_SE_SF_SG_EUlST_E0_NS1_11comp_targetILNS1_3genE10ELNS1_11target_archE1201ELNS1_3gpuE5ELNS1_3repE0EEENS1_38merge_mergepath_config_static_selectorELNS0_4arch9wavefront6targetE1EEEvSF_ ; -- Begin function _ZN7rocprim17ROCPRIM_400000_NS6detail17trampoline_kernelINS0_14default_configENS1_38merge_sort_block_merge_config_selectorIiNS0_10empty_typeEEEZZNS1_27merge_sort_block_merge_implIS3_PiPS5_jNS1_19radix_merge_compareILb1ELb0EiNS0_19identity_decomposerEEEEE10hipError_tT0_T1_T2_jT3_P12ihipStream_tbPNSt15iterator_traitsISE_E10value_typeEPNSK_ISF_E10value_typeEPSG_NS1_7vsmem_tEENKUlT_SE_SF_SG_E_clIS8_S8_S9_S9_EESD_ST_SE_SF_SG_EUlST_E0_NS1_11comp_targetILNS1_3genE10ELNS1_11target_archE1201ELNS1_3gpuE5ELNS1_3repE0EEENS1_38merge_mergepath_config_static_selectorELNS0_4arch9wavefront6targetE1EEEvSF_
	.globl	_ZN7rocprim17ROCPRIM_400000_NS6detail17trampoline_kernelINS0_14default_configENS1_38merge_sort_block_merge_config_selectorIiNS0_10empty_typeEEEZZNS1_27merge_sort_block_merge_implIS3_PiPS5_jNS1_19radix_merge_compareILb1ELb0EiNS0_19identity_decomposerEEEEE10hipError_tT0_T1_T2_jT3_P12ihipStream_tbPNSt15iterator_traitsISE_E10value_typeEPNSK_ISF_E10value_typeEPSG_NS1_7vsmem_tEENKUlT_SE_SF_SG_E_clIS8_S8_S9_S9_EESD_ST_SE_SF_SG_EUlST_E0_NS1_11comp_targetILNS1_3genE10ELNS1_11target_archE1201ELNS1_3gpuE5ELNS1_3repE0EEENS1_38merge_mergepath_config_static_selectorELNS0_4arch9wavefront6targetE1EEEvSF_
	.p2align	8
	.type	_ZN7rocprim17ROCPRIM_400000_NS6detail17trampoline_kernelINS0_14default_configENS1_38merge_sort_block_merge_config_selectorIiNS0_10empty_typeEEEZZNS1_27merge_sort_block_merge_implIS3_PiPS5_jNS1_19radix_merge_compareILb1ELb0EiNS0_19identity_decomposerEEEEE10hipError_tT0_T1_T2_jT3_P12ihipStream_tbPNSt15iterator_traitsISE_E10value_typeEPNSK_ISF_E10value_typeEPSG_NS1_7vsmem_tEENKUlT_SE_SF_SG_E_clIS8_S8_S9_S9_EESD_ST_SE_SF_SG_EUlST_E0_NS1_11comp_targetILNS1_3genE10ELNS1_11target_archE1201ELNS1_3gpuE5ELNS1_3repE0EEENS1_38merge_mergepath_config_static_selectorELNS0_4arch9wavefront6targetE1EEEvSF_,@function
_ZN7rocprim17ROCPRIM_400000_NS6detail17trampoline_kernelINS0_14default_configENS1_38merge_sort_block_merge_config_selectorIiNS0_10empty_typeEEEZZNS1_27merge_sort_block_merge_implIS3_PiPS5_jNS1_19radix_merge_compareILb1ELb0EiNS0_19identity_decomposerEEEEE10hipError_tT0_T1_T2_jT3_P12ihipStream_tbPNSt15iterator_traitsISE_E10value_typeEPNSK_ISF_E10value_typeEPSG_NS1_7vsmem_tEENKUlT_SE_SF_SG_E_clIS8_S8_S9_S9_EESD_ST_SE_SF_SG_EUlST_E0_NS1_11comp_targetILNS1_3genE10ELNS1_11target_archE1201ELNS1_3gpuE5ELNS1_3repE0EEENS1_38merge_mergepath_config_static_selectorELNS0_4arch9wavefront6targetE1EEEvSF_: ; @_ZN7rocprim17ROCPRIM_400000_NS6detail17trampoline_kernelINS0_14default_configENS1_38merge_sort_block_merge_config_selectorIiNS0_10empty_typeEEEZZNS1_27merge_sort_block_merge_implIS3_PiPS5_jNS1_19radix_merge_compareILb1ELb0EiNS0_19identity_decomposerEEEEE10hipError_tT0_T1_T2_jT3_P12ihipStream_tbPNSt15iterator_traitsISE_E10value_typeEPNSK_ISF_E10value_typeEPSG_NS1_7vsmem_tEENKUlT_SE_SF_SG_E_clIS8_S8_S9_S9_EESD_ST_SE_SF_SG_EUlST_E0_NS1_11comp_targetILNS1_3genE10ELNS1_11target_archE1201ELNS1_3gpuE5ELNS1_3repE0EEENS1_38merge_mergepath_config_static_selectorELNS0_4arch9wavefront6targetE1EEEvSF_
; %bb.0:
	.section	.rodata,"a",@progbits
	.p2align	6, 0x0
	.amdhsa_kernel _ZN7rocprim17ROCPRIM_400000_NS6detail17trampoline_kernelINS0_14default_configENS1_38merge_sort_block_merge_config_selectorIiNS0_10empty_typeEEEZZNS1_27merge_sort_block_merge_implIS3_PiPS5_jNS1_19radix_merge_compareILb1ELb0EiNS0_19identity_decomposerEEEEE10hipError_tT0_T1_T2_jT3_P12ihipStream_tbPNSt15iterator_traitsISE_E10value_typeEPNSK_ISF_E10value_typeEPSG_NS1_7vsmem_tEENKUlT_SE_SF_SG_E_clIS8_S8_S9_S9_EESD_ST_SE_SF_SG_EUlST_E0_NS1_11comp_targetILNS1_3genE10ELNS1_11target_archE1201ELNS1_3gpuE5ELNS1_3repE0EEENS1_38merge_mergepath_config_static_selectorELNS0_4arch9wavefront6targetE1EEEvSF_
		.amdhsa_group_segment_fixed_size 0
		.amdhsa_private_segment_fixed_size 0
		.amdhsa_kernarg_size 64
		.amdhsa_user_sgpr_count 6
		.amdhsa_user_sgpr_private_segment_buffer 1
		.amdhsa_user_sgpr_dispatch_ptr 0
		.amdhsa_user_sgpr_queue_ptr 0
		.amdhsa_user_sgpr_kernarg_segment_ptr 1
		.amdhsa_user_sgpr_dispatch_id 0
		.amdhsa_user_sgpr_flat_scratch_init 0
		.amdhsa_user_sgpr_kernarg_preload_length 0
		.amdhsa_user_sgpr_kernarg_preload_offset 0
		.amdhsa_user_sgpr_private_segment_size 0
		.amdhsa_uses_dynamic_stack 0
		.amdhsa_system_sgpr_private_segment_wavefront_offset 0
		.amdhsa_system_sgpr_workgroup_id_x 1
		.amdhsa_system_sgpr_workgroup_id_y 0
		.amdhsa_system_sgpr_workgroup_id_z 0
		.amdhsa_system_sgpr_workgroup_info 0
		.amdhsa_system_vgpr_workitem_id 0
		.amdhsa_next_free_vgpr 1
		.amdhsa_next_free_sgpr 0
		.amdhsa_accum_offset 4
		.amdhsa_reserve_vcc 0
		.amdhsa_reserve_flat_scratch 0
		.amdhsa_float_round_mode_32 0
		.amdhsa_float_round_mode_16_64 0
		.amdhsa_float_denorm_mode_32 3
		.amdhsa_float_denorm_mode_16_64 3
		.amdhsa_dx10_clamp 1
		.amdhsa_ieee_mode 1
		.amdhsa_fp16_overflow 0
		.amdhsa_tg_split 0
		.amdhsa_exception_fp_ieee_invalid_op 0
		.amdhsa_exception_fp_denorm_src 0
		.amdhsa_exception_fp_ieee_div_zero 0
		.amdhsa_exception_fp_ieee_overflow 0
		.amdhsa_exception_fp_ieee_underflow 0
		.amdhsa_exception_fp_ieee_inexact 0
		.amdhsa_exception_int_div_zero 0
	.end_amdhsa_kernel
	.section	.text._ZN7rocprim17ROCPRIM_400000_NS6detail17trampoline_kernelINS0_14default_configENS1_38merge_sort_block_merge_config_selectorIiNS0_10empty_typeEEEZZNS1_27merge_sort_block_merge_implIS3_PiPS5_jNS1_19radix_merge_compareILb1ELb0EiNS0_19identity_decomposerEEEEE10hipError_tT0_T1_T2_jT3_P12ihipStream_tbPNSt15iterator_traitsISE_E10value_typeEPNSK_ISF_E10value_typeEPSG_NS1_7vsmem_tEENKUlT_SE_SF_SG_E_clIS8_S8_S9_S9_EESD_ST_SE_SF_SG_EUlST_E0_NS1_11comp_targetILNS1_3genE10ELNS1_11target_archE1201ELNS1_3gpuE5ELNS1_3repE0EEENS1_38merge_mergepath_config_static_selectorELNS0_4arch9wavefront6targetE1EEEvSF_,"axG",@progbits,_ZN7rocprim17ROCPRIM_400000_NS6detail17trampoline_kernelINS0_14default_configENS1_38merge_sort_block_merge_config_selectorIiNS0_10empty_typeEEEZZNS1_27merge_sort_block_merge_implIS3_PiPS5_jNS1_19radix_merge_compareILb1ELb0EiNS0_19identity_decomposerEEEEE10hipError_tT0_T1_T2_jT3_P12ihipStream_tbPNSt15iterator_traitsISE_E10value_typeEPNSK_ISF_E10value_typeEPSG_NS1_7vsmem_tEENKUlT_SE_SF_SG_E_clIS8_S8_S9_S9_EESD_ST_SE_SF_SG_EUlST_E0_NS1_11comp_targetILNS1_3genE10ELNS1_11target_archE1201ELNS1_3gpuE5ELNS1_3repE0EEENS1_38merge_mergepath_config_static_selectorELNS0_4arch9wavefront6targetE1EEEvSF_,comdat
.Lfunc_end1955:
	.size	_ZN7rocprim17ROCPRIM_400000_NS6detail17trampoline_kernelINS0_14default_configENS1_38merge_sort_block_merge_config_selectorIiNS0_10empty_typeEEEZZNS1_27merge_sort_block_merge_implIS3_PiPS5_jNS1_19radix_merge_compareILb1ELb0EiNS0_19identity_decomposerEEEEE10hipError_tT0_T1_T2_jT3_P12ihipStream_tbPNSt15iterator_traitsISE_E10value_typeEPNSK_ISF_E10value_typeEPSG_NS1_7vsmem_tEENKUlT_SE_SF_SG_E_clIS8_S8_S9_S9_EESD_ST_SE_SF_SG_EUlST_E0_NS1_11comp_targetILNS1_3genE10ELNS1_11target_archE1201ELNS1_3gpuE5ELNS1_3repE0EEENS1_38merge_mergepath_config_static_selectorELNS0_4arch9wavefront6targetE1EEEvSF_, .Lfunc_end1955-_ZN7rocprim17ROCPRIM_400000_NS6detail17trampoline_kernelINS0_14default_configENS1_38merge_sort_block_merge_config_selectorIiNS0_10empty_typeEEEZZNS1_27merge_sort_block_merge_implIS3_PiPS5_jNS1_19radix_merge_compareILb1ELb0EiNS0_19identity_decomposerEEEEE10hipError_tT0_T1_T2_jT3_P12ihipStream_tbPNSt15iterator_traitsISE_E10value_typeEPNSK_ISF_E10value_typeEPSG_NS1_7vsmem_tEENKUlT_SE_SF_SG_E_clIS8_S8_S9_S9_EESD_ST_SE_SF_SG_EUlST_E0_NS1_11comp_targetILNS1_3genE10ELNS1_11target_archE1201ELNS1_3gpuE5ELNS1_3repE0EEENS1_38merge_mergepath_config_static_selectorELNS0_4arch9wavefront6targetE1EEEvSF_
                                        ; -- End function
	.section	.AMDGPU.csdata,"",@progbits
; Kernel info:
; codeLenInByte = 0
; NumSgprs: 4
; NumVgprs: 0
; NumAgprs: 0
; TotalNumVgprs: 0
; ScratchSize: 0
; MemoryBound: 0
; FloatMode: 240
; IeeeMode: 1
; LDSByteSize: 0 bytes/workgroup (compile time only)
; SGPRBlocks: 0
; VGPRBlocks: 0
; NumSGPRsForWavesPerEU: 4
; NumVGPRsForWavesPerEU: 1
; AccumOffset: 4
; Occupancy: 8
; WaveLimiterHint : 0
; COMPUTE_PGM_RSRC2:SCRATCH_EN: 0
; COMPUTE_PGM_RSRC2:USER_SGPR: 6
; COMPUTE_PGM_RSRC2:TRAP_HANDLER: 0
; COMPUTE_PGM_RSRC2:TGID_X_EN: 1
; COMPUTE_PGM_RSRC2:TGID_Y_EN: 0
; COMPUTE_PGM_RSRC2:TGID_Z_EN: 0
; COMPUTE_PGM_RSRC2:TIDIG_COMP_CNT: 0
; COMPUTE_PGM_RSRC3_GFX90A:ACCUM_OFFSET: 0
; COMPUTE_PGM_RSRC3_GFX90A:TG_SPLIT: 0
	.section	.text._ZN7rocprim17ROCPRIM_400000_NS6detail17trampoline_kernelINS0_14default_configENS1_38merge_sort_block_merge_config_selectorIiNS0_10empty_typeEEEZZNS1_27merge_sort_block_merge_implIS3_PiPS5_jNS1_19radix_merge_compareILb1ELb0EiNS0_19identity_decomposerEEEEE10hipError_tT0_T1_T2_jT3_P12ihipStream_tbPNSt15iterator_traitsISE_E10value_typeEPNSK_ISF_E10value_typeEPSG_NS1_7vsmem_tEENKUlT_SE_SF_SG_E_clIS8_S8_S9_S9_EESD_ST_SE_SF_SG_EUlST_E0_NS1_11comp_targetILNS1_3genE5ELNS1_11target_archE942ELNS1_3gpuE9ELNS1_3repE0EEENS1_38merge_mergepath_config_static_selectorELNS0_4arch9wavefront6targetE1EEEvSF_,"axG",@progbits,_ZN7rocprim17ROCPRIM_400000_NS6detail17trampoline_kernelINS0_14default_configENS1_38merge_sort_block_merge_config_selectorIiNS0_10empty_typeEEEZZNS1_27merge_sort_block_merge_implIS3_PiPS5_jNS1_19radix_merge_compareILb1ELb0EiNS0_19identity_decomposerEEEEE10hipError_tT0_T1_T2_jT3_P12ihipStream_tbPNSt15iterator_traitsISE_E10value_typeEPNSK_ISF_E10value_typeEPSG_NS1_7vsmem_tEENKUlT_SE_SF_SG_E_clIS8_S8_S9_S9_EESD_ST_SE_SF_SG_EUlST_E0_NS1_11comp_targetILNS1_3genE5ELNS1_11target_archE942ELNS1_3gpuE9ELNS1_3repE0EEENS1_38merge_mergepath_config_static_selectorELNS0_4arch9wavefront6targetE1EEEvSF_,comdat
	.protected	_ZN7rocprim17ROCPRIM_400000_NS6detail17trampoline_kernelINS0_14default_configENS1_38merge_sort_block_merge_config_selectorIiNS0_10empty_typeEEEZZNS1_27merge_sort_block_merge_implIS3_PiPS5_jNS1_19radix_merge_compareILb1ELb0EiNS0_19identity_decomposerEEEEE10hipError_tT0_T1_T2_jT3_P12ihipStream_tbPNSt15iterator_traitsISE_E10value_typeEPNSK_ISF_E10value_typeEPSG_NS1_7vsmem_tEENKUlT_SE_SF_SG_E_clIS8_S8_S9_S9_EESD_ST_SE_SF_SG_EUlST_E0_NS1_11comp_targetILNS1_3genE5ELNS1_11target_archE942ELNS1_3gpuE9ELNS1_3repE0EEENS1_38merge_mergepath_config_static_selectorELNS0_4arch9wavefront6targetE1EEEvSF_ ; -- Begin function _ZN7rocprim17ROCPRIM_400000_NS6detail17trampoline_kernelINS0_14default_configENS1_38merge_sort_block_merge_config_selectorIiNS0_10empty_typeEEEZZNS1_27merge_sort_block_merge_implIS3_PiPS5_jNS1_19radix_merge_compareILb1ELb0EiNS0_19identity_decomposerEEEEE10hipError_tT0_T1_T2_jT3_P12ihipStream_tbPNSt15iterator_traitsISE_E10value_typeEPNSK_ISF_E10value_typeEPSG_NS1_7vsmem_tEENKUlT_SE_SF_SG_E_clIS8_S8_S9_S9_EESD_ST_SE_SF_SG_EUlST_E0_NS1_11comp_targetILNS1_3genE5ELNS1_11target_archE942ELNS1_3gpuE9ELNS1_3repE0EEENS1_38merge_mergepath_config_static_selectorELNS0_4arch9wavefront6targetE1EEEvSF_
	.globl	_ZN7rocprim17ROCPRIM_400000_NS6detail17trampoline_kernelINS0_14default_configENS1_38merge_sort_block_merge_config_selectorIiNS0_10empty_typeEEEZZNS1_27merge_sort_block_merge_implIS3_PiPS5_jNS1_19radix_merge_compareILb1ELb0EiNS0_19identity_decomposerEEEEE10hipError_tT0_T1_T2_jT3_P12ihipStream_tbPNSt15iterator_traitsISE_E10value_typeEPNSK_ISF_E10value_typeEPSG_NS1_7vsmem_tEENKUlT_SE_SF_SG_E_clIS8_S8_S9_S9_EESD_ST_SE_SF_SG_EUlST_E0_NS1_11comp_targetILNS1_3genE5ELNS1_11target_archE942ELNS1_3gpuE9ELNS1_3repE0EEENS1_38merge_mergepath_config_static_selectorELNS0_4arch9wavefront6targetE1EEEvSF_
	.p2align	8
	.type	_ZN7rocprim17ROCPRIM_400000_NS6detail17trampoline_kernelINS0_14default_configENS1_38merge_sort_block_merge_config_selectorIiNS0_10empty_typeEEEZZNS1_27merge_sort_block_merge_implIS3_PiPS5_jNS1_19radix_merge_compareILb1ELb0EiNS0_19identity_decomposerEEEEE10hipError_tT0_T1_T2_jT3_P12ihipStream_tbPNSt15iterator_traitsISE_E10value_typeEPNSK_ISF_E10value_typeEPSG_NS1_7vsmem_tEENKUlT_SE_SF_SG_E_clIS8_S8_S9_S9_EESD_ST_SE_SF_SG_EUlST_E0_NS1_11comp_targetILNS1_3genE5ELNS1_11target_archE942ELNS1_3gpuE9ELNS1_3repE0EEENS1_38merge_mergepath_config_static_selectorELNS0_4arch9wavefront6targetE1EEEvSF_,@function
_ZN7rocprim17ROCPRIM_400000_NS6detail17trampoline_kernelINS0_14default_configENS1_38merge_sort_block_merge_config_selectorIiNS0_10empty_typeEEEZZNS1_27merge_sort_block_merge_implIS3_PiPS5_jNS1_19radix_merge_compareILb1ELb0EiNS0_19identity_decomposerEEEEE10hipError_tT0_T1_T2_jT3_P12ihipStream_tbPNSt15iterator_traitsISE_E10value_typeEPNSK_ISF_E10value_typeEPSG_NS1_7vsmem_tEENKUlT_SE_SF_SG_E_clIS8_S8_S9_S9_EESD_ST_SE_SF_SG_EUlST_E0_NS1_11comp_targetILNS1_3genE5ELNS1_11target_archE942ELNS1_3gpuE9ELNS1_3repE0EEENS1_38merge_mergepath_config_static_selectorELNS0_4arch9wavefront6targetE1EEEvSF_: ; @_ZN7rocprim17ROCPRIM_400000_NS6detail17trampoline_kernelINS0_14default_configENS1_38merge_sort_block_merge_config_selectorIiNS0_10empty_typeEEEZZNS1_27merge_sort_block_merge_implIS3_PiPS5_jNS1_19radix_merge_compareILb1ELb0EiNS0_19identity_decomposerEEEEE10hipError_tT0_T1_T2_jT3_P12ihipStream_tbPNSt15iterator_traitsISE_E10value_typeEPNSK_ISF_E10value_typeEPSG_NS1_7vsmem_tEENKUlT_SE_SF_SG_E_clIS8_S8_S9_S9_EESD_ST_SE_SF_SG_EUlST_E0_NS1_11comp_targetILNS1_3genE5ELNS1_11target_archE942ELNS1_3gpuE9ELNS1_3repE0EEENS1_38merge_mergepath_config_static_selectorELNS0_4arch9wavefront6targetE1EEEvSF_
; %bb.0:
	.section	.rodata,"a",@progbits
	.p2align	6, 0x0
	.amdhsa_kernel _ZN7rocprim17ROCPRIM_400000_NS6detail17trampoline_kernelINS0_14default_configENS1_38merge_sort_block_merge_config_selectorIiNS0_10empty_typeEEEZZNS1_27merge_sort_block_merge_implIS3_PiPS5_jNS1_19radix_merge_compareILb1ELb0EiNS0_19identity_decomposerEEEEE10hipError_tT0_T1_T2_jT3_P12ihipStream_tbPNSt15iterator_traitsISE_E10value_typeEPNSK_ISF_E10value_typeEPSG_NS1_7vsmem_tEENKUlT_SE_SF_SG_E_clIS8_S8_S9_S9_EESD_ST_SE_SF_SG_EUlST_E0_NS1_11comp_targetILNS1_3genE5ELNS1_11target_archE942ELNS1_3gpuE9ELNS1_3repE0EEENS1_38merge_mergepath_config_static_selectorELNS0_4arch9wavefront6targetE1EEEvSF_
		.amdhsa_group_segment_fixed_size 0
		.amdhsa_private_segment_fixed_size 0
		.amdhsa_kernarg_size 64
		.amdhsa_user_sgpr_count 6
		.amdhsa_user_sgpr_private_segment_buffer 1
		.amdhsa_user_sgpr_dispatch_ptr 0
		.amdhsa_user_sgpr_queue_ptr 0
		.amdhsa_user_sgpr_kernarg_segment_ptr 1
		.amdhsa_user_sgpr_dispatch_id 0
		.amdhsa_user_sgpr_flat_scratch_init 0
		.amdhsa_user_sgpr_kernarg_preload_length 0
		.amdhsa_user_sgpr_kernarg_preload_offset 0
		.amdhsa_user_sgpr_private_segment_size 0
		.amdhsa_uses_dynamic_stack 0
		.amdhsa_system_sgpr_private_segment_wavefront_offset 0
		.amdhsa_system_sgpr_workgroup_id_x 1
		.amdhsa_system_sgpr_workgroup_id_y 0
		.amdhsa_system_sgpr_workgroup_id_z 0
		.amdhsa_system_sgpr_workgroup_info 0
		.amdhsa_system_vgpr_workitem_id 0
		.amdhsa_next_free_vgpr 1
		.amdhsa_next_free_sgpr 0
		.amdhsa_accum_offset 4
		.amdhsa_reserve_vcc 0
		.amdhsa_reserve_flat_scratch 0
		.amdhsa_float_round_mode_32 0
		.amdhsa_float_round_mode_16_64 0
		.amdhsa_float_denorm_mode_32 3
		.amdhsa_float_denorm_mode_16_64 3
		.amdhsa_dx10_clamp 1
		.amdhsa_ieee_mode 1
		.amdhsa_fp16_overflow 0
		.amdhsa_tg_split 0
		.amdhsa_exception_fp_ieee_invalid_op 0
		.amdhsa_exception_fp_denorm_src 0
		.amdhsa_exception_fp_ieee_div_zero 0
		.amdhsa_exception_fp_ieee_overflow 0
		.amdhsa_exception_fp_ieee_underflow 0
		.amdhsa_exception_fp_ieee_inexact 0
		.amdhsa_exception_int_div_zero 0
	.end_amdhsa_kernel
	.section	.text._ZN7rocprim17ROCPRIM_400000_NS6detail17trampoline_kernelINS0_14default_configENS1_38merge_sort_block_merge_config_selectorIiNS0_10empty_typeEEEZZNS1_27merge_sort_block_merge_implIS3_PiPS5_jNS1_19radix_merge_compareILb1ELb0EiNS0_19identity_decomposerEEEEE10hipError_tT0_T1_T2_jT3_P12ihipStream_tbPNSt15iterator_traitsISE_E10value_typeEPNSK_ISF_E10value_typeEPSG_NS1_7vsmem_tEENKUlT_SE_SF_SG_E_clIS8_S8_S9_S9_EESD_ST_SE_SF_SG_EUlST_E0_NS1_11comp_targetILNS1_3genE5ELNS1_11target_archE942ELNS1_3gpuE9ELNS1_3repE0EEENS1_38merge_mergepath_config_static_selectorELNS0_4arch9wavefront6targetE1EEEvSF_,"axG",@progbits,_ZN7rocprim17ROCPRIM_400000_NS6detail17trampoline_kernelINS0_14default_configENS1_38merge_sort_block_merge_config_selectorIiNS0_10empty_typeEEEZZNS1_27merge_sort_block_merge_implIS3_PiPS5_jNS1_19radix_merge_compareILb1ELb0EiNS0_19identity_decomposerEEEEE10hipError_tT0_T1_T2_jT3_P12ihipStream_tbPNSt15iterator_traitsISE_E10value_typeEPNSK_ISF_E10value_typeEPSG_NS1_7vsmem_tEENKUlT_SE_SF_SG_E_clIS8_S8_S9_S9_EESD_ST_SE_SF_SG_EUlST_E0_NS1_11comp_targetILNS1_3genE5ELNS1_11target_archE942ELNS1_3gpuE9ELNS1_3repE0EEENS1_38merge_mergepath_config_static_selectorELNS0_4arch9wavefront6targetE1EEEvSF_,comdat
.Lfunc_end1956:
	.size	_ZN7rocprim17ROCPRIM_400000_NS6detail17trampoline_kernelINS0_14default_configENS1_38merge_sort_block_merge_config_selectorIiNS0_10empty_typeEEEZZNS1_27merge_sort_block_merge_implIS3_PiPS5_jNS1_19radix_merge_compareILb1ELb0EiNS0_19identity_decomposerEEEEE10hipError_tT0_T1_T2_jT3_P12ihipStream_tbPNSt15iterator_traitsISE_E10value_typeEPNSK_ISF_E10value_typeEPSG_NS1_7vsmem_tEENKUlT_SE_SF_SG_E_clIS8_S8_S9_S9_EESD_ST_SE_SF_SG_EUlST_E0_NS1_11comp_targetILNS1_3genE5ELNS1_11target_archE942ELNS1_3gpuE9ELNS1_3repE0EEENS1_38merge_mergepath_config_static_selectorELNS0_4arch9wavefront6targetE1EEEvSF_, .Lfunc_end1956-_ZN7rocprim17ROCPRIM_400000_NS6detail17trampoline_kernelINS0_14default_configENS1_38merge_sort_block_merge_config_selectorIiNS0_10empty_typeEEEZZNS1_27merge_sort_block_merge_implIS3_PiPS5_jNS1_19radix_merge_compareILb1ELb0EiNS0_19identity_decomposerEEEEE10hipError_tT0_T1_T2_jT3_P12ihipStream_tbPNSt15iterator_traitsISE_E10value_typeEPNSK_ISF_E10value_typeEPSG_NS1_7vsmem_tEENKUlT_SE_SF_SG_E_clIS8_S8_S9_S9_EESD_ST_SE_SF_SG_EUlST_E0_NS1_11comp_targetILNS1_3genE5ELNS1_11target_archE942ELNS1_3gpuE9ELNS1_3repE0EEENS1_38merge_mergepath_config_static_selectorELNS0_4arch9wavefront6targetE1EEEvSF_
                                        ; -- End function
	.section	.AMDGPU.csdata,"",@progbits
; Kernel info:
; codeLenInByte = 0
; NumSgprs: 4
; NumVgprs: 0
; NumAgprs: 0
; TotalNumVgprs: 0
; ScratchSize: 0
; MemoryBound: 0
; FloatMode: 240
; IeeeMode: 1
; LDSByteSize: 0 bytes/workgroup (compile time only)
; SGPRBlocks: 0
; VGPRBlocks: 0
; NumSGPRsForWavesPerEU: 4
; NumVGPRsForWavesPerEU: 1
; AccumOffset: 4
; Occupancy: 8
; WaveLimiterHint : 0
; COMPUTE_PGM_RSRC2:SCRATCH_EN: 0
; COMPUTE_PGM_RSRC2:USER_SGPR: 6
; COMPUTE_PGM_RSRC2:TRAP_HANDLER: 0
; COMPUTE_PGM_RSRC2:TGID_X_EN: 1
; COMPUTE_PGM_RSRC2:TGID_Y_EN: 0
; COMPUTE_PGM_RSRC2:TGID_Z_EN: 0
; COMPUTE_PGM_RSRC2:TIDIG_COMP_CNT: 0
; COMPUTE_PGM_RSRC3_GFX90A:ACCUM_OFFSET: 0
; COMPUTE_PGM_RSRC3_GFX90A:TG_SPLIT: 0
	.section	.text._ZN7rocprim17ROCPRIM_400000_NS6detail17trampoline_kernelINS0_14default_configENS1_38merge_sort_block_merge_config_selectorIiNS0_10empty_typeEEEZZNS1_27merge_sort_block_merge_implIS3_PiPS5_jNS1_19radix_merge_compareILb1ELb0EiNS0_19identity_decomposerEEEEE10hipError_tT0_T1_T2_jT3_P12ihipStream_tbPNSt15iterator_traitsISE_E10value_typeEPNSK_ISF_E10value_typeEPSG_NS1_7vsmem_tEENKUlT_SE_SF_SG_E_clIS8_S8_S9_S9_EESD_ST_SE_SF_SG_EUlST_E0_NS1_11comp_targetILNS1_3genE4ELNS1_11target_archE910ELNS1_3gpuE8ELNS1_3repE0EEENS1_38merge_mergepath_config_static_selectorELNS0_4arch9wavefront6targetE1EEEvSF_,"axG",@progbits,_ZN7rocprim17ROCPRIM_400000_NS6detail17trampoline_kernelINS0_14default_configENS1_38merge_sort_block_merge_config_selectorIiNS0_10empty_typeEEEZZNS1_27merge_sort_block_merge_implIS3_PiPS5_jNS1_19radix_merge_compareILb1ELb0EiNS0_19identity_decomposerEEEEE10hipError_tT0_T1_T2_jT3_P12ihipStream_tbPNSt15iterator_traitsISE_E10value_typeEPNSK_ISF_E10value_typeEPSG_NS1_7vsmem_tEENKUlT_SE_SF_SG_E_clIS8_S8_S9_S9_EESD_ST_SE_SF_SG_EUlST_E0_NS1_11comp_targetILNS1_3genE4ELNS1_11target_archE910ELNS1_3gpuE8ELNS1_3repE0EEENS1_38merge_mergepath_config_static_selectorELNS0_4arch9wavefront6targetE1EEEvSF_,comdat
	.protected	_ZN7rocprim17ROCPRIM_400000_NS6detail17trampoline_kernelINS0_14default_configENS1_38merge_sort_block_merge_config_selectorIiNS0_10empty_typeEEEZZNS1_27merge_sort_block_merge_implIS3_PiPS5_jNS1_19radix_merge_compareILb1ELb0EiNS0_19identity_decomposerEEEEE10hipError_tT0_T1_T2_jT3_P12ihipStream_tbPNSt15iterator_traitsISE_E10value_typeEPNSK_ISF_E10value_typeEPSG_NS1_7vsmem_tEENKUlT_SE_SF_SG_E_clIS8_S8_S9_S9_EESD_ST_SE_SF_SG_EUlST_E0_NS1_11comp_targetILNS1_3genE4ELNS1_11target_archE910ELNS1_3gpuE8ELNS1_3repE0EEENS1_38merge_mergepath_config_static_selectorELNS0_4arch9wavefront6targetE1EEEvSF_ ; -- Begin function _ZN7rocprim17ROCPRIM_400000_NS6detail17trampoline_kernelINS0_14default_configENS1_38merge_sort_block_merge_config_selectorIiNS0_10empty_typeEEEZZNS1_27merge_sort_block_merge_implIS3_PiPS5_jNS1_19radix_merge_compareILb1ELb0EiNS0_19identity_decomposerEEEEE10hipError_tT0_T1_T2_jT3_P12ihipStream_tbPNSt15iterator_traitsISE_E10value_typeEPNSK_ISF_E10value_typeEPSG_NS1_7vsmem_tEENKUlT_SE_SF_SG_E_clIS8_S8_S9_S9_EESD_ST_SE_SF_SG_EUlST_E0_NS1_11comp_targetILNS1_3genE4ELNS1_11target_archE910ELNS1_3gpuE8ELNS1_3repE0EEENS1_38merge_mergepath_config_static_selectorELNS0_4arch9wavefront6targetE1EEEvSF_
	.globl	_ZN7rocprim17ROCPRIM_400000_NS6detail17trampoline_kernelINS0_14default_configENS1_38merge_sort_block_merge_config_selectorIiNS0_10empty_typeEEEZZNS1_27merge_sort_block_merge_implIS3_PiPS5_jNS1_19radix_merge_compareILb1ELb0EiNS0_19identity_decomposerEEEEE10hipError_tT0_T1_T2_jT3_P12ihipStream_tbPNSt15iterator_traitsISE_E10value_typeEPNSK_ISF_E10value_typeEPSG_NS1_7vsmem_tEENKUlT_SE_SF_SG_E_clIS8_S8_S9_S9_EESD_ST_SE_SF_SG_EUlST_E0_NS1_11comp_targetILNS1_3genE4ELNS1_11target_archE910ELNS1_3gpuE8ELNS1_3repE0EEENS1_38merge_mergepath_config_static_selectorELNS0_4arch9wavefront6targetE1EEEvSF_
	.p2align	8
	.type	_ZN7rocprim17ROCPRIM_400000_NS6detail17trampoline_kernelINS0_14default_configENS1_38merge_sort_block_merge_config_selectorIiNS0_10empty_typeEEEZZNS1_27merge_sort_block_merge_implIS3_PiPS5_jNS1_19radix_merge_compareILb1ELb0EiNS0_19identity_decomposerEEEEE10hipError_tT0_T1_T2_jT3_P12ihipStream_tbPNSt15iterator_traitsISE_E10value_typeEPNSK_ISF_E10value_typeEPSG_NS1_7vsmem_tEENKUlT_SE_SF_SG_E_clIS8_S8_S9_S9_EESD_ST_SE_SF_SG_EUlST_E0_NS1_11comp_targetILNS1_3genE4ELNS1_11target_archE910ELNS1_3gpuE8ELNS1_3repE0EEENS1_38merge_mergepath_config_static_selectorELNS0_4arch9wavefront6targetE1EEEvSF_,@function
_ZN7rocprim17ROCPRIM_400000_NS6detail17trampoline_kernelINS0_14default_configENS1_38merge_sort_block_merge_config_selectorIiNS0_10empty_typeEEEZZNS1_27merge_sort_block_merge_implIS3_PiPS5_jNS1_19radix_merge_compareILb1ELb0EiNS0_19identity_decomposerEEEEE10hipError_tT0_T1_T2_jT3_P12ihipStream_tbPNSt15iterator_traitsISE_E10value_typeEPNSK_ISF_E10value_typeEPSG_NS1_7vsmem_tEENKUlT_SE_SF_SG_E_clIS8_S8_S9_S9_EESD_ST_SE_SF_SG_EUlST_E0_NS1_11comp_targetILNS1_3genE4ELNS1_11target_archE910ELNS1_3gpuE8ELNS1_3repE0EEENS1_38merge_mergepath_config_static_selectorELNS0_4arch9wavefront6targetE1EEEvSF_: ; @_ZN7rocprim17ROCPRIM_400000_NS6detail17trampoline_kernelINS0_14default_configENS1_38merge_sort_block_merge_config_selectorIiNS0_10empty_typeEEEZZNS1_27merge_sort_block_merge_implIS3_PiPS5_jNS1_19radix_merge_compareILb1ELb0EiNS0_19identity_decomposerEEEEE10hipError_tT0_T1_T2_jT3_P12ihipStream_tbPNSt15iterator_traitsISE_E10value_typeEPNSK_ISF_E10value_typeEPSG_NS1_7vsmem_tEENKUlT_SE_SF_SG_E_clIS8_S8_S9_S9_EESD_ST_SE_SF_SG_EUlST_E0_NS1_11comp_targetILNS1_3genE4ELNS1_11target_archE910ELNS1_3gpuE8ELNS1_3repE0EEENS1_38merge_mergepath_config_static_selectorELNS0_4arch9wavefront6targetE1EEEvSF_
; %bb.0:
	s_load_dwordx2 s[10:11], s[4:5], 0x40
	s_load_dword s3, s[4:5], 0x30
	s_add_u32 s0, s4, 64
	s_addc_u32 s1, s5, 0
	s_waitcnt lgkmcnt(0)
	s_mul_i32 s2, s11, s8
	s_add_i32 s2, s2, s7
	s_mul_i32 s2, s2, s10
	s_add_i32 s2, s2, s6
	s_cmp_ge_u32 s2, s3
	s_cbranch_scc1 .LBB1957_43
; %bb.1:
	s_load_dwordx2 s[14:15], s[4:5], 0x28
	s_load_dwordx2 s[8:9], s[4:5], 0x38
	;; [unrolled: 1-line block ×3, first 2 shown]
	s_mov_b32 s3, 0
	s_mov_b32 s23, s3
	s_waitcnt lgkmcnt(0)
	s_lshr_b32 s17, s14, 10
	s_cmp_lg_u32 s2, s17
	s_cselect_b64 s[18:19], -1, 0
	s_lshl_b64 s[12:13], s[2:3], 2
	s_add_u32 s8, s8, s12
	s_addc_u32 s9, s9, s13
	s_lshr_b32 s7, s15, 9
	s_and_b32 s7, s7, 0x7ffffe
	s_load_dwordx2 s[8:9], s[8:9], 0x0
	s_sub_i32 s7, 0, s7
	s_and_b32 s11, s2, s7
	s_lshl_b32 s12, s11, 10
	s_lshl_b32 s16, s2, 10
	;; [unrolled: 1-line block ×3, first 2 shown]
	s_sub_i32 s13, s16, s12
	s_add_i32 s11, s11, s15
	s_add_i32 s13, s11, s13
	s_waitcnt lgkmcnt(0)
	s_sub_i32 s22, s13, s8
	s_sub_i32 s13, s13, s9
	;; [unrolled: 1-line block ×3, first 2 shown]
	s_min_u32 s22, s14, s22
	s_addk_i32 s13, 0x400
	s_or_b32 s7, s2, s7
	s_min_u32 s12, s14, s11
	s_add_i32 s11, s11, s15
	s_cmp_eq_u32 s7, -1
	s_cselect_b32 s7, s11, s13
	s_cselect_b32 s9, s12, s9
	s_min_u32 s7, s7, s14
	s_sub_i32 s15, s9, s8
	s_mov_b32 s9, s3
	s_sub_i32 s7, s7, s22
	s_lshl_b64 s[8:9], s[8:9], 2
	s_add_u32 s11, s20, s8
	s_addc_u32 s12, s21, s9
	s_lshl_b64 s[8:9], s[22:23], 2
	s_add_u32 s8, s20, s8
	s_addc_u32 s9, s21, s9
	s_cmp_lt_u32 s6, s10
	v_mov_b32_e32 v15, 0
	s_cselect_b32 s3, 12, 18
	global_load_dword v1, v15, s[0:1] offset:14
	s_add_u32 s0, s0, s3
	s_addc_u32 s1, s1, 0
	global_load_ushort v2, v15, s[0:1]
	s_cmp_eq_u32 s2, s17
	s_waitcnt vmcnt(1)
	v_lshrrev_b32_e32 v3, 16, v1
	v_and_b32_e32 v1, 0xffff, v1
	v_mul_lo_u32 v1, v1, v3
	s_waitcnt vmcnt(0)
	v_mul_lo_u32 v16, v1, v2
	v_add_u32_e32 v12, v16, v0
	v_lshlrev_b32_e32 v1, 2, v0
	v_add_u32_e32 v10, v12, v16
	s_cbranch_scc1 .LBB1957_3
; %bb.2:
	v_mov_b32_e32 v2, s12
	v_add_co_u32_e32 v4, vcc, s11, v1
	v_subrev_u32_e32 v14, s15, v0
	v_addc_co_u32_e32 v5, vcc, 0, v2, vcc
	v_lshlrev_b64 v[2:3], 2, v[14:15]
	v_mov_b32_e32 v6, s9
	v_add_co_u32_e32 v2, vcc, s8, v2
	v_addc_co_u32_e32 v3, vcc, v6, v3, vcc
	v_cmp_gt_u32_e32 vcc, s15, v0
	v_mov_b32_e32 v13, v15
	v_cndmask_b32_e32 v3, v3, v5, vcc
	v_cndmask_b32_e32 v2, v2, v4, vcc
	v_lshlrev_b64 v[4:5], 2, v[12:13]
	global_load_dword v2, v[2:3], off
	v_mov_b32_e32 v3, s12
	v_add_co_u32_e32 v6, vcc, s11, v4
	v_subrev_u32_e32 v14, s15, v12
	v_addc_co_u32_e32 v3, vcc, v3, v5, vcc
	v_lshlrev_b64 v[4:5], 2, v[14:15]
	v_mov_b32_e32 v7, s9
	v_add_co_u32_e32 v4, vcc, s8, v4
	v_addc_co_u32_e32 v5, vcc, v7, v5, vcc
	v_cmp_gt_u32_e32 vcc, s15, v12
	v_cndmask_b32_e32 v5, v5, v3, vcc
	v_cndmask_b32_e32 v4, v4, v6, vcc
	v_mov_b32_e32 v11, v15
	global_load_dword v3, v[4:5], off
	v_lshlrev_b64 v[4:5], 2, v[10:11]
	v_mov_b32_e32 v6, s12
	v_add_co_u32_e32 v7, vcc, s11, v4
	v_subrev_u32_e32 v14, s15, v10
	v_addc_co_u32_e32 v6, vcc, v6, v5, vcc
	v_lshlrev_b64 v[4:5], 2, v[14:15]
	v_mov_b32_e32 v8, s9
	v_add_co_u32_e32 v4, vcc, s8, v4
	v_addc_co_u32_e32 v5, vcc, v8, v5, vcc
	v_cmp_gt_u32_e32 vcc, s15, v10
	v_add_u32_e32 v14, v10, v16
	v_cndmask_b32_e32 v5, v5, v6, vcc
	v_cndmask_b32_e32 v4, v4, v7, vcc
	v_lshlrev_b64 v[6:7], 2, v[14:15]
	global_load_dword v4, v[4:5], off
	v_mov_b32_e32 v5, s12
	v_add_co_u32_e32 v8, vcc, s11, v6
	v_addc_co_u32_e32 v5, vcc, v5, v7, vcc
	v_subrev_u32_e32 v6, s15, v14
	v_mov_b32_e32 v7, v15
	v_lshlrev_b64 v[6:7], 2, v[6:7]
	v_mov_b32_e32 v9, s9
	v_add_co_u32_e32 v6, vcc, s8, v6
	v_addc_co_u32_e32 v7, vcc, v9, v7, vcc
	v_cmp_gt_u32_e32 vcc, s15, v14
	v_cndmask_b32_e32 v7, v7, v5, vcc
	v_cndmask_b32_e32 v6, v6, v8, vcc
	v_add_u32_e32 v14, v14, v16
	global_load_dword v5, v[6:7], off
	v_lshlrev_b64 v[6:7], 2, v[14:15]
	v_mov_b32_e32 v8, s12
	v_add_co_u32_e32 v9, vcc, s11, v6
	v_addc_co_u32_e32 v8, vcc, v8, v7, vcc
	v_subrev_u32_e32 v6, s15, v14
	v_mov_b32_e32 v7, v15
	v_lshlrev_b64 v[6:7], 2, v[6:7]
	v_mov_b32_e32 v11, s9
	v_add_co_u32_e32 v6, vcc, s8, v6
	v_addc_co_u32_e32 v7, vcc, v11, v7, vcc
	v_cmp_gt_u32_e32 vcc, s15, v14
	v_add_u32_e32 v14, v14, v16
	v_cndmask_b32_e32 v7, v7, v8, vcc
	v_cndmask_b32_e32 v6, v6, v9, vcc
	v_lshlrev_b64 v[8:9], 2, v[14:15]
	global_load_dword v6, v[6:7], off
	v_mov_b32_e32 v7, s12
	v_add_co_u32_e32 v11, vcc, s11, v8
	v_addc_co_u32_e32 v7, vcc, v7, v9, vcc
	v_subrev_u32_e32 v8, s15, v14
	v_mov_b32_e32 v9, v15
	v_lshlrev_b64 v[8:9], 2, v[8:9]
	v_mov_b32_e32 v13, s9
	v_add_co_u32_e32 v8, vcc, s8, v8
	v_addc_co_u32_e32 v9, vcc, v13, v9, vcc
	v_cmp_gt_u32_e32 vcc, s15, v14
	v_cndmask_b32_e32 v9, v9, v7, vcc
	v_cndmask_b32_e32 v8, v8, v11, vcc
	v_add_u32_e32 v14, v14, v16
	global_load_dword v7, v[8:9], off
	v_lshlrev_b64 v[8:9], 2, v[14:15]
	v_mov_b32_e32 v11, s12
	v_add_co_u32_e32 v13, vcc, s11, v8
	v_addc_co_u32_e32 v11, vcc, v11, v9, vcc
	v_subrev_u32_e32 v8, s15, v14
	v_mov_b32_e32 v9, v15
	v_lshlrev_b64 v[8:9], 2, v[8:9]
	v_mov_b32_e32 v17, s9
	v_add_co_u32_e32 v8, vcc, s8, v8
	v_addc_co_u32_e32 v9, vcc, v17, v9, vcc
	v_cmp_gt_u32_e32 vcc, s15, v14
	v_add_u32_e32 v14, v14, v16
	v_cndmask_b32_e32 v9, v9, v11, vcc
	v_cndmask_b32_e32 v8, v8, v13, vcc
	v_lshlrev_b64 v[18:19], 2, v[14:15]
	global_load_dword v8, v[8:9], off
	v_mov_b32_e32 v9, s12
	v_add_co_u32_e32 v11, vcc, s11, v18
	v_addc_co_u32_e32 v9, vcc, v9, v19, vcc
	v_cmp_gt_u32_e32 vcc, s15, v14
	v_subrev_u32_e32 v14, s15, v14
	v_lshlrev_b64 v[14:15], 2, v[14:15]
	v_mov_b32_e32 v13, s9
	v_add_co_u32_e64 v14, s[0:1], s8, v14
	v_addc_co_u32_e64 v13, s[0:1], v13, v15, s[0:1]
	v_cndmask_b32_e32 v15, v13, v9, vcc
	v_cndmask_b32_e32 v14, v14, v11, vcc
	global_load_dword v9, v[14:15], off
	s_add_i32 s17, s7, s15
	s_load_dwordx2 s[20:21], s[4:5], 0x10
	s_cbranch_execz .LBB1957_4
	s_branch .LBB1957_19
.LBB1957_3:
                                        ; implicit-def: $vgpr2_vgpr3_vgpr4_vgpr5_vgpr6_vgpr7_vgpr8_vgpr9
                                        ; implicit-def: $sgpr17
	s_load_dwordx2 s[20:21], s[4:5], 0x10
.LBB1957_4:
	s_add_i32 s17, s7, s15
	v_cmp_gt_u32_e32 vcc, s17, v0
                                        ; implicit-def: $vgpr2_vgpr3_vgpr4_vgpr5_vgpr6_vgpr7_vgpr8_vgpr9
	s_and_saveexec_b64 s[0:1], vcc
	s_cbranch_execnz .LBB1957_44
; %bb.5:
	s_or_b64 exec, exec, s[0:1]
	v_cmp_gt_u32_e32 vcc, s17, v12
	s_and_saveexec_b64 s[2:3], vcc
	s_cbranch_execnz .LBB1957_45
.LBB1957_6:
	s_or_b64 exec, exec, s[2:3]
	v_cmp_gt_u32_e32 vcc, s17, v10
	s_and_saveexec_b64 s[0:1], vcc
	s_cbranch_execz .LBB1957_8
.LBB1957_7:
	v_mov_b32_e32 v11, 0
	v_lshlrev_b64 v[12:13], 2, v[10:11]
	s_waitcnt vmcnt(5)
	v_mov_b32_e32 v4, s12
	v_add_co_u32_e32 v14, vcc, s11, v12
	v_addc_co_u32_e32 v4, vcc, v4, v13, vcc
	v_subrev_u32_e32 v12, s15, v10
	v_mov_b32_e32 v13, v11
	v_lshlrev_b64 v[12:13], 2, v[12:13]
	v_mov_b32_e32 v11, s9
	v_add_co_u32_e32 v12, vcc, s8, v12
	v_addc_co_u32_e32 v11, vcc, v11, v13, vcc
	v_cmp_gt_u32_e32 vcc, s15, v10
	v_cndmask_b32_e32 v13, v11, v4, vcc
	v_cndmask_b32_e32 v12, v12, v14, vcc
	global_load_dword v4, v[12:13], off
.LBB1957_8:
	s_or_b64 exec, exec, s[0:1]
	v_add_u32_e32 v10, v10, v16
	v_cmp_gt_u32_e32 vcc, s17, v10
	s_and_saveexec_b64 s[0:1], vcc
	s_cbranch_execz .LBB1957_10
; %bb.9:
	v_mov_b32_e32 v11, 0
	v_lshlrev_b64 v[12:13], 2, v[10:11]
	s_waitcnt vmcnt(4)
	v_mov_b32_e32 v5, s12
	v_add_co_u32_e32 v14, vcc, s11, v12
	v_addc_co_u32_e32 v5, vcc, v5, v13, vcc
	v_subrev_u32_e32 v12, s15, v10
	v_mov_b32_e32 v13, v11
	v_lshlrev_b64 v[12:13], 2, v[12:13]
	v_mov_b32_e32 v11, s9
	v_add_co_u32_e32 v12, vcc, s8, v12
	v_addc_co_u32_e32 v11, vcc, v11, v13, vcc
	v_cmp_gt_u32_e32 vcc, s15, v10
	v_cndmask_b32_e32 v13, v11, v5, vcc
	v_cndmask_b32_e32 v12, v12, v14, vcc
	global_load_dword v5, v[12:13], off
.LBB1957_10:
	s_or_b64 exec, exec, s[0:1]
	v_add_u32_e32 v10, v10, v16
	v_cmp_gt_u32_e32 vcc, s17, v10
	s_and_saveexec_b64 s[0:1], vcc
	s_cbranch_execz .LBB1957_12
; %bb.11:
	v_mov_b32_e32 v11, 0
	v_lshlrev_b64 v[12:13], 2, v[10:11]
	s_waitcnt vmcnt(3)
	v_mov_b32_e32 v6, s12
	v_add_co_u32_e32 v14, vcc, s11, v12
	v_addc_co_u32_e32 v6, vcc, v6, v13, vcc
	v_subrev_u32_e32 v12, s15, v10
	v_mov_b32_e32 v13, v11
	v_lshlrev_b64 v[12:13], 2, v[12:13]
	v_mov_b32_e32 v11, s9
	v_add_co_u32_e32 v12, vcc, s8, v12
	v_addc_co_u32_e32 v11, vcc, v11, v13, vcc
	v_cmp_gt_u32_e32 vcc, s15, v10
	v_cndmask_b32_e32 v13, v11, v6, vcc
	v_cndmask_b32_e32 v12, v12, v14, vcc
	global_load_dword v6, v[12:13], off
.LBB1957_12:
	;; [unrolled: 23-line block ×4, first 2 shown]
	s_or_b64 exec, exec, s[0:1]
	v_add_u32_e32 v10, v10, v16
	v_cmp_gt_u32_e32 vcc, s17, v10
	s_and_saveexec_b64 s[2:3], vcc
	s_cbranch_execz .LBB1957_18
; %bb.17:
	v_mov_b32_e32 v11, 0
	v_lshlrev_b64 v[12:13], 2, v[10:11]
	s_waitcnt vmcnt(0)
	v_mov_b32_e32 v9, s12
	v_add_co_u32_e32 v12, vcc, s11, v12
	v_addc_co_u32_e32 v9, vcc, v9, v13, vcc
	v_cmp_gt_u32_e32 vcc, s15, v10
	v_subrev_u32_e32 v10, s15, v10
	v_lshlrev_b64 v[10:11], 2, v[10:11]
	v_mov_b32_e32 v13, s9
	v_add_co_u32_e64 v10, s[0:1], s8, v10
	v_addc_co_u32_e64 v11, s[0:1], v13, v11, s[0:1]
	v_cndmask_b32_e32 v11, v11, v9, vcc
	v_cndmask_b32_e32 v10, v10, v12, vcc
	global_load_dword v9, v[10:11], off
.LBB1957_18:
	s_or_b64 exec, exec, s[2:3]
.LBB1957_19:
	v_lshlrev_b32_e32 v10, 3, v0
	v_min_u32_e32 v12, s17, v10
	v_sub_u32_e64 v11, v12, s7 clamp
	v_min_u32_e32 v13, s15, v12
	v_cmp_lt_u32_e32 vcc, v11, v13
	s_waitcnt vmcnt(0)
	ds_write2st64_b32 v1, v2, v3 offset1:2
	ds_write2st64_b32 v1, v4, v5 offset0:4 offset1:6
	ds_write2st64_b32 v1, v6, v7 offset0:8 offset1:10
	;; [unrolled: 1-line block ×3, first 2 shown]
	s_waitcnt lgkmcnt(0)
	s_barrier
	s_and_saveexec_b64 s[0:1], vcc
	s_cbranch_execz .LBB1957_23
; %bb.20:
	v_lshlrev_b32_e32 v14, 2, v12
	v_lshl_add_u32 v14, s15, 2, v14
	s_mov_b64 s[2:3], 0
.LBB1957_21:                            ; =>This Inner Loop Header: Depth=1
	v_add_u32_e32 v15, v13, v11
	v_lshrrev_b32_e32 v15, 1, v15
	v_not_b32_e32 v16, v15
	v_lshlrev_b32_e32 v17, 2, v15
	v_lshl_add_u32 v16, v16, 2, v14
	ds_read_b32 v17, v17
	ds_read_b32 v16, v16
	v_add_u32_e32 v18, 1, v15
	s_waitcnt lgkmcnt(0)
	v_cmp_gt_i32_e32 vcc, v16, v17
	v_cndmask_b32_e32 v13, v13, v15, vcc
	v_cndmask_b32_e32 v11, v18, v11, vcc
	v_cmp_ge_u32_e32 vcc, v11, v13
	s_or_b64 s[2:3], vcc, s[2:3]
	s_andn2_b64 exec, exec, s[2:3]
	s_cbranch_execnz .LBB1957_21
; %bb.22:
	s_or_b64 exec, exec, s[2:3]
.LBB1957_23:
	s_or_b64 exec, exec, s[0:1]
	v_sub_u32_e32 v12, v12, v11
	v_add_u32_e32 v12, s15, v12
	v_cmp_ge_u32_e32 vcc, s15, v11
	v_cmp_ge_u32_e64 s[0:1], s17, v12
	s_or_b64 s[0:1], vcc, s[0:1]
	s_and_saveexec_b64 s[22:23], s[0:1]
	s_cbranch_execz .LBB1957_29
; %bb.24:
	v_cmp_gt_u32_e32 vcc, s15, v11
                                        ; implicit-def: $vgpr2
	s_and_saveexec_b64 s[0:1], vcc
	s_cbranch_execz .LBB1957_26
; %bb.25:
	v_lshlrev_b32_e32 v2, 2, v11
	ds_read_b32 v2, v2
.LBB1957_26:
	s_or_b64 exec, exec, s[0:1]
	v_cmp_le_u32_e64 s[0:1], s17, v12
	v_cmp_gt_u32_e64 s[2:3], s17, v12
                                        ; implicit-def: $vgpr3
	s_and_saveexec_b64 s[4:5], s[2:3]
	s_cbranch_execz .LBB1957_28
; %bb.27:
	v_lshlrev_b32_e32 v3, 2, v12
	ds_read_b32 v3, v3
.LBB1957_28:
	s_or_b64 exec, exec, s[4:5]
	s_waitcnt lgkmcnt(0)
	v_cmp_le_i32_e64 s[2:3], v3, v2
	s_and_b64 s[2:3], vcc, s[2:3]
	s_or_b64 vcc, s[0:1], s[2:3]
	v_mov_b32_e32 v5, s17
	v_mov_b32_e32 v6, s15
	v_cndmask_b32_e32 v4, v12, v11, vcc
	v_cndmask_b32_e32 v7, v5, v6, vcc
	v_add_u32_e32 v4, 1, v4
	v_add_u32_e32 v7, -1, v7
	v_min_u32_e32 v7, v4, v7
	v_lshlrev_b32_e32 v7, 2, v7
	ds_read_b32 v7, v7
	v_cndmask_b32_e32 v9, v4, v12, vcc
	v_cndmask_b32_e32 v4, v11, v4, vcc
	v_cmp_gt_u32_e64 s[2:3], s15, v4
	v_cmp_le_u32_e64 s[0:1], s17, v9
	s_waitcnt lgkmcnt(0)
	v_cndmask_b32_e32 v8, v7, v3, vcc
	v_cndmask_b32_e32 v7, v2, v7, vcc
	v_cmp_le_i32_e64 s[4:5], v8, v7
	s_and_b64 s[2:3], s[2:3], s[4:5]
	s_or_b64 s[0:1], s[0:1], s[2:3]
	v_cndmask_b32_e64 v11, v9, v4, s[0:1]
	v_cndmask_b32_e64 v12, v5, v6, s[0:1]
	v_add_u32_e32 v11, 1, v11
	v_add_u32_e32 v12, -1, v12
	v_min_u32_e32 v12, v11, v12
	v_lshlrev_b32_e32 v12, 2, v12
	ds_read_b32 v12, v12
	v_cndmask_b32_e64 v4, v4, v11, s[0:1]
	v_cndmask_b32_e64 v9, v11, v9, s[0:1]
	v_cmp_gt_u32_e64 s[4:5], s15, v4
	v_cmp_le_u32_e64 s[2:3], s17, v9
	s_waitcnt lgkmcnt(0)
	v_cndmask_b32_e64 v13, v12, v8, s[0:1]
	v_cndmask_b32_e64 v12, v7, v12, s[0:1]
	v_cmp_le_i32_e64 s[6:7], v13, v12
	s_and_b64 s[4:5], s[4:5], s[6:7]
	s_or_b64 s[2:3], s[2:3], s[4:5]
	v_cndmask_b32_e64 v11, v9, v4, s[2:3]
	v_cndmask_b32_e64 v14, v5, v6, s[2:3]
	v_add_u32_e32 v11, 1, v11
	v_add_u32_e32 v14, -1, v14
	v_min_u32_e32 v14, v11, v14
	v_lshlrev_b32_e32 v14, 2, v14
	ds_read_b32 v14, v14
	v_cndmask_b32_e64 v4, v4, v11, s[2:3]
	v_cndmask_b32_e64 v9, v11, v9, s[2:3]
	v_cmp_gt_u32_e64 s[6:7], s15, v4
	v_cmp_le_u32_e64 s[4:5], s17, v9
	s_waitcnt lgkmcnt(0)
	v_cndmask_b32_e64 v15, v14, v13, s[2:3]
	v_cndmask_b32_e64 v14, v12, v14, s[2:3]
	;; [unrolled: 17-line block ×4, first 2 shown]
	v_cmp_le_i32_e64 s[12:13], v19, v18
	s_and_b64 s[10:11], s[10:11], s[12:13]
	s_or_b64 s[8:9], s[8:9], s[10:11]
	v_cndmask_b32_e64 v4, v9, v11, s[8:9]
	v_cndmask_b32_e64 v20, v5, v6, s[8:9]
	v_add_u32_e32 v21, 1, v4
	v_add_u32_e32 v4, -1, v20
	v_min_u32_e32 v4, v21, v4
	v_lshlrev_b32_e32 v4, 2, v4
	ds_read_b32 v20, v4
	v_cndmask_b32_e64 v4, v13, v12, s[2:3]
	v_cndmask_b32_e64 v11, v11, v21, s[8:9]
	v_cndmask_b32_e32 v2, v3, v2, vcc
	v_cndmask_b32_e64 v3, v8, v7, s[0:1]
	s_waitcnt lgkmcnt(0)
	v_cndmask_b32_e64 v12, v20, v19, s[8:9]
	v_cndmask_b32_e64 v13, v18, v20, s[8:9]
	;; [unrolled: 1-line block ×3, first 2 shown]
	v_cmp_gt_u32_e64 s[0:1], s15, v11
	v_cmp_le_i32_e64 s[2:3], v12, v13
	v_cmp_le_u32_e32 vcc, s17, v9
	s_and_b64 s[0:1], s[0:1], s[2:3]
	s_or_b64 vcc, vcc, s[0:1]
	v_cndmask_b32_e32 v7, v9, v11, vcc
	v_cndmask_b32_e32 v5, v5, v6, vcc
	v_add_u32_e32 v20, 1, v7
	v_add_u32_e32 v5, -1, v5
	v_min_u32_e32 v5, v20, v5
	v_lshlrev_b32_e32 v5, 2, v5
	ds_read_b32 v21, v5
	v_cndmask_b32_e32 v8, v12, v13, vcc
	v_cndmask_b32_e32 v11, v11, v20, vcc
	v_cndmask_b32_e32 v9, v20, v9, vcc
	v_cmp_gt_u32_e64 s[0:1], s15, v11
	s_waitcnt lgkmcnt(0)
	v_cndmask_b32_e32 v12, v21, v12, vcc
	v_cndmask_b32_e32 v13, v13, v21, vcc
	v_cmp_le_i32_e64 s[2:3], v12, v13
	v_cmp_le_u32_e32 vcc, s17, v9
	s_and_b64 s[0:1], s[0:1], s[2:3]
	s_or_b64 vcc, vcc, s[0:1]
	v_cndmask_b32_e64 v5, v15, v14, s[4:5]
	v_cndmask_b32_e64 v6, v17, v16, s[6:7]
	;; [unrolled: 1-line block ×3, first 2 shown]
	v_cndmask_b32_e32 v9, v12, v13, vcc
.LBB1957_29:
	s_or_b64 exec, exec, s[22:23]
	v_and_b32_e32 v11, 0x7c, v0
	v_lshl_add_u32 v10, v10, 2, v11
	s_barrier
	s_barrier
	ds_write2_b32 v10, v2, v3 offset1:1
	ds_write2_b32 v10, v4, v5 offset0:2 offset1:3
	ds_write2_b32 v10, v6, v7 offset0:4 offset1:5
	;; [unrolled: 1-line block ×3, first 2 shown]
	v_lshrrev_b32_e32 v2, 3, v0
	v_and_b32_e32 v2, 12, v2
	v_or_b32_e32 v10, 0x80, v0
	v_add_u32_e32 v11, v1, v2
	v_lshrrev_b32_e32 v2, 3, v10
	v_and_b32_e32 v2, 28, v2
	v_or_b32_e32 v9, 0x100, v0
	v_add_u32_e32 v12, v1, v2
	;; [unrolled: 4-line block ×5, first 2 shown]
	v_lshrrev_b32_e32 v2, 3, v6
	v_and_b32_e32 v2, 0x5c, v2
	v_or_b32_e32 v5, 0x300, v0
	s_mov_b32 s17, 0
	v_add_u32_e32 v16, v1, v2
	v_lshrrev_b32_e32 v2, 3, v5
	s_lshl_b64 s[0:1], s[16:17], 2
	v_and_b32_e32 v2, 0x6c, v2
	v_or_b32_e32 v4, 0x380, v0
	s_add_u32 s0, s20, s0
	v_add_u32_e32 v17, v1, v2
	v_lshrrev_b32_e32 v2, 3, v4
	s_addc_u32 s1, s21, s1
	v_and_b32_e32 v2, 0x7c, v2
	v_add_u32_e32 v18, v1, v2
	v_mov_b32_e32 v3, s1
	v_add_co_u32_e32 v2, vcc, s0, v1
	v_addc_co_u32_e32 v3, vcc, 0, v3, vcc
	s_and_b64 vcc, exec, s[18:19]
	s_waitcnt lgkmcnt(0)
	s_cbranch_vccz .LBB1957_31
; %bb.30:
	s_barrier
	ds_read_b32 v19, v11
	ds_read_b32 v20, v12 offset:512
	ds_read_b32 v21, v13 offset:1024
	;; [unrolled: 1-line block ×7, first 2 shown]
	s_waitcnt lgkmcnt(7)
	global_store_dword v[2:3], v19, off
	s_waitcnt lgkmcnt(6)
	global_store_dword v[2:3], v20, off offset:512
	s_waitcnt lgkmcnt(5)
	global_store_dword v[2:3], v21, off offset:1024
	;; [unrolled: 2-line block ×6, first 2 shown]
	s_mov_b64 s[0:1], -1
	s_cbranch_execz .LBB1957_32
	s_branch .LBB1957_41
.LBB1957_31:
	s_mov_b64 s[0:1], 0
                                        ; implicit-def: $vgpr1
.LBB1957_32:
	s_barrier
	s_waitcnt lgkmcnt(0)
	ds_read_b32 v21, v12 offset:512
	ds_read_b32 v20, v13 offset:1024
	;; [unrolled: 1-line block ×7, first 2 shown]
	s_sub_i32 s2, s14, s16
	v_cmp_gt_u32_e32 vcc, s2, v0
	s_and_saveexec_b64 s[0:1], vcc
	s_cbranch_execnz .LBB1957_46
; %bb.33:
	s_or_b64 exec, exec, s[0:1]
	v_cmp_gt_u32_e32 vcc, s2, v10
	s_and_saveexec_b64 s[0:1], vcc
	s_cbranch_execnz .LBB1957_47
.LBB1957_34:
	s_or_b64 exec, exec, s[0:1]
	v_cmp_gt_u32_e32 vcc, s2, v9
	s_and_saveexec_b64 s[0:1], vcc
	s_cbranch_execnz .LBB1957_48
.LBB1957_35:
	s_or_b64 exec, exec, s[0:1]
	v_cmp_gt_u32_e32 vcc, s2, v8
	s_and_saveexec_b64 s[0:1], vcc
	s_cbranch_execnz .LBB1957_49
.LBB1957_36:
	s_or_b64 exec, exec, s[0:1]
	v_cmp_gt_u32_e32 vcc, s2, v7
	s_and_saveexec_b64 s[0:1], vcc
	s_cbranch_execnz .LBB1957_50
.LBB1957_37:
	s_or_b64 exec, exec, s[0:1]
	v_cmp_gt_u32_e32 vcc, s2, v6
	s_and_saveexec_b64 s[0:1], vcc
	s_cbranch_execnz .LBB1957_51
.LBB1957_38:
	s_or_b64 exec, exec, s[0:1]
	v_cmp_gt_u32_e32 vcc, s2, v5
	s_and_saveexec_b64 s[0:1], vcc
	s_cbranch_execz .LBB1957_40
.LBB1957_39:
	s_waitcnt lgkmcnt(1)
	global_store_dword v[2:3], v12, off offset:3072
.LBB1957_40:
	s_or_b64 exec, exec, s[0:1]
	v_cmp_gt_u32_e64 s[0:1], s2, v4
.LBB1957_41:
	s_and_saveexec_b64 s[2:3], s[0:1]
	s_cbranch_execz .LBB1957_43
; %bb.42:
	s_waitcnt lgkmcnt(0)
	global_store_dword v[2:3], v1, off offset:3584
.LBB1957_43:
	s_endpgm
.LBB1957_44:
	s_waitcnt vmcnt(7)
	v_mov_b32_e32 v2, s12
	s_waitcnt vmcnt(5)
	v_add_co_u32_e32 v4, vcc, s11, v1
	v_mov_b32_e32 v3, 0
	s_waitcnt vmcnt(4)
	v_addc_co_u32_e32 v5, vcc, 0, v2, vcc
	v_subrev_u32_e32 v2, s15, v0
	v_lshlrev_b64 v[2:3], 2, v[2:3]
	s_waitcnt vmcnt(3)
	v_mov_b32_e32 v6, s9
	v_add_co_u32_e32 v2, vcc, s8, v2
	v_addc_co_u32_e32 v3, vcc, v6, v3, vcc
	v_cmp_gt_u32_e32 vcc, s15, v0
	v_cndmask_b32_e32 v3, v3, v5, vcc
	v_cndmask_b32_e32 v2, v2, v4, vcc
	global_load_dword v2, v[2:3], off
	s_or_b64 exec, exec, s[0:1]
	v_cmp_gt_u32_e32 vcc, s17, v12
	s_and_saveexec_b64 s[2:3], vcc
	s_cbranch_execz .LBB1957_6
.LBB1957_45:
	v_mov_b32_e32 v13, 0
	v_lshlrev_b64 v[14:15], 2, v[12:13]
	s_waitcnt vmcnt(6)
	v_mov_b32_e32 v3, s12
	v_add_co_u32_e32 v11, vcc, s11, v14
	v_addc_co_u32_e32 v3, vcc, v3, v15, vcc
	v_cmp_gt_u32_e32 vcc, s15, v12
	v_subrev_u32_e32 v12, s15, v12
	v_lshlrev_b64 v[12:13], 2, v[12:13]
	v_mov_b32_e32 v14, s9
	v_add_co_u32_e64 v12, s[0:1], s8, v12
	v_addc_co_u32_e64 v13, s[0:1], v14, v13, s[0:1]
	v_cndmask_b32_e32 v13, v13, v3, vcc
	v_cndmask_b32_e32 v12, v12, v11, vcc
	global_load_dword v3, v[12:13], off
	s_or_b64 exec, exec, s[2:3]
	v_cmp_gt_u32_e32 vcc, s17, v10
	s_and_saveexec_b64 s[0:1], vcc
	s_cbranch_execnz .LBB1957_7
	s_branch .LBB1957_8
.LBB1957_46:
	ds_read_b32 v0, v11
	s_waitcnt lgkmcnt(0)
	global_store_dword v[2:3], v0, off
	s_or_b64 exec, exec, s[0:1]
	v_cmp_gt_u32_e32 vcc, s2, v10
	s_and_saveexec_b64 s[0:1], vcc
	s_cbranch_execz .LBB1957_34
.LBB1957_47:
	s_waitcnt lgkmcnt(6)
	global_store_dword v[2:3], v21, off offset:512
	s_or_b64 exec, exec, s[0:1]
	v_cmp_gt_u32_e32 vcc, s2, v9
	s_and_saveexec_b64 s[0:1], vcc
	s_cbranch_execz .LBB1957_35
.LBB1957_48:
	s_waitcnt lgkmcnt(5)
	global_store_dword v[2:3], v20, off offset:1024
	s_or_b64 exec, exec, s[0:1]
	v_cmp_gt_u32_e32 vcc, s2, v8
	s_and_saveexec_b64 s[0:1], vcc
	s_cbranch_execz .LBB1957_36
.LBB1957_49:
	s_waitcnt lgkmcnt(4)
	global_store_dword v[2:3], v19, off offset:1536
	s_or_b64 exec, exec, s[0:1]
	v_cmp_gt_u32_e32 vcc, s2, v7
	s_and_saveexec_b64 s[0:1], vcc
	s_cbranch_execz .LBB1957_37
.LBB1957_50:
	s_waitcnt lgkmcnt(3)
	global_store_dword v[2:3], v14, off offset:2048
	s_or_b64 exec, exec, s[0:1]
	v_cmp_gt_u32_e32 vcc, s2, v6
	s_and_saveexec_b64 s[0:1], vcc
	s_cbranch_execz .LBB1957_38
.LBB1957_51:
	s_waitcnt lgkmcnt(2)
	global_store_dword v[2:3], v13, off offset:2560
	s_or_b64 exec, exec, s[0:1]
	v_cmp_gt_u32_e32 vcc, s2, v5
	s_and_saveexec_b64 s[0:1], vcc
	s_cbranch_execnz .LBB1957_39
	s_branch .LBB1957_40
	.section	.rodata,"a",@progbits
	.p2align	6, 0x0
	.amdhsa_kernel _ZN7rocprim17ROCPRIM_400000_NS6detail17trampoline_kernelINS0_14default_configENS1_38merge_sort_block_merge_config_selectorIiNS0_10empty_typeEEEZZNS1_27merge_sort_block_merge_implIS3_PiPS5_jNS1_19radix_merge_compareILb1ELb0EiNS0_19identity_decomposerEEEEE10hipError_tT0_T1_T2_jT3_P12ihipStream_tbPNSt15iterator_traitsISE_E10value_typeEPNSK_ISF_E10value_typeEPSG_NS1_7vsmem_tEENKUlT_SE_SF_SG_E_clIS8_S8_S9_S9_EESD_ST_SE_SF_SG_EUlST_E0_NS1_11comp_targetILNS1_3genE4ELNS1_11target_archE910ELNS1_3gpuE8ELNS1_3repE0EEENS1_38merge_mergepath_config_static_selectorELNS0_4arch9wavefront6targetE1EEEvSF_
		.amdhsa_group_segment_fixed_size 4224
		.amdhsa_private_segment_fixed_size 0
		.amdhsa_kernarg_size 320
		.amdhsa_user_sgpr_count 6
		.amdhsa_user_sgpr_private_segment_buffer 1
		.amdhsa_user_sgpr_dispatch_ptr 0
		.amdhsa_user_sgpr_queue_ptr 0
		.amdhsa_user_sgpr_kernarg_segment_ptr 1
		.amdhsa_user_sgpr_dispatch_id 0
		.amdhsa_user_sgpr_flat_scratch_init 0
		.amdhsa_user_sgpr_kernarg_preload_length 0
		.amdhsa_user_sgpr_kernarg_preload_offset 0
		.amdhsa_user_sgpr_private_segment_size 0
		.amdhsa_uses_dynamic_stack 0
		.amdhsa_system_sgpr_private_segment_wavefront_offset 0
		.amdhsa_system_sgpr_workgroup_id_x 1
		.amdhsa_system_sgpr_workgroup_id_y 1
		.amdhsa_system_sgpr_workgroup_id_z 1
		.amdhsa_system_sgpr_workgroup_info 0
		.amdhsa_system_vgpr_workitem_id 0
		.amdhsa_next_free_vgpr 26
		.amdhsa_next_free_sgpr 24
		.amdhsa_accum_offset 28
		.amdhsa_reserve_vcc 1
		.amdhsa_reserve_flat_scratch 0
		.amdhsa_float_round_mode_32 0
		.amdhsa_float_round_mode_16_64 0
		.amdhsa_float_denorm_mode_32 3
		.amdhsa_float_denorm_mode_16_64 3
		.amdhsa_dx10_clamp 1
		.amdhsa_ieee_mode 1
		.amdhsa_fp16_overflow 0
		.amdhsa_tg_split 0
		.amdhsa_exception_fp_ieee_invalid_op 0
		.amdhsa_exception_fp_denorm_src 0
		.amdhsa_exception_fp_ieee_div_zero 0
		.amdhsa_exception_fp_ieee_overflow 0
		.amdhsa_exception_fp_ieee_underflow 0
		.amdhsa_exception_fp_ieee_inexact 0
		.amdhsa_exception_int_div_zero 0
	.end_amdhsa_kernel
	.section	.text._ZN7rocprim17ROCPRIM_400000_NS6detail17trampoline_kernelINS0_14default_configENS1_38merge_sort_block_merge_config_selectorIiNS0_10empty_typeEEEZZNS1_27merge_sort_block_merge_implIS3_PiPS5_jNS1_19radix_merge_compareILb1ELb0EiNS0_19identity_decomposerEEEEE10hipError_tT0_T1_T2_jT3_P12ihipStream_tbPNSt15iterator_traitsISE_E10value_typeEPNSK_ISF_E10value_typeEPSG_NS1_7vsmem_tEENKUlT_SE_SF_SG_E_clIS8_S8_S9_S9_EESD_ST_SE_SF_SG_EUlST_E0_NS1_11comp_targetILNS1_3genE4ELNS1_11target_archE910ELNS1_3gpuE8ELNS1_3repE0EEENS1_38merge_mergepath_config_static_selectorELNS0_4arch9wavefront6targetE1EEEvSF_,"axG",@progbits,_ZN7rocprim17ROCPRIM_400000_NS6detail17trampoline_kernelINS0_14default_configENS1_38merge_sort_block_merge_config_selectorIiNS0_10empty_typeEEEZZNS1_27merge_sort_block_merge_implIS3_PiPS5_jNS1_19radix_merge_compareILb1ELb0EiNS0_19identity_decomposerEEEEE10hipError_tT0_T1_T2_jT3_P12ihipStream_tbPNSt15iterator_traitsISE_E10value_typeEPNSK_ISF_E10value_typeEPSG_NS1_7vsmem_tEENKUlT_SE_SF_SG_E_clIS8_S8_S9_S9_EESD_ST_SE_SF_SG_EUlST_E0_NS1_11comp_targetILNS1_3genE4ELNS1_11target_archE910ELNS1_3gpuE8ELNS1_3repE0EEENS1_38merge_mergepath_config_static_selectorELNS0_4arch9wavefront6targetE1EEEvSF_,comdat
.Lfunc_end1957:
	.size	_ZN7rocprim17ROCPRIM_400000_NS6detail17trampoline_kernelINS0_14default_configENS1_38merge_sort_block_merge_config_selectorIiNS0_10empty_typeEEEZZNS1_27merge_sort_block_merge_implIS3_PiPS5_jNS1_19radix_merge_compareILb1ELb0EiNS0_19identity_decomposerEEEEE10hipError_tT0_T1_T2_jT3_P12ihipStream_tbPNSt15iterator_traitsISE_E10value_typeEPNSK_ISF_E10value_typeEPSG_NS1_7vsmem_tEENKUlT_SE_SF_SG_E_clIS8_S8_S9_S9_EESD_ST_SE_SF_SG_EUlST_E0_NS1_11comp_targetILNS1_3genE4ELNS1_11target_archE910ELNS1_3gpuE8ELNS1_3repE0EEENS1_38merge_mergepath_config_static_selectorELNS0_4arch9wavefront6targetE1EEEvSF_, .Lfunc_end1957-_ZN7rocprim17ROCPRIM_400000_NS6detail17trampoline_kernelINS0_14default_configENS1_38merge_sort_block_merge_config_selectorIiNS0_10empty_typeEEEZZNS1_27merge_sort_block_merge_implIS3_PiPS5_jNS1_19radix_merge_compareILb1ELb0EiNS0_19identity_decomposerEEEEE10hipError_tT0_T1_T2_jT3_P12ihipStream_tbPNSt15iterator_traitsISE_E10value_typeEPNSK_ISF_E10value_typeEPSG_NS1_7vsmem_tEENKUlT_SE_SF_SG_E_clIS8_S8_S9_S9_EESD_ST_SE_SF_SG_EUlST_E0_NS1_11comp_targetILNS1_3genE4ELNS1_11target_archE910ELNS1_3gpuE8ELNS1_3repE0EEENS1_38merge_mergepath_config_static_selectorELNS0_4arch9wavefront6targetE1EEEvSF_
                                        ; -- End function
	.section	.AMDGPU.csdata,"",@progbits
; Kernel info:
; codeLenInByte = 3628
; NumSgprs: 28
; NumVgprs: 26
; NumAgprs: 0
; TotalNumVgprs: 26
; ScratchSize: 0
; MemoryBound: 0
; FloatMode: 240
; IeeeMode: 1
; LDSByteSize: 4224 bytes/workgroup (compile time only)
; SGPRBlocks: 3
; VGPRBlocks: 3
; NumSGPRsForWavesPerEU: 28
; NumVGPRsForWavesPerEU: 26
; AccumOffset: 28
; Occupancy: 8
; WaveLimiterHint : 1
; COMPUTE_PGM_RSRC2:SCRATCH_EN: 0
; COMPUTE_PGM_RSRC2:USER_SGPR: 6
; COMPUTE_PGM_RSRC2:TRAP_HANDLER: 0
; COMPUTE_PGM_RSRC2:TGID_X_EN: 1
; COMPUTE_PGM_RSRC2:TGID_Y_EN: 1
; COMPUTE_PGM_RSRC2:TGID_Z_EN: 1
; COMPUTE_PGM_RSRC2:TIDIG_COMP_CNT: 0
; COMPUTE_PGM_RSRC3_GFX90A:ACCUM_OFFSET: 6
; COMPUTE_PGM_RSRC3_GFX90A:TG_SPLIT: 0
	.section	.text._ZN7rocprim17ROCPRIM_400000_NS6detail17trampoline_kernelINS0_14default_configENS1_38merge_sort_block_merge_config_selectorIiNS0_10empty_typeEEEZZNS1_27merge_sort_block_merge_implIS3_PiPS5_jNS1_19radix_merge_compareILb1ELb0EiNS0_19identity_decomposerEEEEE10hipError_tT0_T1_T2_jT3_P12ihipStream_tbPNSt15iterator_traitsISE_E10value_typeEPNSK_ISF_E10value_typeEPSG_NS1_7vsmem_tEENKUlT_SE_SF_SG_E_clIS8_S8_S9_S9_EESD_ST_SE_SF_SG_EUlST_E0_NS1_11comp_targetILNS1_3genE3ELNS1_11target_archE908ELNS1_3gpuE7ELNS1_3repE0EEENS1_38merge_mergepath_config_static_selectorELNS0_4arch9wavefront6targetE1EEEvSF_,"axG",@progbits,_ZN7rocprim17ROCPRIM_400000_NS6detail17trampoline_kernelINS0_14default_configENS1_38merge_sort_block_merge_config_selectorIiNS0_10empty_typeEEEZZNS1_27merge_sort_block_merge_implIS3_PiPS5_jNS1_19radix_merge_compareILb1ELb0EiNS0_19identity_decomposerEEEEE10hipError_tT0_T1_T2_jT3_P12ihipStream_tbPNSt15iterator_traitsISE_E10value_typeEPNSK_ISF_E10value_typeEPSG_NS1_7vsmem_tEENKUlT_SE_SF_SG_E_clIS8_S8_S9_S9_EESD_ST_SE_SF_SG_EUlST_E0_NS1_11comp_targetILNS1_3genE3ELNS1_11target_archE908ELNS1_3gpuE7ELNS1_3repE0EEENS1_38merge_mergepath_config_static_selectorELNS0_4arch9wavefront6targetE1EEEvSF_,comdat
	.protected	_ZN7rocprim17ROCPRIM_400000_NS6detail17trampoline_kernelINS0_14default_configENS1_38merge_sort_block_merge_config_selectorIiNS0_10empty_typeEEEZZNS1_27merge_sort_block_merge_implIS3_PiPS5_jNS1_19radix_merge_compareILb1ELb0EiNS0_19identity_decomposerEEEEE10hipError_tT0_T1_T2_jT3_P12ihipStream_tbPNSt15iterator_traitsISE_E10value_typeEPNSK_ISF_E10value_typeEPSG_NS1_7vsmem_tEENKUlT_SE_SF_SG_E_clIS8_S8_S9_S9_EESD_ST_SE_SF_SG_EUlST_E0_NS1_11comp_targetILNS1_3genE3ELNS1_11target_archE908ELNS1_3gpuE7ELNS1_3repE0EEENS1_38merge_mergepath_config_static_selectorELNS0_4arch9wavefront6targetE1EEEvSF_ ; -- Begin function _ZN7rocprim17ROCPRIM_400000_NS6detail17trampoline_kernelINS0_14default_configENS1_38merge_sort_block_merge_config_selectorIiNS0_10empty_typeEEEZZNS1_27merge_sort_block_merge_implIS3_PiPS5_jNS1_19radix_merge_compareILb1ELb0EiNS0_19identity_decomposerEEEEE10hipError_tT0_T1_T2_jT3_P12ihipStream_tbPNSt15iterator_traitsISE_E10value_typeEPNSK_ISF_E10value_typeEPSG_NS1_7vsmem_tEENKUlT_SE_SF_SG_E_clIS8_S8_S9_S9_EESD_ST_SE_SF_SG_EUlST_E0_NS1_11comp_targetILNS1_3genE3ELNS1_11target_archE908ELNS1_3gpuE7ELNS1_3repE0EEENS1_38merge_mergepath_config_static_selectorELNS0_4arch9wavefront6targetE1EEEvSF_
	.globl	_ZN7rocprim17ROCPRIM_400000_NS6detail17trampoline_kernelINS0_14default_configENS1_38merge_sort_block_merge_config_selectorIiNS0_10empty_typeEEEZZNS1_27merge_sort_block_merge_implIS3_PiPS5_jNS1_19radix_merge_compareILb1ELb0EiNS0_19identity_decomposerEEEEE10hipError_tT0_T1_T2_jT3_P12ihipStream_tbPNSt15iterator_traitsISE_E10value_typeEPNSK_ISF_E10value_typeEPSG_NS1_7vsmem_tEENKUlT_SE_SF_SG_E_clIS8_S8_S9_S9_EESD_ST_SE_SF_SG_EUlST_E0_NS1_11comp_targetILNS1_3genE3ELNS1_11target_archE908ELNS1_3gpuE7ELNS1_3repE0EEENS1_38merge_mergepath_config_static_selectorELNS0_4arch9wavefront6targetE1EEEvSF_
	.p2align	8
	.type	_ZN7rocprim17ROCPRIM_400000_NS6detail17trampoline_kernelINS0_14default_configENS1_38merge_sort_block_merge_config_selectorIiNS0_10empty_typeEEEZZNS1_27merge_sort_block_merge_implIS3_PiPS5_jNS1_19radix_merge_compareILb1ELb0EiNS0_19identity_decomposerEEEEE10hipError_tT0_T1_T2_jT3_P12ihipStream_tbPNSt15iterator_traitsISE_E10value_typeEPNSK_ISF_E10value_typeEPSG_NS1_7vsmem_tEENKUlT_SE_SF_SG_E_clIS8_S8_S9_S9_EESD_ST_SE_SF_SG_EUlST_E0_NS1_11comp_targetILNS1_3genE3ELNS1_11target_archE908ELNS1_3gpuE7ELNS1_3repE0EEENS1_38merge_mergepath_config_static_selectorELNS0_4arch9wavefront6targetE1EEEvSF_,@function
_ZN7rocprim17ROCPRIM_400000_NS6detail17trampoline_kernelINS0_14default_configENS1_38merge_sort_block_merge_config_selectorIiNS0_10empty_typeEEEZZNS1_27merge_sort_block_merge_implIS3_PiPS5_jNS1_19radix_merge_compareILb1ELb0EiNS0_19identity_decomposerEEEEE10hipError_tT0_T1_T2_jT3_P12ihipStream_tbPNSt15iterator_traitsISE_E10value_typeEPNSK_ISF_E10value_typeEPSG_NS1_7vsmem_tEENKUlT_SE_SF_SG_E_clIS8_S8_S9_S9_EESD_ST_SE_SF_SG_EUlST_E0_NS1_11comp_targetILNS1_3genE3ELNS1_11target_archE908ELNS1_3gpuE7ELNS1_3repE0EEENS1_38merge_mergepath_config_static_selectorELNS0_4arch9wavefront6targetE1EEEvSF_: ; @_ZN7rocprim17ROCPRIM_400000_NS6detail17trampoline_kernelINS0_14default_configENS1_38merge_sort_block_merge_config_selectorIiNS0_10empty_typeEEEZZNS1_27merge_sort_block_merge_implIS3_PiPS5_jNS1_19radix_merge_compareILb1ELb0EiNS0_19identity_decomposerEEEEE10hipError_tT0_T1_T2_jT3_P12ihipStream_tbPNSt15iterator_traitsISE_E10value_typeEPNSK_ISF_E10value_typeEPSG_NS1_7vsmem_tEENKUlT_SE_SF_SG_E_clIS8_S8_S9_S9_EESD_ST_SE_SF_SG_EUlST_E0_NS1_11comp_targetILNS1_3genE3ELNS1_11target_archE908ELNS1_3gpuE7ELNS1_3repE0EEENS1_38merge_mergepath_config_static_selectorELNS0_4arch9wavefront6targetE1EEEvSF_
; %bb.0:
	.section	.rodata,"a",@progbits
	.p2align	6, 0x0
	.amdhsa_kernel _ZN7rocprim17ROCPRIM_400000_NS6detail17trampoline_kernelINS0_14default_configENS1_38merge_sort_block_merge_config_selectorIiNS0_10empty_typeEEEZZNS1_27merge_sort_block_merge_implIS3_PiPS5_jNS1_19radix_merge_compareILb1ELb0EiNS0_19identity_decomposerEEEEE10hipError_tT0_T1_T2_jT3_P12ihipStream_tbPNSt15iterator_traitsISE_E10value_typeEPNSK_ISF_E10value_typeEPSG_NS1_7vsmem_tEENKUlT_SE_SF_SG_E_clIS8_S8_S9_S9_EESD_ST_SE_SF_SG_EUlST_E0_NS1_11comp_targetILNS1_3genE3ELNS1_11target_archE908ELNS1_3gpuE7ELNS1_3repE0EEENS1_38merge_mergepath_config_static_selectorELNS0_4arch9wavefront6targetE1EEEvSF_
		.amdhsa_group_segment_fixed_size 0
		.amdhsa_private_segment_fixed_size 0
		.amdhsa_kernarg_size 64
		.amdhsa_user_sgpr_count 6
		.amdhsa_user_sgpr_private_segment_buffer 1
		.amdhsa_user_sgpr_dispatch_ptr 0
		.amdhsa_user_sgpr_queue_ptr 0
		.amdhsa_user_sgpr_kernarg_segment_ptr 1
		.amdhsa_user_sgpr_dispatch_id 0
		.amdhsa_user_sgpr_flat_scratch_init 0
		.amdhsa_user_sgpr_kernarg_preload_length 0
		.amdhsa_user_sgpr_kernarg_preload_offset 0
		.amdhsa_user_sgpr_private_segment_size 0
		.amdhsa_uses_dynamic_stack 0
		.amdhsa_system_sgpr_private_segment_wavefront_offset 0
		.amdhsa_system_sgpr_workgroup_id_x 1
		.amdhsa_system_sgpr_workgroup_id_y 0
		.amdhsa_system_sgpr_workgroup_id_z 0
		.amdhsa_system_sgpr_workgroup_info 0
		.amdhsa_system_vgpr_workitem_id 0
		.amdhsa_next_free_vgpr 1
		.amdhsa_next_free_sgpr 0
		.amdhsa_accum_offset 4
		.amdhsa_reserve_vcc 0
		.amdhsa_reserve_flat_scratch 0
		.amdhsa_float_round_mode_32 0
		.amdhsa_float_round_mode_16_64 0
		.amdhsa_float_denorm_mode_32 3
		.amdhsa_float_denorm_mode_16_64 3
		.amdhsa_dx10_clamp 1
		.amdhsa_ieee_mode 1
		.amdhsa_fp16_overflow 0
		.amdhsa_tg_split 0
		.amdhsa_exception_fp_ieee_invalid_op 0
		.amdhsa_exception_fp_denorm_src 0
		.amdhsa_exception_fp_ieee_div_zero 0
		.amdhsa_exception_fp_ieee_overflow 0
		.amdhsa_exception_fp_ieee_underflow 0
		.amdhsa_exception_fp_ieee_inexact 0
		.amdhsa_exception_int_div_zero 0
	.end_amdhsa_kernel
	.section	.text._ZN7rocprim17ROCPRIM_400000_NS6detail17trampoline_kernelINS0_14default_configENS1_38merge_sort_block_merge_config_selectorIiNS0_10empty_typeEEEZZNS1_27merge_sort_block_merge_implIS3_PiPS5_jNS1_19radix_merge_compareILb1ELb0EiNS0_19identity_decomposerEEEEE10hipError_tT0_T1_T2_jT3_P12ihipStream_tbPNSt15iterator_traitsISE_E10value_typeEPNSK_ISF_E10value_typeEPSG_NS1_7vsmem_tEENKUlT_SE_SF_SG_E_clIS8_S8_S9_S9_EESD_ST_SE_SF_SG_EUlST_E0_NS1_11comp_targetILNS1_3genE3ELNS1_11target_archE908ELNS1_3gpuE7ELNS1_3repE0EEENS1_38merge_mergepath_config_static_selectorELNS0_4arch9wavefront6targetE1EEEvSF_,"axG",@progbits,_ZN7rocprim17ROCPRIM_400000_NS6detail17trampoline_kernelINS0_14default_configENS1_38merge_sort_block_merge_config_selectorIiNS0_10empty_typeEEEZZNS1_27merge_sort_block_merge_implIS3_PiPS5_jNS1_19radix_merge_compareILb1ELb0EiNS0_19identity_decomposerEEEEE10hipError_tT0_T1_T2_jT3_P12ihipStream_tbPNSt15iterator_traitsISE_E10value_typeEPNSK_ISF_E10value_typeEPSG_NS1_7vsmem_tEENKUlT_SE_SF_SG_E_clIS8_S8_S9_S9_EESD_ST_SE_SF_SG_EUlST_E0_NS1_11comp_targetILNS1_3genE3ELNS1_11target_archE908ELNS1_3gpuE7ELNS1_3repE0EEENS1_38merge_mergepath_config_static_selectorELNS0_4arch9wavefront6targetE1EEEvSF_,comdat
.Lfunc_end1958:
	.size	_ZN7rocprim17ROCPRIM_400000_NS6detail17trampoline_kernelINS0_14default_configENS1_38merge_sort_block_merge_config_selectorIiNS0_10empty_typeEEEZZNS1_27merge_sort_block_merge_implIS3_PiPS5_jNS1_19radix_merge_compareILb1ELb0EiNS0_19identity_decomposerEEEEE10hipError_tT0_T1_T2_jT3_P12ihipStream_tbPNSt15iterator_traitsISE_E10value_typeEPNSK_ISF_E10value_typeEPSG_NS1_7vsmem_tEENKUlT_SE_SF_SG_E_clIS8_S8_S9_S9_EESD_ST_SE_SF_SG_EUlST_E0_NS1_11comp_targetILNS1_3genE3ELNS1_11target_archE908ELNS1_3gpuE7ELNS1_3repE0EEENS1_38merge_mergepath_config_static_selectorELNS0_4arch9wavefront6targetE1EEEvSF_, .Lfunc_end1958-_ZN7rocprim17ROCPRIM_400000_NS6detail17trampoline_kernelINS0_14default_configENS1_38merge_sort_block_merge_config_selectorIiNS0_10empty_typeEEEZZNS1_27merge_sort_block_merge_implIS3_PiPS5_jNS1_19radix_merge_compareILb1ELb0EiNS0_19identity_decomposerEEEEE10hipError_tT0_T1_T2_jT3_P12ihipStream_tbPNSt15iterator_traitsISE_E10value_typeEPNSK_ISF_E10value_typeEPSG_NS1_7vsmem_tEENKUlT_SE_SF_SG_E_clIS8_S8_S9_S9_EESD_ST_SE_SF_SG_EUlST_E0_NS1_11comp_targetILNS1_3genE3ELNS1_11target_archE908ELNS1_3gpuE7ELNS1_3repE0EEENS1_38merge_mergepath_config_static_selectorELNS0_4arch9wavefront6targetE1EEEvSF_
                                        ; -- End function
	.section	.AMDGPU.csdata,"",@progbits
; Kernel info:
; codeLenInByte = 0
; NumSgprs: 4
; NumVgprs: 0
; NumAgprs: 0
; TotalNumVgprs: 0
; ScratchSize: 0
; MemoryBound: 0
; FloatMode: 240
; IeeeMode: 1
; LDSByteSize: 0 bytes/workgroup (compile time only)
; SGPRBlocks: 0
; VGPRBlocks: 0
; NumSGPRsForWavesPerEU: 4
; NumVGPRsForWavesPerEU: 1
; AccumOffset: 4
; Occupancy: 8
; WaveLimiterHint : 0
; COMPUTE_PGM_RSRC2:SCRATCH_EN: 0
; COMPUTE_PGM_RSRC2:USER_SGPR: 6
; COMPUTE_PGM_RSRC2:TRAP_HANDLER: 0
; COMPUTE_PGM_RSRC2:TGID_X_EN: 1
; COMPUTE_PGM_RSRC2:TGID_Y_EN: 0
; COMPUTE_PGM_RSRC2:TGID_Z_EN: 0
; COMPUTE_PGM_RSRC2:TIDIG_COMP_CNT: 0
; COMPUTE_PGM_RSRC3_GFX90A:ACCUM_OFFSET: 0
; COMPUTE_PGM_RSRC3_GFX90A:TG_SPLIT: 0
	.section	.text._ZN7rocprim17ROCPRIM_400000_NS6detail17trampoline_kernelINS0_14default_configENS1_38merge_sort_block_merge_config_selectorIiNS0_10empty_typeEEEZZNS1_27merge_sort_block_merge_implIS3_PiPS5_jNS1_19radix_merge_compareILb1ELb0EiNS0_19identity_decomposerEEEEE10hipError_tT0_T1_T2_jT3_P12ihipStream_tbPNSt15iterator_traitsISE_E10value_typeEPNSK_ISF_E10value_typeEPSG_NS1_7vsmem_tEENKUlT_SE_SF_SG_E_clIS8_S8_S9_S9_EESD_ST_SE_SF_SG_EUlST_E0_NS1_11comp_targetILNS1_3genE2ELNS1_11target_archE906ELNS1_3gpuE6ELNS1_3repE0EEENS1_38merge_mergepath_config_static_selectorELNS0_4arch9wavefront6targetE1EEEvSF_,"axG",@progbits,_ZN7rocprim17ROCPRIM_400000_NS6detail17trampoline_kernelINS0_14default_configENS1_38merge_sort_block_merge_config_selectorIiNS0_10empty_typeEEEZZNS1_27merge_sort_block_merge_implIS3_PiPS5_jNS1_19radix_merge_compareILb1ELb0EiNS0_19identity_decomposerEEEEE10hipError_tT0_T1_T2_jT3_P12ihipStream_tbPNSt15iterator_traitsISE_E10value_typeEPNSK_ISF_E10value_typeEPSG_NS1_7vsmem_tEENKUlT_SE_SF_SG_E_clIS8_S8_S9_S9_EESD_ST_SE_SF_SG_EUlST_E0_NS1_11comp_targetILNS1_3genE2ELNS1_11target_archE906ELNS1_3gpuE6ELNS1_3repE0EEENS1_38merge_mergepath_config_static_selectorELNS0_4arch9wavefront6targetE1EEEvSF_,comdat
	.protected	_ZN7rocprim17ROCPRIM_400000_NS6detail17trampoline_kernelINS0_14default_configENS1_38merge_sort_block_merge_config_selectorIiNS0_10empty_typeEEEZZNS1_27merge_sort_block_merge_implIS3_PiPS5_jNS1_19radix_merge_compareILb1ELb0EiNS0_19identity_decomposerEEEEE10hipError_tT0_T1_T2_jT3_P12ihipStream_tbPNSt15iterator_traitsISE_E10value_typeEPNSK_ISF_E10value_typeEPSG_NS1_7vsmem_tEENKUlT_SE_SF_SG_E_clIS8_S8_S9_S9_EESD_ST_SE_SF_SG_EUlST_E0_NS1_11comp_targetILNS1_3genE2ELNS1_11target_archE906ELNS1_3gpuE6ELNS1_3repE0EEENS1_38merge_mergepath_config_static_selectorELNS0_4arch9wavefront6targetE1EEEvSF_ ; -- Begin function _ZN7rocprim17ROCPRIM_400000_NS6detail17trampoline_kernelINS0_14default_configENS1_38merge_sort_block_merge_config_selectorIiNS0_10empty_typeEEEZZNS1_27merge_sort_block_merge_implIS3_PiPS5_jNS1_19radix_merge_compareILb1ELb0EiNS0_19identity_decomposerEEEEE10hipError_tT0_T1_T2_jT3_P12ihipStream_tbPNSt15iterator_traitsISE_E10value_typeEPNSK_ISF_E10value_typeEPSG_NS1_7vsmem_tEENKUlT_SE_SF_SG_E_clIS8_S8_S9_S9_EESD_ST_SE_SF_SG_EUlST_E0_NS1_11comp_targetILNS1_3genE2ELNS1_11target_archE906ELNS1_3gpuE6ELNS1_3repE0EEENS1_38merge_mergepath_config_static_selectorELNS0_4arch9wavefront6targetE1EEEvSF_
	.globl	_ZN7rocprim17ROCPRIM_400000_NS6detail17trampoline_kernelINS0_14default_configENS1_38merge_sort_block_merge_config_selectorIiNS0_10empty_typeEEEZZNS1_27merge_sort_block_merge_implIS3_PiPS5_jNS1_19radix_merge_compareILb1ELb0EiNS0_19identity_decomposerEEEEE10hipError_tT0_T1_T2_jT3_P12ihipStream_tbPNSt15iterator_traitsISE_E10value_typeEPNSK_ISF_E10value_typeEPSG_NS1_7vsmem_tEENKUlT_SE_SF_SG_E_clIS8_S8_S9_S9_EESD_ST_SE_SF_SG_EUlST_E0_NS1_11comp_targetILNS1_3genE2ELNS1_11target_archE906ELNS1_3gpuE6ELNS1_3repE0EEENS1_38merge_mergepath_config_static_selectorELNS0_4arch9wavefront6targetE1EEEvSF_
	.p2align	8
	.type	_ZN7rocprim17ROCPRIM_400000_NS6detail17trampoline_kernelINS0_14default_configENS1_38merge_sort_block_merge_config_selectorIiNS0_10empty_typeEEEZZNS1_27merge_sort_block_merge_implIS3_PiPS5_jNS1_19radix_merge_compareILb1ELb0EiNS0_19identity_decomposerEEEEE10hipError_tT0_T1_T2_jT3_P12ihipStream_tbPNSt15iterator_traitsISE_E10value_typeEPNSK_ISF_E10value_typeEPSG_NS1_7vsmem_tEENKUlT_SE_SF_SG_E_clIS8_S8_S9_S9_EESD_ST_SE_SF_SG_EUlST_E0_NS1_11comp_targetILNS1_3genE2ELNS1_11target_archE906ELNS1_3gpuE6ELNS1_3repE0EEENS1_38merge_mergepath_config_static_selectorELNS0_4arch9wavefront6targetE1EEEvSF_,@function
_ZN7rocprim17ROCPRIM_400000_NS6detail17trampoline_kernelINS0_14default_configENS1_38merge_sort_block_merge_config_selectorIiNS0_10empty_typeEEEZZNS1_27merge_sort_block_merge_implIS3_PiPS5_jNS1_19radix_merge_compareILb1ELb0EiNS0_19identity_decomposerEEEEE10hipError_tT0_T1_T2_jT3_P12ihipStream_tbPNSt15iterator_traitsISE_E10value_typeEPNSK_ISF_E10value_typeEPSG_NS1_7vsmem_tEENKUlT_SE_SF_SG_E_clIS8_S8_S9_S9_EESD_ST_SE_SF_SG_EUlST_E0_NS1_11comp_targetILNS1_3genE2ELNS1_11target_archE906ELNS1_3gpuE6ELNS1_3repE0EEENS1_38merge_mergepath_config_static_selectorELNS0_4arch9wavefront6targetE1EEEvSF_: ; @_ZN7rocprim17ROCPRIM_400000_NS6detail17trampoline_kernelINS0_14default_configENS1_38merge_sort_block_merge_config_selectorIiNS0_10empty_typeEEEZZNS1_27merge_sort_block_merge_implIS3_PiPS5_jNS1_19radix_merge_compareILb1ELb0EiNS0_19identity_decomposerEEEEE10hipError_tT0_T1_T2_jT3_P12ihipStream_tbPNSt15iterator_traitsISE_E10value_typeEPNSK_ISF_E10value_typeEPSG_NS1_7vsmem_tEENKUlT_SE_SF_SG_E_clIS8_S8_S9_S9_EESD_ST_SE_SF_SG_EUlST_E0_NS1_11comp_targetILNS1_3genE2ELNS1_11target_archE906ELNS1_3gpuE6ELNS1_3repE0EEENS1_38merge_mergepath_config_static_selectorELNS0_4arch9wavefront6targetE1EEEvSF_
; %bb.0:
	.section	.rodata,"a",@progbits
	.p2align	6, 0x0
	.amdhsa_kernel _ZN7rocprim17ROCPRIM_400000_NS6detail17trampoline_kernelINS0_14default_configENS1_38merge_sort_block_merge_config_selectorIiNS0_10empty_typeEEEZZNS1_27merge_sort_block_merge_implIS3_PiPS5_jNS1_19radix_merge_compareILb1ELb0EiNS0_19identity_decomposerEEEEE10hipError_tT0_T1_T2_jT3_P12ihipStream_tbPNSt15iterator_traitsISE_E10value_typeEPNSK_ISF_E10value_typeEPSG_NS1_7vsmem_tEENKUlT_SE_SF_SG_E_clIS8_S8_S9_S9_EESD_ST_SE_SF_SG_EUlST_E0_NS1_11comp_targetILNS1_3genE2ELNS1_11target_archE906ELNS1_3gpuE6ELNS1_3repE0EEENS1_38merge_mergepath_config_static_selectorELNS0_4arch9wavefront6targetE1EEEvSF_
		.amdhsa_group_segment_fixed_size 0
		.amdhsa_private_segment_fixed_size 0
		.amdhsa_kernarg_size 64
		.amdhsa_user_sgpr_count 6
		.amdhsa_user_sgpr_private_segment_buffer 1
		.amdhsa_user_sgpr_dispatch_ptr 0
		.amdhsa_user_sgpr_queue_ptr 0
		.amdhsa_user_sgpr_kernarg_segment_ptr 1
		.amdhsa_user_sgpr_dispatch_id 0
		.amdhsa_user_sgpr_flat_scratch_init 0
		.amdhsa_user_sgpr_kernarg_preload_length 0
		.amdhsa_user_sgpr_kernarg_preload_offset 0
		.amdhsa_user_sgpr_private_segment_size 0
		.amdhsa_uses_dynamic_stack 0
		.amdhsa_system_sgpr_private_segment_wavefront_offset 0
		.amdhsa_system_sgpr_workgroup_id_x 1
		.amdhsa_system_sgpr_workgroup_id_y 0
		.amdhsa_system_sgpr_workgroup_id_z 0
		.amdhsa_system_sgpr_workgroup_info 0
		.amdhsa_system_vgpr_workitem_id 0
		.amdhsa_next_free_vgpr 1
		.amdhsa_next_free_sgpr 0
		.amdhsa_accum_offset 4
		.amdhsa_reserve_vcc 0
		.amdhsa_reserve_flat_scratch 0
		.amdhsa_float_round_mode_32 0
		.amdhsa_float_round_mode_16_64 0
		.amdhsa_float_denorm_mode_32 3
		.amdhsa_float_denorm_mode_16_64 3
		.amdhsa_dx10_clamp 1
		.amdhsa_ieee_mode 1
		.amdhsa_fp16_overflow 0
		.amdhsa_tg_split 0
		.amdhsa_exception_fp_ieee_invalid_op 0
		.amdhsa_exception_fp_denorm_src 0
		.amdhsa_exception_fp_ieee_div_zero 0
		.amdhsa_exception_fp_ieee_overflow 0
		.amdhsa_exception_fp_ieee_underflow 0
		.amdhsa_exception_fp_ieee_inexact 0
		.amdhsa_exception_int_div_zero 0
	.end_amdhsa_kernel
	.section	.text._ZN7rocprim17ROCPRIM_400000_NS6detail17trampoline_kernelINS0_14default_configENS1_38merge_sort_block_merge_config_selectorIiNS0_10empty_typeEEEZZNS1_27merge_sort_block_merge_implIS3_PiPS5_jNS1_19radix_merge_compareILb1ELb0EiNS0_19identity_decomposerEEEEE10hipError_tT0_T1_T2_jT3_P12ihipStream_tbPNSt15iterator_traitsISE_E10value_typeEPNSK_ISF_E10value_typeEPSG_NS1_7vsmem_tEENKUlT_SE_SF_SG_E_clIS8_S8_S9_S9_EESD_ST_SE_SF_SG_EUlST_E0_NS1_11comp_targetILNS1_3genE2ELNS1_11target_archE906ELNS1_3gpuE6ELNS1_3repE0EEENS1_38merge_mergepath_config_static_selectorELNS0_4arch9wavefront6targetE1EEEvSF_,"axG",@progbits,_ZN7rocprim17ROCPRIM_400000_NS6detail17trampoline_kernelINS0_14default_configENS1_38merge_sort_block_merge_config_selectorIiNS0_10empty_typeEEEZZNS1_27merge_sort_block_merge_implIS3_PiPS5_jNS1_19radix_merge_compareILb1ELb0EiNS0_19identity_decomposerEEEEE10hipError_tT0_T1_T2_jT3_P12ihipStream_tbPNSt15iterator_traitsISE_E10value_typeEPNSK_ISF_E10value_typeEPSG_NS1_7vsmem_tEENKUlT_SE_SF_SG_E_clIS8_S8_S9_S9_EESD_ST_SE_SF_SG_EUlST_E0_NS1_11comp_targetILNS1_3genE2ELNS1_11target_archE906ELNS1_3gpuE6ELNS1_3repE0EEENS1_38merge_mergepath_config_static_selectorELNS0_4arch9wavefront6targetE1EEEvSF_,comdat
.Lfunc_end1959:
	.size	_ZN7rocprim17ROCPRIM_400000_NS6detail17trampoline_kernelINS0_14default_configENS1_38merge_sort_block_merge_config_selectorIiNS0_10empty_typeEEEZZNS1_27merge_sort_block_merge_implIS3_PiPS5_jNS1_19radix_merge_compareILb1ELb0EiNS0_19identity_decomposerEEEEE10hipError_tT0_T1_T2_jT3_P12ihipStream_tbPNSt15iterator_traitsISE_E10value_typeEPNSK_ISF_E10value_typeEPSG_NS1_7vsmem_tEENKUlT_SE_SF_SG_E_clIS8_S8_S9_S9_EESD_ST_SE_SF_SG_EUlST_E0_NS1_11comp_targetILNS1_3genE2ELNS1_11target_archE906ELNS1_3gpuE6ELNS1_3repE0EEENS1_38merge_mergepath_config_static_selectorELNS0_4arch9wavefront6targetE1EEEvSF_, .Lfunc_end1959-_ZN7rocprim17ROCPRIM_400000_NS6detail17trampoline_kernelINS0_14default_configENS1_38merge_sort_block_merge_config_selectorIiNS0_10empty_typeEEEZZNS1_27merge_sort_block_merge_implIS3_PiPS5_jNS1_19radix_merge_compareILb1ELb0EiNS0_19identity_decomposerEEEEE10hipError_tT0_T1_T2_jT3_P12ihipStream_tbPNSt15iterator_traitsISE_E10value_typeEPNSK_ISF_E10value_typeEPSG_NS1_7vsmem_tEENKUlT_SE_SF_SG_E_clIS8_S8_S9_S9_EESD_ST_SE_SF_SG_EUlST_E0_NS1_11comp_targetILNS1_3genE2ELNS1_11target_archE906ELNS1_3gpuE6ELNS1_3repE0EEENS1_38merge_mergepath_config_static_selectorELNS0_4arch9wavefront6targetE1EEEvSF_
                                        ; -- End function
	.section	.AMDGPU.csdata,"",@progbits
; Kernel info:
; codeLenInByte = 0
; NumSgprs: 4
; NumVgprs: 0
; NumAgprs: 0
; TotalNumVgprs: 0
; ScratchSize: 0
; MemoryBound: 0
; FloatMode: 240
; IeeeMode: 1
; LDSByteSize: 0 bytes/workgroup (compile time only)
; SGPRBlocks: 0
; VGPRBlocks: 0
; NumSGPRsForWavesPerEU: 4
; NumVGPRsForWavesPerEU: 1
; AccumOffset: 4
; Occupancy: 8
; WaveLimiterHint : 0
; COMPUTE_PGM_RSRC2:SCRATCH_EN: 0
; COMPUTE_PGM_RSRC2:USER_SGPR: 6
; COMPUTE_PGM_RSRC2:TRAP_HANDLER: 0
; COMPUTE_PGM_RSRC2:TGID_X_EN: 1
; COMPUTE_PGM_RSRC2:TGID_Y_EN: 0
; COMPUTE_PGM_RSRC2:TGID_Z_EN: 0
; COMPUTE_PGM_RSRC2:TIDIG_COMP_CNT: 0
; COMPUTE_PGM_RSRC3_GFX90A:ACCUM_OFFSET: 0
; COMPUTE_PGM_RSRC3_GFX90A:TG_SPLIT: 0
	.section	.text._ZN7rocprim17ROCPRIM_400000_NS6detail17trampoline_kernelINS0_14default_configENS1_38merge_sort_block_merge_config_selectorIiNS0_10empty_typeEEEZZNS1_27merge_sort_block_merge_implIS3_PiPS5_jNS1_19radix_merge_compareILb1ELb0EiNS0_19identity_decomposerEEEEE10hipError_tT0_T1_T2_jT3_P12ihipStream_tbPNSt15iterator_traitsISE_E10value_typeEPNSK_ISF_E10value_typeEPSG_NS1_7vsmem_tEENKUlT_SE_SF_SG_E_clIS8_S8_S9_S9_EESD_ST_SE_SF_SG_EUlST_E0_NS1_11comp_targetILNS1_3genE9ELNS1_11target_archE1100ELNS1_3gpuE3ELNS1_3repE0EEENS1_38merge_mergepath_config_static_selectorELNS0_4arch9wavefront6targetE1EEEvSF_,"axG",@progbits,_ZN7rocprim17ROCPRIM_400000_NS6detail17trampoline_kernelINS0_14default_configENS1_38merge_sort_block_merge_config_selectorIiNS0_10empty_typeEEEZZNS1_27merge_sort_block_merge_implIS3_PiPS5_jNS1_19radix_merge_compareILb1ELb0EiNS0_19identity_decomposerEEEEE10hipError_tT0_T1_T2_jT3_P12ihipStream_tbPNSt15iterator_traitsISE_E10value_typeEPNSK_ISF_E10value_typeEPSG_NS1_7vsmem_tEENKUlT_SE_SF_SG_E_clIS8_S8_S9_S9_EESD_ST_SE_SF_SG_EUlST_E0_NS1_11comp_targetILNS1_3genE9ELNS1_11target_archE1100ELNS1_3gpuE3ELNS1_3repE0EEENS1_38merge_mergepath_config_static_selectorELNS0_4arch9wavefront6targetE1EEEvSF_,comdat
	.protected	_ZN7rocprim17ROCPRIM_400000_NS6detail17trampoline_kernelINS0_14default_configENS1_38merge_sort_block_merge_config_selectorIiNS0_10empty_typeEEEZZNS1_27merge_sort_block_merge_implIS3_PiPS5_jNS1_19radix_merge_compareILb1ELb0EiNS0_19identity_decomposerEEEEE10hipError_tT0_T1_T2_jT3_P12ihipStream_tbPNSt15iterator_traitsISE_E10value_typeEPNSK_ISF_E10value_typeEPSG_NS1_7vsmem_tEENKUlT_SE_SF_SG_E_clIS8_S8_S9_S9_EESD_ST_SE_SF_SG_EUlST_E0_NS1_11comp_targetILNS1_3genE9ELNS1_11target_archE1100ELNS1_3gpuE3ELNS1_3repE0EEENS1_38merge_mergepath_config_static_selectorELNS0_4arch9wavefront6targetE1EEEvSF_ ; -- Begin function _ZN7rocprim17ROCPRIM_400000_NS6detail17trampoline_kernelINS0_14default_configENS1_38merge_sort_block_merge_config_selectorIiNS0_10empty_typeEEEZZNS1_27merge_sort_block_merge_implIS3_PiPS5_jNS1_19radix_merge_compareILb1ELb0EiNS0_19identity_decomposerEEEEE10hipError_tT0_T1_T2_jT3_P12ihipStream_tbPNSt15iterator_traitsISE_E10value_typeEPNSK_ISF_E10value_typeEPSG_NS1_7vsmem_tEENKUlT_SE_SF_SG_E_clIS8_S8_S9_S9_EESD_ST_SE_SF_SG_EUlST_E0_NS1_11comp_targetILNS1_3genE9ELNS1_11target_archE1100ELNS1_3gpuE3ELNS1_3repE0EEENS1_38merge_mergepath_config_static_selectorELNS0_4arch9wavefront6targetE1EEEvSF_
	.globl	_ZN7rocprim17ROCPRIM_400000_NS6detail17trampoline_kernelINS0_14default_configENS1_38merge_sort_block_merge_config_selectorIiNS0_10empty_typeEEEZZNS1_27merge_sort_block_merge_implIS3_PiPS5_jNS1_19radix_merge_compareILb1ELb0EiNS0_19identity_decomposerEEEEE10hipError_tT0_T1_T2_jT3_P12ihipStream_tbPNSt15iterator_traitsISE_E10value_typeEPNSK_ISF_E10value_typeEPSG_NS1_7vsmem_tEENKUlT_SE_SF_SG_E_clIS8_S8_S9_S9_EESD_ST_SE_SF_SG_EUlST_E0_NS1_11comp_targetILNS1_3genE9ELNS1_11target_archE1100ELNS1_3gpuE3ELNS1_3repE0EEENS1_38merge_mergepath_config_static_selectorELNS0_4arch9wavefront6targetE1EEEvSF_
	.p2align	8
	.type	_ZN7rocprim17ROCPRIM_400000_NS6detail17trampoline_kernelINS0_14default_configENS1_38merge_sort_block_merge_config_selectorIiNS0_10empty_typeEEEZZNS1_27merge_sort_block_merge_implIS3_PiPS5_jNS1_19radix_merge_compareILb1ELb0EiNS0_19identity_decomposerEEEEE10hipError_tT0_T1_T2_jT3_P12ihipStream_tbPNSt15iterator_traitsISE_E10value_typeEPNSK_ISF_E10value_typeEPSG_NS1_7vsmem_tEENKUlT_SE_SF_SG_E_clIS8_S8_S9_S9_EESD_ST_SE_SF_SG_EUlST_E0_NS1_11comp_targetILNS1_3genE9ELNS1_11target_archE1100ELNS1_3gpuE3ELNS1_3repE0EEENS1_38merge_mergepath_config_static_selectorELNS0_4arch9wavefront6targetE1EEEvSF_,@function
_ZN7rocprim17ROCPRIM_400000_NS6detail17trampoline_kernelINS0_14default_configENS1_38merge_sort_block_merge_config_selectorIiNS0_10empty_typeEEEZZNS1_27merge_sort_block_merge_implIS3_PiPS5_jNS1_19radix_merge_compareILb1ELb0EiNS0_19identity_decomposerEEEEE10hipError_tT0_T1_T2_jT3_P12ihipStream_tbPNSt15iterator_traitsISE_E10value_typeEPNSK_ISF_E10value_typeEPSG_NS1_7vsmem_tEENKUlT_SE_SF_SG_E_clIS8_S8_S9_S9_EESD_ST_SE_SF_SG_EUlST_E0_NS1_11comp_targetILNS1_3genE9ELNS1_11target_archE1100ELNS1_3gpuE3ELNS1_3repE0EEENS1_38merge_mergepath_config_static_selectorELNS0_4arch9wavefront6targetE1EEEvSF_: ; @_ZN7rocprim17ROCPRIM_400000_NS6detail17trampoline_kernelINS0_14default_configENS1_38merge_sort_block_merge_config_selectorIiNS0_10empty_typeEEEZZNS1_27merge_sort_block_merge_implIS3_PiPS5_jNS1_19radix_merge_compareILb1ELb0EiNS0_19identity_decomposerEEEEE10hipError_tT0_T1_T2_jT3_P12ihipStream_tbPNSt15iterator_traitsISE_E10value_typeEPNSK_ISF_E10value_typeEPSG_NS1_7vsmem_tEENKUlT_SE_SF_SG_E_clIS8_S8_S9_S9_EESD_ST_SE_SF_SG_EUlST_E0_NS1_11comp_targetILNS1_3genE9ELNS1_11target_archE1100ELNS1_3gpuE3ELNS1_3repE0EEENS1_38merge_mergepath_config_static_selectorELNS0_4arch9wavefront6targetE1EEEvSF_
; %bb.0:
	.section	.rodata,"a",@progbits
	.p2align	6, 0x0
	.amdhsa_kernel _ZN7rocprim17ROCPRIM_400000_NS6detail17trampoline_kernelINS0_14default_configENS1_38merge_sort_block_merge_config_selectorIiNS0_10empty_typeEEEZZNS1_27merge_sort_block_merge_implIS3_PiPS5_jNS1_19radix_merge_compareILb1ELb0EiNS0_19identity_decomposerEEEEE10hipError_tT0_T1_T2_jT3_P12ihipStream_tbPNSt15iterator_traitsISE_E10value_typeEPNSK_ISF_E10value_typeEPSG_NS1_7vsmem_tEENKUlT_SE_SF_SG_E_clIS8_S8_S9_S9_EESD_ST_SE_SF_SG_EUlST_E0_NS1_11comp_targetILNS1_3genE9ELNS1_11target_archE1100ELNS1_3gpuE3ELNS1_3repE0EEENS1_38merge_mergepath_config_static_selectorELNS0_4arch9wavefront6targetE1EEEvSF_
		.amdhsa_group_segment_fixed_size 0
		.amdhsa_private_segment_fixed_size 0
		.amdhsa_kernarg_size 64
		.amdhsa_user_sgpr_count 6
		.amdhsa_user_sgpr_private_segment_buffer 1
		.amdhsa_user_sgpr_dispatch_ptr 0
		.amdhsa_user_sgpr_queue_ptr 0
		.amdhsa_user_sgpr_kernarg_segment_ptr 1
		.amdhsa_user_sgpr_dispatch_id 0
		.amdhsa_user_sgpr_flat_scratch_init 0
		.amdhsa_user_sgpr_kernarg_preload_length 0
		.amdhsa_user_sgpr_kernarg_preload_offset 0
		.amdhsa_user_sgpr_private_segment_size 0
		.amdhsa_uses_dynamic_stack 0
		.amdhsa_system_sgpr_private_segment_wavefront_offset 0
		.amdhsa_system_sgpr_workgroup_id_x 1
		.amdhsa_system_sgpr_workgroup_id_y 0
		.amdhsa_system_sgpr_workgroup_id_z 0
		.amdhsa_system_sgpr_workgroup_info 0
		.amdhsa_system_vgpr_workitem_id 0
		.amdhsa_next_free_vgpr 1
		.amdhsa_next_free_sgpr 0
		.amdhsa_accum_offset 4
		.amdhsa_reserve_vcc 0
		.amdhsa_reserve_flat_scratch 0
		.amdhsa_float_round_mode_32 0
		.amdhsa_float_round_mode_16_64 0
		.amdhsa_float_denorm_mode_32 3
		.amdhsa_float_denorm_mode_16_64 3
		.amdhsa_dx10_clamp 1
		.amdhsa_ieee_mode 1
		.amdhsa_fp16_overflow 0
		.amdhsa_tg_split 0
		.amdhsa_exception_fp_ieee_invalid_op 0
		.amdhsa_exception_fp_denorm_src 0
		.amdhsa_exception_fp_ieee_div_zero 0
		.amdhsa_exception_fp_ieee_overflow 0
		.amdhsa_exception_fp_ieee_underflow 0
		.amdhsa_exception_fp_ieee_inexact 0
		.amdhsa_exception_int_div_zero 0
	.end_amdhsa_kernel
	.section	.text._ZN7rocprim17ROCPRIM_400000_NS6detail17trampoline_kernelINS0_14default_configENS1_38merge_sort_block_merge_config_selectorIiNS0_10empty_typeEEEZZNS1_27merge_sort_block_merge_implIS3_PiPS5_jNS1_19radix_merge_compareILb1ELb0EiNS0_19identity_decomposerEEEEE10hipError_tT0_T1_T2_jT3_P12ihipStream_tbPNSt15iterator_traitsISE_E10value_typeEPNSK_ISF_E10value_typeEPSG_NS1_7vsmem_tEENKUlT_SE_SF_SG_E_clIS8_S8_S9_S9_EESD_ST_SE_SF_SG_EUlST_E0_NS1_11comp_targetILNS1_3genE9ELNS1_11target_archE1100ELNS1_3gpuE3ELNS1_3repE0EEENS1_38merge_mergepath_config_static_selectorELNS0_4arch9wavefront6targetE1EEEvSF_,"axG",@progbits,_ZN7rocprim17ROCPRIM_400000_NS6detail17trampoline_kernelINS0_14default_configENS1_38merge_sort_block_merge_config_selectorIiNS0_10empty_typeEEEZZNS1_27merge_sort_block_merge_implIS3_PiPS5_jNS1_19radix_merge_compareILb1ELb0EiNS0_19identity_decomposerEEEEE10hipError_tT0_T1_T2_jT3_P12ihipStream_tbPNSt15iterator_traitsISE_E10value_typeEPNSK_ISF_E10value_typeEPSG_NS1_7vsmem_tEENKUlT_SE_SF_SG_E_clIS8_S8_S9_S9_EESD_ST_SE_SF_SG_EUlST_E0_NS1_11comp_targetILNS1_3genE9ELNS1_11target_archE1100ELNS1_3gpuE3ELNS1_3repE0EEENS1_38merge_mergepath_config_static_selectorELNS0_4arch9wavefront6targetE1EEEvSF_,comdat
.Lfunc_end1960:
	.size	_ZN7rocprim17ROCPRIM_400000_NS6detail17trampoline_kernelINS0_14default_configENS1_38merge_sort_block_merge_config_selectorIiNS0_10empty_typeEEEZZNS1_27merge_sort_block_merge_implIS3_PiPS5_jNS1_19radix_merge_compareILb1ELb0EiNS0_19identity_decomposerEEEEE10hipError_tT0_T1_T2_jT3_P12ihipStream_tbPNSt15iterator_traitsISE_E10value_typeEPNSK_ISF_E10value_typeEPSG_NS1_7vsmem_tEENKUlT_SE_SF_SG_E_clIS8_S8_S9_S9_EESD_ST_SE_SF_SG_EUlST_E0_NS1_11comp_targetILNS1_3genE9ELNS1_11target_archE1100ELNS1_3gpuE3ELNS1_3repE0EEENS1_38merge_mergepath_config_static_selectorELNS0_4arch9wavefront6targetE1EEEvSF_, .Lfunc_end1960-_ZN7rocprim17ROCPRIM_400000_NS6detail17trampoline_kernelINS0_14default_configENS1_38merge_sort_block_merge_config_selectorIiNS0_10empty_typeEEEZZNS1_27merge_sort_block_merge_implIS3_PiPS5_jNS1_19radix_merge_compareILb1ELb0EiNS0_19identity_decomposerEEEEE10hipError_tT0_T1_T2_jT3_P12ihipStream_tbPNSt15iterator_traitsISE_E10value_typeEPNSK_ISF_E10value_typeEPSG_NS1_7vsmem_tEENKUlT_SE_SF_SG_E_clIS8_S8_S9_S9_EESD_ST_SE_SF_SG_EUlST_E0_NS1_11comp_targetILNS1_3genE9ELNS1_11target_archE1100ELNS1_3gpuE3ELNS1_3repE0EEENS1_38merge_mergepath_config_static_selectorELNS0_4arch9wavefront6targetE1EEEvSF_
                                        ; -- End function
	.section	.AMDGPU.csdata,"",@progbits
; Kernel info:
; codeLenInByte = 0
; NumSgprs: 4
; NumVgprs: 0
; NumAgprs: 0
; TotalNumVgprs: 0
; ScratchSize: 0
; MemoryBound: 0
; FloatMode: 240
; IeeeMode: 1
; LDSByteSize: 0 bytes/workgroup (compile time only)
; SGPRBlocks: 0
; VGPRBlocks: 0
; NumSGPRsForWavesPerEU: 4
; NumVGPRsForWavesPerEU: 1
; AccumOffset: 4
; Occupancy: 8
; WaveLimiterHint : 0
; COMPUTE_PGM_RSRC2:SCRATCH_EN: 0
; COMPUTE_PGM_RSRC2:USER_SGPR: 6
; COMPUTE_PGM_RSRC2:TRAP_HANDLER: 0
; COMPUTE_PGM_RSRC2:TGID_X_EN: 1
; COMPUTE_PGM_RSRC2:TGID_Y_EN: 0
; COMPUTE_PGM_RSRC2:TGID_Z_EN: 0
; COMPUTE_PGM_RSRC2:TIDIG_COMP_CNT: 0
; COMPUTE_PGM_RSRC3_GFX90A:ACCUM_OFFSET: 0
; COMPUTE_PGM_RSRC3_GFX90A:TG_SPLIT: 0
	.section	.text._ZN7rocprim17ROCPRIM_400000_NS6detail17trampoline_kernelINS0_14default_configENS1_38merge_sort_block_merge_config_selectorIiNS0_10empty_typeEEEZZNS1_27merge_sort_block_merge_implIS3_PiPS5_jNS1_19radix_merge_compareILb1ELb0EiNS0_19identity_decomposerEEEEE10hipError_tT0_T1_T2_jT3_P12ihipStream_tbPNSt15iterator_traitsISE_E10value_typeEPNSK_ISF_E10value_typeEPSG_NS1_7vsmem_tEENKUlT_SE_SF_SG_E_clIS8_S8_S9_S9_EESD_ST_SE_SF_SG_EUlST_E0_NS1_11comp_targetILNS1_3genE8ELNS1_11target_archE1030ELNS1_3gpuE2ELNS1_3repE0EEENS1_38merge_mergepath_config_static_selectorELNS0_4arch9wavefront6targetE1EEEvSF_,"axG",@progbits,_ZN7rocprim17ROCPRIM_400000_NS6detail17trampoline_kernelINS0_14default_configENS1_38merge_sort_block_merge_config_selectorIiNS0_10empty_typeEEEZZNS1_27merge_sort_block_merge_implIS3_PiPS5_jNS1_19radix_merge_compareILb1ELb0EiNS0_19identity_decomposerEEEEE10hipError_tT0_T1_T2_jT3_P12ihipStream_tbPNSt15iterator_traitsISE_E10value_typeEPNSK_ISF_E10value_typeEPSG_NS1_7vsmem_tEENKUlT_SE_SF_SG_E_clIS8_S8_S9_S9_EESD_ST_SE_SF_SG_EUlST_E0_NS1_11comp_targetILNS1_3genE8ELNS1_11target_archE1030ELNS1_3gpuE2ELNS1_3repE0EEENS1_38merge_mergepath_config_static_selectorELNS0_4arch9wavefront6targetE1EEEvSF_,comdat
	.protected	_ZN7rocprim17ROCPRIM_400000_NS6detail17trampoline_kernelINS0_14default_configENS1_38merge_sort_block_merge_config_selectorIiNS0_10empty_typeEEEZZNS1_27merge_sort_block_merge_implIS3_PiPS5_jNS1_19radix_merge_compareILb1ELb0EiNS0_19identity_decomposerEEEEE10hipError_tT0_T1_T2_jT3_P12ihipStream_tbPNSt15iterator_traitsISE_E10value_typeEPNSK_ISF_E10value_typeEPSG_NS1_7vsmem_tEENKUlT_SE_SF_SG_E_clIS8_S8_S9_S9_EESD_ST_SE_SF_SG_EUlST_E0_NS1_11comp_targetILNS1_3genE8ELNS1_11target_archE1030ELNS1_3gpuE2ELNS1_3repE0EEENS1_38merge_mergepath_config_static_selectorELNS0_4arch9wavefront6targetE1EEEvSF_ ; -- Begin function _ZN7rocprim17ROCPRIM_400000_NS6detail17trampoline_kernelINS0_14default_configENS1_38merge_sort_block_merge_config_selectorIiNS0_10empty_typeEEEZZNS1_27merge_sort_block_merge_implIS3_PiPS5_jNS1_19radix_merge_compareILb1ELb0EiNS0_19identity_decomposerEEEEE10hipError_tT0_T1_T2_jT3_P12ihipStream_tbPNSt15iterator_traitsISE_E10value_typeEPNSK_ISF_E10value_typeEPSG_NS1_7vsmem_tEENKUlT_SE_SF_SG_E_clIS8_S8_S9_S9_EESD_ST_SE_SF_SG_EUlST_E0_NS1_11comp_targetILNS1_3genE8ELNS1_11target_archE1030ELNS1_3gpuE2ELNS1_3repE0EEENS1_38merge_mergepath_config_static_selectorELNS0_4arch9wavefront6targetE1EEEvSF_
	.globl	_ZN7rocprim17ROCPRIM_400000_NS6detail17trampoline_kernelINS0_14default_configENS1_38merge_sort_block_merge_config_selectorIiNS0_10empty_typeEEEZZNS1_27merge_sort_block_merge_implIS3_PiPS5_jNS1_19radix_merge_compareILb1ELb0EiNS0_19identity_decomposerEEEEE10hipError_tT0_T1_T2_jT3_P12ihipStream_tbPNSt15iterator_traitsISE_E10value_typeEPNSK_ISF_E10value_typeEPSG_NS1_7vsmem_tEENKUlT_SE_SF_SG_E_clIS8_S8_S9_S9_EESD_ST_SE_SF_SG_EUlST_E0_NS1_11comp_targetILNS1_3genE8ELNS1_11target_archE1030ELNS1_3gpuE2ELNS1_3repE0EEENS1_38merge_mergepath_config_static_selectorELNS0_4arch9wavefront6targetE1EEEvSF_
	.p2align	8
	.type	_ZN7rocprim17ROCPRIM_400000_NS6detail17trampoline_kernelINS0_14default_configENS1_38merge_sort_block_merge_config_selectorIiNS0_10empty_typeEEEZZNS1_27merge_sort_block_merge_implIS3_PiPS5_jNS1_19radix_merge_compareILb1ELb0EiNS0_19identity_decomposerEEEEE10hipError_tT0_T1_T2_jT3_P12ihipStream_tbPNSt15iterator_traitsISE_E10value_typeEPNSK_ISF_E10value_typeEPSG_NS1_7vsmem_tEENKUlT_SE_SF_SG_E_clIS8_S8_S9_S9_EESD_ST_SE_SF_SG_EUlST_E0_NS1_11comp_targetILNS1_3genE8ELNS1_11target_archE1030ELNS1_3gpuE2ELNS1_3repE0EEENS1_38merge_mergepath_config_static_selectorELNS0_4arch9wavefront6targetE1EEEvSF_,@function
_ZN7rocprim17ROCPRIM_400000_NS6detail17trampoline_kernelINS0_14default_configENS1_38merge_sort_block_merge_config_selectorIiNS0_10empty_typeEEEZZNS1_27merge_sort_block_merge_implIS3_PiPS5_jNS1_19radix_merge_compareILb1ELb0EiNS0_19identity_decomposerEEEEE10hipError_tT0_T1_T2_jT3_P12ihipStream_tbPNSt15iterator_traitsISE_E10value_typeEPNSK_ISF_E10value_typeEPSG_NS1_7vsmem_tEENKUlT_SE_SF_SG_E_clIS8_S8_S9_S9_EESD_ST_SE_SF_SG_EUlST_E0_NS1_11comp_targetILNS1_3genE8ELNS1_11target_archE1030ELNS1_3gpuE2ELNS1_3repE0EEENS1_38merge_mergepath_config_static_selectorELNS0_4arch9wavefront6targetE1EEEvSF_: ; @_ZN7rocprim17ROCPRIM_400000_NS6detail17trampoline_kernelINS0_14default_configENS1_38merge_sort_block_merge_config_selectorIiNS0_10empty_typeEEEZZNS1_27merge_sort_block_merge_implIS3_PiPS5_jNS1_19radix_merge_compareILb1ELb0EiNS0_19identity_decomposerEEEEE10hipError_tT0_T1_T2_jT3_P12ihipStream_tbPNSt15iterator_traitsISE_E10value_typeEPNSK_ISF_E10value_typeEPSG_NS1_7vsmem_tEENKUlT_SE_SF_SG_E_clIS8_S8_S9_S9_EESD_ST_SE_SF_SG_EUlST_E0_NS1_11comp_targetILNS1_3genE8ELNS1_11target_archE1030ELNS1_3gpuE2ELNS1_3repE0EEENS1_38merge_mergepath_config_static_selectorELNS0_4arch9wavefront6targetE1EEEvSF_
; %bb.0:
	.section	.rodata,"a",@progbits
	.p2align	6, 0x0
	.amdhsa_kernel _ZN7rocprim17ROCPRIM_400000_NS6detail17trampoline_kernelINS0_14default_configENS1_38merge_sort_block_merge_config_selectorIiNS0_10empty_typeEEEZZNS1_27merge_sort_block_merge_implIS3_PiPS5_jNS1_19radix_merge_compareILb1ELb0EiNS0_19identity_decomposerEEEEE10hipError_tT0_T1_T2_jT3_P12ihipStream_tbPNSt15iterator_traitsISE_E10value_typeEPNSK_ISF_E10value_typeEPSG_NS1_7vsmem_tEENKUlT_SE_SF_SG_E_clIS8_S8_S9_S9_EESD_ST_SE_SF_SG_EUlST_E0_NS1_11comp_targetILNS1_3genE8ELNS1_11target_archE1030ELNS1_3gpuE2ELNS1_3repE0EEENS1_38merge_mergepath_config_static_selectorELNS0_4arch9wavefront6targetE1EEEvSF_
		.amdhsa_group_segment_fixed_size 0
		.amdhsa_private_segment_fixed_size 0
		.amdhsa_kernarg_size 64
		.amdhsa_user_sgpr_count 6
		.amdhsa_user_sgpr_private_segment_buffer 1
		.amdhsa_user_sgpr_dispatch_ptr 0
		.amdhsa_user_sgpr_queue_ptr 0
		.amdhsa_user_sgpr_kernarg_segment_ptr 1
		.amdhsa_user_sgpr_dispatch_id 0
		.amdhsa_user_sgpr_flat_scratch_init 0
		.amdhsa_user_sgpr_kernarg_preload_length 0
		.amdhsa_user_sgpr_kernarg_preload_offset 0
		.amdhsa_user_sgpr_private_segment_size 0
		.amdhsa_uses_dynamic_stack 0
		.amdhsa_system_sgpr_private_segment_wavefront_offset 0
		.amdhsa_system_sgpr_workgroup_id_x 1
		.amdhsa_system_sgpr_workgroup_id_y 0
		.amdhsa_system_sgpr_workgroup_id_z 0
		.amdhsa_system_sgpr_workgroup_info 0
		.amdhsa_system_vgpr_workitem_id 0
		.amdhsa_next_free_vgpr 1
		.amdhsa_next_free_sgpr 0
		.amdhsa_accum_offset 4
		.amdhsa_reserve_vcc 0
		.amdhsa_reserve_flat_scratch 0
		.amdhsa_float_round_mode_32 0
		.amdhsa_float_round_mode_16_64 0
		.amdhsa_float_denorm_mode_32 3
		.amdhsa_float_denorm_mode_16_64 3
		.amdhsa_dx10_clamp 1
		.amdhsa_ieee_mode 1
		.amdhsa_fp16_overflow 0
		.amdhsa_tg_split 0
		.amdhsa_exception_fp_ieee_invalid_op 0
		.amdhsa_exception_fp_denorm_src 0
		.amdhsa_exception_fp_ieee_div_zero 0
		.amdhsa_exception_fp_ieee_overflow 0
		.amdhsa_exception_fp_ieee_underflow 0
		.amdhsa_exception_fp_ieee_inexact 0
		.amdhsa_exception_int_div_zero 0
	.end_amdhsa_kernel
	.section	.text._ZN7rocprim17ROCPRIM_400000_NS6detail17trampoline_kernelINS0_14default_configENS1_38merge_sort_block_merge_config_selectorIiNS0_10empty_typeEEEZZNS1_27merge_sort_block_merge_implIS3_PiPS5_jNS1_19radix_merge_compareILb1ELb0EiNS0_19identity_decomposerEEEEE10hipError_tT0_T1_T2_jT3_P12ihipStream_tbPNSt15iterator_traitsISE_E10value_typeEPNSK_ISF_E10value_typeEPSG_NS1_7vsmem_tEENKUlT_SE_SF_SG_E_clIS8_S8_S9_S9_EESD_ST_SE_SF_SG_EUlST_E0_NS1_11comp_targetILNS1_3genE8ELNS1_11target_archE1030ELNS1_3gpuE2ELNS1_3repE0EEENS1_38merge_mergepath_config_static_selectorELNS0_4arch9wavefront6targetE1EEEvSF_,"axG",@progbits,_ZN7rocprim17ROCPRIM_400000_NS6detail17trampoline_kernelINS0_14default_configENS1_38merge_sort_block_merge_config_selectorIiNS0_10empty_typeEEEZZNS1_27merge_sort_block_merge_implIS3_PiPS5_jNS1_19radix_merge_compareILb1ELb0EiNS0_19identity_decomposerEEEEE10hipError_tT0_T1_T2_jT3_P12ihipStream_tbPNSt15iterator_traitsISE_E10value_typeEPNSK_ISF_E10value_typeEPSG_NS1_7vsmem_tEENKUlT_SE_SF_SG_E_clIS8_S8_S9_S9_EESD_ST_SE_SF_SG_EUlST_E0_NS1_11comp_targetILNS1_3genE8ELNS1_11target_archE1030ELNS1_3gpuE2ELNS1_3repE0EEENS1_38merge_mergepath_config_static_selectorELNS0_4arch9wavefront6targetE1EEEvSF_,comdat
.Lfunc_end1961:
	.size	_ZN7rocprim17ROCPRIM_400000_NS6detail17trampoline_kernelINS0_14default_configENS1_38merge_sort_block_merge_config_selectorIiNS0_10empty_typeEEEZZNS1_27merge_sort_block_merge_implIS3_PiPS5_jNS1_19radix_merge_compareILb1ELb0EiNS0_19identity_decomposerEEEEE10hipError_tT0_T1_T2_jT3_P12ihipStream_tbPNSt15iterator_traitsISE_E10value_typeEPNSK_ISF_E10value_typeEPSG_NS1_7vsmem_tEENKUlT_SE_SF_SG_E_clIS8_S8_S9_S9_EESD_ST_SE_SF_SG_EUlST_E0_NS1_11comp_targetILNS1_3genE8ELNS1_11target_archE1030ELNS1_3gpuE2ELNS1_3repE0EEENS1_38merge_mergepath_config_static_selectorELNS0_4arch9wavefront6targetE1EEEvSF_, .Lfunc_end1961-_ZN7rocprim17ROCPRIM_400000_NS6detail17trampoline_kernelINS0_14default_configENS1_38merge_sort_block_merge_config_selectorIiNS0_10empty_typeEEEZZNS1_27merge_sort_block_merge_implIS3_PiPS5_jNS1_19radix_merge_compareILb1ELb0EiNS0_19identity_decomposerEEEEE10hipError_tT0_T1_T2_jT3_P12ihipStream_tbPNSt15iterator_traitsISE_E10value_typeEPNSK_ISF_E10value_typeEPSG_NS1_7vsmem_tEENKUlT_SE_SF_SG_E_clIS8_S8_S9_S9_EESD_ST_SE_SF_SG_EUlST_E0_NS1_11comp_targetILNS1_3genE8ELNS1_11target_archE1030ELNS1_3gpuE2ELNS1_3repE0EEENS1_38merge_mergepath_config_static_selectorELNS0_4arch9wavefront6targetE1EEEvSF_
                                        ; -- End function
	.section	.AMDGPU.csdata,"",@progbits
; Kernel info:
; codeLenInByte = 0
; NumSgprs: 4
; NumVgprs: 0
; NumAgprs: 0
; TotalNumVgprs: 0
; ScratchSize: 0
; MemoryBound: 0
; FloatMode: 240
; IeeeMode: 1
; LDSByteSize: 0 bytes/workgroup (compile time only)
; SGPRBlocks: 0
; VGPRBlocks: 0
; NumSGPRsForWavesPerEU: 4
; NumVGPRsForWavesPerEU: 1
; AccumOffset: 4
; Occupancy: 8
; WaveLimiterHint : 0
; COMPUTE_PGM_RSRC2:SCRATCH_EN: 0
; COMPUTE_PGM_RSRC2:USER_SGPR: 6
; COMPUTE_PGM_RSRC2:TRAP_HANDLER: 0
; COMPUTE_PGM_RSRC2:TGID_X_EN: 1
; COMPUTE_PGM_RSRC2:TGID_Y_EN: 0
; COMPUTE_PGM_RSRC2:TGID_Z_EN: 0
; COMPUTE_PGM_RSRC2:TIDIG_COMP_CNT: 0
; COMPUTE_PGM_RSRC3_GFX90A:ACCUM_OFFSET: 0
; COMPUTE_PGM_RSRC3_GFX90A:TG_SPLIT: 0
	.section	.text._ZN7rocprim17ROCPRIM_400000_NS6detail17trampoline_kernelINS0_14default_configENS1_38merge_sort_block_merge_config_selectorIiNS0_10empty_typeEEEZZNS1_27merge_sort_block_merge_implIS3_PiPS5_jNS1_19radix_merge_compareILb1ELb0EiNS0_19identity_decomposerEEEEE10hipError_tT0_T1_T2_jT3_P12ihipStream_tbPNSt15iterator_traitsISE_E10value_typeEPNSK_ISF_E10value_typeEPSG_NS1_7vsmem_tEENKUlT_SE_SF_SG_E_clIS8_S8_S9_S9_EESD_ST_SE_SF_SG_EUlST_E1_NS1_11comp_targetILNS1_3genE0ELNS1_11target_archE4294967295ELNS1_3gpuE0ELNS1_3repE0EEENS1_36merge_oddeven_config_static_selectorELNS0_4arch9wavefront6targetE1EEEvSF_,"axG",@progbits,_ZN7rocprim17ROCPRIM_400000_NS6detail17trampoline_kernelINS0_14default_configENS1_38merge_sort_block_merge_config_selectorIiNS0_10empty_typeEEEZZNS1_27merge_sort_block_merge_implIS3_PiPS5_jNS1_19radix_merge_compareILb1ELb0EiNS0_19identity_decomposerEEEEE10hipError_tT0_T1_T2_jT3_P12ihipStream_tbPNSt15iterator_traitsISE_E10value_typeEPNSK_ISF_E10value_typeEPSG_NS1_7vsmem_tEENKUlT_SE_SF_SG_E_clIS8_S8_S9_S9_EESD_ST_SE_SF_SG_EUlST_E1_NS1_11comp_targetILNS1_3genE0ELNS1_11target_archE4294967295ELNS1_3gpuE0ELNS1_3repE0EEENS1_36merge_oddeven_config_static_selectorELNS0_4arch9wavefront6targetE1EEEvSF_,comdat
	.protected	_ZN7rocprim17ROCPRIM_400000_NS6detail17trampoline_kernelINS0_14default_configENS1_38merge_sort_block_merge_config_selectorIiNS0_10empty_typeEEEZZNS1_27merge_sort_block_merge_implIS3_PiPS5_jNS1_19radix_merge_compareILb1ELb0EiNS0_19identity_decomposerEEEEE10hipError_tT0_T1_T2_jT3_P12ihipStream_tbPNSt15iterator_traitsISE_E10value_typeEPNSK_ISF_E10value_typeEPSG_NS1_7vsmem_tEENKUlT_SE_SF_SG_E_clIS8_S8_S9_S9_EESD_ST_SE_SF_SG_EUlST_E1_NS1_11comp_targetILNS1_3genE0ELNS1_11target_archE4294967295ELNS1_3gpuE0ELNS1_3repE0EEENS1_36merge_oddeven_config_static_selectorELNS0_4arch9wavefront6targetE1EEEvSF_ ; -- Begin function _ZN7rocprim17ROCPRIM_400000_NS6detail17trampoline_kernelINS0_14default_configENS1_38merge_sort_block_merge_config_selectorIiNS0_10empty_typeEEEZZNS1_27merge_sort_block_merge_implIS3_PiPS5_jNS1_19radix_merge_compareILb1ELb0EiNS0_19identity_decomposerEEEEE10hipError_tT0_T1_T2_jT3_P12ihipStream_tbPNSt15iterator_traitsISE_E10value_typeEPNSK_ISF_E10value_typeEPSG_NS1_7vsmem_tEENKUlT_SE_SF_SG_E_clIS8_S8_S9_S9_EESD_ST_SE_SF_SG_EUlST_E1_NS1_11comp_targetILNS1_3genE0ELNS1_11target_archE4294967295ELNS1_3gpuE0ELNS1_3repE0EEENS1_36merge_oddeven_config_static_selectorELNS0_4arch9wavefront6targetE1EEEvSF_
	.globl	_ZN7rocprim17ROCPRIM_400000_NS6detail17trampoline_kernelINS0_14default_configENS1_38merge_sort_block_merge_config_selectorIiNS0_10empty_typeEEEZZNS1_27merge_sort_block_merge_implIS3_PiPS5_jNS1_19radix_merge_compareILb1ELb0EiNS0_19identity_decomposerEEEEE10hipError_tT0_T1_T2_jT3_P12ihipStream_tbPNSt15iterator_traitsISE_E10value_typeEPNSK_ISF_E10value_typeEPSG_NS1_7vsmem_tEENKUlT_SE_SF_SG_E_clIS8_S8_S9_S9_EESD_ST_SE_SF_SG_EUlST_E1_NS1_11comp_targetILNS1_3genE0ELNS1_11target_archE4294967295ELNS1_3gpuE0ELNS1_3repE0EEENS1_36merge_oddeven_config_static_selectorELNS0_4arch9wavefront6targetE1EEEvSF_
	.p2align	8
	.type	_ZN7rocprim17ROCPRIM_400000_NS6detail17trampoline_kernelINS0_14default_configENS1_38merge_sort_block_merge_config_selectorIiNS0_10empty_typeEEEZZNS1_27merge_sort_block_merge_implIS3_PiPS5_jNS1_19radix_merge_compareILb1ELb0EiNS0_19identity_decomposerEEEEE10hipError_tT0_T1_T2_jT3_P12ihipStream_tbPNSt15iterator_traitsISE_E10value_typeEPNSK_ISF_E10value_typeEPSG_NS1_7vsmem_tEENKUlT_SE_SF_SG_E_clIS8_S8_S9_S9_EESD_ST_SE_SF_SG_EUlST_E1_NS1_11comp_targetILNS1_3genE0ELNS1_11target_archE4294967295ELNS1_3gpuE0ELNS1_3repE0EEENS1_36merge_oddeven_config_static_selectorELNS0_4arch9wavefront6targetE1EEEvSF_,@function
_ZN7rocprim17ROCPRIM_400000_NS6detail17trampoline_kernelINS0_14default_configENS1_38merge_sort_block_merge_config_selectorIiNS0_10empty_typeEEEZZNS1_27merge_sort_block_merge_implIS3_PiPS5_jNS1_19radix_merge_compareILb1ELb0EiNS0_19identity_decomposerEEEEE10hipError_tT0_T1_T2_jT3_P12ihipStream_tbPNSt15iterator_traitsISE_E10value_typeEPNSK_ISF_E10value_typeEPSG_NS1_7vsmem_tEENKUlT_SE_SF_SG_E_clIS8_S8_S9_S9_EESD_ST_SE_SF_SG_EUlST_E1_NS1_11comp_targetILNS1_3genE0ELNS1_11target_archE4294967295ELNS1_3gpuE0ELNS1_3repE0EEENS1_36merge_oddeven_config_static_selectorELNS0_4arch9wavefront6targetE1EEEvSF_: ; @_ZN7rocprim17ROCPRIM_400000_NS6detail17trampoline_kernelINS0_14default_configENS1_38merge_sort_block_merge_config_selectorIiNS0_10empty_typeEEEZZNS1_27merge_sort_block_merge_implIS3_PiPS5_jNS1_19radix_merge_compareILb1ELb0EiNS0_19identity_decomposerEEEEE10hipError_tT0_T1_T2_jT3_P12ihipStream_tbPNSt15iterator_traitsISE_E10value_typeEPNSK_ISF_E10value_typeEPSG_NS1_7vsmem_tEENKUlT_SE_SF_SG_E_clIS8_S8_S9_S9_EESD_ST_SE_SF_SG_EUlST_E1_NS1_11comp_targetILNS1_3genE0ELNS1_11target_archE4294967295ELNS1_3gpuE0ELNS1_3repE0EEENS1_36merge_oddeven_config_static_selectorELNS0_4arch9wavefront6targetE1EEEvSF_
; %bb.0:
	.section	.rodata,"a",@progbits
	.p2align	6, 0x0
	.amdhsa_kernel _ZN7rocprim17ROCPRIM_400000_NS6detail17trampoline_kernelINS0_14default_configENS1_38merge_sort_block_merge_config_selectorIiNS0_10empty_typeEEEZZNS1_27merge_sort_block_merge_implIS3_PiPS5_jNS1_19radix_merge_compareILb1ELb0EiNS0_19identity_decomposerEEEEE10hipError_tT0_T1_T2_jT3_P12ihipStream_tbPNSt15iterator_traitsISE_E10value_typeEPNSK_ISF_E10value_typeEPSG_NS1_7vsmem_tEENKUlT_SE_SF_SG_E_clIS8_S8_S9_S9_EESD_ST_SE_SF_SG_EUlST_E1_NS1_11comp_targetILNS1_3genE0ELNS1_11target_archE4294967295ELNS1_3gpuE0ELNS1_3repE0EEENS1_36merge_oddeven_config_static_selectorELNS0_4arch9wavefront6targetE1EEEvSF_
		.amdhsa_group_segment_fixed_size 0
		.amdhsa_private_segment_fixed_size 0
		.amdhsa_kernarg_size 48
		.amdhsa_user_sgpr_count 6
		.amdhsa_user_sgpr_private_segment_buffer 1
		.amdhsa_user_sgpr_dispatch_ptr 0
		.amdhsa_user_sgpr_queue_ptr 0
		.amdhsa_user_sgpr_kernarg_segment_ptr 1
		.amdhsa_user_sgpr_dispatch_id 0
		.amdhsa_user_sgpr_flat_scratch_init 0
		.amdhsa_user_sgpr_kernarg_preload_length 0
		.amdhsa_user_sgpr_kernarg_preload_offset 0
		.amdhsa_user_sgpr_private_segment_size 0
		.amdhsa_uses_dynamic_stack 0
		.amdhsa_system_sgpr_private_segment_wavefront_offset 0
		.amdhsa_system_sgpr_workgroup_id_x 1
		.amdhsa_system_sgpr_workgroup_id_y 0
		.amdhsa_system_sgpr_workgroup_id_z 0
		.amdhsa_system_sgpr_workgroup_info 0
		.amdhsa_system_vgpr_workitem_id 0
		.amdhsa_next_free_vgpr 1
		.amdhsa_next_free_sgpr 0
		.amdhsa_accum_offset 4
		.amdhsa_reserve_vcc 0
		.amdhsa_reserve_flat_scratch 0
		.amdhsa_float_round_mode_32 0
		.amdhsa_float_round_mode_16_64 0
		.amdhsa_float_denorm_mode_32 3
		.amdhsa_float_denorm_mode_16_64 3
		.amdhsa_dx10_clamp 1
		.amdhsa_ieee_mode 1
		.amdhsa_fp16_overflow 0
		.amdhsa_tg_split 0
		.amdhsa_exception_fp_ieee_invalid_op 0
		.amdhsa_exception_fp_denorm_src 0
		.amdhsa_exception_fp_ieee_div_zero 0
		.amdhsa_exception_fp_ieee_overflow 0
		.amdhsa_exception_fp_ieee_underflow 0
		.amdhsa_exception_fp_ieee_inexact 0
		.amdhsa_exception_int_div_zero 0
	.end_amdhsa_kernel
	.section	.text._ZN7rocprim17ROCPRIM_400000_NS6detail17trampoline_kernelINS0_14default_configENS1_38merge_sort_block_merge_config_selectorIiNS0_10empty_typeEEEZZNS1_27merge_sort_block_merge_implIS3_PiPS5_jNS1_19radix_merge_compareILb1ELb0EiNS0_19identity_decomposerEEEEE10hipError_tT0_T1_T2_jT3_P12ihipStream_tbPNSt15iterator_traitsISE_E10value_typeEPNSK_ISF_E10value_typeEPSG_NS1_7vsmem_tEENKUlT_SE_SF_SG_E_clIS8_S8_S9_S9_EESD_ST_SE_SF_SG_EUlST_E1_NS1_11comp_targetILNS1_3genE0ELNS1_11target_archE4294967295ELNS1_3gpuE0ELNS1_3repE0EEENS1_36merge_oddeven_config_static_selectorELNS0_4arch9wavefront6targetE1EEEvSF_,"axG",@progbits,_ZN7rocprim17ROCPRIM_400000_NS6detail17trampoline_kernelINS0_14default_configENS1_38merge_sort_block_merge_config_selectorIiNS0_10empty_typeEEEZZNS1_27merge_sort_block_merge_implIS3_PiPS5_jNS1_19radix_merge_compareILb1ELb0EiNS0_19identity_decomposerEEEEE10hipError_tT0_T1_T2_jT3_P12ihipStream_tbPNSt15iterator_traitsISE_E10value_typeEPNSK_ISF_E10value_typeEPSG_NS1_7vsmem_tEENKUlT_SE_SF_SG_E_clIS8_S8_S9_S9_EESD_ST_SE_SF_SG_EUlST_E1_NS1_11comp_targetILNS1_3genE0ELNS1_11target_archE4294967295ELNS1_3gpuE0ELNS1_3repE0EEENS1_36merge_oddeven_config_static_selectorELNS0_4arch9wavefront6targetE1EEEvSF_,comdat
.Lfunc_end1962:
	.size	_ZN7rocprim17ROCPRIM_400000_NS6detail17trampoline_kernelINS0_14default_configENS1_38merge_sort_block_merge_config_selectorIiNS0_10empty_typeEEEZZNS1_27merge_sort_block_merge_implIS3_PiPS5_jNS1_19radix_merge_compareILb1ELb0EiNS0_19identity_decomposerEEEEE10hipError_tT0_T1_T2_jT3_P12ihipStream_tbPNSt15iterator_traitsISE_E10value_typeEPNSK_ISF_E10value_typeEPSG_NS1_7vsmem_tEENKUlT_SE_SF_SG_E_clIS8_S8_S9_S9_EESD_ST_SE_SF_SG_EUlST_E1_NS1_11comp_targetILNS1_3genE0ELNS1_11target_archE4294967295ELNS1_3gpuE0ELNS1_3repE0EEENS1_36merge_oddeven_config_static_selectorELNS0_4arch9wavefront6targetE1EEEvSF_, .Lfunc_end1962-_ZN7rocprim17ROCPRIM_400000_NS6detail17trampoline_kernelINS0_14default_configENS1_38merge_sort_block_merge_config_selectorIiNS0_10empty_typeEEEZZNS1_27merge_sort_block_merge_implIS3_PiPS5_jNS1_19radix_merge_compareILb1ELb0EiNS0_19identity_decomposerEEEEE10hipError_tT0_T1_T2_jT3_P12ihipStream_tbPNSt15iterator_traitsISE_E10value_typeEPNSK_ISF_E10value_typeEPSG_NS1_7vsmem_tEENKUlT_SE_SF_SG_E_clIS8_S8_S9_S9_EESD_ST_SE_SF_SG_EUlST_E1_NS1_11comp_targetILNS1_3genE0ELNS1_11target_archE4294967295ELNS1_3gpuE0ELNS1_3repE0EEENS1_36merge_oddeven_config_static_selectorELNS0_4arch9wavefront6targetE1EEEvSF_
                                        ; -- End function
	.section	.AMDGPU.csdata,"",@progbits
; Kernel info:
; codeLenInByte = 0
; NumSgprs: 4
; NumVgprs: 0
; NumAgprs: 0
; TotalNumVgprs: 0
; ScratchSize: 0
; MemoryBound: 0
; FloatMode: 240
; IeeeMode: 1
; LDSByteSize: 0 bytes/workgroup (compile time only)
; SGPRBlocks: 0
; VGPRBlocks: 0
; NumSGPRsForWavesPerEU: 4
; NumVGPRsForWavesPerEU: 1
; AccumOffset: 4
; Occupancy: 8
; WaveLimiterHint : 0
; COMPUTE_PGM_RSRC2:SCRATCH_EN: 0
; COMPUTE_PGM_RSRC2:USER_SGPR: 6
; COMPUTE_PGM_RSRC2:TRAP_HANDLER: 0
; COMPUTE_PGM_RSRC2:TGID_X_EN: 1
; COMPUTE_PGM_RSRC2:TGID_Y_EN: 0
; COMPUTE_PGM_RSRC2:TGID_Z_EN: 0
; COMPUTE_PGM_RSRC2:TIDIG_COMP_CNT: 0
; COMPUTE_PGM_RSRC3_GFX90A:ACCUM_OFFSET: 0
; COMPUTE_PGM_RSRC3_GFX90A:TG_SPLIT: 0
	.section	.text._ZN7rocprim17ROCPRIM_400000_NS6detail17trampoline_kernelINS0_14default_configENS1_38merge_sort_block_merge_config_selectorIiNS0_10empty_typeEEEZZNS1_27merge_sort_block_merge_implIS3_PiPS5_jNS1_19radix_merge_compareILb1ELb0EiNS0_19identity_decomposerEEEEE10hipError_tT0_T1_T2_jT3_P12ihipStream_tbPNSt15iterator_traitsISE_E10value_typeEPNSK_ISF_E10value_typeEPSG_NS1_7vsmem_tEENKUlT_SE_SF_SG_E_clIS8_S8_S9_S9_EESD_ST_SE_SF_SG_EUlST_E1_NS1_11comp_targetILNS1_3genE10ELNS1_11target_archE1201ELNS1_3gpuE5ELNS1_3repE0EEENS1_36merge_oddeven_config_static_selectorELNS0_4arch9wavefront6targetE1EEEvSF_,"axG",@progbits,_ZN7rocprim17ROCPRIM_400000_NS6detail17trampoline_kernelINS0_14default_configENS1_38merge_sort_block_merge_config_selectorIiNS0_10empty_typeEEEZZNS1_27merge_sort_block_merge_implIS3_PiPS5_jNS1_19radix_merge_compareILb1ELb0EiNS0_19identity_decomposerEEEEE10hipError_tT0_T1_T2_jT3_P12ihipStream_tbPNSt15iterator_traitsISE_E10value_typeEPNSK_ISF_E10value_typeEPSG_NS1_7vsmem_tEENKUlT_SE_SF_SG_E_clIS8_S8_S9_S9_EESD_ST_SE_SF_SG_EUlST_E1_NS1_11comp_targetILNS1_3genE10ELNS1_11target_archE1201ELNS1_3gpuE5ELNS1_3repE0EEENS1_36merge_oddeven_config_static_selectorELNS0_4arch9wavefront6targetE1EEEvSF_,comdat
	.protected	_ZN7rocprim17ROCPRIM_400000_NS6detail17trampoline_kernelINS0_14default_configENS1_38merge_sort_block_merge_config_selectorIiNS0_10empty_typeEEEZZNS1_27merge_sort_block_merge_implIS3_PiPS5_jNS1_19radix_merge_compareILb1ELb0EiNS0_19identity_decomposerEEEEE10hipError_tT0_T1_T2_jT3_P12ihipStream_tbPNSt15iterator_traitsISE_E10value_typeEPNSK_ISF_E10value_typeEPSG_NS1_7vsmem_tEENKUlT_SE_SF_SG_E_clIS8_S8_S9_S9_EESD_ST_SE_SF_SG_EUlST_E1_NS1_11comp_targetILNS1_3genE10ELNS1_11target_archE1201ELNS1_3gpuE5ELNS1_3repE0EEENS1_36merge_oddeven_config_static_selectorELNS0_4arch9wavefront6targetE1EEEvSF_ ; -- Begin function _ZN7rocprim17ROCPRIM_400000_NS6detail17trampoline_kernelINS0_14default_configENS1_38merge_sort_block_merge_config_selectorIiNS0_10empty_typeEEEZZNS1_27merge_sort_block_merge_implIS3_PiPS5_jNS1_19radix_merge_compareILb1ELb0EiNS0_19identity_decomposerEEEEE10hipError_tT0_T1_T2_jT3_P12ihipStream_tbPNSt15iterator_traitsISE_E10value_typeEPNSK_ISF_E10value_typeEPSG_NS1_7vsmem_tEENKUlT_SE_SF_SG_E_clIS8_S8_S9_S9_EESD_ST_SE_SF_SG_EUlST_E1_NS1_11comp_targetILNS1_3genE10ELNS1_11target_archE1201ELNS1_3gpuE5ELNS1_3repE0EEENS1_36merge_oddeven_config_static_selectorELNS0_4arch9wavefront6targetE1EEEvSF_
	.globl	_ZN7rocprim17ROCPRIM_400000_NS6detail17trampoline_kernelINS0_14default_configENS1_38merge_sort_block_merge_config_selectorIiNS0_10empty_typeEEEZZNS1_27merge_sort_block_merge_implIS3_PiPS5_jNS1_19radix_merge_compareILb1ELb0EiNS0_19identity_decomposerEEEEE10hipError_tT0_T1_T2_jT3_P12ihipStream_tbPNSt15iterator_traitsISE_E10value_typeEPNSK_ISF_E10value_typeEPSG_NS1_7vsmem_tEENKUlT_SE_SF_SG_E_clIS8_S8_S9_S9_EESD_ST_SE_SF_SG_EUlST_E1_NS1_11comp_targetILNS1_3genE10ELNS1_11target_archE1201ELNS1_3gpuE5ELNS1_3repE0EEENS1_36merge_oddeven_config_static_selectorELNS0_4arch9wavefront6targetE1EEEvSF_
	.p2align	8
	.type	_ZN7rocprim17ROCPRIM_400000_NS6detail17trampoline_kernelINS0_14default_configENS1_38merge_sort_block_merge_config_selectorIiNS0_10empty_typeEEEZZNS1_27merge_sort_block_merge_implIS3_PiPS5_jNS1_19radix_merge_compareILb1ELb0EiNS0_19identity_decomposerEEEEE10hipError_tT0_T1_T2_jT3_P12ihipStream_tbPNSt15iterator_traitsISE_E10value_typeEPNSK_ISF_E10value_typeEPSG_NS1_7vsmem_tEENKUlT_SE_SF_SG_E_clIS8_S8_S9_S9_EESD_ST_SE_SF_SG_EUlST_E1_NS1_11comp_targetILNS1_3genE10ELNS1_11target_archE1201ELNS1_3gpuE5ELNS1_3repE0EEENS1_36merge_oddeven_config_static_selectorELNS0_4arch9wavefront6targetE1EEEvSF_,@function
_ZN7rocprim17ROCPRIM_400000_NS6detail17trampoline_kernelINS0_14default_configENS1_38merge_sort_block_merge_config_selectorIiNS0_10empty_typeEEEZZNS1_27merge_sort_block_merge_implIS3_PiPS5_jNS1_19radix_merge_compareILb1ELb0EiNS0_19identity_decomposerEEEEE10hipError_tT0_T1_T2_jT3_P12ihipStream_tbPNSt15iterator_traitsISE_E10value_typeEPNSK_ISF_E10value_typeEPSG_NS1_7vsmem_tEENKUlT_SE_SF_SG_E_clIS8_S8_S9_S9_EESD_ST_SE_SF_SG_EUlST_E1_NS1_11comp_targetILNS1_3genE10ELNS1_11target_archE1201ELNS1_3gpuE5ELNS1_3repE0EEENS1_36merge_oddeven_config_static_selectorELNS0_4arch9wavefront6targetE1EEEvSF_: ; @_ZN7rocprim17ROCPRIM_400000_NS6detail17trampoline_kernelINS0_14default_configENS1_38merge_sort_block_merge_config_selectorIiNS0_10empty_typeEEEZZNS1_27merge_sort_block_merge_implIS3_PiPS5_jNS1_19radix_merge_compareILb1ELb0EiNS0_19identity_decomposerEEEEE10hipError_tT0_T1_T2_jT3_P12ihipStream_tbPNSt15iterator_traitsISE_E10value_typeEPNSK_ISF_E10value_typeEPSG_NS1_7vsmem_tEENKUlT_SE_SF_SG_E_clIS8_S8_S9_S9_EESD_ST_SE_SF_SG_EUlST_E1_NS1_11comp_targetILNS1_3genE10ELNS1_11target_archE1201ELNS1_3gpuE5ELNS1_3repE0EEENS1_36merge_oddeven_config_static_selectorELNS0_4arch9wavefront6targetE1EEEvSF_
; %bb.0:
	.section	.rodata,"a",@progbits
	.p2align	6, 0x0
	.amdhsa_kernel _ZN7rocprim17ROCPRIM_400000_NS6detail17trampoline_kernelINS0_14default_configENS1_38merge_sort_block_merge_config_selectorIiNS0_10empty_typeEEEZZNS1_27merge_sort_block_merge_implIS3_PiPS5_jNS1_19radix_merge_compareILb1ELb0EiNS0_19identity_decomposerEEEEE10hipError_tT0_T1_T2_jT3_P12ihipStream_tbPNSt15iterator_traitsISE_E10value_typeEPNSK_ISF_E10value_typeEPSG_NS1_7vsmem_tEENKUlT_SE_SF_SG_E_clIS8_S8_S9_S9_EESD_ST_SE_SF_SG_EUlST_E1_NS1_11comp_targetILNS1_3genE10ELNS1_11target_archE1201ELNS1_3gpuE5ELNS1_3repE0EEENS1_36merge_oddeven_config_static_selectorELNS0_4arch9wavefront6targetE1EEEvSF_
		.amdhsa_group_segment_fixed_size 0
		.amdhsa_private_segment_fixed_size 0
		.amdhsa_kernarg_size 48
		.amdhsa_user_sgpr_count 6
		.amdhsa_user_sgpr_private_segment_buffer 1
		.amdhsa_user_sgpr_dispatch_ptr 0
		.amdhsa_user_sgpr_queue_ptr 0
		.amdhsa_user_sgpr_kernarg_segment_ptr 1
		.amdhsa_user_sgpr_dispatch_id 0
		.amdhsa_user_sgpr_flat_scratch_init 0
		.amdhsa_user_sgpr_kernarg_preload_length 0
		.amdhsa_user_sgpr_kernarg_preload_offset 0
		.amdhsa_user_sgpr_private_segment_size 0
		.amdhsa_uses_dynamic_stack 0
		.amdhsa_system_sgpr_private_segment_wavefront_offset 0
		.amdhsa_system_sgpr_workgroup_id_x 1
		.amdhsa_system_sgpr_workgroup_id_y 0
		.amdhsa_system_sgpr_workgroup_id_z 0
		.amdhsa_system_sgpr_workgroup_info 0
		.amdhsa_system_vgpr_workitem_id 0
		.amdhsa_next_free_vgpr 1
		.amdhsa_next_free_sgpr 0
		.amdhsa_accum_offset 4
		.amdhsa_reserve_vcc 0
		.amdhsa_reserve_flat_scratch 0
		.amdhsa_float_round_mode_32 0
		.amdhsa_float_round_mode_16_64 0
		.amdhsa_float_denorm_mode_32 3
		.amdhsa_float_denorm_mode_16_64 3
		.amdhsa_dx10_clamp 1
		.amdhsa_ieee_mode 1
		.amdhsa_fp16_overflow 0
		.amdhsa_tg_split 0
		.amdhsa_exception_fp_ieee_invalid_op 0
		.amdhsa_exception_fp_denorm_src 0
		.amdhsa_exception_fp_ieee_div_zero 0
		.amdhsa_exception_fp_ieee_overflow 0
		.amdhsa_exception_fp_ieee_underflow 0
		.amdhsa_exception_fp_ieee_inexact 0
		.amdhsa_exception_int_div_zero 0
	.end_amdhsa_kernel
	.section	.text._ZN7rocprim17ROCPRIM_400000_NS6detail17trampoline_kernelINS0_14default_configENS1_38merge_sort_block_merge_config_selectorIiNS0_10empty_typeEEEZZNS1_27merge_sort_block_merge_implIS3_PiPS5_jNS1_19radix_merge_compareILb1ELb0EiNS0_19identity_decomposerEEEEE10hipError_tT0_T1_T2_jT3_P12ihipStream_tbPNSt15iterator_traitsISE_E10value_typeEPNSK_ISF_E10value_typeEPSG_NS1_7vsmem_tEENKUlT_SE_SF_SG_E_clIS8_S8_S9_S9_EESD_ST_SE_SF_SG_EUlST_E1_NS1_11comp_targetILNS1_3genE10ELNS1_11target_archE1201ELNS1_3gpuE5ELNS1_3repE0EEENS1_36merge_oddeven_config_static_selectorELNS0_4arch9wavefront6targetE1EEEvSF_,"axG",@progbits,_ZN7rocprim17ROCPRIM_400000_NS6detail17trampoline_kernelINS0_14default_configENS1_38merge_sort_block_merge_config_selectorIiNS0_10empty_typeEEEZZNS1_27merge_sort_block_merge_implIS3_PiPS5_jNS1_19radix_merge_compareILb1ELb0EiNS0_19identity_decomposerEEEEE10hipError_tT0_T1_T2_jT3_P12ihipStream_tbPNSt15iterator_traitsISE_E10value_typeEPNSK_ISF_E10value_typeEPSG_NS1_7vsmem_tEENKUlT_SE_SF_SG_E_clIS8_S8_S9_S9_EESD_ST_SE_SF_SG_EUlST_E1_NS1_11comp_targetILNS1_3genE10ELNS1_11target_archE1201ELNS1_3gpuE5ELNS1_3repE0EEENS1_36merge_oddeven_config_static_selectorELNS0_4arch9wavefront6targetE1EEEvSF_,comdat
.Lfunc_end1963:
	.size	_ZN7rocprim17ROCPRIM_400000_NS6detail17trampoline_kernelINS0_14default_configENS1_38merge_sort_block_merge_config_selectorIiNS0_10empty_typeEEEZZNS1_27merge_sort_block_merge_implIS3_PiPS5_jNS1_19radix_merge_compareILb1ELb0EiNS0_19identity_decomposerEEEEE10hipError_tT0_T1_T2_jT3_P12ihipStream_tbPNSt15iterator_traitsISE_E10value_typeEPNSK_ISF_E10value_typeEPSG_NS1_7vsmem_tEENKUlT_SE_SF_SG_E_clIS8_S8_S9_S9_EESD_ST_SE_SF_SG_EUlST_E1_NS1_11comp_targetILNS1_3genE10ELNS1_11target_archE1201ELNS1_3gpuE5ELNS1_3repE0EEENS1_36merge_oddeven_config_static_selectorELNS0_4arch9wavefront6targetE1EEEvSF_, .Lfunc_end1963-_ZN7rocprim17ROCPRIM_400000_NS6detail17trampoline_kernelINS0_14default_configENS1_38merge_sort_block_merge_config_selectorIiNS0_10empty_typeEEEZZNS1_27merge_sort_block_merge_implIS3_PiPS5_jNS1_19radix_merge_compareILb1ELb0EiNS0_19identity_decomposerEEEEE10hipError_tT0_T1_T2_jT3_P12ihipStream_tbPNSt15iterator_traitsISE_E10value_typeEPNSK_ISF_E10value_typeEPSG_NS1_7vsmem_tEENKUlT_SE_SF_SG_E_clIS8_S8_S9_S9_EESD_ST_SE_SF_SG_EUlST_E1_NS1_11comp_targetILNS1_3genE10ELNS1_11target_archE1201ELNS1_3gpuE5ELNS1_3repE0EEENS1_36merge_oddeven_config_static_selectorELNS0_4arch9wavefront6targetE1EEEvSF_
                                        ; -- End function
	.section	.AMDGPU.csdata,"",@progbits
; Kernel info:
; codeLenInByte = 0
; NumSgprs: 4
; NumVgprs: 0
; NumAgprs: 0
; TotalNumVgprs: 0
; ScratchSize: 0
; MemoryBound: 0
; FloatMode: 240
; IeeeMode: 1
; LDSByteSize: 0 bytes/workgroup (compile time only)
; SGPRBlocks: 0
; VGPRBlocks: 0
; NumSGPRsForWavesPerEU: 4
; NumVGPRsForWavesPerEU: 1
; AccumOffset: 4
; Occupancy: 8
; WaveLimiterHint : 0
; COMPUTE_PGM_RSRC2:SCRATCH_EN: 0
; COMPUTE_PGM_RSRC2:USER_SGPR: 6
; COMPUTE_PGM_RSRC2:TRAP_HANDLER: 0
; COMPUTE_PGM_RSRC2:TGID_X_EN: 1
; COMPUTE_PGM_RSRC2:TGID_Y_EN: 0
; COMPUTE_PGM_RSRC2:TGID_Z_EN: 0
; COMPUTE_PGM_RSRC2:TIDIG_COMP_CNT: 0
; COMPUTE_PGM_RSRC3_GFX90A:ACCUM_OFFSET: 0
; COMPUTE_PGM_RSRC3_GFX90A:TG_SPLIT: 0
	.section	.text._ZN7rocprim17ROCPRIM_400000_NS6detail17trampoline_kernelINS0_14default_configENS1_38merge_sort_block_merge_config_selectorIiNS0_10empty_typeEEEZZNS1_27merge_sort_block_merge_implIS3_PiPS5_jNS1_19radix_merge_compareILb1ELb0EiNS0_19identity_decomposerEEEEE10hipError_tT0_T1_T2_jT3_P12ihipStream_tbPNSt15iterator_traitsISE_E10value_typeEPNSK_ISF_E10value_typeEPSG_NS1_7vsmem_tEENKUlT_SE_SF_SG_E_clIS8_S8_S9_S9_EESD_ST_SE_SF_SG_EUlST_E1_NS1_11comp_targetILNS1_3genE5ELNS1_11target_archE942ELNS1_3gpuE9ELNS1_3repE0EEENS1_36merge_oddeven_config_static_selectorELNS0_4arch9wavefront6targetE1EEEvSF_,"axG",@progbits,_ZN7rocprim17ROCPRIM_400000_NS6detail17trampoline_kernelINS0_14default_configENS1_38merge_sort_block_merge_config_selectorIiNS0_10empty_typeEEEZZNS1_27merge_sort_block_merge_implIS3_PiPS5_jNS1_19radix_merge_compareILb1ELb0EiNS0_19identity_decomposerEEEEE10hipError_tT0_T1_T2_jT3_P12ihipStream_tbPNSt15iterator_traitsISE_E10value_typeEPNSK_ISF_E10value_typeEPSG_NS1_7vsmem_tEENKUlT_SE_SF_SG_E_clIS8_S8_S9_S9_EESD_ST_SE_SF_SG_EUlST_E1_NS1_11comp_targetILNS1_3genE5ELNS1_11target_archE942ELNS1_3gpuE9ELNS1_3repE0EEENS1_36merge_oddeven_config_static_selectorELNS0_4arch9wavefront6targetE1EEEvSF_,comdat
	.protected	_ZN7rocprim17ROCPRIM_400000_NS6detail17trampoline_kernelINS0_14default_configENS1_38merge_sort_block_merge_config_selectorIiNS0_10empty_typeEEEZZNS1_27merge_sort_block_merge_implIS3_PiPS5_jNS1_19radix_merge_compareILb1ELb0EiNS0_19identity_decomposerEEEEE10hipError_tT0_T1_T2_jT3_P12ihipStream_tbPNSt15iterator_traitsISE_E10value_typeEPNSK_ISF_E10value_typeEPSG_NS1_7vsmem_tEENKUlT_SE_SF_SG_E_clIS8_S8_S9_S9_EESD_ST_SE_SF_SG_EUlST_E1_NS1_11comp_targetILNS1_3genE5ELNS1_11target_archE942ELNS1_3gpuE9ELNS1_3repE0EEENS1_36merge_oddeven_config_static_selectorELNS0_4arch9wavefront6targetE1EEEvSF_ ; -- Begin function _ZN7rocprim17ROCPRIM_400000_NS6detail17trampoline_kernelINS0_14default_configENS1_38merge_sort_block_merge_config_selectorIiNS0_10empty_typeEEEZZNS1_27merge_sort_block_merge_implIS3_PiPS5_jNS1_19radix_merge_compareILb1ELb0EiNS0_19identity_decomposerEEEEE10hipError_tT0_T1_T2_jT3_P12ihipStream_tbPNSt15iterator_traitsISE_E10value_typeEPNSK_ISF_E10value_typeEPSG_NS1_7vsmem_tEENKUlT_SE_SF_SG_E_clIS8_S8_S9_S9_EESD_ST_SE_SF_SG_EUlST_E1_NS1_11comp_targetILNS1_3genE5ELNS1_11target_archE942ELNS1_3gpuE9ELNS1_3repE0EEENS1_36merge_oddeven_config_static_selectorELNS0_4arch9wavefront6targetE1EEEvSF_
	.globl	_ZN7rocprim17ROCPRIM_400000_NS6detail17trampoline_kernelINS0_14default_configENS1_38merge_sort_block_merge_config_selectorIiNS0_10empty_typeEEEZZNS1_27merge_sort_block_merge_implIS3_PiPS5_jNS1_19radix_merge_compareILb1ELb0EiNS0_19identity_decomposerEEEEE10hipError_tT0_T1_T2_jT3_P12ihipStream_tbPNSt15iterator_traitsISE_E10value_typeEPNSK_ISF_E10value_typeEPSG_NS1_7vsmem_tEENKUlT_SE_SF_SG_E_clIS8_S8_S9_S9_EESD_ST_SE_SF_SG_EUlST_E1_NS1_11comp_targetILNS1_3genE5ELNS1_11target_archE942ELNS1_3gpuE9ELNS1_3repE0EEENS1_36merge_oddeven_config_static_selectorELNS0_4arch9wavefront6targetE1EEEvSF_
	.p2align	8
	.type	_ZN7rocprim17ROCPRIM_400000_NS6detail17trampoline_kernelINS0_14default_configENS1_38merge_sort_block_merge_config_selectorIiNS0_10empty_typeEEEZZNS1_27merge_sort_block_merge_implIS3_PiPS5_jNS1_19radix_merge_compareILb1ELb0EiNS0_19identity_decomposerEEEEE10hipError_tT0_T1_T2_jT3_P12ihipStream_tbPNSt15iterator_traitsISE_E10value_typeEPNSK_ISF_E10value_typeEPSG_NS1_7vsmem_tEENKUlT_SE_SF_SG_E_clIS8_S8_S9_S9_EESD_ST_SE_SF_SG_EUlST_E1_NS1_11comp_targetILNS1_3genE5ELNS1_11target_archE942ELNS1_3gpuE9ELNS1_3repE0EEENS1_36merge_oddeven_config_static_selectorELNS0_4arch9wavefront6targetE1EEEvSF_,@function
_ZN7rocprim17ROCPRIM_400000_NS6detail17trampoline_kernelINS0_14default_configENS1_38merge_sort_block_merge_config_selectorIiNS0_10empty_typeEEEZZNS1_27merge_sort_block_merge_implIS3_PiPS5_jNS1_19radix_merge_compareILb1ELb0EiNS0_19identity_decomposerEEEEE10hipError_tT0_T1_T2_jT3_P12ihipStream_tbPNSt15iterator_traitsISE_E10value_typeEPNSK_ISF_E10value_typeEPSG_NS1_7vsmem_tEENKUlT_SE_SF_SG_E_clIS8_S8_S9_S9_EESD_ST_SE_SF_SG_EUlST_E1_NS1_11comp_targetILNS1_3genE5ELNS1_11target_archE942ELNS1_3gpuE9ELNS1_3repE0EEENS1_36merge_oddeven_config_static_selectorELNS0_4arch9wavefront6targetE1EEEvSF_: ; @_ZN7rocprim17ROCPRIM_400000_NS6detail17trampoline_kernelINS0_14default_configENS1_38merge_sort_block_merge_config_selectorIiNS0_10empty_typeEEEZZNS1_27merge_sort_block_merge_implIS3_PiPS5_jNS1_19radix_merge_compareILb1ELb0EiNS0_19identity_decomposerEEEEE10hipError_tT0_T1_T2_jT3_P12ihipStream_tbPNSt15iterator_traitsISE_E10value_typeEPNSK_ISF_E10value_typeEPSG_NS1_7vsmem_tEENKUlT_SE_SF_SG_E_clIS8_S8_S9_S9_EESD_ST_SE_SF_SG_EUlST_E1_NS1_11comp_targetILNS1_3genE5ELNS1_11target_archE942ELNS1_3gpuE9ELNS1_3repE0EEENS1_36merge_oddeven_config_static_selectorELNS0_4arch9wavefront6targetE1EEEvSF_
; %bb.0:
	.section	.rodata,"a",@progbits
	.p2align	6, 0x0
	.amdhsa_kernel _ZN7rocprim17ROCPRIM_400000_NS6detail17trampoline_kernelINS0_14default_configENS1_38merge_sort_block_merge_config_selectorIiNS0_10empty_typeEEEZZNS1_27merge_sort_block_merge_implIS3_PiPS5_jNS1_19radix_merge_compareILb1ELb0EiNS0_19identity_decomposerEEEEE10hipError_tT0_T1_T2_jT3_P12ihipStream_tbPNSt15iterator_traitsISE_E10value_typeEPNSK_ISF_E10value_typeEPSG_NS1_7vsmem_tEENKUlT_SE_SF_SG_E_clIS8_S8_S9_S9_EESD_ST_SE_SF_SG_EUlST_E1_NS1_11comp_targetILNS1_3genE5ELNS1_11target_archE942ELNS1_3gpuE9ELNS1_3repE0EEENS1_36merge_oddeven_config_static_selectorELNS0_4arch9wavefront6targetE1EEEvSF_
		.amdhsa_group_segment_fixed_size 0
		.amdhsa_private_segment_fixed_size 0
		.amdhsa_kernarg_size 48
		.amdhsa_user_sgpr_count 6
		.amdhsa_user_sgpr_private_segment_buffer 1
		.amdhsa_user_sgpr_dispatch_ptr 0
		.amdhsa_user_sgpr_queue_ptr 0
		.amdhsa_user_sgpr_kernarg_segment_ptr 1
		.amdhsa_user_sgpr_dispatch_id 0
		.amdhsa_user_sgpr_flat_scratch_init 0
		.amdhsa_user_sgpr_kernarg_preload_length 0
		.amdhsa_user_sgpr_kernarg_preload_offset 0
		.amdhsa_user_sgpr_private_segment_size 0
		.amdhsa_uses_dynamic_stack 0
		.amdhsa_system_sgpr_private_segment_wavefront_offset 0
		.amdhsa_system_sgpr_workgroup_id_x 1
		.amdhsa_system_sgpr_workgroup_id_y 0
		.amdhsa_system_sgpr_workgroup_id_z 0
		.amdhsa_system_sgpr_workgroup_info 0
		.amdhsa_system_vgpr_workitem_id 0
		.amdhsa_next_free_vgpr 1
		.amdhsa_next_free_sgpr 0
		.amdhsa_accum_offset 4
		.amdhsa_reserve_vcc 0
		.amdhsa_reserve_flat_scratch 0
		.amdhsa_float_round_mode_32 0
		.amdhsa_float_round_mode_16_64 0
		.amdhsa_float_denorm_mode_32 3
		.amdhsa_float_denorm_mode_16_64 3
		.amdhsa_dx10_clamp 1
		.amdhsa_ieee_mode 1
		.amdhsa_fp16_overflow 0
		.amdhsa_tg_split 0
		.amdhsa_exception_fp_ieee_invalid_op 0
		.amdhsa_exception_fp_denorm_src 0
		.amdhsa_exception_fp_ieee_div_zero 0
		.amdhsa_exception_fp_ieee_overflow 0
		.amdhsa_exception_fp_ieee_underflow 0
		.amdhsa_exception_fp_ieee_inexact 0
		.amdhsa_exception_int_div_zero 0
	.end_amdhsa_kernel
	.section	.text._ZN7rocprim17ROCPRIM_400000_NS6detail17trampoline_kernelINS0_14default_configENS1_38merge_sort_block_merge_config_selectorIiNS0_10empty_typeEEEZZNS1_27merge_sort_block_merge_implIS3_PiPS5_jNS1_19radix_merge_compareILb1ELb0EiNS0_19identity_decomposerEEEEE10hipError_tT0_T1_T2_jT3_P12ihipStream_tbPNSt15iterator_traitsISE_E10value_typeEPNSK_ISF_E10value_typeEPSG_NS1_7vsmem_tEENKUlT_SE_SF_SG_E_clIS8_S8_S9_S9_EESD_ST_SE_SF_SG_EUlST_E1_NS1_11comp_targetILNS1_3genE5ELNS1_11target_archE942ELNS1_3gpuE9ELNS1_3repE0EEENS1_36merge_oddeven_config_static_selectorELNS0_4arch9wavefront6targetE1EEEvSF_,"axG",@progbits,_ZN7rocprim17ROCPRIM_400000_NS6detail17trampoline_kernelINS0_14default_configENS1_38merge_sort_block_merge_config_selectorIiNS0_10empty_typeEEEZZNS1_27merge_sort_block_merge_implIS3_PiPS5_jNS1_19radix_merge_compareILb1ELb0EiNS0_19identity_decomposerEEEEE10hipError_tT0_T1_T2_jT3_P12ihipStream_tbPNSt15iterator_traitsISE_E10value_typeEPNSK_ISF_E10value_typeEPSG_NS1_7vsmem_tEENKUlT_SE_SF_SG_E_clIS8_S8_S9_S9_EESD_ST_SE_SF_SG_EUlST_E1_NS1_11comp_targetILNS1_3genE5ELNS1_11target_archE942ELNS1_3gpuE9ELNS1_3repE0EEENS1_36merge_oddeven_config_static_selectorELNS0_4arch9wavefront6targetE1EEEvSF_,comdat
.Lfunc_end1964:
	.size	_ZN7rocprim17ROCPRIM_400000_NS6detail17trampoline_kernelINS0_14default_configENS1_38merge_sort_block_merge_config_selectorIiNS0_10empty_typeEEEZZNS1_27merge_sort_block_merge_implIS3_PiPS5_jNS1_19radix_merge_compareILb1ELb0EiNS0_19identity_decomposerEEEEE10hipError_tT0_T1_T2_jT3_P12ihipStream_tbPNSt15iterator_traitsISE_E10value_typeEPNSK_ISF_E10value_typeEPSG_NS1_7vsmem_tEENKUlT_SE_SF_SG_E_clIS8_S8_S9_S9_EESD_ST_SE_SF_SG_EUlST_E1_NS1_11comp_targetILNS1_3genE5ELNS1_11target_archE942ELNS1_3gpuE9ELNS1_3repE0EEENS1_36merge_oddeven_config_static_selectorELNS0_4arch9wavefront6targetE1EEEvSF_, .Lfunc_end1964-_ZN7rocprim17ROCPRIM_400000_NS6detail17trampoline_kernelINS0_14default_configENS1_38merge_sort_block_merge_config_selectorIiNS0_10empty_typeEEEZZNS1_27merge_sort_block_merge_implIS3_PiPS5_jNS1_19radix_merge_compareILb1ELb0EiNS0_19identity_decomposerEEEEE10hipError_tT0_T1_T2_jT3_P12ihipStream_tbPNSt15iterator_traitsISE_E10value_typeEPNSK_ISF_E10value_typeEPSG_NS1_7vsmem_tEENKUlT_SE_SF_SG_E_clIS8_S8_S9_S9_EESD_ST_SE_SF_SG_EUlST_E1_NS1_11comp_targetILNS1_3genE5ELNS1_11target_archE942ELNS1_3gpuE9ELNS1_3repE0EEENS1_36merge_oddeven_config_static_selectorELNS0_4arch9wavefront6targetE1EEEvSF_
                                        ; -- End function
	.section	.AMDGPU.csdata,"",@progbits
; Kernel info:
; codeLenInByte = 0
; NumSgprs: 4
; NumVgprs: 0
; NumAgprs: 0
; TotalNumVgprs: 0
; ScratchSize: 0
; MemoryBound: 0
; FloatMode: 240
; IeeeMode: 1
; LDSByteSize: 0 bytes/workgroup (compile time only)
; SGPRBlocks: 0
; VGPRBlocks: 0
; NumSGPRsForWavesPerEU: 4
; NumVGPRsForWavesPerEU: 1
; AccumOffset: 4
; Occupancy: 8
; WaveLimiterHint : 0
; COMPUTE_PGM_RSRC2:SCRATCH_EN: 0
; COMPUTE_PGM_RSRC2:USER_SGPR: 6
; COMPUTE_PGM_RSRC2:TRAP_HANDLER: 0
; COMPUTE_PGM_RSRC2:TGID_X_EN: 1
; COMPUTE_PGM_RSRC2:TGID_Y_EN: 0
; COMPUTE_PGM_RSRC2:TGID_Z_EN: 0
; COMPUTE_PGM_RSRC2:TIDIG_COMP_CNT: 0
; COMPUTE_PGM_RSRC3_GFX90A:ACCUM_OFFSET: 0
; COMPUTE_PGM_RSRC3_GFX90A:TG_SPLIT: 0
	.section	.text._ZN7rocprim17ROCPRIM_400000_NS6detail17trampoline_kernelINS0_14default_configENS1_38merge_sort_block_merge_config_selectorIiNS0_10empty_typeEEEZZNS1_27merge_sort_block_merge_implIS3_PiPS5_jNS1_19radix_merge_compareILb1ELb0EiNS0_19identity_decomposerEEEEE10hipError_tT0_T1_T2_jT3_P12ihipStream_tbPNSt15iterator_traitsISE_E10value_typeEPNSK_ISF_E10value_typeEPSG_NS1_7vsmem_tEENKUlT_SE_SF_SG_E_clIS8_S8_S9_S9_EESD_ST_SE_SF_SG_EUlST_E1_NS1_11comp_targetILNS1_3genE4ELNS1_11target_archE910ELNS1_3gpuE8ELNS1_3repE0EEENS1_36merge_oddeven_config_static_selectorELNS0_4arch9wavefront6targetE1EEEvSF_,"axG",@progbits,_ZN7rocprim17ROCPRIM_400000_NS6detail17trampoline_kernelINS0_14default_configENS1_38merge_sort_block_merge_config_selectorIiNS0_10empty_typeEEEZZNS1_27merge_sort_block_merge_implIS3_PiPS5_jNS1_19radix_merge_compareILb1ELb0EiNS0_19identity_decomposerEEEEE10hipError_tT0_T1_T2_jT3_P12ihipStream_tbPNSt15iterator_traitsISE_E10value_typeEPNSK_ISF_E10value_typeEPSG_NS1_7vsmem_tEENKUlT_SE_SF_SG_E_clIS8_S8_S9_S9_EESD_ST_SE_SF_SG_EUlST_E1_NS1_11comp_targetILNS1_3genE4ELNS1_11target_archE910ELNS1_3gpuE8ELNS1_3repE0EEENS1_36merge_oddeven_config_static_selectorELNS0_4arch9wavefront6targetE1EEEvSF_,comdat
	.protected	_ZN7rocprim17ROCPRIM_400000_NS6detail17trampoline_kernelINS0_14default_configENS1_38merge_sort_block_merge_config_selectorIiNS0_10empty_typeEEEZZNS1_27merge_sort_block_merge_implIS3_PiPS5_jNS1_19radix_merge_compareILb1ELb0EiNS0_19identity_decomposerEEEEE10hipError_tT0_T1_T2_jT3_P12ihipStream_tbPNSt15iterator_traitsISE_E10value_typeEPNSK_ISF_E10value_typeEPSG_NS1_7vsmem_tEENKUlT_SE_SF_SG_E_clIS8_S8_S9_S9_EESD_ST_SE_SF_SG_EUlST_E1_NS1_11comp_targetILNS1_3genE4ELNS1_11target_archE910ELNS1_3gpuE8ELNS1_3repE0EEENS1_36merge_oddeven_config_static_selectorELNS0_4arch9wavefront6targetE1EEEvSF_ ; -- Begin function _ZN7rocprim17ROCPRIM_400000_NS6detail17trampoline_kernelINS0_14default_configENS1_38merge_sort_block_merge_config_selectorIiNS0_10empty_typeEEEZZNS1_27merge_sort_block_merge_implIS3_PiPS5_jNS1_19radix_merge_compareILb1ELb0EiNS0_19identity_decomposerEEEEE10hipError_tT0_T1_T2_jT3_P12ihipStream_tbPNSt15iterator_traitsISE_E10value_typeEPNSK_ISF_E10value_typeEPSG_NS1_7vsmem_tEENKUlT_SE_SF_SG_E_clIS8_S8_S9_S9_EESD_ST_SE_SF_SG_EUlST_E1_NS1_11comp_targetILNS1_3genE4ELNS1_11target_archE910ELNS1_3gpuE8ELNS1_3repE0EEENS1_36merge_oddeven_config_static_selectorELNS0_4arch9wavefront6targetE1EEEvSF_
	.globl	_ZN7rocprim17ROCPRIM_400000_NS6detail17trampoline_kernelINS0_14default_configENS1_38merge_sort_block_merge_config_selectorIiNS0_10empty_typeEEEZZNS1_27merge_sort_block_merge_implIS3_PiPS5_jNS1_19radix_merge_compareILb1ELb0EiNS0_19identity_decomposerEEEEE10hipError_tT0_T1_T2_jT3_P12ihipStream_tbPNSt15iterator_traitsISE_E10value_typeEPNSK_ISF_E10value_typeEPSG_NS1_7vsmem_tEENKUlT_SE_SF_SG_E_clIS8_S8_S9_S9_EESD_ST_SE_SF_SG_EUlST_E1_NS1_11comp_targetILNS1_3genE4ELNS1_11target_archE910ELNS1_3gpuE8ELNS1_3repE0EEENS1_36merge_oddeven_config_static_selectorELNS0_4arch9wavefront6targetE1EEEvSF_
	.p2align	8
	.type	_ZN7rocprim17ROCPRIM_400000_NS6detail17trampoline_kernelINS0_14default_configENS1_38merge_sort_block_merge_config_selectorIiNS0_10empty_typeEEEZZNS1_27merge_sort_block_merge_implIS3_PiPS5_jNS1_19radix_merge_compareILb1ELb0EiNS0_19identity_decomposerEEEEE10hipError_tT0_T1_T2_jT3_P12ihipStream_tbPNSt15iterator_traitsISE_E10value_typeEPNSK_ISF_E10value_typeEPSG_NS1_7vsmem_tEENKUlT_SE_SF_SG_E_clIS8_S8_S9_S9_EESD_ST_SE_SF_SG_EUlST_E1_NS1_11comp_targetILNS1_3genE4ELNS1_11target_archE910ELNS1_3gpuE8ELNS1_3repE0EEENS1_36merge_oddeven_config_static_selectorELNS0_4arch9wavefront6targetE1EEEvSF_,@function
_ZN7rocprim17ROCPRIM_400000_NS6detail17trampoline_kernelINS0_14default_configENS1_38merge_sort_block_merge_config_selectorIiNS0_10empty_typeEEEZZNS1_27merge_sort_block_merge_implIS3_PiPS5_jNS1_19radix_merge_compareILb1ELb0EiNS0_19identity_decomposerEEEEE10hipError_tT0_T1_T2_jT3_P12ihipStream_tbPNSt15iterator_traitsISE_E10value_typeEPNSK_ISF_E10value_typeEPSG_NS1_7vsmem_tEENKUlT_SE_SF_SG_E_clIS8_S8_S9_S9_EESD_ST_SE_SF_SG_EUlST_E1_NS1_11comp_targetILNS1_3genE4ELNS1_11target_archE910ELNS1_3gpuE8ELNS1_3repE0EEENS1_36merge_oddeven_config_static_selectorELNS0_4arch9wavefront6targetE1EEEvSF_: ; @_ZN7rocprim17ROCPRIM_400000_NS6detail17trampoline_kernelINS0_14default_configENS1_38merge_sort_block_merge_config_selectorIiNS0_10empty_typeEEEZZNS1_27merge_sort_block_merge_implIS3_PiPS5_jNS1_19radix_merge_compareILb1ELb0EiNS0_19identity_decomposerEEEEE10hipError_tT0_T1_T2_jT3_P12ihipStream_tbPNSt15iterator_traitsISE_E10value_typeEPNSK_ISF_E10value_typeEPSG_NS1_7vsmem_tEENKUlT_SE_SF_SG_E_clIS8_S8_S9_S9_EESD_ST_SE_SF_SG_EUlST_E1_NS1_11comp_targetILNS1_3genE4ELNS1_11target_archE910ELNS1_3gpuE8ELNS1_3repE0EEENS1_36merge_oddeven_config_static_selectorELNS0_4arch9wavefront6targetE1EEEvSF_
; %bb.0:
	s_load_dword s18, s[4:5], 0x20
	s_waitcnt lgkmcnt(0)
	s_lshr_b32 s0, s18, 8
	s_cmp_lg_u32 s6, s0
	s_cselect_b64 s[14:15], -1, 0
	s_cmp_eq_u32 s6, s0
	s_cselect_b64 s[12:13], -1, 0
	s_lshl_b32 s16, s6, 8
	s_sub_i32 s0, s18, s16
	v_cmp_gt_u32_e64 s[2:3], s0, v0
	s_or_b64 s[0:1], s[14:15], s[2:3]
	s_and_saveexec_b64 s[8:9], s[0:1]
	s_cbranch_execz .LBB1965_20
; %bb.1:
	s_load_dwordx4 s[8:11], s[4:5], 0x0
	s_load_dword s19, s[4:5], 0x24
	s_mov_b32 s17, 0
	s_lshl_b64 s[0:1], s[16:17], 2
	v_lshlrev_b32_e32 v1, 2, v0
	s_waitcnt lgkmcnt(0)
	s_add_u32 s0, s8, s0
	s_addc_u32 s1, s9, s1
	global_load_dword v2, v1, s[0:1]
	s_lshr_b32 s0, s19, 8
	s_sub_i32 s1, 0, s0
	s_and_b32 s1, s6, s1
	s_and_b32 s0, s1, s0
	s_lshl_b32 s20, s1, 8
	s_sub_i32 s6, 0, s19
	s_cmp_eq_u32 s0, 0
	s_cselect_b64 s[0:1], -1, 0
	s_and_b64 s[4:5], s[0:1], exec
	s_cselect_b32 s17, s19, s6
	s_add_i32 s17, s17, s20
	s_cmp_lt_u32 s17, s18
	v_add_u32_e32 v0, s16, v0
	s_cbranch_scc1 .LBB1965_3
; %bb.2:
	v_cmp_gt_u32_e32 vcc, s18, v0
	s_or_b64 s[4:5], vcc, s[14:15]
	s_and_b64 s[4:5], s[4:5], exec
	s_cbranch_execz .LBB1965_4
	s_branch .LBB1965_18
.LBB1965_3:
	s_mov_b64 s[4:5], 0
.LBB1965_4:
	s_min_u32 s14, s17, s18
	s_add_i32 s6, s14, s19
	s_min_u32 s15, s6, s18
	s_min_u32 s6, s20, s14
	s_add_i32 s20, s20, s14
	v_subrev_u32_e32 v0, s20, v0
	v_add_u32_e32 v3, s6, v0
	s_and_b64 vcc, exec, s[12:13]
	s_cbranch_vccz .LBB1965_12
; %bb.5:
                                        ; implicit-def: $vgpr0
	s_and_saveexec_b64 s[6:7], s[2:3]
	s_cbranch_execz .LBB1965_11
; %bb.6:
	s_cmp_ge_u32 s17, s15
	v_mov_b32_e32 v4, s14
	s_cbranch_scc1 .LBB1965_10
; %bb.7:
	s_mov_b64 s[2:3], 0
	v_mov_b32_e32 v5, s15
	v_mov_b32_e32 v4, s14
	;; [unrolled: 1-line block ×4, first 2 shown]
.LBB1965_8:                             ; =>This Inner Loop Header: Depth=1
	v_add_u32_e32 v0, v4, v5
	v_lshrrev_b32_e32 v0, 1, v0
	v_lshlrev_b64 v[8:9], 2, v[0:1]
	v_add_co_u32_e32 v8, vcc, s8, v8
	v_addc_co_u32_e32 v9, vcc, v6, v9, vcc
	global_load_dword v7, v[8:9], off
	v_add_u32_e32 v8, 1, v0
	s_waitcnt vmcnt(0)
	v_cmp_gt_i32_e32 vcc, v7, v2
	v_cndmask_b32_e64 v9, 0, 1, vcc
	v_cmp_le_i32_e32 vcc, v2, v7
	v_cndmask_b32_e64 v7, 0, 1, vcc
	v_cndmask_b32_e64 v7, v7, v9, s[0:1]
	v_and_b32_e32 v7, 1, v7
	v_cmp_eq_u32_e32 vcc, 1, v7
	v_cndmask_b32_e32 v5, v0, v5, vcc
	v_cndmask_b32_e32 v4, v4, v8, vcc
	v_cmp_ge_u32_e32 vcc, v4, v5
	s_or_b64 s[2:3], vcc, s[2:3]
	s_andn2_b64 exec, exec, s[2:3]
	s_cbranch_execnz .LBB1965_8
; %bb.9:
	s_or_b64 exec, exec, s[2:3]
.LBB1965_10:
	v_add_u32_e32 v0, v4, v3
	s_or_b64 s[4:5], s[4:5], exec
.LBB1965_11:
	s_or_b64 exec, exec, s[6:7]
	s_branch .LBB1965_18
.LBB1965_12:
                                        ; implicit-def: $vgpr0
	s_cbranch_execz .LBB1965_18
; %bb.13:
	s_cmp_ge_u32 s17, s15
	v_mov_b32_e32 v4, s14
	s_cbranch_scc1 .LBB1965_17
; %bb.14:
	s_mov_b64 s[2:3], 0
	v_mov_b32_e32 v5, s15
	v_mov_b32_e32 v4, s14
	;; [unrolled: 1-line block ×4, first 2 shown]
.LBB1965_15:                            ; =>This Inner Loop Header: Depth=1
	v_add_u32_e32 v0, v4, v5
	v_lshrrev_b32_e32 v0, 1, v0
	v_lshlrev_b64 v[8:9], 2, v[0:1]
	v_add_co_u32_e32 v8, vcc, s8, v8
	v_addc_co_u32_e32 v9, vcc, v6, v9, vcc
	global_load_dword v7, v[8:9], off
	v_add_u32_e32 v8, 1, v0
	s_waitcnt vmcnt(0)
	v_cmp_gt_i32_e32 vcc, v7, v2
	v_cndmask_b32_e64 v9, 0, 1, vcc
	v_cmp_le_i32_e32 vcc, v2, v7
	v_cndmask_b32_e64 v7, 0, 1, vcc
	v_cndmask_b32_e64 v7, v7, v9, s[0:1]
	v_and_b32_e32 v7, 1, v7
	v_cmp_eq_u32_e32 vcc, 1, v7
	v_cndmask_b32_e32 v5, v0, v5, vcc
	v_cndmask_b32_e32 v4, v4, v8, vcc
	v_cmp_ge_u32_e32 vcc, v4, v5
	s_or_b64 s[2:3], vcc, s[2:3]
	s_andn2_b64 exec, exec, s[2:3]
	s_cbranch_execnz .LBB1965_15
; %bb.16:
	s_or_b64 exec, exec, s[2:3]
.LBB1965_17:
	v_add_u32_e32 v0, v4, v3
	s_mov_b64 s[4:5], -1
.LBB1965_18:
	s_and_b64 exec, exec, s[4:5]
	s_cbranch_execz .LBB1965_20
; %bb.19:
	v_mov_b32_e32 v1, 0
	v_lshlrev_b64 v[0:1], 2, v[0:1]
	v_mov_b32_e32 v3, s11
	v_add_co_u32_e32 v0, vcc, s10, v0
	v_addc_co_u32_e32 v1, vcc, v3, v1, vcc
	s_waitcnt vmcnt(0)
	global_store_dword v[0:1], v2, off
.LBB1965_20:
	s_endpgm
	.section	.rodata,"a",@progbits
	.p2align	6, 0x0
	.amdhsa_kernel _ZN7rocprim17ROCPRIM_400000_NS6detail17trampoline_kernelINS0_14default_configENS1_38merge_sort_block_merge_config_selectorIiNS0_10empty_typeEEEZZNS1_27merge_sort_block_merge_implIS3_PiPS5_jNS1_19radix_merge_compareILb1ELb0EiNS0_19identity_decomposerEEEEE10hipError_tT0_T1_T2_jT3_P12ihipStream_tbPNSt15iterator_traitsISE_E10value_typeEPNSK_ISF_E10value_typeEPSG_NS1_7vsmem_tEENKUlT_SE_SF_SG_E_clIS8_S8_S9_S9_EESD_ST_SE_SF_SG_EUlST_E1_NS1_11comp_targetILNS1_3genE4ELNS1_11target_archE910ELNS1_3gpuE8ELNS1_3repE0EEENS1_36merge_oddeven_config_static_selectorELNS0_4arch9wavefront6targetE1EEEvSF_
		.amdhsa_group_segment_fixed_size 0
		.amdhsa_private_segment_fixed_size 0
		.amdhsa_kernarg_size 48
		.amdhsa_user_sgpr_count 6
		.amdhsa_user_sgpr_private_segment_buffer 1
		.amdhsa_user_sgpr_dispatch_ptr 0
		.amdhsa_user_sgpr_queue_ptr 0
		.amdhsa_user_sgpr_kernarg_segment_ptr 1
		.amdhsa_user_sgpr_dispatch_id 0
		.amdhsa_user_sgpr_flat_scratch_init 0
		.amdhsa_user_sgpr_kernarg_preload_length 0
		.amdhsa_user_sgpr_kernarg_preload_offset 0
		.amdhsa_user_sgpr_private_segment_size 0
		.amdhsa_uses_dynamic_stack 0
		.amdhsa_system_sgpr_private_segment_wavefront_offset 0
		.amdhsa_system_sgpr_workgroup_id_x 1
		.amdhsa_system_sgpr_workgroup_id_y 0
		.amdhsa_system_sgpr_workgroup_id_z 0
		.amdhsa_system_sgpr_workgroup_info 0
		.amdhsa_system_vgpr_workitem_id 0
		.amdhsa_next_free_vgpr 10
		.amdhsa_next_free_sgpr 21
		.amdhsa_accum_offset 12
		.amdhsa_reserve_vcc 1
		.amdhsa_reserve_flat_scratch 0
		.amdhsa_float_round_mode_32 0
		.amdhsa_float_round_mode_16_64 0
		.amdhsa_float_denorm_mode_32 3
		.amdhsa_float_denorm_mode_16_64 3
		.amdhsa_dx10_clamp 1
		.amdhsa_ieee_mode 1
		.amdhsa_fp16_overflow 0
		.amdhsa_tg_split 0
		.amdhsa_exception_fp_ieee_invalid_op 0
		.amdhsa_exception_fp_denorm_src 0
		.amdhsa_exception_fp_ieee_div_zero 0
		.amdhsa_exception_fp_ieee_overflow 0
		.amdhsa_exception_fp_ieee_underflow 0
		.amdhsa_exception_fp_ieee_inexact 0
		.amdhsa_exception_int_div_zero 0
	.end_amdhsa_kernel
	.section	.text._ZN7rocprim17ROCPRIM_400000_NS6detail17trampoline_kernelINS0_14default_configENS1_38merge_sort_block_merge_config_selectorIiNS0_10empty_typeEEEZZNS1_27merge_sort_block_merge_implIS3_PiPS5_jNS1_19radix_merge_compareILb1ELb0EiNS0_19identity_decomposerEEEEE10hipError_tT0_T1_T2_jT3_P12ihipStream_tbPNSt15iterator_traitsISE_E10value_typeEPNSK_ISF_E10value_typeEPSG_NS1_7vsmem_tEENKUlT_SE_SF_SG_E_clIS8_S8_S9_S9_EESD_ST_SE_SF_SG_EUlST_E1_NS1_11comp_targetILNS1_3genE4ELNS1_11target_archE910ELNS1_3gpuE8ELNS1_3repE0EEENS1_36merge_oddeven_config_static_selectorELNS0_4arch9wavefront6targetE1EEEvSF_,"axG",@progbits,_ZN7rocprim17ROCPRIM_400000_NS6detail17trampoline_kernelINS0_14default_configENS1_38merge_sort_block_merge_config_selectorIiNS0_10empty_typeEEEZZNS1_27merge_sort_block_merge_implIS3_PiPS5_jNS1_19radix_merge_compareILb1ELb0EiNS0_19identity_decomposerEEEEE10hipError_tT0_T1_T2_jT3_P12ihipStream_tbPNSt15iterator_traitsISE_E10value_typeEPNSK_ISF_E10value_typeEPSG_NS1_7vsmem_tEENKUlT_SE_SF_SG_E_clIS8_S8_S9_S9_EESD_ST_SE_SF_SG_EUlST_E1_NS1_11comp_targetILNS1_3genE4ELNS1_11target_archE910ELNS1_3gpuE8ELNS1_3repE0EEENS1_36merge_oddeven_config_static_selectorELNS0_4arch9wavefront6targetE1EEEvSF_,comdat
.Lfunc_end1965:
	.size	_ZN7rocprim17ROCPRIM_400000_NS6detail17trampoline_kernelINS0_14default_configENS1_38merge_sort_block_merge_config_selectorIiNS0_10empty_typeEEEZZNS1_27merge_sort_block_merge_implIS3_PiPS5_jNS1_19radix_merge_compareILb1ELb0EiNS0_19identity_decomposerEEEEE10hipError_tT0_T1_T2_jT3_P12ihipStream_tbPNSt15iterator_traitsISE_E10value_typeEPNSK_ISF_E10value_typeEPSG_NS1_7vsmem_tEENKUlT_SE_SF_SG_E_clIS8_S8_S9_S9_EESD_ST_SE_SF_SG_EUlST_E1_NS1_11comp_targetILNS1_3genE4ELNS1_11target_archE910ELNS1_3gpuE8ELNS1_3repE0EEENS1_36merge_oddeven_config_static_selectorELNS0_4arch9wavefront6targetE1EEEvSF_, .Lfunc_end1965-_ZN7rocprim17ROCPRIM_400000_NS6detail17trampoline_kernelINS0_14default_configENS1_38merge_sort_block_merge_config_selectorIiNS0_10empty_typeEEEZZNS1_27merge_sort_block_merge_implIS3_PiPS5_jNS1_19radix_merge_compareILb1ELb0EiNS0_19identity_decomposerEEEEE10hipError_tT0_T1_T2_jT3_P12ihipStream_tbPNSt15iterator_traitsISE_E10value_typeEPNSK_ISF_E10value_typeEPSG_NS1_7vsmem_tEENKUlT_SE_SF_SG_E_clIS8_S8_S9_S9_EESD_ST_SE_SF_SG_EUlST_E1_NS1_11comp_targetILNS1_3genE4ELNS1_11target_archE910ELNS1_3gpuE8ELNS1_3repE0EEENS1_36merge_oddeven_config_static_selectorELNS0_4arch9wavefront6targetE1EEEvSF_
                                        ; -- End function
	.section	.AMDGPU.csdata,"",@progbits
; Kernel info:
; codeLenInByte = 588
; NumSgprs: 25
; NumVgprs: 10
; NumAgprs: 0
; TotalNumVgprs: 10
; ScratchSize: 0
; MemoryBound: 0
; FloatMode: 240
; IeeeMode: 1
; LDSByteSize: 0 bytes/workgroup (compile time only)
; SGPRBlocks: 3
; VGPRBlocks: 1
; NumSGPRsForWavesPerEU: 25
; NumVGPRsForWavesPerEU: 10
; AccumOffset: 12
; Occupancy: 8
; WaveLimiterHint : 0
; COMPUTE_PGM_RSRC2:SCRATCH_EN: 0
; COMPUTE_PGM_RSRC2:USER_SGPR: 6
; COMPUTE_PGM_RSRC2:TRAP_HANDLER: 0
; COMPUTE_PGM_RSRC2:TGID_X_EN: 1
; COMPUTE_PGM_RSRC2:TGID_Y_EN: 0
; COMPUTE_PGM_RSRC2:TGID_Z_EN: 0
; COMPUTE_PGM_RSRC2:TIDIG_COMP_CNT: 0
; COMPUTE_PGM_RSRC3_GFX90A:ACCUM_OFFSET: 2
; COMPUTE_PGM_RSRC3_GFX90A:TG_SPLIT: 0
	.section	.text._ZN7rocprim17ROCPRIM_400000_NS6detail17trampoline_kernelINS0_14default_configENS1_38merge_sort_block_merge_config_selectorIiNS0_10empty_typeEEEZZNS1_27merge_sort_block_merge_implIS3_PiPS5_jNS1_19radix_merge_compareILb1ELb0EiNS0_19identity_decomposerEEEEE10hipError_tT0_T1_T2_jT3_P12ihipStream_tbPNSt15iterator_traitsISE_E10value_typeEPNSK_ISF_E10value_typeEPSG_NS1_7vsmem_tEENKUlT_SE_SF_SG_E_clIS8_S8_S9_S9_EESD_ST_SE_SF_SG_EUlST_E1_NS1_11comp_targetILNS1_3genE3ELNS1_11target_archE908ELNS1_3gpuE7ELNS1_3repE0EEENS1_36merge_oddeven_config_static_selectorELNS0_4arch9wavefront6targetE1EEEvSF_,"axG",@progbits,_ZN7rocprim17ROCPRIM_400000_NS6detail17trampoline_kernelINS0_14default_configENS1_38merge_sort_block_merge_config_selectorIiNS0_10empty_typeEEEZZNS1_27merge_sort_block_merge_implIS3_PiPS5_jNS1_19radix_merge_compareILb1ELb0EiNS0_19identity_decomposerEEEEE10hipError_tT0_T1_T2_jT3_P12ihipStream_tbPNSt15iterator_traitsISE_E10value_typeEPNSK_ISF_E10value_typeEPSG_NS1_7vsmem_tEENKUlT_SE_SF_SG_E_clIS8_S8_S9_S9_EESD_ST_SE_SF_SG_EUlST_E1_NS1_11comp_targetILNS1_3genE3ELNS1_11target_archE908ELNS1_3gpuE7ELNS1_3repE0EEENS1_36merge_oddeven_config_static_selectorELNS0_4arch9wavefront6targetE1EEEvSF_,comdat
	.protected	_ZN7rocprim17ROCPRIM_400000_NS6detail17trampoline_kernelINS0_14default_configENS1_38merge_sort_block_merge_config_selectorIiNS0_10empty_typeEEEZZNS1_27merge_sort_block_merge_implIS3_PiPS5_jNS1_19radix_merge_compareILb1ELb0EiNS0_19identity_decomposerEEEEE10hipError_tT0_T1_T2_jT3_P12ihipStream_tbPNSt15iterator_traitsISE_E10value_typeEPNSK_ISF_E10value_typeEPSG_NS1_7vsmem_tEENKUlT_SE_SF_SG_E_clIS8_S8_S9_S9_EESD_ST_SE_SF_SG_EUlST_E1_NS1_11comp_targetILNS1_3genE3ELNS1_11target_archE908ELNS1_3gpuE7ELNS1_3repE0EEENS1_36merge_oddeven_config_static_selectorELNS0_4arch9wavefront6targetE1EEEvSF_ ; -- Begin function _ZN7rocprim17ROCPRIM_400000_NS6detail17trampoline_kernelINS0_14default_configENS1_38merge_sort_block_merge_config_selectorIiNS0_10empty_typeEEEZZNS1_27merge_sort_block_merge_implIS3_PiPS5_jNS1_19radix_merge_compareILb1ELb0EiNS0_19identity_decomposerEEEEE10hipError_tT0_T1_T2_jT3_P12ihipStream_tbPNSt15iterator_traitsISE_E10value_typeEPNSK_ISF_E10value_typeEPSG_NS1_7vsmem_tEENKUlT_SE_SF_SG_E_clIS8_S8_S9_S9_EESD_ST_SE_SF_SG_EUlST_E1_NS1_11comp_targetILNS1_3genE3ELNS1_11target_archE908ELNS1_3gpuE7ELNS1_3repE0EEENS1_36merge_oddeven_config_static_selectorELNS0_4arch9wavefront6targetE1EEEvSF_
	.globl	_ZN7rocprim17ROCPRIM_400000_NS6detail17trampoline_kernelINS0_14default_configENS1_38merge_sort_block_merge_config_selectorIiNS0_10empty_typeEEEZZNS1_27merge_sort_block_merge_implIS3_PiPS5_jNS1_19radix_merge_compareILb1ELb0EiNS0_19identity_decomposerEEEEE10hipError_tT0_T1_T2_jT3_P12ihipStream_tbPNSt15iterator_traitsISE_E10value_typeEPNSK_ISF_E10value_typeEPSG_NS1_7vsmem_tEENKUlT_SE_SF_SG_E_clIS8_S8_S9_S9_EESD_ST_SE_SF_SG_EUlST_E1_NS1_11comp_targetILNS1_3genE3ELNS1_11target_archE908ELNS1_3gpuE7ELNS1_3repE0EEENS1_36merge_oddeven_config_static_selectorELNS0_4arch9wavefront6targetE1EEEvSF_
	.p2align	8
	.type	_ZN7rocprim17ROCPRIM_400000_NS6detail17trampoline_kernelINS0_14default_configENS1_38merge_sort_block_merge_config_selectorIiNS0_10empty_typeEEEZZNS1_27merge_sort_block_merge_implIS3_PiPS5_jNS1_19radix_merge_compareILb1ELb0EiNS0_19identity_decomposerEEEEE10hipError_tT0_T1_T2_jT3_P12ihipStream_tbPNSt15iterator_traitsISE_E10value_typeEPNSK_ISF_E10value_typeEPSG_NS1_7vsmem_tEENKUlT_SE_SF_SG_E_clIS8_S8_S9_S9_EESD_ST_SE_SF_SG_EUlST_E1_NS1_11comp_targetILNS1_3genE3ELNS1_11target_archE908ELNS1_3gpuE7ELNS1_3repE0EEENS1_36merge_oddeven_config_static_selectorELNS0_4arch9wavefront6targetE1EEEvSF_,@function
_ZN7rocprim17ROCPRIM_400000_NS6detail17trampoline_kernelINS0_14default_configENS1_38merge_sort_block_merge_config_selectorIiNS0_10empty_typeEEEZZNS1_27merge_sort_block_merge_implIS3_PiPS5_jNS1_19radix_merge_compareILb1ELb0EiNS0_19identity_decomposerEEEEE10hipError_tT0_T1_T2_jT3_P12ihipStream_tbPNSt15iterator_traitsISE_E10value_typeEPNSK_ISF_E10value_typeEPSG_NS1_7vsmem_tEENKUlT_SE_SF_SG_E_clIS8_S8_S9_S9_EESD_ST_SE_SF_SG_EUlST_E1_NS1_11comp_targetILNS1_3genE3ELNS1_11target_archE908ELNS1_3gpuE7ELNS1_3repE0EEENS1_36merge_oddeven_config_static_selectorELNS0_4arch9wavefront6targetE1EEEvSF_: ; @_ZN7rocprim17ROCPRIM_400000_NS6detail17trampoline_kernelINS0_14default_configENS1_38merge_sort_block_merge_config_selectorIiNS0_10empty_typeEEEZZNS1_27merge_sort_block_merge_implIS3_PiPS5_jNS1_19radix_merge_compareILb1ELb0EiNS0_19identity_decomposerEEEEE10hipError_tT0_T1_T2_jT3_P12ihipStream_tbPNSt15iterator_traitsISE_E10value_typeEPNSK_ISF_E10value_typeEPSG_NS1_7vsmem_tEENKUlT_SE_SF_SG_E_clIS8_S8_S9_S9_EESD_ST_SE_SF_SG_EUlST_E1_NS1_11comp_targetILNS1_3genE3ELNS1_11target_archE908ELNS1_3gpuE7ELNS1_3repE0EEENS1_36merge_oddeven_config_static_selectorELNS0_4arch9wavefront6targetE1EEEvSF_
; %bb.0:
	.section	.rodata,"a",@progbits
	.p2align	6, 0x0
	.amdhsa_kernel _ZN7rocprim17ROCPRIM_400000_NS6detail17trampoline_kernelINS0_14default_configENS1_38merge_sort_block_merge_config_selectorIiNS0_10empty_typeEEEZZNS1_27merge_sort_block_merge_implIS3_PiPS5_jNS1_19radix_merge_compareILb1ELb0EiNS0_19identity_decomposerEEEEE10hipError_tT0_T1_T2_jT3_P12ihipStream_tbPNSt15iterator_traitsISE_E10value_typeEPNSK_ISF_E10value_typeEPSG_NS1_7vsmem_tEENKUlT_SE_SF_SG_E_clIS8_S8_S9_S9_EESD_ST_SE_SF_SG_EUlST_E1_NS1_11comp_targetILNS1_3genE3ELNS1_11target_archE908ELNS1_3gpuE7ELNS1_3repE0EEENS1_36merge_oddeven_config_static_selectorELNS0_4arch9wavefront6targetE1EEEvSF_
		.amdhsa_group_segment_fixed_size 0
		.amdhsa_private_segment_fixed_size 0
		.amdhsa_kernarg_size 48
		.amdhsa_user_sgpr_count 6
		.amdhsa_user_sgpr_private_segment_buffer 1
		.amdhsa_user_sgpr_dispatch_ptr 0
		.amdhsa_user_sgpr_queue_ptr 0
		.amdhsa_user_sgpr_kernarg_segment_ptr 1
		.amdhsa_user_sgpr_dispatch_id 0
		.amdhsa_user_sgpr_flat_scratch_init 0
		.amdhsa_user_sgpr_kernarg_preload_length 0
		.amdhsa_user_sgpr_kernarg_preload_offset 0
		.amdhsa_user_sgpr_private_segment_size 0
		.amdhsa_uses_dynamic_stack 0
		.amdhsa_system_sgpr_private_segment_wavefront_offset 0
		.amdhsa_system_sgpr_workgroup_id_x 1
		.amdhsa_system_sgpr_workgroup_id_y 0
		.amdhsa_system_sgpr_workgroup_id_z 0
		.amdhsa_system_sgpr_workgroup_info 0
		.amdhsa_system_vgpr_workitem_id 0
		.amdhsa_next_free_vgpr 1
		.amdhsa_next_free_sgpr 0
		.amdhsa_accum_offset 4
		.amdhsa_reserve_vcc 0
		.amdhsa_reserve_flat_scratch 0
		.amdhsa_float_round_mode_32 0
		.amdhsa_float_round_mode_16_64 0
		.amdhsa_float_denorm_mode_32 3
		.amdhsa_float_denorm_mode_16_64 3
		.amdhsa_dx10_clamp 1
		.amdhsa_ieee_mode 1
		.amdhsa_fp16_overflow 0
		.amdhsa_tg_split 0
		.amdhsa_exception_fp_ieee_invalid_op 0
		.amdhsa_exception_fp_denorm_src 0
		.amdhsa_exception_fp_ieee_div_zero 0
		.amdhsa_exception_fp_ieee_overflow 0
		.amdhsa_exception_fp_ieee_underflow 0
		.amdhsa_exception_fp_ieee_inexact 0
		.amdhsa_exception_int_div_zero 0
	.end_amdhsa_kernel
	.section	.text._ZN7rocprim17ROCPRIM_400000_NS6detail17trampoline_kernelINS0_14default_configENS1_38merge_sort_block_merge_config_selectorIiNS0_10empty_typeEEEZZNS1_27merge_sort_block_merge_implIS3_PiPS5_jNS1_19radix_merge_compareILb1ELb0EiNS0_19identity_decomposerEEEEE10hipError_tT0_T1_T2_jT3_P12ihipStream_tbPNSt15iterator_traitsISE_E10value_typeEPNSK_ISF_E10value_typeEPSG_NS1_7vsmem_tEENKUlT_SE_SF_SG_E_clIS8_S8_S9_S9_EESD_ST_SE_SF_SG_EUlST_E1_NS1_11comp_targetILNS1_3genE3ELNS1_11target_archE908ELNS1_3gpuE7ELNS1_3repE0EEENS1_36merge_oddeven_config_static_selectorELNS0_4arch9wavefront6targetE1EEEvSF_,"axG",@progbits,_ZN7rocprim17ROCPRIM_400000_NS6detail17trampoline_kernelINS0_14default_configENS1_38merge_sort_block_merge_config_selectorIiNS0_10empty_typeEEEZZNS1_27merge_sort_block_merge_implIS3_PiPS5_jNS1_19radix_merge_compareILb1ELb0EiNS0_19identity_decomposerEEEEE10hipError_tT0_T1_T2_jT3_P12ihipStream_tbPNSt15iterator_traitsISE_E10value_typeEPNSK_ISF_E10value_typeEPSG_NS1_7vsmem_tEENKUlT_SE_SF_SG_E_clIS8_S8_S9_S9_EESD_ST_SE_SF_SG_EUlST_E1_NS1_11comp_targetILNS1_3genE3ELNS1_11target_archE908ELNS1_3gpuE7ELNS1_3repE0EEENS1_36merge_oddeven_config_static_selectorELNS0_4arch9wavefront6targetE1EEEvSF_,comdat
.Lfunc_end1966:
	.size	_ZN7rocprim17ROCPRIM_400000_NS6detail17trampoline_kernelINS0_14default_configENS1_38merge_sort_block_merge_config_selectorIiNS0_10empty_typeEEEZZNS1_27merge_sort_block_merge_implIS3_PiPS5_jNS1_19radix_merge_compareILb1ELb0EiNS0_19identity_decomposerEEEEE10hipError_tT0_T1_T2_jT3_P12ihipStream_tbPNSt15iterator_traitsISE_E10value_typeEPNSK_ISF_E10value_typeEPSG_NS1_7vsmem_tEENKUlT_SE_SF_SG_E_clIS8_S8_S9_S9_EESD_ST_SE_SF_SG_EUlST_E1_NS1_11comp_targetILNS1_3genE3ELNS1_11target_archE908ELNS1_3gpuE7ELNS1_3repE0EEENS1_36merge_oddeven_config_static_selectorELNS0_4arch9wavefront6targetE1EEEvSF_, .Lfunc_end1966-_ZN7rocprim17ROCPRIM_400000_NS6detail17trampoline_kernelINS0_14default_configENS1_38merge_sort_block_merge_config_selectorIiNS0_10empty_typeEEEZZNS1_27merge_sort_block_merge_implIS3_PiPS5_jNS1_19radix_merge_compareILb1ELb0EiNS0_19identity_decomposerEEEEE10hipError_tT0_T1_T2_jT3_P12ihipStream_tbPNSt15iterator_traitsISE_E10value_typeEPNSK_ISF_E10value_typeEPSG_NS1_7vsmem_tEENKUlT_SE_SF_SG_E_clIS8_S8_S9_S9_EESD_ST_SE_SF_SG_EUlST_E1_NS1_11comp_targetILNS1_3genE3ELNS1_11target_archE908ELNS1_3gpuE7ELNS1_3repE0EEENS1_36merge_oddeven_config_static_selectorELNS0_4arch9wavefront6targetE1EEEvSF_
                                        ; -- End function
	.section	.AMDGPU.csdata,"",@progbits
; Kernel info:
; codeLenInByte = 0
; NumSgprs: 4
; NumVgprs: 0
; NumAgprs: 0
; TotalNumVgprs: 0
; ScratchSize: 0
; MemoryBound: 0
; FloatMode: 240
; IeeeMode: 1
; LDSByteSize: 0 bytes/workgroup (compile time only)
; SGPRBlocks: 0
; VGPRBlocks: 0
; NumSGPRsForWavesPerEU: 4
; NumVGPRsForWavesPerEU: 1
; AccumOffset: 4
; Occupancy: 8
; WaveLimiterHint : 0
; COMPUTE_PGM_RSRC2:SCRATCH_EN: 0
; COMPUTE_PGM_RSRC2:USER_SGPR: 6
; COMPUTE_PGM_RSRC2:TRAP_HANDLER: 0
; COMPUTE_PGM_RSRC2:TGID_X_EN: 1
; COMPUTE_PGM_RSRC2:TGID_Y_EN: 0
; COMPUTE_PGM_RSRC2:TGID_Z_EN: 0
; COMPUTE_PGM_RSRC2:TIDIG_COMP_CNT: 0
; COMPUTE_PGM_RSRC3_GFX90A:ACCUM_OFFSET: 0
; COMPUTE_PGM_RSRC3_GFX90A:TG_SPLIT: 0
	.section	.text._ZN7rocprim17ROCPRIM_400000_NS6detail17trampoline_kernelINS0_14default_configENS1_38merge_sort_block_merge_config_selectorIiNS0_10empty_typeEEEZZNS1_27merge_sort_block_merge_implIS3_PiPS5_jNS1_19radix_merge_compareILb1ELb0EiNS0_19identity_decomposerEEEEE10hipError_tT0_T1_T2_jT3_P12ihipStream_tbPNSt15iterator_traitsISE_E10value_typeEPNSK_ISF_E10value_typeEPSG_NS1_7vsmem_tEENKUlT_SE_SF_SG_E_clIS8_S8_S9_S9_EESD_ST_SE_SF_SG_EUlST_E1_NS1_11comp_targetILNS1_3genE2ELNS1_11target_archE906ELNS1_3gpuE6ELNS1_3repE0EEENS1_36merge_oddeven_config_static_selectorELNS0_4arch9wavefront6targetE1EEEvSF_,"axG",@progbits,_ZN7rocprim17ROCPRIM_400000_NS6detail17trampoline_kernelINS0_14default_configENS1_38merge_sort_block_merge_config_selectorIiNS0_10empty_typeEEEZZNS1_27merge_sort_block_merge_implIS3_PiPS5_jNS1_19radix_merge_compareILb1ELb0EiNS0_19identity_decomposerEEEEE10hipError_tT0_T1_T2_jT3_P12ihipStream_tbPNSt15iterator_traitsISE_E10value_typeEPNSK_ISF_E10value_typeEPSG_NS1_7vsmem_tEENKUlT_SE_SF_SG_E_clIS8_S8_S9_S9_EESD_ST_SE_SF_SG_EUlST_E1_NS1_11comp_targetILNS1_3genE2ELNS1_11target_archE906ELNS1_3gpuE6ELNS1_3repE0EEENS1_36merge_oddeven_config_static_selectorELNS0_4arch9wavefront6targetE1EEEvSF_,comdat
	.protected	_ZN7rocprim17ROCPRIM_400000_NS6detail17trampoline_kernelINS0_14default_configENS1_38merge_sort_block_merge_config_selectorIiNS0_10empty_typeEEEZZNS1_27merge_sort_block_merge_implIS3_PiPS5_jNS1_19radix_merge_compareILb1ELb0EiNS0_19identity_decomposerEEEEE10hipError_tT0_T1_T2_jT3_P12ihipStream_tbPNSt15iterator_traitsISE_E10value_typeEPNSK_ISF_E10value_typeEPSG_NS1_7vsmem_tEENKUlT_SE_SF_SG_E_clIS8_S8_S9_S9_EESD_ST_SE_SF_SG_EUlST_E1_NS1_11comp_targetILNS1_3genE2ELNS1_11target_archE906ELNS1_3gpuE6ELNS1_3repE0EEENS1_36merge_oddeven_config_static_selectorELNS0_4arch9wavefront6targetE1EEEvSF_ ; -- Begin function _ZN7rocprim17ROCPRIM_400000_NS6detail17trampoline_kernelINS0_14default_configENS1_38merge_sort_block_merge_config_selectorIiNS0_10empty_typeEEEZZNS1_27merge_sort_block_merge_implIS3_PiPS5_jNS1_19radix_merge_compareILb1ELb0EiNS0_19identity_decomposerEEEEE10hipError_tT0_T1_T2_jT3_P12ihipStream_tbPNSt15iterator_traitsISE_E10value_typeEPNSK_ISF_E10value_typeEPSG_NS1_7vsmem_tEENKUlT_SE_SF_SG_E_clIS8_S8_S9_S9_EESD_ST_SE_SF_SG_EUlST_E1_NS1_11comp_targetILNS1_3genE2ELNS1_11target_archE906ELNS1_3gpuE6ELNS1_3repE0EEENS1_36merge_oddeven_config_static_selectorELNS0_4arch9wavefront6targetE1EEEvSF_
	.globl	_ZN7rocprim17ROCPRIM_400000_NS6detail17trampoline_kernelINS0_14default_configENS1_38merge_sort_block_merge_config_selectorIiNS0_10empty_typeEEEZZNS1_27merge_sort_block_merge_implIS3_PiPS5_jNS1_19radix_merge_compareILb1ELb0EiNS0_19identity_decomposerEEEEE10hipError_tT0_T1_T2_jT3_P12ihipStream_tbPNSt15iterator_traitsISE_E10value_typeEPNSK_ISF_E10value_typeEPSG_NS1_7vsmem_tEENKUlT_SE_SF_SG_E_clIS8_S8_S9_S9_EESD_ST_SE_SF_SG_EUlST_E1_NS1_11comp_targetILNS1_3genE2ELNS1_11target_archE906ELNS1_3gpuE6ELNS1_3repE0EEENS1_36merge_oddeven_config_static_selectorELNS0_4arch9wavefront6targetE1EEEvSF_
	.p2align	8
	.type	_ZN7rocprim17ROCPRIM_400000_NS6detail17trampoline_kernelINS0_14default_configENS1_38merge_sort_block_merge_config_selectorIiNS0_10empty_typeEEEZZNS1_27merge_sort_block_merge_implIS3_PiPS5_jNS1_19radix_merge_compareILb1ELb0EiNS0_19identity_decomposerEEEEE10hipError_tT0_T1_T2_jT3_P12ihipStream_tbPNSt15iterator_traitsISE_E10value_typeEPNSK_ISF_E10value_typeEPSG_NS1_7vsmem_tEENKUlT_SE_SF_SG_E_clIS8_S8_S9_S9_EESD_ST_SE_SF_SG_EUlST_E1_NS1_11comp_targetILNS1_3genE2ELNS1_11target_archE906ELNS1_3gpuE6ELNS1_3repE0EEENS1_36merge_oddeven_config_static_selectorELNS0_4arch9wavefront6targetE1EEEvSF_,@function
_ZN7rocprim17ROCPRIM_400000_NS6detail17trampoline_kernelINS0_14default_configENS1_38merge_sort_block_merge_config_selectorIiNS0_10empty_typeEEEZZNS1_27merge_sort_block_merge_implIS3_PiPS5_jNS1_19radix_merge_compareILb1ELb0EiNS0_19identity_decomposerEEEEE10hipError_tT0_T1_T2_jT3_P12ihipStream_tbPNSt15iterator_traitsISE_E10value_typeEPNSK_ISF_E10value_typeEPSG_NS1_7vsmem_tEENKUlT_SE_SF_SG_E_clIS8_S8_S9_S9_EESD_ST_SE_SF_SG_EUlST_E1_NS1_11comp_targetILNS1_3genE2ELNS1_11target_archE906ELNS1_3gpuE6ELNS1_3repE0EEENS1_36merge_oddeven_config_static_selectorELNS0_4arch9wavefront6targetE1EEEvSF_: ; @_ZN7rocprim17ROCPRIM_400000_NS6detail17trampoline_kernelINS0_14default_configENS1_38merge_sort_block_merge_config_selectorIiNS0_10empty_typeEEEZZNS1_27merge_sort_block_merge_implIS3_PiPS5_jNS1_19radix_merge_compareILb1ELb0EiNS0_19identity_decomposerEEEEE10hipError_tT0_T1_T2_jT3_P12ihipStream_tbPNSt15iterator_traitsISE_E10value_typeEPNSK_ISF_E10value_typeEPSG_NS1_7vsmem_tEENKUlT_SE_SF_SG_E_clIS8_S8_S9_S9_EESD_ST_SE_SF_SG_EUlST_E1_NS1_11comp_targetILNS1_3genE2ELNS1_11target_archE906ELNS1_3gpuE6ELNS1_3repE0EEENS1_36merge_oddeven_config_static_selectorELNS0_4arch9wavefront6targetE1EEEvSF_
; %bb.0:
	.section	.rodata,"a",@progbits
	.p2align	6, 0x0
	.amdhsa_kernel _ZN7rocprim17ROCPRIM_400000_NS6detail17trampoline_kernelINS0_14default_configENS1_38merge_sort_block_merge_config_selectorIiNS0_10empty_typeEEEZZNS1_27merge_sort_block_merge_implIS3_PiPS5_jNS1_19radix_merge_compareILb1ELb0EiNS0_19identity_decomposerEEEEE10hipError_tT0_T1_T2_jT3_P12ihipStream_tbPNSt15iterator_traitsISE_E10value_typeEPNSK_ISF_E10value_typeEPSG_NS1_7vsmem_tEENKUlT_SE_SF_SG_E_clIS8_S8_S9_S9_EESD_ST_SE_SF_SG_EUlST_E1_NS1_11comp_targetILNS1_3genE2ELNS1_11target_archE906ELNS1_3gpuE6ELNS1_3repE0EEENS1_36merge_oddeven_config_static_selectorELNS0_4arch9wavefront6targetE1EEEvSF_
		.amdhsa_group_segment_fixed_size 0
		.amdhsa_private_segment_fixed_size 0
		.amdhsa_kernarg_size 48
		.amdhsa_user_sgpr_count 6
		.amdhsa_user_sgpr_private_segment_buffer 1
		.amdhsa_user_sgpr_dispatch_ptr 0
		.amdhsa_user_sgpr_queue_ptr 0
		.amdhsa_user_sgpr_kernarg_segment_ptr 1
		.amdhsa_user_sgpr_dispatch_id 0
		.amdhsa_user_sgpr_flat_scratch_init 0
		.amdhsa_user_sgpr_kernarg_preload_length 0
		.amdhsa_user_sgpr_kernarg_preload_offset 0
		.amdhsa_user_sgpr_private_segment_size 0
		.amdhsa_uses_dynamic_stack 0
		.amdhsa_system_sgpr_private_segment_wavefront_offset 0
		.amdhsa_system_sgpr_workgroup_id_x 1
		.amdhsa_system_sgpr_workgroup_id_y 0
		.amdhsa_system_sgpr_workgroup_id_z 0
		.amdhsa_system_sgpr_workgroup_info 0
		.amdhsa_system_vgpr_workitem_id 0
		.amdhsa_next_free_vgpr 1
		.amdhsa_next_free_sgpr 0
		.amdhsa_accum_offset 4
		.amdhsa_reserve_vcc 0
		.amdhsa_reserve_flat_scratch 0
		.amdhsa_float_round_mode_32 0
		.amdhsa_float_round_mode_16_64 0
		.amdhsa_float_denorm_mode_32 3
		.amdhsa_float_denorm_mode_16_64 3
		.amdhsa_dx10_clamp 1
		.amdhsa_ieee_mode 1
		.amdhsa_fp16_overflow 0
		.amdhsa_tg_split 0
		.amdhsa_exception_fp_ieee_invalid_op 0
		.amdhsa_exception_fp_denorm_src 0
		.amdhsa_exception_fp_ieee_div_zero 0
		.amdhsa_exception_fp_ieee_overflow 0
		.amdhsa_exception_fp_ieee_underflow 0
		.amdhsa_exception_fp_ieee_inexact 0
		.amdhsa_exception_int_div_zero 0
	.end_amdhsa_kernel
	.section	.text._ZN7rocprim17ROCPRIM_400000_NS6detail17trampoline_kernelINS0_14default_configENS1_38merge_sort_block_merge_config_selectorIiNS0_10empty_typeEEEZZNS1_27merge_sort_block_merge_implIS3_PiPS5_jNS1_19radix_merge_compareILb1ELb0EiNS0_19identity_decomposerEEEEE10hipError_tT0_T1_T2_jT3_P12ihipStream_tbPNSt15iterator_traitsISE_E10value_typeEPNSK_ISF_E10value_typeEPSG_NS1_7vsmem_tEENKUlT_SE_SF_SG_E_clIS8_S8_S9_S9_EESD_ST_SE_SF_SG_EUlST_E1_NS1_11comp_targetILNS1_3genE2ELNS1_11target_archE906ELNS1_3gpuE6ELNS1_3repE0EEENS1_36merge_oddeven_config_static_selectorELNS0_4arch9wavefront6targetE1EEEvSF_,"axG",@progbits,_ZN7rocprim17ROCPRIM_400000_NS6detail17trampoline_kernelINS0_14default_configENS1_38merge_sort_block_merge_config_selectorIiNS0_10empty_typeEEEZZNS1_27merge_sort_block_merge_implIS3_PiPS5_jNS1_19radix_merge_compareILb1ELb0EiNS0_19identity_decomposerEEEEE10hipError_tT0_T1_T2_jT3_P12ihipStream_tbPNSt15iterator_traitsISE_E10value_typeEPNSK_ISF_E10value_typeEPSG_NS1_7vsmem_tEENKUlT_SE_SF_SG_E_clIS8_S8_S9_S9_EESD_ST_SE_SF_SG_EUlST_E1_NS1_11comp_targetILNS1_3genE2ELNS1_11target_archE906ELNS1_3gpuE6ELNS1_3repE0EEENS1_36merge_oddeven_config_static_selectorELNS0_4arch9wavefront6targetE1EEEvSF_,comdat
.Lfunc_end1967:
	.size	_ZN7rocprim17ROCPRIM_400000_NS6detail17trampoline_kernelINS0_14default_configENS1_38merge_sort_block_merge_config_selectorIiNS0_10empty_typeEEEZZNS1_27merge_sort_block_merge_implIS3_PiPS5_jNS1_19radix_merge_compareILb1ELb0EiNS0_19identity_decomposerEEEEE10hipError_tT0_T1_T2_jT3_P12ihipStream_tbPNSt15iterator_traitsISE_E10value_typeEPNSK_ISF_E10value_typeEPSG_NS1_7vsmem_tEENKUlT_SE_SF_SG_E_clIS8_S8_S9_S9_EESD_ST_SE_SF_SG_EUlST_E1_NS1_11comp_targetILNS1_3genE2ELNS1_11target_archE906ELNS1_3gpuE6ELNS1_3repE0EEENS1_36merge_oddeven_config_static_selectorELNS0_4arch9wavefront6targetE1EEEvSF_, .Lfunc_end1967-_ZN7rocprim17ROCPRIM_400000_NS6detail17trampoline_kernelINS0_14default_configENS1_38merge_sort_block_merge_config_selectorIiNS0_10empty_typeEEEZZNS1_27merge_sort_block_merge_implIS3_PiPS5_jNS1_19radix_merge_compareILb1ELb0EiNS0_19identity_decomposerEEEEE10hipError_tT0_T1_T2_jT3_P12ihipStream_tbPNSt15iterator_traitsISE_E10value_typeEPNSK_ISF_E10value_typeEPSG_NS1_7vsmem_tEENKUlT_SE_SF_SG_E_clIS8_S8_S9_S9_EESD_ST_SE_SF_SG_EUlST_E1_NS1_11comp_targetILNS1_3genE2ELNS1_11target_archE906ELNS1_3gpuE6ELNS1_3repE0EEENS1_36merge_oddeven_config_static_selectorELNS0_4arch9wavefront6targetE1EEEvSF_
                                        ; -- End function
	.section	.AMDGPU.csdata,"",@progbits
; Kernel info:
; codeLenInByte = 0
; NumSgprs: 4
; NumVgprs: 0
; NumAgprs: 0
; TotalNumVgprs: 0
; ScratchSize: 0
; MemoryBound: 0
; FloatMode: 240
; IeeeMode: 1
; LDSByteSize: 0 bytes/workgroup (compile time only)
; SGPRBlocks: 0
; VGPRBlocks: 0
; NumSGPRsForWavesPerEU: 4
; NumVGPRsForWavesPerEU: 1
; AccumOffset: 4
; Occupancy: 8
; WaveLimiterHint : 0
; COMPUTE_PGM_RSRC2:SCRATCH_EN: 0
; COMPUTE_PGM_RSRC2:USER_SGPR: 6
; COMPUTE_PGM_RSRC2:TRAP_HANDLER: 0
; COMPUTE_PGM_RSRC2:TGID_X_EN: 1
; COMPUTE_PGM_RSRC2:TGID_Y_EN: 0
; COMPUTE_PGM_RSRC2:TGID_Z_EN: 0
; COMPUTE_PGM_RSRC2:TIDIG_COMP_CNT: 0
; COMPUTE_PGM_RSRC3_GFX90A:ACCUM_OFFSET: 0
; COMPUTE_PGM_RSRC3_GFX90A:TG_SPLIT: 0
	.section	.text._ZN7rocprim17ROCPRIM_400000_NS6detail17trampoline_kernelINS0_14default_configENS1_38merge_sort_block_merge_config_selectorIiNS0_10empty_typeEEEZZNS1_27merge_sort_block_merge_implIS3_PiPS5_jNS1_19radix_merge_compareILb1ELb0EiNS0_19identity_decomposerEEEEE10hipError_tT0_T1_T2_jT3_P12ihipStream_tbPNSt15iterator_traitsISE_E10value_typeEPNSK_ISF_E10value_typeEPSG_NS1_7vsmem_tEENKUlT_SE_SF_SG_E_clIS8_S8_S9_S9_EESD_ST_SE_SF_SG_EUlST_E1_NS1_11comp_targetILNS1_3genE9ELNS1_11target_archE1100ELNS1_3gpuE3ELNS1_3repE0EEENS1_36merge_oddeven_config_static_selectorELNS0_4arch9wavefront6targetE1EEEvSF_,"axG",@progbits,_ZN7rocprim17ROCPRIM_400000_NS6detail17trampoline_kernelINS0_14default_configENS1_38merge_sort_block_merge_config_selectorIiNS0_10empty_typeEEEZZNS1_27merge_sort_block_merge_implIS3_PiPS5_jNS1_19radix_merge_compareILb1ELb0EiNS0_19identity_decomposerEEEEE10hipError_tT0_T1_T2_jT3_P12ihipStream_tbPNSt15iterator_traitsISE_E10value_typeEPNSK_ISF_E10value_typeEPSG_NS1_7vsmem_tEENKUlT_SE_SF_SG_E_clIS8_S8_S9_S9_EESD_ST_SE_SF_SG_EUlST_E1_NS1_11comp_targetILNS1_3genE9ELNS1_11target_archE1100ELNS1_3gpuE3ELNS1_3repE0EEENS1_36merge_oddeven_config_static_selectorELNS0_4arch9wavefront6targetE1EEEvSF_,comdat
	.protected	_ZN7rocprim17ROCPRIM_400000_NS6detail17trampoline_kernelINS0_14default_configENS1_38merge_sort_block_merge_config_selectorIiNS0_10empty_typeEEEZZNS1_27merge_sort_block_merge_implIS3_PiPS5_jNS1_19radix_merge_compareILb1ELb0EiNS0_19identity_decomposerEEEEE10hipError_tT0_T1_T2_jT3_P12ihipStream_tbPNSt15iterator_traitsISE_E10value_typeEPNSK_ISF_E10value_typeEPSG_NS1_7vsmem_tEENKUlT_SE_SF_SG_E_clIS8_S8_S9_S9_EESD_ST_SE_SF_SG_EUlST_E1_NS1_11comp_targetILNS1_3genE9ELNS1_11target_archE1100ELNS1_3gpuE3ELNS1_3repE0EEENS1_36merge_oddeven_config_static_selectorELNS0_4arch9wavefront6targetE1EEEvSF_ ; -- Begin function _ZN7rocprim17ROCPRIM_400000_NS6detail17trampoline_kernelINS0_14default_configENS1_38merge_sort_block_merge_config_selectorIiNS0_10empty_typeEEEZZNS1_27merge_sort_block_merge_implIS3_PiPS5_jNS1_19radix_merge_compareILb1ELb0EiNS0_19identity_decomposerEEEEE10hipError_tT0_T1_T2_jT3_P12ihipStream_tbPNSt15iterator_traitsISE_E10value_typeEPNSK_ISF_E10value_typeEPSG_NS1_7vsmem_tEENKUlT_SE_SF_SG_E_clIS8_S8_S9_S9_EESD_ST_SE_SF_SG_EUlST_E1_NS1_11comp_targetILNS1_3genE9ELNS1_11target_archE1100ELNS1_3gpuE3ELNS1_3repE0EEENS1_36merge_oddeven_config_static_selectorELNS0_4arch9wavefront6targetE1EEEvSF_
	.globl	_ZN7rocprim17ROCPRIM_400000_NS6detail17trampoline_kernelINS0_14default_configENS1_38merge_sort_block_merge_config_selectorIiNS0_10empty_typeEEEZZNS1_27merge_sort_block_merge_implIS3_PiPS5_jNS1_19radix_merge_compareILb1ELb0EiNS0_19identity_decomposerEEEEE10hipError_tT0_T1_T2_jT3_P12ihipStream_tbPNSt15iterator_traitsISE_E10value_typeEPNSK_ISF_E10value_typeEPSG_NS1_7vsmem_tEENKUlT_SE_SF_SG_E_clIS8_S8_S9_S9_EESD_ST_SE_SF_SG_EUlST_E1_NS1_11comp_targetILNS1_3genE9ELNS1_11target_archE1100ELNS1_3gpuE3ELNS1_3repE0EEENS1_36merge_oddeven_config_static_selectorELNS0_4arch9wavefront6targetE1EEEvSF_
	.p2align	8
	.type	_ZN7rocprim17ROCPRIM_400000_NS6detail17trampoline_kernelINS0_14default_configENS1_38merge_sort_block_merge_config_selectorIiNS0_10empty_typeEEEZZNS1_27merge_sort_block_merge_implIS3_PiPS5_jNS1_19radix_merge_compareILb1ELb0EiNS0_19identity_decomposerEEEEE10hipError_tT0_T1_T2_jT3_P12ihipStream_tbPNSt15iterator_traitsISE_E10value_typeEPNSK_ISF_E10value_typeEPSG_NS1_7vsmem_tEENKUlT_SE_SF_SG_E_clIS8_S8_S9_S9_EESD_ST_SE_SF_SG_EUlST_E1_NS1_11comp_targetILNS1_3genE9ELNS1_11target_archE1100ELNS1_3gpuE3ELNS1_3repE0EEENS1_36merge_oddeven_config_static_selectorELNS0_4arch9wavefront6targetE1EEEvSF_,@function
_ZN7rocprim17ROCPRIM_400000_NS6detail17trampoline_kernelINS0_14default_configENS1_38merge_sort_block_merge_config_selectorIiNS0_10empty_typeEEEZZNS1_27merge_sort_block_merge_implIS3_PiPS5_jNS1_19radix_merge_compareILb1ELb0EiNS0_19identity_decomposerEEEEE10hipError_tT0_T1_T2_jT3_P12ihipStream_tbPNSt15iterator_traitsISE_E10value_typeEPNSK_ISF_E10value_typeEPSG_NS1_7vsmem_tEENKUlT_SE_SF_SG_E_clIS8_S8_S9_S9_EESD_ST_SE_SF_SG_EUlST_E1_NS1_11comp_targetILNS1_3genE9ELNS1_11target_archE1100ELNS1_3gpuE3ELNS1_3repE0EEENS1_36merge_oddeven_config_static_selectorELNS0_4arch9wavefront6targetE1EEEvSF_: ; @_ZN7rocprim17ROCPRIM_400000_NS6detail17trampoline_kernelINS0_14default_configENS1_38merge_sort_block_merge_config_selectorIiNS0_10empty_typeEEEZZNS1_27merge_sort_block_merge_implIS3_PiPS5_jNS1_19radix_merge_compareILb1ELb0EiNS0_19identity_decomposerEEEEE10hipError_tT0_T1_T2_jT3_P12ihipStream_tbPNSt15iterator_traitsISE_E10value_typeEPNSK_ISF_E10value_typeEPSG_NS1_7vsmem_tEENKUlT_SE_SF_SG_E_clIS8_S8_S9_S9_EESD_ST_SE_SF_SG_EUlST_E1_NS1_11comp_targetILNS1_3genE9ELNS1_11target_archE1100ELNS1_3gpuE3ELNS1_3repE0EEENS1_36merge_oddeven_config_static_selectorELNS0_4arch9wavefront6targetE1EEEvSF_
; %bb.0:
	.section	.rodata,"a",@progbits
	.p2align	6, 0x0
	.amdhsa_kernel _ZN7rocprim17ROCPRIM_400000_NS6detail17trampoline_kernelINS0_14default_configENS1_38merge_sort_block_merge_config_selectorIiNS0_10empty_typeEEEZZNS1_27merge_sort_block_merge_implIS3_PiPS5_jNS1_19radix_merge_compareILb1ELb0EiNS0_19identity_decomposerEEEEE10hipError_tT0_T1_T2_jT3_P12ihipStream_tbPNSt15iterator_traitsISE_E10value_typeEPNSK_ISF_E10value_typeEPSG_NS1_7vsmem_tEENKUlT_SE_SF_SG_E_clIS8_S8_S9_S9_EESD_ST_SE_SF_SG_EUlST_E1_NS1_11comp_targetILNS1_3genE9ELNS1_11target_archE1100ELNS1_3gpuE3ELNS1_3repE0EEENS1_36merge_oddeven_config_static_selectorELNS0_4arch9wavefront6targetE1EEEvSF_
		.amdhsa_group_segment_fixed_size 0
		.amdhsa_private_segment_fixed_size 0
		.amdhsa_kernarg_size 48
		.amdhsa_user_sgpr_count 6
		.amdhsa_user_sgpr_private_segment_buffer 1
		.amdhsa_user_sgpr_dispatch_ptr 0
		.amdhsa_user_sgpr_queue_ptr 0
		.amdhsa_user_sgpr_kernarg_segment_ptr 1
		.amdhsa_user_sgpr_dispatch_id 0
		.amdhsa_user_sgpr_flat_scratch_init 0
		.amdhsa_user_sgpr_kernarg_preload_length 0
		.amdhsa_user_sgpr_kernarg_preload_offset 0
		.amdhsa_user_sgpr_private_segment_size 0
		.amdhsa_uses_dynamic_stack 0
		.amdhsa_system_sgpr_private_segment_wavefront_offset 0
		.amdhsa_system_sgpr_workgroup_id_x 1
		.amdhsa_system_sgpr_workgroup_id_y 0
		.amdhsa_system_sgpr_workgroup_id_z 0
		.amdhsa_system_sgpr_workgroup_info 0
		.amdhsa_system_vgpr_workitem_id 0
		.amdhsa_next_free_vgpr 1
		.amdhsa_next_free_sgpr 0
		.amdhsa_accum_offset 4
		.amdhsa_reserve_vcc 0
		.amdhsa_reserve_flat_scratch 0
		.amdhsa_float_round_mode_32 0
		.amdhsa_float_round_mode_16_64 0
		.amdhsa_float_denorm_mode_32 3
		.amdhsa_float_denorm_mode_16_64 3
		.amdhsa_dx10_clamp 1
		.amdhsa_ieee_mode 1
		.amdhsa_fp16_overflow 0
		.amdhsa_tg_split 0
		.amdhsa_exception_fp_ieee_invalid_op 0
		.amdhsa_exception_fp_denorm_src 0
		.amdhsa_exception_fp_ieee_div_zero 0
		.amdhsa_exception_fp_ieee_overflow 0
		.amdhsa_exception_fp_ieee_underflow 0
		.amdhsa_exception_fp_ieee_inexact 0
		.amdhsa_exception_int_div_zero 0
	.end_amdhsa_kernel
	.section	.text._ZN7rocprim17ROCPRIM_400000_NS6detail17trampoline_kernelINS0_14default_configENS1_38merge_sort_block_merge_config_selectorIiNS0_10empty_typeEEEZZNS1_27merge_sort_block_merge_implIS3_PiPS5_jNS1_19radix_merge_compareILb1ELb0EiNS0_19identity_decomposerEEEEE10hipError_tT0_T1_T2_jT3_P12ihipStream_tbPNSt15iterator_traitsISE_E10value_typeEPNSK_ISF_E10value_typeEPSG_NS1_7vsmem_tEENKUlT_SE_SF_SG_E_clIS8_S8_S9_S9_EESD_ST_SE_SF_SG_EUlST_E1_NS1_11comp_targetILNS1_3genE9ELNS1_11target_archE1100ELNS1_3gpuE3ELNS1_3repE0EEENS1_36merge_oddeven_config_static_selectorELNS0_4arch9wavefront6targetE1EEEvSF_,"axG",@progbits,_ZN7rocprim17ROCPRIM_400000_NS6detail17trampoline_kernelINS0_14default_configENS1_38merge_sort_block_merge_config_selectorIiNS0_10empty_typeEEEZZNS1_27merge_sort_block_merge_implIS3_PiPS5_jNS1_19radix_merge_compareILb1ELb0EiNS0_19identity_decomposerEEEEE10hipError_tT0_T1_T2_jT3_P12ihipStream_tbPNSt15iterator_traitsISE_E10value_typeEPNSK_ISF_E10value_typeEPSG_NS1_7vsmem_tEENKUlT_SE_SF_SG_E_clIS8_S8_S9_S9_EESD_ST_SE_SF_SG_EUlST_E1_NS1_11comp_targetILNS1_3genE9ELNS1_11target_archE1100ELNS1_3gpuE3ELNS1_3repE0EEENS1_36merge_oddeven_config_static_selectorELNS0_4arch9wavefront6targetE1EEEvSF_,comdat
.Lfunc_end1968:
	.size	_ZN7rocprim17ROCPRIM_400000_NS6detail17trampoline_kernelINS0_14default_configENS1_38merge_sort_block_merge_config_selectorIiNS0_10empty_typeEEEZZNS1_27merge_sort_block_merge_implIS3_PiPS5_jNS1_19radix_merge_compareILb1ELb0EiNS0_19identity_decomposerEEEEE10hipError_tT0_T1_T2_jT3_P12ihipStream_tbPNSt15iterator_traitsISE_E10value_typeEPNSK_ISF_E10value_typeEPSG_NS1_7vsmem_tEENKUlT_SE_SF_SG_E_clIS8_S8_S9_S9_EESD_ST_SE_SF_SG_EUlST_E1_NS1_11comp_targetILNS1_3genE9ELNS1_11target_archE1100ELNS1_3gpuE3ELNS1_3repE0EEENS1_36merge_oddeven_config_static_selectorELNS0_4arch9wavefront6targetE1EEEvSF_, .Lfunc_end1968-_ZN7rocprim17ROCPRIM_400000_NS6detail17trampoline_kernelINS0_14default_configENS1_38merge_sort_block_merge_config_selectorIiNS0_10empty_typeEEEZZNS1_27merge_sort_block_merge_implIS3_PiPS5_jNS1_19radix_merge_compareILb1ELb0EiNS0_19identity_decomposerEEEEE10hipError_tT0_T1_T2_jT3_P12ihipStream_tbPNSt15iterator_traitsISE_E10value_typeEPNSK_ISF_E10value_typeEPSG_NS1_7vsmem_tEENKUlT_SE_SF_SG_E_clIS8_S8_S9_S9_EESD_ST_SE_SF_SG_EUlST_E1_NS1_11comp_targetILNS1_3genE9ELNS1_11target_archE1100ELNS1_3gpuE3ELNS1_3repE0EEENS1_36merge_oddeven_config_static_selectorELNS0_4arch9wavefront6targetE1EEEvSF_
                                        ; -- End function
	.section	.AMDGPU.csdata,"",@progbits
; Kernel info:
; codeLenInByte = 0
; NumSgprs: 4
; NumVgprs: 0
; NumAgprs: 0
; TotalNumVgprs: 0
; ScratchSize: 0
; MemoryBound: 0
; FloatMode: 240
; IeeeMode: 1
; LDSByteSize: 0 bytes/workgroup (compile time only)
; SGPRBlocks: 0
; VGPRBlocks: 0
; NumSGPRsForWavesPerEU: 4
; NumVGPRsForWavesPerEU: 1
; AccumOffset: 4
; Occupancy: 8
; WaveLimiterHint : 0
; COMPUTE_PGM_RSRC2:SCRATCH_EN: 0
; COMPUTE_PGM_RSRC2:USER_SGPR: 6
; COMPUTE_PGM_RSRC2:TRAP_HANDLER: 0
; COMPUTE_PGM_RSRC2:TGID_X_EN: 1
; COMPUTE_PGM_RSRC2:TGID_Y_EN: 0
; COMPUTE_PGM_RSRC2:TGID_Z_EN: 0
; COMPUTE_PGM_RSRC2:TIDIG_COMP_CNT: 0
; COMPUTE_PGM_RSRC3_GFX90A:ACCUM_OFFSET: 0
; COMPUTE_PGM_RSRC3_GFX90A:TG_SPLIT: 0
	.section	.text._ZN7rocprim17ROCPRIM_400000_NS6detail17trampoline_kernelINS0_14default_configENS1_38merge_sort_block_merge_config_selectorIiNS0_10empty_typeEEEZZNS1_27merge_sort_block_merge_implIS3_PiPS5_jNS1_19radix_merge_compareILb1ELb0EiNS0_19identity_decomposerEEEEE10hipError_tT0_T1_T2_jT3_P12ihipStream_tbPNSt15iterator_traitsISE_E10value_typeEPNSK_ISF_E10value_typeEPSG_NS1_7vsmem_tEENKUlT_SE_SF_SG_E_clIS8_S8_S9_S9_EESD_ST_SE_SF_SG_EUlST_E1_NS1_11comp_targetILNS1_3genE8ELNS1_11target_archE1030ELNS1_3gpuE2ELNS1_3repE0EEENS1_36merge_oddeven_config_static_selectorELNS0_4arch9wavefront6targetE1EEEvSF_,"axG",@progbits,_ZN7rocprim17ROCPRIM_400000_NS6detail17trampoline_kernelINS0_14default_configENS1_38merge_sort_block_merge_config_selectorIiNS0_10empty_typeEEEZZNS1_27merge_sort_block_merge_implIS3_PiPS5_jNS1_19radix_merge_compareILb1ELb0EiNS0_19identity_decomposerEEEEE10hipError_tT0_T1_T2_jT3_P12ihipStream_tbPNSt15iterator_traitsISE_E10value_typeEPNSK_ISF_E10value_typeEPSG_NS1_7vsmem_tEENKUlT_SE_SF_SG_E_clIS8_S8_S9_S9_EESD_ST_SE_SF_SG_EUlST_E1_NS1_11comp_targetILNS1_3genE8ELNS1_11target_archE1030ELNS1_3gpuE2ELNS1_3repE0EEENS1_36merge_oddeven_config_static_selectorELNS0_4arch9wavefront6targetE1EEEvSF_,comdat
	.protected	_ZN7rocprim17ROCPRIM_400000_NS6detail17trampoline_kernelINS0_14default_configENS1_38merge_sort_block_merge_config_selectorIiNS0_10empty_typeEEEZZNS1_27merge_sort_block_merge_implIS3_PiPS5_jNS1_19radix_merge_compareILb1ELb0EiNS0_19identity_decomposerEEEEE10hipError_tT0_T1_T2_jT3_P12ihipStream_tbPNSt15iterator_traitsISE_E10value_typeEPNSK_ISF_E10value_typeEPSG_NS1_7vsmem_tEENKUlT_SE_SF_SG_E_clIS8_S8_S9_S9_EESD_ST_SE_SF_SG_EUlST_E1_NS1_11comp_targetILNS1_3genE8ELNS1_11target_archE1030ELNS1_3gpuE2ELNS1_3repE0EEENS1_36merge_oddeven_config_static_selectorELNS0_4arch9wavefront6targetE1EEEvSF_ ; -- Begin function _ZN7rocprim17ROCPRIM_400000_NS6detail17trampoline_kernelINS0_14default_configENS1_38merge_sort_block_merge_config_selectorIiNS0_10empty_typeEEEZZNS1_27merge_sort_block_merge_implIS3_PiPS5_jNS1_19radix_merge_compareILb1ELb0EiNS0_19identity_decomposerEEEEE10hipError_tT0_T1_T2_jT3_P12ihipStream_tbPNSt15iterator_traitsISE_E10value_typeEPNSK_ISF_E10value_typeEPSG_NS1_7vsmem_tEENKUlT_SE_SF_SG_E_clIS8_S8_S9_S9_EESD_ST_SE_SF_SG_EUlST_E1_NS1_11comp_targetILNS1_3genE8ELNS1_11target_archE1030ELNS1_3gpuE2ELNS1_3repE0EEENS1_36merge_oddeven_config_static_selectorELNS0_4arch9wavefront6targetE1EEEvSF_
	.globl	_ZN7rocprim17ROCPRIM_400000_NS6detail17trampoline_kernelINS0_14default_configENS1_38merge_sort_block_merge_config_selectorIiNS0_10empty_typeEEEZZNS1_27merge_sort_block_merge_implIS3_PiPS5_jNS1_19radix_merge_compareILb1ELb0EiNS0_19identity_decomposerEEEEE10hipError_tT0_T1_T2_jT3_P12ihipStream_tbPNSt15iterator_traitsISE_E10value_typeEPNSK_ISF_E10value_typeEPSG_NS1_7vsmem_tEENKUlT_SE_SF_SG_E_clIS8_S8_S9_S9_EESD_ST_SE_SF_SG_EUlST_E1_NS1_11comp_targetILNS1_3genE8ELNS1_11target_archE1030ELNS1_3gpuE2ELNS1_3repE0EEENS1_36merge_oddeven_config_static_selectorELNS0_4arch9wavefront6targetE1EEEvSF_
	.p2align	8
	.type	_ZN7rocprim17ROCPRIM_400000_NS6detail17trampoline_kernelINS0_14default_configENS1_38merge_sort_block_merge_config_selectorIiNS0_10empty_typeEEEZZNS1_27merge_sort_block_merge_implIS3_PiPS5_jNS1_19radix_merge_compareILb1ELb0EiNS0_19identity_decomposerEEEEE10hipError_tT0_T1_T2_jT3_P12ihipStream_tbPNSt15iterator_traitsISE_E10value_typeEPNSK_ISF_E10value_typeEPSG_NS1_7vsmem_tEENKUlT_SE_SF_SG_E_clIS8_S8_S9_S9_EESD_ST_SE_SF_SG_EUlST_E1_NS1_11comp_targetILNS1_3genE8ELNS1_11target_archE1030ELNS1_3gpuE2ELNS1_3repE0EEENS1_36merge_oddeven_config_static_selectorELNS0_4arch9wavefront6targetE1EEEvSF_,@function
_ZN7rocprim17ROCPRIM_400000_NS6detail17trampoline_kernelINS0_14default_configENS1_38merge_sort_block_merge_config_selectorIiNS0_10empty_typeEEEZZNS1_27merge_sort_block_merge_implIS3_PiPS5_jNS1_19radix_merge_compareILb1ELb0EiNS0_19identity_decomposerEEEEE10hipError_tT0_T1_T2_jT3_P12ihipStream_tbPNSt15iterator_traitsISE_E10value_typeEPNSK_ISF_E10value_typeEPSG_NS1_7vsmem_tEENKUlT_SE_SF_SG_E_clIS8_S8_S9_S9_EESD_ST_SE_SF_SG_EUlST_E1_NS1_11comp_targetILNS1_3genE8ELNS1_11target_archE1030ELNS1_3gpuE2ELNS1_3repE0EEENS1_36merge_oddeven_config_static_selectorELNS0_4arch9wavefront6targetE1EEEvSF_: ; @_ZN7rocprim17ROCPRIM_400000_NS6detail17trampoline_kernelINS0_14default_configENS1_38merge_sort_block_merge_config_selectorIiNS0_10empty_typeEEEZZNS1_27merge_sort_block_merge_implIS3_PiPS5_jNS1_19radix_merge_compareILb1ELb0EiNS0_19identity_decomposerEEEEE10hipError_tT0_T1_T2_jT3_P12ihipStream_tbPNSt15iterator_traitsISE_E10value_typeEPNSK_ISF_E10value_typeEPSG_NS1_7vsmem_tEENKUlT_SE_SF_SG_E_clIS8_S8_S9_S9_EESD_ST_SE_SF_SG_EUlST_E1_NS1_11comp_targetILNS1_3genE8ELNS1_11target_archE1030ELNS1_3gpuE2ELNS1_3repE0EEENS1_36merge_oddeven_config_static_selectorELNS0_4arch9wavefront6targetE1EEEvSF_
; %bb.0:
	.section	.rodata,"a",@progbits
	.p2align	6, 0x0
	.amdhsa_kernel _ZN7rocprim17ROCPRIM_400000_NS6detail17trampoline_kernelINS0_14default_configENS1_38merge_sort_block_merge_config_selectorIiNS0_10empty_typeEEEZZNS1_27merge_sort_block_merge_implIS3_PiPS5_jNS1_19radix_merge_compareILb1ELb0EiNS0_19identity_decomposerEEEEE10hipError_tT0_T1_T2_jT3_P12ihipStream_tbPNSt15iterator_traitsISE_E10value_typeEPNSK_ISF_E10value_typeEPSG_NS1_7vsmem_tEENKUlT_SE_SF_SG_E_clIS8_S8_S9_S9_EESD_ST_SE_SF_SG_EUlST_E1_NS1_11comp_targetILNS1_3genE8ELNS1_11target_archE1030ELNS1_3gpuE2ELNS1_3repE0EEENS1_36merge_oddeven_config_static_selectorELNS0_4arch9wavefront6targetE1EEEvSF_
		.amdhsa_group_segment_fixed_size 0
		.amdhsa_private_segment_fixed_size 0
		.amdhsa_kernarg_size 48
		.amdhsa_user_sgpr_count 6
		.amdhsa_user_sgpr_private_segment_buffer 1
		.amdhsa_user_sgpr_dispatch_ptr 0
		.amdhsa_user_sgpr_queue_ptr 0
		.amdhsa_user_sgpr_kernarg_segment_ptr 1
		.amdhsa_user_sgpr_dispatch_id 0
		.amdhsa_user_sgpr_flat_scratch_init 0
		.amdhsa_user_sgpr_kernarg_preload_length 0
		.amdhsa_user_sgpr_kernarg_preload_offset 0
		.amdhsa_user_sgpr_private_segment_size 0
		.amdhsa_uses_dynamic_stack 0
		.amdhsa_system_sgpr_private_segment_wavefront_offset 0
		.amdhsa_system_sgpr_workgroup_id_x 1
		.amdhsa_system_sgpr_workgroup_id_y 0
		.amdhsa_system_sgpr_workgroup_id_z 0
		.amdhsa_system_sgpr_workgroup_info 0
		.amdhsa_system_vgpr_workitem_id 0
		.amdhsa_next_free_vgpr 1
		.amdhsa_next_free_sgpr 0
		.amdhsa_accum_offset 4
		.amdhsa_reserve_vcc 0
		.amdhsa_reserve_flat_scratch 0
		.amdhsa_float_round_mode_32 0
		.amdhsa_float_round_mode_16_64 0
		.amdhsa_float_denorm_mode_32 3
		.amdhsa_float_denorm_mode_16_64 3
		.amdhsa_dx10_clamp 1
		.amdhsa_ieee_mode 1
		.amdhsa_fp16_overflow 0
		.amdhsa_tg_split 0
		.amdhsa_exception_fp_ieee_invalid_op 0
		.amdhsa_exception_fp_denorm_src 0
		.amdhsa_exception_fp_ieee_div_zero 0
		.amdhsa_exception_fp_ieee_overflow 0
		.amdhsa_exception_fp_ieee_underflow 0
		.amdhsa_exception_fp_ieee_inexact 0
		.amdhsa_exception_int_div_zero 0
	.end_amdhsa_kernel
	.section	.text._ZN7rocprim17ROCPRIM_400000_NS6detail17trampoline_kernelINS0_14default_configENS1_38merge_sort_block_merge_config_selectorIiNS0_10empty_typeEEEZZNS1_27merge_sort_block_merge_implIS3_PiPS5_jNS1_19radix_merge_compareILb1ELb0EiNS0_19identity_decomposerEEEEE10hipError_tT0_T1_T2_jT3_P12ihipStream_tbPNSt15iterator_traitsISE_E10value_typeEPNSK_ISF_E10value_typeEPSG_NS1_7vsmem_tEENKUlT_SE_SF_SG_E_clIS8_S8_S9_S9_EESD_ST_SE_SF_SG_EUlST_E1_NS1_11comp_targetILNS1_3genE8ELNS1_11target_archE1030ELNS1_3gpuE2ELNS1_3repE0EEENS1_36merge_oddeven_config_static_selectorELNS0_4arch9wavefront6targetE1EEEvSF_,"axG",@progbits,_ZN7rocprim17ROCPRIM_400000_NS6detail17trampoline_kernelINS0_14default_configENS1_38merge_sort_block_merge_config_selectorIiNS0_10empty_typeEEEZZNS1_27merge_sort_block_merge_implIS3_PiPS5_jNS1_19radix_merge_compareILb1ELb0EiNS0_19identity_decomposerEEEEE10hipError_tT0_T1_T2_jT3_P12ihipStream_tbPNSt15iterator_traitsISE_E10value_typeEPNSK_ISF_E10value_typeEPSG_NS1_7vsmem_tEENKUlT_SE_SF_SG_E_clIS8_S8_S9_S9_EESD_ST_SE_SF_SG_EUlST_E1_NS1_11comp_targetILNS1_3genE8ELNS1_11target_archE1030ELNS1_3gpuE2ELNS1_3repE0EEENS1_36merge_oddeven_config_static_selectorELNS0_4arch9wavefront6targetE1EEEvSF_,comdat
.Lfunc_end1969:
	.size	_ZN7rocprim17ROCPRIM_400000_NS6detail17trampoline_kernelINS0_14default_configENS1_38merge_sort_block_merge_config_selectorIiNS0_10empty_typeEEEZZNS1_27merge_sort_block_merge_implIS3_PiPS5_jNS1_19radix_merge_compareILb1ELb0EiNS0_19identity_decomposerEEEEE10hipError_tT0_T1_T2_jT3_P12ihipStream_tbPNSt15iterator_traitsISE_E10value_typeEPNSK_ISF_E10value_typeEPSG_NS1_7vsmem_tEENKUlT_SE_SF_SG_E_clIS8_S8_S9_S9_EESD_ST_SE_SF_SG_EUlST_E1_NS1_11comp_targetILNS1_3genE8ELNS1_11target_archE1030ELNS1_3gpuE2ELNS1_3repE0EEENS1_36merge_oddeven_config_static_selectorELNS0_4arch9wavefront6targetE1EEEvSF_, .Lfunc_end1969-_ZN7rocprim17ROCPRIM_400000_NS6detail17trampoline_kernelINS0_14default_configENS1_38merge_sort_block_merge_config_selectorIiNS0_10empty_typeEEEZZNS1_27merge_sort_block_merge_implIS3_PiPS5_jNS1_19radix_merge_compareILb1ELb0EiNS0_19identity_decomposerEEEEE10hipError_tT0_T1_T2_jT3_P12ihipStream_tbPNSt15iterator_traitsISE_E10value_typeEPNSK_ISF_E10value_typeEPSG_NS1_7vsmem_tEENKUlT_SE_SF_SG_E_clIS8_S8_S9_S9_EESD_ST_SE_SF_SG_EUlST_E1_NS1_11comp_targetILNS1_3genE8ELNS1_11target_archE1030ELNS1_3gpuE2ELNS1_3repE0EEENS1_36merge_oddeven_config_static_selectorELNS0_4arch9wavefront6targetE1EEEvSF_
                                        ; -- End function
	.section	.AMDGPU.csdata,"",@progbits
; Kernel info:
; codeLenInByte = 0
; NumSgprs: 4
; NumVgprs: 0
; NumAgprs: 0
; TotalNumVgprs: 0
; ScratchSize: 0
; MemoryBound: 0
; FloatMode: 240
; IeeeMode: 1
; LDSByteSize: 0 bytes/workgroup (compile time only)
; SGPRBlocks: 0
; VGPRBlocks: 0
; NumSGPRsForWavesPerEU: 4
; NumVGPRsForWavesPerEU: 1
; AccumOffset: 4
; Occupancy: 8
; WaveLimiterHint : 0
; COMPUTE_PGM_RSRC2:SCRATCH_EN: 0
; COMPUTE_PGM_RSRC2:USER_SGPR: 6
; COMPUTE_PGM_RSRC2:TRAP_HANDLER: 0
; COMPUTE_PGM_RSRC2:TGID_X_EN: 1
; COMPUTE_PGM_RSRC2:TGID_Y_EN: 0
; COMPUTE_PGM_RSRC2:TGID_Z_EN: 0
; COMPUTE_PGM_RSRC2:TIDIG_COMP_CNT: 0
; COMPUTE_PGM_RSRC3_GFX90A:ACCUM_OFFSET: 0
; COMPUTE_PGM_RSRC3_GFX90A:TG_SPLIT: 0
	.section	.text._ZN7rocprim17ROCPRIM_400000_NS6detail17trampoline_kernelINS0_14default_configENS1_38merge_sort_block_merge_config_selectorIiNS0_10empty_typeEEEZZNS1_27merge_sort_block_merge_implIS3_PiPS5_jNS1_19radix_merge_compareILb1ELb1EiNS0_19identity_decomposerEEEEE10hipError_tT0_T1_T2_jT3_P12ihipStream_tbPNSt15iterator_traitsISE_E10value_typeEPNSK_ISF_E10value_typeEPSG_NS1_7vsmem_tEENKUlT_SE_SF_SG_E_clIS8_S8_S9_S9_EESD_ST_SE_SF_SG_EUlST_E_NS1_11comp_targetILNS1_3genE0ELNS1_11target_archE4294967295ELNS1_3gpuE0ELNS1_3repE0EEENS1_48merge_mergepath_partition_config_static_selectorELNS0_4arch9wavefront6targetE1EEEvSF_,"axG",@progbits,_ZN7rocprim17ROCPRIM_400000_NS6detail17trampoline_kernelINS0_14default_configENS1_38merge_sort_block_merge_config_selectorIiNS0_10empty_typeEEEZZNS1_27merge_sort_block_merge_implIS3_PiPS5_jNS1_19radix_merge_compareILb1ELb1EiNS0_19identity_decomposerEEEEE10hipError_tT0_T1_T2_jT3_P12ihipStream_tbPNSt15iterator_traitsISE_E10value_typeEPNSK_ISF_E10value_typeEPSG_NS1_7vsmem_tEENKUlT_SE_SF_SG_E_clIS8_S8_S9_S9_EESD_ST_SE_SF_SG_EUlST_E_NS1_11comp_targetILNS1_3genE0ELNS1_11target_archE4294967295ELNS1_3gpuE0ELNS1_3repE0EEENS1_48merge_mergepath_partition_config_static_selectorELNS0_4arch9wavefront6targetE1EEEvSF_,comdat
	.protected	_ZN7rocprim17ROCPRIM_400000_NS6detail17trampoline_kernelINS0_14default_configENS1_38merge_sort_block_merge_config_selectorIiNS0_10empty_typeEEEZZNS1_27merge_sort_block_merge_implIS3_PiPS5_jNS1_19radix_merge_compareILb1ELb1EiNS0_19identity_decomposerEEEEE10hipError_tT0_T1_T2_jT3_P12ihipStream_tbPNSt15iterator_traitsISE_E10value_typeEPNSK_ISF_E10value_typeEPSG_NS1_7vsmem_tEENKUlT_SE_SF_SG_E_clIS8_S8_S9_S9_EESD_ST_SE_SF_SG_EUlST_E_NS1_11comp_targetILNS1_3genE0ELNS1_11target_archE4294967295ELNS1_3gpuE0ELNS1_3repE0EEENS1_48merge_mergepath_partition_config_static_selectorELNS0_4arch9wavefront6targetE1EEEvSF_ ; -- Begin function _ZN7rocprim17ROCPRIM_400000_NS6detail17trampoline_kernelINS0_14default_configENS1_38merge_sort_block_merge_config_selectorIiNS0_10empty_typeEEEZZNS1_27merge_sort_block_merge_implIS3_PiPS5_jNS1_19radix_merge_compareILb1ELb1EiNS0_19identity_decomposerEEEEE10hipError_tT0_T1_T2_jT3_P12ihipStream_tbPNSt15iterator_traitsISE_E10value_typeEPNSK_ISF_E10value_typeEPSG_NS1_7vsmem_tEENKUlT_SE_SF_SG_E_clIS8_S8_S9_S9_EESD_ST_SE_SF_SG_EUlST_E_NS1_11comp_targetILNS1_3genE0ELNS1_11target_archE4294967295ELNS1_3gpuE0ELNS1_3repE0EEENS1_48merge_mergepath_partition_config_static_selectorELNS0_4arch9wavefront6targetE1EEEvSF_
	.globl	_ZN7rocprim17ROCPRIM_400000_NS6detail17trampoline_kernelINS0_14default_configENS1_38merge_sort_block_merge_config_selectorIiNS0_10empty_typeEEEZZNS1_27merge_sort_block_merge_implIS3_PiPS5_jNS1_19radix_merge_compareILb1ELb1EiNS0_19identity_decomposerEEEEE10hipError_tT0_T1_T2_jT3_P12ihipStream_tbPNSt15iterator_traitsISE_E10value_typeEPNSK_ISF_E10value_typeEPSG_NS1_7vsmem_tEENKUlT_SE_SF_SG_E_clIS8_S8_S9_S9_EESD_ST_SE_SF_SG_EUlST_E_NS1_11comp_targetILNS1_3genE0ELNS1_11target_archE4294967295ELNS1_3gpuE0ELNS1_3repE0EEENS1_48merge_mergepath_partition_config_static_selectorELNS0_4arch9wavefront6targetE1EEEvSF_
	.p2align	8
	.type	_ZN7rocprim17ROCPRIM_400000_NS6detail17trampoline_kernelINS0_14default_configENS1_38merge_sort_block_merge_config_selectorIiNS0_10empty_typeEEEZZNS1_27merge_sort_block_merge_implIS3_PiPS5_jNS1_19radix_merge_compareILb1ELb1EiNS0_19identity_decomposerEEEEE10hipError_tT0_T1_T2_jT3_P12ihipStream_tbPNSt15iterator_traitsISE_E10value_typeEPNSK_ISF_E10value_typeEPSG_NS1_7vsmem_tEENKUlT_SE_SF_SG_E_clIS8_S8_S9_S9_EESD_ST_SE_SF_SG_EUlST_E_NS1_11comp_targetILNS1_3genE0ELNS1_11target_archE4294967295ELNS1_3gpuE0ELNS1_3repE0EEENS1_48merge_mergepath_partition_config_static_selectorELNS0_4arch9wavefront6targetE1EEEvSF_,@function
_ZN7rocprim17ROCPRIM_400000_NS6detail17trampoline_kernelINS0_14default_configENS1_38merge_sort_block_merge_config_selectorIiNS0_10empty_typeEEEZZNS1_27merge_sort_block_merge_implIS3_PiPS5_jNS1_19radix_merge_compareILb1ELb1EiNS0_19identity_decomposerEEEEE10hipError_tT0_T1_T2_jT3_P12ihipStream_tbPNSt15iterator_traitsISE_E10value_typeEPNSK_ISF_E10value_typeEPSG_NS1_7vsmem_tEENKUlT_SE_SF_SG_E_clIS8_S8_S9_S9_EESD_ST_SE_SF_SG_EUlST_E_NS1_11comp_targetILNS1_3genE0ELNS1_11target_archE4294967295ELNS1_3gpuE0ELNS1_3repE0EEENS1_48merge_mergepath_partition_config_static_selectorELNS0_4arch9wavefront6targetE1EEEvSF_: ; @_ZN7rocprim17ROCPRIM_400000_NS6detail17trampoline_kernelINS0_14default_configENS1_38merge_sort_block_merge_config_selectorIiNS0_10empty_typeEEEZZNS1_27merge_sort_block_merge_implIS3_PiPS5_jNS1_19radix_merge_compareILb1ELb1EiNS0_19identity_decomposerEEEEE10hipError_tT0_T1_T2_jT3_P12ihipStream_tbPNSt15iterator_traitsISE_E10value_typeEPNSK_ISF_E10value_typeEPSG_NS1_7vsmem_tEENKUlT_SE_SF_SG_E_clIS8_S8_S9_S9_EESD_ST_SE_SF_SG_EUlST_E_NS1_11comp_targetILNS1_3genE0ELNS1_11target_archE4294967295ELNS1_3gpuE0ELNS1_3repE0EEENS1_48merge_mergepath_partition_config_static_selectorELNS0_4arch9wavefront6targetE1EEEvSF_
; %bb.0:
	.section	.rodata,"a",@progbits
	.p2align	6, 0x0
	.amdhsa_kernel _ZN7rocprim17ROCPRIM_400000_NS6detail17trampoline_kernelINS0_14default_configENS1_38merge_sort_block_merge_config_selectorIiNS0_10empty_typeEEEZZNS1_27merge_sort_block_merge_implIS3_PiPS5_jNS1_19radix_merge_compareILb1ELb1EiNS0_19identity_decomposerEEEEE10hipError_tT0_T1_T2_jT3_P12ihipStream_tbPNSt15iterator_traitsISE_E10value_typeEPNSK_ISF_E10value_typeEPSG_NS1_7vsmem_tEENKUlT_SE_SF_SG_E_clIS8_S8_S9_S9_EESD_ST_SE_SF_SG_EUlST_E_NS1_11comp_targetILNS1_3genE0ELNS1_11target_archE4294967295ELNS1_3gpuE0ELNS1_3repE0EEENS1_48merge_mergepath_partition_config_static_selectorELNS0_4arch9wavefront6targetE1EEEvSF_
		.amdhsa_group_segment_fixed_size 0
		.amdhsa_private_segment_fixed_size 0
		.amdhsa_kernarg_size 40
		.amdhsa_user_sgpr_count 6
		.amdhsa_user_sgpr_private_segment_buffer 1
		.amdhsa_user_sgpr_dispatch_ptr 0
		.amdhsa_user_sgpr_queue_ptr 0
		.amdhsa_user_sgpr_kernarg_segment_ptr 1
		.amdhsa_user_sgpr_dispatch_id 0
		.amdhsa_user_sgpr_flat_scratch_init 0
		.amdhsa_user_sgpr_kernarg_preload_length 0
		.amdhsa_user_sgpr_kernarg_preload_offset 0
		.amdhsa_user_sgpr_private_segment_size 0
		.amdhsa_uses_dynamic_stack 0
		.amdhsa_system_sgpr_private_segment_wavefront_offset 0
		.amdhsa_system_sgpr_workgroup_id_x 1
		.amdhsa_system_sgpr_workgroup_id_y 0
		.amdhsa_system_sgpr_workgroup_id_z 0
		.amdhsa_system_sgpr_workgroup_info 0
		.amdhsa_system_vgpr_workitem_id 0
		.amdhsa_next_free_vgpr 1
		.amdhsa_next_free_sgpr 0
		.amdhsa_accum_offset 4
		.amdhsa_reserve_vcc 0
		.amdhsa_reserve_flat_scratch 0
		.amdhsa_float_round_mode_32 0
		.amdhsa_float_round_mode_16_64 0
		.amdhsa_float_denorm_mode_32 3
		.amdhsa_float_denorm_mode_16_64 3
		.amdhsa_dx10_clamp 1
		.amdhsa_ieee_mode 1
		.amdhsa_fp16_overflow 0
		.amdhsa_tg_split 0
		.amdhsa_exception_fp_ieee_invalid_op 0
		.amdhsa_exception_fp_denorm_src 0
		.amdhsa_exception_fp_ieee_div_zero 0
		.amdhsa_exception_fp_ieee_overflow 0
		.amdhsa_exception_fp_ieee_underflow 0
		.amdhsa_exception_fp_ieee_inexact 0
		.amdhsa_exception_int_div_zero 0
	.end_amdhsa_kernel
	.section	.text._ZN7rocprim17ROCPRIM_400000_NS6detail17trampoline_kernelINS0_14default_configENS1_38merge_sort_block_merge_config_selectorIiNS0_10empty_typeEEEZZNS1_27merge_sort_block_merge_implIS3_PiPS5_jNS1_19radix_merge_compareILb1ELb1EiNS0_19identity_decomposerEEEEE10hipError_tT0_T1_T2_jT3_P12ihipStream_tbPNSt15iterator_traitsISE_E10value_typeEPNSK_ISF_E10value_typeEPSG_NS1_7vsmem_tEENKUlT_SE_SF_SG_E_clIS8_S8_S9_S9_EESD_ST_SE_SF_SG_EUlST_E_NS1_11comp_targetILNS1_3genE0ELNS1_11target_archE4294967295ELNS1_3gpuE0ELNS1_3repE0EEENS1_48merge_mergepath_partition_config_static_selectorELNS0_4arch9wavefront6targetE1EEEvSF_,"axG",@progbits,_ZN7rocprim17ROCPRIM_400000_NS6detail17trampoline_kernelINS0_14default_configENS1_38merge_sort_block_merge_config_selectorIiNS0_10empty_typeEEEZZNS1_27merge_sort_block_merge_implIS3_PiPS5_jNS1_19radix_merge_compareILb1ELb1EiNS0_19identity_decomposerEEEEE10hipError_tT0_T1_T2_jT3_P12ihipStream_tbPNSt15iterator_traitsISE_E10value_typeEPNSK_ISF_E10value_typeEPSG_NS1_7vsmem_tEENKUlT_SE_SF_SG_E_clIS8_S8_S9_S9_EESD_ST_SE_SF_SG_EUlST_E_NS1_11comp_targetILNS1_3genE0ELNS1_11target_archE4294967295ELNS1_3gpuE0ELNS1_3repE0EEENS1_48merge_mergepath_partition_config_static_selectorELNS0_4arch9wavefront6targetE1EEEvSF_,comdat
.Lfunc_end1970:
	.size	_ZN7rocprim17ROCPRIM_400000_NS6detail17trampoline_kernelINS0_14default_configENS1_38merge_sort_block_merge_config_selectorIiNS0_10empty_typeEEEZZNS1_27merge_sort_block_merge_implIS3_PiPS5_jNS1_19radix_merge_compareILb1ELb1EiNS0_19identity_decomposerEEEEE10hipError_tT0_T1_T2_jT3_P12ihipStream_tbPNSt15iterator_traitsISE_E10value_typeEPNSK_ISF_E10value_typeEPSG_NS1_7vsmem_tEENKUlT_SE_SF_SG_E_clIS8_S8_S9_S9_EESD_ST_SE_SF_SG_EUlST_E_NS1_11comp_targetILNS1_3genE0ELNS1_11target_archE4294967295ELNS1_3gpuE0ELNS1_3repE0EEENS1_48merge_mergepath_partition_config_static_selectorELNS0_4arch9wavefront6targetE1EEEvSF_, .Lfunc_end1970-_ZN7rocprim17ROCPRIM_400000_NS6detail17trampoline_kernelINS0_14default_configENS1_38merge_sort_block_merge_config_selectorIiNS0_10empty_typeEEEZZNS1_27merge_sort_block_merge_implIS3_PiPS5_jNS1_19radix_merge_compareILb1ELb1EiNS0_19identity_decomposerEEEEE10hipError_tT0_T1_T2_jT3_P12ihipStream_tbPNSt15iterator_traitsISE_E10value_typeEPNSK_ISF_E10value_typeEPSG_NS1_7vsmem_tEENKUlT_SE_SF_SG_E_clIS8_S8_S9_S9_EESD_ST_SE_SF_SG_EUlST_E_NS1_11comp_targetILNS1_3genE0ELNS1_11target_archE4294967295ELNS1_3gpuE0ELNS1_3repE0EEENS1_48merge_mergepath_partition_config_static_selectorELNS0_4arch9wavefront6targetE1EEEvSF_
                                        ; -- End function
	.section	.AMDGPU.csdata,"",@progbits
; Kernel info:
; codeLenInByte = 0
; NumSgprs: 4
; NumVgprs: 0
; NumAgprs: 0
; TotalNumVgprs: 0
; ScratchSize: 0
; MemoryBound: 0
; FloatMode: 240
; IeeeMode: 1
; LDSByteSize: 0 bytes/workgroup (compile time only)
; SGPRBlocks: 0
; VGPRBlocks: 0
; NumSGPRsForWavesPerEU: 4
; NumVGPRsForWavesPerEU: 1
; AccumOffset: 4
; Occupancy: 8
; WaveLimiterHint : 0
; COMPUTE_PGM_RSRC2:SCRATCH_EN: 0
; COMPUTE_PGM_RSRC2:USER_SGPR: 6
; COMPUTE_PGM_RSRC2:TRAP_HANDLER: 0
; COMPUTE_PGM_RSRC2:TGID_X_EN: 1
; COMPUTE_PGM_RSRC2:TGID_Y_EN: 0
; COMPUTE_PGM_RSRC2:TGID_Z_EN: 0
; COMPUTE_PGM_RSRC2:TIDIG_COMP_CNT: 0
; COMPUTE_PGM_RSRC3_GFX90A:ACCUM_OFFSET: 0
; COMPUTE_PGM_RSRC3_GFX90A:TG_SPLIT: 0
	.section	.text._ZN7rocprim17ROCPRIM_400000_NS6detail17trampoline_kernelINS0_14default_configENS1_38merge_sort_block_merge_config_selectorIiNS0_10empty_typeEEEZZNS1_27merge_sort_block_merge_implIS3_PiPS5_jNS1_19radix_merge_compareILb1ELb1EiNS0_19identity_decomposerEEEEE10hipError_tT0_T1_T2_jT3_P12ihipStream_tbPNSt15iterator_traitsISE_E10value_typeEPNSK_ISF_E10value_typeEPSG_NS1_7vsmem_tEENKUlT_SE_SF_SG_E_clIS8_S8_S9_S9_EESD_ST_SE_SF_SG_EUlST_E_NS1_11comp_targetILNS1_3genE10ELNS1_11target_archE1201ELNS1_3gpuE5ELNS1_3repE0EEENS1_48merge_mergepath_partition_config_static_selectorELNS0_4arch9wavefront6targetE1EEEvSF_,"axG",@progbits,_ZN7rocprim17ROCPRIM_400000_NS6detail17trampoline_kernelINS0_14default_configENS1_38merge_sort_block_merge_config_selectorIiNS0_10empty_typeEEEZZNS1_27merge_sort_block_merge_implIS3_PiPS5_jNS1_19radix_merge_compareILb1ELb1EiNS0_19identity_decomposerEEEEE10hipError_tT0_T1_T2_jT3_P12ihipStream_tbPNSt15iterator_traitsISE_E10value_typeEPNSK_ISF_E10value_typeEPSG_NS1_7vsmem_tEENKUlT_SE_SF_SG_E_clIS8_S8_S9_S9_EESD_ST_SE_SF_SG_EUlST_E_NS1_11comp_targetILNS1_3genE10ELNS1_11target_archE1201ELNS1_3gpuE5ELNS1_3repE0EEENS1_48merge_mergepath_partition_config_static_selectorELNS0_4arch9wavefront6targetE1EEEvSF_,comdat
	.protected	_ZN7rocprim17ROCPRIM_400000_NS6detail17trampoline_kernelINS0_14default_configENS1_38merge_sort_block_merge_config_selectorIiNS0_10empty_typeEEEZZNS1_27merge_sort_block_merge_implIS3_PiPS5_jNS1_19radix_merge_compareILb1ELb1EiNS0_19identity_decomposerEEEEE10hipError_tT0_T1_T2_jT3_P12ihipStream_tbPNSt15iterator_traitsISE_E10value_typeEPNSK_ISF_E10value_typeEPSG_NS1_7vsmem_tEENKUlT_SE_SF_SG_E_clIS8_S8_S9_S9_EESD_ST_SE_SF_SG_EUlST_E_NS1_11comp_targetILNS1_3genE10ELNS1_11target_archE1201ELNS1_3gpuE5ELNS1_3repE0EEENS1_48merge_mergepath_partition_config_static_selectorELNS0_4arch9wavefront6targetE1EEEvSF_ ; -- Begin function _ZN7rocprim17ROCPRIM_400000_NS6detail17trampoline_kernelINS0_14default_configENS1_38merge_sort_block_merge_config_selectorIiNS0_10empty_typeEEEZZNS1_27merge_sort_block_merge_implIS3_PiPS5_jNS1_19radix_merge_compareILb1ELb1EiNS0_19identity_decomposerEEEEE10hipError_tT0_T1_T2_jT3_P12ihipStream_tbPNSt15iterator_traitsISE_E10value_typeEPNSK_ISF_E10value_typeEPSG_NS1_7vsmem_tEENKUlT_SE_SF_SG_E_clIS8_S8_S9_S9_EESD_ST_SE_SF_SG_EUlST_E_NS1_11comp_targetILNS1_3genE10ELNS1_11target_archE1201ELNS1_3gpuE5ELNS1_3repE0EEENS1_48merge_mergepath_partition_config_static_selectorELNS0_4arch9wavefront6targetE1EEEvSF_
	.globl	_ZN7rocprim17ROCPRIM_400000_NS6detail17trampoline_kernelINS0_14default_configENS1_38merge_sort_block_merge_config_selectorIiNS0_10empty_typeEEEZZNS1_27merge_sort_block_merge_implIS3_PiPS5_jNS1_19radix_merge_compareILb1ELb1EiNS0_19identity_decomposerEEEEE10hipError_tT0_T1_T2_jT3_P12ihipStream_tbPNSt15iterator_traitsISE_E10value_typeEPNSK_ISF_E10value_typeEPSG_NS1_7vsmem_tEENKUlT_SE_SF_SG_E_clIS8_S8_S9_S9_EESD_ST_SE_SF_SG_EUlST_E_NS1_11comp_targetILNS1_3genE10ELNS1_11target_archE1201ELNS1_3gpuE5ELNS1_3repE0EEENS1_48merge_mergepath_partition_config_static_selectorELNS0_4arch9wavefront6targetE1EEEvSF_
	.p2align	8
	.type	_ZN7rocprim17ROCPRIM_400000_NS6detail17trampoline_kernelINS0_14default_configENS1_38merge_sort_block_merge_config_selectorIiNS0_10empty_typeEEEZZNS1_27merge_sort_block_merge_implIS3_PiPS5_jNS1_19radix_merge_compareILb1ELb1EiNS0_19identity_decomposerEEEEE10hipError_tT0_T1_T2_jT3_P12ihipStream_tbPNSt15iterator_traitsISE_E10value_typeEPNSK_ISF_E10value_typeEPSG_NS1_7vsmem_tEENKUlT_SE_SF_SG_E_clIS8_S8_S9_S9_EESD_ST_SE_SF_SG_EUlST_E_NS1_11comp_targetILNS1_3genE10ELNS1_11target_archE1201ELNS1_3gpuE5ELNS1_3repE0EEENS1_48merge_mergepath_partition_config_static_selectorELNS0_4arch9wavefront6targetE1EEEvSF_,@function
_ZN7rocprim17ROCPRIM_400000_NS6detail17trampoline_kernelINS0_14default_configENS1_38merge_sort_block_merge_config_selectorIiNS0_10empty_typeEEEZZNS1_27merge_sort_block_merge_implIS3_PiPS5_jNS1_19radix_merge_compareILb1ELb1EiNS0_19identity_decomposerEEEEE10hipError_tT0_T1_T2_jT3_P12ihipStream_tbPNSt15iterator_traitsISE_E10value_typeEPNSK_ISF_E10value_typeEPSG_NS1_7vsmem_tEENKUlT_SE_SF_SG_E_clIS8_S8_S9_S9_EESD_ST_SE_SF_SG_EUlST_E_NS1_11comp_targetILNS1_3genE10ELNS1_11target_archE1201ELNS1_3gpuE5ELNS1_3repE0EEENS1_48merge_mergepath_partition_config_static_selectorELNS0_4arch9wavefront6targetE1EEEvSF_: ; @_ZN7rocprim17ROCPRIM_400000_NS6detail17trampoline_kernelINS0_14default_configENS1_38merge_sort_block_merge_config_selectorIiNS0_10empty_typeEEEZZNS1_27merge_sort_block_merge_implIS3_PiPS5_jNS1_19radix_merge_compareILb1ELb1EiNS0_19identity_decomposerEEEEE10hipError_tT0_T1_T2_jT3_P12ihipStream_tbPNSt15iterator_traitsISE_E10value_typeEPNSK_ISF_E10value_typeEPSG_NS1_7vsmem_tEENKUlT_SE_SF_SG_E_clIS8_S8_S9_S9_EESD_ST_SE_SF_SG_EUlST_E_NS1_11comp_targetILNS1_3genE10ELNS1_11target_archE1201ELNS1_3gpuE5ELNS1_3repE0EEENS1_48merge_mergepath_partition_config_static_selectorELNS0_4arch9wavefront6targetE1EEEvSF_
; %bb.0:
	.section	.rodata,"a",@progbits
	.p2align	6, 0x0
	.amdhsa_kernel _ZN7rocprim17ROCPRIM_400000_NS6detail17trampoline_kernelINS0_14default_configENS1_38merge_sort_block_merge_config_selectorIiNS0_10empty_typeEEEZZNS1_27merge_sort_block_merge_implIS3_PiPS5_jNS1_19radix_merge_compareILb1ELb1EiNS0_19identity_decomposerEEEEE10hipError_tT0_T1_T2_jT3_P12ihipStream_tbPNSt15iterator_traitsISE_E10value_typeEPNSK_ISF_E10value_typeEPSG_NS1_7vsmem_tEENKUlT_SE_SF_SG_E_clIS8_S8_S9_S9_EESD_ST_SE_SF_SG_EUlST_E_NS1_11comp_targetILNS1_3genE10ELNS1_11target_archE1201ELNS1_3gpuE5ELNS1_3repE0EEENS1_48merge_mergepath_partition_config_static_selectorELNS0_4arch9wavefront6targetE1EEEvSF_
		.amdhsa_group_segment_fixed_size 0
		.amdhsa_private_segment_fixed_size 0
		.amdhsa_kernarg_size 40
		.amdhsa_user_sgpr_count 6
		.amdhsa_user_sgpr_private_segment_buffer 1
		.amdhsa_user_sgpr_dispatch_ptr 0
		.amdhsa_user_sgpr_queue_ptr 0
		.amdhsa_user_sgpr_kernarg_segment_ptr 1
		.amdhsa_user_sgpr_dispatch_id 0
		.amdhsa_user_sgpr_flat_scratch_init 0
		.amdhsa_user_sgpr_kernarg_preload_length 0
		.amdhsa_user_sgpr_kernarg_preload_offset 0
		.amdhsa_user_sgpr_private_segment_size 0
		.amdhsa_uses_dynamic_stack 0
		.amdhsa_system_sgpr_private_segment_wavefront_offset 0
		.amdhsa_system_sgpr_workgroup_id_x 1
		.amdhsa_system_sgpr_workgroup_id_y 0
		.amdhsa_system_sgpr_workgroup_id_z 0
		.amdhsa_system_sgpr_workgroup_info 0
		.amdhsa_system_vgpr_workitem_id 0
		.amdhsa_next_free_vgpr 1
		.amdhsa_next_free_sgpr 0
		.amdhsa_accum_offset 4
		.amdhsa_reserve_vcc 0
		.amdhsa_reserve_flat_scratch 0
		.amdhsa_float_round_mode_32 0
		.amdhsa_float_round_mode_16_64 0
		.amdhsa_float_denorm_mode_32 3
		.amdhsa_float_denorm_mode_16_64 3
		.amdhsa_dx10_clamp 1
		.amdhsa_ieee_mode 1
		.amdhsa_fp16_overflow 0
		.amdhsa_tg_split 0
		.amdhsa_exception_fp_ieee_invalid_op 0
		.amdhsa_exception_fp_denorm_src 0
		.amdhsa_exception_fp_ieee_div_zero 0
		.amdhsa_exception_fp_ieee_overflow 0
		.amdhsa_exception_fp_ieee_underflow 0
		.amdhsa_exception_fp_ieee_inexact 0
		.amdhsa_exception_int_div_zero 0
	.end_amdhsa_kernel
	.section	.text._ZN7rocprim17ROCPRIM_400000_NS6detail17trampoline_kernelINS0_14default_configENS1_38merge_sort_block_merge_config_selectorIiNS0_10empty_typeEEEZZNS1_27merge_sort_block_merge_implIS3_PiPS5_jNS1_19radix_merge_compareILb1ELb1EiNS0_19identity_decomposerEEEEE10hipError_tT0_T1_T2_jT3_P12ihipStream_tbPNSt15iterator_traitsISE_E10value_typeEPNSK_ISF_E10value_typeEPSG_NS1_7vsmem_tEENKUlT_SE_SF_SG_E_clIS8_S8_S9_S9_EESD_ST_SE_SF_SG_EUlST_E_NS1_11comp_targetILNS1_3genE10ELNS1_11target_archE1201ELNS1_3gpuE5ELNS1_3repE0EEENS1_48merge_mergepath_partition_config_static_selectorELNS0_4arch9wavefront6targetE1EEEvSF_,"axG",@progbits,_ZN7rocprim17ROCPRIM_400000_NS6detail17trampoline_kernelINS0_14default_configENS1_38merge_sort_block_merge_config_selectorIiNS0_10empty_typeEEEZZNS1_27merge_sort_block_merge_implIS3_PiPS5_jNS1_19radix_merge_compareILb1ELb1EiNS0_19identity_decomposerEEEEE10hipError_tT0_T1_T2_jT3_P12ihipStream_tbPNSt15iterator_traitsISE_E10value_typeEPNSK_ISF_E10value_typeEPSG_NS1_7vsmem_tEENKUlT_SE_SF_SG_E_clIS8_S8_S9_S9_EESD_ST_SE_SF_SG_EUlST_E_NS1_11comp_targetILNS1_3genE10ELNS1_11target_archE1201ELNS1_3gpuE5ELNS1_3repE0EEENS1_48merge_mergepath_partition_config_static_selectorELNS0_4arch9wavefront6targetE1EEEvSF_,comdat
.Lfunc_end1971:
	.size	_ZN7rocprim17ROCPRIM_400000_NS6detail17trampoline_kernelINS0_14default_configENS1_38merge_sort_block_merge_config_selectorIiNS0_10empty_typeEEEZZNS1_27merge_sort_block_merge_implIS3_PiPS5_jNS1_19radix_merge_compareILb1ELb1EiNS0_19identity_decomposerEEEEE10hipError_tT0_T1_T2_jT3_P12ihipStream_tbPNSt15iterator_traitsISE_E10value_typeEPNSK_ISF_E10value_typeEPSG_NS1_7vsmem_tEENKUlT_SE_SF_SG_E_clIS8_S8_S9_S9_EESD_ST_SE_SF_SG_EUlST_E_NS1_11comp_targetILNS1_3genE10ELNS1_11target_archE1201ELNS1_3gpuE5ELNS1_3repE0EEENS1_48merge_mergepath_partition_config_static_selectorELNS0_4arch9wavefront6targetE1EEEvSF_, .Lfunc_end1971-_ZN7rocprim17ROCPRIM_400000_NS6detail17trampoline_kernelINS0_14default_configENS1_38merge_sort_block_merge_config_selectorIiNS0_10empty_typeEEEZZNS1_27merge_sort_block_merge_implIS3_PiPS5_jNS1_19radix_merge_compareILb1ELb1EiNS0_19identity_decomposerEEEEE10hipError_tT0_T1_T2_jT3_P12ihipStream_tbPNSt15iterator_traitsISE_E10value_typeEPNSK_ISF_E10value_typeEPSG_NS1_7vsmem_tEENKUlT_SE_SF_SG_E_clIS8_S8_S9_S9_EESD_ST_SE_SF_SG_EUlST_E_NS1_11comp_targetILNS1_3genE10ELNS1_11target_archE1201ELNS1_3gpuE5ELNS1_3repE0EEENS1_48merge_mergepath_partition_config_static_selectorELNS0_4arch9wavefront6targetE1EEEvSF_
                                        ; -- End function
	.section	.AMDGPU.csdata,"",@progbits
; Kernel info:
; codeLenInByte = 0
; NumSgprs: 4
; NumVgprs: 0
; NumAgprs: 0
; TotalNumVgprs: 0
; ScratchSize: 0
; MemoryBound: 0
; FloatMode: 240
; IeeeMode: 1
; LDSByteSize: 0 bytes/workgroup (compile time only)
; SGPRBlocks: 0
; VGPRBlocks: 0
; NumSGPRsForWavesPerEU: 4
; NumVGPRsForWavesPerEU: 1
; AccumOffset: 4
; Occupancy: 8
; WaveLimiterHint : 0
; COMPUTE_PGM_RSRC2:SCRATCH_EN: 0
; COMPUTE_PGM_RSRC2:USER_SGPR: 6
; COMPUTE_PGM_RSRC2:TRAP_HANDLER: 0
; COMPUTE_PGM_RSRC2:TGID_X_EN: 1
; COMPUTE_PGM_RSRC2:TGID_Y_EN: 0
; COMPUTE_PGM_RSRC2:TGID_Z_EN: 0
; COMPUTE_PGM_RSRC2:TIDIG_COMP_CNT: 0
; COMPUTE_PGM_RSRC3_GFX90A:ACCUM_OFFSET: 0
; COMPUTE_PGM_RSRC3_GFX90A:TG_SPLIT: 0
	.section	.text._ZN7rocprim17ROCPRIM_400000_NS6detail17trampoline_kernelINS0_14default_configENS1_38merge_sort_block_merge_config_selectorIiNS0_10empty_typeEEEZZNS1_27merge_sort_block_merge_implIS3_PiPS5_jNS1_19radix_merge_compareILb1ELb1EiNS0_19identity_decomposerEEEEE10hipError_tT0_T1_T2_jT3_P12ihipStream_tbPNSt15iterator_traitsISE_E10value_typeEPNSK_ISF_E10value_typeEPSG_NS1_7vsmem_tEENKUlT_SE_SF_SG_E_clIS8_S8_S9_S9_EESD_ST_SE_SF_SG_EUlST_E_NS1_11comp_targetILNS1_3genE5ELNS1_11target_archE942ELNS1_3gpuE9ELNS1_3repE0EEENS1_48merge_mergepath_partition_config_static_selectorELNS0_4arch9wavefront6targetE1EEEvSF_,"axG",@progbits,_ZN7rocprim17ROCPRIM_400000_NS6detail17trampoline_kernelINS0_14default_configENS1_38merge_sort_block_merge_config_selectorIiNS0_10empty_typeEEEZZNS1_27merge_sort_block_merge_implIS3_PiPS5_jNS1_19radix_merge_compareILb1ELb1EiNS0_19identity_decomposerEEEEE10hipError_tT0_T1_T2_jT3_P12ihipStream_tbPNSt15iterator_traitsISE_E10value_typeEPNSK_ISF_E10value_typeEPSG_NS1_7vsmem_tEENKUlT_SE_SF_SG_E_clIS8_S8_S9_S9_EESD_ST_SE_SF_SG_EUlST_E_NS1_11comp_targetILNS1_3genE5ELNS1_11target_archE942ELNS1_3gpuE9ELNS1_3repE0EEENS1_48merge_mergepath_partition_config_static_selectorELNS0_4arch9wavefront6targetE1EEEvSF_,comdat
	.protected	_ZN7rocprim17ROCPRIM_400000_NS6detail17trampoline_kernelINS0_14default_configENS1_38merge_sort_block_merge_config_selectorIiNS0_10empty_typeEEEZZNS1_27merge_sort_block_merge_implIS3_PiPS5_jNS1_19radix_merge_compareILb1ELb1EiNS0_19identity_decomposerEEEEE10hipError_tT0_T1_T2_jT3_P12ihipStream_tbPNSt15iterator_traitsISE_E10value_typeEPNSK_ISF_E10value_typeEPSG_NS1_7vsmem_tEENKUlT_SE_SF_SG_E_clIS8_S8_S9_S9_EESD_ST_SE_SF_SG_EUlST_E_NS1_11comp_targetILNS1_3genE5ELNS1_11target_archE942ELNS1_3gpuE9ELNS1_3repE0EEENS1_48merge_mergepath_partition_config_static_selectorELNS0_4arch9wavefront6targetE1EEEvSF_ ; -- Begin function _ZN7rocprim17ROCPRIM_400000_NS6detail17trampoline_kernelINS0_14default_configENS1_38merge_sort_block_merge_config_selectorIiNS0_10empty_typeEEEZZNS1_27merge_sort_block_merge_implIS3_PiPS5_jNS1_19radix_merge_compareILb1ELb1EiNS0_19identity_decomposerEEEEE10hipError_tT0_T1_T2_jT3_P12ihipStream_tbPNSt15iterator_traitsISE_E10value_typeEPNSK_ISF_E10value_typeEPSG_NS1_7vsmem_tEENKUlT_SE_SF_SG_E_clIS8_S8_S9_S9_EESD_ST_SE_SF_SG_EUlST_E_NS1_11comp_targetILNS1_3genE5ELNS1_11target_archE942ELNS1_3gpuE9ELNS1_3repE0EEENS1_48merge_mergepath_partition_config_static_selectorELNS0_4arch9wavefront6targetE1EEEvSF_
	.globl	_ZN7rocprim17ROCPRIM_400000_NS6detail17trampoline_kernelINS0_14default_configENS1_38merge_sort_block_merge_config_selectorIiNS0_10empty_typeEEEZZNS1_27merge_sort_block_merge_implIS3_PiPS5_jNS1_19radix_merge_compareILb1ELb1EiNS0_19identity_decomposerEEEEE10hipError_tT0_T1_T2_jT3_P12ihipStream_tbPNSt15iterator_traitsISE_E10value_typeEPNSK_ISF_E10value_typeEPSG_NS1_7vsmem_tEENKUlT_SE_SF_SG_E_clIS8_S8_S9_S9_EESD_ST_SE_SF_SG_EUlST_E_NS1_11comp_targetILNS1_3genE5ELNS1_11target_archE942ELNS1_3gpuE9ELNS1_3repE0EEENS1_48merge_mergepath_partition_config_static_selectorELNS0_4arch9wavefront6targetE1EEEvSF_
	.p2align	8
	.type	_ZN7rocprim17ROCPRIM_400000_NS6detail17trampoline_kernelINS0_14default_configENS1_38merge_sort_block_merge_config_selectorIiNS0_10empty_typeEEEZZNS1_27merge_sort_block_merge_implIS3_PiPS5_jNS1_19radix_merge_compareILb1ELb1EiNS0_19identity_decomposerEEEEE10hipError_tT0_T1_T2_jT3_P12ihipStream_tbPNSt15iterator_traitsISE_E10value_typeEPNSK_ISF_E10value_typeEPSG_NS1_7vsmem_tEENKUlT_SE_SF_SG_E_clIS8_S8_S9_S9_EESD_ST_SE_SF_SG_EUlST_E_NS1_11comp_targetILNS1_3genE5ELNS1_11target_archE942ELNS1_3gpuE9ELNS1_3repE0EEENS1_48merge_mergepath_partition_config_static_selectorELNS0_4arch9wavefront6targetE1EEEvSF_,@function
_ZN7rocprim17ROCPRIM_400000_NS6detail17trampoline_kernelINS0_14default_configENS1_38merge_sort_block_merge_config_selectorIiNS0_10empty_typeEEEZZNS1_27merge_sort_block_merge_implIS3_PiPS5_jNS1_19radix_merge_compareILb1ELb1EiNS0_19identity_decomposerEEEEE10hipError_tT0_T1_T2_jT3_P12ihipStream_tbPNSt15iterator_traitsISE_E10value_typeEPNSK_ISF_E10value_typeEPSG_NS1_7vsmem_tEENKUlT_SE_SF_SG_E_clIS8_S8_S9_S9_EESD_ST_SE_SF_SG_EUlST_E_NS1_11comp_targetILNS1_3genE5ELNS1_11target_archE942ELNS1_3gpuE9ELNS1_3repE0EEENS1_48merge_mergepath_partition_config_static_selectorELNS0_4arch9wavefront6targetE1EEEvSF_: ; @_ZN7rocprim17ROCPRIM_400000_NS6detail17trampoline_kernelINS0_14default_configENS1_38merge_sort_block_merge_config_selectorIiNS0_10empty_typeEEEZZNS1_27merge_sort_block_merge_implIS3_PiPS5_jNS1_19radix_merge_compareILb1ELb1EiNS0_19identity_decomposerEEEEE10hipError_tT0_T1_T2_jT3_P12ihipStream_tbPNSt15iterator_traitsISE_E10value_typeEPNSK_ISF_E10value_typeEPSG_NS1_7vsmem_tEENKUlT_SE_SF_SG_E_clIS8_S8_S9_S9_EESD_ST_SE_SF_SG_EUlST_E_NS1_11comp_targetILNS1_3genE5ELNS1_11target_archE942ELNS1_3gpuE9ELNS1_3repE0EEENS1_48merge_mergepath_partition_config_static_selectorELNS0_4arch9wavefront6targetE1EEEvSF_
; %bb.0:
	.section	.rodata,"a",@progbits
	.p2align	6, 0x0
	.amdhsa_kernel _ZN7rocprim17ROCPRIM_400000_NS6detail17trampoline_kernelINS0_14default_configENS1_38merge_sort_block_merge_config_selectorIiNS0_10empty_typeEEEZZNS1_27merge_sort_block_merge_implIS3_PiPS5_jNS1_19radix_merge_compareILb1ELb1EiNS0_19identity_decomposerEEEEE10hipError_tT0_T1_T2_jT3_P12ihipStream_tbPNSt15iterator_traitsISE_E10value_typeEPNSK_ISF_E10value_typeEPSG_NS1_7vsmem_tEENKUlT_SE_SF_SG_E_clIS8_S8_S9_S9_EESD_ST_SE_SF_SG_EUlST_E_NS1_11comp_targetILNS1_3genE5ELNS1_11target_archE942ELNS1_3gpuE9ELNS1_3repE0EEENS1_48merge_mergepath_partition_config_static_selectorELNS0_4arch9wavefront6targetE1EEEvSF_
		.amdhsa_group_segment_fixed_size 0
		.amdhsa_private_segment_fixed_size 0
		.amdhsa_kernarg_size 40
		.amdhsa_user_sgpr_count 6
		.amdhsa_user_sgpr_private_segment_buffer 1
		.amdhsa_user_sgpr_dispatch_ptr 0
		.amdhsa_user_sgpr_queue_ptr 0
		.amdhsa_user_sgpr_kernarg_segment_ptr 1
		.amdhsa_user_sgpr_dispatch_id 0
		.amdhsa_user_sgpr_flat_scratch_init 0
		.amdhsa_user_sgpr_kernarg_preload_length 0
		.amdhsa_user_sgpr_kernarg_preload_offset 0
		.amdhsa_user_sgpr_private_segment_size 0
		.amdhsa_uses_dynamic_stack 0
		.amdhsa_system_sgpr_private_segment_wavefront_offset 0
		.amdhsa_system_sgpr_workgroup_id_x 1
		.amdhsa_system_sgpr_workgroup_id_y 0
		.amdhsa_system_sgpr_workgroup_id_z 0
		.amdhsa_system_sgpr_workgroup_info 0
		.amdhsa_system_vgpr_workitem_id 0
		.amdhsa_next_free_vgpr 1
		.amdhsa_next_free_sgpr 0
		.amdhsa_accum_offset 4
		.amdhsa_reserve_vcc 0
		.amdhsa_reserve_flat_scratch 0
		.amdhsa_float_round_mode_32 0
		.amdhsa_float_round_mode_16_64 0
		.amdhsa_float_denorm_mode_32 3
		.amdhsa_float_denorm_mode_16_64 3
		.amdhsa_dx10_clamp 1
		.amdhsa_ieee_mode 1
		.amdhsa_fp16_overflow 0
		.amdhsa_tg_split 0
		.amdhsa_exception_fp_ieee_invalid_op 0
		.amdhsa_exception_fp_denorm_src 0
		.amdhsa_exception_fp_ieee_div_zero 0
		.amdhsa_exception_fp_ieee_overflow 0
		.amdhsa_exception_fp_ieee_underflow 0
		.amdhsa_exception_fp_ieee_inexact 0
		.amdhsa_exception_int_div_zero 0
	.end_amdhsa_kernel
	.section	.text._ZN7rocprim17ROCPRIM_400000_NS6detail17trampoline_kernelINS0_14default_configENS1_38merge_sort_block_merge_config_selectorIiNS0_10empty_typeEEEZZNS1_27merge_sort_block_merge_implIS3_PiPS5_jNS1_19radix_merge_compareILb1ELb1EiNS0_19identity_decomposerEEEEE10hipError_tT0_T1_T2_jT3_P12ihipStream_tbPNSt15iterator_traitsISE_E10value_typeEPNSK_ISF_E10value_typeEPSG_NS1_7vsmem_tEENKUlT_SE_SF_SG_E_clIS8_S8_S9_S9_EESD_ST_SE_SF_SG_EUlST_E_NS1_11comp_targetILNS1_3genE5ELNS1_11target_archE942ELNS1_3gpuE9ELNS1_3repE0EEENS1_48merge_mergepath_partition_config_static_selectorELNS0_4arch9wavefront6targetE1EEEvSF_,"axG",@progbits,_ZN7rocprim17ROCPRIM_400000_NS6detail17trampoline_kernelINS0_14default_configENS1_38merge_sort_block_merge_config_selectorIiNS0_10empty_typeEEEZZNS1_27merge_sort_block_merge_implIS3_PiPS5_jNS1_19radix_merge_compareILb1ELb1EiNS0_19identity_decomposerEEEEE10hipError_tT0_T1_T2_jT3_P12ihipStream_tbPNSt15iterator_traitsISE_E10value_typeEPNSK_ISF_E10value_typeEPSG_NS1_7vsmem_tEENKUlT_SE_SF_SG_E_clIS8_S8_S9_S9_EESD_ST_SE_SF_SG_EUlST_E_NS1_11comp_targetILNS1_3genE5ELNS1_11target_archE942ELNS1_3gpuE9ELNS1_3repE0EEENS1_48merge_mergepath_partition_config_static_selectorELNS0_4arch9wavefront6targetE1EEEvSF_,comdat
.Lfunc_end1972:
	.size	_ZN7rocprim17ROCPRIM_400000_NS6detail17trampoline_kernelINS0_14default_configENS1_38merge_sort_block_merge_config_selectorIiNS0_10empty_typeEEEZZNS1_27merge_sort_block_merge_implIS3_PiPS5_jNS1_19radix_merge_compareILb1ELb1EiNS0_19identity_decomposerEEEEE10hipError_tT0_T1_T2_jT3_P12ihipStream_tbPNSt15iterator_traitsISE_E10value_typeEPNSK_ISF_E10value_typeEPSG_NS1_7vsmem_tEENKUlT_SE_SF_SG_E_clIS8_S8_S9_S9_EESD_ST_SE_SF_SG_EUlST_E_NS1_11comp_targetILNS1_3genE5ELNS1_11target_archE942ELNS1_3gpuE9ELNS1_3repE0EEENS1_48merge_mergepath_partition_config_static_selectorELNS0_4arch9wavefront6targetE1EEEvSF_, .Lfunc_end1972-_ZN7rocprim17ROCPRIM_400000_NS6detail17trampoline_kernelINS0_14default_configENS1_38merge_sort_block_merge_config_selectorIiNS0_10empty_typeEEEZZNS1_27merge_sort_block_merge_implIS3_PiPS5_jNS1_19radix_merge_compareILb1ELb1EiNS0_19identity_decomposerEEEEE10hipError_tT0_T1_T2_jT3_P12ihipStream_tbPNSt15iterator_traitsISE_E10value_typeEPNSK_ISF_E10value_typeEPSG_NS1_7vsmem_tEENKUlT_SE_SF_SG_E_clIS8_S8_S9_S9_EESD_ST_SE_SF_SG_EUlST_E_NS1_11comp_targetILNS1_3genE5ELNS1_11target_archE942ELNS1_3gpuE9ELNS1_3repE0EEENS1_48merge_mergepath_partition_config_static_selectorELNS0_4arch9wavefront6targetE1EEEvSF_
                                        ; -- End function
	.section	.AMDGPU.csdata,"",@progbits
; Kernel info:
; codeLenInByte = 0
; NumSgprs: 4
; NumVgprs: 0
; NumAgprs: 0
; TotalNumVgprs: 0
; ScratchSize: 0
; MemoryBound: 0
; FloatMode: 240
; IeeeMode: 1
; LDSByteSize: 0 bytes/workgroup (compile time only)
; SGPRBlocks: 0
; VGPRBlocks: 0
; NumSGPRsForWavesPerEU: 4
; NumVGPRsForWavesPerEU: 1
; AccumOffset: 4
; Occupancy: 8
; WaveLimiterHint : 0
; COMPUTE_PGM_RSRC2:SCRATCH_EN: 0
; COMPUTE_PGM_RSRC2:USER_SGPR: 6
; COMPUTE_PGM_RSRC2:TRAP_HANDLER: 0
; COMPUTE_PGM_RSRC2:TGID_X_EN: 1
; COMPUTE_PGM_RSRC2:TGID_Y_EN: 0
; COMPUTE_PGM_RSRC2:TGID_Z_EN: 0
; COMPUTE_PGM_RSRC2:TIDIG_COMP_CNT: 0
; COMPUTE_PGM_RSRC3_GFX90A:ACCUM_OFFSET: 0
; COMPUTE_PGM_RSRC3_GFX90A:TG_SPLIT: 0
	.section	.text._ZN7rocprim17ROCPRIM_400000_NS6detail17trampoline_kernelINS0_14default_configENS1_38merge_sort_block_merge_config_selectorIiNS0_10empty_typeEEEZZNS1_27merge_sort_block_merge_implIS3_PiPS5_jNS1_19radix_merge_compareILb1ELb1EiNS0_19identity_decomposerEEEEE10hipError_tT0_T1_T2_jT3_P12ihipStream_tbPNSt15iterator_traitsISE_E10value_typeEPNSK_ISF_E10value_typeEPSG_NS1_7vsmem_tEENKUlT_SE_SF_SG_E_clIS8_S8_S9_S9_EESD_ST_SE_SF_SG_EUlST_E_NS1_11comp_targetILNS1_3genE4ELNS1_11target_archE910ELNS1_3gpuE8ELNS1_3repE0EEENS1_48merge_mergepath_partition_config_static_selectorELNS0_4arch9wavefront6targetE1EEEvSF_,"axG",@progbits,_ZN7rocprim17ROCPRIM_400000_NS6detail17trampoline_kernelINS0_14default_configENS1_38merge_sort_block_merge_config_selectorIiNS0_10empty_typeEEEZZNS1_27merge_sort_block_merge_implIS3_PiPS5_jNS1_19radix_merge_compareILb1ELb1EiNS0_19identity_decomposerEEEEE10hipError_tT0_T1_T2_jT3_P12ihipStream_tbPNSt15iterator_traitsISE_E10value_typeEPNSK_ISF_E10value_typeEPSG_NS1_7vsmem_tEENKUlT_SE_SF_SG_E_clIS8_S8_S9_S9_EESD_ST_SE_SF_SG_EUlST_E_NS1_11comp_targetILNS1_3genE4ELNS1_11target_archE910ELNS1_3gpuE8ELNS1_3repE0EEENS1_48merge_mergepath_partition_config_static_selectorELNS0_4arch9wavefront6targetE1EEEvSF_,comdat
	.protected	_ZN7rocprim17ROCPRIM_400000_NS6detail17trampoline_kernelINS0_14default_configENS1_38merge_sort_block_merge_config_selectorIiNS0_10empty_typeEEEZZNS1_27merge_sort_block_merge_implIS3_PiPS5_jNS1_19radix_merge_compareILb1ELb1EiNS0_19identity_decomposerEEEEE10hipError_tT0_T1_T2_jT3_P12ihipStream_tbPNSt15iterator_traitsISE_E10value_typeEPNSK_ISF_E10value_typeEPSG_NS1_7vsmem_tEENKUlT_SE_SF_SG_E_clIS8_S8_S9_S9_EESD_ST_SE_SF_SG_EUlST_E_NS1_11comp_targetILNS1_3genE4ELNS1_11target_archE910ELNS1_3gpuE8ELNS1_3repE0EEENS1_48merge_mergepath_partition_config_static_selectorELNS0_4arch9wavefront6targetE1EEEvSF_ ; -- Begin function _ZN7rocprim17ROCPRIM_400000_NS6detail17trampoline_kernelINS0_14default_configENS1_38merge_sort_block_merge_config_selectorIiNS0_10empty_typeEEEZZNS1_27merge_sort_block_merge_implIS3_PiPS5_jNS1_19radix_merge_compareILb1ELb1EiNS0_19identity_decomposerEEEEE10hipError_tT0_T1_T2_jT3_P12ihipStream_tbPNSt15iterator_traitsISE_E10value_typeEPNSK_ISF_E10value_typeEPSG_NS1_7vsmem_tEENKUlT_SE_SF_SG_E_clIS8_S8_S9_S9_EESD_ST_SE_SF_SG_EUlST_E_NS1_11comp_targetILNS1_3genE4ELNS1_11target_archE910ELNS1_3gpuE8ELNS1_3repE0EEENS1_48merge_mergepath_partition_config_static_selectorELNS0_4arch9wavefront6targetE1EEEvSF_
	.globl	_ZN7rocprim17ROCPRIM_400000_NS6detail17trampoline_kernelINS0_14default_configENS1_38merge_sort_block_merge_config_selectorIiNS0_10empty_typeEEEZZNS1_27merge_sort_block_merge_implIS3_PiPS5_jNS1_19radix_merge_compareILb1ELb1EiNS0_19identity_decomposerEEEEE10hipError_tT0_T1_T2_jT3_P12ihipStream_tbPNSt15iterator_traitsISE_E10value_typeEPNSK_ISF_E10value_typeEPSG_NS1_7vsmem_tEENKUlT_SE_SF_SG_E_clIS8_S8_S9_S9_EESD_ST_SE_SF_SG_EUlST_E_NS1_11comp_targetILNS1_3genE4ELNS1_11target_archE910ELNS1_3gpuE8ELNS1_3repE0EEENS1_48merge_mergepath_partition_config_static_selectorELNS0_4arch9wavefront6targetE1EEEvSF_
	.p2align	8
	.type	_ZN7rocprim17ROCPRIM_400000_NS6detail17trampoline_kernelINS0_14default_configENS1_38merge_sort_block_merge_config_selectorIiNS0_10empty_typeEEEZZNS1_27merge_sort_block_merge_implIS3_PiPS5_jNS1_19radix_merge_compareILb1ELb1EiNS0_19identity_decomposerEEEEE10hipError_tT0_T1_T2_jT3_P12ihipStream_tbPNSt15iterator_traitsISE_E10value_typeEPNSK_ISF_E10value_typeEPSG_NS1_7vsmem_tEENKUlT_SE_SF_SG_E_clIS8_S8_S9_S9_EESD_ST_SE_SF_SG_EUlST_E_NS1_11comp_targetILNS1_3genE4ELNS1_11target_archE910ELNS1_3gpuE8ELNS1_3repE0EEENS1_48merge_mergepath_partition_config_static_selectorELNS0_4arch9wavefront6targetE1EEEvSF_,@function
_ZN7rocprim17ROCPRIM_400000_NS6detail17trampoline_kernelINS0_14default_configENS1_38merge_sort_block_merge_config_selectorIiNS0_10empty_typeEEEZZNS1_27merge_sort_block_merge_implIS3_PiPS5_jNS1_19radix_merge_compareILb1ELb1EiNS0_19identity_decomposerEEEEE10hipError_tT0_T1_T2_jT3_P12ihipStream_tbPNSt15iterator_traitsISE_E10value_typeEPNSK_ISF_E10value_typeEPSG_NS1_7vsmem_tEENKUlT_SE_SF_SG_E_clIS8_S8_S9_S9_EESD_ST_SE_SF_SG_EUlST_E_NS1_11comp_targetILNS1_3genE4ELNS1_11target_archE910ELNS1_3gpuE8ELNS1_3repE0EEENS1_48merge_mergepath_partition_config_static_selectorELNS0_4arch9wavefront6targetE1EEEvSF_: ; @_ZN7rocprim17ROCPRIM_400000_NS6detail17trampoline_kernelINS0_14default_configENS1_38merge_sort_block_merge_config_selectorIiNS0_10empty_typeEEEZZNS1_27merge_sort_block_merge_implIS3_PiPS5_jNS1_19radix_merge_compareILb1ELb1EiNS0_19identity_decomposerEEEEE10hipError_tT0_T1_T2_jT3_P12ihipStream_tbPNSt15iterator_traitsISE_E10value_typeEPNSK_ISF_E10value_typeEPSG_NS1_7vsmem_tEENKUlT_SE_SF_SG_E_clIS8_S8_S9_S9_EESD_ST_SE_SF_SG_EUlST_E_NS1_11comp_targetILNS1_3genE4ELNS1_11target_archE910ELNS1_3gpuE8ELNS1_3repE0EEENS1_48merge_mergepath_partition_config_static_selectorELNS0_4arch9wavefront6targetE1EEEvSF_
; %bb.0:
	s_load_dword s0, s[4:5], 0x0
	v_lshl_or_b32 v0, s6, 7, v0
	s_waitcnt lgkmcnt(0)
	v_cmp_gt_u32_e32 vcc, s0, v0
	s_and_saveexec_b64 s[0:1], vcc
	s_cbranch_execz .LBB1973_6
; %bb.1:
	s_load_dwordx2 s[2:3], s[4:5], 0x4
	s_load_dwordx2 s[0:1], s[4:5], 0x20
	s_waitcnt lgkmcnt(0)
	s_lshr_b32 s6, s2, 9
	s_and_b32 s6, s6, 0x7ffffe
	s_add_i32 s7, s6, -1
	s_sub_i32 s6, 0, s6
	v_and_b32_e32 v1, s6, v0
	v_lshlrev_b32_e32 v1, 10, v1
	v_min_u32_e32 v2, s3, v1
	v_add_u32_e32 v1, s2, v1
	v_min_u32_e32 v4, s3, v1
	v_add_u32_e32 v1, s2, v4
	v_and_b32_e32 v3, s7, v0
	v_min_u32_e32 v1, s3, v1
	v_sub_u32_e32 v5, v1, v2
	v_lshlrev_b32_e32 v3, 10, v3
	v_min_u32_e32 v6, v5, v3
	v_sub_u32_e32 v3, v4, v2
	v_sub_u32_e32 v1, v1, v4
	v_sub_u32_e64 v1, v6, v1 clamp
	v_min_u32_e32 v7, v6, v3
	v_cmp_lt_u32_e32 vcc, v1, v7
	s_and_saveexec_b64 s[2:3], vcc
	s_cbranch_execz .LBB1973_5
; %bb.2:
	s_load_dwordx2 s[8:9], s[4:5], 0x10
	s_load_dword s6, s[4:5], 0x18
	v_mov_b32_e32 v5, 0
	v_mov_b32_e32 v3, v5
	v_lshlrev_b64 v[8:9], 2, v[2:3]
	s_waitcnt lgkmcnt(0)
	v_mov_b32_e32 v12, s9
	v_add_co_u32_e32 v3, vcc, s8, v8
	v_addc_co_u32_e32 v8, vcc, v12, v9, vcc
	v_lshlrev_b64 v[10:11], 2, v[4:5]
	v_add_co_u32_e32 v9, vcc, s8, v10
	v_addc_co_u32_e32 v10, vcc, v12, v11, vcc
	s_mov_b64 s[4:5], 0
.LBB1973_3:                             ; =>This Inner Loop Header: Depth=1
	v_add_u32_e32 v4, v7, v1
	v_lshrrev_b32_e32 v4, 1, v4
	v_lshlrev_b64 v[14:15], 2, v[4:5]
	v_mov_b32_e32 v13, v5
	v_xad_u32 v12, v4, -1, v6
	v_add_co_u32_e32 v14, vcc, v3, v14
	v_addc_co_u32_e32 v15, vcc, v8, v15, vcc
	v_lshlrev_b64 v[12:13], 2, v[12:13]
	v_add_co_u32_e32 v12, vcc, v9, v12
	v_addc_co_u32_e32 v13, vcc, v10, v13, vcc
	global_load_dword v11, v[14:15], off
	global_load_dword v16, v[12:13], off
	v_add_u32_e32 v12, 1, v4
	s_waitcnt vmcnt(1)
	v_and_b32_e32 v11, s6, v11
	s_waitcnt vmcnt(0)
	v_and_b32_e32 v13, s6, v16
	v_cmp_gt_i32_e32 vcc, v13, v11
	v_cndmask_b32_e32 v7, v7, v4, vcc
	v_cndmask_b32_e32 v1, v12, v1, vcc
	v_cmp_ge_u32_e32 vcc, v1, v7
	s_or_b64 s[4:5], vcc, s[4:5]
	s_andn2_b64 exec, exec, s[4:5]
	s_cbranch_execnz .LBB1973_3
; %bb.4:
	s_or_b64 exec, exec, s[4:5]
.LBB1973_5:
	s_or_b64 exec, exec, s[2:3]
	v_add_u32_e32 v2, v1, v2
	v_mov_b32_e32 v1, 0
	v_lshlrev_b64 v[0:1], 2, v[0:1]
	v_mov_b32_e32 v3, s1
	v_add_co_u32_e32 v0, vcc, s0, v0
	v_addc_co_u32_e32 v1, vcc, v3, v1, vcc
	global_store_dword v[0:1], v2, off
.LBB1973_6:
	s_endpgm
	.section	.rodata,"a",@progbits
	.p2align	6, 0x0
	.amdhsa_kernel _ZN7rocprim17ROCPRIM_400000_NS6detail17trampoline_kernelINS0_14default_configENS1_38merge_sort_block_merge_config_selectorIiNS0_10empty_typeEEEZZNS1_27merge_sort_block_merge_implIS3_PiPS5_jNS1_19radix_merge_compareILb1ELb1EiNS0_19identity_decomposerEEEEE10hipError_tT0_T1_T2_jT3_P12ihipStream_tbPNSt15iterator_traitsISE_E10value_typeEPNSK_ISF_E10value_typeEPSG_NS1_7vsmem_tEENKUlT_SE_SF_SG_E_clIS8_S8_S9_S9_EESD_ST_SE_SF_SG_EUlST_E_NS1_11comp_targetILNS1_3genE4ELNS1_11target_archE910ELNS1_3gpuE8ELNS1_3repE0EEENS1_48merge_mergepath_partition_config_static_selectorELNS0_4arch9wavefront6targetE1EEEvSF_
		.amdhsa_group_segment_fixed_size 0
		.amdhsa_private_segment_fixed_size 0
		.amdhsa_kernarg_size 40
		.amdhsa_user_sgpr_count 6
		.amdhsa_user_sgpr_private_segment_buffer 1
		.amdhsa_user_sgpr_dispatch_ptr 0
		.amdhsa_user_sgpr_queue_ptr 0
		.amdhsa_user_sgpr_kernarg_segment_ptr 1
		.amdhsa_user_sgpr_dispatch_id 0
		.amdhsa_user_sgpr_flat_scratch_init 0
		.amdhsa_user_sgpr_kernarg_preload_length 0
		.amdhsa_user_sgpr_kernarg_preload_offset 0
		.amdhsa_user_sgpr_private_segment_size 0
		.amdhsa_uses_dynamic_stack 0
		.amdhsa_system_sgpr_private_segment_wavefront_offset 0
		.amdhsa_system_sgpr_workgroup_id_x 1
		.amdhsa_system_sgpr_workgroup_id_y 0
		.amdhsa_system_sgpr_workgroup_id_z 0
		.amdhsa_system_sgpr_workgroup_info 0
		.amdhsa_system_vgpr_workitem_id 0
		.amdhsa_next_free_vgpr 17
		.amdhsa_next_free_sgpr 10
		.amdhsa_accum_offset 20
		.amdhsa_reserve_vcc 1
		.amdhsa_reserve_flat_scratch 0
		.amdhsa_float_round_mode_32 0
		.amdhsa_float_round_mode_16_64 0
		.amdhsa_float_denorm_mode_32 3
		.amdhsa_float_denorm_mode_16_64 3
		.amdhsa_dx10_clamp 1
		.amdhsa_ieee_mode 1
		.amdhsa_fp16_overflow 0
		.amdhsa_tg_split 0
		.amdhsa_exception_fp_ieee_invalid_op 0
		.amdhsa_exception_fp_denorm_src 0
		.amdhsa_exception_fp_ieee_div_zero 0
		.amdhsa_exception_fp_ieee_overflow 0
		.amdhsa_exception_fp_ieee_underflow 0
		.amdhsa_exception_fp_ieee_inexact 0
		.amdhsa_exception_int_div_zero 0
	.end_amdhsa_kernel
	.section	.text._ZN7rocprim17ROCPRIM_400000_NS6detail17trampoline_kernelINS0_14default_configENS1_38merge_sort_block_merge_config_selectorIiNS0_10empty_typeEEEZZNS1_27merge_sort_block_merge_implIS3_PiPS5_jNS1_19radix_merge_compareILb1ELb1EiNS0_19identity_decomposerEEEEE10hipError_tT0_T1_T2_jT3_P12ihipStream_tbPNSt15iterator_traitsISE_E10value_typeEPNSK_ISF_E10value_typeEPSG_NS1_7vsmem_tEENKUlT_SE_SF_SG_E_clIS8_S8_S9_S9_EESD_ST_SE_SF_SG_EUlST_E_NS1_11comp_targetILNS1_3genE4ELNS1_11target_archE910ELNS1_3gpuE8ELNS1_3repE0EEENS1_48merge_mergepath_partition_config_static_selectorELNS0_4arch9wavefront6targetE1EEEvSF_,"axG",@progbits,_ZN7rocprim17ROCPRIM_400000_NS6detail17trampoline_kernelINS0_14default_configENS1_38merge_sort_block_merge_config_selectorIiNS0_10empty_typeEEEZZNS1_27merge_sort_block_merge_implIS3_PiPS5_jNS1_19radix_merge_compareILb1ELb1EiNS0_19identity_decomposerEEEEE10hipError_tT0_T1_T2_jT3_P12ihipStream_tbPNSt15iterator_traitsISE_E10value_typeEPNSK_ISF_E10value_typeEPSG_NS1_7vsmem_tEENKUlT_SE_SF_SG_E_clIS8_S8_S9_S9_EESD_ST_SE_SF_SG_EUlST_E_NS1_11comp_targetILNS1_3genE4ELNS1_11target_archE910ELNS1_3gpuE8ELNS1_3repE0EEENS1_48merge_mergepath_partition_config_static_selectorELNS0_4arch9wavefront6targetE1EEEvSF_,comdat
.Lfunc_end1973:
	.size	_ZN7rocprim17ROCPRIM_400000_NS6detail17trampoline_kernelINS0_14default_configENS1_38merge_sort_block_merge_config_selectorIiNS0_10empty_typeEEEZZNS1_27merge_sort_block_merge_implIS3_PiPS5_jNS1_19radix_merge_compareILb1ELb1EiNS0_19identity_decomposerEEEEE10hipError_tT0_T1_T2_jT3_P12ihipStream_tbPNSt15iterator_traitsISE_E10value_typeEPNSK_ISF_E10value_typeEPSG_NS1_7vsmem_tEENKUlT_SE_SF_SG_E_clIS8_S8_S9_S9_EESD_ST_SE_SF_SG_EUlST_E_NS1_11comp_targetILNS1_3genE4ELNS1_11target_archE910ELNS1_3gpuE8ELNS1_3repE0EEENS1_48merge_mergepath_partition_config_static_selectorELNS0_4arch9wavefront6targetE1EEEvSF_, .Lfunc_end1973-_ZN7rocprim17ROCPRIM_400000_NS6detail17trampoline_kernelINS0_14default_configENS1_38merge_sort_block_merge_config_selectorIiNS0_10empty_typeEEEZZNS1_27merge_sort_block_merge_implIS3_PiPS5_jNS1_19radix_merge_compareILb1ELb1EiNS0_19identity_decomposerEEEEE10hipError_tT0_T1_T2_jT3_P12ihipStream_tbPNSt15iterator_traitsISE_E10value_typeEPNSK_ISF_E10value_typeEPSG_NS1_7vsmem_tEENKUlT_SE_SF_SG_E_clIS8_S8_S9_S9_EESD_ST_SE_SF_SG_EUlST_E_NS1_11comp_targetILNS1_3genE4ELNS1_11target_archE910ELNS1_3gpuE8ELNS1_3repE0EEENS1_48merge_mergepath_partition_config_static_selectorELNS0_4arch9wavefront6targetE1EEEvSF_
                                        ; -- End function
	.section	.AMDGPU.csdata,"",@progbits
; Kernel info:
; codeLenInByte = 380
; NumSgprs: 14
; NumVgprs: 17
; NumAgprs: 0
; TotalNumVgprs: 17
; ScratchSize: 0
; MemoryBound: 0
; FloatMode: 240
; IeeeMode: 1
; LDSByteSize: 0 bytes/workgroup (compile time only)
; SGPRBlocks: 1
; VGPRBlocks: 2
; NumSGPRsForWavesPerEU: 14
; NumVGPRsForWavesPerEU: 17
; AccumOffset: 20
; Occupancy: 8
; WaveLimiterHint : 0
; COMPUTE_PGM_RSRC2:SCRATCH_EN: 0
; COMPUTE_PGM_RSRC2:USER_SGPR: 6
; COMPUTE_PGM_RSRC2:TRAP_HANDLER: 0
; COMPUTE_PGM_RSRC2:TGID_X_EN: 1
; COMPUTE_PGM_RSRC2:TGID_Y_EN: 0
; COMPUTE_PGM_RSRC2:TGID_Z_EN: 0
; COMPUTE_PGM_RSRC2:TIDIG_COMP_CNT: 0
; COMPUTE_PGM_RSRC3_GFX90A:ACCUM_OFFSET: 4
; COMPUTE_PGM_RSRC3_GFX90A:TG_SPLIT: 0
	.section	.text._ZN7rocprim17ROCPRIM_400000_NS6detail17trampoline_kernelINS0_14default_configENS1_38merge_sort_block_merge_config_selectorIiNS0_10empty_typeEEEZZNS1_27merge_sort_block_merge_implIS3_PiPS5_jNS1_19radix_merge_compareILb1ELb1EiNS0_19identity_decomposerEEEEE10hipError_tT0_T1_T2_jT3_P12ihipStream_tbPNSt15iterator_traitsISE_E10value_typeEPNSK_ISF_E10value_typeEPSG_NS1_7vsmem_tEENKUlT_SE_SF_SG_E_clIS8_S8_S9_S9_EESD_ST_SE_SF_SG_EUlST_E_NS1_11comp_targetILNS1_3genE3ELNS1_11target_archE908ELNS1_3gpuE7ELNS1_3repE0EEENS1_48merge_mergepath_partition_config_static_selectorELNS0_4arch9wavefront6targetE1EEEvSF_,"axG",@progbits,_ZN7rocprim17ROCPRIM_400000_NS6detail17trampoline_kernelINS0_14default_configENS1_38merge_sort_block_merge_config_selectorIiNS0_10empty_typeEEEZZNS1_27merge_sort_block_merge_implIS3_PiPS5_jNS1_19radix_merge_compareILb1ELb1EiNS0_19identity_decomposerEEEEE10hipError_tT0_T1_T2_jT3_P12ihipStream_tbPNSt15iterator_traitsISE_E10value_typeEPNSK_ISF_E10value_typeEPSG_NS1_7vsmem_tEENKUlT_SE_SF_SG_E_clIS8_S8_S9_S9_EESD_ST_SE_SF_SG_EUlST_E_NS1_11comp_targetILNS1_3genE3ELNS1_11target_archE908ELNS1_3gpuE7ELNS1_3repE0EEENS1_48merge_mergepath_partition_config_static_selectorELNS0_4arch9wavefront6targetE1EEEvSF_,comdat
	.protected	_ZN7rocprim17ROCPRIM_400000_NS6detail17trampoline_kernelINS0_14default_configENS1_38merge_sort_block_merge_config_selectorIiNS0_10empty_typeEEEZZNS1_27merge_sort_block_merge_implIS3_PiPS5_jNS1_19radix_merge_compareILb1ELb1EiNS0_19identity_decomposerEEEEE10hipError_tT0_T1_T2_jT3_P12ihipStream_tbPNSt15iterator_traitsISE_E10value_typeEPNSK_ISF_E10value_typeEPSG_NS1_7vsmem_tEENKUlT_SE_SF_SG_E_clIS8_S8_S9_S9_EESD_ST_SE_SF_SG_EUlST_E_NS1_11comp_targetILNS1_3genE3ELNS1_11target_archE908ELNS1_3gpuE7ELNS1_3repE0EEENS1_48merge_mergepath_partition_config_static_selectorELNS0_4arch9wavefront6targetE1EEEvSF_ ; -- Begin function _ZN7rocprim17ROCPRIM_400000_NS6detail17trampoline_kernelINS0_14default_configENS1_38merge_sort_block_merge_config_selectorIiNS0_10empty_typeEEEZZNS1_27merge_sort_block_merge_implIS3_PiPS5_jNS1_19radix_merge_compareILb1ELb1EiNS0_19identity_decomposerEEEEE10hipError_tT0_T1_T2_jT3_P12ihipStream_tbPNSt15iterator_traitsISE_E10value_typeEPNSK_ISF_E10value_typeEPSG_NS1_7vsmem_tEENKUlT_SE_SF_SG_E_clIS8_S8_S9_S9_EESD_ST_SE_SF_SG_EUlST_E_NS1_11comp_targetILNS1_3genE3ELNS1_11target_archE908ELNS1_3gpuE7ELNS1_3repE0EEENS1_48merge_mergepath_partition_config_static_selectorELNS0_4arch9wavefront6targetE1EEEvSF_
	.globl	_ZN7rocprim17ROCPRIM_400000_NS6detail17trampoline_kernelINS0_14default_configENS1_38merge_sort_block_merge_config_selectorIiNS0_10empty_typeEEEZZNS1_27merge_sort_block_merge_implIS3_PiPS5_jNS1_19radix_merge_compareILb1ELb1EiNS0_19identity_decomposerEEEEE10hipError_tT0_T1_T2_jT3_P12ihipStream_tbPNSt15iterator_traitsISE_E10value_typeEPNSK_ISF_E10value_typeEPSG_NS1_7vsmem_tEENKUlT_SE_SF_SG_E_clIS8_S8_S9_S9_EESD_ST_SE_SF_SG_EUlST_E_NS1_11comp_targetILNS1_3genE3ELNS1_11target_archE908ELNS1_3gpuE7ELNS1_3repE0EEENS1_48merge_mergepath_partition_config_static_selectorELNS0_4arch9wavefront6targetE1EEEvSF_
	.p2align	8
	.type	_ZN7rocprim17ROCPRIM_400000_NS6detail17trampoline_kernelINS0_14default_configENS1_38merge_sort_block_merge_config_selectorIiNS0_10empty_typeEEEZZNS1_27merge_sort_block_merge_implIS3_PiPS5_jNS1_19radix_merge_compareILb1ELb1EiNS0_19identity_decomposerEEEEE10hipError_tT0_T1_T2_jT3_P12ihipStream_tbPNSt15iterator_traitsISE_E10value_typeEPNSK_ISF_E10value_typeEPSG_NS1_7vsmem_tEENKUlT_SE_SF_SG_E_clIS8_S8_S9_S9_EESD_ST_SE_SF_SG_EUlST_E_NS1_11comp_targetILNS1_3genE3ELNS1_11target_archE908ELNS1_3gpuE7ELNS1_3repE0EEENS1_48merge_mergepath_partition_config_static_selectorELNS0_4arch9wavefront6targetE1EEEvSF_,@function
_ZN7rocprim17ROCPRIM_400000_NS6detail17trampoline_kernelINS0_14default_configENS1_38merge_sort_block_merge_config_selectorIiNS0_10empty_typeEEEZZNS1_27merge_sort_block_merge_implIS3_PiPS5_jNS1_19radix_merge_compareILb1ELb1EiNS0_19identity_decomposerEEEEE10hipError_tT0_T1_T2_jT3_P12ihipStream_tbPNSt15iterator_traitsISE_E10value_typeEPNSK_ISF_E10value_typeEPSG_NS1_7vsmem_tEENKUlT_SE_SF_SG_E_clIS8_S8_S9_S9_EESD_ST_SE_SF_SG_EUlST_E_NS1_11comp_targetILNS1_3genE3ELNS1_11target_archE908ELNS1_3gpuE7ELNS1_3repE0EEENS1_48merge_mergepath_partition_config_static_selectorELNS0_4arch9wavefront6targetE1EEEvSF_: ; @_ZN7rocprim17ROCPRIM_400000_NS6detail17trampoline_kernelINS0_14default_configENS1_38merge_sort_block_merge_config_selectorIiNS0_10empty_typeEEEZZNS1_27merge_sort_block_merge_implIS3_PiPS5_jNS1_19radix_merge_compareILb1ELb1EiNS0_19identity_decomposerEEEEE10hipError_tT0_T1_T2_jT3_P12ihipStream_tbPNSt15iterator_traitsISE_E10value_typeEPNSK_ISF_E10value_typeEPSG_NS1_7vsmem_tEENKUlT_SE_SF_SG_E_clIS8_S8_S9_S9_EESD_ST_SE_SF_SG_EUlST_E_NS1_11comp_targetILNS1_3genE3ELNS1_11target_archE908ELNS1_3gpuE7ELNS1_3repE0EEENS1_48merge_mergepath_partition_config_static_selectorELNS0_4arch9wavefront6targetE1EEEvSF_
; %bb.0:
	.section	.rodata,"a",@progbits
	.p2align	6, 0x0
	.amdhsa_kernel _ZN7rocprim17ROCPRIM_400000_NS6detail17trampoline_kernelINS0_14default_configENS1_38merge_sort_block_merge_config_selectorIiNS0_10empty_typeEEEZZNS1_27merge_sort_block_merge_implIS3_PiPS5_jNS1_19radix_merge_compareILb1ELb1EiNS0_19identity_decomposerEEEEE10hipError_tT0_T1_T2_jT3_P12ihipStream_tbPNSt15iterator_traitsISE_E10value_typeEPNSK_ISF_E10value_typeEPSG_NS1_7vsmem_tEENKUlT_SE_SF_SG_E_clIS8_S8_S9_S9_EESD_ST_SE_SF_SG_EUlST_E_NS1_11comp_targetILNS1_3genE3ELNS1_11target_archE908ELNS1_3gpuE7ELNS1_3repE0EEENS1_48merge_mergepath_partition_config_static_selectorELNS0_4arch9wavefront6targetE1EEEvSF_
		.amdhsa_group_segment_fixed_size 0
		.amdhsa_private_segment_fixed_size 0
		.amdhsa_kernarg_size 40
		.amdhsa_user_sgpr_count 6
		.amdhsa_user_sgpr_private_segment_buffer 1
		.amdhsa_user_sgpr_dispatch_ptr 0
		.amdhsa_user_sgpr_queue_ptr 0
		.amdhsa_user_sgpr_kernarg_segment_ptr 1
		.amdhsa_user_sgpr_dispatch_id 0
		.amdhsa_user_sgpr_flat_scratch_init 0
		.amdhsa_user_sgpr_kernarg_preload_length 0
		.amdhsa_user_sgpr_kernarg_preload_offset 0
		.amdhsa_user_sgpr_private_segment_size 0
		.amdhsa_uses_dynamic_stack 0
		.amdhsa_system_sgpr_private_segment_wavefront_offset 0
		.amdhsa_system_sgpr_workgroup_id_x 1
		.amdhsa_system_sgpr_workgroup_id_y 0
		.amdhsa_system_sgpr_workgroup_id_z 0
		.amdhsa_system_sgpr_workgroup_info 0
		.amdhsa_system_vgpr_workitem_id 0
		.amdhsa_next_free_vgpr 1
		.amdhsa_next_free_sgpr 0
		.amdhsa_accum_offset 4
		.amdhsa_reserve_vcc 0
		.amdhsa_reserve_flat_scratch 0
		.amdhsa_float_round_mode_32 0
		.amdhsa_float_round_mode_16_64 0
		.amdhsa_float_denorm_mode_32 3
		.amdhsa_float_denorm_mode_16_64 3
		.amdhsa_dx10_clamp 1
		.amdhsa_ieee_mode 1
		.amdhsa_fp16_overflow 0
		.amdhsa_tg_split 0
		.amdhsa_exception_fp_ieee_invalid_op 0
		.amdhsa_exception_fp_denorm_src 0
		.amdhsa_exception_fp_ieee_div_zero 0
		.amdhsa_exception_fp_ieee_overflow 0
		.amdhsa_exception_fp_ieee_underflow 0
		.amdhsa_exception_fp_ieee_inexact 0
		.amdhsa_exception_int_div_zero 0
	.end_amdhsa_kernel
	.section	.text._ZN7rocprim17ROCPRIM_400000_NS6detail17trampoline_kernelINS0_14default_configENS1_38merge_sort_block_merge_config_selectorIiNS0_10empty_typeEEEZZNS1_27merge_sort_block_merge_implIS3_PiPS5_jNS1_19radix_merge_compareILb1ELb1EiNS0_19identity_decomposerEEEEE10hipError_tT0_T1_T2_jT3_P12ihipStream_tbPNSt15iterator_traitsISE_E10value_typeEPNSK_ISF_E10value_typeEPSG_NS1_7vsmem_tEENKUlT_SE_SF_SG_E_clIS8_S8_S9_S9_EESD_ST_SE_SF_SG_EUlST_E_NS1_11comp_targetILNS1_3genE3ELNS1_11target_archE908ELNS1_3gpuE7ELNS1_3repE0EEENS1_48merge_mergepath_partition_config_static_selectorELNS0_4arch9wavefront6targetE1EEEvSF_,"axG",@progbits,_ZN7rocprim17ROCPRIM_400000_NS6detail17trampoline_kernelINS0_14default_configENS1_38merge_sort_block_merge_config_selectorIiNS0_10empty_typeEEEZZNS1_27merge_sort_block_merge_implIS3_PiPS5_jNS1_19radix_merge_compareILb1ELb1EiNS0_19identity_decomposerEEEEE10hipError_tT0_T1_T2_jT3_P12ihipStream_tbPNSt15iterator_traitsISE_E10value_typeEPNSK_ISF_E10value_typeEPSG_NS1_7vsmem_tEENKUlT_SE_SF_SG_E_clIS8_S8_S9_S9_EESD_ST_SE_SF_SG_EUlST_E_NS1_11comp_targetILNS1_3genE3ELNS1_11target_archE908ELNS1_3gpuE7ELNS1_3repE0EEENS1_48merge_mergepath_partition_config_static_selectorELNS0_4arch9wavefront6targetE1EEEvSF_,comdat
.Lfunc_end1974:
	.size	_ZN7rocprim17ROCPRIM_400000_NS6detail17trampoline_kernelINS0_14default_configENS1_38merge_sort_block_merge_config_selectorIiNS0_10empty_typeEEEZZNS1_27merge_sort_block_merge_implIS3_PiPS5_jNS1_19radix_merge_compareILb1ELb1EiNS0_19identity_decomposerEEEEE10hipError_tT0_T1_T2_jT3_P12ihipStream_tbPNSt15iterator_traitsISE_E10value_typeEPNSK_ISF_E10value_typeEPSG_NS1_7vsmem_tEENKUlT_SE_SF_SG_E_clIS8_S8_S9_S9_EESD_ST_SE_SF_SG_EUlST_E_NS1_11comp_targetILNS1_3genE3ELNS1_11target_archE908ELNS1_3gpuE7ELNS1_3repE0EEENS1_48merge_mergepath_partition_config_static_selectorELNS0_4arch9wavefront6targetE1EEEvSF_, .Lfunc_end1974-_ZN7rocprim17ROCPRIM_400000_NS6detail17trampoline_kernelINS0_14default_configENS1_38merge_sort_block_merge_config_selectorIiNS0_10empty_typeEEEZZNS1_27merge_sort_block_merge_implIS3_PiPS5_jNS1_19radix_merge_compareILb1ELb1EiNS0_19identity_decomposerEEEEE10hipError_tT0_T1_T2_jT3_P12ihipStream_tbPNSt15iterator_traitsISE_E10value_typeEPNSK_ISF_E10value_typeEPSG_NS1_7vsmem_tEENKUlT_SE_SF_SG_E_clIS8_S8_S9_S9_EESD_ST_SE_SF_SG_EUlST_E_NS1_11comp_targetILNS1_3genE3ELNS1_11target_archE908ELNS1_3gpuE7ELNS1_3repE0EEENS1_48merge_mergepath_partition_config_static_selectorELNS0_4arch9wavefront6targetE1EEEvSF_
                                        ; -- End function
	.section	.AMDGPU.csdata,"",@progbits
; Kernel info:
; codeLenInByte = 0
; NumSgprs: 4
; NumVgprs: 0
; NumAgprs: 0
; TotalNumVgprs: 0
; ScratchSize: 0
; MemoryBound: 0
; FloatMode: 240
; IeeeMode: 1
; LDSByteSize: 0 bytes/workgroup (compile time only)
; SGPRBlocks: 0
; VGPRBlocks: 0
; NumSGPRsForWavesPerEU: 4
; NumVGPRsForWavesPerEU: 1
; AccumOffset: 4
; Occupancy: 8
; WaveLimiterHint : 0
; COMPUTE_PGM_RSRC2:SCRATCH_EN: 0
; COMPUTE_PGM_RSRC2:USER_SGPR: 6
; COMPUTE_PGM_RSRC2:TRAP_HANDLER: 0
; COMPUTE_PGM_RSRC2:TGID_X_EN: 1
; COMPUTE_PGM_RSRC2:TGID_Y_EN: 0
; COMPUTE_PGM_RSRC2:TGID_Z_EN: 0
; COMPUTE_PGM_RSRC2:TIDIG_COMP_CNT: 0
; COMPUTE_PGM_RSRC3_GFX90A:ACCUM_OFFSET: 0
; COMPUTE_PGM_RSRC3_GFX90A:TG_SPLIT: 0
	.section	.text._ZN7rocprim17ROCPRIM_400000_NS6detail17trampoline_kernelINS0_14default_configENS1_38merge_sort_block_merge_config_selectorIiNS0_10empty_typeEEEZZNS1_27merge_sort_block_merge_implIS3_PiPS5_jNS1_19radix_merge_compareILb1ELb1EiNS0_19identity_decomposerEEEEE10hipError_tT0_T1_T2_jT3_P12ihipStream_tbPNSt15iterator_traitsISE_E10value_typeEPNSK_ISF_E10value_typeEPSG_NS1_7vsmem_tEENKUlT_SE_SF_SG_E_clIS8_S8_S9_S9_EESD_ST_SE_SF_SG_EUlST_E_NS1_11comp_targetILNS1_3genE2ELNS1_11target_archE906ELNS1_3gpuE6ELNS1_3repE0EEENS1_48merge_mergepath_partition_config_static_selectorELNS0_4arch9wavefront6targetE1EEEvSF_,"axG",@progbits,_ZN7rocprim17ROCPRIM_400000_NS6detail17trampoline_kernelINS0_14default_configENS1_38merge_sort_block_merge_config_selectorIiNS0_10empty_typeEEEZZNS1_27merge_sort_block_merge_implIS3_PiPS5_jNS1_19radix_merge_compareILb1ELb1EiNS0_19identity_decomposerEEEEE10hipError_tT0_T1_T2_jT3_P12ihipStream_tbPNSt15iterator_traitsISE_E10value_typeEPNSK_ISF_E10value_typeEPSG_NS1_7vsmem_tEENKUlT_SE_SF_SG_E_clIS8_S8_S9_S9_EESD_ST_SE_SF_SG_EUlST_E_NS1_11comp_targetILNS1_3genE2ELNS1_11target_archE906ELNS1_3gpuE6ELNS1_3repE0EEENS1_48merge_mergepath_partition_config_static_selectorELNS0_4arch9wavefront6targetE1EEEvSF_,comdat
	.protected	_ZN7rocprim17ROCPRIM_400000_NS6detail17trampoline_kernelINS0_14default_configENS1_38merge_sort_block_merge_config_selectorIiNS0_10empty_typeEEEZZNS1_27merge_sort_block_merge_implIS3_PiPS5_jNS1_19radix_merge_compareILb1ELb1EiNS0_19identity_decomposerEEEEE10hipError_tT0_T1_T2_jT3_P12ihipStream_tbPNSt15iterator_traitsISE_E10value_typeEPNSK_ISF_E10value_typeEPSG_NS1_7vsmem_tEENKUlT_SE_SF_SG_E_clIS8_S8_S9_S9_EESD_ST_SE_SF_SG_EUlST_E_NS1_11comp_targetILNS1_3genE2ELNS1_11target_archE906ELNS1_3gpuE6ELNS1_3repE0EEENS1_48merge_mergepath_partition_config_static_selectorELNS0_4arch9wavefront6targetE1EEEvSF_ ; -- Begin function _ZN7rocprim17ROCPRIM_400000_NS6detail17trampoline_kernelINS0_14default_configENS1_38merge_sort_block_merge_config_selectorIiNS0_10empty_typeEEEZZNS1_27merge_sort_block_merge_implIS3_PiPS5_jNS1_19radix_merge_compareILb1ELb1EiNS0_19identity_decomposerEEEEE10hipError_tT0_T1_T2_jT3_P12ihipStream_tbPNSt15iterator_traitsISE_E10value_typeEPNSK_ISF_E10value_typeEPSG_NS1_7vsmem_tEENKUlT_SE_SF_SG_E_clIS8_S8_S9_S9_EESD_ST_SE_SF_SG_EUlST_E_NS1_11comp_targetILNS1_3genE2ELNS1_11target_archE906ELNS1_3gpuE6ELNS1_3repE0EEENS1_48merge_mergepath_partition_config_static_selectorELNS0_4arch9wavefront6targetE1EEEvSF_
	.globl	_ZN7rocprim17ROCPRIM_400000_NS6detail17trampoline_kernelINS0_14default_configENS1_38merge_sort_block_merge_config_selectorIiNS0_10empty_typeEEEZZNS1_27merge_sort_block_merge_implIS3_PiPS5_jNS1_19radix_merge_compareILb1ELb1EiNS0_19identity_decomposerEEEEE10hipError_tT0_T1_T2_jT3_P12ihipStream_tbPNSt15iterator_traitsISE_E10value_typeEPNSK_ISF_E10value_typeEPSG_NS1_7vsmem_tEENKUlT_SE_SF_SG_E_clIS8_S8_S9_S9_EESD_ST_SE_SF_SG_EUlST_E_NS1_11comp_targetILNS1_3genE2ELNS1_11target_archE906ELNS1_3gpuE6ELNS1_3repE0EEENS1_48merge_mergepath_partition_config_static_selectorELNS0_4arch9wavefront6targetE1EEEvSF_
	.p2align	8
	.type	_ZN7rocprim17ROCPRIM_400000_NS6detail17trampoline_kernelINS0_14default_configENS1_38merge_sort_block_merge_config_selectorIiNS0_10empty_typeEEEZZNS1_27merge_sort_block_merge_implIS3_PiPS5_jNS1_19radix_merge_compareILb1ELb1EiNS0_19identity_decomposerEEEEE10hipError_tT0_T1_T2_jT3_P12ihipStream_tbPNSt15iterator_traitsISE_E10value_typeEPNSK_ISF_E10value_typeEPSG_NS1_7vsmem_tEENKUlT_SE_SF_SG_E_clIS8_S8_S9_S9_EESD_ST_SE_SF_SG_EUlST_E_NS1_11comp_targetILNS1_3genE2ELNS1_11target_archE906ELNS1_3gpuE6ELNS1_3repE0EEENS1_48merge_mergepath_partition_config_static_selectorELNS0_4arch9wavefront6targetE1EEEvSF_,@function
_ZN7rocprim17ROCPRIM_400000_NS6detail17trampoline_kernelINS0_14default_configENS1_38merge_sort_block_merge_config_selectorIiNS0_10empty_typeEEEZZNS1_27merge_sort_block_merge_implIS3_PiPS5_jNS1_19radix_merge_compareILb1ELb1EiNS0_19identity_decomposerEEEEE10hipError_tT0_T1_T2_jT3_P12ihipStream_tbPNSt15iterator_traitsISE_E10value_typeEPNSK_ISF_E10value_typeEPSG_NS1_7vsmem_tEENKUlT_SE_SF_SG_E_clIS8_S8_S9_S9_EESD_ST_SE_SF_SG_EUlST_E_NS1_11comp_targetILNS1_3genE2ELNS1_11target_archE906ELNS1_3gpuE6ELNS1_3repE0EEENS1_48merge_mergepath_partition_config_static_selectorELNS0_4arch9wavefront6targetE1EEEvSF_: ; @_ZN7rocprim17ROCPRIM_400000_NS6detail17trampoline_kernelINS0_14default_configENS1_38merge_sort_block_merge_config_selectorIiNS0_10empty_typeEEEZZNS1_27merge_sort_block_merge_implIS3_PiPS5_jNS1_19radix_merge_compareILb1ELb1EiNS0_19identity_decomposerEEEEE10hipError_tT0_T1_T2_jT3_P12ihipStream_tbPNSt15iterator_traitsISE_E10value_typeEPNSK_ISF_E10value_typeEPSG_NS1_7vsmem_tEENKUlT_SE_SF_SG_E_clIS8_S8_S9_S9_EESD_ST_SE_SF_SG_EUlST_E_NS1_11comp_targetILNS1_3genE2ELNS1_11target_archE906ELNS1_3gpuE6ELNS1_3repE0EEENS1_48merge_mergepath_partition_config_static_selectorELNS0_4arch9wavefront6targetE1EEEvSF_
; %bb.0:
	.section	.rodata,"a",@progbits
	.p2align	6, 0x0
	.amdhsa_kernel _ZN7rocprim17ROCPRIM_400000_NS6detail17trampoline_kernelINS0_14default_configENS1_38merge_sort_block_merge_config_selectorIiNS0_10empty_typeEEEZZNS1_27merge_sort_block_merge_implIS3_PiPS5_jNS1_19radix_merge_compareILb1ELb1EiNS0_19identity_decomposerEEEEE10hipError_tT0_T1_T2_jT3_P12ihipStream_tbPNSt15iterator_traitsISE_E10value_typeEPNSK_ISF_E10value_typeEPSG_NS1_7vsmem_tEENKUlT_SE_SF_SG_E_clIS8_S8_S9_S9_EESD_ST_SE_SF_SG_EUlST_E_NS1_11comp_targetILNS1_3genE2ELNS1_11target_archE906ELNS1_3gpuE6ELNS1_3repE0EEENS1_48merge_mergepath_partition_config_static_selectorELNS0_4arch9wavefront6targetE1EEEvSF_
		.amdhsa_group_segment_fixed_size 0
		.amdhsa_private_segment_fixed_size 0
		.amdhsa_kernarg_size 40
		.amdhsa_user_sgpr_count 6
		.amdhsa_user_sgpr_private_segment_buffer 1
		.amdhsa_user_sgpr_dispatch_ptr 0
		.amdhsa_user_sgpr_queue_ptr 0
		.amdhsa_user_sgpr_kernarg_segment_ptr 1
		.amdhsa_user_sgpr_dispatch_id 0
		.amdhsa_user_sgpr_flat_scratch_init 0
		.amdhsa_user_sgpr_kernarg_preload_length 0
		.amdhsa_user_sgpr_kernarg_preload_offset 0
		.amdhsa_user_sgpr_private_segment_size 0
		.amdhsa_uses_dynamic_stack 0
		.amdhsa_system_sgpr_private_segment_wavefront_offset 0
		.amdhsa_system_sgpr_workgroup_id_x 1
		.amdhsa_system_sgpr_workgroup_id_y 0
		.amdhsa_system_sgpr_workgroup_id_z 0
		.amdhsa_system_sgpr_workgroup_info 0
		.amdhsa_system_vgpr_workitem_id 0
		.amdhsa_next_free_vgpr 1
		.amdhsa_next_free_sgpr 0
		.amdhsa_accum_offset 4
		.amdhsa_reserve_vcc 0
		.amdhsa_reserve_flat_scratch 0
		.amdhsa_float_round_mode_32 0
		.amdhsa_float_round_mode_16_64 0
		.amdhsa_float_denorm_mode_32 3
		.amdhsa_float_denorm_mode_16_64 3
		.amdhsa_dx10_clamp 1
		.amdhsa_ieee_mode 1
		.amdhsa_fp16_overflow 0
		.amdhsa_tg_split 0
		.amdhsa_exception_fp_ieee_invalid_op 0
		.amdhsa_exception_fp_denorm_src 0
		.amdhsa_exception_fp_ieee_div_zero 0
		.amdhsa_exception_fp_ieee_overflow 0
		.amdhsa_exception_fp_ieee_underflow 0
		.amdhsa_exception_fp_ieee_inexact 0
		.amdhsa_exception_int_div_zero 0
	.end_amdhsa_kernel
	.section	.text._ZN7rocprim17ROCPRIM_400000_NS6detail17trampoline_kernelINS0_14default_configENS1_38merge_sort_block_merge_config_selectorIiNS0_10empty_typeEEEZZNS1_27merge_sort_block_merge_implIS3_PiPS5_jNS1_19radix_merge_compareILb1ELb1EiNS0_19identity_decomposerEEEEE10hipError_tT0_T1_T2_jT3_P12ihipStream_tbPNSt15iterator_traitsISE_E10value_typeEPNSK_ISF_E10value_typeEPSG_NS1_7vsmem_tEENKUlT_SE_SF_SG_E_clIS8_S8_S9_S9_EESD_ST_SE_SF_SG_EUlST_E_NS1_11comp_targetILNS1_3genE2ELNS1_11target_archE906ELNS1_3gpuE6ELNS1_3repE0EEENS1_48merge_mergepath_partition_config_static_selectorELNS0_4arch9wavefront6targetE1EEEvSF_,"axG",@progbits,_ZN7rocprim17ROCPRIM_400000_NS6detail17trampoline_kernelINS0_14default_configENS1_38merge_sort_block_merge_config_selectorIiNS0_10empty_typeEEEZZNS1_27merge_sort_block_merge_implIS3_PiPS5_jNS1_19radix_merge_compareILb1ELb1EiNS0_19identity_decomposerEEEEE10hipError_tT0_T1_T2_jT3_P12ihipStream_tbPNSt15iterator_traitsISE_E10value_typeEPNSK_ISF_E10value_typeEPSG_NS1_7vsmem_tEENKUlT_SE_SF_SG_E_clIS8_S8_S9_S9_EESD_ST_SE_SF_SG_EUlST_E_NS1_11comp_targetILNS1_3genE2ELNS1_11target_archE906ELNS1_3gpuE6ELNS1_3repE0EEENS1_48merge_mergepath_partition_config_static_selectorELNS0_4arch9wavefront6targetE1EEEvSF_,comdat
.Lfunc_end1975:
	.size	_ZN7rocprim17ROCPRIM_400000_NS6detail17trampoline_kernelINS0_14default_configENS1_38merge_sort_block_merge_config_selectorIiNS0_10empty_typeEEEZZNS1_27merge_sort_block_merge_implIS3_PiPS5_jNS1_19radix_merge_compareILb1ELb1EiNS0_19identity_decomposerEEEEE10hipError_tT0_T1_T2_jT3_P12ihipStream_tbPNSt15iterator_traitsISE_E10value_typeEPNSK_ISF_E10value_typeEPSG_NS1_7vsmem_tEENKUlT_SE_SF_SG_E_clIS8_S8_S9_S9_EESD_ST_SE_SF_SG_EUlST_E_NS1_11comp_targetILNS1_3genE2ELNS1_11target_archE906ELNS1_3gpuE6ELNS1_3repE0EEENS1_48merge_mergepath_partition_config_static_selectorELNS0_4arch9wavefront6targetE1EEEvSF_, .Lfunc_end1975-_ZN7rocprim17ROCPRIM_400000_NS6detail17trampoline_kernelINS0_14default_configENS1_38merge_sort_block_merge_config_selectorIiNS0_10empty_typeEEEZZNS1_27merge_sort_block_merge_implIS3_PiPS5_jNS1_19radix_merge_compareILb1ELb1EiNS0_19identity_decomposerEEEEE10hipError_tT0_T1_T2_jT3_P12ihipStream_tbPNSt15iterator_traitsISE_E10value_typeEPNSK_ISF_E10value_typeEPSG_NS1_7vsmem_tEENKUlT_SE_SF_SG_E_clIS8_S8_S9_S9_EESD_ST_SE_SF_SG_EUlST_E_NS1_11comp_targetILNS1_3genE2ELNS1_11target_archE906ELNS1_3gpuE6ELNS1_3repE0EEENS1_48merge_mergepath_partition_config_static_selectorELNS0_4arch9wavefront6targetE1EEEvSF_
                                        ; -- End function
	.section	.AMDGPU.csdata,"",@progbits
; Kernel info:
; codeLenInByte = 0
; NumSgprs: 4
; NumVgprs: 0
; NumAgprs: 0
; TotalNumVgprs: 0
; ScratchSize: 0
; MemoryBound: 0
; FloatMode: 240
; IeeeMode: 1
; LDSByteSize: 0 bytes/workgroup (compile time only)
; SGPRBlocks: 0
; VGPRBlocks: 0
; NumSGPRsForWavesPerEU: 4
; NumVGPRsForWavesPerEU: 1
; AccumOffset: 4
; Occupancy: 8
; WaveLimiterHint : 0
; COMPUTE_PGM_RSRC2:SCRATCH_EN: 0
; COMPUTE_PGM_RSRC2:USER_SGPR: 6
; COMPUTE_PGM_RSRC2:TRAP_HANDLER: 0
; COMPUTE_PGM_RSRC2:TGID_X_EN: 1
; COMPUTE_PGM_RSRC2:TGID_Y_EN: 0
; COMPUTE_PGM_RSRC2:TGID_Z_EN: 0
; COMPUTE_PGM_RSRC2:TIDIG_COMP_CNT: 0
; COMPUTE_PGM_RSRC3_GFX90A:ACCUM_OFFSET: 0
; COMPUTE_PGM_RSRC3_GFX90A:TG_SPLIT: 0
	.section	.text._ZN7rocprim17ROCPRIM_400000_NS6detail17trampoline_kernelINS0_14default_configENS1_38merge_sort_block_merge_config_selectorIiNS0_10empty_typeEEEZZNS1_27merge_sort_block_merge_implIS3_PiPS5_jNS1_19radix_merge_compareILb1ELb1EiNS0_19identity_decomposerEEEEE10hipError_tT0_T1_T2_jT3_P12ihipStream_tbPNSt15iterator_traitsISE_E10value_typeEPNSK_ISF_E10value_typeEPSG_NS1_7vsmem_tEENKUlT_SE_SF_SG_E_clIS8_S8_S9_S9_EESD_ST_SE_SF_SG_EUlST_E_NS1_11comp_targetILNS1_3genE9ELNS1_11target_archE1100ELNS1_3gpuE3ELNS1_3repE0EEENS1_48merge_mergepath_partition_config_static_selectorELNS0_4arch9wavefront6targetE1EEEvSF_,"axG",@progbits,_ZN7rocprim17ROCPRIM_400000_NS6detail17trampoline_kernelINS0_14default_configENS1_38merge_sort_block_merge_config_selectorIiNS0_10empty_typeEEEZZNS1_27merge_sort_block_merge_implIS3_PiPS5_jNS1_19radix_merge_compareILb1ELb1EiNS0_19identity_decomposerEEEEE10hipError_tT0_T1_T2_jT3_P12ihipStream_tbPNSt15iterator_traitsISE_E10value_typeEPNSK_ISF_E10value_typeEPSG_NS1_7vsmem_tEENKUlT_SE_SF_SG_E_clIS8_S8_S9_S9_EESD_ST_SE_SF_SG_EUlST_E_NS1_11comp_targetILNS1_3genE9ELNS1_11target_archE1100ELNS1_3gpuE3ELNS1_3repE0EEENS1_48merge_mergepath_partition_config_static_selectorELNS0_4arch9wavefront6targetE1EEEvSF_,comdat
	.protected	_ZN7rocprim17ROCPRIM_400000_NS6detail17trampoline_kernelINS0_14default_configENS1_38merge_sort_block_merge_config_selectorIiNS0_10empty_typeEEEZZNS1_27merge_sort_block_merge_implIS3_PiPS5_jNS1_19radix_merge_compareILb1ELb1EiNS0_19identity_decomposerEEEEE10hipError_tT0_T1_T2_jT3_P12ihipStream_tbPNSt15iterator_traitsISE_E10value_typeEPNSK_ISF_E10value_typeEPSG_NS1_7vsmem_tEENKUlT_SE_SF_SG_E_clIS8_S8_S9_S9_EESD_ST_SE_SF_SG_EUlST_E_NS1_11comp_targetILNS1_3genE9ELNS1_11target_archE1100ELNS1_3gpuE3ELNS1_3repE0EEENS1_48merge_mergepath_partition_config_static_selectorELNS0_4arch9wavefront6targetE1EEEvSF_ ; -- Begin function _ZN7rocprim17ROCPRIM_400000_NS6detail17trampoline_kernelINS0_14default_configENS1_38merge_sort_block_merge_config_selectorIiNS0_10empty_typeEEEZZNS1_27merge_sort_block_merge_implIS3_PiPS5_jNS1_19radix_merge_compareILb1ELb1EiNS0_19identity_decomposerEEEEE10hipError_tT0_T1_T2_jT3_P12ihipStream_tbPNSt15iterator_traitsISE_E10value_typeEPNSK_ISF_E10value_typeEPSG_NS1_7vsmem_tEENKUlT_SE_SF_SG_E_clIS8_S8_S9_S9_EESD_ST_SE_SF_SG_EUlST_E_NS1_11comp_targetILNS1_3genE9ELNS1_11target_archE1100ELNS1_3gpuE3ELNS1_3repE0EEENS1_48merge_mergepath_partition_config_static_selectorELNS0_4arch9wavefront6targetE1EEEvSF_
	.globl	_ZN7rocprim17ROCPRIM_400000_NS6detail17trampoline_kernelINS0_14default_configENS1_38merge_sort_block_merge_config_selectorIiNS0_10empty_typeEEEZZNS1_27merge_sort_block_merge_implIS3_PiPS5_jNS1_19radix_merge_compareILb1ELb1EiNS0_19identity_decomposerEEEEE10hipError_tT0_T1_T2_jT3_P12ihipStream_tbPNSt15iterator_traitsISE_E10value_typeEPNSK_ISF_E10value_typeEPSG_NS1_7vsmem_tEENKUlT_SE_SF_SG_E_clIS8_S8_S9_S9_EESD_ST_SE_SF_SG_EUlST_E_NS1_11comp_targetILNS1_3genE9ELNS1_11target_archE1100ELNS1_3gpuE3ELNS1_3repE0EEENS1_48merge_mergepath_partition_config_static_selectorELNS0_4arch9wavefront6targetE1EEEvSF_
	.p2align	8
	.type	_ZN7rocprim17ROCPRIM_400000_NS6detail17trampoline_kernelINS0_14default_configENS1_38merge_sort_block_merge_config_selectorIiNS0_10empty_typeEEEZZNS1_27merge_sort_block_merge_implIS3_PiPS5_jNS1_19radix_merge_compareILb1ELb1EiNS0_19identity_decomposerEEEEE10hipError_tT0_T1_T2_jT3_P12ihipStream_tbPNSt15iterator_traitsISE_E10value_typeEPNSK_ISF_E10value_typeEPSG_NS1_7vsmem_tEENKUlT_SE_SF_SG_E_clIS8_S8_S9_S9_EESD_ST_SE_SF_SG_EUlST_E_NS1_11comp_targetILNS1_3genE9ELNS1_11target_archE1100ELNS1_3gpuE3ELNS1_3repE0EEENS1_48merge_mergepath_partition_config_static_selectorELNS0_4arch9wavefront6targetE1EEEvSF_,@function
_ZN7rocprim17ROCPRIM_400000_NS6detail17trampoline_kernelINS0_14default_configENS1_38merge_sort_block_merge_config_selectorIiNS0_10empty_typeEEEZZNS1_27merge_sort_block_merge_implIS3_PiPS5_jNS1_19radix_merge_compareILb1ELb1EiNS0_19identity_decomposerEEEEE10hipError_tT0_T1_T2_jT3_P12ihipStream_tbPNSt15iterator_traitsISE_E10value_typeEPNSK_ISF_E10value_typeEPSG_NS1_7vsmem_tEENKUlT_SE_SF_SG_E_clIS8_S8_S9_S9_EESD_ST_SE_SF_SG_EUlST_E_NS1_11comp_targetILNS1_3genE9ELNS1_11target_archE1100ELNS1_3gpuE3ELNS1_3repE0EEENS1_48merge_mergepath_partition_config_static_selectorELNS0_4arch9wavefront6targetE1EEEvSF_: ; @_ZN7rocprim17ROCPRIM_400000_NS6detail17trampoline_kernelINS0_14default_configENS1_38merge_sort_block_merge_config_selectorIiNS0_10empty_typeEEEZZNS1_27merge_sort_block_merge_implIS3_PiPS5_jNS1_19radix_merge_compareILb1ELb1EiNS0_19identity_decomposerEEEEE10hipError_tT0_T1_T2_jT3_P12ihipStream_tbPNSt15iterator_traitsISE_E10value_typeEPNSK_ISF_E10value_typeEPSG_NS1_7vsmem_tEENKUlT_SE_SF_SG_E_clIS8_S8_S9_S9_EESD_ST_SE_SF_SG_EUlST_E_NS1_11comp_targetILNS1_3genE9ELNS1_11target_archE1100ELNS1_3gpuE3ELNS1_3repE0EEENS1_48merge_mergepath_partition_config_static_selectorELNS0_4arch9wavefront6targetE1EEEvSF_
; %bb.0:
	.section	.rodata,"a",@progbits
	.p2align	6, 0x0
	.amdhsa_kernel _ZN7rocprim17ROCPRIM_400000_NS6detail17trampoline_kernelINS0_14default_configENS1_38merge_sort_block_merge_config_selectorIiNS0_10empty_typeEEEZZNS1_27merge_sort_block_merge_implIS3_PiPS5_jNS1_19radix_merge_compareILb1ELb1EiNS0_19identity_decomposerEEEEE10hipError_tT0_T1_T2_jT3_P12ihipStream_tbPNSt15iterator_traitsISE_E10value_typeEPNSK_ISF_E10value_typeEPSG_NS1_7vsmem_tEENKUlT_SE_SF_SG_E_clIS8_S8_S9_S9_EESD_ST_SE_SF_SG_EUlST_E_NS1_11comp_targetILNS1_3genE9ELNS1_11target_archE1100ELNS1_3gpuE3ELNS1_3repE0EEENS1_48merge_mergepath_partition_config_static_selectorELNS0_4arch9wavefront6targetE1EEEvSF_
		.amdhsa_group_segment_fixed_size 0
		.amdhsa_private_segment_fixed_size 0
		.amdhsa_kernarg_size 40
		.amdhsa_user_sgpr_count 6
		.amdhsa_user_sgpr_private_segment_buffer 1
		.amdhsa_user_sgpr_dispatch_ptr 0
		.amdhsa_user_sgpr_queue_ptr 0
		.amdhsa_user_sgpr_kernarg_segment_ptr 1
		.amdhsa_user_sgpr_dispatch_id 0
		.amdhsa_user_sgpr_flat_scratch_init 0
		.amdhsa_user_sgpr_kernarg_preload_length 0
		.amdhsa_user_sgpr_kernarg_preload_offset 0
		.amdhsa_user_sgpr_private_segment_size 0
		.amdhsa_uses_dynamic_stack 0
		.amdhsa_system_sgpr_private_segment_wavefront_offset 0
		.amdhsa_system_sgpr_workgroup_id_x 1
		.amdhsa_system_sgpr_workgroup_id_y 0
		.amdhsa_system_sgpr_workgroup_id_z 0
		.amdhsa_system_sgpr_workgroup_info 0
		.amdhsa_system_vgpr_workitem_id 0
		.amdhsa_next_free_vgpr 1
		.amdhsa_next_free_sgpr 0
		.amdhsa_accum_offset 4
		.amdhsa_reserve_vcc 0
		.amdhsa_reserve_flat_scratch 0
		.amdhsa_float_round_mode_32 0
		.amdhsa_float_round_mode_16_64 0
		.amdhsa_float_denorm_mode_32 3
		.amdhsa_float_denorm_mode_16_64 3
		.amdhsa_dx10_clamp 1
		.amdhsa_ieee_mode 1
		.amdhsa_fp16_overflow 0
		.amdhsa_tg_split 0
		.amdhsa_exception_fp_ieee_invalid_op 0
		.amdhsa_exception_fp_denorm_src 0
		.amdhsa_exception_fp_ieee_div_zero 0
		.amdhsa_exception_fp_ieee_overflow 0
		.amdhsa_exception_fp_ieee_underflow 0
		.amdhsa_exception_fp_ieee_inexact 0
		.amdhsa_exception_int_div_zero 0
	.end_amdhsa_kernel
	.section	.text._ZN7rocprim17ROCPRIM_400000_NS6detail17trampoline_kernelINS0_14default_configENS1_38merge_sort_block_merge_config_selectorIiNS0_10empty_typeEEEZZNS1_27merge_sort_block_merge_implIS3_PiPS5_jNS1_19radix_merge_compareILb1ELb1EiNS0_19identity_decomposerEEEEE10hipError_tT0_T1_T2_jT3_P12ihipStream_tbPNSt15iterator_traitsISE_E10value_typeEPNSK_ISF_E10value_typeEPSG_NS1_7vsmem_tEENKUlT_SE_SF_SG_E_clIS8_S8_S9_S9_EESD_ST_SE_SF_SG_EUlST_E_NS1_11comp_targetILNS1_3genE9ELNS1_11target_archE1100ELNS1_3gpuE3ELNS1_3repE0EEENS1_48merge_mergepath_partition_config_static_selectorELNS0_4arch9wavefront6targetE1EEEvSF_,"axG",@progbits,_ZN7rocprim17ROCPRIM_400000_NS6detail17trampoline_kernelINS0_14default_configENS1_38merge_sort_block_merge_config_selectorIiNS0_10empty_typeEEEZZNS1_27merge_sort_block_merge_implIS3_PiPS5_jNS1_19radix_merge_compareILb1ELb1EiNS0_19identity_decomposerEEEEE10hipError_tT0_T1_T2_jT3_P12ihipStream_tbPNSt15iterator_traitsISE_E10value_typeEPNSK_ISF_E10value_typeEPSG_NS1_7vsmem_tEENKUlT_SE_SF_SG_E_clIS8_S8_S9_S9_EESD_ST_SE_SF_SG_EUlST_E_NS1_11comp_targetILNS1_3genE9ELNS1_11target_archE1100ELNS1_3gpuE3ELNS1_3repE0EEENS1_48merge_mergepath_partition_config_static_selectorELNS0_4arch9wavefront6targetE1EEEvSF_,comdat
.Lfunc_end1976:
	.size	_ZN7rocprim17ROCPRIM_400000_NS6detail17trampoline_kernelINS0_14default_configENS1_38merge_sort_block_merge_config_selectorIiNS0_10empty_typeEEEZZNS1_27merge_sort_block_merge_implIS3_PiPS5_jNS1_19radix_merge_compareILb1ELb1EiNS0_19identity_decomposerEEEEE10hipError_tT0_T1_T2_jT3_P12ihipStream_tbPNSt15iterator_traitsISE_E10value_typeEPNSK_ISF_E10value_typeEPSG_NS1_7vsmem_tEENKUlT_SE_SF_SG_E_clIS8_S8_S9_S9_EESD_ST_SE_SF_SG_EUlST_E_NS1_11comp_targetILNS1_3genE9ELNS1_11target_archE1100ELNS1_3gpuE3ELNS1_3repE0EEENS1_48merge_mergepath_partition_config_static_selectorELNS0_4arch9wavefront6targetE1EEEvSF_, .Lfunc_end1976-_ZN7rocprim17ROCPRIM_400000_NS6detail17trampoline_kernelINS0_14default_configENS1_38merge_sort_block_merge_config_selectorIiNS0_10empty_typeEEEZZNS1_27merge_sort_block_merge_implIS3_PiPS5_jNS1_19radix_merge_compareILb1ELb1EiNS0_19identity_decomposerEEEEE10hipError_tT0_T1_T2_jT3_P12ihipStream_tbPNSt15iterator_traitsISE_E10value_typeEPNSK_ISF_E10value_typeEPSG_NS1_7vsmem_tEENKUlT_SE_SF_SG_E_clIS8_S8_S9_S9_EESD_ST_SE_SF_SG_EUlST_E_NS1_11comp_targetILNS1_3genE9ELNS1_11target_archE1100ELNS1_3gpuE3ELNS1_3repE0EEENS1_48merge_mergepath_partition_config_static_selectorELNS0_4arch9wavefront6targetE1EEEvSF_
                                        ; -- End function
	.section	.AMDGPU.csdata,"",@progbits
; Kernel info:
; codeLenInByte = 0
; NumSgprs: 4
; NumVgprs: 0
; NumAgprs: 0
; TotalNumVgprs: 0
; ScratchSize: 0
; MemoryBound: 0
; FloatMode: 240
; IeeeMode: 1
; LDSByteSize: 0 bytes/workgroup (compile time only)
; SGPRBlocks: 0
; VGPRBlocks: 0
; NumSGPRsForWavesPerEU: 4
; NumVGPRsForWavesPerEU: 1
; AccumOffset: 4
; Occupancy: 8
; WaveLimiterHint : 0
; COMPUTE_PGM_RSRC2:SCRATCH_EN: 0
; COMPUTE_PGM_RSRC2:USER_SGPR: 6
; COMPUTE_PGM_RSRC2:TRAP_HANDLER: 0
; COMPUTE_PGM_RSRC2:TGID_X_EN: 1
; COMPUTE_PGM_RSRC2:TGID_Y_EN: 0
; COMPUTE_PGM_RSRC2:TGID_Z_EN: 0
; COMPUTE_PGM_RSRC2:TIDIG_COMP_CNT: 0
; COMPUTE_PGM_RSRC3_GFX90A:ACCUM_OFFSET: 0
; COMPUTE_PGM_RSRC3_GFX90A:TG_SPLIT: 0
	.section	.text._ZN7rocprim17ROCPRIM_400000_NS6detail17trampoline_kernelINS0_14default_configENS1_38merge_sort_block_merge_config_selectorIiNS0_10empty_typeEEEZZNS1_27merge_sort_block_merge_implIS3_PiPS5_jNS1_19radix_merge_compareILb1ELb1EiNS0_19identity_decomposerEEEEE10hipError_tT0_T1_T2_jT3_P12ihipStream_tbPNSt15iterator_traitsISE_E10value_typeEPNSK_ISF_E10value_typeEPSG_NS1_7vsmem_tEENKUlT_SE_SF_SG_E_clIS8_S8_S9_S9_EESD_ST_SE_SF_SG_EUlST_E_NS1_11comp_targetILNS1_3genE8ELNS1_11target_archE1030ELNS1_3gpuE2ELNS1_3repE0EEENS1_48merge_mergepath_partition_config_static_selectorELNS0_4arch9wavefront6targetE1EEEvSF_,"axG",@progbits,_ZN7rocprim17ROCPRIM_400000_NS6detail17trampoline_kernelINS0_14default_configENS1_38merge_sort_block_merge_config_selectorIiNS0_10empty_typeEEEZZNS1_27merge_sort_block_merge_implIS3_PiPS5_jNS1_19radix_merge_compareILb1ELb1EiNS0_19identity_decomposerEEEEE10hipError_tT0_T1_T2_jT3_P12ihipStream_tbPNSt15iterator_traitsISE_E10value_typeEPNSK_ISF_E10value_typeEPSG_NS1_7vsmem_tEENKUlT_SE_SF_SG_E_clIS8_S8_S9_S9_EESD_ST_SE_SF_SG_EUlST_E_NS1_11comp_targetILNS1_3genE8ELNS1_11target_archE1030ELNS1_3gpuE2ELNS1_3repE0EEENS1_48merge_mergepath_partition_config_static_selectorELNS0_4arch9wavefront6targetE1EEEvSF_,comdat
	.protected	_ZN7rocprim17ROCPRIM_400000_NS6detail17trampoline_kernelINS0_14default_configENS1_38merge_sort_block_merge_config_selectorIiNS0_10empty_typeEEEZZNS1_27merge_sort_block_merge_implIS3_PiPS5_jNS1_19radix_merge_compareILb1ELb1EiNS0_19identity_decomposerEEEEE10hipError_tT0_T1_T2_jT3_P12ihipStream_tbPNSt15iterator_traitsISE_E10value_typeEPNSK_ISF_E10value_typeEPSG_NS1_7vsmem_tEENKUlT_SE_SF_SG_E_clIS8_S8_S9_S9_EESD_ST_SE_SF_SG_EUlST_E_NS1_11comp_targetILNS1_3genE8ELNS1_11target_archE1030ELNS1_3gpuE2ELNS1_3repE0EEENS1_48merge_mergepath_partition_config_static_selectorELNS0_4arch9wavefront6targetE1EEEvSF_ ; -- Begin function _ZN7rocprim17ROCPRIM_400000_NS6detail17trampoline_kernelINS0_14default_configENS1_38merge_sort_block_merge_config_selectorIiNS0_10empty_typeEEEZZNS1_27merge_sort_block_merge_implIS3_PiPS5_jNS1_19radix_merge_compareILb1ELb1EiNS0_19identity_decomposerEEEEE10hipError_tT0_T1_T2_jT3_P12ihipStream_tbPNSt15iterator_traitsISE_E10value_typeEPNSK_ISF_E10value_typeEPSG_NS1_7vsmem_tEENKUlT_SE_SF_SG_E_clIS8_S8_S9_S9_EESD_ST_SE_SF_SG_EUlST_E_NS1_11comp_targetILNS1_3genE8ELNS1_11target_archE1030ELNS1_3gpuE2ELNS1_3repE0EEENS1_48merge_mergepath_partition_config_static_selectorELNS0_4arch9wavefront6targetE1EEEvSF_
	.globl	_ZN7rocprim17ROCPRIM_400000_NS6detail17trampoline_kernelINS0_14default_configENS1_38merge_sort_block_merge_config_selectorIiNS0_10empty_typeEEEZZNS1_27merge_sort_block_merge_implIS3_PiPS5_jNS1_19radix_merge_compareILb1ELb1EiNS0_19identity_decomposerEEEEE10hipError_tT0_T1_T2_jT3_P12ihipStream_tbPNSt15iterator_traitsISE_E10value_typeEPNSK_ISF_E10value_typeEPSG_NS1_7vsmem_tEENKUlT_SE_SF_SG_E_clIS8_S8_S9_S9_EESD_ST_SE_SF_SG_EUlST_E_NS1_11comp_targetILNS1_3genE8ELNS1_11target_archE1030ELNS1_3gpuE2ELNS1_3repE0EEENS1_48merge_mergepath_partition_config_static_selectorELNS0_4arch9wavefront6targetE1EEEvSF_
	.p2align	8
	.type	_ZN7rocprim17ROCPRIM_400000_NS6detail17trampoline_kernelINS0_14default_configENS1_38merge_sort_block_merge_config_selectorIiNS0_10empty_typeEEEZZNS1_27merge_sort_block_merge_implIS3_PiPS5_jNS1_19radix_merge_compareILb1ELb1EiNS0_19identity_decomposerEEEEE10hipError_tT0_T1_T2_jT3_P12ihipStream_tbPNSt15iterator_traitsISE_E10value_typeEPNSK_ISF_E10value_typeEPSG_NS1_7vsmem_tEENKUlT_SE_SF_SG_E_clIS8_S8_S9_S9_EESD_ST_SE_SF_SG_EUlST_E_NS1_11comp_targetILNS1_3genE8ELNS1_11target_archE1030ELNS1_3gpuE2ELNS1_3repE0EEENS1_48merge_mergepath_partition_config_static_selectorELNS0_4arch9wavefront6targetE1EEEvSF_,@function
_ZN7rocprim17ROCPRIM_400000_NS6detail17trampoline_kernelINS0_14default_configENS1_38merge_sort_block_merge_config_selectorIiNS0_10empty_typeEEEZZNS1_27merge_sort_block_merge_implIS3_PiPS5_jNS1_19radix_merge_compareILb1ELb1EiNS0_19identity_decomposerEEEEE10hipError_tT0_T1_T2_jT3_P12ihipStream_tbPNSt15iterator_traitsISE_E10value_typeEPNSK_ISF_E10value_typeEPSG_NS1_7vsmem_tEENKUlT_SE_SF_SG_E_clIS8_S8_S9_S9_EESD_ST_SE_SF_SG_EUlST_E_NS1_11comp_targetILNS1_3genE8ELNS1_11target_archE1030ELNS1_3gpuE2ELNS1_3repE0EEENS1_48merge_mergepath_partition_config_static_selectorELNS0_4arch9wavefront6targetE1EEEvSF_: ; @_ZN7rocprim17ROCPRIM_400000_NS6detail17trampoline_kernelINS0_14default_configENS1_38merge_sort_block_merge_config_selectorIiNS0_10empty_typeEEEZZNS1_27merge_sort_block_merge_implIS3_PiPS5_jNS1_19radix_merge_compareILb1ELb1EiNS0_19identity_decomposerEEEEE10hipError_tT0_T1_T2_jT3_P12ihipStream_tbPNSt15iterator_traitsISE_E10value_typeEPNSK_ISF_E10value_typeEPSG_NS1_7vsmem_tEENKUlT_SE_SF_SG_E_clIS8_S8_S9_S9_EESD_ST_SE_SF_SG_EUlST_E_NS1_11comp_targetILNS1_3genE8ELNS1_11target_archE1030ELNS1_3gpuE2ELNS1_3repE0EEENS1_48merge_mergepath_partition_config_static_selectorELNS0_4arch9wavefront6targetE1EEEvSF_
; %bb.0:
	.section	.rodata,"a",@progbits
	.p2align	6, 0x0
	.amdhsa_kernel _ZN7rocprim17ROCPRIM_400000_NS6detail17trampoline_kernelINS0_14default_configENS1_38merge_sort_block_merge_config_selectorIiNS0_10empty_typeEEEZZNS1_27merge_sort_block_merge_implIS3_PiPS5_jNS1_19radix_merge_compareILb1ELb1EiNS0_19identity_decomposerEEEEE10hipError_tT0_T1_T2_jT3_P12ihipStream_tbPNSt15iterator_traitsISE_E10value_typeEPNSK_ISF_E10value_typeEPSG_NS1_7vsmem_tEENKUlT_SE_SF_SG_E_clIS8_S8_S9_S9_EESD_ST_SE_SF_SG_EUlST_E_NS1_11comp_targetILNS1_3genE8ELNS1_11target_archE1030ELNS1_3gpuE2ELNS1_3repE0EEENS1_48merge_mergepath_partition_config_static_selectorELNS0_4arch9wavefront6targetE1EEEvSF_
		.amdhsa_group_segment_fixed_size 0
		.amdhsa_private_segment_fixed_size 0
		.amdhsa_kernarg_size 40
		.amdhsa_user_sgpr_count 6
		.amdhsa_user_sgpr_private_segment_buffer 1
		.amdhsa_user_sgpr_dispatch_ptr 0
		.amdhsa_user_sgpr_queue_ptr 0
		.amdhsa_user_sgpr_kernarg_segment_ptr 1
		.amdhsa_user_sgpr_dispatch_id 0
		.amdhsa_user_sgpr_flat_scratch_init 0
		.amdhsa_user_sgpr_kernarg_preload_length 0
		.amdhsa_user_sgpr_kernarg_preload_offset 0
		.amdhsa_user_sgpr_private_segment_size 0
		.amdhsa_uses_dynamic_stack 0
		.amdhsa_system_sgpr_private_segment_wavefront_offset 0
		.amdhsa_system_sgpr_workgroup_id_x 1
		.amdhsa_system_sgpr_workgroup_id_y 0
		.amdhsa_system_sgpr_workgroup_id_z 0
		.amdhsa_system_sgpr_workgroup_info 0
		.amdhsa_system_vgpr_workitem_id 0
		.amdhsa_next_free_vgpr 1
		.amdhsa_next_free_sgpr 0
		.amdhsa_accum_offset 4
		.amdhsa_reserve_vcc 0
		.amdhsa_reserve_flat_scratch 0
		.amdhsa_float_round_mode_32 0
		.amdhsa_float_round_mode_16_64 0
		.amdhsa_float_denorm_mode_32 3
		.amdhsa_float_denorm_mode_16_64 3
		.amdhsa_dx10_clamp 1
		.amdhsa_ieee_mode 1
		.amdhsa_fp16_overflow 0
		.amdhsa_tg_split 0
		.amdhsa_exception_fp_ieee_invalid_op 0
		.amdhsa_exception_fp_denorm_src 0
		.amdhsa_exception_fp_ieee_div_zero 0
		.amdhsa_exception_fp_ieee_overflow 0
		.amdhsa_exception_fp_ieee_underflow 0
		.amdhsa_exception_fp_ieee_inexact 0
		.amdhsa_exception_int_div_zero 0
	.end_amdhsa_kernel
	.section	.text._ZN7rocprim17ROCPRIM_400000_NS6detail17trampoline_kernelINS0_14default_configENS1_38merge_sort_block_merge_config_selectorIiNS0_10empty_typeEEEZZNS1_27merge_sort_block_merge_implIS3_PiPS5_jNS1_19radix_merge_compareILb1ELb1EiNS0_19identity_decomposerEEEEE10hipError_tT0_T1_T2_jT3_P12ihipStream_tbPNSt15iterator_traitsISE_E10value_typeEPNSK_ISF_E10value_typeEPSG_NS1_7vsmem_tEENKUlT_SE_SF_SG_E_clIS8_S8_S9_S9_EESD_ST_SE_SF_SG_EUlST_E_NS1_11comp_targetILNS1_3genE8ELNS1_11target_archE1030ELNS1_3gpuE2ELNS1_3repE0EEENS1_48merge_mergepath_partition_config_static_selectorELNS0_4arch9wavefront6targetE1EEEvSF_,"axG",@progbits,_ZN7rocprim17ROCPRIM_400000_NS6detail17trampoline_kernelINS0_14default_configENS1_38merge_sort_block_merge_config_selectorIiNS0_10empty_typeEEEZZNS1_27merge_sort_block_merge_implIS3_PiPS5_jNS1_19radix_merge_compareILb1ELb1EiNS0_19identity_decomposerEEEEE10hipError_tT0_T1_T2_jT3_P12ihipStream_tbPNSt15iterator_traitsISE_E10value_typeEPNSK_ISF_E10value_typeEPSG_NS1_7vsmem_tEENKUlT_SE_SF_SG_E_clIS8_S8_S9_S9_EESD_ST_SE_SF_SG_EUlST_E_NS1_11comp_targetILNS1_3genE8ELNS1_11target_archE1030ELNS1_3gpuE2ELNS1_3repE0EEENS1_48merge_mergepath_partition_config_static_selectorELNS0_4arch9wavefront6targetE1EEEvSF_,comdat
.Lfunc_end1977:
	.size	_ZN7rocprim17ROCPRIM_400000_NS6detail17trampoline_kernelINS0_14default_configENS1_38merge_sort_block_merge_config_selectorIiNS0_10empty_typeEEEZZNS1_27merge_sort_block_merge_implIS3_PiPS5_jNS1_19radix_merge_compareILb1ELb1EiNS0_19identity_decomposerEEEEE10hipError_tT0_T1_T2_jT3_P12ihipStream_tbPNSt15iterator_traitsISE_E10value_typeEPNSK_ISF_E10value_typeEPSG_NS1_7vsmem_tEENKUlT_SE_SF_SG_E_clIS8_S8_S9_S9_EESD_ST_SE_SF_SG_EUlST_E_NS1_11comp_targetILNS1_3genE8ELNS1_11target_archE1030ELNS1_3gpuE2ELNS1_3repE0EEENS1_48merge_mergepath_partition_config_static_selectorELNS0_4arch9wavefront6targetE1EEEvSF_, .Lfunc_end1977-_ZN7rocprim17ROCPRIM_400000_NS6detail17trampoline_kernelINS0_14default_configENS1_38merge_sort_block_merge_config_selectorIiNS0_10empty_typeEEEZZNS1_27merge_sort_block_merge_implIS3_PiPS5_jNS1_19radix_merge_compareILb1ELb1EiNS0_19identity_decomposerEEEEE10hipError_tT0_T1_T2_jT3_P12ihipStream_tbPNSt15iterator_traitsISE_E10value_typeEPNSK_ISF_E10value_typeEPSG_NS1_7vsmem_tEENKUlT_SE_SF_SG_E_clIS8_S8_S9_S9_EESD_ST_SE_SF_SG_EUlST_E_NS1_11comp_targetILNS1_3genE8ELNS1_11target_archE1030ELNS1_3gpuE2ELNS1_3repE0EEENS1_48merge_mergepath_partition_config_static_selectorELNS0_4arch9wavefront6targetE1EEEvSF_
                                        ; -- End function
	.section	.AMDGPU.csdata,"",@progbits
; Kernel info:
; codeLenInByte = 0
; NumSgprs: 4
; NumVgprs: 0
; NumAgprs: 0
; TotalNumVgprs: 0
; ScratchSize: 0
; MemoryBound: 0
; FloatMode: 240
; IeeeMode: 1
; LDSByteSize: 0 bytes/workgroup (compile time only)
; SGPRBlocks: 0
; VGPRBlocks: 0
; NumSGPRsForWavesPerEU: 4
; NumVGPRsForWavesPerEU: 1
; AccumOffset: 4
; Occupancy: 8
; WaveLimiterHint : 0
; COMPUTE_PGM_RSRC2:SCRATCH_EN: 0
; COMPUTE_PGM_RSRC2:USER_SGPR: 6
; COMPUTE_PGM_RSRC2:TRAP_HANDLER: 0
; COMPUTE_PGM_RSRC2:TGID_X_EN: 1
; COMPUTE_PGM_RSRC2:TGID_Y_EN: 0
; COMPUTE_PGM_RSRC2:TGID_Z_EN: 0
; COMPUTE_PGM_RSRC2:TIDIG_COMP_CNT: 0
; COMPUTE_PGM_RSRC3_GFX90A:ACCUM_OFFSET: 0
; COMPUTE_PGM_RSRC3_GFX90A:TG_SPLIT: 0
	.section	.text._ZN7rocprim17ROCPRIM_400000_NS6detail17trampoline_kernelINS0_14default_configENS1_38merge_sort_block_merge_config_selectorIiNS0_10empty_typeEEEZZNS1_27merge_sort_block_merge_implIS3_PiPS5_jNS1_19radix_merge_compareILb1ELb1EiNS0_19identity_decomposerEEEEE10hipError_tT0_T1_T2_jT3_P12ihipStream_tbPNSt15iterator_traitsISE_E10value_typeEPNSK_ISF_E10value_typeEPSG_NS1_7vsmem_tEENKUlT_SE_SF_SG_E_clIS8_S8_S9_S9_EESD_ST_SE_SF_SG_EUlST_E0_NS1_11comp_targetILNS1_3genE0ELNS1_11target_archE4294967295ELNS1_3gpuE0ELNS1_3repE0EEENS1_38merge_mergepath_config_static_selectorELNS0_4arch9wavefront6targetE1EEEvSF_,"axG",@progbits,_ZN7rocprim17ROCPRIM_400000_NS6detail17trampoline_kernelINS0_14default_configENS1_38merge_sort_block_merge_config_selectorIiNS0_10empty_typeEEEZZNS1_27merge_sort_block_merge_implIS3_PiPS5_jNS1_19radix_merge_compareILb1ELb1EiNS0_19identity_decomposerEEEEE10hipError_tT0_T1_T2_jT3_P12ihipStream_tbPNSt15iterator_traitsISE_E10value_typeEPNSK_ISF_E10value_typeEPSG_NS1_7vsmem_tEENKUlT_SE_SF_SG_E_clIS8_S8_S9_S9_EESD_ST_SE_SF_SG_EUlST_E0_NS1_11comp_targetILNS1_3genE0ELNS1_11target_archE4294967295ELNS1_3gpuE0ELNS1_3repE0EEENS1_38merge_mergepath_config_static_selectorELNS0_4arch9wavefront6targetE1EEEvSF_,comdat
	.protected	_ZN7rocprim17ROCPRIM_400000_NS6detail17trampoline_kernelINS0_14default_configENS1_38merge_sort_block_merge_config_selectorIiNS0_10empty_typeEEEZZNS1_27merge_sort_block_merge_implIS3_PiPS5_jNS1_19radix_merge_compareILb1ELb1EiNS0_19identity_decomposerEEEEE10hipError_tT0_T1_T2_jT3_P12ihipStream_tbPNSt15iterator_traitsISE_E10value_typeEPNSK_ISF_E10value_typeEPSG_NS1_7vsmem_tEENKUlT_SE_SF_SG_E_clIS8_S8_S9_S9_EESD_ST_SE_SF_SG_EUlST_E0_NS1_11comp_targetILNS1_3genE0ELNS1_11target_archE4294967295ELNS1_3gpuE0ELNS1_3repE0EEENS1_38merge_mergepath_config_static_selectorELNS0_4arch9wavefront6targetE1EEEvSF_ ; -- Begin function _ZN7rocprim17ROCPRIM_400000_NS6detail17trampoline_kernelINS0_14default_configENS1_38merge_sort_block_merge_config_selectorIiNS0_10empty_typeEEEZZNS1_27merge_sort_block_merge_implIS3_PiPS5_jNS1_19radix_merge_compareILb1ELb1EiNS0_19identity_decomposerEEEEE10hipError_tT0_T1_T2_jT3_P12ihipStream_tbPNSt15iterator_traitsISE_E10value_typeEPNSK_ISF_E10value_typeEPSG_NS1_7vsmem_tEENKUlT_SE_SF_SG_E_clIS8_S8_S9_S9_EESD_ST_SE_SF_SG_EUlST_E0_NS1_11comp_targetILNS1_3genE0ELNS1_11target_archE4294967295ELNS1_3gpuE0ELNS1_3repE0EEENS1_38merge_mergepath_config_static_selectorELNS0_4arch9wavefront6targetE1EEEvSF_
	.globl	_ZN7rocprim17ROCPRIM_400000_NS6detail17trampoline_kernelINS0_14default_configENS1_38merge_sort_block_merge_config_selectorIiNS0_10empty_typeEEEZZNS1_27merge_sort_block_merge_implIS3_PiPS5_jNS1_19radix_merge_compareILb1ELb1EiNS0_19identity_decomposerEEEEE10hipError_tT0_T1_T2_jT3_P12ihipStream_tbPNSt15iterator_traitsISE_E10value_typeEPNSK_ISF_E10value_typeEPSG_NS1_7vsmem_tEENKUlT_SE_SF_SG_E_clIS8_S8_S9_S9_EESD_ST_SE_SF_SG_EUlST_E0_NS1_11comp_targetILNS1_3genE0ELNS1_11target_archE4294967295ELNS1_3gpuE0ELNS1_3repE0EEENS1_38merge_mergepath_config_static_selectorELNS0_4arch9wavefront6targetE1EEEvSF_
	.p2align	8
	.type	_ZN7rocprim17ROCPRIM_400000_NS6detail17trampoline_kernelINS0_14default_configENS1_38merge_sort_block_merge_config_selectorIiNS0_10empty_typeEEEZZNS1_27merge_sort_block_merge_implIS3_PiPS5_jNS1_19radix_merge_compareILb1ELb1EiNS0_19identity_decomposerEEEEE10hipError_tT0_T1_T2_jT3_P12ihipStream_tbPNSt15iterator_traitsISE_E10value_typeEPNSK_ISF_E10value_typeEPSG_NS1_7vsmem_tEENKUlT_SE_SF_SG_E_clIS8_S8_S9_S9_EESD_ST_SE_SF_SG_EUlST_E0_NS1_11comp_targetILNS1_3genE0ELNS1_11target_archE4294967295ELNS1_3gpuE0ELNS1_3repE0EEENS1_38merge_mergepath_config_static_selectorELNS0_4arch9wavefront6targetE1EEEvSF_,@function
_ZN7rocprim17ROCPRIM_400000_NS6detail17trampoline_kernelINS0_14default_configENS1_38merge_sort_block_merge_config_selectorIiNS0_10empty_typeEEEZZNS1_27merge_sort_block_merge_implIS3_PiPS5_jNS1_19radix_merge_compareILb1ELb1EiNS0_19identity_decomposerEEEEE10hipError_tT0_T1_T2_jT3_P12ihipStream_tbPNSt15iterator_traitsISE_E10value_typeEPNSK_ISF_E10value_typeEPSG_NS1_7vsmem_tEENKUlT_SE_SF_SG_E_clIS8_S8_S9_S9_EESD_ST_SE_SF_SG_EUlST_E0_NS1_11comp_targetILNS1_3genE0ELNS1_11target_archE4294967295ELNS1_3gpuE0ELNS1_3repE0EEENS1_38merge_mergepath_config_static_selectorELNS0_4arch9wavefront6targetE1EEEvSF_: ; @_ZN7rocprim17ROCPRIM_400000_NS6detail17trampoline_kernelINS0_14default_configENS1_38merge_sort_block_merge_config_selectorIiNS0_10empty_typeEEEZZNS1_27merge_sort_block_merge_implIS3_PiPS5_jNS1_19radix_merge_compareILb1ELb1EiNS0_19identity_decomposerEEEEE10hipError_tT0_T1_T2_jT3_P12ihipStream_tbPNSt15iterator_traitsISE_E10value_typeEPNSK_ISF_E10value_typeEPSG_NS1_7vsmem_tEENKUlT_SE_SF_SG_E_clIS8_S8_S9_S9_EESD_ST_SE_SF_SG_EUlST_E0_NS1_11comp_targetILNS1_3genE0ELNS1_11target_archE4294967295ELNS1_3gpuE0ELNS1_3repE0EEENS1_38merge_mergepath_config_static_selectorELNS0_4arch9wavefront6targetE1EEEvSF_
; %bb.0:
	.section	.rodata,"a",@progbits
	.p2align	6, 0x0
	.amdhsa_kernel _ZN7rocprim17ROCPRIM_400000_NS6detail17trampoline_kernelINS0_14default_configENS1_38merge_sort_block_merge_config_selectorIiNS0_10empty_typeEEEZZNS1_27merge_sort_block_merge_implIS3_PiPS5_jNS1_19radix_merge_compareILb1ELb1EiNS0_19identity_decomposerEEEEE10hipError_tT0_T1_T2_jT3_P12ihipStream_tbPNSt15iterator_traitsISE_E10value_typeEPNSK_ISF_E10value_typeEPSG_NS1_7vsmem_tEENKUlT_SE_SF_SG_E_clIS8_S8_S9_S9_EESD_ST_SE_SF_SG_EUlST_E0_NS1_11comp_targetILNS1_3genE0ELNS1_11target_archE4294967295ELNS1_3gpuE0ELNS1_3repE0EEENS1_38merge_mergepath_config_static_selectorELNS0_4arch9wavefront6targetE1EEEvSF_
		.amdhsa_group_segment_fixed_size 0
		.amdhsa_private_segment_fixed_size 0
		.amdhsa_kernarg_size 64
		.amdhsa_user_sgpr_count 6
		.amdhsa_user_sgpr_private_segment_buffer 1
		.amdhsa_user_sgpr_dispatch_ptr 0
		.amdhsa_user_sgpr_queue_ptr 0
		.amdhsa_user_sgpr_kernarg_segment_ptr 1
		.amdhsa_user_sgpr_dispatch_id 0
		.amdhsa_user_sgpr_flat_scratch_init 0
		.amdhsa_user_sgpr_kernarg_preload_length 0
		.amdhsa_user_sgpr_kernarg_preload_offset 0
		.amdhsa_user_sgpr_private_segment_size 0
		.amdhsa_uses_dynamic_stack 0
		.amdhsa_system_sgpr_private_segment_wavefront_offset 0
		.amdhsa_system_sgpr_workgroup_id_x 1
		.amdhsa_system_sgpr_workgroup_id_y 0
		.amdhsa_system_sgpr_workgroup_id_z 0
		.amdhsa_system_sgpr_workgroup_info 0
		.amdhsa_system_vgpr_workitem_id 0
		.amdhsa_next_free_vgpr 1
		.amdhsa_next_free_sgpr 0
		.amdhsa_accum_offset 4
		.amdhsa_reserve_vcc 0
		.amdhsa_reserve_flat_scratch 0
		.amdhsa_float_round_mode_32 0
		.amdhsa_float_round_mode_16_64 0
		.amdhsa_float_denorm_mode_32 3
		.amdhsa_float_denorm_mode_16_64 3
		.amdhsa_dx10_clamp 1
		.amdhsa_ieee_mode 1
		.amdhsa_fp16_overflow 0
		.amdhsa_tg_split 0
		.amdhsa_exception_fp_ieee_invalid_op 0
		.amdhsa_exception_fp_denorm_src 0
		.amdhsa_exception_fp_ieee_div_zero 0
		.amdhsa_exception_fp_ieee_overflow 0
		.amdhsa_exception_fp_ieee_underflow 0
		.amdhsa_exception_fp_ieee_inexact 0
		.amdhsa_exception_int_div_zero 0
	.end_amdhsa_kernel
	.section	.text._ZN7rocprim17ROCPRIM_400000_NS6detail17trampoline_kernelINS0_14default_configENS1_38merge_sort_block_merge_config_selectorIiNS0_10empty_typeEEEZZNS1_27merge_sort_block_merge_implIS3_PiPS5_jNS1_19radix_merge_compareILb1ELb1EiNS0_19identity_decomposerEEEEE10hipError_tT0_T1_T2_jT3_P12ihipStream_tbPNSt15iterator_traitsISE_E10value_typeEPNSK_ISF_E10value_typeEPSG_NS1_7vsmem_tEENKUlT_SE_SF_SG_E_clIS8_S8_S9_S9_EESD_ST_SE_SF_SG_EUlST_E0_NS1_11comp_targetILNS1_3genE0ELNS1_11target_archE4294967295ELNS1_3gpuE0ELNS1_3repE0EEENS1_38merge_mergepath_config_static_selectorELNS0_4arch9wavefront6targetE1EEEvSF_,"axG",@progbits,_ZN7rocprim17ROCPRIM_400000_NS6detail17trampoline_kernelINS0_14default_configENS1_38merge_sort_block_merge_config_selectorIiNS0_10empty_typeEEEZZNS1_27merge_sort_block_merge_implIS3_PiPS5_jNS1_19radix_merge_compareILb1ELb1EiNS0_19identity_decomposerEEEEE10hipError_tT0_T1_T2_jT3_P12ihipStream_tbPNSt15iterator_traitsISE_E10value_typeEPNSK_ISF_E10value_typeEPSG_NS1_7vsmem_tEENKUlT_SE_SF_SG_E_clIS8_S8_S9_S9_EESD_ST_SE_SF_SG_EUlST_E0_NS1_11comp_targetILNS1_3genE0ELNS1_11target_archE4294967295ELNS1_3gpuE0ELNS1_3repE0EEENS1_38merge_mergepath_config_static_selectorELNS0_4arch9wavefront6targetE1EEEvSF_,comdat
.Lfunc_end1978:
	.size	_ZN7rocprim17ROCPRIM_400000_NS6detail17trampoline_kernelINS0_14default_configENS1_38merge_sort_block_merge_config_selectorIiNS0_10empty_typeEEEZZNS1_27merge_sort_block_merge_implIS3_PiPS5_jNS1_19radix_merge_compareILb1ELb1EiNS0_19identity_decomposerEEEEE10hipError_tT0_T1_T2_jT3_P12ihipStream_tbPNSt15iterator_traitsISE_E10value_typeEPNSK_ISF_E10value_typeEPSG_NS1_7vsmem_tEENKUlT_SE_SF_SG_E_clIS8_S8_S9_S9_EESD_ST_SE_SF_SG_EUlST_E0_NS1_11comp_targetILNS1_3genE0ELNS1_11target_archE4294967295ELNS1_3gpuE0ELNS1_3repE0EEENS1_38merge_mergepath_config_static_selectorELNS0_4arch9wavefront6targetE1EEEvSF_, .Lfunc_end1978-_ZN7rocprim17ROCPRIM_400000_NS6detail17trampoline_kernelINS0_14default_configENS1_38merge_sort_block_merge_config_selectorIiNS0_10empty_typeEEEZZNS1_27merge_sort_block_merge_implIS3_PiPS5_jNS1_19radix_merge_compareILb1ELb1EiNS0_19identity_decomposerEEEEE10hipError_tT0_T1_T2_jT3_P12ihipStream_tbPNSt15iterator_traitsISE_E10value_typeEPNSK_ISF_E10value_typeEPSG_NS1_7vsmem_tEENKUlT_SE_SF_SG_E_clIS8_S8_S9_S9_EESD_ST_SE_SF_SG_EUlST_E0_NS1_11comp_targetILNS1_3genE0ELNS1_11target_archE4294967295ELNS1_3gpuE0ELNS1_3repE0EEENS1_38merge_mergepath_config_static_selectorELNS0_4arch9wavefront6targetE1EEEvSF_
                                        ; -- End function
	.section	.AMDGPU.csdata,"",@progbits
; Kernel info:
; codeLenInByte = 0
; NumSgprs: 4
; NumVgprs: 0
; NumAgprs: 0
; TotalNumVgprs: 0
; ScratchSize: 0
; MemoryBound: 0
; FloatMode: 240
; IeeeMode: 1
; LDSByteSize: 0 bytes/workgroup (compile time only)
; SGPRBlocks: 0
; VGPRBlocks: 0
; NumSGPRsForWavesPerEU: 4
; NumVGPRsForWavesPerEU: 1
; AccumOffset: 4
; Occupancy: 8
; WaveLimiterHint : 0
; COMPUTE_PGM_RSRC2:SCRATCH_EN: 0
; COMPUTE_PGM_RSRC2:USER_SGPR: 6
; COMPUTE_PGM_RSRC2:TRAP_HANDLER: 0
; COMPUTE_PGM_RSRC2:TGID_X_EN: 1
; COMPUTE_PGM_RSRC2:TGID_Y_EN: 0
; COMPUTE_PGM_RSRC2:TGID_Z_EN: 0
; COMPUTE_PGM_RSRC2:TIDIG_COMP_CNT: 0
; COMPUTE_PGM_RSRC3_GFX90A:ACCUM_OFFSET: 0
; COMPUTE_PGM_RSRC3_GFX90A:TG_SPLIT: 0
	.section	.text._ZN7rocprim17ROCPRIM_400000_NS6detail17trampoline_kernelINS0_14default_configENS1_38merge_sort_block_merge_config_selectorIiNS0_10empty_typeEEEZZNS1_27merge_sort_block_merge_implIS3_PiPS5_jNS1_19radix_merge_compareILb1ELb1EiNS0_19identity_decomposerEEEEE10hipError_tT0_T1_T2_jT3_P12ihipStream_tbPNSt15iterator_traitsISE_E10value_typeEPNSK_ISF_E10value_typeEPSG_NS1_7vsmem_tEENKUlT_SE_SF_SG_E_clIS8_S8_S9_S9_EESD_ST_SE_SF_SG_EUlST_E0_NS1_11comp_targetILNS1_3genE10ELNS1_11target_archE1201ELNS1_3gpuE5ELNS1_3repE0EEENS1_38merge_mergepath_config_static_selectorELNS0_4arch9wavefront6targetE1EEEvSF_,"axG",@progbits,_ZN7rocprim17ROCPRIM_400000_NS6detail17trampoline_kernelINS0_14default_configENS1_38merge_sort_block_merge_config_selectorIiNS0_10empty_typeEEEZZNS1_27merge_sort_block_merge_implIS3_PiPS5_jNS1_19radix_merge_compareILb1ELb1EiNS0_19identity_decomposerEEEEE10hipError_tT0_T1_T2_jT3_P12ihipStream_tbPNSt15iterator_traitsISE_E10value_typeEPNSK_ISF_E10value_typeEPSG_NS1_7vsmem_tEENKUlT_SE_SF_SG_E_clIS8_S8_S9_S9_EESD_ST_SE_SF_SG_EUlST_E0_NS1_11comp_targetILNS1_3genE10ELNS1_11target_archE1201ELNS1_3gpuE5ELNS1_3repE0EEENS1_38merge_mergepath_config_static_selectorELNS0_4arch9wavefront6targetE1EEEvSF_,comdat
	.protected	_ZN7rocprim17ROCPRIM_400000_NS6detail17trampoline_kernelINS0_14default_configENS1_38merge_sort_block_merge_config_selectorIiNS0_10empty_typeEEEZZNS1_27merge_sort_block_merge_implIS3_PiPS5_jNS1_19radix_merge_compareILb1ELb1EiNS0_19identity_decomposerEEEEE10hipError_tT0_T1_T2_jT3_P12ihipStream_tbPNSt15iterator_traitsISE_E10value_typeEPNSK_ISF_E10value_typeEPSG_NS1_7vsmem_tEENKUlT_SE_SF_SG_E_clIS8_S8_S9_S9_EESD_ST_SE_SF_SG_EUlST_E0_NS1_11comp_targetILNS1_3genE10ELNS1_11target_archE1201ELNS1_3gpuE5ELNS1_3repE0EEENS1_38merge_mergepath_config_static_selectorELNS0_4arch9wavefront6targetE1EEEvSF_ ; -- Begin function _ZN7rocprim17ROCPRIM_400000_NS6detail17trampoline_kernelINS0_14default_configENS1_38merge_sort_block_merge_config_selectorIiNS0_10empty_typeEEEZZNS1_27merge_sort_block_merge_implIS3_PiPS5_jNS1_19radix_merge_compareILb1ELb1EiNS0_19identity_decomposerEEEEE10hipError_tT0_T1_T2_jT3_P12ihipStream_tbPNSt15iterator_traitsISE_E10value_typeEPNSK_ISF_E10value_typeEPSG_NS1_7vsmem_tEENKUlT_SE_SF_SG_E_clIS8_S8_S9_S9_EESD_ST_SE_SF_SG_EUlST_E0_NS1_11comp_targetILNS1_3genE10ELNS1_11target_archE1201ELNS1_3gpuE5ELNS1_3repE0EEENS1_38merge_mergepath_config_static_selectorELNS0_4arch9wavefront6targetE1EEEvSF_
	.globl	_ZN7rocprim17ROCPRIM_400000_NS6detail17trampoline_kernelINS0_14default_configENS1_38merge_sort_block_merge_config_selectorIiNS0_10empty_typeEEEZZNS1_27merge_sort_block_merge_implIS3_PiPS5_jNS1_19radix_merge_compareILb1ELb1EiNS0_19identity_decomposerEEEEE10hipError_tT0_T1_T2_jT3_P12ihipStream_tbPNSt15iterator_traitsISE_E10value_typeEPNSK_ISF_E10value_typeEPSG_NS1_7vsmem_tEENKUlT_SE_SF_SG_E_clIS8_S8_S9_S9_EESD_ST_SE_SF_SG_EUlST_E0_NS1_11comp_targetILNS1_3genE10ELNS1_11target_archE1201ELNS1_3gpuE5ELNS1_3repE0EEENS1_38merge_mergepath_config_static_selectorELNS0_4arch9wavefront6targetE1EEEvSF_
	.p2align	8
	.type	_ZN7rocprim17ROCPRIM_400000_NS6detail17trampoline_kernelINS0_14default_configENS1_38merge_sort_block_merge_config_selectorIiNS0_10empty_typeEEEZZNS1_27merge_sort_block_merge_implIS3_PiPS5_jNS1_19radix_merge_compareILb1ELb1EiNS0_19identity_decomposerEEEEE10hipError_tT0_T1_T2_jT3_P12ihipStream_tbPNSt15iterator_traitsISE_E10value_typeEPNSK_ISF_E10value_typeEPSG_NS1_7vsmem_tEENKUlT_SE_SF_SG_E_clIS8_S8_S9_S9_EESD_ST_SE_SF_SG_EUlST_E0_NS1_11comp_targetILNS1_3genE10ELNS1_11target_archE1201ELNS1_3gpuE5ELNS1_3repE0EEENS1_38merge_mergepath_config_static_selectorELNS0_4arch9wavefront6targetE1EEEvSF_,@function
_ZN7rocprim17ROCPRIM_400000_NS6detail17trampoline_kernelINS0_14default_configENS1_38merge_sort_block_merge_config_selectorIiNS0_10empty_typeEEEZZNS1_27merge_sort_block_merge_implIS3_PiPS5_jNS1_19radix_merge_compareILb1ELb1EiNS0_19identity_decomposerEEEEE10hipError_tT0_T1_T2_jT3_P12ihipStream_tbPNSt15iterator_traitsISE_E10value_typeEPNSK_ISF_E10value_typeEPSG_NS1_7vsmem_tEENKUlT_SE_SF_SG_E_clIS8_S8_S9_S9_EESD_ST_SE_SF_SG_EUlST_E0_NS1_11comp_targetILNS1_3genE10ELNS1_11target_archE1201ELNS1_3gpuE5ELNS1_3repE0EEENS1_38merge_mergepath_config_static_selectorELNS0_4arch9wavefront6targetE1EEEvSF_: ; @_ZN7rocprim17ROCPRIM_400000_NS6detail17trampoline_kernelINS0_14default_configENS1_38merge_sort_block_merge_config_selectorIiNS0_10empty_typeEEEZZNS1_27merge_sort_block_merge_implIS3_PiPS5_jNS1_19radix_merge_compareILb1ELb1EiNS0_19identity_decomposerEEEEE10hipError_tT0_T1_T2_jT3_P12ihipStream_tbPNSt15iterator_traitsISE_E10value_typeEPNSK_ISF_E10value_typeEPSG_NS1_7vsmem_tEENKUlT_SE_SF_SG_E_clIS8_S8_S9_S9_EESD_ST_SE_SF_SG_EUlST_E0_NS1_11comp_targetILNS1_3genE10ELNS1_11target_archE1201ELNS1_3gpuE5ELNS1_3repE0EEENS1_38merge_mergepath_config_static_selectorELNS0_4arch9wavefront6targetE1EEEvSF_
; %bb.0:
	.section	.rodata,"a",@progbits
	.p2align	6, 0x0
	.amdhsa_kernel _ZN7rocprim17ROCPRIM_400000_NS6detail17trampoline_kernelINS0_14default_configENS1_38merge_sort_block_merge_config_selectorIiNS0_10empty_typeEEEZZNS1_27merge_sort_block_merge_implIS3_PiPS5_jNS1_19radix_merge_compareILb1ELb1EiNS0_19identity_decomposerEEEEE10hipError_tT0_T1_T2_jT3_P12ihipStream_tbPNSt15iterator_traitsISE_E10value_typeEPNSK_ISF_E10value_typeEPSG_NS1_7vsmem_tEENKUlT_SE_SF_SG_E_clIS8_S8_S9_S9_EESD_ST_SE_SF_SG_EUlST_E0_NS1_11comp_targetILNS1_3genE10ELNS1_11target_archE1201ELNS1_3gpuE5ELNS1_3repE0EEENS1_38merge_mergepath_config_static_selectorELNS0_4arch9wavefront6targetE1EEEvSF_
		.amdhsa_group_segment_fixed_size 0
		.amdhsa_private_segment_fixed_size 0
		.amdhsa_kernarg_size 64
		.amdhsa_user_sgpr_count 6
		.amdhsa_user_sgpr_private_segment_buffer 1
		.amdhsa_user_sgpr_dispatch_ptr 0
		.amdhsa_user_sgpr_queue_ptr 0
		.amdhsa_user_sgpr_kernarg_segment_ptr 1
		.amdhsa_user_sgpr_dispatch_id 0
		.amdhsa_user_sgpr_flat_scratch_init 0
		.amdhsa_user_sgpr_kernarg_preload_length 0
		.amdhsa_user_sgpr_kernarg_preload_offset 0
		.amdhsa_user_sgpr_private_segment_size 0
		.amdhsa_uses_dynamic_stack 0
		.amdhsa_system_sgpr_private_segment_wavefront_offset 0
		.amdhsa_system_sgpr_workgroup_id_x 1
		.amdhsa_system_sgpr_workgroup_id_y 0
		.amdhsa_system_sgpr_workgroup_id_z 0
		.amdhsa_system_sgpr_workgroup_info 0
		.amdhsa_system_vgpr_workitem_id 0
		.amdhsa_next_free_vgpr 1
		.amdhsa_next_free_sgpr 0
		.amdhsa_accum_offset 4
		.amdhsa_reserve_vcc 0
		.amdhsa_reserve_flat_scratch 0
		.amdhsa_float_round_mode_32 0
		.amdhsa_float_round_mode_16_64 0
		.amdhsa_float_denorm_mode_32 3
		.amdhsa_float_denorm_mode_16_64 3
		.amdhsa_dx10_clamp 1
		.amdhsa_ieee_mode 1
		.amdhsa_fp16_overflow 0
		.amdhsa_tg_split 0
		.amdhsa_exception_fp_ieee_invalid_op 0
		.amdhsa_exception_fp_denorm_src 0
		.amdhsa_exception_fp_ieee_div_zero 0
		.amdhsa_exception_fp_ieee_overflow 0
		.amdhsa_exception_fp_ieee_underflow 0
		.amdhsa_exception_fp_ieee_inexact 0
		.amdhsa_exception_int_div_zero 0
	.end_amdhsa_kernel
	.section	.text._ZN7rocprim17ROCPRIM_400000_NS6detail17trampoline_kernelINS0_14default_configENS1_38merge_sort_block_merge_config_selectorIiNS0_10empty_typeEEEZZNS1_27merge_sort_block_merge_implIS3_PiPS5_jNS1_19radix_merge_compareILb1ELb1EiNS0_19identity_decomposerEEEEE10hipError_tT0_T1_T2_jT3_P12ihipStream_tbPNSt15iterator_traitsISE_E10value_typeEPNSK_ISF_E10value_typeEPSG_NS1_7vsmem_tEENKUlT_SE_SF_SG_E_clIS8_S8_S9_S9_EESD_ST_SE_SF_SG_EUlST_E0_NS1_11comp_targetILNS1_3genE10ELNS1_11target_archE1201ELNS1_3gpuE5ELNS1_3repE0EEENS1_38merge_mergepath_config_static_selectorELNS0_4arch9wavefront6targetE1EEEvSF_,"axG",@progbits,_ZN7rocprim17ROCPRIM_400000_NS6detail17trampoline_kernelINS0_14default_configENS1_38merge_sort_block_merge_config_selectorIiNS0_10empty_typeEEEZZNS1_27merge_sort_block_merge_implIS3_PiPS5_jNS1_19radix_merge_compareILb1ELb1EiNS0_19identity_decomposerEEEEE10hipError_tT0_T1_T2_jT3_P12ihipStream_tbPNSt15iterator_traitsISE_E10value_typeEPNSK_ISF_E10value_typeEPSG_NS1_7vsmem_tEENKUlT_SE_SF_SG_E_clIS8_S8_S9_S9_EESD_ST_SE_SF_SG_EUlST_E0_NS1_11comp_targetILNS1_3genE10ELNS1_11target_archE1201ELNS1_3gpuE5ELNS1_3repE0EEENS1_38merge_mergepath_config_static_selectorELNS0_4arch9wavefront6targetE1EEEvSF_,comdat
.Lfunc_end1979:
	.size	_ZN7rocprim17ROCPRIM_400000_NS6detail17trampoline_kernelINS0_14default_configENS1_38merge_sort_block_merge_config_selectorIiNS0_10empty_typeEEEZZNS1_27merge_sort_block_merge_implIS3_PiPS5_jNS1_19radix_merge_compareILb1ELb1EiNS0_19identity_decomposerEEEEE10hipError_tT0_T1_T2_jT3_P12ihipStream_tbPNSt15iterator_traitsISE_E10value_typeEPNSK_ISF_E10value_typeEPSG_NS1_7vsmem_tEENKUlT_SE_SF_SG_E_clIS8_S8_S9_S9_EESD_ST_SE_SF_SG_EUlST_E0_NS1_11comp_targetILNS1_3genE10ELNS1_11target_archE1201ELNS1_3gpuE5ELNS1_3repE0EEENS1_38merge_mergepath_config_static_selectorELNS0_4arch9wavefront6targetE1EEEvSF_, .Lfunc_end1979-_ZN7rocprim17ROCPRIM_400000_NS6detail17trampoline_kernelINS0_14default_configENS1_38merge_sort_block_merge_config_selectorIiNS0_10empty_typeEEEZZNS1_27merge_sort_block_merge_implIS3_PiPS5_jNS1_19radix_merge_compareILb1ELb1EiNS0_19identity_decomposerEEEEE10hipError_tT0_T1_T2_jT3_P12ihipStream_tbPNSt15iterator_traitsISE_E10value_typeEPNSK_ISF_E10value_typeEPSG_NS1_7vsmem_tEENKUlT_SE_SF_SG_E_clIS8_S8_S9_S9_EESD_ST_SE_SF_SG_EUlST_E0_NS1_11comp_targetILNS1_3genE10ELNS1_11target_archE1201ELNS1_3gpuE5ELNS1_3repE0EEENS1_38merge_mergepath_config_static_selectorELNS0_4arch9wavefront6targetE1EEEvSF_
                                        ; -- End function
	.section	.AMDGPU.csdata,"",@progbits
; Kernel info:
; codeLenInByte = 0
; NumSgprs: 4
; NumVgprs: 0
; NumAgprs: 0
; TotalNumVgprs: 0
; ScratchSize: 0
; MemoryBound: 0
; FloatMode: 240
; IeeeMode: 1
; LDSByteSize: 0 bytes/workgroup (compile time only)
; SGPRBlocks: 0
; VGPRBlocks: 0
; NumSGPRsForWavesPerEU: 4
; NumVGPRsForWavesPerEU: 1
; AccumOffset: 4
; Occupancy: 8
; WaveLimiterHint : 0
; COMPUTE_PGM_RSRC2:SCRATCH_EN: 0
; COMPUTE_PGM_RSRC2:USER_SGPR: 6
; COMPUTE_PGM_RSRC2:TRAP_HANDLER: 0
; COMPUTE_PGM_RSRC2:TGID_X_EN: 1
; COMPUTE_PGM_RSRC2:TGID_Y_EN: 0
; COMPUTE_PGM_RSRC2:TGID_Z_EN: 0
; COMPUTE_PGM_RSRC2:TIDIG_COMP_CNT: 0
; COMPUTE_PGM_RSRC3_GFX90A:ACCUM_OFFSET: 0
; COMPUTE_PGM_RSRC3_GFX90A:TG_SPLIT: 0
	.section	.text._ZN7rocprim17ROCPRIM_400000_NS6detail17trampoline_kernelINS0_14default_configENS1_38merge_sort_block_merge_config_selectorIiNS0_10empty_typeEEEZZNS1_27merge_sort_block_merge_implIS3_PiPS5_jNS1_19radix_merge_compareILb1ELb1EiNS0_19identity_decomposerEEEEE10hipError_tT0_T1_T2_jT3_P12ihipStream_tbPNSt15iterator_traitsISE_E10value_typeEPNSK_ISF_E10value_typeEPSG_NS1_7vsmem_tEENKUlT_SE_SF_SG_E_clIS8_S8_S9_S9_EESD_ST_SE_SF_SG_EUlST_E0_NS1_11comp_targetILNS1_3genE5ELNS1_11target_archE942ELNS1_3gpuE9ELNS1_3repE0EEENS1_38merge_mergepath_config_static_selectorELNS0_4arch9wavefront6targetE1EEEvSF_,"axG",@progbits,_ZN7rocprim17ROCPRIM_400000_NS6detail17trampoline_kernelINS0_14default_configENS1_38merge_sort_block_merge_config_selectorIiNS0_10empty_typeEEEZZNS1_27merge_sort_block_merge_implIS3_PiPS5_jNS1_19radix_merge_compareILb1ELb1EiNS0_19identity_decomposerEEEEE10hipError_tT0_T1_T2_jT3_P12ihipStream_tbPNSt15iterator_traitsISE_E10value_typeEPNSK_ISF_E10value_typeEPSG_NS1_7vsmem_tEENKUlT_SE_SF_SG_E_clIS8_S8_S9_S9_EESD_ST_SE_SF_SG_EUlST_E0_NS1_11comp_targetILNS1_3genE5ELNS1_11target_archE942ELNS1_3gpuE9ELNS1_3repE0EEENS1_38merge_mergepath_config_static_selectorELNS0_4arch9wavefront6targetE1EEEvSF_,comdat
	.protected	_ZN7rocprim17ROCPRIM_400000_NS6detail17trampoline_kernelINS0_14default_configENS1_38merge_sort_block_merge_config_selectorIiNS0_10empty_typeEEEZZNS1_27merge_sort_block_merge_implIS3_PiPS5_jNS1_19radix_merge_compareILb1ELb1EiNS0_19identity_decomposerEEEEE10hipError_tT0_T1_T2_jT3_P12ihipStream_tbPNSt15iterator_traitsISE_E10value_typeEPNSK_ISF_E10value_typeEPSG_NS1_7vsmem_tEENKUlT_SE_SF_SG_E_clIS8_S8_S9_S9_EESD_ST_SE_SF_SG_EUlST_E0_NS1_11comp_targetILNS1_3genE5ELNS1_11target_archE942ELNS1_3gpuE9ELNS1_3repE0EEENS1_38merge_mergepath_config_static_selectorELNS0_4arch9wavefront6targetE1EEEvSF_ ; -- Begin function _ZN7rocprim17ROCPRIM_400000_NS6detail17trampoline_kernelINS0_14default_configENS1_38merge_sort_block_merge_config_selectorIiNS0_10empty_typeEEEZZNS1_27merge_sort_block_merge_implIS3_PiPS5_jNS1_19radix_merge_compareILb1ELb1EiNS0_19identity_decomposerEEEEE10hipError_tT0_T1_T2_jT3_P12ihipStream_tbPNSt15iterator_traitsISE_E10value_typeEPNSK_ISF_E10value_typeEPSG_NS1_7vsmem_tEENKUlT_SE_SF_SG_E_clIS8_S8_S9_S9_EESD_ST_SE_SF_SG_EUlST_E0_NS1_11comp_targetILNS1_3genE5ELNS1_11target_archE942ELNS1_3gpuE9ELNS1_3repE0EEENS1_38merge_mergepath_config_static_selectorELNS0_4arch9wavefront6targetE1EEEvSF_
	.globl	_ZN7rocprim17ROCPRIM_400000_NS6detail17trampoline_kernelINS0_14default_configENS1_38merge_sort_block_merge_config_selectorIiNS0_10empty_typeEEEZZNS1_27merge_sort_block_merge_implIS3_PiPS5_jNS1_19radix_merge_compareILb1ELb1EiNS0_19identity_decomposerEEEEE10hipError_tT0_T1_T2_jT3_P12ihipStream_tbPNSt15iterator_traitsISE_E10value_typeEPNSK_ISF_E10value_typeEPSG_NS1_7vsmem_tEENKUlT_SE_SF_SG_E_clIS8_S8_S9_S9_EESD_ST_SE_SF_SG_EUlST_E0_NS1_11comp_targetILNS1_3genE5ELNS1_11target_archE942ELNS1_3gpuE9ELNS1_3repE0EEENS1_38merge_mergepath_config_static_selectorELNS0_4arch9wavefront6targetE1EEEvSF_
	.p2align	8
	.type	_ZN7rocprim17ROCPRIM_400000_NS6detail17trampoline_kernelINS0_14default_configENS1_38merge_sort_block_merge_config_selectorIiNS0_10empty_typeEEEZZNS1_27merge_sort_block_merge_implIS3_PiPS5_jNS1_19radix_merge_compareILb1ELb1EiNS0_19identity_decomposerEEEEE10hipError_tT0_T1_T2_jT3_P12ihipStream_tbPNSt15iterator_traitsISE_E10value_typeEPNSK_ISF_E10value_typeEPSG_NS1_7vsmem_tEENKUlT_SE_SF_SG_E_clIS8_S8_S9_S9_EESD_ST_SE_SF_SG_EUlST_E0_NS1_11comp_targetILNS1_3genE5ELNS1_11target_archE942ELNS1_3gpuE9ELNS1_3repE0EEENS1_38merge_mergepath_config_static_selectorELNS0_4arch9wavefront6targetE1EEEvSF_,@function
_ZN7rocprim17ROCPRIM_400000_NS6detail17trampoline_kernelINS0_14default_configENS1_38merge_sort_block_merge_config_selectorIiNS0_10empty_typeEEEZZNS1_27merge_sort_block_merge_implIS3_PiPS5_jNS1_19radix_merge_compareILb1ELb1EiNS0_19identity_decomposerEEEEE10hipError_tT0_T1_T2_jT3_P12ihipStream_tbPNSt15iterator_traitsISE_E10value_typeEPNSK_ISF_E10value_typeEPSG_NS1_7vsmem_tEENKUlT_SE_SF_SG_E_clIS8_S8_S9_S9_EESD_ST_SE_SF_SG_EUlST_E0_NS1_11comp_targetILNS1_3genE5ELNS1_11target_archE942ELNS1_3gpuE9ELNS1_3repE0EEENS1_38merge_mergepath_config_static_selectorELNS0_4arch9wavefront6targetE1EEEvSF_: ; @_ZN7rocprim17ROCPRIM_400000_NS6detail17trampoline_kernelINS0_14default_configENS1_38merge_sort_block_merge_config_selectorIiNS0_10empty_typeEEEZZNS1_27merge_sort_block_merge_implIS3_PiPS5_jNS1_19radix_merge_compareILb1ELb1EiNS0_19identity_decomposerEEEEE10hipError_tT0_T1_T2_jT3_P12ihipStream_tbPNSt15iterator_traitsISE_E10value_typeEPNSK_ISF_E10value_typeEPSG_NS1_7vsmem_tEENKUlT_SE_SF_SG_E_clIS8_S8_S9_S9_EESD_ST_SE_SF_SG_EUlST_E0_NS1_11comp_targetILNS1_3genE5ELNS1_11target_archE942ELNS1_3gpuE9ELNS1_3repE0EEENS1_38merge_mergepath_config_static_selectorELNS0_4arch9wavefront6targetE1EEEvSF_
; %bb.0:
	.section	.rodata,"a",@progbits
	.p2align	6, 0x0
	.amdhsa_kernel _ZN7rocprim17ROCPRIM_400000_NS6detail17trampoline_kernelINS0_14default_configENS1_38merge_sort_block_merge_config_selectorIiNS0_10empty_typeEEEZZNS1_27merge_sort_block_merge_implIS3_PiPS5_jNS1_19radix_merge_compareILb1ELb1EiNS0_19identity_decomposerEEEEE10hipError_tT0_T1_T2_jT3_P12ihipStream_tbPNSt15iterator_traitsISE_E10value_typeEPNSK_ISF_E10value_typeEPSG_NS1_7vsmem_tEENKUlT_SE_SF_SG_E_clIS8_S8_S9_S9_EESD_ST_SE_SF_SG_EUlST_E0_NS1_11comp_targetILNS1_3genE5ELNS1_11target_archE942ELNS1_3gpuE9ELNS1_3repE0EEENS1_38merge_mergepath_config_static_selectorELNS0_4arch9wavefront6targetE1EEEvSF_
		.amdhsa_group_segment_fixed_size 0
		.amdhsa_private_segment_fixed_size 0
		.amdhsa_kernarg_size 64
		.amdhsa_user_sgpr_count 6
		.amdhsa_user_sgpr_private_segment_buffer 1
		.amdhsa_user_sgpr_dispatch_ptr 0
		.amdhsa_user_sgpr_queue_ptr 0
		.amdhsa_user_sgpr_kernarg_segment_ptr 1
		.amdhsa_user_sgpr_dispatch_id 0
		.amdhsa_user_sgpr_flat_scratch_init 0
		.amdhsa_user_sgpr_kernarg_preload_length 0
		.amdhsa_user_sgpr_kernarg_preload_offset 0
		.amdhsa_user_sgpr_private_segment_size 0
		.amdhsa_uses_dynamic_stack 0
		.amdhsa_system_sgpr_private_segment_wavefront_offset 0
		.amdhsa_system_sgpr_workgroup_id_x 1
		.amdhsa_system_sgpr_workgroup_id_y 0
		.amdhsa_system_sgpr_workgroup_id_z 0
		.amdhsa_system_sgpr_workgroup_info 0
		.amdhsa_system_vgpr_workitem_id 0
		.amdhsa_next_free_vgpr 1
		.amdhsa_next_free_sgpr 0
		.amdhsa_accum_offset 4
		.amdhsa_reserve_vcc 0
		.amdhsa_reserve_flat_scratch 0
		.amdhsa_float_round_mode_32 0
		.amdhsa_float_round_mode_16_64 0
		.amdhsa_float_denorm_mode_32 3
		.amdhsa_float_denorm_mode_16_64 3
		.amdhsa_dx10_clamp 1
		.amdhsa_ieee_mode 1
		.amdhsa_fp16_overflow 0
		.amdhsa_tg_split 0
		.amdhsa_exception_fp_ieee_invalid_op 0
		.amdhsa_exception_fp_denorm_src 0
		.amdhsa_exception_fp_ieee_div_zero 0
		.amdhsa_exception_fp_ieee_overflow 0
		.amdhsa_exception_fp_ieee_underflow 0
		.amdhsa_exception_fp_ieee_inexact 0
		.amdhsa_exception_int_div_zero 0
	.end_amdhsa_kernel
	.section	.text._ZN7rocprim17ROCPRIM_400000_NS6detail17trampoline_kernelINS0_14default_configENS1_38merge_sort_block_merge_config_selectorIiNS0_10empty_typeEEEZZNS1_27merge_sort_block_merge_implIS3_PiPS5_jNS1_19radix_merge_compareILb1ELb1EiNS0_19identity_decomposerEEEEE10hipError_tT0_T1_T2_jT3_P12ihipStream_tbPNSt15iterator_traitsISE_E10value_typeEPNSK_ISF_E10value_typeEPSG_NS1_7vsmem_tEENKUlT_SE_SF_SG_E_clIS8_S8_S9_S9_EESD_ST_SE_SF_SG_EUlST_E0_NS1_11comp_targetILNS1_3genE5ELNS1_11target_archE942ELNS1_3gpuE9ELNS1_3repE0EEENS1_38merge_mergepath_config_static_selectorELNS0_4arch9wavefront6targetE1EEEvSF_,"axG",@progbits,_ZN7rocprim17ROCPRIM_400000_NS6detail17trampoline_kernelINS0_14default_configENS1_38merge_sort_block_merge_config_selectorIiNS0_10empty_typeEEEZZNS1_27merge_sort_block_merge_implIS3_PiPS5_jNS1_19radix_merge_compareILb1ELb1EiNS0_19identity_decomposerEEEEE10hipError_tT0_T1_T2_jT3_P12ihipStream_tbPNSt15iterator_traitsISE_E10value_typeEPNSK_ISF_E10value_typeEPSG_NS1_7vsmem_tEENKUlT_SE_SF_SG_E_clIS8_S8_S9_S9_EESD_ST_SE_SF_SG_EUlST_E0_NS1_11comp_targetILNS1_3genE5ELNS1_11target_archE942ELNS1_3gpuE9ELNS1_3repE0EEENS1_38merge_mergepath_config_static_selectorELNS0_4arch9wavefront6targetE1EEEvSF_,comdat
.Lfunc_end1980:
	.size	_ZN7rocprim17ROCPRIM_400000_NS6detail17trampoline_kernelINS0_14default_configENS1_38merge_sort_block_merge_config_selectorIiNS0_10empty_typeEEEZZNS1_27merge_sort_block_merge_implIS3_PiPS5_jNS1_19radix_merge_compareILb1ELb1EiNS0_19identity_decomposerEEEEE10hipError_tT0_T1_T2_jT3_P12ihipStream_tbPNSt15iterator_traitsISE_E10value_typeEPNSK_ISF_E10value_typeEPSG_NS1_7vsmem_tEENKUlT_SE_SF_SG_E_clIS8_S8_S9_S9_EESD_ST_SE_SF_SG_EUlST_E0_NS1_11comp_targetILNS1_3genE5ELNS1_11target_archE942ELNS1_3gpuE9ELNS1_3repE0EEENS1_38merge_mergepath_config_static_selectorELNS0_4arch9wavefront6targetE1EEEvSF_, .Lfunc_end1980-_ZN7rocprim17ROCPRIM_400000_NS6detail17trampoline_kernelINS0_14default_configENS1_38merge_sort_block_merge_config_selectorIiNS0_10empty_typeEEEZZNS1_27merge_sort_block_merge_implIS3_PiPS5_jNS1_19radix_merge_compareILb1ELb1EiNS0_19identity_decomposerEEEEE10hipError_tT0_T1_T2_jT3_P12ihipStream_tbPNSt15iterator_traitsISE_E10value_typeEPNSK_ISF_E10value_typeEPSG_NS1_7vsmem_tEENKUlT_SE_SF_SG_E_clIS8_S8_S9_S9_EESD_ST_SE_SF_SG_EUlST_E0_NS1_11comp_targetILNS1_3genE5ELNS1_11target_archE942ELNS1_3gpuE9ELNS1_3repE0EEENS1_38merge_mergepath_config_static_selectorELNS0_4arch9wavefront6targetE1EEEvSF_
                                        ; -- End function
	.section	.AMDGPU.csdata,"",@progbits
; Kernel info:
; codeLenInByte = 0
; NumSgprs: 4
; NumVgprs: 0
; NumAgprs: 0
; TotalNumVgprs: 0
; ScratchSize: 0
; MemoryBound: 0
; FloatMode: 240
; IeeeMode: 1
; LDSByteSize: 0 bytes/workgroup (compile time only)
; SGPRBlocks: 0
; VGPRBlocks: 0
; NumSGPRsForWavesPerEU: 4
; NumVGPRsForWavesPerEU: 1
; AccumOffset: 4
; Occupancy: 8
; WaveLimiterHint : 0
; COMPUTE_PGM_RSRC2:SCRATCH_EN: 0
; COMPUTE_PGM_RSRC2:USER_SGPR: 6
; COMPUTE_PGM_RSRC2:TRAP_HANDLER: 0
; COMPUTE_PGM_RSRC2:TGID_X_EN: 1
; COMPUTE_PGM_RSRC2:TGID_Y_EN: 0
; COMPUTE_PGM_RSRC2:TGID_Z_EN: 0
; COMPUTE_PGM_RSRC2:TIDIG_COMP_CNT: 0
; COMPUTE_PGM_RSRC3_GFX90A:ACCUM_OFFSET: 0
; COMPUTE_PGM_RSRC3_GFX90A:TG_SPLIT: 0
	.section	.text._ZN7rocprim17ROCPRIM_400000_NS6detail17trampoline_kernelINS0_14default_configENS1_38merge_sort_block_merge_config_selectorIiNS0_10empty_typeEEEZZNS1_27merge_sort_block_merge_implIS3_PiPS5_jNS1_19radix_merge_compareILb1ELb1EiNS0_19identity_decomposerEEEEE10hipError_tT0_T1_T2_jT3_P12ihipStream_tbPNSt15iterator_traitsISE_E10value_typeEPNSK_ISF_E10value_typeEPSG_NS1_7vsmem_tEENKUlT_SE_SF_SG_E_clIS8_S8_S9_S9_EESD_ST_SE_SF_SG_EUlST_E0_NS1_11comp_targetILNS1_3genE4ELNS1_11target_archE910ELNS1_3gpuE8ELNS1_3repE0EEENS1_38merge_mergepath_config_static_selectorELNS0_4arch9wavefront6targetE1EEEvSF_,"axG",@progbits,_ZN7rocprim17ROCPRIM_400000_NS6detail17trampoline_kernelINS0_14default_configENS1_38merge_sort_block_merge_config_selectorIiNS0_10empty_typeEEEZZNS1_27merge_sort_block_merge_implIS3_PiPS5_jNS1_19radix_merge_compareILb1ELb1EiNS0_19identity_decomposerEEEEE10hipError_tT0_T1_T2_jT3_P12ihipStream_tbPNSt15iterator_traitsISE_E10value_typeEPNSK_ISF_E10value_typeEPSG_NS1_7vsmem_tEENKUlT_SE_SF_SG_E_clIS8_S8_S9_S9_EESD_ST_SE_SF_SG_EUlST_E0_NS1_11comp_targetILNS1_3genE4ELNS1_11target_archE910ELNS1_3gpuE8ELNS1_3repE0EEENS1_38merge_mergepath_config_static_selectorELNS0_4arch9wavefront6targetE1EEEvSF_,comdat
	.protected	_ZN7rocprim17ROCPRIM_400000_NS6detail17trampoline_kernelINS0_14default_configENS1_38merge_sort_block_merge_config_selectorIiNS0_10empty_typeEEEZZNS1_27merge_sort_block_merge_implIS3_PiPS5_jNS1_19radix_merge_compareILb1ELb1EiNS0_19identity_decomposerEEEEE10hipError_tT0_T1_T2_jT3_P12ihipStream_tbPNSt15iterator_traitsISE_E10value_typeEPNSK_ISF_E10value_typeEPSG_NS1_7vsmem_tEENKUlT_SE_SF_SG_E_clIS8_S8_S9_S9_EESD_ST_SE_SF_SG_EUlST_E0_NS1_11comp_targetILNS1_3genE4ELNS1_11target_archE910ELNS1_3gpuE8ELNS1_3repE0EEENS1_38merge_mergepath_config_static_selectorELNS0_4arch9wavefront6targetE1EEEvSF_ ; -- Begin function _ZN7rocprim17ROCPRIM_400000_NS6detail17trampoline_kernelINS0_14default_configENS1_38merge_sort_block_merge_config_selectorIiNS0_10empty_typeEEEZZNS1_27merge_sort_block_merge_implIS3_PiPS5_jNS1_19radix_merge_compareILb1ELb1EiNS0_19identity_decomposerEEEEE10hipError_tT0_T1_T2_jT3_P12ihipStream_tbPNSt15iterator_traitsISE_E10value_typeEPNSK_ISF_E10value_typeEPSG_NS1_7vsmem_tEENKUlT_SE_SF_SG_E_clIS8_S8_S9_S9_EESD_ST_SE_SF_SG_EUlST_E0_NS1_11comp_targetILNS1_3genE4ELNS1_11target_archE910ELNS1_3gpuE8ELNS1_3repE0EEENS1_38merge_mergepath_config_static_selectorELNS0_4arch9wavefront6targetE1EEEvSF_
	.globl	_ZN7rocprim17ROCPRIM_400000_NS6detail17trampoline_kernelINS0_14default_configENS1_38merge_sort_block_merge_config_selectorIiNS0_10empty_typeEEEZZNS1_27merge_sort_block_merge_implIS3_PiPS5_jNS1_19radix_merge_compareILb1ELb1EiNS0_19identity_decomposerEEEEE10hipError_tT0_T1_T2_jT3_P12ihipStream_tbPNSt15iterator_traitsISE_E10value_typeEPNSK_ISF_E10value_typeEPSG_NS1_7vsmem_tEENKUlT_SE_SF_SG_E_clIS8_S8_S9_S9_EESD_ST_SE_SF_SG_EUlST_E0_NS1_11comp_targetILNS1_3genE4ELNS1_11target_archE910ELNS1_3gpuE8ELNS1_3repE0EEENS1_38merge_mergepath_config_static_selectorELNS0_4arch9wavefront6targetE1EEEvSF_
	.p2align	8
	.type	_ZN7rocprim17ROCPRIM_400000_NS6detail17trampoline_kernelINS0_14default_configENS1_38merge_sort_block_merge_config_selectorIiNS0_10empty_typeEEEZZNS1_27merge_sort_block_merge_implIS3_PiPS5_jNS1_19radix_merge_compareILb1ELb1EiNS0_19identity_decomposerEEEEE10hipError_tT0_T1_T2_jT3_P12ihipStream_tbPNSt15iterator_traitsISE_E10value_typeEPNSK_ISF_E10value_typeEPSG_NS1_7vsmem_tEENKUlT_SE_SF_SG_E_clIS8_S8_S9_S9_EESD_ST_SE_SF_SG_EUlST_E0_NS1_11comp_targetILNS1_3genE4ELNS1_11target_archE910ELNS1_3gpuE8ELNS1_3repE0EEENS1_38merge_mergepath_config_static_selectorELNS0_4arch9wavefront6targetE1EEEvSF_,@function
_ZN7rocprim17ROCPRIM_400000_NS6detail17trampoline_kernelINS0_14default_configENS1_38merge_sort_block_merge_config_selectorIiNS0_10empty_typeEEEZZNS1_27merge_sort_block_merge_implIS3_PiPS5_jNS1_19radix_merge_compareILb1ELb1EiNS0_19identity_decomposerEEEEE10hipError_tT0_T1_T2_jT3_P12ihipStream_tbPNSt15iterator_traitsISE_E10value_typeEPNSK_ISF_E10value_typeEPSG_NS1_7vsmem_tEENKUlT_SE_SF_SG_E_clIS8_S8_S9_S9_EESD_ST_SE_SF_SG_EUlST_E0_NS1_11comp_targetILNS1_3genE4ELNS1_11target_archE910ELNS1_3gpuE8ELNS1_3repE0EEENS1_38merge_mergepath_config_static_selectorELNS0_4arch9wavefront6targetE1EEEvSF_: ; @_ZN7rocprim17ROCPRIM_400000_NS6detail17trampoline_kernelINS0_14default_configENS1_38merge_sort_block_merge_config_selectorIiNS0_10empty_typeEEEZZNS1_27merge_sort_block_merge_implIS3_PiPS5_jNS1_19radix_merge_compareILb1ELb1EiNS0_19identity_decomposerEEEEE10hipError_tT0_T1_T2_jT3_P12ihipStream_tbPNSt15iterator_traitsISE_E10value_typeEPNSK_ISF_E10value_typeEPSG_NS1_7vsmem_tEENKUlT_SE_SF_SG_E_clIS8_S8_S9_S9_EESD_ST_SE_SF_SG_EUlST_E0_NS1_11comp_targetILNS1_3genE4ELNS1_11target_archE910ELNS1_3gpuE8ELNS1_3repE0EEENS1_38merge_mergepath_config_static_selectorELNS0_4arch9wavefront6targetE1EEEvSF_
; %bb.0:
	s_load_dwordx2 s[10:11], s[4:5], 0x40
	s_load_dwordx2 s[16:17], s[4:5], 0x30
	s_add_u32 s0, s4, 64
	s_addc_u32 s1, s5, 0
	s_waitcnt lgkmcnt(0)
	s_mul_i32 s2, s11, s8
	s_add_i32 s2, s2, s7
	s_mul_i32 s2, s2, s10
	s_add_i32 s2, s2, s6
	s_cmp_ge_u32 s2, s16
	s_cbranch_scc1 .LBB1981_43
; %bb.1:
	s_load_dwordx2 s[14:15], s[4:5], 0x28
	s_load_dwordx2 s[8:9], s[4:5], 0x38
	;; [unrolled: 1-line block ×3, first 2 shown]
	s_mov_b32 s3, 0
	s_mov_b32 s23, s3
	s_waitcnt lgkmcnt(0)
	s_lshr_b32 s24, s14, 10
	s_cmp_lg_u32 s2, s24
	s_cselect_b64 s[18:19], -1, 0
	s_lshl_b64 s[12:13], s[2:3], 2
	s_add_u32 s8, s8, s12
	s_addc_u32 s9, s9, s13
	s_lshr_b32 s7, s15, 9
	s_and_b32 s7, s7, 0x7ffffe
	s_load_dwordx2 s[8:9], s[8:9], 0x0
	s_sub_i32 s7, 0, s7
	s_and_b32 s11, s2, s7
	s_lshl_b32 s12, s11, 10
	s_lshl_b32 s16, s2, 10
	;; [unrolled: 1-line block ×3, first 2 shown]
	s_sub_i32 s13, s16, s12
	s_add_i32 s11, s11, s15
	s_add_i32 s13, s11, s13
	s_waitcnt lgkmcnt(0)
	s_sub_i32 s22, s13, s8
	s_sub_i32 s13, s13, s9
	s_sub_i32 s11, s11, s12
	s_min_u32 s22, s14, s22
	s_addk_i32 s13, 0x400
	s_or_b32 s7, s2, s7
	s_min_u32 s12, s14, s11
	s_add_i32 s11, s11, s15
	s_cmp_eq_u32 s7, -1
	s_cselect_b32 s7, s11, s13
	s_cselect_b32 s9, s12, s9
	s_min_u32 s7, s7, s14
	s_sub_i32 s15, s9, s8
	s_mov_b32 s9, s3
	s_sub_i32 s7, s7, s22
	s_lshl_b64 s[8:9], s[8:9], 2
	s_add_u32 s11, s20, s8
	s_addc_u32 s12, s21, s9
	s_lshl_b64 s[8:9], s[22:23], 2
	s_add_u32 s8, s20, s8
	s_addc_u32 s9, s21, s9
	s_cmp_lt_u32 s6, s10
	v_mov_b32_e32 v15, 0
	s_cselect_b32 s3, 12, 18
	global_load_dword v1, v15, s[0:1] offset:14
	s_add_u32 s0, s0, s3
	s_addc_u32 s1, s1, 0
	global_load_ushort v2, v15, s[0:1]
	s_cmp_eq_u32 s2, s24
	s_waitcnt vmcnt(1)
	v_lshrrev_b32_e32 v3, 16, v1
	v_and_b32_e32 v1, 0xffff, v1
	v_mul_lo_u32 v1, v1, v3
	s_waitcnt vmcnt(0)
	v_mul_lo_u32 v16, v1, v2
	v_add_u32_e32 v12, v16, v0
	v_lshlrev_b32_e32 v1, 2, v0
	v_add_u32_e32 v10, v12, v16
	s_cbranch_scc1 .LBB1981_3
; %bb.2:
	v_mov_b32_e32 v2, s12
	v_add_co_u32_e32 v4, vcc, s11, v1
	v_subrev_u32_e32 v14, s15, v0
	v_addc_co_u32_e32 v5, vcc, 0, v2, vcc
	v_lshlrev_b64 v[2:3], 2, v[14:15]
	v_mov_b32_e32 v6, s9
	v_add_co_u32_e32 v2, vcc, s8, v2
	v_addc_co_u32_e32 v3, vcc, v6, v3, vcc
	v_cmp_gt_u32_e32 vcc, s15, v0
	v_mov_b32_e32 v13, v15
	v_cndmask_b32_e32 v3, v3, v5, vcc
	v_cndmask_b32_e32 v2, v2, v4, vcc
	v_lshlrev_b64 v[4:5], 2, v[12:13]
	global_load_dword v2, v[2:3], off
	v_mov_b32_e32 v3, s12
	v_add_co_u32_e32 v6, vcc, s11, v4
	v_subrev_u32_e32 v14, s15, v12
	v_addc_co_u32_e32 v3, vcc, v3, v5, vcc
	v_lshlrev_b64 v[4:5], 2, v[14:15]
	v_mov_b32_e32 v7, s9
	v_add_co_u32_e32 v4, vcc, s8, v4
	v_addc_co_u32_e32 v5, vcc, v7, v5, vcc
	v_cmp_gt_u32_e32 vcc, s15, v12
	v_cndmask_b32_e32 v5, v5, v3, vcc
	v_cndmask_b32_e32 v4, v4, v6, vcc
	v_mov_b32_e32 v11, v15
	global_load_dword v3, v[4:5], off
	v_lshlrev_b64 v[4:5], 2, v[10:11]
	v_mov_b32_e32 v6, s12
	v_add_co_u32_e32 v7, vcc, s11, v4
	v_subrev_u32_e32 v14, s15, v10
	v_addc_co_u32_e32 v6, vcc, v6, v5, vcc
	v_lshlrev_b64 v[4:5], 2, v[14:15]
	v_mov_b32_e32 v8, s9
	v_add_co_u32_e32 v4, vcc, s8, v4
	v_addc_co_u32_e32 v5, vcc, v8, v5, vcc
	v_cmp_gt_u32_e32 vcc, s15, v10
	v_add_u32_e32 v14, v10, v16
	v_cndmask_b32_e32 v5, v5, v6, vcc
	v_cndmask_b32_e32 v4, v4, v7, vcc
	v_lshlrev_b64 v[6:7], 2, v[14:15]
	global_load_dword v4, v[4:5], off
	v_mov_b32_e32 v5, s12
	v_add_co_u32_e32 v8, vcc, s11, v6
	v_addc_co_u32_e32 v5, vcc, v5, v7, vcc
	v_subrev_u32_e32 v6, s15, v14
	v_mov_b32_e32 v7, v15
	v_lshlrev_b64 v[6:7], 2, v[6:7]
	v_mov_b32_e32 v9, s9
	v_add_co_u32_e32 v6, vcc, s8, v6
	v_addc_co_u32_e32 v7, vcc, v9, v7, vcc
	v_cmp_gt_u32_e32 vcc, s15, v14
	v_cndmask_b32_e32 v7, v7, v5, vcc
	v_cndmask_b32_e32 v6, v6, v8, vcc
	v_add_u32_e32 v14, v14, v16
	global_load_dword v5, v[6:7], off
	v_lshlrev_b64 v[6:7], 2, v[14:15]
	v_mov_b32_e32 v8, s12
	v_add_co_u32_e32 v9, vcc, s11, v6
	v_addc_co_u32_e32 v8, vcc, v8, v7, vcc
	v_subrev_u32_e32 v6, s15, v14
	v_mov_b32_e32 v7, v15
	v_lshlrev_b64 v[6:7], 2, v[6:7]
	v_mov_b32_e32 v11, s9
	v_add_co_u32_e32 v6, vcc, s8, v6
	v_addc_co_u32_e32 v7, vcc, v11, v7, vcc
	v_cmp_gt_u32_e32 vcc, s15, v14
	v_add_u32_e32 v14, v14, v16
	v_cndmask_b32_e32 v7, v7, v8, vcc
	v_cndmask_b32_e32 v6, v6, v9, vcc
	v_lshlrev_b64 v[8:9], 2, v[14:15]
	global_load_dword v6, v[6:7], off
	v_mov_b32_e32 v7, s12
	v_add_co_u32_e32 v11, vcc, s11, v8
	v_addc_co_u32_e32 v7, vcc, v7, v9, vcc
	v_subrev_u32_e32 v8, s15, v14
	v_mov_b32_e32 v9, v15
	v_lshlrev_b64 v[8:9], 2, v[8:9]
	v_mov_b32_e32 v13, s9
	v_add_co_u32_e32 v8, vcc, s8, v8
	v_addc_co_u32_e32 v9, vcc, v13, v9, vcc
	v_cmp_gt_u32_e32 vcc, s15, v14
	v_cndmask_b32_e32 v9, v9, v7, vcc
	v_cndmask_b32_e32 v8, v8, v11, vcc
	v_add_u32_e32 v14, v14, v16
	global_load_dword v7, v[8:9], off
	v_lshlrev_b64 v[8:9], 2, v[14:15]
	v_mov_b32_e32 v11, s12
	v_add_co_u32_e32 v13, vcc, s11, v8
	v_addc_co_u32_e32 v11, vcc, v11, v9, vcc
	v_subrev_u32_e32 v8, s15, v14
	v_mov_b32_e32 v9, v15
	v_lshlrev_b64 v[8:9], 2, v[8:9]
	v_mov_b32_e32 v17, s9
	v_add_co_u32_e32 v8, vcc, s8, v8
	v_addc_co_u32_e32 v9, vcc, v17, v9, vcc
	v_cmp_gt_u32_e32 vcc, s15, v14
	v_add_u32_e32 v14, v14, v16
	v_cndmask_b32_e32 v9, v9, v11, vcc
	v_cndmask_b32_e32 v8, v8, v13, vcc
	v_lshlrev_b64 v[18:19], 2, v[14:15]
	global_load_dword v8, v[8:9], off
	v_mov_b32_e32 v9, s12
	v_add_co_u32_e32 v11, vcc, s11, v18
	v_addc_co_u32_e32 v9, vcc, v9, v19, vcc
	v_cmp_gt_u32_e32 vcc, s15, v14
	v_subrev_u32_e32 v14, s15, v14
	v_lshlrev_b64 v[14:15], 2, v[14:15]
	v_mov_b32_e32 v13, s9
	v_add_co_u32_e64 v14, s[0:1], s8, v14
	v_addc_co_u32_e64 v13, s[0:1], v13, v15, s[0:1]
	v_cndmask_b32_e32 v15, v13, v9, vcc
	v_cndmask_b32_e32 v14, v14, v11, vcc
	global_load_dword v9, v[14:15], off
	s_add_i32 s24, s7, s15
	s_load_dwordx2 s[20:21], s[4:5], 0x10
	s_cbranch_execz .LBB1981_4
	s_branch .LBB1981_19
.LBB1981_3:
                                        ; implicit-def: $vgpr2_vgpr3_vgpr4_vgpr5_vgpr6_vgpr7_vgpr8_vgpr9
                                        ; implicit-def: $sgpr24
	s_load_dwordx2 s[20:21], s[4:5], 0x10
.LBB1981_4:
	s_add_i32 s24, s7, s15
	v_cmp_gt_u32_e32 vcc, s24, v0
                                        ; implicit-def: $vgpr2_vgpr3_vgpr4_vgpr5_vgpr6_vgpr7_vgpr8_vgpr9
	s_and_saveexec_b64 s[0:1], vcc
	s_cbranch_execnz .LBB1981_44
; %bb.5:
	s_or_b64 exec, exec, s[0:1]
	v_cmp_gt_u32_e32 vcc, s24, v12
	s_and_saveexec_b64 s[2:3], vcc
	s_cbranch_execnz .LBB1981_45
.LBB1981_6:
	s_or_b64 exec, exec, s[2:3]
	v_cmp_gt_u32_e32 vcc, s24, v10
	s_and_saveexec_b64 s[0:1], vcc
	s_cbranch_execz .LBB1981_8
.LBB1981_7:
	v_mov_b32_e32 v11, 0
	v_lshlrev_b64 v[12:13], 2, v[10:11]
	s_waitcnt vmcnt(5)
	v_mov_b32_e32 v4, s12
	v_add_co_u32_e32 v14, vcc, s11, v12
	v_addc_co_u32_e32 v4, vcc, v4, v13, vcc
	v_subrev_u32_e32 v12, s15, v10
	v_mov_b32_e32 v13, v11
	v_lshlrev_b64 v[12:13], 2, v[12:13]
	v_mov_b32_e32 v11, s9
	v_add_co_u32_e32 v12, vcc, s8, v12
	v_addc_co_u32_e32 v11, vcc, v11, v13, vcc
	v_cmp_gt_u32_e32 vcc, s15, v10
	v_cndmask_b32_e32 v13, v11, v4, vcc
	v_cndmask_b32_e32 v12, v12, v14, vcc
	global_load_dword v4, v[12:13], off
.LBB1981_8:
	s_or_b64 exec, exec, s[0:1]
	v_add_u32_e32 v10, v10, v16
	v_cmp_gt_u32_e32 vcc, s24, v10
	s_and_saveexec_b64 s[0:1], vcc
	s_cbranch_execz .LBB1981_10
; %bb.9:
	v_mov_b32_e32 v11, 0
	v_lshlrev_b64 v[12:13], 2, v[10:11]
	s_waitcnt vmcnt(4)
	v_mov_b32_e32 v5, s12
	v_add_co_u32_e32 v14, vcc, s11, v12
	v_addc_co_u32_e32 v5, vcc, v5, v13, vcc
	v_subrev_u32_e32 v12, s15, v10
	v_mov_b32_e32 v13, v11
	v_lshlrev_b64 v[12:13], 2, v[12:13]
	v_mov_b32_e32 v11, s9
	v_add_co_u32_e32 v12, vcc, s8, v12
	v_addc_co_u32_e32 v11, vcc, v11, v13, vcc
	v_cmp_gt_u32_e32 vcc, s15, v10
	v_cndmask_b32_e32 v13, v11, v5, vcc
	v_cndmask_b32_e32 v12, v12, v14, vcc
	global_load_dword v5, v[12:13], off
.LBB1981_10:
	s_or_b64 exec, exec, s[0:1]
	v_add_u32_e32 v10, v10, v16
	v_cmp_gt_u32_e32 vcc, s24, v10
	s_and_saveexec_b64 s[0:1], vcc
	s_cbranch_execz .LBB1981_12
; %bb.11:
	v_mov_b32_e32 v11, 0
	v_lshlrev_b64 v[12:13], 2, v[10:11]
	s_waitcnt vmcnt(3)
	v_mov_b32_e32 v6, s12
	v_add_co_u32_e32 v14, vcc, s11, v12
	v_addc_co_u32_e32 v6, vcc, v6, v13, vcc
	v_subrev_u32_e32 v12, s15, v10
	v_mov_b32_e32 v13, v11
	v_lshlrev_b64 v[12:13], 2, v[12:13]
	v_mov_b32_e32 v11, s9
	v_add_co_u32_e32 v12, vcc, s8, v12
	v_addc_co_u32_e32 v11, vcc, v11, v13, vcc
	v_cmp_gt_u32_e32 vcc, s15, v10
	v_cndmask_b32_e32 v13, v11, v6, vcc
	v_cndmask_b32_e32 v12, v12, v14, vcc
	global_load_dword v6, v[12:13], off
.LBB1981_12:
	;; [unrolled: 23-line block ×4, first 2 shown]
	s_or_b64 exec, exec, s[0:1]
	v_add_u32_e32 v10, v10, v16
	v_cmp_gt_u32_e32 vcc, s24, v10
	s_and_saveexec_b64 s[2:3], vcc
	s_cbranch_execz .LBB1981_18
; %bb.17:
	v_mov_b32_e32 v11, 0
	v_lshlrev_b64 v[12:13], 2, v[10:11]
	s_waitcnt vmcnt(0)
	v_mov_b32_e32 v9, s12
	v_add_co_u32_e32 v12, vcc, s11, v12
	v_addc_co_u32_e32 v9, vcc, v9, v13, vcc
	v_cmp_gt_u32_e32 vcc, s15, v10
	v_subrev_u32_e32 v10, s15, v10
	v_lshlrev_b64 v[10:11], 2, v[10:11]
	v_mov_b32_e32 v13, s9
	v_add_co_u32_e64 v10, s[0:1], s8, v10
	v_addc_co_u32_e64 v11, s[0:1], v13, v11, s[0:1]
	v_cndmask_b32_e32 v11, v11, v9, vcc
	v_cndmask_b32_e32 v10, v10, v12, vcc
	global_load_dword v9, v[10:11], off
.LBB1981_18:
	s_or_b64 exec, exec, s[2:3]
.LBB1981_19:
	v_lshlrev_b32_e32 v10, 3, v0
	v_min_u32_e32 v12, s24, v10
	v_sub_u32_e64 v11, v12, s7 clamp
	v_min_u32_e32 v13, s15, v12
	v_cmp_lt_u32_e32 vcc, v11, v13
	s_waitcnt vmcnt(0)
	ds_write2st64_b32 v1, v2, v3 offset1:2
	ds_write2st64_b32 v1, v4, v5 offset0:4 offset1:6
	ds_write2st64_b32 v1, v6, v7 offset0:8 offset1:10
	ds_write2st64_b32 v1, v8, v9 offset0:12 offset1:14
	s_waitcnt lgkmcnt(0)
	s_barrier
	s_and_saveexec_b64 s[0:1], vcc
	s_cbranch_execz .LBB1981_23
; %bb.20:
	v_lshlrev_b32_e32 v14, 2, v12
	v_lshl_add_u32 v14, s15, 2, v14
	s_mov_b64 s[2:3], 0
.LBB1981_21:                            ; =>This Inner Loop Header: Depth=1
	v_add_u32_e32 v15, v13, v11
	v_lshrrev_b32_e32 v15, 1, v15
	v_not_b32_e32 v16, v15
	v_lshlrev_b32_e32 v17, 2, v15
	v_lshl_add_u32 v16, v16, 2, v14
	ds_read_b32 v17, v17
	ds_read_b32 v16, v16
	v_add_u32_e32 v18, 1, v15
	s_waitcnt lgkmcnt(1)
	v_and_b32_e32 v17, s17, v17
	s_waitcnt lgkmcnt(0)
	v_and_b32_e32 v16, s17, v16
	v_cmp_gt_i32_e32 vcc, v16, v17
	v_cndmask_b32_e32 v13, v13, v15, vcc
	v_cndmask_b32_e32 v11, v18, v11, vcc
	v_cmp_ge_u32_e32 vcc, v11, v13
	s_or_b64 s[2:3], vcc, s[2:3]
	s_andn2_b64 exec, exec, s[2:3]
	s_cbranch_execnz .LBB1981_21
; %bb.22:
	s_or_b64 exec, exec, s[2:3]
.LBB1981_23:
	s_or_b64 exec, exec, s[0:1]
	v_sub_u32_e32 v12, v12, v11
	v_add_u32_e32 v12, s15, v12
	v_cmp_ge_u32_e32 vcc, s15, v11
	v_cmp_ge_u32_e64 s[0:1], s24, v12
	s_or_b64 s[0:1], vcc, s[0:1]
	s_and_saveexec_b64 s[22:23], s[0:1]
	s_cbranch_execz .LBB1981_29
; %bb.24:
	v_cmp_gt_u32_e32 vcc, s15, v11
                                        ; implicit-def: $vgpr2
	s_and_saveexec_b64 s[0:1], vcc
	s_cbranch_execz .LBB1981_26
; %bb.25:
	v_lshlrev_b32_e32 v2, 2, v11
	ds_read_b32 v2, v2
.LBB1981_26:
	s_or_b64 exec, exec, s[0:1]
	v_cmp_le_u32_e64 s[0:1], s24, v12
	v_cmp_gt_u32_e64 s[2:3], s24, v12
                                        ; implicit-def: $vgpr3
	s_and_saveexec_b64 s[4:5], s[2:3]
	s_cbranch_execz .LBB1981_28
; %bb.27:
	v_lshlrev_b32_e32 v3, 2, v12
	ds_read_b32 v3, v3
.LBB1981_28:
	s_or_b64 exec, exec, s[4:5]
	s_waitcnt lgkmcnt(0)
	v_and_b32_e32 v4, s17, v3
	v_and_b32_e32 v5, s17, v2
	v_cmp_le_i32_e64 s[2:3], v4, v5
	s_and_b64 s[2:3], vcc, s[2:3]
	s_or_b64 vcc, s[0:1], s[2:3]
	v_mov_b32_e32 v5, s24
	v_mov_b32_e32 v6, s15
	v_cndmask_b32_e32 v4, v12, v11, vcc
	v_cndmask_b32_e32 v7, v5, v6, vcc
	v_add_u32_e32 v4, 1, v4
	v_add_u32_e32 v7, -1, v7
	v_min_u32_e32 v7, v4, v7
	v_lshlrev_b32_e32 v7, 2, v7
	ds_read_b32 v7, v7
	v_cndmask_b32_e32 v9, v4, v12, vcc
	v_cndmask_b32_e32 v4, v11, v4, vcc
	v_cmp_gt_u32_e64 s[2:3], s15, v4
	v_cmp_le_u32_e64 s[0:1], s24, v9
	s_waitcnt lgkmcnt(0)
	v_cndmask_b32_e32 v8, v7, v3, vcc
	v_cndmask_b32_e32 v7, v2, v7, vcc
	v_and_b32_e32 v11, s17, v8
	v_and_b32_e32 v12, s17, v7
	v_cmp_le_i32_e64 s[4:5], v11, v12
	s_and_b64 s[2:3], s[2:3], s[4:5]
	s_or_b64 s[0:1], s[0:1], s[2:3]
	v_cndmask_b32_e64 v11, v9, v4, s[0:1]
	v_cndmask_b32_e64 v12, v5, v6, s[0:1]
	v_add_u32_e32 v11, 1, v11
	v_add_u32_e32 v12, -1, v12
	v_min_u32_e32 v12, v11, v12
	v_lshlrev_b32_e32 v12, 2, v12
	ds_read_b32 v12, v12
	v_cndmask_b32_e64 v9, v11, v9, s[0:1]
	v_cndmask_b32_e64 v4, v4, v11, s[0:1]
	v_cmp_gt_u32_e64 s[4:5], s15, v4
	v_cmp_le_u32_e64 s[2:3], s24, v9
	s_waitcnt lgkmcnt(0)
	v_cndmask_b32_e64 v13, v12, v8, s[0:1]
	v_cndmask_b32_e64 v12, v7, v12, s[0:1]
	v_and_b32_e32 v11, s17, v13
	v_and_b32_e32 v14, s17, v12
	v_cmp_le_i32_e64 s[6:7], v11, v14
	s_and_b64 s[4:5], s[4:5], s[6:7]
	s_or_b64 s[2:3], s[2:3], s[4:5]
	v_cndmask_b32_e64 v11, v9, v4, s[2:3]
	v_cndmask_b32_e64 v14, v5, v6, s[2:3]
	v_add_u32_e32 v11, 1, v11
	v_add_u32_e32 v14, -1, v14
	v_min_u32_e32 v14, v11, v14
	v_lshlrev_b32_e32 v14, 2, v14
	ds_read_b32 v14, v14
	v_cndmask_b32_e64 v9, v11, v9, s[2:3]
	v_cndmask_b32_e64 v4, v4, v11, s[2:3]
	v_cmp_gt_u32_e64 s[6:7], s15, v4
	v_cmp_le_u32_e64 s[4:5], s24, v9
	s_waitcnt lgkmcnt(0)
	v_cndmask_b32_e64 v15, v14, v13, s[2:3]
	v_cndmask_b32_e64 v14, v12, v14, s[2:3]
	;; [unrolled: 19-line block ×4, first 2 shown]
	v_and_b32_e32 v4, s17, v19
	v_and_b32_e32 v20, s17, v18
	v_cmp_le_i32_e64 s[12:13], v4, v20
	s_and_b64 s[10:11], s[10:11], s[12:13]
	s_or_b64 s[8:9], s[8:9], s[10:11]
	v_cndmask_b32_e64 v4, v9, v11, s[8:9]
	v_cndmask_b32_e64 v20, v5, v6, s[8:9]
	v_add_u32_e32 v21, 1, v4
	v_add_u32_e32 v4, -1, v20
	v_min_u32_e32 v4, v21, v4
	v_lshlrev_b32_e32 v4, 2, v4
	ds_read_b32 v20, v4
	v_cndmask_b32_e64 v4, v13, v12, s[2:3]
	v_cndmask_b32_e32 v2, v3, v2, vcc
	v_cndmask_b32_e64 v3, v8, v7, s[0:1]
	v_cndmask_b32_e64 v11, v11, v21, s[8:9]
	s_waitcnt lgkmcnt(0)
	v_cndmask_b32_e64 v12, v20, v19, s[8:9]
	v_cndmask_b32_e64 v13, v18, v20, s[8:9]
	v_and_b32_e32 v7, s17, v12
	v_and_b32_e32 v8, s17, v13
	v_cndmask_b32_e64 v9, v21, v9, s[8:9]
	v_cmp_gt_u32_e64 s[0:1], s15, v11
	v_cmp_le_i32_e64 s[2:3], v7, v8
	v_cmp_le_u32_e32 vcc, s24, v9
	s_and_b64 s[0:1], s[0:1], s[2:3]
	s_or_b64 vcc, vcc, s[0:1]
	v_cndmask_b32_e32 v7, v9, v11, vcc
	v_cndmask_b32_e32 v5, v5, v6, vcc
	v_add_u32_e32 v20, 1, v7
	v_add_u32_e32 v5, -1, v5
	v_min_u32_e32 v5, v20, v5
	v_lshlrev_b32_e32 v5, 2, v5
	ds_read_b32 v21, v5
	v_cndmask_b32_e32 v8, v12, v13, vcc
	v_cndmask_b32_e32 v9, v20, v9, vcc
	;; [unrolled: 1-line block ×3, first 2 shown]
	v_cmp_gt_u32_e64 s[0:1], s15, v11
	s_waitcnt lgkmcnt(0)
	v_cndmask_b32_e32 v12, v21, v12, vcc
	v_cndmask_b32_e32 v13, v13, v21, vcc
	v_cmp_le_u32_e32 vcc, s24, v9
	v_and_b32_e32 v9, s17, v12
	v_and_b32_e32 v11, s17, v13
	v_cmp_le_i32_e64 s[2:3], v9, v11
	s_and_b64 s[0:1], s[0:1], s[2:3]
	s_or_b64 vcc, vcc, s[0:1]
	v_cndmask_b32_e64 v5, v15, v14, s[4:5]
	v_cndmask_b32_e64 v6, v17, v16, s[6:7]
	;; [unrolled: 1-line block ×3, first 2 shown]
	v_cndmask_b32_e32 v9, v12, v13, vcc
.LBB1981_29:
	s_or_b64 exec, exec, s[22:23]
	v_and_b32_e32 v11, 0x7c, v0
	v_lshl_add_u32 v10, v10, 2, v11
	s_barrier
	s_barrier
	ds_write2_b32 v10, v2, v3 offset1:1
	ds_write2_b32 v10, v4, v5 offset0:2 offset1:3
	ds_write2_b32 v10, v6, v7 offset0:4 offset1:5
	;; [unrolled: 1-line block ×3, first 2 shown]
	v_lshrrev_b32_e32 v2, 3, v0
	v_and_b32_e32 v2, 12, v2
	v_or_b32_e32 v10, 0x80, v0
	v_add_u32_e32 v11, v1, v2
	v_lshrrev_b32_e32 v2, 3, v10
	v_and_b32_e32 v2, 28, v2
	v_or_b32_e32 v9, 0x100, v0
	v_add_u32_e32 v12, v1, v2
	v_lshrrev_b32_e32 v2, 3, v9
	v_and_b32_e32 v2, 44, v2
	v_or_b32_e32 v8, 0x180, v0
	v_add_u32_e32 v13, v1, v2
	v_lshrrev_b32_e32 v2, 3, v8
	v_and_b32_e32 v2, 60, v2
	v_or_b32_e32 v7, 0x200, v0
	v_add_u32_e32 v14, v1, v2
	v_lshrrev_b32_e32 v2, 3, v7
	v_and_b32_e32 v2, 0x4c, v2
	v_or_b32_e32 v6, 0x280, v0
	v_add_u32_e32 v15, v1, v2
	v_lshrrev_b32_e32 v2, 3, v6
	v_and_b32_e32 v2, 0x5c, v2
	v_or_b32_e32 v5, 0x300, v0
	s_mov_b32 s17, 0
	v_add_u32_e32 v16, v1, v2
	v_lshrrev_b32_e32 v2, 3, v5
	s_lshl_b64 s[0:1], s[16:17], 2
	v_and_b32_e32 v2, 0x6c, v2
	v_or_b32_e32 v4, 0x380, v0
	s_add_u32 s0, s20, s0
	v_add_u32_e32 v17, v1, v2
	v_lshrrev_b32_e32 v2, 3, v4
	s_addc_u32 s1, s21, s1
	v_and_b32_e32 v2, 0x7c, v2
	v_add_u32_e32 v18, v1, v2
	v_mov_b32_e32 v3, s1
	v_add_co_u32_e32 v2, vcc, s0, v1
	v_addc_co_u32_e32 v3, vcc, 0, v3, vcc
	s_and_b64 vcc, exec, s[18:19]
	s_waitcnt lgkmcnt(0)
	s_cbranch_vccz .LBB1981_31
; %bb.30:
	s_barrier
	ds_read_b32 v19, v11
	ds_read_b32 v20, v12 offset:512
	ds_read_b32 v21, v13 offset:1024
	;; [unrolled: 1-line block ×7, first 2 shown]
	s_waitcnt lgkmcnt(7)
	global_store_dword v[2:3], v19, off
	s_waitcnt lgkmcnt(6)
	global_store_dword v[2:3], v20, off offset:512
	s_waitcnt lgkmcnt(5)
	global_store_dword v[2:3], v21, off offset:1024
	;; [unrolled: 2-line block ×6, first 2 shown]
	s_mov_b64 s[0:1], -1
	s_cbranch_execz .LBB1981_32
	s_branch .LBB1981_41
.LBB1981_31:
	s_mov_b64 s[0:1], 0
                                        ; implicit-def: $vgpr1
.LBB1981_32:
	s_barrier
	s_waitcnt lgkmcnt(0)
	ds_read_b32 v21, v12 offset:512
	ds_read_b32 v20, v13 offset:1024
	;; [unrolled: 1-line block ×7, first 2 shown]
	s_sub_i32 s2, s14, s16
	v_cmp_gt_u32_e32 vcc, s2, v0
	s_and_saveexec_b64 s[0:1], vcc
	s_cbranch_execnz .LBB1981_46
; %bb.33:
	s_or_b64 exec, exec, s[0:1]
	v_cmp_gt_u32_e32 vcc, s2, v10
	s_and_saveexec_b64 s[0:1], vcc
	s_cbranch_execnz .LBB1981_47
.LBB1981_34:
	s_or_b64 exec, exec, s[0:1]
	v_cmp_gt_u32_e32 vcc, s2, v9
	s_and_saveexec_b64 s[0:1], vcc
	s_cbranch_execnz .LBB1981_48
.LBB1981_35:
	s_or_b64 exec, exec, s[0:1]
	v_cmp_gt_u32_e32 vcc, s2, v8
	s_and_saveexec_b64 s[0:1], vcc
	s_cbranch_execnz .LBB1981_49
.LBB1981_36:
	s_or_b64 exec, exec, s[0:1]
	v_cmp_gt_u32_e32 vcc, s2, v7
	s_and_saveexec_b64 s[0:1], vcc
	s_cbranch_execnz .LBB1981_50
.LBB1981_37:
	s_or_b64 exec, exec, s[0:1]
	v_cmp_gt_u32_e32 vcc, s2, v6
	s_and_saveexec_b64 s[0:1], vcc
	s_cbranch_execnz .LBB1981_51
.LBB1981_38:
	s_or_b64 exec, exec, s[0:1]
	v_cmp_gt_u32_e32 vcc, s2, v5
	s_and_saveexec_b64 s[0:1], vcc
	s_cbranch_execz .LBB1981_40
.LBB1981_39:
	s_waitcnt lgkmcnt(1)
	global_store_dword v[2:3], v12, off offset:3072
.LBB1981_40:
	s_or_b64 exec, exec, s[0:1]
	v_cmp_gt_u32_e64 s[0:1], s2, v4
.LBB1981_41:
	s_and_saveexec_b64 s[2:3], s[0:1]
	s_cbranch_execz .LBB1981_43
; %bb.42:
	s_waitcnt lgkmcnt(0)
	global_store_dword v[2:3], v1, off offset:3584
.LBB1981_43:
	s_endpgm
.LBB1981_44:
	s_waitcnt vmcnt(7)
	v_mov_b32_e32 v2, s12
	s_waitcnt vmcnt(5)
	v_add_co_u32_e32 v4, vcc, s11, v1
	v_mov_b32_e32 v3, 0
	s_waitcnt vmcnt(4)
	v_addc_co_u32_e32 v5, vcc, 0, v2, vcc
	v_subrev_u32_e32 v2, s15, v0
	v_lshlrev_b64 v[2:3], 2, v[2:3]
	s_waitcnt vmcnt(3)
	v_mov_b32_e32 v6, s9
	v_add_co_u32_e32 v2, vcc, s8, v2
	v_addc_co_u32_e32 v3, vcc, v6, v3, vcc
	v_cmp_gt_u32_e32 vcc, s15, v0
	v_cndmask_b32_e32 v3, v3, v5, vcc
	v_cndmask_b32_e32 v2, v2, v4, vcc
	global_load_dword v2, v[2:3], off
	s_or_b64 exec, exec, s[0:1]
	v_cmp_gt_u32_e32 vcc, s24, v12
	s_and_saveexec_b64 s[2:3], vcc
	s_cbranch_execz .LBB1981_6
.LBB1981_45:
	v_mov_b32_e32 v13, 0
	v_lshlrev_b64 v[14:15], 2, v[12:13]
	s_waitcnt vmcnt(6)
	v_mov_b32_e32 v3, s12
	v_add_co_u32_e32 v11, vcc, s11, v14
	v_addc_co_u32_e32 v3, vcc, v3, v15, vcc
	v_cmp_gt_u32_e32 vcc, s15, v12
	v_subrev_u32_e32 v12, s15, v12
	v_lshlrev_b64 v[12:13], 2, v[12:13]
	v_mov_b32_e32 v14, s9
	v_add_co_u32_e64 v12, s[0:1], s8, v12
	v_addc_co_u32_e64 v13, s[0:1], v14, v13, s[0:1]
	v_cndmask_b32_e32 v13, v13, v3, vcc
	v_cndmask_b32_e32 v12, v12, v11, vcc
	global_load_dword v3, v[12:13], off
	s_or_b64 exec, exec, s[2:3]
	v_cmp_gt_u32_e32 vcc, s24, v10
	s_and_saveexec_b64 s[0:1], vcc
	s_cbranch_execnz .LBB1981_7
	s_branch .LBB1981_8
.LBB1981_46:
	ds_read_b32 v0, v11
	s_waitcnt lgkmcnt(0)
	global_store_dword v[2:3], v0, off
	s_or_b64 exec, exec, s[0:1]
	v_cmp_gt_u32_e32 vcc, s2, v10
	s_and_saveexec_b64 s[0:1], vcc
	s_cbranch_execz .LBB1981_34
.LBB1981_47:
	s_waitcnt lgkmcnt(6)
	global_store_dword v[2:3], v21, off offset:512
	s_or_b64 exec, exec, s[0:1]
	v_cmp_gt_u32_e32 vcc, s2, v9
	s_and_saveexec_b64 s[0:1], vcc
	s_cbranch_execz .LBB1981_35
.LBB1981_48:
	s_waitcnt lgkmcnt(5)
	global_store_dword v[2:3], v20, off offset:1024
	s_or_b64 exec, exec, s[0:1]
	v_cmp_gt_u32_e32 vcc, s2, v8
	s_and_saveexec_b64 s[0:1], vcc
	s_cbranch_execz .LBB1981_36
.LBB1981_49:
	s_waitcnt lgkmcnt(4)
	global_store_dword v[2:3], v19, off offset:1536
	s_or_b64 exec, exec, s[0:1]
	v_cmp_gt_u32_e32 vcc, s2, v7
	s_and_saveexec_b64 s[0:1], vcc
	s_cbranch_execz .LBB1981_37
.LBB1981_50:
	s_waitcnt lgkmcnt(3)
	global_store_dword v[2:3], v14, off offset:2048
	s_or_b64 exec, exec, s[0:1]
	v_cmp_gt_u32_e32 vcc, s2, v6
	s_and_saveexec_b64 s[0:1], vcc
	s_cbranch_execz .LBB1981_38
.LBB1981_51:
	s_waitcnt lgkmcnt(2)
	global_store_dword v[2:3], v13, off offset:2560
	s_or_b64 exec, exec, s[0:1]
	v_cmp_gt_u32_e32 vcc, s2, v5
	s_and_saveexec_b64 s[0:1], vcc
	s_cbranch_execnz .LBB1981_39
	s_branch .LBB1981_40
	.section	.rodata,"a",@progbits
	.p2align	6, 0x0
	.amdhsa_kernel _ZN7rocprim17ROCPRIM_400000_NS6detail17trampoline_kernelINS0_14default_configENS1_38merge_sort_block_merge_config_selectorIiNS0_10empty_typeEEEZZNS1_27merge_sort_block_merge_implIS3_PiPS5_jNS1_19radix_merge_compareILb1ELb1EiNS0_19identity_decomposerEEEEE10hipError_tT0_T1_T2_jT3_P12ihipStream_tbPNSt15iterator_traitsISE_E10value_typeEPNSK_ISF_E10value_typeEPSG_NS1_7vsmem_tEENKUlT_SE_SF_SG_E_clIS8_S8_S9_S9_EESD_ST_SE_SF_SG_EUlST_E0_NS1_11comp_targetILNS1_3genE4ELNS1_11target_archE910ELNS1_3gpuE8ELNS1_3repE0EEENS1_38merge_mergepath_config_static_selectorELNS0_4arch9wavefront6targetE1EEEvSF_
		.amdhsa_group_segment_fixed_size 4224
		.amdhsa_private_segment_fixed_size 0
		.amdhsa_kernarg_size 320
		.amdhsa_user_sgpr_count 6
		.amdhsa_user_sgpr_private_segment_buffer 1
		.amdhsa_user_sgpr_dispatch_ptr 0
		.amdhsa_user_sgpr_queue_ptr 0
		.amdhsa_user_sgpr_kernarg_segment_ptr 1
		.amdhsa_user_sgpr_dispatch_id 0
		.amdhsa_user_sgpr_flat_scratch_init 0
		.amdhsa_user_sgpr_kernarg_preload_length 0
		.amdhsa_user_sgpr_kernarg_preload_offset 0
		.amdhsa_user_sgpr_private_segment_size 0
		.amdhsa_uses_dynamic_stack 0
		.amdhsa_system_sgpr_private_segment_wavefront_offset 0
		.amdhsa_system_sgpr_workgroup_id_x 1
		.amdhsa_system_sgpr_workgroup_id_y 1
		.amdhsa_system_sgpr_workgroup_id_z 1
		.amdhsa_system_sgpr_workgroup_info 0
		.amdhsa_system_vgpr_workitem_id 0
		.amdhsa_next_free_vgpr 26
		.amdhsa_next_free_sgpr 25
		.amdhsa_accum_offset 28
		.amdhsa_reserve_vcc 1
		.amdhsa_reserve_flat_scratch 0
		.amdhsa_float_round_mode_32 0
		.amdhsa_float_round_mode_16_64 0
		.amdhsa_float_denorm_mode_32 3
		.amdhsa_float_denorm_mode_16_64 3
		.amdhsa_dx10_clamp 1
		.amdhsa_ieee_mode 1
		.amdhsa_fp16_overflow 0
		.amdhsa_tg_split 0
		.amdhsa_exception_fp_ieee_invalid_op 0
		.amdhsa_exception_fp_denorm_src 0
		.amdhsa_exception_fp_ieee_div_zero 0
		.amdhsa_exception_fp_ieee_overflow 0
		.amdhsa_exception_fp_ieee_underflow 0
		.amdhsa_exception_fp_ieee_inexact 0
		.amdhsa_exception_int_div_zero 0
	.end_amdhsa_kernel
	.section	.text._ZN7rocprim17ROCPRIM_400000_NS6detail17trampoline_kernelINS0_14default_configENS1_38merge_sort_block_merge_config_selectorIiNS0_10empty_typeEEEZZNS1_27merge_sort_block_merge_implIS3_PiPS5_jNS1_19radix_merge_compareILb1ELb1EiNS0_19identity_decomposerEEEEE10hipError_tT0_T1_T2_jT3_P12ihipStream_tbPNSt15iterator_traitsISE_E10value_typeEPNSK_ISF_E10value_typeEPSG_NS1_7vsmem_tEENKUlT_SE_SF_SG_E_clIS8_S8_S9_S9_EESD_ST_SE_SF_SG_EUlST_E0_NS1_11comp_targetILNS1_3genE4ELNS1_11target_archE910ELNS1_3gpuE8ELNS1_3repE0EEENS1_38merge_mergepath_config_static_selectorELNS0_4arch9wavefront6targetE1EEEvSF_,"axG",@progbits,_ZN7rocprim17ROCPRIM_400000_NS6detail17trampoline_kernelINS0_14default_configENS1_38merge_sort_block_merge_config_selectorIiNS0_10empty_typeEEEZZNS1_27merge_sort_block_merge_implIS3_PiPS5_jNS1_19radix_merge_compareILb1ELb1EiNS0_19identity_decomposerEEEEE10hipError_tT0_T1_T2_jT3_P12ihipStream_tbPNSt15iterator_traitsISE_E10value_typeEPNSK_ISF_E10value_typeEPSG_NS1_7vsmem_tEENKUlT_SE_SF_SG_E_clIS8_S8_S9_S9_EESD_ST_SE_SF_SG_EUlST_E0_NS1_11comp_targetILNS1_3genE4ELNS1_11target_archE910ELNS1_3gpuE8ELNS1_3repE0EEENS1_38merge_mergepath_config_static_selectorELNS0_4arch9wavefront6targetE1EEEvSF_,comdat
.Lfunc_end1981:
	.size	_ZN7rocprim17ROCPRIM_400000_NS6detail17trampoline_kernelINS0_14default_configENS1_38merge_sort_block_merge_config_selectorIiNS0_10empty_typeEEEZZNS1_27merge_sort_block_merge_implIS3_PiPS5_jNS1_19radix_merge_compareILb1ELb1EiNS0_19identity_decomposerEEEEE10hipError_tT0_T1_T2_jT3_P12ihipStream_tbPNSt15iterator_traitsISE_E10value_typeEPNSK_ISF_E10value_typeEPSG_NS1_7vsmem_tEENKUlT_SE_SF_SG_E_clIS8_S8_S9_S9_EESD_ST_SE_SF_SG_EUlST_E0_NS1_11comp_targetILNS1_3genE4ELNS1_11target_archE910ELNS1_3gpuE8ELNS1_3repE0EEENS1_38merge_mergepath_config_static_selectorELNS0_4arch9wavefront6targetE1EEEvSF_, .Lfunc_end1981-_ZN7rocprim17ROCPRIM_400000_NS6detail17trampoline_kernelINS0_14default_configENS1_38merge_sort_block_merge_config_selectorIiNS0_10empty_typeEEEZZNS1_27merge_sort_block_merge_implIS3_PiPS5_jNS1_19radix_merge_compareILb1ELb1EiNS0_19identity_decomposerEEEEE10hipError_tT0_T1_T2_jT3_P12ihipStream_tbPNSt15iterator_traitsISE_E10value_typeEPNSK_ISF_E10value_typeEPSG_NS1_7vsmem_tEENKUlT_SE_SF_SG_E_clIS8_S8_S9_S9_EESD_ST_SE_SF_SG_EUlST_E0_NS1_11comp_targetILNS1_3genE4ELNS1_11target_archE910ELNS1_3gpuE8ELNS1_3repE0EEENS1_38merge_mergepath_config_static_selectorELNS0_4arch9wavefront6targetE1EEEvSF_
                                        ; -- End function
	.section	.AMDGPU.csdata,"",@progbits
; Kernel info:
; codeLenInByte = 3704
; NumSgprs: 29
; NumVgprs: 26
; NumAgprs: 0
; TotalNumVgprs: 26
; ScratchSize: 0
; MemoryBound: 0
; FloatMode: 240
; IeeeMode: 1
; LDSByteSize: 4224 bytes/workgroup (compile time only)
; SGPRBlocks: 3
; VGPRBlocks: 3
; NumSGPRsForWavesPerEU: 29
; NumVGPRsForWavesPerEU: 26
; AccumOffset: 28
; Occupancy: 8
; WaveLimiterHint : 1
; COMPUTE_PGM_RSRC2:SCRATCH_EN: 0
; COMPUTE_PGM_RSRC2:USER_SGPR: 6
; COMPUTE_PGM_RSRC2:TRAP_HANDLER: 0
; COMPUTE_PGM_RSRC2:TGID_X_EN: 1
; COMPUTE_PGM_RSRC2:TGID_Y_EN: 1
; COMPUTE_PGM_RSRC2:TGID_Z_EN: 1
; COMPUTE_PGM_RSRC2:TIDIG_COMP_CNT: 0
; COMPUTE_PGM_RSRC3_GFX90A:ACCUM_OFFSET: 6
; COMPUTE_PGM_RSRC3_GFX90A:TG_SPLIT: 0
	.section	.text._ZN7rocprim17ROCPRIM_400000_NS6detail17trampoline_kernelINS0_14default_configENS1_38merge_sort_block_merge_config_selectorIiNS0_10empty_typeEEEZZNS1_27merge_sort_block_merge_implIS3_PiPS5_jNS1_19radix_merge_compareILb1ELb1EiNS0_19identity_decomposerEEEEE10hipError_tT0_T1_T2_jT3_P12ihipStream_tbPNSt15iterator_traitsISE_E10value_typeEPNSK_ISF_E10value_typeEPSG_NS1_7vsmem_tEENKUlT_SE_SF_SG_E_clIS8_S8_S9_S9_EESD_ST_SE_SF_SG_EUlST_E0_NS1_11comp_targetILNS1_3genE3ELNS1_11target_archE908ELNS1_3gpuE7ELNS1_3repE0EEENS1_38merge_mergepath_config_static_selectorELNS0_4arch9wavefront6targetE1EEEvSF_,"axG",@progbits,_ZN7rocprim17ROCPRIM_400000_NS6detail17trampoline_kernelINS0_14default_configENS1_38merge_sort_block_merge_config_selectorIiNS0_10empty_typeEEEZZNS1_27merge_sort_block_merge_implIS3_PiPS5_jNS1_19radix_merge_compareILb1ELb1EiNS0_19identity_decomposerEEEEE10hipError_tT0_T1_T2_jT3_P12ihipStream_tbPNSt15iterator_traitsISE_E10value_typeEPNSK_ISF_E10value_typeEPSG_NS1_7vsmem_tEENKUlT_SE_SF_SG_E_clIS8_S8_S9_S9_EESD_ST_SE_SF_SG_EUlST_E0_NS1_11comp_targetILNS1_3genE3ELNS1_11target_archE908ELNS1_3gpuE7ELNS1_3repE0EEENS1_38merge_mergepath_config_static_selectorELNS0_4arch9wavefront6targetE1EEEvSF_,comdat
	.protected	_ZN7rocprim17ROCPRIM_400000_NS6detail17trampoline_kernelINS0_14default_configENS1_38merge_sort_block_merge_config_selectorIiNS0_10empty_typeEEEZZNS1_27merge_sort_block_merge_implIS3_PiPS5_jNS1_19radix_merge_compareILb1ELb1EiNS0_19identity_decomposerEEEEE10hipError_tT0_T1_T2_jT3_P12ihipStream_tbPNSt15iterator_traitsISE_E10value_typeEPNSK_ISF_E10value_typeEPSG_NS1_7vsmem_tEENKUlT_SE_SF_SG_E_clIS8_S8_S9_S9_EESD_ST_SE_SF_SG_EUlST_E0_NS1_11comp_targetILNS1_3genE3ELNS1_11target_archE908ELNS1_3gpuE7ELNS1_3repE0EEENS1_38merge_mergepath_config_static_selectorELNS0_4arch9wavefront6targetE1EEEvSF_ ; -- Begin function _ZN7rocprim17ROCPRIM_400000_NS6detail17trampoline_kernelINS0_14default_configENS1_38merge_sort_block_merge_config_selectorIiNS0_10empty_typeEEEZZNS1_27merge_sort_block_merge_implIS3_PiPS5_jNS1_19radix_merge_compareILb1ELb1EiNS0_19identity_decomposerEEEEE10hipError_tT0_T1_T2_jT3_P12ihipStream_tbPNSt15iterator_traitsISE_E10value_typeEPNSK_ISF_E10value_typeEPSG_NS1_7vsmem_tEENKUlT_SE_SF_SG_E_clIS8_S8_S9_S9_EESD_ST_SE_SF_SG_EUlST_E0_NS1_11comp_targetILNS1_3genE3ELNS1_11target_archE908ELNS1_3gpuE7ELNS1_3repE0EEENS1_38merge_mergepath_config_static_selectorELNS0_4arch9wavefront6targetE1EEEvSF_
	.globl	_ZN7rocprim17ROCPRIM_400000_NS6detail17trampoline_kernelINS0_14default_configENS1_38merge_sort_block_merge_config_selectorIiNS0_10empty_typeEEEZZNS1_27merge_sort_block_merge_implIS3_PiPS5_jNS1_19radix_merge_compareILb1ELb1EiNS0_19identity_decomposerEEEEE10hipError_tT0_T1_T2_jT3_P12ihipStream_tbPNSt15iterator_traitsISE_E10value_typeEPNSK_ISF_E10value_typeEPSG_NS1_7vsmem_tEENKUlT_SE_SF_SG_E_clIS8_S8_S9_S9_EESD_ST_SE_SF_SG_EUlST_E0_NS1_11comp_targetILNS1_3genE3ELNS1_11target_archE908ELNS1_3gpuE7ELNS1_3repE0EEENS1_38merge_mergepath_config_static_selectorELNS0_4arch9wavefront6targetE1EEEvSF_
	.p2align	8
	.type	_ZN7rocprim17ROCPRIM_400000_NS6detail17trampoline_kernelINS0_14default_configENS1_38merge_sort_block_merge_config_selectorIiNS0_10empty_typeEEEZZNS1_27merge_sort_block_merge_implIS3_PiPS5_jNS1_19radix_merge_compareILb1ELb1EiNS0_19identity_decomposerEEEEE10hipError_tT0_T1_T2_jT3_P12ihipStream_tbPNSt15iterator_traitsISE_E10value_typeEPNSK_ISF_E10value_typeEPSG_NS1_7vsmem_tEENKUlT_SE_SF_SG_E_clIS8_S8_S9_S9_EESD_ST_SE_SF_SG_EUlST_E0_NS1_11comp_targetILNS1_3genE3ELNS1_11target_archE908ELNS1_3gpuE7ELNS1_3repE0EEENS1_38merge_mergepath_config_static_selectorELNS0_4arch9wavefront6targetE1EEEvSF_,@function
_ZN7rocprim17ROCPRIM_400000_NS6detail17trampoline_kernelINS0_14default_configENS1_38merge_sort_block_merge_config_selectorIiNS0_10empty_typeEEEZZNS1_27merge_sort_block_merge_implIS3_PiPS5_jNS1_19radix_merge_compareILb1ELb1EiNS0_19identity_decomposerEEEEE10hipError_tT0_T1_T2_jT3_P12ihipStream_tbPNSt15iterator_traitsISE_E10value_typeEPNSK_ISF_E10value_typeEPSG_NS1_7vsmem_tEENKUlT_SE_SF_SG_E_clIS8_S8_S9_S9_EESD_ST_SE_SF_SG_EUlST_E0_NS1_11comp_targetILNS1_3genE3ELNS1_11target_archE908ELNS1_3gpuE7ELNS1_3repE0EEENS1_38merge_mergepath_config_static_selectorELNS0_4arch9wavefront6targetE1EEEvSF_: ; @_ZN7rocprim17ROCPRIM_400000_NS6detail17trampoline_kernelINS0_14default_configENS1_38merge_sort_block_merge_config_selectorIiNS0_10empty_typeEEEZZNS1_27merge_sort_block_merge_implIS3_PiPS5_jNS1_19radix_merge_compareILb1ELb1EiNS0_19identity_decomposerEEEEE10hipError_tT0_T1_T2_jT3_P12ihipStream_tbPNSt15iterator_traitsISE_E10value_typeEPNSK_ISF_E10value_typeEPSG_NS1_7vsmem_tEENKUlT_SE_SF_SG_E_clIS8_S8_S9_S9_EESD_ST_SE_SF_SG_EUlST_E0_NS1_11comp_targetILNS1_3genE3ELNS1_11target_archE908ELNS1_3gpuE7ELNS1_3repE0EEENS1_38merge_mergepath_config_static_selectorELNS0_4arch9wavefront6targetE1EEEvSF_
; %bb.0:
	.section	.rodata,"a",@progbits
	.p2align	6, 0x0
	.amdhsa_kernel _ZN7rocprim17ROCPRIM_400000_NS6detail17trampoline_kernelINS0_14default_configENS1_38merge_sort_block_merge_config_selectorIiNS0_10empty_typeEEEZZNS1_27merge_sort_block_merge_implIS3_PiPS5_jNS1_19radix_merge_compareILb1ELb1EiNS0_19identity_decomposerEEEEE10hipError_tT0_T1_T2_jT3_P12ihipStream_tbPNSt15iterator_traitsISE_E10value_typeEPNSK_ISF_E10value_typeEPSG_NS1_7vsmem_tEENKUlT_SE_SF_SG_E_clIS8_S8_S9_S9_EESD_ST_SE_SF_SG_EUlST_E0_NS1_11comp_targetILNS1_3genE3ELNS1_11target_archE908ELNS1_3gpuE7ELNS1_3repE0EEENS1_38merge_mergepath_config_static_selectorELNS0_4arch9wavefront6targetE1EEEvSF_
		.amdhsa_group_segment_fixed_size 0
		.amdhsa_private_segment_fixed_size 0
		.amdhsa_kernarg_size 64
		.amdhsa_user_sgpr_count 6
		.amdhsa_user_sgpr_private_segment_buffer 1
		.amdhsa_user_sgpr_dispatch_ptr 0
		.amdhsa_user_sgpr_queue_ptr 0
		.amdhsa_user_sgpr_kernarg_segment_ptr 1
		.amdhsa_user_sgpr_dispatch_id 0
		.amdhsa_user_sgpr_flat_scratch_init 0
		.amdhsa_user_sgpr_kernarg_preload_length 0
		.amdhsa_user_sgpr_kernarg_preload_offset 0
		.amdhsa_user_sgpr_private_segment_size 0
		.amdhsa_uses_dynamic_stack 0
		.amdhsa_system_sgpr_private_segment_wavefront_offset 0
		.amdhsa_system_sgpr_workgroup_id_x 1
		.amdhsa_system_sgpr_workgroup_id_y 0
		.amdhsa_system_sgpr_workgroup_id_z 0
		.amdhsa_system_sgpr_workgroup_info 0
		.amdhsa_system_vgpr_workitem_id 0
		.amdhsa_next_free_vgpr 1
		.amdhsa_next_free_sgpr 0
		.amdhsa_accum_offset 4
		.amdhsa_reserve_vcc 0
		.amdhsa_reserve_flat_scratch 0
		.amdhsa_float_round_mode_32 0
		.amdhsa_float_round_mode_16_64 0
		.amdhsa_float_denorm_mode_32 3
		.amdhsa_float_denorm_mode_16_64 3
		.amdhsa_dx10_clamp 1
		.amdhsa_ieee_mode 1
		.amdhsa_fp16_overflow 0
		.amdhsa_tg_split 0
		.amdhsa_exception_fp_ieee_invalid_op 0
		.amdhsa_exception_fp_denorm_src 0
		.amdhsa_exception_fp_ieee_div_zero 0
		.amdhsa_exception_fp_ieee_overflow 0
		.amdhsa_exception_fp_ieee_underflow 0
		.amdhsa_exception_fp_ieee_inexact 0
		.amdhsa_exception_int_div_zero 0
	.end_amdhsa_kernel
	.section	.text._ZN7rocprim17ROCPRIM_400000_NS6detail17trampoline_kernelINS0_14default_configENS1_38merge_sort_block_merge_config_selectorIiNS0_10empty_typeEEEZZNS1_27merge_sort_block_merge_implIS3_PiPS5_jNS1_19radix_merge_compareILb1ELb1EiNS0_19identity_decomposerEEEEE10hipError_tT0_T1_T2_jT3_P12ihipStream_tbPNSt15iterator_traitsISE_E10value_typeEPNSK_ISF_E10value_typeEPSG_NS1_7vsmem_tEENKUlT_SE_SF_SG_E_clIS8_S8_S9_S9_EESD_ST_SE_SF_SG_EUlST_E0_NS1_11comp_targetILNS1_3genE3ELNS1_11target_archE908ELNS1_3gpuE7ELNS1_3repE0EEENS1_38merge_mergepath_config_static_selectorELNS0_4arch9wavefront6targetE1EEEvSF_,"axG",@progbits,_ZN7rocprim17ROCPRIM_400000_NS6detail17trampoline_kernelINS0_14default_configENS1_38merge_sort_block_merge_config_selectorIiNS0_10empty_typeEEEZZNS1_27merge_sort_block_merge_implIS3_PiPS5_jNS1_19radix_merge_compareILb1ELb1EiNS0_19identity_decomposerEEEEE10hipError_tT0_T1_T2_jT3_P12ihipStream_tbPNSt15iterator_traitsISE_E10value_typeEPNSK_ISF_E10value_typeEPSG_NS1_7vsmem_tEENKUlT_SE_SF_SG_E_clIS8_S8_S9_S9_EESD_ST_SE_SF_SG_EUlST_E0_NS1_11comp_targetILNS1_3genE3ELNS1_11target_archE908ELNS1_3gpuE7ELNS1_3repE0EEENS1_38merge_mergepath_config_static_selectorELNS0_4arch9wavefront6targetE1EEEvSF_,comdat
.Lfunc_end1982:
	.size	_ZN7rocprim17ROCPRIM_400000_NS6detail17trampoline_kernelINS0_14default_configENS1_38merge_sort_block_merge_config_selectorIiNS0_10empty_typeEEEZZNS1_27merge_sort_block_merge_implIS3_PiPS5_jNS1_19radix_merge_compareILb1ELb1EiNS0_19identity_decomposerEEEEE10hipError_tT0_T1_T2_jT3_P12ihipStream_tbPNSt15iterator_traitsISE_E10value_typeEPNSK_ISF_E10value_typeEPSG_NS1_7vsmem_tEENKUlT_SE_SF_SG_E_clIS8_S8_S9_S9_EESD_ST_SE_SF_SG_EUlST_E0_NS1_11comp_targetILNS1_3genE3ELNS1_11target_archE908ELNS1_3gpuE7ELNS1_3repE0EEENS1_38merge_mergepath_config_static_selectorELNS0_4arch9wavefront6targetE1EEEvSF_, .Lfunc_end1982-_ZN7rocprim17ROCPRIM_400000_NS6detail17trampoline_kernelINS0_14default_configENS1_38merge_sort_block_merge_config_selectorIiNS0_10empty_typeEEEZZNS1_27merge_sort_block_merge_implIS3_PiPS5_jNS1_19radix_merge_compareILb1ELb1EiNS0_19identity_decomposerEEEEE10hipError_tT0_T1_T2_jT3_P12ihipStream_tbPNSt15iterator_traitsISE_E10value_typeEPNSK_ISF_E10value_typeEPSG_NS1_7vsmem_tEENKUlT_SE_SF_SG_E_clIS8_S8_S9_S9_EESD_ST_SE_SF_SG_EUlST_E0_NS1_11comp_targetILNS1_3genE3ELNS1_11target_archE908ELNS1_3gpuE7ELNS1_3repE0EEENS1_38merge_mergepath_config_static_selectorELNS0_4arch9wavefront6targetE1EEEvSF_
                                        ; -- End function
	.section	.AMDGPU.csdata,"",@progbits
; Kernel info:
; codeLenInByte = 0
; NumSgprs: 4
; NumVgprs: 0
; NumAgprs: 0
; TotalNumVgprs: 0
; ScratchSize: 0
; MemoryBound: 0
; FloatMode: 240
; IeeeMode: 1
; LDSByteSize: 0 bytes/workgroup (compile time only)
; SGPRBlocks: 0
; VGPRBlocks: 0
; NumSGPRsForWavesPerEU: 4
; NumVGPRsForWavesPerEU: 1
; AccumOffset: 4
; Occupancy: 8
; WaveLimiterHint : 0
; COMPUTE_PGM_RSRC2:SCRATCH_EN: 0
; COMPUTE_PGM_RSRC2:USER_SGPR: 6
; COMPUTE_PGM_RSRC2:TRAP_HANDLER: 0
; COMPUTE_PGM_RSRC2:TGID_X_EN: 1
; COMPUTE_PGM_RSRC2:TGID_Y_EN: 0
; COMPUTE_PGM_RSRC2:TGID_Z_EN: 0
; COMPUTE_PGM_RSRC2:TIDIG_COMP_CNT: 0
; COMPUTE_PGM_RSRC3_GFX90A:ACCUM_OFFSET: 0
; COMPUTE_PGM_RSRC3_GFX90A:TG_SPLIT: 0
	.section	.text._ZN7rocprim17ROCPRIM_400000_NS6detail17trampoline_kernelINS0_14default_configENS1_38merge_sort_block_merge_config_selectorIiNS0_10empty_typeEEEZZNS1_27merge_sort_block_merge_implIS3_PiPS5_jNS1_19radix_merge_compareILb1ELb1EiNS0_19identity_decomposerEEEEE10hipError_tT0_T1_T2_jT3_P12ihipStream_tbPNSt15iterator_traitsISE_E10value_typeEPNSK_ISF_E10value_typeEPSG_NS1_7vsmem_tEENKUlT_SE_SF_SG_E_clIS8_S8_S9_S9_EESD_ST_SE_SF_SG_EUlST_E0_NS1_11comp_targetILNS1_3genE2ELNS1_11target_archE906ELNS1_3gpuE6ELNS1_3repE0EEENS1_38merge_mergepath_config_static_selectorELNS0_4arch9wavefront6targetE1EEEvSF_,"axG",@progbits,_ZN7rocprim17ROCPRIM_400000_NS6detail17trampoline_kernelINS0_14default_configENS1_38merge_sort_block_merge_config_selectorIiNS0_10empty_typeEEEZZNS1_27merge_sort_block_merge_implIS3_PiPS5_jNS1_19radix_merge_compareILb1ELb1EiNS0_19identity_decomposerEEEEE10hipError_tT0_T1_T2_jT3_P12ihipStream_tbPNSt15iterator_traitsISE_E10value_typeEPNSK_ISF_E10value_typeEPSG_NS1_7vsmem_tEENKUlT_SE_SF_SG_E_clIS8_S8_S9_S9_EESD_ST_SE_SF_SG_EUlST_E0_NS1_11comp_targetILNS1_3genE2ELNS1_11target_archE906ELNS1_3gpuE6ELNS1_3repE0EEENS1_38merge_mergepath_config_static_selectorELNS0_4arch9wavefront6targetE1EEEvSF_,comdat
	.protected	_ZN7rocprim17ROCPRIM_400000_NS6detail17trampoline_kernelINS0_14default_configENS1_38merge_sort_block_merge_config_selectorIiNS0_10empty_typeEEEZZNS1_27merge_sort_block_merge_implIS3_PiPS5_jNS1_19radix_merge_compareILb1ELb1EiNS0_19identity_decomposerEEEEE10hipError_tT0_T1_T2_jT3_P12ihipStream_tbPNSt15iterator_traitsISE_E10value_typeEPNSK_ISF_E10value_typeEPSG_NS1_7vsmem_tEENKUlT_SE_SF_SG_E_clIS8_S8_S9_S9_EESD_ST_SE_SF_SG_EUlST_E0_NS1_11comp_targetILNS1_3genE2ELNS1_11target_archE906ELNS1_3gpuE6ELNS1_3repE0EEENS1_38merge_mergepath_config_static_selectorELNS0_4arch9wavefront6targetE1EEEvSF_ ; -- Begin function _ZN7rocprim17ROCPRIM_400000_NS6detail17trampoline_kernelINS0_14default_configENS1_38merge_sort_block_merge_config_selectorIiNS0_10empty_typeEEEZZNS1_27merge_sort_block_merge_implIS3_PiPS5_jNS1_19radix_merge_compareILb1ELb1EiNS0_19identity_decomposerEEEEE10hipError_tT0_T1_T2_jT3_P12ihipStream_tbPNSt15iterator_traitsISE_E10value_typeEPNSK_ISF_E10value_typeEPSG_NS1_7vsmem_tEENKUlT_SE_SF_SG_E_clIS8_S8_S9_S9_EESD_ST_SE_SF_SG_EUlST_E0_NS1_11comp_targetILNS1_3genE2ELNS1_11target_archE906ELNS1_3gpuE6ELNS1_3repE0EEENS1_38merge_mergepath_config_static_selectorELNS0_4arch9wavefront6targetE1EEEvSF_
	.globl	_ZN7rocprim17ROCPRIM_400000_NS6detail17trampoline_kernelINS0_14default_configENS1_38merge_sort_block_merge_config_selectorIiNS0_10empty_typeEEEZZNS1_27merge_sort_block_merge_implIS3_PiPS5_jNS1_19radix_merge_compareILb1ELb1EiNS0_19identity_decomposerEEEEE10hipError_tT0_T1_T2_jT3_P12ihipStream_tbPNSt15iterator_traitsISE_E10value_typeEPNSK_ISF_E10value_typeEPSG_NS1_7vsmem_tEENKUlT_SE_SF_SG_E_clIS8_S8_S9_S9_EESD_ST_SE_SF_SG_EUlST_E0_NS1_11comp_targetILNS1_3genE2ELNS1_11target_archE906ELNS1_3gpuE6ELNS1_3repE0EEENS1_38merge_mergepath_config_static_selectorELNS0_4arch9wavefront6targetE1EEEvSF_
	.p2align	8
	.type	_ZN7rocprim17ROCPRIM_400000_NS6detail17trampoline_kernelINS0_14default_configENS1_38merge_sort_block_merge_config_selectorIiNS0_10empty_typeEEEZZNS1_27merge_sort_block_merge_implIS3_PiPS5_jNS1_19radix_merge_compareILb1ELb1EiNS0_19identity_decomposerEEEEE10hipError_tT0_T1_T2_jT3_P12ihipStream_tbPNSt15iterator_traitsISE_E10value_typeEPNSK_ISF_E10value_typeEPSG_NS1_7vsmem_tEENKUlT_SE_SF_SG_E_clIS8_S8_S9_S9_EESD_ST_SE_SF_SG_EUlST_E0_NS1_11comp_targetILNS1_3genE2ELNS1_11target_archE906ELNS1_3gpuE6ELNS1_3repE0EEENS1_38merge_mergepath_config_static_selectorELNS0_4arch9wavefront6targetE1EEEvSF_,@function
_ZN7rocprim17ROCPRIM_400000_NS6detail17trampoline_kernelINS0_14default_configENS1_38merge_sort_block_merge_config_selectorIiNS0_10empty_typeEEEZZNS1_27merge_sort_block_merge_implIS3_PiPS5_jNS1_19radix_merge_compareILb1ELb1EiNS0_19identity_decomposerEEEEE10hipError_tT0_T1_T2_jT3_P12ihipStream_tbPNSt15iterator_traitsISE_E10value_typeEPNSK_ISF_E10value_typeEPSG_NS1_7vsmem_tEENKUlT_SE_SF_SG_E_clIS8_S8_S9_S9_EESD_ST_SE_SF_SG_EUlST_E0_NS1_11comp_targetILNS1_3genE2ELNS1_11target_archE906ELNS1_3gpuE6ELNS1_3repE0EEENS1_38merge_mergepath_config_static_selectorELNS0_4arch9wavefront6targetE1EEEvSF_: ; @_ZN7rocprim17ROCPRIM_400000_NS6detail17trampoline_kernelINS0_14default_configENS1_38merge_sort_block_merge_config_selectorIiNS0_10empty_typeEEEZZNS1_27merge_sort_block_merge_implIS3_PiPS5_jNS1_19radix_merge_compareILb1ELb1EiNS0_19identity_decomposerEEEEE10hipError_tT0_T1_T2_jT3_P12ihipStream_tbPNSt15iterator_traitsISE_E10value_typeEPNSK_ISF_E10value_typeEPSG_NS1_7vsmem_tEENKUlT_SE_SF_SG_E_clIS8_S8_S9_S9_EESD_ST_SE_SF_SG_EUlST_E0_NS1_11comp_targetILNS1_3genE2ELNS1_11target_archE906ELNS1_3gpuE6ELNS1_3repE0EEENS1_38merge_mergepath_config_static_selectorELNS0_4arch9wavefront6targetE1EEEvSF_
; %bb.0:
	.section	.rodata,"a",@progbits
	.p2align	6, 0x0
	.amdhsa_kernel _ZN7rocprim17ROCPRIM_400000_NS6detail17trampoline_kernelINS0_14default_configENS1_38merge_sort_block_merge_config_selectorIiNS0_10empty_typeEEEZZNS1_27merge_sort_block_merge_implIS3_PiPS5_jNS1_19radix_merge_compareILb1ELb1EiNS0_19identity_decomposerEEEEE10hipError_tT0_T1_T2_jT3_P12ihipStream_tbPNSt15iterator_traitsISE_E10value_typeEPNSK_ISF_E10value_typeEPSG_NS1_7vsmem_tEENKUlT_SE_SF_SG_E_clIS8_S8_S9_S9_EESD_ST_SE_SF_SG_EUlST_E0_NS1_11comp_targetILNS1_3genE2ELNS1_11target_archE906ELNS1_3gpuE6ELNS1_3repE0EEENS1_38merge_mergepath_config_static_selectorELNS0_4arch9wavefront6targetE1EEEvSF_
		.amdhsa_group_segment_fixed_size 0
		.amdhsa_private_segment_fixed_size 0
		.amdhsa_kernarg_size 64
		.amdhsa_user_sgpr_count 6
		.amdhsa_user_sgpr_private_segment_buffer 1
		.amdhsa_user_sgpr_dispatch_ptr 0
		.amdhsa_user_sgpr_queue_ptr 0
		.amdhsa_user_sgpr_kernarg_segment_ptr 1
		.amdhsa_user_sgpr_dispatch_id 0
		.amdhsa_user_sgpr_flat_scratch_init 0
		.amdhsa_user_sgpr_kernarg_preload_length 0
		.amdhsa_user_sgpr_kernarg_preload_offset 0
		.amdhsa_user_sgpr_private_segment_size 0
		.amdhsa_uses_dynamic_stack 0
		.amdhsa_system_sgpr_private_segment_wavefront_offset 0
		.amdhsa_system_sgpr_workgroup_id_x 1
		.amdhsa_system_sgpr_workgroup_id_y 0
		.amdhsa_system_sgpr_workgroup_id_z 0
		.amdhsa_system_sgpr_workgroup_info 0
		.amdhsa_system_vgpr_workitem_id 0
		.amdhsa_next_free_vgpr 1
		.amdhsa_next_free_sgpr 0
		.amdhsa_accum_offset 4
		.amdhsa_reserve_vcc 0
		.amdhsa_reserve_flat_scratch 0
		.amdhsa_float_round_mode_32 0
		.amdhsa_float_round_mode_16_64 0
		.amdhsa_float_denorm_mode_32 3
		.amdhsa_float_denorm_mode_16_64 3
		.amdhsa_dx10_clamp 1
		.amdhsa_ieee_mode 1
		.amdhsa_fp16_overflow 0
		.amdhsa_tg_split 0
		.amdhsa_exception_fp_ieee_invalid_op 0
		.amdhsa_exception_fp_denorm_src 0
		.amdhsa_exception_fp_ieee_div_zero 0
		.amdhsa_exception_fp_ieee_overflow 0
		.amdhsa_exception_fp_ieee_underflow 0
		.amdhsa_exception_fp_ieee_inexact 0
		.amdhsa_exception_int_div_zero 0
	.end_amdhsa_kernel
	.section	.text._ZN7rocprim17ROCPRIM_400000_NS6detail17trampoline_kernelINS0_14default_configENS1_38merge_sort_block_merge_config_selectorIiNS0_10empty_typeEEEZZNS1_27merge_sort_block_merge_implIS3_PiPS5_jNS1_19radix_merge_compareILb1ELb1EiNS0_19identity_decomposerEEEEE10hipError_tT0_T1_T2_jT3_P12ihipStream_tbPNSt15iterator_traitsISE_E10value_typeEPNSK_ISF_E10value_typeEPSG_NS1_7vsmem_tEENKUlT_SE_SF_SG_E_clIS8_S8_S9_S9_EESD_ST_SE_SF_SG_EUlST_E0_NS1_11comp_targetILNS1_3genE2ELNS1_11target_archE906ELNS1_3gpuE6ELNS1_3repE0EEENS1_38merge_mergepath_config_static_selectorELNS0_4arch9wavefront6targetE1EEEvSF_,"axG",@progbits,_ZN7rocprim17ROCPRIM_400000_NS6detail17trampoline_kernelINS0_14default_configENS1_38merge_sort_block_merge_config_selectorIiNS0_10empty_typeEEEZZNS1_27merge_sort_block_merge_implIS3_PiPS5_jNS1_19radix_merge_compareILb1ELb1EiNS0_19identity_decomposerEEEEE10hipError_tT0_T1_T2_jT3_P12ihipStream_tbPNSt15iterator_traitsISE_E10value_typeEPNSK_ISF_E10value_typeEPSG_NS1_7vsmem_tEENKUlT_SE_SF_SG_E_clIS8_S8_S9_S9_EESD_ST_SE_SF_SG_EUlST_E0_NS1_11comp_targetILNS1_3genE2ELNS1_11target_archE906ELNS1_3gpuE6ELNS1_3repE0EEENS1_38merge_mergepath_config_static_selectorELNS0_4arch9wavefront6targetE1EEEvSF_,comdat
.Lfunc_end1983:
	.size	_ZN7rocprim17ROCPRIM_400000_NS6detail17trampoline_kernelINS0_14default_configENS1_38merge_sort_block_merge_config_selectorIiNS0_10empty_typeEEEZZNS1_27merge_sort_block_merge_implIS3_PiPS5_jNS1_19radix_merge_compareILb1ELb1EiNS0_19identity_decomposerEEEEE10hipError_tT0_T1_T2_jT3_P12ihipStream_tbPNSt15iterator_traitsISE_E10value_typeEPNSK_ISF_E10value_typeEPSG_NS1_7vsmem_tEENKUlT_SE_SF_SG_E_clIS8_S8_S9_S9_EESD_ST_SE_SF_SG_EUlST_E0_NS1_11comp_targetILNS1_3genE2ELNS1_11target_archE906ELNS1_3gpuE6ELNS1_3repE0EEENS1_38merge_mergepath_config_static_selectorELNS0_4arch9wavefront6targetE1EEEvSF_, .Lfunc_end1983-_ZN7rocprim17ROCPRIM_400000_NS6detail17trampoline_kernelINS0_14default_configENS1_38merge_sort_block_merge_config_selectorIiNS0_10empty_typeEEEZZNS1_27merge_sort_block_merge_implIS3_PiPS5_jNS1_19radix_merge_compareILb1ELb1EiNS0_19identity_decomposerEEEEE10hipError_tT0_T1_T2_jT3_P12ihipStream_tbPNSt15iterator_traitsISE_E10value_typeEPNSK_ISF_E10value_typeEPSG_NS1_7vsmem_tEENKUlT_SE_SF_SG_E_clIS8_S8_S9_S9_EESD_ST_SE_SF_SG_EUlST_E0_NS1_11comp_targetILNS1_3genE2ELNS1_11target_archE906ELNS1_3gpuE6ELNS1_3repE0EEENS1_38merge_mergepath_config_static_selectorELNS0_4arch9wavefront6targetE1EEEvSF_
                                        ; -- End function
	.section	.AMDGPU.csdata,"",@progbits
; Kernel info:
; codeLenInByte = 0
; NumSgprs: 4
; NumVgprs: 0
; NumAgprs: 0
; TotalNumVgprs: 0
; ScratchSize: 0
; MemoryBound: 0
; FloatMode: 240
; IeeeMode: 1
; LDSByteSize: 0 bytes/workgroup (compile time only)
; SGPRBlocks: 0
; VGPRBlocks: 0
; NumSGPRsForWavesPerEU: 4
; NumVGPRsForWavesPerEU: 1
; AccumOffset: 4
; Occupancy: 8
; WaveLimiterHint : 0
; COMPUTE_PGM_RSRC2:SCRATCH_EN: 0
; COMPUTE_PGM_RSRC2:USER_SGPR: 6
; COMPUTE_PGM_RSRC2:TRAP_HANDLER: 0
; COMPUTE_PGM_RSRC2:TGID_X_EN: 1
; COMPUTE_PGM_RSRC2:TGID_Y_EN: 0
; COMPUTE_PGM_RSRC2:TGID_Z_EN: 0
; COMPUTE_PGM_RSRC2:TIDIG_COMP_CNT: 0
; COMPUTE_PGM_RSRC3_GFX90A:ACCUM_OFFSET: 0
; COMPUTE_PGM_RSRC3_GFX90A:TG_SPLIT: 0
	.section	.text._ZN7rocprim17ROCPRIM_400000_NS6detail17trampoline_kernelINS0_14default_configENS1_38merge_sort_block_merge_config_selectorIiNS0_10empty_typeEEEZZNS1_27merge_sort_block_merge_implIS3_PiPS5_jNS1_19radix_merge_compareILb1ELb1EiNS0_19identity_decomposerEEEEE10hipError_tT0_T1_T2_jT3_P12ihipStream_tbPNSt15iterator_traitsISE_E10value_typeEPNSK_ISF_E10value_typeEPSG_NS1_7vsmem_tEENKUlT_SE_SF_SG_E_clIS8_S8_S9_S9_EESD_ST_SE_SF_SG_EUlST_E0_NS1_11comp_targetILNS1_3genE9ELNS1_11target_archE1100ELNS1_3gpuE3ELNS1_3repE0EEENS1_38merge_mergepath_config_static_selectorELNS0_4arch9wavefront6targetE1EEEvSF_,"axG",@progbits,_ZN7rocprim17ROCPRIM_400000_NS6detail17trampoline_kernelINS0_14default_configENS1_38merge_sort_block_merge_config_selectorIiNS0_10empty_typeEEEZZNS1_27merge_sort_block_merge_implIS3_PiPS5_jNS1_19radix_merge_compareILb1ELb1EiNS0_19identity_decomposerEEEEE10hipError_tT0_T1_T2_jT3_P12ihipStream_tbPNSt15iterator_traitsISE_E10value_typeEPNSK_ISF_E10value_typeEPSG_NS1_7vsmem_tEENKUlT_SE_SF_SG_E_clIS8_S8_S9_S9_EESD_ST_SE_SF_SG_EUlST_E0_NS1_11comp_targetILNS1_3genE9ELNS1_11target_archE1100ELNS1_3gpuE3ELNS1_3repE0EEENS1_38merge_mergepath_config_static_selectorELNS0_4arch9wavefront6targetE1EEEvSF_,comdat
	.protected	_ZN7rocprim17ROCPRIM_400000_NS6detail17trampoline_kernelINS0_14default_configENS1_38merge_sort_block_merge_config_selectorIiNS0_10empty_typeEEEZZNS1_27merge_sort_block_merge_implIS3_PiPS5_jNS1_19radix_merge_compareILb1ELb1EiNS0_19identity_decomposerEEEEE10hipError_tT0_T1_T2_jT3_P12ihipStream_tbPNSt15iterator_traitsISE_E10value_typeEPNSK_ISF_E10value_typeEPSG_NS1_7vsmem_tEENKUlT_SE_SF_SG_E_clIS8_S8_S9_S9_EESD_ST_SE_SF_SG_EUlST_E0_NS1_11comp_targetILNS1_3genE9ELNS1_11target_archE1100ELNS1_3gpuE3ELNS1_3repE0EEENS1_38merge_mergepath_config_static_selectorELNS0_4arch9wavefront6targetE1EEEvSF_ ; -- Begin function _ZN7rocprim17ROCPRIM_400000_NS6detail17trampoline_kernelINS0_14default_configENS1_38merge_sort_block_merge_config_selectorIiNS0_10empty_typeEEEZZNS1_27merge_sort_block_merge_implIS3_PiPS5_jNS1_19radix_merge_compareILb1ELb1EiNS0_19identity_decomposerEEEEE10hipError_tT0_T1_T2_jT3_P12ihipStream_tbPNSt15iterator_traitsISE_E10value_typeEPNSK_ISF_E10value_typeEPSG_NS1_7vsmem_tEENKUlT_SE_SF_SG_E_clIS8_S8_S9_S9_EESD_ST_SE_SF_SG_EUlST_E0_NS1_11comp_targetILNS1_3genE9ELNS1_11target_archE1100ELNS1_3gpuE3ELNS1_3repE0EEENS1_38merge_mergepath_config_static_selectorELNS0_4arch9wavefront6targetE1EEEvSF_
	.globl	_ZN7rocprim17ROCPRIM_400000_NS6detail17trampoline_kernelINS0_14default_configENS1_38merge_sort_block_merge_config_selectorIiNS0_10empty_typeEEEZZNS1_27merge_sort_block_merge_implIS3_PiPS5_jNS1_19radix_merge_compareILb1ELb1EiNS0_19identity_decomposerEEEEE10hipError_tT0_T1_T2_jT3_P12ihipStream_tbPNSt15iterator_traitsISE_E10value_typeEPNSK_ISF_E10value_typeEPSG_NS1_7vsmem_tEENKUlT_SE_SF_SG_E_clIS8_S8_S9_S9_EESD_ST_SE_SF_SG_EUlST_E0_NS1_11comp_targetILNS1_3genE9ELNS1_11target_archE1100ELNS1_3gpuE3ELNS1_3repE0EEENS1_38merge_mergepath_config_static_selectorELNS0_4arch9wavefront6targetE1EEEvSF_
	.p2align	8
	.type	_ZN7rocprim17ROCPRIM_400000_NS6detail17trampoline_kernelINS0_14default_configENS1_38merge_sort_block_merge_config_selectorIiNS0_10empty_typeEEEZZNS1_27merge_sort_block_merge_implIS3_PiPS5_jNS1_19radix_merge_compareILb1ELb1EiNS0_19identity_decomposerEEEEE10hipError_tT0_T1_T2_jT3_P12ihipStream_tbPNSt15iterator_traitsISE_E10value_typeEPNSK_ISF_E10value_typeEPSG_NS1_7vsmem_tEENKUlT_SE_SF_SG_E_clIS8_S8_S9_S9_EESD_ST_SE_SF_SG_EUlST_E0_NS1_11comp_targetILNS1_3genE9ELNS1_11target_archE1100ELNS1_3gpuE3ELNS1_3repE0EEENS1_38merge_mergepath_config_static_selectorELNS0_4arch9wavefront6targetE1EEEvSF_,@function
_ZN7rocprim17ROCPRIM_400000_NS6detail17trampoline_kernelINS0_14default_configENS1_38merge_sort_block_merge_config_selectorIiNS0_10empty_typeEEEZZNS1_27merge_sort_block_merge_implIS3_PiPS5_jNS1_19radix_merge_compareILb1ELb1EiNS0_19identity_decomposerEEEEE10hipError_tT0_T1_T2_jT3_P12ihipStream_tbPNSt15iterator_traitsISE_E10value_typeEPNSK_ISF_E10value_typeEPSG_NS1_7vsmem_tEENKUlT_SE_SF_SG_E_clIS8_S8_S9_S9_EESD_ST_SE_SF_SG_EUlST_E0_NS1_11comp_targetILNS1_3genE9ELNS1_11target_archE1100ELNS1_3gpuE3ELNS1_3repE0EEENS1_38merge_mergepath_config_static_selectorELNS0_4arch9wavefront6targetE1EEEvSF_: ; @_ZN7rocprim17ROCPRIM_400000_NS6detail17trampoline_kernelINS0_14default_configENS1_38merge_sort_block_merge_config_selectorIiNS0_10empty_typeEEEZZNS1_27merge_sort_block_merge_implIS3_PiPS5_jNS1_19radix_merge_compareILb1ELb1EiNS0_19identity_decomposerEEEEE10hipError_tT0_T1_T2_jT3_P12ihipStream_tbPNSt15iterator_traitsISE_E10value_typeEPNSK_ISF_E10value_typeEPSG_NS1_7vsmem_tEENKUlT_SE_SF_SG_E_clIS8_S8_S9_S9_EESD_ST_SE_SF_SG_EUlST_E0_NS1_11comp_targetILNS1_3genE9ELNS1_11target_archE1100ELNS1_3gpuE3ELNS1_3repE0EEENS1_38merge_mergepath_config_static_selectorELNS0_4arch9wavefront6targetE1EEEvSF_
; %bb.0:
	.section	.rodata,"a",@progbits
	.p2align	6, 0x0
	.amdhsa_kernel _ZN7rocprim17ROCPRIM_400000_NS6detail17trampoline_kernelINS0_14default_configENS1_38merge_sort_block_merge_config_selectorIiNS0_10empty_typeEEEZZNS1_27merge_sort_block_merge_implIS3_PiPS5_jNS1_19radix_merge_compareILb1ELb1EiNS0_19identity_decomposerEEEEE10hipError_tT0_T1_T2_jT3_P12ihipStream_tbPNSt15iterator_traitsISE_E10value_typeEPNSK_ISF_E10value_typeEPSG_NS1_7vsmem_tEENKUlT_SE_SF_SG_E_clIS8_S8_S9_S9_EESD_ST_SE_SF_SG_EUlST_E0_NS1_11comp_targetILNS1_3genE9ELNS1_11target_archE1100ELNS1_3gpuE3ELNS1_3repE0EEENS1_38merge_mergepath_config_static_selectorELNS0_4arch9wavefront6targetE1EEEvSF_
		.amdhsa_group_segment_fixed_size 0
		.amdhsa_private_segment_fixed_size 0
		.amdhsa_kernarg_size 64
		.amdhsa_user_sgpr_count 6
		.amdhsa_user_sgpr_private_segment_buffer 1
		.amdhsa_user_sgpr_dispatch_ptr 0
		.amdhsa_user_sgpr_queue_ptr 0
		.amdhsa_user_sgpr_kernarg_segment_ptr 1
		.amdhsa_user_sgpr_dispatch_id 0
		.amdhsa_user_sgpr_flat_scratch_init 0
		.amdhsa_user_sgpr_kernarg_preload_length 0
		.amdhsa_user_sgpr_kernarg_preload_offset 0
		.amdhsa_user_sgpr_private_segment_size 0
		.amdhsa_uses_dynamic_stack 0
		.amdhsa_system_sgpr_private_segment_wavefront_offset 0
		.amdhsa_system_sgpr_workgroup_id_x 1
		.amdhsa_system_sgpr_workgroup_id_y 0
		.amdhsa_system_sgpr_workgroup_id_z 0
		.amdhsa_system_sgpr_workgroup_info 0
		.amdhsa_system_vgpr_workitem_id 0
		.amdhsa_next_free_vgpr 1
		.amdhsa_next_free_sgpr 0
		.amdhsa_accum_offset 4
		.amdhsa_reserve_vcc 0
		.amdhsa_reserve_flat_scratch 0
		.amdhsa_float_round_mode_32 0
		.amdhsa_float_round_mode_16_64 0
		.amdhsa_float_denorm_mode_32 3
		.amdhsa_float_denorm_mode_16_64 3
		.amdhsa_dx10_clamp 1
		.amdhsa_ieee_mode 1
		.amdhsa_fp16_overflow 0
		.amdhsa_tg_split 0
		.amdhsa_exception_fp_ieee_invalid_op 0
		.amdhsa_exception_fp_denorm_src 0
		.amdhsa_exception_fp_ieee_div_zero 0
		.amdhsa_exception_fp_ieee_overflow 0
		.amdhsa_exception_fp_ieee_underflow 0
		.amdhsa_exception_fp_ieee_inexact 0
		.amdhsa_exception_int_div_zero 0
	.end_amdhsa_kernel
	.section	.text._ZN7rocprim17ROCPRIM_400000_NS6detail17trampoline_kernelINS0_14default_configENS1_38merge_sort_block_merge_config_selectorIiNS0_10empty_typeEEEZZNS1_27merge_sort_block_merge_implIS3_PiPS5_jNS1_19radix_merge_compareILb1ELb1EiNS0_19identity_decomposerEEEEE10hipError_tT0_T1_T2_jT3_P12ihipStream_tbPNSt15iterator_traitsISE_E10value_typeEPNSK_ISF_E10value_typeEPSG_NS1_7vsmem_tEENKUlT_SE_SF_SG_E_clIS8_S8_S9_S9_EESD_ST_SE_SF_SG_EUlST_E0_NS1_11comp_targetILNS1_3genE9ELNS1_11target_archE1100ELNS1_3gpuE3ELNS1_3repE0EEENS1_38merge_mergepath_config_static_selectorELNS0_4arch9wavefront6targetE1EEEvSF_,"axG",@progbits,_ZN7rocprim17ROCPRIM_400000_NS6detail17trampoline_kernelINS0_14default_configENS1_38merge_sort_block_merge_config_selectorIiNS0_10empty_typeEEEZZNS1_27merge_sort_block_merge_implIS3_PiPS5_jNS1_19radix_merge_compareILb1ELb1EiNS0_19identity_decomposerEEEEE10hipError_tT0_T1_T2_jT3_P12ihipStream_tbPNSt15iterator_traitsISE_E10value_typeEPNSK_ISF_E10value_typeEPSG_NS1_7vsmem_tEENKUlT_SE_SF_SG_E_clIS8_S8_S9_S9_EESD_ST_SE_SF_SG_EUlST_E0_NS1_11comp_targetILNS1_3genE9ELNS1_11target_archE1100ELNS1_3gpuE3ELNS1_3repE0EEENS1_38merge_mergepath_config_static_selectorELNS0_4arch9wavefront6targetE1EEEvSF_,comdat
.Lfunc_end1984:
	.size	_ZN7rocprim17ROCPRIM_400000_NS6detail17trampoline_kernelINS0_14default_configENS1_38merge_sort_block_merge_config_selectorIiNS0_10empty_typeEEEZZNS1_27merge_sort_block_merge_implIS3_PiPS5_jNS1_19radix_merge_compareILb1ELb1EiNS0_19identity_decomposerEEEEE10hipError_tT0_T1_T2_jT3_P12ihipStream_tbPNSt15iterator_traitsISE_E10value_typeEPNSK_ISF_E10value_typeEPSG_NS1_7vsmem_tEENKUlT_SE_SF_SG_E_clIS8_S8_S9_S9_EESD_ST_SE_SF_SG_EUlST_E0_NS1_11comp_targetILNS1_3genE9ELNS1_11target_archE1100ELNS1_3gpuE3ELNS1_3repE0EEENS1_38merge_mergepath_config_static_selectorELNS0_4arch9wavefront6targetE1EEEvSF_, .Lfunc_end1984-_ZN7rocprim17ROCPRIM_400000_NS6detail17trampoline_kernelINS0_14default_configENS1_38merge_sort_block_merge_config_selectorIiNS0_10empty_typeEEEZZNS1_27merge_sort_block_merge_implIS3_PiPS5_jNS1_19radix_merge_compareILb1ELb1EiNS0_19identity_decomposerEEEEE10hipError_tT0_T1_T2_jT3_P12ihipStream_tbPNSt15iterator_traitsISE_E10value_typeEPNSK_ISF_E10value_typeEPSG_NS1_7vsmem_tEENKUlT_SE_SF_SG_E_clIS8_S8_S9_S9_EESD_ST_SE_SF_SG_EUlST_E0_NS1_11comp_targetILNS1_3genE9ELNS1_11target_archE1100ELNS1_3gpuE3ELNS1_3repE0EEENS1_38merge_mergepath_config_static_selectorELNS0_4arch9wavefront6targetE1EEEvSF_
                                        ; -- End function
	.section	.AMDGPU.csdata,"",@progbits
; Kernel info:
; codeLenInByte = 0
; NumSgprs: 4
; NumVgprs: 0
; NumAgprs: 0
; TotalNumVgprs: 0
; ScratchSize: 0
; MemoryBound: 0
; FloatMode: 240
; IeeeMode: 1
; LDSByteSize: 0 bytes/workgroup (compile time only)
; SGPRBlocks: 0
; VGPRBlocks: 0
; NumSGPRsForWavesPerEU: 4
; NumVGPRsForWavesPerEU: 1
; AccumOffset: 4
; Occupancy: 8
; WaveLimiterHint : 0
; COMPUTE_PGM_RSRC2:SCRATCH_EN: 0
; COMPUTE_PGM_RSRC2:USER_SGPR: 6
; COMPUTE_PGM_RSRC2:TRAP_HANDLER: 0
; COMPUTE_PGM_RSRC2:TGID_X_EN: 1
; COMPUTE_PGM_RSRC2:TGID_Y_EN: 0
; COMPUTE_PGM_RSRC2:TGID_Z_EN: 0
; COMPUTE_PGM_RSRC2:TIDIG_COMP_CNT: 0
; COMPUTE_PGM_RSRC3_GFX90A:ACCUM_OFFSET: 0
; COMPUTE_PGM_RSRC3_GFX90A:TG_SPLIT: 0
	.section	.text._ZN7rocprim17ROCPRIM_400000_NS6detail17trampoline_kernelINS0_14default_configENS1_38merge_sort_block_merge_config_selectorIiNS0_10empty_typeEEEZZNS1_27merge_sort_block_merge_implIS3_PiPS5_jNS1_19radix_merge_compareILb1ELb1EiNS0_19identity_decomposerEEEEE10hipError_tT0_T1_T2_jT3_P12ihipStream_tbPNSt15iterator_traitsISE_E10value_typeEPNSK_ISF_E10value_typeEPSG_NS1_7vsmem_tEENKUlT_SE_SF_SG_E_clIS8_S8_S9_S9_EESD_ST_SE_SF_SG_EUlST_E0_NS1_11comp_targetILNS1_3genE8ELNS1_11target_archE1030ELNS1_3gpuE2ELNS1_3repE0EEENS1_38merge_mergepath_config_static_selectorELNS0_4arch9wavefront6targetE1EEEvSF_,"axG",@progbits,_ZN7rocprim17ROCPRIM_400000_NS6detail17trampoline_kernelINS0_14default_configENS1_38merge_sort_block_merge_config_selectorIiNS0_10empty_typeEEEZZNS1_27merge_sort_block_merge_implIS3_PiPS5_jNS1_19radix_merge_compareILb1ELb1EiNS0_19identity_decomposerEEEEE10hipError_tT0_T1_T2_jT3_P12ihipStream_tbPNSt15iterator_traitsISE_E10value_typeEPNSK_ISF_E10value_typeEPSG_NS1_7vsmem_tEENKUlT_SE_SF_SG_E_clIS8_S8_S9_S9_EESD_ST_SE_SF_SG_EUlST_E0_NS1_11comp_targetILNS1_3genE8ELNS1_11target_archE1030ELNS1_3gpuE2ELNS1_3repE0EEENS1_38merge_mergepath_config_static_selectorELNS0_4arch9wavefront6targetE1EEEvSF_,comdat
	.protected	_ZN7rocprim17ROCPRIM_400000_NS6detail17trampoline_kernelINS0_14default_configENS1_38merge_sort_block_merge_config_selectorIiNS0_10empty_typeEEEZZNS1_27merge_sort_block_merge_implIS3_PiPS5_jNS1_19radix_merge_compareILb1ELb1EiNS0_19identity_decomposerEEEEE10hipError_tT0_T1_T2_jT3_P12ihipStream_tbPNSt15iterator_traitsISE_E10value_typeEPNSK_ISF_E10value_typeEPSG_NS1_7vsmem_tEENKUlT_SE_SF_SG_E_clIS8_S8_S9_S9_EESD_ST_SE_SF_SG_EUlST_E0_NS1_11comp_targetILNS1_3genE8ELNS1_11target_archE1030ELNS1_3gpuE2ELNS1_3repE0EEENS1_38merge_mergepath_config_static_selectorELNS0_4arch9wavefront6targetE1EEEvSF_ ; -- Begin function _ZN7rocprim17ROCPRIM_400000_NS6detail17trampoline_kernelINS0_14default_configENS1_38merge_sort_block_merge_config_selectorIiNS0_10empty_typeEEEZZNS1_27merge_sort_block_merge_implIS3_PiPS5_jNS1_19radix_merge_compareILb1ELb1EiNS0_19identity_decomposerEEEEE10hipError_tT0_T1_T2_jT3_P12ihipStream_tbPNSt15iterator_traitsISE_E10value_typeEPNSK_ISF_E10value_typeEPSG_NS1_7vsmem_tEENKUlT_SE_SF_SG_E_clIS8_S8_S9_S9_EESD_ST_SE_SF_SG_EUlST_E0_NS1_11comp_targetILNS1_3genE8ELNS1_11target_archE1030ELNS1_3gpuE2ELNS1_3repE0EEENS1_38merge_mergepath_config_static_selectorELNS0_4arch9wavefront6targetE1EEEvSF_
	.globl	_ZN7rocprim17ROCPRIM_400000_NS6detail17trampoline_kernelINS0_14default_configENS1_38merge_sort_block_merge_config_selectorIiNS0_10empty_typeEEEZZNS1_27merge_sort_block_merge_implIS3_PiPS5_jNS1_19radix_merge_compareILb1ELb1EiNS0_19identity_decomposerEEEEE10hipError_tT0_T1_T2_jT3_P12ihipStream_tbPNSt15iterator_traitsISE_E10value_typeEPNSK_ISF_E10value_typeEPSG_NS1_7vsmem_tEENKUlT_SE_SF_SG_E_clIS8_S8_S9_S9_EESD_ST_SE_SF_SG_EUlST_E0_NS1_11comp_targetILNS1_3genE8ELNS1_11target_archE1030ELNS1_3gpuE2ELNS1_3repE0EEENS1_38merge_mergepath_config_static_selectorELNS0_4arch9wavefront6targetE1EEEvSF_
	.p2align	8
	.type	_ZN7rocprim17ROCPRIM_400000_NS6detail17trampoline_kernelINS0_14default_configENS1_38merge_sort_block_merge_config_selectorIiNS0_10empty_typeEEEZZNS1_27merge_sort_block_merge_implIS3_PiPS5_jNS1_19radix_merge_compareILb1ELb1EiNS0_19identity_decomposerEEEEE10hipError_tT0_T1_T2_jT3_P12ihipStream_tbPNSt15iterator_traitsISE_E10value_typeEPNSK_ISF_E10value_typeEPSG_NS1_7vsmem_tEENKUlT_SE_SF_SG_E_clIS8_S8_S9_S9_EESD_ST_SE_SF_SG_EUlST_E0_NS1_11comp_targetILNS1_3genE8ELNS1_11target_archE1030ELNS1_3gpuE2ELNS1_3repE0EEENS1_38merge_mergepath_config_static_selectorELNS0_4arch9wavefront6targetE1EEEvSF_,@function
_ZN7rocprim17ROCPRIM_400000_NS6detail17trampoline_kernelINS0_14default_configENS1_38merge_sort_block_merge_config_selectorIiNS0_10empty_typeEEEZZNS1_27merge_sort_block_merge_implIS3_PiPS5_jNS1_19radix_merge_compareILb1ELb1EiNS0_19identity_decomposerEEEEE10hipError_tT0_T1_T2_jT3_P12ihipStream_tbPNSt15iterator_traitsISE_E10value_typeEPNSK_ISF_E10value_typeEPSG_NS1_7vsmem_tEENKUlT_SE_SF_SG_E_clIS8_S8_S9_S9_EESD_ST_SE_SF_SG_EUlST_E0_NS1_11comp_targetILNS1_3genE8ELNS1_11target_archE1030ELNS1_3gpuE2ELNS1_3repE0EEENS1_38merge_mergepath_config_static_selectorELNS0_4arch9wavefront6targetE1EEEvSF_: ; @_ZN7rocprim17ROCPRIM_400000_NS6detail17trampoline_kernelINS0_14default_configENS1_38merge_sort_block_merge_config_selectorIiNS0_10empty_typeEEEZZNS1_27merge_sort_block_merge_implIS3_PiPS5_jNS1_19radix_merge_compareILb1ELb1EiNS0_19identity_decomposerEEEEE10hipError_tT0_T1_T2_jT3_P12ihipStream_tbPNSt15iterator_traitsISE_E10value_typeEPNSK_ISF_E10value_typeEPSG_NS1_7vsmem_tEENKUlT_SE_SF_SG_E_clIS8_S8_S9_S9_EESD_ST_SE_SF_SG_EUlST_E0_NS1_11comp_targetILNS1_3genE8ELNS1_11target_archE1030ELNS1_3gpuE2ELNS1_3repE0EEENS1_38merge_mergepath_config_static_selectorELNS0_4arch9wavefront6targetE1EEEvSF_
; %bb.0:
	.section	.rodata,"a",@progbits
	.p2align	6, 0x0
	.amdhsa_kernel _ZN7rocprim17ROCPRIM_400000_NS6detail17trampoline_kernelINS0_14default_configENS1_38merge_sort_block_merge_config_selectorIiNS0_10empty_typeEEEZZNS1_27merge_sort_block_merge_implIS3_PiPS5_jNS1_19radix_merge_compareILb1ELb1EiNS0_19identity_decomposerEEEEE10hipError_tT0_T1_T2_jT3_P12ihipStream_tbPNSt15iterator_traitsISE_E10value_typeEPNSK_ISF_E10value_typeEPSG_NS1_7vsmem_tEENKUlT_SE_SF_SG_E_clIS8_S8_S9_S9_EESD_ST_SE_SF_SG_EUlST_E0_NS1_11comp_targetILNS1_3genE8ELNS1_11target_archE1030ELNS1_3gpuE2ELNS1_3repE0EEENS1_38merge_mergepath_config_static_selectorELNS0_4arch9wavefront6targetE1EEEvSF_
		.amdhsa_group_segment_fixed_size 0
		.amdhsa_private_segment_fixed_size 0
		.amdhsa_kernarg_size 64
		.amdhsa_user_sgpr_count 6
		.amdhsa_user_sgpr_private_segment_buffer 1
		.amdhsa_user_sgpr_dispatch_ptr 0
		.amdhsa_user_sgpr_queue_ptr 0
		.amdhsa_user_sgpr_kernarg_segment_ptr 1
		.amdhsa_user_sgpr_dispatch_id 0
		.amdhsa_user_sgpr_flat_scratch_init 0
		.amdhsa_user_sgpr_kernarg_preload_length 0
		.amdhsa_user_sgpr_kernarg_preload_offset 0
		.amdhsa_user_sgpr_private_segment_size 0
		.amdhsa_uses_dynamic_stack 0
		.amdhsa_system_sgpr_private_segment_wavefront_offset 0
		.amdhsa_system_sgpr_workgroup_id_x 1
		.amdhsa_system_sgpr_workgroup_id_y 0
		.amdhsa_system_sgpr_workgroup_id_z 0
		.amdhsa_system_sgpr_workgroup_info 0
		.amdhsa_system_vgpr_workitem_id 0
		.amdhsa_next_free_vgpr 1
		.amdhsa_next_free_sgpr 0
		.amdhsa_accum_offset 4
		.amdhsa_reserve_vcc 0
		.amdhsa_reserve_flat_scratch 0
		.amdhsa_float_round_mode_32 0
		.amdhsa_float_round_mode_16_64 0
		.amdhsa_float_denorm_mode_32 3
		.amdhsa_float_denorm_mode_16_64 3
		.amdhsa_dx10_clamp 1
		.amdhsa_ieee_mode 1
		.amdhsa_fp16_overflow 0
		.amdhsa_tg_split 0
		.amdhsa_exception_fp_ieee_invalid_op 0
		.amdhsa_exception_fp_denorm_src 0
		.amdhsa_exception_fp_ieee_div_zero 0
		.amdhsa_exception_fp_ieee_overflow 0
		.amdhsa_exception_fp_ieee_underflow 0
		.amdhsa_exception_fp_ieee_inexact 0
		.amdhsa_exception_int_div_zero 0
	.end_amdhsa_kernel
	.section	.text._ZN7rocprim17ROCPRIM_400000_NS6detail17trampoline_kernelINS0_14default_configENS1_38merge_sort_block_merge_config_selectorIiNS0_10empty_typeEEEZZNS1_27merge_sort_block_merge_implIS3_PiPS5_jNS1_19radix_merge_compareILb1ELb1EiNS0_19identity_decomposerEEEEE10hipError_tT0_T1_T2_jT3_P12ihipStream_tbPNSt15iterator_traitsISE_E10value_typeEPNSK_ISF_E10value_typeEPSG_NS1_7vsmem_tEENKUlT_SE_SF_SG_E_clIS8_S8_S9_S9_EESD_ST_SE_SF_SG_EUlST_E0_NS1_11comp_targetILNS1_3genE8ELNS1_11target_archE1030ELNS1_3gpuE2ELNS1_3repE0EEENS1_38merge_mergepath_config_static_selectorELNS0_4arch9wavefront6targetE1EEEvSF_,"axG",@progbits,_ZN7rocprim17ROCPRIM_400000_NS6detail17trampoline_kernelINS0_14default_configENS1_38merge_sort_block_merge_config_selectorIiNS0_10empty_typeEEEZZNS1_27merge_sort_block_merge_implIS3_PiPS5_jNS1_19radix_merge_compareILb1ELb1EiNS0_19identity_decomposerEEEEE10hipError_tT0_T1_T2_jT3_P12ihipStream_tbPNSt15iterator_traitsISE_E10value_typeEPNSK_ISF_E10value_typeEPSG_NS1_7vsmem_tEENKUlT_SE_SF_SG_E_clIS8_S8_S9_S9_EESD_ST_SE_SF_SG_EUlST_E0_NS1_11comp_targetILNS1_3genE8ELNS1_11target_archE1030ELNS1_3gpuE2ELNS1_3repE0EEENS1_38merge_mergepath_config_static_selectorELNS0_4arch9wavefront6targetE1EEEvSF_,comdat
.Lfunc_end1985:
	.size	_ZN7rocprim17ROCPRIM_400000_NS6detail17trampoline_kernelINS0_14default_configENS1_38merge_sort_block_merge_config_selectorIiNS0_10empty_typeEEEZZNS1_27merge_sort_block_merge_implIS3_PiPS5_jNS1_19radix_merge_compareILb1ELb1EiNS0_19identity_decomposerEEEEE10hipError_tT0_T1_T2_jT3_P12ihipStream_tbPNSt15iterator_traitsISE_E10value_typeEPNSK_ISF_E10value_typeEPSG_NS1_7vsmem_tEENKUlT_SE_SF_SG_E_clIS8_S8_S9_S9_EESD_ST_SE_SF_SG_EUlST_E0_NS1_11comp_targetILNS1_3genE8ELNS1_11target_archE1030ELNS1_3gpuE2ELNS1_3repE0EEENS1_38merge_mergepath_config_static_selectorELNS0_4arch9wavefront6targetE1EEEvSF_, .Lfunc_end1985-_ZN7rocprim17ROCPRIM_400000_NS6detail17trampoline_kernelINS0_14default_configENS1_38merge_sort_block_merge_config_selectorIiNS0_10empty_typeEEEZZNS1_27merge_sort_block_merge_implIS3_PiPS5_jNS1_19radix_merge_compareILb1ELb1EiNS0_19identity_decomposerEEEEE10hipError_tT0_T1_T2_jT3_P12ihipStream_tbPNSt15iterator_traitsISE_E10value_typeEPNSK_ISF_E10value_typeEPSG_NS1_7vsmem_tEENKUlT_SE_SF_SG_E_clIS8_S8_S9_S9_EESD_ST_SE_SF_SG_EUlST_E0_NS1_11comp_targetILNS1_3genE8ELNS1_11target_archE1030ELNS1_3gpuE2ELNS1_3repE0EEENS1_38merge_mergepath_config_static_selectorELNS0_4arch9wavefront6targetE1EEEvSF_
                                        ; -- End function
	.section	.AMDGPU.csdata,"",@progbits
; Kernel info:
; codeLenInByte = 0
; NumSgprs: 4
; NumVgprs: 0
; NumAgprs: 0
; TotalNumVgprs: 0
; ScratchSize: 0
; MemoryBound: 0
; FloatMode: 240
; IeeeMode: 1
; LDSByteSize: 0 bytes/workgroup (compile time only)
; SGPRBlocks: 0
; VGPRBlocks: 0
; NumSGPRsForWavesPerEU: 4
; NumVGPRsForWavesPerEU: 1
; AccumOffset: 4
; Occupancy: 8
; WaveLimiterHint : 0
; COMPUTE_PGM_RSRC2:SCRATCH_EN: 0
; COMPUTE_PGM_RSRC2:USER_SGPR: 6
; COMPUTE_PGM_RSRC2:TRAP_HANDLER: 0
; COMPUTE_PGM_RSRC2:TGID_X_EN: 1
; COMPUTE_PGM_RSRC2:TGID_Y_EN: 0
; COMPUTE_PGM_RSRC2:TGID_Z_EN: 0
; COMPUTE_PGM_RSRC2:TIDIG_COMP_CNT: 0
; COMPUTE_PGM_RSRC3_GFX90A:ACCUM_OFFSET: 0
; COMPUTE_PGM_RSRC3_GFX90A:TG_SPLIT: 0
	.section	.text._ZN7rocprim17ROCPRIM_400000_NS6detail17trampoline_kernelINS0_14default_configENS1_38merge_sort_block_merge_config_selectorIiNS0_10empty_typeEEEZZNS1_27merge_sort_block_merge_implIS3_PiPS5_jNS1_19radix_merge_compareILb1ELb1EiNS0_19identity_decomposerEEEEE10hipError_tT0_T1_T2_jT3_P12ihipStream_tbPNSt15iterator_traitsISE_E10value_typeEPNSK_ISF_E10value_typeEPSG_NS1_7vsmem_tEENKUlT_SE_SF_SG_E_clIS8_S8_S9_S9_EESD_ST_SE_SF_SG_EUlST_E1_NS1_11comp_targetILNS1_3genE0ELNS1_11target_archE4294967295ELNS1_3gpuE0ELNS1_3repE0EEENS1_36merge_oddeven_config_static_selectorELNS0_4arch9wavefront6targetE1EEEvSF_,"axG",@progbits,_ZN7rocprim17ROCPRIM_400000_NS6detail17trampoline_kernelINS0_14default_configENS1_38merge_sort_block_merge_config_selectorIiNS0_10empty_typeEEEZZNS1_27merge_sort_block_merge_implIS3_PiPS5_jNS1_19radix_merge_compareILb1ELb1EiNS0_19identity_decomposerEEEEE10hipError_tT0_T1_T2_jT3_P12ihipStream_tbPNSt15iterator_traitsISE_E10value_typeEPNSK_ISF_E10value_typeEPSG_NS1_7vsmem_tEENKUlT_SE_SF_SG_E_clIS8_S8_S9_S9_EESD_ST_SE_SF_SG_EUlST_E1_NS1_11comp_targetILNS1_3genE0ELNS1_11target_archE4294967295ELNS1_3gpuE0ELNS1_3repE0EEENS1_36merge_oddeven_config_static_selectorELNS0_4arch9wavefront6targetE1EEEvSF_,comdat
	.protected	_ZN7rocprim17ROCPRIM_400000_NS6detail17trampoline_kernelINS0_14default_configENS1_38merge_sort_block_merge_config_selectorIiNS0_10empty_typeEEEZZNS1_27merge_sort_block_merge_implIS3_PiPS5_jNS1_19radix_merge_compareILb1ELb1EiNS0_19identity_decomposerEEEEE10hipError_tT0_T1_T2_jT3_P12ihipStream_tbPNSt15iterator_traitsISE_E10value_typeEPNSK_ISF_E10value_typeEPSG_NS1_7vsmem_tEENKUlT_SE_SF_SG_E_clIS8_S8_S9_S9_EESD_ST_SE_SF_SG_EUlST_E1_NS1_11comp_targetILNS1_3genE0ELNS1_11target_archE4294967295ELNS1_3gpuE0ELNS1_3repE0EEENS1_36merge_oddeven_config_static_selectorELNS0_4arch9wavefront6targetE1EEEvSF_ ; -- Begin function _ZN7rocprim17ROCPRIM_400000_NS6detail17trampoline_kernelINS0_14default_configENS1_38merge_sort_block_merge_config_selectorIiNS0_10empty_typeEEEZZNS1_27merge_sort_block_merge_implIS3_PiPS5_jNS1_19radix_merge_compareILb1ELb1EiNS0_19identity_decomposerEEEEE10hipError_tT0_T1_T2_jT3_P12ihipStream_tbPNSt15iterator_traitsISE_E10value_typeEPNSK_ISF_E10value_typeEPSG_NS1_7vsmem_tEENKUlT_SE_SF_SG_E_clIS8_S8_S9_S9_EESD_ST_SE_SF_SG_EUlST_E1_NS1_11comp_targetILNS1_3genE0ELNS1_11target_archE4294967295ELNS1_3gpuE0ELNS1_3repE0EEENS1_36merge_oddeven_config_static_selectorELNS0_4arch9wavefront6targetE1EEEvSF_
	.globl	_ZN7rocprim17ROCPRIM_400000_NS6detail17trampoline_kernelINS0_14default_configENS1_38merge_sort_block_merge_config_selectorIiNS0_10empty_typeEEEZZNS1_27merge_sort_block_merge_implIS3_PiPS5_jNS1_19radix_merge_compareILb1ELb1EiNS0_19identity_decomposerEEEEE10hipError_tT0_T1_T2_jT3_P12ihipStream_tbPNSt15iterator_traitsISE_E10value_typeEPNSK_ISF_E10value_typeEPSG_NS1_7vsmem_tEENKUlT_SE_SF_SG_E_clIS8_S8_S9_S9_EESD_ST_SE_SF_SG_EUlST_E1_NS1_11comp_targetILNS1_3genE0ELNS1_11target_archE4294967295ELNS1_3gpuE0ELNS1_3repE0EEENS1_36merge_oddeven_config_static_selectorELNS0_4arch9wavefront6targetE1EEEvSF_
	.p2align	8
	.type	_ZN7rocprim17ROCPRIM_400000_NS6detail17trampoline_kernelINS0_14default_configENS1_38merge_sort_block_merge_config_selectorIiNS0_10empty_typeEEEZZNS1_27merge_sort_block_merge_implIS3_PiPS5_jNS1_19radix_merge_compareILb1ELb1EiNS0_19identity_decomposerEEEEE10hipError_tT0_T1_T2_jT3_P12ihipStream_tbPNSt15iterator_traitsISE_E10value_typeEPNSK_ISF_E10value_typeEPSG_NS1_7vsmem_tEENKUlT_SE_SF_SG_E_clIS8_S8_S9_S9_EESD_ST_SE_SF_SG_EUlST_E1_NS1_11comp_targetILNS1_3genE0ELNS1_11target_archE4294967295ELNS1_3gpuE0ELNS1_3repE0EEENS1_36merge_oddeven_config_static_selectorELNS0_4arch9wavefront6targetE1EEEvSF_,@function
_ZN7rocprim17ROCPRIM_400000_NS6detail17trampoline_kernelINS0_14default_configENS1_38merge_sort_block_merge_config_selectorIiNS0_10empty_typeEEEZZNS1_27merge_sort_block_merge_implIS3_PiPS5_jNS1_19radix_merge_compareILb1ELb1EiNS0_19identity_decomposerEEEEE10hipError_tT0_T1_T2_jT3_P12ihipStream_tbPNSt15iterator_traitsISE_E10value_typeEPNSK_ISF_E10value_typeEPSG_NS1_7vsmem_tEENKUlT_SE_SF_SG_E_clIS8_S8_S9_S9_EESD_ST_SE_SF_SG_EUlST_E1_NS1_11comp_targetILNS1_3genE0ELNS1_11target_archE4294967295ELNS1_3gpuE0ELNS1_3repE0EEENS1_36merge_oddeven_config_static_selectorELNS0_4arch9wavefront6targetE1EEEvSF_: ; @_ZN7rocprim17ROCPRIM_400000_NS6detail17trampoline_kernelINS0_14default_configENS1_38merge_sort_block_merge_config_selectorIiNS0_10empty_typeEEEZZNS1_27merge_sort_block_merge_implIS3_PiPS5_jNS1_19radix_merge_compareILb1ELb1EiNS0_19identity_decomposerEEEEE10hipError_tT0_T1_T2_jT3_P12ihipStream_tbPNSt15iterator_traitsISE_E10value_typeEPNSK_ISF_E10value_typeEPSG_NS1_7vsmem_tEENKUlT_SE_SF_SG_E_clIS8_S8_S9_S9_EESD_ST_SE_SF_SG_EUlST_E1_NS1_11comp_targetILNS1_3genE0ELNS1_11target_archE4294967295ELNS1_3gpuE0ELNS1_3repE0EEENS1_36merge_oddeven_config_static_selectorELNS0_4arch9wavefront6targetE1EEEvSF_
; %bb.0:
	.section	.rodata,"a",@progbits
	.p2align	6, 0x0
	.amdhsa_kernel _ZN7rocprim17ROCPRIM_400000_NS6detail17trampoline_kernelINS0_14default_configENS1_38merge_sort_block_merge_config_selectorIiNS0_10empty_typeEEEZZNS1_27merge_sort_block_merge_implIS3_PiPS5_jNS1_19radix_merge_compareILb1ELb1EiNS0_19identity_decomposerEEEEE10hipError_tT0_T1_T2_jT3_P12ihipStream_tbPNSt15iterator_traitsISE_E10value_typeEPNSK_ISF_E10value_typeEPSG_NS1_7vsmem_tEENKUlT_SE_SF_SG_E_clIS8_S8_S9_S9_EESD_ST_SE_SF_SG_EUlST_E1_NS1_11comp_targetILNS1_3genE0ELNS1_11target_archE4294967295ELNS1_3gpuE0ELNS1_3repE0EEENS1_36merge_oddeven_config_static_selectorELNS0_4arch9wavefront6targetE1EEEvSF_
		.amdhsa_group_segment_fixed_size 0
		.amdhsa_private_segment_fixed_size 0
		.amdhsa_kernarg_size 48
		.amdhsa_user_sgpr_count 6
		.amdhsa_user_sgpr_private_segment_buffer 1
		.amdhsa_user_sgpr_dispatch_ptr 0
		.amdhsa_user_sgpr_queue_ptr 0
		.amdhsa_user_sgpr_kernarg_segment_ptr 1
		.amdhsa_user_sgpr_dispatch_id 0
		.amdhsa_user_sgpr_flat_scratch_init 0
		.amdhsa_user_sgpr_kernarg_preload_length 0
		.amdhsa_user_sgpr_kernarg_preload_offset 0
		.amdhsa_user_sgpr_private_segment_size 0
		.amdhsa_uses_dynamic_stack 0
		.amdhsa_system_sgpr_private_segment_wavefront_offset 0
		.amdhsa_system_sgpr_workgroup_id_x 1
		.amdhsa_system_sgpr_workgroup_id_y 0
		.amdhsa_system_sgpr_workgroup_id_z 0
		.amdhsa_system_sgpr_workgroup_info 0
		.amdhsa_system_vgpr_workitem_id 0
		.amdhsa_next_free_vgpr 1
		.amdhsa_next_free_sgpr 0
		.amdhsa_accum_offset 4
		.amdhsa_reserve_vcc 0
		.amdhsa_reserve_flat_scratch 0
		.amdhsa_float_round_mode_32 0
		.amdhsa_float_round_mode_16_64 0
		.amdhsa_float_denorm_mode_32 3
		.amdhsa_float_denorm_mode_16_64 3
		.amdhsa_dx10_clamp 1
		.amdhsa_ieee_mode 1
		.amdhsa_fp16_overflow 0
		.amdhsa_tg_split 0
		.amdhsa_exception_fp_ieee_invalid_op 0
		.amdhsa_exception_fp_denorm_src 0
		.amdhsa_exception_fp_ieee_div_zero 0
		.amdhsa_exception_fp_ieee_overflow 0
		.amdhsa_exception_fp_ieee_underflow 0
		.amdhsa_exception_fp_ieee_inexact 0
		.amdhsa_exception_int_div_zero 0
	.end_amdhsa_kernel
	.section	.text._ZN7rocprim17ROCPRIM_400000_NS6detail17trampoline_kernelINS0_14default_configENS1_38merge_sort_block_merge_config_selectorIiNS0_10empty_typeEEEZZNS1_27merge_sort_block_merge_implIS3_PiPS5_jNS1_19radix_merge_compareILb1ELb1EiNS0_19identity_decomposerEEEEE10hipError_tT0_T1_T2_jT3_P12ihipStream_tbPNSt15iterator_traitsISE_E10value_typeEPNSK_ISF_E10value_typeEPSG_NS1_7vsmem_tEENKUlT_SE_SF_SG_E_clIS8_S8_S9_S9_EESD_ST_SE_SF_SG_EUlST_E1_NS1_11comp_targetILNS1_3genE0ELNS1_11target_archE4294967295ELNS1_3gpuE0ELNS1_3repE0EEENS1_36merge_oddeven_config_static_selectorELNS0_4arch9wavefront6targetE1EEEvSF_,"axG",@progbits,_ZN7rocprim17ROCPRIM_400000_NS6detail17trampoline_kernelINS0_14default_configENS1_38merge_sort_block_merge_config_selectorIiNS0_10empty_typeEEEZZNS1_27merge_sort_block_merge_implIS3_PiPS5_jNS1_19radix_merge_compareILb1ELb1EiNS0_19identity_decomposerEEEEE10hipError_tT0_T1_T2_jT3_P12ihipStream_tbPNSt15iterator_traitsISE_E10value_typeEPNSK_ISF_E10value_typeEPSG_NS1_7vsmem_tEENKUlT_SE_SF_SG_E_clIS8_S8_S9_S9_EESD_ST_SE_SF_SG_EUlST_E1_NS1_11comp_targetILNS1_3genE0ELNS1_11target_archE4294967295ELNS1_3gpuE0ELNS1_3repE0EEENS1_36merge_oddeven_config_static_selectorELNS0_4arch9wavefront6targetE1EEEvSF_,comdat
.Lfunc_end1986:
	.size	_ZN7rocprim17ROCPRIM_400000_NS6detail17trampoline_kernelINS0_14default_configENS1_38merge_sort_block_merge_config_selectorIiNS0_10empty_typeEEEZZNS1_27merge_sort_block_merge_implIS3_PiPS5_jNS1_19radix_merge_compareILb1ELb1EiNS0_19identity_decomposerEEEEE10hipError_tT0_T1_T2_jT3_P12ihipStream_tbPNSt15iterator_traitsISE_E10value_typeEPNSK_ISF_E10value_typeEPSG_NS1_7vsmem_tEENKUlT_SE_SF_SG_E_clIS8_S8_S9_S9_EESD_ST_SE_SF_SG_EUlST_E1_NS1_11comp_targetILNS1_3genE0ELNS1_11target_archE4294967295ELNS1_3gpuE0ELNS1_3repE0EEENS1_36merge_oddeven_config_static_selectorELNS0_4arch9wavefront6targetE1EEEvSF_, .Lfunc_end1986-_ZN7rocprim17ROCPRIM_400000_NS6detail17trampoline_kernelINS0_14default_configENS1_38merge_sort_block_merge_config_selectorIiNS0_10empty_typeEEEZZNS1_27merge_sort_block_merge_implIS3_PiPS5_jNS1_19radix_merge_compareILb1ELb1EiNS0_19identity_decomposerEEEEE10hipError_tT0_T1_T2_jT3_P12ihipStream_tbPNSt15iterator_traitsISE_E10value_typeEPNSK_ISF_E10value_typeEPSG_NS1_7vsmem_tEENKUlT_SE_SF_SG_E_clIS8_S8_S9_S9_EESD_ST_SE_SF_SG_EUlST_E1_NS1_11comp_targetILNS1_3genE0ELNS1_11target_archE4294967295ELNS1_3gpuE0ELNS1_3repE0EEENS1_36merge_oddeven_config_static_selectorELNS0_4arch9wavefront6targetE1EEEvSF_
                                        ; -- End function
	.section	.AMDGPU.csdata,"",@progbits
; Kernel info:
; codeLenInByte = 0
; NumSgprs: 4
; NumVgprs: 0
; NumAgprs: 0
; TotalNumVgprs: 0
; ScratchSize: 0
; MemoryBound: 0
; FloatMode: 240
; IeeeMode: 1
; LDSByteSize: 0 bytes/workgroup (compile time only)
; SGPRBlocks: 0
; VGPRBlocks: 0
; NumSGPRsForWavesPerEU: 4
; NumVGPRsForWavesPerEU: 1
; AccumOffset: 4
; Occupancy: 8
; WaveLimiterHint : 0
; COMPUTE_PGM_RSRC2:SCRATCH_EN: 0
; COMPUTE_PGM_RSRC2:USER_SGPR: 6
; COMPUTE_PGM_RSRC2:TRAP_HANDLER: 0
; COMPUTE_PGM_RSRC2:TGID_X_EN: 1
; COMPUTE_PGM_RSRC2:TGID_Y_EN: 0
; COMPUTE_PGM_RSRC2:TGID_Z_EN: 0
; COMPUTE_PGM_RSRC2:TIDIG_COMP_CNT: 0
; COMPUTE_PGM_RSRC3_GFX90A:ACCUM_OFFSET: 0
; COMPUTE_PGM_RSRC3_GFX90A:TG_SPLIT: 0
	.section	.text._ZN7rocprim17ROCPRIM_400000_NS6detail17trampoline_kernelINS0_14default_configENS1_38merge_sort_block_merge_config_selectorIiNS0_10empty_typeEEEZZNS1_27merge_sort_block_merge_implIS3_PiPS5_jNS1_19radix_merge_compareILb1ELb1EiNS0_19identity_decomposerEEEEE10hipError_tT0_T1_T2_jT3_P12ihipStream_tbPNSt15iterator_traitsISE_E10value_typeEPNSK_ISF_E10value_typeEPSG_NS1_7vsmem_tEENKUlT_SE_SF_SG_E_clIS8_S8_S9_S9_EESD_ST_SE_SF_SG_EUlST_E1_NS1_11comp_targetILNS1_3genE10ELNS1_11target_archE1201ELNS1_3gpuE5ELNS1_3repE0EEENS1_36merge_oddeven_config_static_selectorELNS0_4arch9wavefront6targetE1EEEvSF_,"axG",@progbits,_ZN7rocprim17ROCPRIM_400000_NS6detail17trampoline_kernelINS0_14default_configENS1_38merge_sort_block_merge_config_selectorIiNS0_10empty_typeEEEZZNS1_27merge_sort_block_merge_implIS3_PiPS5_jNS1_19radix_merge_compareILb1ELb1EiNS0_19identity_decomposerEEEEE10hipError_tT0_T1_T2_jT3_P12ihipStream_tbPNSt15iterator_traitsISE_E10value_typeEPNSK_ISF_E10value_typeEPSG_NS1_7vsmem_tEENKUlT_SE_SF_SG_E_clIS8_S8_S9_S9_EESD_ST_SE_SF_SG_EUlST_E1_NS1_11comp_targetILNS1_3genE10ELNS1_11target_archE1201ELNS1_3gpuE5ELNS1_3repE0EEENS1_36merge_oddeven_config_static_selectorELNS0_4arch9wavefront6targetE1EEEvSF_,comdat
	.protected	_ZN7rocprim17ROCPRIM_400000_NS6detail17trampoline_kernelINS0_14default_configENS1_38merge_sort_block_merge_config_selectorIiNS0_10empty_typeEEEZZNS1_27merge_sort_block_merge_implIS3_PiPS5_jNS1_19radix_merge_compareILb1ELb1EiNS0_19identity_decomposerEEEEE10hipError_tT0_T1_T2_jT3_P12ihipStream_tbPNSt15iterator_traitsISE_E10value_typeEPNSK_ISF_E10value_typeEPSG_NS1_7vsmem_tEENKUlT_SE_SF_SG_E_clIS8_S8_S9_S9_EESD_ST_SE_SF_SG_EUlST_E1_NS1_11comp_targetILNS1_3genE10ELNS1_11target_archE1201ELNS1_3gpuE5ELNS1_3repE0EEENS1_36merge_oddeven_config_static_selectorELNS0_4arch9wavefront6targetE1EEEvSF_ ; -- Begin function _ZN7rocprim17ROCPRIM_400000_NS6detail17trampoline_kernelINS0_14default_configENS1_38merge_sort_block_merge_config_selectorIiNS0_10empty_typeEEEZZNS1_27merge_sort_block_merge_implIS3_PiPS5_jNS1_19radix_merge_compareILb1ELb1EiNS0_19identity_decomposerEEEEE10hipError_tT0_T1_T2_jT3_P12ihipStream_tbPNSt15iterator_traitsISE_E10value_typeEPNSK_ISF_E10value_typeEPSG_NS1_7vsmem_tEENKUlT_SE_SF_SG_E_clIS8_S8_S9_S9_EESD_ST_SE_SF_SG_EUlST_E1_NS1_11comp_targetILNS1_3genE10ELNS1_11target_archE1201ELNS1_3gpuE5ELNS1_3repE0EEENS1_36merge_oddeven_config_static_selectorELNS0_4arch9wavefront6targetE1EEEvSF_
	.globl	_ZN7rocprim17ROCPRIM_400000_NS6detail17trampoline_kernelINS0_14default_configENS1_38merge_sort_block_merge_config_selectorIiNS0_10empty_typeEEEZZNS1_27merge_sort_block_merge_implIS3_PiPS5_jNS1_19radix_merge_compareILb1ELb1EiNS0_19identity_decomposerEEEEE10hipError_tT0_T1_T2_jT3_P12ihipStream_tbPNSt15iterator_traitsISE_E10value_typeEPNSK_ISF_E10value_typeEPSG_NS1_7vsmem_tEENKUlT_SE_SF_SG_E_clIS8_S8_S9_S9_EESD_ST_SE_SF_SG_EUlST_E1_NS1_11comp_targetILNS1_3genE10ELNS1_11target_archE1201ELNS1_3gpuE5ELNS1_3repE0EEENS1_36merge_oddeven_config_static_selectorELNS0_4arch9wavefront6targetE1EEEvSF_
	.p2align	8
	.type	_ZN7rocprim17ROCPRIM_400000_NS6detail17trampoline_kernelINS0_14default_configENS1_38merge_sort_block_merge_config_selectorIiNS0_10empty_typeEEEZZNS1_27merge_sort_block_merge_implIS3_PiPS5_jNS1_19radix_merge_compareILb1ELb1EiNS0_19identity_decomposerEEEEE10hipError_tT0_T1_T2_jT3_P12ihipStream_tbPNSt15iterator_traitsISE_E10value_typeEPNSK_ISF_E10value_typeEPSG_NS1_7vsmem_tEENKUlT_SE_SF_SG_E_clIS8_S8_S9_S9_EESD_ST_SE_SF_SG_EUlST_E1_NS1_11comp_targetILNS1_3genE10ELNS1_11target_archE1201ELNS1_3gpuE5ELNS1_3repE0EEENS1_36merge_oddeven_config_static_selectorELNS0_4arch9wavefront6targetE1EEEvSF_,@function
_ZN7rocprim17ROCPRIM_400000_NS6detail17trampoline_kernelINS0_14default_configENS1_38merge_sort_block_merge_config_selectorIiNS0_10empty_typeEEEZZNS1_27merge_sort_block_merge_implIS3_PiPS5_jNS1_19radix_merge_compareILb1ELb1EiNS0_19identity_decomposerEEEEE10hipError_tT0_T1_T2_jT3_P12ihipStream_tbPNSt15iterator_traitsISE_E10value_typeEPNSK_ISF_E10value_typeEPSG_NS1_7vsmem_tEENKUlT_SE_SF_SG_E_clIS8_S8_S9_S9_EESD_ST_SE_SF_SG_EUlST_E1_NS1_11comp_targetILNS1_3genE10ELNS1_11target_archE1201ELNS1_3gpuE5ELNS1_3repE0EEENS1_36merge_oddeven_config_static_selectorELNS0_4arch9wavefront6targetE1EEEvSF_: ; @_ZN7rocprim17ROCPRIM_400000_NS6detail17trampoline_kernelINS0_14default_configENS1_38merge_sort_block_merge_config_selectorIiNS0_10empty_typeEEEZZNS1_27merge_sort_block_merge_implIS3_PiPS5_jNS1_19radix_merge_compareILb1ELb1EiNS0_19identity_decomposerEEEEE10hipError_tT0_T1_T2_jT3_P12ihipStream_tbPNSt15iterator_traitsISE_E10value_typeEPNSK_ISF_E10value_typeEPSG_NS1_7vsmem_tEENKUlT_SE_SF_SG_E_clIS8_S8_S9_S9_EESD_ST_SE_SF_SG_EUlST_E1_NS1_11comp_targetILNS1_3genE10ELNS1_11target_archE1201ELNS1_3gpuE5ELNS1_3repE0EEENS1_36merge_oddeven_config_static_selectorELNS0_4arch9wavefront6targetE1EEEvSF_
; %bb.0:
	.section	.rodata,"a",@progbits
	.p2align	6, 0x0
	.amdhsa_kernel _ZN7rocprim17ROCPRIM_400000_NS6detail17trampoline_kernelINS0_14default_configENS1_38merge_sort_block_merge_config_selectorIiNS0_10empty_typeEEEZZNS1_27merge_sort_block_merge_implIS3_PiPS5_jNS1_19radix_merge_compareILb1ELb1EiNS0_19identity_decomposerEEEEE10hipError_tT0_T1_T2_jT3_P12ihipStream_tbPNSt15iterator_traitsISE_E10value_typeEPNSK_ISF_E10value_typeEPSG_NS1_7vsmem_tEENKUlT_SE_SF_SG_E_clIS8_S8_S9_S9_EESD_ST_SE_SF_SG_EUlST_E1_NS1_11comp_targetILNS1_3genE10ELNS1_11target_archE1201ELNS1_3gpuE5ELNS1_3repE0EEENS1_36merge_oddeven_config_static_selectorELNS0_4arch9wavefront6targetE1EEEvSF_
		.amdhsa_group_segment_fixed_size 0
		.amdhsa_private_segment_fixed_size 0
		.amdhsa_kernarg_size 48
		.amdhsa_user_sgpr_count 6
		.amdhsa_user_sgpr_private_segment_buffer 1
		.amdhsa_user_sgpr_dispatch_ptr 0
		.amdhsa_user_sgpr_queue_ptr 0
		.amdhsa_user_sgpr_kernarg_segment_ptr 1
		.amdhsa_user_sgpr_dispatch_id 0
		.amdhsa_user_sgpr_flat_scratch_init 0
		.amdhsa_user_sgpr_kernarg_preload_length 0
		.amdhsa_user_sgpr_kernarg_preload_offset 0
		.amdhsa_user_sgpr_private_segment_size 0
		.amdhsa_uses_dynamic_stack 0
		.amdhsa_system_sgpr_private_segment_wavefront_offset 0
		.amdhsa_system_sgpr_workgroup_id_x 1
		.amdhsa_system_sgpr_workgroup_id_y 0
		.amdhsa_system_sgpr_workgroup_id_z 0
		.amdhsa_system_sgpr_workgroup_info 0
		.amdhsa_system_vgpr_workitem_id 0
		.amdhsa_next_free_vgpr 1
		.amdhsa_next_free_sgpr 0
		.amdhsa_accum_offset 4
		.amdhsa_reserve_vcc 0
		.amdhsa_reserve_flat_scratch 0
		.amdhsa_float_round_mode_32 0
		.amdhsa_float_round_mode_16_64 0
		.amdhsa_float_denorm_mode_32 3
		.amdhsa_float_denorm_mode_16_64 3
		.amdhsa_dx10_clamp 1
		.amdhsa_ieee_mode 1
		.amdhsa_fp16_overflow 0
		.amdhsa_tg_split 0
		.amdhsa_exception_fp_ieee_invalid_op 0
		.amdhsa_exception_fp_denorm_src 0
		.amdhsa_exception_fp_ieee_div_zero 0
		.amdhsa_exception_fp_ieee_overflow 0
		.amdhsa_exception_fp_ieee_underflow 0
		.amdhsa_exception_fp_ieee_inexact 0
		.amdhsa_exception_int_div_zero 0
	.end_amdhsa_kernel
	.section	.text._ZN7rocprim17ROCPRIM_400000_NS6detail17trampoline_kernelINS0_14default_configENS1_38merge_sort_block_merge_config_selectorIiNS0_10empty_typeEEEZZNS1_27merge_sort_block_merge_implIS3_PiPS5_jNS1_19radix_merge_compareILb1ELb1EiNS0_19identity_decomposerEEEEE10hipError_tT0_T1_T2_jT3_P12ihipStream_tbPNSt15iterator_traitsISE_E10value_typeEPNSK_ISF_E10value_typeEPSG_NS1_7vsmem_tEENKUlT_SE_SF_SG_E_clIS8_S8_S9_S9_EESD_ST_SE_SF_SG_EUlST_E1_NS1_11comp_targetILNS1_3genE10ELNS1_11target_archE1201ELNS1_3gpuE5ELNS1_3repE0EEENS1_36merge_oddeven_config_static_selectorELNS0_4arch9wavefront6targetE1EEEvSF_,"axG",@progbits,_ZN7rocprim17ROCPRIM_400000_NS6detail17trampoline_kernelINS0_14default_configENS1_38merge_sort_block_merge_config_selectorIiNS0_10empty_typeEEEZZNS1_27merge_sort_block_merge_implIS3_PiPS5_jNS1_19radix_merge_compareILb1ELb1EiNS0_19identity_decomposerEEEEE10hipError_tT0_T1_T2_jT3_P12ihipStream_tbPNSt15iterator_traitsISE_E10value_typeEPNSK_ISF_E10value_typeEPSG_NS1_7vsmem_tEENKUlT_SE_SF_SG_E_clIS8_S8_S9_S9_EESD_ST_SE_SF_SG_EUlST_E1_NS1_11comp_targetILNS1_3genE10ELNS1_11target_archE1201ELNS1_3gpuE5ELNS1_3repE0EEENS1_36merge_oddeven_config_static_selectorELNS0_4arch9wavefront6targetE1EEEvSF_,comdat
.Lfunc_end1987:
	.size	_ZN7rocprim17ROCPRIM_400000_NS6detail17trampoline_kernelINS0_14default_configENS1_38merge_sort_block_merge_config_selectorIiNS0_10empty_typeEEEZZNS1_27merge_sort_block_merge_implIS3_PiPS5_jNS1_19radix_merge_compareILb1ELb1EiNS0_19identity_decomposerEEEEE10hipError_tT0_T1_T2_jT3_P12ihipStream_tbPNSt15iterator_traitsISE_E10value_typeEPNSK_ISF_E10value_typeEPSG_NS1_7vsmem_tEENKUlT_SE_SF_SG_E_clIS8_S8_S9_S9_EESD_ST_SE_SF_SG_EUlST_E1_NS1_11comp_targetILNS1_3genE10ELNS1_11target_archE1201ELNS1_3gpuE5ELNS1_3repE0EEENS1_36merge_oddeven_config_static_selectorELNS0_4arch9wavefront6targetE1EEEvSF_, .Lfunc_end1987-_ZN7rocprim17ROCPRIM_400000_NS6detail17trampoline_kernelINS0_14default_configENS1_38merge_sort_block_merge_config_selectorIiNS0_10empty_typeEEEZZNS1_27merge_sort_block_merge_implIS3_PiPS5_jNS1_19radix_merge_compareILb1ELb1EiNS0_19identity_decomposerEEEEE10hipError_tT0_T1_T2_jT3_P12ihipStream_tbPNSt15iterator_traitsISE_E10value_typeEPNSK_ISF_E10value_typeEPSG_NS1_7vsmem_tEENKUlT_SE_SF_SG_E_clIS8_S8_S9_S9_EESD_ST_SE_SF_SG_EUlST_E1_NS1_11comp_targetILNS1_3genE10ELNS1_11target_archE1201ELNS1_3gpuE5ELNS1_3repE0EEENS1_36merge_oddeven_config_static_selectorELNS0_4arch9wavefront6targetE1EEEvSF_
                                        ; -- End function
	.section	.AMDGPU.csdata,"",@progbits
; Kernel info:
; codeLenInByte = 0
; NumSgprs: 4
; NumVgprs: 0
; NumAgprs: 0
; TotalNumVgprs: 0
; ScratchSize: 0
; MemoryBound: 0
; FloatMode: 240
; IeeeMode: 1
; LDSByteSize: 0 bytes/workgroup (compile time only)
; SGPRBlocks: 0
; VGPRBlocks: 0
; NumSGPRsForWavesPerEU: 4
; NumVGPRsForWavesPerEU: 1
; AccumOffset: 4
; Occupancy: 8
; WaveLimiterHint : 0
; COMPUTE_PGM_RSRC2:SCRATCH_EN: 0
; COMPUTE_PGM_RSRC2:USER_SGPR: 6
; COMPUTE_PGM_RSRC2:TRAP_HANDLER: 0
; COMPUTE_PGM_RSRC2:TGID_X_EN: 1
; COMPUTE_PGM_RSRC2:TGID_Y_EN: 0
; COMPUTE_PGM_RSRC2:TGID_Z_EN: 0
; COMPUTE_PGM_RSRC2:TIDIG_COMP_CNT: 0
; COMPUTE_PGM_RSRC3_GFX90A:ACCUM_OFFSET: 0
; COMPUTE_PGM_RSRC3_GFX90A:TG_SPLIT: 0
	.section	.text._ZN7rocprim17ROCPRIM_400000_NS6detail17trampoline_kernelINS0_14default_configENS1_38merge_sort_block_merge_config_selectorIiNS0_10empty_typeEEEZZNS1_27merge_sort_block_merge_implIS3_PiPS5_jNS1_19radix_merge_compareILb1ELb1EiNS0_19identity_decomposerEEEEE10hipError_tT0_T1_T2_jT3_P12ihipStream_tbPNSt15iterator_traitsISE_E10value_typeEPNSK_ISF_E10value_typeEPSG_NS1_7vsmem_tEENKUlT_SE_SF_SG_E_clIS8_S8_S9_S9_EESD_ST_SE_SF_SG_EUlST_E1_NS1_11comp_targetILNS1_3genE5ELNS1_11target_archE942ELNS1_3gpuE9ELNS1_3repE0EEENS1_36merge_oddeven_config_static_selectorELNS0_4arch9wavefront6targetE1EEEvSF_,"axG",@progbits,_ZN7rocprim17ROCPRIM_400000_NS6detail17trampoline_kernelINS0_14default_configENS1_38merge_sort_block_merge_config_selectorIiNS0_10empty_typeEEEZZNS1_27merge_sort_block_merge_implIS3_PiPS5_jNS1_19radix_merge_compareILb1ELb1EiNS0_19identity_decomposerEEEEE10hipError_tT0_T1_T2_jT3_P12ihipStream_tbPNSt15iterator_traitsISE_E10value_typeEPNSK_ISF_E10value_typeEPSG_NS1_7vsmem_tEENKUlT_SE_SF_SG_E_clIS8_S8_S9_S9_EESD_ST_SE_SF_SG_EUlST_E1_NS1_11comp_targetILNS1_3genE5ELNS1_11target_archE942ELNS1_3gpuE9ELNS1_3repE0EEENS1_36merge_oddeven_config_static_selectorELNS0_4arch9wavefront6targetE1EEEvSF_,comdat
	.protected	_ZN7rocprim17ROCPRIM_400000_NS6detail17trampoline_kernelINS0_14default_configENS1_38merge_sort_block_merge_config_selectorIiNS0_10empty_typeEEEZZNS1_27merge_sort_block_merge_implIS3_PiPS5_jNS1_19radix_merge_compareILb1ELb1EiNS0_19identity_decomposerEEEEE10hipError_tT0_T1_T2_jT3_P12ihipStream_tbPNSt15iterator_traitsISE_E10value_typeEPNSK_ISF_E10value_typeEPSG_NS1_7vsmem_tEENKUlT_SE_SF_SG_E_clIS8_S8_S9_S9_EESD_ST_SE_SF_SG_EUlST_E1_NS1_11comp_targetILNS1_3genE5ELNS1_11target_archE942ELNS1_3gpuE9ELNS1_3repE0EEENS1_36merge_oddeven_config_static_selectorELNS0_4arch9wavefront6targetE1EEEvSF_ ; -- Begin function _ZN7rocprim17ROCPRIM_400000_NS6detail17trampoline_kernelINS0_14default_configENS1_38merge_sort_block_merge_config_selectorIiNS0_10empty_typeEEEZZNS1_27merge_sort_block_merge_implIS3_PiPS5_jNS1_19radix_merge_compareILb1ELb1EiNS0_19identity_decomposerEEEEE10hipError_tT0_T1_T2_jT3_P12ihipStream_tbPNSt15iterator_traitsISE_E10value_typeEPNSK_ISF_E10value_typeEPSG_NS1_7vsmem_tEENKUlT_SE_SF_SG_E_clIS8_S8_S9_S9_EESD_ST_SE_SF_SG_EUlST_E1_NS1_11comp_targetILNS1_3genE5ELNS1_11target_archE942ELNS1_3gpuE9ELNS1_3repE0EEENS1_36merge_oddeven_config_static_selectorELNS0_4arch9wavefront6targetE1EEEvSF_
	.globl	_ZN7rocprim17ROCPRIM_400000_NS6detail17trampoline_kernelINS0_14default_configENS1_38merge_sort_block_merge_config_selectorIiNS0_10empty_typeEEEZZNS1_27merge_sort_block_merge_implIS3_PiPS5_jNS1_19radix_merge_compareILb1ELb1EiNS0_19identity_decomposerEEEEE10hipError_tT0_T1_T2_jT3_P12ihipStream_tbPNSt15iterator_traitsISE_E10value_typeEPNSK_ISF_E10value_typeEPSG_NS1_7vsmem_tEENKUlT_SE_SF_SG_E_clIS8_S8_S9_S9_EESD_ST_SE_SF_SG_EUlST_E1_NS1_11comp_targetILNS1_3genE5ELNS1_11target_archE942ELNS1_3gpuE9ELNS1_3repE0EEENS1_36merge_oddeven_config_static_selectorELNS0_4arch9wavefront6targetE1EEEvSF_
	.p2align	8
	.type	_ZN7rocprim17ROCPRIM_400000_NS6detail17trampoline_kernelINS0_14default_configENS1_38merge_sort_block_merge_config_selectorIiNS0_10empty_typeEEEZZNS1_27merge_sort_block_merge_implIS3_PiPS5_jNS1_19radix_merge_compareILb1ELb1EiNS0_19identity_decomposerEEEEE10hipError_tT0_T1_T2_jT3_P12ihipStream_tbPNSt15iterator_traitsISE_E10value_typeEPNSK_ISF_E10value_typeEPSG_NS1_7vsmem_tEENKUlT_SE_SF_SG_E_clIS8_S8_S9_S9_EESD_ST_SE_SF_SG_EUlST_E1_NS1_11comp_targetILNS1_3genE5ELNS1_11target_archE942ELNS1_3gpuE9ELNS1_3repE0EEENS1_36merge_oddeven_config_static_selectorELNS0_4arch9wavefront6targetE1EEEvSF_,@function
_ZN7rocprim17ROCPRIM_400000_NS6detail17trampoline_kernelINS0_14default_configENS1_38merge_sort_block_merge_config_selectorIiNS0_10empty_typeEEEZZNS1_27merge_sort_block_merge_implIS3_PiPS5_jNS1_19radix_merge_compareILb1ELb1EiNS0_19identity_decomposerEEEEE10hipError_tT0_T1_T2_jT3_P12ihipStream_tbPNSt15iterator_traitsISE_E10value_typeEPNSK_ISF_E10value_typeEPSG_NS1_7vsmem_tEENKUlT_SE_SF_SG_E_clIS8_S8_S9_S9_EESD_ST_SE_SF_SG_EUlST_E1_NS1_11comp_targetILNS1_3genE5ELNS1_11target_archE942ELNS1_3gpuE9ELNS1_3repE0EEENS1_36merge_oddeven_config_static_selectorELNS0_4arch9wavefront6targetE1EEEvSF_: ; @_ZN7rocprim17ROCPRIM_400000_NS6detail17trampoline_kernelINS0_14default_configENS1_38merge_sort_block_merge_config_selectorIiNS0_10empty_typeEEEZZNS1_27merge_sort_block_merge_implIS3_PiPS5_jNS1_19radix_merge_compareILb1ELb1EiNS0_19identity_decomposerEEEEE10hipError_tT0_T1_T2_jT3_P12ihipStream_tbPNSt15iterator_traitsISE_E10value_typeEPNSK_ISF_E10value_typeEPSG_NS1_7vsmem_tEENKUlT_SE_SF_SG_E_clIS8_S8_S9_S9_EESD_ST_SE_SF_SG_EUlST_E1_NS1_11comp_targetILNS1_3genE5ELNS1_11target_archE942ELNS1_3gpuE9ELNS1_3repE0EEENS1_36merge_oddeven_config_static_selectorELNS0_4arch9wavefront6targetE1EEEvSF_
; %bb.0:
	.section	.rodata,"a",@progbits
	.p2align	6, 0x0
	.amdhsa_kernel _ZN7rocprim17ROCPRIM_400000_NS6detail17trampoline_kernelINS0_14default_configENS1_38merge_sort_block_merge_config_selectorIiNS0_10empty_typeEEEZZNS1_27merge_sort_block_merge_implIS3_PiPS5_jNS1_19radix_merge_compareILb1ELb1EiNS0_19identity_decomposerEEEEE10hipError_tT0_T1_T2_jT3_P12ihipStream_tbPNSt15iterator_traitsISE_E10value_typeEPNSK_ISF_E10value_typeEPSG_NS1_7vsmem_tEENKUlT_SE_SF_SG_E_clIS8_S8_S9_S9_EESD_ST_SE_SF_SG_EUlST_E1_NS1_11comp_targetILNS1_3genE5ELNS1_11target_archE942ELNS1_3gpuE9ELNS1_3repE0EEENS1_36merge_oddeven_config_static_selectorELNS0_4arch9wavefront6targetE1EEEvSF_
		.amdhsa_group_segment_fixed_size 0
		.amdhsa_private_segment_fixed_size 0
		.amdhsa_kernarg_size 48
		.amdhsa_user_sgpr_count 6
		.amdhsa_user_sgpr_private_segment_buffer 1
		.amdhsa_user_sgpr_dispatch_ptr 0
		.amdhsa_user_sgpr_queue_ptr 0
		.amdhsa_user_sgpr_kernarg_segment_ptr 1
		.amdhsa_user_sgpr_dispatch_id 0
		.amdhsa_user_sgpr_flat_scratch_init 0
		.amdhsa_user_sgpr_kernarg_preload_length 0
		.amdhsa_user_sgpr_kernarg_preload_offset 0
		.amdhsa_user_sgpr_private_segment_size 0
		.amdhsa_uses_dynamic_stack 0
		.amdhsa_system_sgpr_private_segment_wavefront_offset 0
		.amdhsa_system_sgpr_workgroup_id_x 1
		.amdhsa_system_sgpr_workgroup_id_y 0
		.amdhsa_system_sgpr_workgroup_id_z 0
		.amdhsa_system_sgpr_workgroup_info 0
		.amdhsa_system_vgpr_workitem_id 0
		.amdhsa_next_free_vgpr 1
		.amdhsa_next_free_sgpr 0
		.amdhsa_accum_offset 4
		.amdhsa_reserve_vcc 0
		.amdhsa_reserve_flat_scratch 0
		.amdhsa_float_round_mode_32 0
		.amdhsa_float_round_mode_16_64 0
		.amdhsa_float_denorm_mode_32 3
		.amdhsa_float_denorm_mode_16_64 3
		.amdhsa_dx10_clamp 1
		.amdhsa_ieee_mode 1
		.amdhsa_fp16_overflow 0
		.amdhsa_tg_split 0
		.amdhsa_exception_fp_ieee_invalid_op 0
		.amdhsa_exception_fp_denorm_src 0
		.amdhsa_exception_fp_ieee_div_zero 0
		.amdhsa_exception_fp_ieee_overflow 0
		.amdhsa_exception_fp_ieee_underflow 0
		.amdhsa_exception_fp_ieee_inexact 0
		.amdhsa_exception_int_div_zero 0
	.end_amdhsa_kernel
	.section	.text._ZN7rocprim17ROCPRIM_400000_NS6detail17trampoline_kernelINS0_14default_configENS1_38merge_sort_block_merge_config_selectorIiNS0_10empty_typeEEEZZNS1_27merge_sort_block_merge_implIS3_PiPS5_jNS1_19radix_merge_compareILb1ELb1EiNS0_19identity_decomposerEEEEE10hipError_tT0_T1_T2_jT3_P12ihipStream_tbPNSt15iterator_traitsISE_E10value_typeEPNSK_ISF_E10value_typeEPSG_NS1_7vsmem_tEENKUlT_SE_SF_SG_E_clIS8_S8_S9_S9_EESD_ST_SE_SF_SG_EUlST_E1_NS1_11comp_targetILNS1_3genE5ELNS1_11target_archE942ELNS1_3gpuE9ELNS1_3repE0EEENS1_36merge_oddeven_config_static_selectorELNS0_4arch9wavefront6targetE1EEEvSF_,"axG",@progbits,_ZN7rocprim17ROCPRIM_400000_NS6detail17trampoline_kernelINS0_14default_configENS1_38merge_sort_block_merge_config_selectorIiNS0_10empty_typeEEEZZNS1_27merge_sort_block_merge_implIS3_PiPS5_jNS1_19radix_merge_compareILb1ELb1EiNS0_19identity_decomposerEEEEE10hipError_tT0_T1_T2_jT3_P12ihipStream_tbPNSt15iterator_traitsISE_E10value_typeEPNSK_ISF_E10value_typeEPSG_NS1_7vsmem_tEENKUlT_SE_SF_SG_E_clIS8_S8_S9_S9_EESD_ST_SE_SF_SG_EUlST_E1_NS1_11comp_targetILNS1_3genE5ELNS1_11target_archE942ELNS1_3gpuE9ELNS1_3repE0EEENS1_36merge_oddeven_config_static_selectorELNS0_4arch9wavefront6targetE1EEEvSF_,comdat
.Lfunc_end1988:
	.size	_ZN7rocprim17ROCPRIM_400000_NS6detail17trampoline_kernelINS0_14default_configENS1_38merge_sort_block_merge_config_selectorIiNS0_10empty_typeEEEZZNS1_27merge_sort_block_merge_implIS3_PiPS5_jNS1_19radix_merge_compareILb1ELb1EiNS0_19identity_decomposerEEEEE10hipError_tT0_T1_T2_jT3_P12ihipStream_tbPNSt15iterator_traitsISE_E10value_typeEPNSK_ISF_E10value_typeEPSG_NS1_7vsmem_tEENKUlT_SE_SF_SG_E_clIS8_S8_S9_S9_EESD_ST_SE_SF_SG_EUlST_E1_NS1_11comp_targetILNS1_3genE5ELNS1_11target_archE942ELNS1_3gpuE9ELNS1_3repE0EEENS1_36merge_oddeven_config_static_selectorELNS0_4arch9wavefront6targetE1EEEvSF_, .Lfunc_end1988-_ZN7rocprim17ROCPRIM_400000_NS6detail17trampoline_kernelINS0_14default_configENS1_38merge_sort_block_merge_config_selectorIiNS0_10empty_typeEEEZZNS1_27merge_sort_block_merge_implIS3_PiPS5_jNS1_19radix_merge_compareILb1ELb1EiNS0_19identity_decomposerEEEEE10hipError_tT0_T1_T2_jT3_P12ihipStream_tbPNSt15iterator_traitsISE_E10value_typeEPNSK_ISF_E10value_typeEPSG_NS1_7vsmem_tEENKUlT_SE_SF_SG_E_clIS8_S8_S9_S9_EESD_ST_SE_SF_SG_EUlST_E1_NS1_11comp_targetILNS1_3genE5ELNS1_11target_archE942ELNS1_3gpuE9ELNS1_3repE0EEENS1_36merge_oddeven_config_static_selectorELNS0_4arch9wavefront6targetE1EEEvSF_
                                        ; -- End function
	.section	.AMDGPU.csdata,"",@progbits
; Kernel info:
; codeLenInByte = 0
; NumSgprs: 4
; NumVgprs: 0
; NumAgprs: 0
; TotalNumVgprs: 0
; ScratchSize: 0
; MemoryBound: 0
; FloatMode: 240
; IeeeMode: 1
; LDSByteSize: 0 bytes/workgroup (compile time only)
; SGPRBlocks: 0
; VGPRBlocks: 0
; NumSGPRsForWavesPerEU: 4
; NumVGPRsForWavesPerEU: 1
; AccumOffset: 4
; Occupancy: 8
; WaveLimiterHint : 0
; COMPUTE_PGM_RSRC2:SCRATCH_EN: 0
; COMPUTE_PGM_RSRC2:USER_SGPR: 6
; COMPUTE_PGM_RSRC2:TRAP_HANDLER: 0
; COMPUTE_PGM_RSRC2:TGID_X_EN: 1
; COMPUTE_PGM_RSRC2:TGID_Y_EN: 0
; COMPUTE_PGM_RSRC2:TGID_Z_EN: 0
; COMPUTE_PGM_RSRC2:TIDIG_COMP_CNT: 0
; COMPUTE_PGM_RSRC3_GFX90A:ACCUM_OFFSET: 0
; COMPUTE_PGM_RSRC3_GFX90A:TG_SPLIT: 0
	.section	.text._ZN7rocprim17ROCPRIM_400000_NS6detail17trampoline_kernelINS0_14default_configENS1_38merge_sort_block_merge_config_selectorIiNS0_10empty_typeEEEZZNS1_27merge_sort_block_merge_implIS3_PiPS5_jNS1_19radix_merge_compareILb1ELb1EiNS0_19identity_decomposerEEEEE10hipError_tT0_T1_T2_jT3_P12ihipStream_tbPNSt15iterator_traitsISE_E10value_typeEPNSK_ISF_E10value_typeEPSG_NS1_7vsmem_tEENKUlT_SE_SF_SG_E_clIS8_S8_S9_S9_EESD_ST_SE_SF_SG_EUlST_E1_NS1_11comp_targetILNS1_3genE4ELNS1_11target_archE910ELNS1_3gpuE8ELNS1_3repE0EEENS1_36merge_oddeven_config_static_selectorELNS0_4arch9wavefront6targetE1EEEvSF_,"axG",@progbits,_ZN7rocprim17ROCPRIM_400000_NS6detail17trampoline_kernelINS0_14default_configENS1_38merge_sort_block_merge_config_selectorIiNS0_10empty_typeEEEZZNS1_27merge_sort_block_merge_implIS3_PiPS5_jNS1_19radix_merge_compareILb1ELb1EiNS0_19identity_decomposerEEEEE10hipError_tT0_T1_T2_jT3_P12ihipStream_tbPNSt15iterator_traitsISE_E10value_typeEPNSK_ISF_E10value_typeEPSG_NS1_7vsmem_tEENKUlT_SE_SF_SG_E_clIS8_S8_S9_S9_EESD_ST_SE_SF_SG_EUlST_E1_NS1_11comp_targetILNS1_3genE4ELNS1_11target_archE910ELNS1_3gpuE8ELNS1_3repE0EEENS1_36merge_oddeven_config_static_selectorELNS0_4arch9wavefront6targetE1EEEvSF_,comdat
	.protected	_ZN7rocprim17ROCPRIM_400000_NS6detail17trampoline_kernelINS0_14default_configENS1_38merge_sort_block_merge_config_selectorIiNS0_10empty_typeEEEZZNS1_27merge_sort_block_merge_implIS3_PiPS5_jNS1_19radix_merge_compareILb1ELb1EiNS0_19identity_decomposerEEEEE10hipError_tT0_T1_T2_jT3_P12ihipStream_tbPNSt15iterator_traitsISE_E10value_typeEPNSK_ISF_E10value_typeEPSG_NS1_7vsmem_tEENKUlT_SE_SF_SG_E_clIS8_S8_S9_S9_EESD_ST_SE_SF_SG_EUlST_E1_NS1_11comp_targetILNS1_3genE4ELNS1_11target_archE910ELNS1_3gpuE8ELNS1_3repE0EEENS1_36merge_oddeven_config_static_selectorELNS0_4arch9wavefront6targetE1EEEvSF_ ; -- Begin function _ZN7rocprim17ROCPRIM_400000_NS6detail17trampoline_kernelINS0_14default_configENS1_38merge_sort_block_merge_config_selectorIiNS0_10empty_typeEEEZZNS1_27merge_sort_block_merge_implIS3_PiPS5_jNS1_19radix_merge_compareILb1ELb1EiNS0_19identity_decomposerEEEEE10hipError_tT0_T1_T2_jT3_P12ihipStream_tbPNSt15iterator_traitsISE_E10value_typeEPNSK_ISF_E10value_typeEPSG_NS1_7vsmem_tEENKUlT_SE_SF_SG_E_clIS8_S8_S9_S9_EESD_ST_SE_SF_SG_EUlST_E1_NS1_11comp_targetILNS1_3genE4ELNS1_11target_archE910ELNS1_3gpuE8ELNS1_3repE0EEENS1_36merge_oddeven_config_static_selectorELNS0_4arch9wavefront6targetE1EEEvSF_
	.globl	_ZN7rocprim17ROCPRIM_400000_NS6detail17trampoline_kernelINS0_14default_configENS1_38merge_sort_block_merge_config_selectorIiNS0_10empty_typeEEEZZNS1_27merge_sort_block_merge_implIS3_PiPS5_jNS1_19radix_merge_compareILb1ELb1EiNS0_19identity_decomposerEEEEE10hipError_tT0_T1_T2_jT3_P12ihipStream_tbPNSt15iterator_traitsISE_E10value_typeEPNSK_ISF_E10value_typeEPSG_NS1_7vsmem_tEENKUlT_SE_SF_SG_E_clIS8_S8_S9_S9_EESD_ST_SE_SF_SG_EUlST_E1_NS1_11comp_targetILNS1_3genE4ELNS1_11target_archE910ELNS1_3gpuE8ELNS1_3repE0EEENS1_36merge_oddeven_config_static_selectorELNS0_4arch9wavefront6targetE1EEEvSF_
	.p2align	8
	.type	_ZN7rocprim17ROCPRIM_400000_NS6detail17trampoline_kernelINS0_14default_configENS1_38merge_sort_block_merge_config_selectorIiNS0_10empty_typeEEEZZNS1_27merge_sort_block_merge_implIS3_PiPS5_jNS1_19radix_merge_compareILb1ELb1EiNS0_19identity_decomposerEEEEE10hipError_tT0_T1_T2_jT3_P12ihipStream_tbPNSt15iterator_traitsISE_E10value_typeEPNSK_ISF_E10value_typeEPSG_NS1_7vsmem_tEENKUlT_SE_SF_SG_E_clIS8_S8_S9_S9_EESD_ST_SE_SF_SG_EUlST_E1_NS1_11comp_targetILNS1_3genE4ELNS1_11target_archE910ELNS1_3gpuE8ELNS1_3repE0EEENS1_36merge_oddeven_config_static_selectorELNS0_4arch9wavefront6targetE1EEEvSF_,@function
_ZN7rocprim17ROCPRIM_400000_NS6detail17trampoline_kernelINS0_14default_configENS1_38merge_sort_block_merge_config_selectorIiNS0_10empty_typeEEEZZNS1_27merge_sort_block_merge_implIS3_PiPS5_jNS1_19radix_merge_compareILb1ELb1EiNS0_19identity_decomposerEEEEE10hipError_tT0_T1_T2_jT3_P12ihipStream_tbPNSt15iterator_traitsISE_E10value_typeEPNSK_ISF_E10value_typeEPSG_NS1_7vsmem_tEENKUlT_SE_SF_SG_E_clIS8_S8_S9_S9_EESD_ST_SE_SF_SG_EUlST_E1_NS1_11comp_targetILNS1_3genE4ELNS1_11target_archE910ELNS1_3gpuE8ELNS1_3repE0EEENS1_36merge_oddeven_config_static_selectorELNS0_4arch9wavefront6targetE1EEEvSF_: ; @_ZN7rocprim17ROCPRIM_400000_NS6detail17trampoline_kernelINS0_14default_configENS1_38merge_sort_block_merge_config_selectorIiNS0_10empty_typeEEEZZNS1_27merge_sort_block_merge_implIS3_PiPS5_jNS1_19radix_merge_compareILb1ELb1EiNS0_19identity_decomposerEEEEE10hipError_tT0_T1_T2_jT3_P12ihipStream_tbPNSt15iterator_traitsISE_E10value_typeEPNSK_ISF_E10value_typeEPSG_NS1_7vsmem_tEENKUlT_SE_SF_SG_E_clIS8_S8_S9_S9_EESD_ST_SE_SF_SG_EUlST_E1_NS1_11comp_targetILNS1_3genE4ELNS1_11target_archE910ELNS1_3gpuE8ELNS1_3repE0EEENS1_36merge_oddeven_config_static_selectorELNS0_4arch9wavefront6targetE1EEEvSF_
; %bb.0:
	s_load_dword s18, s[4:5], 0x20
	s_waitcnt lgkmcnt(0)
	s_lshr_b32 s0, s18, 8
	s_cmp_lg_u32 s6, s0
	s_cselect_b64 s[14:15], -1, 0
	s_cmp_eq_u32 s6, s0
	s_cselect_b64 s[12:13], -1, 0
	s_lshl_b32 s16, s6, 8
	s_sub_i32 s0, s18, s16
	v_cmp_gt_u32_e64 s[2:3], s0, v0
	s_or_b64 s[0:1], s[14:15], s[2:3]
	s_and_saveexec_b64 s[8:9], s[0:1]
	s_cbranch_execz .LBB1989_20
; %bb.1:
	s_load_dwordx4 s[8:11], s[4:5], 0x0
	s_load_dword s19, s[4:5], 0x24
	s_mov_b32 s17, 0
	s_lshl_b64 s[0:1], s[16:17], 2
	v_lshlrev_b32_e32 v1, 2, v0
	s_waitcnt lgkmcnt(0)
	s_add_u32 s0, s8, s0
	s_addc_u32 s1, s9, s1
	global_load_dword v2, v1, s[0:1]
	s_lshr_b32 s0, s19, 8
	s_sub_i32 s1, 0, s0
	s_and_b32 s1, s6, s1
	s_and_b32 s0, s1, s0
	s_lshl_b32 s20, s1, 8
	s_sub_i32 s17, 0, s19
	s_cmp_eq_u32 s0, 0
	s_cselect_b64 s[0:1], -1, 0
	s_and_b64 s[6:7], s[0:1], exec
	s_cselect_b32 s17, s19, s17
	s_add_i32 s17, s17, s20
	s_cmp_lt_u32 s17, s18
	v_add_u32_e32 v0, s16, v0
	s_cbranch_scc1 .LBB1989_3
; %bb.2:
	v_cmp_gt_u32_e32 vcc, s18, v0
	s_or_b64 s[6:7], vcc, s[14:15]
	s_and_b64 s[6:7], s[6:7], exec
	s_cbranch_execz .LBB1989_4
	s_branch .LBB1989_18
.LBB1989_3:
	s_mov_b64 s[6:7], 0
.LBB1989_4:
	s_load_dword s14, s[4:5], 0x28
	s_min_u32 s15, s17, s18
	s_add_i32 s4, s15, s19
	s_min_u32 s16, s4, s18
	s_min_u32 s4, s20, s15
	s_add_i32 s20, s20, s15
	v_subrev_u32_e32 v0, s20, v0
	v_add_u32_e32 v3, s4, v0
	s_and_b64 vcc, exec, s[12:13]
	s_cbranch_vccz .LBB1989_12
; %bb.5:
                                        ; implicit-def: $vgpr0
	s_and_saveexec_b64 s[4:5], s[2:3]
	s_cbranch_execz .LBB1989_11
; %bb.6:
	s_cmp_ge_u32 s17, s16
	v_mov_b32_e32 v4, s15
	s_cbranch_scc1 .LBB1989_10
; %bb.7:
	s_waitcnt vmcnt(0) lgkmcnt(0)
	v_and_b32_e32 v5, s14, v2
	s_mov_b64 s[2:3], 0
	v_mov_b32_e32 v6, s16
	v_mov_b32_e32 v4, s15
	;; [unrolled: 1-line block ×4, first 2 shown]
.LBB1989_8:                             ; =>This Inner Loop Header: Depth=1
	v_add_u32_e32 v0, v4, v6
	v_lshrrev_b32_e32 v0, 1, v0
	v_lshlrev_b64 v[8:9], 2, v[0:1]
	v_add_co_u32_e32 v8, vcc, s8, v8
	v_addc_co_u32_e32 v9, vcc, v7, v9, vcc
	global_load_dword v8, v[8:9], off
	v_add_u32_e32 v9, 1, v0
	s_waitcnt vmcnt(0)
	v_and_b32_e32 v8, s14, v8
	v_cmp_gt_i32_e32 vcc, v8, v5
	v_cndmask_b32_e64 v10, 0, 1, vcc
	v_cmp_le_i32_e32 vcc, v5, v8
	v_cndmask_b32_e64 v8, 0, 1, vcc
	v_cndmask_b32_e64 v8, v8, v10, s[0:1]
	v_and_b32_e32 v8, 1, v8
	v_cmp_eq_u32_e32 vcc, 1, v8
	v_cndmask_b32_e32 v6, v0, v6, vcc
	v_cndmask_b32_e32 v4, v4, v9, vcc
	v_cmp_ge_u32_e32 vcc, v4, v6
	s_or_b64 s[2:3], vcc, s[2:3]
	s_andn2_b64 exec, exec, s[2:3]
	s_cbranch_execnz .LBB1989_8
; %bb.9:
	s_or_b64 exec, exec, s[2:3]
.LBB1989_10:
	v_add_u32_e32 v0, v4, v3
	s_or_b64 s[6:7], s[6:7], exec
.LBB1989_11:
	s_or_b64 exec, exec, s[4:5]
	s_branch .LBB1989_18
.LBB1989_12:
                                        ; implicit-def: $vgpr0
	s_cbranch_execz .LBB1989_18
; %bb.13:
	s_cmp_ge_u32 s17, s16
	v_mov_b32_e32 v4, s15
	s_cbranch_scc1 .LBB1989_17
; %bb.14:
	s_waitcnt vmcnt(0) lgkmcnt(0)
	v_and_b32_e32 v5, s14, v2
	s_mov_b64 s[2:3], 0
	v_mov_b32_e32 v6, s16
	v_mov_b32_e32 v4, s15
	;; [unrolled: 1-line block ×4, first 2 shown]
.LBB1989_15:                            ; =>This Inner Loop Header: Depth=1
	v_add_u32_e32 v0, v4, v6
	v_lshrrev_b32_e32 v0, 1, v0
	v_lshlrev_b64 v[8:9], 2, v[0:1]
	v_add_co_u32_e32 v8, vcc, s8, v8
	v_addc_co_u32_e32 v9, vcc, v7, v9, vcc
	global_load_dword v8, v[8:9], off
	v_add_u32_e32 v9, 1, v0
	s_waitcnt vmcnt(0)
	v_and_b32_e32 v8, s14, v8
	v_cmp_gt_i32_e32 vcc, v8, v5
	v_cndmask_b32_e64 v10, 0, 1, vcc
	v_cmp_le_i32_e32 vcc, v5, v8
	v_cndmask_b32_e64 v8, 0, 1, vcc
	v_cndmask_b32_e64 v8, v8, v10, s[0:1]
	v_and_b32_e32 v8, 1, v8
	v_cmp_eq_u32_e32 vcc, 1, v8
	v_cndmask_b32_e32 v6, v0, v6, vcc
	v_cndmask_b32_e32 v4, v4, v9, vcc
	v_cmp_ge_u32_e32 vcc, v4, v6
	s_or_b64 s[2:3], vcc, s[2:3]
	s_andn2_b64 exec, exec, s[2:3]
	s_cbranch_execnz .LBB1989_15
; %bb.16:
	s_or_b64 exec, exec, s[2:3]
.LBB1989_17:
	v_add_u32_e32 v0, v4, v3
	s_mov_b64 s[6:7], -1
.LBB1989_18:
	s_and_b64 exec, exec, s[6:7]
	s_cbranch_execz .LBB1989_20
; %bb.19:
	v_mov_b32_e32 v1, 0
	v_lshlrev_b64 v[0:1], 2, v[0:1]
	v_mov_b32_e32 v3, s11
	v_add_co_u32_e32 v0, vcc, s10, v0
	v_addc_co_u32_e32 v1, vcc, v3, v1, vcc
	s_waitcnt vmcnt(0)
	global_store_dword v[0:1], v2, off
.LBB1989_20:
	s_endpgm
	.section	.rodata,"a",@progbits
	.p2align	6, 0x0
	.amdhsa_kernel _ZN7rocprim17ROCPRIM_400000_NS6detail17trampoline_kernelINS0_14default_configENS1_38merge_sort_block_merge_config_selectorIiNS0_10empty_typeEEEZZNS1_27merge_sort_block_merge_implIS3_PiPS5_jNS1_19radix_merge_compareILb1ELb1EiNS0_19identity_decomposerEEEEE10hipError_tT0_T1_T2_jT3_P12ihipStream_tbPNSt15iterator_traitsISE_E10value_typeEPNSK_ISF_E10value_typeEPSG_NS1_7vsmem_tEENKUlT_SE_SF_SG_E_clIS8_S8_S9_S9_EESD_ST_SE_SF_SG_EUlST_E1_NS1_11comp_targetILNS1_3genE4ELNS1_11target_archE910ELNS1_3gpuE8ELNS1_3repE0EEENS1_36merge_oddeven_config_static_selectorELNS0_4arch9wavefront6targetE1EEEvSF_
		.amdhsa_group_segment_fixed_size 0
		.amdhsa_private_segment_fixed_size 0
		.amdhsa_kernarg_size 48
		.amdhsa_user_sgpr_count 6
		.amdhsa_user_sgpr_private_segment_buffer 1
		.amdhsa_user_sgpr_dispatch_ptr 0
		.amdhsa_user_sgpr_queue_ptr 0
		.amdhsa_user_sgpr_kernarg_segment_ptr 1
		.amdhsa_user_sgpr_dispatch_id 0
		.amdhsa_user_sgpr_flat_scratch_init 0
		.amdhsa_user_sgpr_kernarg_preload_length 0
		.amdhsa_user_sgpr_kernarg_preload_offset 0
		.amdhsa_user_sgpr_private_segment_size 0
		.amdhsa_uses_dynamic_stack 0
		.amdhsa_system_sgpr_private_segment_wavefront_offset 0
		.amdhsa_system_sgpr_workgroup_id_x 1
		.amdhsa_system_sgpr_workgroup_id_y 0
		.amdhsa_system_sgpr_workgroup_id_z 0
		.amdhsa_system_sgpr_workgroup_info 0
		.amdhsa_system_vgpr_workitem_id 0
		.amdhsa_next_free_vgpr 11
		.amdhsa_next_free_sgpr 21
		.amdhsa_accum_offset 12
		.amdhsa_reserve_vcc 1
		.amdhsa_reserve_flat_scratch 0
		.amdhsa_float_round_mode_32 0
		.amdhsa_float_round_mode_16_64 0
		.amdhsa_float_denorm_mode_32 3
		.amdhsa_float_denorm_mode_16_64 3
		.amdhsa_dx10_clamp 1
		.amdhsa_ieee_mode 1
		.amdhsa_fp16_overflow 0
		.amdhsa_tg_split 0
		.amdhsa_exception_fp_ieee_invalid_op 0
		.amdhsa_exception_fp_denorm_src 0
		.amdhsa_exception_fp_ieee_div_zero 0
		.amdhsa_exception_fp_ieee_overflow 0
		.amdhsa_exception_fp_ieee_underflow 0
		.amdhsa_exception_fp_ieee_inexact 0
		.amdhsa_exception_int_div_zero 0
	.end_amdhsa_kernel
	.section	.text._ZN7rocprim17ROCPRIM_400000_NS6detail17trampoline_kernelINS0_14default_configENS1_38merge_sort_block_merge_config_selectorIiNS0_10empty_typeEEEZZNS1_27merge_sort_block_merge_implIS3_PiPS5_jNS1_19radix_merge_compareILb1ELb1EiNS0_19identity_decomposerEEEEE10hipError_tT0_T1_T2_jT3_P12ihipStream_tbPNSt15iterator_traitsISE_E10value_typeEPNSK_ISF_E10value_typeEPSG_NS1_7vsmem_tEENKUlT_SE_SF_SG_E_clIS8_S8_S9_S9_EESD_ST_SE_SF_SG_EUlST_E1_NS1_11comp_targetILNS1_3genE4ELNS1_11target_archE910ELNS1_3gpuE8ELNS1_3repE0EEENS1_36merge_oddeven_config_static_selectorELNS0_4arch9wavefront6targetE1EEEvSF_,"axG",@progbits,_ZN7rocprim17ROCPRIM_400000_NS6detail17trampoline_kernelINS0_14default_configENS1_38merge_sort_block_merge_config_selectorIiNS0_10empty_typeEEEZZNS1_27merge_sort_block_merge_implIS3_PiPS5_jNS1_19radix_merge_compareILb1ELb1EiNS0_19identity_decomposerEEEEE10hipError_tT0_T1_T2_jT3_P12ihipStream_tbPNSt15iterator_traitsISE_E10value_typeEPNSK_ISF_E10value_typeEPSG_NS1_7vsmem_tEENKUlT_SE_SF_SG_E_clIS8_S8_S9_S9_EESD_ST_SE_SF_SG_EUlST_E1_NS1_11comp_targetILNS1_3genE4ELNS1_11target_archE910ELNS1_3gpuE8ELNS1_3repE0EEENS1_36merge_oddeven_config_static_selectorELNS0_4arch9wavefront6targetE1EEEvSF_,comdat
.Lfunc_end1989:
	.size	_ZN7rocprim17ROCPRIM_400000_NS6detail17trampoline_kernelINS0_14default_configENS1_38merge_sort_block_merge_config_selectorIiNS0_10empty_typeEEEZZNS1_27merge_sort_block_merge_implIS3_PiPS5_jNS1_19radix_merge_compareILb1ELb1EiNS0_19identity_decomposerEEEEE10hipError_tT0_T1_T2_jT3_P12ihipStream_tbPNSt15iterator_traitsISE_E10value_typeEPNSK_ISF_E10value_typeEPSG_NS1_7vsmem_tEENKUlT_SE_SF_SG_E_clIS8_S8_S9_S9_EESD_ST_SE_SF_SG_EUlST_E1_NS1_11comp_targetILNS1_3genE4ELNS1_11target_archE910ELNS1_3gpuE8ELNS1_3repE0EEENS1_36merge_oddeven_config_static_selectorELNS0_4arch9wavefront6targetE1EEEvSF_, .Lfunc_end1989-_ZN7rocprim17ROCPRIM_400000_NS6detail17trampoline_kernelINS0_14default_configENS1_38merge_sort_block_merge_config_selectorIiNS0_10empty_typeEEEZZNS1_27merge_sort_block_merge_implIS3_PiPS5_jNS1_19radix_merge_compareILb1ELb1EiNS0_19identity_decomposerEEEEE10hipError_tT0_T1_T2_jT3_P12ihipStream_tbPNSt15iterator_traitsISE_E10value_typeEPNSK_ISF_E10value_typeEPSG_NS1_7vsmem_tEENKUlT_SE_SF_SG_E_clIS8_S8_S9_S9_EESD_ST_SE_SF_SG_EUlST_E1_NS1_11comp_targetILNS1_3genE4ELNS1_11target_archE910ELNS1_3gpuE8ELNS1_3repE0EEENS1_36merge_oddeven_config_static_selectorELNS0_4arch9wavefront6targetE1EEEvSF_
                                        ; -- End function
	.section	.AMDGPU.csdata,"",@progbits
; Kernel info:
; codeLenInByte = 620
; NumSgprs: 25
; NumVgprs: 11
; NumAgprs: 0
; TotalNumVgprs: 11
; ScratchSize: 0
; MemoryBound: 0
; FloatMode: 240
; IeeeMode: 1
; LDSByteSize: 0 bytes/workgroup (compile time only)
; SGPRBlocks: 3
; VGPRBlocks: 1
; NumSGPRsForWavesPerEU: 25
; NumVGPRsForWavesPerEU: 11
; AccumOffset: 12
; Occupancy: 8
; WaveLimiterHint : 0
; COMPUTE_PGM_RSRC2:SCRATCH_EN: 0
; COMPUTE_PGM_RSRC2:USER_SGPR: 6
; COMPUTE_PGM_RSRC2:TRAP_HANDLER: 0
; COMPUTE_PGM_RSRC2:TGID_X_EN: 1
; COMPUTE_PGM_RSRC2:TGID_Y_EN: 0
; COMPUTE_PGM_RSRC2:TGID_Z_EN: 0
; COMPUTE_PGM_RSRC2:TIDIG_COMP_CNT: 0
; COMPUTE_PGM_RSRC3_GFX90A:ACCUM_OFFSET: 2
; COMPUTE_PGM_RSRC3_GFX90A:TG_SPLIT: 0
	.section	.text._ZN7rocprim17ROCPRIM_400000_NS6detail17trampoline_kernelINS0_14default_configENS1_38merge_sort_block_merge_config_selectorIiNS0_10empty_typeEEEZZNS1_27merge_sort_block_merge_implIS3_PiPS5_jNS1_19radix_merge_compareILb1ELb1EiNS0_19identity_decomposerEEEEE10hipError_tT0_T1_T2_jT3_P12ihipStream_tbPNSt15iterator_traitsISE_E10value_typeEPNSK_ISF_E10value_typeEPSG_NS1_7vsmem_tEENKUlT_SE_SF_SG_E_clIS8_S8_S9_S9_EESD_ST_SE_SF_SG_EUlST_E1_NS1_11comp_targetILNS1_3genE3ELNS1_11target_archE908ELNS1_3gpuE7ELNS1_3repE0EEENS1_36merge_oddeven_config_static_selectorELNS0_4arch9wavefront6targetE1EEEvSF_,"axG",@progbits,_ZN7rocprim17ROCPRIM_400000_NS6detail17trampoline_kernelINS0_14default_configENS1_38merge_sort_block_merge_config_selectorIiNS0_10empty_typeEEEZZNS1_27merge_sort_block_merge_implIS3_PiPS5_jNS1_19radix_merge_compareILb1ELb1EiNS0_19identity_decomposerEEEEE10hipError_tT0_T1_T2_jT3_P12ihipStream_tbPNSt15iterator_traitsISE_E10value_typeEPNSK_ISF_E10value_typeEPSG_NS1_7vsmem_tEENKUlT_SE_SF_SG_E_clIS8_S8_S9_S9_EESD_ST_SE_SF_SG_EUlST_E1_NS1_11comp_targetILNS1_3genE3ELNS1_11target_archE908ELNS1_3gpuE7ELNS1_3repE0EEENS1_36merge_oddeven_config_static_selectorELNS0_4arch9wavefront6targetE1EEEvSF_,comdat
	.protected	_ZN7rocprim17ROCPRIM_400000_NS6detail17trampoline_kernelINS0_14default_configENS1_38merge_sort_block_merge_config_selectorIiNS0_10empty_typeEEEZZNS1_27merge_sort_block_merge_implIS3_PiPS5_jNS1_19radix_merge_compareILb1ELb1EiNS0_19identity_decomposerEEEEE10hipError_tT0_T1_T2_jT3_P12ihipStream_tbPNSt15iterator_traitsISE_E10value_typeEPNSK_ISF_E10value_typeEPSG_NS1_7vsmem_tEENKUlT_SE_SF_SG_E_clIS8_S8_S9_S9_EESD_ST_SE_SF_SG_EUlST_E1_NS1_11comp_targetILNS1_3genE3ELNS1_11target_archE908ELNS1_3gpuE7ELNS1_3repE0EEENS1_36merge_oddeven_config_static_selectorELNS0_4arch9wavefront6targetE1EEEvSF_ ; -- Begin function _ZN7rocprim17ROCPRIM_400000_NS6detail17trampoline_kernelINS0_14default_configENS1_38merge_sort_block_merge_config_selectorIiNS0_10empty_typeEEEZZNS1_27merge_sort_block_merge_implIS3_PiPS5_jNS1_19radix_merge_compareILb1ELb1EiNS0_19identity_decomposerEEEEE10hipError_tT0_T1_T2_jT3_P12ihipStream_tbPNSt15iterator_traitsISE_E10value_typeEPNSK_ISF_E10value_typeEPSG_NS1_7vsmem_tEENKUlT_SE_SF_SG_E_clIS8_S8_S9_S9_EESD_ST_SE_SF_SG_EUlST_E1_NS1_11comp_targetILNS1_3genE3ELNS1_11target_archE908ELNS1_3gpuE7ELNS1_3repE0EEENS1_36merge_oddeven_config_static_selectorELNS0_4arch9wavefront6targetE1EEEvSF_
	.globl	_ZN7rocprim17ROCPRIM_400000_NS6detail17trampoline_kernelINS0_14default_configENS1_38merge_sort_block_merge_config_selectorIiNS0_10empty_typeEEEZZNS1_27merge_sort_block_merge_implIS3_PiPS5_jNS1_19radix_merge_compareILb1ELb1EiNS0_19identity_decomposerEEEEE10hipError_tT0_T1_T2_jT3_P12ihipStream_tbPNSt15iterator_traitsISE_E10value_typeEPNSK_ISF_E10value_typeEPSG_NS1_7vsmem_tEENKUlT_SE_SF_SG_E_clIS8_S8_S9_S9_EESD_ST_SE_SF_SG_EUlST_E1_NS1_11comp_targetILNS1_3genE3ELNS1_11target_archE908ELNS1_3gpuE7ELNS1_3repE0EEENS1_36merge_oddeven_config_static_selectorELNS0_4arch9wavefront6targetE1EEEvSF_
	.p2align	8
	.type	_ZN7rocprim17ROCPRIM_400000_NS6detail17trampoline_kernelINS0_14default_configENS1_38merge_sort_block_merge_config_selectorIiNS0_10empty_typeEEEZZNS1_27merge_sort_block_merge_implIS3_PiPS5_jNS1_19radix_merge_compareILb1ELb1EiNS0_19identity_decomposerEEEEE10hipError_tT0_T1_T2_jT3_P12ihipStream_tbPNSt15iterator_traitsISE_E10value_typeEPNSK_ISF_E10value_typeEPSG_NS1_7vsmem_tEENKUlT_SE_SF_SG_E_clIS8_S8_S9_S9_EESD_ST_SE_SF_SG_EUlST_E1_NS1_11comp_targetILNS1_3genE3ELNS1_11target_archE908ELNS1_3gpuE7ELNS1_3repE0EEENS1_36merge_oddeven_config_static_selectorELNS0_4arch9wavefront6targetE1EEEvSF_,@function
_ZN7rocprim17ROCPRIM_400000_NS6detail17trampoline_kernelINS0_14default_configENS1_38merge_sort_block_merge_config_selectorIiNS0_10empty_typeEEEZZNS1_27merge_sort_block_merge_implIS3_PiPS5_jNS1_19radix_merge_compareILb1ELb1EiNS0_19identity_decomposerEEEEE10hipError_tT0_T1_T2_jT3_P12ihipStream_tbPNSt15iterator_traitsISE_E10value_typeEPNSK_ISF_E10value_typeEPSG_NS1_7vsmem_tEENKUlT_SE_SF_SG_E_clIS8_S8_S9_S9_EESD_ST_SE_SF_SG_EUlST_E1_NS1_11comp_targetILNS1_3genE3ELNS1_11target_archE908ELNS1_3gpuE7ELNS1_3repE0EEENS1_36merge_oddeven_config_static_selectorELNS0_4arch9wavefront6targetE1EEEvSF_: ; @_ZN7rocprim17ROCPRIM_400000_NS6detail17trampoline_kernelINS0_14default_configENS1_38merge_sort_block_merge_config_selectorIiNS0_10empty_typeEEEZZNS1_27merge_sort_block_merge_implIS3_PiPS5_jNS1_19radix_merge_compareILb1ELb1EiNS0_19identity_decomposerEEEEE10hipError_tT0_T1_T2_jT3_P12ihipStream_tbPNSt15iterator_traitsISE_E10value_typeEPNSK_ISF_E10value_typeEPSG_NS1_7vsmem_tEENKUlT_SE_SF_SG_E_clIS8_S8_S9_S9_EESD_ST_SE_SF_SG_EUlST_E1_NS1_11comp_targetILNS1_3genE3ELNS1_11target_archE908ELNS1_3gpuE7ELNS1_3repE0EEENS1_36merge_oddeven_config_static_selectorELNS0_4arch9wavefront6targetE1EEEvSF_
; %bb.0:
	.section	.rodata,"a",@progbits
	.p2align	6, 0x0
	.amdhsa_kernel _ZN7rocprim17ROCPRIM_400000_NS6detail17trampoline_kernelINS0_14default_configENS1_38merge_sort_block_merge_config_selectorIiNS0_10empty_typeEEEZZNS1_27merge_sort_block_merge_implIS3_PiPS5_jNS1_19radix_merge_compareILb1ELb1EiNS0_19identity_decomposerEEEEE10hipError_tT0_T1_T2_jT3_P12ihipStream_tbPNSt15iterator_traitsISE_E10value_typeEPNSK_ISF_E10value_typeEPSG_NS1_7vsmem_tEENKUlT_SE_SF_SG_E_clIS8_S8_S9_S9_EESD_ST_SE_SF_SG_EUlST_E1_NS1_11comp_targetILNS1_3genE3ELNS1_11target_archE908ELNS1_3gpuE7ELNS1_3repE0EEENS1_36merge_oddeven_config_static_selectorELNS0_4arch9wavefront6targetE1EEEvSF_
		.amdhsa_group_segment_fixed_size 0
		.amdhsa_private_segment_fixed_size 0
		.amdhsa_kernarg_size 48
		.amdhsa_user_sgpr_count 6
		.amdhsa_user_sgpr_private_segment_buffer 1
		.amdhsa_user_sgpr_dispatch_ptr 0
		.amdhsa_user_sgpr_queue_ptr 0
		.amdhsa_user_sgpr_kernarg_segment_ptr 1
		.amdhsa_user_sgpr_dispatch_id 0
		.amdhsa_user_sgpr_flat_scratch_init 0
		.amdhsa_user_sgpr_kernarg_preload_length 0
		.amdhsa_user_sgpr_kernarg_preload_offset 0
		.amdhsa_user_sgpr_private_segment_size 0
		.amdhsa_uses_dynamic_stack 0
		.amdhsa_system_sgpr_private_segment_wavefront_offset 0
		.amdhsa_system_sgpr_workgroup_id_x 1
		.amdhsa_system_sgpr_workgroup_id_y 0
		.amdhsa_system_sgpr_workgroup_id_z 0
		.amdhsa_system_sgpr_workgroup_info 0
		.amdhsa_system_vgpr_workitem_id 0
		.amdhsa_next_free_vgpr 1
		.amdhsa_next_free_sgpr 0
		.amdhsa_accum_offset 4
		.amdhsa_reserve_vcc 0
		.amdhsa_reserve_flat_scratch 0
		.amdhsa_float_round_mode_32 0
		.amdhsa_float_round_mode_16_64 0
		.amdhsa_float_denorm_mode_32 3
		.amdhsa_float_denorm_mode_16_64 3
		.amdhsa_dx10_clamp 1
		.amdhsa_ieee_mode 1
		.amdhsa_fp16_overflow 0
		.amdhsa_tg_split 0
		.amdhsa_exception_fp_ieee_invalid_op 0
		.amdhsa_exception_fp_denorm_src 0
		.amdhsa_exception_fp_ieee_div_zero 0
		.amdhsa_exception_fp_ieee_overflow 0
		.amdhsa_exception_fp_ieee_underflow 0
		.amdhsa_exception_fp_ieee_inexact 0
		.amdhsa_exception_int_div_zero 0
	.end_amdhsa_kernel
	.section	.text._ZN7rocprim17ROCPRIM_400000_NS6detail17trampoline_kernelINS0_14default_configENS1_38merge_sort_block_merge_config_selectorIiNS0_10empty_typeEEEZZNS1_27merge_sort_block_merge_implIS3_PiPS5_jNS1_19radix_merge_compareILb1ELb1EiNS0_19identity_decomposerEEEEE10hipError_tT0_T1_T2_jT3_P12ihipStream_tbPNSt15iterator_traitsISE_E10value_typeEPNSK_ISF_E10value_typeEPSG_NS1_7vsmem_tEENKUlT_SE_SF_SG_E_clIS8_S8_S9_S9_EESD_ST_SE_SF_SG_EUlST_E1_NS1_11comp_targetILNS1_3genE3ELNS1_11target_archE908ELNS1_3gpuE7ELNS1_3repE0EEENS1_36merge_oddeven_config_static_selectorELNS0_4arch9wavefront6targetE1EEEvSF_,"axG",@progbits,_ZN7rocprim17ROCPRIM_400000_NS6detail17trampoline_kernelINS0_14default_configENS1_38merge_sort_block_merge_config_selectorIiNS0_10empty_typeEEEZZNS1_27merge_sort_block_merge_implIS3_PiPS5_jNS1_19radix_merge_compareILb1ELb1EiNS0_19identity_decomposerEEEEE10hipError_tT0_T1_T2_jT3_P12ihipStream_tbPNSt15iterator_traitsISE_E10value_typeEPNSK_ISF_E10value_typeEPSG_NS1_7vsmem_tEENKUlT_SE_SF_SG_E_clIS8_S8_S9_S9_EESD_ST_SE_SF_SG_EUlST_E1_NS1_11comp_targetILNS1_3genE3ELNS1_11target_archE908ELNS1_3gpuE7ELNS1_3repE0EEENS1_36merge_oddeven_config_static_selectorELNS0_4arch9wavefront6targetE1EEEvSF_,comdat
.Lfunc_end1990:
	.size	_ZN7rocprim17ROCPRIM_400000_NS6detail17trampoline_kernelINS0_14default_configENS1_38merge_sort_block_merge_config_selectorIiNS0_10empty_typeEEEZZNS1_27merge_sort_block_merge_implIS3_PiPS5_jNS1_19radix_merge_compareILb1ELb1EiNS0_19identity_decomposerEEEEE10hipError_tT0_T1_T2_jT3_P12ihipStream_tbPNSt15iterator_traitsISE_E10value_typeEPNSK_ISF_E10value_typeEPSG_NS1_7vsmem_tEENKUlT_SE_SF_SG_E_clIS8_S8_S9_S9_EESD_ST_SE_SF_SG_EUlST_E1_NS1_11comp_targetILNS1_3genE3ELNS1_11target_archE908ELNS1_3gpuE7ELNS1_3repE0EEENS1_36merge_oddeven_config_static_selectorELNS0_4arch9wavefront6targetE1EEEvSF_, .Lfunc_end1990-_ZN7rocprim17ROCPRIM_400000_NS6detail17trampoline_kernelINS0_14default_configENS1_38merge_sort_block_merge_config_selectorIiNS0_10empty_typeEEEZZNS1_27merge_sort_block_merge_implIS3_PiPS5_jNS1_19radix_merge_compareILb1ELb1EiNS0_19identity_decomposerEEEEE10hipError_tT0_T1_T2_jT3_P12ihipStream_tbPNSt15iterator_traitsISE_E10value_typeEPNSK_ISF_E10value_typeEPSG_NS1_7vsmem_tEENKUlT_SE_SF_SG_E_clIS8_S8_S9_S9_EESD_ST_SE_SF_SG_EUlST_E1_NS1_11comp_targetILNS1_3genE3ELNS1_11target_archE908ELNS1_3gpuE7ELNS1_3repE0EEENS1_36merge_oddeven_config_static_selectorELNS0_4arch9wavefront6targetE1EEEvSF_
                                        ; -- End function
	.section	.AMDGPU.csdata,"",@progbits
; Kernel info:
; codeLenInByte = 0
; NumSgprs: 4
; NumVgprs: 0
; NumAgprs: 0
; TotalNumVgprs: 0
; ScratchSize: 0
; MemoryBound: 0
; FloatMode: 240
; IeeeMode: 1
; LDSByteSize: 0 bytes/workgroup (compile time only)
; SGPRBlocks: 0
; VGPRBlocks: 0
; NumSGPRsForWavesPerEU: 4
; NumVGPRsForWavesPerEU: 1
; AccumOffset: 4
; Occupancy: 8
; WaveLimiterHint : 0
; COMPUTE_PGM_RSRC2:SCRATCH_EN: 0
; COMPUTE_PGM_RSRC2:USER_SGPR: 6
; COMPUTE_PGM_RSRC2:TRAP_HANDLER: 0
; COMPUTE_PGM_RSRC2:TGID_X_EN: 1
; COMPUTE_PGM_RSRC2:TGID_Y_EN: 0
; COMPUTE_PGM_RSRC2:TGID_Z_EN: 0
; COMPUTE_PGM_RSRC2:TIDIG_COMP_CNT: 0
; COMPUTE_PGM_RSRC3_GFX90A:ACCUM_OFFSET: 0
; COMPUTE_PGM_RSRC3_GFX90A:TG_SPLIT: 0
	.section	.text._ZN7rocprim17ROCPRIM_400000_NS6detail17trampoline_kernelINS0_14default_configENS1_38merge_sort_block_merge_config_selectorIiNS0_10empty_typeEEEZZNS1_27merge_sort_block_merge_implIS3_PiPS5_jNS1_19radix_merge_compareILb1ELb1EiNS0_19identity_decomposerEEEEE10hipError_tT0_T1_T2_jT3_P12ihipStream_tbPNSt15iterator_traitsISE_E10value_typeEPNSK_ISF_E10value_typeEPSG_NS1_7vsmem_tEENKUlT_SE_SF_SG_E_clIS8_S8_S9_S9_EESD_ST_SE_SF_SG_EUlST_E1_NS1_11comp_targetILNS1_3genE2ELNS1_11target_archE906ELNS1_3gpuE6ELNS1_3repE0EEENS1_36merge_oddeven_config_static_selectorELNS0_4arch9wavefront6targetE1EEEvSF_,"axG",@progbits,_ZN7rocprim17ROCPRIM_400000_NS6detail17trampoline_kernelINS0_14default_configENS1_38merge_sort_block_merge_config_selectorIiNS0_10empty_typeEEEZZNS1_27merge_sort_block_merge_implIS3_PiPS5_jNS1_19radix_merge_compareILb1ELb1EiNS0_19identity_decomposerEEEEE10hipError_tT0_T1_T2_jT3_P12ihipStream_tbPNSt15iterator_traitsISE_E10value_typeEPNSK_ISF_E10value_typeEPSG_NS1_7vsmem_tEENKUlT_SE_SF_SG_E_clIS8_S8_S9_S9_EESD_ST_SE_SF_SG_EUlST_E1_NS1_11comp_targetILNS1_3genE2ELNS1_11target_archE906ELNS1_3gpuE6ELNS1_3repE0EEENS1_36merge_oddeven_config_static_selectorELNS0_4arch9wavefront6targetE1EEEvSF_,comdat
	.protected	_ZN7rocprim17ROCPRIM_400000_NS6detail17trampoline_kernelINS0_14default_configENS1_38merge_sort_block_merge_config_selectorIiNS0_10empty_typeEEEZZNS1_27merge_sort_block_merge_implIS3_PiPS5_jNS1_19radix_merge_compareILb1ELb1EiNS0_19identity_decomposerEEEEE10hipError_tT0_T1_T2_jT3_P12ihipStream_tbPNSt15iterator_traitsISE_E10value_typeEPNSK_ISF_E10value_typeEPSG_NS1_7vsmem_tEENKUlT_SE_SF_SG_E_clIS8_S8_S9_S9_EESD_ST_SE_SF_SG_EUlST_E1_NS1_11comp_targetILNS1_3genE2ELNS1_11target_archE906ELNS1_3gpuE6ELNS1_3repE0EEENS1_36merge_oddeven_config_static_selectorELNS0_4arch9wavefront6targetE1EEEvSF_ ; -- Begin function _ZN7rocprim17ROCPRIM_400000_NS6detail17trampoline_kernelINS0_14default_configENS1_38merge_sort_block_merge_config_selectorIiNS0_10empty_typeEEEZZNS1_27merge_sort_block_merge_implIS3_PiPS5_jNS1_19radix_merge_compareILb1ELb1EiNS0_19identity_decomposerEEEEE10hipError_tT0_T1_T2_jT3_P12ihipStream_tbPNSt15iterator_traitsISE_E10value_typeEPNSK_ISF_E10value_typeEPSG_NS1_7vsmem_tEENKUlT_SE_SF_SG_E_clIS8_S8_S9_S9_EESD_ST_SE_SF_SG_EUlST_E1_NS1_11comp_targetILNS1_3genE2ELNS1_11target_archE906ELNS1_3gpuE6ELNS1_3repE0EEENS1_36merge_oddeven_config_static_selectorELNS0_4arch9wavefront6targetE1EEEvSF_
	.globl	_ZN7rocprim17ROCPRIM_400000_NS6detail17trampoline_kernelINS0_14default_configENS1_38merge_sort_block_merge_config_selectorIiNS0_10empty_typeEEEZZNS1_27merge_sort_block_merge_implIS3_PiPS5_jNS1_19radix_merge_compareILb1ELb1EiNS0_19identity_decomposerEEEEE10hipError_tT0_T1_T2_jT3_P12ihipStream_tbPNSt15iterator_traitsISE_E10value_typeEPNSK_ISF_E10value_typeEPSG_NS1_7vsmem_tEENKUlT_SE_SF_SG_E_clIS8_S8_S9_S9_EESD_ST_SE_SF_SG_EUlST_E1_NS1_11comp_targetILNS1_3genE2ELNS1_11target_archE906ELNS1_3gpuE6ELNS1_3repE0EEENS1_36merge_oddeven_config_static_selectorELNS0_4arch9wavefront6targetE1EEEvSF_
	.p2align	8
	.type	_ZN7rocprim17ROCPRIM_400000_NS6detail17trampoline_kernelINS0_14default_configENS1_38merge_sort_block_merge_config_selectorIiNS0_10empty_typeEEEZZNS1_27merge_sort_block_merge_implIS3_PiPS5_jNS1_19radix_merge_compareILb1ELb1EiNS0_19identity_decomposerEEEEE10hipError_tT0_T1_T2_jT3_P12ihipStream_tbPNSt15iterator_traitsISE_E10value_typeEPNSK_ISF_E10value_typeEPSG_NS1_7vsmem_tEENKUlT_SE_SF_SG_E_clIS8_S8_S9_S9_EESD_ST_SE_SF_SG_EUlST_E1_NS1_11comp_targetILNS1_3genE2ELNS1_11target_archE906ELNS1_3gpuE6ELNS1_3repE0EEENS1_36merge_oddeven_config_static_selectorELNS0_4arch9wavefront6targetE1EEEvSF_,@function
_ZN7rocprim17ROCPRIM_400000_NS6detail17trampoline_kernelINS0_14default_configENS1_38merge_sort_block_merge_config_selectorIiNS0_10empty_typeEEEZZNS1_27merge_sort_block_merge_implIS3_PiPS5_jNS1_19radix_merge_compareILb1ELb1EiNS0_19identity_decomposerEEEEE10hipError_tT0_T1_T2_jT3_P12ihipStream_tbPNSt15iterator_traitsISE_E10value_typeEPNSK_ISF_E10value_typeEPSG_NS1_7vsmem_tEENKUlT_SE_SF_SG_E_clIS8_S8_S9_S9_EESD_ST_SE_SF_SG_EUlST_E1_NS1_11comp_targetILNS1_3genE2ELNS1_11target_archE906ELNS1_3gpuE6ELNS1_3repE0EEENS1_36merge_oddeven_config_static_selectorELNS0_4arch9wavefront6targetE1EEEvSF_: ; @_ZN7rocprim17ROCPRIM_400000_NS6detail17trampoline_kernelINS0_14default_configENS1_38merge_sort_block_merge_config_selectorIiNS0_10empty_typeEEEZZNS1_27merge_sort_block_merge_implIS3_PiPS5_jNS1_19radix_merge_compareILb1ELb1EiNS0_19identity_decomposerEEEEE10hipError_tT0_T1_T2_jT3_P12ihipStream_tbPNSt15iterator_traitsISE_E10value_typeEPNSK_ISF_E10value_typeEPSG_NS1_7vsmem_tEENKUlT_SE_SF_SG_E_clIS8_S8_S9_S9_EESD_ST_SE_SF_SG_EUlST_E1_NS1_11comp_targetILNS1_3genE2ELNS1_11target_archE906ELNS1_3gpuE6ELNS1_3repE0EEENS1_36merge_oddeven_config_static_selectorELNS0_4arch9wavefront6targetE1EEEvSF_
; %bb.0:
	.section	.rodata,"a",@progbits
	.p2align	6, 0x0
	.amdhsa_kernel _ZN7rocprim17ROCPRIM_400000_NS6detail17trampoline_kernelINS0_14default_configENS1_38merge_sort_block_merge_config_selectorIiNS0_10empty_typeEEEZZNS1_27merge_sort_block_merge_implIS3_PiPS5_jNS1_19radix_merge_compareILb1ELb1EiNS0_19identity_decomposerEEEEE10hipError_tT0_T1_T2_jT3_P12ihipStream_tbPNSt15iterator_traitsISE_E10value_typeEPNSK_ISF_E10value_typeEPSG_NS1_7vsmem_tEENKUlT_SE_SF_SG_E_clIS8_S8_S9_S9_EESD_ST_SE_SF_SG_EUlST_E1_NS1_11comp_targetILNS1_3genE2ELNS1_11target_archE906ELNS1_3gpuE6ELNS1_3repE0EEENS1_36merge_oddeven_config_static_selectorELNS0_4arch9wavefront6targetE1EEEvSF_
		.amdhsa_group_segment_fixed_size 0
		.amdhsa_private_segment_fixed_size 0
		.amdhsa_kernarg_size 48
		.amdhsa_user_sgpr_count 6
		.amdhsa_user_sgpr_private_segment_buffer 1
		.amdhsa_user_sgpr_dispatch_ptr 0
		.amdhsa_user_sgpr_queue_ptr 0
		.amdhsa_user_sgpr_kernarg_segment_ptr 1
		.amdhsa_user_sgpr_dispatch_id 0
		.amdhsa_user_sgpr_flat_scratch_init 0
		.amdhsa_user_sgpr_kernarg_preload_length 0
		.amdhsa_user_sgpr_kernarg_preload_offset 0
		.amdhsa_user_sgpr_private_segment_size 0
		.amdhsa_uses_dynamic_stack 0
		.amdhsa_system_sgpr_private_segment_wavefront_offset 0
		.amdhsa_system_sgpr_workgroup_id_x 1
		.amdhsa_system_sgpr_workgroup_id_y 0
		.amdhsa_system_sgpr_workgroup_id_z 0
		.amdhsa_system_sgpr_workgroup_info 0
		.amdhsa_system_vgpr_workitem_id 0
		.amdhsa_next_free_vgpr 1
		.amdhsa_next_free_sgpr 0
		.amdhsa_accum_offset 4
		.amdhsa_reserve_vcc 0
		.amdhsa_reserve_flat_scratch 0
		.amdhsa_float_round_mode_32 0
		.amdhsa_float_round_mode_16_64 0
		.amdhsa_float_denorm_mode_32 3
		.amdhsa_float_denorm_mode_16_64 3
		.amdhsa_dx10_clamp 1
		.amdhsa_ieee_mode 1
		.amdhsa_fp16_overflow 0
		.amdhsa_tg_split 0
		.amdhsa_exception_fp_ieee_invalid_op 0
		.amdhsa_exception_fp_denorm_src 0
		.amdhsa_exception_fp_ieee_div_zero 0
		.amdhsa_exception_fp_ieee_overflow 0
		.amdhsa_exception_fp_ieee_underflow 0
		.amdhsa_exception_fp_ieee_inexact 0
		.amdhsa_exception_int_div_zero 0
	.end_amdhsa_kernel
	.section	.text._ZN7rocprim17ROCPRIM_400000_NS6detail17trampoline_kernelINS0_14default_configENS1_38merge_sort_block_merge_config_selectorIiNS0_10empty_typeEEEZZNS1_27merge_sort_block_merge_implIS3_PiPS5_jNS1_19radix_merge_compareILb1ELb1EiNS0_19identity_decomposerEEEEE10hipError_tT0_T1_T2_jT3_P12ihipStream_tbPNSt15iterator_traitsISE_E10value_typeEPNSK_ISF_E10value_typeEPSG_NS1_7vsmem_tEENKUlT_SE_SF_SG_E_clIS8_S8_S9_S9_EESD_ST_SE_SF_SG_EUlST_E1_NS1_11comp_targetILNS1_3genE2ELNS1_11target_archE906ELNS1_3gpuE6ELNS1_3repE0EEENS1_36merge_oddeven_config_static_selectorELNS0_4arch9wavefront6targetE1EEEvSF_,"axG",@progbits,_ZN7rocprim17ROCPRIM_400000_NS6detail17trampoline_kernelINS0_14default_configENS1_38merge_sort_block_merge_config_selectorIiNS0_10empty_typeEEEZZNS1_27merge_sort_block_merge_implIS3_PiPS5_jNS1_19radix_merge_compareILb1ELb1EiNS0_19identity_decomposerEEEEE10hipError_tT0_T1_T2_jT3_P12ihipStream_tbPNSt15iterator_traitsISE_E10value_typeEPNSK_ISF_E10value_typeEPSG_NS1_7vsmem_tEENKUlT_SE_SF_SG_E_clIS8_S8_S9_S9_EESD_ST_SE_SF_SG_EUlST_E1_NS1_11comp_targetILNS1_3genE2ELNS1_11target_archE906ELNS1_3gpuE6ELNS1_3repE0EEENS1_36merge_oddeven_config_static_selectorELNS0_4arch9wavefront6targetE1EEEvSF_,comdat
.Lfunc_end1991:
	.size	_ZN7rocprim17ROCPRIM_400000_NS6detail17trampoline_kernelINS0_14default_configENS1_38merge_sort_block_merge_config_selectorIiNS0_10empty_typeEEEZZNS1_27merge_sort_block_merge_implIS3_PiPS5_jNS1_19radix_merge_compareILb1ELb1EiNS0_19identity_decomposerEEEEE10hipError_tT0_T1_T2_jT3_P12ihipStream_tbPNSt15iterator_traitsISE_E10value_typeEPNSK_ISF_E10value_typeEPSG_NS1_7vsmem_tEENKUlT_SE_SF_SG_E_clIS8_S8_S9_S9_EESD_ST_SE_SF_SG_EUlST_E1_NS1_11comp_targetILNS1_3genE2ELNS1_11target_archE906ELNS1_3gpuE6ELNS1_3repE0EEENS1_36merge_oddeven_config_static_selectorELNS0_4arch9wavefront6targetE1EEEvSF_, .Lfunc_end1991-_ZN7rocprim17ROCPRIM_400000_NS6detail17trampoline_kernelINS0_14default_configENS1_38merge_sort_block_merge_config_selectorIiNS0_10empty_typeEEEZZNS1_27merge_sort_block_merge_implIS3_PiPS5_jNS1_19radix_merge_compareILb1ELb1EiNS0_19identity_decomposerEEEEE10hipError_tT0_T1_T2_jT3_P12ihipStream_tbPNSt15iterator_traitsISE_E10value_typeEPNSK_ISF_E10value_typeEPSG_NS1_7vsmem_tEENKUlT_SE_SF_SG_E_clIS8_S8_S9_S9_EESD_ST_SE_SF_SG_EUlST_E1_NS1_11comp_targetILNS1_3genE2ELNS1_11target_archE906ELNS1_3gpuE6ELNS1_3repE0EEENS1_36merge_oddeven_config_static_selectorELNS0_4arch9wavefront6targetE1EEEvSF_
                                        ; -- End function
	.section	.AMDGPU.csdata,"",@progbits
; Kernel info:
; codeLenInByte = 0
; NumSgprs: 4
; NumVgprs: 0
; NumAgprs: 0
; TotalNumVgprs: 0
; ScratchSize: 0
; MemoryBound: 0
; FloatMode: 240
; IeeeMode: 1
; LDSByteSize: 0 bytes/workgroup (compile time only)
; SGPRBlocks: 0
; VGPRBlocks: 0
; NumSGPRsForWavesPerEU: 4
; NumVGPRsForWavesPerEU: 1
; AccumOffset: 4
; Occupancy: 8
; WaveLimiterHint : 0
; COMPUTE_PGM_RSRC2:SCRATCH_EN: 0
; COMPUTE_PGM_RSRC2:USER_SGPR: 6
; COMPUTE_PGM_RSRC2:TRAP_HANDLER: 0
; COMPUTE_PGM_RSRC2:TGID_X_EN: 1
; COMPUTE_PGM_RSRC2:TGID_Y_EN: 0
; COMPUTE_PGM_RSRC2:TGID_Z_EN: 0
; COMPUTE_PGM_RSRC2:TIDIG_COMP_CNT: 0
; COMPUTE_PGM_RSRC3_GFX90A:ACCUM_OFFSET: 0
; COMPUTE_PGM_RSRC3_GFX90A:TG_SPLIT: 0
	.section	.text._ZN7rocprim17ROCPRIM_400000_NS6detail17trampoline_kernelINS0_14default_configENS1_38merge_sort_block_merge_config_selectorIiNS0_10empty_typeEEEZZNS1_27merge_sort_block_merge_implIS3_PiPS5_jNS1_19radix_merge_compareILb1ELb1EiNS0_19identity_decomposerEEEEE10hipError_tT0_T1_T2_jT3_P12ihipStream_tbPNSt15iterator_traitsISE_E10value_typeEPNSK_ISF_E10value_typeEPSG_NS1_7vsmem_tEENKUlT_SE_SF_SG_E_clIS8_S8_S9_S9_EESD_ST_SE_SF_SG_EUlST_E1_NS1_11comp_targetILNS1_3genE9ELNS1_11target_archE1100ELNS1_3gpuE3ELNS1_3repE0EEENS1_36merge_oddeven_config_static_selectorELNS0_4arch9wavefront6targetE1EEEvSF_,"axG",@progbits,_ZN7rocprim17ROCPRIM_400000_NS6detail17trampoline_kernelINS0_14default_configENS1_38merge_sort_block_merge_config_selectorIiNS0_10empty_typeEEEZZNS1_27merge_sort_block_merge_implIS3_PiPS5_jNS1_19radix_merge_compareILb1ELb1EiNS0_19identity_decomposerEEEEE10hipError_tT0_T1_T2_jT3_P12ihipStream_tbPNSt15iterator_traitsISE_E10value_typeEPNSK_ISF_E10value_typeEPSG_NS1_7vsmem_tEENKUlT_SE_SF_SG_E_clIS8_S8_S9_S9_EESD_ST_SE_SF_SG_EUlST_E1_NS1_11comp_targetILNS1_3genE9ELNS1_11target_archE1100ELNS1_3gpuE3ELNS1_3repE0EEENS1_36merge_oddeven_config_static_selectorELNS0_4arch9wavefront6targetE1EEEvSF_,comdat
	.protected	_ZN7rocprim17ROCPRIM_400000_NS6detail17trampoline_kernelINS0_14default_configENS1_38merge_sort_block_merge_config_selectorIiNS0_10empty_typeEEEZZNS1_27merge_sort_block_merge_implIS3_PiPS5_jNS1_19radix_merge_compareILb1ELb1EiNS0_19identity_decomposerEEEEE10hipError_tT0_T1_T2_jT3_P12ihipStream_tbPNSt15iterator_traitsISE_E10value_typeEPNSK_ISF_E10value_typeEPSG_NS1_7vsmem_tEENKUlT_SE_SF_SG_E_clIS8_S8_S9_S9_EESD_ST_SE_SF_SG_EUlST_E1_NS1_11comp_targetILNS1_3genE9ELNS1_11target_archE1100ELNS1_3gpuE3ELNS1_3repE0EEENS1_36merge_oddeven_config_static_selectorELNS0_4arch9wavefront6targetE1EEEvSF_ ; -- Begin function _ZN7rocprim17ROCPRIM_400000_NS6detail17trampoline_kernelINS0_14default_configENS1_38merge_sort_block_merge_config_selectorIiNS0_10empty_typeEEEZZNS1_27merge_sort_block_merge_implIS3_PiPS5_jNS1_19radix_merge_compareILb1ELb1EiNS0_19identity_decomposerEEEEE10hipError_tT0_T1_T2_jT3_P12ihipStream_tbPNSt15iterator_traitsISE_E10value_typeEPNSK_ISF_E10value_typeEPSG_NS1_7vsmem_tEENKUlT_SE_SF_SG_E_clIS8_S8_S9_S9_EESD_ST_SE_SF_SG_EUlST_E1_NS1_11comp_targetILNS1_3genE9ELNS1_11target_archE1100ELNS1_3gpuE3ELNS1_3repE0EEENS1_36merge_oddeven_config_static_selectorELNS0_4arch9wavefront6targetE1EEEvSF_
	.globl	_ZN7rocprim17ROCPRIM_400000_NS6detail17trampoline_kernelINS0_14default_configENS1_38merge_sort_block_merge_config_selectorIiNS0_10empty_typeEEEZZNS1_27merge_sort_block_merge_implIS3_PiPS5_jNS1_19radix_merge_compareILb1ELb1EiNS0_19identity_decomposerEEEEE10hipError_tT0_T1_T2_jT3_P12ihipStream_tbPNSt15iterator_traitsISE_E10value_typeEPNSK_ISF_E10value_typeEPSG_NS1_7vsmem_tEENKUlT_SE_SF_SG_E_clIS8_S8_S9_S9_EESD_ST_SE_SF_SG_EUlST_E1_NS1_11comp_targetILNS1_3genE9ELNS1_11target_archE1100ELNS1_3gpuE3ELNS1_3repE0EEENS1_36merge_oddeven_config_static_selectorELNS0_4arch9wavefront6targetE1EEEvSF_
	.p2align	8
	.type	_ZN7rocprim17ROCPRIM_400000_NS6detail17trampoline_kernelINS0_14default_configENS1_38merge_sort_block_merge_config_selectorIiNS0_10empty_typeEEEZZNS1_27merge_sort_block_merge_implIS3_PiPS5_jNS1_19radix_merge_compareILb1ELb1EiNS0_19identity_decomposerEEEEE10hipError_tT0_T1_T2_jT3_P12ihipStream_tbPNSt15iterator_traitsISE_E10value_typeEPNSK_ISF_E10value_typeEPSG_NS1_7vsmem_tEENKUlT_SE_SF_SG_E_clIS8_S8_S9_S9_EESD_ST_SE_SF_SG_EUlST_E1_NS1_11comp_targetILNS1_3genE9ELNS1_11target_archE1100ELNS1_3gpuE3ELNS1_3repE0EEENS1_36merge_oddeven_config_static_selectorELNS0_4arch9wavefront6targetE1EEEvSF_,@function
_ZN7rocprim17ROCPRIM_400000_NS6detail17trampoline_kernelINS0_14default_configENS1_38merge_sort_block_merge_config_selectorIiNS0_10empty_typeEEEZZNS1_27merge_sort_block_merge_implIS3_PiPS5_jNS1_19radix_merge_compareILb1ELb1EiNS0_19identity_decomposerEEEEE10hipError_tT0_T1_T2_jT3_P12ihipStream_tbPNSt15iterator_traitsISE_E10value_typeEPNSK_ISF_E10value_typeEPSG_NS1_7vsmem_tEENKUlT_SE_SF_SG_E_clIS8_S8_S9_S9_EESD_ST_SE_SF_SG_EUlST_E1_NS1_11comp_targetILNS1_3genE9ELNS1_11target_archE1100ELNS1_3gpuE3ELNS1_3repE0EEENS1_36merge_oddeven_config_static_selectorELNS0_4arch9wavefront6targetE1EEEvSF_: ; @_ZN7rocprim17ROCPRIM_400000_NS6detail17trampoline_kernelINS0_14default_configENS1_38merge_sort_block_merge_config_selectorIiNS0_10empty_typeEEEZZNS1_27merge_sort_block_merge_implIS3_PiPS5_jNS1_19radix_merge_compareILb1ELb1EiNS0_19identity_decomposerEEEEE10hipError_tT0_T1_T2_jT3_P12ihipStream_tbPNSt15iterator_traitsISE_E10value_typeEPNSK_ISF_E10value_typeEPSG_NS1_7vsmem_tEENKUlT_SE_SF_SG_E_clIS8_S8_S9_S9_EESD_ST_SE_SF_SG_EUlST_E1_NS1_11comp_targetILNS1_3genE9ELNS1_11target_archE1100ELNS1_3gpuE3ELNS1_3repE0EEENS1_36merge_oddeven_config_static_selectorELNS0_4arch9wavefront6targetE1EEEvSF_
; %bb.0:
	.section	.rodata,"a",@progbits
	.p2align	6, 0x0
	.amdhsa_kernel _ZN7rocprim17ROCPRIM_400000_NS6detail17trampoline_kernelINS0_14default_configENS1_38merge_sort_block_merge_config_selectorIiNS0_10empty_typeEEEZZNS1_27merge_sort_block_merge_implIS3_PiPS5_jNS1_19radix_merge_compareILb1ELb1EiNS0_19identity_decomposerEEEEE10hipError_tT0_T1_T2_jT3_P12ihipStream_tbPNSt15iterator_traitsISE_E10value_typeEPNSK_ISF_E10value_typeEPSG_NS1_7vsmem_tEENKUlT_SE_SF_SG_E_clIS8_S8_S9_S9_EESD_ST_SE_SF_SG_EUlST_E1_NS1_11comp_targetILNS1_3genE9ELNS1_11target_archE1100ELNS1_3gpuE3ELNS1_3repE0EEENS1_36merge_oddeven_config_static_selectorELNS0_4arch9wavefront6targetE1EEEvSF_
		.amdhsa_group_segment_fixed_size 0
		.amdhsa_private_segment_fixed_size 0
		.amdhsa_kernarg_size 48
		.amdhsa_user_sgpr_count 6
		.amdhsa_user_sgpr_private_segment_buffer 1
		.amdhsa_user_sgpr_dispatch_ptr 0
		.amdhsa_user_sgpr_queue_ptr 0
		.amdhsa_user_sgpr_kernarg_segment_ptr 1
		.amdhsa_user_sgpr_dispatch_id 0
		.amdhsa_user_sgpr_flat_scratch_init 0
		.amdhsa_user_sgpr_kernarg_preload_length 0
		.amdhsa_user_sgpr_kernarg_preload_offset 0
		.amdhsa_user_sgpr_private_segment_size 0
		.amdhsa_uses_dynamic_stack 0
		.amdhsa_system_sgpr_private_segment_wavefront_offset 0
		.amdhsa_system_sgpr_workgroup_id_x 1
		.amdhsa_system_sgpr_workgroup_id_y 0
		.amdhsa_system_sgpr_workgroup_id_z 0
		.amdhsa_system_sgpr_workgroup_info 0
		.amdhsa_system_vgpr_workitem_id 0
		.amdhsa_next_free_vgpr 1
		.amdhsa_next_free_sgpr 0
		.amdhsa_accum_offset 4
		.amdhsa_reserve_vcc 0
		.amdhsa_reserve_flat_scratch 0
		.amdhsa_float_round_mode_32 0
		.amdhsa_float_round_mode_16_64 0
		.amdhsa_float_denorm_mode_32 3
		.amdhsa_float_denorm_mode_16_64 3
		.amdhsa_dx10_clamp 1
		.amdhsa_ieee_mode 1
		.amdhsa_fp16_overflow 0
		.amdhsa_tg_split 0
		.amdhsa_exception_fp_ieee_invalid_op 0
		.amdhsa_exception_fp_denorm_src 0
		.amdhsa_exception_fp_ieee_div_zero 0
		.amdhsa_exception_fp_ieee_overflow 0
		.amdhsa_exception_fp_ieee_underflow 0
		.amdhsa_exception_fp_ieee_inexact 0
		.amdhsa_exception_int_div_zero 0
	.end_amdhsa_kernel
	.section	.text._ZN7rocprim17ROCPRIM_400000_NS6detail17trampoline_kernelINS0_14default_configENS1_38merge_sort_block_merge_config_selectorIiNS0_10empty_typeEEEZZNS1_27merge_sort_block_merge_implIS3_PiPS5_jNS1_19radix_merge_compareILb1ELb1EiNS0_19identity_decomposerEEEEE10hipError_tT0_T1_T2_jT3_P12ihipStream_tbPNSt15iterator_traitsISE_E10value_typeEPNSK_ISF_E10value_typeEPSG_NS1_7vsmem_tEENKUlT_SE_SF_SG_E_clIS8_S8_S9_S9_EESD_ST_SE_SF_SG_EUlST_E1_NS1_11comp_targetILNS1_3genE9ELNS1_11target_archE1100ELNS1_3gpuE3ELNS1_3repE0EEENS1_36merge_oddeven_config_static_selectorELNS0_4arch9wavefront6targetE1EEEvSF_,"axG",@progbits,_ZN7rocprim17ROCPRIM_400000_NS6detail17trampoline_kernelINS0_14default_configENS1_38merge_sort_block_merge_config_selectorIiNS0_10empty_typeEEEZZNS1_27merge_sort_block_merge_implIS3_PiPS5_jNS1_19radix_merge_compareILb1ELb1EiNS0_19identity_decomposerEEEEE10hipError_tT0_T1_T2_jT3_P12ihipStream_tbPNSt15iterator_traitsISE_E10value_typeEPNSK_ISF_E10value_typeEPSG_NS1_7vsmem_tEENKUlT_SE_SF_SG_E_clIS8_S8_S9_S9_EESD_ST_SE_SF_SG_EUlST_E1_NS1_11comp_targetILNS1_3genE9ELNS1_11target_archE1100ELNS1_3gpuE3ELNS1_3repE0EEENS1_36merge_oddeven_config_static_selectorELNS0_4arch9wavefront6targetE1EEEvSF_,comdat
.Lfunc_end1992:
	.size	_ZN7rocprim17ROCPRIM_400000_NS6detail17trampoline_kernelINS0_14default_configENS1_38merge_sort_block_merge_config_selectorIiNS0_10empty_typeEEEZZNS1_27merge_sort_block_merge_implIS3_PiPS5_jNS1_19radix_merge_compareILb1ELb1EiNS0_19identity_decomposerEEEEE10hipError_tT0_T1_T2_jT3_P12ihipStream_tbPNSt15iterator_traitsISE_E10value_typeEPNSK_ISF_E10value_typeEPSG_NS1_7vsmem_tEENKUlT_SE_SF_SG_E_clIS8_S8_S9_S9_EESD_ST_SE_SF_SG_EUlST_E1_NS1_11comp_targetILNS1_3genE9ELNS1_11target_archE1100ELNS1_3gpuE3ELNS1_3repE0EEENS1_36merge_oddeven_config_static_selectorELNS0_4arch9wavefront6targetE1EEEvSF_, .Lfunc_end1992-_ZN7rocprim17ROCPRIM_400000_NS6detail17trampoline_kernelINS0_14default_configENS1_38merge_sort_block_merge_config_selectorIiNS0_10empty_typeEEEZZNS1_27merge_sort_block_merge_implIS3_PiPS5_jNS1_19radix_merge_compareILb1ELb1EiNS0_19identity_decomposerEEEEE10hipError_tT0_T1_T2_jT3_P12ihipStream_tbPNSt15iterator_traitsISE_E10value_typeEPNSK_ISF_E10value_typeEPSG_NS1_7vsmem_tEENKUlT_SE_SF_SG_E_clIS8_S8_S9_S9_EESD_ST_SE_SF_SG_EUlST_E1_NS1_11comp_targetILNS1_3genE9ELNS1_11target_archE1100ELNS1_3gpuE3ELNS1_3repE0EEENS1_36merge_oddeven_config_static_selectorELNS0_4arch9wavefront6targetE1EEEvSF_
                                        ; -- End function
	.section	.AMDGPU.csdata,"",@progbits
; Kernel info:
; codeLenInByte = 0
; NumSgprs: 4
; NumVgprs: 0
; NumAgprs: 0
; TotalNumVgprs: 0
; ScratchSize: 0
; MemoryBound: 0
; FloatMode: 240
; IeeeMode: 1
; LDSByteSize: 0 bytes/workgroup (compile time only)
; SGPRBlocks: 0
; VGPRBlocks: 0
; NumSGPRsForWavesPerEU: 4
; NumVGPRsForWavesPerEU: 1
; AccumOffset: 4
; Occupancy: 8
; WaveLimiterHint : 0
; COMPUTE_PGM_RSRC2:SCRATCH_EN: 0
; COMPUTE_PGM_RSRC2:USER_SGPR: 6
; COMPUTE_PGM_RSRC2:TRAP_HANDLER: 0
; COMPUTE_PGM_RSRC2:TGID_X_EN: 1
; COMPUTE_PGM_RSRC2:TGID_Y_EN: 0
; COMPUTE_PGM_RSRC2:TGID_Z_EN: 0
; COMPUTE_PGM_RSRC2:TIDIG_COMP_CNT: 0
; COMPUTE_PGM_RSRC3_GFX90A:ACCUM_OFFSET: 0
; COMPUTE_PGM_RSRC3_GFX90A:TG_SPLIT: 0
	.section	.text._ZN7rocprim17ROCPRIM_400000_NS6detail17trampoline_kernelINS0_14default_configENS1_38merge_sort_block_merge_config_selectorIiNS0_10empty_typeEEEZZNS1_27merge_sort_block_merge_implIS3_PiPS5_jNS1_19radix_merge_compareILb1ELb1EiNS0_19identity_decomposerEEEEE10hipError_tT0_T1_T2_jT3_P12ihipStream_tbPNSt15iterator_traitsISE_E10value_typeEPNSK_ISF_E10value_typeEPSG_NS1_7vsmem_tEENKUlT_SE_SF_SG_E_clIS8_S8_S9_S9_EESD_ST_SE_SF_SG_EUlST_E1_NS1_11comp_targetILNS1_3genE8ELNS1_11target_archE1030ELNS1_3gpuE2ELNS1_3repE0EEENS1_36merge_oddeven_config_static_selectorELNS0_4arch9wavefront6targetE1EEEvSF_,"axG",@progbits,_ZN7rocprim17ROCPRIM_400000_NS6detail17trampoline_kernelINS0_14default_configENS1_38merge_sort_block_merge_config_selectorIiNS0_10empty_typeEEEZZNS1_27merge_sort_block_merge_implIS3_PiPS5_jNS1_19radix_merge_compareILb1ELb1EiNS0_19identity_decomposerEEEEE10hipError_tT0_T1_T2_jT3_P12ihipStream_tbPNSt15iterator_traitsISE_E10value_typeEPNSK_ISF_E10value_typeEPSG_NS1_7vsmem_tEENKUlT_SE_SF_SG_E_clIS8_S8_S9_S9_EESD_ST_SE_SF_SG_EUlST_E1_NS1_11comp_targetILNS1_3genE8ELNS1_11target_archE1030ELNS1_3gpuE2ELNS1_3repE0EEENS1_36merge_oddeven_config_static_selectorELNS0_4arch9wavefront6targetE1EEEvSF_,comdat
	.protected	_ZN7rocprim17ROCPRIM_400000_NS6detail17trampoline_kernelINS0_14default_configENS1_38merge_sort_block_merge_config_selectorIiNS0_10empty_typeEEEZZNS1_27merge_sort_block_merge_implIS3_PiPS5_jNS1_19radix_merge_compareILb1ELb1EiNS0_19identity_decomposerEEEEE10hipError_tT0_T1_T2_jT3_P12ihipStream_tbPNSt15iterator_traitsISE_E10value_typeEPNSK_ISF_E10value_typeEPSG_NS1_7vsmem_tEENKUlT_SE_SF_SG_E_clIS8_S8_S9_S9_EESD_ST_SE_SF_SG_EUlST_E1_NS1_11comp_targetILNS1_3genE8ELNS1_11target_archE1030ELNS1_3gpuE2ELNS1_3repE0EEENS1_36merge_oddeven_config_static_selectorELNS0_4arch9wavefront6targetE1EEEvSF_ ; -- Begin function _ZN7rocprim17ROCPRIM_400000_NS6detail17trampoline_kernelINS0_14default_configENS1_38merge_sort_block_merge_config_selectorIiNS0_10empty_typeEEEZZNS1_27merge_sort_block_merge_implIS3_PiPS5_jNS1_19radix_merge_compareILb1ELb1EiNS0_19identity_decomposerEEEEE10hipError_tT0_T1_T2_jT3_P12ihipStream_tbPNSt15iterator_traitsISE_E10value_typeEPNSK_ISF_E10value_typeEPSG_NS1_7vsmem_tEENKUlT_SE_SF_SG_E_clIS8_S8_S9_S9_EESD_ST_SE_SF_SG_EUlST_E1_NS1_11comp_targetILNS1_3genE8ELNS1_11target_archE1030ELNS1_3gpuE2ELNS1_3repE0EEENS1_36merge_oddeven_config_static_selectorELNS0_4arch9wavefront6targetE1EEEvSF_
	.globl	_ZN7rocprim17ROCPRIM_400000_NS6detail17trampoline_kernelINS0_14default_configENS1_38merge_sort_block_merge_config_selectorIiNS0_10empty_typeEEEZZNS1_27merge_sort_block_merge_implIS3_PiPS5_jNS1_19radix_merge_compareILb1ELb1EiNS0_19identity_decomposerEEEEE10hipError_tT0_T1_T2_jT3_P12ihipStream_tbPNSt15iterator_traitsISE_E10value_typeEPNSK_ISF_E10value_typeEPSG_NS1_7vsmem_tEENKUlT_SE_SF_SG_E_clIS8_S8_S9_S9_EESD_ST_SE_SF_SG_EUlST_E1_NS1_11comp_targetILNS1_3genE8ELNS1_11target_archE1030ELNS1_3gpuE2ELNS1_3repE0EEENS1_36merge_oddeven_config_static_selectorELNS0_4arch9wavefront6targetE1EEEvSF_
	.p2align	8
	.type	_ZN7rocprim17ROCPRIM_400000_NS6detail17trampoline_kernelINS0_14default_configENS1_38merge_sort_block_merge_config_selectorIiNS0_10empty_typeEEEZZNS1_27merge_sort_block_merge_implIS3_PiPS5_jNS1_19radix_merge_compareILb1ELb1EiNS0_19identity_decomposerEEEEE10hipError_tT0_T1_T2_jT3_P12ihipStream_tbPNSt15iterator_traitsISE_E10value_typeEPNSK_ISF_E10value_typeEPSG_NS1_7vsmem_tEENKUlT_SE_SF_SG_E_clIS8_S8_S9_S9_EESD_ST_SE_SF_SG_EUlST_E1_NS1_11comp_targetILNS1_3genE8ELNS1_11target_archE1030ELNS1_3gpuE2ELNS1_3repE0EEENS1_36merge_oddeven_config_static_selectorELNS0_4arch9wavefront6targetE1EEEvSF_,@function
_ZN7rocprim17ROCPRIM_400000_NS6detail17trampoline_kernelINS0_14default_configENS1_38merge_sort_block_merge_config_selectorIiNS0_10empty_typeEEEZZNS1_27merge_sort_block_merge_implIS3_PiPS5_jNS1_19radix_merge_compareILb1ELb1EiNS0_19identity_decomposerEEEEE10hipError_tT0_T1_T2_jT3_P12ihipStream_tbPNSt15iterator_traitsISE_E10value_typeEPNSK_ISF_E10value_typeEPSG_NS1_7vsmem_tEENKUlT_SE_SF_SG_E_clIS8_S8_S9_S9_EESD_ST_SE_SF_SG_EUlST_E1_NS1_11comp_targetILNS1_3genE8ELNS1_11target_archE1030ELNS1_3gpuE2ELNS1_3repE0EEENS1_36merge_oddeven_config_static_selectorELNS0_4arch9wavefront6targetE1EEEvSF_: ; @_ZN7rocprim17ROCPRIM_400000_NS6detail17trampoline_kernelINS0_14default_configENS1_38merge_sort_block_merge_config_selectorIiNS0_10empty_typeEEEZZNS1_27merge_sort_block_merge_implIS3_PiPS5_jNS1_19radix_merge_compareILb1ELb1EiNS0_19identity_decomposerEEEEE10hipError_tT0_T1_T2_jT3_P12ihipStream_tbPNSt15iterator_traitsISE_E10value_typeEPNSK_ISF_E10value_typeEPSG_NS1_7vsmem_tEENKUlT_SE_SF_SG_E_clIS8_S8_S9_S9_EESD_ST_SE_SF_SG_EUlST_E1_NS1_11comp_targetILNS1_3genE8ELNS1_11target_archE1030ELNS1_3gpuE2ELNS1_3repE0EEENS1_36merge_oddeven_config_static_selectorELNS0_4arch9wavefront6targetE1EEEvSF_
; %bb.0:
	.section	.rodata,"a",@progbits
	.p2align	6, 0x0
	.amdhsa_kernel _ZN7rocprim17ROCPRIM_400000_NS6detail17trampoline_kernelINS0_14default_configENS1_38merge_sort_block_merge_config_selectorIiNS0_10empty_typeEEEZZNS1_27merge_sort_block_merge_implIS3_PiPS5_jNS1_19radix_merge_compareILb1ELb1EiNS0_19identity_decomposerEEEEE10hipError_tT0_T1_T2_jT3_P12ihipStream_tbPNSt15iterator_traitsISE_E10value_typeEPNSK_ISF_E10value_typeEPSG_NS1_7vsmem_tEENKUlT_SE_SF_SG_E_clIS8_S8_S9_S9_EESD_ST_SE_SF_SG_EUlST_E1_NS1_11comp_targetILNS1_3genE8ELNS1_11target_archE1030ELNS1_3gpuE2ELNS1_3repE0EEENS1_36merge_oddeven_config_static_selectorELNS0_4arch9wavefront6targetE1EEEvSF_
		.amdhsa_group_segment_fixed_size 0
		.amdhsa_private_segment_fixed_size 0
		.amdhsa_kernarg_size 48
		.amdhsa_user_sgpr_count 6
		.amdhsa_user_sgpr_private_segment_buffer 1
		.amdhsa_user_sgpr_dispatch_ptr 0
		.amdhsa_user_sgpr_queue_ptr 0
		.amdhsa_user_sgpr_kernarg_segment_ptr 1
		.amdhsa_user_sgpr_dispatch_id 0
		.amdhsa_user_sgpr_flat_scratch_init 0
		.amdhsa_user_sgpr_kernarg_preload_length 0
		.amdhsa_user_sgpr_kernarg_preload_offset 0
		.amdhsa_user_sgpr_private_segment_size 0
		.amdhsa_uses_dynamic_stack 0
		.amdhsa_system_sgpr_private_segment_wavefront_offset 0
		.amdhsa_system_sgpr_workgroup_id_x 1
		.amdhsa_system_sgpr_workgroup_id_y 0
		.amdhsa_system_sgpr_workgroup_id_z 0
		.amdhsa_system_sgpr_workgroup_info 0
		.amdhsa_system_vgpr_workitem_id 0
		.amdhsa_next_free_vgpr 1
		.amdhsa_next_free_sgpr 0
		.amdhsa_accum_offset 4
		.amdhsa_reserve_vcc 0
		.amdhsa_reserve_flat_scratch 0
		.amdhsa_float_round_mode_32 0
		.amdhsa_float_round_mode_16_64 0
		.amdhsa_float_denorm_mode_32 3
		.amdhsa_float_denorm_mode_16_64 3
		.amdhsa_dx10_clamp 1
		.amdhsa_ieee_mode 1
		.amdhsa_fp16_overflow 0
		.amdhsa_tg_split 0
		.amdhsa_exception_fp_ieee_invalid_op 0
		.amdhsa_exception_fp_denorm_src 0
		.amdhsa_exception_fp_ieee_div_zero 0
		.amdhsa_exception_fp_ieee_overflow 0
		.amdhsa_exception_fp_ieee_underflow 0
		.amdhsa_exception_fp_ieee_inexact 0
		.amdhsa_exception_int_div_zero 0
	.end_amdhsa_kernel
	.section	.text._ZN7rocprim17ROCPRIM_400000_NS6detail17trampoline_kernelINS0_14default_configENS1_38merge_sort_block_merge_config_selectorIiNS0_10empty_typeEEEZZNS1_27merge_sort_block_merge_implIS3_PiPS5_jNS1_19radix_merge_compareILb1ELb1EiNS0_19identity_decomposerEEEEE10hipError_tT0_T1_T2_jT3_P12ihipStream_tbPNSt15iterator_traitsISE_E10value_typeEPNSK_ISF_E10value_typeEPSG_NS1_7vsmem_tEENKUlT_SE_SF_SG_E_clIS8_S8_S9_S9_EESD_ST_SE_SF_SG_EUlST_E1_NS1_11comp_targetILNS1_3genE8ELNS1_11target_archE1030ELNS1_3gpuE2ELNS1_3repE0EEENS1_36merge_oddeven_config_static_selectorELNS0_4arch9wavefront6targetE1EEEvSF_,"axG",@progbits,_ZN7rocprim17ROCPRIM_400000_NS6detail17trampoline_kernelINS0_14default_configENS1_38merge_sort_block_merge_config_selectorIiNS0_10empty_typeEEEZZNS1_27merge_sort_block_merge_implIS3_PiPS5_jNS1_19radix_merge_compareILb1ELb1EiNS0_19identity_decomposerEEEEE10hipError_tT0_T1_T2_jT3_P12ihipStream_tbPNSt15iterator_traitsISE_E10value_typeEPNSK_ISF_E10value_typeEPSG_NS1_7vsmem_tEENKUlT_SE_SF_SG_E_clIS8_S8_S9_S9_EESD_ST_SE_SF_SG_EUlST_E1_NS1_11comp_targetILNS1_3genE8ELNS1_11target_archE1030ELNS1_3gpuE2ELNS1_3repE0EEENS1_36merge_oddeven_config_static_selectorELNS0_4arch9wavefront6targetE1EEEvSF_,comdat
.Lfunc_end1993:
	.size	_ZN7rocprim17ROCPRIM_400000_NS6detail17trampoline_kernelINS0_14default_configENS1_38merge_sort_block_merge_config_selectorIiNS0_10empty_typeEEEZZNS1_27merge_sort_block_merge_implIS3_PiPS5_jNS1_19radix_merge_compareILb1ELb1EiNS0_19identity_decomposerEEEEE10hipError_tT0_T1_T2_jT3_P12ihipStream_tbPNSt15iterator_traitsISE_E10value_typeEPNSK_ISF_E10value_typeEPSG_NS1_7vsmem_tEENKUlT_SE_SF_SG_E_clIS8_S8_S9_S9_EESD_ST_SE_SF_SG_EUlST_E1_NS1_11comp_targetILNS1_3genE8ELNS1_11target_archE1030ELNS1_3gpuE2ELNS1_3repE0EEENS1_36merge_oddeven_config_static_selectorELNS0_4arch9wavefront6targetE1EEEvSF_, .Lfunc_end1993-_ZN7rocprim17ROCPRIM_400000_NS6detail17trampoline_kernelINS0_14default_configENS1_38merge_sort_block_merge_config_selectorIiNS0_10empty_typeEEEZZNS1_27merge_sort_block_merge_implIS3_PiPS5_jNS1_19radix_merge_compareILb1ELb1EiNS0_19identity_decomposerEEEEE10hipError_tT0_T1_T2_jT3_P12ihipStream_tbPNSt15iterator_traitsISE_E10value_typeEPNSK_ISF_E10value_typeEPSG_NS1_7vsmem_tEENKUlT_SE_SF_SG_E_clIS8_S8_S9_S9_EESD_ST_SE_SF_SG_EUlST_E1_NS1_11comp_targetILNS1_3genE8ELNS1_11target_archE1030ELNS1_3gpuE2ELNS1_3repE0EEENS1_36merge_oddeven_config_static_selectorELNS0_4arch9wavefront6targetE1EEEvSF_
                                        ; -- End function
	.section	.AMDGPU.csdata,"",@progbits
; Kernel info:
; codeLenInByte = 0
; NumSgprs: 4
; NumVgprs: 0
; NumAgprs: 0
; TotalNumVgprs: 0
; ScratchSize: 0
; MemoryBound: 0
; FloatMode: 240
; IeeeMode: 1
; LDSByteSize: 0 bytes/workgroup (compile time only)
; SGPRBlocks: 0
; VGPRBlocks: 0
; NumSGPRsForWavesPerEU: 4
; NumVGPRsForWavesPerEU: 1
; AccumOffset: 4
; Occupancy: 8
; WaveLimiterHint : 0
; COMPUTE_PGM_RSRC2:SCRATCH_EN: 0
; COMPUTE_PGM_RSRC2:USER_SGPR: 6
; COMPUTE_PGM_RSRC2:TRAP_HANDLER: 0
; COMPUTE_PGM_RSRC2:TGID_X_EN: 1
; COMPUTE_PGM_RSRC2:TGID_Y_EN: 0
; COMPUTE_PGM_RSRC2:TGID_Z_EN: 0
; COMPUTE_PGM_RSRC2:TIDIG_COMP_CNT: 0
; COMPUTE_PGM_RSRC3_GFX90A:ACCUM_OFFSET: 0
; COMPUTE_PGM_RSRC3_GFX90A:TG_SPLIT: 0
	.section	.text._ZN7rocprim17ROCPRIM_400000_NS6detail17trampoline_kernelINS0_14default_configENS1_35radix_sort_onesweep_config_selectorIiNS0_10empty_typeEEEZNS1_34radix_sort_onesweep_global_offsetsIS3_Lb1EPiPS5_mNS0_19identity_decomposerEEE10hipError_tT1_T2_PT3_SE_jT4_jjP12ihipStream_tbEUlT_E_NS1_11comp_targetILNS1_3genE0ELNS1_11target_archE4294967295ELNS1_3gpuE0ELNS1_3repE0EEENS1_52radix_sort_onesweep_histogram_config_static_selectorELNS0_4arch9wavefront6targetE1EEEvSC_,"axG",@progbits,_ZN7rocprim17ROCPRIM_400000_NS6detail17trampoline_kernelINS0_14default_configENS1_35radix_sort_onesweep_config_selectorIiNS0_10empty_typeEEEZNS1_34radix_sort_onesweep_global_offsetsIS3_Lb1EPiPS5_mNS0_19identity_decomposerEEE10hipError_tT1_T2_PT3_SE_jT4_jjP12ihipStream_tbEUlT_E_NS1_11comp_targetILNS1_3genE0ELNS1_11target_archE4294967295ELNS1_3gpuE0ELNS1_3repE0EEENS1_52radix_sort_onesweep_histogram_config_static_selectorELNS0_4arch9wavefront6targetE1EEEvSC_,comdat
	.protected	_ZN7rocprim17ROCPRIM_400000_NS6detail17trampoline_kernelINS0_14default_configENS1_35radix_sort_onesweep_config_selectorIiNS0_10empty_typeEEEZNS1_34radix_sort_onesweep_global_offsetsIS3_Lb1EPiPS5_mNS0_19identity_decomposerEEE10hipError_tT1_T2_PT3_SE_jT4_jjP12ihipStream_tbEUlT_E_NS1_11comp_targetILNS1_3genE0ELNS1_11target_archE4294967295ELNS1_3gpuE0ELNS1_3repE0EEENS1_52radix_sort_onesweep_histogram_config_static_selectorELNS0_4arch9wavefront6targetE1EEEvSC_ ; -- Begin function _ZN7rocprim17ROCPRIM_400000_NS6detail17trampoline_kernelINS0_14default_configENS1_35radix_sort_onesweep_config_selectorIiNS0_10empty_typeEEEZNS1_34radix_sort_onesweep_global_offsetsIS3_Lb1EPiPS5_mNS0_19identity_decomposerEEE10hipError_tT1_T2_PT3_SE_jT4_jjP12ihipStream_tbEUlT_E_NS1_11comp_targetILNS1_3genE0ELNS1_11target_archE4294967295ELNS1_3gpuE0ELNS1_3repE0EEENS1_52radix_sort_onesweep_histogram_config_static_selectorELNS0_4arch9wavefront6targetE1EEEvSC_
	.globl	_ZN7rocprim17ROCPRIM_400000_NS6detail17trampoline_kernelINS0_14default_configENS1_35radix_sort_onesweep_config_selectorIiNS0_10empty_typeEEEZNS1_34radix_sort_onesweep_global_offsetsIS3_Lb1EPiPS5_mNS0_19identity_decomposerEEE10hipError_tT1_T2_PT3_SE_jT4_jjP12ihipStream_tbEUlT_E_NS1_11comp_targetILNS1_3genE0ELNS1_11target_archE4294967295ELNS1_3gpuE0ELNS1_3repE0EEENS1_52radix_sort_onesweep_histogram_config_static_selectorELNS0_4arch9wavefront6targetE1EEEvSC_
	.p2align	8
	.type	_ZN7rocprim17ROCPRIM_400000_NS6detail17trampoline_kernelINS0_14default_configENS1_35radix_sort_onesweep_config_selectorIiNS0_10empty_typeEEEZNS1_34radix_sort_onesweep_global_offsetsIS3_Lb1EPiPS5_mNS0_19identity_decomposerEEE10hipError_tT1_T2_PT3_SE_jT4_jjP12ihipStream_tbEUlT_E_NS1_11comp_targetILNS1_3genE0ELNS1_11target_archE4294967295ELNS1_3gpuE0ELNS1_3repE0EEENS1_52radix_sort_onesweep_histogram_config_static_selectorELNS0_4arch9wavefront6targetE1EEEvSC_,@function
_ZN7rocprim17ROCPRIM_400000_NS6detail17trampoline_kernelINS0_14default_configENS1_35radix_sort_onesweep_config_selectorIiNS0_10empty_typeEEEZNS1_34radix_sort_onesweep_global_offsetsIS3_Lb1EPiPS5_mNS0_19identity_decomposerEEE10hipError_tT1_T2_PT3_SE_jT4_jjP12ihipStream_tbEUlT_E_NS1_11comp_targetILNS1_3genE0ELNS1_11target_archE4294967295ELNS1_3gpuE0ELNS1_3repE0EEENS1_52radix_sort_onesweep_histogram_config_static_selectorELNS0_4arch9wavefront6targetE1EEEvSC_: ; @_ZN7rocprim17ROCPRIM_400000_NS6detail17trampoline_kernelINS0_14default_configENS1_35radix_sort_onesweep_config_selectorIiNS0_10empty_typeEEEZNS1_34radix_sort_onesweep_global_offsetsIS3_Lb1EPiPS5_mNS0_19identity_decomposerEEE10hipError_tT1_T2_PT3_SE_jT4_jjP12ihipStream_tbEUlT_E_NS1_11comp_targetILNS1_3genE0ELNS1_11target_archE4294967295ELNS1_3gpuE0ELNS1_3repE0EEENS1_52radix_sort_onesweep_histogram_config_static_selectorELNS0_4arch9wavefront6targetE1EEEvSC_
; %bb.0:
	.section	.rodata,"a",@progbits
	.p2align	6, 0x0
	.amdhsa_kernel _ZN7rocprim17ROCPRIM_400000_NS6detail17trampoline_kernelINS0_14default_configENS1_35radix_sort_onesweep_config_selectorIiNS0_10empty_typeEEEZNS1_34radix_sort_onesweep_global_offsetsIS3_Lb1EPiPS5_mNS0_19identity_decomposerEEE10hipError_tT1_T2_PT3_SE_jT4_jjP12ihipStream_tbEUlT_E_NS1_11comp_targetILNS1_3genE0ELNS1_11target_archE4294967295ELNS1_3gpuE0ELNS1_3repE0EEENS1_52radix_sort_onesweep_histogram_config_static_selectorELNS0_4arch9wavefront6targetE1EEEvSC_
		.amdhsa_group_segment_fixed_size 0
		.amdhsa_private_segment_fixed_size 0
		.amdhsa_kernarg_size 48
		.amdhsa_user_sgpr_count 6
		.amdhsa_user_sgpr_private_segment_buffer 1
		.amdhsa_user_sgpr_dispatch_ptr 0
		.amdhsa_user_sgpr_queue_ptr 0
		.amdhsa_user_sgpr_kernarg_segment_ptr 1
		.amdhsa_user_sgpr_dispatch_id 0
		.amdhsa_user_sgpr_flat_scratch_init 0
		.amdhsa_user_sgpr_kernarg_preload_length 0
		.amdhsa_user_sgpr_kernarg_preload_offset 0
		.amdhsa_user_sgpr_private_segment_size 0
		.amdhsa_uses_dynamic_stack 0
		.amdhsa_system_sgpr_private_segment_wavefront_offset 0
		.amdhsa_system_sgpr_workgroup_id_x 1
		.amdhsa_system_sgpr_workgroup_id_y 0
		.amdhsa_system_sgpr_workgroup_id_z 0
		.amdhsa_system_sgpr_workgroup_info 0
		.amdhsa_system_vgpr_workitem_id 0
		.amdhsa_next_free_vgpr 1
		.amdhsa_next_free_sgpr 0
		.amdhsa_accum_offset 4
		.amdhsa_reserve_vcc 0
		.amdhsa_reserve_flat_scratch 0
		.amdhsa_float_round_mode_32 0
		.amdhsa_float_round_mode_16_64 0
		.amdhsa_float_denorm_mode_32 3
		.amdhsa_float_denorm_mode_16_64 3
		.amdhsa_dx10_clamp 1
		.amdhsa_ieee_mode 1
		.amdhsa_fp16_overflow 0
		.amdhsa_tg_split 0
		.amdhsa_exception_fp_ieee_invalid_op 0
		.amdhsa_exception_fp_denorm_src 0
		.amdhsa_exception_fp_ieee_div_zero 0
		.amdhsa_exception_fp_ieee_overflow 0
		.amdhsa_exception_fp_ieee_underflow 0
		.amdhsa_exception_fp_ieee_inexact 0
		.amdhsa_exception_int_div_zero 0
	.end_amdhsa_kernel
	.section	.text._ZN7rocprim17ROCPRIM_400000_NS6detail17trampoline_kernelINS0_14default_configENS1_35radix_sort_onesweep_config_selectorIiNS0_10empty_typeEEEZNS1_34radix_sort_onesweep_global_offsetsIS3_Lb1EPiPS5_mNS0_19identity_decomposerEEE10hipError_tT1_T2_PT3_SE_jT4_jjP12ihipStream_tbEUlT_E_NS1_11comp_targetILNS1_3genE0ELNS1_11target_archE4294967295ELNS1_3gpuE0ELNS1_3repE0EEENS1_52radix_sort_onesweep_histogram_config_static_selectorELNS0_4arch9wavefront6targetE1EEEvSC_,"axG",@progbits,_ZN7rocprim17ROCPRIM_400000_NS6detail17trampoline_kernelINS0_14default_configENS1_35radix_sort_onesweep_config_selectorIiNS0_10empty_typeEEEZNS1_34radix_sort_onesweep_global_offsetsIS3_Lb1EPiPS5_mNS0_19identity_decomposerEEE10hipError_tT1_T2_PT3_SE_jT4_jjP12ihipStream_tbEUlT_E_NS1_11comp_targetILNS1_3genE0ELNS1_11target_archE4294967295ELNS1_3gpuE0ELNS1_3repE0EEENS1_52radix_sort_onesweep_histogram_config_static_selectorELNS0_4arch9wavefront6targetE1EEEvSC_,comdat
.Lfunc_end1994:
	.size	_ZN7rocprim17ROCPRIM_400000_NS6detail17trampoline_kernelINS0_14default_configENS1_35radix_sort_onesweep_config_selectorIiNS0_10empty_typeEEEZNS1_34radix_sort_onesweep_global_offsetsIS3_Lb1EPiPS5_mNS0_19identity_decomposerEEE10hipError_tT1_T2_PT3_SE_jT4_jjP12ihipStream_tbEUlT_E_NS1_11comp_targetILNS1_3genE0ELNS1_11target_archE4294967295ELNS1_3gpuE0ELNS1_3repE0EEENS1_52radix_sort_onesweep_histogram_config_static_selectorELNS0_4arch9wavefront6targetE1EEEvSC_, .Lfunc_end1994-_ZN7rocprim17ROCPRIM_400000_NS6detail17trampoline_kernelINS0_14default_configENS1_35radix_sort_onesweep_config_selectorIiNS0_10empty_typeEEEZNS1_34radix_sort_onesweep_global_offsetsIS3_Lb1EPiPS5_mNS0_19identity_decomposerEEE10hipError_tT1_T2_PT3_SE_jT4_jjP12ihipStream_tbEUlT_E_NS1_11comp_targetILNS1_3genE0ELNS1_11target_archE4294967295ELNS1_3gpuE0ELNS1_3repE0EEENS1_52radix_sort_onesweep_histogram_config_static_selectorELNS0_4arch9wavefront6targetE1EEEvSC_
                                        ; -- End function
	.section	.AMDGPU.csdata,"",@progbits
; Kernel info:
; codeLenInByte = 0
; NumSgprs: 4
; NumVgprs: 0
; NumAgprs: 0
; TotalNumVgprs: 0
; ScratchSize: 0
; MemoryBound: 0
; FloatMode: 240
; IeeeMode: 1
; LDSByteSize: 0 bytes/workgroup (compile time only)
; SGPRBlocks: 0
; VGPRBlocks: 0
; NumSGPRsForWavesPerEU: 4
; NumVGPRsForWavesPerEU: 1
; AccumOffset: 4
; Occupancy: 8
; WaveLimiterHint : 0
; COMPUTE_PGM_RSRC2:SCRATCH_EN: 0
; COMPUTE_PGM_RSRC2:USER_SGPR: 6
; COMPUTE_PGM_RSRC2:TRAP_HANDLER: 0
; COMPUTE_PGM_RSRC2:TGID_X_EN: 1
; COMPUTE_PGM_RSRC2:TGID_Y_EN: 0
; COMPUTE_PGM_RSRC2:TGID_Z_EN: 0
; COMPUTE_PGM_RSRC2:TIDIG_COMP_CNT: 0
; COMPUTE_PGM_RSRC3_GFX90A:ACCUM_OFFSET: 0
; COMPUTE_PGM_RSRC3_GFX90A:TG_SPLIT: 0
	.section	.text._ZN7rocprim17ROCPRIM_400000_NS6detail17trampoline_kernelINS0_14default_configENS1_35radix_sort_onesweep_config_selectorIiNS0_10empty_typeEEEZNS1_34radix_sort_onesweep_global_offsetsIS3_Lb1EPiPS5_mNS0_19identity_decomposerEEE10hipError_tT1_T2_PT3_SE_jT4_jjP12ihipStream_tbEUlT_E_NS1_11comp_targetILNS1_3genE6ELNS1_11target_archE950ELNS1_3gpuE13ELNS1_3repE0EEENS1_52radix_sort_onesweep_histogram_config_static_selectorELNS0_4arch9wavefront6targetE1EEEvSC_,"axG",@progbits,_ZN7rocprim17ROCPRIM_400000_NS6detail17trampoline_kernelINS0_14default_configENS1_35radix_sort_onesweep_config_selectorIiNS0_10empty_typeEEEZNS1_34radix_sort_onesweep_global_offsetsIS3_Lb1EPiPS5_mNS0_19identity_decomposerEEE10hipError_tT1_T2_PT3_SE_jT4_jjP12ihipStream_tbEUlT_E_NS1_11comp_targetILNS1_3genE6ELNS1_11target_archE950ELNS1_3gpuE13ELNS1_3repE0EEENS1_52radix_sort_onesweep_histogram_config_static_selectorELNS0_4arch9wavefront6targetE1EEEvSC_,comdat
	.protected	_ZN7rocprim17ROCPRIM_400000_NS6detail17trampoline_kernelINS0_14default_configENS1_35radix_sort_onesweep_config_selectorIiNS0_10empty_typeEEEZNS1_34radix_sort_onesweep_global_offsetsIS3_Lb1EPiPS5_mNS0_19identity_decomposerEEE10hipError_tT1_T2_PT3_SE_jT4_jjP12ihipStream_tbEUlT_E_NS1_11comp_targetILNS1_3genE6ELNS1_11target_archE950ELNS1_3gpuE13ELNS1_3repE0EEENS1_52radix_sort_onesweep_histogram_config_static_selectorELNS0_4arch9wavefront6targetE1EEEvSC_ ; -- Begin function _ZN7rocprim17ROCPRIM_400000_NS6detail17trampoline_kernelINS0_14default_configENS1_35radix_sort_onesweep_config_selectorIiNS0_10empty_typeEEEZNS1_34radix_sort_onesweep_global_offsetsIS3_Lb1EPiPS5_mNS0_19identity_decomposerEEE10hipError_tT1_T2_PT3_SE_jT4_jjP12ihipStream_tbEUlT_E_NS1_11comp_targetILNS1_3genE6ELNS1_11target_archE950ELNS1_3gpuE13ELNS1_3repE0EEENS1_52radix_sort_onesweep_histogram_config_static_selectorELNS0_4arch9wavefront6targetE1EEEvSC_
	.globl	_ZN7rocprim17ROCPRIM_400000_NS6detail17trampoline_kernelINS0_14default_configENS1_35radix_sort_onesweep_config_selectorIiNS0_10empty_typeEEEZNS1_34radix_sort_onesweep_global_offsetsIS3_Lb1EPiPS5_mNS0_19identity_decomposerEEE10hipError_tT1_T2_PT3_SE_jT4_jjP12ihipStream_tbEUlT_E_NS1_11comp_targetILNS1_3genE6ELNS1_11target_archE950ELNS1_3gpuE13ELNS1_3repE0EEENS1_52radix_sort_onesweep_histogram_config_static_selectorELNS0_4arch9wavefront6targetE1EEEvSC_
	.p2align	8
	.type	_ZN7rocprim17ROCPRIM_400000_NS6detail17trampoline_kernelINS0_14default_configENS1_35radix_sort_onesweep_config_selectorIiNS0_10empty_typeEEEZNS1_34radix_sort_onesweep_global_offsetsIS3_Lb1EPiPS5_mNS0_19identity_decomposerEEE10hipError_tT1_T2_PT3_SE_jT4_jjP12ihipStream_tbEUlT_E_NS1_11comp_targetILNS1_3genE6ELNS1_11target_archE950ELNS1_3gpuE13ELNS1_3repE0EEENS1_52radix_sort_onesweep_histogram_config_static_selectorELNS0_4arch9wavefront6targetE1EEEvSC_,@function
_ZN7rocprim17ROCPRIM_400000_NS6detail17trampoline_kernelINS0_14default_configENS1_35radix_sort_onesweep_config_selectorIiNS0_10empty_typeEEEZNS1_34radix_sort_onesweep_global_offsetsIS3_Lb1EPiPS5_mNS0_19identity_decomposerEEE10hipError_tT1_T2_PT3_SE_jT4_jjP12ihipStream_tbEUlT_E_NS1_11comp_targetILNS1_3genE6ELNS1_11target_archE950ELNS1_3gpuE13ELNS1_3repE0EEENS1_52radix_sort_onesweep_histogram_config_static_selectorELNS0_4arch9wavefront6targetE1EEEvSC_: ; @_ZN7rocprim17ROCPRIM_400000_NS6detail17trampoline_kernelINS0_14default_configENS1_35radix_sort_onesweep_config_selectorIiNS0_10empty_typeEEEZNS1_34radix_sort_onesweep_global_offsetsIS3_Lb1EPiPS5_mNS0_19identity_decomposerEEE10hipError_tT1_T2_PT3_SE_jT4_jjP12ihipStream_tbEUlT_E_NS1_11comp_targetILNS1_3genE6ELNS1_11target_archE950ELNS1_3gpuE13ELNS1_3repE0EEENS1_52radix_sort_onesweep_histogram_config_static_selectorELNS0_4arch9wavefront6targetE1EEEvSC_
; %bb.0:
	.section	.rodata,"a",@progbits
	.p2align	6, 0x0
	.amdhsa_kernel _ZN7rocprim17ROCPRIM_400000_NS6detail17trampoline_kernelINS0_14default_configENS1_35radix_sort_onesweep_config_selectorIiNS0_10empty_typeEEEZNS1_34radix_sort_onesweep_global_offsetsIS3_Lb1EPiPS5_mNS0_19identity_decomposerEEE10hipError_tT1_T2_PT3_SE_jT4_jjP12ihipStream_tbEUlT_E_NS1_11comp_targetILNS1_3genE6ELNS1_11target_archE950ELNS1_3gpuE13ELNS1_3repE0EEENS1_52radix_sort_onesweep_histogram_config_static_selectorELNS0_4arch9wavefront6targetE1EEEvSC_
		.amdhsa_group_segment_fixed_size 0
		.amdhsa_private_segment_fixed_size 0
		.amdhsa_kernarg_size 48
		.amdhsa_user_sgpr_count 6
		.amdhsa_user_sgpr_private_segment_buffer 1
		.amdhsa_user_sgpr_dispatch_ptr 0
		.amdhsa_user_sgpr_queue_ptr 0
		.amdhsa_user_sgpr_kernarg_segment_ptr 1
		.amdhsa_user_sgpr_dispatch_id 0
		.amdhsa_user_sgpr_flat_scratch_init 0
		.amdhsa_user_sgpr_kernarg_preload_length 0
		.amdhsa_user_sgpr_kernarg_preload_offset 0
		.amdhsa_user_sgpr_private_segment_size 0
		.amdhsa_uses_dynamic_stack 0
		.amdhsa_system_sgpr_private_segment_wavefront_offset 0
		.amdhsa_system_sgpr_workgroup_id_x 1
		.amdhsa_system_sgpr_workgroup_id_y 0
		.amdhsa_system_sgpr_workgroup_id_z 0
		.amdhsa_system_sgpr_workgroup_info 0
		.amdhsa_system_vgpr_workitem_id 0
		.amdhsa_next_free_vgpr 1
		.amdhsa_next_free_sgpr 0
		.amdhsa_accum_offset 4
		.amdhsa_reserve_vcc 0
		.amdhsa_reserve_flat_scratch 0
		.amdhsa_float_round_mode_32 0
		.amdhsa_float_round_mode_16_64 0
		.amdhsa_float_denorm_mode_32 3
		.amdhsa_float_denorm_mode_16_64 3
		.amdhsa_dx10_clamp 1
		.amdhsa_ieee_mode 1
		.amdhsa_fp16_overflow 0
		.amdhsa_tg_split 0
		.amdhsa_exception_fp_ieee_invalid_op 0
		.amdhsa_exception_fp_denorm_src 0
		.amdhsa_exception_fp_ieee_div_zero 0
		.amdhsa_exception_fp_ieee_overflow 0
		.amdhsa_exception_fp_ieee_underflow 0
		.amdhsa_exception_fp_ieee_inexact 0
		.amdhsa_exception_int_div_zero 0
	.end_amdhsa_kernel
	.section	.text._ZN7rocprim17ROCPRIM_400000_NS6detail17trampoline_kernelINS0_14default_configENS1_35radix_sort_onesweep_config_selectorIiNS0_10empty_typeEEEZNS1_34radix_sort_onesweep_global_offsetsIS3_Lb1EPiPS5_mNS0_19identity_decomposerEEE10hipError_tT1_T2_PT3_SE_jT4_jjP12ihipStream_tbEUlT_E_NS1_11comp_targetILNS1_3genE6ELNS1_11target_archE950ELNS1_3gpuE13ELNS1_3repE0EEENS1_52radix_sort_onesweep_histogram_config_static_selectorELNS0_4arch9wavefront6targetE1EEEvSC_,"axG",@progbits,_ZN7rocprim17ROCPRIM_400000_NS6detail17trampoline_kernelINS0_14default_configENS1_35radix_sort_onesweep_config_selectorIiNS0_10empty_typeEEEZNS1_34radix_sort_onesweep_global_offsetsIS3_Lb1EPiPS5_mNS0_19identity_decomposerEEE10hipError_tT1_T2_PT3_SE_jT4_jjP12ihipStream_tbEUlT_E_NS1_11comp_targetILNS1_3genE6ELNS1_11target_archE950ELNS1_3gpuE13ELNS1_3repE0EEENS1_52radix_sort_onesweep_histogram_config_static_selectorELNS0_4arch9wavefront6targetE1EEEvSC_,comdat
.Lfunc_end1995:
	.size	_ZN7rocprim17ROCPRIM_400000_NS6detail17trampoline_kernelINS0_14default_configENS1_35radix_sort_onesweep_config_selectorIiNS0_10empty_typeEEEZNS1_34radix_sort_onesweep_global_offsetsIS3_Lb1EPiPS5_mNS0_19identity_decomposerEEE10hipError_tT1_T2_PT3_SE_jT4_jjP12ihipStream_tbEUlT_E_NS1_11comp_targetILNS1_3genE6ELNS1_11target_archE950ELNS1_3gpuE13ELNS1_3repE0EEENS1_52radix_sort_onesweep_histogram_config_static_selectorELNS0_4arch9wavefront6targetE1EEEvSC_, .Lfunc_end1995-_ZN7rocprim17ROCPRIM_400000_NS6detail17trampoline_kernelINS0_14default_configENS1_35radix_sort_onesweep_config_selectorIiNS0_10empty_typeEEEZNS1_34radix_sort_onesweep_global_offsetsIS3_Lb1EPiPS5_mNS0_19identity_decomposerEEE10hipError_tT1_T2_PT3_SE_jT4_jjP12ihipStream_tbEUlT_E_NS1_11comp_targetILNS1_3genE6ELNS1_11target_archE950ELNS1_3gpuE13ELNS1_3repE0EEENS1_52radix_sort_onesweep_histogram_config_static_selectorELNS0_4arch9wavefront6targetE1EEEvSC_
                                        ; -- End function
	.section	.AMDGPU.csdata,"",@progbits
; Kernel info:
; codeLenInByte = 0
; NumSgprs: 4
; NumVgprs: 0
; NumAgprs: 0
; TotalNumVgprs: 0
; ScratchSize: 0
; MemoryBound: 0
; FloatMode: 240
; IeeeMode: 1
; LDSByteSize: 0 bytes/workgroup (compile time only)
; SGPRBlocks: 0
; VGPRBlocks: 0
; NumSGPRsForWavesPerEU: 4
; NumVGPRsForWavesPerEU: 1
; AccumOffset: 4
; Occupancy: 8
; WaveLimiterHint : 0
; COMPUTE_PGM_RSRC2:SCRATCH_EN: 0
; COMPUTE_PGM_RSRC2:USER_SGPR: 6
; COMPUTE_PGM_RSRC2:TRAP_HANDLER: 0
; COMPUTE_PGM_RSRC2:TGID_X_EN: 1
; COMPUTE_PGM_RSRC2:TGID_Y_EN: 0
; COMPUTE_PGM_RSRC2:TGID_Z_EN: 0
; COMPUTE_PGM_RSRC2:TIDIG_COMP_CNT: 0
; COMPUTE_PGM_RSRC3_GFX90A:ACCUM_OFFSET: 0
; COMPUTE_PGM_RSRC3_GFX90A:TG_SPLIT: 0
	.section	.text._ZN7rocprim17ROCPRIM_400000_NS6detail17trampoline_kernelINS0_14default_configENS1_35radix_sort_onesweep_config_selectorIiNS0_10empty_typeEEEZNS1_34radix_sort_onesweep_global_offsetsIS3_Lb1EPiPS5_mNS0_19identity_decomposerEEE10hipError_tT1_T2_PT3_SE_jT4_jjP12ihipStream_tbEUlT_E_NS1_11comp_targetILNS1_3genE5ELNS1_11target_archE942ELNS1_3gpuE9ELNS1_3repE0EEENS1_52radix_sort_onesweep_histogram_config_static_selectorELNS0_4arch9wavefront6targetE1EEEvSC_,"axG",@progbits,_ZN7rocprim17ROCPRIM_400000_NS6detail17trampoline_kernelINS0_14default_configENS1_35radix_sort_onesweep_config_selectorIiNS0_10empty_typeEEEZNS1_34radix_sort_onesweep_global_offsetsIS3_Lb1EPiPS5_mNS0_19identity_decomposerEEE10hipError_tT1_T2_PT3_SE_jT4_jjP12ihipStream_tbEUlT_E_NS1_11comp_targetILNS1_3genE5ELNS1_11target_archE942ELNS1_3gpuE9ELNS1_3repE0EEENS1_52radix_sort_onesweep_histogram_config_static_selectorELNS0_4arch9wavefront6targetE1EEEvSC_,comdat
	.protected	_ZN7rocprim17ROCPRIM_400000_NS6detail17trampoline_kernelINS0_14default_configENS1_35radix_sort_onesweep_config_selectorIiNS0_10empty_typeEEEZNS1_34radix_sort_onesweep_global_offsetsIS3_Lb1EPiPS5_mNS0_19identity_decomposerEEE10hipError_tT1_T2_PT3_SE_jT4_jjP12ihipStream_tbEUlT_E_NS1_11comp_targetILNS1_3genE5ELNS1_11target_archE942ELNS1_3gpuE9ELNS1_3repE0EEENS1_52radix_sort_onesweep_histogram_config_static_selectorELNS0_4arch9wavefront6targetE1EEEvSC_ ; -- Begin function _ZN7rocprim17ROCPRIM_400000_NS6detail17trampoline_kernelINS0_14default_configENS1_35radix_sort_onesweep_config_selectorIiNS0_10empty_typeEEEZNS1_34radix_sort_onesweep_global_offsetsIS3_Lb1EPiPS5_mNS0_19identity_decomposerEEE10hipError_tT1_T2_PT3_SE_jT4_jjP12ihipStream_tbEUlT_E_NS1_11comp_targetILNS1_3genE5ELNS1_11target_archE942ELNS1_3gpuE9ELNS1_3repE0EEENS1_52radix_sort_onesweep_histogram_config_static_selectorELNS0_4arch9wavefront6targetE1EEEvSC_
	.globl	_ZN7rocprim17ROCPRIM_400000_NS6detail17trampoline_kernelINS0_14default_configENS1_35radix_sort_onesweep_config_selectorIiNS0_10empty_typeEEEZNS1_34radix_sort_onesweep_global_offsetsIS3_Lb1EPiPS5_mNS0_19identity_decomposerEEE10hipError_tT1_T2_PT3_SE_jT4_jjP12ihipStream_tbEUlT_E_NS1_11comp_targetILNS1_3genE5ELNS1_11target_archE942ELNS1_3gpuE9ELNS1_3repE0EEENS1_52radix_sort_onesweep_histogram_config_static_selectorELNS0_4arch9wavefront6targetE1EEEvSC_
	.p2align	8
	.type	_ZN7rocprim17ROCPRIM_400000_NS6detail17trampoline_kernelINS0_14default_configENS1_35radix_sort_onesweep_config_selectorIiNS0_10empty_typeEEEZNS1_34radix_sort_onesweep_global_offsetsIS3_Lb1EPiPS5_mNS0_19identity_decomposerEEE10hipError_tT1_T2_PT3_SE_jT4_jjP12ihipStream_tbEUlT_E_NS1_11comp_targetILNS1_3genE5ELNS1_11target_archE942ELNS1_3gpuE9ELNS1_3repE0EEENS1_52radix_sort_onesweep_histogram_config_static_selectorELNS0_4arch9wavefront6targetE1EEEvSC_,@function
_ZN7rocprim17ROCPRIM_400000_NS6detail17trampoline_kernelINS0_14default_configENS1_35radix_sort_onesweep_config_selectorIiNS0_10empty_typeEEEZNS1_34radix_sort_onesweep_global_offsetsIS3_Lb1EPiPS5_mNS0_19identity_decomposerEEE10hipError_tT1_T2_PT3_SE_jT4_jjP12ihipStream_tbEUlT_E_NS1_11comp_targetILNS1_3genE5ELNS1_11target_archE942ELNS1_3gpuE9ELNS1_3repE0EEENS1_52radix_sort_onesweep_histogram_config_static_selectorELNS0_4arch9wavefront6targetE1EEEvSC_: ; @_ZN7rocprim17ROCPRIM_400000_NS6detail17trampoline_kernelINS0_14default_configENS1_35radix_sort_onesweep_config_selectorIiNS0_10empty_typeEEEZNS1_34radix_sort_onesweep_global_offsetsIS3_Lb1EPiPS5_mNS0_19identity_decomposerEEE10hipError_tT1_T2_PT3_SE_jT4_jjP12ihipStream_tbEUlT_E_NS1_11comp_targetILNS1_3genE5ELNS1_11target_archE942ELNS1_3gpuE9ELNS1_3repE0EEENS1_52radix_sort_onesweep_histogram_config_static_selectorELNS0_4arch9wavefront6targetE1EEEvSC_
; %bb.0:
	.section	.rodata,"a",@progbits
	.p2align	6, 0x0
	.amdhsa_kernel _ZN7rocprim17ROCPRIM_400000_NS6detail17trampoline_kernelINS0_14default_configENS1_35radix_sort_onesweep_config_selectorIiNS0_10empty_typeEEEZNS1_34radix_sort_onesweep_global_offsetsIS3_Lb1EPiPS5_mNS0_19identity_decomposerEEE10hipError_tT1_T2_PT3_SE_jT4_jjP12ihipStream_tbEUlT_E_NS1_11comp_targetILNS1_3genE5ELNS1_11target_archE942ELNS1_3gpuE9ELNS1_3repE0EEENS1_52radix_sort_onesweep_histogram_config_static_selectorELNS0_4arch9wavefront6targetE1EEEvSC_
		.amdhsa_group_segment_fixed_size 0
		.amdhsa_private_segment_fixed_size 0
		.amdhsa_kernarg_size 48
		.amdhsa_user_sgpr_count 6
		.amdhsa_user_sgpr_private_segment_buffer 1
		.amdhsa_user_sgpr_dispatch_ptr 0
		.amdhsa_user_sgpr_queue_ptr 0
		.amdhsa_user_sgpr_kernarg_segment_ptr 1
		.amdhsa_user_sgpr_dispatch_id 0
		.amdhsa_user_sgpr_flat_scratch_init 0
		.amdhsa_user_sgpr_kernarg_preload_length 0
		.amdhsa_user_sgpr_kernarg_preload_offset 0
		.amdhsa_user_sgpr_private_segment_size 0
		.amdhsa_uses_dynamic_stack 0
		.amdhsa_system_sgpr_private_segment_wavefront_offset 0
		.amdhsa_system_sgpr_workgroup_id_x 1
		.amdhsa_system_sgpr_workgroup_id_y 0
		.amdhsa_system_sgpr_workgroup_id_z 0
		.amdhsa_system_sgpr_workgroup_info 0
		.amdhsa_system_vgpr_workitem_id 0
		.amdhsa_next_free_vgpr 1
		.amdhsa_next_free_sgpr 0
		.amdhsa_accum_offset 4
		.amdhsa_reserve_vcc 0
		.amdhsa_reserve_flat_scratch 0
		.amdhsa_float_round_mode_32 0
		.amdhsa_float_round_mode_16_64 0
		.amdhsa_float_denorm_mode_32 3
		.amdhsa_float_denorm_mode_16_64 3
		.amdhsa_dx10_clamp 1
		.amdhsa_ieee_mode 1
		.amdhsa_fp16_overflow 0
		.amdhsa_tg_split 0
		.amdhsa_exception_fp_ieee_invalid_op 0
		.amdhsa_exception_fp_denorm_src 0
		.amdhsa_exception_fp_ieee_div_zero 0
		.amdhsa_exception_fp_ieee_overflow 0
		.amdhsa_exception_fp_ieee_underflow 0
		.amdhsa_exception_fp_ieee_inexact 0
		.amdhsa_exception_int_div_zero 0
	.end_amdhsa_kernel
	.section	.text._ZN7rocprim17ROCPRIM_400000_NS6detail17trampoline_kernelINS0_14default_configENS1_35radix_sort_onesweep_config_selectorIiNS0_10empty_typeEEEZNS1_34radix_sort_onesweep_global_offsetsIS3_Lb1EPiPS5_mNS0_19identity_decomposerEEE10hipError_tT1_T2_PT3_SE_jT4_jjP12ihipStream_tbEUlT_E_NS1_11comp_targetILNS1_3genE5ELNS1_11target_archE942ELNS1_3gpuE9ELNS1_3repE0EEENS1_52radix_sort_onesweep_histogram_config_static_selectorELNS0_4arch9wavefront6targetE1EEEvSC_,"axG",@progbits,_ZN7rocprim17ROCPRIM_400000_NS6detail17trampoline_kernelINS0_14default_configENS1_35radix_sort_onesweep_config_selectorIiNS0_10empty_typeEEEZNS1_34radix_sort_onesweep_global_offsetsIS3_Lb1EPiPS5_mNS0_19identity_decomposerEEE10hipError_tT1_T2_PT3_SE_jT4_jjP12ihipStream_tbEUlT_E_NS1_11comp_targetILNS1_3genE5ELNS1_11target_archE942ELNS1_3gpuE9ELNS1_3repE0EEENS1_52radix_sort_onesweep_histogram_config_static_selectorELNS0_4arch9wavefront6targetE1EEEvSC_,comdat
.Lfunc_end1996:
	.size	_ZN7rocprim17ROCPRIM_400000_NS6detail17trampoline_kernelINS0_14default_configENS1_35radix_sort_onesweep_config_selectorIiNS0_10empty_typeEEEZNS1_34radix_sort_onesweep_global_offsetsIS3_Lb1EPiPS5_mNS0_19identity_decomposerEEE10hipError_tT1_T2_PT3_SE_jT4_jjP12ihipStream_tbEUlT_E_NS1_11comp_targetILNS1_3genE5ELNS1_11target_archE942ELNS1_3gpuE9ELNS1_3repE0EEENS1_52radix_sort_onesweep_histogram_config_static_selectorELNS0_4arch9wavefront6targetE1EEEvSC_, .Lfunc_end1996-_ZN7rocprim17ROCPRIM_400000_NS6detail17trampoline_kernelINS0_14default_configENS1_35radix_sort_onesweep_config_selectorIiNS0_10empty_typeEEEZNS1_34radix_sort_onesweep_global_offsetsIS3_Lb1EPiPS5_mNS0_19identity_decomposerEEE10hipError_tT1_T2_PT3_SE_jT4_jjP12ihipStream_tbEUlT_E_NS1_11comp_targetILNS1_3genE5ELNS1_11target_archE942ELNS1_3gpuE9ELNS1_3repE0EEENS1_52radix_sort_onesweep_histogram_config_static_selectorELNS0_4arch9wavefront6targetE1EEEvSC_
                                        ; -- End function
	.section	.AMDGPU.csdata,"",@progbits
; Kernel info:
; codeLenInByte = 0
; NumSgprs: 4
; NumVgprs: 0
; NumAgprs: 0
; TotalNumVgprs: 0
; ScratchSize: 0
; MemoryBound: 0
; FloatMode: 240
; IeeeMode: 1
; LDSByteSize: 0 bytes/workgroup (compile time only)
; SGPRBlocks: 0
; VGPRBlocks: 0
; NumSGPRsForWavesPerEU: 4
; NumVGPRsForWavesPerEU: 1
; AccumOffset: 4
; Occupancy: 8
; WaveLimiterHint : 0
; COMPUTE_PGM_RSRC2:SCRATCH_EN: 0
; COMPUTE_PGM_RSRC2:USER_SGPR: 6
; COMPUTE_PGM_RSRC2:TRAP_HANDLER: 0
; COMPUTE_PGM_RSRC2:TGID_X_EN: 1
; COMPUTE_PGM_RSRC2:TGID_Y_EN: 0
; COMPUTE_PGM_RSRC2:TGID_Z_EN: 0
; COMPUTE_PGM_RSRC2:TIDIG_COMP_CNT: 0
; COMPUTE_PGM_RSRC3_GFX90A:ACCUM_OFFSET: 0
; COMPUTE_PGM_RSRC3_GFX90A:TG_SPLIT: 0
	.section	.text._ZN7rocprim17ROCPRIM_400000_NS6detail17trampoline_kernelINS0_14default_configENS1_35radix_sort_onesweep_config_selectorIiNS0_10empty_typeEEEZNS1_34radix_sort_onesweep_global_offsetsIS3_Lb1EPiPS5_mNS0_19identity_decomposerEEE10hipError_tT1_T2_PT3_SE_jT4_jjP12ihipStream_tbEUlT_E_NS1_11comp_targetILNS1_3genE2ELNS1_11target_archE906ELNS1_3gpuE6ELNS1_3repE0EEENS1_52radix_sort_onesweep_histogram_config_static_selectorELNS0_4arch9wavefront6targetE1EEEvSC_,"axG",@progbits,_ZN7rocprim17ROCPRIM_400000_NS6detail17trampoline_kernelINS0_14default_configENS1_35radix_sort_onesweep_config_selectorIiNS0_10empty_typeEEEZNS1_34radix_sort_onesweep_global_offsetsIS3_Lb1EPiPS5_mNS0_19identity_decomposerEEE10hipError_tT1_T2_PT3_SE_jT4_jjP12ihipStream_tbEUlT_E_NS1_11comp_targetILNS1_3genE2ELNS1_11target_archE906ELNS1_3gpuE6ELNS1_3repE0EEENS1_52radix_sort_onesweep_histogram_config_static_selectorELNS0_4arch9wavefront6targetE1EEEvSC_,comdat
	.protected	_ZN7rocprim17ROCPRIM_400000_NS6detail17trampoline_kernelINS0_14default_configENS1_35radix_sort_onesweep_config_selectorIiNS0_10empty_typeEEEZNS1_34radix_sort_onesweep_global_offsetsIS3_Lb1EPiPS5_mNS0_19identity_decomposerEEE10hipError_tT1_T2_PT3_SE_jT4_jjP12ihipStream_tbEUlT_E_NS1_11comp_targetILNS1_3genE2ELNS1_11target_archE906ELNS1_3gpuE6ELNS1_3repE0EEENS1_52radix_sort_onesweep_histogram_config_static_selectorELNS0_4arch9wavefront6targetE1EEEvSC_ ; -- Begin function _ZN7rocprim17ROCPRIM_400000_NS6detail17trampoline_kernelINS0_14default_configENS1_35radix_sort_onesweep_config_selectorIiNS0_10empty_typeEEEZNS1_34radix_sort_onesweep_global_offsetsIS3_Lb1EPiPS5_mNS0_19identity_decomposerEEE10hipError_tT1_T2_PT3_SE_jT4_jjP12ihipStream_tbEUlT_E_NS1_11comp_targetILNS1_3genE2ELNS1_11target_archE906ELNS1_3gpuE6ELNS1_3repE0EEENS1_52radix_sort_onesweep_histogram_config_static_selectorELNS0_4arch9wavefront6targetE1EEEvSC_
	.globl	_ZN7rocprim17ROCPRIM_400000_NS6detail17trampoline_kernelINS0_14default_configENS1_35radix_sort_onesweep_config_selectorIiNS0_10empty_typeEEEZNS1_34radix_sort_onesweep_global_offsetsIS3_Lb1EPiPS5_mNS0_19identity_decomposerEEE10hipError_tT1_T2_PT3_SE_jT4_jjP12ihipStream_tbEUlT_E_NS1_11comp_targetILNS1_3genE2ELNS1_11target_archE906ELNS1_3gpuE6ELNS1_3repE0EEENS1_52radix_sort_onesweep_histogram_config_static_selectorELNS0_4arch9wavefront6targetE1EEEvSC_
	.p2align	8
	.type	_ZN7rocprim17ROCPRIM_400000_NS6detail17trampoline_kernelINS0_14default_configENS1_35radix_sort_onesweep_config_selectorIiNS0_10empty_typeEEEZNS1_34radix_sort_onesweep_global_offsetsIS3_Lb1EPiPS5_mNS0_19identity_decomposerEEE10hipError_tT1_T2_PT3_SE_jT4_jjP12ihipStream_tbEUlT_E_NS1_11comp_targetILNS1_3genE2ELNS1_11target_archE906ELNS1_3gpuE6ELNS1_3repE0EEENS1_52radix_sort_onesweep_histogram_config_static_selectorELNS0_4arch9wavefront6targetE1EEEvSC_,@function
_ZN7rocprim17ROCPRIM_400000_NS6detail17trampoline_kernelINS0_14default_configENS1_35radix_sort_onesweep_config_selectorIiNS0_10empty_typeEEEZNS1_34radix_sort_onesweep_global_offsetsIS3_Lb1EPiPS5_mNS0_19identity_decomposerEEE10hipError_tT1_T2_PT3_SE_jT4_jjP12ihipStream_tbEUlT_E_NS1_11comp_targetILNS1_3genE2ELNS1_11target_archE906ELNS1_3gpuE6ELNS1_3repE0EEENS1_52radix_sort_onesweep_histogram_config_static_selectorELNS0_4arch9wavefront6targetE1EEEvSC_: ; @_ZN7rocprim17ROCPRIM_400000_NS6detail17trampoline_kernelINS0_14default_configENS1_35radix_sort_onesweep_config_selectorIiNS0_10empty_typeEEEZNS1_34radix_sort_onesweep_global_offsetsIS3_Lb1EPiPS5_mNS0_19identity_decomposerEEE10hipError_tT1_T2_PT3_SE_jT4_jjP12ihipStream_tbEUlT_E_NS1_11comp_targetILNS1_3genE2ELNS1_11target_archE906ELNS1_3gpuE6ELNS1_3repE0EEENS1_52radix_sort_onesweep_histogram_config_static_selectorELNS0_4arch9wavefront6targetE1EEEvSC_
; %bb.0:
	.section	.rodata,"a",@progbits
	.p2align	6, 0x0
	.amdhsa_kernel _ZN7rocprim17ROCPRIM_400000_NS6detail17trampoline_kernelINS0_14default_configENS1_35radix_sort_onesweep_config_selectorIiNS0_10empty_typeEEEZNS1_34radix_sort_onesweep_global_offsetsIS3_Lb1EPiPS5_mNS0_19identity_decomposerEEE10hipError_tT1_T2_PT3_SE_jT4_jjP12ihipStream_tbEUlT_E_NS1_11comp_targetILNS1_3genE2ELNS1_11target_archE906ELNS1_3gpuE6ELNS1_3repE0EEENS1_52radix_sort_onesweep_histogram_config_static_selectorELNS0_4arch9wavefront6targetE1EEEvSC_
		.amdhsa_group_segment_fixed_size 0
		.amdhsa_private_segment_fixed_size 0
		.amdhsa_kernarg_size 48
		.amdhsa_user_sgpr_count 6
		.amdhsa_user_sgpr_private_segment_buffer 1
		.amdhsa_user_sgpr_dispatch_ptr 0
		.amdhsa_user_sgpr_queue_ptr 0
		.amdhsa_user_sgpr_kernarg_segment_ptr 1
		.amdhsa_user_sgpr_dispatch_id 0
		.amdhsa_user_sgpr_flat_scratch_init 0
		.amdhsa_user_sgpr_kernarg_preload_length 0
		.amdhsa_user_sgpr_kernarg_preload_offset 0
		.amdhsa_user_sgpr_private_segment_size 0
		.amdhsa_uses_dynamic_stack 0
		.amdhsa_system_sgpr_private_segment_wavefront_offset 0
		.amdhsa_system_sgpr_workgroup_id_x 1
		.amdhsa_system_sgpr_workgroup_id_y 0
		.amdhsa_system_sgpr_workgroup_id_z 0
		.amdhsa_system_sgpr_workgroup_info 0
		.amdhsa_system_vgpr_workitem_id 0
		.amdhsa_next_free_vgpr 1
		.amdhsa_next_free_sgpr 0
		.amdhsa_accum_offset 4
		.amdhsa_reserve_vcc 0
		.amdhsa_reserve_flat_scratch 0
		.amdhsa_float_round_mode_32 0
		.amdhsa_float_round_mode_16_64 0
		.amdhsa_float_denorm_mode_32 3
		.amdhsa_float_denorm_mode_16_64 3
		.amdhsa_dx10_clamp 1
		.amdhsa_ieee_mode 1
		.amdhsa_fp16_overflow 0
		.amdhsa_tg_split 0
		.amdhsa_exception_fp_ieee_invalid_op 0
		.amdhsa_exception_fp_denorm_src 0
		.amdhsa_exception_fp_ieee_div_zero 0
		.amdhsa_exception_fp_ieee_overflow 0
		.amdhsa_exception_fp_ieee_underflow 0
		.amdhsa_exception_fp_ieee_inexact 0
		.amdhsa_exception_int_div_zero 0
	.end_amdhsa_kernel
	.section	.text._ZN7rocprim17ROCPRIM_400000_NS6detail17trampoline_kernelINS0_14default_configENS1_35radix_sort_onesweep_config_selectorIiNS0_10empty_typeEEEZNS1_34radix_sort_onesweep_global_offsetsIS3_Lb1EPiPS5_mNS0_19identity_decomposerEEE10hipError_tT1_T2_PT3_SE_jT4_jjP12ihipStream_tbEUlT_E_NS1_11comp_targetILNS1_3genE2ELNS1_11target_archE906ELNS1_3gpuE6ELNS1_3repE0EEENS1_52radix_sort_onesweep_histogram_config_static_selectorELNS0_4arch9wavefront6targetE1EEEvSC_,"axG",@progbits,_ZN7rocprim17ROCPRIM_400000_NS6detail17trampoline_kernelINS0_14default_configENS1_35radix_sort_onesweep_config_selectorIiNS0_10empty_typeEEEZNS1_34radix_sort_onesweep_global_offsetsIS3_Lb1EPiPS5_mNS0_19identity_decomposerEEE10hipError_tT1_T2_PT3_SE_jT4_jjP12ihipStream_tbEUlT_E_NS1_11comp_targetILNS1_3genE2ELNS1_11target_archE906ELNS1_3gpuE6ELNS1_3repE0EEENS1_52radix_sort_onesweep_histogram_config_static_selectorELNS0_4arch9wavefront6targetE1EEEvSC_,comdat
.Lfunc_end1997:
	.size	_ZN7rocprim17ROCPRIM_400000_NS6detail17trampoline_kernelINS0_14default_configENS1_35radix_sort_onesweep_config_selectorIiNS0_10empty_typeEEEZNS1_34radix_sort_onesweep_global_offsetsIS3_Lb1EPiPS5_mNS0_19identity_decomposerEEE10hipError_tT1_T2_PT3_SE_jT4_jjP12ihipStream_tbEUlT_E_NS1_11comp_targetILNS1_3genE2ELNS1_11target_archE906ELNS1_3gpuE6ELNS1_3repE0EEENS1_52radix_sort_onesweep_histogram_config_static_selectorELNS0_4arch9wavefront6targetE1EEEvSC_, .Lfunc_end1997-_ZN7rocprim17ROCPRIM_400000_NS6detail17trampoline_kernelINS0_14default_configENS1_35radix_sort_onesweep_config_selectorIiNS0_10empty_typeEEEZNS1_34radix_sort_onesweep_global_offsetsIS3_Lb1EPiPS5_mNS0_19identity_decomposerEEE10hipError_tT1_T2_PT3_SE_jT4_jjP12ihipStream_tbEUlT_E_NS1_11comp_targetILNS1_3genE2ELNS1_11target_archE906ELNS1_3gpuE6ELNS1_3repE0EEENS1_52radix_sort_onesweep_histogram_config_static_selectorELNS0_4arch9wavefront6targetE1EEEvSC_
                                        ; -- End function
	.section	.AMDGPU.csdata,"",@progbits
; Kernel info:
; codeLenInByte = 0
; NumSgprs: 4
; NumVgprs: 0
; NumAgprs: 0
; TotalNumVgprs: 0
; ScratchSize: 0
; MemoryBound: 0
; FloatMode: 240
; IeeeMode: 1
; LDSByteSize: 0 bytes/workgroup (compile time only)
; SGPRBlocks: 0
; VGPRBlocks: 0
; NumSGPRsForWavesPerEU: 4
; NumVGPRsForWavesPerEU: 1
; AccumOffset: 4
; Occupancy: 8
; WaveLimiterHint : 0
; COMPUTE_PGM_RSRC2:SCRATCH_EN: 0
; COMPUTE_PGM_RSRC2:USER_SGPR: 6
; COMPUTE_PGM_RSRC2:TRAP_HANDLER: 0
; COMPUTE_PGM_RSRC2:TGID_X_EN: 1
; COMPUTE_PGM_RSRC2:TGID_Y_EN: 0
; COMPUTE_PGM_RSRC2:TGID_Z_EN: 0
; COMPUTE_PGM_RSRC2:TIDIG_COMP_CNT: 0
; COMPUTE_PGM_RSRC3_GFX90A:ACCUM_OFFSET: 0
; COMPUTE_PGM_RSRC3_GFX90A:TG_SPLIT: 0
	.section	.text._ZN7rocprim17ROCPRIM_400000_NS6detail17trampoline_kernelINS0_14default_configENS1_35radix_sort_onesweep_config_selectorIiNS0_10empty_typeEEEZNS1_34radix_sort_onesweep_global_offsetsIS3_Lb1EPiPS5_mNS0_19identity_decomposerEEE10hipError_tT1_T2_PT3_SE_jT4_jjP12ihipStream_tbEUlT_E_NS1_11comp_targetILNS1_3genE4ELNS1_11target_archE910ELNS1_3gpuE8ELNS1_3repE0EEENS1_52radix_sort_onesweep_histogram_config_static_selectorELNS0_4arch9wavefront6targetE1EEEvSC_,"axG",@progbits,_ZN7rocprim17ROCPRIM_400000_NS6detail17trampoline_kernelINS0_14default_configENS1_35radix_sort_onesweep_config_selectorIiNS0_10empty_typeEEEZNS1_34radix_sort_onesweep_global_offsetsIS3_Lb1EPiPS5_mNS0_19identity_decomposerEEE10hipError_tT1_T2_PT3_SE_jT4_jjP12ihipStream_tbEUlT_E_NS1_11comp_targetILNS1_3genE4ELNS1_11target_archE910ELNS1_3gpuE8ELNS1_3repE0EEENS1_52radix_sort_onesweep_histogram_config_static_selectorELNS0_4arch9wavefront6targetE1EEEvSC_,comdat
	.protected	_ZN7rocprim17ROCPRIM_400000_NS6detail17trampoline_kernelINS0_14default_configENS1_35radix_sort_onesweep_config_selectorIiNS0_10empty_typeEEEZNS1_34radix_sort_onesweep_global_offsetsIS3_Lb1EPiPS5_mNS0_19identity_decomposerEEE10hipError_tT1_T2_PT3_SE_jT4_jjP12ihipStream_tbEUlT_E_NS1_11comp_targetILNS1_3genE4ELNS1_11target_archE910ELNS1_3gpuE8ELNS1_3repE0EEENS1_52radix_sort_onesweep_histogram_config_static_selectorELNS0_4arch9wavefront6targetE1EEEvSC_ ; -- Begin function _ZN7rocprim17ROCPRIM_400000_NS6detail17trampoline_kernelINS0_14default_configENS1_35radix_sort_onesweep_config_selectorIiNS0_10empty_typeEEEZNS1_34radix_sort_onesweep_global_offsetsIS3_Lb1EPiPS5_mNS0_19identity_decomposerEEE10hipError_tT1_T2_PT3_SE_jT4_jjP12ihipStream_tbEUlT_E_NS1_11comp_targetILNS1_3genE4ELNS1_11target_archE910ELNS1_3gpuE8ELNS1_3repE0EEENS1_52radix_sort_onesweep_histogram_config_static_selectorELNS0_4arch9wavefront6targetE1EEEvSC_
	.globl	_ZN7rocprim17ROCPRIM_400000_NS6detail17trampoline_kernelINS0_14default_configENS1_35radix_sort_onesweep_config_selectorIiNS0_10empty_typeEEEZNS1_34radix_sort_onesweep_global_offsetsIS3_Lb1EPiPS5_mNS0_19identity_decomposerEEE10hipError_tT1_T2_PT3_SE_jT4_jjP12ihipStream_tbEUlT_E_NS1_11comp_targetILNS1_3genE4ELNS1_11target_archE910ELNS1_3gpuE8ELNS1_3repE0EEENS1_52radix_sort_onesweep_histogram_config_static_selectorELNS0_4arch9wavefront6targetE1EEEvSC_
	.p2align	8
	.type	_ZN7rocprim17ROCPRIM_400000_NS6detail17trampoline_kernelINS0_14default_configENS1_35radix_sort_onesweep_config_selectorIiNS0_10empty_typeEEEZNS1_34radix_sort_onesweep_global_offsetsIS3_Lb1EPiPS5_mNS0_19identity_decomposerEEE10hipError_tT1_T2_PT3_SE_jT4_jjP12ihipStream_tbEUlT_E_NS1_11comp_targetILNS1_3genE4ELNS1_11target_archE910ELNS1_3gpuE8ELNS1_3repE0EEENS1_52radix_sort_onesweep_histogram_config_static_selectorELNS0_4arch9wavefront6targetE1EEEvSC_,@function
_ZN7rocprim17ROCPRIM_400000_NS6detail17trampoline_kernelINS0_14default_configENS1_35radix_sort_onesweep_config_selectorIiNS0_10empty_typeEEEZNS1_34radix_sort_onesweep_global_offsetsIS3_Lb1EPiPS5_mNS0_19identity_decomposerEEE10hipError_tT1_T2_PT3_SE_jT4_jjP12ihipStream_tbEUlT_E_NS1_11comp_targetILNS1_3genE4ELNS1_11target_archE910ELNS1_3gpuE8ELNS1_3repE0EEENS1_52radix_sort_onesweep_histogram_config_static_selectorELNS0_4arch9wavefront6targetE1EEEvSC_: ; @_ZN7rocprim17ROCPRIM_400000_NS6detail17trampoline_kernelINS0_14default_configENS1_35radix_sort_onesweep_config_selectorIiNS0_10empty_typeEEEZNS1_34radix_sort_onesweep_global_offsetsIS3_Lb1EPiPS5_mNS0_19identity_decomposerEEE10hipError_tT1_T2_PT3_SE_jT4_jjP12ihipStream_tbEUlT_E_NS1_11comp_targetILNS1_3genE4ELNS1_11target_archE910ELNS1_3gpuE8ELNS1_3repE0EEENS1_52radix_sort_onesweep_histogram_config_static_selectorELNS0_4arch9wavefront6targetE1EEEvSC_
; %bb.0:
	s_load_dwordx2 s[10:11], s[4:5], 0x18
	s_load_dwordx4 s[0:3], s[4:5], 0x0
	s_load_dwordx2 s[8:9], s[4:5], 0x24
	v_mov_b32_e32 v2, s6
	v_mov_b32_e32 v3, 0
	s_mul_hi_u32 s7, s6, 0xc000
	s_mul_i32 s6, s6, 0xc000
	s_waitcnt lgkmcnt(0)
	v_cmp_le_u64_e32 vcc, s[10:11], v[2:3]
	s_add_u32 s6, s0, s6
	s_addc_u32 s7, s1, s7
	s_mov_b64 s[0:1], -1
	s_cbranch_vccz .LBB1998_235
; %bb.1:
	s_load_dword s16, s[4:5], 0x10
	s_mul_i32 s0, s10, 0xffffd000
                                        ; implicit-def: $vgpr24
	s_waitcnt lgkmcnt(0)
	s_add_i32 s16, s16, s0
	v_cmp_gt_u32_e32 vcc, s16, v0
	s_and_saveexec_b64 s[0:1], vcc
	s_cbranch_execz .LBB1998_3
; %bb.2:
	v_lshlrev_b32_e32 v1, 2, v0
	global_load_dword v24, v1, s[6:7]
.LBB1998_3:
	s_or_b64 exec, exec, s[0:1]
	v_or_b32_e32 v22, 0x400, v0
	v_cmp_gt_u32_e32 vcc, s16, v22
                                        ; implicit-def: $vgpr23
	s_and_saveexec_b64 s[0:1], vcc
	s_cbranch_execz .LBB1998_5
; %bb.4:
	v_lshlrev_b32_e32 v1, 2, v22
	global_load_dword v23, v1, s[6:7]
.LBB1998_5:
	s_or_b64 exec, exec, s[0:1]
	v_or_b32_e32 v20, 0x800, v0
	v_cmp_gt_u32_e32 vcc, s16, v20
                                        ; implicit-def: $vgpr21
	s_and_saveexec_b64 s[0:1], vcc
	s_cbranch_execz .LBB1998_7
; %bb.6:
	v_lshlrev_b32_e32 v1, 2, v20
	global_load_dword v21, v1, s[6:7]
.LBB1998_7:
	s_or_b64 exec, exec, s[0:1]
	v_or_b32_e32 v18, 0xc00, v0
	v_cmp_gt_u32_e32 vcc, s16, v18
                                        ; implicit-def: $vgpr19
	s_and_saveexec_b64 s[0:1], vcc
	s_cbranch_execz .LBB1998_9
; %bb.8:
	v_lshlrev_b32_e32 v1, 2, v18
	global_load_dword v19, v1, s[6:7]
.LBB1998_9:
	s_or_b64 exec, exec, s[0:1]
	v_or_b32_e32 v16, 0x1000, v0
	v_cmp_gt_u32_e32 vcc, s16, v16
                                        ; implicit-def: $vgpr17
	s_and_saveexec_b64 s[0:1], vcc
	s_cbranch_execz .LBB1998_11
; %bb.10:
	v_lshlrev_b32_e32 v1, 2, v16
	global_load_dword v17, v1, s[6:7]
.LBB1998_11:
	s_or_b64 exec, exec, s[0:1]
	v_or_b32_e32 v14, 0x1400, v0
	v_cmp_gt_u32_e32 vcc, s16, v14
                                        ; implicit-def: $vgpr15
	s_and_saveexec_b64 s[0:1], vcc
	s_cbranch_execz .LBB1998_13
; %bb.12:
	v_lshlrev_b32_e32 v1, 2, v14
	global_load_dword v15, v1, s[6:7]
.LBB1998_13:
	s_or_b64 exec, exec, s[0:1]
	v_or_b32_e32 v12, 0x1800, v0
	v_cmp_gt_u32_e32 vcc, s16, v12
                                        ; implicit-def: $vgpr13
	s_and_saveexec_b64 s[0:1], vcc
	s_cbranch_execz .LBB1998_15
; %bb.14:
	v_lshlrev_b32_e32 v1, 2, v12
	global_load_dword v13, v1, s[6:7]
.LBB1998_15:
	s_or_b64 exec, exec, s[0:1]
	v_or_b32_e32 v10, 0x1c00, v0
	v_cmp_gt_u32_e32 vcc, s16, v10
                                        ; implicit-def: $vgpr11
	s_and_saveexec_b64 s[0:1], vcc
	s_cbranch_execz .LBB1998_17
; %bb.16:
	v_lshlrev_b32_e32 v1, 2, v10
	global_load_dword v11, v1, s[6:7]
.LBB1998_17:
	s_or_b64 exec, exec, s[0:1]
	v_or_b32_e32 v8, 0x2000, v0
	v_cmp_gt_u32_e32 vcc, s16, v8
                                        ; implicit-def: $vgpr9
	s_and_saveexec_b64 s[0:1], vcc
	s_cbranch_execz .LBB1998_19
; %bb.18:
	v_lshlrev_b32_e32 v1, 2, v8
	global_load_dword v9, v1, s[6:7]
.LBB1998_19:
	s_or_b64 exec, exec, s[0:1]
	v_or_b32_e32 v6, 0x2400, v0
	v_cmp_gt_u32_e32 vcc, s16, v6
                                        ; implicit-def: $vgpr7
	s_and_saveexec_b64 s[0:1], vcc
	s_cbranch_execz .LBB1998_21
; %bb.20:
	v_lshlrev_b32_e32 v1, 2, v6
	global_load_dword v7, v1, s[6:7]
.LBB1998_21:
	s_or_b64 exec, exec, s[0:1]
	v_or_b32_e32 v4, 0x2800, v0
	v_cmp_gt_u32_e32 vcc, s16, v4
                                        ; implicit-def: $vgpr5
	s_and_saveexec_b64 s[0:1], vcc
	s_cbranch_execz .LBB1998_23
; %bb.22:
	v_lshlrev_b32_e32 v1, 2, v4
	global_load_dword v5, v1, s[6:7]
.LBB1998_23:
	s_or_b64 exec, exec, s[0:1]
	v_or_b32_e32 v2, 0x2c00, v0
	v_cmp_gt_u32_e32 vcc, s16, v2
                                        ; implicit-def: $vgpr3
	s_and_saveexec_b64 s[0:1], vcc
	s_cbranch_execz .LBB1998_25
; %bb.24:
	v_lshlrev_b32_e32 v1, 2, v2
	global_load_dword v3, v1, s[6:7]
.LBB1998_25:
	s_or_b64 exec, exec, s[0:1]
	s_cmp_le_u32 s9, s8
	s_cselect_b64 s[4:5], -1, 0
	v_cmp_le_u32_e32 vcc, s16, v0
	s_and_b64 s[0:1], s[4:5], exec
	v_lshlrev_b32_e32 v25, 2, v0
	v_mov_b32_e32 v26, 0
	s_cselect_b32 s17, 8, 10
	s_or_b64 s[0:1], s[4:5], vcc
	v_and_b32_e32 v1, 3, v0
	ds_write2st64_b32 v25, v26, v26 offset1:16
	ds_write2st64_b32 v25, v26, v26 offset0:32 offset1:48
	s_waitcnt vmcnt(0)
	v_xor_b32_e32 v24, 0x7fffffff, v24
	s_xor_b64 s[10:11], s[0:1], -1
	v_mov_b32_e32 v25, s17
	s_waitcnt lgkmcnt(0)
	s_barrier
	s_and_saveexec_b64 s[0:1], s[10:11]
	s_cbranch_execz .LBB1998_27
; %bb.26:
	s_sub_i32 s10, s9, s8
	s_min_u32 s10, s10, 8
	v_lshrrev_b32_e32 v25, s8, v24
	v_bfe_u32 v25, v25, 0, s10
	v_lshlrev_b32_e32 v26, 2, v1
	v_lshl_or_b32 v25, v25, 4, v26
	v_mov_b32_e32 v26, 1
	ds_add_u32 v25, v26
	v_mov_b32_e32 v25, 0
.LBB1998_27:
	s_or_b64 exec, exec, s[0:1]
	v_cmp_gt_i32_e64 s[0:1], 10, v25
	s_mov_b64 s[12:13], -1
	s_and_saveexec_b64 s[10:11], s[0:1]
; %bb.28:
	v_cmp_eq_u32_e64 s[0:1], 0, v25
	s_orn2_b64 s[12:13], s[0:1], exec
; %bb.29:
	s_or_b64 exec, exec, s[10:11]
	s_and_saveexec_b64 s[10:11], s[12:13]
	s_cbranch_execz .LBB1998_42
; %bb.30:
	s_add_i32 s12, s8, 8
	s_cmp_le_u32 s9, s12
	s_cselect_b64 s[0:1], -1, 0
	s_and_b64 s[14:15], s[0:1], exec
	s_cselect_b32 s13, 8, 10
	s_or_b64 s[0:1], s[0:1], vcc
	s_xor_b64 s[14:15], s[0:1], -1
	v_mov_b32_e32 v25, s13
	s_and_saveexec_b64 s[0:1], s[14:15]
	s_cbranch_execz .LBB1998_32
; %bb.31:
	s_sub_i32 s13, s9, s12
	s_min_u32 s13, s13, 8
	v_lshrrev_b32_e32 v25, s12, v24
	v_bfe_u32 v25, v25, 0, s13
	v_lshlrev_b32_e32 v26, 2, v1
	v_lshl_or_b32 v25, v25, 4, v26
	v_mov_b32_e32 v26, 1
	ds_add_u32 v25, v26 offset:4096
	v_mov_b32_e32 v25, 0
.LBB1998_32:
	s_or_b64 exec, exec, s[0:1]
	v_cmp_gt_i32_e64 s[0:1], 10, v25
	s_mov_b64 s[12:13], -1
	s_and_saveexec_b64 s[14:15], s[0:1]
; %bb.33:
	v_cmp_eq_u32_e64 s[0:1], 0, v25
	s_orn2_b64 s[12:13], s[0:1], exec
; %bb.34:
	s_or_b64 exec, exec, s[14:15]
	s_and_b64 exec, exec, s[12:13]
	s_cbranch_execz .LBB1998_42
; %bb.35:
	s_add_i32 s12, s8, 16
	s_cmp_le_u32 s9, s12
	s_cselect_b64 s[0:1], -1, 0
	s_and_b64 s[14:15], s[0:1], exec
	s_cselect_b32 s13, 8, 10
	s_or_b64 s[0:1], s[0:1], vcc
	s_xor_b64 s[14:15], s[0:1], -1
	v_mov_b32_e32 v25, s13
	s_and_saveexec_b64 s[0:1], s[14:15]
	s_cbranch_execz .LBB1998_37
; %bb.36:
	s_sub_i32 s13, s9, s12
	s_min_u32 s13, s13, 8
	v_lshrrev_b32_e32 v25, s12, v24
	v_bfe_u32 v25, v25, 0, s13
	v_lshlrev_b32_e32 v26, 2, v1
	v_lshl_or_b32 v25, v25, 4, v26
	v_mov_b32_e32 v26, 1
	ds_add_u32 v25, v26 offset:8192
	v_mov_b32_e32 v25, 0
.LBB1998_37:
	s_or_b64 exec, exec, s[0:1]
	v_cmp_gt_i32_e64 s[0:1], 10, v25
	s_mov_b64 s[12:13], -1
	s_and_saveexec_b64 s[14:15], s[0:1]
; %bb.38:
	v_cmp_eq_u32_e64 s[0:1], 0, v25
	s_orn2_b64 s[12:13], s[0:1], exec
; %bb.39:
	s_or_b64 exec, exec, s[14:15]
	s_and_b64 exec, exec, s[12:13]
	s_cbranch_execz .LBB1998_42
; %bb.40:
	s_add_i32 s0, s8, 24
	s_cmp_gt_u32 s9, s0
	s_cselect_b64 s[12:13], -1, 0
	s_xor_b64 s[14:15], vcc, -1
	s_and_b64 s[12:13], s[12:13], s[14:15]
	s_and_b64 exec, exec, s[12:13]
	s_cbranch_execz .LBB1998_42
; %bb.41:
	s_sub_i32 s1, s9, s0
	s_min_u32 s1, s1, 8
	v_lshrrev_b32_e32 v24, s0, v24
	v_bfe_u32 v24, v24, 0, s1
	v_lshlrev_b32_e32 v25, 2, v1
	v_lshl_or_b32 v24, v24, 4, v25
	v_mov_b32_e32 v25, 1
	ds_add_u32 v24, v25 offset:12288
.LBB1998_42:
	s_or_b64 exec, exec, s[10:11]
	v_cmp_le_u32_e32 vcc, s16, v22
	s_or_b64 s[0:1], s[4:5], vcc
	v_xor_b32_e32 v23, 0x7fffffff, v23
	s_xor_b64 s[10:11], s[0:1], -1
	v_mov_b32_e32 v22, s17
	s_and_saveexec_b64 s[0:1], s[10:11]
	s_cbranch_execz .LBB1998_44
; %bb.43:
	s_sub_i32 s10, s9, s8
	s_min_u32 s10, s10, 8
	v_lshrrev_b32_e32 v22, s8, v23
	v_bfe_u32 v22, v22, 0, s10
	v_lshlrev_b32_e32 v24, 2, v1
	v_lshl_or_b32 v22, v22, 4, v24
	v_mov_b32_e32 v24, 1
	ds_add_u32 v22, v24
	v_mov_b32_e32 v22, 0
.LBB1998_44:
	s_or_b64 exec, exec, s[0:1]
	v_cmp_gt_i32_e64 s[0:1], 10, v22
	s_mov_b64 s[12:13], -1
	s_and_saveexec_b64 s[10:11], s[0:1]
; %bb.45:
	v_cmp_eq_u32_e64 s[0:1], 0, v22
	s_orn2_b64 s[12:13], s[0:1], exec
; %bb.46:
	s_or_b64 exec, exec, s[10:11]
	s_and_saveexec_b64 s[10:11], s[12:13]
	s_cbranch_execz .LBB1998_59
; %bb.47:
	s_add_i32 s12, s8, 8
	s_cmp_le_u32 s9, s12
	s_cselect_b64 s[0:1], -1, 0
	s_and_b64 s[14:15], s[0:1], exec
	s_cselect_b32 s13, 8, 10
	s_or_b64 s[0:1], s[0:1], vcc
	s_xor_b64 s[14:15], s[0:1], -1
	v_mov_b32_e32 v22, s13
	s_and_saveexec_b64 s[0:1], s[14:15]
	s_cbranch_execz .LBB1998_49
; %bb.48:
	s_sub_i32 s13, s9, s12
	s_min_u32 s13, s13, 8
	v_lshrrev_b32_e32 v22, s12, v23
	v_bfe_u32 v22, v22, 0, s13
	v_lshlrev_b32_e32 v24, 2, v1
	v_lshl_or_b32 v22, v22, 4, v24
	v_mov_b32_e32 v24, 1
	ds_add_u32 v22, v24 offset:4096
	v_mov_b32_e32 v22, 0
.LBB1998_49:
	s_or_b64 exec, exec, s[0:1]
	v_cmp_gt_i32_e64 s[0:1], 10, v22
	s_mov_b64 s[12:13], -1
	s_and_saveexec_b64 s[14:15], s[0:1]
; %bb.50:
	v_cmp_eq_u32_e64 s[0:1], 0, v22
	s_orn2_b64 s[12:13], s[0:1], exec
; %bb.51:
	s_or_b64 exec, exec, s[14:15]
	s_and_b64 exec, exec, s[12:13]
	s_cbranch_execz .LBB1998_59
; %bb.52:
	s_add_i32 s12, s8, 16
	s_cmp_le_u32 s9, s12
	s_cselect_b64 s[0:1], -1, 0
	s_and_b64 s[14:15], s[0:1], exec
	s_cselect_b32 s13, 8, 10
	s_or_b64 s[0:1], s[0:1], vcc
	s_xor_b64 s[14:15], s[0:1], -1
	v_mov_b32_e32 v22, s13
	s_and_saveexec_b64 s[0:1], s[14:15]
	s_cbranch_execz .LBB1998_54
; %bb.53:
	s_sub_i32 s13, s9, s12
	s_min_u32 s13, s13, 8
	v_lshrrev_b32_e32 v22, s12, v23
	v_bfe_u32 v22, v22, 0, s13
	v_lshlrev_b32_e32 v24, 2, v1
	v_lshl_or_b32 v22, v22, 4, v24
	v_mov_b32_e32 v24, 1
	ds_add_u32 v22, v24 offset:8192
	v_mov_b32_e32 v22, 0
.LBB1998_54:
	s_or_b64 exec, exec, s[0:1]
	v_cmp_gt_i32_e64 s[0:1], 10, v22
	s_mov_b64 s[12:13], -1
	s_and_saveexec_b64 s[14:15], s[0:1]
; %bb.55:
	v_cmp_eq_u32_e64 s[0:1], 0, v22
	s_orn2_b64 s[12:13], s[0:1], exec
; %bb.56:
	s_or_b64 exec, exec, s[14:15]
	s_and_b64 exec, exec, s[12:13]
	s_cbranch_execz .LBB1998_59
; %bb.57:
	s_add_i32 s0, s8, 24
	s_cmp_gt_u32 s9, s0
	s_cselect_b64 s[12:13], -1, 0
	s_xor_b64 s[14:15], vcc, -1
	s_and_b64 s[12:13], s[12:13], s[14:15]
	s_and_b64 exec, exec, s[12:13]
	s_cbranch_execz .LBB1998_59
; %bb.58:
	s_sub_i32 s1, s9, s0
	s_min_u32 s1, s1, 8
	v_lshrrev_b32_e32 v22, s0, v23
	v_bfe_u32 v22, v22, 0, s1
	v_lshlrev_b32_e32 v23, 2, v1
	v_lshl_or_b32 v22, v22, 4, v23
	v_mov_b32_e32 v23, 1
	ds_add_u32 v22, v23 offset:12288
.LBB1998_59:
	s_or_b64 exec, exec, s[10:11]
	v_cmp_le_u32_e32 vcc, s16, v20
	s_or_b64 s[0:1], s[4:5], vcc
	v_xor_b32_e32 v21, 0x7fffffff, v21
	s_xor_b64 s[10:11], s[0:1], -1
	v_mov_b32_e32 v20, s17
	s_and_saveexec_b64 s[0:1], s[10:11]
	s_cbranch_execz .LBB1998_61
; %bb.60:
	s_sub_i32 s10, s9, s8
	s_min_u32 s10, s10, 8
	v_lshrrev_b32_e32 v20, s8, v21
	v_bfe_u32 v20, v20, 0, s10
	v_lshlrev_b32_e32 v22, 2, v1
	v_lshl_or_b32 v20, v20, 4, v22
	v_mov_b32_e32 v22, 1
	ds_add_u32 v20, v22
	v_mov_b32_e32 v20, 0
.LBB1998_61:
	s_or_b64 exec, exec, s[0:1]
	v_cmp_gt_i32_e64 s[0:1], 10, v20
	s_mov_b64 s[12:13], -1
	s_and_saveexec_b64 s[10:11], s[0:1]
; %bb.62:
	v_cmp_eq_u32_e64 s[0:1], 0, v20
	s_orn2_b64 s[12:13], s[0:1], exec
; %bb.63:
	s_or_b64 exec, exec, s[10:11]
	s_and_saveexec_b64 s[10:11], s[12:13]
	s_cbranch_execz .LBB1998_76
; %bb.64:
	s_add_i32 s12, s8, 8
	s_cmp_le_u32 s9, s12
	s_cselect_b64 s[0:1], -1, 0
	s_and_b64 s[14:15], s[0:1], exec
	s_cselect_b32 s13, 8, 10
	s_or_b64 s[0:1], s[0:1], vcc
	s_xor_b64 s[14:15], s[0:1], -1
	v_mov_b32_e32 v20, s13
	s_and_saveexec_b64 s[0:1], s[14:15]
	s_cbranch_execz .LBB1998_66
; %bb.65:
	s_sub_i32 s13, s9, s12
	s_min_u32 s13, s13, 8
	v_lshrrev_b32_e32 v20, s12, v21
	v_bfe_u32 v20, v20, 0, s13
	v_lshlrev_b32_e32 v22, 2, v1
	v_lshl_or_b32 v20, v20, 4, v22
	v_mov_b32_e32 v22, 1
	ds_add_u32 v20, v22 offset:4096
	v_mov_b32_e32 v20, 0
.LBB1998_66:
	s_or_b64 exec, exec, s[0:1]
	v_cmp_gt_i32_e64 s[0:1], 10, v20
	s_mov_b64 s[12:13], -1
	s_and_saveexec_b64 s[14:15], s[0:1]
; %bb.67:
	v_cmp_eq_u32_e64 s[0:1], 0, v20
	s_orn2_b64 s[12:13], s[0:1], exec
; %bb.68:
	s_or_b64 exec, exec, s[14:15]
	s_and_b64 exec, exec, s[12:13]
	s_cbranch_execz .LBB1998_76
; %bb.69:
	s_add_i32 s12, s8, 16
	s_cmp_le_u32 s9, s12
	s_cselect_b64 s[0:1], -1, 0
	s_and_b64 s[14:15], s[0:1], exec
	s_cselect_b32 s13, 8, 10
	s_or_b64 s[0:1], s[0:1], vcc
	s_xor_b64 s[14:15], s[0:1], -1
	v_mov_b32_e32 v20, s13
	s_and_saveexec_b64 s[0:1], s[14:15]
	s_cbranch_execz .LBB1998_71
; %bb.70:
	s_sub_i32 s13, s9, s12
	s_min_u32 s13, s13, 8
	v_lshrrev_b32_e32 v20, s12, v21
	v_bfe_u32 v20, v20, 0, s13
	v_lshlrev_b32_e32 v22, 2, v1
	v_lshl_or_b32 v20, v20, 4, v22
	v_mov_b32_e32 v22, 1
	ds_add_u32 v20, v22 offset:8192
	v_mov_b32_e32 v20, 0
.LBB1998_71:
	s_or_b64 exec, exec, s[0:1]
	v_cmp_gt_i32_e64 s[0:1], 10, v20
	s_mov_b64 s[12:13], -1
	s_and_saveexec_b64 s[14:15], s[0:1]
; %bb.72:
	v_cmp_eq_u32_e64 s[0:1], 0, v20
	s_orn2_b64 s[12:13], s[0:1], exec
; %bb.73:
	s_or_b64 exec, exec, s[14:15]
	s_and_b64 exec, exec, s[12:13]
	s_cbranch_execz .LBB1998_76
; %bb.74:
	s_add_i32 s0, s8, 24
	s_cmp_gt_u32 s9, s0
	s_cselect_b64 s[12:13], -1, 0
	s_xor_b64 s[14:15], vcc, -1
	s_and_b64 s[12:13], s[12:13], s[14:15]
	s_and_b64 exec, exec, s[12:13]
	s_cbranch_execz .LBB1998_76
; %bb.75:
	s_sub_i32 s1, s9, s0
	s_min_u32 s1, s1, 8
	v_lshrrev_b32_e32 v20, s0, v21
	v_bfe_u32 v20, v20, 0, s1
	v_lshlrev_b32_e32 v21, 2, v1
	v_lshl_or_b32 v20, v20, 4, v21
	v_mov_b32_e32 v21, 1
	ds_add_u32 v20, v21 offset:12288
.LBB1998_76:
	s_or_b64 exec, exec, s[10:11]
	v_cmp_le_u32_e32 vcc, s16, v18
	s_or_b64 s[0:1], s[4:5], vcc
	v_xor_b32_e32 v19, 0x7fffffff, v19
	s_xor_b64 s[10:11], s[0:1], -1
	v_mov_b32_e32 v18, s17
	s_and_saveexec_b64 s[0:1], s[10:11]
	s_cbranch_execz .LBB1998_78
; %bb.77:
	s_sub_i32 s10, s9, s8
	s_min_u32 s10, s10, 8
	v_lshrrev_b32_e32 v18, s8, v19
	v_bfe_u32 v18, v18, 0, s10
	v_lshlrev_b32_e32 v20, 2, v1
	v_lshl_or_b32 v18, v18, 4, v20
	v_mov_b32_e32 v20, 1
	ds_add_u32 v18, v20
	v_mov_b32_e32 v18, 0
.LBB1998_78:
	s_or_b64 exec, exec, s[0:1]
	v_cmp_gt_i32_e64 s[0:1], 10, v18
	s_mov_b64 s[12:13], -1
	s_and_saveexec_b64 s[10:11], s[0:1]
; %bb.79:
	v_cmp_eq_u32_e64 s[0:1], 0, v18
	s_orn2_b64 s[12:13], s[0:1], exec
; %bb.80:
	s_or_b64 exec, exec, s[10:11]
	s_and_saveexec_b64 s[10:11], s[12:13]
	s_cbranch_execz .LBB1998_93
; %bb.81:
	s_add_i32 s12, s8, 8
	s_cmp_le_u32 s9, s12
	s_cselect_b64 s[0:1], -1, 0
	s_and_b64 s[14:15], s[0:1], exec
	s_cselect_b32 s13, 8, 10
	s_or_b64 s[0:1], s[0:1], vcc
	s_xor_b64 s[14:15], s[0:1], -1
	v_mov_b32_e32 v18, s13
	s_and_saveexec_b64 s[0:1], s[14:15]
	s_cbranch_execz .LBB1998_83
; %bb.82:
	s_sub_i32 s13, s9, s12
	s_min_u32 s13, s13, 8
	v_lshrrev_b32_e32 v18, s12, v19
	v_bfe_u32 v18, v18, 0, s13
	v_lshlrev_b32_e32 v20, 2, v1
	v_lshl_or_b32 v18, v18, 4, v20
	v_mov_b32_e32 v20, 1
	ds_add_u32 v18, v20 offset:4096
	v_mov_b32_e32 v18, 0
.LBB1998_83:
	s_or_b64 exec, exec, s[0:1]
	v_cmp_gt_i32_e64 s[0:1], 10, v18
	s_mov_b64 s[12:13], -1
	s_and_saveexec_b64 s[14:15], s[0:1]
; %bb.84:
	v_cmp_eq_u32_e64 s[0:1], 0, v18
	s_orn2_b64 s[12:13], s[0:1], exec
; %bb.85:
	s_or_b64 exec, exec, s[14:15]
	s_and_b64 exec, exec, s[12:13]
	s_cbranch_execz .LBB1998_93
; %bb.86:
	s_add_i32 s12, s8, 16
	s_cmp_le_u32 s9, s12
	s_cselect_b64 s[0:1], -1, 0
	s_and_b64 s[14:15], s[0:1], exec
	s_cselect_b32 s13, 8, 10
	s_or_b64 s[0:1], s[0:1], vcc
	s_xor_b64 s[14:15], s[0:1], -1
	v_mov_b32_e32 v18, s13
	s_and_saveexec_b64 s[0:1], s[14:15]
	s_cbranch_execz .LBB1998_88
; %bb.87:
	s_sub_i32 s13, s9, s12
	s_min_u32 s13, s13, 8
	v_lshrrev_b32_e32 v18, s12, v19
	v_bfe_u32 v18, v18, 0, s13
	v_lshlrev_b32_e32 v20, 2, v1
	v_lshl_or_b32 v18, v18, 4, v20
	v_mov_b32_e32 v20, 1
	ds_add_u32 v18, v20 offset:8192
	v_mov_b32_e32 v18, 0
.LBB1998_88:
	s_or_b64 exec, exec, s[0:1]
	v_cmp_gt_i32_e64 s[0:1], 10, v18
	s_mov_b64 s[12:13], -1
	s_and_saveexec_b64 s[14:15], s[0:1]
; %bb.89:
	v_cmp_eq_u32_e64 s[0:1], 0, v18
	s_orn2_b64 s[12:13], s[0:1], exec
; %bb.90:
	s_or_b64 exec, exec, s[14:15]
	s_and_b64 exec, exec, s[12:13]
	s_cbranch_execz .LBB1998_93
; %bb.91:
	s_add_i32 s0, s8, 24
	s_cmp_gt_u32 s9, s0
	s_cselect_b64 s[12:13], -1, 0
	s_xor_b64 s[14:15], vcc, -1
	s_and_b64 s[12:13], s[12:13], s[14:15]
	s_and_b64 exec, exec, s[12:13]
	s_cbranch_execz .LBB1998_93
; %bb.92:
	s_sub_i32 s1, s9, s0
	s_min_u32 s1, s1, 8
	v_lshrrev_b32_e32 v18, s0, v19
	v_bfe_u32 v18, v18, 0, s1
	v_lshlrev_b32_e32 v19, 2, v1
	v_lshl_or_b32 v18, v18, 4, v19
	v_mov_b32_e32 v19, 1
	ds_add_u32 v18, v19 offset:12288
.LBB1998_93:
	s_or_b64 exec, exec, s[10:11]
	v_cmp_le_u32_e32 vcc, s16, v16
	s_or_b64 s[0:1], s[4:5], vcc
	v_xor_b32_e32 v17, 0x7fffffff, v17
	s_xor_b64 s[10:11], s[0:1], -1
	v_mov_b32_e32 v16, s17
	s_and_saveexec_b64 s[0:1], s[10:11]
	s_cbranch_execz .LBB1998_95
; %bb.94:
	s_sub_i32 s10, s9, s8
	s_min_u32 s10, s10, 8
	v_lshrrev_b32_e32 v16, s8, v17
	v_bfe_u32 v16, v16, 0, s10
	v_lshlrev_b32_e32 v18, 2, v1
	v_lshl_or_b32 v16, v16, 4, v18
	v_mov_b32_e32 v18, 1
	ds_add_u32 v16, v18
	v_mov_b32_e32 v16, 0
.LBB1998_95:
	s_or_b64 exec, exec, s[0:1]
	v_cmp_gt_i32_e64 s[0:1], 10, v16
	s_mov_b64 s[12:13], -1
	s_and_saveexec_b64 s[10:11], s[0:1]
; %bb.96:
	v_cmp_eq_u32_e64 s[0:1], 0, v16
	s_orn2_b64 s[12:13], s[0:1], exec
; %bb.97:
	s_or_b64 exec, exec, s[10:11]
	s_and_saveexec_b64 s[10:11], s[12:13]
	s_cbranch_execz .LBB1998_110
; %bb.98:
	s_add_i32 s12, s8, 8
	s_cmp_le_u32 s9, s12
	s_cselect_b64 s[0:1], -1, 0
	s_and_b64 s[14:15], s[0:1], exec
	s_cselect_b32 s13, 8, 10
	s_or_b64 s[0:1], s[0:1], vcc
	s_xor_b64 s[14:15], s[0:1], -1
	v_mov_b32_e32 v16, s13
	s_and_saveexec_b64 s[0:1], s[14:15]
	s_cbranch_execz .LBB1998_100
; %bb.99:
	s_sub_i32 s13, s9, s12
	s_min_u32 s13, s13, 8
	v_lshrrev_b32_e32 v16, s12, v17
	v_bfe_u32 v16, v16, 0, s13
	v_lshlrev_b32_e32 v18, 2, v1
	v_lshl_or_b32 v16, v16, 4, v18
	v_mov_b32_e32 v18, 1
	ds_add_u32 v16, v18 offset:4096
	v_mov_b32_e32 v16, 0
.LBB1998_100:
	s_or_b64 exec, exec, s[0:1]
	v_cmp_gt_i32_e64 s[0:1], 10, v16
	s_mov_b64 s[12:13], -1
	s_and_saveexec_b64 s[14:15], s[0:1]
; %bb.101:
	v_cmp_eq_u32_e64 s[0:1], 0, v16
	s_orn2_b64 s[12:13], s[0:1], exec
; %bb.102:
	s_or_b64 exec, exec, s[14:15]
	s_and_b64 exec, exec, s[12:13]
	s_cbranch_execz .LBB1998_110
; %bb.103:
	s_add_i32 s12, s8, 16
	s_cmp_le_u32 s9, s12
	s_cselect_b64 s[0:1], -1, 0
	s_and_b64 s[14:15], s[0:1], exec
	s_cselect_b32 s13, 8, 10
	s_or_b64 s[0:1], s[0:1], vcc
	s_xor_b64 s[14:15], s[0:1], -1
	v_mov_b32_e32 v16, s13
	s_and_saveexec_b64 s[0:1], s[14:15]
	s_cbranch_execz .LBB1998_105
; %bb.104:
	s_sub_i32 s13, s9, s12
	s_min_u32 s13, s13, 8
	v_lshrrev_b32_e32 v16, s12, v17
	v_bfe_u32 v16, v16, 0, s13
	v_lshlrev_b32_e32 v18, 2, v1
	v_lshl_or_b32 v16, v16, 4, v18
	v_mov_b32_e32 v18, 1
	ds_add_u32 v16, v18 offset:8192
	v_mov_b32_e32 v16, 0
.LBB1998_105:
	s_or_b64 exec, exec, s[0:1]
	v_cmp_gt_i32_e64 s[0:1], 10, v16
	s_mov_b64 s[12:13], -1
	s_and_saveexec_b64 s[14:15], s[0:1]
; %bb.106:
	v_cmp_eq_u32_e64 s[0:1], 0, v16
	s_orn2_b64 s[12:13], s[0:1], exec
; %bb.107:
	s_or_b64 exec, exec, s[14:15]
	s_and_b64 exec, exec, s[12:13]
	s_cbranch_execz .LBB1998_110
; %bb.108:
	s_add_i32 s0, s8, 24
	s_cmp_gt_u32 s9, s0
	s_cselect_b64 s[12:13], -1, 0
	s_xor_b64 s[14:15], vcc, -1
	s_and_b64 s[12:13], s[12:13], s[14:15]
	s_and_b64 exec, exec, s[12:13]
	s_cbranch_execz .LBB1998_110
; %bb.109:
	s_sub_i32 s1, s9, s0
	s_min_u32 s1, s1, 8
	v_lshrrev_b32_e32 v16, s0, v17
	v_bfe_u32 v16, v16, 0, s1
	v_lshlrev_b32_e32 v17, 2, v1
	v_lshl_or_b32 v16, v16, 4, v17
	v_mov_b32_e32 v17, 1
	ds_add_u32 v16, v17 offset:12288
.LBB1998_110:
	s_or_b64 exec, exec, s[10:11]
	v_cmp_le_u32_e32 vcc, s16, v14
	s_or_b64 s[0:1], s[4:5], vcc
	v_xor_b32_e32 v15, 0x7fffffff, v15
	s_xor_b64 s[10:11], s[0:1], -1
	v_mov_b32_e32 v14, s17
	s_and_saveexec_b64 s[0:1], s[10:11]
	s_cbranch_execz .LBB1998_112
; %bb.111:
	s_sub_i32 s10, s9, s8
	s_min_u32 s10, s10, 8
	v_lshrrev_b32_e32 v14, s8, v15
	v_bfe_u32 v14, v14, 0, s10
	v_lshlrev_b32_e32 v16, 2, v1
	v_lshl_or_b32 v14, v14, 4, v16
	v_mov_b32_e32 v16, 1
	ds_add_u32 v14, v16
	v_mov_b32_e32 v14, 0
.LBB1998_112:
	s_or_b64 exec, exec, s[0:1]
	v_cmp_gt_i32_e64 s[0:1], 10, v14
	s_mov_b64 s[12:13], -1
	s_and_saveexec_b64 s[10:11], s[0:1]
; %bb.113:
	v_cmp_eq_u32_e64 s[0:1], 0, v14
	s_orn2_b64 s[12:13], s[0:1], exec
; %bb.114:
	s_or_b64 exec, exec, s[10:11]
	s_and_saveexec_b64 s[10:11], s[12:13]
	s_cbranch_execz .LBB1998_127
; %bb.115:
	s_add_i32 s12, s8, 8
	s_cmp_le_u32 s9, s12
	s_cselect_b64 s[0:1], -1, 0
	s_and_b64 s[14:15], s[0:1], exec
	s_cselect_b32 s13, 8, 10
	s_or_b64 s[0:1], s[0:1], vcc
	s_xor_b64 s[14:15], s[0:1], -1
	v_mov_b32_e32 v14, s13
	s_and_saveexec_b64 s[0:1], s[14:15]
	s_cbranch_execz .LBB1998_117
; %bb.116:
	s_sub_i32 s13, s9, s12
	s_min_u32 s13, s13, 8
	v_lshrrev_b32_e32 v14, s12, v15
	v_bfe_u32 v14, v14, 0, s13
	v_lshlrev_b32_e32 v16, 2, v1
	v_lshl_or_b32 v14, v14, 4, v16
	v_mov_b32_e32 v16, 1
	ds_add_u32 v14, v16 offset:4096
	v_mov_b32_e32 v14, 0
.LBB1998_117:
	s_or_b64 exec, exec, s[0:1]
	v_cmp_gt_i32_e64 s[0:1], 10, v14
	s_mov_b64 s[12:13], -1
	s_and_saveexec_b64 s[14:15], s[0:1]
; %bb.118:
	v_cmp_eq_u32_e64 s[0:1], 0, v14
	s_orn2_b64 s[12:13], s[0:1], exec
; %bb.119:
	s_or_b64 exec, exec, s[14:15]
	s_and_b64 exec, exec, s[12:13]
	s_cbranch_execz .LBB1998_127
; %bb.120:
	s_add_i32 s12, s8, 16
	s_cmp_le_u32 s9, s12
	s_cselect_b64 s[0:1], -1, 0
	s_and_b64 s[14:15], s[0:1], exec
	s_cselect_b32 s13, 8, 10
	s_or_b64 s[0:1], s[0:1], vcc
	s_xor_b64 s[14:15], s[0:1], -1
	v_mov_b32_e32 v14, s13
	s_and_saveexec_b64 s[0:1], s[14:15]
	s_cbranch_execz .LBB1998_122
; %bb.121:
	s_sub_i32 s13, s9, s12
	s_min_u32 s13, s13, 8
	v_lshrrev_b32_e32 v14, s12, v15
	v_bfe_u32 v14, v14, 0, s13
	v_lshlrev_b32_e32 v16, 2, v1
	v_lshl_or_b32 v14, v14, 4, v16
	v_mov_b32_e32 v16, 1
	ds_add_u32 v14, v16 offset:8192
	v_mov_b32_e32 v14, 0
.LBB1998_122:
	s_or_b64 exec, exec, s[0:1]
	v_cmp_gt_i32_e64 s[0:1], 10, v14
	s_mov_b64 s[12:13], -1
	s_and_saveexec_b64 s[14:15], s[0:1]
; %bb.123:
	v_cmp_eq_u32_e64 s[0:1], 0, v14
	s_orn2_b64 s[12:13], s[0:1], exec
; %bb.124:
	s_or_b64 exec, exec, s[14:15]
	s_and_b64 exec, exec, s[12:13]
	s_cbranch_execz .LBB1998_127
; %bb.125:
	s_add_i32 s0, s8, 24
	s_cmp_gt_u32 s9, s0
	s_cselect_b64 s[12:13], -1, 0
	s_xor_b64 s[14:15], vcc, -1
	s_and_b64 s[12:13], s[12:13], s[14:15]
	s_and_b64 exec, exec, s[12:13]
	s_cbranch_execz .LBB1998_127
; %bb.126:
	s_sub_i32 s1, s9, s0
	s_min_u32 s1, s1, 8
	v_lshrrev_b32_e32 v14, s0, v15
	v_bfe_u32 v14, v14, 0, s1
	v_lshlrev_b32_e32 v15, 2, v1
	v_lshl_or_b32 v14, v14, 4, v15
	v_mov_b32_e32 v15, 1
	ds_add_u32 v14, v15 offset:12288
.LBB1998_127:
	s_or_b64 exec, exec, s[10:11]
	v_cmp_le_u32_e32 vcc, s16, v12
	s_or_b64 s[0:1], s[4:5], vcc
	v_xor_b32_e32 v13, 0x7fffffff, v13
	s_xor_b64 s[10:11], s[0:1], -1
	v_mov_b32_e32 v12, s17
	s_and_saveexec_b64 s[0:1], s[10:11]
	s_cbranch_execz .LBB1998_129
; %bb.128:
	s_sub_i32 s10, s9, s8
	s_min_u32 s10, s10, 8
	v_lshrrev_b32_e32 v12, s8, v13
	v_bfe_u32 v12, v12, 0, s10
	v_lshlrev_b32_e32 v14, 2, v1
	v_lshl_or_b32 v12, v12, 4, v14
	v_mov_b32_e32 v14, 1
	ds_add_u32 v12, v14
	v_mov_b32_e32 v12, 0
.LBB1998_129:
	s_or_b64 exec, exec, s[0:1]
	v_cmp_gt_i32_e64 s[0:1], 10, v12
	s_mov_b64 s[12:13], -1
	s_and_saveexec_b64 s[10:11], s[0:1]
; %bb.130:
	v_cmp_eq_u32_e64 s[0:1], 0, v12
	s_orn2_b64 s[12:13], s[0:1], exec
; %bb.131:
	s_or_b64 exec, exec, s[10:11]
	s_and_saveexec_b64 s[10:11], s[12:13]
	s_cbranch_execz .LBB1998_144
; %bb.132:
	s_add_i32 s12, s8, 8
	s_cmp_le_u32 s9, s12
	s_cselect_b64 s[0:1], -1, 0
	s_and_b64 s[14:15], s[0:1], exec
	s_cselect_b32 s13, 8, 10
	s_or_b64 s[0:1], s[0:1], vcc
	s_xor_b64 s[14:15], s[0:1], -1
	v_mov_b32_e32 v12, s13
	s_and_saveexec_b64 s[0:1], s[14:15]
	s_cbranch_execz .LBB1998_134
; %bb.133:
	s_sub_i32 s13, s9, s12
	s_min_u32 s13, s13, 8
	v_lshrrev_b32_e32 v12, s12, v13
	v_bfe_u32 v12, v12, 0, s13
	v_lshlrev_b32_e32 v14, 2, v1
	v_lshl_or_b32 v12, v12, 4, v14
	v_mov_b32_e32 v14, 1
	ds_add_u32 v12, v14 offset:4096
	v_mov_b32_e32 v12, 0
.LBB1998_134:
	s_or_b64 exec, exec, s[0:1]
	v_cmp_gt_i32_e64 s[0:1], 10, v12
	s_mov_b64 s[12:13], -1
	s_and_saveexec_b64 s[14:15], s[0:1]
; %bb.135:
	v_cmp_eq_u32_e64 s[0:1], 0, v12
	s_orn2_b64 s[12:13], s[0:1], exec
; %bb.136:
	s_or_b64 exec, exec, s[14:15]
	s_and_b64 exec, exec, s[12:13]
	s_cbranch_execz .LBB1998_144
; %bb.137:
	s_add_i32 s12, s8, 16
	s_cmp_le_u32 s9, s12
	s_cselect_b64 s[0:1], -1, 0
	s_and_b64 s[14:15], s[0:1], exec
	s_cselect_b32 s13, 8, 10
	s_or_b64 s[0:1], s[0:1], vcc
	s_xor_b64 s[14:15], s[0:1], -1
	v_mov_b32_e32 v12, s13
	s_and_saveexec_b64 s[0:1], s[14:15]
	s_cbranch_execz .LBB1998_139
; %bb.138:
	s_sub_i32 s13, s9, s12
	s_min_u32 s13, s13, 8
	v_lshrrev_b32_e32 v12, s12, v13
	v_bfe_u32 v12, v12, 0, s13
	v_lshlrev_b32_e32 v14, 2, v1
	v_lshl_or_b32 v12, v12, 4, v14
	v_mov_b32_e32 v14, 1
	ds_add_u32 v12, v14 offset:8192
	v_mov_b32_e32 v12, 0
.LBB1998_139:
	s_or_b64 exec, exec, s[0:1]
	v_cmp_gt_i32_e64 s[0:1], 10, v12
	s_mov_b64 s[12:13], -1
	s_and_saveexec_b64 s[14:15], s[0:1]
; %bb.140:
	v_cmp_eq_u32_e64 s[0:1], 0, v12
	s_orn2_b64 s[12:13], s[0:1], exec
; %bb.141:
	s_or_b64 exec, exec, s[14:15]
	s_and_b64 exec, exec, s[12:13]
	s_cbranch_execz .LBB1998_144
; %bb.142:
	s_add_i32 s0, s8, 24
	s_cmp_gt_u32 s9, s0
	s_cselect_b64 s[12:13], -1, 0
	s_xor_b64 s[14:15], vcc, -1
	s_and_b64 s[12:13], s[12:13], s[14:15]
	s_and_b64 exec, exec, s[12:13]
	s_cbranch_execz .LBB1998_144
; %bb.143:
	s_sub_i32 s1, s9, s0
	s_min_u32 s1, s1, 8
	v_lshrrev_b32_e32 v12, s0, v13
	v_bfe_u32 v12, v12, 0, s1
	v_lshlrev_b32_e32 v13, 2, v1
	v_lshl_or_b32 v12, v12, 4, v13
	v_mov_b32_e32 v13, 1
	ds_add_u32 v12, v13 offset:12288
.LBB1998_144:
	s_or_b64 exec, exec, s[10:11]
	v_cmp_le_u32_e32 vcc, s16, v10
	s_or_b64 s[0:1], s[4:5], vcc
	v_xor_b32_e32 v11, 0x7fffffff, v11
	s_xor_b64 s[10:11], s[0:1], -1
	v_mov_b32_e32 v10, s17
	s_and_saveexec_b64 s[0:1], s[10:11]
	s_cbranch_execz .LBB1998_146
; %bb.145:
	s_sub_i32 s10, s9, s8
	s_min_u32 s10, s10, 8
	v_lshrrev_b32_e32 v10, s8, v11
	v_bfe_u32 v10, v10, 0, s10
	v_lshlrev_b32_e32 v12, 2, v1
	v_lshl_or_b32 v10, v10, 4, v12
	v_mov_b32_e32 v12, 1
	ds_add_u32 v10, v12
	v_mov_b32_e32 v10, 0
.LBB1998_146:
	s_or_b64 exec, exec, s[0:1]
	v_cmp_gt_i32_e64 s[0:1], 10, v10
	s_mov_b64 s[12:13], -1
	s_and_saveexec_b64 s[10:11], s[0:1]
; %bb.147:
	v_cmp_eq_u32_e64 s[0:1], 0, v10
	s_orn2_b64 s[12:13], s[0:1], exec
; %bb.148:
	s_or_b64 exec, exec, s[10:11]
	s_and_saveexec_b64 s[10:11], s[12:13]
	s_cbranch_execz .LBB1998_161
; %bb.149:
	s_add_i32 s12, s8, 8
	s_cmp_le_u32 s9, s12
	s_cselect_b64 s[0:1], -1, 0
	s_and_b64 s[14:15], s[0:1], exec
	s_cselect_b32 s13, 8, 10
	s_or_b64 s[0:1], s[0:1], vcc
	s_xor_b64 s[14:15], s[0:1], -1
	v_mov_b32_e32 v10, s13
	s_and_saveexec_b64 s[0:1], s[14:15]
	s_cbranch_execz .LBB1998_151
; %bb.150:
	s_sub_i32 s13, s9, s12
	s_min_u32 s13, s13, 8
	v_lshrrev_b32_e32 v10, s12, v11
	v_bfe_u32 v10, v10, 0, s13
	v_lshlrev_b32_e32 v12, 2, v1
	v_lshl_or_b32 v10, v10, 4, v12
	v_mov_b32_e32 v12, 1
	ds_add_u32 v10, v12 offset:4096
	v_mov_b32_e32 v10, 0
.LBB1998_151:
	s_or_b64 exec, exec, s[0:1]
	v_cmp_gt_i32_e64 s[0:1], 10, v10
	s_mov_b64 s[12:13], -1
	s_and_saveexec_b64 s[14:15], s[0:1]
; %bb.152:
	v_cmp_eq_u32_e64 s[0:1], 0, v10
	s_orn2_b64 s[12:13], s[0:1], exec
; %bb.153:
	s_or_b64 exec, exec, s[14:15]
	s_and_b64 exec, exec, s[12:13]
	s_cbranch_execz .LBB1998_161
; %bb.154:
	s_add_i32 s12, s8, 16
	s_cmp_le_u32 s9, s12
	s_cselect_b64 s[0:1], -1, 0
	s_and_b64 s[14:15], s[0:1], exec
	s_cselect_b32 s13, 8, 10
	s_or_b64 s[0:1], s[0:1], vcc
	s_xor_b64 s[14:15], s[0:1], -1
	v_mov_b32_e32 v10, s13
	s_and_saveexec_b64 s[0:1], s[14:15]
	s_cbranch_execz .LBB1998_156
; %bb.155:
	s_sub_i32 s13, s9, s12
	s_min_u32 s13, s13, 8
	v_lshrrev_b32_e32 v10, s12, v11
	v_bfe_u32 v10, v10, 0, s13
	v_lshlrev_b32_e32 v12, 2, v1
	v_lshl_or_b32 v10, v10, 4, v12
	v_mov_b32_e32 v12, 1
	ds_add_u32 v10, v12 offset:8192
	v_mov_b32_e32 v10, 0
.LBB1998_156:
	s_or_b64 exec, exec, s[0:1]
	v_cmp_gt_i32_e64 s[0:1], 10, v10
	s_mov_b64 s[12:13], -1
	s_and_saveexec_b64 s[14:15], s[0:1]
; %bb.157:
	v_cmp_eq_u32_e64 s[0:1], 0, v10
	s_orn2_b64 s[12:13], s[0:1], exec
; %bb.158:
	s_or_b64 exec, exec, s[14:15]
	s_and_b64 exec, exec, s[12:13]
	s_cbranch_execz .LBB1998_161
; %bb.159:
	s_add_i32 s0, s8, 24
	s_cmp_gt_u32 s9, s0
	s_cselect_b64 s[12:13], -1, 0
	s_xor_b64 s[14:15], vcc, -1
	s_and_b64 s[12:13], s[12:13], s[14:15]
	s_and_b64 exec, exec, s[12:13]
	s_cbranch_execz .LBB1998_161
; %bb.160:
	s_sub_i32 s1, s9, s0
	s_min_u32 s1, s1, 8
	v_lshrrev_b32_e32 v10, s0, v11
	v_bfe_u32 v10, v10, 0, s1
	v_lshlrev_b32_e32 v11, 2, v1
	v_lshl_or_b32 v10, v10, 4, v11
	v_mov_b32_e32 v11, 1
	ds_add_u32 v10, v11 offset:12288
.LBB1998_161:
	s_or_b64 exec, exec, s[10:11]
	v_cmp_le_u32_e32 vcc, s16, v8
	s_or_b64 s[0:1], s[4:5], vcc
	v_xor_b32_e32 v9, 0x7fffffff, v9
	s_xor_b64 s[10:11], s[0:1], -1
	v_mov_b32_e32 v8, s17
	s_and_saveexec_b64 s[0:1], s[10:11]
	s_cbranch_execz .LBB1998_163
; %bb.162:
	s_sub_i32 s10, s9, s8
	s_min_u32 s10, s10, 8
	v_lshrrev_b32_e32 v8, s8, v9
	v_bfe_u32 v8, v8, 0, s10
	v_lshlrev_b32_e32 v10, 2, v1
	v_lshl_or_b32 v8, v8, 4, v10
	v_mov_b32_e32 v10, 1
	ds_add_u32 v8, v10
	v_mov_b32_e32 v8, 0
.LBB1998_163:
	s_or_b64 exec, exec, s[0:1]
	v_cmp_gt_i32_e64 s[0:1], 10, v8
	s_mov_b64 s[12:13], -1
	s_and_saveexec_b64 s[10:11], s[0:1]
; %bb.164:
	v_cmp_eq_u32_e64 s[0:1], 0, v8
	s_orn2_b64 s[12:13], s[0:1], exec
; %bb.165:
	s_or_b64 exec, exec, s[10:11]
	s_and_saveexec_b64 s[10:11], s[12:13]
	s_cbranch_execz .LBB1998_178
; %bb.166:
	s_add_i32 s12, s8, 8
	s_cmp_le_u32 s9, s12
	s_cselect_b64 s[0:1], -1, 0
	s_and_b64 s[14:15], s[0:1], exec
	s_cselect_b32 s13, 8, 10
	s_or_b64 s[0:1], s[0:1], vcc
	s_xor_b64 s[14:15], s[0:1], -1
	v_mov_b32_e32 v8, s13
	s_and_saveexec_b64 s[0:1], s[14:15]
	s_cbranch_execz .LBB1998_168
; %bb.167:
	s_sub_i32 s13, s9, s12
	s_min_u32 s13, s13, 8
	v_lshrrev_b32_e32 v8, s12, v9
	v_bfe_u32 v8, v8, 0, s13
	v_lshlrev_b32_e32 v10, 2, v1
	v_lshl_or_b32 v8, v8, 4, v10
	v_mov_b32_e32 v10, 1
	ds_add_u32 v8, v10 offset:4096
	v_mov_b32_e32 v8, 0
.LBB1998_168:
	s_or_b64 exec, exec, s[0:1]
	v_cmp_gt_i32_e64 s[0:1], 10, v8
	s_mov_b64 s[12:13], -1
	s_and_saveexec_b64 s[14:15], s[0:1]
; %bb.169:
	v_cmp_eq_u32_e64 s[0:1], 0, v8
	s_orn2_b64 s[12:13], s[0:1], exec
; %bb.170:
	s_or_b64 exec, exec, s[14:15]
	s_and_b64 exec, exec, s[12:13]
	s_cbranch_execz .LBB1998_178
; %bb.171:
	s_add_i32 s12, s8, 16
	s_cmp_le_u32 s9, s12
	s_cselect_b64 s[0:1], -1, 0
	s_and_b64 s[14:15], s[0:1], exec
	s_cselect_b32 s13, 8, 10
	s_or_b64 s[0:1], s[0:1], vcc
	s_xor_b64 s[14:15], s[0:1], -1
	v_mov_b32_e32 v8, s13
	s_and_saveexec_b64 s[0:1], s[14:15]
	s_cbranch_execz .LBB1998_173
; %bb.172:
	s_sub_i32 s13, s9, s12
	s_min_u32 s13, s13, 8
	v_lshrrev_b32_e32 v8, s12, v9
	v_bfe_u32 v8, v8, 0, s13
	v_lshlrev_b32_e32 v10, 2, v1
	v_lshl_or_b32 v8, v8, 4, v10
	v_mov_b32_e32 v10, 1
	ds_add_u32 v8, v10 offset:8192
	v_mov_b32_e32 v8, 0
.LBB1998_173:
	s_or_b64 exec, exec, s[0:1]
	v_cmp_gt_i32_e64 s[0:1], 10, v8
	s_mov_b64 s[12:13], -1
	s_and_saveexec_b64 s[14:15], s[0:1]
; %bb.174:
	v_cmp_eq_u32_e64 s[0:1], 0, v8
	s_orn2_b64 s[12:13], s[0:1], exec
; %bb.175:
	s_or_b64 exec, exec, s[14:15]
	s_and_b64 exec, exec, s[12:13]
	s_cbranch_execz .LBB1998_178
; %bb.176:
	s_add_i32 s0, s8, 24
	s_cmp_gt_u32 s9, s0
	s_cselect_b64 s[12:13], -1, 0
	s_xor_b64 s[14:15], vcc, -1
	s_and_b64 s[12:13], s[12:13], s[14:15]
	s_and_b64 exec, exec, s[12:13]
	s_cbranch_execz .LBB1998_178
; %bb.177:
	s_sub_i32 s1, s9, s0
	s_min_u32 s1, s1, 8
	v_lshrrev_b32_e32 v8, s0, v9
	v_bfe_u32 v8, v8, 0, s1
	v_lshlrev_b32_e32 v9, 2, v1
	v_lshl_or_b32 v8, v8, 4, v9
	v_mov_b32_e32 v9, 1
	ds_add_u32 v8, v9 offset:12288
.LBB1998_178:
	s_or_b64 exec, exec, s[10:11]
	v_cmp_le_u32_e32 vcc, s16, v6
	s_or_b64 s[0:1], s[4:5], vcc
	v_xor_b32_e32 v7, 0x7fffffff, v7
	s_xor_b64 s[10:11], s[0:1], -1
	v_mov_b32_e32 v6, s17
	s_and_saveexec_b64 s[0:1], s[10:11]
	s_cbranch_execz .LBB1998_180
; %bb.179:
	s_sub_i32 s10, s9, s8
	s_min_u32 s10, s10, 8
	v_lshrrev_b32_e32 v6, s8, v7
	v_bfe_u32 v6, v6, 0, s10
	v_lshlrev_b32_e32 v8, 2, v1
	v_lshl_or_b32 v6, v6, 4, v8
	v_mov_b32_e32 v8, 1
	ds_add_u32 v6, v8
	v_mov_b32_e32 v6, 0
.LBB1998_180:
	s_or_b64 exec, exec, s[0:1]
	v_cmp_gt_i32_e64 s[0:1], 10, v6
	s_mov_b64 s[12:13], -1
	s_and_saveexec_b64 s[10:11], s[0:1]
; %bb.181:
	v_cmp_eq_u32_e64 s[0:1], 0, v6
	s_orn2_b64 s[12:13], s[0:1], exec
; %bb.182:
	s_or_b64 exec, exec, s[10:11]
	s_and_saveexec_b64 s[10:11], s[12:13]
	s_cbranch_execz .LBB1998_195
; %bb.183:
	s_add_i32 s12, s8, 8
	s_cmp_le_u32 s9, s12
	s_cselect_b64 s[0:1], -1, 0
	s_and_b64 s[14:15], s[0:1], exec
	s_cselect_b32 s13, 8, 10
	s_or_b64 s[0:1], s[0:1], vcc
	s_xor_b64 s[14:15], s[0:1], -1
	v_mov_b32_e32 v6, s13
	s_and_saveexec_b64 s[0:1], s[14:15]
	s_cbranch_execz .LBB1998_185
; %bb.184:
	s_sub_i32 s13, s9, s12
	s_min_u32 s13, s13, 8
	v_lshrrev_b32_e32 v6, s12, v7
	v_bfe_u32 v6, v6, 0, s13
	v_lshlrev_b32_e32 v8, 2, v1
	v_lshl_or_b32 v6, v6, 4, v8
	v_mov_b32_e32 v8, 1
	ds_add_u32 v6, v8 offset:4096
	v_mov_b32_e32 v6, 0
.LBB1998_185:
	s_or_b64 exec, exec, s[0:1]
	v_cmp_gt_i32_e64 s[0:1], 10, v6
	s_mov_b64 s[12:13], -1
	s_and_saveexec_b64 s[14:15], s[0:1]
; %bb.186:
	v_cmp_eq_u32_e64 s[0:1], 0, v6
	s_orn2_b64 s[12:13], s[0:1], exec
; %bb.187:
	s_or_b64 exec, exec, s[14:15]
	s_and_b64 exec, exec, s[12:13]
	s_cbranch_execz .LBB1998_195
; %bb.188:
	s_add_i32 s12, s8, 16
	s_cmp_le_u32 s9, s12
	s_cselect_b64 s[0:1], -1, 0
	s_and_b64 s[14:15], s[0:1], exec
	s_cselect_b32 s13, 8, 10
	s_or_b64 s[0:1], s[0:1], vcc
	s_xor_b64 s[14:15], s[0:1], -1
	v_mov_b32_e32 v6, s13
	s_and_saveexec_b64 s[0:1], s[14:15]
	s_cbranch_execz .LBB1998_190
; %bb.189:
	s_sub_i32 s13, s9, s12
	s_min_u32 s13, s13, 8
	v_lshrrev_b32_e32 v6, s12, v7
	v_bfe_u32 v6, v6, 0, s13
	v_lshlrev_b32_e32 v8, 2, v1
	v_lshl_or_b32 v6, v6, 4, v8
	v_mov_b32_e32 v8, 1
	ds_add_u32 v6, v8 offset:8192
	v_mov_b32_e32 v6, 0
.LBB1998_190:
	s_or_b64 exec, exec, s[0:1]
	v_cmp_gt_i32_e64 s[0:1], 10, v6
	s_mov_b64 s[12:13], -1
	s_and_saveexec_b64 s[14:15], s[0:1]
; %bb.191:
	v_cmp_eq_u32_e64 s[0:1], 0, v6
	s_orn2_b64 s[12:13], s[0:1], exec
; %bb.192:
	s_or_b64 exec, exec, s[14:15]
	s_and_b64 exec, exec, s[12:13]
	s_cbranch_execz .LBB1998_195
; %bb.193:
	s_add_i32 s0, s8, 24
	s_cmp_gt_u32 s9, s0
	s_cselect_b64 s[12:13], -1, 0
	s_xor_b64 s[14:15], vcc, -1
	s_and_b64 s[12:13], s[12:13], s[14:15]
	s_and_b64 exec, exec, s[12:13]
	s_cbranch_execz .LBB1998_195
; %bb.194:
	s_sub_i32 s1, s9, s0
	s_min_u32 s1, s1, 8
	v_lshrrev_b32_e32 v6, s0, v7
	v_bfe_u32 v6, v6, 0, s1
	v_lshlrev_b32_e32 v7, 2, v1
	v_lshl_or_b32 v6, v6, 4, v7
	v_mov_b32_e32 v7, 1
	ds_add_u32 v6, v7 offset:12288
.LBB1998_195:
	s_or_b64 exec, exec, s[10:11]
	v_cmp_le_u32_e32 vcc, s16, v4
	s_or_b64 s[0:1], s[4:5], vcc
	v_xor_b32_e32 v5, 0x7fffffff, v5
	s_xor_b64 s[10:11], s[0:1], -1
	v_mov_b32_e32 v4, s17
	s_and_saveexec_b64 s[0:1], s[10:11]
	s_cbranch_execz .LBB1998_197
; %bb.196:
	s_sub_i32 s10, s9, s8
	s_min_u32 s10, s10, 8
	v_lshrrev_b32_e32 v4, s8, v5
	v_bfe_u32 v4, v4, 0, s10
	v_lshlrev_b32_e32 v6, 2, v1
	v_lshl_or_b32 v4, v4, 4, v6
	v_mov_b32_e32 v6, 1
	ds_add_u32 v4, v6
	v_mov_b32_e32 v4, 0
.LBB1998_197:
	s_or_b64 exec, exec, s[0:1]
	v_cmp_gt_i32_e64 s[0:1], 10, v4
	s_mov_b64 s[12:13], -1
	s_and_saveexec_b64 s[10:11], s[0:1]
; %bb.198:
	v_cmp_eq_u32_e64 s[0:1], 0, v4
	s_orn2_b64 s[12:13], s[0:1], exec
; %bb.199:
	s_or_b64 exec, exec, s[10:11]
	s_and_saveexec_b64 s[10:11], s[12:13]
	s_cbranch_execz .LBB1998_212
; %bb.200:
	s_add_i32 s12, s8, 8
	s_cmp_le_u32 s9, s12
	s_cselect_b64 s[0:1], -1, 0
	s_and_b64 s[14:15], s[0:1], exec
	s_cselect_b32 s13, 8, 10
	s_or_b64 s[0:1], s[0:1], vcc
	s_xor_b64 s[14:15], s[0:1], -1
	v_mov_b32_e32 v4, s13
	s_and_saveexec_b64 s[0:1], s[14:15]
	s_cbranch_execz .LBB1998_202
; %bb.201:
	s_sub_i32 s13, s9, s12
	s_min_u32 s13, s13, 8
	v_lshrrev_b32_e32 v4, s12, v5
	v_bfe_u32 v4, v4, 0, s13
	v_lshlrev_b32_e32 v6, 2, v1
	v_lshl_or_b32 v4, v4, 4, v6
	v_mov_b32_e32 v6, 1
	ds_add_u32 v4, v6 offset:4096
	v_mov_b32_e32 v4, 0
.LBB1998_202:
	s_or_b64 exec, exec, s[0:1]
	v_cmp_gt_i32_e64 s[0:1], 10, v4
	s_mov_b64 s[12:13], -1
	s_and_saveexec_b64 s[14:15], s[0:1]
; %bb.203:
	v_cmp_eq_u32_e64 s[0:1], 0, v4
	s_orn2_b64 s[12:13], s[0:1], exec
; %bb.204:
	s_or_b64 exec, exec, s[14:15]
	s_and_b64 exec, exec, s[12:13]
	s_cbranch_execz .LBB1998_212
; %bb.205:
	s_add_i32 s12, s8, 16
	s_cmp_le_u32 s9, s12
	s_cselect_b64 s[0:1], -1, 0
	s_and_b64 s[14:15], s[0:1], exec
	s_cselect_b32 s13, 8, 10
	s_or_b64 s[0:1], s[0:1], vcc
	s_xor_b64 s[14:15], s[0:1], -1
	v_mov_b32_e32 v4, s13
	s_and_saveexec_b64 s[0:1], s[14:15]
	s_cbranch_execz .LBB1998_207
; %bb.206:
	s_sub_i32 s13, s9, s12
	s_min_u32 s13, s13, 8
	v_lshrrev_b32_e32 v4, s12, v5
	v_bfe_u32 v4, v4, 0, s13
	v_lshlrev_b32_e32 v6, 2, v1
	v_lshl_or_b32 v4, v4, 4, v6
	v_mov_b32_e32 v6, 1
	ds_add_u32 v4, v6 offset:8192
	v_mov_b32_e32 v4, 0
.LBB1998_207:
	s_or_b64 exec, exec, s[0:1]
	v_cmp_gt_i32_e64 s[0:1], 10, v4
	s_mov_b64 s[12:13], -1
	s_and_saveexec_b64 s[14:15], s[0:1]
; %bb.208:
	v_cmp_eq_u32_e64 s[0:1], 0, v4
	s_orn2_b64 s[12:13], s[0:1], exec
; %bb.209:
	s_or_b64 exec, exec, s[14:15]
	s_and_b64 exec, exec, s[12:13]
	s_cbranch_execz .LBB1998_212
; %bb.210:
	s_add_i32 s0, s8, 24
	s_cmp_gt_u32 s9, s0
	s_cselect_b64 s[12:13], -1, 0
	s_xor_b64 s[14:15], vcc, -1
	s_and_b64 s[12:13], s[12:13], s[14:15]
	s_and_b64 exec, exec, s[12:13]
	s_cbranch_execz .LBB1998_212
; %bb.211:
	s_sub_i32 s1, s9, s0
	s_min_u32 s1, s1, 8
	v_lshrrev_b32_e32 v4, s0, v5
	v_bfe_u32 v4, v4, 0, s1
	v_lshlrev_b32_e32 v5, 2, v1
	v_lshl_or_b32 v4, v4, 4, v5
	v_mov_b32_e32 v5, 1
	ds_add_u32 v4, v5 offset:12288
.LBB1998_212:
	s_or_b64 exec, exec, s[10:11]
	v_cmp_le_u32_e32 vcc, s16, v2
	s_or_b64 s[0:1], s[4:5], vcc
	v_xor_b32_e32 v3, 0x7fffffff, v3
	s_xor_b64 s[4:5], s[0:1], -1
	v_mov_b32_e32 v2, s17
	s_and_saveexec_b64 s[0:1], s[4:5]
	s_cbranch_execz .LBB1998_214
; %bb.213:
	s_sub_i32 s4, s9, s8
	s_min_u32 s4, s4, 8
	v_lshrrev_b32_e32 v2, s8, v3
	v_bfe_u32 v2, v2, 0, s4
	v_lshlrev_b32_e32 v4, 2, v1
	v_lshl_or_b32 v2, v2, 4, v4
	v_mov_b32_e32 v4, 1
	ds_add_u32 v2, v4
	v_mov_b32_e32 v2, 0
.LBB1998_214:
	s_or_b64 exec, exec, s[0:1]
	v_cmp_gt_i32_e64 s[0:1], 10, v2
	s_mov_b64 s[10:11], -1
	s_and_saveexec_b64 s[4:5], s[0:1]
; %bb.215:
	v_cmp_eq_u32_e64 s[0:1], 0, v2
	s_orn2_b64 s[10:11], s[0:1], exec
; %bb.216:
	s_or_b64 exec, exec, s[4:5]
	s_and_saveexec_b64 s[4:5], s[10:11]
	s_cbranch_execz .LBB1998_229
; %bb.217:
	s_add_i32 s10, s8, 8
	s_cmp_le_u32 s9, s10
	s_cselect_b64 s[0:1], -1, 0
	s_and_b64 s[12:13], s[0:1], exec
	s_cselect_b32 s11, 8, 10
	s_or_b64 s[0:1], s[0:1], vcc
	s_xor_b64 s[12:13], s[0:1], -1
	v_mov_b32_e32 v2, s11
	s_and_saveexec_b64 s[0:1], s[12:13]
	s_cbranch_execz .LBB1998_219
; %bb.218:
	s_sub_i32 s11, s9, s10
	s_min_u32 s11, s11, 8
	v_lshrrev_b32_e32 v2, s10, v3
	v_bfe_u32 v2, v2, 0, s11
	v_lshlrev_b32_e32 v4, 2, v1
	v_lshl_or_b32 v2, v2, 4, v4
	v_mov_b32_e32 v4, 1
	ds_add_u32 v2, v4 offset:4096
	v_mov_b32_e32 v2, 0
.LBB1998_219:
	s_or_b64 exec, exec, s[0:1]
	v_cmp_gt_i32_e64 s[0:1], 10, v2
	s_mov_b64 s[10:11], -1
	s_and_saveexec_b64 s[12:13], s[0:1]
; %bb.220:
	v_cmp_eq_u32_e64 s[0:1], 0, v2
	s_orn2_b64 s[10:11], s[0:1], exec
; %bb.221:
	s_or_b64 exec, exec, s[12:13]
	s_and_b64 exec, exec, s[10:11]
	s_cbranch_execz .LBB1998_229
; %bb.222:
	s_add_i32 s10, s8, 16
	s_cmp_le_u32 s9, s10
	s_cselect_b64 s[0:1], -1, 0
	s_and_b64 s[12:13], s[0:1], exec
	s_cselect_b32 s11, 8, 10
	s_or_b64 s[0:1], s[0:1], vcc
	s_xor_b64 s[12:13], s[0:1], -1
	v_mov_b32_e32 v2, s11
	s_and_saveexec_b64 s[0:1], s[12:13]
	s_cbranch_execz .LBB1998_224
; %bb.223:
	s_sub_i32 s11, s9, s10
	s_min_u32 s11, s11, 8
	v_lshrrev_b32_e32 v2, s10, v3
	v_bfe_u32 v2, v2, 0, s11
	v_lshlrev_b32_e32 v4, 2, v1
	v_lshl_or_b32 v2, v2, 4, v4
	v_mov_b32_e32 v4, 1
	ds_add_u32 v2, v4 offset:8192
	v_mov_b32_e32 v2, 0
.LBB1998_224:
	s_or_b64 exec, exec, s[0:1]
	v_cmp_gt_i32_e64 s[0:1], 10, v2
	s_mov_b64 s[10:11], -1
	s_and_saveexec_b64 s[12:13], s[0:1]
; %bb.225:
	v_cmp_eq_u32_e64 s[0:1], 0, v2
	s_orn2_b64 s[10:11], s[0:1], exec
; %bb.226:
	s_or_b64 exec, exec, s[12:13]
	s_and_b64 exec, exec, s[10:11]
	s_cbranch_execz .LBB1998_229
; %bb.227:
	s_add_i32 s0, s8, 24
	s_cmp_gt_u32 s9, s0
	s_cselect_b64 s[10:11], -1, 0
	s_xor_b64 s[12:13], vcc, -1
	s_and_b64 s[10:11], s[10:11], s[12:13]
	s_and_b64 exec, exec, s[10:11]
	s_cbranch_execz .LBB1998_229
; %bb.228:
	s_sub_i32 s1, s9, s0
	s_min_u32 s1, s1, 8
	v_lshrrev_b32_e32 v2, s0, v3
	v_bfe_u32 v2, v2, 0, s1
	v_lshlrev_b32_e32 v1, 2, v1
	v_lshl_or_b32 v1, v2, 4, v1
	v_mov_b32_e32 v2, 1
	ds_add_u32 v1, v2 offset:12288
.LBB1998_229:
	s_or_b64 exec, exec, s[4:5]
	s_cmp_gt_u32 s9, s8
	s_waitcnt lgkmcnt(0)
	s_barrier
	s_cbranch_scc0 .LBB1998_234
; %bb.230:
	s_movk_i32 s0, 0x100
	v_cmp_gt_u32_e32 vcc, s0, v0
	v_lshlrev_b32_e32 v1, 4, v0
	v_mov_b32_e32 v3, 0
	v_mov_b32_e32 v2, v0
	s_mov_b32 s10, s8
	s_branch .LBB1998_232
.LBB1998_231:                           ;   in Loop: Header=BB1998_232 Depth=1
	s_or_b64 exec, exec, s[4:5]
	s_add_i32 s10, s10, 8
	v_add_u32_e32 v2, 0x100, v2
	s_cmp_lt_u32 s10, s9
	v_add_u32_e32 v1, 0x1000, v1
	s_cbranch_scc0 .LBB1998_234
.LBB1998_232:                           ; =>This Inner Loop Header: Depth=1
	s_and_saveexec_b64 s[4:5], vcc
	s_cbranch_execz .LBB1998_231
; %bb.233:                              ;   in Loop: Header=BB1998_232 Depth=1
	ds_read2_b32 v[4:5], v1 offset1:1
	ds_read2_b32 v[6:7], v1 offset0:2 offset1:3
	v_lshlrev_b64 v[8:9], 3, v[2:3]
	v_mov_b32_e32 v10, s3
	s_waitcnt lgkmcnt(1)
	v_add_u32_e32 v4, v5, v4
	s_waitcnt lgkmcnt(0)
	v_add3_u32 v4, v4, v6, v7
	v_add_co_u32_e64 v6, s[0:1], s2, v8
	v_addc_co_u32_e64 v7, s[0:1], v10, v9, s[0:1]
	v_mov_b32_e32 v5, v3
	global_atomic_add_x2 v[6:7], v[4:5], off
	s_branch .LBB1998_231
.LBB1998_234:
	s_mov_b64 s[0:1], 0
.LBB1998_235:
	s_and_b64 vcc, exec, s[0:1]
	s_cbranch_vccz .LBB1998_319
; %bb.236:
	v_lshlrev_b32_e32 v4, 2, v0
	v_mov_b32_e32 v1, s7
	v_add_co_u32_e32 v13, vcc, s6, v4
	v_addc_co_u32_e32 v1, vcc, 0, v1, vcc
	v_add_co_u32_e32 v2, vcc, 0x1000, v13
	v_addc_co_u32_e32 v3, vcc, 0, v1, vcc
	;; [unrolled: 2-line block ×8, first 2 shown]
	global_load_dword v5, v4, s[6:7]
	global_load_dword v6, v[2:3], off
	global_load_dword v7, v[14:15], off
	;; [unrolled: 1-line block ×7, first 2 shown]
	v_add_co_u32_e32 v2, vcc, 0x8000, v13
	v_addc_co_u32_e32 v3, vcc, 0, v1, vcc
	v_add_co_u32_e32 v18, vcc, 0x9000, v13
	v_addc_co_u32_e32 v19, vcc, 0, v1, vcc
	;; [unrolled: 2-line block ×4, first 2 shown]
	global_load_dword v13, v[2:3], off
	global_load_dword v14, v[18:19], off
	;; [unrolled: 1-line block ×4, first 2 shown]
	s_cmp_eq_u32 s8, 0
	s_cselect_b64 s[0:1], -1, 0
	s_cmp_eq_u32 s9, 32
	s_cselect_b64 s[4:5], -1, 0
	s_and_b64 s[4:5], s[0:1], s[4:5]
	s_mov_b64 s[0:1], -1
	s_and_b64 vcc, exec, s[4:5]
	s_cbranch_vccnz .LBB1998_316
; %bb.237:
	s_cmp_gt_u32 s9, s8
	s_cselect_b64 s[0:1], -1, 0
	v_mov_b32_e32 v1, 0
	s_and_b64 vcc, exec, s[0:1]
	ds_write2st64_b32 v4, v1, v1 offset1:16
	ds_write2st64_b32 v4, v1, v1 offset0:32 offset1:48
	s_waitcnt lgkmcnt(0)
	s_barrier
	s_cbranch_vccz .LBB1998_310
; %bb.238:
	s_sub_i32 s4, s9, s8
	s_min_u32 s4, s4, 8
	s_waitcnt vmcnt(11)
	v_xor_b32_e32 v17, 0x7fffffff, v5
	s_lshl_b32 s4, -1, s4
	v_and_b32_e32 v1, 3, v0
	s_not_b32 s13, s4
	v_lshrrev_b32_e32 v2, s8, v17
	v_and_b32_e32 v18, s13, v2
	v_lshlrev_b32_e32 v2, 2, v1
	v_lshl_or_b32 v18, v18, 4, v2
	v_mov_b32_e32 v19, 1
	ds_add_u32 v18, v19
	s_add_i32 s12, s8, 8
	s_waitcnt vmcnt(10)
	v_xor_b32_e32 v3, 0x7fffffff, v6
	s_cmp_le_u32 s9, s12
	s_cselect_b64 s[4:5], -1, 0
	v_lshrrev_b32_e32 v18, s8, v3
	s_and_b64 vcc, exec, s[4:5]
	v_and_b32_e32 v18, s13, v18
	s_cbranch_vccz .LBB1998_240
; %bb.239:
	v_lshl_or_b32 v19, v18, 2, v1
	s_mov_b64 s[6:7], -1
	s_cbranch_execz .LBB1998_241
	s_branch .LBB1998_248
.LBB1998_240:
	s_mov_b64 s[6:7], 0
                                        ; implicit-def: $vgpr19
.LBB1998_241:
	s_sub_i32 s10, s9, s12
	s_min_u32 s10, s10, 8
	s_lshl_b32 s10, -1, s10
	s_not_b32 s15, s10
	v_lshrrev_b32_e32 v19, s12, v17
	v_and_b32_e32 v19, s15, v19
	v_lshl_or_b32 v20, v19, 4, v2
	v_mov_b32_e32 v19, 1
	ds_add_u32 v20, v19 offset:4096
	s_add_i32 s14, s8, 16
	s_cmp_gt_u32 s9, s14
	s_cselect_b64 s[10:11], -1, 0
	s_cmp_le_u32 s9, s14
	s_cbranch_scc1 .LBB1998_244
; %bb.242:
	s_sub_i32 s16, s9, s14
	s_min_u32 s16, s16, 8
	v_lshrrev_b32_e32 v20, s14, v17
	v_bfe_u32 v20, v20, 0, s16
	v_lshl_or_b32 v20, v20, 4, v2
	ds_add_u32 v20, v19 offset:8192
	s_add_i32 s16, s8, 24
	s_cmp_le_u32 s9, s16
	s_cbranch_scc1 .LBB1998_244
; %bb.243:
	s_sub_i32 s17, s9, s16
	s_min_u32 s17, s17, 8
	v_lshrrev_b32_e32 v17, s16, v17
	v_bfe_u32 v17, v17, 0, s17
	v_lshl_or_b32 v17, v17, 4, v2
	v_mov_b32_e32 v20, 1
	ds_add_u32 v17, v20 offset:12288
.LBB1998_244:
	v_lshl_or_b32 v17, v18, 4, v2
	ds_add_u32 v17, v19
	v_lshrrev_b32_e32 v17, s12, v3
	v_and_b32_e32 v17, s15, v17
	v_lshl_or_b32 v17, v17, 4, v2
	ds_add_u32 v17, v19 offset:4096
	s_andn2_b64 vcc, exec, s[10:11]
	s_cbranch_vccnz .LBB1998_247
; %bb.245:
	s_sub_i32 s10, s9, s14
	s_min_u32 s10, s10, 8
	v_lshrrev_b32_e32 v17, s14, v3
	v_bfe_u32 v17, v17, 0, s10
	v_lshl_or_b32 v17, v17, 4, v2
	v_mov_b32_e32 v18, 1
	ds_add_u32 v17, v18 offset:8192
	s_add_i32 s10, s8, 24
	s_cmp_gt_u32 s9, s10
	s_cbranch_scc0 .LBB1998_247
; %bb.246:
	s_sub_i32 s6, s9, s10
	s_min_u32 s6, s6, 8
	v_lshrrev_b32_e32 v3, s10, v3
	v_bfe_u32 v3, v3, 0, s6
	v_lshl_or_b32 v3, v3, 2, v1
	v_add_u32_e32 v19, 0xc00, v3
	s_mov_b64 s[6:7], -1
	s_branch .LBB1998_248
.LBB1998_247:
                                        ; implicit-def: $vgpr19
.LBB1998_248:
	s_and_b64 vcc, exec, s[6:7]
	s_cbranch_vccz .LBB1998_250
; %bb.249:
	v_lshlrev_b32_e32 v3, 2, v19
	v_mov_b32_e32 v17, 1
	ds_add_u32 v3, v17
.LBB1998_250:
	s_waitcnt vmcnt(9)
	v_xor_b32_e32 v17, 0x7fffffff, v7
	v_lshrrev_b32_e32 v18, s8, v17
	v_and_b32_e32 v18, s13, v18
	v_lshl_or_b32 v18, v18, 4, v2
	v_mov_b32_e32 v19, 1
	ds_add_u32 v18, v19
	s_waitcnt vmcnt(8)
	v_xor_b32_e32 v3, 0x7fffffff, v8
	v_lshrrev_b32_e32 v18, s8, v3
	s_and_b64 vcc, exec, s[4:5]
	v_and_b32_e32 v18, s13, v18
	s_cbranch_vccz .LBB1998_252
; %bb.251:
	v_lshl_or_b32 v19, v18, 2, v1
	s_mov_b64 s[6:7], -1
	s_cbranch_execz .LBB1998_253
	s_branch .LBB1998_260
.LBB1998_252:
	s_mov_b64 s[6:7], 0
                                        ; implicit-def: $vgpr19
.LBB1998_253:
	s_sub_i32 s10, s9, s12
	s_min_u32 s10, s10, 8
	s_lshl_b32 s10, -1, s10
	s_not_b32 s15, s10
	v_lshrrev_b32_e32 v19, s12, v17
	v_and_b32_e32 v19, s15, v19
	v_lshl_or_b32 v20, v19, 4, v2
	v_mov_b32_e32 v19, 1
	ds_add_u32 v20, v19 offset:4096
	s_add_i32 s14, s8, 16
	s_cmp_gt_u32 s9, s14
	s_cselect_b64 s[10:11], -1, 0
	s_cmp_le_u32 s9, s14
	s_cbranch_scc1 .LBB1998_256
; %bb.254:
	s_sub_i32 s16, s9, s14
	s_min_u32 s16, s16, 8
	v_lshrrev_b32_e32 v20, s14, v17
	v_bfe_u32 v20, v20, 0, s16
	v_lshl_or_b32 v20, v20, 4, v2
	ds_add_u32 v20, v19 offset:8192
	s_add_i32 s16, s8, 24
	s_cmp_le_u32 s9, s16
	s_cbranch_scc1 .LBB1998_256
; %bb.255:
	s_sub_i32 s17, s9, s16
	s_min_u32 s17, s17, 8
	v_lshrrev_b32_e32 v17, s16, v17
	v_bfe_u32 v17, v17, 0, s17
	v_lshl_or_b32 v17, v17, 4, v2
	v_mov_b32_e32 v20, 1
	ds_add_u32 v17, v20 offset:12288
.LBB1998_256:
	v_lshl_or_b32 v17, v18, 4, v2
	ds_add_u32 v17, v19
	v_lshrrev_b32_e32 v17, s12, v3
	v_and_b32_e32 v17, s15, v17
	v_lshl_or_b32 v17, v17, 4, v2
	ds_add_u32 v17, v19 offset:4096
	s_andn2_b64 vcc, exec, s[10:11]
	s_cbranch_vccnz .LBB1998_259
; %bb.257:
	s_sub_i32 s10, s9, s14
	s_min_u32 s10, s10, 8
	v_lshrrev_b32_e32 v17, s14, v3
	v_bfe_u32 v17, v17, 0, s10
	v_lshl_or_b32 v17, v17, 4, v2
	v_mov_b32_e32 v18, 1
	ds_add_u32 v17, v18 offset:8192
	s_add_i32 s10, s8, 24
	s_cmp_gt_u32 s9, s10
	s_cbranch_scc0 .LBB1998_259
; %bb.258:
	s_sub_i32 s6, s9, s10
	s_min_u32 s6, s6, 8
	v_lshrrev_b32_e32 v3, s10, v3
	v_bfe_u32 v3, v3, 0, s6
	v_lshl_or_b32 v3, v3, 2, v1
	v_add_u32_e32 v19, 0xc00, v3
	s_mov_b64 s[6:7], -1
	s_branch .LBB1998_260
.LBB1998_259:
                                        ; implicit-def: $vgpr19
.LBB1998_260:
	s_and_b64 vcc, exec, s[6:7]
	s_cbranch_vccz .LBB1998_262
; %bb.261:
	v_lshlrev_b32_e32 v3, 2, v19
	v_mov_b32_e32 v17, 1
	ds_add_u32 v3, v17
.LBB1998_262:
	s_waitcnt vmcnt(7)
	v_xor_b32_e32 v17, 0x7fffffff, v9
	v_lshrrev_b32_e32 v18, s8, v17
	v_and_b32_e32 v18, s13, v18
	v_lshl_or_b32 v18, v18, 4, v2
	v_mov_b32_e32 v19, 1
	ds_add_u32 v18, v19
	s_waitcnt vmcnt(6)
	v_xor_b32_e32 v3, 0x7fffffff, v10
	v_lshrrev_b32_e32 v18, s8, v3
	s_and_b64 vcc, exec, s[4:5]
	v_and_b32_e32 v18, s13, v18
	s_cbranch_vccz .LBB1998_264
; %bb.263:
	v_lshl_or_b32 v19, v18, 2, v1
	s_mov_b64 s[6:7], -1
	s_cbranch_execz .LBB1998_265
	s_branch .LBB1998_272
.LBB1998_264:
	s_mov_b64 s[6:7], 0
                                        ; implicit-def: $vgpr19
.LBB1998_265:
	s_sub_i32 s10, s9, s12
	s_min_u32 s10, s10, 8
	s_lshl_b32 s10, -1, s10
	s_not_b32 s15, s10
	v_lshrrev_b32_e32 v19, s12, v17
	v_and_b32_e32 v19, s15, v19
	v_lshl_or_b32 v20, v19, 4, v2
	v_mov_b32_e32 v19, 1
	ds_add_u32 v20, v19 offset:4096
	s_add_i32 s14, s8, 16
	s_cmp_gt_u32 s9, s14
	s_cselect_b64 s[10:11], -1, 0
	s_cmp_le_u32 s9, s14
	s_cbranch_scc1 .LBB1998_268
; %bb.266:
	s_sub_i32 s16, s9, s14
	s_min_u32 s16, s16, 8
	v_lshrrev_b32_e32 v20, s14, v17
	v_bfe_u32 v20, v20, 0, s16
	v_lshl_or_b32 v20, v20, 4, v2
	ds_add_u32 v20, v19 offset:8192
	s_add_i32 s16, s8, 24
	s_cmp_le_u32 s9, s16
	s_cbranch_scc1 .LBB1998_268
; %bb.267:
	s_sub_i32 s17, s9, s16
	s_min_u32 s17, s17, 8
	v_lshrrev_b32_e32 v17, s16, v17
	v_bfe_u32 v17, v17, 0, s17
	v_lshl_or_b32 v17, v17, 4, v2
	v_mov_b32_e32 v20, 1
	ds_add_u32 v17, v20 offset:12288
.LBB1998_268:
	v_lshl_or_b32 v17, v18, 4, v2
	ds_add_u32 v17, v19
	v_lshrrev_b32_e32 v17, s12, v3
	v_and_b32_e32 v17, s15, v17
	v_lshl_or_b32 v17, v17, 4, v2
	ds_add_u32 v17, v19 offset:4096
	s_andn2_b64 vcc, exec, s[10:11]
	s_cbranch_vccnz .LBB1998_271
; %bb.269:
	s_sub_i32 s10, s9, s14
	s_min_u32 s10, s10, 8
	v_lshrrev_b32_e32 v17, s14, v3
	v_bfe_u32 v17, v17, 0, s10
	v_lshl_or_b32 v17, v17, 4, v2
	v_mov_b32_e32 v18, 1
	ds_add_u32 v17, v18 offset:8192
	s_add_i32 s10, s8, 24
	s_cmp_gt_u32 s9, s10
	s_cbranch_scc0 .LBB1998_271
; %bb.270:
	s_sub_i32 s6, s9, s10
	s_min_u32 s6, s6, 8
	v_lshrrev_b32_e32 v3, s10, v3
	v_bfe_u32 v3, v3, 0, s6
	v_lshl_or_b32 v3, v3, 2, v1
	v_add_u32_e32 v19, 0xc00, v3
	s_mov_b64 s[6:7], -1
	s_branch .LBB1998_272
.LBB1998_271:
                                        ; implicit-def: $vgpr19
.LBB1998_272:
	s_and_b64 vcc, exec, s[6:7]
	s_cbranch_vccz .LBB1998_274
; %bb.273:
	v_lshlrev_b32_e32 v3, 2, v19
	v_mov_b32_e32 v17, 1
	ds_add_u32 v3, v17
.LBB1998_274:
	s_waitcnt vmcnt(5)
	v_xor_b32_e32 v17, 0x7fffffff, v11
	v_lshrrev_b32_e32 v18, s8, v17
	v_and_b32_e32 v18, s13, v18
	v_lshl_or_b32 v18, v18, 4, v2
	v_mov_b32_e32 v19, 1
	ds_add_u32 v18, v19
	s_waitcnt vmcnt(4)
	v_xor_b32_e32 v3, 0x7fffffff, v12
	v_lshrrev_b32_e32 v18, s8, v3
	s_and_b64 vcc, exec, s[4:5]
	v_and_b32_e32 v18, s13, v18
	s_cbranch_vccz .LBB1998_276
; %bb.275:
	v_lshl_or_b32 v19, v18, 2, v1
	s_mov_b64 s[6:7], -1
	s_cbranch_execz .LBB1998_277
	s_branch .LBB1998_284
.LBB1998_276:
	s_mov_b64 s[6:7], 0
                                        ; implicit-def: $vgpr19
.LBB1998_277:
	s_sub_i32 s10, s9, s12
	s_min_u32 s10, s10, 8
	s_lshl_b32 s10, -1, s10
	s_not_b32 s15, s10
	v_lshrrev_b32_e32 v19, s12, v17
	v_and_b32_e32 v19, s15, v19
	v_lshl_or_b32 v20, v19, 4, v2
	v_mov_b32_e32 v19, 1
	ds_add_u32 v20, v19 offset:4096
	s_add_i32 s14, s8, 16
	s_cmp_gt_u32 s9, s14
	s_cselect_b64 s[10:11], -1, 0
	s_cmp_le_u32 s9, s14
	s_cbranch_scc1 .LBB1998_280
; %bb.278:
	s_sub_i32 s16, s9, s14
	s_min_u32 s16, s16, 8
	v_lshrrev_b32_e32 v20, s14, v17
	v_bfe_u32 v20, v20, 0, s16
	v_lshl_or_b32 v20, v20, 4, v2
	ds_add_u32 v20, v19 offset:8192
	s_add_i32 s16, s8, 24
	s_cmp_le_u32 s9, s16
	s_cbranch_scc1 .LBB1998_280
; %bb.279:
	s_sub_i32 s17, s9, s16
	s_min_u32 s17, s17, 8
	v_lshrrev_b32_e32 v17, s16, v17
	v_bfe_u32 v17, v17, 0, s17
	v_lshl_or_b32 v17, v17, 4, v2
	v_mov_b32_e32 v20, 1
	ds_add_u32 v17, v20 offset:12288
.LBB1998_280:
	v_lshl_or_b32 v17, v18, 4, v2
	ds_add_u32 v17, v19
	v_lshrrev_b32_e32 v17, s12, v3
	v_and_b32_e32 v17, s15, v17
	v_lshl_or_b32 v17, v17, 4, v2
	ds_add_u32 v17, v19 offset:4096
	s_andn2_b64 vcc, exec, s[10:11]
	s_cbranch_vccnz .LBB1998_283
; %bb.281:
	s_sub_i32 s10, s9, s14
	s_min_u32 s10, s10, 8
	v_lshrrev_b32_e32 v17, s14, v3
	v_bfe_u32 v17, v17, 0, s10
	v_lshl_or_b32 v17, v17, 4, v2
	v_mov_b32_e32 v18, 1
	ds_add_u32 v17, v18 offset:8192
	s_add_i32 s10, s8, 24
	s_cmp_gt_u32 s9, s10
	s_cbranch_scc0 .LBB1998_283
; %bb.282:
	s_sub_i32 s6, s9, s10
	s_min_u32 s6, s6, 8
	v_lshrrev_b32_e32 v3, s10, v3
	v_bfe_u32 v3, v3, 0, s6
	v_lshl_or_b32 v3, v3, 2, v1
	v_add_u32_e32 v19, 0xc00, v3
	s_mov_b64 s[6:7], -1
	s_branch .LBB1998_284
.LBB1998_283:
                                        ; implicit-def: $vgpr19
.LBB1998_284:
	s_and_b64 vcc, exec, s[6:7]
	s_cbranch_vccz .LBB1998_286
; %bb.285:
	v_lshlrev_b32_e32 v3, 2, v19
	v_mov_b32_e32 v17, 1
	ds_add_u32 v3, v17
.LBB1998_286:
	s_waitcnt vmcnt(3)
	v_xor_b32_e32 v17, 0x7fffffff, v13
	v_lshrrev_b32_e32 v18, s8, v17
	v_and_b32_e32 v18, s13, v18
	v_lshl_or_b32 v18, v18, 4, v2
	v_mov_b32_e32 v19, 1
	ds_add_u32 v18, v19
	s_waitcnt vmcnt(2)
	v_xor_b32_e32 v3, 0x7fffffff, v14
	v_lshrrev_b32_e32 v18, s8, v3
	s_and_b64 vcc, exec, s[4:5]
	v_and_b32_e32 v18, s13, v18
	s_cbranch_vccz .LBB1998_288
; %bb.287:
	v_lshl_or_b32 v19, v18, 2, v1
	s_mov_b64 s[6:7], -1
	s_cbranch_execz .LBB1998_289
	s_branch .LBB1998_296
.LBB1998_288:
	s_mov_b64 s[6:7], 0
                                        ; implicit-def: $vgpr19
.LBB1998_289:
	s_sub_i32 s10, s9, s12
	s_min_u32 s10, s10, 8
	s_lshl_b32 s10, -1, s10
	s_not_b32 s15, s10
	v_lshrrev_b32_e32 v19, s12, v17
	v_and_b32_e32 v19, s15, v19
	v_lshl_or_b32 v20, v19, 4, v2
	v_mov_b32_e32 v19, 1
	ds_add_u32 v20, v19 offset:4096
	s_add_i32 s14, s8, 16
	s_cmp_gt_u32 s9, s14
	s_cselect_b64 s[10:11], -1, 0
	s_cmp_le_u32 s9, s14
	s_cbranch_scc1 .LBB1998_292
; %bb.290:
	s_sub_i32 s16, s9, s14
	s_min_u32 s16, s16, 8
	v_lshrrev_b32_e32 v20, s14, v17
	v_bfe_u32 v20, v20, 0, s16
	v_lshl_or_b32 v20, v20, 4, v2
	ds_add_u32 v20, v19 offset:8192
	s_add_i32 s16, s8, 24
	s_cmp_le_u32 s9, s16
	s_cbranch_scc1 .LBB1998_292
; %bb.291:
	s_sub_i32 s17, s9, s16
	s_min_u32 s17, s17, 8
	v_lshrrev_b32_e32 v17, s16, v17
	v_bfe_u32 v17, v17, 0, s17
	v_lshl_or_b32 v17, v17, 4, v2
	v_mov_b32_e32 v20, 1
	ds_add_u32 v17, v20 offset:12288
.LBB1998_292:
	v_lshl_or_b32 v17, v18, 4, v2
	ds_add_u32 v17, v19
	v_lshrrev_b32_e32 v17, s12, v3
	v_and_b32_e32 v17, s15, v17
	v_lshl_or_b32 v17, v17, 4, v2
	ds_add_u32 v17, v19 offset:4096
	s_andn2_b64 vcc, exec, s[10:11]
	s_cbranch_vccnz .LBB1998_295
; %bb.293:
	s_sub_i32 s10, s9, s14
	s_min_u32 s10, s10, 8
	v_lshrrev_b32_e32 v17, s14, v3
	v_bfe_u32 v17, v17, 0, s10
	v_lshl_or_b32 v17, v17, 4, v2
	v_mov_b32_e32 v18, 1
	ds_add_u32 v17, v18 offset:8192
	s_add_i32 s10, s8, 24
	s_cmp_gt_u32 s9, s10
	s_cbranch_scc0 .LBB1998_295
; %bb.294:
	s_sub_i32 s6, s9, s10
	s_min_u32 s6, s6, 8
	v_lshrrev_b32_e32 v3, s10, v3
	v_bfe_u32 v3, v3, 0, s6
	v_lshl_or_b32 v3, v3, 2, v1
	v_add_u32_e32 v19, 0xc00, v3
	s_mov_b64 s[6:7], -1
	s_branch .LBB1998_296
.LBB1998_295:
                                        ; implicit-def: $vgpr19
.LBB1998_296:
	s_and_b64 vcc, exec, s[6:7]
	s_cbranch_vccz .LBB1998_298
; %bb.297:
	v_lshlrev_b32_e32 v3, 2, v19
	v_mov_b32_e32 v17, 1
	ds_add_u32 v3, v17
.LBB1998_298:
	s_waitcnt vmcnt(1)
	v_xor_b32_e32 v17, 0x7fffffff, v15
	v_lshrrev_b32_e32 v18, s8, v17
	v_and_b32_e32 v18, s13, v18
	v_lshl_or_b32 v18, v18, 4, v2
	v_mov_b32_e32 v19, 1
	ds_add_u32 v18, v19
	s_waitcnt vmcnt(0)
	v_xor_b32_e32 v3, 0x7fffffff, v16
	v_lshrrev_b32_e32 v18, s8, v3
	s_and_b64 vcc, exec, s[4:5]
	v_and_b32_e32 v18, s13, v18
	s_cbranch_vccz .LBB1998_300
; %bb.299:
	v_lshl_or_b32 v19, v18, 2, v1
	s_mov_b64 s[4:5], -1
	s_cbranch_execz .LBB1998_301
	s_branch .LBB1998_308
.LBB1998_300:
	s_mov_b64 s[4:5], 0
                                        ; implicit-def: $vgpr19
.LBB1998_301:
	s_sub_i32 s6, s9, s12
	s_min_u32 s6, s6, 8
	s_lshl_b32 s6, -1, s6
	s_not_b32 s11, s6
	v_lshrrev_b32_e32 v19, s12, v17
	v_and_b32_e32 v19, s11, v19
	v_lshl_or_b32 v20, v19, 4, v2
	v_mov_b32_e32 v19, 1
	ds_add_u32 v20, v19 offset:4096
	s_add_i32 s10, s8, 16
	s_cmp_gt_u32 s9, s10
	s_cselect_b64 s[6:7], -1, 0
	s_cmp_le_u32 s9, s10
	s_cbranch_scc1 .LBB1998_304
; %bb.302:
	s_sub_i32 s13, s9, s10
	s_min_u32 s13, s13, 8
	v_lshrrev_b32_e32 v20, s10, v17
	v_bfe_u32 v20, v20, 0, s13
	v_lshl_or_b32 v20, v20, 4, v2
	ds_add_u32 v20, v19 offset:8192
	s_add_i32 s13, s8, 24
	s_cmp_le_u32 s9, s13
	s_cbranch_scc1 .LBB1998_304
; %bb.303:
	v_lshrrev_b32_e32 v17, s13, v17
	s_sub_i32 s13, s9, s13
	s_min_u32 s13, s13, 8
	v_bfe_u32 v17, v17, 0, s13
	v_lshl_or_b32 v17, v17, 4, v2
	v_mov_b32_e32 v20, 1
	ds_add_u32 v17, v20 offset:12288
.LBB1998_304:
	v_lshl_or_b32 v17, v18, 4, v2
	ds_add_u32 v17, v19
	v_lshrrev_b32_e32 v17, s12, v3
	v_and_b32_e32 v17, s11, v17
	v_lshl_or_b32 v17, v17, 4, v2
	ds_add_u32 v17, v19 offset:4096
	s_andn2_b64 vcc, exec, s[6:7]
	s_cbranch_vccnz .LBB1998_307
; %bb.305:
	s_sub_i32 s6, s9, s10
	s_min_u32 s6, s6, 8
	v_lshrrev_b32_e32 v17, s10, v3
	v_bfe_u32 v17, v17, 0, s6
	v_lshl_or_b32 v2, v17, 4, v2
	v_mov_b32_e32 v17, 1
	ds_add_u32 v2, v17 offset:8192
	s_add_i32 s6, s8, 24
	s_cmp_gt_u32 s9, s6
	s_cbranch_scc0 .LBB1998_307
; %bb.306:
	s_sub_i32 s4, s9, s6
	s_min_u32 s4, s4, 8
	v_lshrrev_b32_e32 v2, s6, v3
	v_bfe_u32 v2, v2, 0, s4
	v_lshl_or_b32 v1, v2, 2, v1
	v_add_u32_e32 v19, 0xc00, v1
	s_mov_b64 s[4:5], -1
	s_branch .LBB1998_308
.LBB1998_307:
                                        ; implicit-def: $vgpr19
.LBB1998_308:
	s_and_b64 vcc, exec, s[4:5]
	s_cbranch_vccz .LBB1998_310
; %bb.309:
	v_lshlrev_b32_e32 v1, 2, v19
	v_mov_b32_e32 v2, 1
	ds_add_u32 v1, v2
.LBB1998_310:
	s_and_b64 vcc, exec, s[0:1]
	s_waitcnt lgkmcnt(0)
	s_barrier
	s_cbranch_vccz .LBB1998_315
; %bb.311:
	s_movk_i32 s0, 0x100
	v_cmp_gt_u32_e32 vcc, s0, v0
	v_lshlrev_b32_e32 v1, 4, v0
	v_mov_b32_e32 v3, 0
	v_mov_b32_e32 v2, v0
	s_branch .LBB1998_313
.LBB1998_312:                           ;   in Loop: Header=BB1998_313 Depth=1
	s_or_b64 exec, exec, s[4:5]
	s_add_i32 s8, s8, 8
	v_add_u32_e32 v2, 0x100, v2
	s_cmp_ge_u32 s8, s9
	v_add_u32_e32 v1, 0x1000, v1
	s_cbranch_scc1 .LBB1998_315
.LBB1998_313:                           ; =>This Inner Loop Header: Depth=1
	s_and_saveexec_b64 s[4:5], vcc
	s_cbranch_execz .LBB1998_312
; %bb.314:                              ;   in Loop: Header=BB1998_313 Depth=1
	ds_read2_b32 v[18:19], v1 offset1:1
	ds_read2_b32 v[20:21], v1 offset0:2 offset1:3
	v_lshlrev_b64 v[22:23], 3, v[2:3]
	v_mov_b32_e32 v17, s3
	s_waitcnt lgkmcnt(1)
	v_add_u32_e32 v18, v19, v18
	s_waitcnt lgkmcnt(0)
	v_add3_u32 v18, v18, v20, v21
	v_add_co_u32_e64 v20, s[0:1], s2, v22
	v_addc_co_u32_e64 v21, s[0:1], v17, v23, s[0:1]
	v_mov_b32_e32 v19, v3
	global_atomic_add_x2 v[20:21], v[18:19], off
	s_branch .LBB1998_312
.LBB1998_315:
	s_mov_b64 s[0:1], 0
.LBB1998_316:
	s_and_b64 vcc, exec, s[0:1]
	s_cbranch_vccz .LBB1998_319
; %bb.317:
	s_waitcnt vmcnt(11)
	v_xor_b32_e32 v2, 0x7fffffff, v5
	s_waitcnt vmcnt(10)
	v_xor_b32_e32 v3, 0x7fffffff, v6
	;; [unrolled: 2-line block ×8, first 2 shown]
	v_and_b32_e32 v14, 3, v0
	v_lshlrev_b32_e32 v15, 2, v2
	s_movk_i32 s0, 0x3fc
	v_mov_b32_e32 v1, 0
	v_and_or_b32 v15, v15, s0, v14
	ds_write2st64_b32 v4, v1, v1 offset1:16
	ds_write2st64_b32 v4, v1, v1 offset0:32 offset1:48
	v_xor_b32_e32 v4, 0x7fffffff, v7
	v_xor_b32_e32 v7, 0x7fffffff, v10
	;; [unrolled: 1-line block ×3, first 2 shown]
	s_waitcnt vmcnt(0)
	v_xor_b32_e32 v13, 0x7fffffff, v16
	v_lshlrev_b32_e32 v15, 2, v15
	v_mov_b32_e32 v16, 1
	s_waitcnt lgkmcnt(0)
	s_barrier
	ds_add_u32 v15, v16
	v_bfe_u32 v15, v2, 8, 8
	v_lshl_or_b32 v15, v15, 2, v14
	v_lshlrev_b32_e32 v15, 2, v15
	ds_add_u32 v15, v16 offset:4096
	v_bfe_u32 v15, v2, 16, 8
	v_lshl_or_b32 v15, v15, 2, v14
	v_lshrrev_b32_e32 v2, 24, v2
	v_lshlrev_b32_e32 v15, 2, v15
	v_lshl_or_b32 v2, v2, 2, v14
	ds_add_u32 v15, v16 offset:8192
	v_lshlrev_b32_e32 v2, 2, v2
	ds_add_u32 v2, v16 offset:12288
	v_lshlrev_b32_e32 v2, 2, v3
	v_and_or_b32 v2, v2, s0, v14
	v_lshlrev_b32_e32 v2, 2, v2
	ds_add_u32 v2, v16
	v_bfe_u32 v2, v3, 8, 8
	v_lshl_or_b32 v2, v2, 2, v14
	v_lshlrev_b32_e32 v2, 2, v2
	ds_add_u32 v2, v16 offset:4096
	v_bfe_u32 v2, v3, 16, 8
	v_lshl_or_b32 v2, v2, 2, v14
	v_lshlrev_b32_e32 v2, 2, v2
	ds_add_u32 v2, v16 offset:8192
	v_lshrrev_b32_e32 v2, 24, v3
	v_lshl_or_b32 v2, v2, 2, v14
	v_lshlrev_b32_e32 v2, 2, v2
	ds_add_u32 v2, v16 offset:12288
	v_lshlrev_b32_e32 v2, 2, v4
	v_and_or_b32 v2, v2, s0, v14
	v_lshlrev_b32_e32 v2, 2, v2
	ds_add_u32 v2, v16
	v_bfe_u32 v2, v4, 8, 8
	v_lshl_or_b32 v2, v2, 2, v14
	v_lshlrev_b32_e32 v2, 2, v2
	ds_add_u32 v2, v16 offset:4096
	v_bfe_u32 v2, v4, 16, 8
	v_lshl_or_b32 v2, v2, 2, v14
	v_lshlrev_b32_e32 v2, 2, v2
	ds_add_u32 v2, v16 offset:8192
	v_lshrrev_b32_e32 v2, 24, v4
	v_lshl_or_b32 v2, v2, 2, v14
	;; [unrolled: 16-line block ×11, first 2 shown]
	v_lshlrev_b32_e32 v2, 2, v2
	ds_add_u32 v2, v16 offset:12288
	s_movk_i32 s0, 0x100
	v_cmp_gt_u32_e32 vcc, s0, v0
	s_waitcnt lgkmcnt(0)
	s_barrier
	s_and_saveexec_b64 s[0:1], vcc
	s_cbranch_execz .LBB1998_319
; %bb.318:
	v_lshlrev_b32_e32 v6, 4, v0
	ds_read2_b32 v[2:3], v6 offset1:1
	ds_read2_b32 v[4:5], v6 offset0:2 offset1:3
	v_lshlrev_b32_e32 v7, 3, v0
	v_add_u32_e32 v8, 0x1000, v6
	v_add_u32_e32 v9, 0x1008, v6
	s_waitcnt lgkmcnt(1)
	v_add_u32_e32 v0, v3, v2
	s_waitcnt lgkmcnt(0)
	v_add3_u32 v0, v0, v4, v5
	global_atomic_add_x2 v7, v[0:1], s[2:3]
	ds_read2_b32 v[2:3], v8 offset1:1
	ds_read2_b32 v[4:5], v9 offset1:1
	v_add_u32_e32 v8, 0x2000, v6
	v_add_u32_e32 v9, 0x2008, v6
	s_waitcnt lgkmcnt(1)
	v_add_u32_e32 v0, v3, v2
	s_waitcnt lgkmcnt(0)
	v_add3_u32 v0, v0, v4, v5
	global_atomic_add_x2 v7, v[0:1], s[2:3] offset:2048
	ds_read2_b32 v[2:3], v8 offset1:1
	ds_read2_b32 v[4:5], v9 offset1:1
	v_or_b32_e32 v8, 0x1000, v7
	v_add_u32_e32 v9, 0x3000, v6
	v_add_u32_e32 v6, 0x3008, v6
	s_waitcnt lgkmcnt(1)
	v_add_u32_e32 v0, v3, v2
	s_waitcnt lgkmcnt(0)
	v_add3_u32 v0, v0, v4, v5
	global_atomic_add_x2 v8, v[0:1], s[2:3]
	ds_read2_b32 v[2:3], v9 offset1:1
	ds_read2_b32 v[4:5], v6 offset1:1
	s_waitcnt lgkmcnt(1)
	v_add_u32_e32 v0, v3, v2
	s_waitcnt lgkmcnt(0)
	v_add3_u32 v0, v0, v4, v5
	v_or_b32_e32 v2, 0x1800, v7
	global_atomic_add_x2 v2, v[0:1], s[2:3]
.LBB1998_319:
	s_endpgm
	.section	.rodata,"a",@progbits
	.p2align	6, 0x0
	.amdhsa_kernel _ZN7rocprim17ROCPRIM_400000_NS6detail17trampoline_kernelINS0_14default_configENS1_35radix_sort_onesweep_config_selectorIiNS0_10empty_typeEEEZNS1_34radix_sort_onesweep_global_offsetsIS3_Lb1EPiPS5_mNS0_19identity_decomposerEEE10hipError_tT1_T2_PT3_SE_jT4_jjP12ihipStream_tbEUlT_E_NS1_11comp_targetILNS1_3genE4ELNS1_11target_archE910ELNS1_3gpuE8ELNS1_3repE0EEENS1_52radix_sort_onesweep_histogram_config_static_selectorELNS0_4arch9wavefront6targetE1EEEvSC_
		.amdhsa_group_segment_fixed_size 16384
		.amdhsa_private_segment_fixed_size 0
		.amdhsa_kernarg_size 48
		.amdhsa_user_sgpr_count 6
		.amdhsa_user_sgpr_private_segment_buffer 1
		.amdhsa_user_sgpr_dispatch_ptr 0
		.amdhsa_user_sgpr_queue_ptr 0
		.amdhsa_user_sgpr_kernarg_segment_ptr 1
		.amdhsa_user_sgpr_dispatch_id 0
		.amdhsa_user_sgpr_flat_scratch_init 0
		.amdhsa_user_sgpr_kernarg_preload_length 0
		.amdhsa_user_sgpr_kernarg_preload_offset 0
		.amdhsa_user_sgpr_private_segment_size 0
		.amdhsa_uses_dynamic_stack 0
		.amdhsa_system_sgpr_private_segment_wavefront_offset 0
		.amdhsa_system_sgpr_workgroup_id_x 1
		.amdhsa_system_sgpr_workgroup_id_y 0
		.amdhsa_system_sgpr_workgroup_id_z 0
		.amdhsa_system_sgpr_workgroup_info 0
		.amdhsa_system_vgpr_workitem_id 0
		.amdhsa_next_free_vgpr 27
		.amdhsa_next_free_sgpr 18
		.amdhsa_accum_offset 28
		.amdhsa_reserve_vcc 1
		.amdhsa_reserve_flat_scratch 0
		.amdhsa_float_round_mode_32 0
		.amdhsa_float_round_mode_16_64 0
		.amdhsa_float_denorm_mode_32 3
		.amdhsa_float_denorm_mode_16_64 3
		.amdhsa_dx10_clamp 1
		.amdhsa_ieee_mode 1
		.amdhsa_fp16_overflow 0
		.amdhsa_tg_split 0
		.amdhsa_exception_fp_ieee_invalid_op 0
		.amdhsa_exception_fp_denorm_src 0
		.amdhsa_exception_fp_ieee_div_zero 0
		.amdhsa_exception_fp_ieee_overflow 0
		.amdhsa_exception_fp_ieee_underflow 0
		.amdhsa_exception_fp_ieee_inexact 0
		.amdhsa_exception_int_div_zero 0
	.end_amdhsa_kernel
	.section	.text._ZN7rocprim17ROCPRIM_400000_NS6detail17trampoline_kernelINS0_14default_configENS1_35radix_sort_onesweep_config_selectorIiNS0_10empty_typeEEEZNS1_34radix_sort_onesweep_global_offsetsIS3_Lb1EPiPS5_mNS0_19identity_decomposerEEE10hipError_tT1_T2_PT3_SE_jT4_jjP12ihipStream_tbEUlT_E_NS1_11comp_targetILNS1_3genE4ELNS1_11target_archE910ELNS1_3gpuE8ELNS1_3repE0EEENS1_52radix_sort_onesweep_histogram_config_static_selectorELNS0_4arch9wavefront6targetE1EEEvSC_,"axG",@progbits,_ZN7rocprim17ROCPRIM_400000_NS6detail17trampoline_kernelINS0_14default_configENS1_35radix_sort_onesweep_config_selectorIiNS0_10empty_typeEEEZNS1_34radix_sort_onesweep_global_offsetsIS3_Lb1EPiPS5_mNS0_19identity_decomposerEEE10hipError_tT1_T2_PT3_SE_jT4_jjP12ihipStream_tbEUlT_E_NS1_11comp_targetILNS1_3genE4ELNS1_11target_archE910ELNS1_3gpuE8ELNS1_3repE0EEENS1_52radix_sort_onesweep_histogram_config_static_selectorELNS0_4arch9wavefront6targetE1EEEvSC_,comdat
.Lfunc_end1998:
	.size	_ZN7rocprim17ROCPRIM_400000_NS6detail17trampoline_kernelINS0_14default_configENS1_35radix_sort_onesweep_config_selectorIiNS0_10empty_typeEEEZNS1_34radix_sort_onesweep_global_offsetsIS3_Lb1EPiPS5_mNS0_19identity_decomposerEEE10hipError_tT1_T2_PT3_SE_jT4_jjP12ihipStream_tbEUlT_E_NS1_11comp_targetILNS1_3genE4ELNS1_11target_archE910ELNS1_3gpuE8ELNS1_3repE0EEENS1_52radix_sort_onesweep_histogram_config_static_selectorELNS0_4arch9wavefront6targetE1EEEvSC_, .Lfunc_end1998-_ZN7rocprim17ROCPRIM_400000_NS6detail17trampoline_kernelINS0_14default_configENS1_35radix_sort_onesweep_config_selectorIiNS0_10empty_typeEEEZNS1_34radix_sort_onesweep_global_offsetsIS3_Lb1EPiPS5_mNS0_19identity_decomposerEEE10hipError_tT1_T2_PT3_SE_jT4_jjP12ihipStream_tbEUlT_E_NS1_11comp_targetILNS1_3genE4ELNS1_11target_archE910ELNS1_3gpuE8ELNS1_3repE0EEENS1_52radix_sort_onesweep_histogram_config_static_selectorELNS0_4arch9wavefront6targetE1EEEvSC_
                                        ; -- End function
	.section	.AMDGPU.csdata,"",@progbits
; Kernel info:
; codeLenInByte = 11016
; NumSgprs: 22
; NumVgprs: 27
; NumAgprs: 0
; TotalNumVgprs: 27
; ScratchSize: 0
; MemoryBound: 0
; FloatMode: 240
; IeeeMode: 1
; LDSByteSize: 16384 bytes/workgroup (compile time only)
; SGPRBlocks: 2
; VGPRBlocks: 3
; NumSGPRsForWavesPerEU: 22
; NumVGPRsForWavesPerEU: 27
; AccumOffset: 28
; Occupancy: 8
; WaveLimiterHint : 1
; COMPUTE_PGM_RSRC2:SCRATCH_EN: 0
; COMPUTE_PGM_RSRC2:USER_SGPR: 6
; COMPUTE_PGM_RSRC2:TRAP_HANDLER: 0
; COMPUTE_PGM_RSRC2:TGID_X_EN: 1
; COMPUTE_PGM_RSRC2:TGID_Y_EN: 0
; COMPUTE_PGM_RSRC2:TGID_Z_EN: 0
; COMPUTE_PGM_RSRC2:TIDIG_COMP_CNT: 0
; COMPUTE_PGM_RSRC3_GFX90A:ACCUM_OFFSET: 6
; COMPUTE_PGM_RSRC3_GFX90A:TG_SPLIT: 0
	.section	.text._ZN7rocprim17ROCPRIM_400000_NS6detail17trampoline_kernelINS0_14default_configENS1_35radix_sort_onesweep_config_selectorIiNS0_10empty_typeEEEZNS1_34radix_sort_onesweep_global_offsetsIS3_Lb1EPiPS5_mNS0_19identity_decomposerEEE10hipError_tT1_T2_PT3_SE_jT4_jjP12ihipStream_tbEUlT_E_NS1_11comp_targetILNS1_3genE3ELNS1_11target_archE908ELNS1_3gpuE7ELNS1_3repE0EEENS1_52radix_sort_onesweep_histogram_config_static_selectorELNS0_4arch9wavefront6targetE1EEEvSC_,"axG",@progbits,_ZN7rocprim17ROCPRIM_400000_NS6detail17trampoline_kernelINS0_14default_configENS1_35radix_sort_onesweep_config_selectorIiNS0_10empty_typeEEEZNS1_34radix_sort_onesweep_global_offsetsIS3_Lb1EPiPS5_mNS0_19identity_decomposerEEE10hipError_tT1_T2_PT3_SE_jT4_jjP12ihipStream_tbEUlT_E_NS1_11comp_targetILNS1_3genE3ELNS1_11target_archE908ELNS1_3gpuE7ELNS1_3repE0EEENS1_52radix_sort_onesweep_histogram_config_static_selectorELNS0_4arch9wavefront6targetE1EEEvSC_,comdat
	.protected	_ZN7rocprim17ROCPRIM_400000_NS6detail17trampoline_kernelINS0_14default_configENS1_35radix_sort_onesweep_config_selectorIiNS0_10empty_typeEEEZNS1_34radix_sort_onesweep_global_offsetsIS3_Lb1EPiPS5_mNS0_19identity_decomposerEEE10hipError_tT1_T2_PT3_SE_jT4_jjP12ihipStream_tbEUlT_E_NS1_11comp_targetILNS1_3genE3ELNS1_11target_archE908ELNS1_3gpuE7ELNS1_3repE0EEENS1_52radix_sort_onesweep_histogram_config_static_selectorELNS0_4arch9wavefront6targetE1EEEvSC_ ; -- Begin function _ZN7rocprim17ROCPRIM_400000_NS6detail17trampoline_kernelINS0_14default_configENS1_35radix_sort_onesweep_config_selectorIiNS0_10empty_typeEEEZNS1_34radix_sort_onesweep_global_offsetsIS3_Lb1EPiPS5_mNS0_19identity_decomposerEEE10hipError_tT1_T2_PT3_SE_jT4_jjP12ihipStream_tbEUlT_E_NS1_11comp_targetILNS1_3genE3ELNS1_11target_archE908ELNS1_3gpuE7ELNS1_3repE0EEENS1_52radix_sort_onesweep_histogram_config_static_selectorELNS0_4arch9wavefront6targetE1EEEvSC_
	.globl	_ZN7rocprim17ROCPRIM_400000_NS6detail17trampoline_kernelINS0_14default_configENS1_35radix_sort_onesweep_config_selectorIiNS0_10empty_typeEEEZNS1_34radix_sort_onesweep_global_offsetsIS3_Lb1EPiPS5_mNS0_19identity_decomposerEEE10hipError_tT1_T2_PT3_SE_jT4_jjP12ihipStream_tbEUlT_E_NS1_11comp_targetILNS1_3genE3ELNS1_11target_archE908ELNS1_3gpuE7ELNS1_3repE0EEENS1_52radix_sort_onesweep_histogram_config_static_selectorELNS0_4arch9wavefront6targetE1EEEvSC_
	.p2align	8
	.type	_ZN7rocprim17ROCPRIM_400000_NS6detail17trampoline_kernelINS0_14default_configENS1_35radix_sort_onesweep_config_selectorIiNS0_10empty_typeEEEZNS1_34radix_sort_onesweep_global_offsetsIS3_Lb1EPiPS5_mNS0_19identity_decomposerEEE10hipError_tT1_T2_PT3_SE_jT4_jjP12ihipStream_tbEUlT_E_NS1_11comp_targetILNS1_3genE3ELNS1_11target_archE908ELNS1_3gpuE7ELNS1_3repE0EEENS1_52radix_sort_onesweep_histogram_config_static_selectorELNS0_4arch9wavefront6targetE1EEEvSC_,@function
_ZN7rocprim17ROCPRIM_400000_NS6detail17trampoline_kernelINS0_14default_configENS1_35radix_sort_onesweep_config_selectorIiNS0_10empty_typeEEEZNS1_34radix_sort_onesweep_global_offsetsIS3_Lb1EPiPS5_mNS0_19identity_decomposerEEE10hipError_tT1_T2_PT3_SE_jT4_jjP12ihipStream_tbEUlT_E_NS1_11comp_targetILNS1_3genE3ELNS1_11target_archE908ELNS1_3gpuE7ELNS1_3repE0EEENS1_52radix_sort_onesweep_histogram_config_static_selectorELNS0_4arch9wavefront6targetE1EEEvSC_: ; @_ZN7rocprim17ROCPRIM_400000_NS6detail17trampoline_kernelINS0_14default_configENS1_35radix_sort_onesweep_config_selectorIiNS0_10empty_typeEEEZNS1_34radix_sort_onesweep_global_offsetsIS3_Lb1EPiPS5_mNS0_19identity_decomposerEEE10hipError_tT1_T2_PT3_SE_jT4_jjP12ihipStream_tbEUlT_E_NS1_11comp_targetILNS1_3genE3ELNS1_11target_archE908ELNS1_3gpuE7ELNS1_3repE0EEENS1_52radix_sort_onesweep_histogram_config_static_selectorELNS0_4arch9wavefront6targetE1EEEvSC_
; %bb.0:
	.section	.rodata,"a",@progbits
	.p2align	6, 0x0
	.amdhsa_kernel _ZN7rocprim17ROCPRIM_400000_NS6detail17trampoline_kernelINS0_14default_configENS1_35radix_sort_onesweep_config_selectorIiNS0_10empty_typeEEEZNS1_34radix_sort_onesweep_global_offsetsIS3_Lb1EPiPS5_mNS0_19identity_decomposerEEE10hipError_tT1_T2_PT3_SE_jT4_jjP12ihipStream_tbEUlT_E_NS1_11comp_targetILNS1_3genE3ELNS1_11target_archE908ELNS1_3gpuE7ELNS1_3repE0EEENS1_52radix_sort_onesweep_histogram_config_static_selectorELNS0_4arch9wavefront6targetE1EEEvSC_
		.amdhsa_group_segment_fixed_size 0
		.amdhsa_private_segment_fixed_size 0
		.amdhsa_kernarg_size 48
		.amdhsa_user_sgpr_count 6
		.amdhsa_user_sgpr_private_segment_buffer 1
		.amdhsa_user_sgpr_dispatch_ptr 0
		.amdhsa_user_sgpr_queue_ptr 0
		.amdhsa_user_sgpr_kernarg_segment_ptr 1
		.amdhsa_user_sgpr_dispatch_id 0
		.amdhsa_user_sgpr_flat_scratch_init 0
		.amdhsa_user_sgpr_kernarg_preload_length 0
		.amdhsa_user_sgpr_kernarg_preload_offset 0
		.amdhsa_user_sgpr_private_segment_size 0
		.amdhsa_uses_dynamic_stack 0
		.amdhsa_system_sgpr_private_segment_wavefront_offset 0
		.amdhsa_system_sgpr_workgroup_id_x 1
		.amdhsa_system_sgpr_workgroup_id_y 0
		.amdhsa_system_sgpr_workgroup_id_z 0
		.amdhsa_system_sgpr_workgroup_info 0
		.amdhsa_system_vgpr_workitem_id 0
		.amdhsa_next_free_vgpr 1
		.amdhsa_next_free_sgpr 0
		.amdhsa_accum_offset 4
		.amdhsa_reserve_vcc 0
		.amdhsa_reserve_flat_scratch 0
		.amdhsa_float_round_mode_32 0
		.amdhsa_float_round_mode_16_64 0
		.amdhsa_float_denorm_mode_32 3
		.amdhsa_float_denorm_mode_16_64 3
		.amdhsa_dx10_clamp 1
		.amdhsa_ieee_mode 1
		.amdhsa_fp16_overflow 0
		.amdhsa_tg_split 0
		.amdhsa_exception_fp_ieee_invalid_op 0
		.amdhsa_exception_fp_denorm_src 0
		.amdhsa_exception_fp_ieee_div_zero 0
		.amdhsa_exception_fp_ieee_overflow 0
		.amdhsa_exception_fp_ieee_underflow 0
		.amdhsa_exception_fp_ieee_inexact 0
		.amdhsa_exception_int_div_zero 0
	.end_amdhsa_kernel
	.section	.text._ZN7rocprim17ROCPRIM_400000_NS6detail17trampoline_kernelINS0_14default_configENS1_35radix_sort_onesweep_config_selectorIiNS0_10empty_typeEEEZNS1_34radix_sort_onesweep_global_offsetsIS3_Lb1EPiPS5_mNS0_19identity_decomposerEEE10hipError_tT1_T2_PT3_SE_jT4_jjP12ihipStream_tbEUlT_E_NS1_11comp_targetILNS1_3genE3ELNS1_11target_archE908ELNS1_3gpuE7ELNS1_3repE0EEENS1_52radix_sort_onesweep_histogram_config_static_selectorELNS0_4arch9wavefront6targetE1EEEvSC_,"axG",@progbits,_ZN7rocprim17ROCPRIM_400000_NS6detail17trampoline_kernelINS0_14default_configENS1_35radix_sort_onesweep_config_selectorIiNS0_10empty_typeEEEZNS1_34radix_sort_onesweep_global_offsetsIS3_Lb1EPiPS5_mNS0_19identity_decomposerEEE10hipError_tT1_T2_PT3_SE_jT4_jjP12ihipStream_tbEUlT_E_NS1_11comp_targetILNS1_3genE3ELNS1_11target_archE908ELNS1_3gpuE7ELNS1_3repE0EEENS1_52radix_sort_onesweep_histogram_config_static_selectorELNS0_4arch9wavefront6targetE1EEEvSC_,comdat
.Lfunc_end1999:
	.size	_ZN7rocprim17ROCPRIM_400000_NS6detail17trampoline_kernelINS0_14default_configENS1_35radix_sort_onesweep_config_selectorIiNS0_10empty_typeEEEZNS1_34radix_sort_onesweep_global_offsetsIS3_Lb1EPiPS5_mNS0_19identity_decomposerEEE10hipError_tT1_T2_PT3_SE_jT4_jjP12ihipStream_tbEUlT_E_NS1_11comp_targetILNS1_3genE3ELNS1_11target_archE908ELNS1_3gpuE7ELNS1_3repE0EEENS1_52radix_sort_onesweep_histogram_config_static_selectorELNS0_4arch9wavefront6targetE1EEEvSC_, .Lfunc_end1999-_ZN7rocprim17ROCPRIM_400000_NS6detail17trampoline_kernelINS0_14default_configENS1_35radix_sort_onesweep_config_selectorIiNS0_10empty_typeEEEZNS1_34radix_sort_onesweep_global_offsetsIS3_Lb1EPiPS5_mNS0_19identity_decomposerEEE10hipError_tT1_T2_PT3_SE_jT4_jjP12ihipStream_tbEUlT_E_NS1_11comp_targetILNS1_3genE3ELNS1_11target_archE908ELNS1_3gpuE7ELNS1_3repE0EEENS1_52radix_sort_onesweep_histogram_config_static_selectorELNS0_4arch9wavefront6targetE1EEEvSC_
                                        ; -- End function
	.section	.AMDGPU.csdata,"",@progbits
; Kernel info:
; codeLenInByte = 0
; NumSgprs: 4
; NumVgprs: 0
; NumAgprs: 0
; TotalNumVgprs: 0
; ScratchSize: 0
; MemoryBound: 0
; FloatMode: 240
; IeeeMode: 1
; LDSByteSize: 0 bytes/workgroup (compile time only)
; SGPRBlocks: 0
; VGPRBlocks: 0
; NumSGPRsForWavesPerEU: 4
; NumVGPRsForWavesPerEU: 1
; AccumOffset: 4
; Occupancy: 8
; WaveLimiterHint : 0
; COMPUTE_PGM_RSRC2:SCRATCH_EN: 0
; COMPUTE_PGM_RSRC2:USER_SGPR: 6
; COMPUTE_PGM_RSRC2:TRAP_HANDLER: 0
; COMPUTE_PGM_RSRC2:TGID_X_EN: 1
; COMPUTE_PGM_RSRC2:TGID_Y_EN: 0
; COMPUTE_PGM_RSRC2:TGID_Z_EN: 0
; COMPUTE_PGM_RSRC2:TIDIG_COMP_CNT: 0
; COMPUTE_PGM_RSRC3_GFX90A:ACCUM_OFFSET: 0
; COMPUTE_PGM_RSRC3_GFX90A:TG_SPLIT: 0
	.section	.text._ZN7rocprim17ROCPRIM_400000_NS6detail17trampoline_kernelINS0_14default_configENS1_35radix_sort_onesweep_config_selectorIiNS0_10empty_typeEEEZNS1_34radix_sort_onesweep_global_offsetsIS3_Lb1EPiPS5_mNS0_19identity_decomposerEEE10hipError_tT1_T2_PT3_SE_jT4_jjP12ihipStream_tbEUlT_E_NS1_11comp_targetILNS1_3genE10ELNS1_11target_archE1201ELNS1_3gpuE5ELNS1_3repE0EEENS1_52radix_sort_onesweep_histogram_config_static_selectorELNS0_4arch9wavefront6targetE1EEEvSC_,"axG",@progbits,_ZN7rocprim17ROCPRIM_400000_NS6detail17trampoline_kernelINS0_14default_configENS1_35radix_sort_onesweep_config_selectorIiNS0_10empty_typeEEEZNS1_34radix_sort_onesweep_global_offsetsIS3_Lb1EPiPS5_mNS0_19identity_decomposerEEE10hipError_tT1_T2_PT3_SE_jT4_jjP12ihipStream_tbEUlT_E_NS1_11comp_targetILNS1_3genE10ELNS1_11target_archE1201ELNS1_3gpuE5ELNS1_3repE0EEENS1_52radix_sort_onesweep_histogram_config_static_selectorELNS0_4arch9wavefront6targetE1EEEvSC_,comdat
	.protected	_ZN7rocprim17ROCPRIM_400000_NS6detail17trampoline_kernelINS0_14default_configENS1_35radix_sort_onesweep_config_selectorIiNS0_10empty_typeEEEZNS1_34radix_sort_onesweep_global_offsetsIS3_Lb1EPiPS5_mNS0_19identity_decomposerEEE10hipError_tT1_T2_PT3_SE_jT4_jjP12ihipStream_tbEUlT_E_NS1_11comp_targetILNS1_3genE10ELNS1_11target_archE1201ELNS1_3gpuE5ELNS1_3repE0EEENS1_52radix_sort_onesweep_histogram_config_static_selectorELNS0_4arch9wavefront6targetE1EEEvSC_ ; -- Begin function _ZN7rocprim17ROCPRIM_400000_NS6detail17trampoline_kernelINS0_14default_configENS1_35radix_sort_onesweep_config_selectorIiNS0_10empty_typeEEEZNS1_34radix_sort_onesweep_global_offsetsIS3_Lb1EPiPS5_mNS0_19identity_decomposerEEE10hipError_tT1_T2_PT3_SE_jT4_jjP12ihipStream_tbEUlT_E_NS1_11comp_targetILNS1_3genE10ELNS1_11target_archE1201ELNS1_3gpuE5ELNS1_3repE0EEENS1_52radix_sort_onesweep_histogram_config_static_selectorELNS0_4arch9wavefront6targetE1EEEvSC_
	.globl	_ZN7rocprim17ROCPRIM_400000_NS6detail17trampoline_kernelINS0_14default_configENS1_35radix_sort_onesweep_config_selectorIiNS0_10empty_typeEEEZNS1_34radix_sort_onesweep_global_offsetsIS3_Lb1EPiPS5_mNS0_19identity_decomposerEEE10hipError_tT1_T2_PT3_SE_jT4_jjP12ihipStream_tbEUlT_E_NS1_11comp_targetILNS1_3genE10ELNS1_11target_archE1201ELNS1_3gpuE5ELNS1_3repE0EEENS1_52radix_sort_onesweep_histogram_config_static_selectorELNS0_4arch9wavefront6targetE1EEEvSC_
	.p2align	8
	.type	_ZN7rocprim17ROCPRIM_400000_NS6detail17trampoline_kernelINS0_14default_configENS1_35radix_sort_onesweep_config_selectorIiNS0_10empty_typeEEEZNS1_34radix_sort_onesweep_global_offsetsIS3_Lb1EPiPS5_mNS0_19identity_decomposerEEE10hipError_tT1_T2_PT3_SE_jT4_jjP12ihipStream_tbEUlT_E_NS1_11comp_targetILNS1_3genE10ELNS1_11target_archE1201ELNS1_3gpuE5ELNS1_3repE0EEENS1_52radix_sort_onesweep_histogram_config_static_selectorELNS0_4arch9wavefront6targetE1EEEvSC_,@function
_ZN7rocprim17ROCPRIM_400000_NS6detail17trampoline_kernelINS0_14default_configENS1_35radix_sort_onesweep_config_selectorIiNS0_10empty_typeEEEZNS1_34radix_sort_onesweep_global_offsetsIS3_Lb1EPiPS5_mNS0_19identity_decomposerEEE10hipError_tT1_T2_PT3_SE_jT4_jjP12ihipStream_tbEUlT_E_NS1_11comp_targetILNS1_3genE10ELNS1_11target_archE1201ELNS1_3gpuE5ELNS1_3repE0EEENS1_52radix_sort_onesweep_histogram_config_static_selectorELNS0_4arch9wavefront6targetE1EEEvSC_: ; @_ZN7rocprim17ROCPRIM_400000_NS6detail17trampoline_kernelINS0_14default_configENS1_35radix_sort_onesweep_config_selectorIiNS0_10empty_typeEEEZNS1_34radix_sort_onesweep_global_offsetsIS3_Lb1EPiPS5_mNS0_19identity_decomposerEEE10hipError_tT1_T2_PT3_SE_jT4_jjP12ihipStream_tbEUlT_E_NS1_11comp_targetILNS1_3genE10ELNS1_11target_archE1201ELNS1_3gpuE5ELNS1_3repE0EEENS1_52radix_sort_onesweep_histogram_config_static_selectorELNS0_4arch9wavefront6targetE1EEEvSC_
; %bb.0:
	.section	.rodata,"a",@progbits
	.p2align	6, 0x0
	.amdhsa_kernel _ZN7rocprim17ROCPRIM_400000_NS6detail17trampoline_kernelINS0_14default_configENS1_35radix_sort_onesweep_config_selectorIiNS0_10empty_typeEEEZNS1_34radix_sort_onesweep_global_offsetsIS3_Lb1EPiPS5_mNS0_19identity_decomposerEEE10hipError_tT1_T2_PT3_SE_jT4_jjP12ihipStream_tbEUlT_E_NS1_11comp_targetILNS1_3genE10ELNS1_11target_archE1201ELNS1_3gpuE5ELNS1_3repE0EEENS1_52radix_sort_onesweep_histogram_config_static_selectorELNS0_4arch9wavefront6targetE1EEEvSC_
		.amdhsa_group_segment_fixed_size 0
		.amdhsa_private_segment_fixed_size 0
		.amdhsa_kernarg_size 48
		.amdhsa_user_sgpr_count 6
		.amdhsa_user_sgpr_private_segment_buffer 1
		.amdhsa_user_sgpr_dispatch_ptr 0
		.amdhsa_user_sgpr_queue_ptr 0
		.amdhsa_user_sgpr_kernarg_segment_ptr 1
		.amdhsa_user_sgpr_dispatch_id 0
		.amdhsa_user_sgpr_flat_scratch_init 0
		.amdhsa_user_sgpr_kernarg_preload_length 0
		.amdhsa_user_sgpr_kernarg_preload_offset 0
		.amdhsa_user_sgpr_private_segment_size 0
		.amdhsa_uses_dynamic_stack 0
		.amdhsa_system_sgpr_private_segment_wavefront_offset 0
		.amdhsa_system_sgpr_workgroup_id_x 1
		.amdhsa_system_sgpr_workgroup_id_y 0
		.amdhsa_system_sgpr_workgroup_id_z 0
		.amdhsa_system_sgpr_workgroup_info 0
		.amdhsa_system_vgpr_workitem_id 0
		.amdhsa_next_free_vgpr 1
		.amdhsa_next_free_sgpr 0
		.amdhsa_accum_offset 4
		.amdhsa_reserve_vcc 0
		.amdhsa_reserve_flat_scratch 0
		.amdhsa_float_round_mode_32 0
		.amdhsa_float_round_mode_16_64 0
		.amdhsa_float_denorm_mode_32 3
		.amdhsa_float_denorm_mode_16_64 3
		.amdhsa_dx10_clamp 1
		.amdhsa_ieee_mode 1
		.amdhsa_fp16_overflow 0
		.amdhsa_tg_split 0
		.amdhsa_exception_fp_ieee_invalid_op 0
		.amdhsa_exception_fp_denorm_src 0
		.amdhsa_exception_fp_ieee_div_zero 0
		.amdhsa_exception_fp_ieee_overflow 0
		.amdhsa_exception_fp_ieee_underflow 0
		.amdhsa_exception_fp_ieee_inexact 0
		.amdhsa_exception_int_div_zero 0
	.end_amdhsa_kernel
	.section	.text._ZN7rocprim17ROCPRIM_400000_NS6detail17trampoline_kernelINS0_14default_configENS1_35radix_sort_onesweep_config_selectorIiNS0_10empty_typeEEEZNS1_34radix_sort_onesweep_global_offsetsIS3_Lb1EPiPS5_mNS0_19identity_decomposerEEE10hipError_tT1_T2_PT3_SE_jT4_jjP12ihipStream_tbEUlT_E_NS1_11comp_targetILNS1_3genE10ELNS1_11target_archE1201ELNS1_3gpuE5ELNS1_3repE0EEENS1_52radix_sort_onesweep_histogram_config_static_selectorELNS0_4arch9wavefront6targetE1EEEvSC_,"axG",@progbits,_ZN7rocprim17ROCPRIM_400000_NS6detail17trampoline_kernelINS0_14default_configENS1_35radix_sort_onesweep_config_selectorIiNS0_10empty_typeEEEZNS1_34radix_sort_onesweep_global_offsetsIS3_Lb1EPiPS5_mNS0_19identity_decomposerEEE10hipError_tT1_T2_PT3_SE_jT4_jjP12ihipStream_tbEUlT_E_NS1_11comp_targetILNS1_3genE10ELNS1_11target_archE1201ELNS1_3gpuE5ELNS1_3repE0EEENS1_52radix_sort_onesweep_histogram_config_static_selectorELNS0_4arch9wavefront6targetE1EEEvSC_,comdat
.Lfunc_end2000:
	.size	_ZN7rocprim17ROCPRIM_400000_NS6detail17trampoline_kernelINS0_14default_configENS1_35radix_sort_onesweep_config_selectorIiNS0_10empty_typeEEEZNS1_34radix_sort_onesweep_global_offsetsIS3_Lb1EPiPS5_mNS0_19identity_decomposerEEE10hipError_tT1_T2_PT3_SE_jT4_jjP12ihipStream_tbEUlT_E_NS1_11comp_targetILNS1_3genE10ELNS1_11target_archE1201ELNS1_3gpuE5ELNS1_3repE0EEENS1_52radix_sort_onesweep_histogram_config_static_selectorELNS0_4arch9wavefront6targetE1EEEvSC_, .Lfunc_end2000-_ZN7rocprim17ROCPRIM_400000_NS6detail17trampoline_kernelINS0_14default_configENS1_35radix_sort_onesweep_config_selectorIiNS0_10empty_typeEEEZNS1_34radix_sort_onesweep_global_offsetsIS3_Lb1EPiPS5_mNS0_19identity_decomposerEEE10hipError_tT1_T2_PT3_SE_jT4_jjP12ihipStream_tbEUlT_E_NS1_11comp_targetILNS1_3genE10ELNS1_11target_archE1201ELNS1_3gpuE5ELNS1_3repE0EEENS1_52radix_sort_onesweep_histogram_config_static_selectorELNS0_4arch9wavefront6targetE1EEEvSC_
                                        ; -- End function
	.section	.AMDGPU.csdata,"",@progbits
; Kernel info:
; codeLenInByte = 0
; NumSgprs: 4
; NumVgprs: 0
; NumAgprs: 0
; TotalNumVgprs: 0
; ScratchSize: 0
; MemoryBound: 0
; FloatMode: 240
; IeeeMode: 1
; LDSByteSize: 0 bytes/workgroup (compile time only)
; SGPRBlocks: 0
; VGPRBlocks: 0
; NumSGPRsForWavesPerEU: 4
; NumVGPRsForWavesPerEU: 1
; AccumOffset: 4
; Occupancy: 8
; WaveLimiterHint : 0
; COMPUTE_PGM_RSRC2:SCRATCH_EN: 0
; COMPUTE_PGM_RSRC2:USER_SGPR: 6
; COMPUTE_PGM_RSRC2:TRAP_HANDLER: 0
; COMPUTE_PGM_RSRC2:TGID_X_EN: 1
; COMPUTE_PGM_RSRC2:TGID_Y_EN: 0
; COMPUTE_PGM_RSRC2:TGID_Z_EN: 0
; COMPUTE_PGM_RSRC2:TIDIG_COMP_CNT: 0
; COMPUTE_PGM_RSRC3_GFX90A:ACCUM_OFFSET: 0
; COMPUTE_PGM_RSRC3_GFX90A:TG_SPLIT: 0
	.section	.text._ZN7rocprim17ROCPRIM_400000_NS6detail17trampoline_kernelINS0_14default_configENS1_35radix_sort_onesweep_config_selectorIiNS0_10empty_typeEEEZNS1_34radix_sort_onesweep_global_offsetsIS3_Lb1EPiPS5_mNS0_19identity_decomposerEEE10hipError_tT1_T2_PT3_SE_jT4_jjP12ihipStream_tbEUlT_E_NS1_11comp_targetILNS1_3genE9ELNS1_11target_archE1100ELNS1_3gpuE3ELNS1_3repE0EEENS1_52radix_sort_onesweep_histogram_config_static_selectorELNS0_4arch9wavefront6targetE1EEEvSC_,"axG",@progbits,_ZN7rocprim17ROCPRIM_400000_NS6detail17trampoline_kernelINS0_14default_configENS1_35radix_sort_onesweep_config_selectorIiNS0_10empty_typeEEEZNS1_34radix_sort_onesweep_global_offsetsIS3_Lb1EPiPS5_mNS0_19identity_decomposerEEE10hipError_tT1_T2_PT3_SE_jT4_jjP12ihipStream_tbEUlT_E_NS1_11comp_targetILNS1_3genE9ELNS1_11target_archE1100ELNS1_3gpuE3ELNS1_3repE0EEENS1_52radix_sort_onesweep_histogram_config_static_selectorELNS0_4arch9wavefront6targetE1EEEvSC_,comdat
	.protected	_ZN7rocprim17ROCPRIM_400000_NS6detail17trampoline_kernelINS0_14default_configENS1_35radix_sort_onesweep_config_selectorIiNS0_10empty_typeEEEZNS1_34radix_sort_onesweep_global_offsetsIS3_Lb1EPiPS5_mNS0_19identity_decomposerEEE10hipError_tT1_T2_PT3_SE_jT4_jjP12ihipStream_tbEUlT_E_NS1_11comp_targetILNS1_3genE9ELNS1_11target_archE1100ELNS1_3gpuE3ELNS1_3repE0EEENS1_52radix_sort_onesweep_histogram_config_static_selectorELNS0_4arch9wavefront6targetE1EEEvSC_ ; -- Begin function _ZN7rocprim17ROCPRIM_400000_NS6detail17trampoline_kernelINS0_14default_configENS1_35radix_sort_onesweep_config_selectorIiNS0_10empty_typeEEEZNS1_34radix_sort_onesweep_global_offsetsIS3_Lb1EPiPS5_mNS0_19identity_decomposerEEE10hipError_tT1_T2_PT3_SE_jT4_jjP12ihipStream_tbEUlT_E_NS1_11comp_targetILNS1_3genE9ELNS1_11target_archE1100ELNS1_3gpuE3ELNS1_3repE0EEENS1_52radix_sort_onesweep_histogram_config_static_selectorELNS0_4arch9wavefront6targetE1EEEvSC_
	.globl	_ZN7rocprim17ROCPRIM_400000_NS6detail17trampoline_kernelINS0_14default_configENS1_35radix_sort_onesweep_config_selectorIiNS0_10empty_typeEEEZNS1_34radix_sort_onesweep_global_offsetsIS3_Lb1EPiPS5_mNS0_19identity_decomposerEEE10hipError_tT1_T2_PT3_SE_jT4_jjP12ihipStream_tbEUlT_E_NS1_11comp_targetILNS1_3genE9ELNS1_11target_archE1100ELNS1_3gpuE3ELNS1_3repE0EEENS1_52radix_sort_onesweep_histogram_config_static_selectorELNS0_4arch9wavefront6targetE1EEEvSC_
	.p2align	8
	.type	_ZN7rocprim17ROCPRIM_400000_NS6detail17trampoline_kernelINS0_14default_configENS1_35radix_sort_onesweep_config_selectorIiNS0_10empty_typeEEEZNS1_34radix_sort_onesweep_global_offsetsIS3_Lb1EPiPS5_mNS0_19identity_decomposerEEE10hipError_tT1_T2_PT3_SE_jT4_jjP12ihipStream_tbEUlT_E_NS1_11comp_targetILNS1_3genE9ELNS1_11target_archE1100ELNS1_3gpuE3ELNS1_3repE0EEENS1_52radix_sort_onesweep_histogram_config_static_selectorELNS0_4arch9wavefront6targetE1EEEvSC_,@function
_ZN7rocprim17ROCPRIM_400000_NS6detail17trampoline_kernelINS0_14default_configENS1_35radix_sort_onesweep_config_selectorIiNS0_10empty_typeEEEZNS1_34radix_sort_onesweep_global_offsetsIS3_Lb1EPiPS5_mNS0_19identity_decomposerEEE10hipError_tT1_T2_PT3_SE_jT4_jjP12ihipStream_tbEUlT_E_NS1_11comp_targetILNS1_3genE9ELNS1_11target_archE1100ELNS1_3gpuE3ELNS1_3repE0EEENS1_52radix_sort_onesweep_histogram_config_static_selectorELNS0_4arch9wavefront6targetE1EEEvSC_: ; @_ZN7rocprim17ROCPRIM_400000_NS6detail17trampoline_kernelINS0_14default_configENS1_35radix_sort_onesweep_config_selectorIiNS0_10empty_typeEEEZNS1_34radix_sort_onesweep_global_offsetsIS3_Lb1EPiPS5_mNS0_19identity_decomposerEEE10hipError_tT1_T2_PT3_SE_jT4_jjP12ihipStream_tbEUlT_E_NS1_11comp_targetILNS1_3genE9ELNS1_11target_archE1100ELNS1_3gpuE3ELNS1_3repE0EEENS1_52radix_sort_onesweep_histogram_config_static_selectorELNS0_4arch9wavefront6targetE1EEEvSC_
; %bb.0:
	.section	.rodata,"a",@progbits
	.p2align	6, 0x0
	.amdhsa_kernel _ZN7rocprim17ROCPRIM_400000_NS6detail17trampoline_kernelINS0_14default_configENS1_35radix_sort_onesweep_config_selectorIiNS0_10empty_typeEEEZNS1_34radix_sort_onesweep_global_offsetsIS3_Lb1EPiPS5_mNS0_19identity_decomposerEEE10hipError_tT1_T2_PT3_SE_jT4_jjP12ihipStream_tbEUlT_E_NS1_11comp_targetILNS1_3genE9ELNS1_11target_archE1100ELNS1_3gpuE3ELNS1_3repE0EEENS1_52radix_sort_onesweep_histogram_config_static_selectorELNS0_4arch9wavefront6targetE1EEEvSC_
		.amdhsa_group_segment_fixed_size 0
		.amdhsa_private_segment_fixed_size 0
		.amdhsa_kernarg_size 48
		.amdhsa_user_sgpr_count 6
		.amdhsa_user_sgpr_private_segment_buffer 1
		.amdhsa_user_sgpr_dispatch_ptr 0
		.amdhsa_user_sgpr_queue_ptr 0
		.amdhsa_user_sgpr_kernarg_segment_ptr 1
		.amdhsa_user_sgpr_dispatch_id 0
		.amdhsa_user_sgpr_flat_scratch_init 0
		.amdhsa_user_sgpr_kernarg_preload_length 0
		.amdhsa_user_sgpr_kernarg_preload_offset 0
		.amdhsa_user_sgpr_private_segment_size 0
		.amdhsa_uses_dynamic_stack 0
		.amdhsa_system_sgpr_private_segment_wavefront_offset 0
		.amdhsa_system_sgpr_workgroup_id_x 1
		.amdhsa_system_sgpr_workgroup_id_y 0
		.amdhsa_system_sgpr_workgroup_id_z 0
		.amdhsa_system_sgpr_workgroup_info 0
		.amdhsa_system_vgpr_workitem_id 0
		.amdhsa_next_free_vgpr 1
		.amdhsa_next_free_sgpr 0
		.amdhsa_accum_offset 4
		.amdhsa_reserve_vcc 0
		.amdhsa_reserve_flat_scratch 0
		.amdhsa_float_round_mode_32 0
		.amdhsa_float_round_mode_16_64 0
		.amdhsa_float_denorm_mode_32 3
		.amdhsa_float_denorm_mode_16_64 3
		.amdhsa_dx10_clamp 1
		.amdhsa_ieee_mode 1
		.amdhsa_fp16_overflow 0
		.amdhsa_tg_split 0
		.amdhsa_exception_fp_ieee_invalid_op 0
		.amdhsa_exception_fp_denorm_src 0
		.amdhsa_exception_fp_ieee_div_zero 0
		.amdhsa_exception_fp_ieee_overflow 0
		.amdhsa_exception_fp_ieee_underflow 0
		.amdhsa_exception_fp_ieee_inexact 0
		.amdhsa_exception_int_div_zero 0
	.end_amdhsa_kernel
	.section	.text._ZN7rocprim17ROCPRIM_400000_NS6detail17trampoline_kernelINS0_14default_configENS1_35radix_sort_onesweep_config_selectorIiNS0_10empty_typeEEEZNS1_34radix_sort_onesweep_global_offsetsIS3_Lb1EPiPS5_mNS0_19identity_decomposerEEE10hipError_tT1_T2_PT3_SE_jT4_jjP12ihipStream_tbEUlT_E_NS1_11comp_targetILNS1_3genE9ELNS1_11target_archE1100ELNS1_3gpuE3ELNS1_3repE0EEENS1_52radix_sort_onesweep_histogram_config_static_selectorELNS0_4arch9wavefront6targetE1EEEvSC_,"axG",@progbits,_ZN7rocprim17ROCPRIM_400000_NS6detail17trampoline_kernelINS0_14default_configENS1_35radix_sort_onesweep_config_selectorIiNS0_10empty_typeEEEZNS1_34radix_sort_onesweep_global_offsetsIS3_Lb1EPiPS5_mNS0_19identity_decomposerEEE10hipError_tT1_T2_PT3_SE_jT4_jjP12ihipStream_tbEUlT_E_NS1_11comp_targetILNS1_3genE9ELNS1_11target_archE1100ELNS1_3gpuE3ELNS1_3repE0EEENS1_52radix_sort_onesweep_histogram_config_static_selectorELNS0_4arch9wavefront6targetE1EEEvSC_,comdat
.Lfunc_end2001:
	.size	_ZN7rocprim17ROCPRIM_400000_NS6detail17trampoline_kernelINS0_14default_configENS1_35radix_sort_onesweep_config_selectorIiNS0_10empty_typeEEEZNS1_34radix_sort_onesweep_global_offsetsIS3_Lb1EPiPS5_mNS0_19identity_decomposerEEE10hipError_tT1_T2_PT3_SE_jT4_jjP12ihipStream_tbEUlT_E_NS1_11comp_targetILNS1_3genE9ELNS1_11target_archE1100ELNS1_3gpuE3ELNS1_3repE0EEENS1_52radix_sort_onesweep_histogram_config_static_selectorELNS0_4arch9wavefront6targetE1EEEvSC_, .Lfunc_end2001-_ZN7rocprim17ROCPRIM_400000_NS6detail17trampoline_kernelINS0_14default_configENS1_35radix_sort_onesweep_config_selectorIiNS0_10empty_typeEEEZNS1_34radix_sort_onesweep_global_offsetsIS3_Lb1EPiPS5_mNS0_19identity_decomposerEEE10hipError_tT1_T2_PT3_SE_jT4_jjP12ihipStream_tbEUlT_E_NS1_11comp_targetILNS1_3genE9ELNS1_11target_archE1100ELNS1_3gpuE3ELNS1_3repE0EEENS1_52radix_sort_onesweep_histogram_config_static_selectorELNS0_4arch9wavefront6targetE1EEEvSC_
                                        ; -- End function
	.section	.AMDGPU.csdata,"",@progbits
; Kernel info:
; codeLenInByte = 0
; NumSgprs: 4
; NumVgprs: 0
; NumAgprs: 0
; TotalNumVgprs: 0
; ScratchSize: 0
; MemoryBound: 0
; FloatMode: 240
; IeeeMode: 1
; LDSByteSize: 0 bytes/workgroup (compile time only)
; SGPRBlocks: 0
; VGPRBlocks: 0
; NumSGPRsForWavesPerEU: 4
; NumVGPRsForWavesPerEU: 1
; AccumOffset: 4
; Occupancy: 8
; WaveLimiterHint : 0
; COMPUTE_PGM_RSRC2:SCRATCH_EN: 0
; COMPUTE_PGM_RSRC2:USER_SGPR: 6
; COMPUTE_PGM_RSRC2:TRAP_HANDLER: 0
; COMPUTE_PGM_RSRC2:TGID_X_EN: 1
; COMPUTE_PGM_RSRC2:TGID_Y_EN: 0
; COMPUTE_PGM_RSRC2:TGID_Z_EN: 0
; COMPUTE_PGM_RSRC2:TIDIG_COMP_CNT: 0
; COMPUTE_PGM_RSRC3_GFX90A:ACCUM_OFFSET: 0
; COMPUTE_PGM_RSRC3_GFX90A:TG_SPLIT: 0
	.section	.text._ZN7rocprim17ROCPRIM_400000_NS6detail17trampoline_kernelINS0_14default_configENS1_35radix_sort_onesweep_config_selectorIiNS0_10empty_typeEEEZNS1_34radix_sort_onesweep_global_offsetsIS3_Lb1EPiPS5_mNS0_19identity_decomposerEEE10hipError_tT1_T2_PT3_SE_jT4_jjP12ihipStream_tbEUlT_E_NS1_11comp_targetILNS1_3genE8ELNS1_11target_archE1030ELNS1_3gpuE2ELNS1_3repE0EEENS1_52radix_sort_onesweep_histogram_config_static_selectorELNS0_4arch9wavefront6targetE1EEEvSC_,"axG",@progbits,_ZN7rocprim17ROCPRIM_400000_NS6detail17trampoline_kernelINS0_14default_configENS1_35radix_sort_onesweep_config_selectorIiNS0_10empty_typeEEEZNS1_34radix_sort_onesweep_global_offsetsIS3_Lb1EPiPS5_mNS0_19identity_decomposerEEE10hipError_tT1_T2_PT3_SE_jT4_jjP12ihipStream_tbEUlT_E_NS1_11comp_targetILNS1_3genE8ELNS1_11target_archE1030ELNS1_3gpuE2ELNS1_3repE0EEENS1_52radix_sort_onesweep_histogram_config_static_selectorELNS0_4arch9wavefront6targetE1EEEvSC_,comdat
	.protected	_ZN7rocprim17ROCPRIM_400000_NS6detail17trampoline_kernelINS0_14default_configENS1_35radix_sort_onesweep_config_selectorIiNS0_10empty_typeEEEZNS1_34radix_sort_onesweep_global_offsetsIS3_Lb1EPiPS5_mNS0_19identity_decomposerEEE10hipError_tT1_T2_PT3_SE_jT4_jjP12ihipStream_tbEUlT_E_NS1_11comp_targetILNS1_3genE8ELNS1_11target_archE1030ELNS1_3gpuE2ELNS1_3repE0EEENS1_52radix_sort_onesweep_histogram_config_static_selectorELNS0_4arch9wavefront6targetE1EEEvSC_ ; -- Begin function _ZN7rocprim17ROCPRIM_400000_NS6detail17trampoline_kernelINS0_14default_configENS1_35radix_sort_onesweep_config_selectorIiNS0_10empty_typeEEEZNS1_34radix_sort_onesweep_global_offsetsIS3_Lb1EPiPS5_mNS0_19identity_decomposerEEE10hipError_tT1_T2_PT3_SE_jT4_jjP12ihipStream_tbEUlT_E_NS1_11comp_targetILNS1_3genE8ELNS1_11target_archE1030ELNS1_3gpuE2ELNS1_3repE0EEENS1_52radix_sort_onesweep_histogram_config_static_selectorELNS0_4arch9wavefront6targetE1EEEvSC_
	.globl	_ZN7rocprim17ROCPRIM_400000_NS6detail17trampoline_kernelINS0_14default_configENS1_35radix_sort_onesweep_config_selectorIiNS0_10empty_typeEEEZNS1_34radix_sort_onesweep_global_offsetsIS3_Lb1EPiPS5_mNS0_19identity_decomposerEEE10hipError_tT1_T2_PT3_SE_jT4_jjP12ihipStream_tbEUlT_E_NS1_11comp_targetILNS1_3genE8ELNS1_11target_archE1030ELNS1_3gpuE2ELNS1_3repE0EEENS1_52radix_sort_onesweep_histogram_config_static_selectorELNS0_4arch9wavefront6targetE1EEEvSC_
	.p2align	8
	.type	_ZN7rocprim17ROCPRIM_400000_NS6detail17trampoline_kernelINS0_14default_configENS1_35radix_sort_onesweep_config_selectorIiNS0_10empty_typeEEEZNS1_34radix_sort_onesweep_global_offsetsIS3_Lb1EPiPS5_mNS0_19identity_decomposerEEE10hipError_tT1_T2_PT3_SE_jT4_jjP12ihipStream_tbEUlT_E_NS1_11comp_targetILNS1_3genE8ELNS1_11target_archE1030ELNS1_3gpuE2ELNS1_3repE0EEENS1_52radix_sort_onesweep_histogram_config_static_selectorELNS0_4arch9wavefront6targetE1EEEvSC_,@function
_ZN7rocprim17ROCPRIM_400000_NS6detail17trampoline_kernelINS0_14default_configENS1_35radix_sort_onesweep_config_selectorIiNS0_10empty_typeEEEZNS1_34radix_sort_onesweep_global_offsetsIS3_Lb1EPiPS5_mNS0_19identity_decomposerEEE10hipError_tT1_T2_PT3_SE_jT4_jjP12ihipStream_tbEUlT_E_NS1_11comp_targetILNS1_3genE8ELNS1_11target_archE1030ELNS1_3gpuE2ELNS1_3repE0EEENS1_52radix_sort_onesweep_histogram_config_static_selectorELNS0_4arch9wavefront6targetE1EEEvSC_: ; @_ZN7rocprim17ROCPRIM_400000_NS6detail17trampoline_kernelINS0_14default_configENS1_35radix_sort_onesweep_config_selectorIiNS0_10empty_typeEEEZNS1_34radix_sort_onesweep_global_offsetsIS3_Lb1EPiPS5_mNS0_19identity_decomposerEEE10hipError_tT1_T2_PT3_SE_jT4_jjP12ihipStream_tbEUlT_E_NS1_11comp_targetILNS1_3genE8ELNS1_11target_archE1030ELNS1_3gpuE2ELNS1_3repE0EEENS1_52radix_sort_onesweep_histogram_config_static_selectorELNS0_4arch9wavefront6targetE1EEEvSC_
; %bb.0:
	.section	.rodata,"a",@progbits
	.p2align	6, 0x0
	.amdhsa_kernel _ZN7rocprim17ROCPRIM_400000_NS6detail17trampoline_kernelINS0_14default_configENS1_35radix_sort_onesweep_config_selectorIiNS0_10empty_typeEEEZNS1_34radix_sort_onesweep_global_offsetsIS3_Lb1EPiPS5_mNS0_19identity_decomposerEEE10hipError_tT1_T2_PT3_SE_jT4_jjP12ihipStream_tbEUlT_E_NS1_11comp_targetILNS1_3genE8ELNS1_11target_archE1030ELNS1_3gpuE2ELNS1_3repE0EEENS1_52radix_sort_onesweep_histogram_config_static_selectorELNS0_4arch9wavefront6targetE1EEEvSC_
		.amdhsa_group_segment_fixed_size 0
		.amdhsa_private_segment_fixed_size 0
		.amdhsa_kernarg_size 48
		.amdhsa_user_sgpr_count 6
		.amdhsa_user_sgpr_private_segment_buffer 1
		.amdhsa_user_sgpr_dispatch_ptr 0
		.amdhsa_user_sgpr_queue_ptr 0
		.amdhsa_user_sgpr_kernarg_segment_ptr 1
		.amdhsa_user_sgpr_dispatch_id 0
		.amdhsa_user_sgpr_flat_scratch_init 0
		.amdhsa_user_sgpr_kernarg_preload_length 0
		.amdhsa_user_sgpr_kernarg_preload_offset 0
		.amdhsa_user_sgpr_private_segment_size 0
		.amdhsa_uses_dynamic_stack 0
		.amdhsa_system_sgpr_private_segment_wavefront_offset 0
		.amdhsa_system_sgpr_workgroup_id_x 1
		.amdhsa_system_sgpr_workgroup_id_y 0
		.amdhsa_system_sgpr_workgroup_id_z 0
		.amdhsa_system_sgpr_workgroup_info 0
		.amdhsa_system_vgpr_workitem_id 0
		.amdhsa_next_free_vgpr 1
		.amdhsa_next_free_sgpr 0
		.amdhsa_accum_offset 4
		.amdhsa_reserve_vcc 0
		.amdhsa_reserve_flat_scratch 0
		.amdhsa_float_round_mode_32 0
		.amdhsa_float_round_mode_16_64 0
		.amdhsa_float_denorm_mode_32 3
		.amdhsa_float_denorm_mode_16_64 3
		.amdhsa_dx10_clamp 1
		.amdhsa_ieee_mode 1
		.amdhsa_fp16_overflow 0
		.amdhsa_tg_split 0
		.amdhsa_exception_fp_ieee_invalid_op 0
		.amdhsa_exception_fp_denorm_src 0
		.amdhsa_exception_fp_ieee_div_zero 0
		.amdhsa_exception_fp_ieee_overflow 0
		.amdhsa_exception_fp_ieee_underflow 0
		.amdhsa_exception_fp_ieee_inexact 0
		.amdhsa_exception_int_div_zero 0
	.end_amdhsa_kernel
	.section	.text._ZN7rocprim17ROCPRIM_400000_NS6detail17trampoline_kernelINS0_14default_configENS1_35radix_sort_onesweep_config_selectorIiNS0_10empty_typeEEEZNS1_34radix_sort_onesweep_global_offsetsIS3_Lb1EPiPS5_mNS0_19identity_decomposerEEE10hipError_tT1_T2_PT3_SE_jT4_jjP12ihipStream_tbEUlT_E_NS1_11comp_targetILNS1_3genE8ELNS1_11target_archE1030ELNS1_3gpuE2ELNS1_3repE0EEENS1_52radix_sort_onesweep_histogram_config_static_selectorELNS0_4arch9wavefront6targetE1EEEvSC_,"axG",@progbits,_ZN7rocprim17ROCPRIM_400000_NS6detail17trampoline_kernelINS0_14default_configENS1_35radix_sort_onesweep_config_selectorIiNS0_10empty_typeEEEZNS1_34radix_sort_onesweep_global_offsetsIS3_Lb1EPiPS5_mNS0_19identity_decomposerEEE10hipError_tT1_T2_PT3_SE_jT4_jjP12ihipStream_tbEUlT_E_NS1_11comp_targetILNS1_3genE8ELNS1_11target_archE1030ELNS1_3gpuE2ELNS1_3repE0EEENS1_52radix_sort_onesweep_histogram_config_static_selectorELNS0_4arch9wavefront6targetE1EEEvSC_,comdat
.Lfunc_end2002:
	.size	_ZN7rocprim17ROCPRIM_400000_NS6detail17trampoline_kernelINS0_14default_configENS1_35radix_sort_onesweep_config_selectorIiNS0_10empty_typeEEEZNS1_34radix_sort_onesweep_global_offsetsIS3_Lb1EPiPS5_mNS0_19identity_decomposerEEE10hipError_tT1_T2_PT3_SE_jT4_jjP12ihipStream_tbEUlT_E_NS1_11comp_targetILNS1_3genE8ELNS1_11target_archE1030ELNS1_3gpuE2ELNS1_3repE0EEENS1_52radix_sort_onesweep_histogram_config_static_selectorELNS0_4arch9wavefront6targetE1EEEvSC_, .Lfunc_end2002-_ZN7rocprim17ROCPRIM_400000_NS6detail17trampoline_kernelINS0_14default_configENS1_35radix_sort_onesweep_config_selectorIiNS0_10empty_typeEEEZNS1_34radix_sort_onesweep_global_offsetsIS3_Lb1EPiPS5_mNS0_19identity_decomposerEEE10hipError_tT1_T2_PT3_SE_jT4_jjP12ihipStream_tbEUlT_E_NS1_11comp_targetILNS1_3genE8ELNS1_11target_archE1030ELNS1_3gpuE2ELNS1_3repE0EEENS1_52radix_sort_onesweep_histogram_config_static_selectorELNS0_4arch9wavefront6targetE1EEEvSC_
                                        ; -- End function
	.section	.AMDGPU.csdata,"",@progbits
; Kernel info:
; codeLenInByte = 0
; NumSgprs: 4
; NumVgprs: 0
; NumAgprs: 0
; TotalNumVgprs: 0
; ScratchSize: 0
; MemoryBound: 0
; FloatMode: 240
; IeeeMode: 1
; LDSByteSize: 0 bytes/workgroup (compile time only)
; SGPRBlocks: 0
; VGPRBlocks: 0
; NumSGPRsForWavesPerEU: 4
; NumVGPRsForWavesPerEU: 1
; AccumOffset: 4
; Occupancy: 8
; WaveLimiterHint : 0
; COMPUTE_PGM_RSRC2:SCRATCH_EN: 0
; COMPUTE_PGM_RSRC2:USER_SGPR: 6
; COMPUTE_PGM_RSRC2:TRAP_HANDLER: 0
; COMPUTE_PGM_RSRC2:TGID_X_EN: 1
; COMPUTE_PGM_RSRC2:TGID_Y_EN: 0
; COMPUTE_PGM_RSRC2:TGID_Z_EN: 0
; COMPUTE_PGM_RSRC2:TIDIG_COMP_CNT: 0
; COMPUTE_PGM_RSRC3_GFX90A:ACCUM_OFFSET: 0
; COMPUTE_PGM_RSRC3_GFX90A:TG_SPLIT: 0
	.section	.text._ZN7rocprim17ROCPRIM_400000_NS6detail17trampoline_kernelINS0_14default_configENS1_35radix_sort_onesweep_config_selectorIiNS0_10empty_typeEEEZNS1_34radix_sort_onesweep_global_offsetsIS3_Lb1EPiPS5_mNS0_19identity_decomposerEEE10hipError_tT1_T2_PT3_SE_jT4_jjP12ihipStream_tbEUlT_E0_NS1_11comp_targetILNS1_3genE0ELNS1_11target_archE4294967295ELNS1_3gpuE0ELNS1_3repE0EEENS1_52radix_sort_onesweep_histogram_config_static_selectorELNS0_4arch9wavefront6targetE1EEEvSC_,"axG",@progbits,_ZN7rocprim17ROCPRIM_400000_NS6detail17trampoline_kernelINS0_14default_configENS1_35radix_sort_onesweep_config_selectorIiNS0_10empty_typeEEEZNS1_34radix_sort_onesweep_global_offsetsIS3_Lb1EPiPS5_mNS0_19identity_decomposerEEE10hipError_tT1_T2_PT3_SE_jT4_jjP12ihipStream_tbEUlT_E0_NS1_11comp_targetILNS1_3genE0ELNS1_11target_archE4294967295ELNS1_3gpuE0ELNS1_3repE0EEENS1_52radix_sort_onesweep_histogram_config_static_selectorELNS0_4arch9wavefront6targetE1EEEvSC_,comdat
	.protected	_ZN7rocprim17ROCPRIM_400000_NS6detail17trampoline_kernelINS0_14default_configENS1_35radix_sort_onesweep_config_selectorIiNS0_10empty_typeEEEZNS1_34radix_sort_onesweep_global_offsetsIS3_Lb1EPiPS5_mNS0_19identity_decomposerEEE10hipError_tT1_T2_PT3_SE_jT4_jjP12ihipStream_tbEUlT_E0_NS1_11comp_targetILNS1_3genE0ELNS1_11target_archE4294967295ELNS1_3gpuE0ELNS1_3repE0EEENS1_52radix_sort_onesweep_histogram_config_static_selectorELNS0_4arch9wavefront6targetE1EEEvSC_ ; -- Begin function _ZN7rocprim17ROCPRIM_400000_NS6detail17trampoline_kernelINS0_14default_configENS1_35radix_sort_onesweep_config_selectorIiNS0_10empty_typeEEEZNS1_34radix_sort_onesweep_global_offsetsIS3_Lb1EPiPS5_mNS0_19identity_decomposerEEE10hipError_tT1_T2_PT3_SE_jT4_jjP12ihipStream_tbEUlT_E0_NS1_11comp_targetILNS1_3genE0ELNS1_11target_archE4294967295ELNS1_3gpuE0ELNS1_3repE0EEENS1_52radix_sort_onesweep_histogram_config_static_selectorELNS0_4arch9wavefront6targetE1EEEvSC_
	.globl	_ZN7rocprim17ROCPRIM_400000_NS6detail17trampoline_kernelINS0_14default_configENS1_35radix_sort_onesweep_config_selectorIiNS0_10empty_typeEEEZNS1_34radix_sort_onesweep_global_offsetsIS3_Lb1EPiPS5_mNS0_19identity_decomposerEEE10hipError_tT1_T2_PT3_SE_jT4_jjP12ihipStream_tbEUlT_E0_NS1_11comp_targetILNS1_3genE0ELNS1_11target_archE4294967295ELNS1_3gpuE0ELNS1_3repE0EEENS1_52radix_sort_onesweep_histogram_config_static_selectorELNS0_4arch9wavefront6targetE1EEEvSC_
	.p2align	8
	.type	_ZN7rocprim17ROCPRIM_400000_NS6detail17trampoline_kernelINS0_14default_configENS1_35radix_sort_onesweep_config_selectorIiNS0_10empty_typeEEEZNS1_34radix_sort_onesweep_global_offsetsIS3_Lb1EPiPS5_mNS0_19identity_decomposerEEE10hipError_tT1_T2_PT3_SE_jT4_jjP12ihipStream_tbEUlT_E0_NS1_11comp_targetILNS1_3genE0ELNS1_11target_archE4294967295ELNS1_3gpuE0ELNS1_3repE0EEENS1_52radix_sort_onesweep_histogram_config_static_selectorELNS0_4arch9wavefront6targetE1EEEvSC_,@function
_ZN7rocprim17ROCPRIM_400000_NS6detail17trampoline_kernelINS0_14default_configENS1_35radix_sort_onesweep_config_selectorIiNS0_10empty_typeEEEZNS1_34radix_sort_onesweep_global_offsetsIS3_Lb1EPiPS5_mNS0_19identity_decomposerEEE10hipError_tT1_T2_PT3_SE_jT4_jjP12ihipStream_tbEUlT_E0_NS1_11comp_targetILNS1_3genE0ELNS1_11target_archE4294967295ELNS1_3gpuE0ELNS1_3repE0EEENS1_52radix_sort_onesweep_histogram_config_static_selectorELNS0_4arch9wavefront6targetE1EEEvSC_: ; @_ZN7rocprim17ROCPRIM_400000_NS6detail17trampoline_kernelINS0_14default_configENS1_35radix_sort_onesweep_config_selectorIiNS0_10empty_typeEEEZNS1_34radix_sort_onesweep_global_offsetsIS3_Lb1EPiPS5_mNS0_19identity_decomposerEEE10hipError_tT1_T2_PT3_SE_jT4_jjP12ihipStream_tbEUlT_E0_NS1_11comp_targetILNS1_3genE0ELNS1_11target_archE4294967295ELNS1_3gpuE0ELNS1_3repE0EEENS1_52radix_sort_onesweep_histogram_config_static_selectorELNS0_4arch9wavefront6targetE1EEEvSC_
; %bb.0:
	.section	.rodata,"a",@progbits
	.p2align	6, 0x0
	.amdhsa_kernel _ZN7rocprim17ROCPRIM_400000_NS6detail17trampoline_kernelINS0_14default_configENS1_35radix_sort_onesweep_config_selectorIiNS0_10empty_typeEEEZNS1_34radix_sort_onesweep_global_offsetsIS3_Lb1EPiPS5_mNS0_19identity_decomposerEEE10hipError_tT1_T2_PT3_SE_jT4_jjP12ihipStream_tbEUlT_E0_NS1_11comp_targetILNS1_3genE0ELNS1_11target_archE4294967295ELNS1_3gpuE0ELNS1_3repE0EEENS1_52radix_sort_onesweep_histogram_config_static_selectorELNS0_4arch9wavefront6targetE1EEEvSC_
		.amdhsa_group_segment_fixed_size 0
		.amdhsa_private_segment_fixed_size 0
		.amdhsa_kernarg_size 8
		.amdhsa_user_sgpr_count 6
		.amdhsa_user_sgpr_private_segment_buffer 1
		.amdhsa_user_sgpr_dispatch_ptr 0
		.amdhsa_user_sgpr_queue_ptr 0
		.amdhsa_user_sgpr_kernarg_segment_ptr 1
		.amdhsa_user_sgpr_dispatch_id 0
		.amdhsa_user_sgpr_flat_scratch_init 0
		.amdhsa_user_sgpr_kernarg_preload_length 0
		.amdhsa_user_sgpr_kernarg_preload_offset 0
		.amdhsa_user_sgpr_private_segment_size 0
		.amdhsa_uses_dynamic_stack 0
		.amdhsa_system_sgpr_private_segment_wavefront_offset 0
		.amdhsa_system_sgpr_workgroup_id_x 1
		.amdhsa_system_sgpr_workgroup_id_y 0
		.amdhsa_system_sgpr_workgroup_id_z 0
		.amdhsa_system_sgpr_workgroup_info 0
		.amdhsa_system_vgpr_workitem_id 0
		.amdhsa_next_free_vgpr 1
		.amdhsa_next_free_sgpr 0
		.amdhsa_accum_offset 4
		.amdhsa_reserve_vcc 0
		.amdhsa_reserve_flat_scratch 0
		.amdhsa_float_round_mode_32 0
		.amdhsa_float_round_mode_16_64 0
		.amdhsa_float_denorm_mode_32 3
		.amdhsa_float_denorm_mode_16_64 3
		.amdhsa_dx10_clamp 1
		.amdhsa_ieee_mode 1
		.amdhsa_fp16_overflow 0
		.amdhsa_tg_split 0
		.amdhsa_exception_fp_ieee_invalid_op 0
		.amdhsa_exception_fp_denorm_src 0
		.amdhsa_exception_fp_ieee_div_zero 0
		.amdhsa_exception_fp_ieee_overflow 0
		.amdhsa_exception_fp_ieee_underflow 0
		.amdhsa_exception_fp_ieee_inexact 0
		.amdhsa_exception_int_div_zero 0
	.end_amdhsa_kernel
	.section	.text._ZN7rocprim17ROCPRIM_400000_NS6detail17trampoline_kernelINS0_14default_configENS1_35radix_sort_onesweep_config_selectorIiNS0_10empty_typeEEEZNS1_34radix_sort_onesweep_global_offsetsIS3_Lb1EPiPS5_mNS0_19identity_decomposerEEE10hipError_tT1_T2_PT3_SE_jT4_jjP12ihipStream_tbEUlT_E0_NS1_11comp_targetILNS1_3genE0ELNS1_11target_archE4294967295ELNS1_3gpuE0ELNS1_3repE0EEENS1_52radix_sort_onesweep_histogram_config_static_selectorELNS0_4arch9wavefront6targetE1EEEvSC_,"axG",@progbits,_ZN7rocprim17ROCPRIM_400000_NS6detail17trampoline_kernelINS0_14default_configENS1_35radix_sort_onesweep_config_selectorIiNS0_10empty_typeEEEZNS1_34radix_sort_onesweep_global_offsetsIS3_Lb1EPiPS5_mNS0_19identity_decomposerEEE10hipError_tT1_T2_PT3_SE_jT4_jjP12ihipStream_tbEUlT_E0_NS1_11comp_targetILNS1_3genE0ELNS1_11target_archE4294967295ELNS1_3gpuE0ELNS1_3repE0EEENS1_52radix_sort_onesweep_histogram_config_static_selectorELNS0_4arch9wavefront6targetE1EEEvSC_,comdat
.Lfunc_end2003:
	.size	_ZN7rocprim17ROCPRIM_400000_NS6detail17trampoline_kernelINS0_14default_configENS1_35radix_sort_onesweep_config_selectorIiNS0_10empty_typeEEEZNS1_34radix_sort_onesweep_global_offsetsIS3_Lb1EPiPS5_mNS0_19identity_decomposerEEE10hipError_tT1_T2_PT3_SE_jT4_jjP12ihipStream_tbEUlT_E0_NS1_11comp_targetILNS1_3genE0ELNS1_11target_archE4294967295ELNS1_3gpuE0ELNS1_3repE0EEENS1_52radix_sort_onesweep_histogram_config_static_selectorELNS0_4arch9wavefront6targetE1EEEvSC_, .Lfunc_end2003-_ZN7rocprim17ROCPRIM_400000_NS6detail17trampoline_kernelINS0_14default_configENS1_35radix_sort_onesweep_config_selectorIiNS0_10empty_typeEEEZNS1_34radix_sort_onesweep_global_offsetsIS3_Lb1EPiPS5_mNS0_19identity_decomposerEEE10hipError_tT1_T2_PT3_SE_jT4_jjP12ihipStream_tbEUlT_E0_NS1_11comp_targetILNS1_3genE0ELNS1_11target_archE4294967295ELNS1_3gpuE0ELNS1_3repE0EEENS1_52radix_sort_onesweep_histogram_config_static_selectorELNS0_4arch9wavefront6targetE1EEEvSC_
                                        ; -- End function
	.section	.AMDGPU.csdata,"",@progbits
; Kernel info:
; codeLenInByte = 0
; NumSgprs: 4
; NumVgprs: 0
; NumAgprs: 0
; TotalNumVgprs: 0
; ScratchSize: 0
; MemoryBound: 0
; FloatMode: 240
; IeeeMode: 1
; LDSByteSize: 0 bytes/workgroup (compile time only)
; SGPRBlocks: 0
; VGPRBlocks: 0
; NumSGPRsForWavesPerEU: 4
; NumVGPRsForWavesPerEU: 1
; AccumOffset: 4
; Occupancy: 8
; WaveLimiterHint : 0
; COMPUTE_PGM_RSRC2:SCRATCH_EN: 0
; COMPUTE_PGM_RSRC2:USER_SGPR: 6
; COMPUTE_PGM_RSRC2:TRAP_HANDLER: 0
; COMPUTE_PGM_RSRC2:TGID_X_EN: 1
; COMPUTE_PGM_RSRC2:TGID_Y_EN: 0
; COMPUTE_PGM_RSRC2:TGID_Z_EN: 0
; COMPUTE_PGM_RSRC2:TIDIG_COMP_CNT: 0
; COMPUTE_PGM_RSRC3_GFX90A:ACCUM_OFFSET: 0
; COMPUTE_PGM_RSRC3_GFX90A:TG_SPLIT: 0
	.section	.text._ZN7rocprim17ROCPRIM_400000_NS6detail17trampoline_kernelINS0_14default_configENS1_35radix_sort_onesweep_config_selectorIiNS0_10empty_typeEEEZNS1_34radix_sort_onesweep_global_offsetsIS3_Lb1EPiPS5_mNS0_19identity_decomposerEEE10hipError_tT1_T2_PT3_SE_jT4_jjP12ihipStream_tbEUlT_E0_NS1_11comp_targetILNS1_3genE6ELNS1_11target_archE950ELNS1_3gpuE13ELNS1_3repE0EEENS1_52radix_sort_onesweep_histogram_config_static_selectorELNS0_4arch9wavefront6targetE1EEEvSC_,"axG",@progbits,_ZN7rocprim17ROCPRIM_400000_NS6detail17trampoline_kernelINS0_14default_configENS1_35radix_sort_onesweep_config_selectorIiNS0_10empty_typeEEEZNS1_34radix_sort_onesweep_global_offsetsIS3_Lb1EPiPS5_mNS0_19identity_decomposerEEE10hipError_tT1_T2_PT3_SE_jT4_jjP12ihipStream_tbEUlT_E0_NS1_11comp_targetILNS1_3genE6ELNS1_11target_archE950ELNS1_3gpuE13ELNS1_3repE0EEENS1_52radix_sort_onesweep_histogram_config_static_selectorELNS0_4arch9wavefront6targetE1EEEvSC_,comdat
	.protected	_ZN7rocprim17ROCPRIM_400000_NS6detail17trampoline_kernelINS0_14default_configENS1_35radix_sort_onesweep_config_selectorIiNS0_10empty_typeEEEZNS1_34radix_sort_onesweep_global_offsetsIS3_Lb1EPiPS5_mNS0_19identity_decomposerEEE10hipError_tT1_T2_PT3_SE_jT4_jjP12ihipStream_tbEUlT_E0_NS1_11comp_targetILNS1_3genE6ELNS1_11target_archE950ELNS1_3gpuE13ELNS1_3repE0EEENS1_52radix_sort_onesweep_histogram_config_static_selectorELNS0_4arch9wavefront6targetE1EEEvSC_ ; -- Begin function _ZN7rocprim17ROCPRIM_400000_NS6detail17trampoline_kernelINS0_14default_configENS1_35radix_sort_onesweep_config_selectorIiNS0_10empty_typeEEEZNS1_34radix_sort_onesweep_global_offsetsIS3_Lb1EPiPS5_mNS0_19identity_decomposerEEE10hipError_tT1_T2_PT3_SE_jT4_jjP12ihipStream_tbEUlT_E0_NS1_11comp_targetILNS1_3genE6ELNS1_11target_archE950ELNS1_3gpuE13ELNS1_3repE0EEENS1_52radix_sort_onesweep_histogram_config_static_selectorELNS0_4arch9wavefront6targetE1EEEvSC_
	.globl	_ZN7rocprim17ROCPRIM_400000_NS6detail17trampoline_kernelINS0_14default_configENS1_35radix_sort_onesweep_config_selectorIiNS0_10empty_typeEEEZNS1_34radix_sort_onesweep_global_offsetsIS3_Lb1EPiPS5_mNS0_19identity_decomposerEEE10hipError_tT1_T2_PT3_SE_jT4_jjP12ihipStream_tbEUlT_E0_NS1_11comp_targetILNS1_3genE6ELNS1_11target_archE950ELNS1_3gpuE13ELNS1_3repE0EEENS1_52radix_sort_onesweep_histogram_config_static_selectorELNS0_4arch9wavefront6targetE1EEEvSC_
	.p2align	8
	.type	_ZN7rocprim17ROCPRIM_400000_NS6detail17trampoline_kernelINS0_14default_configENS1_35radix_sort_onesweep_config_selectorIiNS0_10empty_typeEEEZNS1_34radix_sort_onesweep_global_offsetsIS3_Lb1EPiPS5_mNS0_19identity_decomposerEEE10hipError_tT1_T2_PT3_SE_jT4_jjP12ihipStream_tbEUlT_E0_NS1_11comp_targetILNS1_3genE6ELNS1_11target_archE950ELNS1_3gpuE13ELNS1_3repE0EEENS1_52radix_sort_onesweep_histogram_config_static_selectorELNS0_4arch9wavefront6targetE1EEEvSC_,@function
_ZN7rocprim17ROCPRIM_400000_NS6detail17trampoline_kernelINS0_14default_configENS1_35radix_sort_onesweep_config_selectorIiNS0_10empty_typeEEEZNS1_34radix_sort_onesweep_global_offsetsIS3_Lb1EPiPS5_mNS0_19identity_decomposerEEE10hipError_tT1_T2_PT3_SE_jT4_jjP12ihipStream_tbEUlT_E0_NS1_11comp_targetILNS1_3genE6ELNS1_11target_archE950ELNS1_3gpuE13ELNS1_3repE0EEENS1_52radix_sort_onesweep_histogram_config_static_selectorELNS0_4arch9wavefront6targetE1EEEvSC_: ; @_ZN7rocprim17ROCPRIM_400000_NS6detail17trampoline_kernelINS0_14default_configENS1_35radix_sort_onesweep_config_selectorIiNS0_10empty_typeEEEZNS1_34radix_sort_onesweep_global_offsetsIS3_Lb1EPiPS5_mNS0_19identity_decomposerEEE10hipError_tT1_T2_PT3_SE_jT4_jjP12ihipStream_tbEUlT_E0_NS1_11comp_targetILNS1_3genE6ELNS1_11target_archE950ELNS1_3gpuE13ELNS1_3repE0EEENS1_52radix_sort_onesweep_histogram_config_static_selectorELNS0_4arch9wavefront6targetE1EEEvSC_
; %bb.0:
	.section	.rodata,"a",@progbits
	.p2align	6, 0x0
	.amdhsa_kernel _ZN7rocprim17ROCPRIM_400000_NS6detail17trampoline_kernelINS0_14default_configENS1_35radix_sort_onesweep_config_selectorIiNS0_10empty_typeEEEZNS1_34radix_sort_onesweep_global_offsetsIS3_Lb1EPiPS5_mNS0_19identity_decomposerEEE10hipError_tT1_T2_PT3_SE_jT4_jjP12ihipStream_tbEUlT_E0_NS1_11comp_targetILNS1_3genE6ELNS1_11target_archE950ELNS1_3gpuE13ELNS1_3repE0EEENS1_52radix_sort_onesweep_histogram_config_static_selectorELNS0_4arch9wavefront6targetE1EEEvSC_
		.amdhsa_group_segment_fixed_size 0
		.amdhsa_private_segment_fixed_size 0
		.amdhsa_kernarg_size 8
		.amdhsa_user_sgpr_count 6
		.amdhsa_user_sgpr_private_segment_buffer 1
		.amdhsa_user_sgpr_dispatch_ptr 0
		.amdhsa_user_sgpr_queue_ptr 0
		.amdhsa_user_sgpr_kernarg_segment_ptr 1
		.amdhsa_user_sgpr_dispatch_id 0
		.amdhsa_user_sgpr_flat_scratch_init 0
		.amdhsa_user_sgpr_kernarg_preload_length 0
		.amdhsa_user_sgpr_kernarg_preload_offset 0
		.amdhsa_user_sgpr_private_segment_size 0
		.amdhsa_uses_dynamic_stack 0
		.amdhsa_system_sgpr_private_segment_wavefront_offset 0
		.amdhsa_system_sgpr_workgroup_id_x 1
		.amdhsa_system_sgpr_workgroup_id_y 0
		.amdhsa_system_sgpr_workgroup_id_z 0
		.amdhsa_system_sgpr_workgroup_info 0
		.amdhsa_system_vgpr_workitem_id 0
		.amdhsa_next_free_vgpr 1
		.amdhsa_next_free_sgpr 0
		.amdhsa_accum_offset 4
		.amdhsa_reserve_vcc 0
		.amdhsa_reserve_flat_scratch 0
		.amdhsa_float_round_mode_32 0
		.amdhsa_float_round_mode_16_64 0
		.amdhsa_float_denorm_mode_32 3
		.amdhsa_float_denorm_mode_16_64 3
		.amdhsa_dx10_clamp 1
		.amdhsa_ieee_mode 1
		.amdhsa_fp16_overflow 0
		.amdhsa_tg_split 0
		.amdhsa_exception_fp_ieee_invalid_op 0
		.amdhsa_exception_fp_denorm_src 0
		.amdhsa_exception_fp_ieee_div_zero 0
		.amdhsa_exception_fp_ieee_overflow 0
		.amdhsa_exception_fp_ieee_underflow 0
		.amdhsa_exception_fp_ieee_inexact 0
		.amdhsa_exception_int_div_zero 0
	.end_amdhsa_kernel
	.section	.text._ZN7rocprim17ROCPRIM_400000_NS6detail17trampoline_kernelINS0_14default_configENS1_35radix_sort_onesweep_config_selectorIiNS0_10empty_typeEEEZNS1_34radix_sort_onesweep_global_offsetsIS3_Lb1EPiPS5_mNS0_19identity_decomposerEEE10hipError_tT1_T2_PT3_SE_jT4_jjP12ihipStream_tbEUlT_E0_NS1_11comp_targetILNS1_3genE6ELNS1_11target_archE950ELNS1_3gpuE13ELNS1_3repE0EEENS1_52radix_sort_onesweep_histogram_config_static_selectorELNS0_4arch9wavefront6targetE1EEEvSC_,"axG",@progbits,_ZN7rocprim17ROCPRIM_400000_NS6detail17trampoline_kernelINS0_14default_configENS1_35radix_sort_onesweep_config_selectorIiNS0_10empty_typeEEEZNS1_34radix_sort_onesweep_global_offsetsIS3_Lb1EPiPS5_mNS0_19identity_decomposerEEE10hipError_tT1_T2_PT3_SE_jT4_jjP12ihipStream_tbEUlT_E0_NS1_11comp_targetILNS1_3genE6ELNS1_11target_archE950ELNS1_3gpuE13ELNS1_3repE0EEENS1_52radix_sort_onesweep_histogram_config_static_selectorELNS0_4arch9wavefront6targetE1EEEvSC_,comdat
.Lfunc_end2004:
	.size	_ZN7rocprim17ROCPRIM_400000_NS6detail17trampoline_kernelINS0_14default_configENS1_35radix_sort_onesweep_config_selectorIiNS0_10empty_typeEEEZNS1_34radix_sort_onesweep_global_offsetsIS3_Lb1EPiPS5_mNS0_19identity_decomposerEEE10hipError_tT1_T2_PT3_SE_jT4_jjP12ihipStream_tbEUlT_E0_NS1_11comp_targetILNS1_3genE6ELNS1_11target_archE950ELNS1_3gpuE13ELNS1_3repE0EEENS1_52radix_sort_onesweep_histogram_config_static_selectorELNS0_4arch9wavefront6targetE1EEEvSC_, .Lfunc_end2004-_ZN7rocprim17ROCPRIM_400000_NS6detail17trampoline_kernelINS0_14default_configENS1_35radix_sort_onesweep_config_selectorIiNS0_10empty_typeEEEZNS1_34radix_sort_onesweep_global_offsetsIS3_Lb1EPiPS5_mNS0_19identity_decomposerEEE10hipError_tT1_T2_PT3_SE_jT4_jjP12ihipStream_tbEUlT_E0_NS1_11comp_targetILNS1_3genE6ELNS1_11target_archE950ELNS1_3gpuE13ELNS1_3repE0EEENS1_52radix_sort_onesweep_histogram_config_static_selectorELNS0_4arch9wavefront6targetE1EEEvSC_
                                        ; -- End function
	.section	.AMDGPU.csdata,"",@progbits
; Kernel info:
; codeLenInByte = 0
; NumSgprs: 4
; NumVgprs: 0
; NumAgprs: 0
; TotalNumVgprs: 0
; ScratchSize: 0
; MemoryBound: 0
; FloatMode: 240
; IeeeMode: 1
; LDSByteSize: 0 bytes/workgroup (compile time only)
; SGPRBlocks: 0
; VGPRBlocks: 0
; NumSGPRsForWavesPerEU: 4
; NumVGPRsForWavesPerEU: 1
; AccumOffset: 4
; Occupancy: 8
; WaveLimiterHint : 0
; COMPUTE_PGM_RSRC2:SCRATCH_EN: 0
; COMPUTE_PGM_RSRC2:USER_SGPR: 6
; COMPUTE_PGM_RSRC2:TRAP_HANDLER: 0
; COMPUTE_PGM_RSRC2:TGID_X_EN: 1
; COMPUTE_PGM_RSRC2:TGID_Y_EN: 0
; COMPUTE_PGM_RSRC2:TGID_Z_EN: 0
; COMPUTE_PGM_RSRC2:TIDIG_COMP_CNT: 0
; COMPUTE_PGM_RSRC3_GFX90A:ACCUM_OFFSET: 0
; COMPUTE_PGM_RSRC3_GFX90A:TG_SPLIT: 0
	.section	.text._ZN7rocprim17ROCPRIM_400000_NS6detail17trampoline_kernelINS0_14default_configENS1_35radix_sort_onesweep_config_selectorIiNS0_10empty_typeEEEZNS1_34radix_sort_onesweep_global_offsetsIS3_Lb1EPiPS5_mNS0_19identity_decomposerEEE10hipError_tT1_T2_PT3_SE_jT4_jjP12ihipStream_tbEUlT_E0_NS1_11comp_targetILNS1_3genE5ELNS1_11target_archE942ELNS1_3gpuE9ELNS1_3repE0EEENS1_52radix_sort_onesweep_histogram_config_static_selectorELNS0_4arch9wavefront6targetE1EEEvSC_,"axG",@progbits,_ZN7rocprim17ROCPRIM_400000_NS6detail17trampoline_kernelINS0_14default_configENS1_35radix_sort_onesweep_config_selectorIiNS0_10empty_typeEEEZNS1_34radix_sort_onesweep_global_offsetsIS3_Lb1EPiPS5_mNS0_19identity_decomposerEEE10hipError_tT1_T2_PT3_SE_jT4_jjP12ihipStream_tbEUlT_E0_NS1_11comp_targetILNS1_3genE5ELNS1_11target_archE942ELNS1_3gpuE9ELNS1_3repE0EEENS1_52radix_sort_onesweep_histogram_config_static_selectorELNS0_4arch9wavefront6targetE1EEEvSC_,comdat
	.protected	_ZN7rocprim17ROCPRIM_400000_NS6detail17trampoline_kernelINS0_14default_configENS1_35radix_sort_onesweep_config_selectorIiNS0_10empty_typeEEEZNS1_34radix_sort_onesweep_global_offsetsIS3_Lb1EPiPS5_mNS0_19identity_decomposerEEE10hipError_tT1_T2_PT3_SE_jT4_jjP12ihipStream_tbEUlT_E0_NS1_11comp_targetILNS1_3genE5ELNS1_11target_archE942ELNS1_3gpuE9ELNS1_3repE0EEENS1_52radix_sort_onesweep_histogram_config_static_selectorELNS0_4arch9wavefront6targetE1EEEvSC_ ; -- Begin function _ZN7rocprim17ROCPRIM_400000_NS6detail17trampoline_kernelINS0_14default_configENS1_35radix_sort_onesweep_config_selectorIiNS0_10empty_typeEEEZNS1_34radix_sort_onesweep_global_offsetsIS3_Lb1EPiPS5_mNS0_19identity_decomposerEEE10hipError_tT1_T2_PT3_SE_jT4_jjP12ihipStream_tbEUlT_E0_NS1_11comp_targetILNS1_3genE5ELNS1_11target_archE942ELNS1_3gpuE9ELNS1_3repE0EEENS1_52radix_sort_onesweep_histogram_config_static_selectorELNS0_4arch9wavefront6targetE1EEEvSC_
	.globl	_ZN7rocprim17ROCPRIM_400000_NS6detail17trampoline_kernelINS0_14default_configENS1_35radix_sort_onesweep_config_selectorIiNS0_10empty_typeEEEZNS1_34radix_sort_onesweep_global_offsetsIS3_Lb1EPiPS5_mNS0_19identity_decomposerEEE10hipError_tT1_T2_PT3_SE_jT4_jjP12ihipStream_tbEUlT_E0_NS1_11comp_targetILNS1_3genE5ELNS1_11target_archE942ELNS1_3gpuE9ELNS1_3repE0EEENS1_52radix_sort_onesweep_histogram_config_static_selectorELNS0_4arch9wavefront6targetE1EEEvSC_
	.p2align	8
	.type	_ZN7rocprim17ROCPRIM_400000_NS6detail17trampoline_kernelINS0_14default_configENS1_35radix_sort_onesweep_config_selectorIiNS0_10empty_typeEEEZNS1_34radix_sort_onesweep_global_offsetsIS3_Lb1EPiPS5_mNS0_19identity_decomposerEEE10hipError_tT1_T2_PT3_SE_jT4_jjP12ihipStream_tbEUlT_E0_NS1_11comp_targetILNS1_3genE5ELNS1_11target_archE942ELNS1_3gpuE9ELNS1_3repE0EEENS1_52radix_sort_onesweep_histogram_config_static_selectorELNS0_4arch9wavefront6targetE1EEEvSC_,@function
_ZN7rocprim17ROCPRIM_400000_NS6detail17trampoline_kernelINS0_14default_configENS1_35radix_sort_onesweep_config_selectorIiNS0_10empty_typeEEEZNS1_34radix_sort_onesweep_global_offsetsIS3_Lb1EPiPS5_mNS0_19identity_decomposerEEE10hipError_tT1_T2_PT3_SE_jT4_jjP12ihipStream_tbEUlT_E0_NS1_11comp_targetILNS1_3genE5ELNS1_11target_archE942ELNS1_3gpuE9ELNS1_3repE0EEENS1_52radix_sort_onesweep_histogram_config_static_selectorELNS0_4arch9wavefront6targetE1EEEvSC_: ; @_ZN7rocprim17ROCPRIM_400000_NS6detail17trampoline_kernelINS0_14default_configENS1_35radix_sort_onesweep_config_selectorIiNS0_10empty_typeEEEZNS1_34radix_sort_onesweep_global_offsetsIS3_Lb1EPiPS5_mNS0_19identity_decomposerEEE10hipError_tT1_T2_PT3_SE_jT4_jjP12ihipStream_tbEUlT_E0_NS1_11comp_targetILNS1_3genE5ELNS1_11target_archE942ELNS1_3gpuE9ELNS1_3repE0EEENS1_52radix_sort_onesweep_histogram_config_static_selectorELNS0_4arch9wavefront6targetE1EEEvSC_
; %bb.0:
	.section	.rodata,"a",@progbits
	.p2align	6, 0x0
	.amdhsa_kernel _ZN7rocprim17ROCPRIM_400000_NS6detail17trampoline_kernelINS0_14default_configENS1_35radix_sort_onesweep_config_selectorIiNS0_10empty_typeEEEZNS1_34radix_sort_onesweep_global_offsetsIS3_Lb1EPiPS5_mNS0_19identity_decomposerEEE10hipError_tT1_T2_PT3_SE_jT4_jjP12ihipStream_tbEUlT_E0_NS1_11comp_targetILNS1_3genE5ELNS1_11target_archE942ELNS1_3gpuE9ELNS1_3repE0EEENS1_52radix_sort_onesweep_histogram_config_static_selectorELNS0_4arch9wavefront6targetE1EEEvSC_
		.amdhsa_group_segment_fixed_size 0
		.amdhsa_private_segment_fixed_size 0
		.amdhsa_kernarg_size 8
		.amdhsa_user_sgpr_count 6
		.amdhsa_user_sgpr_private_segment_buffer 1
		.amdhsa_user_sgpr_dispatch_ptr 0
		.amdhsa_user_sgpr_queue_ptr 0
		.amdhsa_user_sgpr_kernarg_segment_ptr 1
		.amdhsa_user_sgpr_dispatch_id 0
		.amdhsa_user_sgpr_flat_scratch_init 0
		.amdhsa_user_sgpr_kernarg_preload_length 0
		.amdhsa_user_sgpr_kernarg_preload_offset 0
		.amdhsa_user_sgpr_private_segment_size 0
		.amdhsa_uses_dynamic_stack 0
		.amdhsa_system_sgpr_private_segment_wavefront_offset 0
		.amdhsa_system_sgpr_workgroup_id_x 1
		.amdhsa_system_sgpr_workgroup_id_y 0
		.amdhsa_system_sgpr_workgroup_id_z 0
		.amdhsa_system_sgpr_workgroup_info 0
		.amdhsa_system_vgpr_workitem_id 0
		.amdhsa_next_free_vgpr 1
		.amdhsa_next_free_sgpr 0
		.amdhsa_accum_offset 4
		.amdhsa_reserve_vcc 0
		.amdhsa_reserve_flat_scratch 0
		.amdhsa_float_round_mode_32 0
		.amdhsa_float_round_mode_16_64 0
		.amdhsa_float_denorm_mode_32 3
		.amdhsa_float_denorm_mode_16_64 3
		.amdhsa_dx10_clamp 1
		.amdhsa_ieee_mode 1
		.amdhsa_fp16_overflow 0
		.amdhsa_tg_split 0
		.amdhsa_exception_fp_ieee_invalid_op 0
		.amdhsa_exception_fp_denorm_src 0
		.amdhsa_exception_fp_ieee_div_zero 0
		.amdhsa_exception_fp_ieee_overflow 0
		.amdhsa_exception_fp_ieee_underflow 0
		.amdhsa_exception_fp_ieee_inexact 0
		.amdhsa_exception_int_div_zero 0
	.end_amdhsa_kernel
	.section	.text._ZN7rocprim17ROCPRIM_400000_NS6detail17trampoline_kernelINS0_14default_configENS1_35radix_sort_onesweep_config_selectorIiNS0_10empty_typeEEEZNS1_34radix_sort_onesweep_global_offsetsIS3_Lb1EPiPS5_mNS0_19identity_decomposerEEE10hipError_tT1_T2_PT3_SE_jT4_jjP12ihipStream_tbEUlT_E0_NS1_11comp_targetILNS1_3genE5ELNS1_11target_archE942ELNS1_3gpuE9ELNS1_3repE0EEENS1_52radix_sort_onesweep_histogram_config_static_selectorELNS0_4arch9wavefront6targetE1EEEvSC_,"axG",@progbits,_ZN7rocprim17ROCPRIM_400000_NS6detail17trampoline_kernelINS0_14default_configENS1_35radix_sort_onesweep_config_selectorIiNS0_10empty_typeEEEZNS1_34radix_sort_onesweep_global_offsetsIS3_Lb1EPiPS5_mNS0_19identity_decomposerEEE10hipError_tT1_T2_PT3_SE_jT4_jjP12ihipStream_tbEUlT_E0_NS1_11comp_targetILNS1_3genE5ELNS1_11target_archE942ELNS1_3gpuE9ELNS1_3repE0EEENS1_52radix_sort_onesweep_histogram_config_static_selectorELNS0_4arch9wavefront6targetE1EEEvSC_,comdat
.Lfunc_end2005:
	.size	_ZN7rocprim17ROCPRIM_400000_NS6detail17trampoline_kernelINS0_14default_configENS1_35radix_sort_onesweep_config_selectorIiNS0_10empty_typeEEEZNS1_34radix_sort_onesweep_global_offsetsIS3_Lb1EPiPS5_mNS0_19identity_decomposerEEE10hipError_tT1_T2_PT3_SE_jT4_jjP12ihipStream_tbEUlT_E0_NS1_11comp_targetILNS1_3genE5ELNS1_11target_archE942ELNS1_3gpuE9ELNS1_3repE0EEENS1_52radix_sort_onesweep_histogram_config_static_selectorELNS0_4arch9wavefront6targetE1EEEvSC_, .Lfunc_end2005-_ZN7rocprim17ROCPRIM_400000_NS6detail17trampoline_kernelINS0_14default_configENS1_35radix_sort_onesweep_config_selectorIiNS0_10empty_typeEEEZNS1_34radix_sort_onesweep_global_offsetsIS3_Lb1EPiPS5_mNS0_19identity_decomposerEEE10hipError_tT1_T2_PT3_SE_jT4_jjP12ihipStream_tbEUlT_E0_NS1_11comp_targetILNS1_3genE5ELNS1_11target_archE942ELNS1_3gpuE9ELNS1_3repE0EEENS1_52radix_sort_onesweep_histogram_config_static_selectorELNS0_4arch9wavefront6targetE1EEEvSC_
                                        ; -- End function
	.section	.AMDGPU.csdata,"",@progbits
; Kernel info:
; codeLenInByte = 0
; NumSgprs: 4
; NumVgprs: 0
; NumAgprs: 0
; TotalNumVgprs: 0
; ScratchSize: 0
; MemoryBound: 0
; FloatMode: 240
; IeeeMode: 1
; LDSByteSize: 0 bytes/workgroup (compile time only)
; SGPRBlocks: 0
; VGPRBlocks: 0
; NumSGPRsForWavesPerEU: 4
; NumVGPRsForWavesPerEU: 1
; AccumOffset: 4
; Occupancy: 8
; WaveLimiterHint : 0
; COMPUTE_PGM_RSRC2:SCRATCH_EN: 0
; COMPUTE_PGM_RSRC2:USER_SGPR: 6
; COMPUTE_PGM_RSRC2:TRAP_HANDLER: 0
; COMPUTE_PGM_RSRC2:TGID_X_EN: 1
; COMPUTE_PGM_RSRC2:TGID_Y_EN: 0
; COMPUTE_PGM_RSRC2:TGID_Z_EN: 0
; COMPUTE_PGM_RSRC2:TIDIG_COMP_CNT: 0
; COMPUTE_PGM_RSRC3_GFX90A:ACCUM_OFFSET: 0
; COMPUTE_PGM_RSRC3_GFX90A:TG_SPLIT: 0
	.section	.text._ZN7rocprim17ROCPRIM_400000_NS6detail17trampoline_kernelINS0_14default_configENS1_35radix_sort_onesweep_config_selectorIiNS0_10empty_typeEEEZNS1_34radix_sort_onesweep_global_offsetsIS3_Lb1EPiPS5_mNS0_19identity_decomposerEEE10hipError_tT1_T2_PT3_SE_jT4_jjP12ihipStream_tbEUlT_E0_NS1_11comp_targetILNS1_3genE2ELNS1_11target_archE906ELNS1_3gpuE6ELNS1_3repE0EEENS1_52radix_sort_onesweep_histogram_config_static_selectorELNS0_4arch9wavefront6targetE1EEEvSC_,"axG",@progbits,_ZN7rocprim17ROCPRIM_400000_NS6detail17trampoline_kernelINS0_14default_configENS1_35radix_sort_onesweep_config_selectorIiNS0_10empty_typeEEEZNS1_34radix_sort_onesweep_global_offsetsIS3_Lb1EPiPS5_mNS0_19identity_decomposerEEE10hipError_tT1_T2_PT3_SE_jT4_jjP12ihipStream_tbEUlT_E0_NS1_11comp_targetILNS1_3genE2ELNS1_11target_archE906ELNS1_3gpuE6ELNS1_3repE0EEENS1_52radix_sort_onesweep_histogram_config_static_selectorELNS0_4arch9wavefront6targetE1EEEvSC_,comdat
	.protected	_ZN7rocprim17ROCPRIM_400000_NS6detail17trampoline_kernelINS0_14default_configENS1_35radix_sort_onesweep_config_selectorIiNS0_10empty_typeEEEZNS1_34radix_sort_onesweep_global_offsetsIS3_Lb1EPiPS5_mNS0_19identity_decomposerEEE10hipError_tT1_T2_PT3_SE_jT4_jjP12ihipStream_tbEUlT_E0_NS1_11comp_targetILNS1_3genE2ELNS1_11target_archE906ELNS1_3gpuE6ELNS1_3repE0EEENS1_52radix_sort_onesweep_histogram_config_static_selectorELNS0_4arch9wavefront6targetE1EEEvSC_ ; -- Begin function _ZN7rocprim17ROCPRIM_400000_NS6detail17trampoline_kernelINS0_14default_configENS1_35radix_sort_onesweep_config_selectorIiNS0_10empty_typeEEEZNS1_34radix_sort_onesweep_global_offsetsIS3_Lb1EPiPS5_mNS0_19identity_decomposerEEE10hipError_tT1_T2_PT3_SE_jT4_jjP12ihipStream_tbEUlT_E0_NS1_11comp_targetILNS1_3genE2ELNS1_11target_archE906ELNS1_3gpuE6ELNS1_3repE0EEENS1_52radix_sort_onesweep_histogram_config_static_selectorELNS0_4arch9wavefront6targetE1EEEvSC_
	.globl	_ZN7rocprim17ROCPRIM_400000_NS6detail17trampoline_kernelINS0_14default_configENS1_35radix_sort_onesweep_config_selectorIiNS0_10empty_typeEEEZNS1_34radix_sort_onesweep_global_offsetsIS3_Lb1EPiPS5_mNS0_19identity_decomposerEEE10hipError_tT1_T2_PT3_SE_jT4_jjP12ihipStream_tbEUlT_E0_NS1_11comp_targetILNS1_3genE2ELNS1_11target_archE906ELNS1_3gpuE6ELNS1_3repE0EEENS1_52radix_sort_onesweep_histogram_config_static_selectorELNS0_4arch9wavefront6targetE1EEEvSC_
	.p2align	8
	.type	_ZN7rocprim17ROCPRIM_400000_NS6detail17trampoline_kernelINS0_14default_configENS1_35radix_sort_onesweep_config_selectorIiNS0_10empty_typeEEEZNS1_34radix_sort_onesweep_global_offsetsIS3_Lb1EPiPS5_mNS0_19identity_decomposerEEE10hipError_tT1_T2_PT3_SE_jT4_jjP12ihipStream_tbEUlT_E0_NS1_11comp_targetILNS1_3genE2ELNS1_11target_archE906ELNS1_3gpuE6ELNS1_3repE0EEENS1_52radix_sort_onesweep_histogram_config_static_selectorELNS0_4arch9wavefront6targetE1EEEvSC_,@function
_ZN7rocprim17ROCPRIM_400000_NS6detail17trampoline_kernelINS0_14default_configENS1_35radix_sort_onesweep_config_selectorIiNS0_10empty_typeEEEZNS1_34radix_sort_onesweep_global_offsetsIS3_Lb1EPiPS5_mNS0_19identity_decomposerEEE10hipError_tT1_T2_PT3_SE_jT4_jjP12ihipStream_tbEUlT_E0_NS1_11comp_targetILNS1_3genE2ELNS1_11target_archE906ELNS1_3gpuE6ELNS1_3repE0EEENS1_52radix_sort_onesweep_histogram_config_static_selectorELNS0_4arch9wavefront6targetE1EEEvSC_: ; @_ZN7rocprim17ROCPRIM_400000_NS6detail17trampoline_kernelINS0_14default_configENS1_35radix_sort_onesweep_config_selectorIiNS0_10empty_typeEEEZNS1_34radix_sort_onesweep_global_offsetsIS3_Lb1EPiPS5_mNS0_19identity_decomposerEEE10hipError_tT1_T2_PT3_SE_jT4_jjP12ihipStream_tbEUlT_E0_NS1_11comp_targetILNS1_3genE2ELNS1_11target_archE906ELNS1_3gpuE6ELNS1_3repE0EEENS1_52radix_sort_onesweep_histogram_config_static_selectorELNS0_4arch9wavefront6targetE1EEEvSC_
; %bb.0:
	.section	.rodata,"a",@progbits
	.p2align	6, 0x0
	.amdhsa_kernel _ZN7rocprim17ROCPRIM_400000_NS6detail17trampoline_kernelINS0_14default_configENS1_35radix_sort_onesweep_config_selectorIiNS0_10empty_typeEEEZNS1_34radix_sort_onesweep_global_offsetsIS3_Lb1EPiPS5_mNS0_19identity_decomposerEEE10hipError_tT1_T2_PT3_SE_jT4_jjP12ihipStream_tbEUlT_E0_NS1_11comp_targetILNS1_3genE2ELNS1_11target_archE906ELNS1_3gpuE6ELNS1_3repE0EEENS1_52radix_sort_onesweep_histogram_config_static_selectorELNS0_4arch9wavefront6targetE1EEEvSC_
		.amdhsa_group_segment_fixed_size 0
		.amdhsa_private_segment_fixed_size 0
		.amdhsa_kernarg_size 8
		.amdhsa_user_sgpr_count 6
		.amdhsa_user_sgpr_private_segment_buffer 1
		.amdhsa_user_sgpr_dispatch_ptr 0
		.amdhsa_user_sgpr_queue_ptr 0
		.amdhsa_user_sgpr_kernarg_segment_ptr 1
		.amdhsa_user_sgpr_dispatch_id 0
		.amdhsa_user_sgpr_flat_scratch_init 0
		.amdhsa_user_sgpr_kernarg_preload_length 0
		.amdhsa_user_sgpr_kernarg_preload_offset 0
		.amdhsa_user_sgpr_private_segment_size 0
		.amdhsa_uses_dynamic_stack 0
		.amdhsa_system_sgpr_private_segment_wavefront_offset 0
		.amdhsa_system_sgpr_workgroup_id_x 1
		.amdhsa_system_sgpr_workgroup_id_y 0
		.amdhsa_system_sgpr_workgroup_id_z 0
		.amdhsa_system_sgpr_workgroup_info 0
		.amdhsa_system_vgpr_workitem_id 0
		.amdhsa_next_free_vgpr 1
		.amdhsa_next_free_sgpr 0
		.amdhsa_accum_offset 4
		.amdhsa_reserve_vcc 0
		.amdhsa_reserve_flat_scratch 0
		.amdhsa_float_round_mode_32 0
		.amdhsa_float_round_mode_16_64 0
		.amdhsa_float_denorm_mode_32 3
		.amdhsa_float_denorm_mode_16_64 3
		.amdhsa_dx10_clamp 1
		.amdhsa_ieee_mode 1
		.amdhsa_fp16_overflow 0
		.amdhsa_tg_split 0
		.amdhsa_exception_fp_ieee_invalid_op 0
		.amdhsa_exception_fp_denorm_src 0
		.amdhsa_exception_fp_ieee_div_zero 0
		.amdhsa_exception_fp_ieee_overflow 0
		.amdhsa_exception_fp_ieee_underflow 0
		.amdhsa_exception_fp_ieee_inexact 0
		.amdhsa_exception_int_div_zero 0
	.end_amdhsa_kernel
	.section	.text._ZN7rocprim17ROCPRIM_400000_NS6detail17trampoline_kernelINS0_14default_configENS1_35radix_sort_onesweep_config_selectorIiNS0_10empty_typeEEEZNS1_34radix_sort_onesweep_global_offsetsIS3_Lb1EPiPS5_mNS0_19identity_decomposerEEE10hipError_tT1_T2_PT3_SE_jT4_jjP12ihipStream_tbEUlT_E0_NS1_11comp_targetILNS1_3genE2ELNS1_11target_archE906ELNS1_3gpuE6ELNS1_3repE0EEENS1_52radix_sort_onesweep_histogram_config_static_selectorELNS0_4arch9wavefront6targetE1EEEvSC_,"axG",@progbits,_ZN7rocprim17ROCPRIM_400000_NS6detail17trampoline_kernelINS0_14default_configENS1_35radix_sort_onesweep_config_selectorIiNS0_10empty_typeEEEZNS1_34radix_sort_onesweep_global_offsetsIS3_Lb1EPiPS5_mNS0_19identity_decomposerEEE10hipError_tT1_T2_PT3_SE_jT4_jjP12ihipStream_tbEUlT_E0_NS1_11comp_targetILNS1_3genE2ELNS1_11target_archE906ELNS1_3gpuE6ELNS1_3repE0EEENS1_52radix_sort_onesweep_histogram_config_static_selectorELNS0_4arch9wavefront6targetE1EEEvSC_,comdat
.Lfunc_end2006:
	.size	_ZN7rocprim17ROCPRIM_400000_NS6detail17trampoline_kernelINS0_14default_configENS1_35radix_sort_onesweep_config_selectorIiNS0_10empty_typeEEEZNS1_34radix_sort_onesweep_global_offsetsIS3_Lb1EPiPS5_mNS0_19identity_decomposerEEE10hipError_tT1_T2_PT3_SE_jT4_jjP12ihipStream_tbEUlT_E0_NS1_11comp_targetILNS1_3genE2ELNS1_11target_archE906ELNS1_3gpuE6ELNS1_3repE0EEENS1_52radix_sort_onesweep_histogram_config_static_selectorELNS0_4arch9wavefront6targetE1EEEvSC_, .Lfunc_end2006-_ZN7rocprim17ROCPRIM_400000_NS6detail17trampoline_kernelINS0_14default_configENS1_35radix_sort_onesweep_config_selectorIiNS0_10empty_typeEEEZNS1_34radix_sort_onesweep_global_offsetsIS3_Lb1EPiPS5_mNS0_19identity_decomposerEEE10hipError_tT1_T2_PT3_SE_jT4_jjP12ihipStream_tbEUlT_E0_NS1_11comp_targetILNS1_3genE2ELNS1_11target_archE906ELNS1_3gpuE6ELNS1_3repE0EEENS1_52radix_sort_onesweep_histogram_config_static_selectorELNS0_4arch9wavefront6targetE1EEEvSC_
                                        ; -- End function
	.section	.AMDGPU.csdata,"",@progbits
; Kernel info:
; codeLenInByte = 0
; NumSgprs: 4
; NumVgprs: 0
; NumAgprs: 0
; TotalNumVgprs: 0
; ScratchSize: 0
; MemoryBound: 0
; FloatMode: 240
; IeeeMode: 1
; LDSByteSize: 0 bytes/workgroup (compile time only)
; SGPRBlocks: 0
; VGPRBlocks: 0
; NumSGPRsForWavesPerEU: 4
; NumVGPRsForWavesPerEU: 1
; AccumOffset: 4
; Occupancy: 8
; WaveLimiterHint : 0
; COMPUTE_PGM_RSRC2:SCRATCH_EN: 0
; COMPUTE_PGM_RSRC2:USER_SGPR: 6
; COMPUTE_PGM_RSRC2:TRAP_HANDLER: 0
; COMPUTE_PGM_RSRC2:TGID_X_EN: 1
; COMPUTE_PGM_RSRC2:TGID_Y_EN: 0
; COMPUTE_PGM_RSRC2:TGID_Z_EN: 0
; COMPUTE_PGM_RSRC2:TIDIG_COMP_CNT: 0
; COMPUTE_PGM_RSRC3_GFX90A:ACCUM_OFFSET: 0
; COMPUTE_PGM_RSRC3_GFX90A:TG_SPLIT: 0
	.section	.text._ZN7rocprim17ROCPRIM_400000_NS6detail17trampoline_kernelINS0_14default_configENS1_35radix_sort_onesweep_config_selectorIiNS0_10empty_typeEEEZNS1_34radix_sort_onesweep_global_offsetsIS3_Lb1EPiPS5_mNS0_19identity_decomposerEEE10hipError_tT1_T2_PT3_SE_jT4_jjP12ihipStream_tbEUlT_E0_NS1_11comp_targetILNS1_3genE4ELNS1_11target_archE910ELNS1_3gpuE8ELNS1_3repE0EEENS1_52radix_sort_onesweep_histogram_config_static_selectorELNS0_4arch9wavefront6targetE1EEEvSC_,"axG",@progbits,_ZN7rocprim17ROCPRIM_400000_NS6detail17trampoline_kernelINS0_14default_configENS1_35radix_sort_onesweep_config_selectorIiNS0_10empty_typeEEEZNS1_34radix_sort_onesweep_global_offsetsIS3_Lb1EPiPS5_mNS0_19identity_decomposerEEE10hipError_tT1_T2_PT3_SE_jT4_jjP12ihipStream_tbEUlT_E0_NS1_11comp_targetILNS1_3genE4ELNS1_11target_archE910ELNS1_3gpuE8ELNS1_3repE0EEENS1_52radix_sort_onesweep_histogram_config_static_selectorELNS0_4arch9wavefront6targetE1EEEvSC_,comdat
	.protected	_ZN7rocprim17ROCPRIM_400000_NS6detail17trampoline_kernelINS0_14default_configENS1_35radix_sort_onesweep_config_selectorIiNS0_10empty_typeEEEZNS1_34radix_sort_onesweep_global_offsetsIS3_Lb1EPiPS5_mNS0_19identity_decomposerEEE10hipError_tT1_T2_PT3_SE_jT4_jjP12ihipStream_tbEUlT_E0_NS1_11comp_targetILNS1_3genE4ELNS1_11target_archE910ELNS1_3gpuE8ELNS1_3repE0EEENS1_52radix_sort_onesweep_histogram_config_static_selectorELNS0_4arch9wavefront6targetE1EEEvSC_ ; -- Begin function _ZN7rocprim17ROCPRIM_400000_NS6detail17trampoline_kernelINS0_14default_configENS1_35radix_sort_onesweep_config_selectorIiNS0_10empty_typeEEEZNS1_34radix_sort_onesweep_global_offsetsIS3_Lb1EPiPS5_mNS0_19identity_decomposerEEE10hipError_tT1_T2_PT3_SE_jT4_jjP12ihipStream_tbEUlT_E0_NS1_11comp_targetILNS1_3genE4ELNS1_11target_archE910ELNS1_3gpuE8ELNS1_3repE0EEENS1_52radix_sort_onesweep_histogram_config_static_selectorELNS0_4arch9wavefront6targetE1EEEvSC_
	.globl	_ZN7rocprim17ROCPRIM_400000_NS6detail17trampoline_kernelINS0_14default_configENS1_35radix_sort_onesweep_config_selectorIiNS0_10empty_typeEEEZNS1_34radix_sort_onesweep_global_offsetsIS3_Lb1EPiPS5_mNS0_19identity_decomposerEEE10hipError_tT1_T2_PT3_SE_jT4_jjP12ihipStream_tbEUlT_E0_NS1_11comp_targetILNS1_3genE4ELNS1_11target_archE910ELNS1_3gpuE8ELNS1_3repE0EEENS1_52radix_sort_onesweep_histogram_config_static_selectorELNS0_4arch9wavefront6targetE1EEEvSC_
	.p2align	8
	.type	_ZN7rocprim17ROCPRIM_400000_NS6detail17trampoline_kernelINS0_14default_configENS1_35radix_sort_onesweep_config_selectorIiNS0_10empty_typeEEEZNS1_34radix_sort_onesweep_global_offsetsIS3_Lb1EPiPS5_mNS0_19identity_decomposerEEE10hipError_tT1_T2_PT3_SE_jT4_jjP12ihipStream_tbEUlT_E0_NS1_11comp_targetILNS1_3genE4ELNS1_11target_archE910ELNS1_3gpuE8ELNS1_3repE0EEENS1_52radix_sort_onesweep_histogram_config_static_selectorELNS0_4arch9wavefront6targetE1EEEvSC_,@function
_ZN7rocprim17ROCPRIM_400000_NS6detail17trampoline_kernelINS0_14default_configENS1_35radix_sort_onesweep_config_selectorIiNS0_10empty_typeEEEZNS1_34radix_sort_onesweep_global_offsetsIS3_Lb1EPiPS5_mNS0_19identity_decomposerEEE10hipError_tT1_T2_PT3_SE_jT4_jjP12ihipStream_tbEUlT_E0_NS1_11comp_targetILNS1_3genE4ELNS1_11target_archE910ELNS1_3gpuE8ELNS1_3repE0EEENS1_52radix_sort_onesweep_histogram_config_static_selectorELNS0_4arch9wavefront6targetE1EEEvSC_: ; @_ZN7rocprim17ROCPRIM_400000_NS6detail17trampoline_kernelINS0_14default_configENS1_35radix_sort_onesweep_config_selectorIiNS0_10empty_typeEEEZNS1_34radix_sort_onesweep_global_offsetsIS3_Lb1EPiPS5_mNS0_19identity_decomposerEEE10hipError_tT1_T2_PT3_SE_jT4_jjP12ihipStream_tbEUlT_E0_NS1_11comp_targetILNS1_3genE4ELNS1_11target_archE910ELNS1_3gpuE8ELNS1_3repE0EEENS1_52radix_sort_onesweep_histogram_config_static_selectorELNS0_4arch9wavefront6targetE1EEEvSC_
; %bb.0:
	s_load_dwordx2 s[0:1], s[4:5], 0x0
	s_lshl_b32 s2, s6, 8
	s_mov_b32 s3, 0
	s_lshl_b64 s[2:3], s[2:3], 3
	v_lshlrev_b32_e32 v5, 3, v0
	s_waitcnt lgkmcnt(0)
	s_add_u32 s14, s0, s2
	s_movk_i32 s0, 0x100
	s_addc_u32 s15, s1, s3
	v_cmp_gt_u32_e32 vcc, s0, v0
                                        ; implicit-def: $vgpr2_vgpr3
	s_and_saveexec_b64 s[0:1], vcc
	s_cbranch_execz .LBB2007_2
; %bb.1:
	global_load_dwordx2 v[2:3], v5, s[14:15]
.LBB2007_2:
	s_or_b64 exec, exec, s[0:1]
	s_waitcnt vmcnt(0)
	v_mov_b32_dpp v4, v2 row_shr:1 row_mask:0xf bank_mask:0xf
	v_add_co_u32_e64 v4, s[0:1], v2, v4
	v_mbcnt_lo_u32_b32 v1, -1, 0
	v_addc_co_u32_e64 v8, s[0:1], 0, v3, s[0:1]
	v_mbcnt_hi_u32_b32 v6, -1, v1
	v_mov_b32_dpp v7, v3 row_shr:1 row_mask:0xf bank_mask:0xf
	v_add_co_u32_e64 v9, s[0:1], 0, v4
	v_and_b32_e32 v1, 15, v6
	v_addc_co_u32_e64 v7, s[0:1], v7, v8, s[0:1]
	v_cmp_eq_u32_e64 s[0:1], 0, v1
	v_cndmask_b32_e64 v4, v4, v2, s[0:1]
	v_cndmask_b32_e64 v7, v7, v3, s[0:1]
	v_cndmask_b32_e64 v8, v9, v2, s[0:1]
	v_mov_b32_dpp v9, v4 row_shr:2 row_mask:0xf bank_mask:0xf
	v_mov_b32_dpp v10, v7 row_shr:2 row_mask:0xf bank_mask:0xf
	v_add_co_u32_e64 v9, s[2:3], v9, v8
	v_cmp_lt_u32_e64 s[4:5], 1, v1
	v_addc_co_u32_e64 v10, s[2:3], v10, v7, s[2:3]
	v_cndmask_b32_e64 v4, v4, v9, s[4:5]
	v_cndmask_b32_e64 v7, v7, v10, s[4:5]
	v_cndmask_b32_e64 v8, v8, v9, s[4:5]
	v_mov_b32_dpp v9, v4 row_shr:4 row_mask:0xf bank_mask:0xf
	v_mov_b32_dpp v10, v7 row_shr:4 row_mask:0xf bank_mask:0xf
	v_add_co_u32_e64 v9, s[2:3], v9, v8
	v_cmp_lt_u32_e64 s[6:7], 3, v1
	v_addc_co_u32_e64 v10, s[2:3], v10, v7, s[2:3]
	;; [unrolled: 8-line block ×3, first 2 shown]
	v_cndmask_b32_e64 v11, v4, v9, s[8:9]
	v_cndmask_b32_e64 v1, v7, v10, s[8:9]
	;; [unrolled: 1-line block ×3, first 2 shown]
	v_mov_b32_dpp v7, v11 row_bcast:15 row_mask:0xf bank_mask:0xf
	v_mov_b32_dpp v8, v1 row_bcast:15 row_mask:0xf bank_mask:0xf
	v_and_b32_e32 v10, 16, v6
	v_add_co_u32_e64 v7, s[2:3], v7, v4
	v_addc_co_u32_e64 v9, s[2:3], v8, v1, s[2:3]
	v_cmp_eq_u32_e64 s[10:11], 0, v10
	v_cndmask_b32_e64 v10, v9, v1, s[10:11]
	v_cndmask_b32_e64 v8, v7, v11, s[10:11]
	v_cmp_eq_u32_e64 s[2:3], 0, v6
	v_mov_b32_dpp v10, v10 row_bcast:31 row_mask:0xf bank_mask:0xf
	v_mov_b32_dpp v8, v8 row_bcast:31 row_mask:0xf bank_mask:0xf
	v_cmp_ne_u32_e64 s[12:13], 0, v6
	s_and_saveexec_b64 s[16:17], s[12:13]
; %bb.3:
	v_cndmask_b32_e64 v1, v9, v1, s[10:11]
	v_cndmask_b32_e64 v2, v7, v4, s[10:11]
	v_cmp_lt_u32_e64 s[10:11], 31, v6
	v_cndmask_b32_e64 v4, 0, v8, s[10:11]
	v_cndmask_b32_e64 v3, 0, v10, s[10:11]
	v_add_co_u32_e64 v2, s[10:11], v4, v2
	v_addc_co_u32_e64 v3, s[10:11], v3, v1, s[10:11]
; %bb.4:
	s_or_b64 exec, exec, s[16:17]
	v_and_b32_e32 v1, 63, v0
	v_lshrrev_b32_e32 v4, 6, v0
	v_cmp_eq_u32_e64 s[10:11], 63, v1
	s_and_saveexec_b64 s[12:13], s[10:11]
	s_cbranch_execz .LBB2007_6
; %bb.5:
	v_lshlrev_b32_e32 v1, 3, v4
	ds_write_b64 v1, v[2:3]
.LBB2007_6:
	s_or_b64 exec, exec, s[12:13]
	v_cmp_gt_u32_e64 s[10:11], 16, v0
	s_waitcnt lgkmcnt(0)
	s_barrier
	s_and_saveexec_b64 s[12:13], s[10:11]
	s_cbranch_execz .LBB2007_8
; %bb.7:
	ds_read_b64 v[8:9], v5
	s_waitcnt lgkmcnt(0)
	s_nop 0
	v_mov_b32_dpp v1, v8 row_shr:1 row_mask:0xf bank_mask:0xf
	v_add_co_u32_e64 v1, s[10:11], v8, v1
	v_addc_co_u32_e64 v10, s[10:11], 0, v9, s[10:11]
	v_mov_b32_dpp v7, v9 row_shr:1 row_mask:0xf bank_mask:0xf
	v_add_co_u32_e64 v11, s[10:11], 0, v1
	v_addc_co_u32_e64 v7, s[10:11], v7, v10, s[10:11]
	v_cndmask_b32_e64 v1, v1, v8, s[0:1]
	v_cndmask_b32_e64 v7, v7, v9, s[0:1]
	v_cndmask_b32_e64 v10, v11, v8, s[0:1]
	v_mov_b32_dpp v11, v1 row_shr:2 row_mask:0xf bank_mask:0xf
	v_mov_b32_dpp v12, v7 row_shr:2 row_mask:0xf bank_mask:0xf
	v_add_co_u32_e64 v11, s[10:11], v11, v10
	v_addc_co_u32_e64 v12, s[10:11], v12, v7, s[10:11]
	v_cndmask_b32_e64 v1, v1, v11, s[4:5]
	v_cndmask_b32_e64 v7, v7, v12, s[4:5]
	v_cndmask_b32_e64 v10, v10, v11, s[4:5]
	v_mov_b32_dpp v11, v1 row_shr:4 row_mask:0xf bank_mask:0xf
	;; [unrolled: 7-line block ×3, first 2 shown]
	v_mov_b32_dpp v12, v7 row_shr:8 row_mask:0xf bank_mask:0xf
	v_cndmask_b32_e64 v1, 0, v1, s[8:9]
	v_cndmask_b32_e64 v11, 0, v12, s[8:9]
	v_add_co_u32_e64 v1, s[4:5], v1, v10
	v_addc_co_u32_e64 v7, s[4:5], v11, v7, s[4:5]
	v_cndmask_b32_e64 v9, v7, v9, s[0:1]
	v_cndmask_b32_e64 v8, v1, v8, s[0:1]
	ds_write_b64 v5, v[8:9]
.LBB2007_8:
	s_or_b64 exec, exec, s[12:13]
	v_cmp_lt_u32_e64 s[0:1], 63, v0
	v_pk_mov_b32 v[0:1], 0, 0
	s_waitcnt lgkmcnt(0)
	s_barrier
	s_and_saveexec_b64 s[4:5], s[0:1]
	s_cbranch_execz .LBB2007_10
; %bb.9:
	v_lshl_add_u32 v0, v4, 3, -8
	ds_read_b64 v[0:1], v0
.LBB2007_10:
	s_or_b64 exec, exec, s[4:5]
	s_waitcnt lgkmcnt(0)
	v_add_co_u32_e64 v2, s[0:1], v0, v2
	v_addc_co_u32_e64 v3, s[0:1], v1, v3, s[0:1]
	v_add_u32_e32 v4, -1, v6
	v_and_b32_e32 v7, 64, v6
	v_cmp_lt_i32_e64 s[0:1], v4, v7
	v_cndmask_b32_e64 v4, v4, v6, s[0:1]
	v_lshlrev_b32_e32 v4, 2, v4
	ds_bpermute_b32 v2, v4, v2
	ds_bpermute_b32 v3, v4, v3
	s_and_saveexec_b64 s[0:1], vcc
	s_cbranch_execz .LBB2007_12
; %bb.11:
	s_waitcnt lgkmcnt(0)
	v_cndmask_b32_e64 v1, v3, v1, s[2:3]
	v_cndmask_b32_e64 v0, v2, v0, s[2:3]
	global_store_dwordx2 v5, v[0:1], s[14:15]
.LBB2007_12:
	s_endpgm
	.section	.rodata,"a",@progbits
	.p2align	6, 0x0
	.amdhsa_kernel _ZN7rocprim17ROCPRIM_400000_NS6detail17trampoline_kernelINS0_14default_configENS1_35radix_sort_onesweep_config_selectorIiNS0_10empty_typeEEEZNS1_34radix_sort_onesweep_global_offsetsIS3_Lb1EPiPS5_mNS0_19identity_decomposerEEE10hipError_tT1_T2_PT3_SE_jT4_jjP12ihipStream_tbEUlT_E0_NS1_11comp_targetILNS1_3genE4ELNS1_11target_archE910ELNS1_3gpuE8ELNS1_3repE0EEENS1_52radix_sort_onesweep_histogram_config_static_selectorELNS0_4arch9wavefront6targetE1EEEvSC_
		.amdhsa_group_segment_fixed_size 128
		.amdhsa_private_segment_fixed_size 0
		.amdhsa_kernarg_size 8
		.amdhsa_user_sgpr_count 6
		.amdhsa_user_sgpr_private_segment_buffer 1
		.amdhsa_user_sgpr_dispatch_ptr 0
		.amdhsa_user_sgpr_queue_ptr 0
		.amdhsa_user_sgpr_kernarg_segment_ptr 1
		.amdhsa_user_sgpr_dispatch_id 0
		.amdhsa_user_sgpr_flat_scratch_init 0
		.amdhsa_user_sgpr_kernarg_preload_length 0
		.amdhsa_user_sgpr_kernarg_preload_offset 0
		.amdhsa_user_sgpr_private_segment_size 0
		.amdhsa_uses_dynamic_stack 0
		.amdhsa_system_sgpr_private_segment_wavefront_offset 0
		.amdhsa_system_sgpr_workgroup_id_x 1
		.amdhsa_system_sgpr_workgroup_id_y 0
		.amdhsa_system_sgpr_workgroup_id_z 0
		.amdhsa_system_sgpr_workgroup_info 0
		.amdhsa_system_vgpr_workitem_id 0
		.amdhsa_next_free_vgpr 13
		.amdhsa_next_free_sgpr 18
		.amdhsa_accum_offset 16
		.amdhsa_reserve_vcc 1
		.amdhsa_reserve_flat_scratch 0
		.amdhsa_float_round_mode_32 0
		.amdhsa_float_round_mode_16_64 0
		.amdhsa_float_denorm_mode_32 3
		.amdhsa_float_denorm_mode_16_64 3
		.amdhsa_dx10_clamp 1
		.amdhsa_ieee_mode 1
		.amdhsa_fp16_overflow 0
		.amdhsa_tg_split 0
		.amdhsa_exception_fp_ieee_invalid_op 0
		.amdhsa_exception_fp_denorm_src 0
		.amdhsa_exception_fp_ieee_div_zero 0
		.amdhsa_exception_fp_ieee_overflow 0
		.amdhsa_exception_fp_ieee_underflow 0
		.amdhsa_exception_fp_ieee_inexact 0
		.amdhsa_exception_int_div_zero 0
	.end_amdhsa_kernel
	.section	.text._ZN7rocprim17ROCPRIM_400000_NS6detail17trampoline_kernelINS0_14default_configENS1_35radix_sort_onesweep_config_selectorIiNS0_10empty_typeEEEZNS1_34radix_sort_onesweep_global_offsetsIS3_Lb1EPiPS5_mNS0_19identity_decomposerEEE10hipError_tT1_T2_PT3_SE_jT4_jjP12ihipStream_tbEUlT_E0_NS1_11comp_targetILNS1_3genE4ELNS1_11target_archE910ELNS1_3gpuE8ELNS1_3repE0EEENS1_52radix_sort_onesweep_histogram_config_static_selectorELNS0_4arch9wavefront6targetE1EEEvSC_,"axG",@progbits,_ZN7rocprim17ROCPRIM_400000_NS6detail17trampoline_kernelINS0_14default_configENS1_35radix_sort_onesweep_config_selectorIiNS0_10empty_typeEEEZNS1_34radix_sort_onesweep_global_offsetsIS3_Lb1EPiPS5_mNS0_19identity_decomposerEEE10hipError_tT1_T2_PT3_SE_jT4_jjP12ihipStream_tbEUlT_E0_NS1_11comp_targetILNS1_3genE4ELNS1_11target_archE910ELNS1_3gpuE8ELNS1_3repE0EEENS1_52radix_sort_onesweep_histogram_config_static_selectorELNS0_4arch9wavefront6targetE1EEEvSC_,comdat
.Lfunc_end2007:
	.size	_ZN7rocprim17ROCPRIM_400000_NS6detail17trampoline_kernelINS0_14default_configENS1_35radix_sort_onesweep_config_selectorIiNS0_10empty_typeEEEZNS1_34radix_sort_onesweep_global_offsetsIS3_Lb1EPiPS5_mNS0_19identity_decomposerEEE10hipError_tT1_T2_PT3_SE_jT4_jjP12ihipStream_tbEUlT_E0_NS1_11comp_targetILNS1_3genE4ELNS1_11target_archE910ELNS1_3gpuE8ELNS1_3repE0EEENS1_52radix_sort_onesweep_histogram_config_static_selectorELNS0_4arch9wavefront6targetE1EEEvSC_, .Lfunc_end2007-_ZN7rocprim17ROCPRIM_400000_NS6detail17trampoline_kernelINS0_14default_configENS1_35radix_sort_onesweep_config_selectorIiNS0_10empty_typeEEEZNS1_34radix_sort_onesweep_global_offsetsIS3_Lb1EPiPS5_mNS0_19identity_decomposerEEE10hipError_tT1_T2_PT3_SE_jT4_jjP12ihipStream_tbEUlT_E0_NS1_11comp_targetILNS1_3genE4ELNS1_11target_archE910ELNS1_3gpuE8ELNS1_3repE0EEENS1_52radix_sort_onesweep_histogram_config_static_selectorELNS0_4arch9wavefront6targetE1EEEvSC_
                                        ; -- End function
	.section	.AMDGPU.csdata,"",@progbits
; Kernel info:
; codeLenInByte = 1012
; NumSgprs: 22
; NumVgprs: 13
; NumAgprs: 0
; TotalNumVgprs: 13
; ScratchSize: 0
; MemoryBound: 0
; FloatMode: 240
; IeeeMode: 1
; LDSByteSize: 128 bytes/workgroup (compile time only)
; SGPRBlocks: 2
; VGPRBlocks: 1
; NumSGPRsForWavesPerEU: 22
; NumVGPRsForWavesPerEU: 13
; AccumOffset: 16
; Occupancy: 8
; WaveLimiterHint : 0
; COMPUTE_PGM_RSRC2:SCRATCH_EN: 0
; COMPUTE_PGM_RSRC2:USER_SGPR: 6
; COMPUTE_PGM_RSRC2:TRAP_HANDLER: 0
; COMPUTE_PGM_RSRC2:TGID_X_EN: 1
; COMPUTE_PGM_RSRC2:TGID_Y_EN: 0
; COMPUTE_PGM_RSRC2:TGID_Z_EN: 0
; COMPUTE_PGM_RSRC2:TIDIG_COMP_CNT: 0
; COMPUTE_PGM_RSRC3_GFX90A:ACCUM_OFFSET: 3
; COMPUTE_PGM_RSRC3_GFX90A:TG_SPLIT: 0
	.section	.text._ZN7rocprim17ROCPRIM_400000_NS6detail17trampoline_kernelINS0_14default_configENS1_35radix_sort_onesweep_config_selectorIiNS0_10empty_typeEEEZNS1_34radix_sort_onesweep_global_offsetsIS3_Lb1EPiPS5_mNS0_19identity_decomposerEEE10hipError_tT1_T2_PT3_SE_jT4_jjP12ihipStream_tbEUlT_E0_NS1_11comp_targetILNS1_3genE3ELNS1_11target_archE908ELNS1_3gpuE7ELNS1_3repE0EEENS1_52radix_sort_onesweep_histogram_config_static_selectorELNS0_4arch9wavefront6targetE1EEEvSC_,"axG",@progbits,_ZN7rocprim17ROCPRIM_400000_NS6detail17trampoline_kernelINS0_14default_configENS1_35radix_sort_onesweep_config_selectorIiNS0_10empty_typeEEEZNS1_34radix_sort_onesweep_global_offsetsIS3_Lb1EPiPS5_mNS0_19identity_decomposerEEE10hipError_tT1_T2_PT3_SE_jT4_jjP12ihipStream_tbEUlT_E0_NS1_11comp_targetILNS1_3genE3ELNS1_11target_archE908ELNS1_3gpuE7ELNS1_3repE0EEENS1_52radix_sort_onesweep_histogram_config_static_selectorELNS0_4arch9wavefront6targetE1EEEvSC_,comdat
	.protected	_ZN7rocprim17ROCPRIM_400000_NS6detail17trampoline_kernelINS0_14default_configENS1_35radix_sort_onesweep_config_selectorIiNS0_10empty_typeEEEZNS1_34radix_sort_onesweep_global_offsetsIS3_Lb1EPiPS5_mNS0_19identity_decomposerEEE10hipError_tT1_T2_PT3_SE_jT4_jjP12ihipStream_tbEUlT_E0_NS1_11comp_targetILNS1_3genE3ELNS1_11target_archE908ELNS1_3gpuE7ELNS1_3repE0EEENS1_52radix_sort_onesweep_histogram_config_static_selectorELNS0_4arch9wavefront6targetE1EEEvSC_ ; -- Begin function _ZN7rocprim17ROCPRIM_400000_NS6detail17trampoline_kernelINS0_14default_configENS1_35radix_sort_onesweep_config_selectorIiNS0_10empty_typeEEEZNS1_34radix_sort_onesweep_global_offsetsIS3_Lb1EPiPS5_mNS0_19identity_decomposerEEE10hipError_tT1_T2_PT3_SE_jT4_jjP12ihipStream_tbEUlT_E0_NS1_11comp_targetILNS1_3genE3ELNS1_11target_archE908ELNS1_3gpuE7ELNS1_3repE0EEENS1_52radix_sort_onesweep_histogram_config_static_selectorELNS0_4arch9wavefront6targetE1EEEvSC_
	.globl	_ZN7rocprim17ROCPRIM_400000_NS6detail17trampoline_kernelINS0_14default_configENS1_35radix_sort_onesweep_config_selectorIiNS0_10empty_typeEEEZNS1_34radix_sort_onesweep_global_offsetsIS3_Lb1EPiPS5_mNS0_19identity_decomposerEEE10hipError_tT1_T2_PT3_SE_jT4_jjP12ihipStream_tbEUlT_E0_NS1_11comp_targetILNS1_3genE3ELNS1_11target_archE908ELNS1_3gpuE7ELNS1_3repE0EEENS1_52radix_sort_onesweep_histogram_config_static_selectorELNS0_4arch9wavefront6targetE1EEEvSC_
	.p2align	8
	.type	_ZN7rocprim17ROCPRIM_400000_NS6detail17trampoline_kernelINS0_14default_configENS1_35radix_sort_onesweep_config_selectorIiNS0_10empty_typeEEEZNS1_34radix_sort_onesweep_global_offsetsIS3_Lb1EPiPS5_mNS0_19identity_decomposerEEE10hipError_tT1_T2_PT3_SE_jT4_jjP12ihipStream_tbEUlT_E0_NS1_11comp_targetILNS1_3genE3ELNS1_11target_archE908ELNS1_3gpuE7ELNS1_3repE0EEENS1_52radix_sort_onesweep_histogram_config_static_selectorELNS0_4arch9wavefront6targetE1EEEvSC_,@function
_ZN7rocprim17ROCPRIM_400000_NS6detail17trampoline_kernelINS0_14default_configENS1_35radix_sort_onesweep_config_selectorIiNS0_10empty_typeEEEZNS1_34radix_sort_onesweep_global_offsetsIS3_Lb1EPiPS5_mNS0_19identity_decomposerEEE10hipError_tT1_T2_PT3_SE_jT4_jjP12ihipStream_tbEUlT_E0_NS1_11comp_targetILNS1_3genE3ELNS1_11target_archE908ELNS1_3gpuE7ELNS1_3repE0EEENS1_52radix_sort_onesweep_histogram_config_static_selectorELNS0_4arch9wavefront6targetE1EEEvSC_: ; @_ZN7rocprim17ROCPRIM_400000_NS6detail17trampoline_kernelINS0_14default_configENS1_35radix_sort_onesweep_config_selectorIiNS0_10empty_typeEEEZNS1_34radix_sort_onesweep_global_offsetsIS3_Lb1EPiPS5_mNS0_19identity_decomposerEEE10hipError_tT1_T2_PT3_SE_jT4_jjP12ihipStream_tbEUlT_E0_NS1_11comp_targetILNS1_3genE3ELNS1_11target_archE908ELNS1_3gpuE7ELNS1_3repE0EEENS1_52radix_sort_onesweep_histogram_config_static_selectorELNS0_4arch9wavefront6targetE1EEEvSC_
; %bb.0:
	.section	.rodata,"a",@progbits
	.p2align	6, 0x0
	.amdhsa_kernel _ZN7rocprim17ROCPRIM_400000_NS6detail17trampoline_kernelINS0_14default_configENS1_35radix_sort_onesweep_config_selectorIiNS0_10empty_typeEEEZNS1_34radix_sort_onesweep_global_offsetsIS3_Lb1EPiPS5_mNS0_19identity_decomposerEEE10hipError_tT1_T2_PT3_SE_jT4_jjP12ihipStream_tbEUlT_E0_NS1_11comp_targetILNS1_3genE3ELNS1_11target_archE908ELNS1_3gpuE7ELNS1_3repE0EEENS1_52radix_sort_onesweep_histogram_config_static_selectorELNS0_4arch9wavefront6targetE1EEEvSC_
		.amdhsa_group_segment_fixed_size 0
		.amdhsa_private_segment_fixed_size 0
		.amdhsa_kernarg_size 8
		.amdhsa_user_sgpr_count 6
		.amdhsa_user_sgpr_private_segment_buffer 1
		.amdhsa_user_sgpr_dispatch_ptr 0
		.amdhsa_user_sgpr_queue_ptr 0
		.amdhsa_user_sgpr_kernarg_segment_ptr 1
		.amdhsa_user_sgpr_dispatch_id 0
		.amdhsa_user_sgpr_flat_scratch_init 0
		.amdhsa_user_sgpr_kernarg_preload_length 0
		.amdhsa_user_sgpr_kernarg_preload_offset 0
		.amdhsa_user_sgpr_private_segment_size 0
		.amdhsa_uses_dynamic_stack 0
		.amdhsa_system_sgpr_private_segment_wavefront_offset 0
		.amdhsa_system_sgpr_workgroup_id_x 1
		.amdhsa_system_sgpr_workgroup_id_y 0
		.amdhsa_system_sgpr_workgroup_id_z 0
		.amdhsa_system_sgpr_workgroup_info 0
		.amdhsa_system_vgpr_workitem_id 0
		.amdhsa_next_free_vgpr 1
		.amdhsa_next_free_sgpr 0
		.amdhsa_accum_offset 4
		.amdhsa_reserve_vcc 0
		.amdhsa_reserve_flat_scratch 0
		.amdhsa_float_round_mode_32 0
		.amdhsa_float_round_mode_16_64 0
		.amdhsa_float_denorm_mode_32 3
		.amdhsa_float_denorm_mode_16_64 3
		.amdhsa_dx10_clamp 1
		.amdhsa_ieee_mode 1
		.amdhsa_fp16_overflow 0
		.amdhsa_tg_split 0
		.amdhsa_exception_fp_ieee_invalid_op 0
		.amdhsa_exception_fp_denorm_src 0
		.amdhsa_exception_fp_ieee_div_zero 0
		.amdhsa_exception_fp_ieee_overflow 0
		.amdhsa_exception_fp_ieee_underflow 0
		.amdhsa_exception_fp_ieee_inexact 0
		.amdhsa_exception_int_div_zero 0
	.end_amdhsa_kernel
	.section	.text._ZN7rocprim17ROCPRIM_400000_NS6detail17trampoline_kernelINS0_14default_configENS1_35radix_sort_onesweep_config_selectorIiNS0_10empty_typeEEEZNS1_34radix_sort_onesweep_global_offsetsIS3_Lb1EPiPS5_mNS0_19identity_decomposerEEE10hipError_tT1_T2_PT3_SE_jT4_jjP12ihipStream_tbEUlT_E0_NS1_11comp_targetILNS1_3genE3ELNS1_11target_archE908ELNS1_3gpuE7ELNS1_3repE0EEENS1_52radix_sort_onesweep_histogram_config_static_selectorELNS0_4arch9wavefront6targetE1EEEvSC_,"axG",@progbits,_ZN7rocprim17ROCPRIM_400000_NS6detail17trampoline_kernelINS0_14default_configENS1_35radix_sort_onesweep_config_selectorIiNS0_10empty_typeEEEZNS1_34radix_sort_onesweep_global_offsetsIS3_Lb1EPiPS5_mNS0_19identity_decomposerEEE10hipError_tT1_T2_PT3_SE_jT4_jjP12ihipStream_tbEUlT_E0_NS1_11comp_targetILNS1_3genE3ELNS1_11target_archE908ELNS1_3gpuE7ELNS1_3repE0EEENS1_52radix_sort_onesweep_histogram_config_static_selectorELNS0_4arch9wavefront6targetE1EEEvSC_,comdat
.Lfunc_end2008:
	.size	_ZN7rocprim17ROCPRIM_400000_NS6detail17trampoline_kernelINS0_14default_configENS1_35radix_sort_onesweep_config_selectorIiNS0_10empty_typeEEEZNS1_34radix_sort_onesweep_global_offsetsIS3_Lb1EPiPS5_mNS0_19identity_decomposerEEE10hipError_tT1_T2_PT3_SE_jT4_jjP12ihipStream_tbEUlT_E0_NS1_11comp_targetILNS1_3genE3ELNS1_11target_archE908ELNS1_3gpuE7ELNS1_3repE0EEENS1_52radix_sort_onesweep_histogram_config_static_selectorELNS0_4arch9wavefront6targetE1EEEvSC_, .Lfunc_end2008-_ZN7rocprim17ROCPRIM_400000_NS6detail17trampoline_kernelINS0_14default_configENS1_35radix_sort_onesweep_config_selectorIiNS0_10empty_typeEEEZNS1_34radix_sort_onesweep_global_offsetsIS3_Lb1EPiPS5_mNS0_19identity_decomposerEEE10hipError_tT1_T2_PT3_SE_jT4_jjP12ihipStream_tbEUlT_E0_NS1_11comp_targetILNS1_3genE3ELNS1_11target_archE908ELNS1_3gpuE7ELNS1_3repE0EEENS1_52radix_sort_onesweep_histogram_config_static_selectorELNS0_4arch9wavefront6targetE1EEEvSC_
                                        ; -- End function
	.section	.AMDGPU.csdata,"",@progbits
; Kernel info:
; codeLenInByte = 0
; NumSgprs: 4
; NumVgprs: 0
; NumAgprs: 0
; TotalNumVgprs: 0
; ScratchSize: 0
; MemoryBound: 0
; FloatMode: 240
; IeeeMode: 1
; LDSByteSize: 0 bytes/workgroup (compile time only)
; SGPRBlocks: 0
; VGPRBlocks: 0
; NumSGPRsForWavesPerEU: 4
; NumVGPRsForWavesPerEU: 1
; AccumOffset: 4
; Occupancy: 8
; WaveLimiterHint : 0
; COMPUTE_PGM_RSRC2:SCRATCH_EN: 0
; COMPUTE_PGM_RSRC2:USER_SGPR: 6
; COMPUTE_PGM_RSRC2:TRAP_HANDLER: 0
; COMPUTE_PGM_RSRC2:TGID_X_EN: 1
; COMPUTE_PGM_RSRC2:TGID_Y_EN: 0
; COMPUTE_PGM_RSRC2:TGID_Z_EN: 0
; COMPUTE_PGM_RSRC2:TIDIG_COMP_CNT: 0
; COMPUTE_PGM_RSRC3_GFX90A:ACCUM_OFFSET: 0
; COMPUTE_PGM_RSRC3_GFX90A:TG_SPLIT: 0
	.section	.text._ZN7rocprim17ROCPRIM_400000_NS6detail17trampoline_kernelINS0_14default_configENS1_35radix_sort_onesweep_config_selectorIiNS0_10empty_typeEEEZNS1_34radix_sort_onesweep_global_offsetsIS3_Lb1EPiPS5_mNS0_19identity_decomposerEEE10hipError_tT1_T2_PT3_SE_jT4_jjP12ihipStream_tbEUlT_E0_NS1_11comp_targetILNS1_3genE10ELNS1_11target_archE1201ELNS1_3gpuE5ELNS1_3repE0EEENS1_52radix_sort_onesweep_histogram_config_static_selectorELNS0_4arch9wavefront6targetE1EEEvSC_,"axG",@progbits,_ZN7rocprim17ROCPRIM_400000_NS6detail17trampoline_kernelINS0_14default_configENS1_35radix_sort_onesweep_config_selectorIiNS0_10empty_typeEEEZNS1_34radix_sort_onesweep_global_offsetsIS3_Lb1EPiPS5_mNS0_19identity_decomposerEEE10hipError_tT1_T2_PT3_SE_jT4_jjP12ihipStream_tbEUlT_E0_NS1_11comp_targetILNS1_3genE10ELNS1_11target_archE1201ELNS1_3gpuE5ELNS1_3repE0EEENS1_52radix_sort_onesweep_histogram_config_static_selectorELNS0_4arch9wavefront6targetE1EEEvSC_,comdat
	.protected	_ZN7rocprim17ROCPRIM_400000_NS6detail17trampoline_kernelINS0_14default_configENS1_35radix_sort_onesweep_config_selectorIiNS0_10empty_typeEEEZNS1_34radix_sort_onesweep_global_offsetsIS3_Lb1EPiPS5_mNS0_19identity_decomposerEEE10hipError_tT1_T2_PT3_SE_jT4_jjP12ihipStream_tbEUlT_E0_NS1_11comp_targetILNS1_3genE10ELNS1_11target_archE1201ELNS1_3gpuE5ELNS1_3repE0EEENS1_52radix_sort_onesweep_histogram_config_static_selectorELNS0_4arch9wavefront6targetE1EEEvSC_ ; -- Begin function _ZN7rocprim17ROCPRIM_400000_NS6detail17trampoline_kernelINS0_14default_configENS1_35radix_sort_onesweep_config_selectorIiNS0_10empty_typeEEEZNS1_34radix_sort_onesweep_global_offsetsIS3_Lb1EPiPS5_mNS0_19identity_decomposerEEE10hipError_tT1_T2_PT3_SE_jT4_jjP12ihipStream_tbEUlT_E0_NS1_11comp_targetILNS1_3genE10ELNS1_11target_archE1201ELNS1_3gpuE5ELNS1_3repE0EEENS1_52radix_sort_onesweep_histogram_config_static_selectorELNS0_4arch9wavefront6targetE1EEEvSC_
	.globl	_ZN7rocprim17ROCPRIM_400000_NS6detail17trampoline_kernelINS0_14default_configENS1_35radix_sort_onesweep_config_selectorIiNS0_10empty_typeEEEZNS1_34radix_sort_onesweep_global_offsetsIS3_Lb1EPiPS5_mNS0_19identity_decomposerEEE10hipError_tT1_T2_PT3_SE_jT4_jjP12ihipStream_tbEUlT_E0_NS1_11comp_targetILNS1_3genE10ELNS1_11target_archE1201ELNS1_3gpuE5ELNS1_3repE0EEENS1_52radix_sort_onesweep_histogram_config_static_selectorELNS0_4arch9wavefront6targetE1EEEvSC_
	.p2align	8
	.type	_ZN7rocprim17ROCPRIM_400000_NS6detail17trampoline_kernelINS0_14default_configENS1_35radix_sort_onesweep_config_selectorIiNS0_10empty_typeEEEZNS1_34radix_sort_onesweep_global_offsetsIS3_Lb1EPiPS5_mNS0_19identity_decomposerEEE10hipError_tT1_T2_PT3_SE_jT4_jjP12ihipStream_tbEUlT_E0_NS1_11comp_targetILNS1_3genE10ELNS1_11target_archE1201ELNS1_3gpuE5ELNS1_3repE0EEENS1_52radix_sort_onesweep_histogram_config_static_selectorELNS0_4arch9wavefront6targetE1EEEvSC_,@function
_ZN7rocprim17ROCPRIM_400000_NS6detail17trampoline_kernelINS0_14default_configENS1_35radix_sort_onesweep_config_selectorIiNS0_10empty_typeEEEZNS1_34radix_sort_onesweep_global_offsetsIS3_Lb1EPiPS5_mNS0_19identity_decomposerEEE10hipError_tT1_T2_PT3_SE_jT4_jjP12ihipStream_tbEUlT_E0_NS1_11comp_targetILNS1_3genE10ELNS1_11target_archE1201ELNS1_3gpuE5ELNS1_3repE0EEENS1_52radix_sort_onesweep_histogram_config_static_selectorELNS0_4arch9wavefront6targetE1EEEvSC_: ; @_ZN7rocprim17ROCPRIM_400000_NS6detail17trampoline_kernelINS0_14default_configENS1_35radix_sort_onesweep_config_selectorIiNS0_10empty_typeEEEZNS1_34radix_sort_onesweep_global_offsetsIS3_Lb1EPiPS5_mNS0_19identity_decomposerEEE10hipError_tT1_T2_PT3_SE_jT4_jjP12ihipStream_tbEUlT_E0_NS1_11comp_targetILNS1_3genE10ELNS1_11target_archE1201ELNS1_3gpuE5ELNS1_3repE0EEENS1_52radix_sort_onesweep_histogram_config_static_selectorELNS0_4arch9wavefront6targetE1EEEvSC_
; %bb.0:
	.section	.rodata,"a",@progbits
	.p2align	6, 0x0
	.amdhsa_kernel _ZN7rocprim17ROCPRIM_400000_NS6detail17trampoline_kernelINS0_14default_configENS1_35radix_sort_onesweep_config_selectorIiNS0_10empty_typeEEEZNS1_34radix_sort_onesweep_global_offsetsIS3_Lb1EPiPS5_mNS0_19identity_decomposerEEE10hipError_tT1_T2_PT3_SE_jT4_jjP12ihipStream_tbEUlT_E0_NS1_11comp_targetILNS1_3genE10ELNS1_11target_archE1201ELNS1_3gpuE5ELNS1_3repE0EEENS1_52radix_sort_onesweep_histogram_config_static_selectorELNS0_4arch9wavefront6targetE1EEEvSC_
		.amdhsa_group_segment_fixed_size 0
		.amdhsa_private_segment_fixed_size 0
		.amdhsa_kernarg_size 8
		.amdhsa_user_sgpr_count 6
		.amdhsa_user_sgpr_private_segment_buffer 1
		.amdhsa_user_sgpr_dispatch_ptr 0
		.amdhsa_user_sgpr_queue_ptr 0
		.amdhsa_user_sgpr_kernarg_segment_ptr 1
		.amdhsa_user_sgpr_dispatch_id 0
		.amdhsa_user_sgpr_flat_scratch_init 0
		.amdhsa_user_sgpr_kernarg_preload_length 0
		.amdhsa_user_sgpr_kernarg_preload_offset 0
		.amdhsa_user_sgpr_private_segment_size 0
		.amdhsa_uses_dynamic_stack 0
		.amdhsa_system_sgpr_private_segment_wavefront_offset 0
		.amdhsa_system_sgpr_workgroup_id_x 1
		.amdhsa_system_sgpr_workgroup_id_y 0
		.amdhsa_system_sgpr_workgroup_id_z 0
		.amdhsa_system_sgpr_workgroup_info 0
		.amdhsa_system_vgpr_workitem_id 0
		.amdhsa_next_free_vgpr 1
		.amdhsa_next_free_sgpr 0
		.amdhsa_accum_offset 4
		.amdhsa_reserve_vcc 0
		.amdhsa_reserve_flat_scratch 0
		.amdhsa_float_round_mode_32 0
		.amdhsa_float_round_mode_16_64 0
		.amdhsa_float_denorm_mode_32 3
		.amdhsa_float_denorm_mode_16_64 3
		.amdhsa_dx10_clamp 1
		.amdhsa_ieee_mode 1
		.amdhsa_fp16_overflow 0
		.amdhsa_tg_split 0
		.amdhsa_exception_fp_ieee_invalid_op 0
		.amdhsa_exception_fp_denorm_src 0
		.amdhsa_exception_fp_ieee_div_zero 0
		.amdhsa_exception_fp_ieee_overflow 0
		.amdhsa_exception_fp_ieee_underflow 0
		.amdhsa_exception_fp_ieee_inexact 0
		.amdhsa_exception_int_div_zero 0
	.end_amdhsa_kernel
	.section	.text._ZN7rocprim17ROCPRIM_400000_NS6detail17trampoline_kernelINS0_14default_configENS1_35radix_sort_onesweep_config_selectorIiNS0_10empty_typeEEEZNS1_34radix_sort_onesweep_global_offsetsIS3_Lb1EPiPS5_mNS0_19identity_decomposerEEE10hipError_tT1_T2_PT3_SE_jT4_jjP12ihipStream_tbEUlT_E0_NS1_11comp_targetILNS1_3genE10ELNS1_11target_archE1201ELNS1_3gpuE5ELNS1_3repE0EEENS1_52radix_sort_onesweep_histogram_config_static_selectorELNS0_4arch9wavefront6targetE1EEEvSC_,"axG",@progbits,_ZN7rocprim17ROCPRIM_400000_NS6detail17trampoline_kernelINS0_14default_configENS1_35radix_sort_onesweep_config_selectorIiNS0_10empty_typeEEEZNS1_34radix_sort_onesweep_global_offsetsIS3_Lb1EPiPS5_mNS0_19identity_decomposerEEE10hipError_tT1_T2_PT3_SE_jT4_jjP12ihipStream_tbEUlT_E0_NS1_11comp_targetILNS1_3genE10ELNS1_11target_archE1201ELNS1_3gpuE5ELNS1_3repE0EEENS1_52radix_sort_onesweep_histogram_config_static_selectorELNS0_4arch9wavefront6targetE1EEEvSC_,comdat
.Lfunc_end2009:
	.size	_ZN7rocprim17ROCPRIM_400000_NS6detail17trampoline_kernelINS0_14default_configENS1_35radix_sort_onesweep_config_selectorIiNS0_10empty_typeEEEZNS1_34radix_sort_onesweep_global_offsetsIS3_Lb1EPiPS5_mNS0_19identity_decomposerEEE10hipError_tT1_T2_PT3_SE_jT4_jjP12ihipStream_tbEUlT_E0_NS1_11comp_targetILNS1_3genE10ELNS1_11target_archE1201ELNS1_3gpuE5ELNS1_3repE0EEENS1_52radix_sort_onesweep_histogram_config_static_selectorELNS0_4arch9wavefront6targetE1EEEvSC_, .Lfunc_end2009-_ZN7rocprim17ROCPRIM_400000_NS6detail17trampoline_kernelINS0_14default_configENS1_35radix_sort_onesweep_config_selectorIiNS0_10empty_typeEEEZNS1_34radix_sort_onesweep_global_offsetsIS3_Lb1EPiPS5_mNS0_19identity_decomposerEEE10hipError_tT1_T2_PT3_SE_jT4_jjP12ihipStream_tbEUlT_E0_NS1_11comp_targetILNS1_3genE10ELNS1_11target_archE1201ELNS1_3gpuE5ELNS1_3repE0EEENS1_52radix_sort_onesweep_histogram_config_static_selectorELNS0_4arch9wavefront6targetE1EEEvSC_
                                        ; -- End function
	.section	.AMDGPU.csdata,"",@progbits
; Kernel info:
; codeLenInByte = 0
; NumSgprs: 4
; NumVgprs: 0
; NumAgprs: 0
; TotalNumVgprs: 0
; ScratchSize: 0
; MemoryBound: 0
; FloatMode: 240
; IeeeMode: 1
; LDSByteSize: 0 bytes/workgroup (compile time only)
; SGPRBlocks: 0
; VGPRBlocks: 0
; NumSGPRsForWavesPerEU: 4
; NumVGPRsForWavesPerEU: 1
; AccumOffset: 4
; Occupancy: 8
; WaveLimiterHint : 0
; COMPUTE_PGM_RSRC2:SCRATCH_EN: 0
; COMPUTE_PGM_RSRC2:USER_SGPR: 6
; COMPUTE_PGM_RSRC2:TRAP_HANDLER: 0
; COMPUTE_PGM_RSRC2:TGID_X_EN: 1
; COMPUTE_PGM_RSRC2:TGID_Y_EN: 0
; COMPUTE_PGM_RSRC2:TGID_Z_EN: 0
; COMPUTE_PGM_RSRC2:TIDIG_COMP_CNT: 0
; COMPUTE_PGM_RSRC3_GFX90A:ACCUM_OFFSET: 0
; COMPUTE_PGM_RSRC3_GFX90A:TG_SPLIT: 0
	.section	.text._ZN7rocprim17ROCPRIM_400000_NS6detail17trampoline_kernelINS0_14default_configENS1_35radix_sort_onesweep_config_selectorIiNS0_10empty_typeEEEZNS1_34radix_sort_onesweep_global_offsetsIS3_Lb1EPiPS5_mNS0_19identity_decomposerEEE10hipError_tT1_T2_PT3_SE_jT4_jjP12ihipStream_tbEUlT_E0_NS1_11comp_targetILNS1_3genE9ELNS1_11target_archE1100ELNS1_3gpuE3ELNS1_3repE0EEENS1_52radix_sort_onesweep_histogram_config_static_selectorELNS0_4arch9wavefront6targetE1EEEvSC_,"axG",@progbits,_ZN7rocprim17ROCPRIM_400000_NS6detail17trampoline_kernelINS0_14default_configENS1_35radix_sort_onesweep_config_selectorIiNS0_10empty_typeEEEZNS1_34radix_sort_onesweep_global_offsetsIS3_Lb1EPiPS5_mNS0_19identity_decomposerEEE10hipError_tT1_T2_PT3_SE_jT4_jjP12ihipStream_tbEUlT_E0_NS1_11comp_targetILNS1_3genE9ELNS1_11target_archE1100ELNS1_3gpuE3ELNS1_3repE0EEENS1_52radix_sort_onesweep_histogram_config_static_selectorELNS0_4arch9wavefront6targetE1EEEvSC_,comdat
	.protected	_ZN7rocprim17ROCPRIM_400000_NS6detail17trampoline_kernelINS0_14default_configENS1_35radix_sort_onesweep_config_selectorIiNS0_10empty_typeEEEZNS1_34radix_sort_onesweep_global_offsetsIS3_Lb1EPiPS5_mNS0_19identity_decomposerEEE10hipError_tT1_T2_PT3_SE_jT4_jjP12ihipStream_tbEUlT_E0_NS1_11comp_targetILNS1_3genE9ELNS1_11target_archE1100ELNS1_3gpuE3ELNS1_3repE0EEENS1_52radix_sort_onesweep_histogram_config_static_selectorELNS0_4arch9wavefront6targetE1EEEvSC_ ; -- Begin function _ZN7rocprim17ROCPRIM_400000_NS6detail17trampoline_kernelINS0_14default_configENS1_35radix_sort_onesweep_config_selectorIiNS0_10empty_typeEEEZNS1_34radix_sort_onesweep_global_offsetsIS3_Lb1EPiPS5_mNS0_19identity_decomposerEEE10hipError_tT1_T2_PT3_SE_jT4_jjP12ihipStream_tbEUlT_E0_NS1_11comp_targetILNS1_3genE9ELNS1_11target_archE1100ELNS1_3gpuE3ELNS1_3repE0EEENS1_52radix_sort_onesweep_histogram_config_static_selectorELNS0_4arch9wavefront6targetE1EEEvSC_
	.globl	_ZN7rocprim17ROCPRIM_400000_NS6detail17trampoline_kernelINS0_14default_configENS1_35radix_sort_onesweep_config_selectorIiNS0_10empty_typeEEEZNS1_34radix_sort_onesweep_global_offsetsIS3_Lb1EPiPS5_mNS0_19identity_decomposerEEE10hipError_tT1_T2_PT3_SE_jT4_jjP12ihipStream_tbEUlT_E0_NS1_11comp_targetILNS1_3genE9ELNS1_11target_archE1100ELNS1_3gpuE3ELNS1_3repE0EEENS1_52radix_sort_onesweep_histogram_config_static_selectorELNS0_4arch9wavefront6targetE1EEEvSC_
	.p2align	8
	.type	_ZN7rocprim17ROCPRIM_400000_NS6detail17trampoline_kernelINS0_14default_configENS1_35radix_sort_onesweep_config_selectorIiNS0_10empty_typeEEEZNS1_34radix_sort_onesweep_global_offsetsIS3_Lb1EPiPS5_mNS0_19identity_decomposerEEE10hipError_tT1_T2_PT3_SE_jT4_jjP12ihipStream_tbEUlT_E0_NS1_11comp_targetILNS1_3genE9ELNS1_11target_archE1100ELNS1_3gpuE3ELNS1_3repE0EEENS1_52radix_sort_onesweep_histogram_config_static_selectorELNS0_4arch9wavefront6targetE1EEEvSC_,@function
_ZN7rocprim17ROCPRIM_400000_NS6detail17trampoline_kernelINS0_14default_configENS1_35radix_sort_onesweep_config_selectorIiNS0_10empty_typeEEEZNS1_34radix_sort_onesweep_global_offsetsIS3_Lb1EPiPS5_mNS0_19identity_decomposerEEE10hipError_tT1_T2_PT3_SE_jT4_jjP12ihipStream_tbEUlT_E0_NS1_11comp_targetILNS1_3genE9ELNS1_11target_archE1100ELNS1_3gpuE3ELNS1_3repE0EEENS1_52radix_sort_onesweep_histogram_config_static_selectorELNS0_4arch9wavefront6targetE1EEEvSC_: ; @_ZN7rocprim17ROCPRIM_400000_NS6detail17trampoline_kernelINS0_14default_configENS1_35radix_sort_onesweep_config_selectorIiNS0_10empty_typeEEEZNS1_34radix_sort_onesweep_global_offsetsIS3_Lb1EPiPS5_mNS0_19identity_decomposerEEE10hipError_tT1_T2_PT3_SE_jT4_jjP12ihipStream_tbEUlT_E0_NS1_11comp_targetILNS1_3genE9ELNS1_11target_archE1100ELNS1_3gpuE3ELNS1_3repE0EEENS1_52radix_sort_onesweep_histogram_config_static_selectorELNS0_4arch9wavefront6targetE1EEEvSC_
; %bb.0:
	.section	.rodata,"a",@progbits
	.p2align	6, 0x0
	.amdhsa_kernel _ZN7rocprim17ROCPRIM_400000_NS6detail17trampoline_kernelINS0_14default_configENS1_35radix_sort_onesweep_config_selectorIiNS0_10empty_typeEEEZNS1_34radix_sort_onesweep_global_offsetsIS3_Lb1EPiPS5_mNS0_19identity_decomposerEEE10hipError_tT1_T2_PT3_SE_jT4_jjP12ihipStream_tbEUlT_E0_NS1_11comp_targetILNS1_3genE9ELNS1_11target_archE1100ELNS1_3gpuE3ELNS1_3repE0EEENS1_52radix_sort_onesweep_histogram_config_static_selectorELNS0_4arch9wavefront6targetE1EEEvSC_
		.amdhsa_group_segment_fixed_size 0
		.amdhsa_private_segment_fixed_size 0
		.amdhsa_kernarg_size 8
		.amdhsa_user_sgpr_count 6
		.amdhsa_user_sgpr_private_segment_buffer 1
		.amdhsa_user_sgpr_dispatch_ptr 0
		.amdhsa_user_sgpr_queue_ptr 0
		.amdhsa_user_sgpr_kernarg_segment_ptr 1
		.amdhsa_user_sgpr_dispatch_id 0
		.amdhsa_user_sgpr_flat_scratch_init 0
		.amdhsa_user_sgpr_kernarg_preload_length 0
		.amdhsa_user_sgpr_kernarg_preload_offset 0
		.amdhsa_user_sgpr_private_segment_size 0
		.amdhsa_uses_dynamic_stack 0
		.amdhsa_system_sgpr_private_segment_wavefront_offset 0
		.amdhsa_system_sgpr_workgroup_id_x 1
		.amdhsa_system_sgpr_workgroup_id_y 0
		.amdhsa_system_sgpr_workgroup_id_z 0
		.amdhsa_system_sgpr_workgroup_info 0
		.amdhsa_system_vgpr_workitem_id 0
		.amdhsa_next_free_vgpr 1
		.amdhsa_next_free_sgpr 0
		.amdhsa_accum_offset 4
		.amdhsa_reserve_vcc 0
		.amdhsa_reserve_flat_scratch 0
		.amdhsa_float_round_mode_32 0
		.amdhsa_float_round_mode_16_64 0
		.amdhsa_float_denorm_mode_32 3
		.amdhsa_float_denorm_mode_16_64 3
		.amdhsa_dx10_clamp 1
		.amdhsa_ieee_mode 1
		.amdhsa_fp16_overflow 0
		.amdhsa_tg_split 0
		.amdhsa_exception_fp_ieee_invalid_op 0
		.amdhsa_exception_fp_denorm_src 0
		.amdhsa_exception_fp_ieee_div_zero 0
		.amdhsa_exception_fp_ieee_overflow 0
		.amdhsa_exception_fp_ieee_underflow 0
		.amdhsa_exception_fp_ieee_inexact 0
		.amdhsa_exception_int_div_zero 0
	.end_amdhsa_kernel
	.section	.text._ZN7rocprim17ROCPRIM_400000_NS6detail17trampoline_kernelINS0_14default_configENS1_35radix_sort_onesweep_config_selectorIiNS0_10empty_typeEEEZNS1_34radix_sort_onesweep_global_offsetsIS3_Lb1EPiPS5_mNS0_19identity_decomposerEEE10hipError_tT1_T2_PT3_SE_jT4_jjP12ihipStream_tbEUlT_E0_NS1_11comp_targetILNS1_3genE9ELNS1_11target_archE1100ELNS1_3gpuE3ELNS1_3repE0EEENS1_52radix_sort_onesweep_histogram_config_static_selectorELNS0_4arch9wavefront6targetE1EEEvSC_,"axG",@progbits,_ZN7rocprim17ROCPRIM_400000_NS6detail17trampoline_kernelINS0_14default_configENS1_35radix_sort_onesweep_config_selectorIiNS0_10empty_typeEEEZNS1_34radix_sort_onesweep_global_offsetsIS3_Lb1EPiPS5_mNS0_19identity_decomposerEEE10hipError_tT1_T2_PT3_SE_jT4_jjP12ihipStream_tbEUlT_E0_NS1_11comp_targetILNS1_3genE9ELNS1_11target_archE1100ELNS1_3gpuE3ELNS1_3repE0EEENS1_52radix_sort_onesweep_histogram_config_static_selectorELNS0_4arch9wavefront6targetE1EEEvSC_,comdat
.Lfunc_end2010:
	.size	_ZN7rocprim17ROCPRIM_400000_NS6detail17trampoline_kernelINS0_14default_configENS1_35radix_sort_onesweep_config_selectorIiNS0_10empty_typeEEEZNS1_34radix_sort_onesweep_global_offsetsIS3_Lb1EPiPS5_mNS0_19identity_decomposerEEE10hipError_tT1_T2_PT3_SE_jT4_jjP12ihipStream_tbEUlT_E0_NS1_11comp_targetILNS1_3genE9ELNS1_11target_archE1100ELNS1_3gpuE3ELNS1_3repE0EEENS1_52radix_sort_onesweep_histogram_config_static_selectorELNS0_4arch9wavefront6targetE1EEEvSC_, .Lfunc_end2010-_ZN7rocprim17ROCPRIM_400000_NS6detail17trampoline_kernelINS0_14default_configENS1_35radix_sort_onesweep_config_selectorIiNS0_10empty_typeEEEZNS1_34radix_sort_onesweep_global_offsetsIS3_Lb1EPiPS5_mNS0_19identity_decomposerEEE10hipError_tT1_T2_PT3_SE_jT4_jjP12ihipStream_tbEUlT_E0_NS1_11comp_targetILNS1_3genE9ELNS1_11target_archE1100ELNS1_3gpuE3ELNS1_3repE0EEENS1_52radix_sort_onesweep_histogram_config_static_selectorELNS0_4arch9wavefront6targetE1EEEvSC_
                                        ; -- End function
	.section	.AMDGPU.csdata,"",@progbits
; Kernel info:
; codeLenInByte = 0
; NumSgprs: 4
; NumVgprs: 0
; NumAgprs: 0
; TotalNumVgprs: 0
; ScratchSize: 0
; MemoryBound: 0
; FloatMode: 240
; IeeeMode: 1
; LDSByteSize: 0 bytes/workgroup (compile time only)
; SGPRBlocks: 0
; VGPRBlocks: 0
; NumSGPRsForWavesPerEU: 4
; NumVGPRsForWavesPerEU: 1
; AccumOffset: 4
; Occupancy: 8
; WaveLimiterHint : 0
; COMPUTE_PGM_RSRC2:SCRATCH_EN: 0
; COMPUTE_PGM_RSRC2:USER_SGPR: 6
; COMPUTE_PGM_RSRC2:TRAP_HANDLER: 0
; COMPUTE_PGM_RSRC2:TGID_X_EN: 1
; COMPUTE_PGM_RSRC2:TGID_Y_EN: 0
; COMPUTE_PGM_RSRC2:TGID_Z_EN: 0
; COMPUTE_PGM_RSRC2:TIDIG_COMP_CNT: 0
; COMPUTE_PGM_RSRC3_GFX90A:ACCUM_OFFSET: 0
; COMPUTE_PGM_RSRC3_GFX90A:TG_SPLIT: 0
	.section	.text._ZN7rocprim17ROCPRIM_400000_NS6detail17trampoline_kernelINS0_14default_configENS1_35radix_sort_onesweep_config_selectorIiNS0_10empty_typeEEEZNS1_34radix_sort_onesweep_global_offsetsIS3_Lb1EPiPS5_mNS0_19identity_decomposerEEE10hipError_tT1_T2_PT3_SE_jT4_jjP12ihipStream_tbEUlT_E0_NS1_11comp_targetILNS1_3genE8ELNS1_11target_archE1030ELNS1_3gpuE2ELNS1_3repE0EEENS1_52radix_sort_onesweep_histogram_config_static_selectorELNS0_4arch9wavefront6targetE1EEEvSC_,"axG",@progbits,_ZN7rocprim17ROCPRIM_400000_NS6detail17trampoline_kernelINS0_14default_configENS1_35radix_sort_onesweep_config_selectorIiNS0_10empty_typeEEEZNS1_34radix_sort_onesweep_global_offsetsIS3_Lb1EPiPS5_mNS0_19identity_decomposerEEE10hipError_tT1_T2_PT3_SE_jT4_jjP12ihipStream_tbEUlT_E0_NS1_11comp_targetILNS1_3genE8ELNS1_11target_archE1030ELNS1_3gpuE2ELNS1_3repE0EEENS1_52radix_sort_onesweep_histogram_config_static_selectorELNS0_4arch9wavefront6targetE1EEEvSC_,comdat
	.protected	_ZN7rocprim17ROCPRIM_400000_NS6detail17trampoline_kernelINS0_14default_configENS1_35radix_sort_onesweep_config_selectorIiNS0_10empty_typeEEEZNS1_34radix_sort_onesweep_global_offsetsIS3_Lb1EPiPS5_mNS0_19identity_decomposerEEE10hipError_tT1_T2_PT3_SE_jT4_jjP12ihipStream_tbEUlT_E0_NS1_11comp_targetILNS1_3genE8ELNS1_11target_archE1030ELNS1_3gpuE2ELNS1_3repE0EEENS1_52radix_sort_onesweep_histogram_config_static_selectorELNS0_4arch9wavefront6targetE1EEEvSC_ ; -- Begin function _ZN7rocprim17ROCPRIM_400000_NS6detail17trampoline_kernelINS0_14default_configENS1_35radix_sort_onesweep_config_selectorIiNS0_10empty_typeEEEZNS1_34radix_sort_onesweep_global_offsetsIS3_Lb1EPiPS5_mNS0_19identity_decomposerEEE10hipError_tT1_T2_PT3_SE_jT4_jjP12ihipStream_tbEUlT_E0_NS1_11comp_targetILNS1_3genE8ELNS1_11target_archE1030ELNS1_3gpuE2ELNS1_3repE0EEENS1_52radix_sort_onesweep_histogram_config_static_selectorELNS0_4arch9wavefront6targetE1EEEvSC_
	.globl	_ZN7rocprim17ROCPRIM_400000_NS6detail17trampoline_kernelINS0_14default_configENS1_35radix_sort_onesweep_config_selectorIiNS0_10empty_typeEEEZNS1_34radix_sort_onesweep_global_offsetsIS3_Lb1EPiPS5_mNS0_19identity_decomposerEEE10hipError_tT1_T2_PT3_SE_jT4_jjP12ihipStream_tbEUlT_E0_NS1_11comp_targetILNS1_3genE8ELNS1_11target_archE1030ELNS1_3gpuE2ELNS1_3repE0EEENS1_52radix_sort_onesweep_histogram_config_static_selectorELNS0_4arch9wavefront6targetE1EEEvSC_
	.p2align	8
	.type	_ZN7rocprim17ROCPRIM_400000_NS6detail17trampoline_kernelINS0_14default_configENS1_35radix_sort_onesweep_config_selectorIiNS0_10empty_typeEEEZNS1_34radix_sort_onesweep_global_offsetsIS3_Lb1EPiPS5_mNS0_19identity_decomposerEEE10hipError_tT1_T2_PT3_SE_jT4_jjP12ihipStream_tbEUlT_E0_NS1_11comp_targetILNS1_3genE8ELNS1_11target_archE1030ELNS1_3gpuE2ELNS1_3repE0EEENS1_52radix_sort_onesweep_histogram_config_static_selectorELNS0_4arch9wavefront6targetE1EEEvSC_,@function
_ZN7rocprim17ROCPRIM_400000_NS6detail17trampoline_kernelINS0_14default_configENS1_35radix_sort_onesweep_config_selectorIiNS0_10empty_typeEEEZNS1_34radix_sort_onesweep_global_offsetsIS3_Lb1EPiPS5_mNS0_19identity_decomposerEEE10hipError_tT1_T2_PT3_SE_jT4_jjP12ihipStream_tbEUlT_E0_NS1_11comp_targetILNS1_3genE8ELNS1_11target_archE1030ELNS1_3gpuE2ELNS1_3repE0EEENS1_52radix_sort_onesweep_histogram_config_static_selectorELNS0_4arch9wavefront6targetE1EEEvSC_: ; @_ZN7rocprim17ROCPRIM_400000_NS6detail17trampoline_kernelINS0_14default_configENS1_35radix_sort_onesweep_config_selectorIiNS0_10empty_typeEEEZNS1_34radix_sort_onesweep_global_offsetsIS3_Lb1EPiPS5_mNS0_19identity_decomposerEEE10hipError_tT1_T2_PT3_SE_jT4_jjP12ihipStream_tbEUlT_E0_NS1_11comp_targetILNS1_3genE8ELNS1_11target_archE1030ELNS1_3gpuE2ELNS1_3repE0EEENS1_52radix_sort_onesweep_histogram_config_static_selectorELNS0_4arch9wavefront6targetE1EEEvSC_
; %bb.0:
	.section	.rodata,"a",@progbits
	.p2align	6, 0x0
	.amdhsa_kernel _ZN7rocprim17ROCPRIM_400000_NS6detail17trampoline_kernelINS0_14default_configENS1_35radix_sort_onesweep_config_selectorIiNS0_10empty_typeEEEZNS1_34radix_sort_onesweep_global_offsetsIS3_Lb1EPiPS5_mNS0_19identity_decomposerEEE10hipError_tT1_T2_PT3_SE_jT4_jjP12ihipStream_tbEUlT_E0_NS1_11comp_targetILNS1_3genE8ELNS1_11target_archE1030ELNS1_3gpuE2ELNS1_3repE0EEENS1_52radix_sort_onesweep_histogram_config_static_selectorELNS0_4arch9wavefront6targetE1EEEvSC_
		.amdhsa_group_segment_fixed_size 0
		.amdhsa_private_segment_fixed_size 0
		.amdhsa_kernarg_size 8
		.amdhsa_user_sgpr_count 6
		.amdhsa_user_sgpr_private_segment_buffer 1
		.amdhsa_user_sgpr_dispatch_ptr 0
		.amdhsa_user_sgpr_queue_ptr 0
		.amdhsa_user_sgpr_kernarg_segment_ptr 1
		.amdhsa_user_sgpr_dispatch_id 0
		.amdhsa_user_sgpr_flat_scratch_init 0
		.amdhsa_user_sgpr_kernarg_preload_length 0
		.amdhsa_user_sgpr_kernarg_preload_offset 0
		.amdhsa_user_sgpr_private_segment_size 0
		.amdhsa_uses_dynamic_stack 0
		.amdhsa_system_sgpr_private_segment_wavefront_offset 0
		.amdhsa_system_sgpr_workgroup_id_x 1
		.amdhsa_system_sgpr_workgroup_id_y 0
		.amdhsa_system_sgpr_workgroup_id_z 0
		.amdhsa_system_sgpr_workgroup_info 0
		.amdhsa_system_vgpr_workitem_id 0
		.amdhsa_next_free_vgpr 1
		.amdhsa_next_free_sgpr 0
		.amdhsa_accum_offset 4
		.amdhsa_reserve_vcc 0
		.amdhsa_reserve_flat_scratch 0
		.amdhsa_float_round_mode_32 0
		.amdhsa_float_round_mode_16_64 0
		.amdhsa_float_denorm_mode_32 3
		.amdhsa_float_denorm_mode_16_64 3
		.amdhsa_dx10_clamp 1
		.amdhsa_ieee_mode 1
		.amdhsa_fp16_overflow 0
		.amdhsa_tg_split 0
		.amdhsa_exception_fp_ieee_invalid_op 0
		.amdhsa_exception_fp_denorm_src 0
		.amdhsa_exception_fp_ieee_div_zero 0
		.amdhsa_exception_fp_ieee_overflow 0
		.amdhsa_exception_fp_ieee_underflow 0
		.amdhsa_exception_fp_ieee_inexact 0
		.amdhsa_exception_int_div_zero 0
	.end_amdhsa_kernel
	.section	.text._ZN7rocprim17ROCPRIM_400000_NS6detail17trampoline_kernelINS0_14default_configENS1_35radix_sort_onesweep_config_selectorIiNS0_10empty_typeEEEZNS1_34radix_sort_onesweep_global_offsetsIS3_Lb1EPiPS5_mNS0_19identity_decomposerEEE10hipError_tT1_T2_PT3_SE_jT4_jjP12ihipStream_tbEUlT_E0_NS1_11comp_targetILNS1_3genE8ELNS1_11target_archE1030ELNS1_3gpuE2ELNS1_3repE0EEENS1_52radix_sort_onesweep_histogram_config_static_selectorELNS0_4arch9wavefront6targetE1EEEvSC_,"axG",@progbits,_ZN7rocprim17ROCPRIM_400000_NS6detail17trampoline_kernelINS0_14default_configENS1_35radix_sort_onesweep_config_selectorIiNS0_10empty_typeEEEZNS1_34radix_sort_onesweep_global_offsetsIS3_Lb1EPiPS5_mNS0_19identity_decomposerEEE10hipError_tT1_T2_PT3_SE_jT4_jjP12ihipStream_tbEUlT_E0_NS1_11comp_targetILNS1_3genE8ELNS1_11target_archE1030ELNS1_3gpuE2ELNS1_3repE0EEENS1_52radix_sort_onesweep_histogram_config_static_selectorELNS0_4arch9wavefront6targetE1EEEvSC_,comdat
.Lfunc_end2011:
	.size	_ZN7rocprim17ROCPRIM_400000_NS6detail17trampoline_kernelINS0_14default_configENS1_35radix_sort_onesweep_config_selectorIiNS0_10empty_typeEEEZNS1_34radix_sort_onesweep_global_offsetsIS3_Lb1EPiPS5_mNS0_19identity_decomposerEEE10hipError_tT1_T2_PT3_SE_jT4_jjP12ihipStream_tbEUlT_E0_NS1_11comp_targetILNS1_3genE8ELNS1_11target_archE1030ELNS1_3gpuE2ELNS1_3repE0EEENS1_52radix_sort_onesweep_histogram_config_static_selectorELNS0_4arch9wavefront6targetE1EEEvSC_, .Lfunc_end2011-_ZN7rocprim17ROCPRIM_400000_NS6detail17trampoline_kernelINS0_14default_configENS1_35radix_sort_onesweep_config_selectorIiNS0_10empty_typeEEEZNS1_34radix_sort_onesweep_global_offsetsIS3_Lb1EPiPS5_mNS0_19identity_decomposerEEE10hipError_tT1_T2_PT3_SE_jT4_jjP12ihipStream_tbEUlT_E0_NS1_11comp_targetILNS1_3genE8ELNS1_11target_archE1030ELNS1_3gpuE2ELNS1_3repE0EEENS1_52radix_sort_onesweep_histogram_config_static_selectorELNS0_4arch9wavefront6targetE1EEEvSC_
                                        ; -- End function
	.section	.AMDGPU.csdata,"",@progbits
; Kernel info:
; codeLenInByte = 0
; NumSgprs: 4
; NumVgprs: 0
; NumAgprs: 0
; TotalNumVgprs: 0
; ScratchSize: 0
; MemoryBound: 0
; FloatMode: 240
; IeeeMode: 1
; LDSByteSize: 0 bytes/workgroup (compile time only)
; SGPRBlocks: 0
; VGPRBlocks: 0
; NumSGPRsForWavesPerEU: 4
; NumVGPRsForWavesPerEU: 1
; AccumOffset: 4
; Occupancy: 8
; WaveLimiterHint : 0
; COMPUTE_PGM_RSRC2:SCRATCH_EN: 0
; COMPUTE_PGM_RSRC2:USER_SGPR: 6
; COMPUTE_PGM_RSRC2:TRAP_HANDLER: 0
; COMPUTE_PGM_RSRC2:TGID_X_EN: 1
; COMPUTE_PGM_RSRC2:TGID_Y_EN: 0
; COMPUTE_PGM_RSRC2:TGID_Z_EN: 0
; COMPUTE_PGM_RSRC2:TIDIG_COMP_CNT: 0
; COMPUTE_PGM_RSRC3_GFX90A:ACCUM_OFFSET: 0
; COMPUTE_PGM_RSRC3_GFX90A:TG_SPLIT: 0
	.section	.text._ZN7rocprim17ROCPRIM_400000_NS6detail17trampoline_kernelINS0_14default_configENS1_35radix_sort_onesweep_config_selectorIiNS0_10empty_typeEEEZZNS1_29radix_sort_onesweep_iterationIS3_Lb1EPiS8_PS5_S9_mNS0_19identity_decomposerENS1_16block_id_wrapperIjLb1EEEEE10hipError_tT1_PNSt15iterator_traitsISE_E10value_typeET2_T3_PNSF_ISK_E10value_typeET4_T5_PSP_SQ_PNS1_23onesweep_lookback_stateEbbT6_jjT7_P12ihipStream_tbENKUlT_T0_SE_SJ_E_clIS8_S8_S9_S9_EEDaSX_SY_SE_SJ_EUlSX_E_NS1_11comp_targetILNS1_3genE0ELNS1_11target_archE4294967295ELNS1_3gpuE0ELNS1_3repE0EEENS1_47radix_sort_onesweep_sort_config_static_selectorELNS0_4arch9wavefront6targetE1EEEvSE_,"axG",@progbits,_ZN7rocprim17ROCPRIM_400000_NS6detail17trampoline_kernelINS0_14default_configENS1_35radix_sort_onesweep_config_selectorIiNS0_10empty_typeEEEZZNS1_29radix_sort_onesweep_iterationIS3_Lb1EPiS8_PS5_S9_mNS0_19identity_decomposerENS1_16block_id_wrapperIjLb1EEEEE10hipError_tT1_PNSt15iterator_traitsISE_E10value_typeET2_T3_PNSF_ISK_E10value_typeET4_T5_PSP_SQ_PNS1_23onesweep_lookback_stateEbbT6_jjT7_P12ihipStream_tbENKUlT_T0_SE_SJ_E_clIS8_S8_S9_S9_EEDaSX_SY_SE_SJ_EUlSX_E_NS1_11comp_targetILNS1_3genE0ELNS1_11target_archE4294967295ELNS1_3gpuE0ELNS1_3repE0EEENS1_47radix_sort_onesweep_sort_config_static_selectorELNS0_4arch9wavefront6targetE1EEEvSE_,comdat
	.protected	_ZN7rocprim17ROCPRIM_400000_NS6detail17trampoline_kernelINS0_14default_configENS1_35radix_sort_onesweep_config_selectorIiNS0_10empty_typeEEEZZNS1_29radix_sort_onesweep_iterationIS3_Lb1EPiS8_PS5_S9_mNS0_19identity_decomposerENS1_16block_id_wrapperIjLb1EEEEE10hipError_tT1_PNSt15iterator_traitsISE_E10value_typeET2_T3_PNSF_ISK_E10value_typeET4_T5_PSP_SQ_PNS1_23onesweep_lookback_stateEbbT6_jjT7_P12ihipStream_tbENKUlT_T0_SE_SJ_E_clIS8_S8_S9_S9_EEDaSX_SY_SE_SJ_EUlSX_E_NS1_11comp_targetILNS1_3genE0ELNS1_11target_archE4294967295ELNS1_3gpuE0ELNS1_3repE0EEENS1_47radix_sort_onesweep_sort_config_static_selectorELNS0_4arch9wavefront6targetE1EEEvSE_ ; -- Begin function _ZN7rocprim17ROCPRIM_400000_NS6detail17trampoline_kernelINS0_14default_configENS1_35radix_sort_onesweep_config_selectorIiNS0_10empty_typeEEEZZNS1_29radix_sort_onesweep_iterationIS3_Lb1EPiS8_PS5_S9_mNS0_19identity_decomposerENS1_16block_id_wrapperIjLb1EEEEE10hipError_tT1_PNSt15iterator_traitsISE_E10value_typeET2_T3_PNSF_ISK_E10value_typeET4_T5_PSP_SQ_PNS1_23onesweep_lookback_stateEbbT6_jjT7_P12ihipStream_tbENKUlT_T0_SE_SJ_E_clIS8_S8_S9_S9_EEDaSX_SY_SE_SJ_EUlSX_E_NS1_11comp_targetILNS1_3genE0ELNS1_11target_archE4294967295ELNS1_3gpuE0ELNS1_3repE0EEENS1_47radix_sort_onesweep_sort_config_static_selectorELNS0_4arch9wavefront6targetE1EEEvSE_
	.globl	_ZN7rocprim17ROCPRIM_400000_NS6detail17trampoline_kernelINS0_14default_configENS1_35radix_sort_onesweep_config_selectorIiNS0_10empty_typeEEEZZNS1_29radix_sort_onesweep_iterationIS3_Lb1EPiS8_PS5_S9_mNS0_19identity_decomposerENS1_16block_id_wrapperIjLb1EEEEE10hipError_tT1_PNSt15iterator_traitsISE_E10value_typeET2_T3_PNSF_ISK_E10value_typeET4_T5_PSP_SQ_PNS1_23onesweep_lookback_stateEbbT6_jjT7_P12ihipStream_tbENKUlT_T0_SE_SJ_E_clIS8_S8_S9_S9_EEDaSX_SY_SE_SJ_EUlSX_E_NS1_11comp_targetILNS1_3genE0ELNS1_11target_archE4294967295ELNS1_3gpuE0ELNS1_3repE0EEENS1_47radix_sort_onesweep_sort_config_static_selectorELNS0_4arch9wavefront6targetE1EEEvSE_
	.p2align	8
	.type	_ZN7rocprim17ROCPRIM_400000_NS6detail17trampoline_kernelINS0_14default_configENS1_35radix_sort_onesweep_config_selectorIiNS0_10empty_typeEEEZZNS1_29radix_sort_onesweep_iterationIS3_Lb1EPiS8_PS5_S9_mNS0_19identity_decomposerENS1_16block_id_wrapperIjLb1EEEEE10hipError_tT1_PNSt15iterator_traitsISE_E10value_typeET2_T3_PNSF_ISK_E10value_typeET4_T5_PSP_SQ_PNS1_23onesweep_lookback_stateEbbT6_jjT7_P12ihipStream_tbENKUlT_T0_SE_SJ_E_clIS8_S8_S9_S9_EEDaSX_SY_SE_SJ_EUlSX_E_NS1_11comp_targetILNS1_3genE0ELNS1_11target_archE4294967295ELNS1_3gpuE0ELNS1_3repE0EEENS1_47radix_sort_onesweep_sort_config_static_selectorELNS0_4arch9wavefront6targetE1EEEvSE_,@function
_ZN7rocprim17ROCPRIM_400000_NS6detail17trampoline_kernelINS0_14default_configENS1_35radix_sort_onesweep_config_selectorIiNS0_10empty_typeEEEZZNS1_29radix_sort_onesweep_iterationIS3_Lb1EPiS8_PS5_S9_mNS0_19identity_decomposerENS1_16block_id_wrapperIjLb1EEEEE10hipError_tT1_PNSt15iterator_traitsISE_E10value_typeET2_T3_PNSF_ISK_E10value_typeET4_T5_PSP_SQ_PNS1_23onesweep_lookback_stateEbbT6_jjT7_P12ihipStream_tbENKUlT_T0_SE_SJ_E_clIS8_S8_S9_S9_EEDaSX_SY_SE_SJ_EUlSX_E_NS1_11comp_targetILNS1_3genE0ELNS1_11target_archE4294967295ELNS1_3gpuE0ELNS1_3repE0EEENS1_47radix_sort_onesweep_sort_config_static_selectorELNS0_4arch9wavefront6targetE1EEEvSE_: ; @_ZN7rocprim17ROCPRIM_400000_NS6detail17trampoline_kernelINS0_14default_configENS1_35radix_sort_onesweep_config_selectorIiNS0_10empty_typeEEEZZNS1_29radix_sort_onesweep_iterationIS3_Lb1EPiS8_PS5_S9_mNS0_19identity_decomposerENS1_16block_id_wrapperIjLb1EEEEE10hipError_tT1_PNSt15iterator_traitsISE_E10value_typeET2_T3_PNSF_ISK_E10value_typeET4_T5_PSP_SQ_PNS1_23onesweep_lookback_stateEbbT6_jjT7_P12ihipStream_tbENKUlT_T0_SE_SJ_E_clIS8_S8_S9_S9_EEDaSX_SY_SE_SJ_EUlSX_E_NS1_11comp_targetILNS1_3genE0ELNS1_11target_archE4294967295ELNS1_3gpuE0ELNS1_3repE0EEENS1_47radix_sort_onesweep_sort_config_static_selectorELNS0_4arch9wavefront6targetE1EEEvSE_
; %bb.0:
	.section	.rodata,"a",@progbits
	.p2align	6, 0x0
	.amdhsa_kernel _ZN7rocprim17ROCPRIM_400000_NS6detail17trampoline_kernelINS0_14default_configENS1_35radix_sort_onesweep_config_selectorIiNS0_10empty_typeEEEZZNS1_29radix_sort_onesweep_iterationIS3_Lb1EPiS8_PS5_S9_mNS0_19identity_decomposerENS1_16block_id_wrapperIjLb1EEEEE10hipError_tT1_PNSt15iterator_traitsISE_E10value_typeET2_T3_PNSF_ISK_E10value_typeET4_T5_PSP_SQ_PNS1_23onesweep_lookback_stateEbbT6_jjT7_P12ihipStream_tbENKUlT_T0_SE_SJ_E_clIS8_S8_S9_S9_EEDaSX_SY_SE_SJ_EUlSX_E_NS1_11comp_targetILNS1_3genE0ELNS1_11target_archE4294967295ELNS1_3gpuE0ELNS1_3repE0EEENS1_47radix_sort_onesweep_sort_config_static_selectorELNS0_4arch9wavefront6targetE1EEEvSE_
		.amdhsa_group_segment_fixed_size 0
		.amdhsa_private_segment_fixed_size 0
		.amdhsa_kernarg_size 88
		.amdhsa_user_sgpr_count 6
		.amdhsa_user_sgpr_private_segment_buffer 1
		.amdhsa_user_sgpr_dispatch_ptr 0
		.amdhsa_user_sgpr_queue_ptr 0
		.amdhsa_user_sgpr_kernarg_segment_ptr 1
		.amdhsa_user_sgpr_dispatch_id 0
		.amdhsa_user_sgpr_flat_scratch_init 0
		.amdhsa_user_sgpr_kernarg_preload_length 0
		.amdhsa_user_sgpr_kernarg_preload_offset 0
		.amdhsa_user_sgpr_private_segment_size 0
		.amdhsa_uses_dynamic_stack 0
		.amdhsa_system_sgpr_private_segment_wavefront_offset 0
		.amdhsa_system_sgpr_workgroup_id_x 1
		.amdhsa_system_sgpr_workgroup_id_y 0
		.amdhsa_system_sgpr_workgroup_id_z 0
		.amdhsa_system_sgpr_workgroup_info 0
		.amdhsa_system_vgpr_workitem_id 0
		.amdhsa_next_free_vgpr 1
		.amdhsa_next_free_sgpr 0
		.amdhsa_accum_offset 4
		.amdhsa_reserve_vcc 0
		.amdhsa_reserve_flat_scratch 0
		.amdhsa_float_round_mode_32 0
		.amdhsa_float_round_mode_16_64 0
		.amdhsa_float_denorm_mode_32 3
		.amdhsa_float_denorm_mode_16_64 3
		.amdhsa_dx10_clamp 1
		.amdhsa_ieee_mode 1
		.amdhsa_fp16_overflow 0
		.amdhsa_tg_split 0
		.amdhsa_exception_fp_ieee_invalid_op 0
		.amdhsa_exception_fp_denorm_src 0
		.amdhsa_exception_fp_ieee_div_zero 0
		.amdhsa_exception_fp_ieee_overflow 0
		.amdhsa_exception_fp_ieee_underflow 0
		.amdhsa_exception_fp_ieee_inexact 0
		.amdhsa_exception_int_div_zero 0
	.end_amdhsa_kernel
	.section	.text._ZN7rocprim17ROCPRIM_400000_NS6detail17trampoline_kernelINS0_14default_configENS1_35radix_sort_onesweep_config_selectorIiNS0_10empty_typeEEEZZNS1_29radix_sort_onesweep_iterationIS3_Lb1EPiS8_PS5_S9_mNS0_19identity_decomposerENS1_16block_id_wrapperIjLb1EEEEE10hipError_tT1_PNSt15iterator_traitsISE_E10value_typeET2_T3_PNSF_ISK_E10value_typeET4_T5_PSP_SQ_PNS1_23onesweep_lookback_stateEbbT6_jjT7_P12ihipStream_tbENKUlT_T0_SE_SJ_E_clIS8_S8_S9_S9_EEDaSX_SY_SE_SJ_EUlSX_E_NS1_11comp_targetILNS1_3genE0ELNS1_11target_archE4294967295ELNS1_3gpuE0ELNS1_3repE0EEENS1_47radix_sort_onesweep_sort_config_static_selectorELNS0_4arch9wavefront6targetE1EEEvSE_,"axG",@progbits,_ZN7rocprim17ROCPRIM_400000_NS6detail17trampoline_kernelINS0_14default_configENS1_35radix_sort_onesweep_config_selectorIiNS0_10empty_typeEEEZZNS1_29radix_sort_onesweep_iterationIS3_Lb1EPiS8_PS5_S9_mNS0_19identity_decomposerENS1_16block_id_wrapperIjLb1EEEEE10hipError_tT1_PNSt15iterator_traitsISE_E10value_typeET2_T3_PNSF_ISK_E10value_typeET4_T5_PSP_SQ_PNS1_23onesweep_lookback_stateEbbT6_jjT7_P12ihipStream_tbENKUlT_T0_SE_SJ_E_clIS8_S8_S9_S9_EEDaSX_SY_SE_SJ_EUlSX_E_NS1_11comp_targetILNS1_3genE0ELNS1_11target_archE4294967295ELNS1_3gpuE0ELNS1_3repE0EEENS1_47radix_sort_onesweep_sort_config_static_selectorELNS0_4arch9wavefront6targetE1EEEvSE_,comdat
.Lfunc_end2012:
	.size	_ZN7rocprim17ROCPRIM_400000_NS6detail17trampoline_kernelINS0_14default_configENS1_35radix_sort_onesweep_config_selectorIiNS0_10empty_typeEEEZZNS1_29radix_sort_onesweep_iterationIS3_Lb1EPiS8_PS5_S9_mNS0_19identity_decomposerENS1_16block_id_wrapperIjLb1EEEEE10hipError_tT1_PNSt15iterator_traitsISE_E10value_typeET2_T3_PNSF_ISK_E10value_typeET4_T5_PSP_SQ_PNS1_23onesweep_lookback_stateEbbT6_jjT7_P12ihipStream_tbENKUlT_T0_SE_SJ_E_clIS8_S8_S9_S9_EEDaSX_SY_SE_SJ_EUlSX_E_NS1_11comp_targetILNS1_3genE0ELNS1_11target_archE4294967295ELNS1_3gpuE0ELNS1_3repE0EEENS1_47radix_sort_onesweep_sort_config_static_selectorELNS0_4arch9wavefront6targetE1EEEvSE_, .Lfunc_end2012-_ZN7rocprim17ROCPRIM_400000_NS6detail17trampoline_kernelINS0_14default_configENS1_35radix_sort_onesweep_config_selectorIiNS0_10empty_typeEEEZZNS1_29radix_sort_onesweep_iterationIS3_Lb1EPiS8_PS5_S9_mNS0_19identity_decomposerENS1_16block_id_wrapperIjLb1EEEEE10hipError_tT1_PNSt15iterator_traitsISE_E10value_typeET2_T3_PNSF_ISK_E10value_typeET4_T5_PSP_SQ_PNS1_23onesweep_lookback_stateEbbT6_jjT7_P12ihipStream_tbENKUlT_T0_SE_SJ_E_clIS8_S8_S9_S9_EEDaSX_SY_SE_SJ_EUlSX_E_NS1_11comp_targetILNS1_3genE0ELNS1_11target_archE4294967295ELNS1_3gpuE0ELNS1_3repE0EEENS1_47radix_sort_onesweep_sort_config_static_selectorELNS0_4arch9wavefront6targetE1EEEvSE_
                                        ; -- End function
	.section	.AMDGPU.csdata,"",@progbits
; Kernel info:
; codeLenInByte = 0
; NumSgprs: 4
; NumVgprs: 0
; NumAgprs: 0
; TotalNumVgprs: 0
; ScratchSize: 0
; MemoryBound: 0
; FloatMode: 240
; IeeeMode: 1
; LDSByteSize: 0 bytes/workgroup (compile time only)
; SGPRBlocks: 0
; VGPRBlocks: 0
; NumSGPRsForWavesPerEU: 4
; NumVGPRsForWavesPerEU: 1
; AccumOffset: 4
; Occupancy: 8
; WaveLimiterHint : 0
; COMPUTE_PGM_RSRC2:SCRATCH_EN: 0
; COMPUTE_PGM_RSRC2:USER_SGPR: 6
; COMPUTE_PGM_RSRC2:TRAP_HANDLER: 0
; COMPUTE_PGM_RSRC2:TGID_X_EN: 1
; COMPUTE_PGM_RSRC2:TGID_Y_EN: 0
; COMPUTE_PGM_RSRC2:TGID_Z_EN: 0
; COMPUTE_PGM_RSRC2:TIDIG_COMP_CNT: 0
; COMPUTE_PGM_RSRC3_GFX90A:ACCUM_OFFSET: 0
; COMPUTE_PGM_RSRC3_GFX90A:TG_SPLIT: 0
	.section	.text._ZN7rocprim17ROCPRIM_400000_NS6detail17trampoline_kernelINS0_14default_configENS1_35radix_sort_onesweep_config_selectorIiNS0_10empty_typeEEEZZNS1_29radix_sort_onesweep_iterationIS3_Lb1EPiS8_PS5_S9_mNS0_19identity_decomposerENS1_16block_id_wrapperIjLb1EEEEE10hipError_tT1_PNSt15iterator_traitsISE_E10value_typeET2_T3_PNSF_ISK_E10value_typeET4_T5_PSP_SQ_PNS1_23onesweep_lookback_stateEbbT6_jjT7_P12ihipStream_tbENKUlT_T0_SE_SJ_E_clIS8_S8_S9_S9_EEDaSX_SY_SE_SJ_EUlSX_E_NS1_11comp_targetILNS1_3genE6ELNS1_11target_archE950ELNS1_3gpuE13ELNS1_3repE0EEENS1_47radix_sort_onesweep_sort_config_static_selectorELNS0_4arch9wavefront6targetE1EEEvSE_,"axG",@progbits,_ZN7rocprim17ROCPRIM_400000_NS6detail17trampoline_kernelINS0_14default_configENS1_35radix_sort_onesweep_config_selectorIiNS0_10empty_typeEEEZZNS1_29radix_sort_onesweep_iterationIS3_Lb1EPiS8_PS5_S9_mNS0_19identity_decomposerENS1_16block_id_wrapperIjLb1EEEEE10hipError_tT1_PNSt15iterator_traitsISE_E10value_typeET2_T3_PNSF_ISK_E10value_typeET4_T5_PSP_SQ_PNS1_23onesweep_lookback_stateEbbT6_jjT7_P12ihipStream_tbENKUlT_T0_SE_SJ_E_clIS8_S8_S9_S9_EEDaSX_SY_SE_SJ_EUlSX_E_NS1_11comp_targetILNS1_3genE6ELNS1_11target_archE950ELNS1_3gpuE13ELNS1_3repE0EEENS1_47radix_sort_onesweep_sort_config_static_selectorELNS0_4arch9wavefront6targetE1EEEvSE_,comdat
	.protected	_ZN7rocprim17ROCPRIM_400000_NS6detail17trampoline_kernelINS0_14default_configENS1_35radix_sort_onesweep_config_selectorIiNS0_10empty_typeEEEZZNS1_29radix_sort_onesweep_iterationIS3_Lb1EPiS8_PS5_S9_mNS0_19identity_decomposerENS1_16block_id_wrapperIjLb1EEEEE10hipError_tT1_PNSt15iterator_traitsISE_E10value_typeET2_T3_PNSF_ISK_E10value_typeET4_T5_PSP_SQ_PNS1_23onesweep_lookback_stateEbbT6_jjT7_P12ihipStream_tbENKUlT_T0_SE_SJ_E_clIS8_S8_S9_S9_EEDaSX_SY_SE_SJ_EUlSX_E_NS1_11comp_targetILNS1_3genE6ELNS1_11target_archE950ELNS1_3gpuE13ELNS1_3repE0EEENS1_47radix_sort_onesweep_sort_config_static_selectorELNS0_4arch9wavefront6targetE1EEEvSE_ ; -- Begin function _ZN7rocprim17ROCPRIM_400000_NS6detail17trampoline_kernelINS0_14default_configENS1_35radix_sort_onesweep_config_selectorIiNS0_10empty_typeEEEZZNS1_29radix_sort_onesweep_iterationIS3_Lb1EPiS8_PS5_S9_mNS0_19identity_decomposerENS1_16block_id_wrapperIjLb1EEEEE10hipError_tT1_PNSt15iterator_traitsISE_E10value_typeET2_T3_PNSF_ISK_E10value_typeET4_T5_PSP_SQ_PNS1_23onesweep_lookback_stateEbbT6_jjT7_P12ihipStream_tbENKUlT_T0_SE_SJ_E_clIS8_S8_S9_S9_EEDaSX_SY_SE_SJ_EUlSX_E_NS1_11comp_targetILNS1_3genE6ELNS1_11target_archE950ELNS1_3gpuE13ELNS1_3repE0EEENS1_47radix_sort_onesweep_sort_config_static_selectorELNS0_4arch9wavefront6targetE1EEEvSE_
	.globl	_ZN7rocprim17ROCPRIM_400000_NS6detail17trampoline_kernelINS0_14default_configENS1_35radix_sort_onesweep_config_selectorIiNS0_10empty_typeEEEZZNS1_29radix_sort_onesweep_iterationIS3_Lb1EPiS8_PS5_S9_mNS0_19identity_decomposerENS1_16block_id_wrapperIjLb1EEEEE10hipError_tT1_PNSt15iterator_traitsISE_E10value_typeET2_T3_PNSF_ISK_E10value_typeET4_T5_PSP_SQ_PNS1_23onesweep_lookback_stateEbbT6_jjT7_P12ihipStream_tbENKUlT_T0_SE_SJ_E_clIS8_S8_S9_S9_EEDaSX_SY_SE_SJ_EUlSX_E_NS1_11comp_targetILNS1_3genE6ELNS1_11target_archE950ELNS1_3gpuE13ELNS1_3repE0EEENS1_47radix_sort_onesweep_sort_config_static_selectorELNS0_4arch9wavefront6targetE1EEEvSE_
	.p2align	8
	.type	_ZN7rocprim17ROCPRIM_400000_NS6detail17trampoline_kernelINS0_14default_configENS1_35radix_sort_onesweep_config_selectorIiNS0_10empty_typeEEEZZNS1_29radix_sort_onesweep_iterationIS3_Lb1EPiS8_PS5_S9_mNS0_19identity_decomposerENS1_16block_id_wrapperIjLb1EEEEE10hipError_tT1_PNSt15iterator_traitsISE_E10value_typeET2_T3_PNSF_ISK_E10value_typeET4_T5_PSP_SQ_PNS1_23onesweep_lookback_stateEbbT6_jjT7_P12ihipStream_tbENKUlT_T0_SE_SJ_E_clIS8_S8_S9_S9_EEDaSX_SY_SE_SJ_EUlSX_E_NS1_11comp_targetILNS1_3genE6ELNS1_11target_archE950ELNS1_3gpuE13ELNS1_3repE0EEENS1_47radix_sort_onesweep_sort_config_static_selectorELNS0_4arch9wavefront6targetE1EEEvSE_,@function
_ZN7rocprim17ROCPRIM_400000_NS6detail17trampoline_kernelINS0_14default_configENS1_35radix_sort_onesweep_config_selectorIiNS0_10empty_typeEEEZZNS1_29radix_sort_onesweep_iterationIS3_Lb1EPiS8_PS5_S9_mNS0_19identity_decomposerENS1_16block_id_wrapperIjLb1EEEEE10hipError_tT1_PNSt15iterator_traitsISE_E10value_typeET2_T3_PNSF_ISK_E10value_typeET4_T5_PSP_SQ_PNS1_23onesweep_lookback_stateEbbT6_jjT7_P12ihipStream_tbENKUlT_T0_SE_SJ_E_clIS8_S8_S9_S9_EEDaSX_SY_SE_SJ_EUlSX_E_NS1_11comp_targetILNS1_3genE6ELNS1_11target_archE950ELNS1_3gpuE13ELNS1_3repE0EEENS1_47radix_sort_onesweep_sort_config_static_selectorELNS0_4arch9wavefront6targetE1EEEvSE_: ; @_ZN7rocprim17ROCPRIM_400000_NS6detail17trampoline_kernelINS0_14default_configENS1_35radix_sort_onesweep_config_selectorIiNS0_10empty_typeEEEZZNS1_29radix_sort_onesweep_iterationIS3_Lb1EPiS8_PS5_S9_mNS0_19identity_decomposerENS1_16block_id_wrapperIjLb1EEEEE10hipError_tT1_PNSt15iterator_traitsISE_E10value_typeET2_T3_PNSF_ISK_E10value_typeET4_T5_PSP_SQ_PNS1_23onesweep_lookback_stateEbbT6_jjT7_P12ihipStream_tbENKUlT_T0_SE_SJ_E_clIS8_S8_S9_S9_EEDaSX_SY_SE_SJ_EUlSX_E_NS1_11comp_targetILNS1_3genE6ELNS1_11target_archE950ELNS1_3gpuE13ELNS1_3repE0EEENS1_47radix_sort_onesweep_sort_config_static_selectorELNS0_4arch9wavefront6targetE1EEEvSE_
; %bb.0:
	.section	.rodata,"a",@progbits
	.p2align	6, 0x0
	.amdhsa_kernel _ZN7rocprim17ROCPRIM_400000_NS6detail17trampoline_kernelINS0_14default_configENS1_35radix_sort_onesweep_config_selectorIiNS0_10empty_typeEEEZZNS1_29radix_sort_onesweep_iterationIS3_Lb1EPiS8_PS5_S9_mNS0_19identity_decomposerENS1_16block_id_wrapperIjLb1EEEEE10hipError_tT1_PNSt15iterator_traitsISE_E10value_typeET2_T3_PNSF_ISK_E10value_typeET4_T5_PSP_SQ_PNS1_23onesweep_lookback_stateEbbT6_jjT7_P12ihipStream_tbENKUlT_T0_SE_SJ_E_clIS8_S8_S9_S9_EEDaSX_SY_SE_SJ_EUlSX_E_NS1_11comp_targetILNS1_3genE6ELNS1_11target_archE950ELNS1_3gpuE13ELNS1_3repE0EEENS1_47radix_sort_onesweep_sort_config_static_selectorELNS0_4arch9wavefront6targetE1EEEvSE_
		.amdhsa_group_segment_fixed_size 0
		.amdhsa_private_segment_fixed_size 0
		.amdhsa_kernarg_size 88
		.amdhsa_user_sgpr_count 6
		.amdhsa_user_sgpr_private_segment_buffer 1
		.amdhsa_user_sgpr_dispatch_ptr 0
		.amdhsa_user_sgpr_queue_ptr 0
		.amdhsa_user_sgpr_kernarg_segment_ptr 1
		.amdhsa_user_sgpr_dispatch_id 0
		.amdhsa_user_sgpr_flat_scratch_init 0
		.amdhsa_user_sgpr_kernarg_preload_length 0
		.amdhsa_user_sgpr_kernarg_preload_offset 0
		.amdhsa_user_sgpr_private_segment_size 0
		.amdhsa_uses_dynamic_stack 0
		.amdhsa_system_sgpr_private_segment_wavefront_offset 0
		.amdhsa_system_sgpr_workgroup_id_x 1
		.amdhsa_system_sgpr_workgroup_id_y 0
		.amdhsa_system_sgpr_workgroup_id_z 0
		.amdhsa_system_sgpr_workgroup_info 0
		.amdhsa_system_vgpr_workitem_id 0
		.amdhsa_next_free_vgpr 1
		.amdhsa_next_free_sgpr 0
		.amdhsa_accum_offset 4
		.amdhsa_reserve_vcc 0
		.amdhsa_reserve_flat_scratch 0
		.amdhsa_float_round_mode_32 0
		.amdhsa_float_round_mode_16_64 0
		.amdhsa_float_denorm_mode_32 3
		.amdhsa_float_denorm_mode_16_64 3
		.amdhsa_dx10_clamp 1
		.amdhsa_ieee_mode 1
		.amdhsa_fp16_overflow 0
		.amdhsa_tg_split 0
		.amdhsa_exception_fp_ieee_invalid_op 0
		.amdhsa_exception_fp_denorm_src 0
		.amdhsa_exception_fp_ieee_div_zero 0
		.amdhsa_exception_fp_ieee_overflow 0
		.amdhsa_exception_fp_ieee_underflow 0
		.amdhsa_exception_fp_ieee_inexact 0
		.amdhsa_exception_int_div_zero 0
	.end_amdhsa_kernel
	.section	.text._ZN7rocprim17ROCPRIM_400000_NS6detail17trampoline_kernelINS0_14default_configENS1_35radix_sort_onesweep_config_selectorIiNS0_10empty_typeEEEZZNS1_29radix_sort_onesweep_iterationIS3_Lb1EPiS8_PS5_S9_mNS0_19identity_decomposerENS1_16block_id_wrapperIjLb1EEEEE10hipError_tT1_PNSt15iterator_traitsISE_E10value_typeET2_T3_PNSF_ISK_E10value_typeET4_T5_PSP_SQ_PNS1_23onesweep_lookback_stateEbbT6_jjT7_P12ihipStream_tbENKUlT_T0_SE_SJ_E_clIS8_S8_S9_S9_EEDaSX_SY_SE_SJ_EUlSX_E_NS1_11comp_targetILNS1_3genE6ELNS1_11target_archE950ELNS1_3gpuE13ELNS1_3repE0EEENS1_47radix_sort_onesweep_sort_config_static_selectorELNS0_4arch9wavefront6targetE1EEEvSE_,"axG",@progbits,_ZN7rocprim17ROCPRIM_400000_NS6detail17trampoline_kernelINS0_14default_configENS1_35radix_sort_onesweep_config_selectorIiNS0_10empty_typeEEEZZNS1_29radix_sort_onesweep_iterationIS3_Lb1EPiS8_PS5_S9_mNS0_19identity_decomposerENS1_16block_id_wrapperIjLb1EEEEE10hipError_tT1_PNSt15iterator_traitsISE_E10value_typeET2_T3_PNSF_ISK_E10value_typeET4_T5_PSP_SQ_PNS1_23onesweep_lookback_stateEbbT6_jjT7_P12ihipStream_tbENKUlT_T0_SE_SJ_E_clIS8_S8_S9_S9_EEDaSX_SY_SE_SJ_EUlSX_E_NS1_11comp_targetILNS1_3genE6ELNS1_11target_archE950ELNS1_3gpuE13ELNS1_3repE0EEENS1_47radix_sort_onesweep_sort_config_static_selectorELNS0_4arch9wavefront6targetE1EEEvSE_,comdat
.Lfunc_end2013:
	.size	_ZN7rocprim17ROCPRIM_400000_NS6detail17trampoline_kernelINS0_14default_configENS1_35radix_sort_onesweep_config_selectorIiNS0_10empty_typeEEEZZNS1_29radix_sort_onesweep_iterationIS3_Lb1EPiS8_PS5_S9_mNS0_19identity_decomposerENS1_16block_id_wrapperIjLb1EEEEE10hipError_tT1_PNSt15iterator_traitsISE_E10value_typeET2_T3_PNSF_ISK_E10value_typeET4_T5_PSP_SQ_PNS1_23onesweep_lookback_stateEbbT6_jjT7_P12ihipStream_tbENKUlT_T0_SE_SJ_E_clIS8_S8_S9_S9_EEDaSX_SY_SE_SJ_EUlSX_E_NS1_11comp_targetILNS1_3genE6ELNS1_11target_archE950ELNS1_3gpuE13ELNS1_3repE0EEENS1_47radix_sort_onesweep_sort_config_static_selectorELNS0_4arch9wavefront6targetE1EEEvSE_, .Lfunc_end2013-_ZN7rocprim17ROCPRIM_400000_NS6detail17trampoline_kernelINS0_14default_configENS1_35radix_sort_onesweep_config_selectorIiNS0_10empty_typeEEEZZNS1_29radix_sort_onesweep_iterationIS3_Lb1EPiS8_PS5_S9_mNS0_19identity_decomposerENS1_16block_id_wrapperIjLb1EEEEE10hipError_tT1_PNSt15iterator_traitsISE_E10value_typeET2_T3_PNSF_ISK_E10value_typeET4_T5_PSP_SQ_PNS1_23onesweep_lookback_stateEbbT6_jjT7_P12ihipStream_tbENKUlT_T0_SE_SJ_E_clIS8_S8_S9_S9_EEDaSX_SY_SE_SJ_EUlSX_E_NS1_11comp_targetILNS1_3genE6ELNS1_11target_archE950ELNS1_3gpuE13ELNS1_3repE0EEENS1_47radix_sort_onesweep_sort_config_static_selectorELNS0_4arch9wavefront6targetE1EEEvSE_
                                        ; -- End function
	.section	.AMDGPU.csdata,"",@progbits
; Kernel info:
; codeLenInByte = 0
; NumSgprs: 4
; NumVgprs: 0
; NumAgprs: 0
; TotalNumVgprs: 0
; ScratchSize: 0
; MemoryBound: 0
; FloatMode: 240
; IeeeMode: 1
; LDSByteSize: 0 bytes/workgroup (compile time only)
; SGPRBlocks: 0
; VGPRBlocks: 0
; NumSGPRsForWavesPerEU: 4
; NumVGPRsForWavesPerEU: 1
; AccumOffset: 4
; Occupancy: 8
; WaveLimiterHint : 0
; COMPUTE_PGM_RSRC2:SCRATCH_EN: 0
; COMPUTE_PGM_RSRC2:USER_SGPR: 6
; COMPUTE_PGM_RSRC2:TRAP_HANDLER: 0
; COMPUTE_PGM_RSRC2:TGID_X_EN: 1
; COMPUTE_PGM_RSRC2:TGID_Y_EN: 0
; COMPUTE_PGM_RSRC2:TGID_Z_EN: 0
; COMPUTE_PGM_RSRC2:TIDIG_COMP_CNT: 0
; COMPUTE_PGM_RSRC3_GFX90A:ACCUM_OFFSET: 0
; COMPUTE_PGM_RSRC3_GFX90A:TG_SPLIT: 0
	.section	.text._ZN7rocprim17ROCPRIM_400000_NS6detail17trampoline_kernelINS0_14default_configENS1_35radix_sort_onesweep_config_selectorIiNS0_10empty_typeEEEZZNS1_29radix_sort_onesweep_iterationIS3_Lb1EPiS8_PS5_S9_mNS0_19identity_decomposerENS1_16block_id_wrapperIjLb1EEEEE10hipError_tT1_PNSt15iterator_traitsISE_E10value_typeET2_T3_PNSF_ISK_E10value_typeET4_T5_PSP_SQ_PNS1_23onesweep_lookback_stateEbbT6_jjT7_P12ihipStream_tbENKUlT_T0_SE_SJ_E_clIS8_S8_S9_S9_EEDaSX_SY_SE_SJ_EUlSX_E_NS1_11comp_targetILNS1_3genE5ELNS1_11target_archE942ELNS1_3gpuE9ELNS1_3repE0EEENS1_47radix_sort_onesweep_sort_config_static_selectorELNS0_4arch9wavefront6targetE1EEEvSE_,"axG",@progbits,_ZN7rocprim17ROCPRIM_400000_NS6detail17trampoline_kernelINS0_14default_configENS1_35radix_sort_onesweep_config_selectorIiNS0_10empty_typeEEEZZNS1_29radix_sort_onesweep_iterationIS3_Lb1EPiS8_PS5_S9_mNS0_19identity_decomposerENS1_16block_id_wrapperIjLb1EEEEE10hipError_tT1_PNSt15iterator_traitsISE_E10value_typeET2_T3_PNSF_ISK_E10value_typeET4_T5_PSP_SQ_PNS1_23onesweep_lookback_stateEbbT6_jjT7_P12ihipStream_tbENKUlT_T0_SE_SJ_E_clIS8_S8_S9_S9_EEDaSX_SY_SE_SJ_EUlSX_E_NS1_11comp_targetILNS1_3genE5ELNS1_11target_archE942ELNS1_3gpuE9ELNS1_3repE0EEENS1_47radix_sort_onesweep_sort_config_static_selectorELNS0_4arch9wavefront6targetE1EEEvSE_,comdat
	.protected	_ZN7rocprim17ROCPRIM_400000_NS6detail17trampoline_kernelINS0_14default_configENS1_35radix_sort_onesweep_config_selectorIiNS0_10empty_typeEEEZZNS1_29radix_sort_onesweep_iterationIS3_Lb1EPiS8_PS5_S9_mNS0_19identity_decomposerENS1_16block_id_wrapperIjLb1EEEEE10hipError_tT1_PNSt15iterator_traitsISE_E10value_typeET2_T3_PNSF_ISK_E10value_typeET4_T5_PSP_SQ_PNS1_23onesweep_lookback_stateEbbT6_jjT7_P12ihipStream_tbENKUlT_T0_SE_SJ_E_clIS8_S8_S9_S9_EEDaSX_SY_SE_SJ_EUlSX_E_NS1_11comp_targetILNS1_3genE5ELNS1_11target_archE942ELNS1_3gpuE9ELNS1_3repE0EEENS1_47radix_sort_onesweep_sort_config_static_selectorELNS0_4arch9wavefront6targetE1EEEvSE_ ; -- Begin function _ZN7rocprim17ROCPRIM_400000_NS6detail17trampoline_kernelINS0_14default_configENS1_35radix_sort_onesweep_config_selectorIiNS0_10empty_typeEEEZZNS1_29radix_sort_onesweep_iterationIS3_Lb1EPiS8_PS5_S9_mNS0_19identity_decomposerENS1_16block_id_wrapperIjLb1EEEEE10hipError_tT1_PNSt15iterator_traitsISE_E10value_typeET2_T3_PNSF_ISK_E10value_typeET4_T5_PSP_SQ_PNS1_23onesweep_lookback_stateEbbT6_jjT7_P12ihipStream_tbENKUlT_T0_SE_SJ_E_clIS8_S8_S9_S9_EEDaSX_SY_SE_SJ_EUlSX_E_NS1_11comp_targetILNS1_3genE5ELNS1_11target_archE942ELNS1_3gpuE9ELNS1_3repE0EEENS1_47radix_sort_onesweep_sort_config_static_selectorELNS0_4arch9wavefront6targetE1EEEvSE_
	.globl	_ZN7rocprim17ROCPRIM_400000_NS6detail17trampoline_kernelINS0_14default_configENS1_35radix_sort_onesweep_config_selectorIiNS0_10empty_typeEEEZZNS1_29radix_sort_onesweep_iterationIS3_Lb1EPiS8_PS5_S9_mNS0_19identity_decomposerENS1_16block_id_wrapperIjLb1EEEEE10hipError_tT1_PNSt15iterator_traitsISE_E10value_typeET2_T3_PNSF_ISK_E10value_typeET4_T5_PSP_SQ_PNS1_23onesweep_lookback_stateEbbT6_jjT7_P12ihipStream_tbENKUlT_T0_SE_SJ_E_clIS8_S8_S9_S9_EEDaSX_SY_SE_SJ_EUlSX_E_NS1_11comp_targetILNS1_3genE5ELNS1_11target_archE942ELNS1_3gpuE9ELNS1_3repE0EEENS1_47radix_sort_onesweep_sort_config_static_selectorELNS0_4arch9wavefront6targetE1EEEvSE_
	.p2align	8
	.type	_ZN7rocprim17ROCPRIM_400000_NS6detail17trampoline_kernelINS0_14default_configENS1_35radix_sort_onesweep_config_selectorIiNS0_10empty_typeEEEZZNS1_29radix_sort_onesweep_iterationIS3_Lb1EPiS8_PS5_S9_mNS0_19identity_decomposerENS1_16block_id_wrapperIjLb1EEEEE10hipError_tT1_PNSt15iterator_traitsISE_E10value_typeET2_T3_PNSF_ISK_E10value_typeET4_T5_PSP_SQ_PNS1_23onesweep_lookback_stateEbbT6_jjT7_P12ihipStream_tbENKUlT_T0_SE_SJ_E_clIS8_S8_S9_S9_EEDaSX_SY_SE_SJ_EUlSX_E_NS1_11comp_targetILNS1_3genE5ELNS1_11target_archE942ELNS1_3gpuE9ELNS1_3repE0EEENS1_47radix_sort_onesweep_sort_config_static_selectorELNS0_4arch9wavefront6targetE1EEEvSE_,@function
_ZN7rocprim17ROCPRIM_400000_NS6detail17trampoline_kernelINS0_14default_configENS1_35radix_sort_onesweep_config_selectorIiNS0_10empty_typeEEEZZNS1_29radix_sort_onesweep_iterationIS3_Lb1EPiS8_PS5_S9_mNS0_19identity_decomposerENS1_16block_id_wrapperIjLb1EEEEE10hipError_tT1_PNSt15iterator_traitsISE_E10value_typeET2_T3_PNSF_ISK_E10value_typeET4_T5_PSP_SQ_PNS1_23onesweep_lookback_stateEbbT6_jjT7_P12ihipStream_tbENKUlT_T0_SE_SJ_E_clIS8_S8_S9_S9_EEDaSX_SY_SE_SJ_EUlSX_E_NS1_11comp_targetILNS1_3genE5ELNS1_11target_archE942ELNS1_3gpuE9ELNS1_3repE0EEENS1_47radix_sort_onesweep_sort_config_static_selectorELNS0_4arch9wavefront6targetE1EEEvSE_: ; @_ZN7rocprim17ROCPRIM_400000_NS6detail17trampoline_kernelINS0_14default_configENS1_35radix_sort_onesweep_config_selectorIiNS0_10empty_typeEEEZZNS1_29radix_sort_onesweep_iterationIS3_Lb1EPiS8_PS5_S9_mNS0_19identity_decomposerENS1_16block_id_wrapperIjLb1EEEEE10hipError_tT1_PNSt15iterator_traitsISE_E10value_typeET2_T3_PNSF_ISK_E10value_typeET4_T5_PSP_SQ_PNS1_23onesweep_lookback_stateEbbT6_jjT7_P12ihipStream_tbENKUlT_T0_SE_SJ_E_clIS8_S8_S9_S9_EEDaSX_SY_SE_SJ_EUlSX_E_NS1_11comp_targetILNS1_3genE5ELNS1_11target_archE942ELNS1_3gpuE9ELNS1_3repE0EEENS1_47radix_sort_onesweep_sort_config_static_selectorELNS0_4arch9wavefront6targetE1EEEvSE_
; %bb.0:
	.section	.rodata,"a",@progbits
	.p2align	6, 0x0
	.amdhsa_kernel _ZN7rocprim17ROCPRIM_400000_NS6detail17trampoline_kernelINS0_14default_configENS1_35radix_sort_onesweep_config_selectorIiNS0_10empty_typeEEEZZNS1_29radix_sort_onesweep_iterationIS3_Lb1EPiS8_PS5_S9_mNS0_19identity_decomposerENS1_16block_id_wrapperIjLb1EEEEE10hipError_tT1_PNSt15iterator_traitsISE_E10value_typeET2_T3_PNSF_ISK_E10value_typeET4_T5_PSP_SQ_PNS1_23onesweep_lookback_stateEbbT6_jjT7_P12ihipStream_tbENKUlT_T0_SE_SJ_E_clIS8_S8_S9_S9_EEDaSX_SY_SE_SJ_EUlSX_E_NS1_11comp_targetILNS1_3genE5ELNS1_11target_archE942ELNS1_3gpuE9ELNS1_3repE0EEENS1_47radix_sort_onesweep_sort_config_static_selectorELNS0_4arch9wavefront6targetE1EEEvSE_
		.amdhsa_group_segment_fixed_size 0
		.amdhsa_private_segment_fixed_size 0
		.amdhsa_kernarg_size 88
		.amdhsa_user_sgpr_count 6
		.amdhsa_user_sgpr_private_segment_buffer 1
		.amdhsa_user_sgpr_dispatch_ptr 0
		.amdhsa_user_sgpr_queue_ptr 0
		.amdhsa_user_sgpr_kernarg_segment_ptr 1
		.amdhsa_user_sgpr_dispatch_id 0
		.amdhsa_user_sgpr_flat_scratch_init 0
		.amdhsa_user_sgpr_kernarg_preload_length 0
		.amdhsa_user_sgpr_kernarg_preload_offset 0
		.amdhsa_user_sgpr_private_segment_size 0
		.amdhsa_uses_dynamic_stack 0
		.amdhsa_system_sgpr_private_segment_wavefront_offset 0
		.amdhsa_system_sgpr_workgroup_id_x 1
		.amdhsa_system_sgpr_workgroup_id_y 0
		.amdhsa_system_sgpr_workgroup_id_z 0
		.amdhsa_system_sgpr_workgroup_info 0
		.amdhsa_system_vgpr_workitem_id 0
		.amdhsa_next_free_vgpr 1
		.amdhsa_next_free_sgpr 0
		.amdhsa_accum_offset 4
		.amdhsa_reserve_vcc 0
		.amdhsa_reserve_flat_scratch 0
		.amdhsa_float_round_mode_32 0
		.amdhsa_float_round_mode_16_64 0
		.amdhsa_float_denorm_mode_32 3
		.amdhsa_float_denorm_mode_16_64 3
		.amdhsa_dx10_clamp 1
		.amdhsa_ieee_mode 1
		.amdhsa_fp16_overflow 0
		.amdhsa_tg_split 0
		.amdhsa_exception_fp_ieee_invalid_op 0
		.amdhsa_exception_fp_denorm_src 0
		.amdhsa_exception_fp_ieee_div_zero 0
		.amdhsa_exception_fp_ieee_overflow 0
		.amdhsa_exception_fp_ieee_underflow 0
		.amdhsa_exception_fp_ieee_inexact 0
		.amdhsa_exception_int_div_zero 0
	.end_amdhsa_kernel
	.section	.text._ZN7rocprim17ROCPRIM_400000_NS6detail17trampoline_kernelINS0_14default_configENS1_35radix_sort_onesweep_config_selectorIiNS0_10empty_typeEEEZZNS1_29radix_sort_onesweep_iterationIS3_Lb1EPiS8_PS5_S9_mNS0_19identity_decomposerENS1_16block_id_wrapperIjLb1EEEEE10hipError_tT1_PNSt15iterator_traitsISE_E10value_typeET2_T3_PNSF_ISK_E10value_typeET4_T5_PSP_SQ_PNS1_23onesweep_lookback_stateEbbT6_jjT7_P12ihipStream_tbENKUlT_T0_SE_SJ_E_clIS8_S8_S9_S9_EEDaSX_SY_SE_SJ_EUlSX_E_NS1_11comp_targetILNS1_3genE5ELNS1_11target_archE942ELNS1_3gpuE9ELNS1_3repE0EEENS1_47radix_sort_onesweep_sort_config_static_selectorELNS0_4arch9wavefront6targetE1EEEvSE_,"axG",@progbits,_ZN7rocprim17ROCPRIM_400000_NS6detail17trampoline_kernelINS0_14default_configENS1_35radix_sort_onesweep_config_selectorIiNS0_10empty_typeEEEZZNS1_29radix_sort_onesweep_iterationIS3_Lb1EPiS8_PS5_S9_mNS0_19identity_decomposerENS1_16block_id_wrapperIjLb1EEEEE10hipError_tT1_PNSt15iterator_traitsISE_E10value_typeET2_T3_PNSF_ISK_E10value_typeET4_T5_PSP_SQ_PNS1_23onesweep_lookback_stateEbbT6_jjT7_P12ihipStream_tbENKUlT_T0_SE_SJ_E_clIS8_S8_S9_S9_EEDaSX_SY_SE_SJ_EUlSX_E_NS1_11comp_targetILNS1_3genE5ELNS1_11target_archE942ELNS1_3gpuE9ELNS1_3repE0EEENS1_47radix_sort_onesweep_sort_config_static_selectorELNS0_4arch9wavefront6targetE1EEEvSE_,comdat
.Lfunc_end2014:
	.size	_ZN7rocprim17ROCPRIM_400000_NS6detail17trampoline_kernelINS0_14default_configENS1_35radix_sort_onesweep_config_selectorIiNS0_10empty_typeEEEZZNS1_29radix_sort_onesweep_iterationIS3_Lb1EPiS8_PS5_S9_mNS0_19identity_decomposerENS1_16block_id_wrapperIjLb1EEEEE10hipError_tT1_PNSt15iterator_traitsISE_E10value_typeET2_T3_PNSF_ISK_E10value_typeET4_T5_PSP_SQ_PNS1_23onesweep_lookback_stateEbbT6_jjT7_P12ihipStream_tbENKUlT_T0_SE_SJ_E_clIS8_S8_S9_S9_EEDaSX_SY_SE_SJ_EUlSX_E_NS1_11comp_targetILNS1_3genE5ELNS1_11target_archE942ELNS1_3gpuE9ELNS1_3repE0EEENS1_47radix_sort_onesweep_sort_config_static_selectorELNS0_4arch9wavefront6targetE1EEEvSE_, .Lfunc_end2014-_ZN7rocprim17ROCPRIM_400000_NS6detail17trampoline_kernelINS0_14default_configENS1_35radix_sort_onesweep_config_selectorIiNS0_10empty_typeEEEZZNS1_29radix_sort_onesweep_iterationIS3_Lb1EPiS8_PS5_S9_mNS0_19identity_decomposerENS1_16block_id_wrapperIjLb1EEEEE10hipError_tT1_PNSt15iterator_traitsISE_E10value_typeET2_T3_PNSF_ISK_E10value_typeET4_T5_PSP_SQ_PNS1_23onesweep_lookback_stateEbbT6_jjT7_P12ihipStream_tbENKUlT_T0_SE_SJ_E_clIS8_S8_S9_S9_EEDaSX_SY_SE_SJ_EUlSX_E_NS1_11comp_targetILNS1_3genE5ELNS1_11target_archE942ELNS1_3gpuE9ELNS1_3repE0EEENS1_47radix_sort_onesweep_sort_config_static_selectorELNS0_4arch9wavefront6targetE1EEEvSE_
                                        ; -- End function
	.section	.AMDGPU.csdata,"",@progbits
; Kernel info:
; codeLenInByte = 0
; NumSgprs: 4
; NumVgprs: 0
; NumAgprs: 0
; TotalNumVgprs: 0
; ScratchSize: 0
; MemoryBound: 0
; FloatMode: 240
; IeeeMode: 1
; LDSByteSize: 0 bytes/workgroup (compile time only)
; SGPRBlocks: 0
; VGPRBlocks: 0
; NumSGPRsForWavesPerEU: 4
; NumVGPRsForWavesPerEU: 1
; AccumOffset: 4
; Occupancy: 8
; WaveLimiterHint : 0
; COMPUTE_PGM_RSRC2:SCRATCH_EN: 0
; COMPUTE_PGM_RSRC2:USER_SGPR: 6
; COMPUTE_PGM_RSRC2:TRAP_HANDLER: 0
; COMPUTE_PGM_RSRC2:TGID_X_EN: 1
; COMPUTE_PGM_RSRC2:TGID_Y_EN: 0
; COMPUTE_PGM_RSRC2:TGID_Z_EN: 0
; COMPUTE_PGM_RSRC2:TIDIG_COMP_CNT: 0
; COMPUTE_PGM_RSRC3_GFX90A:ACCUM_OFFSET: 0
; COMPUTE_PGM_RSRC3_GFX90A:TG_SPLIT: 0
	.section	.text._ZN7rocprim17ROCPRIM_400000_NS6detail17trampoline_kernelINS0_14default_configENS1_35radix_sort_onesweep_config_selectorIiNS0_10empty_typeEEEZZNS1_29radix_sort_onesweep_iterationIS3_Lb1EPiS8_PS5_S9_mNS0_19identity_decomposerENS1_16block_id_wrapperIjLb1EEEEE10hipError_tT1_PNSt15iterator_traitsISE_E10value_typeET2_T3_PNSF_ISK_E10value_typeET4_T5_PSP_SQ_PNS1_23onesweep_lookback_stateEbbT6_jjT7_P12ihipStream_tbENKUlT_T0_SE_SJ_E_clIS8_S8_S9_S9_EEDaSX_SY_SE_SJ_EUlSX_E_NS1_11comp_targetILNS1_3genE2ELNS1_11target_archE906ELNS1_3gpuE6ELNS1_3repE0EEENS1_47radix_sort_onesweep_sort_config_static_selectorELNS0_4arch9wavefront6targetE1EEEvSE_,"axG",@progbits,_ZN7rocprim17ROCPRIM_400000_NS6detail17trampoline_kernelINS0_14default_configENS1_35radix_sort_onesweep_config_selectorIiNS0_10empty_typeEEEZZNS1_29radix_sort_onesweep_iterationIS3_Lb1EPiS8_PS5_S9_mNS0_19identity_decomposerENS1_16block_id_wrapperIjLb1EEEEE10hipError_tT1_PNSt15iterator_traitsISE_E10value_typeET2_T3_PNSF_ISK_E10value_typeET4_T5_PSP_SQ_PNS1_23onesweep_lookback_stateEbbT6_jjT7_P12ihipStream_tbENKUlT_T0_SE_SJ_E_clIS8_S8_S9_S9_EEDaSX_SY_SE_SJ_EUlSX_E_NS1_11comp_targetILNS1_3genE2ELNS1_11target_archE906ELNS1_3gpuE6ELNS1_3repE0EEENS1_47radix_sort_onesweep_sort_config_static_selectorELNS0_4arch9wavefront6targetE1EEEvSE_,comdat
	.protected	_ZN7rocprim17ROCPRIM_400000_NS6detail17trampoline_kernelINS0_14default_configENS1_35radix_sort_onesweep_config_selectorIiNS0_10empty_typeEEEZZNS1_29radix_sort_onesweep_iterationIS3_Lb1EPiS8_PS5_S9_mNS0_19identity_decomposerENS1_16block_id_wrapperIjLb1EEEEE10hipError_tT1_PNSt15iterator_traitsISE_E10value_typeET2_T3_PNSF_ISK_E10value_typeET4_T5_PSP_SQ_PNS1_23onesweep_lookback_stateEbbT6_jjT7_P12ihipStream_tbENKUlT_T0_SE_SJ_E_clIS8_S8_S9_S9_EEDaSX_SY_SE_SJ_EUlSX_E_NS1_11comp_targetILNS1_3genE2ELNS1_11target_archE906ELNS1_3gpuE6ELNS1_3repE0EEENS1_47radix_sort_onesweep_sort_config_static_selectorELNS0_4arch9wavefront6targetE1EEEvSE_ ; -- Begin function _ZN7rocprim17ROCPRIM_400000_NS6detail17trampoline_kernelINS0_14default_configENS1_35radix_sort_onesweep_config_selectorIiNS0_10empty_typeEEEZZNS1_29radix_sort_onesweep_iterationIS3_Lb1EPiS8_PS5_S9_mNS0_19identity_decomposerENS1_16block_id_wrapperIjLb1EEEEE10hipError_tT1_PNSt15iterator_traitsISE_E10value_typeET2_T3_PNSF_ISK_E10value_typeET4_T5_PSP_SQ_PNS1_23onesweep_lookback_stateEbbT6_jjT7_P12ihipStream_tbENKUlT_T0_SE_SJ_E_clIS8_S8_S9_S9_EEDaSX_SY_SE_SJ_EUlSX_E_NS1_11comp_targetILNS1_3genE2ELNS1_11target_archE906ELNS1_3gpuE6ELNS1_3repE0EEENS1_47radix_sort_onesweep_sort_config_static_selectorELNS0_4arch9wavefront6targetE1EEEvSE_
	.globl	_ZN7rocprim17ROCPRIM_400000_NS6detail17trampoline_kernelINS0_14default_configENS1_35radix_sort_onesweep_config_selectorIiNS0_10empty_typeEEEZZNS1_29radix_sort_onesweep_iterationIS3_Lb1EPiS8_PS5_S9_mNS0_19identity_decomposerENS1_16block_id_wrapperIjLb1EEEEE10hipError_tT1_PNSt15iterator_traitsISE_E10value_typeET2_T3_PNSF_ISK_E10value_typeET4_T5_PSP_SQ_PNS1_23onesweep_lookback_stateEbbT6_jjT7_P12ihipStream_tbENKUlT_T0_SE_SJ_E_clIS8_S8_S9_S9_EEDaSX_SY_SE_SJ_EUlSX_E_NS1_11comp_targetILNS1_3genE2ELNS1_11target_archE906ELNS1_3gpuE6ELNS1_3repE0EEENS1_47radix_sort_onesweep_sort_config_static_selectorELNS0_4arch9wavefront6targetE1EEEvSE_
	.p2align	8
	.type	_ZN7rocprim17ROCPRIM_400000_NS6detail17trampoline_kernelINS0_14default_configENS1_35radix_sort_onesweep_config_selectorIiNS0_10empty_typeEEEZZNS1_29radix_sort_onesweep_iterationIS3_Lb1EPiS8_PS5_S9_mNS0_19identity_decomposerENS1_16block_id_wrapperIjLb1EEEEE10hipError_tT1_PNSt15iterator_traitsISE_E10value_typeET2_T3_PNSF_ISK_E10value_typeET4_T5_PSP_SQ_PNS1_23onesweep_lookback_stateEbbT6_jjT7_P12ihipStream_tbENKUlT_T0_SE_SJ_E_clIS8_S8_S9_S9_EEDaSX_SY_SE_SJ_EUlSX_E_NS1_11comp_targetILNS1_3genE2ELNS1_11target_archE906ELNS1_3gpuE6ELNS1_3repE0EEENS1_47radix_sort_onesweep_sort_config_static_selectorELNS0_4arch9wavefront6targetE1EEEvSE_,@function
_ZN7rocprim17ROCPRIM_400000_NS6detail17trampoline_kernelINS0_14default_configENS1_35radix_sort_onesweep_config_selectorIiNS0_10empty_typeEEEZZNS1_29radix_sort_onesweep_iterationIS3_Lb1EPiS8_PS5_S9_mNS0_19identity_decomposerENS1_16block_id_wrapperIjLb1EEEEE10hipError_tT1_PNSt15iterator_traitsISE_E10value_typeET2_T3_PNSF_ISK_E10value_typeET4_T5_PSP_SQ_PNS1_23onesweep_lookback_stateEbbT6_jjT7_P12ihipStream_tbENKUlT_T0_SE_SJ_E_clIS8_S8_S9_S9_EEDaSX_SY_SE_SJ_EUlSX_E_NS1_11comp_targetILNS1_3genE2ELNS1_11target_archE906ELNS1_3gpuE6ELNS1_3repE0EEENS1_47radix_sort_onesweep_sort_config_static_selectorELNS0_4arch9wavefront6targetE1EEEvSE_: ; @_ZN7rocprim17ROCPRIM_400000_NS6detail17trampoline_kernelINS0_14default_configENS1_35radix_sort_onesweep_config_selectorIiNS0_10empty_typeEEEZZNS1_29radix_sort_onesweep_iterationIS3_Lb1EPiS8_PS5_S9_mNS0_19identity_decomposerENS1_16block_id_wrapperIjLb1EEEEE10hipError_tT1_PNSt15iterator_traitsISE_E10value_typeET2_T3_PNSF_ISK_E10value_typeET4_T5_PSP_SQ_PNS1_23onesweep_lookback_stateEbbT6_jjT7_P12ihipStream_tbENKUlT_T0_SE_SJ_E_clIS8_S8_S9_S9_EEDaSX_SY_SE_SJ_EUlSX_E_NS1_11comp_targetILNS1_3genE2ELNS1_11target_archE906ELNS1_3gpuE6ELNS1_3repE0EEENS1_47radix_sort_onesweep_sort_config_static_selectorELNS0_4arch9wavefront6targetE1EEEvSE_
; %bb.0:
	.section	.rodata,"a",@progbits
	.p2align	6, 0x0
	.amdhsa_kernel _ZN7rocprim17ROCPRIM_400000_NS6detail17trampoline_kernelINS0_14default_configENS1_35radix_sort_onesweep_config_selectorIiNS0_10empty_typeEEEZZNS1_29radix_sort_onesweep_iterationIS3_Lb1EPiS8_PS5_S9_mNS0_19identity_decomposerENS1_16block_id_wrapperIjLb1EEEEE10hipError_tT1_PNSt15iterator_traitsISE_E10value_typeET2_T3_PNSF_ISK_E10value_typeET4_T5_PSP_SQ_PNS1_23onesweep_lookback_stateEbbT6_jjT7_P12ihipStream_tbENKUlT_T0_SE_SJ_E_clIS8_S8_S9_S9_EEDaSX_SY_SE_SJ_EUlSX_E_NS1_11comp_targetILNS1_3genE2ELNS1_11target_archE906ELNS1_3gpuE6ELNS1_3repE0EEENS1_47radix_sort_onesweep_sort_config_static_selectorELNS0_4arch9wavefront6targetE1EEEvSE_
		.amdhsa_group_segment_fixed_size 0
		.amdhsa_private_segment_fixed_size 0
		.amdhsa_kernarg_size 88
		.amdhsa_user_sgpr_count 6
		.amdhsa_user_sgpr_private_segment_buffer 1
		.amdhsa_user_sgpr_dispatch_ptr 0
		.amdhsa_user_sgpr_queue_ptr 0
		.amdhsa_user_sgpr_kernarg_segment_ptr 1
		.amdhsa_user_sgpr_dispatch_id 0
		.amdhsa_user_sgpr_flat_scratch_init 0
		.amdhsa_user_sgpr_kernarg_preload_length 0
		.amdhsa_user_sgpr_kernarg_preload_offset 0
		.amdhsa_user_sgpr_private_segment_size 0
		.amdhsa_uses_dynamic_stack 0
		.amdhsa_system_sgpr_private_segment_wavefront_offset 0
		.amdhsa_system_sgpr_workgroup_id_x 1
		.amdhsa_system_sgpr_workgroup_id_y 0
		.amdhsa_system_sgpr_workgroup_id_z 0
		.amdhsa_system_sgpr_workgroup_info 0
		.amdhsa_system_vgpr_workitem_id 0
		.amdhsa_next_free_vgpr 1
		.amdhsa_next_free_sgpr 0
		.amdhsa_accum_offset 4
		.amdhsa_reserve_vcc 0
		.amdhsa_reserve_flat_scratch 0
		.amdhsa_float_round_mode_32 0
		.amdhsa_float_round_mode_16_64 0
		.amdhsa_float_denorm_mode_32 3
		.amdhsa_float_denorm_mode_16_64 3
		.amdhsa_dx10_clamp 1
		.amdhsa_ieee_mode 1
		.amdhsa_fp16_overflow 0
		.amdhsa_tg_split 0
		.amdhsa_exception_fp_ieee_invalid_op 0
		.amdhsa_exception_fp_denorm_src 0
		.amdhsa_exception_fp_ieee_div_zero 0
		.amdhsa_exception_fp_ieee_overflow 0
		.amdhsa_exception_fp_ieee_underflow 0
		.amdhsa_exception_fp_ieee_inexact 0
		.amdhsa_exception_int_div_zero 0
	.end_amdhsa_kernel
	.section	.text._ZN7rocprim17ROCPRIM_400000_NS6detail17trampoline_kernelINS0_14default_configENS1_35radix_sort_onesweep_config_selectorIiNS0_10empty_typeEEEZZNS1_29radix_sort_onesweep_iterationIS3_Lb1EPiS8_PS5_S9_mNS0_19identity_decomposerENS1_16block_id_wrapperIjLb1EEEEE10hipError_tT1_PNSt15iterator_traitsISE_E10value_typeET2_T3_PNSF_ISK_E10value_typeET4_T5_PSP_SQ_PNS1_23onesweep_lookback_stateEbbT6_jjT7_P12ihipStream_tbENKUlT_T0_SE_SJ_E_clIS8_S8_S9_S9_EEDaSX_SY_SE_SJ_EUlSX_E_NS1_11comp_targetILNS1_3genE2ELNS1_11target_archE906ELNS1_3gpuE6ELNS1_3repE0EEENS1_47radix_sort_onesweep_sort_config_static_selectorELNS0_4arch9wavefront6targetE1EEEvSE_,"axG",@progbits,_ZN7rocprim17ROCPRIM_400000_NS6detail17trampoline_kernelINS0_14default_configENS1_35radix_sort_onesweep_config_selectorIiNS0_10empty_typeEEEZZNS1_29radix_sort_onesweep_iterationIS3_Lb1EPiS8_PS5_S9_mNS0_19identity_decomposerENS1_16block_id_wrapperIjLb1EEEEE10hipError_tT1_PNSt15iterator_traitsISE_E10value_typeET2_T3_PNSF_ISK_E10value_typeET4_T5_PSP_SQ_PNS1_23onesweep_lookback_stateEbbT6_jjT7_P12ihipStream_tbENKUlT_T0_SE_SJ_E_clIS8_S8_S9_S9_EEDaSX_SY_SE_SJ_EUlSX_E_NS1_11comp_targetILNS1_3genE2ELNS1_11target_archE906ELNS1_3gpuE6ELNS1_3repE0EEENS1_47radix_sort_onesweep_sort_config_static_selectorELNS0_4arch9wavefront6targetE1EEEvSE_,comdat
.Lfunc_end2015:
	.size	_ZN7rocprim17ROCPRIM_400000_NS6detail17trampoline_kernelINS0_14default_configENS1_35radix_sort_onesweep_config_selectorIiNS0_10empty_typeEEEZZNS1_29radix_sort_onesweep_iterationIS3_Lb1EPiS8_PS5_S9_mNS0_19identity_decomposerENS1_16block_id_wrapperIjLb1EEEEE10hipError_tT1_PNSt15iterator_traitsISE_E10value_typeET2_T3_PNSF_ISK_E10value_typeET4_T5_PSP_SQ_PNS1_23onesweep_lookback_stateEbbT6_jjT7_P12ihipStream_tbENKUlT_T0_SE_SJ_E_clIS8_S8_S9_S9_EEDaSX_SY_SE_SJ_EUlSX_E_NS1_11comp_targetILNS1_3genE2ELNS1_11target_archE906ELNS1_3gpuE6ELNS1_3repE0EEENS1_47radix_sort_onesweep_sort_config_static_selectorELNS0_4arch9wavefront6targetE1EEEvSE_, .Lfunc_end2015-_ZN7rocprim17ROCPRIM_400000_NS6detail17trampoline_kernelINS0_14default_configENS1_35radix_sort_onesweep_config_selectorIiNS0_10empty_typeEEEZZNS1_29radix_sort_onesweep_iterationIS3_Lb1EPiS8_PS5_S9_mNS0_19identity_decomposerENS1_16block_id_wrapperIjLb1EEEEE10hipError_tT1_PNSt15iterator_traitsISE_E10value_typeET2_T3_PNSF_ISK_E10value_typeET4_T5_PSP_SQ_PNS1_23onesweep_lookback_stateEbbT6_jjT7_P12ihipStream_tbENKUlT_T0_SE_SJ_E_clIS8_S8_S9_S9_EEDaSX_SY_SE_SJ_EUlSX_E_NS1_11comp_targetILNS1_3genE2ELNS1_11target_archE906ELNS1_3gpuE6ELNS1_3repE0EEENS1_47radix_sort_onesweep_sort_config_static_selectorELNS0_4arch9wavefront6targetE1EEEvSE_
                                        ; -- End function
	.section	.AMDGPU.csdata,"",@progbits
; Kernel info:
; codeLenInByte = 0
; NumSgprs: 4
; NumVgprs: 0
; NumAgprs: 0
; TotalNumVgprs: 0
; ScratchSize: 0
; MemoryBound: 0
; FloatMode: 240
; IeeeMode: 1
; LDSByteSize: 0 bytes/workgroup (compile time only)
; SGPRBlocks: 0
; VGPRBlocks: 0
; NumSGPRsForWavesPerEU: 4
; NumVGPRsForWavesPerEU: 1
; AccumOffset: 4
; Occupancy: 8
; WaveLimiterHint : 0
; COMPUTE_PGM_RSRC2:SCRATCH_EN: 0
; COMPUTE_PGM_RSRC2:USER_SGPR: 6
; COMPUTE_PGM_RSRC2:TRAP_HANDLER: 0
; COMPUTE_PGM_RSRC2:TGID_X_EN: 1
; COMPUTE_PGM_RSRC2:TGID_Y_EN: 0
; COMPUTE_PGM_RSRC2:TGID_Z_EN: 0
; COMPUTE_PGM_RSRC2:TIDIG_COMP_CNT: 0
; COMPUTE_PGM_RSRC3_GFX90A:ACCUM_OFFSET: 0
; COMPUTE_PGM_RSRC3_GFX90A:TG_SPLIT: 0
	.section	.text._ZN7rocprim17ROCPRIM_400000_NS6detail17trampoline_kernelINS0_14default_configENS1_35radix_sort_onesweep_config_selectorIiNS0_10empty_typeEEEZZNS1_29radix_sort_onesweep_iterationIS3_Lb1EPiS8_PS5_S9_mNS0_19identity_decomposerENS1_16block_id_wrapperIjLb1EEEEE10hipError_tT1_PNSt15iterator_traitsISE_E10value_typeET2_T3_PNSF_ISK_E10value_typeET4_T5_PSP_SQ_PNS1_23onesweep_lookback_stateEbbT6_jjT7_P12ihipStream_tbENKUlT_T0_SE_SJ_E_clIS8_S8_S9_S9_EEDaSX_SY_SE_SJ_EUlSX_E_NS1_11comp_targetILNS1_3genE4ELNS1_11target_archE910ELNS1_3gpuE8ELNS1_3repE0EEENS1_47radix_sort_onesweep_sort_config_static_selectorELNS0_4arch9wavefront6targetE1EEEvSE_,"axG",@progbits,_ZN7rocprim17ROCPRIM_400000_NS6detail17trampoline_kernelINS0_14default_configENS1_35radix_sort_onesweep_config_selectorIiNS0_10empty_typeEEEZZNS1_29radix_sort_onesweep_iterationIS3_Lb1EPiS8_PS5_S9_mNS0_19identity_decomposerENS1_16block_id_wrapperIjLb1EEEEE10hipError_tT1_PNSt15iterator_traitsISE_E10value_typeET2_T3_PNSF_ISK_E10value_typeET4_T5_PSP_SQ_PNS1_23onesweep_lookback_stateEbbT6_jjT7_P12ihipStream_tbENKUlT_T0_SE_SJ_E_clIS8_S8_S9_S9_EEDaSX_SY_SE_SJ_EUlSX_E_NS1_11comp_targetILNS1_3genE4ELNS1_11target_archE910ELNS1_3gpuE8ELNS1_3repE0EEENS1_47radix_sort_onesweep_sort_config_static_selectorELNS0_4arch9wavefront6targetE1EEEvSE_,comdat
	.protected	_ZN7rocprim17ROCPRIM_400000_NS6detail17trampoline_kernelINS0_14default_configENS1_35radix_sort_onesweep_config_selectorIiNS0_10empty_typeEEEZZNS1_29radix_sort_onesweep_iterationIS3_Lb1EPiS8_PS5_S9_mNS0_19identity_decomposerENS1_16block_id_wrapperIjLb1EEEEE10hipError_tT1_PNSt15iterator_traitsISE_E10value_typeET2_T3_PNSF_ISK_E10value_typeET4_T5_PSP_SQ_PNS1_23onesweep_lookback_stateEbbT6_jjT7_P12ihipStream_tbENKUlT_T0_SE_SJ_E_clIS8_S8_S9_S9_EEDaSX_SY_SE_SJ_EUlSX_E_NS1_11comp_targetILNS1_3genE4ELNS1_11target_archE910ELNS1_3gpuE8ELNS1_3repE0EEENS1_47radix_sort_onesweep_sort_config_static_selectorELNS0_4arch9wavefront6targetE1EEEvSE_ ; -- Begin function _ZN7rocprim17ROCPRIM_400000_NS6detail17trampoline_kernelINS0_14default_configENS1_35radix_sort_onesweep_config_selectorIiNS0_10empty_typeEEEZZNS1_29radix_sort_onesweep_iterationIS3_Lb1EPiS8_PS5_S9_mNS0_19identity_decomposerENS1_16block_id_wrapperIjLb1EEEEE10hipError_tT1_PNSt15iterator_traitsISE_E10value_typeET2_T3_PNSF_ISK_E10value_typeET4_T5_PSP_SQ_PNS1_23onesweep_lookback_stateEbbT6_jjT7_P12ihipStream_tbENKUlT_T0_SE_SJ_E_clIS8_S8_S9_S9_EEDaSX_SY_SE_SJ_EUlSX_E_NS1_11comp_targetILNS1_3genE4ELNS1_11target_archE910ELNS1_3gpuE8ELNS1_3repE0EEENS1_47radix_sort_onesweep_sort_config_static_selectorELNS0_4arch9wavefront6targetE1EEEvSE_
	.globl	_ZN7rocprim17ROCPRIM_400000_NS6detail17trampoline_kernelINS0_14default_configENS1_35radix_sort_onesweep_config_selectorIiNS0_10empty_typeEEEZZNS1_29radix_sort_onesweep_iterationIS3_Lb1EPiS8_PS5_S9_mNS0_19identity_decomposerENS1_16block_id_wrapperIjLb1EEEEE10hipError_tT1_PNSt15iterator_traitsISE_E10value_typeET2_T3_PNSF_ISK_E10value_typeET4_T5_PSP_SQ_PNS1_23onesweep_lookback_stateEbbT6_jjT7_P12ihipStream_tbENKUlT_T0_SE_SJ_E_clIS8_S8_S9_S9_EEDaSX_SY_SE_SJ_EUlSX_E_NS1_11comp_targetILNS1_3genE4ELNS1_11target_archE910ELNS1_3gpuE8ELNS1_3repE0EEENS1_47radix_sort_onesweep_sort_config_static_selectorELNS0_4arch9wavefront6targetE1EEEvSE_
	.p2align	8
	.type	_ZN7rocprim17ROCPRIM_400000_NS6detail17trampoline_kernelINS0_14default_configENS1_35radix_sort_onesweep_config_selectorIiNS0_10empty_typeEEEZZNS1_29radix_sort_onesweep_iterationIS3_Lb1EPiS8_PS5_S9_mNS0_19identity_decomposerENS1_16block_id_wrapperIjLb1EEEEE10hipError_tT1_PNSt15iterator_traitsISE_E10value_typeET2_T3_PNSF_ISK_E10value_typeET4_T5_PSP_SQ_PNS1_23onesweep_lookback_stateEbbT6_jjT7_P12ihipStream_tbENKUlT_T0_SE_SJ_E_clIS8_S8_S9_S9_EEDaSX_SY_SE_SJ_EUlSX_E_NS1_11comp_targetILNS1_3genE4ELNS1_11target_archE910ELNS1_3gpuE8ELNS1_3repE0EEENS1_47radix_sort_onesweep_sort_config_static_selectorELNS0_4arch9wavefront6targetE1EEEvSE_,@function
_ZN7rocprim17ROCPRIM_400000_NS6detail17trampoline_kernelINS0_14default_configENS1_35radix_sort_onesweep_config_selectorIiNS0_10empty_typeEEEZZNS1_29radix_sort_onesweep_iterationIS3_Lb1EPiS8_PS5_S9_mNS0_19identity_decomposerENS1_16block_id_wrapperIjLb1EEEEE10hipError_tT1_PNSt15iterator_traitsISE_E10value_typeET2_T3_PNSF_ISK_E10value_typeET4_T5_PSP_SQ_PNS1_23onesweep_lookback_stateEbbT6_jjT7_P12ihipStream_tbENKUlT_T0_SE_SJ_E_clIS8_S8_S9_S9_EEDaSX_SY_SE_SJ_EUlSX_E_NS1_11comp_targetILNS1_3genE4ELNS1_11target_archE910ELNS1_3gpuE8ELNS1_3repE0EEENS1_47radix_sort_onesweep_sort_config_static_selectorELNS0_4arch9wavefront6targetE1EEEvSE_: ; @_ZN7rocprim17ROCPRIM_400000_NS6detail17trampoline_kernelINS0_14default_configENS1_35radix_sort_onesweep_config_selectorIiNS0_10empty_typeEEEZZNS1_29radix_sort_onesweep_iterationIS3_Lb1EPiS8_PS5_S9_mNS0_19identity_decomposerENS1_16block_id_wrapperIjLb1EEEEE10hipError_tT1_PNSt15iterator_traitsISE_E10value_typeET2_T3_PNSF_ISK_E10value_typeET4_T5_PSP_SQ_PNS1_23onesweep_lookback_stateEbbT6_jjT7_P12ihipStream_tbENKUlT_T0_SE_SJ_E_clIS8_S8_S9_S9_EEDaSX_SY_SE_SJ_EUlSX_E_NS1_11comp_targetILNS1_3genE4ELNS1_11target_archE910ELNS1_3gpuE8ELNS1_3repE0EEENS1_47radix_sort_onesweep_sort_config_static_selectorELNS0_4arch9wavefront6targetE1EEEvSE_
; %bb.0:
	s_load_dwordx4 s[16:19], s[4:5], 0x28
	s_load_dwordx2 s[14:15], s[4:5], 0x38
	s_load_dwordx4 s[20:23], s[4:5], 0x44
	v_and_b32_e32 v2, 0x3ff, v0
	v_cmp_eq_u32_e64 s[0:1], 0, v2
	s_and_saveexec_b64 s[2:3], s[0:1]
	s_cbranch_execz .LBB2016_4
; %bb.1:
	s_mov_b64 s[10:11], exec
	v_mbcnt_lo_u32_b32 v1, s10, 0
	v_mbcnt_hi_u32_b32 v1, s11, v1
	v_cmp_eq_u32_e32 vcc, 0, v1
                                        ; implicit-def: $vgpr3
	s_and_saveexec_b64 s[8:9], vcc
	s_cbranch_execz .LBB2016_3
; %bb.2:
	s_load_dwordx2 s[12:13], s[4:5], 0x50
	s_bcnt1_i32_b64 s7, s[10:11]
	v_mov_b32_e32 v3, 0
	v_mov_b32_e32 v4, s7
	s_waitcnt lgkmcnt(0)
	global_atomic_add v3, v3, v4, s[12:13] glc
.LBB2016_3:
	s_or_b64 exec, exec, s[8:9]
	s_waitcnt vmcnt(0)
	v_readfirstlane_b32 s7, v3
	v_add_u32_e32 v1, s7, v1
	v_mov_b32_e32 v3, 0
	ds_write_b32 v3, v1 offset:20544
.LBB2016_4:
	s_or_b64 exec, exec, s[2:3]
	v_mov_b32_e32 v1, 0
	s_load_dwordx4 s[24:27], s[4:5], 0x0
	s_load_dword s2, s[4:5], 0x20
	s_waitcnt lgkmcnt(0)
	s_barrier
	ds_read_b32 v1, v1 offset:20544
	v_mbcnt_lo_u32_b32 v12, -1, 0
	s_waitcnt lgkmcnt(0)
	s_barrier
	v_readfirstlane_b32 s30, v1
	v_cmp_le_u32_e32 vcc, s22, v1
	s_mul_i32 s28, s30, 0x3000
	s_cbranch_vccz .LBB2016_85
; %bb.5:
	s_mul_i32 s7, s22, 0xffffd000
	s_mov_b32 s29, 0
	s_add_i32 s7, s7, s2
	s_lshl_b64 s[2:3], s[28:29], 2
	v_mbcnt_hi_u32_b32 v1, -1, v12
	s_add_u32 s2, s24, s2
	v_and_b32_e32 v3, 63, v1
	v_and_b32_e32 v4, 0x3c0, v2
	s_addc_u32 s3, s25, s3
	v_mul_u32_u24_e32 v6, 12, v4
	v_lshlrev_b32_e32 v4, 2, v3
	v_mov_b32_e32 v5, s3
	v_add_co_u32_e32 v4, vcc, s2, v4
	v_addc_co_u32_e32 v5, vcc, 0, v5, vcc
	v_lshlrev_b32_e32 v7, 2, v6
	v_add_co_u32_e32 v4, vcc, v4, v7
	v_addc_co_u32_e32 v5, vcc, 0, v5, vcc
	v_or_b32_e32 v6, v3, v6
	v_cmp_gt_u32_e32 vcc, s7, v6
	v_bfrev_b32_e32 v9, 1
	v_bfrev_b32_e32 v3, 1
	s_and_saveexec_b64 s[2:3], vcc
	s_cbranch_execz .LBB2016_7
; %bb.6:
	global_load_dword v3, v[4:5], off
.LBB2016_7:
	s_or_b64 exec, exec, s[2:3]
	v_or_b32_e32 v7, 64, v6
	v_cmp_gt_u32_e32 vcc, s7, v7
	s_and_saveexec_b64 s[2:3], vcc
	s_cbranch_execz .LBB2016_9
; %bb.8:
	global_load_dword v9, v[4:5], off offset:256
.LBB2016_9:
	s_or_b64 exec, exec, s[2:3]
	v_or_b32_e32 v7, 0x80, v6
	v_cmp_gt_u32_e32 vcc, s7, v7
	v_bfrev_b32_e32 v18, 1
	v_bfrev_b32_e32 v11, 1
	s_and_saveexec_b64 s[2:3], vcc
	s_cbranch_execz .LBB2016_11
; %bb.10:
	global_load_dword v11, v[4:5], off offset:512
.LBB2016_11:
	s_or_b64 exec, exec, s[2:3]
	v_or_b32_e32 v7, 0xc0, v6
	v_cmp_gt_u32_e32 vcc, s7, v7
	s_and_saveexec_b64 s[2:3], vcc
	s_cbranch_execz .LBB2016_13
; %bb.12:
	global_load_dword v18, v[4:5], off offset:768
.LBB2016_13:
	s_or_b64 exec, exec, s[2:3]
	v_add_u32_e32 v7, 0x100, v6
	v_cmp_gt_u32_e32 vcc, s7, v7
	v_bfrev_b32_e32 v24, 1
	v_bfrev_b32_e32 v21, 1
	s_and_saveexec_b64 s[2:3], vcc
	s_cbranch_execz .LBB2016_15
; %bb.14:
	global_load_dword v21, v[4:5], off offset:1024
.LBB2016_15:
	s_or_b64 exec, exec, s[2:3]
	v_add_u32_e32 v7, 0x140, v6
	v_cmp_gt_u32_e32 vcc, s7, v7
	s_and_saveexec_b64 s[2:3], vcc
	s_cbranch_execz .LBB2016_17
; %bb.16:
	global_load_dword v24, v[4:5], off offset:1280
.LBB2016_17:
	s_or_b64 exec, exec, s[2:3]
	v_add_u32_e32 v7, 0x180, v6
	v_cmp_gt_u32_e32 vcc, s7, v7
	v_bfrev_b32_e32 v34, 1
	v_bfrev_b32_e32 v28, 1
	s_and_saveexec_b64 s[2:3], vcc
	s_cbranch_execz .LBB2016_19
; %bb.18:
	global_load_dword v28, v[4:5], off offset:1536
.LBB2016_19:
	s_or_b64 exec, exec, s[2:3]
	v_add_u32_e32 v7, 0x1c0, v6
	;; [unrolled: 18-line block ×4, first 2 shown]
	v_cmp_gt_u32_e32 vcc, s7, v6
	s_and_saveexec_b64 s[2:3], vcc
	s_cbranch_execz .LBB2016_29
; %bb.28:
	global_load_dword v10, v[4:5], off offset:2816
.LBB2016_29:
	s_or_b64 exec, exec, s[2:3]
	s_load_dword s2, s[4:5], 0x64
	s_load_dword s29, s[4:5], 0x58
	s_add_u32 s3, s4, 0x58
	s_addc_u32 s8, s5, 0
	v_mov_b32_e32 v4, 0
	s_waitcnt lgkmcnt(0)
	s_lshr_b32 s9, s2, 16
	s_cmp_lt_u32 s6, s29
	s_cselect_b32 s2, 12, 18
	s_add_u32 s2, s3, s2
	s_addc_u32 s3, s8, 0
	global_load_ushort v6, v4, s[2:3]
	s_waitcnt vmcnt(1)
	v_xor_b32_e32 v13, 0x7fffffff, v3
	s_lshl_b32 s2, -1, s21
	v_lshrrev_b32_e32 v8, s20, v13
	s_not_b32 s31, s2
	v_and_b32_e32 v8, s31, v8
	v_and_b32_e32 v15, 1, v8
	v_bfe_u32 v5, v0, 10, 10
	v_bfe_u32 v7, v0, 20, 10
	v_add_co_u32_e32 v16, vcc, -1, v15
	v_mad_u32_u24 v7, v7, s9, v5
	v_lshlrev_b32_e32 v5, 30, v8
	v_addc_co_u32_e64 v17, s[2:3], 0, -1, vcc
	v_cmp_ne_u32_e32 vcc, 0, v15
	v_cmp_gt_i64_e64 s[2:3], 0, v[4:5]
	v_not_b32_e32 v15, v5
	v_lshlrev_b32_e32 v5, 29, v8
	v_xor_b32_e32 v17, vcc_hi, v17
	v_xor_b32_e32 v16, vcc_lo, v16
	v_ashrrev_i32_e32 v15, 31, v15
	v_cmp_gt_i64_e32 vcc, 0, v[4:5]
	v_not_b32_e32 v19, v5
	v_lshlrev_b32_e32 v5, 28, v8
	v_and_b32_e32 v17, exec_hi, v17
	v_and_b32_e32 v16, exec_lo, v16
	v_xor_b32_e32 v20, s3, v15
	v_xor_b32_e32 v15, s2, v15
	v_ashrrev_i32_e32 v19, 31, v19
	v_cmp_gt_i64_e64 s[2:3], 0, v[4:5]
	v_not_b32_e32 v22, v5
	v_lshlrev_b32_e32 v5, 27, v8
	v_and_b32_e32 v17, v17, v20
	v_and_b32_e32 v15, v16, v15
	v_xor_b32_e32 v16, vcc_hi, v19
	v_xor_b32_e32 v19, vcc_lo, v19
	v_ashrrev_i32_e32 v20, 31, v22
	v_cmp_gt_i64_e32 vcc, 0, v[4:5]
	v_not_b32_e32 v22, v5
	v_lshlrev_b32_e32 v5, 26, v8
	v_and_b32_e32 v16, v17, v16
	v_and_b32_e32 v15, v15, v19
	v_xor_b32_e32 v17, s3, v20
	v_xor_b32_e32 v19, s2, v20
	v_ashrrev_i32_e32 v20, 31, v22
	v_cmp_gt_i64_e64 s[2:3], 0, v[4:5]
	v_not_b32_e32 v22, v5
	v_lshlrev_b32_e32 v5, 25, v8
	v_mul_u32_u24_e32 v3, 5, v2
	v_and_b32_e32 v16, v16, v17
	v_and_b32_e32 v15, v15, v19
	v_xor_b32_e32 v17, vcc_hi, v20
	v_xor_b32_e32 v19, vcc_lo, v20
	v_ashrrev_i32_e32 v20, 31, v22
	v_cmp_gt_i64_e32 vcc, 0, v[4:5]
	v_not_b32_e32 v22, v5
	v_lshlrev_b32_e32 v5, 24, v8
	v_lshlrev_b32_e32 v3, 2, v3
	v_lshl_add_u32 v14, v8, 4, v8
	v_and_b32_e32 v8, v16, v17
	v_and_b32_e32 v15, v15, v19
	v_xor_b32_e32 v16, s3, v20
	v_xor_b32_e32 v17, s2, v20
	v_ashrrev_i32_e32 v19, 31, v22
	v_cmp_gt_i64_e64 s[2:3], 0, v[4:5]
	v_not_b32_e32 v5, v5
	v_and_b32_e32 v8, v8, v16
	v_and_b32_e32 v15, v15, v17
	v_xor_b32_e32 v16, vcc_hi, v19
	v_xor_b32_e32 v17, vcc_lo, v19
	v_ashrrev_i32_e32 v5, 31, v5
	v_and_b32_e32 v16, v8, v16
	v_and_b32_e32 v15, v15, v17
	ds_write2_b32 v3, v4, v4 offset0:16 offset1:17
	ds_write2_b32 v3, v4, v4 offset0:18 offset1:19
	ds_write_b32 v3, v4 offset:80
	s_waitcnt lgkmcnt(0)
	s_barrier
	s_waitcnt lgkmcnt(0)
	; wave barrier
	s_waitcnt vmcnt(0)
	v_mad_u64_u32 v[6:7], s[8:9], v7, v6, v[2:3]
	v_lshrrev_b32_e32 v29, 6, v6
	v_xor_b32_e32 v6, s3, v5
	v_xor_b32_e32 v5, s2, v5
	v_and_b32_e32 v7, v16, v6
	v_and_b32_e32 v6, v15, v5
	v_mbcnt_lo_u32_b32 v5, v6, 0
	v_mbcnt_hi_u32_b32 v16, v7, v5
	v_cmp_eq_u32_e32 vcc, 0, v16
	v_cmp_ne_u64_e64 s[2:3], 0, v[6:7]
	v_add_lshl_u32 v8, v29, v14, 2
	s_and_b64 s[8:9], s[2:3], vcc
	s_and_saveexec_b64 s[2:3], s[8:9]
	s_cbranch_execz .LBB2016_31
; %bb.30:
	v_bcnt_u32_b32 v5, v6, 0
	v_bcnt_u32_b32 v5, v7, v5
	ds_write_b32 v8, v5 offset:64
.LBB2016_31:
	s_or_b64 exec, exec, s[2:3]
	v_xor_b32_e32 v14, 0x7fffffff, v9
	v_lshrrev_b32_e32 v5, s20, v14
	v_and_b32_e32 v6, s31, v5
	v_lshl_add_u32 v5, v6, 4, v6
	v_add_lshl_u32 v9, v29, v5, 2
	v_and_b32_e32 v5, 1, v6
	v_add_co_u32_e32 v7, vcc, -1, v5
	v_addc_co_u32_e64 v15, s[2:3], 0, -1, vcc
	v_cmp_ne_u32_e32 vcc, 0, v5
	v_xor_b32_e32 v5, vcc_hi, v15
	v_and_b32_e32 v15, exec_hi, v5
	v_lshlrev_b32_e32 v5, 30, v6
	v_xor_b32_e32 v7, vcc_lo, v7
	v_cmp_gt_i64_e32 vcc, 0, v[4:5]
	v_not_b32_e32 v5, v5
	v_ashrrev_i32_e32 v5, 31, v5
	v_and_b32_e32 v7, exec_lo, v7
	v_xor_b32_e32 v19, vcc_hi, v5
	v_xor_b32_e32 v5, vcc_lo, v5
	v_and_b32_e32 v7, v7, v5
	v_lshlrev_b32_e32 v5, 29, v6
	v_cmp_gt_i64_e32 vcc, 0, v[4:5]
	v_not_b32_e32 v5, v5
	v_ashrrev_i32_e32 v5, 31, v5
	v_and_b32_e32 v15, v15, v19
	v_xor_b32_e32 v19, vcc_hi, v5
	v_xor_b32_e32 v5, vcc_lo, v5
	v_and_b32_e32 v7, v7, v5
	v_lshlrev_b32_e32 v5, 28, v6
	v_cmp_gt_i64_e32 vcc, 0, v[4:5]
	v_not_b32_e32 v5, v5
	v_ashrrev_i32_e32 v5, 31, v5
	v_and_b32_e32 v15, v15, v19
	;; [unrolled: 8-line block ×5, first 2 shown]
	v_xor_b32_e32 v19, vcc_hi, v5
	v_xor_b32_e32 v5, vcc_lo, v5
	v_and_b32_e32 v7, v7, v5
	v_lshlrev_b32_e32 v5, 24, v6
	v_cmp_gt_i64_e32 vcc, 0, v[4:5]
	v_not_b32_e32 v4, v5
	v_ashrrev_i32_e32 v4, 31, v4
	v_xor_b32_e32 v5, vcc_hi, v4
	v_xor_b32_e32 v4, vcc_lo, v4
	; wave barrier
	ds_read_b32 v17, v9 offset:64
	v_and_b32_e32 v15, v15, v19
	v_and_b32_e32 v4, v7, v4
	;; [unrolled: 1-line block ×3, first 2 shown]
	v_mbcnt_lo_u32_b32 v6, v4, 0
	v_mbcnt_hi_u32_b32 v19, v5, v6
	v_cmp_eq_u32_e32 vcc, 0, v19
	v_cmp_ne_u64_e64 s[2:3], 0, v[4:5]
	s_and_b64 s[8:9], s[2:3], vcc
	; wave barrier
	s_and_saveexec_b64 s[2:3], s[8:9]
	s_cbranch_execz .LBB2016_33
; %bb.32:
	v_bcnt_u32_b32 v4, v4, 0
	v_bcnt_u32_b32 v4, v5, v4
	s_waitcnt lgkmcnt(0)
	v_add_u32_e32 v4, v17, v4
	ds_write_b32 v9, v4 offset:64
.LBB2016_33:
	s_or_b64 exec, exec, s[2:3]
	v_xor_b32_e32 v15, 0x7fffffff, v11
	v_lshrrev_b32_e32 v4, s20, v15
	v_and_b32_e32 v6, s31, v4
	v_and_b32_e32 v5, 1, v6
	v_add_co_u32_e32 v7, vcc, -1, v5
	v_addc_co_u32_e64 v22, s[2:3], 0, -1, vcc
	v_cmp_ne_u32_e32 vcc, 0, v5
	v_lshl_add_u32 v4, v6, 4, v6
	v_xor_b32_e32 v5, vcc_hi, v22
	v_add_lshl_u32 v11, v29, v4, 2
	v_mov_b32_e32 v4, 0
	v_and_b32_e32 v22, exec_hi, v5
	v_lshlrev_b32_e32 v5, 30, v6
	v_xor_b32_e32 v7, vcc_lo, v7
	v_cmp_gt_i64_e32 vcc, 0, v[4:5]
	v_not_b32_e32 v5, v5
	v_ashrrev_i32_e32 v5, 31, v5
	v_and_b32_e32 v7, exec_lo, v7
	v_xor_b32_e32 v23, vcc_hi, v5
	v_xor_b32_e32 v5, vcc_lo, v5
	v_and_b32_e32 v7, v7, v5
	v_lshlrev_b32_e32 v5, 29, v6
	v_cmp_gt_i64_e32 vcc, 0, v[4:5]
	v_not_b32_e32 v5, v5
	v_ashrrev_i32_e32 v5, 31, v5
	v_and_b32_e32 v22, v22, v23
	v_xor_b32_e32 v23, vcc_hi, v5
	v_xor_b32_e32 v5, vcc_lo, v5
	v_and_b32_e32 v7, v7, v5
	v_lshlrev_b32_e32 v5, 28, v6
	v_cmp_gt_i64_e32 vcc, 0, v[4:5]
	v_not_b32_e32 v5, v5
	v_ashrrev_i32_e32 v5, 31, v5
	v_and_b32_e32 v22, v22, v23
	;; [unrolled: 8-line block ×5, first 2 shown]
	v_xor_b32_e32 v23, vcc_hi, v5
	v_xor_b32_e32 v5, vcc_lo, v5
	v_and_b32_e32 v22, v22, v23
	v_and_b32_e32 v23, v7, v5
	v_lshlrev_b32_e32 v5, 24, v6
	v_cmp_gt_i64_e32 vcc, 0, v[4:5]
	v_not_b32_e32 v5, v5
	v_ashrrev_i32_e32 v5, 31, v5
	v_xor_b32_e32 v6, vcc_hi, v5
	v_xor_b32_e32 v5, vcc_lo, v5
	; wave barrier
	ds_read_b32 v20, v11 offset:64
	v_and_b32_e32 v7, v22, v6
	v_and_b32_e32 v6, v23, v5
	v_mbcnt_lo_u32_b32 v5, v6, 0
	v_mbcnt_hi_u32_b32 v22, v7, v5
	v_cmp_eq_u32_e32 vcc, 0, v22
	v_cmp_ne_u64_e64 s[2:3], 0, v[6:7]
	s_and_b64 s[8:9], s[2:3], vcc
	; wave barrier
	s_and_saveexec_b64 s[2:3], s[8:9]
	s_cbranch_execz .LBB2016_35
; %bb.34:
	v_bcnt_u32_b32 v5, v6, 0
	v_bcnt_u32_b32 v5, v7, v5
	s_waitcnt lgkmcnt(0)
	v_add_u32_e32 v5, v20, v5
	ds_write_b32 v11, v5 offset:64
.LBB2016_35:
	s_or_b64 exec, exec, s[2:3]
	v_xor_b32_e32 v18, 0x7fffffff, v18
	v_lshrrev_b32_e32 v5, s20, v18
	v_and_b32_e32 v6, s31, v5
	v_lshl_add_u32 v5, v6, 4, v6
	v_add_lshl_u32 v32, v29, v5, 2
	v_and_b32_e32 v5, 1, v6
	v_add_co_u32_e32 v7, vcc, -1, v5
	v_addc_co_u32_e64 v25, s[2:3], 0, -1, vcc
	v_cmp_ne_u32_e32 vcc, 0, v5
	v_xor_b32_e32 v5, vcc_hi, v25
	v_and_b32_e32 v25, exec_hi, v5
	v_lshlrev_b32_e32 v5, 30, v6
	v_xor_b32_e32 v7, vcc_lo, v7
	v_cmp_gt_i64_e32 vcc, 0, v[4:5]
	v_not_b32_e32 v5, v5
	v_ashrrev_i32_e32 v5, 31, v5
	v_and_b32_e32 v7, exec_lo, v7
	v_xor_b32_e32 v27, vcc_hi, v5
	v_xor_b32_e32 v5, vcc_lo, v5
	v_and_b32_e32 v7, v7, v5
	v_lshlrev_b32_e32 v5, 29, v6
	v_cmp_gt_i64_e32 vcc, 0, v[4:5]
	v_not_b32_e32 v5, v5
	v_ashrrev_i32_e32 v5, 31, v5
	v_and_b32_e32 v25, v25, v27
	v_xor_b32_e32 v27, vcc_hi, v5
	v_xor_b32_e32 v5, vcc_lo, v5
	v_and_b32_e32 v7, v7, v5
	v_lshlrev_b32_e32 v5, 28, v6
	v_cmp_gt_i64_e32 vcc, 0, v[4:5]
	v_not_b32_e32 v5, v5
	v_ashrrev_i32_e32 v5, 31, v5
	v_and_b32_e32 v25, v25, v27
	;; [unrolled: 8-line block ×5, first 2 shown]
	v_xor_b32_e32 v27, vcc_hi, v5
	v_xor_b32_e32 v5, vcc_lo, v5
	v_and_b32_e32 v7, v7, v5
	v_lshlrev_b32_e32 v5, 24, v6
	v_cmp_gt_i64_e32 vcc, 0, v[4:5]
	v_not_b32_e32 v4, v5
	v_ashrrev_i32_e32 v4, 31, v4
	v_xor_b32_e32 v5, vcc_hi, v4
	v_xor_b32_e32 v4, vcc_lo, v4
	; wave barrier
	ds_read_b32 v23, v32 offset:64
	v_and_b32_e32 v25, v25, v27
	v_and_b32_e32 v4, v7, v4
	;; [unrolled: 1-line block ×3, first 2 shown]
	v_mbcnt_lo_u32_b32 v6, v4, 0
	v_mbcnt_hi_u32_b32 v25, v5, v6
	v_cmp_eq_u32_e32 vcc, 0, v25
	v_cmp_ne_u64_e64 s[2:3], 0, v[4:5]
	s_and_b64 s[8:9], s[2:3], vcc
	; wave barrier
	s_and_saveexec_b64 s[2:3], s[8:9]
	s_cbranch_execz .LBB2016_37
; %bb.36:
	v_bcnt_u32_b32 v4, v4, 0
	v_bcnt_u32_b32 v4, v5, v4
	s_waitcnt lgkmcnt(0)
	v_add_u32_e32 v4, v23, v4
	ds_write_b32 v32, v4 offset:64
.LBB2016_37:
	s_or_b64 exec, exec, s[2:3]
	v_xor_b32_e32 v21, 0x7fffffff, v21
	v_lshrrev_b32_e32 v4, s20, v21
	v_and_b32_e32 v6, s31, v4
	v_and_b32_e32 v5, 1, v6
	v_add_co_u32_e32 v7, vcc, -1, v5
	v_addc_co_u32_e64 v31, s[2:3], 0, -1, vcc
	v_cmp_ne_u32_e32 vcc, 0, v5
	v_lshl_add_u32 v4, v6, 4, v6
	v_xor_b32_e32 v5, vcc_hi, v31
	v_add_lshl_u32 v37, v29, v4, 2
	v_mov_b32_e32 v4, 0
	v_and_b32_e32 v31, exec_hi, v5
	v_lshlrev_b32_e32 v5, 30, v6
	v_xor_b32_e32 v7, vcc_lo, v7
	v_cmp_gt_i64_e32 vcc, 0, v[4:5]
	v_not_b32_e32 v5, v5
	v_ashrrev_i32_e32 v5, 31, v5
	v_and_b32_e32 v7, exec_lo, v7
	v_xor_b32_e32 v33, vcc_hi, v5
	v_xor_b32_e32 v5, vcc_lo, v5
	v_and_b32_e32 v7, v7, v5
	v_lshlrev_b32_e32 v5, 29, v6
	v_cmp_gt_i64_e32 vcc, 0, v[4:5]
	v_not_b32_e32 v5, v5
	v_ashrrev_i32_e32 v5, 31, v5
	v_and_b32_e32 v31, v31, v33
	v_xor_b32_e32 v33, vcc_hi, v5
	v_xor_b32_e32 v5, vcc_lo, v5
	v_and_b32_e32 v7, v7, v5
	v_lshlrev_b32_e32 v5, 28, v6
	v_cmp_gt_i64_e32 vcc, 0, v[4:5]
	v_not_b32_e32 v5, v5
	v_ashrrev_i32_e32 v5, 31, v5
	v_and_b32_e32 v31, v31, v33
	;; [unrolled: 8-line block ×5, first 2 shown]
	v_xor_b32_e32 v33, vcc_hi, v5
	v_xor_b32_e32 v5, vcc_lo, v5
	v_and_b32_e32 v31, v31, v33
	v_and_b32_e32 v33, v7, v5
	v_lshlrev_b32_e32 v5, 24, v6
	v_cmp_gt_i64_e32 vcc, 0, v[4:5]
	v_not_b32_e32 v5, v5
	v_ashrrev_i32_e32 v5, 31, v5
	v_xor_b32_e32 v6, vcc_hi, v5
	v_xor_b32_e32 v5, vcc_lo, v5
	; wave barrier
	ds_read_b32 v27, v37 offset:64
	v_and_b32_e32 v7, v31, v6
	v_and_b32_e32 v6, v33, v5
	v_mbcnt_lo_u32_b32 v5, v6, 0
	v_mbcnt_hi_u32_b32 v31, v7, v5
	v_cmp_eq_u32_e32 vcc, 0, v31
	v_cmp_ne_u64_e64 s[2:3], 0, v[6:7]
	s_and_b64 s[8:9], s[2:3], vcc
	; wave barrier
	s_and_saveexec_b64 s[2:3], s[8:9]
	s_cbranch_execz .LBB2016_39
; %bb.38:
	v_bcnt_u32_b32 v5, v6, 0
	v_bcnt_u32_b32 v5, v7, v5
	s_waitcnt lgkmcnt(0)
	v_add_u32_e32 v5, v27, v5
	ds_write_b32 v37, v5 offset:64
.LBB2016_39:
	s_or_b64 exec, exec, s[2:3]
	v_xor_b32_e32 v24, 0x7fffffff, v24
	v_lshrrev_b32_e32 v5, s20, v24
	v_and_b32_e32 v6, s31, v5
	v_lshl_add_u32 v5, v6, 4, v6
	v_add_lshl_u32 v40, v29, v5, 2
	v_and_b32_e32 v5, 1, v6
	v_add_co_u32_e32 v7, vcc, -1, v5
	v_addc_co_u32_e64 v36, s[2:3], 0, -1, vcc
	v_cmp_ne_u32_e32 vcc, 0, v5
	v_xor_b32_e32 v5, vcc_hi, v36
	v_and_b32_e32 v36, exec_hi, v5
	v_lshlrev_b32_e32 v5, 30, v6
	v_xor_b32_e32 v7, vcc_lo, v7
	v_cmp_gt_i64_e32 vcc, 0, v[4:5]
	v_not_b32_e32 v5, v5
	v_ashrrev_i32_e32 v5, 31, v5
	v_and_b32_e32 v7, exec_lo, v7
	v_xor_b32_e32 v38, vcc_hi, v5
	v_xor_b32_e32 v5, vcc_lo, v5
	v_and_b32_e32 v7, v7, v5
	v_lshlrev_b32_e32 v5, 29, v6
	v_cmp_gt_i64_e32 vcc, 0, v[4:5]
	v_not_b32_e32 v5, v5
	v_ashrrev_i32_e32 v5, 31, v5
	v_and_b32_e32 v36, v36, v38
	v_xor_b32_e32 v38, vcc_hi, v5
	v_xor_b32_e32 v5, vcc_lo, v5
	v_and_b32_e32 v7, v7, v5
	v_lshlrev_b32_e32 v5, 28, v6
	v_cmp_gt_i64_e32 vcc, 0, v[4:5]
	v_not_b32_e32 v5, v5
	v_ashrrev_i32_e32 v5, 31, v5
	v_and_b32_e32 v36, v36, v38
	;; [unrolled: 8-line block ×5, first 2 shown]
	v_xor_b32_e32 v38, vcc_hi, v5
	v_xor_b32_e32 v5, vcc_lo, v5
	v_and_b32_e32 v7, v7, v5
	v_lshlrev_b32_e32 v5, 24, v6
	v_cmp_gt_i64_e32 vcc, 0, v[4:5]
	v_not_b32_e32 v4, v5
	v_ashrrev_i32_e32 v4, 31, v4
	v_xor_b32_e32 v5, vcc_hi, v4
	v_xor_b32_e32 v4, vcc_lo, v4
	; wave barrier
	ds_read_b32 v33, v40 offset:64
	v_and_b32_e32 v36, v36, v38
	v_and_b32_e32 v4, v7, v4
	;; [unrolled: 1-line block ×3, first 2 shown]
	v_mbcnt_lo_u32_b32 v6, v4, 0
	v_mbcnt_hi_u32_b32 v36, v5, v6
	v_cmp_eq_u32_e32 vcc, 0, v36
	v_cmp_ne_u64_e64 s[2:3], 0, v[4:5]
	s_and_b64 s[8:9], s[2:3], vcc
	; wave barrier
	s_and_saveexec_b64 s[2:3], s[8:9]
	s_cbranch_execz .LBB2016_41
; %bb.40:
	v_bcnt_u32_b32 v4, v4, 0
	v_bcnt_u32_b32 v4, v5, v4
	s_waitcnt lgkmcnt(0)
	v_add_u32_e32 v4, v33, v4
	ds_write_b32 v40, v4 offset:64
.LBB2016_41:
	s_or_b64 exec, exec, s[2:3]
	v_xor_b32_e32 v28, 0x7fffffff, v28
	v_lshrrev_b32_e32 v4, s20, v28
	v_and_b32_e32 v6, s31, v4
	v_and_b32_e32 v5, 1, v6
	v_add_co_u32_e32 v7, vcc, -1, v5
	v_addc_co_u32_e64 v39, s[2:3], 0, -1, vcc
	v_cmp_ne_u32_e32 vcc, 0, v5
	v_lshl_add_u32 v4, v6, 4, v6
	v_xor_b32_e32 v5, vcc_hi, v39
	v_add_lshl_u32 v43, v29, v4, 2
	v_mov_b32_e32 v4, 0
	v_and_b32_e32 v39, exec_hi, v5
	v_lshlrev_b32_e32 v5, 30, v6
	v_xor_b32_e32 v7, vcc_lo, v7
	v_cmp_gt_i64_e32 vcc, 0, v[4:5]
	v_not_b32_e32 v5, v5
	v_ashrrev_i32_e32 v5, 31, v5
	v_and_b32_e32 v7, exec_lo, v7
	v_xor_b32_e32 v41, vcc_hi, v5
	v_xor_b32_e32 v5, vcc_lo, v5
	v_and_b32_e32 v7, v7, v5
	v_lshlrev_b32_e32 v5, 29, v6
	v_cmp_gt_i64_e32 vcc, 0, v[4:5]
	v_not_b32_e32 v5, v5
	v_ashrrev_i32_e32 v5, 31, v5
	v_and_b32_e32 v39, v39, v41
	v_xor_b32_e32 v41, vcc_hi, v5
	v_xor_b32_e32 v5, vcc_lo, v5
	v_and_b32_e32 v7, v7, v5
	v_lshlrev_b32_e32 v5, 28, v6
	v_cmp_gt_i64_e32 vcc, 0, v[4:5]
	v_not_b32_e32 v5, v5
	v_ashrrev_i32_e32 v5, 31, v5
	v_and_b32_e32 v39, v39, v41
	;; [unrolled: 8-line block ×5, first 2 shown]
	v_xor_b32_e32 v41, vcc_hi, v5
	v_xor_b32_e32 v5, vcc_lo, v5
	v_and_b32_e32 v39, v39, v41
	v_and_b32_e32 v41, v7, v5
	v_lshlrev_b32_e32 v5, 24, v6
	v_cmp_gt_i64_e32 vcc, 0, v[4:5]
	v_not_b32_e32 v5, v5
	v_ashrrev_i32_e32 v5, 31, v5
	v_xor_b32_e32 v6, vcc_hi, v5
	v_xor_b32_e32 v5, vcc_lo, v5
	; wave barrier
	ds_read_b32 v38, v43 offset:64
	v_and_b32_e32 v7, v39, v6
	v_and_b32_e32 v6, v41, v5
	v_mbcnt_lo_u32_b32 v5, v6, 0
	v_mbcnt_hi_u32_b32 v39, v7, v5
	v_cmp_eq_u32_e32 vcc, 0, v39
	v_cmp_ne_u64_e64 s[2:3], 0, v[6:7]
	s_and_b64 s[8:9], s[2:3], vcc
	; wave barrier
	s_and_saveexec_b64 s[2:3], s[8:9]
	s_cbranch_execz .LBB2016_43
; %bb.42:
	v_bcnt_u32_b32 v5, v6, 0
	v_bcnt_u32_b32 v5, v7, v5
	s_waitcnt lgkmcnt(0)
	v_add_u32_e32 v5, v38, v5
	ds_write_b32 v43, v5 offset:64
.LBB2016_43:
	s_or_b64 exec, exec, s[2:3]
	v_xor_b32_e32 v34, 0x7fffffff, v34
	v_lshrrev_b32_e32 v5, s20, v34
	v_and_b32_e32 v6, s31, v5
	v_lshl_add_u32 v5, v6, 4, v6
	v_add_lshl_u32 v46, v29, v5, 2
	v_and_b32_e32 v5, 1, v6
	v_add_co_u32_e32 v7, vcc, -1, v5
	v_addc_co_u32_e64 v42, s[2:3], 0, -1, vcc
	v_cmp_ne_u32_e32 vcc, 0, v5
	v_xor_b32_e32 v5, vcc_hi, v42
	v_and_b32_e32 v42, exec_hi, v5
	v_lshlrev_b32_e32 v5, 30, v6
	v_xor_b32_e32 v7, vcc_lo, v7
	v_cmp_gt_i64_e32 vcc, 0, v[4:5]
	v_not_b32_e32 v5, v5
	v_ashrrev_i32_e32 v5, 31, v5
	v_and_b32_e32 v7, exec_lo, v7
	v_xor_b32_e32 v44, vcc_hi, v5
	v_xor_b32_e32 v5, vcc_lo, v5
	v_and_b32_e32 v7, v7, v5
	v_lshlrev_b32_e32 v5, 29, v6
	v_cmp_gt_i64_e32 vcc, 0, v[4:5]
	v_not_b32_e32 v5, v5
	v_ashrrev_i32_e32 v5, 31, v5
	v_and_b32_e32 v42, v42, v44
	v_xor_b32_e32 v44, vcc_hi, v5
	v_xor_b32_e32 v5, vcc_lo, v5
	v_and_b32_e32 v7, v7, v5
	v_lshlrev_b32_e32 v5, 28, v6
	v_cmp_gt_i64_e32 vcc, 0, v[4:5]
	v_not_b32_e32 v5, v5
	v_ashrrev_i32_e32 v5, 31, v5
	v_and_b32_e32 v42, v42, v44
	;; [unrolled: 8-line block ×5, first 2 shown]
	v_xor_b32_e32 v44, vcc_hi, v5
	v_xor_b32_e32 v5, vcc_lo, v5
	v_and_b32_e32 v7, v7, v5
	v_lshlrev_b32_e32 v5, 24, v6
	v_cmp_gt_i64_e32 vcc, 0, v[4:5]
	v_not_b32_e32 v4, v5
	v_ashrrev_i32_e32 v4, 31, v4
	v_xor_b32_e32 v5, vcc_hi, v4
	v_xor_b32_e32 v4, vcc_lo, v4
	; wave barrier
	ds_read_b32 v41, v46 offset:64
	v_and_b32_e32 v42, v42, v44
	v_and_b32_e32 v4, v7, v4
	;; [unrolled: 1-line block ×3, first 2 shown]
	v_mbcnt_lo_u32_b32 v6, v4, 0
	v_mbcnt_hi_u32_b32 v42, v5, v6
	v_cmp_eq_u32_e32 vcc, 0, v42
	v_cmp_ne_u64_e64 s[2:3], 0, v[4:5]
	s_and_b64 s[8:9], s[2:3], vcc
	; wave barrier
	s_and_saveexec_b64 s[2:3], s[8:9]
	s_cbranch_execz .LBB2016_45
; %bb.44:
	v_bcnt_u32_b32 v4, v4, 0
	v_bcnt_u32_b32 v4, v5, v4
	s_waitcnt lgkmcnt(0)
	v_add_u32_e32 v4, v41, v4
	ds_write_b32 v46, v4 offset:64
.LBB2016_45:
	s_or_b64 exec, exec, s[2:3]
	v_xor_b32_e32 v35, 0x7fffffff, v35
	v_lshrrev_b32_e32 v4, s20, v35
	v_and_b32_e32 v6, s31, v4
	v_and_b32_e32 v5, 1, v6
	v_add_co_u32_e32 v7, vcc, -1, v5
	v_addc_co_u32_e64 v45, s[2:3], 0, -1, vcc
	v_cmp_ne_u32_e32 vcc, 0, v5
	v_lshl_add_u32 v4, v6, 4, v6
	v_xor_b32_e32 v5, vcc_hi, v45
	v_add_lshl_u32 v50, v29, v4, 2
	v_mov_b32_e32 v4, 0
	v_and_b32_e32 v45, exec_hi, v5
	v_lshlrev_b32_e32 v5, 30, v6
	v_xor_b32_e32 v7, vcc_lo, v7
	v_cmp_gt_i64_e32 vcc, 0, v[4:5]
	v_not_b32_e32 v5, v5
	v_ashrrev_i32_e32 v5, 31, v5
	v_and_b32_e32 v7, exec_lo, v7
	v_xor_b32_e32 v47, vcc_hi, v5
	v_xor_b32_e32 v5, vcc_lo, v5
	v_and_b32_e32 v7, v7, v5
	v_lshlrev_b32_e32 v5, 29, v6
	v_cmp_gt_i64_e32 vcc, 0, v[4:5]
	v_not_b32_e32 v5, v5
	v_ashrrev_i32_e32 v5, 31, v5
	v_and_b32_e32 v45, v45, v47
	v_xor_b32_e32 v47, vcc_hi, v5
	v_xor_b32_e32 v5, vcc_lo, v5
	v_and_b32_e32 v7, v7, v5
	v_lshlrev_b32_e32 v5, 28, v6
	v_cmp_gt_i64_e32 vcc, 0, v[4:5]
	v_not_b32_e32 v5, v5
	v_ashrrev_i32_e32 v5, 31, v5
	v_and_b32_e32 v45, v45, v47
	;; [unrolled: 8-line block ×5, first 2 shown]
	v_xor_b32_e32 v47, vcc_hi, v5
	v_xor_b32_e32 v5, vcc_lo, v5
	v_and_b32_e32 v45, v45, v47
	v_and_b32_e32 v47, v7, v5
	v_lshlrev_b32_e32 v5, 24, v6
	v_cmp_gt_i64_e32 vcc, 0, v[4:5]
	v_not_b32_e32 v5, v5
	v_ashrrev_i32_e32 v5, 31, v5
	v_xor_b32_e32 v6, vcc_hi, v5
	v_xor_b32_e32 v5, vcc_lo, v5
	; wave barrier
	ds_read_b32 v44, v50 offset:64
	v_and_b32_e32 v7, v45, v6
	v_and_b32_e32 v6, v47, v5
	v_mbcnt_lo_u32_b32 v5, v6, 0
	v_mbcnt_hi_u32_b32 v45, v7, v5
	v_cmp_eq_u32_e32 vcc, 0, v45
	v_cmp_ne_u64_e64 s[2:3], 0, v[6:7]
	s_and_b64 s[8:9], s[2:3], vcc
	; wave barrier
	s_and_saveexec_b64 s[2:3], s[8:9]
	s_cbranch_execz .LBB2016_47
; %bb.46:
	v_bcnt_u32_b32 v5, v6, 0
	v_bcnt_u32_b32 v5, v7, v5
	s_waitcnt lgkmcnt(0)
	v_add_u32_e32 v5, v44, v5
	ds_write_b32 v50, v5 offset:64
.LBB2016_47:
	s_or_b64 exec, exec, s[2:3]
	v_xor_b32_e32 v30, 0x7fffffff, v30
	v_lshrrev_b32_e32 v5, s20, v30
	v_and_b32_e32 v6, s31, v5
	v_lshl_add_u32 v5, v6, 4, v6
	v_add_lshl_u32 v53, v29, v5, 2
	v_and_b32_e32 v5, 1, v6
	v_add_co_u32_e32 v7, vcc, -1, v5
	v_addc_co_u32_e64 v48, s[2:3], 0, -1, vcc
	v_cmp_ne_u32_e32 vcc, 0, v5
	v_xor_b32_e32 v5, vcc_hi, v48
	v_and_b32_e32 v48, exec_hi, v5
	v_lshlrev_b32_e32 v5, 30, v6
	v_xor_b32_e32 v7, vcc_lo, v7
	v_cmp_gt_i64_e32 vcc, 0, v[4:5]
	v_not_b32_e32 v5, v5
	v_ashrrev_i32_e32 v5, 31, v5
	v_and_b32_e32 v7, exec_lo, v7
	v_xor_b32_e32 v49, vcc_hi, v5
	v_xor_b32_e32 v5, vcc_lo, v5
	v_and_b32_e32 v7, v7, v5
	v_lshlrev_b32_e32 v5, 29, v6
	v_cmp_gt_i64_e32 vcc, 0, v[4:5]
	v_not_b32_e32 v5, v5
	v_ashrrev_i32_e32 v5, 31, v5
	v_and_b32_e32 v48, v48, v49
	v_xor_b32_e32 v49, vcc_hi, v5
	v_xor_b32_e32 v5, vcc_lo, v5
	v_and_b32_e32 v7, v7, v5
	v_lshlrev_b32_e32 v5, 28, v6
	v_cmp_gt_i64_e32 vcc, 0, v[4:5]
	v_not_b32_e32 v5, v5
	v_ashrrev_i32_e32 v5, 31, v5
	v_and_b32_e32 v48, v48, v49
	;; [unrolled: 8-line block ×5, first 2 shown]
	v_xor_b32_e32 v49, vcc_hi, v5
	v_xor_b32_e32 v5, vcc_lo, v5
	v_and_b32_e32 v7, v7, v5
	v_lshlrev_b32_e32 v5, 24, v6
	v_cmp_gt_i64_e32 vcc, 0, v[4:5]
	v_not_b32_e32 v4, v5
	v_ashrrev_i32_e32 v4, 31, v4
	v_xor_b32_e32 v5, vcc_hi, v4
	v_xor_b32_e32 v4, vcc_lo, v4
	; wave barrier
	ds_read_b32 v47, v53 offset:64
	v_and_b32_e32 v48, v48, v49
	v_and_b32_e32 v4, v7, v4
	;; [unrolled: 1-line block ×3, first 2 shown]
	v_mbcnt_lo_u32_b32 v6, v4, 0
	v_mbcnt_hi_u32_b32 v49, v5, v6
	v_cmp_eq_u32_e32 vcc, 0, v49
	v_cmp_ne_u64_e64 s[2:3], 0, v[4:5]
	s_and_b64 s[8:9], s[2:3], vcc
	; wave barrier
	s_and_saveexec_b64 s[2:3], s[8:9]
	s_cbranch_execz .LBB2016_49
; %bb.48:
	v_bcnt_u32_b32 v4, v4, 0
	v_bcnt_u32_b32 v4, v5, v4
	s_waitcnt lgkmcnt(0)
	v_add_u32_e32 v4, v47, v4
	ds_write_b32 v53, v4 offset:64
.LBB2016_49:
	s_or_b64 exec, exec, s[2:3]
	v_xor_b32_e32 v26, 0x7fffffff, v26
	v_lshrrev_b32_e32 v4, s20, v26
	v_and_b32_e32 v6, s31, v4
	v_and_b32_e32 v5, 1, v6
	v_add_co_u32_e32 v7, vcc, -1, v5
	v_addc_co_u32_e64 v48, s[2:3], 0, -1, vcc
	v_cmp_ne_u32_e32 vcc, 0, v5
	v_lshl_add_u32 v4, v6, 4, v6
	v_xor_b32_e32 v5, vcc_hi, v48
	v_add_lshl_u32 v55, v29, v4, 2
	v_mov_b32_e32 v4, 0
	v_and_b32_e32 v48, exec_hi, v5
	v_lshlrev_b32_e32 v5, 30, v6
	v_xor_b32_e32 v7, vcc_lo, v7
	v_cmp_gt_i64_e32 vcc, 0, v[4:5]
	v_not_b32_e32 v5, v5
	v_ashrrev_i32_e32 v5, 31, v5
	v_and_b32_e32 v7, exec_lo, v7
	v_xor_b32_e32 v52, vcc_hi, v5
	v_xor_b32_e32 v5, vcc_lo, v5
	v_and_b32_e32 v7, v7, v5
	v_lshlrev_b32_e32 v5, 29, v6
	v_cmp_gt_i64_e32 vcc, 0, v[4:5]
	v_not_b32_e32 v5, v5
	v_ashrrev_i32_e32 v5, 31, v5
	v_and_b32_e32 v48, v48, v52
	v_xor_b32_e32 v52, vcc_hi, v5
	v_xor_b32_e32 v5, vcc_lo, v5
	v_and_b32_e32 v7, v7, v5
	v_lshlrev_b32_e32 v5, 28, v6
	v_cmp_gt_i64_e32 vcc, 0, v[4:5]
	v_not_b32_e32 v5, v5
	v_ashrrev_i32_e32 v5, 31, v5
	v_and_b32_e32 v48, v48, v52
	;; [unrolled: 8-line block ×5, first 2 shown]
	v_xor_b32_e32 v52, vcc_hi, v5
	v_xor_b32_e32 v5, vcc_lo, v5
	v_and_b32_e32 v48, v48, v52
	v_and_b32_e32 v52, v7, v5
	v_lshlrev_b32_e32 v5, 24, v6
	v_cmp_gt_i64_e32 vcc, 0, v[4:5]
	v_not_b32_e32 v5, v5
	v_ashrrev_i32_e32 v5, 31, v5
	v_xor_b32_e32 v6, vcc_hi, v5
	v_xor_b32_e32 v5, vcc_lo, v5
	; wave barrier
	ds_read_b32 v51, v55 offset:64
	v_and_b32_e32 v7, v48, v6
	v_and_b32_e32 v6, v52, v5
	v_mbcnt_lo_u32_b32 v5, v6, 0
	v_mbcnt_hi_u32_b32 v52, v7, v5
	v_cmp_eq_u32_e32 vcc, 0, v52
	v_cmp_ne_u64_e64 s[2:3], 0, v[6:7]
	s_and_b64 s[8:9], s[2:3], vcc
	; wave barrier
	s_and_saveexec_b64 s[2:3], s[8:9]
	s_cbranch_execz .LBB2016_51
; %bb.50:
	v_bcnt_u32_b32 v5, v6, 0
	v_bcnt_u32_b32 v5, v7, v5
	s_waitcnt lgkmcnt(0)
	v_add_u32_e32 v5, v51, v5
	ds_write_b32 v55, v5 offset:64
.LBB2016_51:
	s_or_b64 exec, exec, s[2:3]
	v_xor_b32_e32 v48, 0x7fffffff, v10
	v_lshrrev_b32_e32 v5, s20, v48
	v_and_b32_e32 v6, s31, v5
	v_lshl_add_u32 v5, v6, 4, v6
	v_add_lshl_u32 v10, v29, v5, 2
	v_and_b32_e32 v5, 1, v6
	v_add_co_u32_e32 v7, vcc, -1, v5
	v_addc_co_u32_e64 v54, s[2:3], 0, -1, vcc
	v_cmp_ne_u32_e32 vcc, 0, v5
	v_xor_b32_e32 v5, vcc_hi, v54
	v_and_b32_e32 v54, exec_hi, v5
	v_lshlrev_b32_e32 v5, 30, v6
	v_xor_b32_e32 v7, vcc_lo, v7
	v_cmp_gt_i64_e32 vcc, 0, v[4:5]
	v_not_b32_e32 v5, v5
	v_ashrrev_i32_e32 v5, 31, v5
	v_and_b32_e32 v7, exec_lo, v7
	v_xor_b32_e32 v57, vcc_hi, v5
	v_xor_b32_e32 v5, vcc_lo, v5
	v_and_b32_e32 v7, v7, v5
	v_lshlrev_b32_e32 v5, 29, v6
	v_cmp_gt_i64_e32 vcc, 0, v[4:5]
	v_not_b32_e32 v5, v5
	v_ashrrev_i32_e32 v5, 31, v5
	v_and_b32_e32 v54, v54, v57
	v_xor_b32_e32 v57, vcc_hi, v5
	v_xor_b32_e32 v5, vcc_lo, v5
	v_and_b32_e32 v7, v7, v5
	v_lshlrev_b32_e32 v5, 28, v6
	v_cmp_gt_i64_e32 vcc, 0, v[4:5]
	v_not_b32_e32 v5, v5
	v_ashrrev_i32_e32 v5, 31, v5
	v_and_b32_e32 v54, v54, v57
	;; [unrolled: 8-line block ×5, first 2 shown]
	v_xor_b32_e32 v57, vcc_hi, v5
	v_xor_b32_e32 v5, vcc_lo, v5
	v_and_b32_e32 v7, v7, v5
	v_lshlrev_b32_e32 v5, 24, v6
	v_cmp_gt_i64_e32 vcc, 0, v[4:5]
	v_not_b32_e32 v4, v5
	v_ashrrev_i32_e32 v4, 31, v4
	v_xor_b32_e32 v5, vcc_hi, v4
	v_xor_b32_e32 v4, vcc_lo, v4
	; wave barrier
	ds_read_b32 v29, v10 offset:64
	v_and_b32_e32 v54, v54, v57
	v_and_b32_e32 v4, v7, v4
	;; [unrolled: 1-line block ×3, first 2 shown]
	v_mbcnt_lo_u32_b32 v6, v4, 0
	v_mbcnt_hi_u32_b32 v54, v5, v6
	v_cmp_eq_u32_e32 vcc, 0, v54
	v_cmp_ne_u64_e64 s[2:3], 0, v[4:5]
	v_add_u32_e32 v56, 64, v3
	s_and_b64 s[8:9], s[2:3], vcc
	; wave barrier
	s_and_saveexec_b64 s[2:3], s[8:9]
	s_cbranch_execz .LBB2016_53
; %bb.52:
	v_bcnt_u32_b32 v4, v4, 0
	v_bcnt_u32_b32 v4, v5, v4
	s_waitcnt lgkmcnt(0)
	v_add_u32_e32 v4, v29, v4
	ds_write_b32 v10, v4 offset:64
.LBB2016_53:
	s_or_b64 exec, exec, s[2:3]
	; wave barrier
	s_waitcnt lgkmcnt(0)
	s_barrier
	ds_read2_b32 v[6:7], v3 offset0:16 offset1:17
	ds_read2_b32 v[4:5], v56 offset0:2 offset1:3
	ds_read_b32 v57, v56 offset:16
	v_cmp_lt_u32_e64 s[12:13], 31, v1
	s_waitcnt lgkmcnt(1)
	v_add3_u32 v58, v7, v6, v4
	s_waitcnt lgkmcnt(0)
	v_add3_u32 v57, v58, v5, v57
	v_and_b32_e32 v58, 15, v1
	v_cmp_eq_u32_e32 vcc, 0, v58
	v_mov_b32_dpp v59, v57 row_shr:1 row_mask:0xf bank_mask:0xf
	v_cndmask_b32_e64 v59, v59, 0, vcc
	v_add_u32_e32 v57, v59, v57
	v_cmp_lt_u32_e64 s[2:3], 1, v58
	v_cmp_lt_u32_e64 s[10:11], 3, v58
	v_mov_b32_dpp v59, v57 row_shr:2 row_mask:0xf bank_mask:0xf
	v_cndmask_b32_e64 v59, 0, v59, s[2:3]
	v_add_u32_e32 v57, v57, v59
	v_cmp_lt_u32_e64 s[8:9], 7, v58
	s_nop 0
	v_mov_b32_dpp v59, v57 row_shr:4 row_mask:0xf bank_mask:0xf
	v_cndmask_b32_e64 v59, 0, v59, s[10:11]
	v_add_u32_e32 v57, v57, v59
	s_nop 1
	v_mov_b32_dpp v59, v57 row_shr:8 row_mask:0xf bank_mask:0xf
	v_cndmask_b32_e64 v58, 0, v59, s[8:9]
	v_add_u32_e32 v57, v57, v58
	v_bfe_i32 v59, v1, 4, 1
	s_nop 0
	v_mov_b32_dpp v58, v57 row_bcast:15 row_mask:0xf bank_mask:0xf
	v_and_b32_e32 v58, v59, v58
	v_add_u32_e32 v57, v57, v58
	v_and_b32_e32 v59, 63, v2
	s_nop 0
	v_mov_b32_dpp v58, v57 row_bcast:31 row_mask:0xf bank_mask:0xf
	v_cndmask_b32_e64 v58, 0, v58, s[12:13]
	v_add_u32_e32 v57, v57, v58
	v_lshrrev_b32_e32 v58, 6, v2
	v_cmp_eq_u32_e64 s[12:13], 63, v59
	s_and_saveexec_b64 s[22:23], s[12:13]
	s_cbranch_execz .LBB2016_55
; %bb.54:
	v_lshlrev_b32_e32 v59, 2, v58
	ds_write_b32 v59, v57
.LBB2016_55:
	s_or_b64 exec, exec, s[22:23]
	v_cmp_gt_u32_e64 s[12:13], 16, v2
	s_waitcnt lgkmcnt(0)
	s_barrier
	s_and_saveexec_b64 s[22:23], s[12:13]
	s_cbranch_execz .LBB2016_57
; %bb.56:
	v_lshlrev_b32_e32 v59, 2, v2
	ds_read_b32 v60, v59
	s_waitcnt lgkmcnt(0)
	s_nop 0
	v_mov_b32_dpp v61, v60 row_shr:1 row_mask:0xf bank_mask:0xf
	v_cndmask_b32_e64 v61, v61, 0, vcc
	v_add_u32_e32 v60, v61, v60
	s_nop 1
	v_mov_b32_dpp v61, v60 row_shr:2 row_mask:0xf bank_mask:0xf
	v_cndmask_b32_e64 v61, 0, v61, s[2:3]
	v_add_u32_e32 v60, v60, v61
	s_nop 1
	v_mov_b32_dpp v61, v60 row_shr:4 row_mask:0xf bank_mask:0xf
	v_cndmask_b32_e64 v61, 0, v61, s[10:11]
	;; [unrolled: 4-line block ×3, first 2 shown]
	v_add_u32_e32 v60, v60, v61
	ds_write_b32 v59, v60
.LBB2016_57:
	s_or_b64 exec, exec, s[22:23]
	v_cmp_lt_u32_e32 vcc, 63, v2
	v_mov_b32_e32 v59, 0
	s_waitcnt lgkmcnt(0)
	s_barrier
	s_and_saveexec_b64 s[2:3], vcc
	s_cbranch_execz .LBB2016_59
; %bb.58:
	v_lshl_add_u32 v58, v58, 2, -4
	ds_read_b32 v59, v58
.LBB2016_59:
	s_or_b64 exec, exec, s[2:3]
	v_add_u32_e32 v58, -1, v1
	v_and_b32_e32 v60, 64, v1
	v_cmp_lt_i32_e32 vcc, v58, v60
	v_cndmask_b32_e32 v58, v58, v1, vcc
	s_waitcnt lgkmcnt(0)
	v_add_u32_e32 v57, v59, v57
	v_lshlrev_b32_e32 v58, 2, v58
	ds_bpermute_b32 v57, v58, v57
	v_cmp_eq_u32_e32 vcc, 0, v1
	s_movk_i32 s8, 0xff
	s_movk_i32 s2, 0x100
	v_cmp_gt_u32_e64 s[2:3], s2, v2
	s_waitcnt lgkmcnt(0)
	v_cndmask_b32_e32 v1, v57, v59, vcc
	v_cndmask_b32_e64 v1, v1, 0, s[0:1]
	v_add_u32_e32 v6, v1, v6
	v_add_u32_e32 v7, v6, v7
	;; [unrolled: 1-line block ×4, first 2 shown]
	ds_write2_b32 v3, v1, v6 offset0:16 offset1:17
	ds_write2_b32 v56, v7, v4 offset0:2 offset1:3
	ds_write_b32 v56, v5 offset:16
	s_waitcnt lgkmcnt(0)
	s_barrier
	ds_read_b32 v58, v8 offset:64
	ds_read_b32 v1, v9 offset:64
	;; [unrolled: 1-line block ×12, first 2 shown]
	v_cmp_lt_u32_e32 vcc, s8, v2
	v_pk_mov_b32 v[4:5], 0, 0
                                        ; implicit-def: $vgpr40
	s_and_saveexec_b64 s[10:11], s[2:3]
	s_cbranch_execz .LBB2016_63
; %bb.60:
	v_mul_u32_u24_e32 v3, 17, v2
	v_lshlrev_b32_e32 v5, 2, v3
	ds_read_b32 v4, v5 offset:64
	v_cmp_ne_u32_e64 s[8:9], s8, v2
	v_mov_b32_e32 v3, 0x3000
	s_and_saveexec_b64 s[12:13], s[8:9]
	s_cbranch_execz .LBB2016_62
; %bb.61:
	ds_read_b32 v3, v5 offset:132
.LBB2016_62:
	s_or_b64 exec, exec, s[12:13]
	s_waitcnt lgkmcnt(0)
	v_sub_u32_e32 v40, v3, v4
	v_mov_b32_e32 v5, 0
.LBB2016_63:
	s_or_b64 exec, exec, s[10:11]
	s_waitcnt lgkmcnt(0)
	s_barrier
	s_and_saveexec_b64 s[8:9], vcc
	s_xor_b64 s[8:9], exec, s[8:9]
; %bb.64:
	v_mov_b32_e32 v3, 0
; %bb.65:
	s_andn2_saveexec_b64 s[8:9], s[8:9]
	s_cbranch_execz .LBB2016_75
; %bb.66:
	v_lshl_or_b32 v6, s30, 8, v2
	v_mov_b32_e32 v7, 0
	v_lshlrev_b64 v[8:9], 2, v[6:7]
	v_mov_b32_e32 v3, s15
	v_add_co_u32_e32 v8, vcc, s14, v8
	v_addc_co_u32_e32 v9, vcc, v3, v9, vcc
	v_or_b32_e32 v6, 2.0, v40
	s_mov_b64 s[10:11], 0
	s_brev_b32 s33, 1
	s_mov_b32 s34, s30
	v_mov_b32_e32 v60, 0
	global_store_dword v[8:9], v6, off
                                        ; implicit-def: $sgpr12_sgpr13
	s_branch .LBB2016_68
.LBB2016_67:                            ;   in Loop: Header=BB2016_68 Depth=1
	s_or_b64 exec, exec, s[12:13]
	v_and_b32_e32 v10, 0x3fffffff, v61
	v_add_u32_e32 v60, v10, v60
	v_cmp_eq_u32_e64 s[12:13], s33, v6
	s_and_b64 s[22:23], exec, s[12:13]
	s_or_b64 s[10:11], s[22:23], s[10:11]
	s_andn2_b64 exec, exec, s[10:11]
	s_cbranch_execz .LBB2016_74
.LBB2016_68:                            ; =>This Loop Header: Depth=1
                                        ;     Child Loop BB2016_71 Depth 2
	s_or_b64 s[12:13], s[12:13], exec
	s_cmp_eq_u32 s34, 0
	s_cbranch_scc1 .LBB2016_73
; %bb.69:                               ;   in Loop: Header=BB2016_68 Depth=1
	s_add_i32 s34, s34, -1
	v_lshl_or_b32 v6, s34, 8, v2
	v_lshlrev_b64 v[10:11], 2, v[6:7]
	v_add_co_u32_e32 v10, vcc, s14, v10
	v_addc_co_u32_e32 v11, vcc, v3, v11, vcc
	global_load_dword v61, v[10:11], off glc
	s_waitcnt vmcnt(0)
	v_and_b32_e32 v6, -2.0, v61
	v_cmp_eq_u32_e32 vcc, 0, v6
	s_and_saveexec_b64 s[12:13], vcc
	s_cbranch_execz .LBB2016_67
; %bb.70:                               ;   in Loop: Header=BB2016_68 Depth=1
	s_mov_b64 s[22:23], 0
.LBB2016_71:                            ;   Parent Loop BB2016_68 Depth=1
                                        ; =>  This Inner Loop Header: Depth=2
	global_load_dword v61, v[10:11], off glc
	s_waitcnt vmcnt(0)
	v_and_b32_e32 v6, -2.0, v61
	v_cmp_ne_u32_e32 vcc, 0, v6
	s_or_b64 s[22:23], vcc, s[22:23]
	s_andn2_b64 exec, exec, s[22:23]
	s_cbranch_execnz .LBB2016_71
; %bb.72:                               ;   in Loop: Header=BB2016_68 Depth=1
	s_or_b64 exec, exec, s[22:23]
	s_branch .LBB2016_67
.LBB2016_73:                            ;   in Loop: Header=BB2016_68 Depth=1
                                        ; implicit-def: $sgpr34
	s_and_b64 s[22:23], exec, s[12:13]
	s_or_b64 s[10:11], s[22:23], s[10:11]
	s_andn2_b64 exec, exec, s[10:11]
	s_cbranch_execnz .LBB2016_68
.LBB2016_74:
	s_or_b64 exec, exec, s[10:11]
	v_add_u32_e32 v3, v60, v40
	v_or_b32_e32 v3, 0x80000000, v3
	global_store_dword v[8:9], v3, off
	v_lshlrev_b32_e32 v8, 3, v2
	global_load_dwordx2 v[6:7], v8, s[16:17]
	v_sub_co_u32_e32 v9, vcc, v60, v4
	v_subb_co_u32_e32 v10, vcc, 0, v5, vcc
	v_mov_b32_e32 v3, 0
	s_waitcnt vmcnt(0)
	v_add_co_u32_e32 v6, vcc, v9, v6
	v_addc_co_u32_e32 v7, vcc, v10, v7, vcc
	ds_write_b64 v8, v[6:7]
.LBB2016_75:
	s_or_b64 exec, exec, s[8:9]
	v_add3_u32 v33, v36, v57, v33
	v_add3_u32 v27, v31, v37, v27
	v_lshlrev_b64 v[36:37], 2, v[2:3]
	v_lshlrev_b32_e32 v8, 2, v2
	v_add3_u32 v17, v19, v1, v17
	v_mov_b32_e32 v1, s27
	v_add_co_u32_e32 v6, vcc, s26, v36
	v_add_u32_e32 v7, v58, v16
	v_add_u32_e32 v9, 0x800, v8
	v_add3_u32 v10, v54, v59, v29
	v_add3_u32 v11, v52, v55, v51
	;; [unrolled: 1-line block ×8, first 2 shown]
	v_addc_co_u32_e32 v1, vcc, v1, v37, vcc
	s_mov_b32 s10, 0
	v_mov_b32_e32 v19, v2
	s_branch .LBB2016_77
.LBB2016_76:                            ;   in Loop: Header=BB2016_77 Depth=1
	s_or_b64 exec, exec, s[8:9]
	s_addk_i32 s10, 0xf000
	v_add_co_u32_e32 v6, vcc, 0x4000, v6
	v_addc_co_u32_e32 v1, vcc, 0, v1, vcc
	s_cmpk_eq_i32 s10, 0xd000
	v_add_u32_e32 v19, 0x1000, v19
	s_barrier
	s_cbranch_scc1 .LBB2016_86
.LBB2016_77:                            ; =>This Inner Loop Header: Depth=1
	v_add_u32_e32 v22, s10, v7
	v_min_u32_e32 v22, 0x1000, v22
	v_lshlrev_b32_e32 v22, 2, v22
	ds_write_b32 v22, v13 offset:2048
	v_add_u32_e32 v22, s10, v17
	v_min_u32_e32 v22, 0x1000, v22
	v_lshlrev_b32_e32 v22, 2, v22
	ds_write_b32 v22, v14 offset:2048
	;; [unrolled: 4-line block ×11, first 2 shown]
	v_add_u32_e32 v22, s10, v10
	v_min_u32_e32 v22, 0x1000, v22
	v_lshlrev_b32_e32 v22, 2, v22
	v_cmp_gt_u32_e32 vcc, s7, v19
	ds_write_b32 v22, v48 offset:2048
	s_waitcnt lgkmcnt(0)
	s_barrier
	s_and_saveexec_b64 s[8:9], vcc
	s_cbranch_execz .LBB2016_79
; %bb.78:                               ;   in Loop: Header=BB2016_77 Depth=1
	ds_read_b32 v22, v8 offset:2048
	s_waitcnt lgkmcnt(0)
	v_lshrrev_b32_e32 v25, s20, v22
	v_and_b32_e32 v25, s31, v25
	v_lshlrev_b32_e32 v25, 3, v25
	ds_read_b64 v[36:37], v25
	v_xor_b32_e32 v22, 0x7fffffff, v22
	s_waitcnt lgkmcnt(0)
	v_lshlrev_b64 v[36:37], 2, v[36:37]
	v_add_co_u32_e32 v36, vcc, v6, v36
	v_addc_co_u32_e32 v37, vcc, v1, v37, vcc
	global_store_dword v[36:37], v22, off
.LBB2016_79:                            ;   in Loop: Header=BB2016_77 Depth=1
	s_or_b64 exec, exec, s[8:9]
	v_add_u32_e32 v22, 0x400, v19
	v_cmp_gt_u32_e32 vcc, s7, v22
	s_and_saveexec_b64 s[8:9], vcc
	s_cbranch_execz .LBB2016_81
; %bb.80:                               ;   in Loop: Header=BB2016_77 Depth=1
	ds_read_b32 v22, v9 offset:4096
	s_waitcnt lgkmcnt(0)
	v_lshrrev_b32_e32 v25, s20, v22
	v_and_b32_e32 v25, s31, v25
	v_lshlrev_b32_e32 v25, 3, v25
	ds_read_b64 v[36:37], v25
	v_xor_b32_e32 v22, 0x7fffffff, v22
	s_waitcnt lgkmcnt(0)
	v_lshlrev_b64 v[36:37], 2, v[36:37]
	v_add_co_u32_e32 v25, vcc, v6, v36
	v_addc_co_u32_e32 v31, vcc, v1, v37, vcc
	v_add_co_u32_e32 v36, vcc, 0x1000, v25
	v_addc_co_u32_e32 v37, vcc, 0, v31, vcc
	global_store_dword v[36:37], v22, off
.LBB2016_81:                            ;   in Loop: Header=BB2016_77 Depth=1
	s_or_b64 exec, exec, s[8:9]
	v_add_u32_e32 v22, 0x800, v19
	v_cmp_gt_u32_e32 vcc, s7, v22
	s_and_saveexec_b64 s[8:9], vcc
	s_cbranch_execz .LBB2016_83
; %bb.82:                               ;   in Loop: Header=BB2016_77 Depth=1
	ds_read_b32 v22, v9 offset:8192
	s_waitcnt lgkmcnt(0)
	v_lshrrev_b32_e32 v25, s20, v22
	v_and_b32_e32 v25, s31, v25
	v_lshlrev_b32_e32 v25, 3, v25
	ds_read_b64 v[36:37], v25
	v_xor_b32_e32 v22, 0x7fffffff, v22
	s_waitcnt lgkmcnt(0)
	v_lshlrev_b64 v[36:37], 2, v[36:37]
	v_add_co_u32_e32 v25, vcc, v6, v36
	v_addc_co_u32_e32 v31, vcc, v1, v37, vcc
	v_add_co_u32_e32 v36, vcc, 0x2000, v25
	v_addc_co_u32_e32 v37, vcc, 0, v31, vcc
	global_store_dword v[36:37], v22, off
.LBB2016_83:                            ;   in Loop: Header=BB2016_77 Depth=1
	s_or_b64 exec, exec, s[8:9]
	v_add_u32_e32 v22, 0xc00, v19
	v_cmp_gt_u32_e32 vcc, s7, v22
	s_and_saveexec_b64 s[8:9], vcc
	s_cbranch_execz .LBB2016_76
; %bb.84:                               ;   in Loop: Header=BB2016_77 Depth=1
	ds_read_b32 v22, v9 offset:12288
	s_waitcnt lgkmcnt(0)
	v_lshrrev_b32_e32 v25, s20, v22
	v_and_b32_e32 v25, s31, v25
	v_lshlrev_b32_e32 v25, 3, v25
	ds_read_b64 v[36:37], v25
	v_xor_b32_e32 v22, 0x7fffffff, v22
	s_waitcnt lgkmcnt(0)
	v_lshlrev_b64 v[36:37], 2, v[36:37]
	v_add_co_u32_e32 v25, vcc, v6, v36
	v_addc_co_u32_e32 v31, vcc, v1, v37, vcc
	v_add_co_u32_e32 v36, vcc, 0x3000, v25
	v_addc_co_u32_e32 v37, vcc, 0, v31, vcc
	global_store_dword v[36:37], v22, off
	s_branch .LBB2016_76
.LBB2016_85:
	s_mov_b64 s[2:3], 0
                                        ; implicit-def: $vgpr4_vgpr5
                                        ; implicit-def: $vgpr40
	s_cbranch_execnz .LBB2016_87
	s_branch .LBB2016_136
.LBB2016_86:
	s_add_i32 s29, s29, -1
	s_cmp_eq_u32 s29, s30
	s_cselect_b64 s[8:9], -1, 0
	s_and_b64 s[2:3], s[2:3], s[8:9]
	s_branch .LBB2016_136
.LBB2016_87:
	s_mov_b32 s29, 0
	v_mbcnt_hi_u32_b32 v3, -1, v12
	s_lshl_b64 s[2:3], s[28:29], 2
	v_and_b32_e32 v1, 63, v3
	s_add_u32 s2, s24, s2
	v_lshlrev_b32_e32 v1, 2, v1
	v_add_co_u32_e32 v1, vcc, s2, v1
	s_load_dword s12, s[4:5], 0x58
	s_load_dword s2, s[4:5], 0x64
	s_addc_u32 s3, s25, s3
	v_and_b32_e32 v5, 0x3c0, v2
	v_mul_u32_u24_e32 v5, 12, v5
	v_mov_b32_e32 v6, s3
	v_addc_co_u32_e32 v6, vcc, 0, v6, vcc
	v_lshlrev_b32_e32 v5, 2, v5
	s_add_u32 s3, s4, 0x58
	v_add_co_u32_e32 v10, vcc, v1, v5
	s_addc_u32 s4, s5, 0
	s_waitcnt lgkmcnt(0)
	s_lshr_b32 s5, s2, 16
	v_addc_co_u32_e32 v11, vcc, 0, v6, vcc
	s_cmp_lt_u32 s6, s12
	global_load_dword v1, v[10:11], off
	s_cselect_b32 s2, 12, 18
	s_add_u32 s2, s3, s2
	v_mov_b32_e32 v4, 0
	s_addc_u32 s3, s4, 0
	global_load_ushort v5, v4, s[2:3]
	v_mul_u32_u24_e32 v6, 5, v2
	v_lshlrev_b32_e32 v6, 2, v6
	ds_write2_b32 v6, v4, v4 offset0:16 offset1:17
	ds_write2_b32 v6, v4, v4 offset0:18 offset1:19
	ds_write_b32 v6, v4 offset:80
	global_load_dword v8, v[10:11], off offset:256
	global_load_dword v12, v[10:11], off offset:512
	;; [unrolled: 1-line block ×11, first 2 shown]
	s_lshl_b32 s2, -1, s21
	v_bfe_u32 v7, v0, 10, 10
	v_bfe_u32 v0, v0, 20, 10
	s_not_b32 s13, s2
	v_mad_u32_u24 v0, v0, s5, v7
	s_waitcnt lgkmcnt(0)
	s_barrier
	s_waitcnt lgkmcnt(0)
	; wave barrier
	s_waitcnt vmcnt(12)
	v_xor_b32_e32 v10, 0x7fffffff, v1
	v_lshrrev_b32_e32 v1, s20, v10
	v_and_b32_e32 v11, s13, v1
	v_and_b32_e32 v7, 1, v11
	s_waitcnt vmcnt(11)
	v_mad_u64_u32 v[0:1], s[2:3], v0, v5, v[2:3]
	v_lshrrev_b32_e32 v24, 6, v0
	v_add_co_u32_e32 v0, vcc, -1, v7
	v_lshlrev_b32_e32 v5, 30, v11
	v_addc_co_u32_e64 v14, s[2:3], 0, -1, vcc
	v_lshl_add_u32 v1, v11, 4, v11
	v_cmp_ne_u32_e32 vcc, 0, v7
	v_cmp_gt_i64_e64 s[2:3], 0, v[4:5]
	v_not_b32_e32 v15, v5
	v_lshlrev_b32_e32 v5, 29, v11
	v_add_lshl_u32 v7, v24, v1, 2
	v_xor_b32_e32 v1, vcc_hi, v14
	v_xor_b32_e32 v0, vcc_lo, v0
	v_ashrrev_i32_e32 v14, 31, v15
	v_cmp_gt_i64_e32 vcc, 0, v[4:5]
	v_not_b32_e32 v15, v5
	v_lshlrev_b32_e32 v5, 28, v11
	v_and_b32_e32 v1, exec_hi, v1
	v_and_b32_e32 v0, exec_lo, v0
	v_xor_b32_e32 v16, s3, v14
	v_xor_b32_e32 v14, s2, v14
	v_ashrrev_i32_e32 v15, 31, v15
	v_cmp_gt_i64_e64 s[2:3], 0, v[4:5]
	v_not_b32_e32 v5, v5
	v_and_b32_e32 v1, v1, v16
	v_and_b32_e32 v0, v0, v14
	v_xor_b32_e32 v14, vcc_hi, v15
	v_xor_b32_e32 v15, vcc_lo, v15
	v_ashrrev_i32_e32 v5, 31, v5
	v_and_b32_e32 v1, v1, v14
	v_and_b32_e32 v0, v0, v15
	v_xor_b32_e32 v14, s3, v5
	v_xor_b32_e32 v5, s2, v5
	v_and_b32_e32 v0, v0, v5
	v_lshlrev_b32_e32 v5, 27, v11
	v_cmp_gt_i64_e32 vcc, 0, v[4:5]
	v_not_b32_e32 v5, v5
	v_ashrrev_i32_e32 v5, 31, v5
	v_and_b32_e32 v1, v1, v14
	v_xor_b32_e32 v14, vcc_hi, v5
	v_xor_b32_e32 v5, vcc_lo, v5
	v_and_b32_e32 v0, v0, v5
	v_lshlrev_b32_e32 v5, 26, v11
	v_cmp_gt_i64_e32 vcc, 0, v[4:5]
	v_not_b32_e32 v5, v5
	v_ashrrev_i32_e32 v5, 31, v5
	v_and_b32_e32 v1, v1, v14
	v_xor_b32_e32 v14, vcc_hi, v5
	v_xor_b32_e32 v5, vcc_lo, v5
	;; [unrolled: 8-line block ×3, first 2 shown]
	v_and_b32_e32 v0, v0, v5
	v_lshlrev_b32_e32 v5, 24, v11
	v_cmp_gt_i64_e32 vcc, 0, v[4:5]
	v_not_b32_e32 v5, v5
	v_ashrrev_i32_e32 v5, 31, v5
	v_xor_b32_e32 v11, vcc_hi, v5
	v_xor_b32_e32 v5, vcc_lo, v5
	v_and_b32_e32 v1, v1, v14
	v_and_b32_e32 v0, v0, v5
	;; [unrolled: 1-line block ×3, first 2 shown]
	v_mbcnt_lo_u32_b32 v5, v0, 0
	v_mbcnt_hi_u32_b32 v14, v1, v5
	v_cmp_eq_u32_e32 vcc, 0, v14
	v_cmp_ne_u64_e64 s[2:3], 0, v[0:1]
	s_and_b64 s[4:5], s[2:3], vcc
	s_and_saveexec_b64 s[2:3], s[4:5]
	s_cbranch_execz .LBB2016_89
; %bb.88:
	v_bcnt_u32_b32 v0, v0, 0
	v_bcnt_u32_b32 v0, v1, v0
	ds_write_b32 v7, v0 offset:64
.LBB2016_89:
	s_or_b64 exec, exec, s[2:3]
	s_waitcnt vmcnt(10)
	v_xor_b32_e32 v11, 0x7fffffff, v8
	v_lshrrev_b32_e32 v0, s20, v11
	v_and_b32_e32 v0, s13, v0
	v_lshl_add_u32 v1, v0, 4, v0
	v_add_lshl_u32 v8, v24, v1, 2
	v_and_b32_e32 v1, 1, v0
	v_add_co_u32_e32 v5, vcc, -1, v1
	v_addc_co_u32_e64 v16, s[2:3], 0, -1, vcc
	v_cmp_ne_u32_e32 vcc, 0, v1
	v_xor_b32_e32 v5, vcc_lo, v5
	v_xor_b32_e32 v1, vcc_hi, v16
	v_and_b32_e32 v16, exec_lo, v5
	v_lshlrev_b32_e32 v5, 30, v0
	v_cmp_gt_i64_e32 vcc, 0, v[4:5]
	v_not_b32_e32 v5, v5
	v_ashrrev_i32_e32 v5, 31, v5
	v_xor_b32_e32 v18, vcc_hi, v5
	v_xor_b32_e32 v5, vcc_lo, v5
	v_and_b32_e32 v16, v16, v5
	v_lshlrev_b32_e32 v5, 29, v0
	v_cmp_gt_i64_e32 vcc, 0, v[4:5]
	v_not_b32_e32 v5, v5
	v_and_b32_e32 v1, exec_hi, v1
	v_ashrrev_i32_e32 v5, 31, v5
	v_and_b32_e32 v1, v1, v18
	v_xor_b32_e32 v18, vcc_hi, v5
	v_xor_b32_e32 v5, vcc_lo, v5
	v_and_b32_e32 v16, v16, v5
	v_lshlrev_b32_e32 v5, 28, v0
	v_cmp_gt_i64_e32 vcc, 0, v[4:5]
	v_not_b32_e32 v5, v5
	v_ashrrev_i32_e32 v5, 31, v5
	v_and_b32_e32 v1, v1, v18
	v_xor_b32_e32 v18, vcc_hi, v5
	v_xor_b32_e32 v5, vcc_lo, v5
	v_and_b32_e32 v16, v16, v5
	v_lshlrev_b32_e32 v5, 27, v0
	v_cmp_gt_i64_e32 vcc, 0, v[4:5]
	v_not_b32_e32 v5, v5
	;; [unrolled: 8-line block ×4, first 2 shown]
	v_ashrrev_i32_e32 v5, 31, v5
	v_and_b32_e32 v1, v1, v18
	v_xor_b32_e32 v18, vcc_hi, v5
	v_xor_b32_e32 v5, vcc_lo, v5
	v_and_b32_e32 v16, v16, v5
	v_lshlrev_b32_e32 v5, 24, v0
	v_not_b32_e32 v0, v5
	v_cmp_gt_i64_e32 vcc, 0, v[4:5]
	v_ashrrev_i32_e32 v0, 31, v0
	v_xor_b32_e32 v4, vcc_hi, v0
	v_xor_b32_e32 v0, vcc_lo, v0
	; wave barrier
	ds_read_b32 v15, v8 offset:64
	v_and_b32_e32 v1, v1, v18
	v_and_b32_e32 v0, v16, v0
	;; [unrolled: 1-line block ×3, first 2 shown]
	v_mbcnt_lo_u32_b32 v4, v0, 0
	v_mbcnt_hi_u32_b32 v16, v1, v4
	v_cmp_eq_u32_e32 vcc, 0, v16
	v_cmp_ne_u64_e64 s[2:3], 0, v[0:1]
	s_and_b64 s[4:5], s[2:3], vcc
	; wave barrier
	s_and_saveexec_b64 s[2:3], s[4:5]
	s_cbranch_execz .LBB2016_91
; %bb.90:
	v_bcnt_u32_b32 v0, v0, 0
	v_bcnt_u32_b32 v0, v1, v0
	s_waitcnt lgkmcnt(0)
	v_add_u32_e32 v0, v15, v0
	ds_write_b32 v8, v0 offset:64
.LBB2016_91:
	s_or_b64 exec, exec, s[2:3]
	s_waitcnt vmcnt(9)
	v_xor_b32_e32 v12, 0x7fffffff, v12
	v_lshrrev_b32_e32 v0, s20, v12
	v_and_b32_e32 v4, s13, v0
	v_and_b32_e32 v1, 1, v4
	v_add_co_u32_e32 v5, vcc, -1, v1
	v_addc_co_u32_e64 v19, s[2:3], 0, -1, vcc
	v_cmp_ne_u32_e32 vcc, 0, v1
	v_lshl_add_u32 v0, v4, 4, v4
	v_xor_b32_e32 v1, vcc_hi, v19
	v_add_lshl_u32 v25, v24, v0, 2
	v_mov_b32_e32 v0, 0
	v_and_b32_e32 v19, exec_hi, v1
	v_lshlrev_b32_e32 v1, 30, v4
	v_xor_b32_e32 v5, vcc_lo, v5
	v_cmp_gt_i64_e32 vcc, 0, v[0:1]
	v_not_b32_e32 v1, v1
	v_ashrrev_i32_e32 v1, 31, v1
	v_and_b32_e32 v5, exec_lo, v5
	v_xor_b32_e32 v21, vcc_hi, v1
	v_xor_b32_e32 v1, vcc_lo, v1
	v_and_b32_e32 v5, v5, v1
	v_lshlrev_b32_e32 v1, 29, v4
	v_cmp_gt_i64_e32 vcc, 0, v[0:1]
	v_not_b32_e32 v1, v1
	v_ashrrev_i32_e32 v1, 31, v1
	v_and_b32_e32 v19, v19, v21
	v_xor_b32_e32 v21, vcc_hi, v1
	v_xor_b32_e32 v1, vcc_lo, v1
	v_and_b32_e32 v5, v5, v1
	v_lshlrev_b32_e32 v1, 28, v4
	v_cmp_gt_i64_e32 vcc, 0, v[0:1]
	v_not_b32_e32 v1, v1
	v_ashrrev_i32_e32 v1, 31, v1
	v_and_b32_e32 v19, v19, v21
	v_xor_b32_e32 v21, vcc_hi, v1
	v_xor_b32_e32 v1, vcc_lo, v1
	v_and_b32_e32 v5, v5, v1
	v_lshlrev_b32_e32 v1, 27, v4
	v_cmp_gt_i64_e32 vcc, 0, v[0:1]
	v_not_b32_e32 v1, v1
	v_ashrrev_i32_e32 v1, 31, v1
	v_and_b32_e32 v19, v19, v21
	v_xor_b32_e32 v21, vcc_hi, v1
	v_xor_b32_e32 v1, vcc_lo, v1
	v_and_b32_e32 v5, v5, v1
	v_lshlrev_b32_e32 v1, 26, v4
	v_cmp_gt_i64_e32 vcc, 0, v[0:1]
	v_not_b32_e32 v1, v1
	v_ashrrev_i32_e32 v1, 31, v1
	v_and_b32_e32 v19, v19, v21
	v_xor_b32_e32 v21, vcc_hi, v1
	v_xor_b32_e32 v1, vcc_lo, v1
	v_and_b32_e32 v5, v5, v1
	v_lshlrev_b32_e32 v1, 25, v4
	v_cmp_gt_i64_e32 vcc, 0, v[0:1]
	v_not_b32_e32 v1, v1
	v_ashrrev_i32_e32 v1, 31, v1
	v_and_b32_e32 v19, v19, v21
	v_xor_b32_e32 v21, vcc_hi, v1
	v_xor_b32_e32 v1, vcc_lo, v1
	v_and_b32_e32 v19, v19, v21
	v_and_b32_e32 v21, v5, v1
	v_lshlrev_b32_e32 v1, 24, v4
	v_cmp_gt_i64_e32 vcc, 0, v[0:1]
	v_not_b32_e32 v1, v1
	v_ashrrev_i32_e32 v1, 31, v1
	v_xor_b32_e32 v4, vcc_hi, v1
	v_xor_b32_e32 v1, vcc_lo, v1
	; wave barrier
	ds_read_b32 v18, v25 offset:64
	v_and_b32_e32 v5, v19, v4
	v_and_b32_e32 v4, v21, v1
	v_mbcnt_lo_u32_b32 v1, v4, 0
	v_mbcnt_hi_u32_b32 v19, v5, v1
	v_cmp_eq_u32_e32 vcc, 0, v19
	v_cmp_ne_u64_e64 s[2:3], 0, v[4:5]
	s_and_b64 s[4:5], s[2:3], vcc
	; wave barrier
	s_and_saveexec_b64 s[2:3], s[4:5]
	s_cbranch_execz .LBB2016_93
; %bb.92:
	v_bcnt_u32_b32 v1, v4, 0
	v_bcnt_u32_b32 v1, v5, v1
	s_waitcnt lgkmcnt(0)
	v_add_u32_e32 v1, v18, v1
	ds_write_b32 v25, v1 offset:64
.LBB2016_93:
	s_or_b64 exec, exec, s[2:3]
	s_waitcnt vmcnt(8)
	v_xor_b32_e32 v13, 0x7fffffff, v13
	v_lshrrev_b32_e32 v1, s20, v13
	v_and_b32_e32 v4, s13, v1
	v_lshl_add_u32 v1, v4, 4, v4
	v_add_lshl_u32 v30, v24, v1, 2
	v_and_b32_e32 v1, 1, v4
	v_add_co_u32_e32 v5, vcc, -1, v1
	v_addc_co_u32_e64 v22, s[2:3], 0, -1, vcc
	v_cmp_ne_u32_e32 vcc, 0, v1
	v_xor_b32_e32 v1, vcc_hi, v22
	v_and_b32_e32 v22, exec_hi, v1
	v_lshlrev_b32_e32 v1, 30, v4
	v_xor_b32_e32 v5, vcc_lo, v5
	v_cmp_gt_i64_e32 vcc, 0, v[0:1]
	v_not_b32_e32 v1, v1
	v_ashrrev_i32_e32 v1, 31, v1
	v_and_b32_e32 v5, exec_lo, v5
	v_xor_b32_e32 v26, vcc_hi, v1
	v_xor_b32_e32 v1, vcc_lo, v1
	v_and_b32_e32 v5, v5, v1
	v_lshlrev_b32_e32 v1, 29, v4
	v_cmp_gt_i64_e32 vcc, 0, v[0:1]
	v_not_b32_e32 v1, v1
	v_ashrrev_i32_e32 v1, 31, v1
	v_and_b32_e32 v22, v22, v26
	v_xor_b32_e32 v26, vcc_hi, v1
	v_xor_b32_e32 v1, vcc_lo, v1
	v_and_b32_e32 v5, v5, v1
	v_lshlrev_b32_e32 v1, 28, v4
	v_cmp_gt_i64_e32 vcc, 0, v[0:1]
	v_not_b32_e32 v1, v1
	v_ashrrev_i32_e32 v1, 31, v1
	v_and_b32_e32 v22, v22, v26
	;; [unrolled: 8-line block ×5, first 2 shown]
	v_xor_b32_e32 v26, vcc_hi, v1
	v_xor_b32_e32 v1, vcc_lo, v1
	v_and_b32_e32 v5, v5, v1
	v_lshlrev_b32_e32 v1, 24, v4
	v_cmp_gt_i64_e32 vcc, 0, v[0:1]
	v_not_b32_e32 v0, v1
	v_ashrrev_i32_e32 v0, 31, v0
	v_xor_b32_e32 v1, vcc_hi, v0
	v_xor_b32_e32 v0, vcc_lo, v0
	; wave barrier
	ds_read_b32 v21, v30 offset:64
	v_and_b32_e32 v22, v22, v26
	v_and_b32_e32 v0, v5, v0
	;; [unrolled: 1-line block ×3, first 2 shown]
	v_mbcnt_lo_u32_b32 v4, v0, 0
	v_mbcnt_hi_u32_b32 v22, v1, v4
	v_cmp_eq_u32_e32 vcc, 0, v22
	v_cmp_ne_u64_e64 s[2:3], 0, v[0:1]
	s_and_b64 s[4:5], s[2:3], vcc
	; wave barrier
	s_and_saveexec_b64 s[2:3], s[4:5]
	s_cbranch_execz .LBB2016_95
; %bb.94:
	v_bcnt_u32_b32 v0, v0, 0
	v_bcnt_u32_b32 v0, v1, v0
	s_waitcnt lgkmcnt(0)
	v_add_u32_e32 v0, v21, v0
	ds_write_b32 v30, v0 offset:64
.LBB2016_95:
	s_or_b64 exec, exec, s[2:3]
	s_waitcnt vmcnt(7)
	v_xor_b32_e32 v17, 0x7fffffff, v17
	v_lshrrev_b32_e32 v0, s20, v17
	v_and_b32_e32 v4, s13, v0
	v_and_b32_e32 v1, 1, v4
	v_add_co_u32_e32 v5, vcc, -1, v1
	v_addc_co_u32_e64 v28, s[2:3], 0, -1, vcc
	v_cmp_ne_u32_e32 vcc, 0, v1
	v_lshl_add_u32 v0, v4, 4, v4
	v_xor_b32_e32 v1, vcc_hi, v28
	v_add_lshl_u32 v35, v24, v0, 2
	v_mov_b32_e32 v0, 0
	v_and_b32_e32 v28, exec_hi, v1
	v_lshlrev_b32_e32 v1, 30, v4
	v_xor_b32_e32 v5, vcc_lo, v5
	v_cmp_gt_i64_e32 vcc, 0, v[0:1]
	v_not_b32_e32 v1, v1
	v_ashrrev_i32_e32 v1, 31, v1
	v_and_b32_e32 v5, exec_lo, v5
	v_xor_b32_e32 v31, vcc_hi, v1
	v_xor_b32_e32 v1, vcc_lo, v1
	v_and_b32_e32 v5, v5, v1
	v_lshlrev_b32_e32 v1, 29, v4
	v_cmp_gt_i64_e32 vcc, 0, v[0:1]
	v_not_b32_e32 v1, v1
	v_ashrrev_i32_e32 v1, 31, v1
	v_and_b32_e32 v28, v28, v31
	v_xor_b32_e32 v31, vcc_hi, v1
	v_xor_b32_e32 v1, vcc_lo, v1
	v_and_b32_e32 v5, v5, v1
	v_lshlrev_b32_e32 v1, 28, v4
	v_cmp_gt_i64_e32 vcc, 0, v[0:1]
	v_not_b32_e32 v1, v1
	v_ashrrev_i32_e32 v1, 31, v1
	v_and_b32_e32 v28, v28, v31
	;; [unrolled: 8-line block ×5, first 2 shown]
	v_xor_b32_e32 v31, vcc_hi, v1
	v_xor_b32_e32 v1, vcc_lo, v1
	v_and_b32_e32 v28, v28, v31
	v_and_b32_e32 v31, v5, v1
	v_lshlrev_b32_e32 v1, 24, v4
	v_cmp_gt_i64_e32 vcc, 0, v[0:1]
	v_not_b32_e32 v1, v1
	v_ashrrev_i32_e32 v1, 31, v1
	v_xor_b32_e32 v4, vcc_hi, v1
	v_xor_b32_e32 v1, vcc_lo, v1
	; wave barrier
	ds_read_b32 v26, v35 offset:64
	v_and_b32_e32 v5, v28, v4
	v_and_b32_e32 v4, v31, v1
	v_mbcnt_lo_u32_b32 v1, v4, 0
	v_mbcnt_hi_u32_b32 v28, v5, v1
	v_cmp_eq_u32_e32 vcc, 0, v28
	v_cmp_ne_u64_e64 s[2:3], 0, v[4:5]
	s_and_b64 s[4:5], s[2:3], vcc
	; wave barrier
	s_and_saveexec_b64 s[2:3], s[4:5]
	s_cbranch_execz .LBB2016_97
; %bb.96:
	v_bcnt_u32_b32 v1, v4, 0
	v_bcnt_u32_b32 v1, v5, v1
	s_waitcnt lgkmcnt(0)
	v_add_u32_e32 v1, v26, v1
	ds_write_b32 v35, v1 offset:64
.LBB2016_97:
	s_or_b64 exec, exec, s[2:3]
	s_waitcnt vmcnt(6)
	v_xor_b32_e32 v20, 0x7fffffff, v20
	v_lshrrev_b32_e32 v1, s20, v20
	v_and_b32_e32 v4, s13, v1
	v_lshl_add_u32 v1, v4, 4, v4
	v_add_lshl_u32 v38, v24, v1, 2
	v_and_b32_e32 v1, 1, v4
	v_add_co_u32_e32 v5, vcc, -1, v1
	v_addc_co_u32_e64 v33, s[2:3], 0, -1, vcc
	v_cmp_ne_u32_e32 vcc, 0, v1
	v_xor_b32_e32 v1, vcc_hi, v33
	v_and_b32_e32 v33, exec_hi, v1
	v_lshlrev_b32_e32 v1, 30, v4
	v_xor_b32_e32 v5, vcc_lo, v5
	v_cmp_gt_i64_e32 vcc, 0, v[0:1]
	v_not_b32_e32 v1, v1
	v_ashrrev_i32_e32 v1, 31, v1
	v_and_b32_e32 v5, exec_lo, v5
	v_xor_b32_e32 v36, vcc_hi, v1
	v_xor_b32_e32 v1, vcc_lo, v1
	v_and_b32_e32 v5, v5, v1
	v_lshlrev_b32_e32 v1, 29, v4
	v_cmp_gt_i64_e32 vcc, 0, v[0:1]
	v_not_b32_e32 v1, v1
	v_ashrrev_i32_e32 v1, 31, v1
	v_and_b32_e32 v33, v33, v36
	v_xor_b32_e32 v36, vcc_hi, v1
	v_xor_b32_e32 v1, vcc_lo, v1
	v_and_b32_e32 v5, v5, v1
	v_lshlrev_b32_e32 v1, 28, v4
	v_cmp_gt_i64_e32 vcc, 0, v[0:1]
	v_not_b32_e32 v1, v1
	v_ashrrev_i32_e32 v1, 31, v1
	v_and_b32_e32 v33, v33, v36
	;; [unrolled: 8-line block ×5, first 2 shown]
	v_xor_b32_e32 v36, vcc_hi, v1
	v_xor_b32_e32 v1, vcc_lo, v1
	v_and_b32_e32 v5, v5, v1
	v_lshlrev_b32_e32 v1, 24, v4
	v_cmp_gt_i64_e32 vcc, 0, v[0:1]
	v_not_b32_e32 v0, v1
	v_ashrrev_i32_e32 v0, 31, v0
	v_xor_b32_e32 v1, vcc_hi, v0
	v_xor_b32_e32 v0, vcc_lo, v0
	; wave barrier
	ds_read_b32 v31, v38 offset:64
	v_and_b32_e32 v33, v33, v36
	v_and_b32_e32 v0, v5, v0
	;; [unrolled: 1-line block ×3, first 2 shown]
	v_mbcnt_lo_u32_b32 v4, v0, 0
	v_mbcnt_hi_u32_b32 v33, v1, v4
	v_cmp_eq_u32_e32 vcc, 0, v33
	v_cmp_ne_u64_e64 s[2:3], 0, v[0:1]
	s_and_b64 s[4:5], s[2:3], vcc
	; wave barrier
	s_and_saveexec_b64 s[2:3], s[4:5]
	s_cbranch_execz .LBB2016_99
; %bb.98:
	v_bcnt_u32_b32 v0, v0, 0
	v_bcnt_u32_b32 v0, v1, v0
	s_waitcnt lgkmcnt(0)
	v_add_u32_e32 v0, v31, v0
	ds_write_b32 v38, v0 offset:64
.LBB2016_99:
	s_or_b64 exec, exec, s[2:3]
	s_waitcnt vmcnt(5)
	v_xor_b32_e32 v23, 0x7fffffff, v23
	v_lshrrev_b32_e32 v0, s20, v23
	v_and_b32_e32 v4, s13, v0
	v_and_b32_e32 v1, 1, v4
	v_add_co_u32_e32 v5, vcc, -1, v1
	v_addc_co_u32_e64 v37, s[2:3], 0, -1, vcc
	v_cmp_ne_u32_e32 vcc, 0, v1
	v_lshl_add_u32 v0, v4, 4, v4
	v_xor_b32_e32 v1, vcc_hi, v37
	v_add_lshl_u32 v40, v24, v0, 2
	v_mov_b32_e32 v0, 0
	v_and_b32_e32 v37, exec_hi, v1
	v_lshlrev_b32_e32 v1, 30, v4
	v_xor_b32_e32 v5, vcc_lo, v5
	v_cmp_gt_i64_e32 vcc, 0, v[0:1]
	v_not_b32_e32 v1, v1
	v_ashrrev_i32_e32 v1, 31, v1
	v_and_b32_e32 v5, exec_lo, v5
	v_xor_b32_e32 v39, vcc_hi, v1
	v_xor_b32_e32 v1, vcc_lo, v1
	v_and_b32_e32 v5, v5, v1
	v_lshlrev_b32_e32 v1, 29, v4
	v_cmp_gt_i64_e32 vcc, 0, v[0:1]
	v_not_b32_e32 v1, v1
	v_ashrrev_i32_e32 v1, 31, v1
	v_and_b32_e32 v37, v37, v39
	v_xor_b32_e32 v39, vcc_hi, v1
	v_xor_b32_e32 v1, vcc_lo, v1
	v_and_b32_e32 v5, v5, v1
	v_lshlrev_b32_e32 v1, 28, v4
	v_cmp_gt_i64_e32 vcc, 0, v[0:1]
	v_not_b32_e32 v1, v1
	v_ashrrev_i32_e32 v1, 31, v1
	v_and_b32_e32 v37, v37, v39
	;; [unrolled: 8-line block ×5, first 2 shown]
	v_xor_b32_e32 v39, vcc_hi, v1
	v_xor_b32_e32 v1, vcc_lo, v1
	v_and_b32_e32 v37, v37, v39
	v_and_b32_e32 v39, v5, v1
	v_lshlrev_b32_e32 v1, 24, v4
	v_cmp_gt_i64_e32 vcc, 0, v[0:1]
	v_not_b32_e32 v1, v1
	v_ashrrev_i32_e32 v1, 31, v1
	v_xor_b32_e32 v4, vcc_hi, v1
	v_xor_b32_e32 v1, vcc_lo, v1
	; wave barrier
	ds_read_b32 v36, v40 offset:64
	v_and_b32_e32 v5, v37, v4
	v_and_b32_e32 v4, v39, v1
	v_mbcnt_lo_u32_b32 v1, v4, 0
	v_mbcnt_hi_u32_b32 v37, v5, v1
	v_cmp_eq_u32_e32 vcc, 0, v37
	v_cmp_ne_u64_e64 s[2:3], 0, v[4:5]
	s_and_b64 s[4:5], s[2:3], vcc
	; wave barrier
	s_and_saveexec_b64 s[2:3], s[4:5]
	s_cbranch_execz .LBB2016_101
; %bb.100:
	v_bcnt_u32_b32 v1, v4, 0
	v_bcnt_u32_b32 v1, v5, v1
	s_waitcnt lgkmcnt(0)
	v_add_u32_e32 v1, v36, v1
	ds_write_b32 v40, v1 offset:64
.LBB2016_101:
	s_or_b64 exec, exec, s[2:3]
	s_waitcnt vmcnt(4)
	v_xor_b32_e32 v29, 0x7fffffff, v29
	v_lshrrev_b32_e32 v1, s20, v29
	v_and_b32_e32 v4, s13, v1
	v_lshl_add_u32 v1, v4, 4, v4
	v_add_lshl_u32 v45, v24, v1, 2
	v_and_b32_e32 v1, 1, v4
	v_add_co_u32_e32 v5, vcc, -1, v1
	v_addc_co_u32_e64 v41, s[2:3], 0, -1, vcc
	v_cmp_ne_u32_e32 vcc, 0, v1
	v_xor_b32_e32 v1, vcc_hi, v41
	v_and_b32_e32 v41, exec_hi, v1
	v_lshlrev_b32_e32 v1, 30, v4
	v_xor_b32_e32 v5, vcc_lo, v5
	v_cmp_gt_i64_e32 vcc, 0, v[0:1]
	v_not_b32_e32 v1, v1
	v_ashrrev_i32_e32 v1, 31, v1
	v_and_b32_e32 v5, exec_lo, v5
	v_xor_b32_e32 v42, vcc_hi, v1
	v_xor_b32_e32 v1, vcc_lo, v1
	v_and_b32_e32 v5, v5, v1
	v_lshlrev_b32_e32 v1, 29, v4
	v_cmp_gt_i64_e32 vcc, 0, v[0:1]
	v_not_b32_e32 v1, v1
	v_ashrrev_i32_e32 v1, 31, v1
	v_and_b32_e32 v41, v41, v42
	v_xor_b32_e32 v42, vcc_hi, v1
	v_xor_b32_e32 v1, vcc_lo, v1
	v_and_b32_e32 v5, v5, v1
	v_lshlrev_b32_e32 v1, 28, v4
	v_cmp_gt_i64_e32 vcc, 0, v[0:1]
	v_not_b32_e32 v1, v1
	v_ashrrev_i32_e32 v1, 31, v1
	v_and_b32_e32 v41, v41, v42
	;; [unrolled: 8-line block ×5, first 2 shown]
	v_xor_b32_e32 v42, vcc_hi, v1
	v_xor_b32_e32 v1, vcc_lo, v1
	v_and_b32_e32 v5, v5, v1
	v_lshlrev_b32_e32 v1, 24, v4
	v_cmp_gt_i64_e32 vcc, 0, v[0:1]
	v_not_b32_e32 v0, v1
	v_ashrrev_i32_e32 v0, 31, v0
	v_xor_b32_e32 v1, vcc_hi, v0
	v_xor_b32_e32 v0, vcc_lo, v0
	; wave barrier
	ds_read_b32 v39, v45 offset:64
	v_and_b32_e32 v41, v41, v42
	v_and_b32_e32 v0, v5, v0
	;; [unrolled: 1-line block ×3, first 2 shown]
	v_mbcnt_lo_u32_b32 v4, v0, 0
	v_mbcnt_hi_u32_b32 v41, v1, v4
	v_cmp_eq_u32_e32 vcc, 0, v41
	v_cmp_ne_u64_e64 s[2:3], 0, v[0:1]
	s_and_b64 s[4:5], s[2:3], vcc
	; wave barrier
	s_and_saveexec_b64 s[2:3], s[4:5]
	s_cbranch_execz .LBB2016_103
; %bb.102:
	v_bcnt_u32_b32 v0, v0, 0
	v_bcnt_u32_b32 v0, v1, v0
	s_waitcnt lgkmcnt(0)
	v_add_u32_e32 v0, v39, v0
	ds_write_b32 v45, v0 offset:64
.LBB2016_103:
	s_or_b64 exec, exec, s[2:3]
	s_waitcnt vmcnt(3)
	v_xor_b32_e32 v34, 0x7fffffff, v34
	v_lshrrev_b32_e32 v0, s20, v34
	v_and_b32_e32 v4, s13, v0
	v_and_b32_e32 v1, 1, v4
	v_add_co_u32_e32 v5, vcc, -1, v1
	v_addc_co_u32_e64 v43, s[2:3], 0, -1, vcc
	v_cmp_ne_u32_e32 vcc, 0, v1
	v_lshl_add_u32 v0, v4, 4, v4
	v_xor_b32_e32 v1, vcc_hi, v43
	v_add_lshl_u32 v48, v24, v0, 2
	v_mov_b32_e32 v0, 0
	v_and_b32_e32 v43, exec_hi, v1
	v_lshlrev_b32_e32 v1, 30, v4
	v_xor_b32_e32 v5, vcc_lo, v5
	v_cmp_gt_i64_e32 vcc, 0, v[0:1]
	v_not_b32_e32 v1, v1
	v_ashrrev_i32_e32 v1, 31, v1
	v_and_b32_e32 v5, exec_lo, v5
	v_xor_b32_e32 v44, vcc_hi, v1
	v_xor_b32_e32 v1, vcc_lo, v1
	v_and_b32_e32 v5, v5, v1
	v_lshlrev_b32_e32 v1, 29, v4
	v_cmp_gt_i64_e32 vcc, 0, v[0:1]
	v_not_b32_e32 v1, v1
	v_ashrrev_i32_e32 v1, 31, v1
	v_and_b32_e32 v43, v43, v44
	v_xor_b32_e32 v44, vcc_hi, v1
	v_xor_b32_e32 v1, vcc_lo, v1
	v_and_b32_e32 v5, v5, v1
	v_lshlrev_b32_e32 v1, 28, v4
	v_cmp_gt_i64_e32 vcc, 0, v[0:1]
	v_not_b32_e32 v1, v1
	v_ashrrev_i32_e32 v1, 31, v1
	v_and_b32_e32 v43, v43, v44
	;; [unrolled: 8-line block ×5, first 2 shown]
	v_xor_b32_e32 v44, vcc_hi, v1
	v_xor_b32_e32 v1, vcc_lo, v1
	v_and_b32_e32 v43, v43, v44
	v_and_b32_e32 v44, v5, v1
	v_lshlrev_b32_e32 v1, 24, v4
	v_cmp_gt_i64_e32 vcc, 0, v[0:1]
	v_not_b32_e32 v1, v1
	v_ashrrev_i32_e32 v1, 31, v1
	v_xor_b32_e32 v4, vcc_hi, v1
	v_xor_b32_e32 v1, vcc_lo, v1
	; wave barrier
	ds_read_b32 v42, v48 offset:64
	v_and_b32_e32 v5, v43, v4
	v_and_b32_e32 v4, v44, v1
	v_mbcnt_lo_u32_b32 v1, v4, 0
	v_mbcnt_hi_u32_b32 v43, v5, v1
	v_cmp_eq_u32_e32 vcc, 0, v43
	v_cmp_ne_u64_e64 s[2:3], 0, v[4:5]
	s_and_b64 s[4:5], s[2:3], vcc
	; wave barrier
	s_and_saveexec_b64 s[2:3], s[4:5]
	s_cbranch_execz .LBB2016_105
; %bb.104:
	v_bcnt_u32_b32 v1, v4, 0
	v_bcnt_u32_b32 v1, v5, v1
	s_waitcnt lgkmcnt(0)
	v_add_u32_e32 v1, v42, v1
	ds_write_b32 v48, v1 offset:64
.LBB2016_105:
	s_or_b64 exec, exec, s[2:3]
	s_waitcnt vmcnt(2)
	v_xor_b32_e32 v32, 0x7fffffff, v32
	v_lshrrev_b32_e32 v1, s20, v32
	v_and_b32_e32 v4, s13, v1
	v_lshl_add_u32 v1, v4, 4, v4
	v_add_lshl_u32 v51, v24, v1, 2
	v_and_b32_e32 v1, 1, v4
	v_add_co_u32_e32 v5, vcc, -1, v1
	v_addc_co_u32_e64 v44, s[2:3], 0, -1, vcc
	v_cmp_ne_u32_e32 vcc, 0, v1
	v_xor_b32_e32 v1, vcc_hi, v44
	v_and_b32_e32 v44, exec_hi, v1
	v_lshlrev_b32_e32 v1, 30, v4
	v_xor_b32_e32 v5, vcc_lo, v5
	v_cmp_gt_i64_e32 vcc, 0, v[0:1]
	v_not_b32_e32 v1, v1
	v_ashrrev_i32_e32 v1, 31, v1
	v_and_b32_e32 v5, exec_lo, v5
	v_xor_b32_e32 v47, vcc_hi, v1
	v_xor_b32_e32 v1, vcc_lo, v1
	v_and_b32_e32 v5, v5, v1
	v_lshlrev_b32_e32 v1, 29, v4
	v_cmp_gt_i64_e32 vcc, 0, v[0:1]
	v_not_b32_e32 v1, v1
	v_ashrrev_i32_e32 v1, 31, v1
	v_and_b32_e32 v44, v44, v47
	v_xor_b32_e32 v47, vcc_hi, v1
	v_xor_b32_e32 v1, vcc_lo, v1
	v_and_b32_e32 v5, v5, v1
	v_lshlrev_b32_e32 v1, 28, v4
	v_cmp_gt_i64_e32 vcc, 0, v[0:1]
	v_not_b32_e32 v1, v1
	v_ashrrev_i32_e32 v1, 31, v1
	v_and_b32_e32 v44, v44, v47
	;; [unrolled: 8-line block ×5, first 2 shown]
	v_xor_b32_e32 v47, vcc_hi, v1
	v_xor_b32_e32 v1, vcc_lo, v1
	v_and_b32_e32 v5, v5, v1
	v_lshlrev_b32_e32 v1, 24, v4
	v_cmp_gt_i64_e32 vcc, 0, v[0:1]
	v_not_b32_e32 v0, v1
	v_ashrrev_i32_e32 v0, 31, v0
	v_xor_b32_e32 v1, vcc_hi, v0
	v_xor_b32_e32 v0, vcc_lo, v0
	; wave barrier
	ds_read_b32 v46, v51 offset:64
	v_and_b32_e32 v44, v44, v47
	v_and_b32_e32 v0, v5, v0
	;; [unrolled: 1-line block ×3, first 2 shown]
	v_mbcnt_lo_u32_b32 v4, v0, 0
	v_mbcnt_hi_u32_b32 v47, v1, v4
	v_cmp_eq_u32_e32 vcc, 0, v47
	v_cmp_ne_u64_e64 s[2:3], 0, v[0:1]
	s_and_b64 s[4:5], s[2:3], vcc
	; wave barrier
	s_and_saveexec_b64 s[2:3], s[4:5]
	s_cbranch_execz .LBB2016_107
; %bb.106:
	v_bcnt_u32_b32 v0, v0, 0
	v_bcnt_u32_b32 v0, v1, v0
	s_waitcnt lgkmcnt(0)
	v_add_u32_e32 v0, v46, v0
	ds_write_b32 v51, v0 offset:64
.LBB2016_107:
	s_or_b64 exec, exec, s[2:3]
	s_waitcnt vmcnt(1)
	v_xor_b32_e32 v27, 0x7fffffff, v27
	v_lshrrev_b32_e32 v0, s20, v27
	v_and_b32_e32 v4, s13, v0
	v_and_b32_e32 v1, 1, v4
	v_add_co_u32_e32 v5, vcc, -1, v1
	v_addc_co_u32_e64 v44, s[2:3], 0, -1, vcc
	v_cmp_ne_u32_e32 vcc, 0, v1
	v_lshl_add_u32 v0, v4, 4, v4
	v_xor_b32_e32 v1, vcc_hi, v44
	v_add_lshl_u32 v54, v24, v0, 2
	v_mov_b32_e32 v0, 0
	v_and_b32_e32 v44, exec_hi, v1
	v_lshlrev_b32_e32 v1, 30, v4
	v_xor_b32_e32 v5, vcc_lo, v5
	v_cmp_gt_i64_e32 vcc, 0, v[0:1]
	v_not_b32_e32 v1, v1
	v_ashrrev_i32_e32 v1, 31, v1
	v_and_b32_e32 v5, exec_lo, v5
	v_xor_b32_e32 v50, vcc_hi, v1
	v_xor_b32_e32 v1, vcc_lo, v1
	v_and_b32_e32 v5, v5, v1
	v_lshlrev_b32_e32 v1, 29, v4
	v_cmp_gt_i64_e32 vcc, 0, v[0:1]
	v_not_b32_e32 v1, v1
	v_ashrrev_i32_e32 v1, 31, v1
	v_and_b32_e32 v44, v44, v50
	v_xor_b32_e32 v50, vcc_hi, v1
	v_xor_b32_e32 v1, vcc_lo, v1
	v_and_b32_e32 v5, v5, v1
	v_lshlrev_b32_e32 v1, 28, v4
	v_cmp_gt_i64_e32 vcc, 0, v[0:1]
	v_not_b32_e32 v1, v1
	v_ashrrev_i32_e32 v1, 31, v1
	v_and_b32_e32 v44, v44, v50
	;; [unrolled: 8-line block ×5, first 2 shown]
	v_xor_b32_e32 v50, vcc_hi, v1
	v_xor_b32_e32 v1, vcc_lo, v1
	v_and_b32_e32 v44, v44, v50
	v_and_b32_e32 v50, v5, v1
	v_lshlrev_b32_e32 v1, 24, v4
	v_cmp_gt_i64_e32 vcc, 0, v[0:1]
	v_not_b32_e32 v1, v1
	v_ashrrev_i32_e32 v1, 31, v1
	v_xor_b32_e32 v4, vcc_hi, v1
	v_xor_b32_e32 v1, vcc_lo, v1
	; wave barrier
	ds_read_b32 v49, v54 offset:64
	v_and_b32_e32 v5, v44, v4
	v_and_b32_e32 v4, v50, v1
	v_mbcnt_lo_u32_b32 v1, v4, 0
	v_mbcnt_hi_u32_b32 v50, v5, v1
	v_cmp_eq_u32_e32 vcc, 0, v50
	v_cmp_ne_u64_e64 s[2:3], 0, v[4:5]
	s_and_b64 s[4:5], s[2:3], vcc
	; wave barrier
	s_and_saveexec_b64 s[2:3], s[4:5]
	s_cbranch_execz .LBB2016_109
; %bb.108:
	v_bcnt_u32_b32 v1, v4, 0
	v_bcnt_u32_b32 v1, v5, v1
	s_waitcnt lgkmcnt(0)
	v_add_u32_e32 v1, v49, v1
	ds_write_b32 v54, v1 offset:64
.LBB2016_109:
	s_or_b64 exec, exec, s[2:3]
	s_waitcnt vmcnt(0)
	v_xor_b32_e32 v44, 0x7fffffff, v9
	v_lshrrev_b32_e32 v1, s20, v44
	v_and_b32_e32 v4, s13, v1
	v_lshl_add_u32 v1, v4, 4, v4
	v_add_lshl_u32 v9, v24, v1, 2
	v_and_b32_e32 v1, 1, v4
	v_add_co_u32_e32 v5, vcc, -1, v1
	v_addc_co_u32_e64 v24, s[2:3], 0, -1, vcc
	v_cmp_ne_u32_e32 vcc, 0, v1
	v_xor_b32_e32 v1, vcc_hi, v24
	v_and_b32_e32 v24, exec_hi, v1
	v_lshlrev_b32_e32 v1, 30, v4
	v_xor_b32_e32 v5, vcc_lo, v5
	v_cmp_gt_i64_e32 vcc, 0, v[0:1]
	v_not_b32_e32 v1, v1
	v_ashrrev_i32_e32 v1, 31, v1
	v_and_b32_e32 v5, exec_lo, v5
	v_xor_b32_e32 v53, vcc_hi, v1
	v_xor_b32_e32 v1, vcc_lo, v1
	v_and_b32_e32 v5, v5, v1
	v_lshlrev_b32_e32 v1, 29, v4
	v_cmp_gt_i64_e32 vcc, 0, v[0:1]
	v_not_b32_e32 v1, v1
	v_ashrrev_i32_e32 v1, 31, v1
	v_and_b32_e32 v24, v24, v53
	v_xor_b32_e32 v53, vcc_hi, v1
	v_xor_b32_e32 v1, vcc_lo, v1
	v_and_b32_e32 v5, v5, v1
	v_lshlrev_b32_e32 v1, 28, v4
	v_cmp_gt_i64_e32 vcc, 0, v[0:1]
	v_not_b32_e32 v1, v1
	v_ashrrev_i32_e32 v1, 31, v1
	v_and_b32_e32 v24, v24, v53
	v_xor_b32_e32 v53, vcc_hi, v1
	v_xor_b32_e32 v1, vcc_lo, v1
	v_and_b32_e32 v5, v5, v1
	v_lshlrev_b32_e32 v1, 27, v4
	v_cmp_gt_i64_e32 vcc, 0, v[0:1]
	v_not_b32_e32 v1, v1
	v_ashrrev_i32_e32 v1, 31, v1
	v_and_b32_e32 v24, v24, v53
	v_xor_b32_e32 v53, vcc_hi, v1
	v_xor_b32_e32 v1, vcc_lo, v1
	v_and_b32_e32 v5, v5, v1
	v_lshlrev_b32_e32 v1, 26, v4
	v_cmp_gt_i64_e32 vcc, 0, v[0:1]
	v_not_b32_e32 v1, v1
	v_ashrrev_i32_e32 v1, 31, v1
	v_and_b32_e32 v24, v24, v53
	v_xor_b32_e32 v53, vcc_hi, v1
	v_xor_b32_e32 v1, vcc_lo, v1
	v_and_b32_e32 v5, v5, v1
	v_lshlrev_b32_e32 v1, 25, v4
	v_cmp_gt_i64_e32 vcc, 0, v[0:1]
	v_not_b32_e32 v1, v1
	v_ashrrev_i32_e32 v1, 31, v1
	v_and_b32_e32 v24, v24, v53
	v_xor_b32_e32 v53, vcc_hi, v1
	v_xor_b32_e32 v1, vcc_lo, v1
	v_and_b32_e32 v5, v5, v1
	v_lshlrev_b32_e32 v1, 24, v4
	v_cmp_gt_i64_e32 vcc, 0, v[0:1]
	v_not_b32_e32 v0, v1
	v_ashrrev_i32_e32 v0, 31, v0
	v_xor_b32_e32 v1, vcc_hi, v0
	v_xor_b32_e32 v0, vcc_lo, v0
	; wave barrier
	ds_read_b32 v52, v9 offset:64
	v_and_b32_e32 v24, v24, v53
	v_and_b32_e32 v0, v5, v0
	;; [unrolled: 1-line block ×3, first 2 shown]
	v_mbcnt_lo_u32_b32 v4, v0, 0
	v_mbcnt_hi_u32_b32 v53, v1, v4
	v_cmp_eq_u32_e32 vcc, 0, v53
	v_cmp_ne_u64_e64 s[2:3], 0, v[0:1]
	v_add_u32_e32 v55, 64, v6
	s_and_b64 s[4:5], s[2:3], vcc
	; wave barrier
	s_and_saveexec_b64 s[2:3], s[4:5]
	s_cbranch_execz .LBB2016_111
; %bb.110:
	v_bcnt_u32_b32 v0, v0, 0
	v_bcnt_u32_b32 v0, v1, v0
	s_waitcnt lgkmcnt(0)
	v_add_u32_e32 v0, v52, v0
	ds_write_b32 v9, v0 offset:64
.LBB2016_111:
	s_or_b64 exec, exec, s[2:3]
	; wave barrier
	s_waitcnt lgkmcnt(0)
	s_barrier
	ds_read2_b32 v[4:5], v6 offset0:16 offset1:17
	ds_read2_b32 v[0:1], v55 offset0:2 offset1:3
	ds_read_b32 v24, v55 offset:16
	v_cmp_lt_u32_e64 s[8:9], 31, v3
	s_waitcnt lgkmcnt(1)
	v_add3_u32 v56, v5, v4, v0
	s_waitcnt lgkmcnt(0)
	v_add3_u32 v24, v56, v1, v24
	v_and_b32_e32 v56, 15, v3
	v_cmp_eq_u32_e32 vcc, 0, v56
	v_mov_b32_dpp v57, v24 row_shr:1 row_mask:0xf bank_mask:0xf
	v_cndmask_b32_e64 v57, v57, 0, vcc
	v_add_u32_e32 v24, v57, v24
	v_cmp_lt_u32_e64 s[2:3], 1, v56
	v_cmp_lt_u32_e64 s[4:5], 3, v56
	v_mov_b32_dpp v57, v24 row_shr:2 row_mask:0xf bank_mask:0xf
	v_cndmask_b32_e64 v57, 0, v57, s[2:3]
	v_add_u32_e32 v24, v24, v57
	v_cmp_lt_u32_e64 s[6:7], 7, v56
	s_nop 0
	v_mov_b32_dpp v57, v24 row_shr:4 row_mask:0xf bank_mask:0xf
	v_cndmask_b32_e64 v57, 0, v57, s[4:5]
	v_add_u32_e32 v24, v24, v57
	s_nop 1
	v_mov_b32_dpp v57, v24 row_shr:8 row_mask:0xf bank_mask:0xf
	v_cndmask_b32_e64 v56, 0, v57, s[6:7]
	v_add_u32_e32 v24, v24, v56
	v_bfe_i32 v57, v3, 4, 1
	s_nop 0
	v_mov_b32_dpp v56, v24 row_bcast:15 row_mask:0xf bank_mask:0xf
	v_and_b32_e32 v56, v57, v56
	v_add_u32_e32 v24, v24, v56
	v_lshrrev_b32_e32 v57, 6, v2
	s_nop 0
	v_mov_b32_dpp v56, v24 row_bcast:31 row_mask:0xf bank_mask:0xf
	v_cndmask_b32_e64 v56, 0, v56, s[8:9]
	v_add_u32_e32 v56, v24, v56
	v_and_b32_e32 v24, 63, v2
	v_cmp_eq_u32_e64 s[8:9], 63, v24
	s_and_saveexec_b64 s[10:11], s[8:9]
	s_cbranch_execz .LBB2016_113
; %bb.112:
	v_lshlrev_b32_e32 v24, 2, v57
	ds_write_b32 v24, v56
.LBB2016_113:
	s_or_b64 exec, exec, s[10:11]
	v_cmp_gt_u32_e64 s[8:9], 16, v2
	v_lshlrev_b32_e32 v24, 2, v2
	s_waitcnt lgkmcnt(0)
	s_barrier
	s_and_saveexec_b64 s[10:11], s[8:9]
	s_cbranch_execz .LBB2016_115
; %bb.114:
	ds_read_b32 v58, v24
	s_waitcnt lgkmcnt(0)
	s_nop 0
	v_mov_b32_dpp v59, v58 row_shr:1 row_mask:0xf bank_mask:0xf
	v_cndmask_b32_e64 v59, v59, 0, vcc
	v_add_u32_e32 v58, v59, v58
	s_nop 1
	v_mov_b32_dpp v59, v58 row_shr:2 row_mask:0xf bank_mask:0xf
	v_cndmask_b32_e64 v59, 0, v59, s[2:3]
	v_add_u32_e32 v58, v58, v59
	s_nop 1
	v_mov_b32_dpp v59, v58 row_shr:4 row_mask:0xf bank_mask:0xf
	v_cndmask_b32_e64 v59, 0, v59, s[4:5]
	;; [unrolled: 4-line block ×3, first 2 shown]
	v_add_u32_e32 v58, v58, v59
	ds_write_b32 v24, v58
.LBB2016_115:
	s_or_b64 exec, exec, s[10:11]
	v_cmp_lt_u32_e32 vcc, 63, v2
	v_mov_b32_e32 v58, 0
	s_waitcnt lgkmcnt(0)
	s_barrier
	s_and_saveexec_b64 s[2:3], vcc
	s_cbranch_execz .LBB2016_117
; %bb.116:
	v_lshl_add_u32 v57, v57, 2, -4
	ds_read_b32 v58, v57
.LBB2016_117:
	s_or_b64 exec, exec, s[2:3]
	v_add_u32_e32 v57, -1, v3
	v_and_b32_e32 v59, 64, v3
	v_cmp_lt_i32_e32 vcc, v57, v59
	v_cndmask_b32_e32 v57, v57, v3, vcc
	s_waitcnt lgkmcnt(0)
	v_add_u32_e32 v56, v58, v56
	v_lshlrev_b32_e32 v57, 2, v57
	ds_bpermute_b32 v56, v57, v56
	v_cmp_eq_u32_e32 vcc, 0, v3
	s_movk_i32 s2, 0xff
	s_waitcnt lgkmcnt(0)
	v_cndmask_b32_e32 v3, v56, v58, vcc
	v_cndmask_b32_e64 v3, v3, 0, s[0:1]
	v_add_u32_e32 v4, v3, v4
	v_add_u32_e32 v5, v4, v5
	;; [unrolled: 1-line block ×4, first 2 shown]
	ds_write2_b32 v6, v3, v4 offset0:16 offset1:17
	ds_write2_b32 v55, v5, v0 offset0:2 offset1:3
	ds_write_b32 v55, v1 offset:16
	s_waitcnt lgkmcnt(0)
	s_barrier
	ds_read_b32 v59, v7 offset:64
	ds_read_b32 v55, v8 offset:64
	;; [unrolled: 1-line block ×12, first 2 shown]
	s_movk_i32 s0, 0x100
	v_cmp_lt_u32_e32 vcc, s2, v2
	v_cmp_gt_u32_e64 s[0:1], s0, v2
	v_pk_mov_b32 v[4:5], 0, 0
                                        ; implicit-def: $vgpr40
	s_and_saveexec_b64 s[4:5], s[0:1]
	s_cbranch_execz .LBB2016_121
; %bb.118:
	v_mul_u32_u24_e32 v0, 17, v2
	v_lshlrev_b32_e32 v1, 2, v0
	ds_read_b32 v4, v1 offset:64
	v_cmp_ne_u32_e64 s[2:3], s2, v2
	v_mov_b32_e32 v0, 0x3000
	s_and_saveexec_b64 s[6:7], s[2:3]
	s_cbranch_execz .LBB2016_120
; %bb.119:
	ds_read_b32 v0, v1 offset:132
.LBB2016_120:
	s_or_b64 exec, exec, s[6:7]
	s_waitcnt lgkmcnt(0)
	v_sub_u32_e32 v40, v0, v4
	v_mov_b32_e32 v5, 0
.LBB2016_121:
	s_or_b64 exec, exec, s[4:5]
	s_waitcnt lgkmcnt(0)
	s_barrier
	s_and_saveexec_b64 s[2:3], vcc
	s_xor_b64 s[2:3], exec, s[2:3]
; %bb.122:
	v_mov_b32_e32 v3, 0
; %bb.123:
	s_andn2_saveexec_b64 s[2:3], s[2:3]
	s_cbranch_execz .LBB2016_133
; %bb.124:
	v_lshl_or_b32 v0, s30, 8, v2
	v_mov_b32_e32 v1, 0
	v_lshlrev_b64 v[6:7], 2, v[0:1]
	v_mov_b32_e32 v3, s15
	v_add_co_u32_e32 v6, vcc, s14, v6
	v_addc_co_u32_e32 v7, vcc, v3, v7, vcc
	v_or_b32_e32 v0, 2.0, v40
	s_mov_b64 s[4:5], 0
	s_brev_b32 s10, 1
	s_mov_b32 s11, s30
	v_mov_b32_e32 v54, 0
	global_store_dword v[6:7], v0, off
                                        ; implicit-def: $sgpr6_sgpr7
	s_branch .LBB2016_127
.LBB2016_125:                           ;   in Loop: Header=BB2016_127 Depth=1
	s_or_b64 exec, exec, s[8:9]
.LBB2016_126:                           ;   in Loop: Header=BB2016_127 Depth=1
	s_or_b64 exec, exec, s[6:7]
	v_and_b32_e32 v8, 0x3fffffff, v60
	v_add_u32_e32 v54, v8, v54
	v_cmp_eq_u32_e64 s[6:7], s10, v0
	s_and_b64 s[8:9], exec, s[6:7]
	s_or_b64 s[4:5], s[8:9], s[4:5]
	s_andn2_b64 exec, exec, s[4:5]
	s_cbranch_execz .LBB2016_132
.LBB2016_127:                           ; =>This Loop Header: Depth=1
                                        ;     Child Loop BB2016_130 Depth 2
	s_or_b64 s[6:7], s[6:7], exec
	s_cmp_eq_u32 s11, 0
	s_cbranch_scc1 .LBB2016_131
; %bb.128:                              ;   in Loop: Header=BB2016_127 Depth=1
	s_add_i32 s11, s11, -1
	v_lshl_or_b32 v0, s11, 8, v2
	v_lshlrev_b64 v[8:9], 2, v[0:1]
	v_add_co_u32_e32 v8, vcc, s14, v8
	v_addc_co_u32_e32 v9, vcc, v3, v9, vcc
	global_load_dword v60, v[8:9], off glc
	s_waitcnt vmcnt(0)
	v_and_b32_e32 v0, -2.0, v60
	v_cmp_eq_u32_e32 vcc, 0, v0
	s_and_saveexec_b64 s[6:7], vcc
	s_cbranch_execz .LBB2016_126
; %bb.129:                              ;   in Loop: Header=BB2016_127 Depth=1
	s_mov_b64 s[8:9], 0
.LBB2016_130:                           ;   Parent Loop BB2016_127 Depth=1
                                        ; =>  This Inner Loop Header: Depth=2
	global_load_dword v60, v[8:9], off glc
	s_waitcnt vmcnt(0)
	v_and_b32_e32 v0, -2.0, v60
	v_cmp_ne_u32_e32 vcc, 0, v0
	s_or_b64 s[8:9], vcc, s[8:9]
	s_andn2_b64 exec, exec, s[8:9]
	s_cbranch_execnz .LBB2016_130
	s_branch .LBB2016_125
.LBB2016_131:                           ;   in Loop: Header=BB2016_127 Depth=1
                                        ; implicit-def: $sgpr11
	s_and_b64 s[8:9], exec, s[6:7]
	s_or_b64 s[4:5], s[8:9], s[4:5]
	s_andn2_b64 exec, exec, s[4:5]
	s_cbranch_execnz .LBB2016_127
.LBB2016_132:
	s_or_b64 exec, exec, s[4:5]
	v_add_u32_e32 v0, v54, v40
	v_or_b32_e32 v0, 0x80000000, v0
	global_store_dword v[6:7], v0, off
	v_lshlrev_b32_e32 v6, 3, v2
	global_load_dwordx2 v[0:1], v6, s[16:17]
	v_sub_co_u32_e32 v7, vcc, v54, v4
	v_subb_co_u32_e32 v8, vcc, 0, v5, vcc
	v_mov_b32_e32 v3, 0
	s_waitcnt vmcnt(0)
	v_add_co_u32_e32 v0, vcc, v7, v0
	v_addc_co_u32_e32 v1, vcc, v8, v1, vcc
	ds_write_b64 v6, v[0:1]
.LBB2016_133:
	s_or_b64 exec, exec, s[2:3]
	v_lshlrev_b64 v[0:1], 2, v[2:3]
	v_add3_u32 v15, v16, v55, v15
	v_mov_b32_e32 v16, s27
	v_add_co_u32_e32 v0, vcc, s26, v0
	v_add_u32_e32 v6, v59, v14
	v_add_u32_e32 v7, 0x800, v24
	v_add3_u32 v8, v53, v51, v52
	v_add3_u32 v9, v50, v48, v49
	;; [unrolled: 1-line block ×10, first 2 shown]
	v_addc_co_u32_e32 v1, vcc, v16, v1, vcc
	s_mov_b32 s2, 0
	s_movk_i32 s3, 0x1000
	s_movk_i32 s4, 0x2000
.LBB2016_134:                           ; =>This Inner Loop Header: Depth=1
	v_add_u32_e32 v16, s2, v6
	v_add_u32_e32 v36, s2, v31
	;; [unrolled: 1-line block ×12, first 2 shown]
	v_min_u32_e32 v16, 0x1000, v16
	v_min_u32_e32 v36, 0x1000, v36
	;; [unrolled: 1-line block ×12, first 2 shown]
	v_lshlrev_b32_e32 v16, 2, v16
	v_lshlrev_b32_e32 v36, 2, v36
	;; [unrolled: 1-line block ×12, first 2 shown]
	ds_write_b32 v16, v10 offset:2048
	ds_write_b32 v19, v11 offset:2048
	;; [unrolled: 1-line block ×12, first 2 shown]
	s_waitcnt lgkmcnt(0)
	s_barrier
	ds_read_b32 v16, v24 offset:2048
	ds_read2st64_b32 v[36:37], v7 offset0:16 offset1:32
	s_addk_i32 s2, 0xf000
	s_cmpk_lg_i32 s2, 0xd000
	s_waitcnt lgkmcnt(1)
	v_lshrrev_b32_e32 v19, s20, v16
	s_waitcnt lgkmcnt(0)
	v_lshrrev_b32_e32 v22, s20, v36
	v_lshrrev_b32_e32 v33, s20, v37
	v_and_b32_e32 v19, s13, v19
	v_and_b32_e32 v22, s13, v22
	;; [unrolled: 1-line block ×3, first 2 shown]
	v_lshlrev_b32_e32 v19, 3, v19
	v_xor_b32_e32 v28, 0x7fffffff, v36
	v_xor_b32_e32 v41, 0x7fffffff, v37
	v_lshlrev_b32_e32 v22, 3, v22
	v_lshlrev_b32_e32 v33, 3, v33
	ds_read_b64 v[36:37], v19
	ds_read_b64 v[38:39], v22
	;; [unrolled: 1-line block ×3, first 2 shown]
	ds_read_b32 v19, v7 offset:12288
	v_xor_b32_e32 v16, 0x7fffffff, v16
	s_waitcnt lgkmcnt(3)
	v_lshlrev_b64 v[36:37], 2, v[36:37]
	v_add_co_u32_e32 v36, vcc, v0, v36
	s_waitcnt lgkmcnt(2)
	v_lshlrev_b64 v[38:39], 2, v[38:39]
	v_addc_co_u32_e32 v37, vcc, v1, v37, vcc
	v_add_co_u32_e32 v33, vcc, v0, v38
	s_waitcnt lgkmcnt(1)
	v_lshlrev_b64 v[42:43], 2, v[42:43]
	v_addc_co_u32_e32 v38, vcc, v1, v39, vcc
	v_add_co_u32_e32 v39, vcc, v0, v42
	s_waitcnt lgkmcnt(0)
	v_lshrrev_b32_e32 v22, s20, v19
	v_addc_co_u32_e32 v42, vcc, v1, v43, vcc
	v_and_b32_e32 v22, s13, v22
	global_store_dword v[36:37], v16, off
	v_add_co_u32_e32 v36, vcc, s3, v33
	v_addc_co_u32_e32 v37, vcc, 0, v38, vcc
	v_lshlrev_b32_e32 v16, 3, v22
	global_store_dword v[36:37], v28, off
	ds_read_b64 v[36:37], v16
	v_add_co_u32_e32 v38, vcc, s4, v39
	v_addc_co_u32_e32 v39, vcc, 0, v42, vcc
	s_waitcnt lgkmcnt(0)
	v_lshlrev_b64 v[36:37], 2, v[36:37]
	v_add_co_u32_e32 v16, vcc, v0, v36
	v_addc_co_u32_e32 v22, vcc, v1, v37, vcc
	v_add_co_u32_e32 v36, vcc, 0x3000, v16
	v_addc_co_u32_e32 v37, vcc, 0, v22, vcc
	v_add_co_u32_e32 v0, vcc, 0x4000, v0
	v_xor_b32_e32 v19, 0x7fffffff, v19
	v_addc_co_u32_e32 v1, vcc, 0, v1, vcc
	global_store_dword v[38:39], v41, off
	global_store_dword v[36:37], v19, off
	s_barrier
	s_cbranch_scc1 .LBB2016_134
; %bb.135:
	s_add_i32 s12, s12, -1
	s_cmp_eq_u32 s12, s30
	s_cselect_b64 s[2:3], -1, 0
	s_and_b64 s[2:3], s[0:1], s[2:3]
.LBB2016_136:
	s_and_saveexec_b64 s[0:1], s[2:3]
	s_cbranch_execnz .LBB2016_138
; %bb.137:
	s_endpgm
.LBB2016_138:
	v_lshlrev_b32_e32 v6, 3, v2
	v_lshlrev_b64 v[0:1], 3, v[2:3]
	ds_read_b64 v[2:3], v6
	v_add_co_u32_e32 v4, vcc, v4, v40
	v_addc_co_u32_e32 v5, vcc, 0, v5, vcc
	v_mov_b32_e32 v7, s19
	v_add_co_u32_e32 v0, vcc, s18, v0
	v_addc_co_u32_e32 v1, vcc, v7, v1, vcc
	s_waitcnt lgkmcnt(0)
	v_add_co_u32_e32 v2, vcc, v4, v2
	v_addc_co_u32_e32 v3, vcc, v5, v3, vcc
	global_store_dwordx2 v[0:1], v[2:3], off
	s_endpgm
	.section	.rodata,"a",@progbits
	.p2align	6, 0x0
	.amdhsa_kernel _ZN7rocprim17ROCPRIM_400000_NS6detail17trampoline_kernelINS0_14default_configENS1_35radix_sort_onesweep_config_selectorIiNS0_10empty_typeEEEZZNS1_29radix_sort_onesweep_iterationIS3_Lb1EPiS8_PS5_S9_mNS0_19identity_decomposerENS1_16block_id_wrapperIjLb1EEEEE10hipError_tT1_PNSt15iterator_traitsISE_E10value_typeET2_T3_PNSF_ISK_E10value_typeET4_T5_PSP_SQ_PNS1_23onesweep_lookback_stateEbbT6_jjT7_P12ihipStream_tbENKUlT_T0_SE_SJ_E_clIS8_S8_S9_S9_EEDaSX_SY_SE_SJ_EUlSX_E_NS1_11comp_targetILNS1_3genE4ELNS1_11target_archE910ELNS1_3gpuE8ELNS1_3repE0EEENS1_47radix_sort_onesweep_sort_config_static_selectorELNS0_4arch9wavefront6targetE1EEEvSE_
		.amdhsa_group_segment_fixed_size 20552
		.amdhsa_private_segment_fixed_size 0
		.amdhsa_kernarg_size 344
		.amdhsa_user_sgpr_count 6
		.amdhsa_user_sgpr_private_segment_buffer 1
		.amdhsa_user_sgpr_dispatch_ptr 0
		.amdhsa_user_sgpr_queue_ptr 0
		.amdhsa_user_sgpr_kernarg_segment_ptr 1
		.amdhsa_user_sgpr_dispatch_id 0
		.amdhsa_user_sgpr_flat_scratch_init 0
		.amdhsa_user_sgpr_kernarg_preload_length 0
		.amdhsa_user_sgpr_kernarg_preload_offset 0
		.amdhsa_user_sgpr_private_segment_size 0
		.amdhsa_uses_dynamic_stack 0
		.amdhsa_system_sgpr_private_segment_wavefront_offset 0
		.amdhsa_system_sgpr_workgroup_id_x 1
		.amdhsa_system_sgpr_workgroup_id_y 0
		.amdhsa_system_sgpr_workgroup_id_z 0
		.amdhsa_system_sgpr_workgroup_info 0
		.amdhsa_system_vgpr_workitem_id 2
		.amdhsa_next_free_vgpr 62
		.amdhsa_next_free_sgpr 35
		.amdhsa_accum_offset 64
		.amdhsa_reserve_vcc 1
		.amdhsa_reserve_flat_scratch 0
		.amdhsa_float_round_mode_32 0
		.amdhsa_float_round_mode_16_64 0
		.amdhsa_float_denorm_mode_32 3
		.amdhsa_float_denorm_mode_16_64 3
		.amdhsa_dx10_clamp 1
		.amdhsa_ieee_mode 1
		.amdhsa_fp16_overflow 0
		.amdhsa_tg_split 0
		.amdhsa_exception_fp_ieee_invalid_op 0
		.amdhsa_exception_fp_denorm_src 0
		.amdhsa_exception_fp_ieee_div_zero 0
		.amdhsa_exception_fp_ieee_overflow 0
		.amdhsa_exception_fp_ieee_underflow 0
		.amdhsa_exception_fp_ieee_inexact 0
		.amdhsa_exception_int_div_zero 0
	.end_amdhsa_kernel
	.section	.text._ZN7rocprim17ROCPRIM_400000_NS6detail17trampoline_kernelINS0_14default_configENS1_35radix_sort_onesweep_config_selectorIiNS0_10empty_typeEEEZZNS1_29radix_sort_onesweep_iterationIS3_Lb1EPiS8_PS5_S9_mNS0_19identity_decomposerENS1_16block_id_wrapperIjLb1EEEEE10hipError_tT1_PNSt15iterator_traitsISE_E10value_typeET2_T3_PNSF_ISK_E10value_typeET4_T5_PSP_SQ_PNS1_23onesweep_lookback_stateEbbT6_jjT7_P12ihipStream_tbENKUlT_T0_SE_SJ_E_clIS8_S8_S9_S9_EEDaSX_SY_SE_SJ_EUlSX_E_NS1_11comp_targetILNS1_3genE4ELNS1_11target_archE910ELNS1_3gpuE8ELNS1_3repE0EEENS1_47radix_sort_onesweep_sort_config_static_selectorELNS0_4arch9wavefront6targetE1EEEvSE_,"axG",@progbits,_ZN7rocprim17ROCPRIM_400000_NS6detail17trampoline_kernelINS0_14default_configENS1_35radix_sort_onesweep_config_selectorIiNS0_10empty_typeEEEZZNS1_29radix_sort_onesweep_iterationIS3_Lb1EPiS8_PS5_S9_mNS0_19identity_decomposerENS1_16block_id_wrapperIjLb1EEEEE10hipError_tT1_PNSt15iterator_traitsISE_E10value_typeET2_T3_PNSF_ISK_E10value_typeET4_T5_PSP_SQ_PNS1_23onesweep_lookback_stateEbbT6_jjT7_P12ihipStream_tbENKUlT_T0_SE_SJ_E_clIS8_S8_S9_S9_EEDaSX_SY_SE_SJ_EUlSX_E_NS1_11comp_targetILNS1_3genE4ELNS1_11target_archE910ELNS1_3gpuE8ELNS1_3repE0EEENS1_47radix_sort_onesweep_sort_config_static_selectorELNS0_4arch9wavefront6targetE1EEEvSE_,comdat
.Lfunc_end2016:
	.size	_ZN7rocprim17ROCPRIM_400000_NS6detail17trampoline_kernelINS0_14default_configENS1_35radix_sort_onesweep_config_selectorIiNS0_10empty_typeEEEZZNS1_29radix_sort_onesweep_iterationIS3_Lb1EPiS8_PS5_S9_mNS0_19identity_decomposerENS1_16block_id_wrapperIjLb1EEEEE10hipError_tT1_PNSt15iterator_traitsISE_E10value_typeET2_T3_PNSF_ISK_E10value_typeET4_T5_PSP_SQ_PNS1_23onesweep_lookback_stateEbbT6_jjT7_P12ihipStream_tbENKUlT_T0_SE_SJ_E_clIS8_S8_S9_S9_EEDaSX_SY_SE_SJ_EUlSX_E_NS1_11comp_targetILNS1_3genE4ELNS1_11target_archE910ELNS1_3gpuE8ELNS1_3repE0EEENS1_47radix_sort_onesweep_sort_config_static_selectorELNS0_4arch9wavefront6targetE1EEEvSE_, .Lfunc_end2016-_ZN7rocprim17ROCPRIM_400000_NS6detail17trampoline_kernelINS0_14default_configENS1_35radix_sort_onesweep_config_selectorIiNS0_10empty_typeEEEZZNS1_29radix_sort_onesweep_iterationIS3_Lb1EPiS8_PS5_S9_mNS0_19identity_decomposerENS1_16block_id_wrapperIjLb1EEEEE10hipError_tT1_PNSt15iterator_traitsISE_E10value_typeET2_T3_PNSF_ISK_E10value_typeET4_T5_PSP_SQ_PNS1_23onesweep_lookback_stateEbbT6_jjT7_P12ihipStream_tbENKUlT_T0_SE_SJ_E_clIS8_S8_S9_S9_EEDaSX_SY_SE_SJ_EUlSX_E_NS1_11comp_targetILNS1_3genE4ELNS1_11target_archE910ELNS1_3gpuE8ELNS1_3repE0EEENS1_47radix_sort_onesweep_sort_config_static_selectorELNS0_4arch9wavefront6targetE1EEEvSE_
                                        ; -- End function
	.section	.AMDGPU.csdata,"",@progbits
; Kernel info:
; codeLenInByte = 14256
; NumSgprs: 39
; NumVgprs: 62
; NumAgprs: 0
; TotalNumVgprs: 62
; ScratchSize: 0
; MemoryBound: 0
; FloatMode: 240
; IeeeMode: 1
; LDSByteSize: 20552 bytes/workgroup (compile time only)
; SGPRBlocks: 4
; VGPRBlocks: 7
; NumSGPRsForWavesPerEU: 39
; NumVGPRsForWavesPerEU: 62
; AccumOffset: 64
; Occupancy: 8
; WaveLimiterHint : 1
; COMPUTE_PGM_RSRC2:SCRATCH_EN: 0
; COMPUTE_PGM_RSRC2:USER_SGPR: 6
; COMPUTE_PGM_RSRC2:TRAP_HANDLER: 0
; COMPUTE_PGM_RSRC2:TGID_X_EN: 1
; COMPUTE_PGM_RSRC2:TGID_Y_EN: 0
; COMPUTE_PGM_RSRC2:TGID_Z_EN: 0
; COMPUTE_PGM_RSRC2:TIDIG_COMP_CNT: 2
; COMPUTE_PGM_RSRC3_GFX90A:ACCUM_OFFSET: 15
; COMPUTE_PGM_RSRC3_GFX90A:TG_SPLIT: 0
	.section	.text._ZN7rocprim17ROCPRIM_400000_NS6detail17trampoline_kernelINS0_14default_configENS1_35radix_sort_onesweep_config_selectorIiNS0_10empty_typeEEEZZNS1_29radix_sort_onesweep_iterationIS3_Lb1EPiS8_PS5_S9_mNS0_19identity_decomposerENS1_16block_id_wrapperIjLb1EEEEE10hipError_tT1_PNSt15iterator_traitsISE_E10value_typeET2_T3_PNSF_ISK_E10value_typeET4_T5_PSP_SQ_PNS1_23onesweep_lookback_stateEbbT6_jjT7_P12ihipStream_tbENKUlT_T0_SE_SJ_E_clIS8_S8_S9_S9_EEDaSX_SY_SE_SJ_EUlSX_E_NS1_11comp_targetILNS1_3genE3ELNS1_11target_archE908ELNS1_3gpuE7ELNS1_3repE0EEENS1_47radix_sort_onesweep_sort_config_static_selectorELNS0_4arch9wavefront6targetE1EEEvSE_,"axG",@progbits,_ZN7rocprim17ROCPRIM_400000_NS6detail17trampoline_kernelINS0_14default_configENS1_35radix_sort_onesweep_config_selectorIiNS0_10empty_typeEEEZZNS1_29radix_sort_onesweep_iterationIS3_Lb1EPiS8_PS5_S9_mNS0_19identity_decomposerENS1_16block_id_wrapperIjLb1EEEEE10hipError_tT1_PNSt15iterator_traitsISE_E10value_typeET2_T3_PNSF_ISK_E10value_typeET4_T5_PSP_SQ_PNS1_23onesweep_lookback_stateEbbT6_jjT7_P12ihipStream_tbENKUlT_T0_SE_SJ_E_clIS8_S8_S9_S9_EEDaSX_SY_SE_SJ_EUlSX_E_NS1_11comp_targetILNS1_3genE3ELNS1_11target_archE908ELNS1_3gpuE7ELNS1_3repE0EEENS1_47radix_sort_onesweep_sort_config_static_selectorELNS0_4arch9wavefront6targetE1EEEvSE_,comdat
	.protected	_ZN7rocprim17ROCPRIM_400000_NS6detail17trampoline_kernelINS0_14default_configENS1_35radix_sort_onesweep_config_selectorIiNS0_10empty_typeEEEZZNS1_29radix_sort_onesweep_iterationIS3_Lb1EPiS8_PS5_S9_mNS0_19identity_decomposerENS1_16block_id_wrapperIjLb1EEEEE10hipError_tT1_PNSt15iterator_traitsISE_E10value_typeET2_T3_PNSF_ISK_E10value_typeET4_T5_PSP_SQ_PNS1_23onesweep_lookback_stateEbbT6_jjT7_P12ihipStream_tbENKUlT_T0_SE_SJ_E_clIS8_S8_S9_S9_EEDaSX_SY_SE_SJ_EUlSX_E_NS1_11comp_targetILNS1_3genE3ELNS1_11target_archE908ELNS1_3gpuE7ELNS1_3repE0EEENS1_47radix_sort_onesweep_sort_config_static_selectorELNS0_4arch9wavefront6targetE1EEEvSE_ ; -- Begin function _ZN7rocprim17ROCPRIM_400000_NS6detail17trampoline_kernelINS0_14default_configENS1_35radix_sort_onesweep_config_selectorIiNS0_10empty_typeEEEZZNS1_29radix_sort_onesweep_iterationIS3_Lb1EPiS8_PS5_S9_mNS0_19identity_decomposerENS1_16block_id_wrapperIjLb1EEEEE10hipError_tT1_PNSt15iterator_traitsISE_E10value_typeET2_T3_PNSF_ISK_E10value_typeET4_T5_PSP_SQ_PNS1_23onesweep_lookback_stateEbbT6_jjT7_P12ihipStream_tbENKUlT_T0_SE_SJ_E_clIS8_S8_S9_S9_EEDaSX_SY_SE_SJ_EUlSX_E_NS1_11comp_targetILNS1_3genE3ELNS1_11target_archE908ELNS1_3gpuE7ELNS1_3repE0EEENS1_47radix_sort_onesweep_sort_config_static_selectorELNS0_4arch9wavefront6targetE1EEEvSE_
	.globl	_ZN7rocprim17ROCPRIM_400000_NS6detail17trampoline_kernelINS0_14default_configENS1_35radix_sort_onesweep_config_selectorIiNS0_10empty_typeEEEZZNS1_29radix_sort_onesweep_iterationIS3_Lb1EPiS8_PS5_S9_mNS0_19identity_decomposerENS1_16block_id_wrapperIjLb1EEEEE10hipError_tT1_PNSt15iterator_traitsISE_E10value_typeET2_T3_PNSF_ISK_E10value_typeET4_T5_PSP_SQ_PNS1_23onesweep_lookback_stateEbbT6_jjT7_P12ihipStream_tbENKUlT_T0_SE_SJ_E_clIS8_S8_S9_S9_EEDaSX_SY_SE_SJ_EUlSX_E_NS1_11comp_targetILNS1_3genE3ELNS1_11target_archE908ELNS1_3gpuE7ELNS1_3repE0EEENS1_47radix_sort_onesweep_sort_config_static_selectorELNS0_4arch9wavefront6targetE1EEEvSE_
	.p2align	8
	.type	_ZN7rocprim17ROCPRIM_400000_NS6detail17trampoline_kernelINS0_14default_configENS1_35radix_sort_onesweep_config_selectorIiNS0_10empty_typeEEEZZNS1_29radix_sort_onesweep_iterationIS3_Lb1EPiS8_PS5_S9_mNS0_19identity_decomposerENS1_16block_id_wrapperIjLb1EEEEE10hipError_tT1_PNSt15iterator_traitsISE_E10value_typeET2_T3_PNSF_ISK_E10value_typeET4_T5_PSP_SQ_PNS1_23onesweep_lookback_stateEbbT6_jjT7_P12ihipStream_tbENKUlT_T0_SE_SJ_E_clIS8_S8_S9_S9_EEDaSX_SY_SE_SJ_EUlSX_E_NS1_11comp_targetILNS1_3genE3ELNS1_11target_archE908ELNS1_3gpuE7ELNS1_3repE0EEENS1_47radix_sort_onesweep_sort_config_static_selectorELNS0_4arch9wavefront6targetE1EEEvSE_,@function
_ZN7rocprim17ROCPRIM_400000_NS6detail17trampoline_kernelINS0_14default_configENS1_35radix_sort_onesweep_config_selectorIiNS0_10empty_typeEEEZZNS1_29radix_sort_onesweep_iterationIS3_Lb1EPiS8_PS5_S9_mNS0_19identity_decomposerENS1_16block_id_wrapperIjLb1EEEEE10hipError_tT1_PNSt15iterator_traitsISE_E10value_typeET2_T3_PNSF_ISK_E10value_typeET4_T5_PSP_SQ_PNS1_23onesweep_lookback_stateEbbT6_jjT7_P12ihipStream_tbENKUlT_T0_SE_SJ_E_clIS8_S8_S9_S9_EEDaSX_SY_SE_SJ_EUlSX_E_NS1_11comp_targetILNS1_3genE3ELNS1_11target_archE908ELNS1_3gpuE7ELNS1_3repE0EEENS1_47radix_sort_onesweep_sort_config_static_selectorELNS0_4arch9wavefront6targetE1EEEvSE_: ; @_ZN7rocprim17ROCPRIM_400000_NS6detail17trampoline_kernelINS0_14default_configENS1_35radix_sort_onesweep_config_selectorIiNS0_10empty_typeEEEZZNS1_29radix_sort_onesweep_iterationIS3_Lb1EPiS8_PS5_S9_mNS0_19identity_decomposerENS1_16block_id_wrapperIjLb1EEEEE10hipError_tT1_PNSt15iterator_traitsISE_E10value_typeET2_T3_PNSF_ISK_E10value_typeET4_T5_PSP_SQ_PNS1_23onesweep_lookback_stateEbbT6_jjT7_P12ihipStream_tbENKUlT_T0_SE_SJ_E_clIS8_S8_S9_S9_EEDaSX_SY_SE_SJ_EUlSX_E_NS1_11comp_targetILNS1_3genE3ELNS1_11target_archE908ELNS1_3gpuE7ELNS1_3repE0EEENS1_47radix_sort_onesweep_sort_config_static_selectorELNS0_4arch9wavefront6targetE1EEEvSE_
; %bb.0:
	.section	.rodata,"a",@progbits
	.p2align	6, 0x0
	.amdhsa_kernel _ZN7rocprim17ROCPRIM_400000_NS6detail17trampoline_kernelINS0_14default_configENS1_35radix_sort_onesweep_config_selectorIiNS0_10empty_typeEEEZZNS1_29radix_sort_onesweep_iterationIS3_Lb1EPiS8_PS5_S9_mNS0_19identity_decomposerENS1_16block_id_wrapperIjLb1EEEEE10hipError_tT1_PNSt15iterator_traitsISE_E10value_typeET2_T3_PNSF_ISK_E10value_typeET4_T5_PSP_SQ_PNS1_23onesweep_lookback_stateEbbT6_jjT7_P12ihipStream_tbENKUlT_T0_SE_SJ_E_clIS8_S8_S9_S9_EEDaSX_SY_SE_SJ_EUlSX_E_NS1_11comp_targetILNS1_3genE3ELNS1_11target_archE908ELNS1_3gpuE7ELNS1_3repE0EEENS1_47radix_sort_onesweep_sort_config_static_selectorELNS0_4arch9wavefront6targetE1EEEvSE_
		.amdhsa_group_segment_fixed_size 0
		.amdhsa_private_segment_fixed_size 0
		.amdhsa_kernarg_size 88
		.amdhsa_user_sgpr_count 6
		.amdhsa_user_sgpr_private_segment_buffer 1
		.amdhsa_user_sgpr_dispatch_ptr 0
		.amdhsa_user_sgpr_queue_ptr 0
		.amdhsa_user_sgpr_kernarg_segment_ptr 1
		.amdhsa_user_sgpr_dispatch_id 0
		.amdhsa_user_sgpr_flat_scratch_init 0
		.amdhsa_user_sgpr_kernarg_preload_length 0
		.amdhsa_user_sgpr_kernarg_preload_offset 0
		.amdhsa_user_sgpr_private_segment_size 0
		.amdhsa_uses_dynamic_stack 0
		.amdhsa_system_sgpr_private_segment_wavefront_offset 0
		.amdhsa_system_sgpr_workgroup_id_x 1
		.amdhsa_system_sgpr_workgroup_id_y 0
		.amdhsa_system_sgpr_workgroup_id_z 0
		.amdhsa_system_sgpr_workgroup_info 0
		.amdhsa_system_vgpr_workitem_id 0
		.amdhsa_next_free_vgpr 1
		.amdhsa_next_free_sgpr 0
		.amdhsa_accum_offset 4
		.amdhsa_reserve_vcc 0
		.amdhsa_reserve_flat_scratch 0
		.amdhsa_float_round_mode_32 0
		.amdhsa_float_round_mode_16_64 0
		.amdhsa_float_denorm_mode_32 3
		.amdhsa_float_denorm_mode_16_64 3
		.amdhsa_dx10_clamp 1
		.amdhsa_ieee_mode 1
		.amdhsa_fp16_overflow 0
		.amdhsa_tg_split 0
		.amdhsa_exception_fp_ieee_invalid_op 0
		.amdhsa_exception_fp_denorm_src 0
		.amdhsa_exception_fp_ieee_div_zero 0
		.amdhsa_exception_fp_ieee_overflow 0
		.amdhsa_exception_fp_ieee_underflow 0
		.amdhsa_exception_fp_ieee_inexact 0
		.amdhsa_exception_int_div_zero 0
	.end_amdhsa_kernel
	.section	.text._ZN7rocprim17ROCPRIM_400000_NS6detail17trampoline_kernelINS0_14default_configENS1_35radix_sort_onesweep_config_selectorIiNS0_10empty_typeEEEZZNS1_29radix_sort_onesweep_iterationIS3_Lb1EPiS8_PS5_S9_mNS0_19identity_decomposerENS1_16block_id_wrapperIjLb1EEEEE10hipError_tT1_PNSt15iterator_traitsISE_E10value_typeET2_T3_PNSF_ISK_E10value_typeET4_T5_PSP_SQ_PNS1_23onesweep_lookback_stateEbbT6_jjT7_P12ihipStream_tbENKUlT_T0_SE_SJ_E_clIS8_S8_S9_S9_EEDaSX_SY_SE_SJ_EUlSX_E_NS1_11comp_targetILNS1_3genE3ELNS1_11target_archE908ELNS1_3gpuE7ELNS1_3repE0EEENS1_47radix_sort_onesweep_sort_config_static_selectorELNS0_4arch9wavefront6targetE1EEEvSE_,"axG",@progbits,_ZN7rocprim17ROCPRIM_400000_NS6detail17trampoline_kernelINS0_14default_configENS1_35radix_sort_onesweep_config_selectorIiNS0_10empty_typeEEEZZNS1_29radix_sort_onesweep_iterationIS3_Lb1EPiS8_PS5_S9_mNS0_19identity_decomposerENS1_16block_id_wrapperIjLb1EEEEE10hipError_tT1_PNSt15iterator_traitsISE_E10value_typeET2_T3_PNSF_ISK_E10value_typeET4_T5_PSP_SQ_PNS1_23onesweep_lookback_stateEbbT6_jjT7_P12ihipStream_tbENKUlT_T0_SE_SJ_E_clIS8_S8_S9_S9_EEDaSX_SY_SE_SJ_EUlSX_E_NS1_11comp_targetILNS1_3genE3ELNS1_11target_archE908ELNS1_3gpuE7ELNS1_3repE0EEENS1_47radix_sort_onesweep_sort_config_static_selectorELNS0_4arch9wavefront6targetE1EEEvSE_,comdat
.Lfunc_end2017:
	.size	_ZN7rocprim17ROCPRIM_400000_NS6detail17trampoline_kernelINS0_14default_configENS1_35radix_sort_onesweep_config_selectorIiNS0_10empty_typeEEEZZNS1_29radix_sort_onesweep_iterationIS3_Lb1EPiS8_PS5_S9_mNS0_19identity_decomposerENS1_16block_id_wrapperIjLb1EEEEE10hipError_tT1_PNSt15iterator_traitsISE_E10value_typeET2_T3_PNSF_ISK_E10value_typeET4_T5_PSP_SQ_PNS1_23onesweep_lookback_stateEbbT6_jjT7_P12ihipStream_tbENKUlT_T0_SE_SJ_E_clIS8_S8_S9_S9_EEDaSX_SY_SE_SJ_EUlSX_E_NS1_11comp_targetILNS1_3genE3ELNS1_11target_archE908ELNS1_3gpuE7ELNS1_3repE0EEENS1_47radix_sort_onesweep_sort_config_static_selectorELNS0_4arch9wavefront6targetE1EEEvSE_, .Lfunc_end2017-_ZN7rocprim17ROCPRIM_400000_NS6detail17trampoline_kernelINS0_14default_configENS1_35radix_sort_onesweep_config_selectorIiNS0_10empty_typeEEEZZNS1_29radix_sort_onesweep_iterationIS3_Lb1EPiS8_PS5_S9_mNS0_19identity_decomposerENS1_16block_id_wrapperIjLb1EEEEE10hipError_tT1_PNSt15iterator_traitsISE_E10value_typeET2_T3_PNSF_ISK_E10value_typeET4_T5_PSP_SQ_PNS1_23onesweep_lookback_stateEbbT6_jjT7_P12ihipStream_tbENKUlT_T0_SE_SJ_E_clIS8_S8_S9_S9_EEDaSX_SY_SE_SJ_EUlSX_E_NS1_11comp_targetILNS1_3genE3ELNS1_11target_archE908ELNS1_3gpuE7ELNS1_3repE0EEENS1_47radix_sort_onesweep_sort_config_static_selectorELNS0_4arch9wavefront6targetE1EEEvSE_
                                        ; -- End function
	.section	.AMDGPU.csdata,"",@progbits
; Kernel info:
; codeLenInByte = 0
; NumSgprs: 4
; NumVgprs: 0
; NumAgprs: 0
; TotalNumVgprs: 0
; ScratchSize: 0
; MemoryBound: 0
; FloatMode: 240
; IeeeMode: 1
; LDSByteSize: 0 bytes/workgroup (compile time only)
; SGPRBlocks: 0
; VGPRBlocks: 0
; NumSGPRsForWavesPerEU: 4
; NumVGPRsForWavesPerEU: 1
; AccumOffset: 4
; Occupancy: 8
; WaveLimiterHint : 0
; COMPUTE_PGM_RSRC2:SCRATCH_EN: 0
; COMPUTE_PGM_RSRC2:USER_SGPR: 6
; COMPUTE_PGM_RSRC2:TRAP_HANDLER: 0
; COMPUTE_PGM_RSRC2:TGID_X_EN: 1
; COMPUTE_PGM_RSRC2:TGID_Y_EN: 0
; COMPUTE_PGM_RSRC2:TGID_Z_EN: 0
; COMPUTE_PGM_RSRC2:TIDIG_COMP_CNT: 0
; COMPUTE_PGM_RSRC3_GFX90A:ACCUM_OFFSET: 0
; COMPUTE_PGM_RSRC3_GFX90A:TG_SPLIT: 0
	.section	.text._ZN7rocprim17ROCPRIM_400000_NS6detail17trampoline_kernelINS0_14default_configENS1_35radix_sort_onesweep_config_selectorIiNS0_10empty_typeEEEZZNS1_29radix_sort_onesweep_iterationIS3_Lb1EPiS8_PS5_S9_mNS0_19identity_decomposerENS1_16block_id_wrapperIjLb1EEEEE10hipError_tT1_PNSt15iterator_traitsISE_E10value_typeET2_T3_PNSF_ISK_E10value_typeET4_T5_PSP_SQ_PNS1_23onesweep_lookback_stateEbbT6_jjT7_P12ihipStream_tbENKUlT_T0_SE_SJ_E_clIS8_S8_S9_S9_EEDaSX_SY_SE_SJ_EUlSX_E_NS1_11comp_targetILNS1_3genE10ELNS1_11target_archE1201ELNS1_3gpuE5ELNS1_3repE0EEENS1_47radix_sort_onesweep_sort_config_static_selectorELNS0_4arch9wavefront6targetE1EEEvSE_,"axG",@progbits,_ZN7rocprim17ROCPRIM_400000_NS6detail17trampoline_kernelINS0_14default_configENS1_35radix_sort_onesweep_config_selectorIiNS0_10empty_typeEEEZZNS1_29radix_sort_onesweep_iterationIS3_Lb1EPiS8_PS5_S9_mNS0_19identity_decomposerENS1_16block_id_wrapperIjLb1EEEEE10hipError_tT1_PNSt15iterator_traitsISE_E10value_typeET2_T3_PNSF_ISK_E10value_typeET4_T5_PSP_SQ_PNS1_23onesweep_lookback_stateEbbT6_jjT7_P12ihipStream_tbENKUlT_T0_SE_SJ_E_clIS8_S8_S9_S9_EEDaSX_SY_SE_SJ_EUlSX_E_NS1_11comp_targetILNS1_3genE10ELNS1_11target_archE1201ELNS1_3gpuE5ELNS1_3repE0EEENS1_47radix_sort_onesweep_sort_config_static_selectorELNS0_4arch9wavefront6targetE1EEEvSE_,comdat
	.protected	_ZN7rocprim17ROCPRIM_400000_NS6detail17trampoline_kernelINS0_14default_configENS1_35radix_sort_onesweep_config_selectorIiNS0_10empty_typeEEEZZNS1_29radix_sort_onesweep_iterationIS3_Lb1EPiS8_PS5_S9_mNS0_19identity_decomposerENS1_16block_id_wrapperIjLb1EEEEE10hipError_tT1_PNSt15iterator_traitsISE_E10value_typeET2_T3_PNSF_ISK_E10value_typeET4_T5_PSP_SQ_PNS1_23onesweep_lookback_stateEbbT6_jjT7_P12ihipStream_tbENKUlT_T0_SE_SJ_E_clIS8_S8_S9_S9_EEDaSX_SY_SE_SJ_EUlSX_E_NS1_11comp_targetILNS1_3genE10ELNS1_11target_archE1201ELNS1_3gpuE5ELNS1_3repE0EEENS1_47radix_sort_onesweep_sort_config_static_selectorELNS0_4arch9wavefront6targetE1EEEvSE_ ; -- Begin function _ZN7rocprim17ROCPRIM_400000_NS6detail17trampoline_kernelINS0_14default_configENS1_35radix_sort_onesweep_config_selectorIiNS0_10empty_typeEEEZZNS1_29radix_sort_onesweep_iterationIS3_Lb1EPiS8_PS5_S9_mNS0_19identity_decomposerENS1_16block_id_wrapperIjLb1EEEEE10hipError_tT1_PNSt15iterator_traitsISE_E10value_typeET2_T3_PNSF_ISK_E10value_typeET4_T5_PSP_SQ_PNS1_23onesweep_lookback_stateEbbT6_jjT7_P12ihipStream_tbENKUlT_T0_SE_SJ_E_clIS8_S8_S9_S9_EEDaSX_SY_SE_SJ_EUlSX_E_NS1_11comp_targetILNS1_3genE10ELNS1_11target_archE1201ELNS1_3gpuE5ELNS1_3repE0EEENS1_47radix_sort_onesweep_sort_config_static_selectorELNS0_4arch9wavefront6targetE1EEEvSE_
	.globl	_ZN7rocprim17ROCPRIM_400000_NS6detail17trampoline_kernelINS0_14default_configENS1_35radix_sort_onesweep_config_selectorIiNS0_10empty_typeEEEZZNS1_29radix_sort_onesweep_iterationIS3_Lb1EPiS8_PS5_S9_mNS0_19identity_decomposerENS1_16block_id_wrapperIjLb1EEEEE10hipError_tT1_PNSt15iterator_traitsISE_E10value_typeET2_T3_PNSF_ISK_E10value_typeET4_T5_PSP_SQ_PNS1_23onesweep_lookback_stateEbbT6_jjT7_P12ihipStream_tbENKUlT_T0_SE_SJ_E_clIS8_S8_S9_S9_EEDaSX_SY_SE_SJ_EUlSX_E_NS1_11comp_targetILNS1_3genE10ELNS1_11target_archE1201ELNS1_3gpuE5ELNS1_3repE0EEENS1_47radix_sort_onesweep_sort_config_static_selectorELNS0_4arch9wavefront6targetE1EEEvSE_
	.p2align	8
	.type	_ZN7rocprim17ROCPRIM_400000_NS6detail17trampoline_kernelINS0_14default_configENS1_35radix_sort_onesweep_config_selectorIiNS0_10empty_typeEEEZZNS1_29radix_sort_onesweep_iterationIS3_Lb1EPiS8_PS5_S9_mNS0_19identity_decomposerENS1_16block_id_wrapperIjLb1EEEEE10hipError_tT1_PNSt15iterator_traitsISE_E10value_typeET2_T3_PNSF_ISK_E10value_typeET4_T5_PSP_SQ_PNS1_23onesweep_lookback_stateEbbT6_jjT7_P12ihipStream_tbENKUlT_T0_SE_SJ_E_clIS8_S8_S9_S9_EEDaSX_SY_SE_SJ_EUlSX_E_NS1_11comp_targetILNS1_3genE10ELNS1_11target_archE1201ELNS1_3gpuE5ELNS1_3repE0EEENS1_47radix_sort_onesweep_sort_config_static_selectorELNS0_4arch9wavefront6targetE1EEEvSE_,@function
_ZN7rocprim17ROCPRIM_400000_NS6detail17trampoline_kernelINS0_14default_configENS1_35radix_sort_onesweep_config_selectorIiNS0_10empty_typeEEEZZNS1_29radix_sort_onesweep_iterationIS3_Lb1EPiS8_PS5_S9_mNS0_19identity_decomposerENS1_16block_id_wrapperIjLb1EEEEE10hipError_tT1_PNSt15iterator_traitsISE_E10value_typeET2_T3_PNSF_ISK_E10value_typeET4_T5_PSP_SQ_PNS1_23onesweep_lookback_stateEbbT6_jjT7_P12ihipStream_tbENKUlT_T0_SE_SJ_E_clIS8_S8_S9_S9_EEDaSX_SY_SE_SJ_EUlSX_E_NS1_11comp_targetILNS1_3genE10ELNS1_11target_archE1201ELNS1_3gpuE5ELNS1_3repE0EEENS1_47radix_sort_onesweep_sort_config_static_selectorELNS0_4arch9wavefront6targetE1EEEvSE_: ; @_ZN7rocprim17ROCPRIM_400000_NS6detail17trampoline_kernelINS0_14default_configENS1_35radix_sort_onesweep_config_selectorIiNS0_10empty_typeEEEZZNS1_29radix_sort_onesweep_iterationIS3_Lb1EPiS8_PS5_S9_mNS0_19identity_decomposerENS1_16block_id_wrapperIjLb1EEEEE10hipError_tT1_PNSt15iterator_traitsISE_E10value_typeET2_T3_PNSF_ISK_E10value_typeET4_T5_PSP_SQ_PNS1_23onesweep_lookback_stateEbbT6_jjT7_P12ihipStream_tbENKUlT_T0_SE_SJ_E_clIS8_S8_S9_S9_EEDaSX_SY_SE_SJ_EUlSX_E_NS1_11comp_targetILNS1_3genE10ELNS1_11target_archE1201ELNS1_3gpuE5ELNS1_3repE0EEENS1_47radix_sort_onesweep_sort_config_static_selectorELNS0_4arch9wavefront6targetE1EEEvSE_
; %bb.0:
	.section	.rodata,"a",@progbits
	.p2align	6, 0x0
	.amdhsa_kernel _ZN7rocprim17ROCPRIM_400000_NS6detail17trampoline_kernelINS0_14default_configENS1_35radix_sort_onesweep_config_selectorIiNS0_10empty_typeEEEZZNS1_29radix_sort_onesweep_iterationIS3_Lb1EPiS8_PS5_S9_mNS0_19identity_decomposerENS1_16block_id_wrapperIjLb1EEEEE10hipError_tT1_PNSt15iterator_traitsISE_E10value_typeET2_T3_PNSF_ISK_E10value_typeET4_T5_PSP_SQ_PNS1_23onesweep_lookback_stateEbbT6_jjT7_P12ihipStream_tbENKUlT_T0_SE_SJ_E_clIS8_S8_S9_S9_EEDaSX_SY_SE_SJ_EUlSX_E_NS1_11comp_targetILNS1_3genE10ELNS1_11target_archE1201ELNS1_3gpuE5ELNS1_3repE0EEENS1_47radix_sort_onesweep_sort_config_static_selectorELNS0_4arch9wavefront6targetE1EEEvSE_
		.amdhsa_group_segment_fixed_size 0
		.amdhsa_private_segment_fixed_size 0
		.amdhsa_kernarg_size 88
		.amdhsa_user_sgpr_count 6
		.amdhsa_user_sgpr_private_segment_buffer 1
		.amdhsa_user_sgpr_dispatch_ptr 0
		.amdhsa_user_sgpr_queue_ptr 0
		.amdhsa_user_sgpr_kernarg_segment_ptr 1
		.amdhsa_user_sgpr_dispatch_id 0
		.amdhsa_user_sgpr_flat_scratch_init 0
		.amdhsa_user_sgpr_kernarg_preload_length 0
		.amdhsa_user_sgpr_kernarg_preload_offset 0
		.amdhsa_user_sgpr_private_segment_size 0
		.amdhsa_uses_dynamic_stack 0
		.amdhsa_system_sgpr_private_segment_wavefront_offset 0
		.amdhsa_system_sgpr_workgroup_id_x 1
		.amdhsa_system_sgpr_workgroup_id_y 0
		.amdhsa_system_sgpr_workgroup_id_z 0
		.amdhsa_system_sgpr_workgroup_info 0
		.amdhsa_system_vgpr_workitem_id 0
		.amdhsa_next_free_vgpr 1
		.amdhsa_next_free_sgpr 0
		.amdhsa_accum_offset 4
		.amdhsa_reserve_vcc 0
		.amdhsa_reserve_flat_scratch 0
		.amdhsa_float_round_mode_32 0
		.amdhsa_float_round_mode_16_64 0
		.amdhsa_float_denorm_mode_32 3
		.amdhsa_float_denorm_mode_16_64 3
		.amdhsa_dx10_clamp 1
		.amdhsa_ieee_mode 1
		.amdhsa_fp16_overflow 0
		.amdhsa_tg_split 0
		.amdhsa_exception_fp_ieee_invalid_op 0
		.amdhsa_exception_fp_denorm_src 0
		.amdhsa_exception_fp_ieee_div_zero 0
		.amdhsa_exception_fp_ieee_overflow 0
		.amdhsa_exception_fp_ieee_underflow 0
		.amdhsa_exception_fp_ieee_inexact 0
		.amdhsa_exception_int_div_zero 0
	.end_amdhsa_kernel
	.section	.text._ZN7rocprim17ROCPRIM_400000_NS6detail17trampoline_kernelINS0_14default_configENS1_35radix_sort_onesweep_config_selectorIiNS0_10empty_typeEEEZZNS1_29radix_sort_onesweep_iterationIS3_Lb1EPiS8_PS5_S9_mNS0_19identity_decomposerENS1_16block_id_wrapperIjLb1EEEEE10hipError_tT1_PNSt15iterator_traitsISE_E10value_typeET2_T3_PNSF_ISK_E10value_typeET4_T5_PSP_SQ_PNS1_23onesweep_lookback_stateEbbT6_jjT7_P12ihipStream_tbENKUlT_T0_SE_SJ_E_clIS8_S8_S9_S9_EEDaSX_SY_SE_SJ_EUlSX_E_NS1_11comp_targetILNS1_3genE10ELNS1_11target_archE1201ELNS1_3gpuE5ELNS1_3repE0EEENS1_47radix_sort_onesweep_sort_config_static_selectorELNS0_4arch9wavefront6targetE1EEEvSE_,"axG",@progbits,_ZN7rocprim17ROCPRIM_400000_NS6detail17trampoline_kernelINS0_14default_configENS1_35radix_sort_onesweep_config_selectorIiNS0_10empty_typeEEEZZNS1_29radix_sort_onesweep_iterationIS3_Lb1EPiS8_PS5_S9_mNS0_19identity_decomposerENS1_16block_id_wrapperIjLb1EEEEE10hipError_tT1_PNSt15iterator_traitsISE_E10value_typeET2_T3_PNSF_ISK_E10value_typeET4_T5_PSP_SQ_PNS1_23onesweep_lookback_stateEbbT6_jjT7_P12ihipStream_tbENKUlT_T0_SE_SJ_E_clIS8_S8_S9_S9_EEDaSX_SY_SE_SJ_EUlSX_E_NS1_11comp_targetILNS1_3genE10ELNS1_11target_archE1201ELNS1_3gpuE5ELNS1_3repE0EEENS1_47radix_sort_onesweep_sort_config_static_selectorELNS0_4arch9wavefront6targetE1EEEvSE_,comdat
.Lfunc_end2018:
	.size	_ZN7rocprim17ROCPRIM_400000_NS6detail17trampoline_kernelINS0_14default_configENS1_35radix_sort_onesweep_config_selectorIiNS0_10empty_typeEEEZZNS1_29radix_sort_onesweep_iterationIS3_Lb1EPiS8_PS5_S9_mNS0_19identity_decomposerENS1_16block_id_wrapperIjLb1EEEEE10hipError_tT1_PNSt15iterator_traitsISE_E10value_typeET2_T3_PNSF_ISK_E10value_typeET4_T5_PSP_SQ_PNS1_23onesweep_lookback_stateEbbT6_jjT7_P12ihipStream_tbENKUlT_T0_SE_SJ_E_clIS8_S8_S9_S9_EEDaSX_SY_SE_SJ_EUlSX_E_NS1_11comp_targetILNS1_3genE10ELNS1_11target_archE1201ELNS1_3gpuE5ELNS1_3repE0EEENS1_47radix_sort_onesweep_sort_config_static_selectorELNS0_4arch9wavefront6targetE1EEEvSE_, .Lfunc_end2018-_ZN7rocprim17ROCPRIM_400000_NS6detail17trampoline_kernelINS0_14default_configENS1_35radix_sort_onesweep_config_selectorIiNS0_10empty_typeEEEZZNS1_29radix_sort_onesweep_iterationIS3_Lb1EPiS8_PS5_S9_mNS0_19identity_decomposerENS1_16block_id_wrapperIjLb1EEEEE10hipError_tT1_PNSt15iterator_traitsISE_E10value_typeET2_T3_PNSF_ISK_E10value_typeET4_T5_PSP_SQ_PNS1_23onesweep_lookback_stateEbbT6_jjT7_P12ihipStream_tbENKUlT_T0_SE_SJ_E_clIS8_S8_S9_S9_EEDaSX_SY_SE_SJ_EUlSX_E_NS1_11comp_targetILNS1_3genE10ELNS1_11target_archE1201ELNS1_3gpuE5ELNS1_3repE0EEENS1_47radix_sort_onesweep_sort_config_static_selectorELNS0_4arch9wavefront6targetE1EEEvSE_
                                        ; -- End function
	.section	.AMDGPU.csdata,"",@progbits
; Kernel info:
; codeLenInByte = 0
; NumSgprs: 4
; NumVgprs: 0
; NumAgprs: 0
; TotalNumVgprs: 0
; ScratchSize: 0
; MemoryBound: 0
; FloatMode: 240
; IeeeMode: 1
; LDSByteSize: 0 bytes/workgroup (compile time only)
; SGPRBlocks: 0
; VGPRBlocks: 0
; NumSGPRsForWavesPerEU: 4
; NumVGPRsForWavesPerEU: 1
; AccumOffset: 4
; Occupancy: 8
; WaveLimiterHint : 0
; COMPUTE_PGM_RSRC2:SCRATCH_EN: 0
; COMPUTE_PGM_RSRC2:USER_SGPR: 6
; COMPUTE_PGM_RSRC2:TRAP_HANDLER: 0
; COMPUTE_PGM_RSRC2:TGID_X_EN: 1
; COMPUTE_PGM_RSRC2:TGID_Y_EN: 0
; COMPUTE_PGM_RSRC2:TGID_Z_EN: 0
; COMPUTE_PGM_RSRC2:TIDIG_COMP_CNT: 0
; COMPUTE_PGM_RSRC3_GFX90A:ACCUM_OFFSET: 0
; COMPUTE_PGM_RSRC3_GFX90A:TG_SPLIT: 0
	.section	.text._ZN7rocprim17ROCPRIM_400000_NS6detail17trampoline_kernelINS0_14default_configENS1_35radix_sort_onesweep_config_selectorIiNS0_10empty_typeEEEZZNS1_29radix_sort_onesweep_iterationIS3_Lb1EPiS8_PS5_S9_mNS0_19identity_decomposerENS1_16block_id_wrapperIjLb1EEEEE10hipError_tT1_PNSt15iterator_traitsISE_E10value_typeET2_T3_PNSF_ISK_E10value_typeET4_T5_PSP_SQ_PNS1_23onesweep_lookback_stateEbbT6_jjT7_P12ihipStream_tbENKUlT_T0_SE_SJ_E_clIS8_S8_S9_S9_EEDaSX_SY_SE_SJ_EUlSX_E_NS1_11comp_targetILNS1_3genE9ELNS1_11target_archE1100ELNS1_3gpuE3ELNS1_3repE0EEENS1_47radix_sort_onesweep_sort_config_static_selectorELNS0_4arch9wavefront6targetE1EEEvSE_,"axG",@progbits,_ZN7rocprim17ROCPRIM_400000_NS6detail17trampoline_kernelINS0_14default_configENS1_35radix_sort_onesweep_config_selectorIiNS0_10empty_typeEEEZZNS1_29radix_sort_onesweep_iterationIS3_Lb1EPiS8_PS5_S9_mNS0_19identity_decomposerENS1_16block_id_wrapperIjLb1EEEEE10hipError_tT1_PNSt15iterator_traitsISE_E10value_typeET2_T3_PNSF_ISK_E10value_typeET4_T5_PSP_SQ_PNS1_23onesweep_lookback_stateEbbT6_jjT7_P12ihipStream_tbENKUlT_T0_SE_SJ_E_clIS8_S8_S9_S9_EEDaSX_SY_SE_SJ_EUlSX_E_NS1_11comp_targetILNS1_3genE9ELNS1_11target_archE1100ELNS1_3gpuE3ELNS1_3repE0EEENS1_47radix_sort_onesweep_sort_config_static_selectorELNS0_4arch9wavefront6targetE1EEEvSE_,comdat
	.protected	_ZN7rocprim17ROCPRIM_400000_NS6detail17trampoline_kernelINS0_14default_configENS1_35radix_sort_onesweep_config_selectorIiNS0_10empty_typeEEEZZNS1_29radix_sort_onesweep_iterationIS3_Lb1EPiS8_PS5_S9_mNS0_19identity_decomposerENS1_16block_id_wrapperIjLb1EEEEE10hipError_tT1_PNSt15iterator_traitsISE_E10value_typeET2_T3_PNSF_ISK_E10value_typeET4_T5_PSP_SQ_PNS1_23onesweep_lookback_stateEbbT6_jjT7_P12ihipStream_tbENKUlT_T0_SE_SJ_E_clIS8_S8_S9_S9_EEDaSX_SY_SE_SJ_EUlSX_E_NS1_11comp_targetILNS1_3genE9ELNS1_11target_archE1100ELNS1_3gpuE3ELNS1_3repE0EEENS1_47radix_sort_onesweep_sort_config_static_selectorELNS0_4arch9wavefront6targetE1EEEvSE_ ; -- Begin function _ZN7rocprim17ROCPRIM_400000_NS6detail17trampoline_kernelINS0_14default_configENS1_35radix_sort_onesweep_config_selectorIiNS0_10empty_typeEEEZZNS1_29radix_sort_onesweep_iterationIS3_Lb1EPiS8_PS5_S9_mNS0_19identity_decomposerENS1_16block_id_wrapperIjLb1EEEEE10hipError_tT1_PNSt15iterator_traitsISE_E10value_typeET2_T3_PNSF_ISK_E10value_typeET4_T5_PSP_SQ_PNS1_23onesweep_lookback_stateEbbT6_jjT7_P12ihipStream_tbENKUlT_T0_SE_SJ_E_clIS8_S8_S9_S9_EEDaSX_SY_SE_SJ_EUlSX_E_NS1_11comp_targetILNS1_3genE9ELNS1_11target_archE1100ELNS1_3gpuE3ELNS1_3repE0EEENS1_47radix_sort_onesweep_sort_config_static_selectorELNS0_4arch9wavefront6targetE1EEEvSE_
	.globl	_ZN7rocprim17ROCPRIM_400000_NS6detail17trampoline_kernelINS0_14default_configENS1_35radix_sort_onesweep_config_selectorIiNS0_10empty_typeEEEZZNS1_29radix_sort_onesweep_iterationIS3_Lb1EPiS8_PS5_S9_mNS0_19identity_decomposerENS1_16block_id_wrapperIjLb1EEEEE10hipError_tT1_PNSt15iterator_traitsISE_E10value_typeET2_T3_PNSF_ISK_E10value_typeET4_T5_PSP_SQ_PNS1_23onesweep_lookback_stateEbbT6_jjT7_P12ihipStream_tbENKUlT_T0_SE_SJ_E_clIS8_S8_S9_S9_EEDaSX_SY_SE_SJ_EUlSX_E_NS1_11comp_targetILNS1_3genE9ELNS1_11target_archE1100ELNS1_3gpuE3ELNS1_3repE0EEENS1_47radix_sort_onesweep_sort_config_static_selectorELNS0_4arch9wavefront6targetE1EEEvSE_
	.p2align	8
	.type	_ZN7rocprim17ROCPRIM_400000_NS6detail17trampoline_kernelINS0_14default_configENS1_35radix_sort_onesweep_config_selectorIiNS0_10empty_typeEEEZZNS1_29radix_sort_onesweep_iterationIS3_Lb1EPiS8_PS5_S9_mNS0_19identity_decomposerENS1_16block_id_wrapperIjLb1EEEEE10hipError_tT1_PNSt15iterator_traitsISE_E10value_typeET2_T3_PNSF_ISK_E10value_typeET4_T5_PSP_SQ_PNS1_23onesweep_lookback_stateEbbT6_jjT7_P12ihipStream_tbENKUlT_T0_SE_SJ_E_clIS8_S8_S9_S9_EEDaSX_SY_SE_SJ_EUlSX_E_NS1_11comp_targetILNS1_3genE9ELNS1_11target_archE1100ELNS1_3gpuE3ELNS1_3repE0EEENS1_47radix_sort_onesweep_sort_config_static_selectorELNS0_4arch9wavefront6targetE1EEEvSE_,@function
_ZN7rocprim17ROCPRIM_400000_NS6detail17trampoline_kernelINS0_14default_configENS1_35radix_sort_onesweep_config_selectorIiNS0_10empty_typeEEEZZNS1_29radix_sort_onesweep_iterationIS3_Lb1EPiS8_PS5_S9_mNS0_19identity_decomposerENS1_16block_id_wrapperIjLb1EEEEE10hipError_tT1_PNSt15iterator_traitsISE_E10value_typeET2_T3_PNSF_ISK_E10value_typeET4_T5_PSP_SQ_PNS1_23onesweep_lookback_stateEbbT6_jjT7_P12ihipStream_tbENKUlT_T0_SE_SJ_E_clIS8_S8_S9_S9_EEDaSX_SY_SE_SJ_EUlSX_E_NS1_11comp_targetILNS1_3genE9ELNS1_11target_archE1100ELNS1_3gpuE3ELNS1_3repE0EEENS1_47radix_sort_onesweep_sort_config_static_selectorELNS0_4arch9wavefront6targetE1EEEvSE_: ; @_ZN7rocprim17ROCPRIM_400000_NS6detail17trampoline_kernelINS0_14default_configENS1_35radix_sort_onesweep_config_selectorIiNS0_10empty_typeEEEZZNS1_29radix_sort_onesweep_iterationIS3_Lb1EPiS8_PS5_S9_mNS0_19identity_decomposerENS1_16block_id_wrapperIjLb1EEEEE10hipError_tT1_PNSt15iterator_traitsISE_E10value_typeET2_T3_PNSF_ISK_E10value_typeET4_T5_PSP_SQ_PNS1_23onesweep_lookback_stateEbbT6_jjT7_P12ihipStream_tbENKUlT_T0_SE_SJ_E_clIS8_S8_S9_S9_EEDaSX_SY_SE_SJ_EUlSX_E_NS1_11comp_targetILNS1_3genE9ELNS1_11target_archE1100ELNS1_3gpuE3ELNS1_3repE0EEENS1_47radix_sort_onesweep_sort_config_static_selectorELNS0_4arch9wavefront6targetE1EEEvSE_
; %bb.0:
	.section	.rodata,"a",@progbits
	.p2align	6, 0x0
	.amdhsa_kernel _ZN7rocprim17ROCPRIM_400000_NS6detail17trampoline_kernelINS0_14default_configENS1_35radix_sort_onesweep_config_selectorIiNS0_10empty_typeEEEZZNS1_29radix_sort_onesweep_iterationIS3_Lb1EPiS8_PS5_S9_mNS0_19identity_decomposerENS1_16block_id_wrapperIjLb1EEEEE10hipError_tT1_PNSt15iterator_traitsISE_E10value_typeET2_T3_PNSF_ISK_E10value_typeET4_T5_PSP_SQ_PNS1_23onesweep_lookback_stateEbbT6_jjT7_P12ihipStream_tbENKUlT_T0_SE_SJ_E_clIS8_S8_S9_S9_EEDaSX_SY_SE_SJ_EUlSX_E_NS1_11comp_targetILNS1_3genE9ELNS1_11target_archE1100ELNS1_3gpuE3ELNS1_3repE0EEENS1_47radix_sort_onesweep_sort_config_static_selectorELNS0_4arch9wavefront6targetE1EEEvSE_
		.amdhsa_group_segment_fixed_size 0
		.amdhsa_private_segment_fixed_size 0
		.amdhsa_kernarg_size 88
		.amdhsa_user_sgpr_count 6
		.amdhsa_user_sgpr_private_segment_buffer 1
		.amdhsa_user_sgpr_dispatch_ptr 0
		.amdhsa_user_sgpr_queue_ptr 0
		.amdhsa_user_sgpr_kernarg_segment_ptr 1
		.amdhsa_user_sgpr_dispatch_id 0
		.amdhsa_user_sgpr_flat_scratch_init 0
		.amdhsa_user_sgpr_kernarg_preload_length 0
		.amdhsa_user_sgpr_kernarg_preload_offset 0
		.amdhsa_user_sgpr_private_segment_size 0
		.amdhsa_uses_dynamic_stack 0
		.amdhsa_system_sgpr_private_segment_wavefront_offset 0
		.amdhsa_system_sgpr_workgroup_id_x 1
		.amdhsa_system_sgpr_workgroup_id_y 0
		.amdhsa_system_sgpr_workgroup_id_z 0
		.amdhsa_system_sgpr_workgroup_info 0
		.amdhsa_system_vgpr_workitem_id 0
		.amdhsa_next_free_vgpr 1
		.amdhsa_next_free_sgpr 0
		.amdhsa_accum_offset 4
		.amdhsa_reserve_vcc 0
		.amdhsa_reserve_flat_scratch 0
		.amdhsa_float_round_mode_32 0
		.amdhsa_float_round_mode_16_64 0
		.amdhsa_float_denorm_mode_32 3
		.amdhsa_float_denorm_mode_16_64 3
		.amdhsa_dx10_clamp 1
		.amdhsa_ieee_mode 1
		.amdhsa_fp16_overflow 0
		.amdhsa_tg_split 0
		.amdhsa_exception_fp_ieee_invalid_op 0
		.amdhsa_exception_fp_denorm_src 0
		.amdhsa_exception_fp_ieee_div_zero 0
		.amdhsa_exception_fp_ieee_overflow 0
		.amdhsa_exception_fp_ieee_underflow 0
		.amdhsa_exception_fp_ieee_inexact 0
		.amdhsa_exception_int_div_zero 0
	.end_amdhsa_kernel
	.section	.text._ZN7rocprim17ROCPRIM_400000_NS6detail17trampoline_kernelINS0_14default_configENS1_35radix_sort_onesweep_config_selectorIiNS0_10empty_typeEEEZZNS1_29radix_sort_onesweep_iterationIS3_Lb1EPiS8_PS5_S9_mNS0_19identity_decomposerENS1_16block_id_wrapperIjLb1EEEEE10hipError_tT1_PNSt15iterator_traitsISE_E10value_typeET2_T3_PNSF_ISK_E10value_typeET4_T5_PSP_SQ_PNS1_23onesweep_lookback_stateEbbT6_jjT7_P12ihipStream_tbENKUlT_T0_SE_SJ_E_clIS8_S8_S9_S9_EEDaSX_SY_SE_SJ_EUlSX_E_NS1_11comp_targetILNS1_3genE9ELNS1_11target_archE1100ELNS1_3gpuE3ELNS1_3repE0EEENS1_47radix_sort_onesweep_sort_config_static_selectorELNS0_4arch9wavefront6targetE1EEEvSE_,"axG",@progbits,_ZN7rocprim17ROCPRIM_400000_NS6detail17trampoline_kernelINS0_14default_configENS1_35radix_sort_onesweep_config_selectorIiNS0_10empty_typeEEEZZNS1_29radix_sort_onesweep_iterationIS3_Lb1EPiS8_PS5_S9_mNS0_19identity_decomposerENS1_16block_id_wrapperIjLb1EEEEE10hipError_tT1_PNSt15iterator_traitsISE_E10value_typeET2_T3_PNSF_ISK_E10value_typeET4_T5_PSP_SQ_PNS1_23onesweep_lookback_stateEbbT6_jjT7_P12ihipStream_tbENKUlT_T0_SE_SJ_E_clIS8_S8_S9_S9_EEDaSX_SY_SE_SJ_EUlSX_E_NS1_11comp_targetILNS1_3genE9ELNS1_11target_archE1100ELNS1_3gpuE3ELNS1_3repE0EEENS1_47radix_sort_onesweep_sort_config_static_selectorELNS0_4arch9wavefront6targetE1EEEvSE_,comdat
.Lfunc_end2019:
	.size	_ZN7rocprim17ROCPRIM_400000_NS6detail17trampoline_kernelINS0_14default_configENS1_35radix_sort_onesweep_config_selectorIiNS0_10empty_typeEEEZZNS1_29radix_sort_onesweep_iterationIS3_Lb1EPiS8_PS5_S9_mNS0_19identity_decomposerENS1_16block_id_wrapperIjLb1EEEEE10hipError_tT1_PNSt15iterator_traitsISE_E10value_typeET2_T3_PNSF_ISK_E10value_typeET4_T5_PSP_SQ_PNS1_23onesweep_lookback_stateEbbT6_jjT7_P12ihipStream_tbENKUlT_T0_SE_SJ_E_clIS8_S8_S9_S9_EEDaSX_SY_SE_SJ_EUlSX_E_NS1_11comp_targetILNS1_3genE9ELNS1_11target_archE1100ELNS1_3gpuE3ELNS1_3repE0EEENS1_47radix_sort_onesweep_sort_config_static_selectorELNS0_4arch9wavefront6targetE1EEEvSE_, .Lfunc_end2019-_ZN7rocprim17ROCPRIM_400000_NS6detail17trampoline_kernelINS0_14default_configENS1_35radix_sort_onesweep_config_selectorIiNS0_10empty_typeEEEZZNS1_29radix_sort_onesweep_iterationIS3_Lb1EPiS8_PS5_S9_mNS0_19identity_decomposerENS1_16block_id_wrapperIjLb1EEEEE10hipError_tT1_PNSt15iterator_traitsISE_E10value_typeET2_T3_PNSF_ISK_E10value_typeET4_T5_PSP_SQ_PNS1_23onesweep_lookback_stateEbbT6_jjT7_P12ihipStream_tbENKUlT_T0_SE_SJ_E_clIS8_S8_S9_S9_EEDaSX_SY_SE_SJ_EUlSX_E_NS1_11comp_targetILNS1_3genE9ELNS1_11target_archE1100ELNS1_3gpuE3ELNS1_3repE0EEENS1_47radix_sort_onesweep_sort_config_static_selectorELNS0_4arch9wavefront6targetE1EEEvSE_
                                        ; -- End function
	.section	.AMDGPU.csdata,"",@progbits
; Kernel info:
; codeLenInByte = 0
; NumSgprs: 4
; NumVgprs: 0
; NumAgprs: 0
; TotalNumVgprs: 0
; ScratchSize: 0
; MemoryBound: 0
; FloatMode: 240
; IeeeMode: 1
; LDSByteSize: 0 bytes/workgroup (compile time only)
; SGPRBlocks: 0
; VGPRBlocks: 0
; NumSGPRsForWavesPerEU: 4
; NumVGPRsForWavesPerEU: 1
; AccumOffset: 4
; Occupancy: 8
; WaveLimiterHint : 0
; COMPUTE_PGM_RSRC2:SCRATCH_EN: 0
; COMPUTE_PGM_RSRC2:USER_SGPR: 6
; COMPUTE_PGM_RSRC2:TRAP_HANDLER: 0
; COMPUTE_PGM_RSRC2:TGID_X_EN: 1
; COMPUTE_PGM_RSRC2:TGID_Y_EN: 0
; COMPUTE_PGM_RSRC2:TGID_Z_EN: 0
; COMPUTE_PGM_RSRC2:TIDIG_COMP_CNT: 0
; COMPUTE_PGM_RSRC3_GFX90A:ACCUM_OFFSET: 0
; COMPUTE_PGM_RSRC3_GFX90A:TG_SPLIT: 0
	.section	.text._ZN7rocprim17ROCPRIM_400000_NS6detail17trampoline_kernelINS0_14default_configENS1_35radix_sort_onesweep_config_selectorIiNS0_10empty_typeEEEZZNS1_29radix_sort_onesweep_iterationIS3_Lb1EPiS8_PS5_S9_mNS0_19identity_decomposerENS1_16block_id_wrapperIjLb1EEEEE10hipError_tT1_PNSt15iterator_traitsISE_E10value_typeET2_T3_PNSF_ISK_E10value_typeET4_T5_PSP_SQ_PNS1_23onesweep_lookback_stateEbbT6_jjT7_P12ihipStream_tbENKUlT_T0_SE_SJ_E_clIS8_S8_S9_S9_EEDaSX_SY_SE_SJ_EUlSX_E_NS1_11comp_targetILNS1_3genE8ELNS1_11target_archE1030ELNS1_3gpuE2ELNS1_3repE0EEENS1_47radix_sort_onesweep_sort_config_static_selectorELNS0_4arch9wavefront6targetE1EEEvSE_,"axG",@progbits,_ZN7rocprim17ROCPRIM_400000_NS6detail17trampoline_kernelINS0_14default_configENS1_35radix_sort_onesweep_config_selectorIiNS0_10empty_typeEEEZZNS1_29radix_sort_onesweep_iterationIS3_Lb1EPiS8_PS5_S9_mNS0_19identity_decomposerENS1_16block_id_wrapperIjLb1EEEEE10hipError_tT1_PNSt15iterator_traitsISE_E10value_typeET2_T3_PNSF_ISK_E10value_typeET4_T5_PSP_SQ_PNS1_23onesweep_lookback_stateEbbT6_jjT7_P12ihipStream_tbENKUlT_T0_SE_SJ_E_clIS8_S8_S9_S9_EEDaSX_SY_SE_SJ_EUlSX_E_NS1_11comp_targetILNS1_3genE8ELNS1_11target_archE1030ELNS1_3gpuE2ELNS1_3repE0EEENS1_47radix_sort_onesweep_sort_config_static_selectorELNS0_4arch9wavefront6targetE1EEEvSE_,comdat
	.protected	_ZN7rocprim17ROCPRIM_400000_NS6detail17trampoline_kernelINS0_14default_configENS1_35radix_sort_onesweep_config_selectorIiNS0_10empty_typeEEEZZNS1_29radix_sort_onesweep_iterationIS3_Lb1EPiS8_PS5_S9_mNS0_19identity_decomposerENS1_16block_id_wrapperIjLb1EEEEE10hipError_tT1_PNSt15iterator_traitsISE_E10value_typeET2_T3_PNSF_ISK_E10value_typeET4_T5_PSP_SQ_PNS1_23onesweep_lookback_stateEbbT6_jjT7_P12ihipStream_tbENKUlT_T0_SE_SJ_E_clIS8_S8_S9_S9_EEDaSX_SY_SE_SJ_EUlSX_E_NS1_11comp_targetILNS1_3genE8ELNS1_11target_archE1030ELNS1_3gpuE2ELNS1_3repE0EEENS1_47radix_sort_onesweep_sort_config_static_selectorELNS0_4arch9wavefront6targetE1EEEvSE_ ; -- Begin function _ZN7rocprim17ROCPRIM_400000_NS6detail17trampoline_kernelINS0_14default_configENS1_35radix_sort_onesweep_config_selectorIiNS0_10empty_typeEEEZZNS1_29radix_sort_onesweep_iterationIS3_Lb1EPiS8_PS5_S9_mNS0_19identity_decomposerENS1_16block_id_wrapperIjLb1EEEEE10hipError_tT1_PNSt15iterator_traitsISE_E10value_typeET2_T3_PNSF_ISK_E10value_typeET4_T5_PSP_SQ_PNS1_23onesweep_lookback_stateEbbT6_jjT7_P12ihipStream_tbENKUlT_T0_SE_SJ_E_clIS8_S8_S9_S9_EEDaSX_SY_SE_SJ_EUlSX_E_NS1_11comp_targetILNS1_3genE8ELNS1_11target_archE1030ELNS1_3gpuE2ELNS1_3repE0EEENS1_47radix_sort_onesweep_sort_config_static_selectorELNS0_4arch9wavefront6targetE1EEEvSE_
	.globl	_ZN7rocprim17ROCPRIM_400000_NS6detail17trampoline_kernelINS0_14default_configENS1_35radix_sort_onesweep_config_selectorIiNS0_10empty_typeEEEZZNS1_29radix_sort_onesweep_iterationIS3_Lb1EPiS8_PS5_S9_mNS0_19identity_decomposerENS1_16block_id_wrapperIjLb1EEEEE10hipError_tT1_PNSt15iterator_traitsISE_E10value_typeET2_T3_PNSF_ISK_E10value_typeET4_T5_PSP_SQ_PNS1_23onesweep_lookback_stateEbbT6_jjT7_P12ihipStream_tbENKUlT_T0_SE_SJ_E_clIS8_S8_S9_S9_EEDaSX_SY_SE_SJ_EUlSX_E_NS1_11comp_targetILNS1_3genE8ELNS1_11target_archE1030ELNS1_3gpuE2ELNS1_3repE0EEENS1_47radix_sort_onesweep_sort_config_static_selectorELNS0_4arch9wavefront6targetE1EEEvSE_
	.p2align	8
	.type	_ZN7rocprim17ROCPRIM_400000_NS6detail17trampoline_kernelINS0_14default_configENS1_35radix_sort_onesweep_config_selectorIiNS0_10empty_typeEEEZZNS1_29radix_sort_onesweep_iterationIS3_Lb1EPiS8_PS5_S9_mNS0_19identity_decomposerENS1_16block_id_wrapperIjLb1EEEEE10hipError_tT1_PNSt15iterator_traitsISE_E10value_typeET2_T3_PNSF_ISK_E10value_typeET4_T5_PSP_SQ_PNS1_23onesweep_lookback_stateEbbT6_jjT7_P12ihipStream_tbENKUlT_T0_SE_SJ_E_clIS8_S8_S9_S9_EEDaSX_SY_SE_SJ_EUlSX_E_NS1_11comp_targetILNS1_3genE8ELNS1_11target_archE1030ELNS1_3gpuE2ELNS1_3repE0EEENS1_47radix_sort_onesweep_sort_config_static_selectorELNS0_4arch9wavefront6targetE1EEEvSE_,@function
_ZN7rocprim17ROCPRIM_400000_NS6detail17trampoline_kernelINS0_14default_configENS1_35radix_sort_onesweep_config_selectorIiNS0_10empty_typeEEEZZNS1_29radix_sort_onesweep_iterationIS3_Lb1EPiS8_PS5_S9_mNS0_19identity_decomposerENS1_16block_id_wrapperIjLb1EEEEE10hipError_tT1_PNSt15iterator_traitsISE_E10value_typeET2_T3_PNSF_ISK_E10value_typeET4_T5_PSP_SQ_PNS1_23onesweep_lookback_stateEbbT6_jjT7_P12ihipStream_tbENKUlT_T0_SE_SJ_E_clIS8_S8_S9_S9_EEDaSX_SY_SE_SJ_EUlSX_E_NS1_11comp_targetILNS1_3genE8ELNS1_11target_archE1030ELNS1_3gpuE2ELNS1_3repE0EEENS1_47radix_sort_onesweep_sort_config_static_selectorELNS0_4arch9wavefront6targetE1EEEvSE_: ; @_ZN7rocprim17ROCPRIM_400000_NS6detail17trampoline_kernelINS0_14default_configENS1_35radix_sort_onesweep_config_selectorIiNS0_10empty_typeEEEZZNS1_29radix_sort_onesweep_iterationIS3_Lb1EPiS8_PS5_S9_mNS0_19identity_decomposerENS1_16block_id_wrapperIjLb1EEEEE10hipError_tT1_PNSt15iterator_traitsISE_E10value_typeET2_T3_PNSF_ISK_E10value_typeET4_T5_PSP_SQ_PNS1_23onesweep_lookback_stateEbbT6_jjT7_P12ihipStream_tbENKUlT_T0_SE_SJ_E_clIS8_S8_S9_S9_EEDaSX_SY_SE_SJ_EUlSX_E_NS1_11comp_targetILNS1_3genE8ELNS1_11target_archE1030ELNS1_3gpuE2ELNS1_3repE0EEENS1_47radix_sort_onesweep_sort_config_static_selectorELNS0_4arch9wavefront6targetE1EEEvSE_
; %bb.0:
	.section	.rodata,"a",@progbits
	.p2align	6, 0x0
	.amdhsa_kernel _ZN7rocprim17ROCPRIM_400000_NS6detail17trampoline_kernelINS0_14default_configENS1_35radix_sort_onesweep_config_selectorIiNS0_10empty_typeEEEZZNS1_29radix_sort_onesweep_iterationIS3_Lb1EPiS8_PS5_S9_mNS0_19identity_decomposerENS1_16block_id_wrapperIjLb1EEEEE10hipError_tT1_PNSt15iterator_traitsISE_E10value_typeET2_T3_PNSF_ISK_E10value_typeET4_T5_PSP_SQ_PNS1_23onesweep_lookback_stateEbbT6_jjT7_P12ihipStream_tbENKUlT_T0_SE_SJ_E_clIS8_S8_S9_S9_EEDaSX_SY_SE_SJ_EUlSX_E_NS1_11comp_targetILNS1_3genE8ELNS1_11target_archE1030ELNS1_3gpuE2ELNS1_3repE0EEENS1_47radix_sort_onesweep_sort_config_static_selectorELNS0_4arch9wavefront6targetE1EEEvSE_
		.amdhsa_group_segment_fixed_size 0
		.amdhsa_private_segment_fixed_size 0
		.amdhsa_kernarg_size 88
		.amdhsa_user_sgpr_count 6
		.amdhsa_user_sgpr_private_segment_buffer 1
		.amdhsa_user_sgpr_dispatch_ptr 0
		.amdhsa_user_sgpr_queue_ptr 0
		.amdhsa_user_sgpr_kernarg_segment_ptr 1
		.amdhsa_user_sgpr_dispatch_id 0
		.amdhsa_user_sgpr_flat_scratch_init 0
		.amdhsa_user_sgpr_kernarg_preload_length 0
		.amdhsa_user_sgpr_kernarg_preload_offset 0
		.amdhsa_user_sgpr_private_segment_size 0
		.amdhsa_uses_dynamic_stack 0
		.amdhsa_system_sgpr_private_segment_wavefront_offset 0
		.amdhsa_system_sgpr_workgroup_id_x 1
		.amdhsa_system_sgpr_workgroup_id_y 0
		.amdhsa_system_sgpr_workgroup_id_z 0
		.amdhsa_system_sgpr_workgroup_info 0
		.amdhsa_system_vgpr_workitem_id 0
		.amdhsa_next_free_vgpr 1
		.amdhsa_next_free_sgpr 0
		.amdhsa_accum_offset 4
		.amdhsa_reserve_vcc 0
		.amdhsa_reserve_flat_scratch 0
		.amdhsa_float_round_mode_32 0
		.amdhsa_float_round_mode_16_64 0
		.amdhsa_float_denorm_mode_32 3
		.amdhsa_float_denorm_mode_16_64 3
		.amdhsa_dx10_clamp 1
		.amdhsa_ieee_mode 1
		.amdhsa_fp16_overflow 0
		.amdhsa_tg_split 0
		.amdhsa_exception_fp_ieee_invalid_op 0
		.amdhsa_exception_fp_denorm_src 0
		.amdhsa_exception_fp_ieee_div_zero 0
		.amdhsa_exception_fp_ieee_overflow 0
		.amdhsa_exception_fp_ieee_underflow 0
		.amdhsa_exception_fp_ieee_inexact 0
		.amdhsa_exception_int_div_zero 0
	.end_amdhsa_kernel
	.section	.text._ZN7rocprim17ROCPRIM_400000_NS6detail17trampoline_kernelINS0_14default_configENS1_35radix_sort_onesweep_config_selectorIiNS0_10empty_typeEEEZZNS1_29radix_sort_onesweep_iterationIS3_Lb1EPiS8_PS5_S9_mNS0_19identity_decomposerENS1_16block_id_wrapperIjLb1EEEEE10hipError_tT1_PNSt15iterator_traitsISE_E10value_typeET2_T3_PNSF_ISK_E10value_typeET4_T5_PSP_SQ_PNS1_23onesweep_lookback_stateEbbT6_jjT7_P12ihipStream_tbENKUlT_T0_SE_SJ_E_clIS8_S8_S9_S9_EEDaSX_SY_SE_SJ_EUlSX_E_NS1_11comp_targetILNS1_3genE8ELNS1_11target_archE1030ELNS1_3gpuE2ELNS1_3repE0EEENS1_47radix_sort_onesweep_sort_config_static_selectorELNS0_4arch9wavefront6targetE1EEEvSE_,"axG",@progbits,_ZN7rocprim17ROCPRIM_400000_NS6detail17trampoline_kernelINS0_14default_configENS1_35radix_sort_onesweep_config_selectorIiNS0_10empty_typeEEEZZNS1_29radix_sort_onesweep_iterationIS3_Lb1EPiS8_PS5_S9_mNS0_19identity_decomposerENS1_16block_id_wrapperIjLb1EEEEE10hipError_tT1_PNSt15iterator_traitsISE_E10value_typeET2_T3_PNSF_ISK_E10value_typeET4_T5_PSP_SQ_PNS1_23onesweep_lookback_stateEbbT6_jjT7_P12ihipStream_tbENKUlT_T0_SE_SJ_E_clIS8_S8_S9_S9_EEDaSX_SY_SE_SJ_EUlSX_E_NS1_11comp_targetILNS1_3genE8ELNS1_11target_archE1030ELNS1_3gpuE2ELNS1_3repE0EEENS1_47radix_sort_onesweep_sort_config_static_selectorELNS0_4arch9wavefront6targetE1EEEvSE_,comdat
.Lfunc_end2020:
	.size	_ZN7rocprim17ROCPRIM_400000_NS6detail17trampoline_kernelINS0_14default_configENS1_35radix_sort_onesweep_config_selectorIiNS0_10empty_typeEEEZZNS1_29radix_sort_onesweep_iterationIS3_Lb1EPiS8_PS5_S9_mNS0_19identity_decomposerENS1_16block_id_wrapperIjLb1EEEEE10hipError_tT1_PNSt15iterator_traitsISE_E10value_typeET2_T3_PNSF_ISK_E10value_typeET4_T5_PSP_SQ_PNS1_23onesweep_lookback_stateEbbT6_jjT7_P12ihipStream_tbENKUlT_T0_SE_SJ_E_clIS8_S8_S9_S9_EEDaSX_SY_SE_SJ_EUlSX_E_NS1_11comp_targetILNS1_3genE8ELNS1_11target_archE1030ELNS1_3gpuE2ELNS1_3repE0EEENS1_47radix_sort_onesweep_sort_config_static_selectorELNS0_4arch9wavefront6targetE1EEEvSE_, .Lfunc_end2020-_ZN7rocprim17ROCPRIM_400000_NS6detail17trampoline_kernelINS0_14default_configENS1_35radix_sort_onesweep_config_selectorIiNS0_10empty_typeEEEZZNS1_29radix_sort_onesweep_iterationIS3_Lb1EPiS8_PS5_S9_mNS0_19identity_decomposerENS1_16block_id_wrapperIjLb1EEEEE10hipError_tT1_PNSt15iterator_traitsISE_E10value_typeET2_T3_PNSF_ISK_E10value_typeET4_T5_PSP_SQ_PNS1_23onesweep_lookback_stateEbbT6_jjT7_P12ihipStream_tbENKUlT_T0_SE_SJ_E_clIS8_S8_S9_S9_EEDaSX_SY_SE_SJ_EUlSX_E_NS1_11comp_targetILNS1_3genE8ELNS1_11target_archE1030ELNS1_3gpuE2ELNS1_3repE0EEENS1_47radix_sort_onesweep_sort_config_static_selectorELNS0_4arch9wavefront6targetE1EEEvSE_
                                        ; -- End function
	.section	.AMDGPU.csdata,"",@progbits
; Kernel info:
; codeLenInByte = 0
; NumSgprs: 4
; NumVgprs: 0
; NumAgprs: 0
; TotalNumVgprs: 0
; ScratchSize: 0
; MemoryBound: 0
; FloatMode: 240
; IeeeMode: 1
; LDSByteSize: 0 bytes/workgroup (compile time only)
; SGPRBlocks: 0
; VGPRBlocks: 0
; NumSGPRsForWavesPerEU: 4
; NumVGPRsForWavesPerEU: 1
; AccumOffset: 4
; Occupancy: 8
; WaveLimiterHint : 0
; COMPUTE_PGM_RSRC2:SCRATCH_EN: 0
; COMPUTE_PGM_RSRC2:USER_SGPR: 6
; COMPUTE_PGM_RSRC2:TRAP_HANDLER: 0
; COMPUTE_PGM_RSRC2:TGID_X_EN: 1
; COMPUTE_PGM_RSRC2:TGID_Y_EN: 0
; COMPUTE_PGM_RSRC2:TGID_Z_EN: 0
; COMPUTE_PGM_RSRC2:TIDIG_COMP_CNT: 0
; COMPUTE_PGM_RSRC3_GFX90A:ACCUM_OFFSET: 0
; COMPUTE_PGM_RSRC3_GFX90A:TG_SPLIT: 0
	.section	.text._ZN7rocprim17ROCPRIM_400000_NS6detail17trampoline_kernelINS0_14default_configENS1_35radix_sort_onesweep_config_selectorIiNS0_10empty_typeEEEZZNS1_29radix_sort_onesweep_iterationIS3_Lb1EPiS8_PS5_S9_mNS0_19identity_decomposerENS1_16block_id_wrapperIjLb0EEEEE10hipError_tT1_PNSt15iterator_traitsISE_E10value_typeET2_T3_PNSF_ISK_E10value_typeET4_T5_PSP_SQ_PNS1_23onesweep_lookback_stateEbbT6_jjT7_P12ihipStream_tbENKUlT_T0_SE_SJ_E_clIS8_S8_S9_S9_EEDaSX_SY_SE_SJ_EUlSX_E_NS1_11comp_targetILNS1_3genE0ELNS1_11target_archE4294967295ELNS1_3gpuE0ELNS1_3repE0EEENS1_47radix_sort_onesweep_sort_config_static_selectorELNS0_4arch9wavefront6targetE1EEEvSE_,"axG",@progbits,_ZN7rocprim17ROCPRIM_400000_NS6detail17trampoline_kernelINS0_14default_configENS1_35radix_sort_onesweep_config_selectorIiNS0_10empty_typeEEEZZNS1_29radix_sort_onesweep_iterationIS3_Lb1EPiS8_PS5_S9_mNS0_19identity_decomposerENS1_16block_id_wrapperIjLb0EEEEE10hipError_tT1_PNSt15iterator_traitsISE_E10value_typeET2_T3_PNSF_ISK_E10value_typeET4_T5_PSP_SQ_PNS1_23onesweep_lookback_stateEbbT6_jjT7_P12ihipStream_tbENKUlT_T0_SE_SJ_E_clIS8_S8_S9_S9_EEDaSX_SY_SE_SJ_EUlSX_E_NS1_11comp_targetILNS1_3genE0ELNS1_11target_archE4294967295ELNS1_3gpuE0ELNS1_3repE0EEENS1_47radix_sort_onesweep_sort_config_static_selectorELNS0_4arch9wavefront6targetE1EEEvSE_,comdat
	.protected	_ZN7rocprim17ROCPRIM_400000_NS6detail17trampoline_kernelINS0_14default_configENS1_35radix_sort_onesweep_config_selectorIiNS0_10empty_typeEEEZZNS1_29radix_sort_onesweep_iterationIS3_Lb1EPiS8_PS5_S9_mNS0_19identity_decomposerENS1_16block_id_wrapperIjLb0EEEEE10hipError_tT1_PNSt15iterator_traitsISE_E10value_typeET2_T3_PNSF_ISK_E10value_typeET4_T5_PSP_SQ_PNS1_23onesweep_lookback_stateEbbT6_jjT7_P12ihipStream_tbENKUlT_T0_SE_SJ_E_clIS8_S8_S9_S9_EEDaSX_SY_SE_SJ_EUlSX_E_NS1_11comp_targetILNS1_3genE0ELNS1_11target_archE4294967295ELNS1_3gpuE0ELNS1_3repE0EEENS1_47radix_sort_onesweep_sort_config_static_selectorELNS0_4arch9wavefront6targetE1EEEvSE_ ; -- Begin function _ZN7rocprim17ROCPRIM_400000_NS6detail17trampoline_kernelINS0_14default_configENS1_35radix_sort_onesweep_config_selectorIiNS0_10empty_typeEEEZZNS1_29radix_sort_onesweep_iterationIS3_Lb1EPiS8_PS5_S9_mNS0_19identity_decomposerENS1_16block_id_wrapperIjLb0EEEEE10hipError_tT1_PNSt15iterator_traitsISE_E10value_typeET2_T3_PNSF_ISK_E10value_typeET4_T5_PSP_SQ_PNS1_23onesweep_lookback_stateEbbT6_jjT7_P12ihipStream_tbENKUlT_T0_SE_SJ_E_clIS8_S8_S9_S9_EEDaSX_SY_SE_SJ_EUlSX_E_NS1_11comp_targetILNS1_3genE0ELNS1_11target_archE4294967295ELNS1_3gpuE0ELNS1_3repE0EEENS1_47radix_sort_onesweep_sort_config_static_selectorELNS0_4arch9wavefront6targetE1EEEvSE_
	.globl	_ZN7rocprim17ROCPRIM_400000_NS6detail17trampoline_kernelINS0_14default_configENS1_35radix_sort_onesweep_config_selectorIiNS0_10empty_typeEEEZZNS1_29radix_sort_onesweep_iterationIS3_Lb1EPiS8_PS5_S9_mNS0_19identity_decomposerENS1_16block_id_wrapperIjLb0EEEEE10hipError_tT1_PNSt15iterator_traitsISE_E10value_typeET2_T3_PNSF_ISK_E10value_typeET4_T5_PSP_SQ_PNS1_23onesweep_lookback_stateEbbT6_jjT7_P12ihipStream_tbENKUlT_T0_SE_SJ_E_clIS8_S8_S9_S9_EEDaSX_SY_SE_SJ_EUlSX_E_NS1_11comp_targetILNS1_3genE0ELNS1_11target_archE4294967295ELNS1_3gpuE0ELNS1_3repE0EEENS1_47radix_sort_onesweep_sort_config_static_selectorELNS0_4arch9wavefront6targetE1EEEvSE_
	.p2align	8
	.type	_ZN7rocprim17ROCPRIM_400000_NS6detail17trampoline_kernelINS0_14default_configENS1_35radix_sort_onesweep_config_selectorIiNS0_10empty_typeEEEZZNS1_29radix_sort_onesweep_iterationIS3_Lb1EPiS8_PS5_S9_mNS0_19identity_decomposerENS1_16block_id_wrapperIjLb0EEEEE10hipError_tT1_PNSt15iterator_traitsISE_E10value_typeET2_T3_PNSF_ISK_E10value_typeET4_T5_PSP_SQ_PNS1_23onesweep_lookback_stateEbbT6_jjT7_P12ihipStream_tbENKUlT_T0_SE_SJ_E_clIS8_S8_S9_S9_EEDaSX_SY_SE_SJ_EUlSX_E_NS1_11comp_targetILNS1_3genE0ELNS1_11target_archE4294967295ELNS1_3gpuE0ELNS1_3repE0EEENS1_47radix_sort_onesweep_sort_config_static_selectorELNS0_4arch9wavefront6targetE1EEEvSE_,@function
_ZN7rocprim17ROCPRIM_400000_NS6detail17trampoline_kernelINS0_14default_configENS1_35radix_sort_onesweep_config_selectorIiNS0_10empty_typeEEEZZNS1_29radix_sort_onesweep_iterationIS3_Lb1EPiS8_PS5_S9_mNS0_19identity_decomposerENS1_16block_id_wrapperIjLb0EEEEE10hipError_tT1_PNSt15iterator_traitsISE_E10value_typeET2_T3_PNSF_ISK_E10value_typeET4_T5_PSP_SQ_PNS1_23onesweep_lookback_stateEbbT6_jjT7_P12ihipStream_tbENKUlT_T0_SE_SJ_E_clIS8_S8_S9_S9_EEDaSX_SY_SE_SJ_EUlSX_E_NS1_11comp_targetILNS1_3genE0ELNS1_11target_archE4294967295ELNS1_3gpuE0ELNS1_3repE0EEENS1_47radix_sort_onesweep_sort_config_static_selectorELNS0_4arch9wavefront6targetE1EEEvSE_: ; @_ZN7rocprim17ROCPRIM_400000_NS6detail17trampoline_kernelINS0_14default_configENS1_35radix_sort_onesweep_config_selectorIiNS0_10empty_typeEEEZZNS1_29radix_sort_onesweep_iterationIS3_Lb1EPiS8_PS5_S9_mNS0_19identity_decomposerENS1_16block_id_wrapperIjLb0EEEEE10hipError_tT1_PNSt15iterator_traitsISE_E10value_typeET2_T3_PNSF_ISK_E10value_typeET4_T5_PSP_SQ_PNS1_23onesweep_lookback_stateEbbT6_jjT7_P12ihipStream_tbENKUlT_T0_SE_SJ_E_clIS8_S8_S9_S9_EEDaSX_SY_SE_SJ_EUlSX_E_NS1_11comp_targetILNS1_3genE0ELNS1_11target_archE4294967295ELNS1_3gpuE0ELNS1_3repE0EEENS1_47radix_sort_onesweep_sort_config_static_selectorELNS0_4arch9wavefront6targetE1EEEvSE_
; %bb.0:
	.section	.rodata,"a",@progbits
	.p2align	6, 0x0
	.amdhsa_kernel _ZN7rocprim17ROCPRIM_400000_NS6detail17trampoline_kernelINS0_14default_configENS1_35radix_sort_onesweep_config_selectorIiNS0_10empty_typeEEEZZNS1_29radix_sort_onesweep_iterationIS3_Lb1EPiS8_PS5_S9_mNS0_19identity_decomposerENS1_16block_id_wrapperIjLb0EEEEE10hipError_tT1_PNSt15iterator_traitsISE_E10value_typeET2_T3_PNSF_ISK_E10value_typeET4_T5_PSP_SQ_PNS1_23onesweep_lookback_stateEbbT6_jjT7_P12ihipStream_tbENKUlT_T0_SE_SJ_E_clIS8_S8_S9_S9_EEDaSX_SY_SE_SJ_EUlSX_E_NS1_11comp_targetILNS1_3genE0ELNS1_11target_archE4294967295ELNS1_3gpuE0ELNS1_3repE0EEENS1_47radix_sort_onesweep_sort_config_static_selectorELNS0_4arch9wavefront6targetE1EEEvSE_
		.amdhsa_group_segment_fixed_size 0
		.amdhsa_private_segment_fixed_size 0
		.amdhsa_kernarg_size 88
		.amdhsa_user_sgpr_count 6
		.amdhsa_user_sgpr_private_segment_buffer 1
		.amdhsa_user_sgpr_dispatch_ptr 0
		.amdhsa_user_sgpr_queue_ptr 0
		.amdhsa_user_sgpr_kernarg_segment_ptr 1
		.amdhsa_user_sgpr_dispatch_id 0
		.amdhsa_user_sgpr_flat_scratch_init 0
		.amdhsa_user_sgpr_kernarg_preload_length 0
		.amdhsa_user_sgpr_kernarg_preload_offset 0
		.amdhsa_user_sgpr_private_segment_size 0
		.amdhsa_uses_dynamic_stack 0
		.amdhsa_system_sgpr_private_segment_wavefront_offset 0
		.amdhsa_system_sgpr_workgroup_id_x 1
		.amdhsa_system_sgpr_workgroup_id_y 0
		.amdhsa_system_sgpr_workgroup_id_z 0
		.amdhsa_system_sgpr_workgroup_info 0
		.amdhsa_system_vgpr_workitem_id 0
		.amdhsa_next_free_vgpr 1
		.amdhsa_next_free_sgpr 0
		.amdhsa_accum_offset 4
		.amdhsa_reserve_vcc 0
		.amdhsa_reserve_flat_scratch 0
		.amdhsa_float_round_mode_32 0
		.amdhsa_float_round_mode_16_64 0
		.amdhsa_float_denorm_mode_32 3
		.amdhsa_float_denorm_mode_16_64 3
		.amdhsa_dx10_clamp 1
		.amdhsa_ieee_mode 1
		.amdhsa_fp16_overflow 0
		.amdhsa_tg_split 0
		.amdhsa_exception_fp_ieee_invalid_op 0
		.amdhsa_exception_fp_denorm_src 0
		.amdhsa_exception_fp_ieee_div_zero 0
		.amdhsa_exception_fp_ieee_overflow 0
		.amdhsa_exception_fp_ieee_underflow 0
		.amdhsa_exception_fp_ieee_inexact 0
		.amdhsa_exception_int_div_zero 0
	.end_amdhsa_kernel
	.section	.text._ZN7rocprim17ROCPRIM_400000_NS6detail17trampoline_kernelINS0_14default_configENS1_35radix_sort_onesweep_config_selectorIiNS0_10empty_typeEEEZZNS1_29radix_sort_onesweep_iterationIS3_Lb1EPiS8_PS5_S9_mNS0_19identity_decomposerENS1_16block_id_wrapperIjLb0EEEEE10hipError_tT1_PNSt15iterator_traitsISE_E10value_typeET2_T3_PNSF_ISK_E10value_typeET4_T5_PSP_SQ_PNS1_23onesweep_lookback_stateEbbT6_jjT7_P12ihipStream_tbENKUlT_T0_SE_SJ_E_clIS8_S8_S9_S9_EEDaSX_SY_SE_SJ_EUlSX_E_NS1_11comp_targetILNS1_3genE0ELNS1_11target_archE4294967295ELNS1_3gpuE0ELNS1_3repE0EEENS1_47radix_sort_onesweep_sort_config_static_selectorELNS0_4arch9wavefront6targetE1EEEvSE_,"axG",@progbits,_ZN7rocprim17ROCPRIM_400000_NS6detail17trampoline_kernelINS0_14default_configENS1_35radix_sort_onesweep_config_selectorIiNS0_10empty_typeEEEZZNS1_29radix_sort_onesweep_iterationIS3_Lb1EPiS8_PS5_S9_mNS0_19identity_decomposerENS1_16block_id_wrapperIjLb0EEEEE10hipError_tT1_PNSt15iterator_traitsISE_E10value_typeET2_T3_PNSF_ISK_E10value_typeET4_T5_PSP_SQ_PNS1_23onesweep_lookback_stateEbbT6_jjT7_P12ihipStream_tbENKUlT_T0_SE_SJ_E_clIS8_S8_S9_S9_EEDaSX_SY_SE_SJ_EUlSX_E_NS1_11comp_targetILNS1_3genE0ELNS1_11target_archE4294967295ELNS1_3gpuE0ELNS1_3repE0EEENS1_47radix_sort_onesweep_sort_config_static_selectorELNS0_4arch9wavefront6targetE1EEEvSE_,comdat
.Lfunc_end2021:
	.size	_ZN7rocprim17ROCPRIM_400000_NS6detail17trampoline_kernelINS0_14default_configENS1_35radix_sort_onesweep_config_selectorIiNS0_10empty_typeEEEZZNS1_29radix_sort_onesweep_iterationIS3_Lb1EPiS8_PS5_S9_mNS0_19identity_decomposerENS1_16block_id_wrapperIjLb0EEEEE10hipError_tT1_PNSt15iterator_traitsISE_E10value_typeET2_T3_PNSF_ISK_E10value_typeET4_T5_PSP_SQ_PNS1_23onesweep_lookback_stateEbbT6_jjT7_P12ihipStream_tbENKUlT_T0_SE_SJ_E_clIS8_S8_S9_S9_EEDaSX_SY_SE_SJ_EUlSX_E_NS1_11comp_targetILNS1_3genE0ELNS1_11target_archE4294967295ELNS1_3gpuE0ELNS1_3repE0EEENS1_47radix_sort_onesweep_sort_config_static_selectorELNS0_4arch9wavefront6targetE1EEEvSE_, .Lfunc_end2021-_ZN7rocprim17ROCPRIM_400000_NS6detail17trampoline_kernelINS0_14default_configENS1_35radix_sort_onesweep_config_selectorIiNS0_10empty_typeEEEZZNS1_29radix_sort_onesweep_iterationIS3_Lb1EPiS8_PS5_S9_mNS0_19identity_decomposerENS1_16block_id_wrapperIjLb0EEEEE10hipError_tT1_PNSt15iterator_traitsISE_E10value_typeET2_T3_PNSF_ISK_E10value_typeET4_T5_PSP_SQ_PNS1_23onesweep_lookback_stateEbbT6_jjT7_P12ihipStream_tbENKUlT_T0_SE_SJ_E_clIS8_S8_S9_S9_EEDaSX_SY_SE_SJ_EUlSX_E_NS1_11comp_targetILNS1_3genE0ELNS1_11target_archE4294967295ELNS1_3gpuE0ELNS1_3repE0EEENS1_47radix_sort_onesweep_sort_config_static_selectorELNS0_4arch9wavefront6targetE1EEEvSE_
                                        ; -- End function
	.section	.AMDGPU.csdata,"",@progbits
; Kernel info:
; codeLenInByte = 0
; NumSgprs: 4
; NumVgprs: 0
; NumAgprs: 0
; TotalNumVgprs: 0
; ScratchSize: 0
; MemoryBound: 0
; FloatMode: 240
; IeeeMode: 1
; LDSByteSize: 0 bytes/workgroup (compile time only)
; SGPRBlocks: 0
; VGPRBlocks: 0
; NumSGPRsForWavesPerEU: 4
; NumVGPRsForWavesPerEU: 1
; AccumOffset: 4
; Occupancy: 8
; WaveLimiterHint : 0
; COMPUTE_PGM_RSRC2:SCRATCH_EN: 0
; COMPUTE_PGM_RSRC2:USER_SGPR: 6
; COMPUTE_PGM_RSRC2:TRAP_HANDLER: 0
; COMPUTE_PGM_RSRC2:TGID_X_EN: 1
; COMPUTE_PGM_RSRC2:TGID_Y_EN: 0
; COMPUTE_PGM_RSRC2:TGID_Z_EN: 0
; COMPUTE_PGM_RSRC2:TIDIG_COMP_CNT: 0
; COMPUTE_PGM_RSRC3_GFX90A:ACCUM_OFFSET: 0
; COMPUTE_PGM_RSRC3_GFX90A:TG_SPLIT: 0
	.section	.text._ZN7rocprim17ROCPRIM_400000_NS6detail17trampoline_kernelINS0_14default_configENS1_35radix_sort_onesweep_config_selectorIiNS0_10empty_typeEEEZZNS1_29radix_sort_onesweep_iterationIS3_Lb1EPiS8_PS5_S9_mNS0_19identity_decomposerENS1_16block_id_wrapperIjLb0EEEEE10hipError_tT1_PNSt15iterator_traitsISE_E10value_typeET2_T3_PNSF_ISK_E10value_typeET4_T5_PSP_SQ_PNS1_23onesweep_lookback_stateEbbT6_jjT7_P12ihipStream_tbENKUlT_T0_SE_SJ_E_clIS8_S8_S9_S9_EEDaSX_SY_SE_SJ_EUlSX_E_NS1_11comp_targetILNS1_3genE6ELNS1_11target_archE950ELNS1_3gpuE13ELNS1_3repE0EEENS1_47radix_sort_onesweep_sort_config_static_selectorELNS0_4arch9wavefront6targetE1EEEvSE_,"axG",@progbits,_ZN7rocprim17ROCPRIM_400000_NS6detail17trampoline_kernelINS0_14default_configENS1_35radix_sort_onesweep_config_selectorIiNS0_10empty_typeEEEZZNS1_29radix_sort_onesweep_iterationIS3_Lb1EPiS8_PS5_S9_mNS0_19identity_decomposerENS1_16block_id_wrapperIjLb0EEEEE10hipError_tT1_PNSt15iterator_traitsISE_E10value_typeET2_T3_PNSF_ISK_E10value_typeET4_T5_PSP_SQ_PNS1_23onesweep_lookback_stateEbbT6_jjT7_P12ihipStream_tbENKUlT_T0_SE_SJ_E_clIS8_S8_S9_S9_EEDaSX_SY_SE_SJ_EUlSX_E_NS1_11comp_targetILNS1_3genE6ELNS1_11target_archE950ELNS1_3gpuE13ELNS1_3repE0EEENS1_47radix_sort_onesweep_sort_config_static_selectorELNS0_4arch9wavefront6targetE1EEEvSE_,comdat
	.protected	_ZN7rocprim17ROCPRIM_400000_NS6detail17trampoline_kernelINS0_14default_configENS1_35radix_sort_onesweep_config_selectorIiNS0_10empty_typeEEEZZNS1_29radix_sort_onesweep_iterationIS3_Lb1EPiS8_PS5_S9_mNS0_19identity_decomposerENS1_16block_id_wrapperIjLb0EEEEE10hipError_tT1_PNSt15iterator_traitsISE_E10value_typeET2_T3_PNSF_ISK_E10value_typeET4_T5_PSP_SQ_PNS1_23onesweep_lookback_stateEbbT6_jjT7_P12ihipStream_tbENKUlT_T0_SE_SJ_E_clIS8_S8_S9_S9_EEDaSX_SY_SE_SJ_EUlSX_E_NS1_11comp_targetILNS1_3genE6ELNS1_11target_archE950ELNS1_3gpuE13ELNS1_3repE0EEENS1_47radix_sort_onesweep_sort_config_static_selectorELNS0_4arch9wavefront6targetE1EEEvSE_ ; -- Begin function _ZN7rocprim17ROCPRIM_400000_NS6detail17trampoline_kernelINS0_14default_configENS1_35radix_sort_onesweep_config_selectorIiNS0_10empty_typeEEEZZNS1_29radix_sort_onesweep_iterationIS3_Lb1EPiS8_PS5_S9_mNS0_19identity_decomposerENS1_16block_id_wrapperIjLb0EEEEE10hipError_tT1_PNSt15iterator_traitsISE_E10value_typeET2_T3_PNSF_ISK_E10value_typeET4_T5_PSP_SQ_PNS1_23onesweep_lookback_stateEbbT6_jjT7_P12ihipStream_tbENKUlT_T0_SE_SJ_E_clIS8_S8_S9_S9_EEDaSX_SY_SE_SJ_EUlSX_E_NS1_11comp_targetILNS1_3genE6ELNS1_11target_archE950ELNS1_3gpuE13ELNS1_3repE0EEENS1_47radix_sort_onesweep_sort_config_static_selectorELNS0_4arch9wavefront6targetE1EEEvSE_
	.globl	_ZN7rocprim17ROCPRIM_400000_NS6detail17trampoline_kernelINS0_14default_configENS1_35radix_sort_onesweep_config_selectorIiNS0_10empty_typeEEEZZNS1_29radix_sort_onesweep_iterationIS3_Lb1EPiS8_PS5_S9_mNS0_19identity_decomposerENS1_16block_id_wrapperIjLb0EEEEE10hipError_tT1_PNSt15iterator_traitsISE_E10value_typeET2_T3_PNSF_ISK_E10value_typeET4_T5_PSP_SQ_PNS1_23onesweep_lookback_stateEbbT6_jjT7_P12ihipStream_tbENKUlT_T0_SE_SJ_E_clIS8_S8_S9_S9_EEDaSX_SY_SE_SJ_EUlSX_E_NS1_11comp_targetILNS1_3genE6ELNS1_11target_archE950ELNS1_3gpuE13ELNS1_3repE0EEENS1_47radix_sort_onesweep_sort_config_static_selectorELNS0_4arch9wavefront6targetE1EEEvSE_
	.p2align	8
	.type	_ZN7rocprim17ROCPRIM_400000_NS6detail17trampoline_kernelINS0_14default_configENS1_35radix_sort_onesweep_config_selectorIiNS0_10empty_typeEEEZZNS1_29radix_sort_onesweep_iterationIS3_Lb1EPiS8_PS5_S9_mNS0_19identity_decomposerENS1_16block_id_wrapperIjLb0EEEEE10hipError_tT1_PNSt15iterator_traitsISE_E10value_typeET2_T3_PNSF_ISK_E10value_typeET4_T5_PSP_SQ_PNS1_23onesweep_lookback_stateEbbT6_jjT7_P12ihipStream_tbENKUlT_T0_SE_SJ_E_clIS8_S8_S9_S9_EEDaSX_SY_SE_SJ_EUlSX_E_NS1_11comp_targetILNS1_3genE6ELNS1_11target_archE950ELNS1_3gpuE13ELNS1_3repE0EEENS1_47radix_sort_onesweep_sort_config_static_selectorELNS0_4arch9wavefront6targetE1EEEvSE_,@function
_ZN7rocprim17ROCPRIM_400000_NS6detail17trampoline_kernelINS0_14default_configENS1_35radix_sort_onesweep_config_selectorIiNS0_10empty_typeEEEZZNS1_29radix_sort_onesweep_iterationIS3_Lb1EPiS8_PS5_S9_mNS0_19identity_decomposerENS1_16block_id_wrapperIjLb0EEEEE10hipError_tT1_PNSt15iterator_traitsISE_E10value_typeET2_T3_PNSF_ISK_E10value_typeET4_T5_PSP_SQ_PNS1_23onesweep_lookback_stateEbbT6_jjT7_P12ihipStream_tbENKUlT_T0_SE_SJ_E_clIS8_S8_S9_S9_EEDaSX_SY_SE_SJ_EUlSX_E_NS1_11comp_targetILNS1_3genE6ELNS1_11target_archE950ELNS1_3gpuE13ELNS1_3repE0EEENS1_47radix_sort_onesweep_sort_config_static_selectorELNS0_4arch9wavefront6targetE1EEEvSE_: ; @_ZN7rocprim17ROCPRIM_400000_NS6detail17trampoline_kernelINS0_14default_configENS1_35radix_sort_onesweep_config_selectorIiNS0_10empty_typeEEEZZNS1_29radix_sort_onesweep_iterationIS3_Lb1EPiS8_PS5_S9_mNS0_19identity_decomposerENS1_16block_id_wrapperIjLb0EEEEE10hipError_tT1_PNSt15iterator_traitsISE_E10value_typeET2_T3_PNSF_ISK_E10value_typeET4_T5_PSP_SQ_PNS1_23onesweep_lookback_stateEbbT6_jjT7_P12ihipStream_tbENKUlT_T0_SE_SJ_E_clIS8_S8_S9_S9_EEDaSX_SY_SE_SJ_EUlSX_E_NS1_11comp_targetILNS1_3genE6ELNS1_11target_archE950ELNS1_3gpuE13ELNS1_3repE0EEENS1_47radix_sort_onesweep_sort_config_static_selectorELNS0_4arch9wavefront6targetE1EEEvSE_
; %bb.0:
	.section	.rodata,"a",@progbits
	.p2align	6, 0x0
	.amdhsa_kernel _ZN7rocprim17ROCPRIM_400000_NS6detail17trampoline_kernelINS0_14default_configENS1_35radix_sort_onesweep_config_selectorIiNS0_10empty_typeEEEZZNS1_29radix_sort_onesweep_iterationIS3_Lb1EPiS8_PS5_S9_mNS0_19identity_decomposerENS1_16block_id_wrapperIjLb0EEEEE10hipError_tT1_PNSt15iterator_traitsISE_E10value_typeET2_T3_PNSF_ISK_E10value_typeET4_T5_PSP_SQ_PNS1_23onesweep_lookback_stateEbbT6_jjT7_P12ihipStream_tbENKUlT_T0_SE_SJ_E_clIS8_S8_S9_S9_EEDaSX_SY_SE_SJ_EUlSX_E_NS1_11comp_targetILNS1_3genE6ELNS1_11target_archE950ELNS1_3gpuE13ELNS1_3repE0EEENS1_47radix_sort_onesweep_sort_config_static_selectorELNS0_4arch9wavefront6targetE1EEEvSE_
		.amdhsa_group_segment_fixed_size 0
		.amdhsa_private_segment_fixed_size 0
		.amdhsa_kernarg_size 88
		.amdhsa_user_sgpr_count 6
		.amdhsa_user_sgpr_private_segment_buffer 1
		.amdhsa_user_sgpr_dispatch_ptr 0
		.amdhsa_user_sgpr_queue_ptr 0
		.amdhsa_user_sgpr_kernarg_segment_ptr 1
		.amdhsa_user_sgpr_dispatch_id 0
		.amdhsa_user_sgpr_flat_scratch_init 0
		.amdhsa_user_sgpr_kernarg_preload_length 0
		.amdhsa_user_sgpr_kernarg_preload_offset 0
		.amdhsa_user_sgpr_private_segment_size 0
		.amdhsa_uses_dynamic_stack 0
		.amdhsa_system_sgpr_private_segment_wavefront_offset 0
		.amdhsa_system_sgpr_workgroup_id_x 1
		.amdhsa_system_sgpr_workgroup_id_y 0
		.amdhsa_system_sgpr_workgroup_id_z 0
		.amdhsa_system_sgpr_workgroup_info 0
		.amdhsa_system_vgpr_workitem_id 0
		.amdhsa_next_free_vgpr 1
		.amdhsa_next_free_sgpr 0
		.amdhsa_accum_offset 4
		.amdhsa_reserve_vcc 0
		.amdhsa_reserve_flat_scratch 0
		.amdhsa_float_round_mode_32 0
		.amdhsa_float_round_mode_16_64 0
		.amdhsa_float_denorm_mode_32 3
		.amdhsa_float_denorm_mode_16_64 3
		.amdhsa_dx10_clamp 1
		.amdhsa_ieee_mode 1
		.amdhsa_fp16_overflow 0
		.amdhsa_tg_split 0
		.amdhsa_exception_fp_ieee_invalid_op 0
		.amdhsa_exception_fp_denorm_src 0
		.amdhsa_exception_fp_ieee_div_zero 0
		.amdhsa_exception_fp_ieee_overflow 0
		.amdhsa_exception_fp_ieee_underflow 0
		.amdhsa_exception_fp_ieee_inexact 0
		.amdhsa_exception_int_div_zero 0
	.end_amdhsa_kernel
	.section	.text._ZN7rocprim17ROCPRIM_400000_NS6detail17trampoline_kernelINS0_14default_configENS1_35radix_sort_onesweep_config_selectorIiNS0_10empty_typeEEEZZNS1_29radix_sort_onesweep_iterationIS3_Lb1EPiS8_PS5_S9_mNS0_19identity_decomposerENS1_16block_id_wrapperIjLb0EEEEE10hipError_tT1_PNSt15iterator_traitsISE_E10value_typeET2_T3_PNSF_ISK_E10value_typeET4_T5_PSP_SQ_PNS1_23onesweep_lookback_stateEbbT6_jjT7_P12ihipStream_tbENKUlT_T0_SE_SJ_E_clIS8_S8_S9_S9_EEDaSX_SY_SE_SJ_EUlSX_E_NS1_11comp_targetILNS1_3genE6ELNS1_11target_archE950ELNS1_3gpuE13ELNS1_3repE0EEENS1_47radix_sort_onesweep_sort_config_static_selectorELNS0_4arch9wavefront6targetE1EEEvSE_,"axG",@progbits,_ZN7rocprim17ROCPRIM_400000_NS6detail17trampoline_kernelINS0_14default_configENS1_35radix_sort_onesweep_config_selectorIiNS0_10empty_typeEEEZZNS1_29radix_sort_onesweep_iterationIS3_Lb1EPiS8_PS5_S9_mNS0_19identity_decomposerENS1_16block_id_wrapperIjLb0EEEEE10hipError_tT1_PNSt15iterator_traitsISE_E10value_typeET2_T3_PNSF_ISK_E10value_typeET4_T5_PSP_SQ_PNS1_23onesweep_lookback_stateEbbT6_jjT7_P12ihipStream_tbENKUlT_T0_SE_SJ_E_clIS8_S8_S9_S9_EEDaSX_SY_SE_SJ_EUlSX_E_NS1_11comp_targetILNS1_3genE6ELNS1_11target_archE950ELNS1_3gpuE13ELNS1_3repE0EEENS1_47radix_sort_onesweep_sort_config_static_selectorELNS0_4arch9wavefront6targetE1EEEvSE_,comdat
.Lfunc_end2022:
	.size	_ZN7rocprim17ROCPRIM_400000_NS6detail17trampoline_kernelINS0_14default_configENS1_35radix_sort_onesweep_config_selectorIiNS0_10empty_typeEEEZZNS1_29radix_sort_onesweep_iterationIS3_Lb1EPiS8_PS5_S9_mNS0_19identity_decomposerENS1_16block_id_wrapperIjLb0EEEEE10hipError_tT1_PNSt15iterator_traitsISE_E10value_typeET2_T3_PNSF_ISK_E10value_typeET4_T5_PSP_SQ_PNS1_23onesweep_lookback_stateEbbT6_jjT7_P12ihipStream_tbENKUlT_T0_SE_SJ_E_clIS8_S8_S9_S9_EEDaSX_SY_SE_SJ_EUlSX_E_NS1_11comp_targetILNS1_3genE6ELNS1_11target_archE950ELNS1_3gpuE13ELNS1_3repE0EEENS1_47radix_sort_onesweep_sort_config_static_selectorELNS0_4arch9wavefront6targetE1EEEvSE_, .Lfunc_end2022-_ZN7rocprim17ROCPRIM_400000_NS6detail17trampoline_kernelINS0_14default_configENS1_35radix_sort_onesweep_config_selectorIiNS0_10empty_typeEEEZZNS1_29radix_sort_onesweep_iterationIS3_Lb1EPiS8_PS5_S9_mNS0_19identity_decomposerENS1_16block_id_wrapperIjLb0EEEEE10hipError_tT1_PNSt15iterator_traitsISE_E10value_typeET2_T3_PNSF_ISK_E10value_typeET4_T5_PSP_SQ_PNS1_23onesweep_lookback_stateEbbT6_jjT7_P12ihipStream_tbENKUlT_T0_SE_SJ_E_clIS8_S8_S9_S9_EEDaSX_SY_SE_SJ_EUlSX_E_NS1_11comp_targetILNS1_3genE6ELNS1_11target_archE950ELNS1_3gpuE13ELNS1_3repE0EEENS1_47radix_sort_onesweep_sort_config_static_selectorELNS0_4arch9wavefront6targetE1EEEvSE_
                                        ; -- End function
	.section	.AMDGPU.csdata,"",@progbits
; Kernel info:
; codeLenInByte = 0
; NumSgprs: 4
; NumVgprs: 0
; NumAgprs: 0
; TotalNumVgprs: 0
; ScratchSize: 0
; MemoryBound: 0
; FloatMode: 240
; IeeeMode: 1
; LDSByteSize: 0 bytes/workgroup (compile time only)
; SGPRBlocks: 0
; VGPRBlocks: 0
; NumSGPRsForWavesPerEU: 4
; NumVGPRsForWavesPerEU: 1
; AccumOffset: 4
; Occupancy: 8
; WaveLimiterHint : 0
; COMPUTE_PGM_RSRC2:SCRATCH_EN: 0
; COMPUTE_PGM_RSRC2:USER_SGPR: 6
; COMPUTE_PGM_RSRC2:TRAP_HANDLER: 0
; COMPUTE_PGM_RSRC2:TGID_X_EN: 1
; COMPUTE_PGM_RSRC2:TGID_Y_EN: 0
; COMPUTE_PGM_RSRC2:TGID_Z_EN: 0
; COMPUTE_PGM_RSRC2:TIDIG_COMP_CNT: 0
; COMPUTE_PGM_RSRC3_GFX90A:ACCUM_OFFSET: 0
; COMPUTE_PGM_RSRC3_GFX90A:TG_SPLIT: 0
	.section	.text._ZN7rocprim17ROCPRIM_400000_NS6detail17trampoline_kernelINS0_14default_configENS1_35radix_sort_onesweep_config_selectorIiNS0_10empty_typeEEEZZNS1_29radix_sort_onesweep_iterationIS3_Lb1EPiS8_PS5_S9_mNS0_19identity_decomposerENS1_16block_id_wrapperIjLb0EEEEE10hipError_tT1_PNSt15iterator_traitsISE_E10value_typeET2_T3_PNSF_ISK_E10value_typeET4_T5_PSP_SQ_PNS1_23onesweep_lookback_stateEbbT6_jjT7_P12ihipStream_tbENKUlT_T0_SE_SJ_E_clIS8_S8_S9_S9_EEDaSX_SY_SE_SJ_EUlSX_E_NS1_11comp_targetILNS1_3genE5ELNS1_11target_archE942ELNS1_3gpuE9ELNS1_3repE0EEENS1_47radix_sort_onesweep_sort_config_static_selectorELNS0_4arch9wavefront6targetE1EEEvSE_,"axG",@progbits,_ZN7rocprim17ROCPRIM_400000_NS6detail17trampoline_kernelINS0_14default_configENS1_35radix_sort_onesweep_config_selectorIiNS0_10empty_typeEEEZZNS1_29radix_sort_onesweep_iterationIS3_Lb1EPiS8_PS5_S9_mNS0_19identity_decomposerENS1_16block_id_wrapperIjLb0EEEEE10hipError_tT1_PNSt15iterator_traitsISE_E10value_typeET2_T3_PNSF_ISK_E10value_typeET4_T5_PSP_SQ_PNS1_23onesweep_lookback_stateEbbT6_jjT7_P12ihipStream_tbENKUlT_T0_SE_SJ_E_clIS8_S8_S9_S9_EEDaSX_SY_SE_SJ_EUlSX_E_NS1_11comp_targetILNS1_3genE5ELNS1_11target_archE942ELNS1_3gpuE9ELNS1_3repE0EEENS1_47radix_sort_onesweep_sort_config_static_selectorELNS0_4arch9wavefront6targetE1EEEvSE_,comdat
	.protected	_ZN7rocprim17ROCPRIM_400000_NS6detail17trampoline_kernelINS0_14default_configENS1_35radix_sort_onesweep_config_selectorIiNS0_10empty_typeEEEZZNS1_29radix_sort_onesweep_iterationIS3_Lb1EPiS8_PS5_S9_mNS0_19identity_decomposerENS1_16block_id_wrapperIjLb0EEEEE10hipError_tT1_PNSt15iterator_traitsISE_E10value_typeET2_T3_PNSF_ISK_E10value_typeET4_T5_PSP_SQ_PNS1_23onesweep_lookback_stateEbbT6_jjT7_P12ihipStream_tbENKUlT_T0_SE_SJ_E_clIS8_S8_S9_S9_EEDaSX_SY_SE_SJ_EUlSX_E_NS1_11comp_targetILNS1_3genE5ELNS1_11target_archE942ELNS1_3gpuE9ELNS1_3repE0EEENS1_47radix_sort_onesweep_sort_config_static_selectorELNS0_4arch9wavefront6targetE1EEEvSE_ ; -- Begin function _ZN7rocprim17ROCPRIM_400000_NS6detail17trampoline_kernelINS0_14default_configENS1_35radix_sort_onesweep_config_selectorIiNS0_10empty_typeEEEZZNS1_29radix_sort_onesweep_iterationIS3_Lb1EPiS8_PS5_S9_mNS0_19identity_decomposerENS1_16block_id_wrapperIjLb0EEEEE10hipError_tT1_PNSt15iterator_traitsISE_E10value_typeET2_T3_PNSF_ISK_E10value_typeET4_T5_PSP_SQ_PNS1_23onesweep_lookback_stateEbbT6_jjT7_P12ihipStream_tbENKUlT_T0_SE_SJ_E_clIS8_S8_S9_S9_EEDaSX_SY_SE_SJ_EUlSX_E_NS1_11comp_targetILNS1_3genE5ELNS1_11target_archE942ELNS1_3gpuE9ELNS1_3repE0EEENS1_47radix_sort_onesweep_sort_config_static_selectorELNS0_4arch9wavefront6targetE1EEEvSE_
	.globl	_ZN7rocprim17ROCPRIM_400000_NS6detail17trampoline_kernelINS0_14default_configENS1_35radix_sort_onesweep_config_selectorIiNS0_10empty_typeEEEZZNS1_29radix_sort_onesweep_iterationIS3_Lb1EPiS8_PS5_S9_mNS0_19identity_decomposerENS1_16block_id_wrapperIjLb0EEEEE10hipError_tT1_PNSt15iterator_traitsISE_E10value_typeET2_T3_PNSF_ISK_E10value_typeET4_T5_PSP_SQ_PNS1_23onesweep_lookback_stateEbbT6_jjT7_P12ihipStream_tbENKUlT_T0_SE_SJ_E_clIS8_S8_S9_S9_EEDaSX_SY_SE_SJ_EUlSX_E_NS1_11comp_targetILNS1_3genE5ELNS1_11target_archE942ELNS1_3gpuE9ELNS1_3repE0EEENS1_47radix_sort_onesweep_sort_config_static_selectorELNS0_4arch9wavefront6targetE1EEEvSE_
	.p2align	8
	.type	_ZN7rocprim17ROCPRIM_400000_NS6detail17trampoline_kernelINS0_14default_configENS1_35radix_sort_onesweep_config_selectorIiNS0_10empty_typeEEEZZNS1_29radix_sort_onesweep_iterationIS3_Lb1EPiS8_PS5_S9_mNS0_19identity_decomposerENS1_16block_id_wrapperIjLb0EEEEE10hipError_tT1_PNSt15iterator_traitsISE_E10value_typeET2_T3_PNSF_ISK_E10value_typeET4_T5_PSP_SQ_PNS1_23onesweep_lookback_stateEbbT6_jjT7_P12ihipStream_tbENKUlT_T0_SE_SJ_E_clIS8_S8_S9_S9_EEDaSX_SY_SE_SJ_EUlSX_E_NS1_11comp_targetILNS1_3genE5ELNS1_11target_archE942ELNS1_3gpuE9ELNS1_3repE0EEENS1_47radix_sort_onesweep_sort_config_static_selectorELNS0_4arch9wavefront6targetE1EEEvSE_,@function
_ZN7rocprim17ROCPRIM_400000_NS6detail17trampoline_kernelINS0_14default_configENS1_35radix_sort_onesweep_config_selectorIiNS0_10empty_typeEEEZZNS1_29radix_sort_onesweep_iterationIS3_Lb1EPiS8_PS5_S9_mNS0_19identity_decomposerENS1_16block_id_wrapperIjLb0EEEEE10hipError_tT1_PNSt15iterator_traitsISE_E10value_typeET2_T3_PNSF_ISK_E10value_typeET4_T5_PSP_SQ_PNS1_23onesweep_lookback_stateEbbT6_jjT7_P12ihipStream_tbENKUlT_T0_SE_SJ_E_clIS8_S8_S9_S9_EEDaSX_SY_SE_SJ_EUlSX_E_NS1_11comp_targetILNS1_3genE5ELNS1_11target_archE942ELNS1_3gpuE9ELNS1_3repE0EEENS1_47radix_sort_onesweep_sort_config_static_selectorELNS0_4arch9wavefront6targetE1EEEvSE_: ; @_ZN7rocprim17ROCPRIM_400000_NS6detail17trampoline_kernelINS0_14default_configENS1_35radix_sort_onesweep_config_selectorIiNS0_10empty_typeEEEZZNS1_29radix_sort_onesweep_iterationIS3_Lb1EPiS8_PS5_S9_mNS0_19identity_decomposerENS1_16block_id_wrapperIjLb0EEEEE10hipError_tT1_PNSt15iterator_traitsISE_E10value_typeET2_T3_PNSF_ISK_E10value_typeET4_T5_PSP_SQ_PNS1_23onesweep_lookback_stateEbbT6_jjT7_P12ihipStream_tbENKUlT_T0_SE_SJ_E_clIS8_S8_S9_S9_EEDaSX_SY_SE_SJ_EUlSX_E_NS1_11comp_targetILNS1_3genE5ELNS1_11target_archE942ELNS1_3gpuE9ELNS1_3repE0EEENS1_47radix_sort_onesweep_sort_config_static_selectorELNS0_4arch9wavefront6targetE1EEEvSE_
; %bb.0:
	.section	.rodata,"a",@progbits
	.p2align	6, 0x0
	.amdhsa_kernel _ZN7rocprim17ROCPRIM_400000_NS6detail17trampoline_kernelINS0_14default_configENS1_35radix_sort_onesweep_config_selectorIiNS0_10empty_typeEEEZZNS1_29radix_sort_onesweep_iterationIS3_Lb1EPiS8_PS5_S9_mNS0_19identity_decomposerENS1_16block_id_wrapperIjLb0EEEEE10hipError_tT1_PNSt15iterator_traitsISE_E10value_typeET2_T3_PNSF_ISK_E10value_typeET4_T5_PSP_SQ_PNS1_23onesweep_lookback_stateEbbT6_jjT7_P12ihipStream_tbENKUlT_T0_SE_SJ_E_clIS8_S8_S9_S9_EEDaSX_SY_SE_SJ_EUlSX_E_NS1_11comp_targetILNS1_3genE5ELNS1_11target_archE942ELNS1_3gpuE9ELNS1_3repE0EEENS1_47radix_sort_onesweep_sort_config_static_selectorELNS0_4arch9wavefront6targetE1EEEvSE_
		.amdhsa_group_segment_fixed_size 0
		.amdhsa_private_segment_fixed_size 0
		.amdhsa_kernarg_size 88
		.amdhsa_user_sgpr_count 6
		.amdhsa_user_sgpr_private_segment_buffer 1
		.amdhsa_user_sgpr_dispatch_ptr 0
		.amdhsa_user_sgpr_queue_ptr 0
		.amdhsa_user_sgpr_kernarg_segment_ptr 1
		.amdhsa_user_sgpr_dispatch_id 0
		.amdhsa_user_sgpr_flat_scratch_init 0
		.amdhsa_user_sgpr_kernarg_preload_length 0
		.amdhsa_user_sgpr_kernarg_preload_offset 0
		.amdhsa_user_sgpr_private_segment_size 0
		.amdhsa_uses_dynamic_stack 0
		.amdhsa_system_sgpr_private_segment_wavefront_offset 0
		.amdhsa_system_sgpr_workgroup_id_x 1
		.amdhsa_system_sgpr_workgroup_id_y 0
		.amdhsa_system_sgpr_workgroup_id_z 0
		.amdhsa_system_sgpr_workgroup_info 0
		.amdhsa_system_vgpr_workitem_id 0
		.amdhsa_next_free_vgpr 1
		.amdhsa_next_free_sgpr 0
		.amdhsa_accum_offset 4
		.amdhsa_reserve_vcc 0
		.amdhsa_reserve_flat_scratch 0
		.amdhsa_float_round_mode_32 0
		.amdhsa_float_round_mode_16_64 0
		.amdhsa_float_denorm_mode_32 3
		.amdhsa_float_denorm_mode_16_64 3
		.amdhsa_dx10_clamp 1
		.amdhsa_ieee_mode 1
		.amdhsa_fp16_overflow 0
		.amdhsa_tg_split 0
		.amdhsa_exception_fp_ieee_invalid_op 0
		.amdhsa_exception_fp_denorm_src 0
		.amdhsa_exception_fp_ieee_div_zero 0
		.amdhsa_exception_fp_ieee_overflow 0
		.amdhsa_exception_fp_ieee_underflow 0
		.amdhsa_exception_fp_ieee_inexact 0
		.amdhsa_exception_int_div_zero 0
	.end_amdhsa_kernel
	.section	.text._ZN7rocprim17ROCPRIM_400000_NS6detail17trampoline_kernelINS0_14default_configENS1_35radix_sort_onesweep_config_selectorIiNS0_10empty_typeEEEZZNS1_29radix_sort_onesweep_iterationIS3_Lb1EPiS8_PS5_S9_mNS0_19identity_decomposerENS1_16block_id_wrapperIjLb0EEEEE10hipError_tT1_PNSt15iterator_traitsISE_E10value_typeET2_T3_PNSF_ISK_E10value_typeET4_T5_PSP_SQ_PNS1_23onesweep_lookback_stateEbbT6_jjT7_P12ihipStream_tbENKUlT_T0_SE_SJ_E_clIS8_S8_S9_S9_EEDaSX_SY_SE_SJ_EUlSX_E_NS1_11comp_targetILNS1_3genE5ELNS1_11target_archE942ELNS1_3gpuE9ELNS1_3repE0EEENS1_47radix_sort_onesweep_sort_config_static_selectorELNS0_4arch9wavefront6targetE1EEEvSE_,"axG",@progbits,_ZN7rocprim17ROCPRIM_400000_NS6detail17trampoline_kernelINS0_14default_configENS1_35radix_sort_onesweep_config_selectorIiNS0_10empty_typeEEEZZNS1_29radix_sort_onesweep_iterationIS3_Lb1EPiS8_PS5_S9_mNS0_19identity_decomposerENS1_16block_id_wrapperIjLb0EEEEE10hipError_tT1_PNSt15iterator_traitsISE_E10value_typeET2_T3_PNSF_ISK_E10value_typeET4_T5_PSP_SQ_PNS1_23onesweep_lookback_stateEbbT6_jjT7_P12ihipStream_tbENKUlT_T0_SE_SJ_E_clIS8_S8_S9_S9_EEDaSX_SY_SE_SJ_EUlSX_E_NS1_11comp_targetILNS1_3genE5ELNS1_11target_archE942ELNS1_3gpuE9ELNS1_3repE0EEENS1_47radix_sort_onesweep_sort_config_static_selectorELNS0_4arch9wavefront6targetE1EEEvSE_,comdat
.Lfunc_end2023:
	.size	_ZN7rocprim17ROCPRIM_400000_NS6detail17trampoline_kernelINS0_14default_configENS1_35radix_sort_onesweep_config_selectorIiNS0_10empty_typeEEEZZNS1_29radix_sort_onesweep_iterationIS3_Lb1EPiS8_PS5_S9_mNS0_19identity_decomposerENS1_16block_id_wrapperIjLb0EEEEE10hipError_tT1_PNSt15iterator_traitsISE_E10value_typeET2_T3_PNSF_ISK_E10value_typeET4_T5_PSP_SQ_PNS1_23onesweep_lookback_stateEbbT6_jjT7_P12ihipStream_tbENKUlT_T0_SE_SJ_E_clIS8_S8_S9_S9_EEDaSX_SY_SE_SJ_EUlSX_E_NS1_11comp_targetILNS1_3genE5ELNS1_11target_archE942ELNS1_3gpuE9ELNS1_3repE0EEENS1_47radix_sort_onesweep_sort_config_static_selectorELNS0_4arch9wavefront6targetE1EEEvSE_, .Lfunc_end2023-_ZN7rocprim17ROCPRIM_400000_NS6detail17trampoline_kernelINS0_14default_configENS1_35radix_sort_onesweep_config_selectorIiNS0_10empty_typeEEEZZNS1_29radix_sort_onesweep_iterationIS3_Lb1EPiS8_PS5_S9_mNS0_19identity_decomposerENS1_16block_id_wrapperIjLb0EEEEE10hipError_tT1_PNSt15iterator_traitsISE_E10value_typeET2_T3_PNSF_ISK_E10value_typeET4_T5_PSP_SQ_PNS1_23onesweep_lookback_stateEbbT6_jjT7_P12ihipStream_tbENKUlT_T0_SE_SJ_E_clIS8_S8_S9_S9_EEDaSX_SY_SE_SJ_EUlSX_E_NS1_11comp_targetILNS1_3genE5ELNS1_11target_archE942ELNS1_3gpuE9ELNS1_3repE0EEENS1_47radix_sort_onesweep_sort_config_static_selectorELNS0_4arch9wavefront6targetE1EEEvSE_
                                        ; -- End function
	.section	.AMDGPU.csdata,"",@progbits
; Kernel info:
; codeLenInByte = 0
; NumSgprs: 4
; NumVgprs: 0
; NumAgprs: 0
; TotalNumVgprs: 0
; ScratchSize: 0
; MemoryBound: 0
; FloatMode: 240
; IeeeMode: 1
; LDSByteSize: 0 bytes/workgroup (compile time only)
; SGPRBlocks: 0
; VGPRBlocks: 0
; NumSGPRsForWavesPerEU: 4
; NumVGPRsForWavesPerEU: 1
; AccumOffset: 4
; Occupancy: 8
; WaveLimiterHint : 0
; COMPUTE_PGM_RSRC2:SCRATCH_EN: 0
; COMPUTE_PGM_RSRC2:USER_SGPR: 6
; COMPUTE_PGM_RSRC2:TRAP_HANDLER: 0
; COMPUTE_PGM_RSRC2:TGID_X_EN: 1
; COMPUTE_PGM_RSRC2:TGID_Y_EN: 0
; COMPUTE_PGM_RSRC2:TGID_Z_EN: 0
; COMPUTE_PGM_RSRC2:TIDIG_COMP_CNT: 0
; COMPUTE_PGM_RSRC3_GFX90A:ACCUM_OFFSET: 0
; COMPUTE_PGM_RSRC3_GFX90A:TG_SPLIT: 0
	.section	.text._ZN7rocprim17ROCPRIM_400000_NS6detail17trampoline_kernelINS0_14default_configENS1_35radix_sort_onesweep_config_selectorIiNS0_10empty_typeEEEZZNS1_29radix_sort_onesweep_iterationIS3_Lb1EPiS8_PS5_S9_mNS0_19identity_decomposerENS1_16block_id_wrapperIjLb0EEEEE10hipError_tT1_PNSt15iterator_traitsISE_E10value_typeET2_T3_PNSF_ISK_E10value_typeET4_T5_PSP_SQ_PNS1_23onesweep_lookback_stateEbbT6_jjT7_P12ihipStream_tbENKUlT_T0_SE_SJ_E_clIS8_S8_S9_S9_EEDaSX_SY_SE_SJ_EUlSX_E_NS1_11comp_targetILNS1_3genE2ELNS1_11target_archE906ELNS1_3gpuE6ELNS1_3repE0EEENS1_47radix_sort_onesweep_sort_config_static_selectorELNS0_4arch9wavefront6targetE1EEEvSE_,"axG",@progbits,_ZN7rocprim17ROCPRIM_400000_NS6detail17trampoline_kernelINS0_14default_configENS1_35radix_sort_onesweep_config_selectorIiNS0_10empty_typeEEEZZNS1_29radix_sort_onesweep_iterationIS3_Lb1EPiS8_PS5_S9_mNS0_19identity_decomposerENS1_16block_id_wrapperIjLb0EEEEE10hipError_tT1_PNSt15iterator_traitsISE_E10value_typeET2_T3_PNSF_ISK_E10value_typeET4_T5_PSP_SQ_PNS1_23onesweep_lookback_stateEbbT6_jjT7_P12ihipStream_tbENKUlT_T0_SE_SJ_E_clIS8_S8_S9_S9_EEDaSX_SY_SE_SJ_EUlSX_E_NS1_11comp_targetILNS1_3genE2ELNS1_11target_archE906ELNS1_3gpuE6ELNS1_3repE0EEENS1_47radix_sort_onesweep_sort_config_static_selectorELNS0_4arch9wavefront6targetE1EEEvSE_,comdat
	.protected	_ZN7rocprim17ROCPRIM_400000_NS6detail17trampoline_kernelINS0_14default_configENS1_35radix_sort_onesweep_config_selectorIiNS0_10empty_typeEEEZZNS1_29radix_sort_onesweep_iterationIS3_Lb1EPiS8_PS5_S9_mNS0_19identity_decomposerENS1_16block_id_wrapperIjLb0EEEEE10hipError_tT1_PNSt15iterator_traitsISE_E10value_typeET2_T3_PNSF_ISK_E10value_typeET4_T5_PSP_SQ_PNS1_23onesweep_lookback_stateEbbT6_jjT7_P12ihipStream_tbENKUlT_T0_SE_SJ_E_clIS8_S8_S9_S9_EEDaSX_SY_SE_SJ_EUlSX_E_NS1_11comp_targetILNS1_3genE2ELNS1_11target_archE906ELNS1_3gpuE6ELNS1_3repE0EEENS1_47radix_sort_onesweep_sort_config_static_selectorELNS0_4arch9wavefront6targetE1EEEvSE_ ; -- Begin function _ZN7rocprim17ROCPRIM_400000_NS6detail17trampoline_kernelINS0_14default_configENS1_35radix_sort_onesweep_config_selectorIiNS0_10empty_typeEEEZZNS1_29radix_sort_onesweep_iterationIS3_Lb1EPiS8_PS5_S9_mNS0_19identity_decomposerENS1_16block_id_wrapperIjLb0EEEEE10hipError_tT1_PNSt15iterator_traitsISE_E10value_typeET2_T3_PNSF_ISK_E10value_typeET4_T5_PSP_SQ_PNS1_23onesweep_lookback_stateEbbT6_jjT7_P12ihipStream_tbENKUlT_T0_SE_SJ_E_clIS8_S8_S9_S9_EEDaSX_SY_SE_SJ_EUlSX_E_NS1_11comp_targetILNS1_3genE2ELNS1_11target_archE906ELNS1_3gpuE6ELNS1_3repE0EEENS1_47radix_sort_onesweep_sort_config_static_selectorELNS0_4arch9wavefront6targetE1EEEvSE_
	.globl	_ZN7rocprim17ROCPRIM_400000_NS6detail17trampoline_kernelINS0_14default_configENS1_35radix_sort_onesweep_config_selectorIiNS0_10empty_typeEEEZZNS1_29radix_sort_onesweep_iterationIS3_Lb1EPiS8_PS5_S9_mNS0_19identity_decomposerENS1_16block_id_wrapperIjLb0EEEEE10hipError_tT1_PNSt15iterator_traitsISE_E10value_typeET2_T3_PNSF_ISK_E10value_typeET4_T5_PSP_SQ_PNS1_23onesweep_lookback_stateEbbT6_jjT7_P12ihipStream_tbENKUlT_T0_SE_SJ_E_clIS8_S8_S9_S9_EEDaSX_SY_SE_SJ_EUlSX_E_NS1_11comp_targetILNS1_3genE2ELNS1_11target_archE906ELNS1_3gpuE6ELNS1_3repE0EEENS1_47radix_sort_onesweep_sort_config_static_selectorELNS0_4arch9wavefront6targetE1EEEvSE_
	.p2align	8
	.type	_ZN7rocprim17ROCPRIM_400000_NS6detail17trampoline_kernelINS0_14default_configENS1_35radix_sort_onesweep_config_selectorIiNS0_10empty_typeEEEZZNS1_29radix_sort_onesweep_iterationIS3_Lb1EPiS8_PS5_S9_mNS0_19identity_decomposerENS1_16block_id_wrapperIjLb0EEEEE10hipError_tT1_PNSt15iterator_traitsISE_E10value_typeET2_T3_PNSF_ISK_E10value_typeET4_T5_PSP_SQ_PNS1_23onesweep_lookback_stateEbbT6_jjT7_P12ihipStream_tbENKUlT_T0_SE_SJ_E_clIS8_S8_S9_S9_EEDaSX_SY_SE_SJ_EUlSX_E_NS1_11comp_targetILNS1_3genE2ELNS1_11target_archE906ELNS1_3gpuE6ELNS1_3repE0EEENS1_47radix_sort_onesweep_sort_config_static_selectorELNS0_4arch9wavefront6targetE1EEEvSE_,@function
_ZN7rocprim17ROCPRIM_400000_NS6detail17trampoline_kernelINS0_14default_configENS1_35radix_sort_onesweep_config_selectorIiNS0_10empty_typeEEEZZNS1_29radix_sort_onesweep_iterationIS3_Lb1EPiS8_PS5_S9_mNS0_19identity_decomposerENS1_16block_id_wrapperIjLb0EEEEE10hipError_tT1_PNSt15iterator_traitsISE_E10value_typeET2_T3_PNSF_ISK_E10value_typeET4_T5_PSP_SQ_PNS1_23onesweep_lookback_stateEbbT6_jjT7_P12ihipStream_tbENKUlT_T0_SE_SJ_E_clIS8_S8_S9_S9_EEDaSX_SY_SE_SJ_EUlSX_E_NS1_11comp_targetILNS1_3genE2ELNS1_11target_archE906ELNS1_3gpuE6ELNS1_3repE0EEENS1_47radix_sort_onesweep_sort_config_static_selectorELNS0_4arch9wavefront6targetE1EEEvSE_: ; @_ZN7rocprim17ROCPRIM_400000_NS6detail17trampoline_kernelINS0_14default_configENS1_35radix_sort_onesweep_config_selectorIiNS0_10empty_typeEEEZZNS1_29radix_sort_onesweep_iterationIS3_Lb1EPiS8_PS5_S9_mNS0_19identity_decomposerENS1_16block_id_wrapperIjLb0EEEEE10hipError_tT1_PNSt15iterator_traitsISE_E10value_typeET2_T3_PNSF_ISK_E10value_typeET4_T5_PSP_SQ_PNS1_23onesweep_lookback_stateEbbT6_jjT7_P12ihipStream_tbENKUlT_T0_SE_SJ_E_clIS8_S8_S9_S9_EEDaSX_SY_SE_SJ_EUlSX_E_NS1_11comp_targetILNS1_3genE2ELNS1_11target_archE906ELNS1_3gpuE6ELNS1_3repE0EEENS1_47radix_sort_onesweep_sort_config_static_selectorELNS0_4arch9wavefront6targetE1EEEvSE_
; %bb.0:
	.section	.rodata,"a",@progbits
	.p2align	6, 0x0
	.amdhsa_kernel _ZN7rocprim17ROCPRIM_400000_NS6detail17trampoline_kernelINS0_14default_configENS1_35radix_sort_onesweep_config_selectorIiNS0_10empty_typeEEEZZNS1_29radix_sort_onesweep_iterationIS3_Lb1EPiS8_PS5_S9_mNS0_19identity_decomposerENS1_16block_id_wrapperIjLb0EEEEE10hipError_tT1_PNSt15iterator_traitsISE_E10value_typeET2_T3_PNSF_ISK_E10value_typeET4_T5_PSP_SQ_PNS1_23onesweep_lookback_stateEbbT6_jjT7_P12ihipStream_tbENKUlT_T0_SE_SJ_E_clIS8_S8_S9_S9_EEDaSX_SY_SE_SJ_EUlSX_E_NS1_11comp_targetILNS1_3genE2ELNS1_11target_archE906ELNS1_3gpuE6ELNS1_3repE0EEENS1_47radix_sort_onesweep_sort_config_static_selectorELNS0_4arch9wavefront6targetE1EEEvSE_
		.amdhsa_group_segment_fixed_size 0
		.amdhsa_private_segment_fixed_size 0
		.amdhsa_kernarg_size 88
		.amdhsa_user_sgpr_count 6
		.amdhsa_user_sgpr_private_segment_buffer 1
		.amdhsa_user_sgpr_dispatch_ptr 0
		.amdhsa_user_sgpr_queue_ptr 0
		.amdhsa_user_sgpr_kernarg_segment_ptr 1
		.amdhsa_user_sgpr_dispatch_id 0
		.amdhsa_user_sgpr_flat_scratch_init 0
		.amdhsa_user_sgpr_kernarg_preload_length 0
		.amdhsa_user_sgpr_kernarg_preload_offset 0
		.amdhsa_user_sgpr_private_segment_size 0
		.amdhsa_uses_dynamic_stack 0
		.amdhsa_system_sgpr_private_segment_wavefront_offset 0
		.amdhsa_system_sgpr_workgroup_id_x 1
		.amdhsa_system_sgpr_workgroup_id_y 0
		.amdhsa_system_sgpr_workgroup_id_z 0
		.amdhsa_system_sgpr_workgroup_info 0
		.amdhsa_system_vgpr_workitem_id 0
		.amdhsa_next_free_vgpr 1
		.amdhsa_next_free_sgpr 0
		.amdhsa_accum_offset 4
		.amdhsa_reserve_vcc 0
		.amdhsa_reserve_flat_scratch 0
		.amdhsa_float_round_mode_32 0
		.amdhsa_float_round_mode_16_64 0
		.amdhsa_float_denorm_mode_32 3
		.amdhsa_float_denorm_mode_16_64 3
		.amdhsa_dx10_clamp 1
		.amdhsa_ieee_mode 1
		.amdhsa_fp16_overflow 0
		.amdhsa_tg_split 0
		.amdhsa_exception_fp_ieee_invalid_op 0
		.amdhsa_exception_fp_denorm_src 0
		.amdhsa_exception_fp_ieee_div_zero 0
		.amdhsa_exception_fp_ieee_overflow 0
		.amdhsa_exception_fp_ieee_underflow 0
		.amdhsa_exception_fp_ieee_inexact 0
		.amdhsa_exception_int_div_zero 0
	.end_amdhsa_kernel
	.section	.text._ZN7rocprim17ROCPRIM_400000_NS6detail17trampoline_kernelINS0_14default_configENS1_35radix_sort_onesweep_config_selectorIiNS0_10empty_typeEEEZZNS1_29radix_sort_onesweep_iterationIS3_Lb1EPiS8_PS5_S9_mNS0_19identity_decomposerENS1_16block_id_wrapperIjLb0EEEEE10hipError_tT1_PNSt15iterator_traitsISE_E10value_typeET2_T3_PNSF_ISK_E10value_typeET4_T5_PSP_SQ_PNS1_23onesweep_lookback_stateEbbT6_jjT7_P12ihipStream_tbENKUlT_T0_SE_SJ_E_clIS8_S8_S9_S9_EEDaSX_SY_SE_SJ_EUlSX_E_NS1_11comp_targetILNS1_3genE2ELNS1_11target_archE906ELNS1_3gpuE6ELNS1_3repE0EEENS1_47radix_sort_onesweep_sort_config_static_selectorELNS0_4arch9wavefront6targetE1EEEvSE_,"axG",@progbits,_ZN7rocprim17ROCPRIM_400000_NS6detail17trampoline_kernelINS0_14default_configENS1_35radix_sort_onesweep_config_selectorIiNS0_10empty_typeEEEZZNS1_29radix_sort_onesweep_iterationIS3_Lb1EPiS8_PS5_S9_mNS0_19identity_decomposerENS1_16block_id_wrapperIjLb0EEEEE10hipError_tT1_PNSt15iterator_traitsISE_E10value_typeET2_T3_PNSF_ISK_E10value_typeET4_T5_PSP_SQ_PNS1_23onesweep_lookback_stateEbbT6_jjT7_P12ihipStream_tbENKUlT_T0_SE_SJ_E_clIS8_S8_S9_S9_EEDaSX_SY_SE_SJ_EUlSX_E_NS1_11comp_targetILNS1_3genE2ELNS1_11target_archE906ELNS1_3gpuE6ELNS1_3repE0EEENS1_47radix_sort_onesweep_sort_config_static_selectorELNS0_4arch9wavefront6targetE1EEEvSE_,comdat
.Lfunc_end2024:
	.size	_ZN7rocprim17ROCPRIM_400000_NS6detail17trampoline_kernelINS0_14default_configENS1_35radix_sort_onesweep_config_selectorIiNS0_10empty_typeEEEZZNS1_29radix_sort_onesweep_iterationIS3_Lb1EPiS8_PS5_S9_mNS0_19identity_decomposerENS1_16block_id_wrapperIjLb0EEEEE10hipError_tT1_PNSt15iterator_traitsISE_E10value_typeET2_T3_PNSF_ISK_E10value_typeET4_T5_PSP_SQ_PNS1_23onesweep_lookback_stateEbbT6_jjT7_P12ihipStream_tbENKUlT_T0_SE_SJ_E_clIS8_S8_S9_S9_EEDaSX_SY_SE_SJ_EUlSX_E_NS1_11comp_targetILNS1_3genE2ELNS1_11target_archE906ELNS1_3gpuE6ELNS1_3repE0EEENS1_47radix_sort_onesweep_sort_config_static_selectorELNS0_4arch9wavefront6targetE1EEEvSE_, .Lfunc_end2024-_ZN7rocprim17ROCPRIM_400000_NS6detail17trampoline_kernelINS0_14default_configENS1_35radix_sort_onesweep_config_selectorIiNS0_10empty_typeEEEZZNS1_29radix_sort_onesweep_iterationIS3_Lb1EPiS8_PS5_S9_mNS0_19identity_decomposerENS1_16block_id_wrapperIjLb0EEEEE10hipError_tT1_PNSt15iterator_traitsISE_E10value_typeET2_T3_PNSF_ISK_E10value_typeET4_T5_PSP_SQ_PNS1_23onesweep_lookback_stateEbbT6_jjT7_P12ihipStream_tbENKUlT_T0_SE_SJ_E_clIS8_S8_S9_S9_EEDaSX_SY_SE_SJ_EUlSX_E_NS1_11comp_targetILNS1_3genE2ELNS1_11target_archE906ELNS1_3gpuE6ELNS1_3repE0EEENS1_47radix_sort_onesweep_sort_config_static_selectorELNS0_4arch9wavefront6targetE1EEEvSE_
                                        ; -- End function
	.section	.AMDGPU.csdata,"",@progbits
; Kernel info:
; codeLenInByte = 0
; NumSgprs: 4
; NumVgprs: 0
; NumAgprs: 0
; TotalNumVgprs: 0
; ScratchSize: 0
; MemoryBound: 0
; FloatMode: 240
; IeeeMode: 1
; LDSByteSize: 0 bytes/workgroup (compile time only)
; SGPRBlocks: 0
; VGPRBlocks: 0
; NumSGPRsForWavesPerEU: 4
; NumVGPRsForWavesPerEU: 1
; AccumOffset: 4
; Occupancy: 8
; WaveLimiterHint : 0
; COMPUTE_PGM_RSRC2:SCRATCH_EN: 0
; COMPUTE_PGM_RSRC2:USER_SGPR: 6
; COMPUTE_PGM_RSRC2:TRAP_HANDLER: 0
; COMPUTE_PGM_RSRC2:TGID_X_EN: 1
; COMPUTE_PGM_RSRC2:TGID_Y_EN: 0
; COMPUTE_PGM_RSRC2:TGID_Z_EN: 0
; COMPUTE_PGM_RSRC2:TIDIG_COMP_CNT: 0
; COMPUTE_PGM_RSRC3_GFX90A:ACCUM_OFFSET: 0
; COMPUTE_PGM_RSRC3_GFX90A:TG_SPLIT: 0
	.section	.text._ZN7rocprim17ROCPRIM_400000_NS6detail17trampoline_kernelINS0_14default_configENS1_35radix_sort_onesweep_config_selectorIiNS0_10empty_typeEEEZZNS1_29radix_sort_onesweep_iterationIS3_Lb1EPiS8_PS5_S9_mNS0_19identity_decomposerENS1_16block_id_wrapperIjLb0EEEEE10hipError_tT1_PNSt15iterator_traitsISE_E10value_typeET2_T3_PNSF_ISK_E10value_typeET4_T5_PSP_SQ_PNS1_23onesweep_lookback_stateEbbT6_jjT7_P12ihipStream_tbENKUlT_T0_SE_SJ_E_clIS8_S8_S9_S9_EEDaSX_SY_SE_SJ_EUlSX_E_NS1_11comp_targetILNS1_3genE4ELNS1_11target_archE910ELNS1_3gpuE8ELNS1_3repE0EEENS1_47radix_sort_onesweep_sort_config_static_selectorELNS0_4arch9wavefront6targetE1EEEvSE_,"axG",@progbits,_ZN7rocprim17ROCPRIM_400000_NS6detail17trampoline_kernelINS0_14default_configENS1_35radix_sort_onesweep_config_selectorIiNS0_10empty_typeEEEZZNS1_29radix_sort_onesweep_iterationIS3_Lb1EPiS8_PS5_S9_mNS0_19identity_decomposerENS1_16block_id_wrapperIjLb0EEEEE10hipError_tT1_PNSt15iterator_traitsISE_E10value_typeET2_T3_PNSF_ISK_E10value_typeET4_T5_PSP_SQ_PNS1_23onesweep_lookback_stateEbbT6_jjT7_P12ihipStream_tbENKUlT_T0_SE_SJ_E_clIS8_S8_S9_S9_EEDaSX_SY_SE_SJ_EUlSX_E_NS1_11comp_targetILNS1_3genE4ELNS1_11target_archE910ELNS1_3gpuE8ELNS1_3repE0EEENS1_47radix_sort_onesweep_sort_config_static_selectorELNS0_4arch9wavefront6targetE1EEEvSE_,comdat
	.protected	_ZN7rocprim17ROCPRIM_400000_NS6detail17trampoline_kernelINS0_14default_configENS1_35radix_sort_onesweep_config_selectorIiNS0_10empty_typeEEEZZNS1_29radix_sort_onesweep_iterationIS3_Lb1EPiS8_PS5_S9_mNS0_19identity_decomposerENS1_16block_id_wrapperIjLb0EEEEE10hipError_tT1_PNSt15iterator_traitsISE_E10value_typeET2_T3_PNSF_ISK_E10value_typeET4_T5_PSP_SQ_PNS1_23onesweep_lookback_stateEbbT6_jjT7_P12ihipStream_tbENKUlT_T0_SE_SJ_E_clIS8_S8_S9_S9_EEDaSX_SY_SE_SJ_EUlSX_E_NS1_11comp_targetILNS1_3genE4ELNS1_11target_archE910ELNS1_3gpuE8ELNS1_3repE0EEENS1_47radix_sort_onesweep_sort_config_static_selectorELNS0_4arch9wavefront6targetE1EEEvSE_ ; -- Begin function _ZN7rocprim17ROCPRIM_400000_NS6detail17trampoline_kernelINS0_14default_configENS1_35radix_sort_onesweep_config_selectorIiNS0_10empty_typeEEEZZNS1_29radix_sort_onesweep_iterationIS3_Lb1EPiS8_PS5_S9_mNS0_19identity_decomposerENS1_16block_id_wrapperIjLb0EEEEE10hipError_tT1_PNSt15iterator_traitsISE_E10value_typeET2_T3_PNSF_ISK_E10value_typeET4_T5_PSP_SQ_PNS1_23onesweep_lookback_stateEbbT6_jjT7_P12ihipStream_tbENKUlT_T0_SE_SJ_E_clIS8_S8_S9_S9_EEDaSX_SY_SE_SJ_EUlSX_E_NS1_11comp_targetILNS1_3genE4ELNS1_11target_archE910ELNS1_3gpuE8ELNS1_3repE0EEENS1_47radix_sort_onesweep_sort_config_static_selectorELNS0_4arch9wavefront6targetE1EEEvSE_
	.globl	_ZN7rocprim17ROCPRIM_400000_NS6detail17trampoline_kernelINS0_14default_configENS1_35radix_sort_onesweep_config_selectorIiNS0_10empty_typeEEEZZNS1_29radix_sort_onesweep_iterationIS3_Lb1EPiS8_PS5_S9_mNS0_19identity_decomposerENS1_16block_id_wrapperIjLb0EEEEE10hipError_tT1_PNSt15iterator_traitsISE_E10value_typeET2_T3_PNSF_ISK_E10value_typeET4_T5_PSP_SQ_PNS1_23onesweep_lookback_stateEbbT6_jjT7_P12ihipStream_tbENKUlT_T0_SE_SJ_E_clIS8_S8_S9_S9_EEDaSX_SY_SE_SJ_EUlSX_E_NS1_11comp_targetILNS1_3genE4ELNS1_11target_archE910ELNS1_3gpuE8ELNS1_3repE0EEENS1_47radix_sort_onesweep_sort_config_static_selectorELNS0_4arch9wavefront6targetE1EEEvSE_
	.p2align	8
	.type	_ZN7rocprim17ROCPRIM_400000_NS6detail17trampoline_kernelINS0_14default_configENS1_35radix_sort_onesweep_config_selectorIiNS0_10empty_typeEEEZZNS1_29radix_sort_onesweep_iterationIS3_Lb1EPiS8_PS5_S9_mNS0_19identity_decomposerENS1_16block_id_wrapperIjLb0EEEEE10hipError_tT1_PNSt15iterator_traitsISE_E10value_typeET2_T3_PNSF_ISK_E10value_typeET4_T5_PSP_SQ_PNS1_23onesweep_lookback_stateEbbT6_jjT7_P12ihipStream_tbENKUlT_T0_SE_SJ_E_clIS8_S8_S9_S9_EEDaSX_SY_SE_SJ_EUlSX_E_NS1_11comp_targetILNS1_3genE4ELNS1_11target_archE910ELNS1_3gpuE8ELNS1_3repE0EEENS1_47radix_sort_onesweep_sort_config_static_selectorELNS0_4arch9wavefront6targetE1EEEvSE_,@function
_ZN7rocprim17ROCPRIM_400000_NS6detail17trampoline_kernelINS0_14default_configENS1_35radix_sort_onesweep_config_selectorIiNS0_10empty_typeEEEZZNS1_29radix_sort_onesweep_iterationIS3_Lb1EPiS8_PS5_S9_mNS0_19identity_decomposerENS1_16block_id_wrapperIjLb0EEEEE10hipError_tT1_PNSt15iterator_traitsISE_E10value_typeET2_T3_PNSF_ISK_E10value_typeET4_T5_PSP_SQ_PNS1_23onesweep_lookback_stateEbbT6_jjT7_P12ihipStream_tbENKUlT_T0_SE_SJ_E_clIS8_S8_S9_S9_EEDaSX_SY_SE_SJ_EUlSX_E_NS1_11comp_targetILNS1_3genE4ELNS1_11target_archE910ELNS1_3gpuE8ELNS1_3repE0EEENS1_47radix_sort_onesweep_sort_config_static_selectorELNS0_4arch9wavefront6targetE1EEEvSE_: ; @_ZN7rocprim17ROCPRIM_400000_NS6detail17trampoline_kernelINS0_14default_configENS1_35radix_sort_onesweep_config_selectorIiNS0_10empty_typeEEEZZNS1_29radix_sort_onesweep_iterationIS3_Lb1EPiS8_PS5_S9_mNS0_19identity_decomposerENS1_16block_id_wrapperIjLb0EEEEE10hipError_tT1_PNSt15iterator_traitsISE_E10value_typeET2_T3_PNSF_ISK_E10value_typeET4_T5_PSP_SQ_PNS1_23onesweep_lookback_stateEbbT6_jjT7_P12ihipStream_tbENKUlT_T0_SE_SJ_E_clIS8_S8_S9_S9_EEDaSX_SY_SE_SJ_EUlSX_E_NS1_11comp_targetILNS1_3genE4ELNS1_11target_archE910ELNS1_3gpuE8ELNS1_3repE0EEENS1_47radix_sort_onesweep_sort_config_static_selectorELNS0_4arch9wavefront6targetE1EEEvSE_
; %bb.0:
	s_load_dwordx4 s[16:19], s[4:5], 0x44
	s_load_dwordx2 s[24:25], s[4:5], 0x38
	s_load_dwordx4 s[20:23], s[4:5], 0x0
	s_load_dwordx4 s[12:15], s[4:5], 0x28
	s_mul_i32 s26, s6, 0x3000
	s_waitcnt lgkmcnt(0)
	s_cmp_ge_u32 s6, s18
	v_mbcnt_lo_u32_b32 v12, -1, 0
	s_cbranch_scc0 .LBB2025_81
; %bb.1:
	s_load_dword s7, s[4:5], 0x20
	s_mul_i32 s2, s18, 0xffffd000
	s_mov_b32 s27, 0
	v_and_b32_e32 v2, 0x3ff, v0
	s_lshl_b64 s[0:1], s[26:27], 2
	s_waitcnt lgkmcnt(0)
	s_add_i32 s7, s7, s2
	v_mbcnt_hi_u32_b32 v1, -1, v12
	s_add_u32 s0, s20, s0
	v_and_b32_e32 v3, 63, v1
	v_and_b32_e32 v4, 0x3c0, v2
	s_addc_u32 s1, s21, s1
	v_mul_u32_u24_e32 v6, 12, v4
	v_lshlrev_b32_e32 v4, 2, v3
	v_mov_b32_e32 v5, s1
	v_add_co_u32_e32 v4, vcc, s0, v4
	v_addc_co_u32_e32 v5, vcc, 0, v5, vcc
	v_lshlrev_b32_e32 v7, 2, v6
	v_add_co_u32_e32 v4, vcc, v4, v7
	v_addc_co_u32_e32 v5, vcc, 0, v5, vcc
	v_or_b32_e32 v6, v3, v6
	v_cmp_gt_u32_e32 vcc, s7, v6
	v_bfrev_b32_e32 v9, 1
	v_bfrev_b32_e32 v3, 1
	s_and_saveexec_b64 s[0:1], vcc
	s_cbranch_execz .LBB2025_3
; %bb.2:
	global_load_dword v3, v[4:5], off
.LBB2025_3:
	s_or_b64 exec, exec, s[0:1]
	v_or_b32_e32 v7, 64, v6
	v_cmp_gt_u32_e32 vcc, s7, v7
	s_and_saveexec_b64 s[0:1], vcc
	s_cbranch_execz .LBB2025_5
; %bb.4:
	global_load_dword v9, v[4:5], off offset:256
.LBB2025_5:
	s_or_b64 exec, exec, s[0:1]
	v_or_b32_e32 v7, 0x80, v6
	v_cmp_gt_u32_e32 vcc, s7, v7
	v_bfrev_b32_e32 v18, 1
	v_bfrev_b32_e32 v11, 1
	s_and_saveexec_b64 s[0:1], vcc
	s_cbranch_execz .LBB2025_7
; %bb.6:
	global_load_dword v11, v[4:5], off offset:512
.LBB2025_7:
	s_or_b64 exec, exec, s[0:1]
	v_or_b32_e32 v7, 0xc0, v6
	v_cmp_gt_u32_e32 vcc, s7, v7
	s_and_saveexec_b64 s[0:1], vcc
	s_cbranch_execz .LBB2025_9
; %bb.8:
	global_load_dword v18, v[4:5], off offset:768
.LBB2025_9:
	s_or_b64 exec, exec, s[0:1]
	v_add_u32_e32 v7, 0x100, v6
	v_cmp_gt_u32_e32 vcc, s7, v7
	v_bfrev_b32_e32 v24, 1
	v_bfrev_b32_e32 v21, 1
	s_and_saveexec_b64 s[0:1], vcc
	s_cbranch_execz .LBB2025_11
; %bb.10:
	global_load_dword v21, v[4:5], off offset:1024
.LBB2025_11:
	s_or_b64 exec, exec, s[0:1]
	v_add_u32_e32 v7, 0x140, v6
	v_cmp_gt_u32_e32 vcc, s7, v7
	s_and_saveexec_b64 s[0:1], vcc
	s_cbranch_execz .LBB2025_13
; %bb.12:
	global_load_dword v24, v[4:5], off offset:1280
.LBB2025_13:
	s_or_b64 exec, exec, s[0:1]
	v_add_u32_e32 v7, 0x180, v6
	v_cmp_gt_u32_e32 vcc, s7, v7
	v_bfrev_b32_e32 v34, 1
	v_bfrev_b32_e32 v28, 1
	s_and_saveexec_b64 s[0:1], vcc
	s_cbranch_execz .LBB2025_15
; %bb.14:
	global_load_dword v28, v[4:5], off offset:1536
.LBB2025_15:
	s_or_b64 exec, exec, s[0:1]
	v_add_u32_e32 v7, 0x1c0, v6
	;; [unrolled: 18-line block ×4, first 2 shown]
	v_cmp_gt_u32_e32 vcc, s7, v6
	s_and_saveexec_b64 s[0:1], vcc
	s_cbranch_execz .LBB2025_25
; %bb.24:
	global_load_dword v10, v[4:5], off offset:2816
.LBB2025_25:
	s_or_b64 exec, exec, s[0:1]
	s_load_dword s0, s[4:5], 0x64
	s_load_dword s27, s[4:5], 0x58
	s_add_u32 s1, s4, 0x58
	s_addc_u32 s2, s5, 0
	v_mov_b32_e32 v4, 0
	s_waitcnt lgkmcnt(0)
	s_lshr_b32 s3, s0, 16
	s_cmp_lt_u32 s6, s27
	s_cselect_b32 s0, 12, 18
	s_add_u32 s0, s1, s0
	s_addc_u32 s1, s2, 0
	global_load_ushort v6, v4, s[0:1]
	s_waitcnt vmcnt(1)
	v_xor_b32_e32 v13, 0x7fffffff, v3
	s_lshl_b32 s0, -1, s17
	v_lshrrev_b32_e32 v8, s16, v13
	s_not_b32 s28, s0
	v_and_b32_e32 v8, s28, v8
	v_and_b32_e32 v15, 1, v8
	v_bfe_u32 v5, v0, 10, 10
	v_bfe_u32 v7, v0, 20, 10
	v_add_co_u32_e32 v16, vcc, -1, v15
	v_mad_u32_u24 v7, v7, s3, v5
	v_lshlrev_b32_e32 v5, 30, v8
	v_addc_co_u32_e64 v17, s[0:1], 0, -1, vcc
	v_cmp_ne_u32_e32 vcc, 0, v15
	v_cmp_gt_i64_e64 s[0:1], 0, v[4:5]
	v_not_b32_e32 v15, v5
	v_lshlrev_b32_e32 v5, 29, v8
	v_xor_b32_e32 v17, vcc_hi, v17
	v_xor_b32_e32 v16, vcc_lo, v16
	v_ashrrev_i32_e32 v15, 31, v15
	v_cmp_gt_i64_e32 vcc, 0, v[4:5]
	v_not_b32_e32 v19, v5
	v_lshlrev_b32_e32 v5, 28, v8
	v_and_b32_e32 v17, exec_hi, v17
	v_and_b32_e32 v16, exec_lo, v16
	v_xor_b32_e32 v20, s1, v15
	v_xor_b32_e32 v15, s0, v15
	v_ashrrev_i32_e32 v19, 31, v19
	v_cmp_gt_i64_e64 s[0:1], 0, v[4:5]
	v_not_b32_e32 v22, v5
	v_lshlrev_b32_e32 v5, 27, v8
	v_and_b32_e32 v17, v17, v20
	v_and_b32_e32 v15, v16, v15
	v_xor_b32_e32 v16, vcc_hi, v19
	v_xor_b32_e32 v19, vcc_lo, v19
	v_ashrrev_i32_e32 v20, 31, v22
	v_cmp_gt_i64_e32 vcc, 0, v[4:5]
	v_not_b32_e32 v22, v5
	v_lshlrev_b32_e32 v5, 26, v8
	v_and_b32_e32 v16, v17, v16
	v_and_b32_e32 v15, v15, v19
	v_xor_b32_e32 v17, s1, v20
	v_xor_b32_e32 v19, s0, v20
	v_ashrrev_i32_e32 v20, 31, v22
	v_cmp_gt_i64_e64 s[0:1], 0, v[4:5]
	v_not_b32_e32 v22, v5
	v_lshlrev_b32_e32 v5, 25, v8
	v_mul_u32_u24_e32 v3, 5, v2
	v_and_b32_e32 v16, v16, v17
	v_and_b32_e32 v15, v15, v19
	v_xor_b32_e32 v17, vcc_hi, v20
	v_xor_b32_e32 v19, vcc_lo, v20
	v_ashrrev_i32_e32 v20, 31, v22
	v_cmp_gt_i64_e32 vcc, 0, v[4:5]
	v_not_b32_e32 v22, v5
	v_lshlrev_b32_e32 v5, 24, v8
	v_lshlrev_b32_e32 v3, 2, v3
	v_lshl_add_u32 v14, v8, 4, v8
	v_and_b32_e32 v8, v16, v17
	v_and_b32_e32 v15, v15, v19
	v_xor_b32_e32 v16, s1, v20
	v_xor_b32_e32 v17, s0, v20
	v_ashrrev_i32_e32 v19, 31, v22
	v_cmp_gt_i64_e64 s[0:1], 0, v[4:5]
	v_not_b32_e32 v5, v5
	v_and_b32_e32 v8, v8, v16
	v_and_b32_e32 v15, v15, v17
	v_xor_b32_e32 v16, vcc_hi, v19
	v_xor_b32_e32 v17, vcc_lo, v19
	v_ashrrev_i32_e32 v5, 31, v5
	v_and_b32_e32 v16, v8, v16
	v_and_b32_e32 v15, v15, v17
	ds_write2_b32 v3, v4, v4 offset0:16 offset1:17
	ds_write2_b32 v3, v4, v4 offset0:18 offset1:19
	ds_write_b32 v3, v4 offset:80
	s_waitcnt lgkmcnt(0)
	s_barrier
	s_waitcnt lgkmcnt(0)
	; wave barrier
	s_waitcnt vmcnt(0)
	v_mad_u64_u32 v[6:7], s[2:3], v7, v6, v[2:3]
	v_lshrrev_b32_e32 v29, 6, v6
	v_xor_b32_e32 v6, s1, v5
	v_xor_b32_e32 v5, s0, v5
	v_and_b32_e32 v7, v16, v6
	v_and_b32_e32 v6, v15, v5
	v_mbcnt_lo_u32_b32 v5, v6, 0
	v_mbcnt_hi_u32_b32 v16, v7, v5
	v_cmp_eq_u32_e32 vcc, 0, v16
	v_cmp_ne_u64_e64 s[0:1], 0, v[6:7]
	v_add_lshl_u32 v8, v29, v14, 2
	s_and_b64 s[2:3], s[0:1], vcc
	s_and_saveexec_b64 s[0:1], s[2:3]
	s_cbranch_execz .LBB2025_27
; %bb.26:
	v_bcnt_u32_b32 v5, v6, 0
	v_bcnt_u32_b32 v5, v7, v5
	ds_write_b32 v8, v5 offset:64
.LBB2025_27:
	s_or_b64 exec, exec, s[0:1]
	v_xor_b32_e32 v14, 0x7fffffff, v9
	v_lshrrev_b32_e32 v5, s16, v14
	v_and_b32_e32 v6, s28, v5
	v_lshl_add_u32 v5, v6, 4, v6
	v_add_lshl_u32 v9, v29, v5, 2
	v_and_b32_e32 v5, 1, v6
	v_add_co_u32_e32 v7, vcc, -1, v5
	v_addc_co_u32_e64 v15, s[0:1], 0, -1, vcc
	v_cmp_ne_u32_e32 vcc, 0, v5
	v_xor_b32_e32 v5, vcc_hi, v15
	v_and_b32_e32 v15, exec_hi, v5
	v_lshlrev_b32_e32 v5, 30, v6
	v_xor_b32_e32 v7, vcc_lo, v7
	v_cmp_gt_i64_e32 vcc, 0, v[4:5]
	v_not_b32_e32 v5, v5
	v_ashrrev_i32_e32 v5, 31, v5
	v_and_b32_e32 v7, exec_lo, v7
	v_xor_b32_e32 v19, vcc_hi, v5
	v_xor_b32_e32 v5, vcc_lo, v5
	v_and_b32_e32 v7, v7, v5
	v_lshlrev_b32_e32 v5, 29, v6
	v_cmp_gt_i64_e32 vcc, 0, v[4:5]
	v_not_b32_e32 v5, v5
	v_ashrrev_i32_e32 v5, 31, v5
	v_and_b32_e32 v15, v15, v19
	v_xor_b32_e32 v19, vcc_hi, v5
	v_xor_b32_e32 v5, vcc_lo, v5
	v_and_b32_e32 v7, v7, v5
	v_lshlrev_b32_e32 v5, 28, v6
	v_cmp_gt_i64_e32 vcc, 0, v[4:5]
	v_not_b32_e32 v5, v5
	v_ashrrev_i32_e32 v5, 31, v5
	v_and_b32_e32 v15, v15, v19
	;; [unrolled: 8-line block ×5, first 2 shown]
	v_xor_b32_e32 v19, vcc_hi, v5
	v_xor_b32_e32 v5, vcc_lo, v5
	v_and_b32_e32 v7, v7, v5
	v_lshlrev_b32_e32 v5, 24, v6
	v_cmp_gt_i64_e32 vcc, 0, v[4:5]
	v_not_b32_e32 v4, v5
	v_ashrrev_i32_e32 v4, 31, v4
	v_xor_b32_e32 v5, vcc_hi, v4
	v_xor_b32_e32 v4, vcc_lo, v4
	; wave barrier
	ds_read_b32 v17, v9 offset:64
	v_and_b32_e32 v15, v15, v19
	v_and_b32_e32 v4, v7, v4
	;; [unrolled: 1-line block ×3, first 2 shown]
	v_mbcnt_lo_u32_b32 v6, v4, 0
	v_mbcnt_hi_u32_b32 v19, v5, v6
	v_cmp_eq_u32_e32 vcc, 0, v19
	v_cmp_ne_u64_e64 s[0:1], 0, v[4:5]
	s_and_b64 s[2:3], s[0:1], vcc
	; wave barrier
	s_and_saveexec_b64 s[0:1], s[2:3]
	s_cbranch_execz .LBB2025_29
; %bb.28:
	v_bcnt_u32_b32 v4, v4, 0
	v_bcnt_u32_b32 v4, v5, v4
	s_waitcnt lgkmcnt(0)
	v_add_u32_e32 v4, v17, v4
	ds_write_b32 v9, v4 offset:64
.LBB2025_29:
	s_or_b64 exec, exec, s[0:1]
	v_xor_b32_e32 v15, 0x7fffffff, v11
	v_lshrrev_b32_e32 v4, s16, v15
	v_and_b32_e32 v6, s28, v4
	v_and_b32_e32 v5, 1, v6
	v_add_co_u32_e32 v7, vcc, -1, v5
	v_addc_co_u32_e64 v22, s[0:1], 0, -1, vcc
	v_cmp_ne_u32_e32 vcc, 0, v5
	v_lshl_add_u32 v4, v6, 4, v6
	v_xor_b32_e32 v5, vcc_hi, v22
	v_add_lshl_u32 v11, v29, v4, 2
	v_mov_b32_e32 v4, 0
	v_and_b32_e32 v22, exec_hi, v5
	v_lshlrev_b32_e32 v5, 30, v6
	v_xor_b32_e32 v7, vcc_lo, v7
	v_cmp_gt_i64_e32 vcc, 0, v[4:5]
	v_not_b32_e32 v5, v5
	v_ashrrev_i32_e32 v5, 31, v5
	v_and_b32_e32 v7, exec_lo, v7
	v_xor_b32_e32 v23, vcc_hi, v5
	v_xor_b32_e32 v5, vcc_lo, v5
	v_and_b32_e32 v7, v7, v5
	v_lshlrev_b32_e32 v5, 29, v6
	v_cmp_gt_i64_e32 vcc, 0, v[4:5]
	v_not_b32_e32 v5, v5
	v_ashrrev_i32_e32 v5, 31, v5
	v_and_b32_e32 v22, v22, v23
	v_xor_b32_e32 v23, vcc_hi, v5
	v_xor_b32_e32 v5, vcc_lo, v5
	v_and_b32_e32 v7, v7, v5
	v_lshlrev_b32_e32 v5, 28, v6
	v_cmp_gt_i64_e32 vcc, 0, v[4:5]
	v_not_b32_e32 v5, v5
	v_ashrrev_i32_e32 v5, 31, v5
	v_and_b32_e32 v22, v22, v23
	;; [unrolled: 8-line block ×5, first 2 shown]
	v_xor_b32_e32 v23, vcc_hi, v5
	v_xor_b32_e32 v5, vcc_lo, v5
	v_and_b32_e32 v22, v22, v23
	v_and_b32_e32 v23, v7, v5
	v_lshlrev_b32_e32 v5, 24, v6
	v_cmp_gt_i64_e32 vcc, 0, v[4:5]
	v_not_b32_e32 v5, v5
	v_ashrrev_i32_e32 v5, 31, v5
	v_xor_b32_e32 v6, vcc_hi, v5
	v_xor_b32_e32 v5, vcc_lo, v5
	; wave barrier
	ds_read_b32 v20, v11 offset:64
	v_and_b32_e32 v7, v22, v6
	v_and_b32_e32 v6, v23, v5
	v_mbcnt_lo_u32_b32 v5, v6, 0
	v_mbcnt_hi_u32_b32 v22, v7, v5
	v_cmp_eq_u32_e32 vcc, 0, v22
	v_cmp_ne_u64_e64 s[0:1], 0, v[6:7]
	s_and_b64 s[2:3], s[0:1], vcc
	; wave barrier
	s_and_saveexec_b64 s[0:1], s[2:3]
	s_cbranch_execz .LBB2025_31
; %bb.30:
	v_bcnt_u32_b32 v5, v6, 0
	v_bcnt_u32_b32 v5, v7, v5
	s_waitcnt lgkmcnt(0)
	v_add_u32_e32 v5, v20, v5
	ds_write_b32 v11, v5 offset:64
.LBB2025_31:
	s_or_b64 exec, exec, s[0:1]
	v_xor_b32_e32 v18, 0x7fffffff, v18
	v_lshrrev_b32_e32 v5, s16, v18
	v_and_b32_e32 v6, s28, v5
	v_lshl_add_u32 v5, v6, 4, v6
	v_add_lshl_u32 v32, v29, v5, 2
	v_and_b32_e32 v5, 1, v6
	v_add_co_u32_e32 v7, vcc, -1, v5
	v_addc_co_u32_e64 v25, s[0:1], 0, -1, vcc
	v_cmp_ne_u32_e32 vcc, 0, v5
	v_xor_b32_e32 v5, vcc_hi, v25
	v_and_b32_e32 v25, exec_hi, v5
	v_lshlrev_b32_e32 v5, 30, v6
	v_xor_b32_e32 v7, vcc_lo, v7
	v_cmp_gt_i64_e32 vcc, 0, v[4:5]
	v_not_b32_e32 v5, v5
	v_ashrrev_i32_e32 v5, 31, v5
	v_and_b32_e32 v7, exec_lo, v7
	v_xor_b32_e32 v27, vcc_hi, v5
	v_xor_b32_e32 v5, vcc_lo, v5
	v_and_b32_e32 v7, v7, v5
	v_lshlrev_b32_e32 v5, 29, v6
	v_cmp_gt_i64_e32 vcc, 0, v[4:5]
	v_not_b32_e32 v5, v5
	v_ashrrev_i32_e32 v5, 31, v5
	v_and_b32_e32 v25, v25, v27
	v_xor_b32_e32 v27, vcc_hi, v5
	v_xor_b32_e32 v5, vcc_lo, v5
	v_and_b32_e32 v7, v7, v5
	v_lshlrev_b32_e32 v5, 28, v6
	v_cmp_gt_i64_e32 vcc, 0, v[4:5]
	v_not_b32_e32 v5, v5
	v_ashrrev_i32_e32 v5, 31, v5
	v_and_b32_e32 v25, v25, v27
	;; [unrolled: 8-line block ×5, first 2 shown]
	v_xor_b32_e32 v27, vcc_hi, v5
	v_xor_b32_e32 v5, vcc_lo, v5
	v_and_b32_e32 v7, v7, v5
	v_lshlrev_b32_e32 v5, 24, v6
	v_cmp_gt_i64_e32 vcc, 0, v[4:5]
	v_not_b32_e32 v4, v5
	v_ashrrev_i32_e32 v4, 31, v4
	v_xor_b32_e32 v5, vcc_hi, v4
	v_xor_b32_e32 v4, vcc_lo, v4
	; wave barrier
	ds_read_b32 v23, v32 offset:64
	v_and_b32_e32 v25, v25, v27
	v_and_b32_e32 v4, v7, v4
	;; [unrolled: 1-line block ×3, first 2 shown]
	v_mbcnt_lo_u32_b32 v6, v4, 0
	v_mbcnt_hi_u32_b32 v25, v5, v6
	v_cmp_eq_u32_e32 vcc, 0, v25
	v_cmp_ne_u64_e64 s[0:1], 0, v[4:5]
	s_and_b64 s[2:3], s[0:1], vcc
	; wave barrier
	s_and_saveexec_b64 s[0:1], s[2:3]
	s_cbranch_execz .LBB2025_33
; %bb.32:
	v_bcnt_u32_b32 v4, v4, 0
	v_bcnt_u32_b32 v4, v5, v4
	s_waitcnt lgkmcnt(0)
	v_add_u32_e32 v4, v23, v4
	ds_write_b32 v32, v4 offset:64
.LBB2025_33:
	s_or_b64 exec, exec, s[0:1]
	v_xor_b32_e32 v21, 0x7fffffff, v21
	v_lshrrev_b32_e32 v4, s16, v21
	v_and_b32_e32 v6, s28, v4
	v_and_b32_e32 v5, 1, v6
	v_add_co_u32_e32 v7, vcc, -1, v5
	v_addc_co_u32_e64 v31, s[0:1], 0, -1, vcc
	v_cmp_ne_u32_e32 vcc, 0, v5
	v_lshl_add_u32 v4, v6, 4, v6
	v_xor_b32_e32 v5, vcc_hi, v31
	v_add_lshl_u32 v37, v29, v4, 2
	v_mov_b32_e32 v4, 0
	v_and_b32_e32 v31, exec_hi, v5
	v_lshlrev_b32_e32 v5, 30, v6
	v_xor_b32_e32 v7, vcc_lo, v7
	v_cmp_gt_i64_e32 vcc, 0, v[4:5]
	v_not_b32_e32 v5, v5
	v_ashrrev_i32_e32 v5, 31, v5
	v_and_b32_e32 v7, exec_lo, v7
	v_xor_b32_e32 v33, vcc_hi, v5
	v_xor_b32_e32 v5, vcc_lo, v5
	v_and_b32_e32 v7, v7, v5
	v_lshlrev_b32_e32 v5, 29, v6
	v_cmp_gt_i64_e32 vcc, 0, v[4:5]
	v_not_b32_e32 v5, v5
	v_ashrrev_i32_e32 v5, 31, v5
	v_and_b32_e32 v31, v31, v33
	v_xor_b32_e32 v33, vcc_hi, v5
	v_xor_b32_e32 v5, vcc_lo, v5
	v_and_b32_e32 v7, v7, v5
	v_lshlrev_b32_e32 v5, 28, v6
	v_cmp_gt_i64_e32 vcc, 0, v[4:5]
	v_not_b32_e32 v5, v5
	v_ashrrev_i32_e32 v5, 31, v5
	v_and_b32_e32 v31, v31, v33
	;; [unrolled: 8-line block ×5, first 2 shown]
	v_xor_b32_e32 v33, vcc_hi, v5
	v_xor_b32_e32 v5, vcc_lo, v5
	v_and_b32_e32 v31, v31, v33
	v_and_b32_e32 v33, v7, v5
	v_lshlrev_b32_e32 v5, 24, v6
	v_cmp_gt_i64_e32 vcc, 0, v[4:5]
	v_not_b32_e32 v5, v5
	v_ashrrev_i32_e32 v5, 31, v5
	v_xor_b32_e32 v6, vcc_hi, v5
	v_xor_b32_e32 v5, vcc_lo, v5
	; wave barrier
	ds_read_b32 v27, v37 offset:64
	v_and_b32_e32 v7, v31, v6
	v_and_b32_e32 v6, v33, v5
	v_mbcnt_lo_u32_b32 v5, v6, 0
	v_mbcnt_hi_u32_b32 v31, v7, v5
	v_cmp_eq_u32_e32 vcc, 0, v31
	v_cmp_ne_u64_e64 s[0:1], 0, v[6:7]
	s_and_b64 s[2:3], s[0:1], vcc
	; wave barrier
	s_and_saveexec_b64 s[0:1], s[2:3]
	s_cbranch_execz .LBB2025_35
; %bb.34:
	v_bcnt_u32_b32 v5, v6, 0
	v_bcnt_u32_b32 v5, v7, v5
	s_waitcnt lgkmcnt(0)
	v_add_u32_e32 v5, v27, v5
	ds_write_b32 v37, v5 offset:64
.LBB2025_35:
	s_or_b64 exec, exec, s[0:1]
	v_xor_b32_e32 v24, 0x7fffffff, v24
	v_lshrrev_b32_e32 v5, s16, v24
	v_and_b32_e32 v6, s28, v5
	v_lshl_add_u32 v5, v6, 4, v6
	v_add_lshl_u32 v40, v29, v5, 2
	v_and_b32_e32 v5, 1, v6
	v_add_co_u32_e32 v7, vcc, -1, v5
	v_addc_co_u32_e64 v36, s[0:1], 0, -1, vcc
	v_cmp_ne_u32_e32 vcc, 0, v5
	v_xor_b32_e32 v5, vcc_hi, v36
	v_and_b32_e32 v36, exec_hi, v5
	v_lshlrev_b32_e32 v5, 30, v6
	v_xor_b32_e32 v7, vcc_lo, v7
	v_cmp_gt_i64_e32 vcc, 0, v[4:5]
	v_not_b32_e32 v5, v5
	v_ashrrev_i32_e32 v5, 31, v5
	v_and_b32_e32 v7, exec_lo, v7
	v_xor_b32_e32 v38, vcc_hi, v5
	v_xor_b32_e32 v5, vcc_lo, v5
	v_and_b32_e32 v7, v7, v5
	v_lshlrev_b32_e32 v5, 29, v6
	v_cmp_gt_i64_e32 vcc, 0, v[4:5]
	v_not_b32_e32 v5, v5
	v_ashrrev_i32_e32 v5, 31, v5
	v_and_b32_e32 v36, v36, v38
	v_xor_b32_e32 v38, vcc_hi, v5
	v_xor_b32_e32 v5, vcc_lo, v5
	v_and_b32_e32 v7, v7, v5
	v_lshlrev_b32_e32 v5, 28, v6
	v_cmp_gt_i64_e32 vcc, 0, v[4:5]
	v_not_b32_e32 v5, v5
	v_ashrrev_i32_e32 v5, 31, v5
	v_and_b32_e32 v36, v36, v38
	;; [unrolled: 8-line block ×5, first 2 shown]
	v_xor_b32_e32 v38, vcc_hi, v5
	v_xor_b32_e32 v5, vcc_lo, v5
	v_and_b32_e32 v7, v7, v5
	v_lshlrev_b32_e32 v5, 24, v6
	v_cmp_gt_i64_e32 vcc, 0, v[4:5]
	v_not_b32_e32 v4, v5
	v_ashrrev_i32_e32 v4, 31, v4
	v_xor_b32_e32 v5, vcc_hi, v4
	v_xor_b32_e32 v4, vcc_lo, v4
	; wave barrier
	ds_read_b32 v33, v40 offset:64
	v_and_b32_e32 v36, v36, v38
	v_and_b32_e32 v4, v7, v4
	;; [unrolled: 1-line block ×3, first 2 shown]
	v_mbcnt_lo_u32_b32 v6, v4, 0
	v_mbcnt_hi_u32_b32 v36, v5, v6
	v_cmp_eq_u32_e32 vcc, 0, v36
	v_cmp_ne_u64_e64 s[0:1], 0, v[4:5]
	s_and_b64 s[2:3], s[0:1], vcc
	; wave barrier
	s_and_saveexec_b64 s[0:1], s[2:3]
	s_cbranch_execz .LBB2025_37
; %bb.36:
	v_bcnt_u32_b32 v4, v4, 0
	v_bcnt_u32_b32 v4, v5, v4
	s_waitcnt lgkmcnt(0)
	v_add_u32_e32 v4, v33, v4
	ds_write_b32 v40, v4 offset:64
.LBB2025_37:
	s_or_b64 exec, exec, s[0:1]
	v_xor_b32_e32 v28, 0x7fffffff, v28
	v_lshrrev_b32_e32 v4, s16, v28
	v_and_b32_e32 v6, s28, v4
	v_and_b32_e32 v5, 1, v6
	v_add_co_u32_e32 v7, vcc, -1, v5
	v_addc_co_u32_e64 v39, s[0:1], 0, -1, vcc
	v_cmp_ne_u32_e32 vcc, 0, v5
	v_lshl_add_u32 v4, v6, 4, v6
	v_xor_b32_e32 v5, vcc_hi, v39
	v_add_lshl_u32 v43, v29, v4, 2
	v_mov_b32_e32 v4, 0
	v_and_b32_e32 v39, exec_hi, v5
	v_lshlrev_b32_e32 v5, 30, v6
	v_xor_b32_e32 v7, vcc_lo, v7
	v_cmp_gt_i64_e32 vcc, 0, v[4:5]
	v_not_b32_e32 v5, v5
	v_ashrrev_i32_e32 v5, 31, v5
	v_and_b32_e32 v7, exec_lo, v7
	v_xor_b32_e32 v41, vcc_hi, v5
	v_xor_b32_e32 v5, vcc_lo, v5
	v_and_b32_e32 v7, v7, v5
	v_lshlrev_b32_e32 v5, 29, v6
	v_cmp_gt_i64_e32 vcc, 0, v[4:5]
	v_not_b32_e32 v5, v5
	v_ashrrev_i32_e32 v5, 31, v5
	v_and_b32_e32 v39, v39, v41
	v_xor_b32_e32 v41, vcc_hi, v5
	v_xor_b32_e32 v5, vcc_lo, v5
	v_and_b32_e32 v7, v7, v5
	v_lshlrev_b32_e32 v5, 28, v6
	v_cmp_gt_i64_e32 vcc, 0, v[4:5]
	v_not_b32_e32 v5, v5
	v_ashrrev_i32_e32 v5, 31, v5
	v_and_b32_e32 v39, v39, v41
	;; [unrolled: 8-line block ×5, first 2 shown]
	v_xor_b32_e32 v41, vcc_hi, v5
	v_xor_b32_e32 v5, vcc_lo, v5
	v_and_b32_e32 v39, v39, v41
	v_and_b32_e32 v41, v7, v5
	v_lshlrev_b32_e32 v5, 24, v6
	v_cmp_gt_i64_e32 vcc, 0, v[4:5]
	v_not_b32_e32 v5, v5
	v_ashrrev_i32_e32 v5, 31, v5
	v_xor_b32_e32 v6, vcc_hi, v5
	v_xor_b32_e32 v5, vcc_lo, v5
	; wave barrier
	ds_read_b32 v38, v43 offset:64
	v_and_b32_e32 v7, v39, v6
	v_and_b32_e32 v6, v41, v5
	v_mbcnt_lo_u32_b32 v5, v6, 0
	v_mbcnt_hi_u32_b32 v39, v7, v5
	v_cmp_eq_u32_e32 vcc, 0, v39
	v_cmp_ne_u64_e64 s[0:1], 0, v[6:7]
	s_and_b64 s[2:3], s[0:1], vcc
	; wave barrier
	s_and_saveexec_b64 s[0:1], s[2:3]
	s_cbranch_execz .LBB2025_39
; %bb.38:
	v_bcnt_u32_b32 v5, v6, 0
	v_bcnt_u32_b32 v5, v7, v5
	s_waitcnt lgkmcnt(0)
	v_add_u32_e32 v5, v38, v5
	ds_write_b32 v43, v5 offset:64
.LBB2025_39:
	s_or_b64 exec, exec, s[0:1]
	v_xor_b32_e32 v34, 0x7fffffff, v34
	v_lshrrev_b32_e32 v5, s16, v34
	v_and_b32_e32 v6, s28, v5
	v_lshl_add_u32 v5, v6, 4, v6
	v_add_lshl_u32 v46, v29, v5, 2
	v_and_b32_e32 v5, 1, v6
	v_add_co_u32_e32 v7, vcc, -1, v5
	v_addc_co_u32_e64 v42, s[0:1], 0, -1, vcc
	v_cmp_ne_u32_e32 vcc, 0, v5
	v_xor_b32_e32 v5, vcc_hi, v42
	v_and_b32_e32 v42, exec_hi, v5
	v_lshlrev_b32_e32 v5, 30, v6
	v_xor_b32_e32 v7, vcc_lo, v7
	v_cmp_gt_i64_e32 vcc, 0, v[4:5]
	v_not_b32_e32 v5, v5
	v_ashrrev_i32_e32 v5, 31, v5
	v_and_b32_e32 v7, exec_lo, v7
	v_xor_b32_e32 v44, vcc_hi, v5
	v_xor_b32_e32 v5, vcc_lo, v5
	v_and_b32_e32 v7, v7, v5
	v_lshlrev_b32_e32 v5, 29, v6
	v_cmp_gt_i64_e32 vcc, 0, v[4:5]
	v_not_b32_e32 v5, v5
	v_ashrrev_i32_e32 v5, 31, v5
	v_and_b32_e32 v42, v42, v44
	v_xor_b32_e32 v44, vcc_hi, v5
	v_xor_b32_e32 v5, vcc_lo, v5
	v_and_b32_e32 v7, v7, v5
	v_lshlrev_b32_e32 v5, 28, v6
	v_cmp_gt_i64_e32 vcc, 0, v[4:5]
	v_not_b32_e32 v5, v5
	v_ashrrev_i32_e32 v5, 31, v5
	v_and_b32_e32 v42, v42, v44
	;; [unrolled: 8-line block ×5, first 2 shown]
	v_xor_b32_e32 v44, vcc_hi, v5
	v_xor_b32_e32 v5, vcc_lo, v5
	v_and_b32_e32 v7, v7, v5
	v_lshlrev_b32_e32 v5, 24, v6
	v_cmp_gt_i64_e32 vcc, 0, v[4:5]
	v_not_b32_e32 v4, v5
	v_ashrrev_i32_e32 v4, 31, v4
	v_xor_b32_e32 v5, vcc_hi, v4
	v_xor_b32_e32 v4, vcc_lo, v4
	; wave barrier
	ds_read_b32 v41, v46 offset:64
	v_and_b32_e32 v42, v42, v44
	v_and_b32_e32 v4, v7, v4
	;; [unrolled: 1-line block ×3, first 2 shown]
	v_mbcnt_lo_u32_b32 v6, v4, 0
	v_mbcnt_hi_u32_b32 v42, v5, v6
	v_cmp_eq_u32_e32 vcc, 0, v42
	v_cmp_ne_u64_e64 s[0:1], 0, v[4:5]
	s_and_b64 s[2:3], s[0:1], vcc
	; wave barrier
	s_and_saveexec_b64 s[0:1], s[2:3]
	s_cbranch_execz .LBB2025_41
; %bb.40:
	v_bcnt_u32_b32 v4, v4, 0
	v_bcnt_u32_b32 v4, v5, v4
	s_waitcnt lgkmcnt(0)
	v_add_u32_e32 v4, v41, v4
	ds_write_b32 v46, v4 offset:64
.LBB2025_41:
	s_or_b64 exec, exec, s[0:1]
	v_xor_b32_e32 v35, 0x7fffffff, v35
	v_lshrrev_b32_e32 v4, s16, v35
	v_and_b32_e32 v6, s28, v4
	v_and_b32_e32 v5, 1, v6
	v_add_co_u32_e32 v7, vcc, -1, v5
	v_addc_co_u32_e64 v45, s[0:1], 0, -1, vcc
	v_cmp_ne_u32_e32 vcc, 0, v5
	v_lshl_add_u32 v4, v6, 4, v6
	v_xor_b32_e32 v5, vcc_hi, v45
	v_add_lshl_u32 v50, v29, v4, 2
	v_mov_b32_e32 v4, 0
	v_and_b32_e32 v45, exec_hi, v5
	v_lshlrev_b32_e32 v5, 30, v6
	v_xor_b32_e32 v7, vcc_lo, v7
	v_cmp_gt_i64_e32 vcc, 0, v[4:5]
	v_not_b32_e32 v5, v5
	v_ashrrev_i32_e32 v5, 31, v5
	v_and_b32_e32 v7, exec_lo, v7
	v_xor_b32_e32 v47, vcc_hi, v5
	v_xor_b32_e32 v5, vcc_lo, v5
	v_and_b32_e32 v7, v7, v5
	v_lshlrev_b32_e32 v5, 29, v6
	v_cmp_gt_i64_e32 vcc, 0, v[4:5]
	v_not_b32_e32 v5, v5
	v_ashrrev_i32_e32 v5, 31, v5
	v_and_b32_e32 v45, v45, v47
	v_xor_b32_e32 v47, vcc_hi, v5
	v_xor_b32_e32 v5, vcc_lo, v5
	v_and_b32_e32 v7, v7, v5
	v_lshlrev_b32_e32 v5, 28, v6
	v_cmp_gt_i64_e32 vcc, 0, v[4:5]
	v_not_b32_e32 v5, v5
	v_ashrrev_i32_e32 v5, 31, v5
	v_and_b32_e32 v45, v45, v47
	;; [unrolled: 8-line block ×5, first 2 shown]
	v_xor_b32_e32 v47, vcc_hi, v5
	v_xor_b32_e32 v5, vcc_lo, v5
	v_and_b32_e32 v45, v45, v47
	v_and_b32_e32 v47, v7, v5
	v_lshlrev_b32_e32 v5, 24, v6
	v_cmp_gt_i64_e32 vcc, 0, v[4:5]
	v_not_b32_e32 v5, v5
	v_ashrrev_i32_e32 v5, 31, v5
	v_xor_b32_e32 v6, vcc_hi, v5
	v_xor_b32_e32 v5, vcc_lo, v5
	; wave barrier
	ds_read_b32 v44, v50 offset:64
	v_and_b32_e32 v7, v45, v6
	v_and_b32_e32 v6, v47, v5
	v_mbcnt_lo_u32_b32 v5, v6, 0
	v_mbcnt_hi_u32_b32 v45, v7, v5
	v_cmp_eq_u32_e32 vcc, 0, v45
	v_cmp_ne_u64_e64 s[0:1], 0, v[6:7]
	s_and_b64 s[2:3], s[0:1], vcc
	; wave barrier
	s_and_saveexec_b64 s[0:1], s[2:3]
	s_cbranch_execz .LBB2025_43
; %bb.42:
	v_bcnt_u32_b32 v5, v6, 0
	v_bcnt_u32_b32 v5, v7, v5
	s_waitcnt lgkmcnt(0)
	v_add_u32_e32 v5, v44, v5
	ds_write_b32 v50, v5 offset:64
.LBB2025_43:
	s_or_b64 exec, exec, s[0:1]
	v_xor_b32_e32 v30, 0x7fffffff, v30
	v_lshrrev_b32_e32 v5, s16, v30
	v_and_b32_e32 v6, s28, v5
	v_lshl_add_u32 v5, v6, 4, v6
	v_add_lshl_u32 v53, v29, v5, 2
	v_and_b32_e32 v5, 1, v6
	v_add_co_u32_e32 v7, vcc, -1, v5
	v_addc_co_u32_e64 v48, s[0:1], 0, -1, vcc
	v_cmp_ne_u32_e32 vcc, 0, v5
	v_xor_b32_e32 v5, vcc_hi, v48
	v_and_b32_e32 v48, exec_hi, v5
	v_lshlrev_b32_e32 v5, 30, v6
	v_xor_b32_e32 v7, vcc_lo, v7
	v_cmp_gt_i64_e32 vcc, 0, v[4:5]
	v_not_b32_e32 v5, v5
	v_ashrrev_i32_e32 v5, 31, v5
	v_and_b32_e32 v7, exec_lo, v7
	v_xor_b32_e32 v49, vcc_hi, v5
	v_xor_b32_e32 v5, vcc_lo, v5
	v_and_b32_e32 v7, v7, v5
	v_lshlrev_b32_e32 v5, 29, v6
	v_cmp_gt_i64_e32 vcc, 0, v[4:5]
	v_not_b32_e32 v5, v5
	v_ashrrev_i32_e32 v5, 31, v5
	v_and_b32_e32 v48, v48, v49
	v_xor_b32_e32 v49, vcc_hi, v5
	v_xor_b32_e32 v5, vcc_lo, v5
	v_and_b32_e32 v7, v7, v5
	v_lshlrev_b32_e32 v5, 28, v6
	v_cmp_gt_i64_e32 vcc, 0, v[4:5]
	v_not_b32_e32 v5, v5
	v_ashrrev_i32_e32 v5, 31, v5
	v_and_b32_e32 v48, v48, v49
	;; [unrolled: 8-line block ×5, first 2 shown]
	v_xor_b32_e32 v49, vcc_hi, v5
	v_xor_b32_e32 v5, vcc_lo, v5
	v_and_b32_e32 v7, v7, v5
	v_lshlrev_b32_e32 v5, 24, v6
	v_cmp_gt_i64_e32 vcc, 0, v[4:5]
	v_not_b32_e32 v4, v5
	v_ashrrev_i32_e32 v4, 31, v4
	v_xor_b32_e32 v5, vcc_hi, v4
	v_xor_b32_e32 v4, vcc_lo, v4
	; wave barrier
	ds_read_b32 v47, v53 offset:64
	v_and_b32_e32 v48, v48, v49
	v_and_b32_e32 v4, v7, v4
	;; [unrolled: 1-line block ×3, first 2 shown]
	v_mbcnt_lo_u32_b32 v6, v4, 0
	v_mbcnt_hi_u32_b32 v49, v5, v6
	v_cmp_eq_u32_e32 vcc, 0, v49
	v_cmp_ne_u64_e64 s[0:1], 0, v[4:5]
	s_and_b64 s[2:3], s[0:1], vcc
	; wave barrier
	s_and_saveexec_b64 s[0:1], s[2:3]
	s_cbranch_execz .LBB2025_45
; %bb.44:
	v_bcnt_u32_b32 v4, v4, 0
	v_bcnt_u32_b32 v4, v5, v4
	s_waitcnt lgkmcnt(0)
	v_add_u32_e32 v4, v47, v4
	ds_write_b32 v53, v4 offset:64
.LBB2025_45:
	s_or_b64 exec, exec, s[0:1]
	v_xor_b32_e32 v26, 0x7fffffff, v26
	v_lshrrev_b32_e32 v4, s16, v26
	v_and_b32_e32 v6, s28, v4
	v_and_b32_e32 v5, 1, v6
	v_add_co_u32_e32 v7, vcc, -1, v5
	v_addc_co_u32_e64 v48, s[0:1], 0, -1, vcc
	v_cmp_ne_u32_e32 vcc, 0, v5
	v_lshl_add_u32 v4, v6, 4, v6
	v_xor_b32_e32 v5, vcc_hi, v48
	v_add_lshl_u32 v56, v29, v4, 2
	v_mov_b32_e32 v4, 0
	v_and_b32_e32 v48, exec_hi, v5
	v_lshlrev_b32_e32 v5, 30, v6
	v_xor_b32_e32 v7, vcc_lo, v7
	v_cmp_gt_i64_e32 vcc, 0, v[4:5]
	v_not_b32_e32 v5, v5
	v_ashrrev_i32_e32 v5, 31, v5
	v_and_b32_e32 v7, exec_lo, v7
	v_xor_b32_e32 v52, vcc_hi, v5
	v_xor_b32_e32 v5, vcc_lo, v5
	v_and_b32_e32 v7, v7, v5
	v_lshlrev_b32_e32 v5, 29, v6
	v_cmp_gt_i64_e32 vcc, 0, v[4:5]
	v_not_b32_e32 v5, v5
	v_ashrrev_i32_e32 v5, 31, v5
	v_and_b32_e32 v48, v48, v52
	v_xor_b32_e32 v52, vcc_hi, v5
	v_xor_b32_e32 v5, vcc_lo, v5
	v_and_b32_e32 v7, v7, v5
	v_lshlrev_b32_e32 v5, 28, v6
	v_cmp_gt_i64_e32 vcc, 0, v[4:5]
	v_not_b32_e32 v5, v5
	v_ashrrev_i32_e32 v5, 31, v5
	v_and_b32_e32 v48, v48, v52
	;; [unrolled: 8-line block ×5, first 2 shown]
	v_xor_b32_e32 v52, vcc_hi, v5
	v_xor_b32_e32 v5, vcc_lo, v5
	v_and_b32_e32 v48, v48, v52
	v_and_b32_e32 v52, v7, v5
	v_lshlrev_b32_e32 v5, 24, v6
	v_cmp_gt_i64_e32 vcc, 0, v[4:5]
	v_not_b32_e32 v5, v5
	v_ashrrev_i32_e32 v5, 31, v5
	v_xor_b32_e32 v6, vcc_hi, v5
	v_xor_b32_e32 v5, vcc_lo, v5
	; wave barrier
	ds_read_b32 v51, v56 offset:64
	v_and_b32_e32 v7, v48, v6
	v_and_b32_e32 v6, v52, v5
	v_mbcnt_lo_u32_b32 v5, v6, 0
	v_mbcnt_hi_u32_b32 v52, v7, v5
	v_cmp_eq_u32_e32 vcc, 0, v52
	v_cmp_ne_u64_e64 s[0:1], 0, v[6:7]
	s_and_b64 s[2:3], s[0:1], vcc
	; wave barrier
	s_and_saveexec_b64 s[0:1], s[2:3]
	s_cbranch_execz .LBB2025_47
; %bb.46:
	v_bcnt_u32_b32 v5, v6, 0
	v_bcnt_u32_b32 v5, v7, v5
	s_waitcnt lgkmcnt(0)
	v_add_u32_e32 v5, v51, v5
	ds_write_b32 v56, v5 offset:64
.LBB2025_47:
	s_or_b64 exec, exec, s[0:1]
	v_xor_b32_e32 v48, 0x7fffffff, v10
	v_lshrrev_b32_e32 v5, s16, v48
	v_and_b32_e32 v6, s28, v5
	v_lshl_add_u32 v5, v6, 4, v6
	v_add_lshl_u32 v10, v29, v5, 2
	v_and_b32_e32 v5, 1, v6
	v_add_co_u32_e32 v7, vcc, -1, v5
	v_addc_co_u32_e64 v29, s[0:1], 0, -1, vcc
	v_cmp_ne_u32_e32 vcc, 0, v5
	v_xor_b32_e32 v5, vcc_hi, v29
	v_and_b32_e32 v29, exec_hi, v5
	v_lshlrev_b32_e32 v5, 30, v6
	v_xor_b32_e32 v7, vcc_lo, v7
	v_cmp_gt_i64_e32 vcc, 0, v[4:5]
	v_not_b32_e32 v5, v5
	v_ashrrev_i32_e32 v5, 31, v5
	v_and_b32_e32 v7, exec_lo, v7
	v_xor_b32_e32 v55, vcc_hi, v5
	v_xor_b32_e32 v5, vcc_lo, v5
	v_and_b32_e32 v7, v7, v5
	v_lshlrev_b32_e32 v5, 29, v6
	v_cmp_gt_i64_e32 vcc, 0, v[4:5]
	v_not_b32_e32 v5, v5
	v_ashrrev_i32_e32 v5, 31, v5
	v_and_b32_e32 v29, v29, v55
	v_xor_b32_e32 v55, vcc_hi, v5
	v_xor_b32_e32 v5, vcc_lo, v5
	v_and_b32_e32 v7, v7, v5
	v_lshlrev_b32_e32 v5, 28, v6
	v_cmp_gt_i64_e32 vcc, 0, v[4:5]
	v_not_b32_e32 v5, v5
	v_ashrrev_i32_e32 v5, 31, v5
	v_and_b32_e32 v29, v29, v55
	;; [unrolled: 8-line block ×5, first 2 shown]
	v_xor_b32_e32 v55, vcc_hi, v5
	v_xor_b32_e32 v5, vcc_lo, v5
	v_and_b32_e32 v7, v7, v5
	v_lshlrev_b32_e32 v5, 24, v6
	v_cmp_gt_i64_e32 vcc, 0, v[4:5]
	v_not_b32_e32 v4, v5
	v_ashrrev_i32_e32 v4, 31, v4
	v_xor_b32_e32 v5, vcc_hi, v4
	v_xor_b32_e32 v4, vcc_lo, v4
	; wave barrier
	ds_read_b32 v54, v10 offset:64
	v_and_b32_e32 v29, v29, v55
	v_and_b32_e32 v4, v7, v4
	;; [unrolled: 1-line block ×3, first 2 shown]
	v_mbcnt_lo_u32_b32 v6, v4, 0
	v_mbcnt_hi_u32_b32 v55, v5, v6
	v_cmp_eq_u32_e32 vcc, 0, v55
	v_cmp_ne_u64_e64 s[0:1], 0, v[4:5]
	v_add_u32_e32 v57, 64, v3
	s_and_b64 s[2:3], s[0:1], vcc
	; wave barrier
	s_and_saveexec_b64 s[0:1], s[2:3]
	s_cbranch_execz .LBB2025_49
; %bb.48:
	v_bcnt_u32_b32 v4, v4, 0
	v_bcnt_u32_b32 v4, v5, v4
	s_waitcnt lgkmcnt(0)
	v_add_u32_e32 v4, v54, v4
	ds_write_b32 v10, v4 offset:64
.LBB2025_49:
	s_or_b64 exec, exec, s[0:1]
	; wave barrier
	s_waitcnt lgkmcnt(0)
	s_barrier
	ds_read2_b32 v[6:7], v3 offset0:16 offset1:17
	ds_read2_b32 v[4:5], v57 offset0:2 offset1:3
	ds_read_b32 v29, v57 offset:16
	v_cmp_lt_u32_e64 s[10:11], 31, v1
	s_waitcnt lgkmcnt(1)
	v_add3_u32 v58, v7, v6, v4
	s_waitcnt lgkmcnt(0)
	v_add3_u32 v29, v58, v5, v29
	v_and_b32_e32 v58, 15, v1
	v_cmp_eq_u32_e32 vcc, 0, v58
	v_mov_b32_dpp v59, v29 row_shr:1 row_mask:0xf bank_mask:0xf
	v_cndmask_b32_e64 v59, v59, 0, vcc
	v_add_u32_e32 v29, v59, v29
	v_cmp_lt_u32_e64 s[0:1], 1, v58
	v_cmp_lt_u32_e64 s[2:3], 3, v58
	v_mov_b32_dpp v59, v29 row_shr:2 row_mask:0xf bank_mask:0xf
	v_cndmask_b32_e64 v59, 0, v59, s[0:1]
	v_add_u32_e32 v29, v29, v59
	v_cmp_lt_u32_e64 s[8:9], 7, v58
	s_nop 0
	v_mov_b32_dpp v59, v29 row_shr:4 row_mask:0xf bank_mask:0xf
	v_cndmask_b32_e64 v59, 0, v59, s[2:3]
	v_add_u32_e32 v29, v29, v59
	s_nop 1
	v_mov_b32_dpp v59, v29 row_shr:8 row_mask:0xf bank_mask:0xf
	v_cndmask_b32_e64 v58, 0, v59, s[8:9]
	v_add_u32_e32 v29, v29, v58
	v_bfe_i32 v59, v1, 4, 1
	s_nop 0
	v_mov_b32_dpp v58, v29 row_bcast:15 row_mask:0xf bank_mask:0xf
	v_and_b32_e32 v58, v59, v58
	v_add_u32_e32 v29, v29, v58
	v_lshrrev_b32_e32 v59, 6, v2
	s_nop 0
	v_mov_b32_dpp v58, v29 row_bcast:31 row_mask:0xf bank_mask:0xf
	v_cndmask_b32_e64 v58, 0, v58, s[10:11]
	v_add_u32_e32 v58, v29, v58
	v_and_b32_e32 v29, 63, v2
	v_cmp_eq_u32_e64 s[10:11], 63, v29
	s_and_saveexec_b64 s[18:19], s[10:11]
	s_cbranch_execz .LBB2025_51
; %bb.50:
	v_lshlrev_b32_e32 v29, 2, v59
	ds_write_b32 v29, v58
.LBB2025_51:
	s_or_b64 exec, exec, s[18:19]
	v_cmp_gt_u32_e64 s[10:11], 16, v2
	v_lshlrev_b32_e32 v29, 2, v2
	s_waitcnt lgkmcnt(0)
	s_barrier
	s_and_saveexec_b64 s[18:19], s[10:11]
	s_cbranch_execz .LBB2025_53
; %bb.52:
	ds_read_b32 v60, v29
	s_waitcnt lgkmcnt(0)
	s_nop 0
	v_mov_b32_dpp v61, v60 row_shr:1 row_mask:0xf bank_mask:0xf
	v_cndmask_b32_e64 v61, v61, 0, vcc
	v_add_u32_e32 v60, v61, v60
	s_nop 1
	v_mov_b32_dpp v61, v60 row_shr:2 row_mask:0xf bank_mask:0xf
	v_cndmask_b32_e64 v61, 0, v61, s[0:1]
	v_add_u32_e32 v60, v60, v61
	s_nop 1
	v_mov_b32_dpp v61, v60 row_shr:4 row_mask:0xf bank_mask:0xf
	v_cndmask_b32_e64 v61, 0, v61, s[2:3]
	;; [unrolled: 4-line block ×3, first 2 shown]
	v_add_u32_e32 v60, v60, v61
	ds_write_b32 v29, v60
.LBB2025_53:
	s_or_b64 exec, exec, s[18:19]
	v_cmp_lt_u32_e32 vcc, 63, v2
	v_mov_b32_e32 v60, 0
	s_waitcnt lgkmcnt(0)
	s_barrier
	s_and_saveexec_b64 s[0:1], vcc
	s_cbranch_execz .LBB2025_55
; %bb.54:
	v_lshl_add_u32 v59, v59, 2, -4
	ds_read_b32 v60, v59
.LBB2025_55:
	s_or_b64 exec, exec, s[0:1]
	v_add_u32_e32 v59, -1, v1
	v_and_b32_e32 v61, 64, v1
	v_cmp_lt_i32_e32 vcc, v59, v61
	v_cndmask_b32_e32 v59, v59, v1, vcc
	s_waitcnt lgkmcnt(0)
	v_add_u32_e32 v58, v60, v58
	v_lshlrev_b32_e32 v59, 2, v59
	ds_bpermute_b32 v58, v59, v58
	v_cmp_eq_u32_e32 vcc, 0, v1
	s_movk_i32 s2, 0xff
	s_movk_i32 s0, 0x100
	v_cmp_gt_u32_e64 s[0:1], s0, v2
	s_waitcnt lgkmcnt(0)
	v_cndmask_b32_e32 v1, v58, v60, vcc
	v_cmp_ne_u32_e32 vcc, 0, v2
	v_cndmask_b32_e32 v1, 0, v1, vcc
	v_add_u32_e32 v6, v1, v6
	v_add_u32_e32 v7, v6, v7
	;; [unrolled: 1-line block ×4, first 2 shown]
	ds_write2_b32 v3, v1, v6 offset0:16 offset1:17
	ds_write2_b32 v57, v7, v4 offset0:2 offset1:3
	ds_write_b32 v57, v5 offset:16
	s_waitcnt lgkmcnt(0)
	s_barrier
	ds_read_b32 v59, v8 offset:64
	ds_read_b32 v1, v9 offset:64
	;; [unrolled: 1-line block ×12, first 2 shown]
	v_cmp_lt_u32_e32 vcc, s2, v2
	v_pk_mov_b32 v[4:5], 0, 0
                                        ; implicit-def: $vgpr40
	s_and_saveexec_b64 s[8:9], s[0:1]
	s_cbranch_execz .LBB2025_59
; %bb.56:
	v_mul_u32_u24_e32 v3, 17, v2
	v_lshlrev_b32_e32 v5, 2, v3
	ds_read_b32 v4, v5 offset:64
	v_cmp_ne_u32_e64 s[2:3], s2, v2
	v_mov_b32_e32 v3, 0x3000
	s_and_saveexec_b64 s[10:11], s[2:3]
	s_cbranch_execz .LBB2025_58
; %bb.57:
	ds_read_b32 v3, v5 offset:132
.LBB2025_58:
	s_or_b64 exec, exec, s[10:11]
	s_waitcnt lgkmcnt(0)
	v_sub_u32_e32 v40, v3, v4
	v_mov_b32_e32 v5, 0
.LBB2025_59:
	s_or_b64 exec, exec, s[8:9]
	s_waitcnt lgkmcnt(0)
	s_barrier
	s_and_saveexec_b64 s[2:3], vcc
	s_xor_b64 s[2:3], exec, s[2:3]
; %bb.60:
	v_mov_b32_e32 v3, 0
; %bb.61:
	s_andn2_saveexec_b64 s[2:3], s[2:3]
	s_cbranch_execz .LBB2025_71
; %bb.62:
	v_lshl_or_b32 v6, s6, 8, v2
	v_mov_b32_e32 v7, 0
	v_lshlrev_b64 v[8:9], 2, v[6:7]
	v_mov_b32_e32 v3, s25
	v_add_co_u32_e32 v8, vcc, s24, v8
	v_addc_co_u32_e32 v9, vcc, v3, v9, vcc
	v_or_b32_e32 v6, 2.0, v40
	s_mov_b64 s[8:9], 0
	s_brev_b32 s29, 1
	s_mov_b32 s30, s6
	v_mov_b32_e32 v61, 0
	global_store_dword v[8:9], v6, off
                                        ; implicit-def: $sgpr10_sgpr11
	s_branch .LBB2025_64
.LBB2025_63:                            ;   in Loop: Header=BB2025_64 Depth=1
	s_or_b64 exec, exec, s[10:11]
	v_and_b32_e32 v10, 0x3fffffff, v62
	v_add_u32_e32 v61, v10, v61
	v_cmp_eq_u32_e64 s[10:11], s29, v6
	s_and_b64 s[18:19], exec, s[10:11]
	s_or_b64 s[8:9], s[18:19], s[8:9]
	s_andn2_b64 exec, exec, s[8:9]
	s_cbranch_execz .LBB2025_70
.LBB2025_64:                            ; =>This Loop Header: Depth=1
                                        ;     Child Loop BB2025_67 Depth 2
	s_or_b64 s[10:11], s[10:11], exec
	s_cmp_eq_u32 s30, 0
	s_cbranch_scc1 .LBB2025_69
; %bb.65:                               ;   in Loop: Header=BB2025_64 Depth=1
	s_add_i32 s30, s30, -1
	v_lshl_or_b32 v6, s30, 8, v2
	v_lshlrev_b64 v[10:11], 2, v[6:7]
	v_add_co_u32_e32 v10, vcc, s24, v10
	v_addc_co_u32_e32 v11, vcc, v3, v11, vcc
	global_load_dword v62, v[10:11], off glc
	s_waitcnt vmcnt(0)
	v_and_b32_e32 v6, -2.0, v62
	v_cmp_eq_u32_e32 vcc, 0, v6
	s_and_saveexec_b64 s[10:11], vcc
	s_cbranch_execz .LBB2025_63
; %bb.66:                               ;   in Loop: Header=BB2025_64 Depth=1
	s_mov_b64 s[18:19], 0
.LBB2025_67:                            ;   Parent Loop BB2025_64 Depth=1
                                        ; =>  This Inner Loop Header: Depth=2
	global_load_dword v62, v[10:11], off glc
	s_waitcnt vmcnt(0)
	v_and_b32_e32 v6, -2.0, v62
	v_cmp_ne_u32_e32 vcc, 0, v6
	s_or_b64 s[18:19], vcc, s[18:19]
	s_andn2_b64 exec, exec, s[18:19]
	s_cbranch_execnz .LBB2025_67
; %bb.68:                               ;   in Loop: Header=BB2025_64 Depth=1
	s_or_b64 exec, exec, s[18:19]
	s_branch .LBB2025_63
.LBB2025_69:                            ;   in Loop: Header=BB2025_64 Depth=1
                                        ; implicit-def: $sgpr30
	s_and_b64 s[18:19], exec, s[10:11]
	s_or_b64 s[8:9], s[18:19], s[8:9]
	s_andn2_b64 exec, exec, s[8:9]
	s_cbranch_execnz .LBB2025_64
.LBB2025_70:
	s_or_b64 exec, exec, s[8:9]
	v_add_u32_e32 v3, v61, v40
	v_or_b32_e32 v3, 0x80000000, v3
	global_store_dword v[8:9], v3, off
	v_lshlrev_b32_e32 v8, 3, v2
	global_load_dwordx2 v[6:7], v8, s[12:13]
	v_sub_co_u32_e32 v9, vcc, v61, v4
	v_subb_co_u32_e32 v10, vcc, 0, v5, vcc
	v_mov_b32_e32 v3, 0
	s_waitcnt vmcnt(0)
	v_add_co_u32_e32 v6, vcc, v9, v6
	v_addc_co_u32_e32 v7, vcc, v10, v7, vcc
	ds_write_b64 v8, v[6:7]
.LBB2025_71:
	s_or_b64 exec, exec, s[2:3]
	v_add3_u32 v33, v36, v58, v33
	v_add3_u32 v27, v31, v37, v27
	v_lshlrev_b64 v[36:37], 2, v[2:3]
	v_add3_u32 v17, v19, v1, v17
	v_mov_b32_e32 v1, s23
	v_add_co_u32_e32 v6, vcc, s22, v36
	v_add_u32_e32 v7, v59, v16
	v_add_u32_e32 v8, 0x800, v29
	v_add3_u32 v9, v55, v60, v54
	v_add3_u32 v10, v52, v56, v51
	;; [unrolled: 1-line block ×8, first 2 shown]
	v_addc_co_u32_e32 v1, vcc, v1, v37, vcc
	s_mov_b32 s8, 0
	s_mov_b32 s9, 0
	s_branch .LBB2025_73
.LBB2025_72:                            ;   in Loop: Header=BB2025_73 Depth=1
	s_or_b64 exec, exec, s[2:3]
	s_addk_i32 s9, 0x1000
	s_addk_i32 s8, 0xf000
	v_add_co_u32_e32 v6, vcc, 0x4000, v6
	s_cmpk_eq_i32 s8, 0xd000
	v_addc_co_u32_e32 v1, vcc, 0, v1, vcc
	s_barrier
	s_cbranch_scc1 .LBB2025_82
.LBB2025_73:                            ; =>This Inner Loop Header: Depth=1
	v_add_u32_e32 v19, s8, v7
	v_min_u32_e32 v19, 0x1000, v19
	v_lshlrev_b32_e32 v19, 2, v19
	ds_write_b32 v19, v13 offset:2048
	v_add_u32_e32 v19, s8, v17
	v_min_u32_e32 v19, 0x1000, v19
	v_lshlrev_b32_e32 v19, 2, v19
	ds_write_b32 v19, v14 offset:2048
	v_add_u32_e32 v19, s8, v20
	v_min_u32_e32 v19, 0x1000, v19
	v_lshlrev_b32_e32 v19, 2, v19
	ds_write_b32 v19, v15 offset:2048
	v_add_u32_e32 v19, s8, v23
	v_min_u32_e32 v19, 0x1000, v19
	v_lshlrev_b32_e32 v19, 2, v19
	ds_write_b32 v19, v18 offset:2048
	v_add_u32_e32 v19, s8, v27
	v_min_u32_e32 v19, 0x1000, v19
	v_lshlrev_b32_e32 v19, 2, v19
	ds_write_b32 v19, v21 offset:2048
	v_add_u32_e32 v19, s8, v33
	v_min_u32_e32 v19, 0x1000, v19
	v_lshlrev_b32_e32 v19, 2, v19
	ds_write_b32 v19, v24 offset:2048
	v_add_u32_e32 v19, s8, v38
	v_min_u32_e32 v19, 0x1000, v19
	v_lshlrev_b32_e32 v19, 2, v19
	ds_write_b32 v19, v28 offset:2048
	v_add_u32_e32 v19, s8, v41
	v_min_u32_e32 v19, 0x1000, v19
	v_lshlrev_b32_e32 v19, 2, v19
	ds_write_b32 v19, v34 offset:2048
	v_add_u32_e32 v19, s8, v16
	v_min_u32_e32 v19, 0x1000, v19
	v_lshlrev_b32_e32 v19, 2, v19
	ds_write_b32 v19, v35 offset:2048
	v_add_u32_e32 v19, s8, v11
	v_min_u32_e32 v19, 0x1000, v19
	v_lshlrev_b32_e32 v19, 2, v19
	ds_write_b32 v19, v30 offset:2048
	v_add_u32_e32 v19, s8, v10
	v_min_u32_e32 v19, 0x1000, v19
	v_lshlrev_b32_e32 v19, 2, v19
	ds_write_b32 v19, v26 offset:2048
	v_add_u32_e32 v19, s8, v9
	v_min_u32_e32 v19, 0x1000, v19
	v_lshlrev_b32_e32 v19, 2, v19
	ds_write_b32 v19, v48 offset:2048
	v_add_u32_e32 v19, s9, v2
	v_cmp_gt_u32_e32 vcc, s7, v19
	s_waitcnt lgkmcnt(0)
	s_barrier
	s_and_saveexec_b64 s[2:3], vcc
	s_cbranch_execz .LBB2025_75
; %bb.74:                               ;   in Loop: Header=BB2025_73 Depth=1
	ds_read_b32 v22, v29 offset:2048
	s_waitcnt lgkmcnt(0)
	v_lshrrev_b32_e32 v25, s16, v22
	v_and_b32_e32 v25, s28, v25
	v_lshlrev_b32_e32 v25, 3, v25
	ds_read_b64 v[36:37], v25
	v_xor_b32_e32 v22, 0x7fffffff, v22
	s_waitcnt lgkmcnt(0)
	v_lshlrev_b64 v[36:37], 2, v[36:37]
	v_add_co_u32_e32 v36, vcc, v6, v36
	v_addc_co_u32_e32 v37, vcc, v1, v37, vcc
	global_store_dword v[36:37], v22, off
.LBB2025_75:                            ;   in Loop: Header=BB2025_73 Depth=1
	s_or_b64 exec, exec, s[2:3]
	v_add_u32_e32 v22, 0x400, v19
	v_cmp_gt_u32_e32 vcc, s7, v22
	s_and_saveexec_b64 s[2:3], vcc
	s_cbranch_execz .LBB2025_77
; %bb.76:                               ;   in Loop: Header=BB2025_73 Depth=1
	ds_read_b32 v22, v8 offset:4096
	s_waitcnt lgkmcnt(0)
	v_lshrrev_b32_e32 v25, s16, v22
	v_and_b32_e32 v25, s28, v25
	v_lshlrev_b32_e32 v25, 3, v25
	ds_read_b64 v[36:37], v25
	v_xor_b32_e32 v22, 0x7fffffff, v22
	s_waitcnt lgkmcnt(0)
	v_lshlrev_b64 v[36:37], 2, v[36:37]
	v_add_co_u32_e32 v25, vcc, v6, v36
	v_addc_co_u32_e32 v31, vcc, v1, v37, vcc
	v_add_co_u32_e32 v36, vcc, 0x1000, v25
	v_addc_co_u32_e32 v37, vcc, 0, v31, vcc
	global_store_dword v[36:37], v22, off
.LBB2025_77:                            ;   in Loop: Header=BB2025_73 Depth=1
	s_or_b64 exec, exec, s[2:3]
	v_add_u32_e32 v22, 0x800, v19
	v_cmp_gt_u32_e32 vcc, s7, v22
	s_and_saveexec_b64 s[2:3], vcc
	s_cbranch_execz .LBB2025_79
; %bb.78:                               ;   in Loop: Header=BB2025_73 Depth=1
	ds_read_b32 v22, v8 offset:8192
	s_waitcnt lgkmcnt(0)
	v_lshrrev_b32_e32 v25, s16, v22
	v_and_b32_e32 v25, s28, v25
	v_lshlrev_b32_e32 v25, 3, v25
	ds_read_b64 v[36:37], v25
	v_xor_b32_e32 v22, 0x7fffffff, v22
	s_waitcnt lgkmcnt(0)
	v_lshlrev_b64 v[36:37], 2, v[36:37]
	v_add_co_u32_e32 v25, vcc, v6, v36
	v_addc_co_u32_e32 v31, vcc, v1, v37, vcc
	v_add_co_u32_e32 v36, vcc, 0x2000, v25
	v_addc_co_u32_e32 v37, vcc, 0, v31, vcc
	global_store_dword v[36:37], v22, off
.LBB2025_79:                            ;   in Loop: Header=BB2025_73 Depth=1
	s_or_b64 exec, exec, s[2:3]
	v_add_u32_e32 v19, 0xc00, v19
	v_cmp_gt_u32_e32 vcc, s7, v19
	s_and_saveexec_b64 s[2:3], vcc
	s_cbranch_execz .LBB2025_72
; %bb.80:                               ;   in Loop: Header=BB2025_73 Depth=1
	ds_read_b32 v19, v8 offset:12288
	s_waitcnt lgkmcnt(0)
	v_lshrrev_b32_e32 v22, s16, v19
	v_and_b32_e32 v22, s28, v22
	v_lshlrev_b32_e32 v22, 3, v22
	ds_read_b64 v[36:37], v22
	v_xor_b32_e32 v19, 0x7fffffff, v19
	s_waitcnt lgkmcnt(0)
	v_lshlrev_b64 v[36:37], 2, v[36:37]
	v_add_co_u32_e32 v22, vcc, v6, v36
	v_addc_co_u32_e32 v25, vcc, v1, v37, vcc
	v_add_co_u32_e32 v36, vcc, 0x3000, v22
	v_addc_co_u32_e32 v37, vcc, 0, v25, vcc
	global_store_dword v[36:37], v19, off
	s_branch .LBB2025_72
.LBB2025_81:
	s_mov_b64 s[0:1], 0
                                        ; implicit-def: $vgpr2
                                        ; implicit-def: $vgpr4_vgpr5
                                        ; implicit-def: $vgpr40
	s_cbranch_execnz .LBB2025_83
	s_branch .LBB2025_132
.LBB2025_82:
	s_add_i32 s27, s27, -1
	s_cmp_eq_u32 s27, s6
	s_cselect_b64 s[2:3], -1, 0
	s_and_b64 s[0:1], s[0:1], s[2:3]
	s_branch .LBB2025_132
.LBB2025_83:
	s_mov_b32 s27, 0
	v_mbcnt_hi_u32_b32 v3, -1, v12
	s_lshl_b64 s[0:1], s[26:27], 2
	v_and_b32_e32 v1, 63, v3
	s_add_u32 s0, s20, s0
	v_lshlrev_b32_e32 v1, 2, v1
	v_add_co_u32_e32 v1, vcc, s0, v1
	s_load_dword s7, s[4:5], 0x58
	s_load_dword s0, s[4:5], 0x64
	v_and_b32_e32 v2, 0x3ff, v0
	s_addc_u32 s1, s21, s1
	v_and_b32_e32 v5, 0x3c0, v2
	v_mul_u32_u24_e32 v5, 12, v5
	v_mov_b32_e32 v6, s1
	v_addc_co_u32_e32 v6, vcc, 0, v6, vcc
	v_lshlrev_b32_e32 v5, 2, v5
	s_add_u32 s1, s4, 0x58
	v_add_co_u32_e32 v10, vcc, v1, v5
	s_addc_u32 s2, s5, 0
	s_waitcnt lgkmcnt(0)
	s_lshr_b32 s3, s0, 16
	v_addc_co_u32_e32 v11, vcc, 0, v6, vcc
	s_cmp_lt_u32 s6, s7
	global_load_dword v1, v[10:11], off
	s_cselect_b32 s0, 12, 18
	s_add_u32 s0, s1, s0
	v_mov_b32_e32 v4, 0
	s_addc_u32 s1, s2, 0
	global_load_ushort v5, v4, s[0:1]
	v_mul_u32_u24_e32 v6, 5, v2
	v_lshlrev_b32_e32 v6, 2, v6
	ds_write2_b32 v6, v4, v4 offset0:16 offset1:17
	ds_write2_b32 v6, v4, v4 offset0:18 offset1:19
	ds_write_b32 v6, v4 offset:80
	global_load_dword v8, v[10:11], off offset:256
	global_load_dword v12, v[10:11], off offset:512
	;; [unrolled: 1-line block ×11, first 2 shown]
	s_lshl_b32 s0, -1, s17
	v_bfe_u32 v7, v0, 10, 10
	v_bfe_u32 v0, v0, 20, 10
	s_not_b32 s17, s0
	v_mad_u32_u24 v0, v0, s3, v7
	s_waitcnt lgkmcnt(0)
	s_barrier
	s_waitcnt lgkmcnt(0)
	; wave barrier
	s_waitcnt vmcnt(12)
	v_xor_b32_e32 v10, 0x7fffffff, v1
	v_lshrrev_b32_e32 v1, s16, v10
	v_and_b32_e32 v11, s17, v1
	v_and_b32_e32 v7, 1, v11
	s_waitcnt vmcnt(11)
	v_mad_u64_u32 v[0:1], s[0:1], v0, v5, v[2:3]
	v_lshrrev_b32_e32 v24, 6, v0
	v_add_co_u32_e32 v0, vcc, -1, v7
	v_lshlrev_b32_e32 v5, 30, v11
	v_addc_co_u32_e64 v14, s[0:1], 0, -1, vcc
	v_lshl_add_u32 v1, v11, 4, v11
	v_cmp_ne_u32_e32 vcc, 0, v7
	v_cmp_gt_i64_e64 s[0:1], 0, v[4:5]
	v_not_b32_e32 v15, v5
	v_lshlrev_b32_e32 v5, 29, v11
	v_add_lshl_u32 v7, v24, v1, 2
	v_xor_b32_e32 v1, vcc_hi, v14
	v_xor_b32_e32 v0, vcc_lo, v0
	v_ashrrev_i32_e32 v14, 31, v15
	v_cmp_gt_i64_e32 vcc, 0, v[4:5]
	v_not_b32_e32 v15, v5
	v_lshlrev_b32_e32 v5, 28, v11
	v_and_b32_e32 v1, exec_hi, v1
	v_and_b32_e32 v0, exec_lo, v0
	v_xor_b32_e32 v16, s1, v14
	v_xor_b32_e32 v14, s0, v14
	v_ashrrev_i32_e32 v15, 31, v15
	v_cmp_gt_i64_e64 s[0:1], 0, v[4:5]
	v_not_b32_e32 v5, v5
	v_and_b32_e32 v1, v1, v16
	v_and_b32_e32 v0, v0, v14
	v_xor_b32_e32 v14, vcc_hi, v15
	v_xor_b32_e32 v15, vcc_lo, v15
	v_ashrrev_i32_e32 v5, 31, v5
	v_and_b32_e32 v1, v1, v14
	v_and_b32_e32 v0, v0, v15
	v_xor_b32_e32 v14, s1, v5
	v_xor_b32_e32 v5, s0, v5
	v_and_b32_e32 v0, v0, v5
	v_lshlrev_b32_e32 v5, 27, v11
	v_cmp_gt_i64_e32 vcc, 0, v[4:5]
	v_not_b32_e32 v5, v5
	v_ashrrev_i32_e32 v5, 31, v5
	v_and_b32_e32 v1, v1, v14
	v_xor_b32_e32 v14, vcc_hi, v5
	v_xor_b32_e32 v5, vcc_lo, v5
	v_and_b32_e32 v0, v0, v5
	v_lshlrev_b32_e32 v5, 26, v11
	v_cmp_gt_i64_e32 vcc, 0, v[4:5]
	v_not_b32_e32 v5, v5
	v_ashrrev_i32_e32 v5, 31, v5
	v_and_b32_e32 v1, v1, v14
	v_xor_b32_e32 v14, vcc_hi, v5
	v_xor_b32_e32 v5, vcc_lo, v5
	v_and_b32_e32 v0, v0, v5
	v_lshlrev_b32_e32 v5, 25, v11
	v_cmp_gt_i64_e32 vcc, 0, v[4:5]
	v_not_b32_e32 v5, v5
	v_ashrrev_i32_e32 v5, 31, v5
	v_and_b32_e32 v1, v1, v14
	v_xor_b32_e32 v14, vcc_hi, v5
	v_xor_b32_e32 v5, vcc_lo, v5
	v_and_b32_e32 v0, v0, v5
	v_lshlrev_b32_e32 v5, 24, v11
	v_cmp_gt_i64_e32 vcc, 0, v[4:5]
	v_not_b32_e32 v5, v5
	v_ashrrev_i32_e32 v5, 31, v5
	v_xor_b32_e32 v11, vcc_hi, v5
	v_xor_b32_e32 v5, vcc_lo, v5
	v_and_b32_e32 v1, v1, v14
	v_and_b32_e32 v0, v0, v5
	;; [unrolled: 1-line block ×3, first 2 shown]
	v_mbcnt_lo_u32_b32 v5, v0, 0
	v_mbcnt_hi_u32_b32 v14, v1, v5
	v_cmp_eq_u32_e32 vcc, 0, v14
	v_cmp_ne_u64_e64 s[0:1], 0, v[0:1]
	s_and_b64 s[2:3], s[0:1], vcc
	s_and_saveexec_b64 s[0:1], s[2:3]
	s_cbranch_execz .LBB2025_85
; %bb.84:
	v_bcnt_u32_b32 v0, v0, 0
	v_bcnt_u32_b32 v0, v1, v0
	ds_write_b32 v7, v0 offset:64
.LBB2025_85:
	s_or_b64 exec, exec, s[0:1]
	s_waitcnt vmcnt(10)
	v_xor_b32_e32 v11, 0x7fffffff, v8
	v_lshrrev_b32_e32 v0, s16, v11
	v_and_b32_e32 v0, s17, v0
	v_lshl_add_u32 v1, v0, 4, v0
	v_add_lshl_u32 v8, v24, v1, 2
	v_and_b32_e32 v1, 1, v0
	v_add_co_u32_e32 v5, vcc, -1, v1
	v_addc_co_u32_e64 v16, s[0:1], 0, -1, vcc
	v_cmp_ne_u32_e32 vcc, 0, v1
	v_xor_b32_e32 v5, vcc_lo, v5
	v_xor_b32_e32 v1, vcc_hi, v16
	v_and_b32_e32 v16, exec_lo, v5
	v_lshlrev_b32_e32 v5, 30, v0
	v_cmp_gt_i64_e32 vcc, 0, v[4:5]
	v_not_b32_e32 v5, v5
	v_ashrrev_i32_e32 v5, 31, v5
	v_xor_b32_e32 v18, vcc_hi, v5
	v_xor_b32_e32 v5, vcc_lo, v5
	v_and_b32_e32 v16, v16, v5
	v_lshlrev_b32_e32 v5, 29, v0
	v_cmp_gt_i64_e32 vcc, 0, v[4:5]
	v_not_b32_e32 v5, v5
	v_and_b32_e32 v1, exec_hi, v1
	v_ashrrev_i32_e32 v5, 31, v5
	v_and_b32_e32 v1, v1, v18
	v_xor_b32_e32 v18, vcc_hi, v5
	v_xor_b32_e32 v5, vcc_lo, v5
	v_and_b32_e32 v16, v16, v5
	v_lshlrev_b32_e32 v5, 28, v0
	v_cmp_gt_i64_e32 vcc, 0, v[4:5]
	v_not_b32_e32 v5, v5
	v_ashrrev_i32_e32 v5, 31, v5
	v_and_b32_e32 v1, v1, v18
	v_xor_b32_e32 v18, vcc_hi, v5
	v_xor_b32_e32 v5, vcc_lo, v5
	v_and_b32_e32 v16, v16, v5
	v_lshlrev_b32_e32 v5, 27, v0
	v_cmp_gt_i64_e32 vcc, 0, v[4:5]
	v_not_b32_e32 v5, v5
	;; [unrolled: 8-line block ×4, first 2 shown]
	v_ashrrev_i32_e32 v5, 31, v5
	v_and_b32_e32 v1, v1, v18
	v_xor_b32_e32 v18, vcc_hi, v5
	v_xor_b32_e32 v5, vcc_lo, v5
	v_and_b32_e32 v16, v16, v5
	v_lshlrev_b32_e32 v5, 24, v0
	v_not_b32_e32 v0, v5
	v_cmp_gt_i64_e32 vcc, 0, v[4:5]
	v_ashrrev_i32_e32 v0, 31, v0
	v_xor_b32_e32 v4, vcc_hi, v0
	v_xor_b32_e32 v0, vcc_lo, v0
	; wave barrier
	ds_read_b32 v15, v8 offset:64
	v_and_b32_e32 v1, v1, v18
	v_and_b32_e32 v0, v16, v0
	;; [unrolled: 1-line block ×3, first 2 shown]
	v_mbcnt_lo_u32_b32 v4, v0, 0
	v_mbcnt_hi_u32_b32 v16, v1, v4
	v_cmp_eq_u32_e32 vcc, 0, v16
	v_cmp_ne_u64_e64 s[0:1], 0, v[0:1]
	s_and_b64 s[2:3], s[0:1], vcc
	; wave barrier
	s_and_saveexec_b64 s[0:1], s[2:3]
	s_cbranch_execz .LBB2025_87
; %bb.86:
	v_bcnt_u32_b32 v0, v0, 0
	v_bcnt_u32_b32 v0, v1, v0
	s_waitcnt lgkmcnt(0)
	v_add_u32_e32 v0, v15, v0
	ds_write_b32 v8, v0 offset:64
.LBB2025_87:
	s_or_b64 exec, exec, s[0:1]
	s_waitcnt vmcnt(9)
	v_xor_b32_e32 v12, 0x7fffffff, v12
	v_lshrrev_b32_e32 v0, s16, v12
	v_and_b32_e32 v4, s17, v0
	v_and_b32_e32 v1, 1, v4
	v_add_co_u32_e32 v5, vcc, -1, v1
	v_addc_co_u32_e64 v19, s[0:1], 0, -1, vcc
	v_cmp_ne_u32_e32 vcc, 0, v1
	v_lshl_add_u32 v0, v4, 4, v4
	v_xor_b32_e32 v1, vcc_hi, v19
	v_add_lshl_u32 v25, v24, v0, 2
	v_mov_b32_e32 v0, 0
	v_and_b32_e32 v19, exec_hi, v1
	v_lshlrev_b32_e32 v1, 30, v4
	v_xor_b32_e32 v5, vcc_lo, v5
	v_cmp_gt_i64_e32 vcc, 0, v[0:1]
	v_not_b32_e32 v1, v1
	v_ashrrev_i32_e32 v1, 31, v1
	v_and_b32_e32 v5, exec_lo, v5
	v_xor_b32_e32 v21, vcc_hi, v1
	v_xor_b32_e32 v1, vcc_lo, v1
	v_and_b32_e32 v5, v5, v1
	v_lshlrev_b32_e32 v1, 29, v4
	v_cmp_gt_i64_e32 vcc, 0, v[0:1]
	v_not_b32_e32 v1, v1
	v_ashrrev_i32_e32 v1, 31, v1
	v_and_b32_e32 v19, v19, v21
	v_xor_b32_e32 v21, vcc_hi, v1
	v_xor_b32_e32 v1, vcc_lo, v1
	v_and_b32_e32 v5, v5, v1
	v_lshlrev_b32_e32 v1, 28, v4
	v_cmp_gt_i64_e32 vcc, 0, v[0:1]
	v_not_b32_e32 v1, v1
	v_ashrrev_i32_e32 v1, 31, v1
	v_and_b32_e32 v19, v19, v21
	;; [unrolled: 8-line block ×5, first 2 shown]
	v_xor_b32_e32 v21, vcc_hi, v1
	v_xor_b32_e32 v1, vcc_lo, v1
	v_and_b32_e32 v19, v19, v21
	v_and_b32_e32 v21, v5, v1
	v_lshlrev_b32_e32 v1, 24, v4
	v_cmp_gt_i64_e32 vcc, 0, v[0:1]
	v_not_b32_e32 v1, v1
	v_ashrrev_i32_e32 v1, 31, v1
	v_xor_b32_e32 v4, vcc_hi, v1
	v_xor_b32_e32 v1, vcc_lo, v1
	; wave barrier
	ds_read_b32 v18, v25 offset:64
	v_and_b32_e32 v5, v19, v4
	v_and_b32_e32 v4, v21, v1
	v_mbcnt_lo_u32_b32 v1, v4, 0
	v_mbcnt_hi_u32_b32 v19, v5, v1
	v_cmp_eq_u32_e32 vcc, 0, v19
	v_cmp_ne_u64_e64 s[0:1], 0, v[4:5]
	s_and_b64 s[2:3], s[0:1], vcc
	; wave barrier
	s_and_saveexec_b64 s[0:1], s[2:3]
	s_cbranch_execz .LBB2025_89
; %bb.88:
	v_bcnt_u32_b32 v1, v4, 0
	v_bcnt_u32_b32 v1, v5, v1
	s_waitcnt lgkmcnt(0)
	v_add_u32_e32 v1, v18, v1
	ds_write_b32 v25, v1 offset:64
.LBB2025_89:
	s_or_b64 exec, exec, s[0:1]
	s_waitcnt vmcnt(8)
	v_xor_b32_e32 v13, 0x7fffffff, v13
	v_lshrrev_b32_e32 v1, s16, v13
	v_and_b32_e32 v4, s17, v1
	v_lshl_add_u32 v1, v4, 4, v4
	v_add_lshl_u32 v30, v24, v1, 2
	v_and_b32_e32 v1, 1, v4
	v_add_co_u32_e32 v5, vcc, -1, v1
	v_addc_co_u32_e64 v22, s[0:1], 0, -1, vcc
	v_cmp_ne_u32_e32 vcc, 0, v1
	v_xor_b32_e32 v1, vcc_hi, v22
	v_and_b32_e32 v22, exec_hi, v1
	v_lshlrev_b32_e32 v1, 30, v4
	v_xor_b32_e32 v5, vcc_lo, v5
	v_cmp_gt_i64_e32 vcc, 0, v[0:1]
	v_not_b32_e32 v1, v1
	v_ashrrev_i32_e32 v1, 31, v1
	v_and_b32_e32 v5, exec_lo, v5
	v_xor_b32_e32 v26, vcc_hi, v1
	v_xor_b32_e32 v1, vcc_lo, v1
	v_and_b32_e32 v5, v5, v1
	v_lshlrev_b32_e32 v1, 29, v4
	v_cmp_gt_i64_e32 vcc, 0, v[0:1]
	v_not_b32_e32 v1, v1
	v_ashrrev_i32_e32 v1, 31, v1
	v_and_b32_e32 v22, v22, v26
	v_xor_b32_e32 v26, vcc_hi, v1
	v_xor_b32_e32 v1, vcc_lo, v1
	v_and_b32_e32 v5, v5, v1
	v_lshlrev_b32_e32 v1, 28, v4
	v_cmp_gt_i64_e32 vcc, 0, v[0:1]
	v_not_b32_e32 v1, v1
	v_ashrrev_i32_e32 v1, 31, v1
	v_and_b32_e32 v22, v22, v26
	v_xor_b32_e32 v26, vcc_hi, v1
	v_xor_b32_e32 v1, vcc_lo, v1
	v_and_b32_e32 v5, v5, v1
	v_lshlrev_b32_e32 v1, 27, v4
	v_cmp_gt_i64_e32 vcc, 0, v[0:1]
	v_not_b32_e32 v1, v1
	v_ashrrev_i32_e32 v1, 31, v1
	v_and_b32_e32 v22, v22, v26
	v_xor_b32_e32 v26, vcc_hi, v1
	v_xor_b32_e32 v1, vcc_lo, v1
	v_and_b32_e32 v5, v5, v1
	v_lshlrev_b32_e32 v1, 26, v4
	v_cmp_gt_i64_e32 vcc, 0, v[0:1]
	v_not_b32_e32 v1, v1
	v_ashrrev_i32_e32 v1, 31, v1
	v_and_b32_e32 v22, v22, v26
	v_xor_b32_e32 v26, vcc_hi, v1
	v_xor_b32_e32 v1, vcc_lo, v1
	v_and_b32_e32 v5, v5, v1
	v_lshlrev_b32_e32 v1, 25, v4
	v_cmp_gt_i64_e32 vcc, 0, v[0:1]
	v_not_b32_e32 v1, v1
	v_ashrrev_i32_e32 v1, 31, v1
	v_and_b32_e32 v22, v22, v26
	v_xor_b32_e32 v26, vcc_hi, v1
	v_xor_b32_e32 v1, vcc_lo, v1
	v_and_b32_e32 v5, v5, v1
	v_lshlrev_b32_e32 v1, 24, v4
	v_cmp_gt_i64_e32 vcc, 0, v[0:1]
	v_not_b32_e32 v0, v1
	v_ashrrev_i32_e32 v0, 31, v0
	v_xor_b32_e32 v1, vcc_hi, v0
	v_xor_b32_e32 v0, vcc_lo, v0
	; wave barrier
	ds_read_b32 v21, v30 offset:64
	v_and_b32_e32 v22, v22, v26
	v_and_b32_e32 v0, v5, v0
	;; [unrolled: 1-line block ×3, first 2 shown]
	v_mbcnt_lo_u32_b32 v4, v0, 0
	v_mbcnt_hi_u32_b32 v22, v1, v4
	v_cmp_eq_u32_e32 vcc, 0, v22
	v_cmp_ne_u64_e64 s[0:1], 0, v[0:1]
	s_and_b64 s[2:3], s[0:1], vcc
	; wave barrier
	s_and_saveexec_b64 s[0:1], s[2:3]
	s_cbranch_execz .LBB2025_91
; %bb.90:
	v_bcnt_u32_b32 v0, v0, 0
	v_bcnt_u32_b32 v0, v1, v0
	s_waitcnt lgkmcnt(0)
	v_add_u32_e32 v0, v21, v0
	ds_write_b32 v30, v0 offset:64
.LBB2025_91:
	s_or_b64 exec, exec, s[0:1]
	s_waitcnt vmcnt(7)
	v_xor_b32_e32 v17, 0x7fffffff, v17
	v_lshrrev_b32_e32 v0, s16, v17
	v_and_b32_e32 v4, s17, v0
	v_and_b32_e32 v1, 1, v4
	v_add_co_u32_e32 v5, vcc, -1, v1
	v_addc_co_u32_e64 v28, s[0:1], 0, -1, vcc
	v_cmp_ne_u32_e32 vcc, 0, v1
	v_lshl_add_u32 v0, v4, 4, v4
	v_xor_b32_e32 v1, vcc_hi, v28
	v_add_lshl_u32 v35, v24, v0, 2
	v_mov_b32_e32 v0, 0
	v_and_b32_e32 v28, exec_hi, v1
	v_lshlrev_b32_e32 v1, 30, v4
	v_xor_b32_e32 v5, vcc_lo, v5
	v_cmp_gt_i64_e32 vcc, 0, v[0:1]
	v_not_b32_e32 v1, v1
	v_ashrrev_i32_e32 v1, 31, v1
	v_and_b32_e32 v5, exec_lo, v5
	v_xor_b32_e32 v31, vcc_hi, v1
	v_xor_b32_e32 v1, vcc_lo, v1
	v_and_b32_e32 v5, v5, v1
	v_lshlrev_b32_e32 v1, 29, v4
	v_cmp_gt_i64_e32 vcc, 0, v[0:1]
	v_not_b32_e32 v1, v1
	v_ashrrev_i32_e32 v1, 31, v1
	v_and_b32_e32 v28, v28, v31
	v_xor_b32_e32 v31, vcc_hi, v1
	v_xor_b32_e32 v1, vcc_lo, v1
	v_and_b32_e32 v5, v5, v1
	v_lshlrev_b32_e32 v1, 28, v4
	v_cmp_gt_i64_e32 vcc, 0, v[0:1]
	v_not_b32_e32 v1, v1
	v_ashrrev_i32_e32 v1, 31, v1
	v_and_b32_e32 v28, v28, v31
	;; [unrolled: 8-line block ×5, first 2 shown]
	v_xor_b32_e32 v31, vcc_hi, v1
	v_xor_b32_e32 v1, vcc_lo, v1
	v_and_b32_e32 v28, v28, v31
	v_and_b32_e32 v31, v5, v1
	v_lshlrev_b32_e32 v1, 24, v4
	v_cmp_gt_i64_e32 vcc, 0, v[0:1]
	v_not_b32_e32 v1, v1
	v_ashrrev_i32_e32 v1, 31, v1
	v_xor_b32_e32 v4, vcc_hi, v1
	v_xor_b32_e32 v1, vcc_lo, v1
	; wave barrier
	ds_read_b32 v26, v35 offset:64
	v_and_b32_e32 v5, v28, v4
	v_and_b32_e32 v4, v31, v1
	v_mbcnt_lo_u32_b32 v1, v4, 0
	v_mbcnt_hi_u32_b32 v28, v5, v1
	v_cmp_eq_u32_e32 vcc, 0, v28
	v_cmp_ne_u64_e64 s[0:1], 0, v[4:5]
	s_and_b64 s[2:3], s[0:1], vcc
	; wave barrier
	s_and_saveexec_b64 s[0:1], s[2:3]
	s_cbranch_execz .LBB2025_93
; %bb.92:
	v_bcnt_u32_b32 v1, v4, 0
	v_bcnt_u32_b32 v1, v5, v1
	s_waitcnt lgkmcnt(0)
	v_add_u32_e32 v1, v26, v1
	ds_write_b32 v35, v1 offset:64
.LBB2025_93:
	s_or_b64 exec, exec, s[0:1]
	s_waitcnt vmcnt(6)
	v_xor_b32_e32 v20, 0x7fffffff, v20
	v_lshrrev_b32_e32 v1, s16, v20
	v_and_b32_e32 v4, s17, v1
	v_lshl_add_u32 v1, v4, 4, v4
	v_add_lshl_u32 v38, v24, v1, 2
	v_and_b32_e32 v1, 1, v4
	v_add_co_u32_e32 v5, vcc, -1, v1
	v_addc_co_u32_e64 v33, s[0:1], 0, -1, vcc
	v_cmp_ne_u32_e32 vcc, 0, v1
	v_xor_b32_e32 v1, vcc_hi, v33
	v_and_b32_e32 v33, exec_hi, v1
	v_lshlrev_b32_e32 v1, 30, v4
	v_xor_b32_e32 v5, vcc_lo, v5
	v_cmp_gt_i64_e32 vcc, 0, v[0:1]
	v_not_b32_e32 v1, v1
	v_ashrrev_i32_e32 v1, 31, v1
	v_and_b32_e32 v5, exec_lo, v5
	v_xor_b32_e32 v36, vcc_hi, v1
	v_xor_b32_e32 v1, vcc_lo, v1
	v_and_b32_e32 v5, v5, v1
	v_lshlrev_b32_e32 v1, 29, v4
	v_cmp_gt_i64_e32 vcc, 0, v[0:1]
	v_not_b32_e32 v1, v1
	v_ashrrev_i32_e32 v1, 31, v1
	v_and_b32_e32 v33, v33, v36
	v_xor_b32_e32 v36, vcc_hi, v1
	v_xor_b32_e32 v1, vcc_lo, v1
	v_and_b32_e32 v5, v5, v1
	v_lshlrev_b32_e32 v1, 28, v4
	v_cmp_gt_i64_e32 vcc, 0, v[0:1]
	v_not_b32_e32 v1, v1
	v_ashrrev_i32_e32 v1, 31, v1
	v_and_b32_e32 v33, v33, v36
	;; [unrolled: 8-line block ×5, first 2 shown]
	v_xor_b32_e32 v36, vcc_hi, v1
	v_xor_b32_e32 v1, vcc_lo, v1
	v_and_b32_e32 v5, v5, v1
	v_lshlrev_b32_e32 v1, 24, v4
	v_cmp_gt_i64_e32 vcc, 0, v[0:1]
	v_not_b32_e32 v0, v1
	v_ashrrev_i32_e32 v0, 31, v0
	v_xor_b32_e32 v1, vcc_hi, v0
	v_xor_b32_e32 v0, vcc_lo, v0
	; wave barrier
	ds_read_b32 v31, v38 offset:64
	v_and_b32_e32 v33, v33, v36
	v_and_b32_e32 v0, v5, v0
	;; [unrolled: 1-line block ×3, first 2 shown]
	v_mbcnt_lo_u32_b32 v4, v0, 0
	v_mbcnt_hi_u32_b32 v33, v1, v4
	v_cmp_eq_u32_e32 vcc, 0, v33
	v_cmp_ne_u64_e64 s[0:1], 0, v[0:1]
	s_and_b64 s[2:3], s[0:1], vcc
	; wave barrier
	s_and_saveexec_b64 s[0:1], s[2:3]
	s_cbranch_execz .LBB2025_95
; %bb.94:
	v_bcnt_u32_b32 v0, v0, 0
	v_bcnt_u32_b32 v0, v1, v0
	s_waitcnt lgkmcnt(0)
	v_add_u32_e32 v0, v31, v0
	ds_write_b32 v38, v0 offset:64
.LBB2025_95:
	s_or_b64 exec, exec, s[0:1]
	s_waitcnt vmcnt(5)
	v_xor_b32_e32 v23, 0x7fffffff, v23
	v_lshrrev_b32_e32 v0, s16, v23
	v_and_b32_e32 v4, s17, v0
	v_and_b32_e32 v1, 1, v4
	v_add_co_u32_e32 v5, vcc, -1, v1
	v_addc_co_u32_e64 v37, s[0:1], 0, -1, vcc
	v_cmp_ne_u32_e32 vcc, 0, v1
	v_lshl_add_u32 v0, v4, 4, v4
	v_xor_b32_e32 v1, vcc_hi, v37
	v_add_lshl_u32 v40, v24, v0, 2
	v_mov_b32_e32 v0, 0
	v_and_b32_e32 v37, exec_hi, v1
	v_lshlrev_b32_e32 v1, 30, v4
	v_xor_b32_e32 v5, vcc_lo, v5
	v_cmp_gt_i64_e32 vcc, 0, v[0:1]
	v_not_b32_e32 v1, v1
	v_ashrrev_i32_e32 v1, 31, v1
	v_and_b32_e32 v5, exec_lo, v5
	v_xor_b32_e32 v39, vcc_hi, v1
	v_xor_b32_e32 v1, vcc_lo, v1
	v_and_b32_e32 v5, v5, v1
	v_lshlrev_b32_e32 v1, 29, v4
	v_cmp_gt_i64_e32 vcc, 0, v[0:1]
	v_not_b32_e32 v1, v1
	v_ashrrev_i32_e32 v1, 31, v1
	v_and_b32_e32 v37, v37, v39
	v_xor_b32_e32 v39, vcc_hi, v1
	v_xor_b32_e32 v1, vcc_lo, v1
	v_and_b32_e32 v5, v5, v1
	v_lshlrev_b32_e32 v1, 28, v4
	v_cmp_gt_i64_e32 vcc, 0, v[0:1]
	v_not_b32_e32 v1, v1
	v_ashrrev_i32_e32 v1, 31, v1
	v_and_b32_e32 v37, v37, v39
	;; [unrolled: 8-line block ×5, first 2 shown]
	v_xor_b32_e32 v39, vcc_hi, v1
	v_xor_b32_e32 v1, vcc_lo, v1
	v_and_b32_e32 v37, v37, v39
	v_and_b32_e32 v39, v5, v1
	v_lshlrev_b32_e32 v1, 24, v4
	v_cmp_gt_i64_e32 vcc, 0, v[0:1]
	v_not_b32_e32 v1, v1
	v_ashrrev_i32_e32 v1, 31, v1
	v_xor_b32_e32 v4, vcc_hi, v1
	v_xor_b32_e32 v1, vcc_lo, v1
	; wave barrier
	ds_read_b32 v36, v40 offset:64
	v_and_b32_e32 v5, v37, v4
	v_and_b32_e32 v4, v39, v1
	v_mbcnt_lo_u32_b32 v1, v4, 0
	v_mbcnt_hi_u32_b32 v37, v5, v1
	v_cmp_eq_u32_e32 vcc, 0, v37
	v_cmp_ne_u64_e64 s[0:1], 0, v[4:5]
	s_and_b64 s[2:3], s[0:1], vcc
	; wave barrier
	s_and_saveexec_b64 s[0:1], s[2:3]
	s_cbranch_execz .LBB2025_97
; %bb.96:
	v_bcnt_u32_b32 v1, v4, 0
	v_bcnt_u32_b32 v1, v5, v1
	s_waitcnt lgkmcnt(0)
	v_add_u32_e32 v1, v36, v1
	ds_write_b32 v40, v1 offset:64
.LBB2025_97:
	s_or_b64 exec, exec, s[0:1]
	s_waitcnt vmcnt(4)
	v_xor_b32_e32 v29, 0x7fffffff, v29
	v_lshrrev_b32_e32 v1, s16, v29
	v_and_b32_e32 v4, s17, v1
	v_lshl_add_u32 v1, v4, 4, v4
	v_add_lshl_u32 v45, v24, v1, 2
	v_and_b32_e32 v1, 1, v4
	v_add_co_u32_e32 v5, vcc, -1, v1
	v_addc_co_u32_e64 v41, s[0:1], 0, -1, vcc
	v_cmp_ne_u32_e32 vcc, 0, v1
	v_xor_b32_e32 v1, vcc_hi, v41
	v_and_b32_e32 v41, exec_hi, v1
	v_lshlrev_b32_e32 v1, 30, v4
	v_xor_b32_e32 v5, vcc_lo, v5
	v_cmp_gt_i64_e32 vcc, 0, v[0:1]
	v_not_b32_e32 v1, v1
	v_ashrrev_i32_e32 v1, 31, v1
	v_and_b32_e32 v5, exec_lo, v5
	v_xor_b32_e32 v42, vcc_hi, v1
	v_xor_b32_e32 v1, vcc_lo, v1
	v_and_b32_e32 v5, v5, v1
	v_lshlrev_b32_e32 v1, 29, v4
	v_cmp_gt_i64_e32 vcc, 0, v[0:1]
	v_not_b32_e32 v1, v1
	v_ashrrev_i32_e32 v1, 31, v1
	v_and_b32_e32 v41, v41, v42
	v_xor_b32_e32 v42, vcc_hi, v1
	v_xor_b32_e32 v1, vcc_lo, v1
	v_and_b32_e32 v5, v5, v1
	v_lshlrev_b32_e32 v1, 28, v4
	v_cmp_gt_i64_e32 vcc, 0, v[0:1]
	v_not_b32_e32 v1, v1
	v_ashrrev_i32_e32 v1, 31, v1
	v_and_b32_e32 v41, v41, v42
	;; [unrolled: 8-line block ×5, first 2 shown]
	v_xor_b32_e32 v42, vcc_hi, v1
	v_xor_b32_e32 v1, vcc_lo, v1
	v_and_b32_e32 v5, v5, v1
	v_lshlrev_b32_e32 v1, 24, v4
	v_cmp_gt_i64_e32 vcc, 0, v[0:1]
	v_not_b32_e32 v0, v1
	v_ashrrev_i32_e32 v0, 31, v0
	v_xor_b32_e32 v1, vcc_hi, v0
	v_xor_b32_e32 v0, vcc_lo, v0
	; wave barrier
	ds_read_b32 v39, v45 offset:64
	v_and_b32_e32 v41, v41, v42
	v_and_b32_e32 v0, v5, v0
	;; [unrolled: 1-line block ×3, first 2 shown]
	v_mbcnt_lo_u32_b32 v4, v0, 0
	v_mbcnt_hi_u32_b32 v41, v1, v4
	v_cmp_eq_u32_e32 vcc, 0, v41
	v_cmp_ne_u64_e64 s[0:1], 0, v[0:1]
	s_and_b64 s[2:3], s[0:1], vcc
	; wave barrier
	s_and_saveexec_b64 s[0:1], s[2:3]
	s_cbranch_execz .LBB2025_99
; %bb.98:
	v_bcnt_u32_b32 v0, v0, 0
	v_bcnt_u32_b32 v0, v1, v0
	s_waitcnt lgkmcnt(0)
	v_add_u32_e32 v0, v39, v0
	ds_write_b32 v45, v0 offset:64
.LBB2025_99:
	s_or_b64 exec, exec, s[0:1]
	s_waitcnt vmcnt(3)
	v_xor_b32_e32 v34, 0x7fffffff, v34
	v_lshrrev_b32_e32 v0, s16, v34
	v_and_b32_e32 v4, s17, v0
	v_and_b32_e32 v1, 1, v4
	v_add_co_u32_e32 v5, vcc, -1, v1
	v_addc_co_u32_e64 v43, s[0:1], 0, -1, vcc
	v_cmp_ne_u32_e32 vcc, 0, v1
	v_lshl_add_u32 v0, v4, 4, v4
	v_xor_b32_e32 v1, vcc_hi, v43
	v_add_lshl_u32 v48, v24, v0, 2
	v_mov_b32_e32 v0, 0
	v_and_b32_e32 v43, exec_hi, v1
	v_lshlrev_b32_e32 v1, 30, v4
	v_xor_b32_e32 v5, vcc_lo, v5
	v_cmp_gt_i64_e32 vcc, 0, v[0:1]
	v_not_b32_e32 v1, v1
	v_ashrrev_i32_e32 v1, 31, v1
	v_and_b32_e32 v5, exec_lo, v5
	v_xor_b32_e32 v44, vcc_hi, v1
	v_xor_b32_e32 v1, vcc_lo, v1
	v_and_b32_e32 v5, v5, v1
	v_lshlrev_b32_e32 v1, 29, v4
	v_cmp_gt_i64_e32 vcc, 0, v[0:1]
	v_not_b32_e32 v1, v1
	v_ashrrev_i32_e32 v1, 31, v1
	v_and_b32_e32 v43, v43, v44
	v_xor_b32_e32 v44, vcc_hi, v1
	v_xor_b32_e32 v1, vcc_lo, v1
	v_and_b32_e32 v5, v5, v1
	v_lshlrev_b32_e32 v1, 28, v4
	v_cmp_gt_i64_e32 vcc, 0, v[0:1]
	v_not_b32_e32 v1, v1
	v_ashrrev_i32_e32 v1, 31, v1
	v_and_b32_e32 v43, v43, v44
	;; [unrolled: 8-line block ×5, first 2 shown]
	v_xor_b32_e32 v44, vcc_hi, v1
	v_xor_b32_e32 v1, vcc_lo, v1
	v_and_b32_e32 v43, v43, v44
	v_and_b32_e32 v44, v5, v1
	v_lshlrev_b32_e32 v1, 24, v4
	v_cmp_gt_i64_e32 vcc, 0, v[0:1]
	v_not_b32_e32 v1, v1
	v_ashrrev_i32_e32 v1, 31, v1
	v_xor_b32_e32 v4, vcc_hi, v1
	v_xor_b32_e32 v1, vcc_lo, v1
	; wave barrier
	ds_read_b32 v42, v48 offset:64
	v_and_b32_e32 v5, v43, v4
	v_and_b32_e32 v4, v44, v1
	v_mbcnt_lo_u32_b32 v1, v4, 0
	v_mbcnt_hi_u32_b32 v43, v5, v1
	v_cmp_eq_u32_e32 vcc, 0, v43
	v_cmp_ne_u64_e64 s[0:1], 0, v[4:5]
	s_and_b64 s[2:3], s[0:1], vcc
	; wave barrier
	s_and_saveexec_b64 s[0:1], s[2:3]
	s_cbranch_execz .LBB2025_101
; %bb.100:
	v_bcnt_u32_b32 v1, v4, 0
	v_bcnt_u32_b32 v1, v5, v1
	s_waitcnt lgkmcnt(0)
	v_add_u32_e32 v1, v42, v1
	ds_write_b32 v48, v1 offset:64
.LBB2025_101:
	s_or_b64 exec, exec, s[0:1]
	s_waitcnt vmcnt(2)
	v_xor_b32_e32 v32, 0x7fffffff, v32
	v_lshrrev_b32_e32 v1, s16, v32
	v_and_b32_e32 v4, s17, v1
	v_lshl_add_u32 v1, v4, 4, v4
	v_add_lshl_u32 v51, v24, v1, 2
	v_and_b32_e32 v1, 1, v4
	v_add_co_u32_e32 v5, vcc, -1, v1
	v_addc_co_u32_e64 v44, s[0:1], 0, -1, vcc
	v_cmp_ne_u32_e32 vcc, 0, v1
	v_xor_b32_e32 v1, vcc_hi, v44
	v_and_b32_e32 v44, exec_hi, v1
	v_lshlrev_b32_e32 v1, 30, v4
	v_xor_b32_e32 v5, vcc_lo, v5
	v_cmp_gt_i64_e32 vcc, 0, v[0:1]
	v_not_b32_e32 v1, v1
	v_ashrrev_i32_e32 v1, 31, v1
	v_and_b32_e32 v5, exec_lo, v5
	v_xor_b32_e32 v47, vcc_hi, v1
	v_xor_b32_e32 v1, vcc_lo, v1
	v_and_b32_e32 v5, v5, v1
	v_lshlrev_b32_e32 v1, 29, v4
	v_cmp_gt_i64_e32 vcc, 0, v[0:1]
	v_not_b32_e32 v1, v1
	v_ashrrev_i32_e32 v1, 31, v1
	v_and_b32_e32 v44, v44, v47
	v_xor_b32_e32 v47, vcc_hi, v1
	v_xor_b32_e32 v1, vcc_lo, v1
	v_and_b32_e32 v5, v5, v1
	v_lshlrev_b32_e32 v1, 28, v4
	v_cmp_gt_i64_e32 vcc, 0, v[0:1]
	v_not_b32_e32 v1, v1
	v_ashrrev_i32_e32 v1, 31, v1
	v_and_b32_e32 v44, v44, v47
	;; [unrolled: 8-line block ×5, first 2 shown]
	v_xor_b32_e32 v47, vcc_hi, v1
	v_xor_b32_e32 v1, vcc_lo, v1
	v_and_b32_e32 v5, v5, v1
	v_lshlrev_b32_e32 v1, 24, v4
	v_cmp_gt_i64_e32 vcc, 0, v[0:1]
	v_not_b32_e32 v0, v1
	v_ashrrev_i32_e32 v0, 31, v0
	v_xor_b32_e32 v1, vcc_hi, v0
	v_xor_b32_e32 v0, vcc_lo, v0
	; wave barrier
	ds_read_b32 v46, v51 offset:64
	v_and_b32_e32 v44, v44, v47
	v_and_b32_e32 v0, v5, v0
	;; [unrolled: 1-line block ×3, first 2 shown]
	v_mbcnt_lo_u32_b32 v4, v0, 0
	v_mbcnt_hi_u32_b32 v47, v1, v4
	v_cmp_eq_u32_e32 vcc, 0, v47
	v_cmp_ne_u64_e64 s[0:1], 0, v[0:1]
	s_and_b64 s[2:3], s[0:1], vcc
	; wave barrier
	s_and_saveexec_b64 s[0:1], s[2:3]
	s_cbranch_execz .LBB2025_103
; %bb.102:
	v_bcnt_u32_b32 v0, v0, 0
	v_bcnt_u32_b32 v0, v1, v0
	s_waitcnt lgkmcnt(0)
	v_add_u32_e32 v0, v46, v0
	ds_write_b32 v51, v0 offset:64
.LBB2025_103:
	s_or_b64 exec, exec, s[0:1]
	s_waitcnt vmcnt(1)
	v_xor_b32_e32 v27, 0x7fffffff, v27
	v_lshrrev_b32_e32 v0, s16, v27
	v_and_b32_e32 v4, s17, v0
	v_and_b32_e32 v1, 1, v4
	v_add_co_u32_e32 v5, vcc, -1, v1
	v_addc_co_u32_e64 v44, s[0:1], 0, -1, vcc
	v_cmp_ne_u32_e32 vcc, 0, v1
	v_lshl_add_u32 v0, v4, 4, v4
	v_xor_b32_e32 v1, vcc_hi, v44
	v_add_lshl_u32 v54, v24, v0, 2
	v_mov_b32_e32 v0, 0
	v_and_b32_e32 v44, exec_hi, v1
	v_lshlrev_b32_e32 v1, 30, v4
	v_xor_b32_e32 v5, vcc_lo, v5
	v_cmp_gt_i64_e32 vcc, 0, v[0:1]
	v_not_b32_e32 v1, v1
	v_ashrrev_i32_e32 v1, 31, v1
	v_and_b32_e32 v5, exec_lo, v5
	v_xor_b32_e32 v50, vcc_hi, v1
	v_xor_b32_e32 v1, vcc_lo, v1
	v_and_b32_e32 v5, v5, v1
	v_lshlrev_b32_e32 v1, 29, v4
	v_cmp_gt_i64_e32 vcc, 0, v[0:1]
	v_not_b32_e32 v1, v1
	v_ashrrev_i32_e32 v1, 31, v1
	v_and_b32_e32 v44, v44, v50
	v_xor_b32_e32 v50, vcc_hi, v1
	v_xor_b32_e32 v1, vcc_lo, v1
	v_and_b32_e32 v5, v5, v1
	v_lshlrev_b32_e32 v1, 28, v4
	v_cmp_gt_i64_e32 vcc, 0, v[0:1]
	v_not_b32_e32 v1, v1
	v_ashrrev_i32_e32 v1, 31, v1
	v_and_b32_e32 v44, v44, v50
	;; [unrolled: 8-line block ×5, first 2 shown]
	v_xor_b32_e32 v50, vcc_hi, v1
	v_xor_b32_e32 v1, vcc_lo, v1
	v_and_b32_e32 v44, v44, v50
	v_and_b32_e32 v50, v5, v1
	v_lshlrev_b32_e32 v1, 24, v4
	v_cmp_gt_i64_e32 vcc, 0, v[0:1]
	v_not_b32_e32 v1, v1
	v_ashrrev_i32_e32 v1, 31, v1
	v_xor_b32_e32 v4, vcc_hi, v1
	v_xor_b32_e32 v1, vcc_lo, v1
	; wave barrier
	ds_read_b32 v49, v54 offset:64
	v_and_b32_e32 v5, v44, v4
	v_and_b32_e32 v4, v50, v1
	v_mbcnt_lo_u32_b32 v1, v4, 0
	v_mbcnt_hi_u32_b32 v50, v5, v1
	v_cmp_eq_u32_e32 vcc, 0, v50
	v_cmp_ne_u64_e64 s[0:1], 0, v[4:5]
	s_and_b64 s[2:3], s[0:1], vcc
	; wave barrier
	s_and_saveexec_b64 s[0:1], s[2:3]
	s_cbranch_execz .LBB2025_105
; %bb.104:
	v_bcnt_u32_b32 v1, v4, 0
	v_bcnt_u32_b32 v1, v5, v1
	s_waitcnt lgkmcnt(0)
	v_add_u32_e32 v1, v49, v1
	ds_write_b32 v54, v1 offset:64
.LBB2025_105:
	s_or_b64 exec, exec, s[0:1]
	s_waitcnt vmcnt(0)
	v_xor_b32_e32 v44, 0x7fffffff, v9
	v_lshrrev_b32_e32 v1, s16, v44
	v_and_b32_e32 v4, s17, v1
	v_lshl_add_u32 v1, v4, 4, v4
	v_add_lshl_u32 v9, v24, v1, 2
	v_and_b32_e32 v1, 1, v4
	v_add_co_u32_e32 v5, vcc, -1, v1
	v_addc_co_u32_e64 v24, s[0:1], 0, -1, vcc
	v_cmp_ne_u32_e32 vcc, 0, v1
	v_xor_b32_e32 v1, vcc_hi, v24
	v_and_b32_e32 v24, exec_hi, v1
	v_lshlrev_b32_e32 v1, 30, v4
	v_xor_b32_e32 v5, vcc_lo, v5
	v_cmp_gt_i64_e32 vcc, 0, v[0:1]
	v_not_b32_e32 v1, v1
	v_ashrrev_i32_e32 v1, 31, v1
	v_and_b32_e32 v5, exec_lo, v5
	v_xor_b32_e32 v53, vcc_hi, v1
	v_xor_b32_e32 v1, vcc_lo, v1
	v_and_b32_e32 v5, v5, v1
	v_lshlrev_b32_e32 v1, 29, v4
	v_cmp_gt_i64_e32 vcc, 0, v[0:1]
	v_not_b32_e32 v1, v1
	v_ashrrev_i32_e32 v1, 31, v1
	v_and_b32_e32 v24, v24, v53
	v_xor_b32_e32 v53, vcc_hi, v1
	v_xor_b32_e32 v1, vcc_lo, v1
	v_and_b32_e32 v5, v5, v1
	v_lshlrev_b32_e32 v1, 28, v4
	v_cmp_gt_i64_e32 vcc, 0, v[0:1]
	v_not_b32_e32 v1, v1
	v_ashrrev_i32_e32 v1, 31, v1
	v_and_b32_e32 v24, v24, v53
	;; [unrolled: 8-line block ×5, first 2 shown]
	v_xor_b32_e32 v53, vcc_hi, v1
	v_xor_b32_e32 v1, vcc_lo, v1
	v_and_b32_e32 v5, v5, v1
	v_lshlrev_b32_e32 v1, 24, v4
	v_cmp_gt_i64_e32 vcc, 0, v[0:1]
	v_not_b32_e32 v0, v1
	v_ashrrev_i32_e32 v0, 31, v0
	v_xor_b32_e32 v1, vcc_hi, v0
	v_xor_b32_e32 v0, vcc_lo, v0
	; wave barrier
	ds_read_b32 v52, v9 offset:64
	v_and_b32_e32 v24, v24, v53
	v_and_b32_e32 v0, v5, v0
	;; [unrolled: 1-line block ×3, first 2 shown]
	v_mbcnt_lo_u32_b32 v4, v0, 0
	v_mbcnt_hi_u32_b32 v53, v1, v4
	v_cmp_eq_u32_e32 vcc, 0, v53
	v_cmp_ne_u64_e64 s[0:1], 0, v[0:1]
	v_add_u32_e32 v55, 64, v6
	s_and_b64 s[2:3], s[0:1], vcc
	; wave barrier
	s_and_saveexec_b64 s[0:1], s[2:3]
	s_cbranch_execz .LBB2025_107
; %bb.106:
	v_bcnt_u32_b32 v0, v0, 0
	v_bcnt_u32_b32 v0, v1, v0
	s_waitcnt lgkmcnt(0)
	v_add_u32_e32 v0, v52, v0
	ds_write_b32 v9, v0 offset:64
.LBB2025_107:
	s_or_b64 exec, exec, s[0:1]
	; wave barrier
	s_waitcnt lgkmcnt(0)
	s_barrier
	ds_read2_b32 v[4:5], v6 offset0:16 offset1:17
	ds_read2_b32 v[0:1], v55 offset0:2 offset1:3
	ds_read_b32 v24, v55 offset:16
	v_cmp_lt_u32_e64 s[8:9], 31, v3
	s_waitcnt lgkmcnt(1)
	v_add3_u32 v56, v5, v4, v0
	s_waitcnt lgkmcnt(0)
	v_add3_u32 v24, v56, v1, v24
	v_and_b32_e32 v56, 15, v3
	v_cmp_eq_u32_e32 vcc, 0, v56
	v_mov_b32_dpp v57, v24 row_shr:1 row_mask:0xf bank_mask:0xf
	v_cndmask_b32_e64 v57, v57, 0, vcc
	v_add_u32_e32 v24, v57, v24
	v_cmp_lt_u32_e64 s[0:1], 1, v56
	v_cmp_lt_u32_e64 s[2:3], 3, v56
	v_mov_b32_dpp v57, v24 row_shr:2 row_mask:0xf bank_mask:0xf
	v_cndmask_b32_e64 v57, 0, v57, s[0:1]
	v_add_u32_e32 v24, v24, v57
	v_cmp_lt_u32_e64 s[4:5], 7, v56
	s_nop 0
	v_mov_b32_dpp v57, v24 row_shr:4 row_mask:0xf bank_mask:0xf
	v_cndmask_b32_e64 v57, 0, v57, s[2:3]
	v_add_u32_e32 v24, v24, v57
	s_nop 1
	v_mov_b32_dpp v57, v24 row_shr:8 row_mask:0xf bank_mask:0xf
	v_cndmask_b32_e64 v56, 0, v57, s[4:5]
	v_add_u32_e32 v24, v24, v56
	v_bfe_i32 v57, v3, 4, 1
	s_nop 0
	v_mov_b32_dpp v56, v24 row_bcast:15 row_mask:0xf bank_mask:0xf
	v_and_b32_e32 v56, v57, v56
	v_add_u32_e32 v24, v24, v56
	v_lshrrev_b32_e32 v57, 6, v2
	s_nop 0
	v_mov_b32_dpp v56, v24 row_bcast:31 row_mask:0xf bank_mask:0xf
	v_cndmask_b32_e64 v56, 0, v56, s[8:9]
	v_add_u32_e32 v56, v24, v56
	v_and_b32_e32 v24, 63, v2
	v_cmp_eq_u32_e64 s[8:9], 63, v24
	s_and_saveexec_b64 s[10:11], s[8:9]
	s_cbranch_execz .LBB2025_109
; %bb.108:
	v_lshlrev_b32_e32 v24, 2, v57
	ds_write_b32 v24, v56
.LBB2025_109:
	s_or_b64 exec, exec, s[10:11]
	v_cmp_gt_u32_e64 s[8:9], 16, v2
	v_lshlrev_b32_e32 v24, 2, v2
	s_waitcnt lgkmcnt(0)
	s_barrier
	s_and_saveexec_b64 s[10:11], s[8:9]
	s_cbranch_execz .LBB2025_111
; %bb.110:
	ds_read_b32 v58, v24
	s_waitcnt lgkmcnt(0)
	s_nop 0
	v_mov_b32_dpp v59, v58 row_shr:1 row_mask:0xf bank_mask:0xf
	v_cndmask_b32_e64 v59, v59, 0, vcc
	v_add_u32_e32 v58, v59, v58
	s_nop 1
	v_mov_b32_dpp v59, v58 row_shr:2 row_mask:0xf bank_mask:0xf
	v_cndmask_b32_e64 v59, 0, v59, s[0:1]
	v_add_u32_e32 v58, v58, v59
	s_nop 1
	v_mov_b32_dpp v59, v58 row_shr:4 row_mask:0xf bank_mask:0xf
	v_cndmask_b32_e64 v59, 0, v59, s[2:3]
	;; [unrolled: 4-line block ×3, first 2 shown]
	v_add_u32_e32 v58, v58, v59
	ds_write_b32 v24, v58
.LBB2025_111:
	s_or_b64 exec, exec, s[10:11]
	v_cmp_lt_u32_e32 vcc, 63, v2
	v_mov_b32_e32 v58, 0
	s_waitcnt lgkmcnt(0)
	s_barrier
	s_and_saveexec_b64 s[0:1], vcc
	s_cbranch_execz .LBB2025_113
; %bb.112:
	v_lshl_add_u32 v57, v57, 2, -4
	ds_read_b32 v58, v57
.LBB2025_113:
	s_or_b64 exec, exec, s[0:1]
	v_add_u32_e32 v57, -1, v3
	v_and_b32_e32 v59, 64, v3
	v_cmp_lt_i32_e32 vcc, v57, v59
	v_cndmask_b32_e32 v57, v57, v3, vcc
	s_waitcnt lgkmcnt(0)
	v_add_u32_e32 v56, v58, v56
	v_lshlrev_b32_e32 v57, 2, v57
	ds_bpermute_b32 v56, v57, v56
	v_cmp_eq_u32_e32 vcc, 0, v3
	s_movk_i32 s2, 0xff
	s_movk_i32 s0, 0x100
	v_cmp_gt_u32_e64 s[0:1], s0, v2
	s_waitcnt lgkmcnt(0)
	v_cndmask_b32_e32 v3, v56, v58, vcc
	v_cmp_ne_u32_e32 vcc, 0, v2
	v_cndmask_b32_e32 v3, 0, v3, vcc
	v_add_u32_e32 v4, v3, v4
	v_add_u32_e32 v5, v4, v5
	;; [unrolled: 1-line block ×4, first 2 shown]
	ds_write2_b32 v6, v3, v4 offset0:16 offset1:17
	ds_write2_b32 v55, v5, v0 offset0:2 offset1:3
	ds_write_b32 v55, v1 offset:16
	s_waitcnt lgkmcnt(0)
	s_barrier
	ds_read_b32 v59, v7 offset:64
	ds_read_b32 v55, v8 offset:64
	;; [unrolled: 1-line block ×12, first 2 shown]
	v_cmp_lt_u32_e32 vcc, s2, v2
	v_pk_mov_b32 v[4:5], 0, 0
                                        ; implicit-def: $vgpr40
	s_and_saveexec_b64 s[4:5], s[0:1]
	s_cbranch_execz .LBB2025_117
; %bb.114:
	v_mul_u32_u24_e32 v0, 17, v2
	v_lshlrev_b32_e32 v1, 2, v0
	ds_read_b32 v4, v1 offset:64
	v_cmp_ne_u32_e64 s[2:3], s2, v2
	v_mov_b32_e32 v0, 0x3000
	s_and_saveexec_b64 s[8:9], s[2:3]
	s_cbranch_execz .LBB2025_116
; %bb.115:
	ds_read_b32 v0, v1 offset:132
.LBB2025_116:
	s_or_b64 exec, exec, s[8:9]
	s_waitcnt lgkmcnt(0)
	v_sub_u32_e32 v40, v0, v4
	v_mov_b32_e32 v5, 0
.LBB2025_117:
	s_or_b64 exec, exec, s[4:5]
	s_waitcnt lgkmcnt(0)
	s_barrier
	s_and_saveexec_b64 s[2:3], vcc
	s_xor_b64 s[2:3], exec, s[2:3]
; %bb.118:
	v_mov_b32_e32 v3, 0
; %bb.119:
	s_andn2_saveexec_b64 s[2:3], s[2:3]
	s_cbranch_execz .LBB2025_129
; %bb.120:
	v_lshl_or_b32 v0, s6, 8, v2
	v_mov_b32_e32 v1, 0
	v_lshlrev_b64 v[6:7], 2, v[0:1]
	v_mov_b32_e32 v3, s25
	v_add_co_u32_e32 v6, vcc, s24, v6
	v_addc_co_u32_e32 v7, vcc, v3, v7, vcc
	v_or_b32_e32 v0, 2.0, v40
	s_mov_b64 s[4:5], 0
	s_brev_b32 s18, 1
	s_mov_b32 s19, s6
	v_mov_b32_e32 v54, 0
	global_store_dword v[6:7], v0, off
                                        ; implicit-def: $sgpr8_sgpr9
	s_branch .LBB2025_123
.LBB2025_121:                           ;   in Loop: Header=BB2025_123 Depth=1
	s_or_b64 exec, exec, s[10:11]
.LBB2025_122:                           ;   in Loop: Header=BB2025_123 Depth=1
	s_or_b64 exec, exec, s[8:9]
	v_and_b32_e32 v8, 0x3fffffff, v60
	v_add_u32_e32 v54, v8, v54
	v_cmp_eq_u32_e64 s[8:9], s18, v0
	s_and_b64 s[10:11], exec, s[8:9]
	s_or_b64 s[4:5], s[10:11], s[4:5]
	s_andn2_b64 exec, exec, s[4:5]
	s_cbranch_execz .LBB2025_128
.LBB2025_123:                           ; =>This Loop Header: Depth=1
                                        ;     Child Loop BB2025_126 Depth 2
	s_or_b64 s[8:9], s[8:9], exec
	s_cmp_eq_u32 s19, 0
	s_cbranch_scc1 .LBB2025_127
; %bb.124:                              ;   in Loop: Header=BB2025_123 Depth=1
	s_add_i32 s19, s19, -1
	v_lshl_or_b32 v0, s19, 8, v2
	v_lshlrev_b64 v[8:9], 2, v[0:1]
	v_add_co_u32_e32 v8, vcc, s24, v8
	v_addc_co_u32_e32 v9, vcc, v3, v9, vcc
	global_load_dword v60, v[8:9], off glc
	s_waitcnt vmcnt(0)
	v_and_b32_e32 v0, -2.0, v60
	v_cmp_eq_u32_e32 vcc, 0, v0
	s_and_saveexec_b64 s[8:9], vcc
	s_cbranch_execz .LBB2025_122
; %bb.125:                              ;   in Loop: Header=BB2025_123 Depth=1
	s_mov_b64 s[10:11], 0
.LBB2025_126:                           ;   Parent Loop BB2025_123 Depth=1
                                        ; =>  This Inner Loop Header: Depth=2
	global_load_dword v60, v[8:9], off glc
	s_waitcnt vmcnt(0)
	v_and_b32_e32 v0, -2.0, v60
	v_cmp_ne_u32_e32 vcc, 0, v0
	s_or_b64 s[10:11], vcc, s[10:11]
	s_andn2_b64 exec, exec, s[10:11]
	s_cbranch_execnz .LBB2025_126
	s_branch .LBB2025_121
.LBB2025_127:                           ;   in Loop: Header=BB2025_123 Depth=1
                                        ; implicit-def: $sgpr19
	s_and_b64 s[10:11], exec, s[8:9]
	s_or_b64 s[4:5], s[10:11], s[4:5]
	s_andn2_b64 exec, exec, s[4:5]
	s_cbranch_execnz .LBB2025_123
.LBB2025_128:
	s_or_b64 exec, exec, s[4:5]
	v_add_u32_e32 v0, v54, v40
	v_or_b32_e32 v0, 0x80000000, v0
	global_store_dword v[6:7], v0, off
	v_lshlrev_b32_e32 v6, 3, v2
	global_load_dwordx2 v[0:1], v6, s[12:13]
	v_sub_co_u32_e32 v7, vcc, v54, v4
	v_subb_co_u32_e32 v8, vcc, 0, v5, vcc
	v_mov_b32_e32 v3, 0
	s_waitcnt vmcnt(0)
	v_add_co_u32_e32 v0, vcc, v7, v0
	v_addc_co_u32_e32 v1, vcc, v8, v1, vcc
	ds_write_b64 v6, v[0:1]
.LBB2025_129:
	s_or_b64 exec, exec, s[2:3]
	v_lshlrev_b64 v[0:1], 2, v[2:3]
	v_add3_u32 v15, v16, v55, v15
	v_mov_b32_e32 v16, s23
	v_add_co_u32_e32 v0, vcc, s22, v0
	v_add_u32_e32 v6, v59, v14
	v_add_u32_e32 v7, 0x800, v24
	v_add3_u32 v8, v53, v51, v52
	v_add3_u32 v9, v50, v48, v49
	;; [unrolled: 1-line block ×10, first 2 shown]
	v_addc_co_u32_e32 v1, vcc, v16, v1, vcc
	s_mov_b32 s2, 0
	s_movk_i32 s3, 0x1000
	s_movk_i32 s4, 0x2000
.LBB2025_130:                           ; =>This Inner Loop Header: Depth=1
	v_add_u32_e32 v16, s2, v6
	v_add_u32_e32 v36, s2, v31
	;; [unrolled: 1-line block ×12, first 2 shown]
	v_min_u32_e32 v16, 0x1000, v16
	v_min_u32_e32 v36, 0x1000, v36
	;; [unrolled: 1-line block ×12, first 2 shown]
	v_lshlrev_b32_e32 v16, 2, v16
	v_lshlrev_b32_e32 v36, 2, v36
	;; [unrolled: 1-line block ×12, first 2 shown]
	ds_write_b32 v16, v10 offset:2048
	ds_write_b32 v19, v11 offset:2048
	;; [unrolled: 1-line block ×12, first 2 shown]
	s_waitcnt lgkmcnt(0)
	s_barrier
	ds_read_b32 v16, v24 offset:2048
	ds_read2st64_b32 v[36:37], v7 offset0:16 offset1:32
	s_addk_i32 s2, 0xf000
	s_cmpk_lg_i32 s2, 0xd000
	s_waitcnt lgkmcnt(1)
	v_lshrrev_b32_e32 v19, s16, v16
	s_waitcnt lgkmcnt(0)
	v_lshrrev_b32_e32 v22, s16, v36
	v_lshrrev_b32_e32 v33, s16, v37
	v_and_b32_e32 v19, s17, v19
	v_and_b32_e32 v22, s17, v22
	;; [unrolled: 1-line block ×3, first 2 shown]
	v_lshlrev_b32_e32 v19, 3, v19
	v_xor_b32_e32 v28, 0x7fffffff, v36
	v_xor_b32_e32 v41, 0x7fffffff, v37
	v_lshlrev_b32_e32 v22, 3, v22
	v_lshlrev_b32_e32 v33, 3, v33
	ds_read_b64 v[36:37], v19
	ds_read_b64 v[38:39], v22
	;; [unrolled: 1-line block ×3, first 2 shown]
	ds_read_b32 v19, v7 offset:12288
	v_xor_b32_e32 v16, 0x7fffffff, v16
	s_waitcnt lgkmcnt(3)
	v_lshlrev_b64 v[36:37], 2, v[36:37]
	v_add_co_u32_e32 v36, vcc, v0, v36
	s_waitcnt lgkmcnt(2)
	v_lshlrev_b64 v[38:39], 2, v[38:39]
	v_addc_co_u32_e32 v37, vcc, v1, v37, vcc
	v_add_co_u32_e32 v33, vcc, v0, v38
	s_waitcnt lgkmcnt(1)
	v_lshlrev_b64 v[42:43], 2, v[42:43]
	v_addc_co_u32_e32 v38, vcc, v1, v39, vcc
	v_add_co_u32_e32 v39, vcc, v0, v42
	s_waitcnt lgkmcnt(0)
	v_lshrrev_b32_e32 v22, s16, v19
	v_addc_co_u32_e32 v42, vcc, v1, v43, vcc
	v_and_b32_e32 v22, s17, v22
	global_store_dword v[36:37], v16, off
	v_add_co_u32_e32 v36, vcc, s3, v33
	v_addc_co_u32_e32 v37, vcc, 0, v38, vcc
	v_lshlrev_b32_e32 v16, 3, v22
	global_store_dword v[36:37], v28, off
	ds_read_b64 v[36:37], v16
	v_add_co_u32_e32 v38, vcc, s4, v39
	v_addc_co_u32_e32 v39, vcc, 0, v42, vcc
	s_waitcnt lgkmcnt(0)
	v_lshlrev_b64 v[36:37], 2, v[36:37]
	v_add_co_u32_e32 v16, vcc, v0, v36
	v_addc_co_u32_e32 v22, vcc, v1, v37, vcc
	v_add_co_u32_e32 v36, vcc, 0x3000, v16
	v_addc_co_u32_e32 v37, vcc, 0, v22, vcc
	v_add_co_u32_e32 v0, vcc, 0x4000, v0
	v_xor_b32_e32 v19, 0x7fffffff, v19
	v_addc_co_u32_e32 v1, vcc, 0, v1, vcc
	global_store_dword v[38:39], v41, off
	global_store_dword v[36:37], v19, off
	s_barrier
	s_cbranch_scc1 .LBB2025_130
; %bb.131:
	s_add_i32 s7, s7, -1
	s_cmp_eq_u32 s7, s6
	s_cselect_b64 s[2:3], -1, 0
	s_and_b64 s[0:1], s[0:1], s[2:3]
.LBB2025_132:
	s_and_saveexec_b64 s[2:3], s[0:1]
	s_cbranch_execnz .LBB2025_134
; %bb.133:
	s_endpgm
.LBB2025_134:
	v_lshlrev_b32_e32 v6, 3, v2
	v_lshlrev_b64 v[0:1], 3, v[2:3]
	ds_read_b64 v[2:3], v6
	v_add_co_u32_e32 v4, vcc, v4, v40
	v_addc_co_u32_e32 v5, vcc, 0, v5, vcc
	v_mov_b32_e32 v7, s15
	v_add_co_u32_e32 v0, vcc, s14, v0
	v_addc_co_u32_e32 v1, vcc, v7, v1, vcc
	s_waitcnt lgkmcnt(0)
	v_add_co_u32_e32 v2, vcc, v4, v2
	v_addc_co_u32_e32 v3, vcc, v5, v3, vcc
	global_store_dwordx2 v[0:1], v[2:3], off
	s_endpgm
	.section	.rodata,"a",@progbits
	.p2align	6, 0x0
	.amdhsa_kernel _ZN7rocprim17ROCPRIM_400000_NS6detail17trampoline_kernelINS0_14default_configENS1_35radix_sort_onesweep_config_selectorIiNS0_10empty_typeEEEZZNS1_29radix_sort_onesweep_iterationIS3_Lb1EPiS8_PS5_S9_mNS0_19identity_decomposerENS1_16block_id_wrapperIjLb0EEEEE10hipError_tT1_PNSt15iterator_traitsISE_E10value_typeET2_T3_PNSF_ISK_E10value_typeET4_T5_PSP_SQ_PNS1_23onesweep_lookback_stateEbbT6_jjT7_P12ihipStream_tbENKUlT_T0_SE_SJ_E_clIS8_S8_S9_S9_EEDaSX_SY_SE_SJ_EUlSX_E_NS1_11comp_targetILNS1_3genE4ELNS1_11target_archE910ELNS1_3gpuE8ELNS1_3repE0EEENS1_47radix_sort_onesweep_sort_config_static_selectorELNS0_4arch9wavefront6targetE1EEEvSE_
		.amdhsa_group_segment_fixed_size 20552
		.amdhsa_private_segment_fixed_size 0
		.amdhsa_kernarg_size 344
		.amdhsa_user_sgpr_count 6
		.amdhsa_user_sgpr_private_segment_buffer 1
		.amdhsa_user_sgpr_dispatch_ptr 0
		.amdhsa_user_sgpr_queue_ptr 0
		.amdhsa_user_sgpr_kernarg_segment_ptr 1
		.amdhsa_user_sgpr_dispatch_id 0
		.amdhsa_user_sgpr_flat_scratch_init 0
		.amdhsa_user_sgpr_kernarg_preload_length 0
		.amdhsa_user_sgpr_kernarg_preload_offset 0
		.amdhsa_user_sgpr_private_segment_size 0
		.amdhsa_uses_dynamic_stack 0
		.amdhsa_system_sgpr_private_segment_wavefront_offset 0
		.amdhsa_system_sgpr_workgroup_id_x 1
		.amdhsa_system_sgpr_workgroup_id_y 0
		.amdhsa_system_sgpr_workgroup_id_z 0
		.amdhsa_system_sgpr_workgroup_info 0
		.amdhsa_system_vgpr_workitem_id 2
		.amdhsa_next_free_vgpr 63
		.amdhsa_next_free_sgpr 31
		.amdhsa_accum_offset 64
		.amdhsa_reserve_vcc 1
		.amdhsa_reserve_flat_scratch 0
		.amdhsa_float_round_mode_32 0
		.amdhsa_float_round_mode_16_64 0
		.amdhsa_float_denorm_mode_32 3
		.amdhsa_float_denorm_mode_16_64 3
		.amdhsa_dx10_clamp 1
		.amdhsa_ieee_mode 1
		.amdhsa_fp16_overflow 0
		.amdhsa_tg_split 0
		.amdhsa_exception_fp_ieee_invalid_op 0
		.amdhsa_exception_fp_denorm_src 0
		.amdhsa_exception_fp_ieee_div_zero 0
		.amdhsa_exception_fp_ieee_overflow 0
		.amdhsa_exception_fp_ieee_underflow 0
		.amdhsa_exception_fp_ieee_inexact 0
		.amdhsa_exception_int_div_zero 0
	.end_amdhsa_kernel
	.section	.text._ZN7rocprim17ROCPRIM_400000_NS6detail17trampoline_kernelINS0_14default_configENS1_35radix_sort_onesweep_config_selectorIiNS0_10empty_typeEEEZZNS1_29radix_sort_onesweep_iterationIS3_Lb1EPiS8_PS5_S9_mNS0_19identity_decomposerENS1_16block_id_wrapperIjLb0EEEEE10hipError_tT1_PNSt15iterator_traitsISE_E10value_typeET2_T3_PNSF_ISK_E10value_typeET4_T5_PSP_SQ_PNS1_23onesweep_lookback_stateEbbT6_jjT7_P12ihipStream_tbENKUlT_T0_SE_SJ_E_clIS8_S8_S9_S9_EEDaSX_SY_SE_SJ_EUlSX_E_NS1_11comp_targetILNS1_3genE4ELNS1_11target_archE910ELNS1_3gpuE8ELNS1_3repE0EEENS1_47radix_sort_onesweep_sort_config_static_selectorELNS0_4arch9wavefront6targetE1EEEvSE_,"axG",@progbits,_ZN7rocprim17ROCPRIM_400000_NS6detail17trampoline_kernelINS0_14default_configENS1_35radix_sort_onesweep_config_selectorIiNS0_10empty_typeEEEZZNS1_29radix_sort_onesweep_iterationIS3_Lb1EPiS8_PS5_S9_mNS0_19identity_decomposerENS1_16block_id_wrapperIjLb0EEEEE10hipError_tT1_PNSt15iterator_traitsISE_E10value_typeET2_T3_PNSF_ISK_E10value_typeET4_T5_PSP_SQ_PNS1_23onesweep_lookback_stateEbbT6_jjT7_P12ihipStream_tbENKUlT_T0_SE_SJ_E_clIS8_S8_S9_S9_EEDaSX_SY_SE_SJ_EUlSX_E_NS1_11comp_targetILNS1_3genE4ELNS1_11target_archE910ELNS1_3gpuE8ELNS1_3repE0EEENS1_47radix_sort_onesweep_sort_config_static_selectorELNS0_4arch9wavefront6targetE1EEEvSE_,comdat
.Lfunc_end2025:
	.size	_ZN7rocprim17ROCPRIM_400000_NS6detail17trampoline_kernelINS0_14default_configENS1_35radix_sort_onesweep_config_selectorIiNS0_10empty_typeEEEZZNS1_29radix_sort_onesweep_iterationIS3_Lb1EPiS8_PS5_S9_mNS0_19identity_decomposerENS1_16block_id_wrapperIjLb0EEEEE10hipError_tT1_PNSt15iterator_traitsISE_E10value_typeET2_T3_PNSF_ISK_E10value_typeET4_T5_PSP_SQ_PNS1_23onesweep_lookback_stateEbbT6_jjT7_P12ihipStream_tbENKUlT_T0_SE_SJ_E_clIS8_S8_S9_S9_EEDaSX_SY_SE_SJ_EUlSX_E_NS1_11comp_targetILNS1_3genE4ELNS1_11target_archE910ELNS1_3gpuE8ELNS1_3repE0EEENS1_47radix_sort_onesweep_sort_config_static_selectorELNS0_4arch9wavefront6targetE1EEEvSE_, .Lfunc_end2025-_ZN7rocprim17ROCPRIM_400000_NS6detail17trampoline_kernelINS0_14default_configENS1_35radix_sort_onesweep_config_selectorIiNS0_10empty_typeEEEZZNS1_29radix_sort_onesweep_iterationIS3_Lb1EPiS8_PS5_S9_mNS0_19identity_decomposerENS1_16block_id_wrapperIjLb0EEEEE10hipError_tT1_PNSt15iterator_traitsISE_E10value_typeET2_T3_PNSF_ISK_E10value_typeET4_T5_PSP_SQ_PNS1_23onesweep_lookback_stateEbbT6_jjT7_P12ihipStream_tbENKUlT_T0_SE_SJ_E_clIS8_S8_S9_S9_EEDaSX_SY_SE_SJ_EUlSX_E_NS1_11comp_targetILNS1_3genE4ELNS1_11target_archE910ELNS1_3gpuE8ELNS1_3repE0EEENS1_47radix_sort_onesweep_sort_config_static_selectorELNS0_4arch9wavefront6targetE1EEEvSE_
                                        ; -- End function
	.section	.AMDGPU.csdata,"",@progbits
; Kernel info:
; codeLenInByte = 14124
; NumSgprs: 35
; NumVgprs: 63
; NumAgprs: 0
; TotalNumVgprs: 63
; ScratchSize: 0
; MemoryBound: 0
; FloatMode: 240
; IeeeMode: 1
; LDSByteSize: 20552 bytes/workgroup (compile time only)
; SGPRBlocks: 4
; VGPRBlocks: 7
; NumSGPRsForWavesPerEU: 35
; NumVGPRsForWavesPerEU: 63
; AccumOffset: 64
; Occupancy: 8
; WaveLimiterHint : 1
; COMPUTE_PGM_RSRC2:SCRATCH_EN: 0
; COMPUTE_PGM_RSRC2:USER_SGPR: 6
; COMPUTE_PGM_RSRC2:TRAP_HANDLER: 0
; COMPUTE_PGM_RSRC2:TGID_X_EN: 1
; COMPUTE_PGM_RSRC2:TGID_Y_EN: 0
; COMPUTE_PGM_RSRC2:TGID_Z_EN: 0
; COMPUTE_PGM_RSRC2:TIDIG_COMP_CNT: 2
; COMPUTE_PGM_RSRC3_GFX90A:ACCUM_OFFSET: 15
; COMPUTE_PGM_RSRC3_GFX90A:TG_SPLIT: 0
	.section	.text._ZN7rocprim17ROCPRIM_400000_NS6detail17trampoline_kernelINS0_14default_configENS1_35radix_sort_onesweep_config_selectorIiNS0_10empty_typeEEEZZNS1_29radix_sort_onesweep_iterationIS3_Lb1EPiS8_PS5_S9_mNS0_19identity_decomposerENS1_16block_id_wrapperIjLb0EEEEE10hipError_tT1_PNSt15iterator_traitsISE_E10value_typeET2_T3_PNSF_ISK_E10value_typeET4_T5_PSP_SQ_PNS1_23onesweep_lookback_stateEbbT6_jjT7_P12ihipStream_tbENKUlT_T0_SE_SJ_E_clIS8_S8_S9_S9_EEDaSX_SY_SE_SJ_EUlSX_E_NS1_11comp_targetILNS1_3genE3ELNS1_11target_archE908ELNS1_3gpuE7ELNS1_3repE0EEENS1_47radix_sort_onesweep_sort_config_static_selectorELNS0_4arch9wavefront6targetE1EEEvSE_,"axG",@progbits,_ZN7rocprim17ROCPRIM_400000_NS6detail17trampoline_kernelINS0_14default_configENS1_35radix_sort_onesweep_config_selectorIiNS0_10empty_typeEEEZZNS1_29radix_sort_onesweep_iterationIS3_Lb1EPiS8_PS5_S9_mNS0_19identity_decomposerENS1_16block_id_wrapperIjLb0EEEEE10hipError_tT1_PNSt15iterator_traitsISE_E10value_typeET2_T3_PNSF_ISK_E10value_typeET4_T5_PSP_SQ_PNS1_23onesweep_lookback_stateEbbT6_jjT7_P12ihipStream_tbENKUlT_T0_SE_SJ_E_clIS8_S8_S9_S9_EEDaSX_SY_SE_SJ_EUlSX_E_NS1_11comp_targetILNS1_3genE3ELNS1_11target_archE908ELNS1_3gpuE7ELNS1_3repE0EEENS1_47radix_sort_onesweep_sort_config_static_selectorELNS0_4arch9wavefront6targetE1EEEvSE_,comdat
	.protected	_ZN7rocprim17ROCPRIM_400000_NS6detail17trampoline_kernelINS0_14default_configENS1_35radix_sort_onesweep_config_selectorIiNS0_10empty_typeEEEZZNS1_29radix_sort_onesweep_iterationIS3_Lb1EPiS8_PS5_S9_mNS0_19identity_decomposerENS1_16block_id_wrapperIjLb0EEEEE10hipError_tT1_PNSt15iterator_traitsISE_E10value_typeET2_T3_PNSF_ISK_E10value_typeET4_T5_PSP_SQ_PNS1_23onesweep_lookback_stateEbbT6_jjT7_P12ihipStream_tbENKUlT_T0_SE_SJ_E_clIS8_S8_S9_S9_EEDaSX_SY_SE_SJ_EUlSX_E_NS1_11comp_targetILNS1_3genE3ELNS1_11target_archE908ELNS1_3gpuE7ELNS1_3repE0EEENS1_47radix_sort_onesweep_sort_config_static_selectorELNS0_4arch9wavefront6targetE1EEEvSE_ ; -- Begin function _ZN7rocprim17ROCPRIM_400000_NS6detail17trampoline_kernelINS0_14default_configENS1_35radix_sort_onesweep_config_selectorIiNS0_10empty_typeEEEZZNS1_29radix_sort_onesweep_iterationIS3_Lb1EPiS8_PS5_S9_mNS0_19identity_decomposerENS1_16block_id_wrapperIjLb0EEEEE10hipError_tT1_PNSt15iterator_traitsISE_E10value_typeET2_T3_PNSF_ISK_E10value_typeET4_T5_PSP_SQ_PNS1_23onesweep_lookback_stateEbbT6_jjT7_P12ihipStream_tbENKUlT_T0_SE_SJ_E_clIS8_S8_S9_S9_EEDaSX_SY_SE_SJ_EUlSX_E_NS1_11comp_targetILNS1_3genE3ELNS1_11target_archE908ELNS1_3gpuE7ELNS1_3repE0EEENS1_47radix_sort_onesweep_sort_config_static_selectorELNS0_4arch9wavefront6targetE1EEEvSE_
	.globl	_ZN7rocprim17ROCPRIM_400000_NS6detail17trampoline_kernelINS0_14default_configENS1_35radix_sort_onesweep_config_selectorIiNS0_10empty_typeEEEZZNS1_29radix_sort_onesweep_iterationIS3_Lb1EPiS8_PS5_S9_mNS0_19identity_decomposerENS1_16block_id_wrapperIjLb0EEEEE10hipError_tT1_PNSt15iterator_traitsISE_E10value_typeET2_T3_PNSF_ISK_E10value_typeET4_T5_PSP_SQ_PNS1_23onesweep_lookback_stateEbbT6_jjT7_P12ihipStream_tbENKUlT_T0_SE_SJ_E_clIS8_S8_S9_S9_EEDaSX_SY_SE_SJ_EUlSX_E_NS1_11comp_targetILNS1_3genE3ELNS1_11target_archE908ELNS1_3gpuE7ELNS1_3repE0EEENS1_47radix_sort_onesweep_sort_config_static_selectorELNS0_4arch9wavefront6targetE1EEEvSE_
	.p2align	8
	.type	_ZN7rocprim17ROCPRIM_400000_NS6detail17trampoline_kernelINS0_14default_configENS1_35radix_sort_onesweep_config_selectorIiNS0_10empty_typeEEEZZNS1_29radix_sort_onesweep_iterationIS3_Lb1EPiS8_PS5_S9_mNS0_19identity_decomposerENS1_16block_id_wrapperIjLb0EEEEE10hipError_tT1_PNSt15iterator_traitsISE_E10value_typeET2_T3_PNSF_ISK_E10value_typeET4_T5_PSP_SQ_PNS1_23onesweep_lookback_stateEbbT6_jjT7_P12ihipStream_tbENKUlT_T0_SE_SJ_E_clIS8_S8_S9_S9_EEDaSX_SY_SE_SJ_EUlSX_E_NS1_11comp_targetILNS1_3genE3ELNS1_11target_archE908ELNS1_3gpuE7ELNS1_3repE0EEENS1_47radix_sort_onesweep_sort_config_static_selectorELNS0_4arch9wavefront6targetE1EEEvSE_,@function
_ZN7rocprim17ROCPRIM_400000_NS6detail17trampoline_kernelINS0_14default_configENS1_35radix_sort_onesweep_config_selectorIiNS0_10empty_typeEEEZZNS1_29radix_sort_onesweep_iterationIS3_Lb1EPiS8_PS5_S9_mNS0_19identity_decomposerENS1_16block_id_wrapperIjLb0EEEEE10hipError_tT1_PNSt15iterator_traitsISE_E10value_typeET2_T3_PNSF_ISK_E10value_typeET4_T5_PSP_SQ_PNS1_23onesweep_lookback_stateEbbT6_jjT7_P12ihipStream_tbENKUlT_T0_SE_SJ_E_clIS8_S8_S9_S9_EEDaSX_SY_SE_SJ_EUlSX_E_NS1_11comp_targetILNS1_3genE3ELNS1_11target_archE908ELNS1_3gpuE7ELNS1_3repE0EEENS1_47radix_sort_onesweep_sort_config_static_selectorELNS0_4arch9wavefront6targetE1EEEvSE_: ; @_ZN7rocprim17ROCPRIM_400000_NS6detail17trampoline_kernelINS0_14default_configENS1_35radix_sort_onesweep_config_selectorIiNS0_10empty_typeEEEZZNS1_29radix_sort_onesweep_iterationIS3_Lb1EPiS8_PS5_S9_mNS0_19identity_decomposerENS1_16block_id_wrapperIjLb0EEEEE10hipError_tT1_PNSt15iterator_traitsISE_E10value_typeET2_T3_PNSF_ISK_E10value_typeET4_T5_PSP_SQ_PNS1_23onesweep_lookback_stateEbbT6_jjT7_P12ihipStream_tbENKUlT_T0_SE_SJ_E_clIS8_S8_S9_S9_EEDaSX_SY_SE_SJ_EUlSX_E_NS1_11comp_targetILNS1_3genE3ELNS1_11target_archE908ELNS1_3gpuE7ELNS1_3repE0EEENS1_47radix_sort_onesweep_sort_config_static_selectorELNS0_4arch9wavefront6targetE1EEEvSE_
; %bb.0:
	.section	.rodata,"a",@progbits
	.p2align	6, 0x0
	.amdhsa_kernel _ZN7rocprim17ROCPRIM_400000_NS6detail17trampoline_kernelINS0_14default_configENS1_35radix_sort_onesweep_config_selectorIiNS0_10empty_typeEEEZZNS1_29radix_sort_onesweep_iterationIS3_Lb1EPiS8_PS5_S9_mNS0_19identity_decomposerENS1_16block_id_wrapperIjLb0EEEEE10hipError_tT1_PNSt15iterator_traitsISE_E10value_typeET2_T3_PNSF_ISK_E10value_typeET4_T5_PSP_SQ_PNS1_23onesweep_lookback_stateEbbT6_jjT7_P12ihipStream_tbENKUlT_T0_SE_SJ_E_clIS8_S8_S9_S9_EEDaSX_SY_SE_SJ_EUlSX_E_NS1_11comp_targetILNS1_3genE3ELNS1_11target_archE908ELNS1_3gpuE7ELNS1_3repE0EEENS1_47radix_sort_onesweep_sort_config_static_selectorELNS0_4arch9wavefront6targetE1EEEvSE_
		.amdhsa_group_segment_fixed_size 0
		.amdhsa_private_segment_fixed_size 0
		.amdhsa_kernarg_size 88
		.amdhsa_user_sgpr_count 6
		.amdhsa_user_sgpr_private_segment_buffer 1
		.amdhsa_user_sgpr_dispatch_ptr 0
		.amdhsa_user_sgpr_queue_ptr 0
		.amdhsa_user_sgpr_kernarg_segment_ptr 1
		.amdhsa_user_sgpr_dispatch_id 0
		.amdhsa_user_sgpr_flat_scratch_init 0
		.amdhsa_user_sgpr_kernarg_preload_length 0
		.amdhsa_user_sgpr_kernarg_preload_offset 0
		.amdhsa_user_sgpr_private_segment_size 0
		.amdhsa_uses_dynamic_stack 0
		.amdhsa_system_sgpr_private_segment_wavefront_offset 0
		.amdhsa_system_sgpr_workgroup_id_x 1
		.amdhsa_system_sgpr_workgroup_id_y 0
		.amdhsa_system_sgpr_workgroup_id_z 0
		.amdhsa_system_sgpr_workgroup_info 0
		.amdhsa_system_vgpr_workitem_id 0
		.amdhsa_next_free_vgpr 1
		.amdhsa_next_free_sgpr 0
		.amdhsa_accum_offset 4
		.amdhsa_reserve_vcc 0
		.amdhsa_reserve_flat_scratch 0
		.amdhsa_float_round_mode_32 0
		.amdhsa_float_round_mode_16_64 0
		.amdhsa_float_denorm_mode_32 3
		.amdhsa_float_denorm_mode_16_64 3
		.amdhsa_dx10_clamp 1
		.amdhsa_ieee_mode 1
		.amdhsa_fp16_overflow 0
		.amdhsa_tg_split 0
		.amdhsa_exception_fp_ieee_invalid_op 0
		.amdhsa_exception_fp_denorm_src 0
		.amdhsa_exception_fp_ieee_div_zero 0
		.amdhsa_exception_fp_ieee_overflow 0
		.amdhsa_exception_fp_ieee_underflow 0
		.amdhsa_exception_fp_ieee_inexact 0
		.amdhsa_exception_int_div_zero 0
	.end_amdhsa_kernel
	.section	.text._ZN7rocprim17ROCPRIM_400000_NS6detail17trampoline_kernelINS0_14default_configENS1_35radix_sort_onesweep_config_selectorIiNS0_10empty_typeEEEZZNS1_29radix_sort_onesweep_iterationIS3_Lb1EPiS8_PS5_S9_mNS0_19identity_decomposerENS1_16block_id_wrapperIjLb0EEEEE10hipError_tT1_PNSt15iterator_traitsISE_E10value_typeET2_T3_PNSF_ISK_E10value_typeET4_T5_PSP_SQ_PNS1_23onesweep_lookback_stateEbbT6_jjT7_P12ihipStream_tbENKUlT_T0_SE_SJ_E_clIS8_S8_S9_S9_EEDaSX_SY_SE_SJ_EUlSX_E_NS1_11comp_targetILNS1_3genE3ELNS1_11target_archE908ELNS1_3gpuE7ELNS1_3repE0EEENS1_47radix_sort_onesweep_sort_config_static_selectorELNS0_4arch9wavefront6targetE1EEEvSE_,"axG",@progbits,_ZN7rocprim17ROCPRIM_400000_NS6detail17trampoline_kernelINS0_14default_configENS1_35radix_sort_onesweep_config_selectorIiNS0_10empty_typeEEEZZNS1_29radix_sort_onesweep_iterationIS3_Lb1EPiS8_PS5_S9_mNS0_19identity_decomposerENS1_16block_id_wrapperIjLb0EEEEE10hipError_tT1_PNSt15iterator_traitsISE_E10value_typeET2_T3_PNSF_ISK_E10value_typeET4_T5_PSP_SQ_PNS1_23onesweep_lookback_stateEbbT6_jjT7_P12ihipStream_tbENKUlT_T0_SE_SJ_E_clIS8_S8_S9_S9_EEDaSX_SY_SE_SJ_EUlSX_E_NS1_11comp_targetILNS1_3genE3ELNS1_11target_archE908ELNS1_3gpuE7ELNS1_3repE0EEENS1_47radix_sort_onesweep_sort_config_static_selectorELNS0_4arch9wavefront6targetE1EEEvSE_,comdat
.Lfunc_end2026:
	.size	_ZN7rocprim17ROCPRIM_400000_NS6detail17trampoline_kernelINS0_14default_configENS1_35radix_sort_onesweep_config_selectorIiNS0_10empty_typeEEEZZNS1_29radix_sort_onesweep_iterationIS3_Lb1EPiS8_PS5_S9_mNS0_19identity_decomposerENS1_16block_id_wrapperIjLb0EEEEE10hipError_tT1_PNSt15iterator_traitsISE_E10value_typeET2_T3_PNSF_ISK_E10value_typeET4_T5_PSP_SQ_PNS1_23onesweep_lookback_stateEbbT6_jjT7_P12ihipStream_tbENKUlT_T0_SE_SJ_E_clIS8_S8_S9_S9_EEDaSX_SY_SE_SJ_EUlSX_E_NS1_11comp_targetILNS1_3genE3ELNS1_11target_archE908ELNS1_3gpuE7ELNS1_3repE0EEENS1_47radix_sort_onesweep_sort_config_static_selectorELNS0_4arch9wavefront6targetE1EEEvSE_, .Lfunc_end2026-_ZN7rocprim17ROCPRIM_400000_NS6detail17trampoline_kernelINS0_14default_configENS1_35radix_sort_onesweep_config_selectorIiNS0_10empty_typeEEEZZNS1_29radix_sort_onesweep_iterationIS3_Lb1EPiS8_PS5_S9_mNS0_19identity_decomposerENS1_16block_id_wrapperIjLb0EEEEE10hipError_tT1_PNSt15iterator_traitsISE_E10value_typeET2_T3_PNSF_ISK_E10value_typeET4_T5_PSP_SQ_PNS1_23onesweep_lookback_stateEbbT6_jjT7_P12ihipStream_tbENKUlT_T0_SE_SJ_E_clIS8_S8_S9_S9_EEDaSX_SY_SE_SJ_EUlSX_E_NS1_11comp_targetILNS1_3genE3ELNS1_11target_archE908ELNS1_3gpuE7ELNS1_3repE0EEENS1_47radix_sort_onesweep_sort_config_static_selectorELNS0_4arch9wavefront6targetE1EEEvSE_
                                        ; -- End function
	.section	.AMDGPU.csdata,"",@progbits
; Kernel info:
; codeLenInByte = 0
; NumSgprs: 4
; NumVgprs: 0
; NumAgprs: 0
; TotalNumVgprs: 0
; ScratchSize: 0
; MemoryBound: 0
; FloatMode: 240
; IeeeMode: 1
; LDSByteSize: 0 bytes/workgroup (compile time only)
; SGPRBlocks: 0
; VGPRBlocks: 0
; NumSGPRsForWavesPerEU: 4
; NumVGPRsForWavesPerEU: 1
; AccumOffset: 4
; Occupancy: 8
; WaveLimiterHint : 0
; COMPUTE_PGM_RSRC2:SCRATCH_EN: 0
; COMPUTE_PGM_RSRC2:USER_SGPR: 6
; COMPUTE_PGM_RSRC2:TRAP_HANDLER: 0
; COMPUTE_PGM_RSRC2:TGID_X_EN: 1
; COMPUTE_PGM_RSRC2:TGID_Y_EN: 0
; COMPUTE_PGM_RSRC2:TGID_Z_EN: 0
; COMPUTE_PGM_RSRC2:TIDIG_COMP_CNT: 0
; COMPUTE_PGM_RSRC3_GFX90A:ACCUM_OFFSET: 0
; COMPUTE_PGM_RSRC3_GFX90A:TG_SPLIT: 0
	.section	.text._ZN7rocprim17ROCPRIM_400000_NS6detail17trampoline_kernelINS0_14default_configENS1_35radix_sort_onesweep_config_selectorIiNS0_10empty_typeEEEZZNS1_29radix_sort_onesweep_iterationIS3_Lb1EPiS8_PS5_S9_mNS0_19identity_decomposerENS1_16block_id_wrapperIjLb0EEEEE10hipError_tT1_PNSt15iterator_traitsISE_E10value_typeET2_T3_PNSF_ISK_E10value_typeET4_T5_PSP_SQ_PNS1_23onesweep_lookback_stateEbbT6_jjT7_P12ihipStream_tbENKUlT_T0_SE_SJ_E_clIS8_S8_S9_S9_EEDaSX_SY_SE_SJ_EUlSX_E_NS1_11comp_targetILNS1_3genE10ELNS1_11target_archE1201ELNS1_3gpuE5ELNS1_3repE0EEENS1_47radix_sort_onesweep_sort_config_static_selectorELNS0_4arch9wavefront6targetE1EEEvSE_,"axG",@progbits,_ZN7rocprim17ROCPRIM_400000_NS6detail17trampoline_kernelINS0_14default_configENS1_35radix_sort_onesweep_config_selectorIiNS0_10empty_typeEEEZZNS1_29radix_sort_onesweep_iterationIS3_Lb1EPiS8_PS5_S9_mNS0_19identity_decomposerENS1_16block_id_wrapperIjLb0EEEEE10hipError_tT1_PNSt15iterator_traitsISE_E10value_typeET2_T3_PNSF_ISK_E10value_typeET4_T5_PSP_SQ_PNS1_23onesweep_lookback_stateEbbT6_jjT7_P12ihipStream_tbENKUlT_T0_SE_SJ_E_clIS8_S8_S9_S9_EEDaSX_SY_SE_SJ_EUlSX_E_NS1_11comp_targetILNS1_3genE10ELNS1_11target_archE1201ELNS1_3gpuE5ELNS1_3repE0EEENS1_47radix_sort_onesweep_sort_config_static_selectorELNS0_4arch9wavefront6targetE1EEEvSE_,comdat
	.protected	_ZN7rocprim17ROCPRIM_400000_NS6detail17trampoline_kernelINS0_14default_configENS1_35radix_sort_onesweep_config_selectorIiNS0_10empty_typeEEEZZNS1_29radix_sort_onesweep_iterationIS3_Lb1EPiS8_PS5_S9_mNS0_19identity_decomposerENS1_16block_id_wrapperIjLb0EEEEE10hipError_tT1_PNSt15iterator_traitsISE_E10value_typeET2_T3_PNSF_ISK_E10value_typeET4_T5_PSP_SQ_PNS1_23onesweep_lookback_stateEbbT6_jjT7_P12ihipStream_tbENKUlT_T0_SE_SJ_E_clIS8_S8_S9_S9_EEDaSX_SY_SE_SJ_EUlSX_E_NS1_11comp_targetILNS1_3genE10ELNS1_11target_archE1201ELNS1_3gpuE5ELNS1_3repE0EEENS1_47radix_sort_onesweep_sort_config_static_selectorELNS0_4arch9wavefront6targetE1EEEvSE_ ; -- Begin function _ZN7rocprim17ROCPRIM_400000_NS6detail17trampoline_kernelINS0_14default_configENS1_35radix_sort_onesweep_config_selectorIiNS0_10empty_typeEEEZZNS1_29radix_sort_onesweep_iterationIS3_Lb1EPiS8_PS5_S9_mNS0_19identity_decomposerENS1_16block_id_wrapperIjLb0EEEEE10hipError_tT1_PNSt15iterator_traitsISE_E10value_typeET2_T3_PNSF_ISK_E10value_typeET4_T5_PSP_SQ_PNS1_23onesweep_lookback_stateEbbT6_jjT7_P12ihipStream_tbENKUlT_T0_SE_SJ_E_clIS8_S8_S9_S9_EEDaSX_SY_SE_SJ_EUlSX_E_NS1_11comp_targetILNS1_3genE10ELNS1_11target_archE1201ELNS1_3gpuE5ELNS1_3repE0EEENS1_47radix_sort_onesweep_sort_config_static_selectorELNS0_4arch9wavefront6targetE1EEEvSE_
	.globl	_ZN7rocprim17ROCPRIM_400000_NS6detail17trampoline_kernelINS0_14default_configENS1_35radix_sort_onesweep_config_selectorIiNS0_10empty_typeEEEZZNS1_29radix_sort_onesweep_iterationIS3_Lb1EPiS8_PS5_S9_mNS0_19identity_decomposerENS1_16block_id_wrapperIjLb0EEEEE10hipError_tT1_PNSt15iterator_traitsISE_E10value_typeET2_T3_PNSF_ISK_E10value_typeET4_T5_PSP_SQ_PNS1_23onesweep_lookback_stateEbbT6_jjT7_P12ihipStream_tbENKUlT_T0_SE_SJ_E_clIS8_S8_S9_S9_EEDaSX_SY_SE_SJ_EUlSX_E_NS1_11comp_targetILNS1_3genE10ELNS1_11target_archE1201ELNS1_3gpuE5ELNS1_3repE0EEENS1_47radix_sort_onesweep_sort_config_static_selectorELNS0_4arch9wavefront6targetE1EEEvSE_
	.p2align	8
	.type	_ZN7rocprim17ROCPRIM_400000_NS6detail17trampoline_kernelINS0_14default_configENS1_35radix_sort_onesweep_config_selectorIiNS0_10empty_typeEEEZZNS1_29radix_sort_onesweep_iterationIS3_Lb1EPiS8_PS5_S9_mNS0_19identity_decomposerENS1_16block_id_wrapperIjLb0EEEEE10hipError_tT1_PNSt15iterator_traitsISE_E10value_typeET2_T3_PNSF_ISK_E10value_typeET4_T5_PSP_SQ_PNS1_23onesweep_lookback_stateEbbT6_jjT7_P12ihipStream_tbENKUlT_T0_SE_SJ_E_clIS8_S8_S9_S9_EEDaSX_SY_SE_SJ_EUlSX_E_NS1_11comp_targetILNS1_3genE10ELNS1_11target_archE1201ELNS1_3gpuE5ELNS1_3repE0EEENS1_47radix_sort_onesweep_sort_config_static_selectorELNS0_4arch9wavefront6targetE1EEEvSE_,@function
_ZN7rocprim17ROCPRIM_400000_NS6detail17trampoline_kernelINS0_14default_configENS1_35radix_sort_onesweep_config_selectorIiNS0_10empty_typeEEEZZNS1_29radix_sort_onesweep_iterationIS3_Lb1EPiS8_PS5_S9_mNS0_19identity_decomposerENS1_16block_id_wrapperIjLb0EEEEE10hipError_tT1_PNSt15iterator_traitsISE_E10value_typeET2_T3_PNSF_ISK_E10value_typeET4_T5_PSP_SQ_PNS1_23onesweep_lookback_stateEbbT6_jjT7_P12ihipStream_tbENKUlT_T0_SE_SJ_E_clIS8_S8_S9_S9_EEDaSX_SY_SE_SJ_EUlSX_E_NS1_11comp_targetILNS1_3genE10ELNS1_11target_archE1201ELNS1_3gpuE5ELNS1_3repE0EEENS1_47radix_sort_onesweep_sort_config_static_selectorELNS0_4arch9wavefront6targetE1EEEvSE_: ; @_ZN7rocprim17ROCPRIM_400000_NS6detail17trampoline_kernelINS0_14default_configENS1_35radix_sort_onesweep_config_selectorIiNS0_10empty_typeEEEZZNS1_29radix_sort_onesweep_iterationIS3_Lb1EPiS8_PS5_S9_mNS0_19identity_decomposerENS1_16block_id_wrapperIjLb0EEEEE10hipError_tT1_PNSt15iterator_traitsISE_E10value_typeET2_T3_PNSF_ISK_E10value_typeET4_T5_PSP_SQ_PNS1_23onesweep_lookback_stateEbbT6_jjT7_P12ihipStream_tbENKUlT_T0_SE_SJ_E_clIS8_S8_S9_S9_EEDaSX_SY_SE_SJ_EUlSX_E_NS1_11comp_targetILNS1_3genE10ELNS1_11target_archE1201ELNS1_3gpuE5ELNS1_3repE0EEENS1_47radix_sort_onesweep_sort_config_static_selectorELNS0_4arch9wavefront6targetE1EEEvSE_
; %bb.0:
	.section	.rodata,"a",@progbits
	.p2align	6, 0x0
	.amdhsa_kernel _ZN7rocprim17ROCPRIM_400000_NS6detail17trampoline_kernelINS0_14default_configENS1_35radix_sort_onesweep_config_selectorIiNS0_10empty_typeEEEZZNS1_29radix_sort_onesweep_iterationIS3_Lb1EPiS8_PS5_S9_mNS0_19identity_decomposerENS1_16block_id_wrapperIjLb0EEEEE10hipError_tT1_PNSt15iterator_traitsISE_E10value_typeET2_T3_PNSF_ISK_E10value_typeET4_T5_PSP_SQ_PNS1_23onesweep_lookback_stateEbbT6_jjT7_P12ihipStream_tbENKUlT_T0_SE_SJ_E_clIS8_S8_S9_S9_EEDaSX_SY_SE_SJ_EUlSX_E_NS1_11comp_targetILNS1_3genE10ELNS1_11target_archE1201ELNS1_3gpuE5ELNS1_3repE0EEENS1_47radix_sort_onesweep_sort_config_static_selectorELNS0_4arch9wavefront6targetE1EEEvSE_
		.amdhsa_group_segment_fixed_size 0
		.amdhsa_private_segment_fixed_size 0
		.amdhsa_kernarg_size 88
		.amdhsa_user_sgpr_count 6
		.amdhsa_user_sgpr_private_segment_buffer 1
		.amdhsa_user_sgpr_dispatch_ptr 0
		.amdhsa_user_sgpr_queue_ptr 0
		.amdhsa_user_sgpr_kernarg_segment_ptr 1
		.amdhsa_user_sgpr_dispatch_id 0
		.amdhsa_user_sgpr_flat_scratch_init 0
		.amdhsa_user_sgpr_kernarg_preload_length 0
		.amdhsa_user_sgpr_kernarg_preload_offset 0
		.amdhsa_user_sgpr_private_segment_size 0
		.amdhsa_uses_dynamic_stack 0
		.amdhsa_system_sgpr_private_segment_wavefront_offset 0
		.amdhsa_system_sgpr_workgroup_id_x 1
		.amdhsa_system_sgpr_workgroup_id_y 0
		.amdhsa_system_sgpr_workgroup_id_z 0
		.amdhsa_system_sgpr_workgroup_info 0
		.amdhsa_system_vgpr_workitem_id 0
		.amdhsa_next_free_vgpr 1
		.amdhsa_next_free_sgpr 0
		.amdhsa_accum_offset 4
		.amdhsa_reserve_vcc 0
		.amdhsa_reserve_flat_scratch 0
		.amdhsa_float_round_mode_32 0
		.amdhsa_float_round_mode_16_64 0
		.amdhsa_float_denorm_mode_32 3
		.amdhsa_float_denorm_mode_16_64 3
		.amdhsa_dx10_clamp 1
		.amdhsa_ieee_mode 1
		.amdhsa_fp16_overflow 0
		.amdhsa_tg_split 0
		.amdhsa_exception_fp_ieee_invalid_op 0
		.amdhsa_exception_fp_denorm_src 0
		.amdhsa_exception_fp_ieee_div_zero 0
		.amdhsa_exception_fp_ieee_overflow 0
		.amdhsa_exception_fp_ieee_underflow 0
		.amdhsa_exception_fp_ieee_inexact 0
		.amdhsa_exception_int_div_zero 0
	.end_amdhsa_kernel
	.section	.text._ZN7rocprim17ROCPRIM_400000_NS6detail17trampoline_kernelINS0_14default_configENS1_35radix_sort_onesweep_config_selectorIiNS0_10empty_typeEEEZZNS1_29radix_sort_onesweep_iterationIS3_Lb1EPiS8_PS5_S9_mNS0_19identity_decomposerENS1_16block_id_wrapperIjLb0EEEEE10hipError_tT1_PNSt15iterator_traitsISE_E10value_typeET2_T3_PNSF_ISK_E10value_typeET4_T5_PSP_SQ_PNS1_23onesweep_lookback_stateEbbT6_jjT7_P12ihipStream_tbENKUlT_T0_SE_SJ_E_clIS8_S8_S9_S9_EEDaSX_SY_SE_SJ_EUlSX_E_NS1_11comp_targetILNS1_3genE10ELNS1_11target_archE1201ELNS1_3gpuE5ELNS1_3repE0EEENS1_47radix_sort_onesweep_sort_config_static_selectorELNS0_4arch9wavefront6targetE1EEEvSE_,"axG",@progbits,_ZN7rocprim17ROCPRIM_400000_NS6detail17trampoline_kernelINS0_14default_configENS1_35radix_sort_onesweep_config_selectorIiNS0_10empty_typeEEEZZNS1_29radix_sort_onesweep_iterationIS3_Lb1EPiS8_PS5_S9_mNS0_19identity_decomposerENS1_16block_id_wrapperIjLb0EEEEE10hipError_tT1_PNSt15iterator_traitsISE_E10value_typeET2_T3_PNSF_ISK_E10value_typeET4_T5_PSP_SQ_PNS1_23onesweep_lookback_stateEbbT6_jjT7_P12ihipStream_tbENKUlT_T0_SE_SJ_E_clIS8_S8_S9_S9_EEDaSX_SY_SE_SJ_EUlSX_E_NS1_11comp_targetILNS1_3genE10ELNS1_11target_archE1201ELNS1_3gpuE5ELNS1_3repE0EEENS1_47radix_sort_onesweep_sort_config_static_selectorELNS0_4arch9wavefront6targetE1EEEvSE_,comdat
.Lfunc_end2027:
	.size	_ZN7rocprim17ROCPRIM_400000_NS6detail17trampoline_kernelINS0_14default_configENS1_35radix_sort_onesweep_config_selectorIiNS0_10empty_typeEEEZZNS1_29radix_sort_onesweep_iterationIS3_Lb1EPiS8_PS5_S9_mNS0_19identity_decomposerENS1_16block_id_wrapperIjLb0EEEEE10hipError_tT1_PNSt15iterator_traitsISE_E10value_typeET2_T3_PNSF_ISK_E10value_typeET4_T5_PSP_SQ_PNS1_23onesweep_lookback_stateEbbT6_jjT7_P12ihipStream_tbENKUlT_T0_SE_SJ_E_clIS8_S8_S9_S9_EEDaSX_SY_SE_SJ_EUlSX_E_NS1_11comp_targetILNS1_3genE10ELNS1_11target_archE1201ELNS1_3gpuE5ELNS1_3repE0EEENS1_47radix_sort_onesweep_sort_config_static_selectorELNS0_4arch9wavefront6targetE1EEEvSE_, .Lfunc_end2027-_ZN7rocprim17ROCPRIM_400000_NS6detail17trampoline_kernelINS0_14default_configENS1_35radix_sort_onesweep_config_selectorIiNS0_10empty_typeEEEZZNS1_29radix_sort_onesweep_iterationIS3_Lb1EPiS8_PS5_S9_mNS0_19identity_decomposerENS1_16block_id_wrapperIjLb0EEEEE10hipError_tT1_PNSt15iterator_traitsISE_E10value_typeET2_T3_PNSF_ISK_E10value_typeET4_T5_PSP_SQ_PNS1_23onesweep_lookback_stateEbbT6_jjT7_P12ihipStream_tbENKUlT_T0_SE_SJ_E_clIS8_S8_S9_S9_EEDaSX_SY_SE_SJ_EUlSX_E_NS1_11comp_targetILNS1_3genE10ELNS1_11target_archE1201ELNS1_3gpuE5ELNS1_3repE0EEENS1_47radix_sort_onesweep_sort_config_static_selectorELNS0_4arch9wavefront6targetE1EEEvSE_
                                        ; -- End function
	.section	.AMDGPU.csdata,"",@progbits
; Kernel info:
; codeLenInByte = 0
; NumSgprs: 4
; NumVgprs: 0
; NumAgprs: 0
; TotalNumVgprs: 0
; ScratchSize: 0
; MemoryBound: 0
; FloatMode: 240
; IeeeMode: 1
; LDSByteSize: 0 bytes/workgroup (compile time only)
; SGPRBlocks: 0
; VGPRBlocks: 0
; NumSGPRsForWavesPerEU: 4
; NumVGPRsForWavesPerEU: 1
; AccumOffset: 4
; Occupancy: 8
; WaveLimiterHint : 0
; COMPUTE_PGM_RSRC2:SCRATCH_EN: 0
; COMPUTE_PGM_RSRC2:USER_SGPR: 6
; COMPUTE_PGM_RSRC2:TRAP_HANDLER: 0
; COMPUTE_PGM_RSRC2:TGID_X_EN: 1
; COMPUTE_PGM_RSRC2:TGID_Y_EN: 0
; COMPUTE_PGM_RSRC2:TGID_Z_EN: 0
; COMPUTE_PGM_RSRC2:TIDIG_COMP_CNT: 0
; COMPUTE_PGM_RSRC3_GFX90A:ACCUM_OFFSET: 0
; COMPUTE_PGM_RSRC3_GFX90A:TG_SPLIT: 0
	.section	.text._ZN7rocprim17ROCPRIM_400000_NS6detail17trampoline_kernelINS0_14default_configENS1_35radix_sort_onesweep_config_selectorIiNS0_10empty_typeEEEZZNS1_29radix_sort_onesweep_iterationIS3_Lb1EPiS8_PS5_S9_mNS0_19identity_decomposerENS1_16block_id_wrapperIjLb0EEEEE10hipError_tT1_PNSt15iterator_traitsISE_E10value_typeET2_T3_PNSF_ISK_E10value_typeET4_T5_PSP_SQ_PNS1_23onesweep_lookback_stateEbbT6_jjT7_P12ihipStream_tbENKUlT_T0_SE_SJ_E_clIS8_S8_S9_S9_EEDaSX_SY_SE_SJ_EUlSX_E_NS1_11comp_targetILNS1_3genE9ELNS1_11target_archE1100ELNS1_3gpuE3ELNS1_3repE0EEENS1_47radix_sort_onesweep_sort_config_static_selectorELNS0_4arch9wavefront6targetE1EEEvSE_,"axG",@progbits,_ZN7rocprim17ROCPRIM_400000_NS6detail17trampoline_kernelINS0_14default_configENS1_35radix_sort_onesweep_config_selectorIiNS0_10empty_typeEEEZZNS1_29radix_sort_onesweep_iterationIS3_Lb1EPiS8_PS5_S9_mNS0_19identity_decomposerENS1_16block_id_wrapperIjLb0EEEEE10hipError_tT1_PNSt15iterator_traitsISE_E10value_typeET2_T3_PNSF_ISK_E10value_typeET4_T5_PSP_SQ_PNS1_23onesweep_lookback_stateEbbT6_jjT7_P12ihipStream_tbENKUlT_T0_SE_SJ_E_clIS8_S8_S9_S9_EEDaSX_SY_SE_SJ_EUlSX_E_NS1_11comp_targetILNS1_3genE9ELNS1_11target_archE1100ELNS1_3gpuE3ELNS1_3repE0EEENS1_47radix_sort_onesweep_sort_config_static_selectorELNS0_4arch9wavefront6targetE1EEEvSE_,comdat
	.protected	_ZN7rocprim17ROCPRIM_400000_NS6detail17trampoline_kernelINS0_14default_configENS1_35radix_sort_onesweep_config_selectorIiNS0_10empty_typeEEEZZNS1_29radix_sort_onesweep_iterationIS3_Lb1EPiS8_PS5_S9_mNS0_19identity_decomposerENS1_16block_id_wrapperIjLb0EEEEE10hipError_tT1_PNSt15iterator_traitsISE_E10value_typeET2_T3_PNSF_ISK_E10value_typeET4_T5_PSP_SQ_PNS1_23onesweep_lookback_stateEbbT6_jjT7_P12ihipStream_tbENKUlT_T0_SE_SJ_E_clIS8_S8_S9_S9_EEDaSX_SY_SE_SJ_EUlSX_E_NS1_11comp_targetILNS1_3genE9ELNS1_11target_archE1100ELNS1_3gpuE3ELNS1_3repE0EEENS1_47radix_sort_onesweep_sort_config_static_selectorELNS0_4arch9wavefront6targetE1EEEvSE_ ; -- Begin function _ZN7rocprim17ROCPRIM_400000_NS6detail17trampoline_kernelINS0_14default_configENS1_35radix_sort_onesweep_config_selectorIiNS0_10empty_typeEEEZZNS1_29radix_sort_onesweep_iterationIS3_Lb1EPiS8_PS5_S9_mNS0_19identity_decomposerENS1_16block_id_wrapperIjLb0EEEEE10hipError_tT1_PNSt15iterator_traitsISE_E10value_typeET2_T3_PNSF_ISK_E10value_typeET4_T5_PSP_SQ_PNS1_23onesweep_lookback_stateEbbT6_jjT7_P12ihipStream_tbENKUlT_T0_SE_SJ_E_clIS8_S8_S9_S9_EEDaSX_SY_SE_SJ_EUlSX_E_NS1_11comp_targetILNS1_3genE9ELNS1_11target_archE1100ELNS1_3gpuE3ELNS1_3repE0EEENS1_47radix_sort_onesweep_sort_config_static_selectorELNS0_4arch9wavefront6targetE1EEEvSE_
	.globl	_ZN7rocprim17ROCPRIM_400000_NS6detail17trampoline_kernelINS0_14default_configENS1_35radix_sort_onesweep_config_selectorIiNS0_10empty_typeEEEZZNS1_29radix_sort_onesweep_iterationIS3_Lb1EPiS8_PS5_S9_mNS0_19identity_decomposerENS1_16block_id_wrapperIjLb0EEEEE10hipError_tT1_PNSt15iterator_traitsISE_E10value_typeET2_T3_PNSF_ISK_E10value_typeET4_T5_PSP_SQ_PNS1_23onesweep_lookback_stateEbbT6_jjT7_P12ihipStream_tbENKUlT_T0_SE_SJ_E_clIS8_S8_S9_S9_EEDaSX_SY_SE_SJ_EUlSX_E_NS1_11comp_targetILNS1_3genE9ELNS1_11target_archE1100ELNS1_3gpuE3ELNS1_3repE0EEENS1_47radix_sort_onesweep_sort_config_static_selectorELNS0_4arch9wavefront6targetE1EEEvSE_
	.p2align	8
	.type	_ZN7rocprim17ROCPRIM_400000_NS6detail17trampoline_kernelINS0_14default_configENS1_35radix_sort_onesweep_config_selectorIiNS0_10empty_typeEEEZZNS1_29radix_sort_onesweep_iterationIS3_Lb1EPiS8_PS5_S9_mNS0_19identity_decomposerENS1_16block_id_wrapperIjLb0EEEEE10hipError_tT1_PNSt15iterator_traitsISE_E10value_typeET2_T3_PNSF_ISK_E10value_typeET4_T5_PSP_SQ_PNS1_23onesweep_lookback_stateEbbT6_jjT7_P12ihipStream_tbENKUlT_T0_SE_SJ_E_clIS8_S8_S9_S9_EEDaSX_SY_SE_SJ_EUlSX_E_NS1_11comp_targetILNS1_3genE9ELNS1_11target_archE1100ELNS1_3gpuE3ELNS1_3repE0EEENS1_47radix_sort_onesweep_sort_config_static_selectorELNS0_4arch9wavefront6targetE1EEEvSE_,@function
_ZN7rocprim17ROCPRIM_400000_NS6detail17trampoline_kernelINS0_14default_configENS1_35radix_sort_onesweep_config_selectorIiNS0_10empty_typeEEEZZNS1_29radix_sort_onesweep_iterationIS3_Lb1EPiS8_PS5_S9_mNS0_19identity_decomposerENS1_16block_id_wrapperIjLb0EEEEE10hipError_tT1_PNSt15iterator_traitsISE_E10value_typeET2_T3_PNSF_ISK_E10value_typeET4_T5_PSP_SQ_PNS1_23onesweep_lookback_stateEbbT6_jjT7_P12ihipStream_tbENKUlT_T0_SE_SJ_E_clIS8_S8_S9_S9_EEDaSX_SY_SE_SJ_EUlSX_E_NS1_11comp_targetILNS1_3genE9ELNS1_11target_archE1100ELNS1_3gpuE3ELNS1_3repE0EEENS1_47radix_sort_onesweep_sort_config_static_selectorELNS0_4arch9wavefront6targetE1EEEvSE_: ; @_ZN7rocprim17ROCPRIM_400000_NS6detail17trampoline_kernelINS0_14default_configENS1_35radix_sort_onesweep_config_selectorIiNS0_10empty_typeEEEZZNS1_29radix_sort_onesweep_iterationIS3_Lb1EPiS8_PS5_S9_mNS0_19identity_decomposerENS1_16block_id_wrapperIjLb0EEEEE10hipError_tT1_PNSt15iterator_traitsISE_E10value_typeET2_T3_PNSF_ISK_E10value_typeET4_T5_PSP_SQ_PNS1_23onesweep_lookback_stateEbbT6_jjT7_P12ihipStream_tbENKUlT_T0_SE_SJ_E_clIS8_S8_S9_S9_EEDaSX_SY_SE_SJ_EUlSX_E_NS1_11comp_targetILNS1_3genE9ELNS1_11target_archE1100ELNS1_3gpuE3ELNS1_3repE0EEENS1_47radix_sort_onesweep_sort_config_static_selectorELNS0_4arch9wavefront6targetE1EEEvSE_
; %bb.0:
	.section	.rodata,"a",@progbits
	.p2align	6, 0x0
	.amdhsa_kernel _ZN7rocprim17ROCPRIM_400000_NS6detail17trampoline_kernelINS0_14default_configENS1_35radix_sort_onesweep_config_selectorIiNS0_10empty_typeEEEZZNS1_29radix_sort_onesweep_iterationIS3_Lb1EPiS8_PS5_S9_mNS0_19identity_decomposerENS1_16block_id_wrapperIjLb0EEEEE10hipError_tT1_PNSt15iterator_traitsISE_E10value_typeET2_T3_PNSF_ISK_E10value_typeET4_T5_PSP_SQ_PNS1_23onesweep_lookback_stateEbbT6_jjT7_P12ihipStream_tbENKUlT_T0_SE_SJ_E_clIS8_S8_S9_S9_EEDaSX_SY_SE_SJ_EUlSX_E_NS1_11comp_targetILNS1_3genE9ELNS1_11target_archE1100ELNS1_3gpuE3ELNS1_3repE0EEENS1_47radix_sort_onesweep_sort_config_static_selectorELNS0_4arch9wavefront6targetE1EEEvSE_
		.amdhsa_group_segment_fixed_size 0
		.amdhsa_private_segment_fixed_size 0
		.amdhsa_kernarg_size 88
		.amdhsa_user_sgpr_count 6
		.amdhsa_user_sgpr_private_segment_buffer 1
		.amdhsa_user_sgpr_dispatch_ptr 0
		.amdhsa_user_sgpr_queue_ptr 0
		.amdhsa_user_sgpr_kernarg_segment_ptr 1
		.amdhsa_user_sgpr_dispatch_id 0
		.amdhsa_user_sgpr_flat_scratch_init 0
		.amdhsa_user_sgpr_kernarg_preload_length 0
		.amdhsa_user_sgpr_kernarg_preload_offset 0
		.amdhsa_user_sgpr_private_segment_size 0
		.amdhsa_uses_dynamic_stack 0
		.amdhsa_system_sgpr_private_segment_wavefront_offset 0
		.amdhsa_system_sgpr_workgroup_id_x 1
		.amdhsa_system_sgpr_workgroup_id_y 0
		.amdhsa_system_sgpr_workgroup_id_z 0
		.amdhsa_system_sgpr_workgroup_info 0
		.amdhsa_system_vgpr_workitem_id 0
		.amdhsa_next_free_vgpr 1
		.amdhsa_next_free_sgpr 0
		.amdhsa_accum_offset 4
		.amdhsa_reserve_vcc 0
		.amdhsa_reserve_flat_scratch 0
		.amdhsa_float_round_mode_32 0
		.amdhsa_float_round_mode_16_64 0
		.amdhsa_float_denorm_mode_32 3
		.amdhsa_float_denorm_mode_16_64 3
		.amdhsa_dx10_clamp 1
		.amdhsa_ieee_mode 1
		.amdhsa_fp16_overflow 0
		.amdhsa_tg_split 0
		.amdhsa_exception_fp_ieee_invalid_op 0
		.amdhsa_exception_fp_denorm_src 0
		.amdhsa_exception_fp_ieee_div_zero 0
		.amdhsa_exception_fp_ieee_overflow 0
		.amdhsa_exception_fp_ieee_underflow 0
		.amdhsa_exception_fp_ieee_inexact 0
		.amdhsa_exception_int_div_zero 0
	.end_amdhsa_kernel
	.section	.text._ZN7rocprim17ROCPRIM_400000_NS6detail17trampoline_kernelINS0_14default_configENS1_35radix_sort_onesweep_config_selectorIiNS0_10empty_typeEEEZZNS1_29radix_sort_onesweep_iterationIS3_Lb1EPiS8_PS5_S9_mNS0_19identity_decomposerENS1_16block_id_wrapperIjLb0EEEEE10hipError_tT1_PNSt15iterator_traitsISE_E10value_typeET2_T3_PNSF_ISK_E10value_typeET4_T5_PSP_SQ_PNS1_23onesweep_lookback_stateEbbT6_jjT7_P12ihipStream_tbENKUlT_T0_SE_SJ_E_clIS8_S8_S9_S9_EEDaSX_SY_SE_SJ_EUlSX_E_NS1_11comp_targetILNS1_3genE9ELNS1_11target_archE1100ELNS1_3gpuE3ELNS1_3repE0EEENS1_47radix_sort_onesweep_sort_config_static_selectorELNS0_4arch9wavefront6targetE1EEEvSE_,"axG",@progbits,_ZN7rocprim17ROCPRIM_400000_NS6detail17trampoline_kernelINS0_14default_configENS1_35radix_sort_onesweep_config_selectorIiNS0_10empty_typeEEEZZNS1_29radix_sort_onesweep_iterationIS3_Lb1EPiS8_PS5_S9_mNS0_19identity_decomposerENS1_16block_id_wrapperIjLb0EEEEE10hipError_tT1_PNSt15iterator_traitsISE_E10value_typeET2_T3_PNSF_ISK_E10value_typeET4_T5_PSP_SQ_PNS1_23onesweep_lookback_stateEbbT6_jjT7_P12ihipStream_tbENKUlT_T0_SE_SJ_E_clIS8_S8_S9_S9_EEDaSX_SY_SE_SJ_EUlSX_E_NS1_11comp_targetILNS1_3genE9ELNS1_11target_archE1100ELNS1_3gpuE3ELNS1_3repE0EEENS1_47radix_sort_onesweep_sort_config_static_selectorELNS0_4arch9wavefront6targetE1EEEvSE_,comdat
.Lfunc_end2028:
	.size	_ZN7rocprim17ROCPRIM_400000_NS6detail17trampoline_kernelINS0_14default_configENS1_35radix_sort_onesweep_config_selectorIiNS0_10empty_typeEEEZZNS1_29radix_sort_onesweep_iterationIS3_Lb1EPiS8_PS5_S9_mNS0_19identity_decomposerENS1_16block_id_wrapperIjLb0EEEEE10hipError_tT1_PNSt15iterator_traitsISE_E10value_typeET2_T3_PNSF_ISK_E10value_typeET4_T5_PSP_SQ_PNS1_23onesweep_lookback_stateEbbT6_jjT7_P12ihipStream_tbENKUlT_T0_SE_SJ_E_clIS8_S8_S9_S9_EEDaSX_SY_SE_SJ_EUlSX_E_NS1_11comp_targetILNS1_3genE9ELNS1_11target_archE1100ELNS1_3gpuE3ELNS1_3repE0EEENS1_47radix_sort_onesweep_sort_config_static_selectorELNS0_4arch9wavefront6targetE1EEEvSE_, .Lfunc_end2028-_ZN7rocprim17ROCPRIM_400000_NS6detail17trampoline_kernelINS0_14default_configENS1_35radix_sort_onesweep_config_selectorIiNS0_10empty_typeEEEZZNS1_29radix_sort_onesweep_iterationIS3_Lb1EPiS8_PS5_S9_mNS0_19identity_decomposerENS1_16block_id_wrapperIjLb0EEEEE10hipError_tT1_PNSt15iterator_traitsISE_E10value_typeET2_T3_PNSF_ISK_E10value_typeET4_T5_PSP_SQ_PNS1_23onesweep_lookback_stateEbbT6_jjT7_P12ihipStream_tbENKUlT_T0_SE_SJ_E_clIS8_S8_S9_S9_EEDaSX_SY_SE_SJ_EUlSX_E_NS1_11comp_targetILNS1_3genE9ELNS1_11target_archE1100ELNS1_3gpuE3ELNS1_3repE0EEENS1_47radix_sort_onesweep_sort_config_static_selectorELNS0_4arch9wavefront6targetE1EEEvSE_
                                        ; -- End function
	.section	.AMDGPU.csdata,"",@progbits
; Kernel info:
; codeLenInByte = 0
; NumSgprs: 4
; NumVgprs: 0
; NumAgprs: 0
; TotalNumVgprs: 0
; ScratchSize: 0
; MemoryBound: 0
; FloatMode: 240
; IeeeMode: 1
; LDSByteSize: 0 bytes/workgroup (compile time only)
; SGPRBlocks: 0
; VGPRBlocks: 0
; NumSGPRsForWavesPerEU: 4
; NumVGPRsForWavesPerEU: 1
; AccumOffset: 4
; Occupancy: 8
; WaveLimiterHint : 0
; COMPUTE_PGM_RSRC2:SCRATCH_EN: 0
; COMPUTE_PGM_RSRC2:USER_SGPR: 6
; COMPUTE_PGM_RSRC2:TRAP_HANDLER: 0
; COMPUTE_PGM_RSRC2:TGID_X_EN: 1
; COMPUTE_PGM_RSRC2:TGID_Y_EN: 0
; COMPUTE_PGM_RSRC2:TGID_Z_EN: 0
; COMPUTE_PGM_RSRC2:TIDIG_COMP_CNT: 0
; COMPUTE_PGM_RSRC3_GFX90A:ACCUM_OFFSET: 0
; COMPUTE_PGM_RSRC3_GFX90A:TG_SPLIT: 0
	.section	.text._ZN7rocprim17ROCPRIM_400000_NS6detail17trampoline_kernelINS0_14default_configENS1_35radix_sort_onesweep_config_selectorIiNS0_10empty_typeEEEZZNS1_29radix_sort_onesweep_iterationIS3_Lb1EPiS8_PS5_S9_mNS0_19identity_decomposerENS1_16block_id_wrapperIjLb0EEEEE10hipError_tT1_PNSt15iterator_traitsISE_E10value_typeET2_T3_PNSF_ISK_E10value_typeET4_T5_PSP_SQ_PNS1_23onesweep_lookback_stateEbbT6_jjT7_P12ihipStream_tbENKUlT_T0_SE_SJ_E_clIS8_S8_S9_S9_EEDaSX_SY_SE_SJ_EUlSX_E_NS1_11comp_targetILNS1_3genE8ELNS1_11target_archE1030ELNS1_3gpuE2ELNS1_3repE0EEENS1_47radix_sort_onesweep_sort_config_static_selectorELNS0_4arch9wavefront6targetE1EEEvSE_,"axG",@progbits,_ZN7rocprim17ROCPRIM_400000_NS6detail17trampoline_kernelINS0_14default_configENS1_35radix_sort_onesweep_config_selectorIiNS0_10empty_typeEEEZZNS1_29radix_sort_onesweep_iterationIS3_Lb1EPiS8_PS5_S9_mNS0_19identity_decomposerENS1_16block_id_wrapperIjLb0EEEEE10hipError_tT1_PNSt15iterator_traitsISE_E10value_typeET2_T3_PNSF_ISK_E10value_typeET4_T5_PSP_SQ_PNS1_23onesweep_lookback_stateEbbT6_jjT7_P12ihipStream_tbENKUlT_T0_SE_SJ_E_clIS8_S8_S9_S9_EEDaSX_SY_SE_SJ_EUlSX_E_NS1_11comp_targetILNS1_3genE8ELNS1_11target_archE1030ELNS1_3gpuE2ELNS1_3repE0EEENS1_47radix_sort_onesweep_sort_config_static_selectorELNS0_4arch9wavefront6targetE1EEEvSE_,comdat
	.protected	_ZN7rocprim17ROCPRIM_400000_NS6detail17trampoline_kernelINS0_14default_configENS1_35radix_sort_onesweep_config_selectorIiNS0_10empty_typeEEEZZNS1_29radix_sort_onesweep_iterationIS3_Lb1EPiS8_PS5_S9_mNS0_19identity_decomposerENS1_16block_id_wrapperIjLb0EEEEE10hipError_tT1_PNSt15iterator_traitsISE_E10value_typeET2_T3_PNSF_ISK_E10value_typeET4_T5_PSP_SQ_PNS1_23onesweep_lookback_stateEbbT6_jjT7_P12ihipStream_tbENKUlT_T0_SE_SJ_E_clIS8_S8_S9_S9_EEDaSX_SY_SE_SJ_EUlSX_E_NS1_11comp_targetILNS1_3genE8ELNS1_11target_archE1030ELNS1_3gpuE2ELNS1_3repE0EEENS1_47radix_sort_onesweep_sort_config_static_selectorELNS0_4arch9wavefront6targetE1EEEvSE_ ; -- Begin function _ZN7rocprim17ROCPRIM_400000_NS6detail17trampoline_kernelINS0_14default_configENS1_35radix_sort_onesweep_config_selectorIiNS0_10empty_typeEEEZZNS1_29radix_sort_onesweep_iterationIS3_Lb1EPiS8_PS5_S9_mNS0_19identity_decomposerENS1_16block_id_wrapperIjLb0EEEEE10hipError_tT1_PNSt15iterator_traitsISE_E10value_typeET2_T3_PNSF_ISK_E10value_typeET4_T5_PSP_SQ_PNS1_23onesweep_lookback_stateEbbT6_jjT7_P12ihipStream_tbENKUlT_T0_SE_SJ_E_clIS8_S8_S9_S9_EEDaSX_SY_SE_SJ_EUlSX_E_NS1_11comp_targetILNS1_3genE8ELNS1_11target_archE1030ELNS1_3gpuE2ELNS1_3repE0EEENS1_47radix_sort_onesweep_sort_config_static_selectorELNS0_4arch9wavefront6targetE1EEEvSE_
	.globl	_ZN7rocprim17ROCPRIM_400000_NS6detail17trampoline_kernelINS0_14default_configENS1_35radix_sort_onesweep_config_selectorIiNS0_10empty_typeEEEZZNS1_29radix_sort_onesweep_iterationIS3_Lb1EPiS8_PS5_S9_mNS0_19identity_decomposerENS1_16block_id_wrapperIjLb0EEEEE10hipError_tT1_PNSt15iterator_traitsISE_E10value_typeET2_T3_PNSF_ISK_E10value_typeET4_T5_PSP_SQ_PNS1_23onesweep_lookback_stateEbbT6_jjT7_P12ihipStream_tbENKUlT_T0_SE_SJ_E_clIS8_S8_S9_S9_EEDaSX_SY_SE_SJ_EUlSX_E_NS1_11comp_targetILNS1_3genE8ELNS1_11target_archE1030ELNS1_3gpuE2ELNS1_3repE0EEENS1_47radix_sort_onesweep_sort_config_static_selectorELNS0_4arch9wavefront6targetE1EEEvSE_
	.p2align	8
	.type	_ZN7rocprim17ROCPRIM_400000_NS6detail17trampoline_kernelINS0_14default_configENS1_35radix_sort_onesweep_config_selectorIiNS0_10empty_typeEEEZZNS1_29radix_sort_onesweep_iterationIS3_Lb1EPiS8_PS5_S9_mNS0_19identity_decomposerENS1_16block_id_wrapperIjLb0EEEEE10hipError_tT1_PNSt15iterator_traitsISE_E10value_typeET2_T3_PNSF_ISK_E10value_typeET4_T5_PSP_SQ_PNS1_23onesweep_lookback_stateEbbT6_jjT7_P12ihipStream_tbENKUlT_T0_SE_SJ_E_clIS8_S8_S9_S9_EEDaSX_SY_SE_SJ_EUlSX_E_NS1_11comp_targetILNS1_3genE8ELNS1_11target_archE1030ELNS1_3gpuE2ELNS1_3repE0EEENS1_47radix_sort_onesweep_sort_config_static_selectorELNS0_4arch9wavefront6targetE1EEEvSE_,@function
_ZN7rocprim17ROCPRIM_400000_NS6detail17trampoline_kernelINS0_14default_configENS1_35radix_sort_onesweep_config_selectorIiNS0_10empty_typeEEEZZNS1_29radix_sort_onesweep_iterationIS3_Lb1EPiS8_PS5_S9_mNS0_19identity_decomposerENS1_16block_id_wrapperIjLb0EEEEE10hipError_tT1_PNSt15iterator_traitsISE_E10value_typeET2_T3_PNSF_ISK_E10value_typeET4_T5_PSP_SQ_PNS1_23onesweep_lookback_stateEbbT6_jjT7_P12ihipStream_tbENKUlT_T0_SE_SJ_E_clIS8_S8_S9_S9_EEDaSX_SY_SE_SJ_EUlSX_E_NS1_11comp_targetILNS1_3genE8ELNS1_11target_archE1030ELNS1_3gpuE2ELNS1_3repE0EEENS1_47radix_sort_onesweep_sort_config_static_selectorELNS0_4arch9wavefront6targetE1EEEvSE_: ; @_ZN7rocprim17ROCPRIM_400000_NS6detail17trampoline_kernelINS0_14default_configENS1_35radix_sort_onesweep_config_selectorIiNS0_10empty_typeEEEZZNS1_29radix_sort_onesweep_iterationIS3_Lb1EPiS8_PS5_S9_mNS0_19identity_decomposerENS1_16block_id_wrapperIjLb0EEEEE10hipError_tT1_PNSt15iterator_traitsISE_E10value_typeET2_T3_PNSF_ISK_E10value_typeET4_T5_PSP_SQ_PNS1_23onesweep_lookback_stateEbbT6_jjT7_P12ihipStream_tbENKUlT_T0_SE_SJ_E_clIS8_S8_S9_S9_EEDaSX_SY_SE_SJ_EUlSX_E_NS1_11comp_targetILNS1_3genE8ELNS1_11target_archE1030ELNS1_3gpuE2ELNS1_3repE0EEENS1_47radix_sort_onesweep_sort_config_static_selectorELNS0_4arch9wavefront6targetE1EEEvSE_
; %bb.0:
	.section	.rodata,"a",@progbits
	.p2align	6, 0x0
	.amdhsa_kernel _ZN7rocprim17ROCPRIM_400000_NS6detail17trampoline_kernelINS0_14default_configENS1_35radix_sort_onesweep_config_selectorIiNS0_10empty_typeEEEZZNS1_29radix_sort_onesweep_iterationIS3_Lb1EPiS8_PS5_S9_mNS0_19identity_decomposerENS1_16block_id_wrapperIjLb0EEEEE10hipError_tT1_PNSt15iterator_traitsISE_E10value_typeET2_T3_PNSF_ISK_E10value_typeET4_T5_PSP_SQ_PNS1_23onesweep_lookback_stateEbbT6_jjT7_P12ihipStream_tbENKUlT_T0_SE_SJ_E_clIS8_S8_S9_S9_EEDaSX_SY_SE_SJ_EUlSX_E_NS1_11comp_targetILNS1_3genE8ELNS1_11target_archE1030ELNS1_3gpuE2ELNS1_3repE0EEENS1_47radix_sort_onesweep_sort_config_static_selectorELNS0_4arch9wavefront6targetE1EEEvSE_
		.amdhsa_group_segment_fixed_size 0
		.amdhsa_private_segment_fixed_size 0
		.amdhsa_kernarg_size 88
		.amdhsa_user_sgpr_count 6
		.amdhsa_user_sgpr_private_segment_buffer 1
		.amdhsa_user_sgpr_dispatch_ptr 0
		.amdhsa_user_sgpr_queue_ptr 0
		.amdhsa_user_sgpr_kernarg_segment_ptr 1
		.amdhsa_user_sgpr_dispatch_id 0
		.amdhsa_user_sgpr_flat_scratch_init 0
		.amdhsa_user_sgpr_kernarg_preload_length 0
		.amdhsa_user_sgpr_kernarg_preload_offset 0
		.amdhsa_user_sgpr_private_segment_size 0
		.amdhsa_uses_dynamic_stack 0
		.amdhsa_system_sgpr_private_segment_wavefront_offset 0
		.amdhsa_system_sgpr_workgroup_id_x 1
		.amdhsa_system_sgpr_workgroup_id_y 0
		.amdhsa_system_sgpr_workgroup_id_z 0
		.amdhsa_system_sgpr_workgroup_info 0
		.amdhsa_system_vgpr_workitem_id 0
		.amdhsa_next_free_vgpr 1
		.amdhsa_next_free_sgpr 0
		.amdhsa_accum_offset 4
		.amdhsa_reserve_vcc 0
		.amdhsa_reserve_flat_scratch 0
		.amdhsa_float_round_mode_32 0
		.amdhsa_float_round_mode_16_64 0
		.amdhsa_float_denorm_mode_32 3
		.amdhsa_float_denorm_mode_16_64 3
		.amdhsa_dx10_clamp 1
		.amdhsa_ieee_mode 1
		.amdhsa_fp16_overflow 0
		.amdhsa_tg_split 0
		.amdhsa_exception_fp_ieee_invalid_op 0
		.amdhsa_exception_fp_denorm_src 0
		.amdhsa_exception_fp_ieee_div_zero 0
		.amdhsa_exception_fp_ieee_overflow 0
		.amdhsa_exception_fp_ieee_underflow 0
		.amdhsa_exception_fp_ieee_inexact 0
		.amdhsa_exception_int_div_zero 0
	.end_amdhsa_kernel
	.section	.text._ZN7rocprim17ROCPRIM_400000_NS6detail17trampoline_kernelINS0_14default_configENS1_35radix_sort_onesweep_config_selectorIiNS0_10empty_typeEEEZZNS1_29radix_sort_onesweep_iterationIS3_Lb1EPiS8_PS5_S9_mNS0_19identity_decomposerENS1_16block_id_wrapperIjLb0EEEEE10hipError_tT1_PNSt15iterator_traitsISE_E10value_typeET2_T3_PNSF_ISK_E10value_typeET4_T5_PSP_SQ_PNS1_23onesweep_lookback_stateEbbT6_jjT7_P12ihipStream_tbENKUlT_T0_SE_SJ_E_clIS8_S8_S9_S9_EEDaSX_SY_SE_SJ_EUlSX_E_NS1_11comp_targetILNS1_3genE8ELNS1_11target_archE1030ELNS1_3gpuE2ELNS1_3repE0EEENS1_47radix_sort_onesweep_sort_config_static_selectorELNS0_4arch9wavefront6targetE1EEEvSE_,"axG",@progbits,_ZN7rocprim17ROCPRIM_400000_NS6detail17trampoline_kernelINS0_14default_configENS1_35radix_sort_onesweep_config_selectorIiNS0_10empty_typeEEEZZNS1_29radix_sort_onesweep_iterationIS3_Lb1EPiS8_PS5_S9_mNS0_19identity_decomposerENS1_16block_id_wrapperIjLb0EEEEE10hipError_tT1_PNSt15iterator_traitsISE_E10value_typeET2_T3_PNSF_ISK_E10value_typeET4_T5_PSP_SQ_PNS1_23onesweep_lookback_stateEbbT6_jjT7_P12ihipStream_tbENKUlT_T0_SE_SJ_E_clIS8_S8_S9_S9_EEDaSX_SY_SE_SJ_EUlSX_E_NS1_11comp_targetILNS1_3genE8ELNS1_11target_archE1030ELNS1_3gpuE2ELNS1_3repE0EEENS1_47radix_sort_onesweep_sort_config_static_selectorELNS0_4arch9wavefront6targetE1EEEvSE_,comdat
.Lfunc_end2029:
	.size	_ZN7rocprim17ROCPRIM_400000_NS6detail17trampoline_kernelINS0_14default_configENS1_35radix_sort_onesweep_config_selectorIiNS0_10empty_typeEEEZZNS1_29radix_sort_onesweep_iterationIS3_Lb1EPiS8_PS5_S9_mNS0_19identity_decomposerENS1_16block_id_wrapperIjLb0EEEEE10hipError_tT1_PNSt15iterator_traitsISE_E10value_typeET2_T3_PNSF_ISK_E10value_typeET4_T5_PSP_SQ_PNS1_23onesweep_lookback_stateEbbT6_jjT7_P12ihipStream_tbENKUlT_T0_SE_SJ_E_clIS8_S8_S9_S9_EEDaSX_SY_SE_SJ_EUlSX_E_NS1_11comp_targetILNS1_3genE8ELNS1_11target_archE1030ELNS1_3gpuE2ELNS1_3repE0EEENS1_47radix_sort_onesweep_sort_config_static_selectorELNS0_4arch9wavefront6targetE1EEEvSE_, .Lfunc_end2029-_ZN7rocprim17ROCPRIM_400000_NS6detail17trampoline_kernelINS0_14default_configENS1_35radix_sort_onesweep_config_selectorIiNS0_10empty_typeEEEZZNS1_29radix_sort_onesweep_iterationIS3_Lb1EPiS8_PS5_S9_mNS0_19identity_decomposerENS1_16block_id_wrapperIjLb0EEEEE10hipError_tT1_PNSt15iterator_traitsISE_E10value_typeET2_T3_PNSF_ISK_E10value_typeET4_T5_PSP_SQ_PNS1_23onesweep_lookback_stateEbbT6_jjT7_P12ihipStream_tbENKUlT_T0_SE_SJ_E_clIS8_S8_S9_S9_EEDaSX_SY_SE_SJ_EUlSX_E_NS1_11comp_targetILNS1_3genE8ELNS1_11target_archE1030ELNS1_3gpuE2ELNS1_3repE0EEENS1_47radix_sort_onesweep_sort_config_static_selectorELNS0_4arch9wavefront6targetE1EEEvSE_
                                        ; -- End function
	.section	.AMDGPU.csdata,"",@progbits
; Kernel info:
; codeLenInByte = 0
; NumSgprs: 4
; NumVgprs: 0
; NumAgprs: 0
; TotalNumVgprs: 0
; ScratchSize: 0
; MemoryBound: 0
; FloatMode: 240
; IeeeMode: 1
; LDSByteSize: 0 bytes/workgroup (compile time only)
; SGPRBlocks: 0
; VGPRBlocks: 0
; NumSGPRsForWavesPerEU: 4
; NumVGPRsForWavesPerEU: 1
; AccumOffset: 4
; Occupancy: 8
; WaveLimiterHint : 0
; COMPUTE_PGM_RSRC2:SCRATCH_EN: 0
; COMPUTE_PGM_RSRC2:USER_SGPR: 6
; COMPUTE_PGM_RSRC2:TRAP_HANDLER: 0
; COMPUTE_PGM_RSRC2:TGID_X_EN: 1
; COMPUTE_PGM_RSRC2:TGID_Y_EN: 0
; COMPUTE_PGM_RSRC2:TGID_Z_EN: 0
; COMPUTE_PGM_RSRC2:TIDIG_COMP_CNT: 0
; COMPUTE_PGM_RSRC3_GFX90A:ACCUM_OFFSET: 0
; COMPUTE_PGM_RSRC3_GFX90A:TG_SPLIT: 0
	.section	.text._ZN7rocprim17ROCPRIM_400000_NS6detail17trampoline_kernelINS0_13kernel_configILj256ELj4ELj4294967295EEENS1_37radix_sort_block_sort_config_selectorIjNS0_10empty_typeEEEZNS1_21radix_sort_block_sortIS4_Lb1EPjS9_PS6_SA_NS0_19identity_decomposerEEE10hipError_tT1_T2_T3_T4_jRjT5_jjP12ihipStream_tbEUlT_E_NS1_11comp_targetILNS1_3genE0ELNS1_11target_archE4294967295ELNS1_3gpuE0ELNS1_3repE0EEENS1_44radix_sort_block_sort_config_static_selectorELNS0_4arch9wavefront6targetE1EEEvSD_,"axG",@progbits,_ZN7rocprim17ROCPRIM_400000_NS6detail17trampoline_kernelINS0_13kernel_configILj256ELj4ELj4294967295EEENS1_37radix_sort_block_sort_config_selectorIjNS0_10empty_typeEEEZNS1_21radix_sort_block_sortIS4_Lb1EPjS9_PS6_SA_NS0_19identity_decomposerEEE10hipError_tT1_T2_T3_T4_jRjT5_jjP12ihipStream_tbEUlT_E_NS1_11comp_targetILNS1_3genE0ELNS1_11target_archE4294967295ELNS1_3gpuE0ELNS1_3repE0EEENS1_44radix_sort_block_sort_config_static_selectorELNS0_4arch9wavefront6targetE1EEEvSD_,comdat
	.protected	_ZN7rocprim17ROCPRIM_400000_NS6detail17trampoline_kernelINS0_13kernel_configILj256ELj4ELj4294967295EEENS1_37radix_sort_block_sort_config_selectorIjNS0_10empty_typeEEEZNS1_21radix_sort_block_sortIS4_Lb1EPjS9_PS6_SA_NS0_19identity_decomposerEEE10hipError_tT1_T2_T3_T4_jRjT5_jjP12ihipStream_tbEUlT_E_NS1_11comp_targetILNS1_3genE0ELNS1_11target_archE4294967295ELNS1_3gpuE0ELNS1_3repE0EEENS1_44radix_sort_block_sort_config_static_selectorELNS0_4arch9wavefront6targetE1EEEvSD_ ; -- Begin function _ZN7rocprim17ROCPRIM_400000_NS6detail17trampoline_kernelINS0_13kernel_configILj256ELj4ELj4294967295EEENS1_37radix_sort_block_sort_config_selectorIjNS0_10empty_typeEEEZNS1_21radix_sort_block_sortIS4_Lb1EPjS9_PS6_SA_NS0_19identity_decomposerEEE10hipError_tT1_T2_T3_T4_jRjT5_jjP12ihipStream_tbEUlT_E_NS1_11comp_targetILNS1_3genE0ELNS1_11target_archE4294967295ELNS1_3gpuE0ELNS1_3repE0EEENS1_44radix_sort_block_sort_config_static_selectorELNS0_4arch9wavefront6targetE1EEEvSD_
	.globl	_ZN7rocprim17ROCPRIM_400000_NS6detail17trampoline_kernelINS0_13kernel_configILj256ELj4ELj4294967295EEENS1_37radix_sort_block_sort_config_selectorIjNS0_10empty_typeEEEZNS1_21radix_sort_block_sortIS4_Lb1EPjS9_PS6_SA_NS0_19identity_decomposerEEE10hipError_tT1_T2_T3_T4_jRjT5_jjP12ihipStream_tbEUlT_E_NS1_11comp_targetILNS1_3genE0ELNS1_11target_archE4294967295ELNS1_3gpuE0ELNS1_3repE0EEENS1_44radix_sort_block_sort_config_static_selectorELNS0_4arch9wavefront6targetE1EEEvSD_
	.p2align	8
	.type	_ZN7rocprim17ROCPRIM_400000_NS6detail17trampoline_kernelINS0_13kernel_configILj256ELj4ELj4294967295EEENS1_37radix_sort_block_sort_config_selectorIjNS0_10empty_typeEEEZNS1_21radix_sort_block_sortIS4_Lb1EPjS9_PS6_SA_NS0_19identity_decomposerEEE10hipError_tT1_T2_T3_T4_jRjT5_jjP12ihipStream_tbEUlT_E_NS1_11comp_targetILNS1_3genE0ELNS1_11target_archE4294967295ELNS1_3gpuE0ELNS1_3repE0EEENS1_44radix_sort_block_sort_config_static_selectorELNS0_4arch9wavefront6targetE1EEEvSD_,@function
_ZN7rocprim17ROCPRIM_400000_NS6detail17trampoline_kernelINS0_13kernel_configILj256ELj4ELj4294967295EEENS1_37radix_sort_block_sort_config_selectorIjNS0_10empty_typeEEEZNS1_21radix_sort_block_sortIS4_Lb1EPjS9_PS6_SA_NS0_19identity_decomposerEEE10hipError_tT1_T2_T3_T4_jRjT5_jjP12ihipStream_tbEUlT_E_NS1_11comp_targetILNS1_3genE0ELNS1_11target_archE4294967295ELNS1_3gpuE0ELNS1_3repE0EEENS1_44radix_sort_block_sort_config_static_selectorELNS0_4arch9wavefront6targetE1EEEvSD_: ; @_ZN7rocprim17ROCPRIM_400000_NS6detail17trampoline_kernelINS0_13kernel_configILj256ELj4ELj4294967295EEENS1_37radix_sort_block_sort_config_selectorIjNS0_10empty_typeEEEZNS1_21radix_sort_block_sortIS4_Lb1EPjS9_PS6_SA_NS0_19identity_decomposerEEE10hipError_tT1_T2_T3_T4_jRjT5_jjP12ihipStream_tbEUlT_E_NS1_11comp_targetILNS1_3genE0ELNS1_11target_archE4294967295ELNS1_3gpuE0ELNS1_3repE0EEENS1_44radix_sort_block_sort_config_static_selectorELNS0_4arch9wavefront6targetE1EEEvSD_
; %bb.0:
	.section	.rodata,"a",@progbits
	.p2align	6, 0x0
	.amdhsa_kernel _ZN7rocprim17ROCPRIM_400000_NS6detail17trampoline_kernelINS0_13kernel_configILj256ELj4ELj4294967295EEENS1_37radix_sort_block_sort_config_selectorIjNS0_10empty_typeEEEZNS1_21radix_sort_block_sortIS4_Lb1EPjS9_PS6_SA_NS0_19identity_decomposerEEE10hipError_tT1_T2_T3_T4_jRjT5_jjP12ihipStream_tbEUlT_E_NS1_11comp_targetILNS1_3genE0ELNS1_11target_archE4294967295ELNS1_3gpuE0ELNS1_3repE0EEENS1_44radix_sort_block_sort_config_static_selectorELNS0_4arch9wavefront6targetE1EEEvSD_
		.amdhsa_group_segment_fixed_size 0
		.amdhsa_private_segment_fixed_size 0
		.amdhsa_kernarg_size 48
		.amdhsa_user_sgpr_count 6
		.amdhsa_user_sgpr_private_segment_buffer 1
		.amdhsa_user_sgpr_dispatch_ptr 0
		.amdhsa_user_sgpr_queue_ptr 0
		.amdhsa_user_sgpr_kernarg_segment_ptr 1
		.amdhsa_user_sgpr_dispatch_id 0
		.amdhsa_user_sgpr_flat_scratch_init 0
		.amdhsa_user_sgpr_kernarg_preload_length 0
		.amdhsa_user_sgpr_kernarg_preload_offset 0
		.amdhsa_user_sgpr_private_segment_size 0
		.amdhsa_uses_dynamic_stack 0
		.amdhsa_system_sgpr_private_segment_wavefront_offset 0
		.amdhsa_system_sgpr_workgroup_id_x 1
		.amdhsa_system_sgpr_workgroup_id_y 0
		.amdhsa_system_sgpr_workgroup_id_z 0
		.amdhsa_system_sgpr_workgroup_info 0
		.amdhsa_system_vgpr_workitem_id 0
		.amdhsa_next_free_vgpr 1
		.amdhsa_next_free_sgpr 0
		.amdhsa_accum_offset 4
		.amdhsa_reserve_vcc 0
		.amdhsa_reserve_flat_scratch 0
		.amdhsa_float_round_mode_32 0
		.amdhsa_float_round_mode_16_64 0
		.amdhsa_float_denorm_mode_32 3
		.amdhsa_float_denorm_mode_16_64 3
		.amdhsa_dx10_clamp 1
		.amdhsa_ieee_mode 1
		.amdhsa_fp16_overflow 0
		.amdhsa_tg_split 0
		.amdhsa_exception_fp_ieee_invalid_op 0
		.amdhsa_exception_fp_denorm_src 0
		.amdhsa_exception_fp_ieee_div_zero 0
		.amdhsa_exception_fp_ieee_overflow 0
		.amdhsa_exception_fp_ieee_underflow 0
		.amdhsa_exception_fp_ieee_inexact 0
		.amdhsa_exception_int_div_zero 0
	.end_amdhsa_kernel
	.section	.text._ZN7rocprim17ROCPRIM_400000_NS6detail17trampoline_kernelINS0_13kernel_configILj256ELj4ELj4294967295EEENS1_37radix_sort_block_sort_config_selectorIjNS0_10empty_typeEEEZNS1_21radix_sort_block_sortIS4_Lb1EPjS9_PS6_SA_NS0_19identity_decomposerEEE10hipError_tT1_T2_T3_T4_jRjT5_jjP12ihipStream_tbEUlT_E_NS1_11comp_targetILNS1_3genE0ELNS1_11target_archE4294967295ELNS1_3gpuE0ELNS1_3repE0EEENS1_44radix_sort_block_sort_config_static_selectorELNS0_4arch9wavefront6targetE1EEEvSD_,"axG",@progbits,_ZN7rocprim17ROCPRIM_400000_NS6detail17trampoline_kernelINS0_13kernel_configILj256ELj4ELj4294967295EEENS1_37radix_sort_block_sort_config_selectorIjNS0_10empty_typeEEEZNS1_21radix_sort_block_sortIS4_Lb1EPjS9_PS6_SA_NS0_19identity_decomposerEEE10hipError_tT1_T2_T3_T4_jRjT5_jjP12ihipStream_tbEUlT_E_NS1_11comp_targetILNS1_3genE0ELNS1_11target_archE4294967295ELNS1_3gpuE0ELNS1_3repE0EEENS1_44radix_sort_block_sort_config_static_selectorELNS0_4arch9wavefront6targetE1EEEvSD_,comdat
.Lfunc_end2030:
	.size	_ZN7rocprim17ROCPRIM_400000_NS6detail17trampoline_kernelINS0_13kernel_configILj256ELj4ELj4294967295EEENS1_37radix_sort_block_sort_config_selectorIjNS0_10empty_typeEEEZNS1_21radix_sort_block_sortIS4_Lb1EPjS9_PS6_SA_NS0_19identity_decomposerEEE10hipError_tT1_T2_T3_T4_jRjT5_jjP12ihipStream_tbEUlT_E_NS1_11comp_targetILNS1_3genE0ELNS1_11target_archE4294967295ELNS1_3gpuE0ELNS1_3repE0EEENS1_44radix_sort_block_sort_config_static_selectorELNS0_4arch9wavefront6targetE1EEEvSD_, .Lfunc_end2030-_ZN7rocprim17ROCPRIM_400000_NS6detail17trampoline_kernelINS0_13kernel_configILj256ELj4ELj4294967295EEENS1_37radix_sort_block_sort_config_selectorIjNS0_10empty_typeEEEZNS1_21radix_sort_block_sortIS4_Lb1EPjS9_PS6_SA_NS0_19identity_decomposerEEE10hipError_tT1_T2_T3_T4_jRjT5_jjP12ihipStream_tbEUlT_E_NS1_11comp_targetILNS1_3genE0ELNS1_11target_archE4294967295ELNS1_3gpuE0ELNS1_3repE0EEENS1_44radix_sort_block_sort_config_static_selectorELNS0_4arch9wavefront6targetE1EEEvSD_
                                        ; -- End function
	.section	.AMDGPU.csdata,"",@progbits
; Kernel info:
; codeLenInByte = 0
; NumSgprs: 4
; NumVgprs: 0
; NumAgprs: 0
; TotalNumVgprs: 0
; ScratchSize: 0
; MemoryBound: 0
; FloatMode: 240
; IeeeMode: 1
; LDSByteSize: 0 bytes/workgroup (compile time only)
; SGPRBlocks: 0
; VGPRBlocks: 0
; NumSGPRsForWavesPerEU: 4
; NumVGPRsForWavesPerEU: 1
; AccumOffset: 4
; Occupancy: 8
; WaveLimiterHint : 0
; COMPUTE_PGM_RSRC2:SCRATCH_EN: 0
; COMPUTE_PGM_RSRC2:USER_SGPR: 6
; COMPUTE_PGM_RSRC2:TRAP_HANDLER: 0
; COMPUTE_PGM_RSRC2:TGID_X_EN: 1
; COMPUTE_PGM_RSRC2:TGID_Y_EN: 0
; COMPUTE_PGM_RSRC2:TGID_Z_EN: 0
; COMPUTE_PGM_RSRC2:TIDIG_COMP_CNT: 0
; COMPUTE_PGM_RSRC3_GFX90A:ACCUM_OFFSET: 0
; COMPUTE_PGM_RSRC3_GFX90A:TG_SPLIT: 0
	.section	.text._ZN7rocprim17ROCPRIM_400000_NS6detail17trampoline_kernelINS0_13kernel_configILj256ELj4ELj4294967295EEENS1_37radix_sort_block_sort_config_selectorIjNS0_10empty_typeEEEZNS1_21radix_sort_block_sortIS4_Lb1EPjS9_PS6_SA_NS0_19identity_decomposerEEE10hipError_tT1_T2_T3_T4_jRjT5_jjP12ihipStream_tbEUlT_E_NS1_11comp_targetILNS1_3genE5ELNS1_11target_archE942ELNS1_3gpuE9ELNS1_3repE0EEENS1_44radix_sort_block_sort_config_static_selectorELNS0_4arch9wavefront6targetE1EEEvSD_,"axG",@progbits,_ZN7rocprim17ROCPRIM_400000_NS6detail17trampoline_kernelINS0_13kernel_configILj256ELj4ELj4294967295EEENS1_37radix_sort_block_sort_config_selectorIjNS0_10empty_typeEEEZNS1_21radix_sort_block_sortIS4_Lb1EPjS9_PS6_SA_NS0_19identity_decomposerEEE10hipError_tT1_T2_T3_T4_jRjT5_jjP12ihipStream_tbEUlT_E_NS1_11comp_targetILNS1_3genE5ELNS1_11target_archE942ELNS1_3gpuE9ELNS1_3repE0EEENS1_44radix_sort_block_sort_config_static_selectorELNS0_4arch9wavefront6targetE1EEEvSD_,comdat
	.protected	_ZN7rocprim17ROCPRIM_400000_NS6detail17trampoline_kernelINS0_13kernel_configILj256ELj4ELj4294967295EEENS1_37radix_sort_block_sort_config_selectorIjNS0_10empty_typeEEEZNS1_21radix_sort_block_sortIS4_Lb1EPjS9_PS6_SA_NS0_19identity_decomposerEEE10hipError_tT1_T2_T3_T4_jRjT5_jjP12ihipStream_tbEUlT_E_NS1_11comp_targetILNS1_3genE5ELNS1_11target_archE942ELNS1_3gpuE9ELNS1_3repE0EEENS1_44radix_sort_block_sort_config_static_selectorELNS0_4arch9wavefront6targetE1EEEvSD_ ; -- Begin function _ZN7rocprim17ROCPRIM_400000_NS6detail17trampoline_kernelINS0_13kernel_configILj256ELj4ELj4294967295EEENS1_37radix_sort_block_sort_config_selectorIjNS0_10empty_typeEEEZNS1_21radix_sort_block_sortIS4_Lb1EPjS9_PS6_SA_NS0_19identity_decomposerEEE10hipError_tT1_T2_T3_T4_jRjT5_jjP12ihipStream_tbEUlT_E_NS1_11comp_targetILNS1_3genE5ELNS1_11target_archE942ELNS1_3gpuE9ELNS1_3repE0EEENS1_44radix_sort_block_sort_config_static_selectorELNS0_4arch9wavefront6targetE1EEEvSD_
	.globl	_ZN7rocprim17ROCPRIM_400000_NS6detail17trampoline_kernelINS0_13kernel_configILj256ELj4ELj4294967295EEENS1_37radix_sort_block_sort_config_selectorIjNS0_10empty_typeEEEZNS1_21radix_sort_block_sortIS4_Lb1EPjS9_PS6_SA_NS0_19identity_decomposerEEE10hipError_tT1_T2_T3_T4_jRjT5_jjP12ihipStream_tbEUlT_E_NS1_11comp_targetILNS1_3genE5ELNS1_11target_archE942ELNS1_3gpuE9ELNS1_3repE0EEENS1_44radix_sort_block_sort_config_static_selectorELNS0_4arch9wavefront6targetE1EEEvSD_
	.p2align	8
	.type	_ZN7rocprim17ROCPRIM_400000_NS6detail17trampoline_kernelINS0_13kernel_configILj256ELj4ELj4294967295EEENS1_37radix_sort_block_sort_config_selectorIjNS0_10empty_typeEEEZNS1_21radix_sort_block_sortIS4_Lb1EPjS9_PS6_SA_NS0_19identity_decomposerEEE10hipError_tT1_T2_T3_T4_jRjT5_jjP12ihipStream_tbEUlT_E_NS1_11comp_targetILNS1_3genE5ELNS1_11target_archE942ELNS1_3gpuE9ELNS1_3repE0EEENS1_44radix_sort_block_sort_config_static_selectorELNS0_4arch9wavefront6targetE1EEEvSD_,@function
_ZN7rocprim17ROCPRIM_400000_NS6detail17trampoline_kernelINS0_13kernel_configILj256ELj4ELj4294967295EEENS1_37radix_sort_block_sort_config_selectorIjNS0_10empty_typeEEEZNS1_21radix_sort_block_sortIS4_Lb1EPjS9_PS6_SA_NS0_19identity_decomposerEEE10hipError_tT1_T2_T3_T4_jRjT5_jjP12ihipStream_tbEUlT_E_NS1_11comp_targetILNS1_3genE5ELNS1_11target_archE942ELNS1_3gpuE9ELNS1_3repE0EEENS1_44radix_sort_block_sort_config_static_selectorELNS0_4arch9wavefront6targetE1EEEvSD_: ; @_ZN7rocprim17ROCPRIM_400000_NS6detail17trampoline_kernelINS0_13kernel_configILj256ELj4ELj4294967295EEENS1_37radix_sort_block_sort_config_selectorIjNS0_10empty_typeEEEZNS1_21radix_sort_block_sortIS4_Lb1EPjS9_PS6_SA_NS0_19identity_decomposerEEE10hipError_tT1_T2_T3_T4_jRjT5_jjP12ihipStream_tbEUlT_E_NS1_11comp_targetILNS1_3genE5ELNS1_11target_archE942ELNS1_3gpuE9ELNS1_3repE0EEENS1_44radix_sort_block_sort_config_static_selectorELNS0_4arch9wavefront6targetE1EEEvSD_
; %bb.0:
	.section	.rodata,"a",@progbits
	.p2align	6, 0x0
	.amdhsa_kernel _ZN7rocprim17ROCPRIM_400000_NS6detail17trampoline_kernelINS0_13kernel_configILj256ELj4ELj4294967295EEENS1_37radix_sort_block_sort_config_selectorIjNS0_10empty_typeEEEZNS1_21radix_sort_block_sortIS4_Lb1EPjS9_PS6_SA_NS0_19identity_decomposerEEE10hipError_tT1_T2_T3_T4_jRjT5_jjP12ihipStream_tbEUlT_E_NS1_11comp_targetILNS1_3genE5ELNS1_11target_archE942ELNS1_3gpuE9ELNS1_3repE0EEENS1_44radix_sort_block_sort_config_static_selectorELNS0_4arch9wavefront6targetE1EEEvSD_
		.amdhsa_group_segment_fixed_size 0
		.amdhsa_private_segment_fixed_size 0
		.amdhsa_kernarg_size 48
		.amdhsa_user_sgpr_count 6
		.amdhsa_user_sgpr_private_segment_buffer 1
		.amdhsa_user_sgpr_dispatch_ptr 0
		.amdhsa_user_sgpr_queue_ptr 0
		.amdhsa_user_sgpr_kernarg_segment_ptr 1
		.amdhsa_user_sgpr_dispatch_id 0
		.amdhsa_user_sgpr_flat_scratch_init 0
		.amdhsa_user_sgpr_kernarg_preload_length 0
		.amdhsa_user_sgpr_kernarg_preload_offset 0
		.amdhsa_user_sgpr_private_segment_size 0
		.amdhsa_uses_dynamic_stack 0
		.amdhsa_system_sgpr_private_segment_wavefront_offset 0
		.amdhsa_system_sgpr_workgroup_id_x 1
		.amdhsa_system_sgpr_workgroup_id_y 0
		.amdhsa_system_sgpr_workgroup_id_z 0
		.amdhsa_system_sgpr_workgroup_info 0
		.amdhsa_system_vgpr_workitem_id 0
		.amdhsa_next_free_vgpr 1
		.amdhsa_next_free_sgpr 0
		.amdhsa_accum_offset 4
		.amdhsa_reserve_vcc 0
		.amdhsa_reserve_flat_scratch 0
		.amdhsa_float_round_mode_32 0
		.amdhsa_float_round_mode_16_64 0
		.amdhsa_float_denorm_mode_32 3
		.amdhsa_float_denorm_mode_16_64 3
		.amdhsa_dx10_clamp 1
		.amdhsa_ieee_mode 1
		.amdhsa_fp16_overflow 0
		.amdhsa_tg_split 0
		.amdhsa_exception_fp_ieee_invalid_op 0
		.amdhsa_exception_fp_denorm_src 0
		.amdhsa_exception_fp_ieee_div_zero 0
		.amdhsa_exception_fp_ieee_overflow 0
		.amdhsa_exception_fp_ieee_underflow 0
		.amdhsa_exception_fp_ieee_inexact 0
		.amdhsa_exception_int_div_zero 0
	.end_amdhsa_kernel
	.section	.text._ZN7rocprim17ROCPRIM_400000_NS6detail17trampoline_kernelINS0_13kernel_configILj256ELj4ELj4294967295EEENS1_37radix_sort_block_sort_config_selectorIjNS0_10empty_typeEEEZNS1_21radix_sort_block_sortIS4_Lb1EPjS9_PS6_SA_NS0_19identity_decomposerEEE10hipError_tT1_T2_T3_T4_jRjT5_jjP12ihipStream_tbEUlT_E_NS1_11comp_targetILNS1_3genE5ELNS1_11target_archE942ELNS1_3gpuE9ELNS1_3repE0EEENS1_44radix_sort_block_sort_config_static_selectorELNS0_4arch9wavefront6targetE1EEEvSD_,"axG",@progbits,_ZN7rocprim17ROCPRIM_400000_NS6detail17trampoline_kernelINS0_13kernel_configILj256ELj4ELj4294967295EEENS1_37radix_sort_block_sort_config_selectorIjNS0_10empty_typeEEEZNS1_21radix_sort_block_sortIS4_Lb1EPjS9_PS6_SA_NS0_19identity_decomposerEEE10hipError_tT1_T2_T3_T4_jRjT5_jjP12ihipStream_tbEUlT_E_NS1_11comp_targetILNS1_3genE5ELNS1_11target_archE942ELNS1_3gpuE9ELNS1_3repE0EEENS1_44radix_sort_block_sort_config_static_selectorELNS0_4arch9wavefront6targetE1EEEvSD_,comdat
.Lfunc_end2031:
	.size	_ZN7rocprim17ROCPRIM_400000_NS6detail17trampoline_kernelINS0_13kernel_configILj256ELj4ELj4294967295EEENS1_37radix_sort_block_sort_config_selectorIjNS0_10empty_typeEEEZNS1_21radix_sort_block_sortIS4_Lb1EPjS9_PS6_SA_NS0_19identity_decomposerEEE10hipError_tT1_T2_T3_T4_jRjT5_jjP12ihipStream_tbEUlT_E_NS1_11comp_targetILNS1_3genE5ELNS1_11target_archE942ELNS1_3gpuE9ELNS1_3repE0EEENS1_44radix_sort_block_sort_config_static_selectorELNS0_4arch9wavefront6targetE1EEEvSD_, .Lfunc_end2031-_ZN7rocprim17ROCPRIM_400000_NS6detail17trampoline_kernelINS0_13kernel_configILj256ELj4ELj4294967295EEENS1_37radix_sort_block_sort_config_selectorIjNS0_10empty_typeEEEZNS1_21radix_sort_block_sortIS4_Lb1EPjS9_PS6_SA_NS0_19identity_decomposerEEE10hipError_tT1_T2_T3_T4_jRjT5_jjP12ihipStream_tbEUlT_E_NS1_11comp_targetILNS1_3genE5ELNS1_11target_archE942ELNS1_3gpuE9ELNS1_3repE0EEENS1_44radix_sort_block_sort_config_static_selectorELNS0_4arch9wavefront6targetE1EEEvSD_
                                        ; -- End function
	.section	.AMDGPU.csdata,"",@progbits
; Kernel info:
; codeLenInByte = 0
; NumSgprs: 4
; NumVgprs: 0
; NumAgprs: 0
; TotalNumVgprs: 0
; ScratchSize: 0
; MemoryBound: 0
; FloatMode: 240
; IeeeMode: 1
; LDSByteSize: 0 bytes/workgroup (compile time only)
; SGPRBlocks: 0
; VGPRBlocks: 0
; NumSGPRsForWavesPerEU: 4
; NumVGPRsForWavesPerEU: 1
; AccumOffset: 4
; Occupancy: 8
; WaveLimiterHint : 0
; COMPUTE_PGM_RSRC2:SCRATCH_EN: 0
; COMPUTE_PGM_RSRC2:USER_SGPR: 6
; COMPUTE_PGM_RSRC2:TRAP_HANDLER: 0
; COMPUTE_PGM_RSRC2:TGID_X_EN: 1
; COMPUTE_PGM_RSRC2:TGID_Y_EN: 0
; COMPUTE_PGM_RSRC2:TGID_Z_EN: 0
; COMPUTE_PGM_RSRC2:TIDIG_COMP_CNT: 0
; COMPUTE_PGM_RSRC3_GFX90A:ACCUM_OFFSET: 0
; COMPUTE_PGM_RSRC3_GFX90A:TG_SPLIT: 0
	.section	.text._ZN7rocprim17ROCPRIM_400000_NS6detail17trampoline_kernelINS0_13kernel_configILj256ELj4ELj4294967295EEENS1_37radix_sort_block_sort_config_selectorIjNS0_10empty_typeEEEZNS1_21radix_sort_block_sortIS4_Lb1EPjS9_PS6_SA_NS0_19identity_decomposerEEE10hipError_tT1_T2_T3_T4_jRjT5_jjP12ihipStream_tbEUlT_E_NS1_11comp_targetILNS1_3genE4ELNS1_11target_archE910ELNS1_3gpuE8ELNS1_3repE0EEENS1_44radix_sort_block_sort_config_static_selectorELNS0_4arch9wavefront6targetE1EEEvSD_,"axG",@progbits,_ZN7rocprim17ROCPRIM_400000_NS6detail17trampoline_kernelINS0_13kernel_configILj256ELj4ELj4294967295EEENS1_37radix_sort_block_sort_config_selectorIjNS0_10empty_typeEEEZNS1_21radix_sort_block_sortIS4_Lb1EPjS9_PS6_SA_NS0_19identity_decomposerEEE10hipError_tT1_T2_T3_T4_jRjT5_jjP12ihipStream_tbEUlT_E_NS1_11comp_targetILNS1_3genE4ELNS1_11target_archE910ELNS1_3gpuE8ELNS1_3repE0EEENS1_44radix_sort_block_sort_config_static_selectorELNS0_4arch9wavefront6targetE1EEEvSD_,comdat
	.protected	_ZN7rocprim17ROCPRIM_400000_NS6detail17trampoline_kernelINS0_13kernel_configILj256ELj4ELj4294967295EEENS1_37radix_sort_block_sort_config_selectorIjNS0_10empty_typeEEEZNS1_21radix_sort_block_sortIS4_Lb1EPjS9_PS6_SA_NS0_19identity_decomposerEEE10hipError_tT1_T2_T3_T4_jRjT5_jjP12ihipStream_tbEUlT_E_NS1_11comp_targetILNS1_3genE4ELNS1_11target_archE910ELNS1_3gpuE8ELNS1_3repE0EEENS1_44radix_sort_block_sort_config_static_selectorELNS0_4arch9wavefront6targetE1EEEvSD_ ; -- Begin function _ZN7rocprim17ROCPRIM_400000_NS6detail17trampoline_kernelINS0_13kernel_configILj256ELj4ELj4294967295EEENS1_37radix_sort_block_sort_config_selectorIjNS0_10empty_typeEEEZNS1_21radix_sort_block_sortIS4_Lb1EPjS9_PS6_SA_NS0_19identity_decomposerEEE10hipError_tT1_T2_T3_T4_jRjT5_jjP12ihipStream_tbEUlT_E_NS1_11comp_targetILNS1_3genE4ELNS1_11target_archE910ELNS1_3gpuE8ELNS1_3repE0EEENS1_44radix_sort_block_sort_config_static_selectorELNS0_4arch9wavefront6targetE1EEEvSD_
	.globl	_ZN7rocprim17ROCPRIM_400000_NS6detail17trampoline_kernelINS0_13kernel_configILj256ELj4ELj4294967295EEENS1_37radix_sort_block_sort_config_selectorIjNS0_10empty_typeEEEZNS1_21radix_sort_block_sortIS4_Lb1EPjS9_PS6_SA_NS0_19identity_decomposerEEE10hipError_tT1_T2_T3_T4_jRjT5_jjP12ihipStream_tbEUlT_E_NS1_11comp_targetILNS1_3genE4ELNS1_11target_archE910ELNS1_3gpuE8ELNS1_3repE0EEENS1_44radix_sort_block_sort_config_static_selectorELNS0_4arch9wavefront6targetE1EEEvSD_
	.p2align	8
	.type	_ZN7rocprim17ROCPRIM_400000_NS6detail17trampoline_kernelINS0_13kernel_configILj256ELj4ELj4294967295EEENS1_37radix_sort_block_sort_config_selectorIjNS0_10empty_typeEEEZNS1_21radix_sort_block_sortIS4_Lb1EPjS9_PS6_SA_NS0_19identity_decomposerEEE10hipError_tT1_T2_T3_T4_jRjT5_jjP12ihipStream_tbEUlT_E_NS1_11comp_targetILNS1_3genE4ELNS1_11target_archE910ELNS1_3gpuE8ELNS1_3repE0EEENS1_44radix_sort_block_sort_config_static_selectorELNS0_4arch9wavefront6targetE1EEEvSD_,@function
_ZN7rocprim17ROCPRIM_400000_NS6detail17trampoline_kernelINS0_13kernel_configILj256ELj4ELj4294967295EEENS1_37radix_sort_block_sort_config_selectorIjNS0_10empty_typeEEEZNS1_21radix_sort_block_sortIS4_Lb1EPjS9_PS6_SA_NS0_19identity_decomposerEEE10hipError_tT1_T2_T3_T4_jRjT5_jjP12ihipStream_tbEUlT_E_NS1_11comp_targetILNS1_3genE4ELNS1_11target_archE910ELNS1_3gpuE8ELNS1_3repE0EEENS1_44radix_sort_block_sort_config_static_selectorELNS0_4arch9wavefront6targetE1EEEvSD_: ; @_ZN7rocprim17ROCPRIM_400000_NS6detail17trampoline_kernelINS0_13kernel_configILj256ELj4ELj4294967295EEENS1_37radix_sort_block_sort_config_selectorIjNS0_10empty_typeEEEZNS1_21radix_sort_block_sortIS4_Lb1EPjS9_PS6_SA_NS0_19identity_decomposerEEE10hipError_tT1_T2_T3_T4_jRjT5_jjP12ihipStream_tbEUlT_E_NS1_11comp_targetILNS1_3genE4ELNS1_11target_archE910ELNS1_3gpuE8ELNS1_3repE0EEENS1_44radix_sort_block_sort_config_static_selectorELNS0_4arch9wavefront6targetE1EEEvSD_
; %bb.0:
	s_load_dword s7, s[4:5], 0x20
	s_load_dwordx4 s[28:31], s[4:5], 0x0
	s_lshl_b32 s0, s6, 10
	s_mov_b32 s1, 0
	v_mbcnt_lo_u32_b32 v1, -1, 0
	s_waitcnt lgkmcnt(0)
	s_lshr_b32 s2, s7, 10
	s_cmp_lg_u32 s6, s2
	s_cselect_b64 s[34:35], -1, 0
	s_lshl_b64 s[36:37], s[0:1], 2
	v_mbcnt_hi_u32_b32 v1, -1, v1
	v_and_b32_e32 v6, 0x3ff, v0
	s_add_u32 s1, s28, s36
	v_and_b32_e32 v10, 63, v1
	s_addc_u32 s3, s29, s37
	v_lshlrev_b32_e32 v7, 2, v6
	v_lshlrev_b32_e32 v2, 2, v10
	v_and_b32_e32 v11, 0x300, v7
	v_mov_b32_e32 v3, s3
	v_add_co_u32_e32 v2, vcc, s1, v2
	v_addc_co_u32_e32 v3, vcc, 0, v3, vcc
	v_lshlrev_b32_e32 v4, 2, v11
	v_add_co_u32_e32 v8, vcc, v2, v4
	s_cmp_eq_u32 s6, s2
	v_addc_co_u32_e32 v9, vcc, 0, v3, vcc
	v_or_b32_e32 v12, v10, v11
	s_cbranch_scc1 .LBB2032_2
; %bb.1:
	global_load_dword v2, v[8:9], off
	global_load_dword v3, v[8:9], off offset:256
	global_load_dword v4, v[8:9], off offset:512
	;; [unrolled: 1-line block ×3, first 2 shown]
	v_or_b32_e32 v18, v10, v11
	v_or_b32_e32 v10, 64, v18
	;; [unrolled: 1-line block ×4, first 2 shown]
	s_load_dwordx2 s[28:29], s[4:5], 0x28
	s_sub_i32 s33, s7, s0
	s_cbranch_execz .LBB2032_3
	s_branch .LBB2032_12
.LBB2032_2:
                                        ; implicit-def: $vgpr2_vgpr3_vgpr4_vgpr5
                                        ; implicit-def: $vgpr18
                                        ; implicit-def: $vgpr10
                                        ; implicit-def: $vgpr11
                                        ; implicit-def: $vgpr21
	s_load_dwordx2 s[28:29], s[4:5], 0x28
	s_sub_i32 s33, s7, s0
.LBB2032_3:
	s_mov_b32 s0, 0
	s_mov_b32 s2, s0
	;; [unrolled: 1-line block ×4, first 2 shown]
	s_waitcnt vmcnt(0)
	v_pk_mov_b32 v[4:5], s[2:3], s[2:3] op_sel:[0,1]
	v_cmp_gt_u32_e32 vcc, s33, v12
	v_pk_mov_b32 v[2:3], s[0:1], s[0:1] op_sel:[0,1]
	s_and_saveexec_b64 s[0:1], vcc
	s_cbranch_execz .LBB2032_5
; %bb.4:
	global_load_dword v2, v[8:9], off
	v_mov_b32_e32 v3, 0
	v_mov_b32_e32 v4, v3
	v_mov_b32_e32 v5, v3
.LBB2032_5:
	s_or_b64 exec, exec, s[0:1]
	v_or_b32_e32 v10, 64, v12
	v_cmp_gt_u32_e32 vcc, s33, v10
	s_and_saveexec_b64 s[0:1], vcc
	s_cbranch_execz .LBB2032_7
; %bb.6:
	global_load_dword v3, v[8:9], off offset:256
.LBB2032_7:
	s_or_b64 exec, exec, s[0:1]
	v_or_b32_e32 v11, 0x80, v12
	v_cmp_gt_u32_e32 vcc, s33, v11
	s_and_saveexec_b64 s[0:1], vcc
	s_cbranch_execz .LBB2032_9
; %bb.8:
	global_load_dword v4, v[8:9], off offset:512
.LBB2032_9:
	;; [unrolled: 8-line block ×3, first 2 shown]
	s_or_b64 exec, exec, s[0:1]
	v_mov_b32_e32 v18, v12
.LBB2032_12:
	s_load_dword s2, s[4:5], 0x3c
	s_waitcnt lgkmcnt(0)
	s_add_i32 s38, s29, s28
	s_getpc_b64 s[0:1]
	s_add_u32 s0, s0, _ZN7rocprim17ROCPRIM_400000_NS16block_radix_sortIjLj256ELj4ENS0_10empty_typeELj1ELj1ELj0ELNS0_26block_radix_rank_algorithmE1ELNS0_18block_padding_hintE2ELNS0_4arch9wavefront6targetE1EE19radix_bits_per_passE@rel32@lo+4
	s_addc_u32 s1, s1, _ZN7rocprim17ROCPRIM_400000_NS16block_radix_sortIjLj256ELj4ENS0_10empty_typeELj1ELj1ELj0ELNS0_26block_radix_rank_algorithmE1ELNS0_18block_padding_hintE2ELNS0_4arch9wavefront6targetE1EE19radix_bits_per_passE@rel32@hi+12
	s_waitcnt vmcnt(0)
	v_not_b32_e32 v26, v4
	s_load_dword s39, s[0:1], 0x0
	s_lshr_b32 s0, s2, 16
	v_bfe_u32 v4, v0, 10, 10
	v_bfe_u32 v0, v0, 20, 10
	s_and_b32 s1, s2, 0xffff
	v_mad_u32_u24 v0, v0, s0, v4
	v_not_b32_e32 v27, v5
	v_mad_u64_u32 v[4:5], s[0:1], v0, s1, v[6:7]
	v_and_b32_e32 v0, 15, v1
	v_cmp_eq_u32_e64 s[0:1], 0, v0
	v_cmp_lt_u32_e64 s[2:3], 1, v0
	v_cmp_lt_u32_e64 s[4:5], 3, v0
	;; [unrolled: 1-line block ×3, first 2 shown]
	v_and_b32_e32 v0, 16, v1
	v_cmp_eq_u32_e64 s[8:9], 0, v0
	v_and_b32_e32 v0, 0x3c0, v6
	v_min_u32_e32 v0, 0xc0, v0
	v_or_b32_e32 v0, 63, v0
	v_lshrrev_b32_e32 v13, 6, v4
	v_cmp_eq_u32_e64 s[12:13], v0, v6
	v_add_u32_e32 v0, -1, v1
	v_and_b32_e32 v4, 64, v1
	v_cmp_lt_i32_e32 vcc, v0, v4
	v_cndmask_b32_e32 v0, v0, v1, vcc
	s_mov_b32 s26, 0
	v_lshlrev_b32_e32 v15, 2, v0
	v_lshrrev_b32_e32 v0, 4, v6
	v_and_b32_e32 v16, 60, v0
	v_and_b32_e32 v0, 3, v1
	s_mov_b32 s27, s26
	s_mov_b32 s40, s26
	s_mov_b32 s41, s26
	v_not_b32_e32 v2, v2
	v_not_b32_e32 v3, v3
	v_lshlrev_b32_e32 v12, 2, v7
	v_cmp_lt_u32_e64 s[10:11], 31, v1
	v_cmp_gt_u32_e64 s[14:15], 4, v6
	v_cmp_lt_u32_e64 s[16:17], 63, v6
	v_cmp_eq_u32_e64 s[18:19], 0, v1
	v_cmp_eq_u32_e64 s[20:21], 0, v6
	v_mul_i32_i24_e32 v14, -12, v6
	v_cmp_eq_u32_e64 s[22:23], 0, v0
	v_cmp_lt_u32_e64 s[24:25], 1, v0
	v_add_u32_e32 v17, -4, v16
	v_lshlrev_b32_e32 v18, 2, v18
	v_lshlrev_b32_e32 v19, 2, v10
	;; [unrolled: 1-line block ×4, first 2 shown]
	v_pk_mov_b32 v[4:5], s[26:27], s[26:27] op_sel:[0,1]
	v_pk_mov_b32 v[8:9], s[40:41], s[40:41] op_sel:[0,1]
	v_mov_b32_e32 v10, 0
	s_branch .LBB2032_14
.LBB2032_13:                            ;   in Loop: Header=BB2032_14 Depth=1
	s_barrier
	ds_write_b32 v0, v25
	ds_write_b32 v1, v24
	;; [unrolled: 1-line block ×4, first 2 shown]
	s_waitcnt lgkmcnt(0)
	s_barrier
	ds_read_b32 v2, v18
	ds_read_b32 v3, v19
	ds_read_b32 v26, v20
	ds_read_b32 v27, v21
	s_add_i32 s29, s29, -8
	s_waitcnt lgkmcnt(0)
	s_barrier
	s_cbranch_execz .LBB2032_30
.LBB2032_14:                            ; =>This Inner Loop Header: Depth=1
	s_waitcnt lgkmcnt(0)
	s_min_u32 s26, s39, s29
	v_mov_b32_e32 v25, v2
	s_lshl_b32 s26, -1, s26
	s_not_b32 s40, s26
	v_lshrrev_b32_e32 v0, s28, v25
	v_and_b32_e32 v0, s40, v0
	v_lshl_add_u32 v1, v0, 2, v13
	v_mov_b32_e32 v23, v26
	v_lshl_add_u32 v26, v1, 2, 16
	v_and_b32_e32 v1, 1, v0
	v_add_co_u32_e32 v2, vcc, -1, v1
	v_mov_b32_e32 v24, v3
	v_addc_co_u32_e64 v3, s[26:27], 0, -1, vcc
	v_cmp_ne_u32_e32 vcc, 0, v1
	v_lshlrev_b32_e32 v11, 30, v0
	v_xor_b32_e32 v1, vcc_hi, v3
	v_not_b32_e32 v3, v11
	v_xor_b32_e32 v2, vcc_lo, v2
	v_cmp_gt_i64_e32 vcc, 0, v[10:11]
	v_ashrrev_i32_e32 v3, 31, v3
	v_and_b32_e32 v1, exec_hi, v1
	v_xor_b32_e32 v11, vcc_hi, v3
	v_and_b32_e32 v2, exec_lo, v2
	v_xor_b32_e32 v3, vcc_lo, v3
	v_and_b32_e32 v1, v1, v11
	v_lshlrev_b32_e32 v11, 29, v0
	v_and_b32_e32 v2, v2, v3
	v_not_b32_e32 v3, v11
	v_cmp_gt_i64_e32 vcc, 0, v[10:11]
	v_ashrrev_i32_e32 v3, 31, v3
	v_xor_b32_e32 v11, vcc_hi, v3
	v_xor_b32_e32 v3, vcc_lo, v3
	v_and_b32_e32 v1, v1, v11
	v_lshlrev_b32_e32 v11, 28, v0
	v_and_b32_e32 v2, v2, v3
	v_not_b32_e32 v3, v11
	v_cmp_gt_i64_e32 vcc, 0, v[10:11]
	v_ashrrev_i32_e32 v3, 31, v3
	v_xor_b32_e32 v11, vcc_hi, v3
	;; [unrolled: 8-line block ×5, first 2 shown]
	v_and_b32_e32 v1, v1, v11
	v_lshlrev_b32_e32 v11, 24, v0
	v_not_b32_e32 v0, v11
	v_xor_b32_e32 v3, vcc_lo, v3
	v_cmp_gt_i64_e32 vcc, 0, v[10:11]
	v_ashrrev_i32_e32 v0, 31, v0
	v_and_b32_e32 v2, v2, v3
	v_xor_b32_e32 v3, vcc_hi, v0
	v_xor_b32_e32 v0, vcc_lo, v0
	v_and_b32_e32 v0, v2, v0
	v_and_b32_e32 v1, v1, v3
	v_mbcnt_lo_u32_b32 v2, v0, 0
	v_mov_b32_e32 v22, v27
	v_mbcnt_hi_u32_b32 v27, v1, v2
	v_cmp_eq_u32_e32 vcc, 0, v27
	v_cmp_ne_u64_e64 s[26:27], 0, v[0:1]
	s_and_b64 s[42:43], s[26:27], vcc
	ds_write2_b64 v12, v[4:5], v[8:9] offset0:2 offset1:3
	s_waitcnt lgkmcnt(0)
	s_barrier
	s_waitcnt lgkmcnt(0)
	; wave barrier
	s_and_saveexec_b64 s[26:27], s[42:43]
	s_cbranch_execz .LBB2032_16
; %bb.15:                               ;   in Loop: Header=BB2032_14 Depth=1
	v_bcnt_u32_b32 v0, v0, 0
	v_bcnt_u32_b32 v0, v1, v0
	ds_write_b32 v26, v0
.LBB2032_16:                            ;   in Loop: Header=BB2032_14 Depth=1
	s_or_b64 exec, exec, s[26:27]
	v_lshrrev_b32_e32 v0, s28, v24
	v_and_b32_e32 v0, s40, v0
	v_lshlrev_b32_e32 v1, 2, v0
	v_add_lshl_u32 v1, v1, v13, 2
	; wave barrier
	v_add_u32_e32 v29, 16, v1
	ds_read_b32 v28, v1 offset:16
	v_and_b32_e32 v1, 1, v0
	v_add_co_u32_e32 v2, vcc, -1, v1
	v_addc_co_u32_e64 v3, s[26:27], 0, -1, vcc
	v_cmp_ne_u32_e32 vcc, 0, v1
	v_lshlrev_b32_e32 v11, 30, v0
	v_xor_b32_e32 v1, vcc_hi, v3
	v_not_b32_e32 v3, v11
	v_xor_b32_e32 v2, vcc_lo, v2
	v_cmp_gt_i64_e32 vcc, 0, v[10:11]
	v_ashrrev_i32_e32 v3, 31, v3
	v_and_b32_e32 v1, exec_hi, v1
	v_xor_b32_e32 v11, vcc_hi, v3
	v_and_b32_e32 v2, exec_lo, v2
	v_xor_b32_e32 v3, vcc_lo, v3
	v_and_b32_e32 v1, v1, v11
	v_lshlrev_b32_e32 v11, 29, v0
	v_and_b32_e32 v2, v2, v3
	v_not_b32_e32 v3, v11
	v_cmp_gt_i64_e32 vcc, 0, v[10:11]
	v_ashrrev_i32_e32 v3, 31, v3
	v_xor_b32_e32 v11, vcc_hi, v3
	v_xor_b32_e32 v3, vcc_lo, v3
	v_and_b32_e32 v1, v1, v11
	v_lshlrev_b32_e32 v11, 28, v0
	v_and_b32_e32 v2, v2, v3
	v_not_b32_e32 v3, v11
	v_cmp_gt_i64_e32 vcc, 0, v[10:11]
	v_ashrrev_i32_e32 v3, 31, v3
	v_xor_b32_e32 v11, vcc_hi, v3
	;; [unrolled: 8-line block ×5, first 2 shown]
	v_and_b32_e32 v1, v1, v11
	v_lshlrev_b32_e32 v11, 24, v0
	v_not_b32_e32 v0, v11
	v_xor_b32_e32 v3, vcc_lo, v3
	v_cmp_gt_i64_e32 vcc, 0, v[10:11]
	v_ashrrev_i32_e32 v0, 31, v0
	v_and_b32_e32 v2, v2, v3
	v_xor_b32_e32 v3, vcc_hi, v0
	v_xor_b32_e32 v0, vcc_lo, v0
	v_and_b32_e32 v0, v2, v0
	v_and_b32_e32 v1, v1, v3
	v_mbcnt_lo_u32_b32 v2, v0, 0
	v_mbcnt_hi_u32_b32 v30, v1, v2
	v_cmp_eq_u32_e32 vcc, 0, v30
	v_cmp_ne_u64_e64 s[26:27], 0, v[0:1]
	s_and_b64 s[42:43], s[26:27], vcc
	; wave barrier
	s_and_saveexec_b64 s[26:27], s[42:43]
	s_cbranch_execz .LBB2032_18
; %bb.17:                               ;   in Loop: Header=BB2032_14 Depth=1
	v_bcnt_u32_b32 v0, v0, 0
	v_bcnt_u32_b32 v0, v1, v0
	s_waitcnt lgkmcnt(0)
	v_add_u32_e32 v0, v28, v0
	ds_write_b32 v29, v0
.LBB2032_18:                            ;   in Loop: Header=BB2032_14 Depth=1
	s_or_b64 exec, exec, s[26:27]
	v_lshrrev_b32_e32 v0, s28, v23
	v_and_b32_e32 v0, s40, v0
	v_lshlrev_b32_e32 v1, 2, v0
	v_add_lshl_u32 v1, v1, v13, 2
	; wave barrier
	v_add_u32_e32 v32, 16, v1
	ds_read_b32 v31, v1 offset:16
	v_and_b32_e32 v1, 1, v0
	v_add_co_u32_e32 v2, vcc, -1, v1
	v_addc_co_u32_e64 v3, s[26:27], 0, -1, vcc
	v_cmp_ne_u32_e32 vcc, 0, v1
	v_lshlrev_b32_e32 v11, 30, v0
	v_xor_b32_e32 v1, vcc_hi, v3
	v_not_b32_e32 v3, v11
	v_xor_b32_e32 v2, vcc_lo, v2
	v_cmp_gt_i64_e32 vcc, 0, v[10:11]
	v_ashrrev_i32_e32 v3, 31, v3
	v_and_b32_e32 v1, exec_hi, v1
	v_xor_b32_e32 v11, vcc_hi, v3
	v_and_b32_e32 v2, exec_lo, v2
	v_xor_b32_e32 v3, vcc_lo, v3
	v_and_b32_e32 v1, v1, v11
	v_lshlrev_b32_e32 v11, 29, v0
	v_and_b32_e32 v2, v2, v3
	v_not_b32_e32 v3, v11
	v_cmp_gt_i64_e32 vcc, 0, v[10:11]
	v_ashrrev_i32_e32 v3, 31, v3
	v_xor_b32_e32 v11, vcc_hi, v3
	v_xor_b32_e32 v3, vcc_lo, v3
	v_and_b32_e32 v1, v1, v11
	v_lshlrev_b32_e32 v11, 28, v0
	v_and_b32_e32 v2, v2, v3
	v_not_b32_e32 v3, v11
	v_cmp_gt_i64_e32 vcc, 0, v[10:11]
	v_ashrrev_i32_e32 v3, 31, v3
	v_xor_b32_e32 v11, vcc_hi, v3
	;; [unrolled: 8-line block ×5, first 2 shown]
	v_and_b32_e32 v1, v1, v11
	v_lshlrev_b32_e32 v11, 24, v0
	v_not_b32_e32 v0, v11
	v_xor_b32_e32 v3, vcc_lo, v3
	v_cmp_gt_i64_e32 vcc, 0, v[10:11]
	v_ashrrev_i32_e32 v0, 31, v0
	v_and_b32_e32 v2, v2, v3
	v_xor_b32_e32 v3, vcc_hi, v0
	v_xor_b32_e32 v0, vcc_lo, v0
	v_and_b32_e32 v0, v2, v0
	v_and_b32_e32 v1, v1, v3
	v_mbcnt_lo_u32_b32 v2, v0, 0
	v_mbcnt_hi_u32_b32 v33, v1, v2
	v_cmp_eq_u32_e32 vcc, 0, v33
	v_cmp_ne_u64_e64 s[26:27], 0, v[0:1]
	s_and_b64 s[42:43], s[26:27], vcc
	; wave barrier
	s_and_saveexec_b64 s[26:27], s[42:43]
	s_cbranch_execz .LBB2032_20
; %bb.19:                               ;   in Loop: Header=BB2032_14 Depth=1
	v_bcnt_u32_b32 v0, v0, 0
	v_bcnt_u32_b32 v0, v1, v0
	s_waitcnt lgkmcnt(0)
	v_add_u32_e32 v0, v31, v0
	ds_write_b32 v32, v0
.LBB2032_20:                            ;   in Loop: Header=BB2032_14 Depth=1
	s_or_b64 exec, exec, s[26:27]
	v_lshrrev_b32_e32 v0, s28, v22
	v_and_b32_e32 v0, s40, v0
	v_lshlrev_b32_e32 v1, 2, v0
	v_add_lshl_u32 v1, v1, v13, 2
	; wave barrier
	v_add_u32_e32 v35, 16, v1
	ds_read_b32 v34, v1 offset:16
	v_and_b32_e32 v1, 1, v0
	v_add_co_u32_e32 v2, vcc, -1, v1
	v_addc_co_u32_e64 v3, s[26:27], 0, -1, vcc
	v_cmp_ne_u32_e32 vcc, 0, v1
	v_lshlrev_b32_e32 v11, 30, v0
	v_xor_b32_e32 v1, vcc_hi, v3
	v_not_b32_e32 v3, v11
	v_xor_b32_e32 v2, vcc_lo, v2
	v_cmp_gt_i64_e32 vcc, 0, v[10:11]
	v_ashrrev_i32_e32 v3, 31, v3
	v_and_b32_e32 v1, exec_hi, v1
	v_xor_b32_e32 v11, vcc_hi, v3
	v_and_b32_e32 v2, exec_lo, v2
	v_xor_b32_e32 v3, vcc_lo, v3
	v_and_b32_e32 v1, v1, v11
	v_lshlrev_b32_e32 v11, 29, v0
	v_and_b32_e32 v2, v2, v3
	v_not_b32_e32 v3, v11
	v_cmp_gt_i64_e32 vcc, 0, v[10:11]
	v_ashrrev_i32_e32 v3, 31, v3
	v_xor_b32_e32 v11, vcc_hi, v3
	v_xor_b32_e32 v3, vcc_lo, v3
	v_and_b32_e32 v1, v1, v11
	v_lshlrev_b32_e32 v11, 28, v0
	v_and_b32_e32 v2, v2, v3
	v_not_b32_e32 v3, v11
	v_cmp_gt_i64_e32 vcc, 0, v[10:11]
	v_ashrrev_i32_e32 v3, 31, v3
	v_xor_b32_e32 v11, vcc_hi, v3
	;; [unrolled: 8-line block ×5, first 2 shown]
	v_and_b32_e32 v1, v1, v11
	v_lshlrev_b32_e32 v11, 24, v0
	v_not_b32_e32 v0, v11
	v_xor_b32_e32 v3, vcc_lo, v3
	v_cmp_gt_i64_e32 vcc, 0, v[10:11]
	v_ashrrev_i32_e32 v0, 31, v0
	v_and_b32_e32 v2, v2, v3
	v_xor_b32_e32 v3, vcc_hi, v0
	v_xor_b32_e32 v0, vcc_lo, v0
	v_and_b32_e32 v0, v2, v0
	v_and_b32_e32 v1, v1, v3
	v_mbcnt_lo_u32_b32 v2, v0, 0
	v_mbcnt_hi_u32_b32 v11, v1, v2
	v_cmp_eq_u32_e32 vcc, 0, v11
	v_cmp_ne_u64_e64 s[26:27], 0, v[0:1]
	s_and_b64 s[40:41], s[26:27], vcc
	; wave barrier
	s_and_saveexec_b64 s[26:27], s[40:41]
	s_cbranch_execz .LBB2032_22
; %bb.21:                               ;   in Loop: Header=BB2032_14 Depth=1
	v_bcnt_u32_b32 v0, v0, 0
	v_bcnt_u32_b32 v0, v1, v0
	s_waitcnt lgkmcnt(0)
	v_add_u32_e32 v0, v34, v0
	ds_write_b32 v35, v0
.LBB2032_22:                            ;   in Loop: Header=BB2032_14 Depth=1
	s_or_b64 exec, exec, s[26:27]
	; wave barrier
	s_waitcnt lgkmcnt(0)
	s_barrier
	ds_read2_b64 v[0:3], v12 offset0:2 offset1:3
	s_waitcnt lgkmcnt(0)
	v_add_u32_e32 v36, v1, v0
	v_add3_u32 v3, v36, v2, v3
	s_nop 1
	v_mov_b32_dpp v36, v3 row_shr:1 row_mask:0xf bank_mask:0xf
	v_cndmask_b32_e64 v36, v36, 0, s[0:1]
	v_add_u32_e32 v3, v36, v3
	s_nop 1
	v_mov_b32_dpp v36, v3 row_shr:2 row_mask:0xf bank_mask:0xf
	v_cndmask_b32_e64 v36, 0, v36, s[2:3]
	v_add_u32_e32 v3, v3, v36
	;; [unrolled: 4-line block ×4, first 2 shown]
	s_nop 1
	v_mov_b32_dpp v36, v3 row_bcast:15 row_mask:0xf bank_mask:0xf
	v_cndmask_b32_e64 v36, v36, 0, s[8:9]
	v_add_u32_e32 v3, v3, v36
	s_nop 1
	v_mov_b32_dpp v36, v3 row_bcast:31 row_mask:0xf bank_mask:0xf
	v_cndmask_b32_e64 v36, 0, v36, s[10:11]
	v_add_u32_e32 v3, v3, v36
	s_and_saveexec_b64 s[26:27], s[12:13]
	s_cbranch_execz .LBB2032_24
; %bb.23:                               ;   in Loop: Header=BB2032_14 Depth=1
	ds_write_b32 v16, v3
.LBB2032_24:                            ;   in Loop: Header=BB2032_14 Depth=1
	s_or_b64 exec, exec, s[26:27]
	s_waitcnt lgkmcnt(0)
	s_barrier
	s_and_saveexec_b64 s[26:27], s[14:15]
	s_cbranch_execz .LBB2032_26
; %bb.25:                               ;   in Loop: Header=BB2032_14 Depth=1
	v_add_u32_e32 v36, v12, v14
	ds_read_b32 v37, v36
	s_waitcnt lgkmcnt(0)
	s_nop 0
	v_mov_b32_dpp v38, v37 row_shr:1 row_mask:0xf bank_mask:0xf
	v_cndmask_b32_e64 v38, v38, 0, s[22:23]
	v_add_u32_e32 v37, v38, v37
	s_nop 1
	v_mov_b32_dpp v38, v37 row_shr:2 row_mask:0xf bank_mask:0xf
	v_cndmask_b32_e64 v38, 0, v38, s[24:25]
	v_add_u32_e32 v37, v37, v38
	ds_write_b32 v36, v37
.LBB2032_26:                            ;   in Loop: Header=BB2032_14 Depth=1
	s_or_b64 exec, exec, s[26:27]
	v_mov_b32_e32 v36, 0
	s_waitcnt lgkmcnt(0)
	s_barrier
	s_and_saveexec_b64 s[26:27], s[16:17]
	s_cbranch_execz .LBB2032_28
; %bb.27:                               ;   in Loop: Header=BB2032_14 Depth=1
	ds_read_b32 v36, v17
.LBB2032_28:                            ;   in Loop: Header=BB2032_14 Depth=1
	s_or_b64 exec, exec, s[26:27]
	s_waitcnt lgkmcnt(0)
	v_add_u32_e32 v3, v36, v3
	ds_bpermute_b32 v3, v15, v3
	s_add_i32 s28, s28, 8
	s_cmp_ge_u32 s28, s38
	s_waitcnt lgkmcnt(0)
	v_cndmask_b32_e64 v3, v3, v36, s[18:19]
	v_cndmask_b32_e64 v36, v3, 0, s[20:21]
	v_add_u32_e32 v37, v36, v0
	v_add_u32_e32 v0, v37, v1
	;; [unrolled: 1-line block ×3, first 2 shown]
	ds_write2_b64 v12, v[36:37], v[0:1] offset0:2 offset1:3
	s_waitcnt lgkmcnt(0)
	s_barrier
	ds_read_b32 v0, v26
	ds_read_b32 v1, v29
	;; [unrolled: 1-line block ×4, first 2 shown]
	v_lshlrev_b32_e32 v26, 2, v27
	s_waitcnt lgkmcnt(3)
	v_lshl_add_u32 v0, v0, 2, v26
	v_lshlrev_b32_e32 v26, 2, v30
	v_lshlrev_b32_e32 v27, 2, v28
	s_waitcnt lgkmcnt(2)
	v_lshlrev_b32_e32 v1, 2, v1
	v_add3_u32 v1, v26, v27, v1
	v_lshlrev_b32_e32 v26, 2, v33
	v_lshlrev_b32_e32 v27, 2, v31
	s_waitcnt lgkmcnt(1)
	v_lshlrev_b32_e32 v2, 2, v2
	v_add3_u32 v28, v26, v27, v2
	;; [unrolled: 5-line block ×3, first 2 shown]
	s_cbranch_scc0 .LBB2032_13
; %bb.29:
                                        ; implicit-def: $vgpr27
                                        ; implicit-def: $vgpr26
                                        ; implicit-def: $vgpr3
                                        ; implicit-def: $vgpr2
                                        ; implicit-def: $sgpr28
.LBB2032_30:
	s_barrier
	ds_write_b32 v0, v25
	ds_write_b32 v1, v24
	;; [unrolled: 1-line block ×4, first 2 shown]
	v_add_u32_e32 v0, v12, v14
	s_waitcnt lgkmcnt(0)
	s_barrier
	ds_read_b32 v3, v0
	ds_read2st64_b32 v[0:1], v7 offset0:4 offset1:8
	ds_read_b32 v2, v7 offset:3072
	s_add_u32 s0, s30, s36
	s_addc_u32 s1, s31, s37
	s_waitcnt lgkmcnt(2)
	v_not_b32_e32 v5, v3
	s_waitcnt lgkmcnt(1)
	v_not_b32_e32 v4, v0
	v_not_b32_e32 v3, v1
	v_mov_b32_e32 v1, s1
	v_add_co_u32_e64 v0, s[0:1], s0, v7
	s_andn2_b64 vcc, exec, s[34:35]
	v_addc_co_u32_e64 v1, s[0:1], 0, v1, s[0:1]
	s_cbranch_vccnz .LBB2032_32
; %bb.31:
	s_mov_b64 s[0:1], -1
	global_store_dword v[0:1], v5, off
	global_store_dword v[0:1], v4, off offset:1024
	global_store_dword v[0:1], v3, off offset:2048
	s_cbranch_execz .LBB2032_33
	s_branch .LBB2032_40
.LBB2032_32:
	s_mov_b64 s[0:1], 0
.LBB2032_33:
	v_cmp_gt_u32_e32 vcc, s33, v6
	s_and_saveexec_b64 s[0:1], vcc
	s_cbranch_execz .LBB2032_35
; %bb.34:
	global_store_dword v[0:1], v5, off
.LBB2032_35:
	s_or_b64 exec, exec, s[0:1]
	v_add_u32_e32 v5, 0x100, v6
	v_cmp_gt_u32_e32 vcc, s33, v5
	s_and_saveexec_b64 s[0:1], vcc
	s_cbranch_execz .LBB2032_37
; %bb.36:
	global_store_dword v[0:1], v4, off offset:1024
.LBB2032_37:
	s_or_b64 exec, exec, s[0:1]
	v_add_u32_e32 v4, 0x200, v6
	v_cmp_gt_u32_e32 vcc, s33, v4
	s_and_saveexec_b64 s[0:1], vcc
	s_cbranch_execz .LBB2032_39
; %bb.38:
	global_store_dword v[0:1], v3, off offset:2048
.LBB2032_39:
	s_or_b64 exec, exec, s[0:1]
	v_add_u32_e32 v3, 0x300, v6
	v_cmp_gt_u32_e64 s[0:1], s33, v3
.LBB2032_40:
	s_and_saveexec_b64 s[2:3], s[0:1]
	s_cbranch_execnz .LBB2032_42
; %bb.41:
	s_endpgm
.LBB2032_42:
	s_waitcnt lgkmcnt(0)
	v_not_b32_e32 v2, v2
	global_store_dword v[0:1], v2, off offset:3072
	s_endpgm
	.section	.rodata,"a",@progbits
	.p2align	6, 0x0
	.amdhsa_kernel _ZN7rocprim17ROCPRIM_400000_NS6detail17trampoline_kernelINS0_13kernel_configILj256ELj4ELj4294967295EEENS1_37radix_sort_block_sort_config_selectorIjNS0_10empty_typeEEEZNS1_21radix_sort_block_sortIS4_Lb1EPjS9_PS6_SA_NS0_19identity_decomposerEEE10hipError_tT1_T2_T3_T4_jRjT5_jjP12ihipStream_tbEUlT_E_NS1_11comp_targetILNS1_3genE4ELNS1_11target_archE910ELNS1_3gpuE8ELNS1_3repE0EEENS1_44radix_sort_block_sort_config_static_selectorELNS0_4arch9wavefront6targetE1EEEvSD_
		.amdhsa_group_segment_fixed_size 4112
		.amdhsa_private_segment_fixed_size 0
		.amdhsa_kernarg_size 304
		.amdhsa_user_sgpr_count 6
		.amdhsa_user_sgpr_private_segment_buffer 1
		.amdhsa_user_sgpr_dispatch_ptr 0
		.amdhsa_user_sgpr_queue_ptr 0
		.amdhsa_user_sgpr_kernarg_segment_ptr 1
		.amdhsa_user_sgpr_dispatch_id 0
		.amdhsa_user_sgpr_flat_scratch_init 0
		.amdhsa_user_sgpr_kernarg_preload_length 0
		.amdhsa_user_sgpr_kernarg_preload_offset 0
		.amdhsa_user_sgpr_private_segment_size 0
		.amdhsa_uses_dynamic_stack 0
		.amdhsa_system_sgpr_private_segment_wavefront_offset 0
		.amdhsa_system_sgpr_workgroup_id_x 1
		.amdhsa_system_sgpr_workgroup_id_y 0
		.amdhsa_system_sgpr_workgroup_id_z 0
		.amdhsa_system_sgpr_workgroup_info 0
		.amdhsa_system_vgpr_workitem_id 2
		.amdhsa_next_free_vgpr 39
		.amdhsa_next_free_sgpr 44
		.amdhsa_accum_offset 40
		.amdhsa_reserve_vcc 1
		.amdhsa_reserve_flat_scratch 0
		.amdhsa_float_round_mode_32 0
		.amdhsa_float_round_mode_16_64 0
		.amdhsa_float_denorm_mode_32 3
		.amdhsa_float_denorm_mode_16_64 3
		.amdhsa_dx10_clamp 1
		.amdhsa_ieee_mode 1
		.amdhsa_fp16_overflow 0
		.amdhsa_tg_split 0
		.amdhsa_exception_fp_ieee_invalid_op 0
		.amdhsa_exception_fp_denorm_src 0
		.amdhsa_exception_fp_ieee_div_zero 0
		.amdhsa_exception_fp_ieee_overflow 0
		.amdhsa_exception_fp_ieee_underflow 0
		.amdhsa_exception_fp_ieee_inexact 0
		.amdhsa_exception_int_div_zero 0
	.end_amdhsa_kernel
	.section	.text._ZN7rocprim17ROCPRIM_400000_NS6detail17trampoline_kernelINS0_13kernel_configILj256ELj4ELj4294967295EEENS1_37radix_sort_block_sort_config_selectorIjNS0_10empty_typeEEEZNS1_21radix_sort_block_sortIS4_Lb1EPjS9_PS6_SA_NS0_19identity_decomposerEEE10hipError_tT1_T2_T3_T4_jRjT5_jjP12ihipStream_tbEUlT_E_NS1_11comp_targetILNS1_3genE4ELNS1_11target_archE910ELNS1_3gpuE8ELNS1_3repE0EEENS1_44radix_sort_block_sort_config_static_selectorELNS0_4arch9wavefront6targetE1EEEvSD_,"axG",@progbits,_ZN7rocprim17ROCPRIM_400000_NS6detail17trampoline_kernelINS0_13kernel_configILj256ELj4ELj4294967295EEENS1_37radix_sort_block_sort_config_selectorIjNS0_10empty_typeEEEZNS1_21radix_sort_block_sortIS4_Lb1EPjS9_PS6_SA_NS0_19identity_decomposerEEE10hipError_tT1_T2_T3_T4_jRjT5_jjP12ihipStream_tbEUlT_E_NS1_11comp_targetILNS1_3genE4ELNS1_11target_archE910ELNS1_3gpuE8ELNS1_3repE0EEENS1_44radix_sort_block_sort_config_static_selectorELNS0_4arch9wavefront6targetE1EEEvSD_,comdat
.Lfunc_end2032:
	.size	_ZN7rocprim17ROCPRIM_400000_NS6detail17trampoline_kernelINS0_13kernel_configILj256ELj4ELj4294967295EEENS1_37radix_sort_block_sort_config_selectorIjNS0_10empty_typeEEEZNS1_21radix_sort_block_sortIS4_Lb1EPjS9_PS6_SA_NS0_19identity_decomposerEEE10hipError_tT1_T2_T3_T4_jRjT5_jjP12ihipStream_tbEUlT_E_NS1_11comp_targetILNS1_3genE4ELNS1_11target_archE910ELNS1_3gpuE8ELNS1_3repE0EEENS1_44radix_sort_block_sort_config_static_selectorELNS0_4arch9wavefront6targetE1EEEvSD_, .Lfunc_end2032-_ZN7rocprim17ROCPRIM_400000_NS6detail17trampoline_kernelINS0_13kernel_configILj256ELj4ELj4294967295EEENS1_37radix_sort_block_sort_config_selectorIjNS0_10empty_typeEEEZNS1_21radix_sort_block_sortIS4_Lb1EPjS9_PS6_SA_NS0_19identity_decomposerEEE10hipError_tT1_T2_T3_T4_jRjT5_jjP12ihipStream_tbEUlT_E_NS1_11comp_targetILNS1_3genE4ELNS1_11target_archE910ELNS1_3gpuE8ELNS1_3repE0EEENS1_44radix_sort_block_sort_config_static_selectorELNS0_4arch9wavefront6targetE1EEEvSD_
                                        ; -- End function
	.section	.AMDGPU.csdata,"",@progbits
; Kernel info:
; codeLenInByte = 3152
; NumSgprs: 48
; NumVgprs: 39
; NumAgprs: 0
; TotalNumVgprs: 39
; ScratchSize: 0
; MemoryBound: 0
; FloatMode: 240
; IeeeMode: 1
; LDSByteSize: 4112 bytes/workgroup (compile time only)
; SGPRBlocks: 5
; VGPRBlocks: 4
; NumSGPRsForWavesPerEU: 48
; NumVGPRsForWavesPerEU: 39
; AccumOffset: 40
; Occupancy: 8
; WaveLimiterHint : 1
; COMPUTE_PGM_RSRC2:SCRATCH_EN: 0
; COMPUTE_PGM_RSRC2:USER_SGPR: 6
; COMPUTE_PGM_RSRC2:TRAP_HANDLER: 0
; COMPUTE_PGM_RSRC2:TGID_X_EN: 1
; COMPUTE_PGM_RSRC2:TGID_Y_EN: 0
; COMPUTE_PGM_RSRC2:TGID_Z_EN: 0
; COMPUTE_PGM_RSRC2:TIDIG_COMP_CNT: 2
; COMPUTE_PGM_RSRC3_GFX90A:ACCUM_OFFSET: 9
; COMPUTE_PGM_RSRC3_GFX90A:TG_SPLIT: 0
	.section	.text._ZN7rocprim17ROCPRIM_400000_NS6detail17trampoline_kernelINS0_13kernel_configILj256ELj4ELj4294967295EEENS1_37radix_sort_block_sort_config_selectorIjNS0_10empty_typeEEEZNS1_21radix_sort_block_sortIS4_Lb1EPjS9_PS6_SA_NS0_19identity_decomposerEEE10hipError_tT1_T2_T3_T4_jRjT5_jjP12ihipStream_tbEUlT_E_NS1_11comp_targetILNS1_3genE3ELNS1_11target_archE908ELNS1_3gpuE7ELNS1_3repE0EEENS1_44radix_sort_block_sort_config_static_selectorELNS0_4arch9wavefront6targetE1EEEvSD_,"axG",@progbits,_ZN7rocprim17ROCPRIM_400000_NS6detail17trampoline_kernelINS0_13kernel_configILj256ELj4ELj4294967295EEENS1_37radix_sort_block_sort_config_selectorIjNS0_10empty_typeEEEZNS1_21radix_sort_block_sortIS4_Lb1EPjS9_PS6_SA_NS0_19identity_decomposerEEE10hipError_tT1_T2_T3_T4_jRjT5_jjP12ihipStream_tbEUlT_E_NS1_11comp_targetILNS1_3genE3ELNS1_11target_archE908ELNS1_3gpuE7ELNS1_3repE0EEENS1_44radix_sort_block_sort_config_static_selectorELNS0_4arch9wavefront6targetE1EEEvSD_,comdat
	.protected	_ZN7rocprim17ROCPRIM_400000_NS6detail17trampoline_kernelINS0_13kernel_configILj256ELj4ELj4294967295EEENS1_37radix_sort_block_sort_config_selectorIjNS0_10empty_typeEEEZNS1_21radix_sort_block_sortIS4_Lb1EPjS9_PS6_SA_NS0_19identity_decomposerEEE10hipError_tT1_T2_T3_T4_jRjT5_jjP12ihipStream_tbEUlT_E_NS1_11comp_targetILNS1_3genE3ELNS1_11target_archE908ELNS1_3gpuE7ELNS1_3repE0EEENS1_44radix_sort_block_sort_config_static_selectorELNS0_4arch9wavefront6targetE1EEEvSD_ ; -- Begin function _ZN7rocprim17ROCPRIM_400000_NS6detail17trampoline_kernelINS0_13kernel_configILj256ELj4ELj4294967295EEENS1_37radix_sort_block_sort_config_selectorIjNS0_10empty_typeEEEZNS1_21radix_sort_block_sortIS4_Lb1EPjS9_PS6_SA_NS0_19identity_decomposerEEE10hipError_tT1_T2_T3_T4_jRjT5_jjP12ihipStream_tbEUlT_E_NS1_11comp_targetILNS1_3genE3ELNS1_11target_archE908ELNS1_3gpuE7ELNS1_3repE0EEENS1_44radix_sort_block_sort_config_static_selectorELNS0_4arch9wavefront6targetE1EEEvSD_
	.globl	_ZN7rocprim17ROCPRIM_400000_NS6detail17trampoline_kernelINS0_13kernel_configILj256ELj4ELj4294967295EEENS1_37radix_sort_block_sort_config_selectorIjNS0_10empty_typeEEEZNS1_21radix_sort_block_sortIS4_Lb1EPjS9_PS6_SA_NS0_19identity_decomposerEEE10hipError_tT1_T2_T3_T4_jRjT5_jjP12ihipStream_tbEUlT_E_NS1_11comp_targetILNS1_3genE3ELNS1_11target_archE908ELNS1_3gpuE7ELNS1_3repE0EEENS1_44radix_sort_block_sort_config_static_selectorELNS0_4arch9wavefront6targetE1EEEvSD_
	.p2align	8
	.type	_ZN7rocprim17ROCPRIM_400000_NS6detail17trampoline_kernelINS0_13kernel_configILj256ELj4ELj4294967295EEENS1_37radix_sort_block_sort_config_selectorIjNS0_10empty_typeEEEZNS1_21radix_sort_block_sortIS4_Lb1EPjS9_PS6_SA_NS0_19identity_decomposerEEE10hipError_tT1_T2_T3_T4_jRjT5_jjP12ihipStream_tbEUlT_E_NS1_11comp_targetILNS1_3genE3ELNS1_11target_archE908ELNS1_3gpuE7ELNS1_3repE0EEENS1_44radix_sort_block_sort_config_static_selectorELNS0_4arch9wavefront6targetE1EEEvSD_,@function
_ZN7rocprim17ROCPRIM_400000_NS6detail17trampoline_kernelINS0_13kernel_configILj256ELj4ELj4294967295EEENS1_37radix_sort_block_sort_config_selectorIjNS0_10empty_typeEEEZNS1_21radix_sort_block_sortIS4_Lb1EPjS9_PS6_SA_NS0_19identity_decomposerEEE10hipError_tT1_T2_T3_T4_jRjT5_jjP12ihipStream_tbEUlT_E_NS1_11comp_targetILNS1_3genE3ELNS1_11target_archE908ELNS1_3gpuE7ELNS1_3repE0EEENS1_44radix_sort_block_sort_config_static_selectorELNS0_4arch9wavefront6targetE1EEEvSD_: ; @_ZN7rocprim17ROCPRIM_400000_NS6detail17trampoline_kernelINS0_13kernel_configILj256ELj4ELj4294967295EEENS1_37radix_sort_block_sort_config_selectorIjNS0_10empty_typeEEEZNS1_21radix_sort_block_sortIS4_Lb1EPjS9_PS6_SA_NS0_19identity_decomposerEEE10hipError_tT1_T2_T3_T4_jRjT5_jjP12ihipStream_tbEUlT_E_NS1_11comp_targetILNS1_3genE3ELNS1_11target_archE908ELNS1_3gpuE7ELNS1_3repE0EEENS1_44radix_sort_block_sort_config_static_selectorELNS0_4arch9wavefront6targetE1EEEvSD_
; %bb.0:
	.section	.rodata,"a",@progbits
	.p2align	6, 0x0
	.amdhsa_kernel _ZN7rocprim17ROCPRIM_400000_NS6detail17trampoline_kernelINS0_13kernel_configILj256ELj4ELj4294967295EEENS1_37radix_sort_block_sort_config_selectorIjNS0_10empty_typeEEEZNS1_21radix_sort_block_sortIS4_Lb1EPjS9_PS6_SA_NS0_19identity_decomposerEEE10hipError_tT1_T2_T3_T4_jRjT5_jjP12ihipStream_tbEUlT_E_NS1_11comp_targetILNS1_3genE3ELNS1_11target_archE908ELNS1_3gpuE7ELNS1_3repE0EEENS1_44radix_sort_block_sort_config_static_selectorELNS0_4arch9wavefront6targetE1EEEvSD_
		.amdhsa_group_segment_fixed_size 0
		.amdhsa_private_segment_fixed_size 0
		.amdhsa_kernarg_size 48
		.amdhsa_user_sgpr_count 6
		.amdhsa_user_sgpr_private_segment_buffer 1
		.amdhsa_user_sgpr_dispatch_ptr 0
		.amdhsa_user_sgpr_queue_ptr 0
		.amdhsa_user_sgpr_kernarg_segment_ptr 1
		.amdhsa_user_sgpr_dispatch_id 0
		.amdhsa_user_sgpr_flat_scratch_init 0
		.amdhsa_user_sgpr_kernarg_preload_length 0
		.amdhsa_user_sgpr_kernarg_preload_offset 0
		.amdhsa_user_sgpr_private_segment_size 0
		.amdhsa_uses_dynamic_stack 0
		.amdhsa_system_sgpr_private_segment_wavefront_offset 0
		.amdhsa_system_sgpr_workgroup_id_x 1
		.amdhsa_system_sgpr_workgroup_id_y 0
		.amdhsa_system_sgpr_workgroup_id_z 0
		.amdhsa_system_sgpr_workgroup_info 0
		.amdhsa_system_vgpr_workitem_id 0
		.amdhsa_next_free_vgpr 1
		.amdhsa_next_free_sgpr 0
		.amdhsa_accum_offset 4
		.amdhsa_reserve_vcc 0
		.amdhsa_reserve_flat_scratch 0
		.amdhsa_float_round_mode_32 0
		.amdhsa_float_round_mode_16_64 0
		.amdhsa_float_denorm_mode_32 3
		.amdhsa_float_denorm_mode_16_64 3
		.amdhsa_dx10_clamp 1
		.amdhsa_ieee_mode 1
		.amdhsa_fp16_overflow 0
		.amdhsa_tg_split 0
		.amdhsa_exception_fp_ieee_invalid_op 0
		.amdhsa_exception_fp_denorm_src 0
		.amdhsa_exception_fp_ieee_div_zero 0
		.amdhsa_exception_fp_ieee_overflow 0
		.amdhsa_exception_fp_ieee_underflow 0
		.amdhsa_exception_fp_ieee_inexact 0
		.amdhsa_exception_int_div_zero 0
	.end_amdhsa_kernel
	.section	.text._ZN7rocprim17ROCPRIM_400000_NS6detail17trampoline_kernelINS0_13kernel_configILj256ELj4ELj4294967295EEENS1_37radix_sort_block_sort_config_selectorIjNS0_10empty_typeEEEZNS1_21radix_sort_block_sortIS4_Lb1EPjS9_PS6_SA_NS0_19identity_decomposerEEE10hipError_tT1_T2_T3_T4_jRjT5_jjP12ihipStream_tbEUlT_E_NS1_11comp_targetILNS1_3genE3ELNS1_11target_archE908ELNS1_3gpuE7ELNS1_3repE0EEENS1_44radix_sort_block_sort_config_static_selectorELNS0_4arch9wavefront6targetE1EEEvSD_,"axG",@progbits,_ZN7rocprim17ROCPRIM_400000_NS6detail17trampoline_kernelINS0_13kernel_configILj256ELj4ELj4294967295EEENS1_37radix_sort_block_sort_config_selectorIjNS0_10empty_typeEEEZNS1_21radix_sort_block_sortIS4_Lb1EPjS9_PS6_SA_NS0_19identity_decomposerEEE10hipError_tT1_T2_T3_T4_jRjT5_jjP12ihipStream_tbEUlT_E_NS1_11comp_targetILNS1_3genE3ELNS1_11target_archE908ELNS1_3gpuE7ELNS1_3repE0EEENS1_44radix_sort_block_sort_config_static_selectorELNS0_4arch9wavefront6targetE1EEEvSD_,comdat
.Lfunc_end2033:
	.size	_ZN7rocprim17ROCPRIM_400000_NS6detail17trampoline_kernelINS0_13kernel_configILj256ELj4ELj4294967295EEENS1_37radix_sort_block_sort_config_selectorIjNS0_10empty_typeEEEZNS1_21radix_sort_block_sortIS4_Lb1EPjS9_PS6_SA_NS0_19identity_decomposerEEE10hipError_tT1_T2_T3_T4_jRjT5_jjP12ihipStream_tbEUlT_E_NS1_11comp_targetILNS1_3genE3ELNS1_11target_archE908ELNS1_3gpuE7ELNS1_3repE0EEENS1_44radix_sort_block_sort_config_static_selectorELNS0_4arch9wavefront6targetE1EEEvSD_, .Lfunc_end2033-_ZN7rocprim17ROCPRIM_400000_NS6detail17trampoline_kernelINS0_13kernel_configILj256ELj4ELj4294967295EEENS1_37radix_sort_block_sort_config_selectorIjNS0_10empty_typeEEEZNS1_21radix_sort_block_sortIS4_Lb1EPjS9_PS6_SA_NS0_19identity_decomposerEEE10hipError_tT1_T2_T3_T4_jRjT5_jjP12ihipStream_tbEUlT_E_NS1_11comp_targetILNS1_3genE3ELNS1_11target_archE908ELNS1_3gpuE7ELNS1_3repE0EEENS1_44radix_sort_block_sort_config_static_selectorELNS0_4arch9wavefront6targetE1EEEvSD_
                                        ; -- End function
	.section	.AMDGPU.csdata,"",@progbits
; Kernel info:
; codeLenInByte = 0
; NumSgprs: 4
; NumVgprs: 0
; NumAgprs: 0
; TotalNumVgprs: 0
; ScratchSize: 0
; MemoryBound: 0
; FloatMode: 240
; IeeeMode: 1
; LDSByteSize: 0 bytes/workgroup (compile time only)
; SGPRBlocks: 0
; VGPRBlocks: 0
; NumSGPRsForWavesPerEU: 4
; NumVGPRsForWavesPerEU: 1
; AccumOffset: 4
; Occupancy: 8
; WaveLimiterHint : 0
; COMPUTE_PGM_RSRC2:SCRATCH_EN: 0
; COMPUTE_PGM_RSRC2:USER_SGPR: 6
; COMPUTE_PGM_RSRC2:TRAP_HANDLER: 0
; COMPUTE_PGM_RSRC2:TGID_X_EN: 1
; COMPUTE_PGM_RSRC2:TGID_Y_EN: 0
; COMPUTE_PGM_RSRC2:TGID_Z_EN: 0
; COMPUTE_PGM_RSRC2:TIDIG_COMP_CNT: 0
; COMPUTE_PGM_RSRC3_GFX90A:ACCUM_OFFSET: 0
; COMPUTE_PGM_RSRC3_GFX90A:TG_SPLIT: 0
	.section	.text._ZN7rocprim17ROCPRIM_400000_NS6detail17trampoline_kernelINS0_13kernel_configILj256ELj4ELj4294967295EEENS1_37radix_sort_block_sort_config_selectorIjNS0_10empty_typeEEEZNS1_21radix_sort_block_sortIS4_Lb1EPjS9_PS6_SA_NS0_19identity_decomposerEEE10hipError_tT1_T2_T3_T4_jRjT5_jjP12ihipStream_tbEUlT_E_NS1_11comp_targetILNS1_3genE2ELNS1_11target_archE906ELNS1_3gpuE6ELNS1_3repE0EEENS1_44radix_sort_block_sort_config_static_selectorELNS0_4arch9wavefront6targetE1EEEvSD_,"axG",@progbits,_ZN7rocprim17ROCPRIM_400000_NS6detail17trampoline_kernelINS0_13kernel_configILj256ELj4ELj4294967295EEENS1_37radix_sort_block_sort_config_selectorIjNS0_10empty_typeEEEZNS1_21radix_sort_block_sortIS4_Lb1EPjS9_PS6_SA_NS0_19identity_decomposerEEE10hipError_tT1_T2_T3_T4_jRjT5_jjP12ihipStream_tbEUlT_E_NS1_11comp_targetILNS1_3genE2ELNS1_11target_archE906ELNS1_3gpuE6ELNS1_3repE0EEENS1_44radix_sort_block_sort_config_static_selectorELNS0_4arch9wavefront6targetE1EEEvSD_,comdat
	.protected	_ZN7rocprim17ROCPRIM_400000_NS6detail17trampoline_kernelINS0_13kernel_configILj256ELj4ELj4294967295EEENS1_37radix_sort_block_sort_config_selectorIjNS0_10empty_typeEEEZNS1_21radix_sort_block_sortIS4_Lb1EPjS9_PS6_SA_NS0_19identity_decomposerEEE10hipError_tT1_T2_T3_T4_jRjT5_jjP12ihipStream_tbEUlT_E_NS1_11comp_targetILNS1_3genE2ELNS1_11target_archE906ELNS1_3gpuE6ELNS1_3repE0EEENS1_44radix_sort_block_sort_config_static_selectorELNS0_4arch9wavefront6targetE1EEEvSD_ ; -- Begin function _ZN7rocprim17ROCPRIM_400000_NS6detail17trampoline_kernelINS0_13kernel_configILj256ELj4ELj4294967295EEENS1_37radix_sort_block_sort_config_selectorIjNS0_10empty_typeEEEZNS1_21radix_sort_block_sortIS4_Lb1EPjS9_PS6_SA_NS0_19identity_decomposerEEE10hipError_tT1_T2_T3_T4_jRjT5_jjP12ihipStream_tbEUlT_E_NS1_11comp_targetILNS1_3genE2ELNS1_11target_archE906ELNS1_3gpuE6ELNS1_3repE0EEENS1_44radix_sort_block_sort_config_static_selectorELNS0_4arch9wavefront6targetE1EEEvSD_
	.globl	_ZN7rocprim17ROCPRIM_400000_NS6detail17trampoline_kernelINS0_13kernel_configILj256ELj4ELj4294967295EEENS1_37radix_sort_block_sort_config_selectorIjNS0_10empty_typeEEEZNS1_21radix_sort_block_sortIS4_Lb1EPjS9_PS6_SA_NS0_19identity_decomposerEEE10hipError_tT1_T2_T3_T4_jRjT5_jjP12ihipStream_tbEUlT_E_NS1_11comp_targetILNS1_3genE2ELNS1_11target_archE906ELNS1_3gpuE6ELNS1_3repE0EEENS1_44radix_sort_block_sort_config_static_selectorELNS0_4arch9wavefront6targetE1EEEvSD_
	.p2align	8
	.type	_ZN7rocprim17ROCPRIM_400000_NS6detail17trampoline_kernelINS0_13kernel_configILj256ELj4ELj4294967295EEENS1_37radix_sort_block_sort_config_selectorIjNS0_10empty_typeEEEZNS1_21radix_sort_block_sortIS4_Lb1EPjS9_PS6_SA_NS0_19identity_decomposerEEE10hipError_tT1_T2_T3_T4_jRjT5_jjP12ihipStream_tbEUlT_E_NS1_11comp_targetILNS1_3genE2ELNS1_11target_archE906ELNS1_3gpuE6ELNS1_3repE0EEENS1_44radix_sort_block_sort_config_static_selectorELNS0_4arch9wavefront6targetE1EEEvSD_,@function
_ZN7rocprim17ROCPRIM_400000_NS6detail17trampoline_kernelINS0_13kernel_configILj256ELj4ELj4294967295EEENS1_37radix_sort_block_sort_config_selectorIjNS0_10empty_typeEEEZNS1_21radix_sort_block_sortIS4_Lb1EPjS9_PS6_SA_NS0_19identity_decomposerEEE10hipError_tT1_T2_T3_T4_jRjT5_jjP12ihipStream_tbEUlT_E_NS1_11comp_targetILNS1_3genE2ELNS1_11target_archE906ELNS1_3gpuE6ELNS1_3repE0EEENS1_44radix_sort_block_sort_config_static_selectorELNS0_4arch9wavefront6targetE1EEEvSD_: ; @_ZN7rocprim17ROCPRIM_400000_NS6detail17trampoline_kernelINS0_13kernel_configILj256ELj4ELj4294967295EEENS1_37radix_sort_block_sort_config_selectorIjNS0_10empty_typeEEEZNS1_21radix_sort_block_sortIS4_Lb1EPjS9_PS6_SA_NS0_19identity_decomposerEEE10hipError_tT1_T2_T3_T4_jRjT5_jjP12ihipStream_tbEUlT_E_NS1_11comp_targetILNS1_3genE2ELNS1_11target_archE906ELNS1_3gpuE6ELNS1_3repE0EEENS1_44radix_sort_block_sort_config_static_selectorELNS0_4arch9wavefront6targetE1EEEvSD_
; %bb.0:
	.section	.rodata,"a",@progbits
	.p2align	6, 0x0
	.amdhsa_kernel _ZN7rocprim17ROCPRIM_400000_NS6detail17trampoline_kernelINS0_13kernel_configILj256ELj4ELj4294967295EEENS1_37radix_sort_block_sort_config_selectorIjNS0_10empty_typeEEEZNS1_21radix_sort_block_sortIS4_Lb1EPjS9_PS6_SA_NS0_19identity_decomposerEEE10hipError_tT1_T2_T3_T4_jRjT5_jjP12ihipStream_tbEUlT_E_NS1_11comp_targetILNS1_3genE2ELNS1_11target_archE906ELNS1_3gpuE6ELNS1_3repE0EEENS1_44radix_sort_block_sort_config_static_selectorELNS0_4arch9wavefront6targetE1EEEvSD_
		.amdhsa_group_segment_fixed_size 0
		.amdhsa_private_segment_fixed_size 0
		.amdhsa_kernarg_size 48
		.amdhsa_user_sgpr_count 6
		.amdhsa_user_sgpr_private_segment_buffer 1
		.amdhsa_user_sgpr_dispatch_ptr 0
		.amdhsa_user_sgpr_queue_ptr 0
		.amdhsa_user_sgpr_kernarg_segment_ptr 1
		.amdhsa_user_sgpr_dispatch_id 0
		.amdhsa_user_sgpr_flat_scratch_init 0
		.amdhsa_user_sgpr_kernarg_preload_length 0
		.amdhsa_user_sgpr_kernarg_preload_offset 0
		.amdhsa_user_sgpr_private_segment_size 0
		.amdhsa_uses_dynamic_stack 0
		.amdhsa_system_sgpr_private_segment_wavefront_offset 0
		.amdhsa_system_sgpr_workgroup_id_x 1
		.amdhsa_system_sgpr_workgroup_id_y 0
		.amdhsa_system_sgpr_workgroup_id_z 0
		.amdhsa_system_sgpr_workgroup_info 0
		.amdhsa_system_vgpr_workitem_id 0
		.amdhsa_next_free_vgpr 1
		.amdhsa_next_free_sgpr 0
		.amdhsa_accum_offset 4
		.amdhsa_reserve_vcc 0
		.amdhsa_reserve_flat_scratch 0
		.amdhsa_float_round_mode_32 0
		.amdhsa_float_round_mode_16_64 0
		.amdhsa_float_denorm_mode_32 3
		.amdhsa_float_denorm_mode_16_64 3
		.amdhsa_dx10_clamp 1
		.amdhsa_ieee_mode 1
		.amdhsa_fp16_overflow 0
		.amdhsa_tg_split 0
		.amdhsa_exception_fp_ieee_invalid_op 0
		.amdhsa_exception_fp_denorm_src 0
		.amdhsa_exception_fp_ieee_div_zero 0
		.amdhsa_exception_fp_ieee_overflow 0
		.amdhsa_exception_fp_ieee_underflow 0
		.amdhsa_exception_fp_ieee_inexact 0
		.amdhsa_exception_int_div_zero 0
	.end_amdhsa_kernel
	.section	.text._ZN7rocprim17ROCPRIM_400000_NS6detail17trampoline_kernelINS0_13kernel_configILj256ELj4ELj4294967295EEENS1_37radix_sort_block_sort_config_selectorIjNS0_10empty_typeEEEZNS1_21radix_sort_block_sortIS4_Lb1EPjS9_PS6_SA_NS0_19identity_decomposerEEE10hipError_tT1_T2_T3_T4_jRjT5_jjP12ihipStream_tbEUlT_E_NS1_11comp_targetILNS1_3genE2ELNS1_11target_archE906ELNS1_3gpuE6ELNS1_3repE0EEENS1_44radix_sort_block_sort_config_static_selectorELNS0_4arch9wavefront6targetE1EEEvSD_,"axG",@progbits,_ZN7rocprim17ROCPRIM_400000_NS6detail17trampoline_kernelINS0_13kernel_configILj256ELj4ELj4294967295EEENS1_37radix_sort_block_sort_config_selectorIjNS0_10empty_typeEEEZNS1_21radix_sort_block_sortIS4_Lb1EPjS9_PS6_SA_NS0_19identity_decomposerEEE10hipError_tT1_T2_T3_T4_jRjT5_jjP12ihipStream_tbEUlT_E_NS1_11comp_targetILNS1_3genE2ELNS1_11target_archE906ELNS1_3gpuE6ELNS1_3repE0EEENS1_44radix_sort_block_sort_config_static_selectorELNS0_4arch9wavefront6targetE1EEEvSD_,comdat
.Lfunc_end2034:
	.size	_ZN7rocprim17ROCPRIM_400000_NS6detail17trampoline_kernelINS0_13kernel_configILj256ELj4ELj4294967295EEENS1_37radix_sort_block_sort_config_selectorIjNS0_10empty_typeEEEZNS1_21radix_sort_block_sortIS4_Lb1EPjS9_PS6_SA_NS0_19identity_decomposerEEE10hipError_tT1_T2_T3_T4_jRjT5_jjP12ihipStream_tbEUlT_E_NS1_11comp_targetILNS1_3genE2ELNS1_11target_archE906ELNS1_3gpuE6ELNS1_3repE0EEENS1_44radix_sort_block_sort_config_static_selectorELNS0_4arch9wavefront6targetE1EEEvSD_, .Lfunc_end2034-_ZN7rocprim17ROCPRIM_400000_NS6detail17trampoline_kernelINS0_13kernel_configILj256ELj4ELj4294967295EEENS1_37radix_sort_block_sort_config_selectorIjNS0_10empty_typeEEEZNS1_21radix_sort_block_sortIS4_Lb1EPjS9_PS6_SA_NS0_19identity_decomposerEEE10hipError_tT1_T2_T3_T4_jRjT5_jjP12ihipStream_tbEUlT_E_NS1_11comp_targetILNS1_3genE2ELNS1_11target_archE906ELNS1_3gpuE6ELNS1_3repE0EEENS1_44radix_sort_block_sort_config_static_selectorELNS0_4arch9wavefront6targetE1EEEvSD_
                                        ; -- End function
	.section	.AMDGPU.csdata,"",@progbits
; Kernel info:
; codeLenInByte = 0
; NumSgprs: 4
; NumVgprs: 0
; NumAgprs: 0
; TotalNumVgprs: 0
; ScratchSize: 0
; MemoryBound: 0
; FloatMode: 240
; IeeeMode: 1
; LDSByteSize: 0 bytes/workgroup (compile time only)
; SGPRBlocks: 0
; VGPRBlocks: 0
; NumSGPRsForWavesPerEU: 4
; NumVGPRsForWavesPerEU: 1
; AccumOffset: 4
; Occupancy: 8
; WaveLimiterHint : 0
; COMPUTE_PGM_RSRC2:SCRATCH_EN: 0
; COMPUTE_PGM_RSRC2:USER_SGPR: 6
; COMPUTE_PGM_RSRC2:TRAP_HANDLER: 0
; COMPUTE_PGM_RSRC2:TGID_X_EN: 1
; COMPUTE_PGM_RSRC2:TGID_Y_EN: 0
; COMPUTE_PGM_RSRC2:TGID_Z_EN: 0
; COMPUTE_PGM_RSRC2:TIDIG_COMP_CNT: 0
; COMPUTE_PGM_RSRC3_GFX90A:ACCUM_OFFSET: 0
; COMPUTE_PGM_RSRC3_GFX90A:TG_SPLIT: 0
	.section	.text._ZN7rocprim17ROCPRIM_400000_NS6detail17trampoline_kernelINS0_13kernel_configILj256ELj4ELj4294967295EEENS1_37radix_sort_block_sort_config_selectorIjNS0_10empty_typeEEEZNS1_21radix_sort_block_sortIS4_Lb1EPjS9_PS6_SA_NS0_19identity_decomposerEEE10hipError_tT1_T2_T3_T4_jRjT5_jjP12ihipStream_tbEUlT_E_NS1_11comp_targetILNS1_3genE10ELNS1_11target_archE1201ELNS1_3gpuE5ELNS1_3repE0EEENS1_44radix_sort_block_sort_config_static_selectorELNS0_4arch9wavefront6targetE1EEEvSD_,"axG",@progbits,_ZN7rocprim17ROCPRIM_400000_NS6detail17trampoline_kernelINS0_13kernel_configILj256ELj4ELj4294967295EEENS1_37radix_sort_block_sort_config_selectorIjNS0_10empty_typeEEEZNS1_21radix_sort_block_sortIS4_Lb1EPjS9_PS6_SA_NS0_19identity_decomposerEEE10hipError_tT1_T2_T3_T4_jRjT5_jjP12ihipStream_tbEUlT_E_NS1_11comp_targetILNS1_3genE10ELNS1_11target_archE1201ELNS1_3gpuE5ELNS1_3repE0EEENS1_44radix_sort_block_sort_config_static_selectorELNS0_4arch9wavefront6targetE1EEEvSD_,comdat
	.protected	_ZN7rocprim17ROCPRIM_400000_NS6detail17trampoline_kernelINS0_13kernel_configILj256ELj4ELj4294967295EEENS1_37radix_sort_block_sort_config_selectorIjNS0_10empty_typeEEEZNS1_21radix_sort_block_sortIS4_Lb1EPjS9_PS6_SA_NS0_19identity_decomposerEEE10hipError_tT1_T2_T3_T4_jRjT5_jjP12ihipStream_tbEUlT_E_NS1_11comp_targetILNS1_3genE10ELNS1_11target_archE1201ELNS1_3gpuE5ELNS1_3repE0EEENS1_44radix_sort_block_sort_config_static_selectorELNS0_4arch9wavefront6targetE1EEEvSD_ ; -- Begin function _ZN7rocprim17ROCPRIM_400000_NS6detail17trampoline_kernelINS0_13kernel_configILj256ELj4ELj4294967295EEENS1_37radix_sort_block_sort_config_selectorIjNS0_10empty_typeEEEZNS1_21radix_sort_block_sortIS4_Lb1EPjS9_PS6_SA_NS0_19identity_decomposerEEE10hipError_tT1_T2_T3_T4_jRjT5_jjP12ihipStream_tbEUlT_E_NS1_11comp_targetILNS1_3genE10ELNS1_11target_archE1201ELNS1_3gpuE5ELNS1_3repE0EEENS1_44radix_sort_block_sort_config_static_selectorELNS0_4arch9wavefront6targetE1EEEvSD_
	.globl	_ZN7rocprim17ROCPRIM_400000_NS6detail17trampoline_kernelINS0_13kernel_configILj256ELj4ELj4294967295EEENS1_37radix_sort_block_sort_config_selectorIjNS0_10empty_typeEEEZNS1_21radix_sort_block_sortIS4_Lb1EPjS9_PS6_SA_NS0_19identity_decomposerEEE10hipError_tT1_T2_T3_T4_jRjT5_jjP12ihipStream_tbEUlT_E_NS1_11comp_targetILNS1_3genE10ELNS1_11target_archE1201ELNS1_3gpuE5ELNS1_3repE0EEENS1_44radix_sort_block_sort_config_static_selectorELNS0_4arch9wavefront6targetE1EEEvSD_
	.p2align	8
	.type	_ZN7rocprim17ROCPRIM_400000_NS6detail17trampoline_kernelINS0_13kernel_configILj256ELj4ELj4294967295EEENS1_37radix_sort_block_sort_config_selectorIjNS0_10empty_typeEEEZNS1_21radix_sort_block_sortIS4_Lb1EPjS9_PS6_SA_NS0_19identity_decomposerEEE10hipError_tT1_T2_T3_T4_jRjT5_jjP12ihipStream_tbEUlT_E_NS1_11comp_targetILNS1_3genE10ELNS1_11target_archE1201ELNS1_3gpuE5ELNS1_3repE0EEENS1_44radix_sort_block_sort_config_static_selectorELNS0_4arch9wavefront6targetE1EEEvSD_,@function
_ZN7rocprim17ROCPRIM_400000_NS6detail17trampoline_kernelINS0_13kernel_configILj256ELj4ELj4294967295EEENS1_37radix_sort_block_sort_config_selectorIjNS0_10empty_typeEEEZNS1_21radix_sort_block_sortIS4_Lb1EPjS9_PS6_SA_NS0_19identity_decomposerEEE10hipError_tT1_T2_T3_T4_jRjT5_jjP12ihipStream_tbEUlT_E_NS1_11comp_targetILNS1_3genE10ELNS1_11target_archE1201ELNS1_3gpuE5ELNS1_3repE0EEENS1_44radix_sort_block_sort_config_static_selectorELNS0_4arch9wavefront6targetE1EEEvSD_: ; @_ZN7rocprim17ROCPRIM_400000_NS6detail17trampoline_kernelINS0_13kernel_configILj256ELj4ELj4294967295EEENS1_37radix_sort_block_sort_config_selectorIjNS0_10empty_typeEEEZNS1_21radix_sort_block_sortIS4_Lb1EPjS9_PS6_SA_NS0_19identity_decomposerEEE10hipError_tT1_T2_T3_T4_jRjT5_jjP12ihipStream_tbEUlT_E_NS1_11comp_targetILNS1_3genE10ELNS1_11target_archE1201ELNS1_3gpuE5ELNS1_3repE0EEENS1_44radix_sort_block_sort_config_static_selectorELNS0_4arch9wavefront6targetE1EEEvSD_
; %bb.0:
	.section	.rodata,"a",@progbits
	.p2align	6, 0x0
	.amdhsa_kernel _ZN7rocprim17ROCPRIM_400000_NS6detail17trampoline_kernelINS0_13kernel_configILj256ELj4ELj4294967295EEENS1_37radix_sort_block_sort_config_selectorIjNS0_10empty_typeEEEZNS1_21radix_sort_block_sortIS4_Lb1EPjS9_PS6_SA_NS0_19identity_decomposerEEE10hipError_tT1_T2_T3_T4_jRjT5_jjP12ihipStream_tbEUlT_E_NS1_11comp_targetILNS1_3genE10ELNS1_11target_archE1201ELNS1_3gpuE5ELNS1_3repE0EEENS1_44radix_sort_block_sort_config_static_selectorELNS0_4arch9wavefront6targetE1EEEvSD_
		.amdhsa_group_segment_fixed_size 0
		.amdhsa_private_segment_fixed_size 0
		.amdhsa_kernarg_size 48
		.amdhsa_user_sgpr_count 6
		.amdhsa_user_sgpr_private_segment_buffer 1
		.amdhsa_user_sgpr_dispatch_ptr 0
		.amdhsa_user_sgpr_queue_ptr 0
		.amdhsa_user_sgpr_kernarg_segment_ptr 1
		.amdhsa_user_sgpr_dispatch_id 0
		.amdhsa_user_sgpr_flat_scratch_init 0
		.amdhsa_user_sgpr_kernarg_preload_length 0
		.amdhsa_user_sgpr_kernarg_preload_offset 0
		.amdhsa_user_sgpr_private_segment_size 0
		.amdhsa_uses_dynamic_stack 0
		.amdhsa_system_sgpr_private_segment_wavefront_offset 0
		.amdhsa_system_sgpr_workgroup_id_x 1
		.amdhsa_system_sgpr_workgroup_id_y 0
		.amdhsa_system_sgpr_workgroup_id_z 0
		.amdhsa_system_sgpr_workgroup_info 0
		.amdhsa_system_vgpr_workitem_id 0
		.amdhsa_next_free_vgpr 1
		.amdhsa_next_free_sgpr 0
		.amdhsa_accum_offset 4
		.amdhsa_reserve_vcc 0
		.amdhsa_reserve_flat_scratch 0
		.amdhsa_float_round_mode_32 0
		.amdhsa_float_round_mode_16_64 0
		.amdhsa_float_denorm_mode_32 3
		.amdhsa_float_denorm_mode_16_64 3
		.amdhsa_dx10_clamp 1
		.amdhsa_ieee_mode 1
		.amdhsa_fp16_overflow 0
		.amdhsa_tg_split 0
		.amdhsa_exception_fp_ieee_invalid_op 0
		.amdhsa_exception_fp_denorm_src 0
		.amdhsa_exception_fp_ieee_div_zero 0
		.amdhsa_exception_fp_ieee_overflow 0
		.amdhsa_exception_fp_ieee_underflow 0
		.amdhsa_exception_fp_ieee_inexact 0
		.amdhsa_exception_int_div_zero 0
	.end_amdhsa_kernel
	.section	.text._ZN7rocprim17ROCPRIM_400000_NS6detail17trampoline_kernelINS0_13kernel_configILj256ELj4ELj4294967295EEENS1_37radix_sort_block_sort_config_selectorIjNS0_10empty_typeEEEZNS1_21radix_sort_block_sortIS4_Lb1EPjS9_PS6_SA_NS0_19identity_decomposerEEE10hipError_tT1_T2_T3_T4_jRjT5_jjP12ihipStream_tbEUlT_E_NS1_11comp_targetILNS1_3genE10ELNS1_11target_archE1201ELNS1_3gpuE5ELNS1_3repE0EEENS1_44radix_sort_block_sort_config_static_selectorELNS0_4arch9wavefront6targetE1EEEvSD_,"axG",@progbits,_ZN7rocprim17ROCPRIM_400000_NS6detail17trampoline_kernelINS0_13kernel_configILj256ELj4ELj4294967295EEENS1_37radix_sort_block_sort_config_selectorIjNS0_10empty_typeEEEZNS1_21radix_sort_block_sortIS4_Lb1EPjS9_PS6_SA_NS0_19identity_decomposerEEE10hipError_tT1_T2_T3_T4_jRjT5_jjP12ihipStream_tbEUlT_E_NS1_11comp_targetILNS1_3genE10ELNS1_11target_archE1201ELNS1_3gpuE5ELNS1_3repE0EEENS1_44radix_sort_block_sort_config_static_selectorELNS0_4arch9wavefront6targetE1EEEvSD_,comdat
.Lfunc_end2035:
	.size	_ZN7rocprim17ROCPRIM_400000_NS6detail17trampoline_kernelINS0_13kernel_configILj256ELj4ELj4294967295EEENS1_37radix_sort_block_sort_config_selectorIjNS0_10empty_typeEEEZNS1_21radix_sort_block_sortIS4_Lb1EPjS9_PS6_SA_NS0_19identity_decomposerEEE10hipError_tT1_T2_T3_T4_jRjT5_jjP12ihipStream_tbEUlT_E_NS1_11comp_targetILNS1_3genE10ELNS1_11target_archE1201ELNS1_3gpuE5ELNS1_3repE0EEENS1_44radix_sort_block_sort_config_static_selectorELNS0_4arch9wavefront6targetE1EEEvSD_, .Lfunc_end2035-_ZN7rocprim17ROCPRIM_400000_NS6detail17trampoline_kernelINS0_13kernel_configILj256ELj4ELj4294967295EEENS1_37radix_sort_block_sort_config_selectorIjNS0_10empty_typeEEEZNS1_21radix_sort_block_sortIS4_Lb1EPjS9_PS6_SA_NS0_19identity_decomposerEEE10hipError_tT1_T2_T3_T4_jRjT5_jjP12ihipStream_tbEUlT_E_NS1_11comp_targetILNS1_3genE10ELNS1_11target_archE1201ELNS1_3gpuE5ELNS1_3repE0EEENS1_44radix_sort_block_sort_config_static_selectorELNS0_4arch9wavefront6targetE1EEEvSD_
                                        ; -- End function
	.section	.AMDGPU.csdata,"",@progbits
; Kernel info:
; codeLenInByte = 0
; NumSgprs: 4
; NumVgprs: 0
; NumAgprs: 0
; TotalNumVgprs: 0
; ScratchSize: 0
; MemoryBound: 0
; FloatMode: 240
; IeeeMode: 1
; LDSByteSize: 0 bytes/workgroup (compile time only)
; SGPRBlocks: 0
; VGPRBlocks: 0
; NumSGPRsForWavesPerEU: 4
; NumVGPRsForWavesPerEU: 1
; AccumOffset: 4
; Occupancy: 8
; WaveLimiterHint : 0
; COMPUTE_PGM_RSRC2:SCRATCH_EN: 0
; COMPUTE_PGM_RSRC2:USER_SGPR: 6
; COMPUTE_PGM_RSRC2:TRAP_HANDLER: 0
; COMPUTE_PGM_RSRC2:TGID_X_EN: 1
; COMPUTE_PGM_RSRC2:TGID_Y_EN: 0
; COMPUTE_PGM_RSRC2:TGID_Z_EN: 0
; COMPUTE_PGM_RSRC2:TIDIG_COMP_CNT: 0
; COMPUTE_PGM_RSRC3_GFX90A:ACCUM_OFFSET: 0
; COMPUTE_PGM_RSRC3_GFX90A:TG_SPLIT: 0
	.section	.text._ZN7rocprim17ROCPRIM_400000_NS6detail17trampoline_kernelINS0_13kernel_configILj256ELj4ELj4294967295EEENS1_37radix_sort_block_sort_config_selectorIjNS0_10empty_typeEEEZNS1_21radix_sort_block_sortIS4_Lb1EPjS9_PS6_SA_NS0_19identity_decomposerEEE10hipError_tT1_T2_T3_T4_jRjT5_jjP12ihipStream_tbEUlT_E_NS1_11comp_targetILNS1_3genE10ELNS1_11target_archE1200ELNS1_3gpuE4ELNS1_3repE0EEENS1_44radix_sort_block_sort_config_static_selectorELNS0_4arch9wavefront6targetE1EEEvSD_,"axG",@progbits,_ZN7rocprim17ROCPRIM_400000_NS6detail17trampoline_kernelINS0_13kernel_configILj256ELj4ELj4294967295EEENS1_37radix_sort_block_sort_config_selectorIjNS0_10empty_typeEEEZNS1_21radix_sort_block_sortIS4_Lb1EPjS9_PS6_SA_NS0_19identity_decomposerEEE10hipError_tT1_T2_T3_T4_jRjT5_jjP12ihipStream_tbEUlT_E_NS1_11comp_targetILNS1_3genE10ELNS1_11target_archE1200ELNS1_3gpuE4ELNS1_3repE0EEENS1_44radix_sort_block_sort_config_static_selectorELNS0_4arch9wavefront6targetE1EEEvSD_,comdat
	.protected	_ZN7rocprim17ROCPRIM_400000_NS6detail17trampoline_kernelINS0_13kernel_configILj256ELj4ELj4294967295EEENS1_37radix_sort_block_sort_config_selectorIjNS0_10empty_typeEEEZNS1_21radix_sort_block_sortIS4_Lb1EPjS9_PS6_SA_NS0_19identity_decomposerEEE10hipError_tT1_T2_T3_T4_jRjT5_jjP12ihipStream_tbEUlT_E_NS1_11comp_targetILNS1_3genE10ELNS1_11target_archE1200ELNS1_3gpuE4ELNS1_3repE0EEENS1_44radix_sort_block_sort_config_static_selectorELNS0_4arch9wavefront6targetE1EEEvSD_ ; -- Begin function _ZN7rocprim17ROCPRIM_400000_NS6detail17trampoline_kernelINS0_13kernel_configILj256ELj4ELj4294967295EEENS1_37radix_sort_block_sort_config_selectorIjNS0_10empty_typeEEEZNS1_21radix_sort_block_sortIS4_Lb1EPjS9_PS6_SA_NS0_19identity_decomposerEEE10hipError_tT1_T2_T3_T4_jRjT5_jjP12ihipStream_tbEUlT_E_NS1_11comp_targetILNS1_3genE10ELNS1_11target_archE1200ELNS1_3gpuE4ELNS1_3repE0EEENS1_44radix_sort_block_sort_config_static_selectorELNS0_4arch9wavefront6targetE1EEEvSD_
	.globl	_ZN7rocprim17ROCPRIM_400000_NS6detail17trampoline_kernelINS0_13kernel_configILj256ELj4ELj4294967295EEENS1_37radix_sort_block_sort_config_selectorIjNS0_10empty_typeEEEZNS1_21radix_sort_block_sortIS4_Lb1EPjS9_PS6_SA_NS0_19identity_decomposerEEE10hipError_tT1_T2_T3_T4_jRjT5_jjP12ihipStream_tbEUlT_E_NS1_11comp_targetILNS1_3genE10ELNS1_11target_archE1200ELNS1_3gpuE4ELNS1_3repE0EEENS1_44radix_sort_block_sort_config_static_selectorELNS0_4arch9wavefront6targetE1EEEvSD_
	.p2align	8
	.type	_ZN7rocprim17ROCPRIM_400000_NS6detail17trampoline_kernelINS0_13kernel_configILj256ELj4ELj4294967295EEENS1_37radix_sort_block_sort_config_selectorIjNS0_10empty_typeEEEZNS1_21radix_sort_block_sortIS4_Lb1EPjS9_PS6_SA_NS0_19identity_decomposerEEE10hipError_tT1_T2_T3_T4_jRjT5_jjP12ihipStream_tbEUlT_E_NS1_11comp_targetILNS1_3genE10ELNS1_11target_archE1200ELNS1_3gpuE4ELNS1_3repE0EEENS1_44radix_sort_block_sort_config_static_selectorELNS0_4arch9wavefront6targetE1EEEvSD_,@function
_ZN7rocprim17ROCPRIM_400000_NS6detail17trampoline_kernelINS0_13kernel_configILj256ELj4ELj4294967295EEENS1_37radix_sort_block_sort_config_selectorIjNS0_10empty_typeEEEZNS1_21radix_sort_block_sortIS4_Lb1EPjS9_PS6_SA_NS0_19identity_decomposerEEE10hipError_tT1_T2_T3_T4_jRjT5_jjP12ihipStream_tbEUlT_E_NS1_11comp_targetILNS1_3genE10ELNS1_11target_archE1200ELNS1_3gpuE4ELNS1_3repE0EEENS1_44radix_sort_block_sort_config_static_selectorELNS0_4arch9wavefront6targetE1EEEvSD_: ; @_ZN7rocprim17ROCPRIM_400000_NS6detail17trampoline_kernelINS0_13kernel_configILj256ELj4ELj4294967295EEENS1_37radix_sort_block_sort_config_selectorIjNS0_10empty_typeEEEZNS1_21radix_sort_block_sortIS4_Lb1EPjS9_PS6_SA_NS0_19identity_decomposerEEE10hipError_tT1_T2_T3_T4_jRjT5_jjP12ihipStream_tbEUlT_E_NS1_11comp_targetILNS1_3genE10ELNS1_11target_archE1200ELNS1_3gpuE4ELNS1_3repE0EEENS1_44radix_sort_block_sort_config_static_selectorELNS0_4arch9wavefront6targetE1EEEvSD_
; %bb.0:
	.section	.rodata,"a",@progbits
	.p2align	6, 0x0
	.amdhsa_kernel _ZN7rocprim17ROCPRIM_400000_NS6detail17trampoline_kernelINS0_13kernel_configILj256ELj4ELj4294967295EEENS1_37radix_sort_block_sort_config_selectorIjNS0_10empty_typeEEEZNS1_21radix_sort_block_sortIS4_Lb1EPjS9_PS6_SA_NS0_19identity_decomposerEEE10hipError_tT1_T2_T3_T4_jRjT5_jjP12ihipStream_tbEUlT_E_NS1_11comp_targetILNS1_3genE10ELNS1_11target_archE1200ELNS1_3gpuE4ELNS1_3repE0EEENS1_44radix_sort_block_sort_config_static_selectorELNS0_4arch9wavefront6targetE1EEEvSD_
		.amdhsa_group_segment_fixed_size 0
		.amdhsa_private_segment_fixed_size 0
		.amdhsa_kernarg_size 48
		.amdhsa_user_sgpr_count 6
		.amdhsa_user_sgpr_private_segment_buffer 1
		.amdhsa_user_sgpr_dispatch_ptr 0
		.amdhsa_user_sgpr_queue_ptr 0
		.amdhsa_user_sgpr_kernarg_segment_ptr 1
		.amdhsa_user_sgpr_dispatch_id 0
		.amdhsa_user_sgpr_flat_scratch_init 0
		.amdhsa_user_sgpr_kernarg_preload_length 0
		.amdhsa_user_sgpr_kernarg_preload_offset 0
		.amdhsa_user_sgpr_private_segment_size 0
		.amdhsa_uses_dynamic_stack 0
		.amdhsa_system_sgpr_private_segment_wavefront_offset 0
		.amdhsa_system_sgpr_workgroup_id_x 1
		.amdhsa_system_sgpr_workgroup_id_y 0
		.amdhsa_system_sgpr_workgroup_id_z 0
		.amdhsa_system_sgpr_workgroup_info 0
		.amdhsa_system_vgpr_workitem_id 0
		.amdhsa_next_free_vgpr 1
		.amdhsa_next_free_sgpr 0
		.amdhsa_accum_offset 4
		.amdhsa_reserve_vcc 0
		.amdhsa_reserve_flat_scratch 0
		.amdhsa_float_round_mode_32 0
		.amdhsa_float_round_mode_16_64 0
		.amdhsa_float_denorm_mode_32 3
		.amdhsa_float_denorm_mode_16_64 3
		.amdhsa_dx10_clamp 1
		.amdhsa_ieee_mode 1
		.amdhsa_fp16_overflow 0
		.amdhsa_tg_split 0
		.amdhsa_exception_fp_ieee_invalid_op 0
		.amdhsa_exception_fp_denorm_src 0
		.amdhsa_exception_fp_ieee_div_zero 0
		.amdhsa_exception_fp_ieee_overflow 0
		.amdhsa_exception_fp_ieee_underflow 0
		.amdhsa_exception_fp_ieee_inexact 0
		.amdhsa_exception_int_div_zero 0
	.end_amdhsa_kernel
	.section	.text._ZN7rocprim17ROCPRIM_400000_NS6detail17trampoline_kernelINS0_13kernel_configILj256ELj4ELj4294967295EEENS1_37radix_sort_block_sort_config_selectorIjNS0_10empty_typeEEEZNS1_21radix_sort_block_sortIS4_Lb1EPjS9_PS6_SA_NS0_19identity_decomposerEEE10hipError_tT1_T2_T3_T4_jRjT5_jjP12ihipStream_tbEUlT_E_NS1_11comp_targetILNS1_3genE10ELNS1_11target_archE1200ELNS1_3gpuE4ELNS1_3repE0EEENS1_44radix_sort_block_sort_config_static_selectorELNS0_4arch9wavefront6targetE1EEEvSD_,"axG",@progbits,_ZN7rocprim17ROCPRIM_400000_NS6detail17trampoline_kernelINS0_13kernel_configILj256ELj4ELj4294967295EEENS1_37radix_sort_block_sort_config_selectorIjNS0_10empty_typeEEEZNS1_21radix_sort_block_sortIS4_Lb1EPjS9_PS6_SA_NS0_19identity_decomposerEEE10hipError_tT1_T2_T3_T4_jRjT5_jjP12ihipStream_tbEUlT_E_NS1_11comp_targetILNS1_3genE10ELNS1_11target_archE1200ELNS1_3gpuE4ELNS1_3repE0EEENS1_44radix_sort_block_sort_config_static_selectorELNS0_4arch9wavefront6targetE1EEEvSD_,comdat
.Lfunc_end2036:
	.size	_ZN7rocprim17ROCPRIM_400000_NS6detail17trampoline_kernelINS0_13kernel_configILj256ELj4ELj4294967295EEENS1_37radix_sort_block_sort_config_selectorIjNS0_10empty_typeEEEZNS1_21radix_sort_block_sortIS4_Lb1EPjS9_PS6_SA_NS0_19identity_decomposerEEE10hipError_tT1_T2_T3_T4_jRjT5_jjP12ihipStream_tbEUlT_E_NS1_11comp_targetILNS1_3genE10ELNS1_11target_archE1200ELNS1_3gpuE4ELNS1_3repE0EEENS1_44radix_sort_block_sort_config_static_selectorELNS0_4arch9wavefront6targetE1EEEvSD_, .Lfunc_end2036-_ZN7rocprim17ROCPRIM_400000_NS6detail17trampoline_kernelINS0_13kernel_configILj256ELj4ELj4294967295EEENS1_37radix_sort_block_sort_config_selectorIjNS0_10empty_typeEEEZNS1_21radix_sort_block_sortIS4_Lb1EPjS9_PS6_SA_NS0_19identity_decomposerEEE10hipError_tT1_T2_T3_T4_jRjT5_jjP12ihipStream_tbEUlT_E_NS1_11comp_targetILNS1_3genE10ELNS1_11target_archE1200ELNS1_3gpuE4ELNS1_3repE0EEENS1_44radix_sort_block_sort_config_static_selectorELNS0_4arch9wavefront6targetE1EEEvSD_
                                        ; -- End function
	.section	.AMDGPU.csdata,"",@progbits
; Kernel info:
; codeLenInByte = 0
; NumSgprs: 4
; NumVgprs: 0
; NumAgprs: 0
; TotalNumVgprs: 0
; ScratchSize: 0
; MemoryBound: 0
; FloatMode: 240
; IeeeMode: 1
; LDSByteSize: 0 bytes/workgroup (compile time only)
; SGPRBlocks: 0
; VGPRBlocks: 0
; NumSGPRsForWavesPerEU: 4
; NumVGPRsForWavesPerEU: 1
; AccumOffset: 4
; Occupancy: 8
; WaveLimiterHint : 0
; COMPUTE_PGM_RSRC2:SCRATCH_EN: 0
; COMPUTE_PGM_RSRC2:USER_SGPR: 6
; COMPUTE_PGM_RSRC2:TRAP_HANDLER: 0
; COMPUTE_PGM_RSRC2:TGID_X_EN: 1
; COMPUTE_PGM_RSRC2:TGID_Y_EN: 0
; COMPUTE_PGM_RSRC2:TGID_Z_EN: 0
; COMPUTE_PGM_RSRC2:TIDIG_COMP_CNT: 0
; COMPUTE_PGM_RSRC3_GFX90A:ACCUM_OFFSET: 0
; COMPUTE_PGM_RSRC3_GFX90A:TG_SPLIT: 0
	.section	.text._ZN7rocprim17ROCPRIM_400000_NS6detail17trampoline_kernelINS0_13kernel_configILj256ELj4ELj4294967295EEENS1_37radix_sort_block_sort_config_selectorIjNS0_10empty_typeEEEZNS1_21radix_sort_block_sortIS4_Lb1EPjS9_PS6_SA_NS0_19identity_decomposerEEE10hipError_tT1_T2_T3_T4_jRjT5_jjP12ihipStream_tbEUlT_E_NS1_11comp_targetILNS1_3genE9ELNS1_11target_archE1100ELNS1_3gpuE3ELNS1_3repE0EEENS1_44radix_sort_block_sort_config_static_selectorELNS0_4arch9wavefront6targetE1EEEvSD_,"axG",@progbits,_ZN7rocprim17ROCPRIM_400000_NS6detail17trampoline_kernelINS0_13kernel_configILj256ELj4ELj4294967295EEENS1_37radix_sort_block_sort_config_selectorIjNS0_10empty_typeEEEZNS1_21radix_sort_block_sortIS4_Lb1EPjS9_PS6_SA_NS0_19identity_decomposerEEE10hipError_tT1_T2_T3_T4_jRjT5_jjP12ihipStream_tbEUlT_E_NS1_11comp_targetILNS1_3genE9ELNS1_11target_archE1100ELNS1_3gpuE3ELNS1_3repE0EEENS1_44radix_sort_block_sort_config_static_selectorELNS0_4arch9wavefront6targetE1EEEvSD_,comdat
	.protected	_ZN7rocprim17ROCPRIM_400000_NS6detail17trampoline_kernelINS0_13kernel_configILj256ELj4ELj4294967295EEENS1_37radix_sort_block_sort_config_selectorIjNS0_10empty_typeEEEZNS1_21radix_sort_block_sortIS4_Lb1EPjS9_PS6_SA_NS0_19identity_decomposerEEE10hipError_tT1_T2_T3_T4_jRjT5_jjP12ihipStream_tbEUlT_E_NS1_11comp_targetILNS1_3genE9ELNS1_11target_archE1100ELNS1_3gpuE3ELNS1_3repE0EEENS1_44radix_sort_block_sort_config_static_selectorELNS0_4arch9wavefront6targetE1EEEvSD_ ; -- Begin function _ZN7rocprim17ROCPRIM_400000_NS6detail17trampoline_kernelINS0_13kernel_configILj256ELj4ELj4294967295EEENS1_37radix_sort_block_sort_config_selectorIjNS0_10empty_typeEEEZNS1_21radix_sort_block_sortIS4_Lb1EPjS9_PS6_SA_NS0_19identity_decomposerEEE10hipError_tT1_T2_T3_T4_jRjT5_jjP12ihipStream_tbEUlT_E_NS1_11comp_targetILNS1_3genE9ELNS1_11target_archE1100ELNS1_3gpuE3ELNS1_3repE0EEENS1_44radix_sort_block_sort_config_static_selectorELNS0_4arch9wavefront6targetE1EEEvSD_
	.globl	_ZN7rocprim17ROCPRIM_400000_NS6detail17trampoline_kernelINS0_13kernel_configILj256ELj4ELj4294967295EEENS1_37radix_sort_block_sort_config_selectorIjNS0_10empty_typeEEEZNS1_21radix_sort_block_sortIS4_Lb1EPjS9_PS6_SA_NS0_19identity_decomposerEEE10hipError_tT1_T2_T3_T4_jRjT5_jjP12ihipStream_tbEUlT_E_NS1_11comp_targetILNS1_3genE9ELNS1_11target_archE1100ELNS1_3gpuE3ELNS1_3repE0EEENS1_44radix_sort_block_sort_config_static_selectorELNS0_4arch9wavefront6targetE1EEEvSD_
	.p2align	8
	.type	_ZN7rocprim17ROCPRIM_400000_NS6detail17trampoline_kernelINS0_13kernel_configILj256ELj4ELj4294967295EEENS1_37radix_sort_block_sort_config_selectorIjNS0_10empty_typeEEEZNS1_21radix_sort_block_sortIS4_Lb1EPjS9_PS6_SA_NS0_19identity_decomposerEEE10hipError_tT1_T2_T3_T4_jRjT5_jjP12ihipStream_tbEUlT_E_NS1_11comp_targetILNS1_3genE9ELNS1_11target_archE1100ELNS1_3gpuE3ELNS1_3repE0EEENS1_44radix_sort_block_sort_config_static_selectorELNS0_4arch9wavefront6targetE1EEEvSD_,@function
_ZN7rocprim17ROCPRIM_400000_NS6detail17trampoline_kernelINS0_13kernel_configILj256ELj4ELj4294967295EEENS1_37radix_sort_block_sort_config_selectorIjNS0_10empty_typeEEEZNS1_21radix_sort_block_sortIS4_Lb1EPjS9_PS6_SA_NS0_19identity_decomposerEEE10hipError_tT1_T2_T3_T4_jRjT5_jjP12ihipStream_tbEUlT_E_NS1_11comp_targetILNS1_3genE9ELNS1_11target_archE1100ELNS1_3gpuE3ELNS1_3repE0EEENS1_44radix_sort_block_sort_config_static_selectorELNS0_4arch9wavefront6targetE1EEEvSD_: ; @_ZN7rocprim17ROCPRIM_400000_NS6detail17trampoline_kernelINS0_13kernel_configILj256ELj4ELj4294967295EEENS1_37radix_sort_block_sort_config_selectorIjNS0_10empty_typeEEEZNS1_21radix_sort_block_sortIS4_Lb1EPjS9_PS6_SA_NS0_19identity_decomposerEEE10hipError_tT1_T2_T3_T4_jRjT5_jjP12ihipStream_tbEUlT_E_NS1_11comp_targetILNS1_3genE9ELNS1_11target_archE1100ELNS1_3gpuE3ELNS1_3repE0EEENS1_44radix_sort_block_sort_config_static_selectorELNS0_4arch9wavefront6targetE1EEEvSD_
; %bb.0:
	.section	.rodata,"a",@progbits
	.p2align	6, 0x0
	.amdhsa_kernel _ZN7rocprim17ROCPRIM_400000_NS6detail17trampoline_kernelINS0_13kernel_configILj256ELj4ELj4294967295EEENS1_37radix_sort_block_sort_config_selectorIjNS0_10empty_typeEEEZNS1_21radix_sort_block_sortIS4_Lb1EPjS9_PS6_SA_NS0_19identity_decomposerEEE10hipError_tT1_T2_T3_T4_jRjT5_jjP12ihipStream_tbEUlT_E_NS1_11comp_targetILNS1_3genE9ELNS1_11target_archE1100ELNS1_3gpuE3ELNS1_3repE0EEENS1_44radix_sort_block_sort_config_static_selectorELNS0_4arch9wavefront6targetE1EEEvSD_
		.amdhsa_group_segment_fixed_size 0
		.amdhsa_private_segment_fixed_size 0
		.amdhsa_kernarg_size 48
		.amdhsa_user_sgpr_count 6
		.amdhsa_user_sgpr_private_segment_buffer 1
		.amdhsa_user_sgpr_dispatch_ptr 0
		.amdhsa_user_sgpr_queue_ptr 0
		.amdhsa_user_sgpr_kernarg_segment_ptr 1
		.amdhsa_user_sgpr_dispatch_id 0
		.amdhsa_user_sgpr_flat_scratch_init 0
		.amdhsa_user_sgpr_kernarg_preload_length 0
		.amdhsa_user_sgpr_kernarg_preload_offset 0
		.amdhsa_user_sgpr_private_segment_size 0
		.amdhsa_uses_dynamic_stack 0
		.amdhsa_system_sgpr_private_segment_wavefront_offset 0
		.amdhsa_system_sgpr_workgroup_id_x 1
		.amdhsa_system_sgpr_workgroup_id_y 0
		.amdhsa_system_sgpr_workgroup_id_z 0
		.amdhsa_system_sgpr_workgroup_info 0
		.amdhsa_system_vgpr_workitem_id 0
		.amdhsa_next_free_vgpr 1
		.amdhsa_next_free_sgpr 0
		.amdhsa_accum_offset 4
		.amdhsa_reserve_vcc 0
		.amdhsa_reserve_flat_scratch 0
		.amdhsa_float_round_mode_32 0
		.amdhsa_float_round_mode_16_64 0
		.amdhsa_float_denorm_mode_32 3
		.amdhsa_float_denorm_mode_16_64 3
		.amdhsa_dx10_clamp 1
		.amdhsa_ieee_mode 1
		.amdhsa_fp16_overflow 0
		.amdhsa_tg_split 0
		.amdhsa_exception_fp_ieee_invalid_op 0
		.amdhsa_exception_fp_denorm_src 0
		.amdhsa_exception_fp_ieee_div_zero 0
		.amdhsa_exception_fp_ieee_overflow 0
		.amdhsa_exception_fp_ieee_underflow 0
		.amdhsa_exception_fp_ieee_inexact 0
		.amdhsa_exception_int_div_zero 0
	.end_amdhsa_kernel
	.section	.text._ZN7rocprim17ROCPRIM_400000_NS6detail17trampoline_kernelINS0_13kernel_configILj256ELj4ELj4294967295EEENS1_37radix_sort_block_sort_config_selectorIjNS0_10empty_typeEEEZNS1_21radix_sort_block_sortIS4_Lb1EPjS9_PS6_SA_NS0_19identity_decomposerEEE10hipError_tT1_T2_T3_T4_jRjT5_jjP12ihipStream_tbEUlT_E_NS1_11comp_targetILNS1_3genE9ELNS1_11target_archE1100ELNS1_3gpuE3ELNS1_3repE0EEENS1_44radix_sort_block_sort_config_static_selectorELNS0_4arch9wavefront6targetE1EEEvSD_,"axG",@progbits,_ZN7rocprim17ROCPRIM_400000_NS6detail17trampoline_kernelINS0_13kernel_configILj256ELj4ELj4294967295EEENS1_37radix_sort_block_sort_config_selectorIjNS0_10empty_typeEEEZNS1_21radix_sort_block_sortIS4_Lb1EPjS9_PS6_SA_NS0_19identity_decomposerEEE10hipError_tT1_T2_T3_T4_jRjT5_jjP12ihipStream_tbEUlT_E_NS1_11comp_targetILNS1_3genE9ELNS1_11target_archE1100ELNS1_3gpuE3ELNS1_3repE0EEENS1_44radix_sort_block_sort_config_static_selectorELNS0_4arch9wavefront6targetE1EEEvSD_,comdat
.Lfunc_end2037:
	.size	_ZN7rocprim17ROCPRIM_400000_NS6detail17trampoline_kernelINS0_13kernel_configILj256ELj4ELj4294967295EEENS1_37radix_sort_block_sort_config_selectorIjNS0_10empty_typeEEEZNS1_21radix_sort_block_sortIS4_Lb1EPjS9_PS6_SA_NS0_19identity_decomposerEEE10hipError_tT1_T2_T3_T4_jRjT5_jjP12ihipStream_tbEUlT_E_NS1_11comp_targetILNS1_3genE9ELNS1_11target_archE1100ELNS1_3gpuE3ELNS1_3repE0EEENS1_44radix_sort_block_sort_config_static_selectorELNS0_4arch9wavefront6targetE1EEEvSD_, .Lfunc_end2037-_ZN7rocprim17ROCPRIM_400000_NS6detail17trampoline_kernelINS0_13kernel_configILj256ELj4ELj4294967295EEENS1_37radix_sort_block_sort_config_selectorIjNS0_10empty_typeEEEZNS1_21radix_sort_block_sortIS4_Lb1EPjS9_PS6_SA_NS0_19identity_decomposerEEE10hipError_tT1_T2_T3_T4_jRjT5_jjP12ihipStream_tbEUlT_E_NS1_11comp_targetILNS1_3genE9ELNS1_11target_archE1100ELNS1_3gpuE3ELNS1_3repE0EEENS1_44radix_sort_block_sort_config_static_selectorELNS0_4arch9wavefront6targetE1EEEvSD_
                                        ; -- End function
	.section	.AMDGPU.csdata,"",@progbits
; Kernel info:
; codeLenInByte = 0
; NumSgprs: 4
; NumVgprs: 0
; NumAgprs: 0
; TotalNumVgprs: 0
; ScratchSize: 0
; MemoryBound: 0
; FloatMode: 240
; IeeeMode: 1
; LDSByteSize: 0 bytes/workgroup (compile time only)
; SGPRBlocks: 0
; VGPRBlocks: 0
; NumSGPRsForWavesPerEU: 4
; NumVGPRsForWavesPerEU: 1
; AccumOffset: 4
; Occupancy: 8
; WaveLimiterHint : 0
; COMPUTE_PGM_RSRC2:SCRATCH_EN: 0
; COMPUTE_PGM_RSRC2:USER_SGPR: 6
; COMPUTE_PGM_RSRC2:TRAP_HANDLER: 0
; COMPUTE_PGM_RSRC2:TGID_X_EN: 1
; COMPUTE_PGM_RSRC2:TGID_Y_EN: 0
; COMPUTE_PGM_RSRC2:TGID_Z_EN: 0
; COMPUTE_PGM_RSRC2:TIDIG_COMP_CNT: 0
; COMPUTE_PGM_RSRC3_GFX90A:ACCUM_OFFSET: 0
; COMPUTE_PGM_RSRC3_GFX90A:TG_SPLIT: 0
	.section	.text._ZN7rocprim17ROCPRIM_400000_NS6detail17trampoline_kernelINS0_13kernel_configILj256ELj4ELj4294967295EEENS1_37radix_sort_block_sort_config_selectorIjNS0_10empty_typeEEEZNS1_21radix_sort_block_sortIS4_Lb1EPjS9_PS6_SA_NS0_19identity_decomposerEEE10hipError_tT1_T2_T3_T4_jRjT5_jjP12ihipStream_tbEUlT_E_NS1_11comp_targetILNS1_3genE8ELNS1_11target_archE1030ELNS1_3gpuE2ELNS1_3repE0EEENS1_44radix_sort_block_sort_config_static_selectorELNS0_4arch9wavefront6targetE1EEEvSD_,"axG",@progbits,_ZN7rocprim17ROCPRIM_400000_NS6detail17trampoline_kernelINS0_13kernel_configILj256ELj4ELj4294967295EEENS1_37radix_sort_block_sort_config_selectorIjNS0_10empty_typeEEEZNS1_21radix_sort_block_sortIS4_Lb1EPjS9_PS6_SA_NS0_19identity_decomposerEEE10hipError_tT1_T2_T3_T4_jRjT5_jjP12ihipStream_tbEUlT_E_NS1_11comp_targetILNS1_3genE8ELNS1_11target_archE1030ELNS1_3gpuE2ELNS1_3repE0EEENS1_44radix_sort_block_sort_config_static_selectorELNS0_4arch9wavefront6targetE1EEEvSD_,comdat
	.protected	_ZN7rocprim17ROCPRIM_400000_NS6detail17trampoline_kernelINS0_13kernel_configILj256ELj4ELj4294967295EEENS1_37radix_sort_block_sort_config_selectorIjNS0_10empty_typeEEEZNS1_21radix_sort_block_sortIS4_Lb1EPjS9_PS6_SA_NS0_19identity_decomposerEEE10hipError_tT1_T2_T3_T4_jRjT5_jjP12ihipStream_tbEUlT_E_NS1_11comp_targetILNS1_3genE8ELNS1_11target_archE1030ELNS1_3gpuE2ELNS1_3repE0EEENS1_44radix_sort_block_sort_config_static_selectorELNS0_4arch9wavefront6targetE1EEEvSD_ ; -- Begin function _ZN7rocprim17ROCPRIM_400000_NS6detail17trampoline_kernelINS0_13kernel_configILj256ELj4ELj4294967295EEENS1_37radix_sort_block_sort_config_selectorIjNS0_10empty_typeEEEZNS1_21radix_sort_block_sortIS4_Lb1EPjS9_PS6_SA_NS0_19identity_decomposerEEE10hipError_tT1_T2_T3_T4_jRjT5_jjP12ihipStream_tbEUlT_E_NS1_11comp_targetILNS1_3genE8ELNS1_11target_archE1030ELNS1_3gpuE2ELNS1_3repE0EEENS1_44radix_sort_block_sort_config_static_selectorELNS0_4arch9wavefront6targetE1EEEvSD_
	.globl	_ZN7rocprim17ROCPRIM_400000_NS6detail17trampoline_kernelINS0_13kernel_configILj256ELj4ELj4294967295EEENS1_37radix_sort_block_sort_config_selectorIjNS0_10empty_typeEEEZNS1_21radix_sort_block_sortIS4_Lb1EPjS9_PS6_SA_NS0_19identity_decomposerEEE10hipError_tT1_T2_T3_T4_jRjT5_jjP12ihipStream_tbEUlT_E_NS1_11comp_targetILNS1_3genE8ELNS1_11target_archE1030ELNS1_3gpuE2ELNS1_3repE0EEENS1_44radix_sort_block_sort_config_static_selectorELNS0_4arch9wavefront6targetE1EEEvSD_
	.p2align	8
	.type	_ZN7rocprim17ROCPRIM_400000_NS6detail17trampoline_kernelINS0_13kernel_configILj256ELj4ELj4294967295EEENS1_37radix_sort_block_sort_config_selectorIjNS0_10empty_typeEEEZNS1_21radix_sort_block_sortIS4_Lb1EPjS9_PS6_SA_NS0_19identity_decomposerEEE10hipError_tT1_T2_T3_T4_jRjT5_jjP12ihipStream_tbEUlT_E_NS1_11comp_targetILNS1_3genE8ELNS1_11target_archE1030ELNS1_3gpuE2ELNS1_3repE0EEENS1_44radix_sort_block_sort_config_static_selectorELNS0_4arch9wavefront6targetE1EEEvSD_,@function
_ZN7rocprim17ROCPRIM_400000_NS6detail17trampoline_kernelINS0_13kernel_configILj256ELj4ELj4294967295EEENS1_37radix_sort_block_sort_config_selectorIjNS0_10empty_typeEEEZNS1_21radix_sort_block_sortIS4_Lb1EPjS9_PS6_SA_NS0_19identity_decomposerEEE10hipError_tT1_T2_T3_T4_jRjT5_jjP12ihipStream_tbEUlT_E_NS1_11comp_targetILNS1_3genE8ELNS1_11target_archE1030ELNS1_3gpuE2ELNS1_3repE0EEENS1_44radix_sort_block_sort_config_static_selectorELNS0_4arch9wavefront6targetE1EEEvSD_: ; @_ZN7rocprim17ROCPRIM_400000_NS6detail17trampoline_kernelINS0_13kernel_configILj256ELj4ELj4294967295EEENS1_37radix_sort_block_sort_config_selectorIjNS0_10empty_typeEEEZNS1_21radix_sort_block_sortIS4_Lb1EPjS9_PS6_SA_NS0_19identity_decomposerEEE10hipError_tT1_T2_T3_T4_jRjT5_jjP12ihipStream_tbEUlT_E_NS1_11comp_targetILNS1_3genE8ELNS1_11target_archE1030ELNS1_3gpuE2ELNS1_3repE0EEENS1_44radix_sort_block_sort_config_static_selectorELNS0_4arch9wavefront6targetE1EEEvSD_
; %bb.0:
	.section	.rodata,"a",@progbits
	.p2align	6, 0x0
	.amdhsa_kernel _ZN7rocprim17ROCPRIM_400000_NS6detail17trampoline_kernelINS0_13kernel_configILj256ELj4ELj4294967295EEENS1_37radix_sort_block_sort_config_selectorIjNS0_10empty_typeEEEZNS1_21radix_sort_block_sortIS4_Lb1EPjS9_PS6_SA_NS0_19identity_decomposerEEE10hipError_tT1_T2_T3_T4_jRjT5_jjP12ihipStream_tbEUlT_E_NS1_11comp_targetILNS1_3genE8ELNS1_11target_archE1030ELNS1_3gpuE2ELNS1_3repE0EEENS1_44radix_sort_block_sort_config_static_selectorELNS0_4arch9wavefront6targetE1EEEvSD_
		.amdhsa_group_segment_fixed_size 0
		.amdhsa_private_segment_fixed_size 0
		.amdhsa_kernarg_size 48
		.amdhsa_user_sgpr_count 6
		.amdhsa_user_sgpr_private_segment_buffer 1
		.amdhsa_user_sgpr_dispatch_ptr 0
		.amdhsa_user_sgpr_queue_ptr 0
		.amdhsa_user_sgpr_kernarg_segment_ptr 1
		.amdhsa_user_sgpr_dispatch_id 0
		.amdhsa_user_sgpr_flat_scratch_init 0
		.amdhsa_user_sgpr_kernarg_preload_length 0
		.amdhsa_user_sgpr_kernarg_preload_offset 0
		.amdhsa_user_sgpr_private_segment_size 0
		.amdhsa_uses_dynamic_stack 0
		.amdhsa_system_sgpr_private_segment_wavefront_offset 0
		.amdhsa_system_sgpr_workgroup_id_x 1
		.amdhsa_system_sgpr_workgroup_id_y 0
		.amdhsa_system_sgpr_workgroup_id_z 0
		.amdhsa_system_sgpr_workgroup_info 0
		.amdhsa_system_vgpr_workitem_id 0
		.amdhsa_next_free_vgpr 1
		.amdhsa_next_free_sgpr 0
		.amdhsa_accum_offset 4
		.amdhsa_reserve_vcc 0
		.amdhsa_reserve_flat_scratch 0
		.amdhsa_float_round_mode_32 0
		.amdhsa_float_round_mode_16_64 0
		.amdhsa_float_denorm_mode_32 3
		.amdhsa_float_denorm_mode_16_64 3
		.amdhsa_dx10_clamp 1
		.amdhsa_ieee_mode 1
		.amdhsa_fp16_overflow 0
		.amdhsa_tg_split 0
		.amdhsa_exception_fp_ieee_invalid_op 0
		.amdhsa_exception_fp_denorm_src 0
		.amdhsa_exception_fp_ieee_div_zero 0
		.amdhsa_exception_fp_ieee_overflow 0
		.amdhsa_exception_fp_ieee_underflow 0
		.amdhsa_exception_fp_ieee_inexact 0
		.amdhsa_exception_int_div_zero 0
	.end_amdhsa_kernel
	.section	.text._ZN7rocprim17ROCPRIM_400000_NS6detail17trampoline_kernelINS0_13kernel_configILj256ELj4ELj4294967295EEENS1_37radix_sort_block_sort_config_selectorIjNS0_10empty_typeEEEZNS1_21radix_sort_block_sortIS4_Lb1EPjS9_PS6_SA_NS0_19identity_decomposerEEE10hipError_tT1_T2_T3_T4_jRjT5_jjP12ihipStream_tbEUlT_E_NS1_11comp_targetILNS1_3genE8ELNS1_11target_archE1030ELNS1_3gpuE2ELNS1_3repE0EEENS1_44radix_sort_block_sort_config_static_selectorELNS0_4arch9wavefront6targetE1EEEvSD_,"axG",@progbits,_ZN7rocprim17ROCPRIM_400000_NS6detail17trampoline_kernelINS0_13kernel_configILj256ELj4ELj4294967295EEENS1_37radix_sort_block_sort_config_selectorIjNS0_10empty_typeEEEZNS1_21radix_sort_block_sortIS4_Lb1EPjS9_PS6_SA_NS0_19identity_decomposerEEE10hipError_tT1_T2_T3_T4_jRjT5_jjP12ihipStream_tbEUlT_E_NS1_11comp_targetILNS1_3genE8ELNS1_11target_archE1030ELNS1_3gpuE2ELNS1_3repE0EEENS1_44radix_sort_block_sort_config_static_selectorELNS0_4arch9wavefront6targetE1EEEvSD_,comdat
.Lfunc_end2038:
	.size	_ZN7rocprim17ROCPRIM_400000_NS6detail17trampoline_kernelINS0_13kernel_configILj256ELj4ELj4294967295EEENS1_37radix_sort_block_sort_config_selectorIjNS0_10empty_typeEEEZNS1_21radix_sort_block_sortIS4_Lb1EPjS9_PS6_SA_NS0_19identity_decomposerEEE10hipError_tT1_T2_T3_T4_jRjT5_jjP12ihipStream_tbEUlT_E_NS1_11comp_targetILNS1_3genE8ELNS1_11target_archE1030ELNS1_3gpuE2ELNS1_3repE0EEENS1_44radix_sort_block_sort_config_static_selectorELNS0_4arch9wavefront6targetE1EEEvSD_, .Lfunc_end2038-_ZN7rocprim17ROCPRIM_400000_NS6detail17trampoline_kernelINS0_13kernel_configILj256ELj4ELj4294967295EEENS1_37radix_sort_block_sort_config_selectorIjNS0_10empty_typeEEEZNS1_21radix_sort_block_sortIS4_Lb1EPjS9_PS6_SA_NS0_19identity_decomposerEEE10hipError_tT1_T2_T3_T4_jRjT5_jjP12ihipStream_tbEUlT_E_NS1_11comp_targetILNS1_3genE8ELNS1_11target_archE1030ELNS1_3gpuE2ELNS1_3repE0EEENS1_44radix_sort_block_sort_config_static_selectorELNS0_4arch9wavefront6targetE1EEEvSD_
                                        ; -- End function
	.section	.AMDGPU.csdata,"",@progbits
; Kernel info:
; codeLenInByte = 0
; NumSgprs: 4
; NumVgprs: 0
; NumAgprs: 0
; TotalNumVgprs: 0
; ScratchSize: 0
; MemoryBound: 0
; FloatMode: 240
; IeeeMode: 1
; LDSByteSize: 0 bytes/workgroup (compile time only)
; SGPRBlocks: 0
; VGPRBlocks: 0
; NumSGPRsForWavesPerEU: 4
; NumVGPRsForWavesPerEU: 1
; AccumOffset: 4
; Occupancy: 8
; WaveLimiterHint : 0
; COMPUTE_PGM_RSRC2:SCRATCH_EN: 0
; COMPUTE_PGM_RSRC2:USER_SGPR: 6
; COMPUTE_PGM_RSRC2:TRAP_HANDLER: 0
; COMPUTE_PGM_RSRC2:TGID_X_EN: 1
; COMPUTE_PGM_RSRC2:TGID_Y_EN: 0
; COMPUTE_PGM_RSRC2:TGID_Z_EN: 0
; COMPUTE_PGM_RSRC2:TIDIG_COMP_CNT: 0
; COMPUTE_PGM_RSRC3_GFX90A:ACCUM_OFFSET: 0
; COMPUTE_PGM_RSRC3_GFX90A:TG_SPLIT: 0
	.section	.text._ZN7rocprim17ROCPRIM_400000_NS6detail17trampoline_kernelINS0_14default_configENS1_38merge_sort_block_merge_config_selectorIjNS0_10empty_typeEEEZZNS1_27merge_sort_block_merge_implIS3_PjPS5_jNS1_19radix_merge_compareILb1ELb0EjNS0_19identity_decomposerEEEEE10hipError_tT0_T1_T2_jT3_P12ihipStream_tbPNSt15iterator_traitsISE_E10value_typeEPNSK_ISF_E10value_typeEPSG_NS1_7vsmem_tEENKUlT_SE_SF_SG_E_clIS8_S8_S9_S9_EESD_ST_SE_SF_SG_EUlST_E_NS1_11comp_targetILNS1_3genE0ELNS1_11target_archE4294967295ELNS1_3gpuE0ELNS1_3repE0EEENS1_48merge_mergepath_partition_config_static_selectorELNS0_4arch9wavefront6targetE1EEEvSF_,"axG",@progbits,_ZN7rocprim17ROCPRIM_400000_NS6detail17trampoline_kernelINS0_14default_configENS1_38merge_sort_block_merge_config_selectorIjNS0_10empty_typeEEEZZNS1_27merge_sort_block_merge_implIS3_PjPS5_jNS1_19radix_merge_compareILb1ELb0EjNS0_19identity_decomposerEEEEE10hipError_tT0_T1_T2_jT3_P12ihipStream_tbPNSt15iterator_traitsISE_E10value_typeEPNSK_ISF_E10value_typeEPSG_NS1_7vsmem_tEENKUlT_SE_SF_SG_E_clIS8_S8_S9_S9_EESD_ST_SE_SF_SG_EUlST_E_NS1_11comp_targetILNS1_3genE0ELNS1_11target_archE4294967295ELNS1_3gpuE0ELNS1_3repE0EEENS1_48merge_mergepath_partition_config_static_selectorELNS0_4arch9wavefront6targetE1EEEvSF_,comdat
	.protected	_ZN7rocprim17ROCPRIM_400000_NS6detail17trampoline_kernelINS0_14default_configENS1_38merge_sort_block_merge_config_selectorIjNS0_10empty_typeEEEZZNS1_27merge_sort_block_merge_implIS3_PjPS5_jNS1_19radix_merge_compareILb1ELb0EjNS0_19identity_decomposerEEEEE10hipError_tT0_T1_T2_jT3_P12ihipStream_tbPNSt15iterator_traitsISE_E10value_typeEPNSK_ISF_E10value_typeEPSG_NS1_7vsmem_tEENKUlT_SE_SF_SG_E_clIS8_S8_S9_S9_EESD_ST_SE_SF_SG_EUlST_E_NS1_11comp_targetILNS1_3genE0ELNS1_11target_archE4294967295ELNS1_3gpuE0ELNS1_3repE0EEENS1_48merge_mergepath_partition_config_static_selectorELNS0_4arch9wavefront6targetE1EEEvSF_ ; -- Begin function _ZN7rocprim17ROCPRIM_400000_NS6detail17trampoline_kernelINS0_14default_configENS1_38merge_sort_block_merge_config_selectorIjNS0_10empty_typeEEEZZNS1_27merge_sort_block_merge_implIS3_PjPS5_jNS1_19radix_merge_compareILb1ELb0EjNS0_19identity_decomposerEEEEE10hipError_tT0_T1_T2_jT3_P12ihipStream_tbPNSt15iterator_traitsISE_E10value_typeEPNSK_ISF_E10value_typeEPSG_NS1_7vsmem_tEENKUlT_SE_SF_SG_E_clIS8_S8_S9_S9_EESD_ST_SE_SF_SG_EUlST_E_NS1_11comp_targetILNS1_3genE0ELNS1_11target_archE4294967295ELNS1_3gpuE0ELNS1_3repE0EEENS1_48merge_mergepath_partition_config_static_selectorELNS0_4arch9wavefront6targetE1EEEvSF_
	.globl	_ZN7rocprim17ROCPRIM_400000_NS6detail17trampoline_kernelINS0_14default_configENS1_38merge_sort_block_merge_config_selectorIjNS0_10empty_typeEEEZZNS1_27merge_sort_block_merge_implIS3_PjPS5_jNS1_19radix_merge_compareILb1ELb0EjNS0_19identity_decomposerEEEEE10hipError_tT0_T1_T2_jT3_P12ihipStream_tbPNSt15iterator_traitsISE_E10value_typeEPNSK_ISF_E10value_typeEPSG_NS1_7vsmem_tEENKUlT_SE_SF_SG_E_clIS8_S8_S9_S9_EESD_ST_SE_SF_SG_EUlST_E_NS1_11comp_targetILNS1_3genE0ELNS1_11target_archE4294967295ELNS1_3gpuE0ELNS1_3repE0EEENS1_48merge_mergepath_partition_config_static_selectorELNS0_4arch9wavefront6targetE1EEEvSF_
	.p2align	8
	.type	_ZN7rocprim17ROCPRIM_400000_NS6detail17trampoline_kernelINS0_14default_configENS1_38merge_sort_block_merge_config_selectorIjNS0_10empty_typeEEEZZNS1_27merge_sort_block_merge_implIS3_PjPS5_jNS1_19radix_merge_compareILb1ELb0EjNS0_19identity_decomposerEEEEE10hipError_tT0_T1_T2_jT3_P12ihipStream_tbPNSt15iterator_traitsISE_E10value_typeEPNSK_ISF_E10value_typeEPSG_NS1_7vsmem_tEENKUlT_SE_SF_SG_E_clIS8_S8_S9_S9_EESD_ST_SE_SF_SG_EUlST_E_NS1_11comp_targetILNS1_3genE0ELNS1_11target_archE4294967295ELNS1_3gpuE0ELNS1_3repE0EEENS1_48merge_mergepath_partition_config_static_selectorELNS0_4arch9wavefront6targetE1EEEvSF_,@function
_ZN7rocprim17ROCPRIM_400000_NS6detail17trampoline_kernelINS0_14default_configENS1_38merge_sort_block_merge_config_selectorIjNS0_10empty_typeEEEZZNS1_27merge_sort_block_merge_implIS3_PjPS5_jNS1_19radix_merge_compareILb1ELb0EjNS0_19identity_decomposerEEEEE10hipError_tT0_T1_T2_jT3_P12ihipStream_tbPNSt15iterator_traitsISE_E10value_typeEPNSK_ISF_E10value_typeEPSG_NS1_7vsmem_tEENKUlT_SE_SF_SG_E_clIS8_S8_S9_S9_EESD_ST_SE_SF_SG_EUlST_E_NS1_11comp_targetILNS1_3genE0ELNS1_11target_archE4294967295ELNS1_3gpuE0ELNS1_3repE0EEENS1_48merge_mergepath_partition_config_static_selectorELNS0_4arch9wavefront6targetE1EEEvSF_: ; @_ZN7rocprim17ROCPRIM_400000_NS6detail17trampoline_kernelINS0_14default_configENS1_38merge_sort_block_merge_config_selectorIjNS0_10empty_typeEEEZZNS1_27merge_sort_block_merge_implIS3_PjPS5_jNS1_19radix_merge_compareILb1ELb0EjNS0_19identity_decomposerEEEEE10hipError_tT0_T1_T2_jT3_P12ihipStream_tbPNSt15iterator_traitsISE_E10value_typeEPNSK_ISF_E10value_typeEPSG_NS1_7vsmem_tEENKUlT_SE_SF_SG_E_clIS8_S8_S9_S9_EESD_ST_SE_SF_SG_EUlST_E_NS1_11comp_targetILNS1_3genE0ELNS1_11target_archE4294967295ELNS1_3gpuE0ELNS1_3repE0EEENS1_48merge_mergepath_partition_config_static_selectorELNS0_4arch9wavefront6targetE1EEEvSF_
; %bb.0:
	.section	.rodata,"a",@progbits
	.p2align	6, 0x0
	.amdhsa_kernel _ZN7rocprim17ROCPRIM_400000_NS6detail17trampoline_kernelINS0_14default_configENS1_38merge_sort_block_merge_config_selectorIjNS0_10empty_typeEEEZZNS1_27merge_sort_block_merge_implIS3_PjPS5_jNS1_19radix_merge_compareILb1ELb0EjNS0_19identity_decomposerEEEEE10hipError_tT0_T1_T2_jT3_P12ihipStream_tbPNSt15iterator_traitsISE_E10value_typeEPNSK_ISF_E10value_typeEPSG_NS1_7vsmem_tEENKUlT_SE_SF_SG_E_clIS8_S8_S9_S9_EESD_ST_SE_SF_SG_EUlST_E_NS1_11comp_targetILNS1_3genE0ELNS1_11target_archE4294967295ELNS1_3gpuE0ELNS1_3repE0EEENS1_48merge_mergepath_partition_config_static_selectorELNS0_4arch9wavefront6targetE1EEEvSF_
		.amdhsa_group_segment_fixed_size 0
		.amdhsa_private_segment_fixed_size 0
		.amdhsa_kernarg_size 40
		.amdhsa_user_sgpr_count 6
		.amdhsa_user_sgpr_private_segment_buffer 1
		.amdhsa_user_sgpr_dispatch_ptr 0
		.amdhsa_user_sgpr_queue_ptr 0
		.amdhsa_user_sgpr_kernarg_segment_ptr 1
		.amdhsa_user_sgpr_dispatch_id 0
		.amdhsa_user_sgpr_flat_scratch_init 0
		.amdhsa_user_sgpr_kernarg_preload_length 0
		.amdhsa_user_sgpr_kernarg_preload_offset 0
		.amdhsa_user_sgpr_private_segment_size 0
		.amdhsa_uses_dynamic_stack 0
		.amdhsa_system_sgpr_private_segment_wavefront_offset 0
		.amdhsa_system_sgpr_workgroup_id_x 1
		.amdhsa_system_sgpr_workgroup_id_y 0
		.amdhsa_system_sgpr_workgroup_id_z 0
		.amdhsa_system_sgpr_workgroup_info 0
		.amdhsa_system_vgpr_workitem_id 0
		.amdhsa_next_free_vgpr 1
		.amdhsa_next_free_sgpr 0
		.amdhsa_accum_offset 4
		.amdhsa_reserve_vcc 0
		.amdhsa_reserve_flat_scratch 0
		.amdhsa_float_round_mode_32 0
		.amdhsa_float_round_mode_16_64 0
		.amdhsa_float_denorm_mode_32 3
		.amdhsa_float_denorm_mode_16_64 3
		.amdhsa_dx10_clamp 1
		.amdhsa_ieee_mode 1
		.amdhsa_fp16_overflow 0
		.amdhsa_tg_split 0
		.amdhsa_exception_fp_ieee_invalid_op 0
		.amdhsa_exception_fp_denorm_src 0
		.amdhsa_exception_fp_ieee_div_zero 0
		.amdhsa_exception_fp_ieee_overflow 0
		.amdhsa_exception_fp_ieee_underflow 0
		.amdhsa_exception_fp_ieee_inexact 0
		.amdhsa_exception_int_div_zero 0
	.end_amdhsa_kernel
	.section	.text._ZN7rocprim17ROCPRIM_400000_NS6detail17trampoline_kernelINS0_14default_configENS1_38merge_sort_block_merge_config_selectorIjNS0_10empty_typeEEEZZNS1_27merge_sort_block_merge_implIS3_PjPS5_jNS1_19radix_merge_compareILb1ELb0EjNS0_19identity_decomposerEEEEE10hipError_tT0_T1_T2_jT3_P12ihipStream_tbPNSt15iterator_traitsISE_E10value_typeEPNSK_ISF_E10value_typeEPSG_NS1_7vsmem_tEENKUlT_SE_SF_SG_E_clIS8_S8_S9_S9_EESD_ST_SE_SF_SG_EUlST_E_NS1_11comp_targetILNS1_3genE0ELNS1_11target_archE4294967295ELNS1_3gpuE0ELNS1_3repE0EEENS1_48merge_mergepath_partition_config_static_selectorELNS0_4arch9wavefront6targetE1EEEvSF_,"axG",@progbits,_ZN7rocprim17ROCPRIM_400000_NS6detail17trampoline_kernelINS0_14default_configENS1_38merge_sort_block_merge_config_selectorIjNS0_10empty_typeEEEZZNS1_27merge_sort_block_merge_implIS3_PjPS5_jNS1_19radix_merge_compareILb1ELb0EjNS0_19identity_decomposerEEEEE10hipError_tT0_T1_T2_jT3_P12ihipStream_tbPNSt15iterator_traitsISE_E10value_typeEPNSK_ISF_E10value_typeEPSG_NS1_7vsmem_tEENKUlT_SE_SF_SG_E_clIS8_S8_S9_S9_EESD_ST_SE_SF_SG_EUlST_E_NS1_11comp_targetILNS1_3genE0ELNS1_11target_archE4294967295ELNS1_3gpuE0ELNS1_3repE0EEENS1_48merge_mergepath_partition_config_static_selectorELNS0_4arch9wavefront6targetE1EEEvSF_,comdat
.Lfunc_end2039:
	.size	_ZN7rocprim17ROCPRIM_400000_NS6detail17trampoline_kernelINS0_14default_configENS1_38merge_sort_block_merge_config_selectorIjNS0_10empty_typeEEEZZNS1_27merge_sort_block_merge_implIS3_PjPS5_jNS1_19radix_merge_compareILb1ELb0EjNS0_19identity_decomposerEEEEE10hipError_tT0_T1_T2_jT3_P12ihipStream_tbPNSt15iterator_traitsISE_E10value_typeEPNSK_ISF_E10value_typeEPSG_NS1_7vsmem_tEENKUlT_SE_SF_SG_E_clIS8_S8_S9_S9_EESD_ST_SE_SF_SG_EUlST_E_NS1_11comp_targetILNS1_3genE0ELNS1_11target_archE4294967295ELNS1_3gpuE0ELNS1_3repE0EEENS1_48merge_mergepath_partition_config_static_selectorELNS0_4arch9wavefront6targetE1EEEvSF_, .Lfunc_end2039-_ZN7rocprim17ROCPRIM_400000_NS6detail17trampoline_kernelINS0_14default_configENS1_38merge_sort_block_merge_config_selectorIjNS0_10empty_typeEEEZZNS1_27merge_sort_block_merge_implIS3_PjPS5_jNS1_19radix_merge_compareILb1ELb0EjNS0_19identity_decomposerEEEEE10hipError_tT0_T1_T2_jT3_P12ihipStream_tbPNSt15iterator_traitsISE_E10value_typeEPNSK_ISF_E10value_typeEPSG_NS1_7vsmem_tEENKUlT_SE_SF_SG_E_clIS8_S8_S9_S9_EESD_ST_SE_SF_SG_EUlST_E_NS1_11comp_targetILNS1_3genE0ELNS1_11target_archE4294967295ELNS1_3gpuE0ELNS1_3repE0EEENS1_48merge_mergepath_partition_config_static_selectorELNS0_4arch9wavefront6targetE1EEEvSF_
                                        ; -- End function
	.section	.AMDGPU.csdata,"",@progbits
; Kernel info:
; codeLenInByte = 0
; NumSgprs: 4
; NumVgprs: 0
; NumAgprs: 0
; TotalNumVgprs: 0
; ScratchSize: 0
; MemoryBound: 0
; FloatMode: 240
; IeeeMode: 1
; LDSByteSize: 0 bytes/workgroup (compile time only)
; SGPRBlocks: 0
; VGPRBlocks: 0
; NumSGPRsForWavesPerEU: 4
; NumVGPRsForWavesPerEU: 1
; AccumOffset: 4
; Occupancy: 8
; WaveLimiterHint : 0
; COMPUTE_PGM_RSRC2:SCRATCH_EN: 0
; COMPUTE_PGM_RSRC2:USER_SGPR: 6
; COMPUTE_PGM_RSRC2:TRAP_HANDLER: 0
; COMPUTE_PGM_RSRC2:TGID_X_EN: 1
; COMPUTE_PGM_RSRC2:TGID_Y_EN: 0
; COMPUTE_PGM_RSRC2:TGID_Z_EN: 0
; COMPUTE_PGM_RSRC2:TIDIG_COMP_CNT: 0
; COMPUTE_PGM_RSRC3_GFX90A:ACCUM_OFFSET: 0
; COMPUTE_PGM_RSRC3_GFX90A:TG_SPLIT: 0
	.section	.text._ZN7rocprim17ROCPRIM_400000_NS6detail17trampoline_kernelINS0_14default_configENS1_38merge_sort_block_merge_config_selectorIjNS0_10empty_typeEEEZZNS1_27merge_sort_block_merge_implIS3_PjPS5_jNS1_19radix_merge_compareILb1ELb0EjNS0_19identity_decomposerEEEEE10hipError_tT0_T1_T2_jT3_P12ihipStream_tbPNSt15iterator_traitsISE_E10value_typeEPNSK_ISF_E10value_typeEPSG_NS1_7vsmem_tEENKUlT_SE_SF_SG_E_clIS8_S8_S9_S9_EESD_ST_SE_SF_SG_EUlST_E_NS1_11comp_targetILNS1_3genE10ELNS1_11target_archE1201ELNS1_3gpuE5ELNS1_3repE0EEENS1_48merge_mergepath_partition_config_static_selectorELNS0_4arch9wavefront6targetE1EEEvSF_,"axG",@progbits,_ZN7rocprim17ROCPRIM_400000_NS6detail17trampoline_kernelINS0_14default_configENS1_38merge_sort_block_merge_config_selectorIjNS0_10empty_typeEEEZZNS1_27merge_sort_block_merge_implIS3_PjPS5_jNS1_19radix_merge_compareILb1ELb0EjNS0_19identity_decomposerEEEEE10hipError_tT0_T1_T2_jT3_P12ihipStream_tbPNSt15iterator_traitsISE_E10value_typeEPNSK_ISF_E10value_typeEPSG_NS1_7vsmem_tEENKUlT_SE_SF_SG_E_clIS8_S8_S9_S9_EESD_ST_SE_SF_SG_EUlST_E_NS1_11comp_targetILNS1_3genE10ELNS1_11target_archE1201ELNS1_3gpuE5ELNS1_3repE0EEENS1_48merge_mergepath_partition_config_static_selectorELNS0_4arch9wavefront6targetE1EEEvSF_,comdat
	.protected	_ZN7rocprim17ROCPRIM_400000_NS6detail17trampoline_kernelINS0_14default_configENS1_38merge_sort_block_merge_config_selectorIjNS0_10empty_typeEEEZZNS1_27merge_sort_block_merge_implIS3_PjPS5_jNS1_19radix_merge_compareILb1ELb0EjNS0_19identity_decomposerEEEEE10hipError_tT0_T1_T2_jT3_P12ihipStream_tbPNSt15iterator_traitsISE_E10value_typeEPNSK_ISF_E10value_typeEPSG_NS1_7vsmem_tEENKUlT_SE_SF_SG_E_clIS8_S8_S9_S9_EESD_ST_SE_SF_SG_EUlST_E_NS1_11comp_targetILNS1_3genE10ELNS1_11target_archE1201ELNS1_3gpuE5ELNS1_3repE0EEENS1_48merge_mergepath_partition_config_static_selectorELNS0_4arch9wavefront6targetE1EEEvSF_ ; -- Begin function _ZN7rocprim17ROCPRIM_400000_NS6detail17trampoline_kernelINS0_14default_configENS1_38merge_sort_block_merge_config_selectorIjNS0_10empty_typeEEEZZNS1_27merge_sort_block_merge_implIS3_PjPS5_jNS1_19radix_merge_compareILb1ELb0EjNS0_19identity_decomposerEEEEE10hipError_tT0_T1_T2_jT3_P12ihipStream_tbPNSt15iterator_traitsISE_E10value_typeEPNSK_ISF_E10value_typeEPSG_NS1_7vsmem_tEENKUlT_SE_SF_SG_E_clIS8_S8_S9_S9_EESD_ST_SE_SF_SG_EUlST_E_NS1_11comp_targetILNS1_3genE10ELNS1_11target_archE1201ELNS1_3gpuE5ELNS1_3repE0EEENS1_48merge_mergepath_partition_config_static_selectorELNS0_4arch9wavefront6targetE1EEEvSF_
	.globl	_ZN7rocprim17ROCPRIM_400000_NS6detail17trampoline_kernelINS0_14default_configENS1_38merge_sort_block_merge_config_selectorIjNS0_10empty_typeEEEZZNS1_27merge_sort_block_merge_implIS3_PjPS5_jNS1_19radix_merge_compareILb1ELb0EjNS0_19identity_decomposerEEEEE10hipError_tT0_T1_T2_jT3_P12ihipStream_tbPNSt15iterator_traitsISE_E10value_typeEPNSK_ISF_E10value_typeEPSG_NS1_7vsmem_tEENKUlT_SE_SF_SG_E_clIS8_S8_S9_S9_EESD_ST_SE_SF_SG_EUlST_E_NS1_11comp_targetILNS1_3genE10ELNS1_11target_archE1201ELNS1_3gpuE5ELNS1_3repE0EEENS1_48merge_mergepath_partition_config_static_selectorELNS0_4arch9wavefront6targetE1EEEvSF_
	.p2align	8
	.type	_ZN7rocprim17ROCPRIM_400000_NS6detail17trampoline_kernelINS0_14default_configENS1_38merge_sort_block_merge_config_selectorIjNS0_10empty_typeEEEZZNS1_27merge_sort_block_merge_implIS3_PjPS5_jNS1_19radix_merge_compareILb1ELb0EjNS0_19identity_decomposerEEEEE10hipError_tT0_T1_T2_jT3_P12ihipStream_tbPNSt15iterator_traitsISE_E10value_typeEPNSK_ISF_E10value_typeEPSG_NS1_7vsmem_tEENKUlT_SE_SF_SG_E_clIS8_S8_S9_S9_EESD_ST_SE_SF_SG_EUlST_E_NS1_11comp_targetILNS1_3genE10ELNS1_11target_archE1201ELNS1_3gpuE5ELNS1_3repE0EEENS1_48merge_mergepath_partition_config_static_selectorELNS0_4arch9wavefront6targetE1EEEvSF_,@function
_ZN7rocprim17ROCPRIM_400000_NS6detail17trampoline_kernelINS0_14default_configENS1_38merge_sort_block_merge_config_selectorIjNS0_10empty_typeEEEZZNS1_27merge_sort_block_merge_implIS3_PjPS5_jNS1_19radix_merge_compareILb1ELb0EjNS0_19identity_decomposerEEEEE10hipError_tT0_T1_T2_jT3_P12ihipStream_tbPNSt15iterator_traitsISE_E10value_typeEPNSK_ISF_E10value_typeEPSG_NS1_7vsmem_tEENKUlT_SE_SF_SG_E_clIS8_S8_S9_S9_EESD_ST_SE_SF_SG_EUlST_E_NS1_11comp_targetILNS1_3genE10ELNS1_11target_archE1201ELNS1_3gpuE5ELNS1_3repE0EEENS1_48merge_mergepath_partition_config_static_selectorELNS0_4arch9wavefront6targetE1EEEvSF_: ; @_ZN7rocprim17ROCPRIM_400000_NS6detail17trampoline_kernelINS0_14default_configENS1_38merge_sort_block_merge_config_selectorIjNS0_10empty_typeEEEZZNS1_27merge_sort_block_merge_implIS3_PjPS5_jNS1_19radix_merge_compareILb1ELb0EjNS0_19identity_decomposerEEEEE10hipError_tT0_T1_T2_jT3_P12ihipStream_tbPNSt15iterator_traitsISE_E10value_typeEPNSK_ISF_E10value_typeEPSG_NS1_7vsmem_tEENKUlT_SE_SF_SG_E_clIS8_S8_S9_S9_EESD_ST_SE_SF_SG_EUlST_E_NS1_11comp_targetILNS1_3genE10ELNS1_11target_archE1201ELNS1_3gpuE5ELNS1_3repE0EEENS1_48merge_mergepath_partition_config_static_selectorELNS0_4arch9wavefront6targetE1EEEvSF_
; %bb.0:
	.section	.rodata,"a",@progbits
	.p2align	6, 0x0
	.amdhsa_kernel _ZN7rocprim17ROCPRIM_400000_NS6detail17trampoline_kernelINS0_14default_configENS1_38merge_sort_block_merge_config_selectorIjNS0_10empty_typeEEEZZNS1_27merge_sort_block_merge_implIS3_PjPS5_jNS1_19radix_merge_compareILb1ELb0EjNS0_19identity_decomposerEEEEE10hipError_tT0_T1_T2_jT3_P12ihipStream_tbPNSt15iterator_traitsISE_E10value_typeEPNSK_ISF_E10value_typeEPSG_NS1_7vsmem_tEENKUlT_SE_SF_SG_E_clIS8_S8_S9_S9_EESD_ST_SE_SF_SG_EUlST_E_NS1_11comp_targetILNS1_3genE10ELNS1_11target_archE1201ELNS1_3gpuE5ELNS1_3repE0EEENS1_48merge_mergepath_partition_config_static_selectorELNS0_4arch9wavefront6targetE1EEEvSF_
		.amdhsa_group_segment_fixed_size 0
		.amdhsa_private_segment_fixed_size 0
		.amdhsa_kernarg_size 40
		.amdhsa_user_sgpr_count 6
		.amdhsa_user_sgpr_private_segment_buffer 1
		.amdhsa_user_sgpr_dispatch_ptr 0
		.amdhsa_user_sgpr_queue_ptr 0
		.amdhsa_user_sgpr_kernarg_segment_ptr 1
		.amdhsa_user_sgpr_dispatch_id 0
		.amdhsa_user_sgpr_flat_scratch_init 0
		.amdhsa_user_sgpr_kernarg_preload_length 0
		.amdhsa_user_sgpr_kernarg_preload_offset 0
		.amdhsa_user_sgpr_private_segment_size 0
		.amdhsa_uses_dynamic_stack 0
		.amdhsa_system_sgpr_private_segment_wavefront_offset 0
		.amdhsa_system_sgpr_workgroup_id_x 1
		.amdhsa_system_sgpr_workgroup_id_y 0
		.amdhsa_system_sgpr_workgroup_id_z 0
		.amdhsa_system_sgpr_workgroup_info 0
		.amdhsa_system_vgpr_workitem_id 0
		.amdhsa_next_free_vgpr 1
		.amdhsa_next_free_sgpr 0
		.amdhsa_accum_offset 4
		.amdhsa_reserve_vcc 0
		.amdhsa_reserve_flat_scratch 0
		.amdhsa_float_round_mode_32 0
		.amdhsa_float_round_mode_16_64 0
		.amdhsa_float_denorm_mode_32 3
		.amdhsa_float_denorm_mode_16_64 3
		.amdhsa_dx10_clamp 1
		.amdhsa_ieee_mode 1
		.amdhsa_fp16_overflow 0
		.amdhsa_tg_split 0
		.amdhsa_exception_fp_ieee_invalid_op 0
		.amdhsa_exception_fp_denorm_src 0
		.amdhsa_exception_fp_ieee_div_zero 0
		.amdhsa_exception_fp_ieee_overflow 0
		.amdhsa_exception_fp_ieee_underflow 0
		.amdhsa_exception_fp_ieee_inexact 0
		.amdhsa_exception_int_div_zero 0
	.end_amdhsa_kernel
	.section	.text._ZN7rocprim17ROCPRIM_400000_NS6detail17trampoline_kernelINS0_14default_configENS1_38merge_sort_block_merge_config_selectorIjNS0_10empty_typeEEEZZNS1_27merge_sort_block_merge_implIS3_PjPS5_jNS1_19radix_merge_compareILb1ELb0EjNS0_19identity_decomposerEEEEE10hipError_tT0_T1_T2_jT3_P12ihipStream_tbPNSt15iterator_traitsISE_E10value_typeEPNSK_ISF_E10value_typeEPSG_NS1_7vsmem_tEENKUlT_SE_SF_SG_E_clIS8_S8_S9_S9_EESD_ST_SE_SF_SG_EUlST_E_NS1_11comp_targetILNS1_3genE10ELNS1_11target_archE1201ELNS1_3gpuE5ELNS1_3repE0EEENS1_48merge_mergepath_partition_config_static_selectorELNS0_4arch9wavefront6targetE1EEEvSF_,"axG",@progbits,_ZN7rocprim17ROCPRIM_400000_NS6detail17trampoline_kernelINS0_14default_configENS1_38merge_sort_block_merge_config_selectorIjNS0_10empty_typeEEEZZNS1_27merge_sort_block_merge_implIS3_PjPS5_jNS1_19radix_merge_compareILb1ELb0EjNS0_19identity_decomposerEEEEE10hipError_tT0_T1_T2_jT3_P12ihipStream_tbPNSt15iterator_traitsISE_E10value_typeEPNSK_ISF_E10value_typeEPSG_NS1_7vsmem_tEENKUlT_SE_SF_SG_E_clIS8_S8_S9_S9_EESD_ST_SE_SF_SG_EUlST_E_NS1_11comp_targetILNS1_3genE10ELNS1_11target_archE1201ELNS1_3gpuE5ELNS1_3repE0EEENS1_48merge_mergepath_partition_config_static_selectorELNS0_4arch9wavefront6targetE1EEEvSF_,comdat
.Lfunc_end2040:
	.size	_ZN7rocprim17ROCPRIM_400000_NS6detail17trampoline_kernelINS0_14default_configENS1_38merge_sort_block_merge_config_selectorIjNS0_10empty_typeEEEZZNS1_27merge_sort_block_merge_implIS3_PjPS5_jNS1_19radix_merge_compareILb1ELb0EjNS0_19identity_decomposerEEEEE10hipError_tT0_T1_T2_jT3_P12ihipStream_tbPNSt15iterator_traitsISE_E10value_typeEPNSK_ISF_E10value_typeEPSG_NS1_7vsmem_tEENKUlT_SE_SF_SG_E_clIS8_S8_S9_S9_EESD_ST_SE_SF_SG_EUlST_E_NS1_11comp_targetILNS1_3genE10ELNS1_11target_archE1201ELNS1_3gpuE5ELNS1_3repE0EEENS1_48merge_mergepath_partition_config_static_selectorELNS0_4arch9wavefront6targetE1EEEvSF_, .Lfunc_end2040-_ZN7rocprim17ROCPRIM_400000_NS6detail17trampoline_kernelINS0_14default_configENS1_38merge_sort_block_merge_config_selectorIjNS0_10empty_typeEEEZZNS1_27merge_sort_block_merge_implIS3_PjPS5_jNS1_19radix_merge_compareILb1ELb0EjNS0_19identity_decomposerEEEEE10hipError_tT0_T1_T2_jT3_P12ihipStream_tbPNSt15iterator_traitsISE_E10value_typeEPNSK_ISF_E10value_typeEPSG_NS1_7vsmem_tEENKUlT_SE_SF_SG_E_clIS8_S8_S9_S9_EESD_ST_SE_SF_SG_EUlST_E_NS1_11comp_targetILNS1_3genE10ELNS1_11target_archE1201ELNS1_3gpuE5ELNS1_3repE0EEENS1_48merge_mergepath_partition_config_static_selectorELNS0_4arch9wavefront6targetE1EEEvSF_
                                        ; -- End function
	.section	.AMDGPU.csdata,"",@progbits
; Kernel info:
; codeLenInByte = 0
; NumSgprs: 4
; NumVgprs: 0
; NumAgprs: 0
; TotalNumVgprs: 0
; ScratchSize: 0
; MemoryBound: 0
; FloatMode: 240
; IeeeMode: 1
; LDSByteSize: 0 bytes/workgroup (compile time only)
; SGPRBlocks: 0
; VGPRBlocks: 0
; NumSGPRsForWavesPerEU: 4
; NumVGPRsForWavesPerEU: 1
; AccumOffset: 4
; Occupancy: 8
; WaveLimiterHint : 0
; COMPUTE_PGM_RSRC2:SCRATCH_EN: 0
; COMPUTE_PGM_RSRC2:USER_SGPR: 6
; COMPUTE_PGM_RSRC2:TRAP_HANDLER: 0
; COMPUTE_PGM_RSRC2:TGID_X_EN: 1
; COMPUTE_PGM_RSRC2:TGID_Y_EN: 0
; COMPUTE_PGM_RSRC2:TGID_Z_EN: 0
; COMPUTE_PGM_RSRC2:TIDIG_COMP_CNT: 0
; COMPUTE_PGM_RSRC3_GFX90A:ACCUM_OFFSET: 0
; COMPUTE_PGM_RSRC3_GFX90A:TG_SPLIT: 0
	.section	.text._ZN7rocprim17ROCPRIM_400000_NS6detail17trampoline_kernelINS0_14default_configENS1_38merge_sort_block_merge_config_selectorIjNS0_10empty_typeEEEZZNS1_27merge_sort_block_merge_implIS3_PjPS5_jNS1_19radix_merge_compareILb1ELb0EjNS0_19identity_decomposerEEEEE10hipError_tT0_T1_T2_jT3_P12ihipStream_tbPNSt15iterator_traitsISE_E10value_typeEPNSK_ISF_E10value_typeEPSG_NS1_7vsmem_tEENKUlT_SE_SF_SG_E_clIS8_S8_S9_S9_EESD_ST_SE_SF_SG_EUlST_E_NS1_11comp_targetILNS1_3genE5ELNS1_11target_archE942ELNS1_3gpuE9ELNS1_3repE0EEENS1_48merge_mergepath_partition_config_static_selectorELNS0_4arch9wavefront6targetE1EEEvSF_,"axG",@progbits,_ZN7rocprim17ROCPRIM_400000_NS6detail17trampoline_kernelINS0_14default_configENS1_38merge_sort_block_merge_config_selectorIjNS0_10empty_typeEEEZZNS1_27merge_sort_block_merge_implIS3_PjPS5_jNS1_19radix_merge_compareILb1ELb0EjNS0_19identity_decomposerEEEEE10hipError_tT0_T1_T2_jT3_P12ihipStream_tbPNSt15iterator_traitsISE_E10value_typeEPNSK_ISF_E10value_typeEPSG_NS1_7vsmem_tEENKUlT_SE_SF_SG_E_clIS8_S8_S9_S9_EESD_ST_SE_SF_SG_EUlST_E_NS1_11comp_targetILNS1_3genE5ELNS1_11target_archE942ELNS1_3gpuE9ELNS1_3repE0EEENS1_48merge_mergepath_partition_config_static_selectorELNS0_4arch9wavefront6targetE1EEEvSF_,comdat
	.protected	_ZN7rocprim17ROCPRIM_400000_NS6detail17trampoline_kernelINS0_14default_configENS1_38merge_sort_block_merge_config_selectorIjNS0_10empty_typeEEEZZNS1_27merge_sort_block_merge_implIS3_PjPS5_jNS1_19radix_merge_compareILb1ELb0EjNS0_19identity_decomposerEEEEE10hipError_tT0_T1_T2_jT3_P12ihipStream_tbPNSt15iterator_traitsISE_E10value_typeEPNSK_ISF_E10value_typeEPSG_NS1_7vsmem_tEENKUlT_SE_SF_SG_E_clIS8_S8_S9_S9_EESD_ST_SE_SF_SG_EUlST_E_NS1_11comp_targetILNS1_3genE5ELNS1_11target_archE942ELNS1_3gpuE9ELNS1_3repE0EEENS1_48merge_mergepath_partition_config_static_selectorELNS0_4arch9wavefront6targetE1EEEvSF_ ; -- Begin function _ZN7rocprim17ROCPRIM_400000_NS6detail17trampoline_kernelINS0_14default_configENS1_38merge_sort_block_merge_config_selectorIjNS0_10empty_typeEEEZZNS1_27merge_sort_block_merge_implIS3_PjPS5_jNS1_19radix_merge_compareILb1ELb0EjNS0_19identity_decomposerEEEEE10hipError_tT0_T1_T2_jT3_P12ihipStream_tbPNSt15iterator_traitsISE_E10value_typeEPNSK_ISF_E10value_typeEPSG_NS1_7vsmem_tEENKUlT_SE_SF_SG_E_clIS8_S8_S9_S9_EESD_ST_SE_SF_SG_EUlST_E_NS1_11comp_targetILNS1_3genE5ELNS1_11target_archE942ELNS1_3gpuE9ELNS1_3repE0EEENS1_48merge_mergepath_partition_config_static_selectorELNS0_4arch9wavefront6targetE1EEEvSF_
	.globl	_ZN7rocprim17ROCPRIM_400000_NS6detail17trampoline_kernelINS0_14default_configENS1_38merge_sort_block_merge_config_selectorIjNS0_10empty_typeEEEZZNS1_27merge_sort_block_merge_implIS3_PjPS5_jNS1_19radix_merge_compareILb1ELb0EjNS0_19identity_decomposerEEEEE10hipError_tT0_T1_T2_jT3_P12ihipStream_tbPNSt15iterator_traitsISE_E10value_typeEPNSK_ISF_E10value_typeEPSG_NS1_7vsmem_tEENKUlT_SE_SF_SG_E_clIS8_S8_S9_S9_EESD_ST_SE_SF_SG_EUlST_E_NS1_11comp_targetILNS1_3genE5ELNS1_11target_archE942ELNS1_3gpuE9ELNS1_3repE0EEENS1_48merge_mergepath_partition_config_static_selectorELNS0_4arch9wavefront6targetE1EEEvSF_
	.p2align	8
	.type	_ZN7rocprim17ROCPRIM_400000_NS6detail17trampoline_kernelINS0_14default_configENS1_38merge_sort_block_merge_config_selectorIjNS0_10empty_typeEEEZZNS1_27merge_sort_block_merge_implIS3_PjPS5_jNS1_19radix_merge_compareILb1ELb0EjNS0_19identity_decomposerEEEEE10hipError_tT0_T1_T2_jT3_P12ihipStream_tbPNSt15iterator_traitsISE_E10value_typeEPNSK_ISF_E10value_typeEPSG_NS1_7vsmem_tEENKUlT_SE_SF_SG_E_clIS8_S8_S9_S9_EESD_ST_SE_SF_SG_EUlST_E_NS1_11comp_targetILNS1_3genE5ELNS1_11target_archE942ELNS1_3gpuE9ELNS1_3repE0EEENS1_48merge_mergepath_partition_config_static_selectorELNS0_4arch9wavefront6targetE1EEEvSF_,@function
_ZN7rocprim17ROCPRIM_400000_NS6detail17trampoline_kernelINS0_14default_configENS1_38merge_sort_block_merge_config_selectorIjNS0_10empty_typeEEEZZNS1_27merge_sort_block_merge_implIS3_PjPS5_jNS1_19radix_merge_compareILb1ELb0EjNS0_19identity_decomposerEEEEE10hipError_tT0_T1_T2_jT3_P12ihipStream_tbPNSt15iterator_traitsISE_E10value_typeEPNSK_ISF_E10value_typeEPSG_NS1_7vsmem_tEENKUlT_SE_SF_SG_E_clIS8_S8_S9_S9_EESD_ST_SE_SF_SG_EUlST_E_NS1_11comp_targetILNS1_3genE5ELNS1_11target_archE942ELNS1_3gpuE9ELNS1_3repE0EEENS1_48merge_mergepath_partition_config_static_selectorELNS0_4arch9wavefront6targetE1EEEvSF_: ; @_ZN7rocprim17ROCPRIM_400000_NS6detail17trampoline_kernelINS0_14default_configENS1_38merge_sort_block_merge_config_selectorIjNS0_10empty_typeEEEZZNS1_27merge_sort_block_merge_implIS3_PjPS5_jNS1_19radix_merge_compareILb1ELb0EjNS0_19identity_decomposerEEEEE10hipError_tT0_T1_T2_jT3_P12ihipStream_tbPNSt15iterator_traitsISE_E10value_typeEPNSK_ISF_E10value_typeEPSG_NS1_7vsmem_tEENKUlT_SE_SF_SG_E_clIS8_S8_S9_S9_EESD_ST_SE_SF_SG_EUlST_E_NS1_11comp_targetILNS1_3genE5ELNS1_11target_archE942ELNS1_3gpuE9ELNS1_3repE0EEENS1_48merge_mergepath_partition_config_static_selectorELNS0_4arch9wavefront6targetE1EEEvSF_
; %bb.0:
	.section	.rodata,"a",@progbits
	.p2align	6, 0x0
	.amdhsa_kernel _ZN7rocprim17ROCPRIM_400000_NS6detail17trampoline_kernelINS0_14default_configENS1_38merge_sort_block_merge_config_selectorIjNS0_10empty_typeEEEZZNS1_27merge_sort_block_merge_implIS3_PjPS5_jNS1_19radix_merge_compareILb1ELb0EjNS0_19identity_decomposerEEEEE10hipError_tT0_T1_T2_jT3_P12ihipStream_tbPNSt15iterator_traitsISE_E10value_typeEPNSK_ISF_E10value_typeEPSG_NS1_7vsmem_tEENKUlT_SE_SF_SG_E_clIS8_S8_S9_S9_EESD_ST_SE_SF_SG_EUlST_E_NS1_11comp_targetILNS1_3genE5ELNS1_11target_archE942ELNS1_3gpuE9ELNS1_3repE0EEENS1_48merge_mergepath_partition_config_static_selectorELNS0_4arch9wavefront6targetE1EEEvSF_
		.amdhsa_group_segment_fixed_size 0
		.amdhsa_private_segment_fixed_size 0
		.amdhsa_kernarg_size 40
		.amdhsa_user_sgpr_count 6
		.amdhsa_user_sgpr_private_segment_buffer 1
		.amdhsa_user_sgpr_dispatch_ptr 0
		.amdhsa_user_sgpr_queue_ptr 0
		.amdhsa_user_sgpr_kernarg_segment_ptr 1
		.amdhsa_user_sgpr_dispatch_id 0
		.amdhsa_user_sgpr_flat_scratch_init 0
		.amdhsa_user_sgpr_kernarg_preload_length 0
		.amdhsa_user_sgpr_kernarg_preload_offset 0
		.amdhsa_user_sgpr_private_segment_size 0
		.amdhsa_uses_dynamic_stack 0
		.amdhsa_system_sgpr_private_segment_wavefront_offset 0
		.amdhsa_system_sgpr_workgroup_id_x 1
		.amdhsa_system_sgpr_workgroup_id_y 0
		.amdhsa_system_sgpr_workgroup_id_z 0
		.amdhsa_system_sgpr_workgroup_info 0
		.amdhsa_system_vgpr_workitem_id 0
		.amdhsa_next_free_vgpr 1
		.amdhsa_next_free_sgpr 0
		.amdhsa_accum_offset 4
		.amdhsa_reserve_vcc 0
		.amdhsa_reserve_flat_scratch 0
		.amdhsa_float_round_mode_32 0
		.amdhsa_float_round_mode_16_64 0
		.amdhsa_float_denorm_mode_32 3
		.amdhsa_float_denorm_mode_16_64 3
		.amdhsa_dx10_clamp 1
		.amdhsa_ieee_mode 1
		.amdhsa_fp16_overflow 0
		.amdhsa_tg_split 0
		.amdhsa_exception_fp_ieee_invalid_op 0
		.amdhsa_exception_fp_denorm_src 0
		.amdhsa_exception_fp_ieee_div_zero 0
		.amdhsa_exception_fp_ieee_overflow 0
		.amdhsa_exception_fp_ieee_underflow 0
		.amdhsa_exception_fp_ieee_inexact 0
		.amdhsa_exception_int_div_zero 0
	.end_amdhsa_kernel
	.section	.text._ZN7rocprim17ROCPRIM_400000_NS6detail17trampoline_kernelINS0_14default_configENS1_38merge_sort_block_merge_config_selectorIjNS0_10empty_typeEEEZZNS1_27merge_sort_block_merge_implIS3_PjPS5_jNS1_19radix_merge_compareILb1ELb0EjNS0_19identity_decomposerEEEEE10hipError_tT0_T1_T2_jT3_P12ihipStream_tbPNSt15iterator_traitsISE_E10value_typeEPNSK_ISF_E10value_typeEPSG_NS1_7vsmem_tEENKUlT_SE_SF_SG_E_clIS8_S8_S9_S9_EESD_ST_SE_SF_SG_EUlST_E_NS1_11comp_targetILNS1_3genE5ELNS1_11target_archE942ELNS1_3gpuE9ELNS1_3repE0EEENS1_48merge_mergepath_partition_config_static_selectorELNS0_4arch9wavefront6targetE1EEEvSF_,"axG",@progbits,_ZN7rocprim17ROCPRIM_400000_NS6detail17trampoline_kernelINS0_14default_configENS1_38merge_sort_block_merge_config_selectorIjNS0_10empty_typeEEEZZNS1_27merge_sort_block_merge_implIS3_PjPS5_jNS1_19radix_merge_compareILb1ELb0EjNS0_19identity_decomposerEEEEE10hipError_tT0_T1_T2_jT3_P12ihipStream_tbPNSt15iterator_traitsISE_E10value_typeEPNSK_ISF_E10value_typeEPSG_NS1_7vsmem_tEENKUlT_SE_SF_SG_E_clIS8_S8_S9_S9_EESD_ST_SE_SF_SG_EUlST_E_NS1_11comp_targetILNS1_3genE5ELNS1_11target_archE942ELNS1_3gpuE9ELNS1_3repE0EEENS1_48merge_mergepath_partition_config_static_selectorELNS0_4arch9wavefront6targetE1EEEvSF_,comdat
.Lfunc_end2041:
	.size	_ZN7rocprim17ROCPRIM_400000_NS6detail17trampoline_kernelINS0_14default_configENS1_38merge_sort_block_merge_config_selectorIjNS0_10empty_typeEEEZZNS1_27merge_sort_block_merge_implIS3_PjPS5_jNS1_19radix_merge_compareILb1ELb0EjNS0_19identity_decomposerEEEEE10hipError_tT0_T1_T2_jT3_P12ihipStream_tbPNSt15iterator_traitsISE_E10value_typeEPNSK_ISF_E10value_typeEPSG_NS1_7vsmem_tEENKUlT_SE_SF_SG_E_clIS8_S8_S9_S9_EESD_ST_SE_SF_SG_EUlST_E_NS1_11comp_targetILNS1_3genE5ELNS1_11target_archE942ELNS1_3gpuE9ELNS1_3repE0EEENS1_48merge_mergepath_partition_config_static_selectorELNS0_4arch9wavefront6targetE1EEEvSF_, .Lfunc_end2041-_ZN7rocprim17ROCPRIM_400000_NS6detail17trampoline_kernelINS0_14default_configENS1_38merge_sort_block_merge_config_selectorIjNS0_10empty_typeEEEZZNS1_27merge_sort_block_merge_implIS3_PjPS5_jNS1_19radix_merge_compareILb1ELb0EjNS0_19identity_decomposerEEEEE10hipError_tT0_T1_T2_jT3_P12ihipStream_tbPNSt15iterator_traitsISE_E10value_typeEPNSK_ISF_E10value_typeEPSG_NS1_7vsmem_tEENKUlT_SE_SF_SG_E_clIS8_S8_S9_S9_EESD_ST_SE_SF_SG_EUlST_E_NS1_11comp_targetILNS1_3genE5ELNS1_11target_archE942ELNS1_3gpuE9ELNS1_3repE0EEENS1_48merge_mergepath_partition_config_static_selectorELNS0_4arch9wavefront6targetE1EEEvSF_
                                        ; -- End function
	.section	.AMDGPU.csdata,"",@progbits
; Kernel info:
; codeLenInByte = 0
; NumSgprs: 4
; NumVgprs: 0
; NumAgprs: 0
; TotalNumVgprs: 0
; ScratchSize: 0
; MemoryBound: 0
; FloatMode: 240
; IeeeMode: 1
; LDSByteSize: 0 bytes/workgroup (compile time only)
; SGPRBlocks: 0
; VGPRBlocks: 0
; NumSGPRsForWavesPerEU: 4
; NumVGPRsForWavesPerEU: 1
; AccumOffset: 4
; Occupancy: 8
; WaveLimiterHint : 0
; COMPUTE_PGM_RSRC2:SCRATCH_EN: 0
; COMPUTE_PGM_RSRC2:USER_SGPR: 6
; COMPUTE_PGM_RSRC2:TRAP_HANDLER: 0
; COMPUTE_PGM_RSRC2:TGID_X_EN: 1
; COMPUTE_PGM_RSRC2:TGID_Y_EN: 0
; COMPUTE_PGM_RSRC2:TGID_Z_EN: 0
; COMPUTE_PGM_RSRC2:TIDIG_COMP_CNT: 0
; COMPUTE_PGM_RSRC3_GFX90A:ACCUM_OFFSET: 0
; COMPUTE_PGM_RSRC3_GFX90A:TG_SPLIT: 0
	.section	.text._ZN7rocprim17ROCPRIM_400000_NS6detail17trampoline_kernelINS0_14default_configENS1_38merge_sort_block_merge_config_selectorIjNS0_10empty_typeEEEZZNS1_27merge_sort_block_merge_implIS3_PjPS5_jNS1_19radix_merge_compareILb1ELb0EjNS0_19identity_decomposerEEEEE10hipError_tT0_T1_T2_jT3_P12ihipStream_tbPNSt15iterator_traitsISE_E10value_typeEPNSK_ISF_E10value_typeEPSG_NS1_7vsmem_tEENKUlT_SE_SF_SG_E_clIS8_S8_S9_S9_EESD_ST_SE_SF_SG_EUlST_E_NS1_11comp_targetILNS1_3genE4ELNS1_11target_archE910ELNS1_3gpuE8ELNS1_3repE0EEENS1_48merge_mergepath_partition_config_static_selectorELNS0_4arch9wavefront6targetE1EEEvSF_,"axG",@progbits,_ZN7rocprim17ROCPRIM_400000_NS6detail17trampoline_kernelINS0_14default_configENS1_38merge_sort_block_merge_config_selectorIjNS0_10empty_typeEEEZZNS1_27merge_sort_block_merge_implIS3_PjPS5_jNS1_19radix_merge_compareILb1ELb0EjNS0_19identity_decomposerEEEEE10hipError_tT0_T1_T2_jT3_P12ihipStream_tbPNSt15iterator_traitsISE_E10value_typeEPNSK_ISF_E10value_typeEPSG_NS1_7vsmem_tEENKUlT_SE_SF_SG_E_clIS8_S8_S9_S9_EESD_ST_SE_SF_SG_EUlST_E_NS1_11comp_targetILNS1_3genE4ELNS1_11target_archE910ELNS1_3gpuE8ELNS1_3repE0EEENS1_48merge_mergepath_partition_config_static_selectorELNS0_4arch9wavefront6targetE1EEEvSF_,comdat
	.protected	_ZN7rocprim17ROCPRIM_400000_NS6detail17trampoline_kernelINS0_14default_configENS1_38merge_sort_block_merge_config_selectorIjNS0_10empty_typeEEEZZNS1_27merge_sort_block_merge_implIS3_PjPS5_jNS1_19radix_merge_compareILb1ELb0EjNS0_19identity_decomposerEEEEE10hipError_tT0_T1_T2_jT3_P12ihipStream_tbPNSt15iterator_traitsISE_E10value_typeEPNSK_ISF_E10value_typeEPSG_NS1_7vsmem_tEENKUlT_SE_SF_SG_E_clIS8_S8_S9_S9_EESD_ST_SE_SF_SG_EUlST_E_NS1_11comp_targetILNS1_3genE4ELNS1_11target_archE910ELNS1_3gpuE8ELNS1_3repE0EEENS1_48merge_mergepath_partition_config_static_selectorELNS0_4arch9wavefront6targetE1EEEvSF_ ; -- Begin function _ZN7rocprim17ROCPRIM_400000_NS6detail17trampoline_kernelINS0_14default_configENS1_38merge_sort_block_merge_config_selectorIjNS0_10empty_typeEEEZZNS1_27merge_sort_block_merge_implIS3_PjPS5_jNS1_19radix_merge_compareILb1ELb0EjNS0_19identity_decomposerEEEEE10hipError_tT0_T1_T2_jT3_P12ihipStream_tbPNSt15iterator_traitsISE_E10value_typeEPNSK_ISF_E10value_typeEPSG_NS1_7vsmem_tEENKUlT_SE_SF_SG_E_clIS8_S8_S9_S9_EESD_ST_SE_SF_SG_EUlST_E_NS1_11comp_targetILNS1_3genE4ELNS1_11target_archE910ELNS1_3gpuE8ELNS1_3repE0EEENS1_48merge_mergepath_partition_config_static_selectorELNS0_4arch9wavefront6targetE1EEEvSF_
	.globl	_ZN7rocprim17ROCPRIM_400000_NS6detail17trampoline_kernelINS0_14default_configENS1_38merge_sort_block_merge_config_selectorIjNS0_10empty_typeEEEZZNS1_27merge_sort_block_merge_implIS3_PjPS5_jNS1_19radix_merge_compareILb1ELb0EjNS0_19identity_decomposerEEEEE10hipError_tT0_T1_T2_jT3_P12ihipStream_tbPNSt15iterator_traitsISE_E10value_typeEPNSK_ISF_E10value_typeEPSG_NS1_7vsmem_tEENKUlT_SE_SF_SG_E_clIS8_S8_S9_S9_EESD_ST_SE_SF_SG_EUlST_E_NS1_11comp_targetILNS1_3genE4ELNS1_11target_archE910ELNS1_3gpuE8ELNS1_3repE0EEENS1_48merge_mergepath_partition_config_static_selectorELNS0_4arch9wavefront6targetE1EEEvSF_
	.p2align	8
	.type	_ZN7rocprim17ROCPRIM_400000_NS6detail17trampoline_kernelINS0_14default_configENS1_38merge_sort_block_merge_config_selectorIjNS0_10empty_typeEEEZZNS1_27merge_sort_block_merge_implIS3_PjPS5_jNS1_19radix_merge_compareILb1ELb0EjNS0_19identity_decomposerEEEEE10hipError_tT0_T1_T2_jT3_P12ihipStream_tbPNSt15iterator_traitsISE_E10value_typeEPNSK_ISF_E10value_typeEPSG_NS1_7vsmem_tEENKUlT_SE_SF_SG_E_clIS8_S8_S9_S9_EESD_ST_SE_SF_SG_EUlST_E_NS1_11comp_targetILNS1_3genE4ELNS1_11target_archE910ELNS1_3gpuE8ELNS1_3repE0EEENS1_48merge_mergepath_partition_config_static_selectorELNS0_4arch9wavefront6targetE1EEEvSF_,@function
_ZN7rocprim17ROCPRIM_400000_NS6detail17trampoline_kernelINS0_14default_configENS1_38merge_sort_block_merge_config_selectorIjNS0_10empty_typeEEEZZNS1_27merge_sort_block_merge_implIS3_PjPS5_jNS1_19radix_merge_compareILb1ELb0EjNS0_19identity_decomposerEEEEE10hipError_tT0_T1_T2_jT3_P12ihipStream_tbPNSt15iterator_traitsISE_E10value_typeEPNSK_ISF_E10value_typeEPSG_NS1_7vsmem_tEENKUlT_SE_SF_SG_E_clIS8_S8_S9_S9_EESD_ST_SE_SF_SG_EUlST_E_NS1_11comp_targetILNS1_3genE4ELNS1_11target_archE910ELNS1_3gpuE8ELNS1_3repE0EEENS1_48merge_mergepath_partition_config_static_selectorELNS0_4arch9wavefront6targetE1EEEvSF_: ; @_ZN7rocprim17ROCPRIM_400000_NS6detail17trampoline_kernelINS0_14default_configENS1_38merge_sort_block_merge_config_selectorIjNS0_10empty_typeEEEZZNS1_27merge_sort_block_merge_implIS3_PjPS5_jNS1_19radix_merge_compareILb1ELb0EjNS0_19identity_decomposerEEEEE10hipError_tT0_T1_T2_jT3_P12ihipStream_tbPNSt15iterator_traitsISE_E10value_typeEPNSK_ISF_E10value_typeEPSG_NS1_7vsmem_tEENKUlT_SE_SF_SG_E_clIS8_S8_S9_S9_EESD_ST_SE_SF_SG_EUlST_E_NS1_11comp_targetILNS1_3genE4ELNS1_11target_archE910ELNS1_3gpuE8ELNS1_3repE0EEENS1_48merge_mergepath_partition_config_static_selectorELNS0_4arch9wavefront6targetE1EEEvSF_
; %bb.0:
	s_load_dword s0, s[4:5], 0x0
	v_lshl_or_b32 v0, s6, 7, v0
	s_waitcnt lgkmcnt(0)
	v_cmp_gt_u32_e32 vcc, s0, v0
	s_and_saveexec_b64 s[0:1], vcc
	s_cbranch_execz .LBB2042_6
; %bb.1:
	s_load_dwordx2 s[2:3], s[4:5], 0x4
	s_load_dwordx2 s[0:1], s[4:5], 0x20
	s_waitcnt lgkmcnt(0)
	s_lshr_b32 s6, s2, 9
	s_and_b32 s6, s6, 0x7ffffe
	s_add_i32 s7, s6, -1
	s_sub_i32 s6, 0, s6
	v_and_b32_e32 v1, s6, v0
	v_lshlrev_b32_e32 v1, 10, v1
	v_min_u32_e32 v2, s3, v1
	v_add_u32_e32 v1, s2, v1
	v_min_u32_e32 v4, s3, v1
	v_add_u32_e32 v1, s2, v4
	v_and_b32_e32 v3, s7, v0
	v_min_u32_e32 v1, s3, v1
	v_sub_u32_e32 v5, v1, v2
	v_lshlrev_b32_e32 v3, 10, v3
	v_min_u32_e32 v6, v5, v3
	v_sub_u32_e32 v3, v4, v2
	v_sub_u32_e32 v1, v1, v4
	v_sub_u32_e64 v1, v6, v1 clamp
	v_min_u32_e32 v7, v6, v3
	v_cmp_lt_u32_e32 vcc, v1, v7
	s_and_saveexec_b64 s[2:3], vcc
	s_cbranch_execz .LBB2042_5
; %bb.2:
	s_load_dwordx2 s[4:5], s[4:5], 0x10
	v_mov_b32_e32 v5, 0
	v_mov_b32_e32 v3, v5
	v_lshlrev_b64 v[8:9], 2, v[2:3]
	v_lshlrev_b64 v[10:11], 2, v[4:5]
	s_waitcnt lgkmcnt(0)
	v_mov_b32_e32 v12, s5
	v_add_co_u32_e32 v3, vcc, s4, v8
	v_addc_co_u32_e32 v8, vcc, v12, v9, vcc
	v_add_co_u32_e32 v9, vcc, s4, v10
	v_addc_co_u32_e32 v10, vcc, v12, v11, vcc
	s_mov_b64 s[4:5], 0
.LBB2042_3:                             ; =>This Inner Loop Header: Depth=1
	v_add_u32_e32 v4, v7, v1
	v_lshrrev_b32_e32 v4, 1, v4
	v_lshlrev_b64 v[14:15], 2, v[4:5]
	v_mov_b32_e32 v13, v5
	v_xad_u32 v12, v4, -1, v6
	v_add_co_u32_e32 v14, vcc, v3, v14
	v_addc_co_u32_e32 v15, vcc, v8, v15, vcc
	v_lshlrev_b64 v[12:13], 2, v[12:13]
	v_add_co_u32_e32 v12, vcc, v9, v12
	v_addc_co_u32_e32 v13, vcc, v10, v13, vcc
	global_load_dword v11, v[14:15], off
	global_load_dword v16, v[12:13], off
	v_add_u32_e32 v12, 1, v4
	s_waitcnt vmcnt(0)
	v_cmp_gt_u32_e32 vcc, v16, v11
	v_cndmask_b32_e32 v7, v7, v4, vcc
	v_cndmask_b32_e32 v1, v12, v1, vcc
	v_cmp_ge_u32_e32 vcc, v1, v7
	s_or_b64 s[4:5], vcc, s[4:5]
	s_andn2_b64 exec, exec, s[4:5]
	s_cbranch_execnz .LBB2042_3
; %bb.4:
	s_or_b64 exec, exec, s[4:5]
.LBB2042_5:
	s_or_b64 exec, exec, s[2:3]
	v_add_u32_e32 v2, v1, v2
	v_mov_b32_e32 v1, 0
	v_lshlrev_b64 v[0:1], 2, v[0:1]
	v_mov_b32_e32 v3, s1
	v_add_co_u32_e32 v0, vcc, s0, v0
	v_addc_co_u32_e32 v1, vcc, v3, v1, vcc
	global_store_dword v[0:1], v2, off
.LBB2042_6:
	s_endpgm
	.section	.rodata,"a",@progbits
	.p2align	6, 0x0
	.amdhsa_kernel _ZN7rocprim17ROCPRIM_400000_NS6detail17trampoline_kernelINS0_14default_configENS1_38merge_sort_block_merge_config_selectorIjNS0_10empty_typeEEEZZNS1_27merge_sort_block_merge_implIS3_PjPS5_jNS1_19radix_merge_compareILb1ELb0EjNS0_19identity_decomposerEEEEE10hipError_tT0_T1_T2_jT3_P12ihipStream_tbPNSt15iterator_traitsISE_E10value_typeEPNSK_ISF_E10value_typeEPSG_NS1_7vsmem_tEENKUlT_SE_SF_SG_E_clIS8_S8_S9_S9_EESD_ST_SE_SF_SG_EUlST_E_NS1_11comp_targetILNS1_3genE4ELNS1_11target_archE910ELNS1_3gpuE8ELNS1_3repE0EEENS1_48merge_mergepath_partition_config_static_selectorELNS0_4arch9wavefront6targetE1EEEvSF_
		.amdhsa_group_segment_fixed_size 0
		.amdhsa_private_segment_fixed_size 0
		.amdhsa_kernarg_size 40
		.amdhsa_user_sgpr_count 6
		.amdhsa_user_sgpr_private_segment_buffer 1
		.amdhsa_user_sgpr_dispatch_ptr 0
		.amdhsa_user_sgpr_queue_ptr 0
		.amdhsa_user_sgpr_kernarg_segment_ptr 1
		.amdhsa_user_sgpr_dispatch_id 0
		.amdhsa_user_sgpr_flat_scratch_init 0
		.amdhsa_user_sgpr_kernarg_preload_length 0
		.amdhsa_user_sgpr_kernarg_preload_offset 0
		.amdhsa_user_sgpr_private_segment_size 0
		.amdhsa_uses_dynamic_stack 0
		.amdhsa_system_sgpr_private_segment_wavefront_offset 0
		.amdhsa_system_sgpr_workgroup_id_x 1
		.amdhsa_system_sgpr_workgroup_id_y 0
		.amdhsa_system_sgpr_workgroup_id_z 0
		.amdhsa_system_sgpr_workgroup_info 0
		.amdhsa_system_vgpr_workitem_id 0
		.amdhsa_next_free_vgpr 17
		.amdhsa_next_free_sgpr 8
		.amdhsa_accum_offset 20
		.amdhsa_reserve_vcc 1
		.amdhsa_reserve_flat_scratch 0
		.amdhsa_float_round_mode_32 0
		.amdhsa_float_round_mode_16_64 0
		.amdhsa_float_denorm_mode_32 3
		.amdhsa_float_denorm_mode_16_64 3
		.amdhsa_dx10_clamp 1
		.amdhsa_ieee_mode 1
		.amdhsa_fp16_overflow 0
		.amdhsa_tg_split 0
		.amdhsa_exception_fp_ieee_invalid_op 0
		.amdhsa_exception_fp_denorm_src 0
		.amdhsa_exception_fp_ieee_div_zero 0
		.amdhsa_exception_fp_ieee_overflow 0
		.amdhsa_exception_fp_ieee_underflow 0
		.amdhsa_exception_fp_ieee_inexact 0
		.amdhsa_exception_int_div_zero 0
	.end_amdhsa_kernel
	.section	.text._ZN7rocprim17ROCPRIM_400000_NS6detail17trampoline_kernelINS0_14default_configENS1_38merge_sort_block_merge_config_selectorIjNS0_10empty_typeEEEZZNS1_27merge_sort_block_merge_implIS3_PjPS5_jNS1_19radix_merge_compareILb1ELb0EjNS0_19identity_decomposerEEEEE10hipError_tT0_T1_T2_jT3_P12ihipStream_tbPNSt15iterator_traitsISE_E10value_typeEPNSK_ISF_E10value_typeEPSG_NS1_7vsmem_tEENKUlT_SE_SF_SG_E_clIS8_S8_S9_S9_EESD_ST_SE_SF_SG_EUlST_E_NS1_11comp_targetILNS1_3genE4ELNS1_11target_archE910ELNS1_3gpuE8ELNS1_3repE0EEENS1_48merge_mergepath_partition_config_static_selectorELNS0_4arch9wavefront6targetE1EEEvSF_,"axG",@progbits,_ZN7rocprim17ROCPRIM_400000_NS6detail17trampoline_kernelINS0_14default_configENS1_38merge_sort_block_merge_config_selectorIjNS0_10empty_typeEEEZZNS1_27merge_sort_block_merge_implIS3_PjPS5_jNS1_19radix_merge_compareILb1ELb0EjNS0_19identity_decomposerEEEEE10hipError_tT0_T1_T2_jT3_P12ihipStream_tbPNSt15iterator_traitsISE_E10value_typeEPNSK_ISF_E10value_typeEPSG_NS1_7vsmem_tEENKUlT_SE_SF_SG_E_clIS8_S8_S9_S9_EESD_ST_SE_SF_SG_EUlST_E_NS1_11comp_targetILNS1_3genE4ELNS1_11target_archE910ELNS1_3gpuE8ELNS1_3repE0EEENS1_48merge_mergepath_partition_config_static_selectorELNS0_4arch9wavefront6targetE1EEEvSF_,comdat
.Lfunc_end2042:
	.size	_ZN7rocprim17ROCPRIM_400000_NS6detail17trampoline_kernelINS0_14default_configENS1_38merge_sort_block_merge_config_selectorIjNS0_10empty_typeEEEZZNS1_27merge_sort_block_merge_implIS3_PjPS5_jNS1_19radix_merge_compareILb1ELb0EjNS0_19identity_decomposerEEEEE10hipError_tT0_T1_T2_jT3_P12ihipStream_tbPNSt15iterator_traitsISE_E10value_typeEPNSK_ISF_E10value_typeEPSG_NS1_7vsmem_tEENKUlT_SE_SF_SG_E_clIS8_S8_S9_S9_EESD_ST_SE_SF_SG_EUlST_E_NS1_11comp_targetILNS1_3genE4ELNS1_11target_archE910ELNS1_3gpuE8ELNS1_3repE0EEENS1_48merge_mergepath_partition_config_static_selectorELNS0_4arch9wavefront6targetE1EEEvSF_, .Lfunc_end2042-_ZN7rocprim17ROCPRIM_400000_NS6detail17trampoline_kernelINS0_14default_configENS1_38merge_sort_block_merge_config_selectorIjNS0_10empty_typeEEEZZNS1_27merge_sort_block_merge_implIS3_PjPS5_jNS1_19radix_merge_compareILb1ELb0EjNS0_19identity_decomposerEEEEE10hipError_tT0_T1_T2_jT3_P12ihipStream_tbPNSt15iterator_traitsISE_E10value_typeEPNSK_ISF_E10value_typeEPSG_NS1_7vsmem_tEENKUlT_SE_SF_SG_E_clIS8_S8_S9_S9_EESD_ST_SE_SF_SG_EUlST_E_NS1_11comp_targetILNS1_3genE4ELNS1_11target_archE910ELNS1_3gpuE8ELNS1_3repE0EEENS1_48merge_mergepath_partition_config_static_selectorELNS0_4arch9wavefront6targetE1EEEvSF_
                                        ; -- End function
	.section	.AMDGPU.csdata,"",@progbits
; Kernel info:
; codeLenInByte = 360
; NumSgprs: 12
; NumVgprs: 17
; NumAgprs: 0
; TotalNumVgprs: 17
; ScratchSize: 0
; MemoryBound: 0
; FloatMode: 240
; IeeeMode: 1
; LDSByteSize: 0 bytes/workgroup (compile time only)
; SGPRBlocks: 1
; VGPRBlocks: 2
; NumSGPRsForWavesPerEU: 12
; NumVGPRsForWavesPerEU: 17
; AccumOffset: 20
; Occupancy: 8
; WaveLimiterHint : 0
; COMPUTE_PGM_RSRC2:SCRATCH_EN: 0
; COMPUTE_PGM_RSRC2:USER_SGPR: 6
; COMPUTE_PGM_RSRC2:TRAP_HANDLER: 0
; COMPUTE_PGM_RSRC2:TGID_X_EN: 1
; COMPUTE_PGM_RSRC2:TGID_Y_EN: 0
; COMPUTE_PGM_RSRC2:TGID_Z_EN: 0
; COMPUTE_PGM_RSRC2:TIDIG_COMP_CNT: 0
; COMPUTE_PGM_RSRC3_GFX90A:ACCUM_OFFSET: 4
; COMPUTE_PGM_RSRC3_GFX90A:TG_SPLIT: 0
	.section	.text._ZN7rocprim17ROCPRIM_400000_NS6detail17trampoline_kernelINS0_14default_configENS1_38merge_sort_block_merge_config_selectorIjNS0_10empty_typeEEEZZNS1_27merge_sort_block_merge_implIS3_PjPS5_jNS1_19radix_merge_compareILb1ELb0EjNS0_19identity_decomposerEEEEE10hipError_tT0_T1_T2_jT3_P12ihipStream_tbPNSt15iterator_traitsISE_E10value_typeEPNSK_ISF_E10value_typeEPSG_NS1_7vsmem_tEENKUlT_SE_SF_SG_E_clIS8_S8_S9_S9_EESD_ST_SE_SF_SG_EUlST_E_NS1_11comp_targetILNS1_3genE3ELNS1_11target_archE908ELNS1_3gpuE7ELNS1_3repE0EEENS1_48merge_mergepath_partition_config_static_selectorELNS0_4arch9wavefront6targetE1EEEvSF_,"axG",@progbits,_ZN7rocprim17ROCPRIM_400000_NS6detail17trampoline_kernelINS0_14default_configENS1_38merge_sort_block_merge_config_selectorIjNS0_10empty_typeEEEZZNS1_27merge_sort_block_merge_implIS3_PjPS5_jNS1_19radix_merge_compareILb1ELb0EjNS0_19identity_decomposerEEEEE10hipError_tT0_T1_T2_jT3_P12ihipStream_tbPNSt15iterator_traitsISE_E10value_typeEPNSK_ISF_E10value_typeEPSG_NS1_7vsmem_tEENKUlT_SE_SF_SG_E_clIS8_S8_S9_S9_EESD_ST_SE_SF_SG_EUlST_E_NS1_11comp_targetILNS1_3genE3ELNS1_11target_archE908ELNS1_3gpuE7ELNS1_3repE0EEENS1_48merge_mergepath_partition_config_static_selectorELNS0_4arch9wavefront6targetE1EEEvSF_,comdat
	.protected	_ZN7rocprim17ROCPRIM_400000_NS6detail17trampoline_kernelINS0_14default_configENS1_38merge_sort_block_merge_config_selectorIjNS0_10empty_typeEEEZZNS1_27merge_sort_block_merge_implIS3_PjPS5_jNS1_19radix_merge_compareILb1ELb0EjNS0_19identity_decomposerEEEEE10hipError_tT0_T1_T2_jT3_P12ihipStream_tbPNSt15iterator_traitsISE_E10value_typeEPNSK_ISF_E10value_typeEPSG_NS1_7vsmem_tEENKUlT_SE_SF_SG_E_clIS8_S8_S9_S9_EESD_ST_SE_SF_SG_EUlST_E_NS1_11comp_targetILNS1_3genE3ELNS1_11target_archE908ELNS1_3gpuE7ELNS1_3repE0EEENS1_48merge_mergepath_partition_config_static_selectorELNS0_4arch9wavefront6targetE1EEEvSF_ ; -- Begin function _ZN7rocprim17ROCPRIM_400000_NS6detail17trampoline_kernelINS0_14default_configENS1_38merge_sort_block_merge_config_selectorIjNS0_10empty_typeEEEZZNS1_27merge_sort_block_merge_implIS3_PjPS5_jNS1_19radix_merge_compareILb1ELb0EjNS0_19identity_decomposerEEEEE10hipError_tT0_T1_T2_jT3_P12ihipStream_tbPNSt15iterator_traitsISE_E10value_typeEPNSK_ISF_E10value_typeEPSG_NS1_7vsmem_tEENKUlT_SE_SF_SG_E_clIS8_S8_S9_S9_EESD_ST_SE_SF_SG_EUlST_E_NS1_11comp_targetILNS1_3genE3ELNS1_11target_archE908ELNS1_3gpuE7ELNS1_3repE0EEENS1_48merge_mergepath_partition_config_static_selectorELNS0_4arch9wavefront6targetE1EEEvSF_
	.globl	_ZN7rocprim17ROCPRIM_400000_NS6detail17trampoline_kernelINS0_14default_configENS1_38merge_sort_block_merge_config_selectorIjNS0_10empty_typeEEEZZNS1_27merge_sort_block_merge_implIS3_PjPS5_jNS1_19radix_merge_compareILb1ELb0EjNS0_19identity_decomposerEEEEE10hipError_tT0_T1_T2_jT3_P12ihipStream_tbPNSt15iterator_traitsISE_E10value_typeEPNSK_ISF_E10value_typeEPSG_NS1_7vsmem_tEENKUlT_SE_SF_SG_E_clIS8_S8_S9_S9_EESD_ST_SE_SF_SG_EUlST_E_NS1_11comp_targetILNS1_3genE3ELNS1_11target_archE908ELNS1_3gpuE7ELNS1_3repE0EEENS1_48merge_mergepath_partition_config_static_selectorELNS0_4arch9wavefront6targetE1EEEvSF_
	.p2align	8
	.type	_ZN7rocprim17ROCPRIM_400000_NS6detail17trampoline_kernelINS0_14default_configENS1_38merge_sort_block_merge_config_selectorIjNS0_10empty_typeEEEZZNS1_27merge_sort_block_merge_implIS3_PjPS5_jNS1_19radix_merge_compareILb1ELb0EjNS0_19identity_decomposerEEEEE10hipError_tT0_T1_T2_jT3_P12ihipStream_tbPNSt15iterator_traitsISE_E10value_typeEPNSK_ISF_E10value_typeEPSG_NS1_7vsmem_tEENKUlT_SE_SF_SG_E_clIS8_S8_S9_S9_EESD_ST_SE_SF_SG_EUlST_E_NS1_11comp_targetILNS1_3genE3ELNS1_11target_archE908ELNS1_3gpuE7ELNS1_3repE0EEENS1_48merge_mergepath_partition_config_static_selectorELNS0_4arch9wavefront6targetE1EEEvSF_,@function
_ZN7rocprim17ROCPRIM_400000_NS6detail17trampoline_kernelINS0_14default_configENS1_38merge_sort_block_merge_config_selectorIjNS0_10empty_typeEEEZZNS1_27merge_sort_block_merge_implIS3_PjPS5_jNS1_19radix_merge_compareILb1ELb0EjNS0_19identity_decomposerEEEEE10hipError_tT0_T1_T2_jT3_P12ihipStream_tbPNSt15iterator_traitsISE_E10value_typeEPNSK_ISF_E10value_typeEPSG_NS1_7vsmem_tEENKUlT_SE_SF_SG_E_clIS8_S8_S9_S9_EESD_ST_SE_SF_SG_EUlST_E_NS1_11comp_targetILNS1_3genE3ELNS1_11target_archE908ELNS1_3gpuE7ELNS1_3repE0EEENS1_48merge_mergepath_partition_config_static_selectorELNS0_4arch9wavefront6targetE1EEEvSF_: ; @_ZN7rocprim17ROCPRIM_400000_NS6detail17trampoline_kernelINS0_14default_configENS1_38merge_sort_block_merge_config_selectorIjNS0_10empty_typeEEEZZNS1_27merge_sort_block_merge_implIS3_PjPS5_jNS1_19radix_merge_compareILb1ELb0EjNS0_19identity_decomposerEEEEE10hipError_tT0_T1_T2_jT3_P12ihipStream_tbPNSt15iterator_traitsISE_E10value_typeEPNSK_ISF_E10value_typeEPSG_NS1_7vsmem_tEENKUlT_SE_SF_SG_E_clIS8_S8_S9_S9_EESD_ST_SE_SF_SG_EUlST_E_NS1_11comp_targetILNS1_3genE3ELNS1_11target_archE908ELNS1_3gpuE7ELNS1_3repE0EEENS1_48merge_mergepath_partition_config_static_selectorELNS0_4arch9wavefront6targetE1EEEvSF_
; %bb.0:
	.section	.rodata,"a",@progbits
	.p2align	6, 0x0
	.amdhsa_kernel _ZN7rocprim17ROCPRIM_400000_NS6detail17trampoline_kernelINS0_14default_configENS1_38merge_sort_block_merge_config_selectorIjNS0_10empty_typeEEEZZNS1_27merge_sort_block_merge_implIS3_PjPS5_jNS1_19radix_merge_compareILb1ELb0EjNS0_19identity_decomposerEEEEE10hipError_tT0_T1_T2_jT3_P12ihipStream_tbPNSt15iterator_traitsISE_E10value_typeEPNSK_ISF_E10value_typeEPSG_NS1_7vsmem_tEENKUlT_SE_SF_SG_E_clIS8_S8_S9_S9_EESD_ST_SE_SF_SG_EUlST_E_NS1_11comp_targetILNS1_3genE3ELNS1_11target_archE908ELNS1_3gpuE7ELNS1_3repE0EEENS1_48merge_mergepath_partition_config_static_selectorELNS0_4arch9wavefront6targetE1EEEvSF_
		.amdhsa_group_segment_fixed_size 0
		.amdhsa_private_segment_fixed_size 0
		.amdhsa_kernarg_size 40
		.amdhsa_user_sgpr_count 6
		.amdhsa_user_sgpr_private_segment_buffer 1
		.amdhsa_user_sgpr_dispatch_ptr 0
		.amdhsa_user_sgpr_queue_ptr 0
		.amdhsa_user_sgpr_kernarg_segment_ptr 1
		.amdhsa_user_sgpr_dispatch_id 0
		.amdhsa_user_sgpr_flat_scratch_init 0
		.amdhsa_user_sgpr_kernarg_preload_length 0
		.amdhsa_user_sgpr_kernarg_preload_offset 0
		.amdhsa_user_sgpr_private_segment_size 0
		.amdhsa_uses_dynamic_stack 0
		.amdhsa_system_sgpr_private_segment_wavefront_offset 0
		.amdhsa_system_sgpr_workgroup_id_x 1
		.amdhsa_system_sgpr_workgroup_id_y 0
		.amdhsa_system_sgpr_workgroup_id_z 0
		.amdhsa_system_sgpr_workgroup_info 0
		.amdhsa_system_vgpr_workitem_id 0
		.amdhsa_next_free_vgpr 1
		.amdhsa_next_free_sgpr 0
		.amdhsa_accum_offset 4
		.amdhsa_reserve_vcc 0
		.amdhsa_reserve_flat_scratch 0
		.amdhsa_float_round_mode_32 0
		.amdhsa_float_round_mode_16_64 0
		.amdhsa_float_denorm_mode_32 3
		.amdhsa_float_denorm_mode_16_64 3
		.amdhsa_dx10_clamp 1
		.amdhsa_ieee_mode 1
		.amdhsa_fp16_overflow 0
		.amdhsa_tg_split 0
		.amdhsa_exception_fp_ieee_invalid_op 0
		.amdhsa_exception_fp_denorm_src 0
		.amdhsa_exception_fp_ieee_div_zero 0
		.amdhsa_exception_fp_ieee_overflow 0
		.amdhsa_exception_fp_ieee_underflow 0
		.amdhsa_exception_fp_ieee_inexact 0
		.amdhsa_exception_int_div_zero 0
	.end_amdhsa_kernel
	.section	.text._ZN7rocprim17ROCPRIM_400000_NS6detail17trampoline_kernelINS0_14default_configENS1_38merge_sort_block_merge_config_selectorIjNS0_10empty_typeEEEZZNS1_27merge_sort_block_merge_implIS3_PjPS5_jNS1_19radix_merge_compareILb1ELb0EjNS0_19identity_decomposerEEEEE10hipError_tT0_T1_T2_jT3_P12ihipStream_tbPNSt15iterator_traitsISE_E10value_typeEPNSK_ISF_E10value_typeEPSG_NS1_7vsmem_tEENKUlT_SE_SF_SG_E_clIS8_S8_S9_S9_EESD_ST_SE_SF_SG_EUlST_E_NS1_11comp_targetILNS1_3genE3ELNS1_11target_archE908ELNS1_3gpuE7ELNS1_3repE0EEENS1_48merge_mergepath_partition_config_static_selectorELNS0_4arch9wavefront6targetE1EEEvSF_,"axG",@progbits,_ZN7rocprim17ROCPRIM_400000_NS6detail17trampoline_kernelINS0_14default_configENS1_38merge_sort_block_merge_config_selectorIjNS0_10empty_typeEEEZZNS1_27merge_sort_block_merge_implIS3_PjPS5_jNS1_19radix_merge_compareILb1ELb0EjNS0_19identity_decomposerEEEEE10hipError_tT0_T1_T2_jT3_P12ihipStream_tbPNSt15iterator_traitsISE_E10value_typeEPNSK_ISF_E10value_typeEPSG_NS1_7vsmem_tEENKUlT_SE_SF_SG_E_clIS8_S8_S9_S9_EESD_ST_SE_SF_SG_EUlST_E_NS1_11comp_targetILNS1_3genE3ELNS1_11target_archE908ELNS1_3gpuE7ELNS1_3repE0EEENS1_48merge_mergepath_partition_config_static_selectorELNS0_4arch9wavefront6targetE1EEEvSF_,comdat
.Lfunc_end2043:
	.size	_ZN7rocprim17ROCPRIM_400000_NS6detail17trampoline_kernelINS0_14default_configENS1_38merge_sort_block_merge_config_selectorIjNS0_10empty_typeEEEZZNS1_27merge_sort_block_merge_implIS3_PjPS5_jNS1_19radix_merge_compareILb1ELb0EjNS0_19identity_decomposerEEEEE10hipError_tT0_T1_T2_jT3_P12ihipStream_tbPNSt15iterator_traitsISE_E10value_typeEPNSK_ISF_E10value_typeEPSG_NS1_7vsmem_tEENKUlT_SE_SF_SG_E_clIS8_S8_S9_S9_EESD_ST_SE_SF_SG_EUlST_E_NS1_11comp_targetILNS1_3genE3ELNS1_11target_archE908ELNS1_3gpuE7ELNS1_3repE0EEENS1_48merge_mergepath_partition_config_static_selectorELNS0_4arch9wavefront6targetE1EEEvSF_, .Lfunc_end2043-_ZN7rocprim17ROCPRIM_400000_NS6detail17trampoline_kernelINS0_14default_configENS1_38merge_sort_block_merge_config_selectorIjNS0_10empty_typeEEEZZNS1_27merge_sort_block_merge_implIS3_PjPS5_jNS1_19radix_merge_compareILb1ELb0EjNS0_19identity_decomposerEEEEE10hipError_tT0_T1_T2_jT3_P12ihipStream_tbPNSt15iterator_traitsISE_E10value_typeEPNSK_ISF_E10value_typeEPSG_NS1_7vsmem_tEENKUlT_SE_SF_SG_E_clIS8_S8_S9_S9_EESD_ST_SE_SF_SG_EUlST_E_NS1_11comp_targetILNS1_3genE3ELNS1_11target_archE908ELNS1_3gpuE7ELNS1_3repE0EEENS1_48merge_mergepath_partition_config_static_selectorELNS0_4arch9wavefront6targetE1EEEvSF_
                                        ; -- End function
	.section	.AMDGPU.csdata,"",@progbits
; Kernel info:
; codeLenInByte = 0
; NumSgprs: 4
; NumVgprs: 0
; NumAgprs: 0
; TotalNumVgprs: 0
; ScratchSize: 0
; MemoryBound: 0
; FloatMode: 240
; IeeeMode: 1
; LDSByteSize: 0 bytes/workgroup (compile time only)
; SGPRBlocks: 0
; VGPRBlocks: 0
; NumSGPRsForWavesPerEU: 4
; NumVGPRsForWavesPerEU: 1
; AccumOffset: 4
; Occupancy: 8
; WaveLimiterHint : 0
; COMPUTE_PGM_RSRC2:SCRATCH_EN: 0
; COMPUTE_PGM_RSRC2:USER_SGPR: 6
; COMPUTE_PGM_RSRC2:TRAP_HANDLER: 0
; COMPUTE_PGM_RSRC2:TGID_X_EN: 1
; COMPUTE_PGM_RSRC2:TGID_Y_EN: 0
; COMPUTE_PGM_RSRC2:TGID_Z_EN: 0
; COMPUTE_PGM_RSRC2:TIDIG_COMP_CNT: 0
; COMPUTE_PGM_RSRC3_GFX90A:ACCUM_OFFSET: 0
; COMPUTE_PGM_RSRC3_GFX90A:TG_SPLIT: 0
	.section	.text._ZN7rocprim17ROCPRIM_400000_NS6detail17trampoline_kernelINS0_14default_configENS1_38merge_sort_block_merge_config_selectorIjNS0_10empty_typeEEEZZNS1_27merge_sort_block_merge_implIS3_PjPS5_jNS1_19radix_merge_compareILb1ELb0EjNS0_19identity_decomposerEEEEE10hipError_tT0_T1_T2_jT3_P12ihipStream_tbPNSt15iterator_traitsISE_E10value_typeEPNSK_ISF_E10value_typeEPSG_NS1_7vsmem_tEENKUlT_SE_SF_SG_E_clIS8_S8_S9_S9_EESD_ST_SE_SF_SG_EUlST_E_NS1_11comp_targetILNS1_3genE2ELNS1_11target_archE906ELNS1_3gpuE6ELNS1_3repE0EEENS1_48merge_mergepath_partition_config_static_selectorELNS0_4arch9wavefront6targetE1EEEvSF_,"axG",@progbits,_ZN7rocprim17ROCPRIM_400000_NS6detail17trampoline_kernelINS0_14default_configENS1_38merge_sort_block_merge_config_selectorIjNS0_10empty_typeEEEZZNS1_27merge_sort_block_merge_implIS3_PjPS5_jNS1_19radix_merge_compareILb1ELb0EjNS0_19identity_decomposerEEEEE10hipError_tT0_T1_T2_jT3_P12ihipStream_tbPNSt15iterator_traitsISE_E10value_typeEPNSK_ISF_E10value_typeEPSG_NS1_7vsmem_tEENKUlT_SE_SF_SG_E_clIS8_S8_S9_S9_EESD_ST_SE_SF_SG_EUlST_E_NS1_11comp_targetILNS1_3genE2ELNS1_11target_archE906ELNS1_3gpuE6ELNS1_3repE0EEENS1_48merge_mergepath_partition_config_static_selectorELNS0_4arch9wavefront6targetE1EEEvSF_,comdat
	.protected	_ZN7rocprim17ROCPRIM_400000_NS6detail17trampoline_kernelINS0_14default_configENS1_38merge_sort_block_merge_config_selectorIjNS0_10empty_typeEEEZZNS1_27merge_sort_block_merge_implIS3_PjPS5_jNS1_19radix_merge_compareILb1ELb0EjNS0_19identity_decomposerEEEEE10hipError_tT0_T1_T2_jT3_P12ihipStream_tbPNSt15iterator_traitsISE_E10value_typeEPNSK_ISF_E10value_typeEPSG_NS1_7vsmem_tEENKUlT_SE_SF_SG_E_clIS8_S8_S9_S9_EESD_ST_SE_SF_SG_EUlST_E_NS1_11comp_targetILNS1_3genE2ELNS1_11target_archE906ELNS1_3gpuE6ELNS1_3repE0EEENS1_48merge_mergepath_partition_config_static_selectorELNS0_4arch9wavefront6targetE1EEEvSF_ ; -- Begin function _ZN7rocprim17ROCPRIM_400000_NS6detail17trampoline_kernelINS0_14default_configENS1_38merge_sort_block_merge_config_selectorIjNS0_10empty_typeEEEZZNS1_27merge_sort_block_merge_implIS3_PjPS5_jNS1_19radix_merge_compareILb1ELb0EjNS0_19identity_decomposerEEEEE10hipError_tT0_T1_T2_jT3_P12ihipStream_tbPNSt15iterator_traitsISE_E10value_typeEPNSK_ISF_E10value_typeEPSG_NS1_7vsmem_tEENKUlT_SE_SF_SG_E_clIS8_S8_S9_S9_EESD_ST_SE_SF_SG_EUlST_E_NS1_11comp_targetILNS1_3genE2ELNS1_11target_archE906ELNS1_3gpuE6ELNS1_3repE0EEENS1_48merge_mergepath_partition_config_static_selectorELNS0_4arch9wavefront6targetE1EEEvSF_
	.globl	_ZN7rocprim17ROCPRIM_400000_NS6detail17trampoline_kernelINS0_14default_configENS1_38merge_sort_block_merge_config_selectorIjNS0_10empty_typeEEEZZNS1_27merge_sort_block_merge_implIS3_PjPS5_jNS1_19radix_merge_compareILb1ELb0EjNS0_19identity_decomposerEEEEE10hipError_tT0_T1_T2_jT3_P12ihipStream_tbPNSt15iterator_traitsISE_E10value_typeEPNSK_ISF_E10value_typeEPSG_NS1_7vsmem_tEENKUlT_SE_SF_SG_E_clIS8_S8_S9_S9_EESD_ST_SE_SF_SG_EUlST_E_NS1_11comp_targetILNS1_3genE2ELNS1_11target_archE906ELNS1_3gpuE6ELNS1_3repE0EEENS1_48merge_mergepath_partition_config_static_selectorELNS0_4arch9wavefront6targetE1EEEvSF_
	.p2align	8
	.type	_ZN7rocprim17ROCPRIM_400000_NS6detail17trampoline_kernelINS0_14default_configENS1_38merge_sort_block_merge_config_selectorIjNS0_10empty_typeEEEZZNS1_27merge_sort_block_merge_implIS3_PjPS5_jNS1_19radix_merge_compareILb1ELb0EjNS0_19identity_decomposerEEEEE10hipError_tT0_T1_T2_jT3_P12ihipStream_tbPNSt15iterator_traitsISE_E10value_typeEPNSK_ISF_E10value_typeEPSG_NS1_7vsmem_tEENKUlT_SE_SF_SG_E_clIS8_S8_S9_S9_EESD_ST_SE_SF_SG_EUlST_E_NS1_11comp_targetILNS1_3genE2ELNS1_11target_archE906ELNS1_3gpuE6ELNS1_3repE0EEENS1_48merge_mergepath_partition_config_static_selectorELNS0_4arch9wavefront6targetE1EEEvSF_,@function
_ZN7rocprim17ROCPRIM_400000_NS6detail17trampoline_kernelINS0_14default_configENS1_38merge_sort_block_merge_config_selectorIjNS0_10empty_typeEEEZZNS1_27merge_sort_block_merge_implIS3_PjPS5_jNS1_19radix_merge_compareILb1ELb0EjNS0_19identity_decomposerEEEEE10hipError_tT0_T1_T2_jT3_P12ihipStream_tbPNSt15iterator_traitsISE_E10value_typeEPNSK_ISF_E10value_typeEPSG_NS1_7vsmem_tEENKUlT_SE_SF_SG_E_clIS8_S8_S9_S9_EESD_ST_SE_SF_SG_EUlST_E_NS1_11comp_targetILNS1_3genE2ELNS1_11target_archE906ELNS1_3gpuE6ELNS1_3repE0EEENS1_48merge_mergepath_partition_config_static_selectorELNS0_4arch9wavefront6targetE1EEEvSF_: ; @_ZN7rocprim17ROCPRIM_400000_NS6detail17trampoline_kernelINS0_14default_configENS1_38merge_sort_block_merge_config_selectorIjNS0_10empty_typeEEEZZNS1_27merge_sort_block_merge_implIS3_PjPS5_jNS1_19radix_merge_compareILb1ELb0EjNS0_19identity_decomposerEEEEE10hipError_tT0_T1_T2_jT3_P12ihipStream_tbPNSt15iterator_traitsISE_E10value_typeEPNSK_ISF_E10value_typeEPSG_NS1_7vsmem_tEENKUlT_SE_SF_SG_E_clIS8_S8_S9_S9_EESD_ST_SE_SF_SG_EUlST_E_NS1_11comp_targetILNS1_3genE2ELNS1_11target_archE906ELNS1_3gpuE6ELNS1_3repE0EEENS1_48merge_mergepath_partition_config_static_selectorELNS0_4arch9wavefront6targetE1EEEvSF_
; %bb.0:
	.section	.rodata,"a",@progbits
	.p2align	6, 0x0
	.amdhsa_kernel _ZN7rocprim17ROCPRIM_400000_NS6detail17trampoline_kernelINS0_14default_configENS1_38merge_sort_block_merge_config_selectorIjNS0_10empty_typeEEEZZNS1_27merge_sort_block_merge_implIS3_PjPS5_jNS1_19radix_merge_compareILb1ELb0EjNS0_19identity_decomposerEEEEE10hipError_tT0_T1_T2_jT3_P12ihipStream_tbPNSt15iterator_traitsISE_E10value_typeEPNSK_ISF_E10value_typeEPSG_NS1_7vsmem_tEENKUlT_SE_SF_SG_E_clIS8_S8_S9_S9_EESD_ST_SE_SF_SG_EUlST_E_NS1_11comp_targetILNS1_3genE2ELNS1_11target_archE906ELNS1_3gpuE6ELNS1_3repE0EEENS1_48merge_mergepath_partition_config_static_selectorELNS0_4arch9wavefront6targetE1EEEvSF_
		.amdhsa_group_segment_fixed_size 0
		.amdhsa_private_segment_fixed_size 0
		.amdhsa_kernarg_size 40
		.amdhsa_user_sgpr_count 6
		.amdhsa_user_sgpr_private_segment_buffer 1
		.amdhsa_user_sgpr_dispatch_ptr 0
		.amdhsa_user_sgpr_queue_ptr 0
		.amdhsa_user_sgpr_kernarg_segment_ptr 1
		.amdhsa_user_sgpr_dispatch_id 0
		.amdhsa_user_sgpr_flat_scratch_init 0
		.amdhsa_user_sgpr_kernarg_preload_length 0
		.amdhsa_user_sgpr_kernarg_preload_offset 0
		.amdhsa_user_sgpr_private_segment_size 0
		.amdhsa_uses_dynamic_stack 0
		.amdhsa_system_sgpr_private_segment_wavefront_offset 0
		.amdhsa_system_sgpr_workgroup_id_x 1
		.amdhsa_system_sgpr_workgroup_id_y 0
		.amdhsa_system_sgpr_workgroup_id_z 0
		.amdhsa_system_sgpr_workgroup_info 0
		.amdhsa_system_vgpr_workitem_id 0
		.amdhsa_next_free_vgpr 1
		.amdhsa_next_free_sgpr 0
		.amdhsa_accum_offset 4
		.amdhsa_reserve_vcc 0
		.amdhsa_reserve_flat_scratch 0
		.amdhsa_float_round_mode_32 0
		.amdhsa_float_round_mode_16_64 0
		.amdhsa_float_denorm_mode_32 3
		.amdhsa_float_denorm_mode_16_64 3
		.amdhsa_dx10_clamp 1
		.amdhsa_ieee_mode 1
		.amdhsa_fp16_overflow 0
		.amdhsa_tg_split 0
		.amdhsa_exception_fp_ieee_invalid_op 0
		.amdhsa_exception_fp_denorm_src 0
		.amdhsa_exception_fp_ieee_div_zero 0
		.amdhsa_exception_fp_ieee_overflow 0
		.amdhsa_exception_fp_ieee_underflow 0
		.amdhsa_exception_fp_ieee_inexact 0
		.amdhsa_exception_int_div_zero 0
	.end_amdhsa_kernel
	.section	.text._ZN7rocprim17ROCPRIM_400000_NS6detail17trampoline_kernelINS0_14default_configENS1_38merge_sort_block_merge_config_selectorIjNS0_10empty_typeEEEZZNS1_27merge_sort_block_merge_implIS3_PjPS5_jNS1_19radix_merge_compareILb1ELb0EjNS0_19identity_decomposerEEEEE10hipError_tT0_T1_T2_jT3_P12ihipStream_tbPNSt15iterator_traitsISE_E10value_typeEPNSK_ISF_E10value_typeEPSG_NS1_7vsmem_tEENKUlT_SE_SF_SG_E_clIS8_S8_S9_S9_EESD_ST_SE_SF_SG_EUlST_E_NS1_11comp_targetILNS1_3genE2ELNS1_11target_archE906ELNS1_3gpuE6ELNS1_3repE0EEENS1_48merge_mergepath_partition_config_static_selectorELNS0_4arch9wavefront6targetE1EEEvSF_,"axG",@progbits,_ZN7rocprim17ROCPRIM_400000_NS6detail17trampoline_kernelINS0_14default_configENS1_38merge_sort_block_merge_config_selectorIjNS0_10empty_typeEEEZZNS1_27merge_sort_block_merge_implIS3_PjPS5_jNS1_19radix_merge_compareILb1ELb0EjNS0_19identity_decomposerEEEEE10hipError_tT0_T1_T2_jT3_P12ihipStream_tbPNSt15iterator_traitsISE_E10value_typeEPNSK_ISF_E10value_typeEPSG_NS1_7vsmem_tEENKUlT_SE_SF_SG_E_clIS8_S8_S9_S9_EESD_ST_SE_SF_SG_EUlST_E_NS1_11comp_targetILNS1_3genE2ELNS1_11target_archE906ELNS1_3gpuE6ELNS1_3repE0EEENS1_48merge_mergepath_partition_config_static_selectorELNS0_4arch9wavefront6targetE1EEEvSF_,comdat
.Lfunc_end2044:
	.size	_ZN7rocprim17ROCPRIM_400000_NS6detail17trampoline_kernelINS0_14default_configENS1_38merge_sort_block_merge_config_selectorIjNS0_10empty_typeEEEZZNS1_27merge_sort_block_merge_implIS3_PjPS5_jNS1_19radix_merge_compareILb1ELb0EjNS0_19identity_decomposerEEEEE10hipError_tT0_T1_T2_jT3_P12ihipStream_tbPNSt15iterator_traitsISE_E10value_typeEPNSK_ISF_E10value_typeEPSG_NS1_7vsmem_tEENKUlT_SE_SF_SG_E_clIS8_S8_S9_S9_EESD_ST_SE_SF_SG_EUlST_E_NS1_11comp_targetILNS1_3genE2ELNS1_11target_archE906ELNS1_3gpuE6ELNS1_3repE0EEENS1_48merge_mergepath_partition_config_static_selectorELNS0_4arch9wavefront6targetE1EEEvSF_, .Lfunc_end2044-_ZN7rocprim17ROCPRIM_400000_NS6detail17trampoline_kernelINS0_14default_configENS1_38merge_sort_block_merge_config_selectorIjNS0_10empty_typeEEEZZNS1_27merge_sort_block_merge_implIS3_PjPS5_jNS1_19radix_merge_compareILb1ELb0EjNS0_19identity_decomposerEEEEE10hipError_tT0_T1_T2_jT3_P12ihipStream_tbPNSt15iterator_traitsISE_E10value_typeEPNSK_ISF_E10value_typeEPSG_NS1_7vsmem_tEENKUlT_SE_SF_SG_E_clIS8_S8_S9_S9_EESD_ST_SE_SF_SG_EUlST_E_NS1_11comp_targetILNS1_3genE2ELNS1_11target_archE906ELNS1_3gpuE6ELNS1_3repE0EEENS1_48merge_mergepath_partition_config_static_selectorELNS0_4arch9wavefront6targetE1EEEvSF_
                                        ; -- End function
	.section	.AMDGPU.csdata,"",@progbits
; Kernel info:
; codeLenInByte = 0
; NumSgprs: 4
; NumVgprs: 0
; NumAgprs: 0
; TotalNumVgprs: 0
; ScratchSize: 0
; MemoryBound: 0
; FloatMode: 240
; IeeeMode: 1
; LDSByteSize: 0 bytes/workgroup (compile time only)
; SGPRBlocks: 0
; VGPRBlocks: 0
; NumSGPRsForWavesPerEU: 4
; NumVGPRsForWavesPerEU: 1
; AccumOffset: 4
; Occupancy: 8
; WaveLimiterHint : 0
; COMPUTE_PGM_RSRC2:SCRATCH_EN: 0
; COMPUTE_PGM_RSRC2:USER_SGPR: 6
; COMPUTE_PGM_RSRC2:TRAP_HANDLER: 0
; COMPUTE_PGM_RSRC2:TGID_X_EN: 1
; COMPUTE_PGM_RSRC2:TGID_Y_EN: 0
; COMPUTE_PGM_RSRC2:TGID_Z_EN: 0
; COMPUTE_PGM_RSRC2:TIDIG_COMP_CNT: 0
; COMPUTE_PGM_RSRC3_GFX90A:ACCUM_OFFSET: 0
; COMPUTE_PGM_RSRC3_GFX90A:TG_SPLIT: 0
	.section	.text._ZN7rocprim17ROCPRIM_400000_NS6detail17trampoline_kernelINS0_14default_configENS1_38merge_sort_block_merge_config_selectorIjNS0_10empty_typeEEEZZNS1_27merge_sort_block_merge_implIS3_PjPS5_jNS1_19radix_merge_compareILb1ELb0EjNS0_19identity_decomposerEEEEE10hipError_tT0_T1_T2_jT3_P12ihipStream_tbPNSt15iterator_traitsISE_E10value_typeEPNSK_ISF_E10value_typeEPSG_NS1_7vsmem_tEENKUlT_SE_SF_SG_E_clIS8_S8_S9_S9_EESD_ST_SE_SF_SG_EUlST_E_NS1_11comp_targetILNS1_3genE9ELNS1_11target_archE1100ELNS1_3gpuE3ELNS1_3repE0EEENS1_48merge_mergepath_partition_config_static_selectorELNS0_4arch9wavefront6targetE1EEEvSF_,"axG",@progbits,_ZN7rocprim17ROCPRIM_400000_NS6detail17trampoline_kernelINS0_14default_configENS1_38merge_sort_block_merge_config_selectorIjNS0_10empty_typeEEEZZNS1_27merge_sort_block_merge_implIS3_PjPS5_jNS1_19radix_merge_compareILb1ELb0EjNS0_19identity_decomposerEEEEE10hipError_tT0_T1_T2_jT3_P12ihipStream_tbPNSt15iterator_traitsISE_E10value_typeEPNSK_ISF_E10value_typeEPSG_NS1_7vsmem_tEENKUlT_SE_SF_SG_E_clIS8_S8_S9_S9_EESD_ST_SE_SF_SG_EUlST_E_NS1_11comp_targetILNS1_3genE9ELNS1_11target_archE1100ELNS1_3gpuE3ELNS1_3repE0EEENS1_48merge_mergepath_partition_config_static_selectorELNS0_4arch9wavefront6targetE1EEEvSF_,comdat
	.protected	_ZN7rocprim17ROCPRIM_400000_NS6detail17trampoline_kernelINS0_14default_configENS1_38merge_sort_block_merge_config_selectorIjNS0_10empty_typeEEEZZNS1_27merge_sort_block_merge_implIS3_PjPS5_jNS1_19radix_merge_compareILb1ELb0EjNS0_19identity_decomposerEEEEE10hipError_tT0_T1_T2_jT3_P12ihipStream_tbPNSt15iterator_traitsISE_E10value_typeEPNSK_ISF_E10value_typeEPSG_NS1_7vsmem_tEENKUlT_SE_SF_SG_E_clIS8_S8_S9_S9_EESD_ST_SE_SF_SG_EUlST_E_NS1_11comp_targetILNS1_3genE9ELNS1_11target_archE1100ELNS1_3gpuE3ELNS1_3repE0EEENS1_48merge_mergepath_partition_config_static_selectorELNS0_4arch9wavefront6targetE1EEEvSF_ ; -- Begin function _ZN7rocprim17ROCPRIM_400000_NS6detail17trampoline_kernelINS0_14default_configENS1_38merge_sort_block_merge_config_selectorIjNS0_10empty_typeEEEZZNS1_27merge_sort_block_merge_implIS3_PjPS5_jNS1_19radix_merge_compareILb1ELb0EjNS0_19identity_decomposerEEEEE10hipError_tT0_T1_T2_jT3_P12ihipStream_tbPNSt15iterator_traitsISE_E10value_typeEPNSK_ISF_E10value_typeEPSG_NS1_7vsmem_tEENKUlT_SE_SF_SG_E_clIS8_S8_S9_S9_EESD_ST_SE_SF_SG_EUlST_E_NS1_11comp_targetILNS1_3genE9ELNS1_11target_archE1100ELNS1_3gpuE3ELNS1_3repE0EEENS1_48merge_mergepath_partition_config_static_selectorELNS0_4arch9wavefront6targetE1EEEvSF_
	.globl	_ZN7rocprim17ROCPRIM_400000_NS6detail17trampoline_kernelINS0_14default_configENS1_38merge_sort_block_merge_config_selectorIjNS0_10empty_typeEEEZZNS1_27merge_sort_block_merge_implIS3_PjPS5_jNS1_19radix_merge_compareILb1ELb0EjNS0_19identity_decomposerEEEEE10hipError_tT0_T1_T2_jT3_P12ihipStream_tbPNSt15iterator_traitsISE_E10value_typeEPNSK_ISF_E10value_typeEPSG_NS1_7vsmem_tEENKUlT_SE_SF_SG_E_clIS8_S8_S9_S9_EESD_ST_SE_SF_SG_EUlST_E_NS1_11comp_targetILNS1_3genE9ELNS1_11target_archE1100ELNS1_3gpuE3ELNS1_3repE0EEENS1_48merge_mergepath_partition_config_static_selectorELNS0_4arch9wavefront6targetE1EEEvSF_
	.p2align	8
	.type	_ZN7rocprim17ROCPRIM_400000_NS6detail17trampoline_kernelINS0_14default_configENS1_38merge_sort_block_merge_config_selectorIjNS0_10empty_typeEEEZZNS1_27merge_sort_block_merge_implIS3_PjPS5_jNS1_19radix_merge_compareILb1ELb0EjNS0_19identity_decomposerEEEEE10hipError_tT0_T1_T2_jT3_P12ihipStream_tbPNSt15iterator_traitsISE_E10value_typeEPNSK_ISF_E10value_typeEPSG_NS1_7vsmem_tEENKUlT_SE_SF_SG_E_clIS8_S8_S9_S9_EESD_ST_SE_SF_SG_EUlST_E_NS1_11comp_targetILNS1_3genE9ELNS1_11target_archE1100ELNS1_3gpuE3ELNS1_3repE0EEENS1_48merge_mergepath_partition_config_static_selectorELNS0_4arch9wavefront6targetE1EEEvSF_,@function
_ZN7rocprim17ROCPRIM_400000_NS6detail17trampoline_kernelINS0_14default_configENS1_38merge_sort_block_merge_config_selectorIjNS0_10empty_typeEEEZZNS1_27merge_sort_block_merge_implIS3_PjPS5_jNS1_19radix_merge_compareILb1ELb0EjNS0_19identity_decomposerEEEEE10hipError_tT0_T1_T2_jT3_P12ihipStream_tbPNSt15iterator_traitsISE_E10value_typeEPNSK_ISF_E10value_typeEPSG_NS1_7vsmem_tEENKUlT_SE_SF_SG_E_clIS8_S8_S9_S9_EESD_ST_SE_SF_SG_EUlST_E_NS1_11comp_targetILNS1_3genE9ELNS1_11target_archE1100ELNS1_3gpuE3ELNS1_3repE0EEENS1_48merge_mergepath_partition_config_static_selectorELNS0_4arch9wavefront6targetE1EEEvSF_: ; @_ZN7rocprim17ROCPRIM_400000_NS6detail17trampoline_kernelINS0_14default_configENS1_38merge_sort_block_merge_config_selectorIjNS0_10empty_typeEEEZZNS1_27merge_sort_block_merge_implIS3_PjPS5_jNS1_19radix_merge_compareILb1ELb0EjNS0_19identity_decomposerEEEEE10hipError_tT0_T1_T2_jT3_P12ihipStream_tbPNSt15iterator_traitsISE_E10value_typeEPNSK_ISF_E10value_typeEPSG_NS1_7vsmem_tEENKUlT_SE_SF_SG_E_clIS8_S8_S9_S9_EESD_ST_SE_SF_SG_EUlST_E_NS1_11comp_targetILNS1_3genE9ELNS1_11target_archE1100ELNS1_3gpuE3ELNS1_3repE0EEENS1_48merge_mergepath_partition_config_static_selectorELNS0_4arch9wavefront6targetE1EEEvSF_
; %bb.0:
	.section	.rodata,"a",@progbits
	.p2align	6, 0x0
	.amdhsa_kernel _ZN7rocprim17ROCPRIM_400000_NS6detail17trampoline_kernelINS0_14default_configENS1_38merge_sort_block_merge_config_selectorIjNS0_10empty_typeEEEZZNS1_27merge_sort_block_merge_implIS3_PjPS5_jNS1_19radix_merge_compareILb1ELb0EjNS0_19identity_decomposerEEEEE10hipError_tT0_T1_T2_jT3_P12ihipStream_tbPNSt15iterator_traitsISE_E10value_typeEPNSK_ISF_E10value_typeEPSG_NS1_7vsmem_tEENKUlT_SE_SF_SG_E_clIS8_S8_S9_S9_EESD_ST_SE_SF_SG_EUlST_E_NS1_11comp_targetILNS1_3genE9ELNS1_11target_archE1100ELNS1_3gpuE3ELNS1_3repE0EEENS1_48merge_mergepath_partition_config_static_selectorELNS0_4arch9wavefront6targetE1EEEvSF_
		.amdhsa_group_segment_fixed_size 0
		.amdhsa_private_segment_fixed_size 0
		.amdhsa_kernarg_size 40
		.amdhsa_user_sgpr_count 6
		.amdhsa_user_sgpr_private_segment_buffer 1
		.amdhsa_user_sgpr_dispatch_ptr 0
		.amdhsa_user_sgpr_queue_ptr 0
		.amdhsa_user_sgpr_kernarg_segment_ptr 1
		.amdhsa_user_sgpr_dispatch_id 0
		.amdhsa_user_sgpr_flat_scratch_init 0
		.amdhsa_user_sgpr_kernarg_preload_length 0
		.amdhsa_user_sgpr_kernarg_preload_offset 0
		.amdhsa_user_sgpr_private_segment_size 0
		.amdhsa_uses_dynamic_stack 0
		.amdhsa_system_sgpr_private_segment_wavefront_offset 0
		.amdhsa_system_sgpr_workgroup_id_x 1
		.amdhsa_system_sgpr_workgroup_id_y 0
		.amdhsa_system_sgpr_workgroup_id_z 0
		.amdhsa_system_sgpr_workgroup_info 0
		.amdhsa_system_vgpr_workitem_id 0
		.amdhsa_next_free_vgpr 1
		.amdhsa_next_free_sgpr 0
		.amdhsa_accum_offset 4
		.amdhsa_reserve_vcc 0
		.amdhsa_reserve_flat_scratch 0
		.amdhsa_float_round_mode_32 0
		.amdhsa_float_round_mode_16_64 0
		.amdhsa_float_denorm_mode_32 3
		.amdhsa_float_denorm_mode_16_64 3
		.amdhsa_dx10_clamp 1
		.amdhsa_ieee_mode 1
		.amdhsa_fp16_overflow 0
		.amdhsa_tg_split 0
		.amdhsa_exception_fp_ieee_invalid_op 0
		.amdhsa_exception_fp_denorm_src 0
		.amdhsa_exception_fp_ieee_div_zero 0
		.amdhsa_exception_fp_ieee_overflow 0
		.amdhsa_exception_fp_ieee_underflow 0
		.amdhsa_exception_fp_ieee_inexact 0
		.amdhsa_exception_int_div_zero 0
	.end_amdhsa_kernel
	.section	.text._ZN7rocprim17ROCPRIM_400000_NS6detail17trampoline_kernelINS0_14default_configENS1_38merge_sort_block_merge_config_selectorIjNS0_10empty_typeEEEZZNS1_27merge_sort_block_merge_implIS3_PjPS5_jNS1_19radix_merge_compareILb1ELb0EjNS0_19identity_decomposerEEEEE10hipError_tT0_T1_T2_jT3_P12ihipStream_tbPNSt15iterator_traitsISE_E10value_typeEPNSK_ISF_E10value_typeEPSG_NS1_7vsmem_tEENKUlT_SE_SF_SG_E_clIS8_S8_S9_S9_EESD_ST_SE_SF_SG_EUlST_E_NS1_11comp_targetILNS1_3genE9ELNS1_11target_archE1100ELNS1_3gpuE3ELNS1_3repE0EEENS1_48merge_mergepath_partition_config_static_selectorELNS0_4arch9wavefront6targetE1EEEvSF_,"axG",@progbits,_ZN7rocprim17ROCPRIM_400000_NS6detail17trampoline_kernelINS0_14default_configENS1_38merge_sort_block_merge_config_selectorIjNS0_10empty_typeEEEZZNS1_27merge_sort_block_merge_implIS3_PjPS5_jNS1_19radix_merge_compareILb1ELb0EjNS0_19identity_decomposerEEEEE10hipError_tT0_T1_T2_jT3_P12ihipStream_tbPNSt15iterator_traitsISE_E10value_typeEPNSK_ISF_E10value_typeEPSG_NS1_7vsmem_tEENKUlT_SE_SF_SG_E_clIS8_S8_S9_S9_EESD_ST_SE_SF_SG_EUlST_E_NS1_11comp_targetILNS1_3genE9ELNS1_11target_archE1100ELNS1_3gpuE3ELNS1_3repE0EEENS1_48merge_mergepath_partition_config_static_selectorELNS0_4arch9wavefront6targetE1EEEvSF_,comdat
.Lfunc_end2045:
	.size	_ZN7rocprim17ROCPRIM_400000_NS6detail17trampoline_kernelINS0_14default_configENS1_38merge_sort_block_merge_config_selectorIjNS0_10empty_typeEEEZZNS1_27merge_sort_block_merge_implIS3_PjPS5_jNS1_19radix_merge_compareILb1ELb0EjNS0_19identity_decomposerEEEEE10hipError_tT0_T1_T2_jT3_P12ihipStream_tbPNSt15iterator_traitsISE_E10value_typeEPNSK_ISF_E10value_typeEPSG_NS1_7vsmem_tEENKUlT_SE_SF_SG_E_clIS8_S8_S9_S9_EESD_ST_SE_SF_SG_EUlST_E_NS1_11comp_targetILNS1_3genE9ELNS1_11target_archE1100ELNS1_3gpuE3ELNS1_3repE0EEENS1_48merge_mergepath_partition_config_static_selectorELNS0_4arch9wavefront6targetE1EEEvSF_, .Lfunc_end2045-_ZN7rocprim17ROCPRIM_400000_NS6detail17trampoline_kernelINS0_14default_configENS1_38merge_sort_block_merge_config_selectorIjNS0_10empty_typeEEEZZNS1_27merge_sort_block_merge_implIS3_PjPS5_jNS1_19radix_merge_compareILb1ELb0EjNS0_19identity_decomposerEEEEE10hipError_tT0_T1_T2_jT3_P12ihipStream_tbPNSt15iterator_traitsISE_E10value_typeEPNSK_ISF_E10value_typeEPSG_NS1_7vsmem_tEENKUlT_SE_SF_SG_E_clIS8_S8_S9_S9_EESD_ST_SE_SF_SG_EUlST_E_NS1_11comp_targetILNS1_3genE9ELNS1_11target_archE1100ELNS1_3gpuE3ELNS1_3repE0EEENS1_48merge_mergepath_partition_config_static_selectorELNS0_4arch9wavefront6targetE1EEEvSF_
                                        ; -- End function
	.section	.AMDGPU.csdata,"",@progbits
; Kernel info:
; codeLenInByte = 0
; NumSgprs: 4
; NumVgprs: 0
; NumAgprs: 0
; TotalNumVgprs: 0
; ScratchSize: 0
; MemoryBound: 0
; FloatMode: 240
; IeeeMode: 1
; LDSByteSize: 0 bytes/workgroup (compile time only)
; SGPRBlocks: 0
; VGPRBlocks: 0
; NumSGPRsForWavesPerEU: 4
; NumVGPRsForWavesPerEU: 1
; AccumOffset: 4
; Occupancy: 8
; WaveLimiterHint : 0
; COMPUTE_PGM_RSRC2:SCRATCH_EN: 0
; COMPUTE_PGM_RSRC2:USER_SGPR: 6
; COMPUTE_PGM_RSRC2:TRAP_HANDLER: 0
; COMPUTE_PGM_RSRC2:TGID_X_EN: 1
; COMPUTE_PGM_RSRC2:TGID_Y_EN: 0
; COMPUTE_PGM_RSRC2:TGID_Z_EN: 0
; COMPUTE_PGM_RSRC2:TIDIG_COMP_CNT: 0
; COMPUTE_PGM_RSRC3_GFX90A:ACCUM_OFFSET: 0
; COMPUTE_PGM_RSRC3_GFX90A:TG_SPLIT: 0
	.section	.text._ZN7rocprim17ROCPRIM_400000_NS6detail17trampoline_kernelINS0_14default_configENS1_38merge_sort_block_merge_config_selectorIjNS0_10empty_typeEEEZZNS1_27merge_sort_block_merge_implIS3_PjPS5_jNS1_19radix_merge_compareILb1ELb0EjNS0_19identity_decomposerEEEEE10hipError_tT0_T1_T2_jT3_P12ihipStream_tbPNSt15iterator_traitsISE_E10value_typeEPNSK_ISF_E10value_typeEPSG_NS1_7vsmem_tEENKUlT_SE_SF_SG_E_clIS8_S8_S9_S9_EESD_ST_SE_SF_SG_EUlST_E_NS1_11comp_targetILNS1_3genE8ELNS1_11target_archE1030ELNS1_3gpuE2ELNS1_3repE0EEENS1_48merge_mergepath_partition_config_static_selectorELNS0_4arch9wavefront6targetE1EEEvSF_,"axG",@progbits,_ZN7rocprim17ROCPRIM_400000_NS6detail17trampoline_kernelINS0_14default_configENS1_38merge_sort_block_merge_config_selectorIjNS0_10empty_typeEEEZZNS1_27merge_sort_block_merge_implIS3_PjPS5_jNS1_19radix_merge_compareILb1ELb0EjNS0_19identity_decomposerEEEEE10hipError_tT0_T1_T2_jT3_P12ihipStream_tbPNSt15iterator_traitsISE_E10value_typeEPNSK_ISF_E10value_typeEPSG_NS1_7vsmem_tEENKUlT_SE_SF_SG_E_clIS8_S8_S9_S9_EESD_ST_SE_SF_SG_EUlST_E_NS1_11comp_targetILNS1_3genE8ELNS1_11target_archE1030ELNS1_3gpuE2ELNS1_3repE0EEENS1_48merge_mergepath_partition_config_static_selectorELNS0_4arch9wavefront6targetE1EEEvSF_,comdat
	.protected	_ZN7rocprim17ROCPRIM_400000_NS6detail17trampoline_kernelINS0_14default_configENS1_38merge_sort_block_merge_config_selectorIjNS0_10empty_typeEEEZZNS1_27merge_sort_block_merge_implIS3_PjPS5_jNS1_19radix_merge_compareILb1ELb0EjNS0_19identity_decomposerEEEEE10hipError_tT0_T1_T2_jT3_P12ihipStream_tbPNSt15iterator_traitsISE_E10value_typeEPNSK_ISF_E10value_typeEPSG_NS1_7vsmem_tEENKUlT_SE_SF_SG_E_clIS8_S8_S9_S9_EESD_ST_SE_SF_SG_EUlST_E_NS1_11comp_targetILNS1_3genE8ELNS1_11target_archE1030ELNS1_3gpuE2ELNS1_3repE0EEENS1_48merge_mergepath_partition_config_static_selectorELNS0_4arch9wavefront6targetE1EEEvSF_ ; -- Begin function _ZN7rocprim17ROCPRIM_400000_NS6detail17trampoline_kernelINS0_14default_configENS1_38merge_sort_block_merge_config_selectorIjNS0_10empty_typeEEEZZNS1_27merge_sort_block_merge_implIS3_PjPS5_jNS1_19radix_merge_compareILb1ELb0EjNS0_19identity_decomposerEEEEE10hipError_tT0_T1_T2_jT3_P12ihipStream_tbPNSt15iterator_traitsISE_E10value_typeEPNSK_ISF_E10value_typeEPSG_NS1_7vsmem_tEENKUlT_SE_SF_SG_E_clIS8_S8_S9_S9_EESD_ST_SE_SF_SG_EUlST_E_NS1_11comp_targetILNS1_3genE8ELNS1_11target_archE1030ELNS1_3gpuE2ELNS1_3repE0EEENS1_48merge_mergepath_partition_config_static_selectorELNS0_4arch9wavefront6targetE1EEEvSF_
	.globl	_ZN7rocprim17ROCPRIM_400000_NS6detail17trampoline_kernelINS0_14default_configENS1_38merge_sort_block_merge_config_selectorIjNS0_10empty_typeEEEZZNS1_27merge_sort_block_merge_implIS3_PjPS5_jNS1_19radix_merge_compareILb1ELb0EjNS0_19identity_decomposerEEEEE10hipError_tT0_T1_T2_jT3_P12ihipStream_tbPNSt15iterator_traitsISE_E10value_typeEPNSK_ISF_E10value_typeEPSG_NS1_7vsmem_tEENKUlT_SE_SF_SG_E_clIS8_S8_S9_S9_EESD_ST_SE_SF_SG_EUlST_E_NS1_11comp_targetILNS1_3genE8ELNS1_11target_archE1030ELNS1_3gpuE2ELNS1_3repE0EEENS1_48merge_mergepath_partition_config_static_selectorELNS0_4arch9wavefront6targetE1EEEvSF_
	.p2align	8
	.type	_ZN7rocprim17ROCPRIM_400000_NS6detail17trampoline_kernelINS0_14default_configENS1_38merge_sort_block_merge_config_selectorIjNS0_10empty_typeEEEZZNS1_27merge_sort_block_merge_implIS3_PjPS5_jNS1_19radix_merge_compareILb1ELb0EjNS0_19identity_decomposerEEEEE10hipError_tT0_T1_T2_jT3_P12ihipStream_tbPNSt15iterator_traitsISE_E10value_typeEPNSK_ISF_E10value_typeEPSG_NS1_7vsmem_tEENKUlT_SE_SF_SG_E_clIS8_S8_S9_S9_EESD_ST_SE_SF_SG_EUlST_E_NS1_11comp_targetILNS1_3genE8ELNS1_11target_archE1030ELNS1_3gpuE2ELNS1_3repE0EEENS1_48merge_mergepath_partition_config_static_selectorELNS0_4arch9wavefront6targetE1EEEvSF_,@function
_ZN7rocprim17ROCPRIM_400000_NS6detail17trampoline_kernelINS0_14default_configENS1_38merge_sort_block_merge_config_selectorIjNS0_10empty_typeEEEZZNS1_27merge_sort_block_merge_implIS3_PjPS5_jNS1_19radix_merge_compareILb1ELb0EjNS0_19identity_decomposerEEEEE10hipError_tT0_T1_T2_jT3_P12ihipStream_tbPNSt15iterator_traitsISE_E10value_typeEPNSK_ISF_E10value_typeEPSG_NS1_7vsmem_tEENKUlT_SE_SF_SG_E_clIS8_S8_S9_S9_EESD_ST_SE_SF_SG_EUlST_E_NS1_11comp_targetILNS1_3genE8ELNS1_11target_archE1030ELNS1_3gpuE2ELNS1_3repE0EEENS1_48merge_mergepath_partition_config_static_selectorELNS0_4arch9wavefront6targetE1EEEvSF_: ; @_ZN7rocprim17ROCPRIM_400000_NS6detail17trampoline_kernelINS0_14default_configENS1_38merge_sort_block_merge_config_selectorIjNS0_10empty_typeEEEZZNS1_27merge_sort_block_merge_implIS3_PjPS5_jNS1_19radix_merge_compareILb1ELb0EjNS0_19identity_decomposerEEEEE10hipError_tT0_T1_T2_jT3_P12ihipStream_tbPNSt15iterator_traitsISE_E10value_typeEPNSK_ISF_E10value_typeEPSG_NS1_7vsmem_tEENKUlT_SE_SF_SG_E_clIS8_S8_S9_S9_EESD_ST_SE_SF_SG_EUlST_E_NS1_11comp_targetILNS1_3genE8ELNS1_11target_archE1030ELNS1_3gpuE2ELNS1_3repE0EEENS1_48merge_mergepath_partition_config_static_selectorELNS0_4arch9wavefront6targetE1EEEvSF_
; %bb.0:
	.section	.rodata,"a",@progbits
	.p2align	6, 0x0
	.amdhsa_kernel _ZN7rocprim17ROCPRIM_400000_NS6detail17trampoline_kernelINS0_14default_configENS1_38merge_sort_block_merge_config_selectorIjNS0_10empty_typeEEEZZNS1_27merge_sort_block_merge_implIS3_PjPS5_jNS1_19radix_merge_compareILb1ELb0EjNS0_19identity_decomposerEEEEE10hipError_tT0_T1_T2_jT3_P12ihipStream_tbPNSt15iterator_traitsISE_E10value_typeEPNSK_ISF_E10value_typeEPSG_NS1_7vsmem_tEENKUlT_SE_SF_SG_E_clIS8_S8_S9_S9_EESD_ST_SE_SF_SG_EUlST_E_NS1_11comp_targetILNS1_3genE8ELNS1_11target_archE1030ELNS1_3gpuE2ELNS1_3repE0EEENS1_48merge_mergepath_partition_config_static_selectorELNS0_4arch9wavefront6targetE1EEEvSF_
		.amdhsa_group_segment_fixed_size 0
		.amdhsa_private_segment_fixed_size 0
		.amdhsa_kernarg_size 40
		.amdhsa_user_sgpr_count 6
		.amdhsa_user_sgpr_private_segment_buffer 1
		.amdhsa_user_sgpr_dispatch_ptr 0
		.amdhsa_user_sgpr_queue_ptr 0
		.amdhsa_user_sgpr_kernarg_segment_ptr 1
		.amdhsa_user_sgpr_dispatch_id 0
		.amdhsa_user_sgpr_flat_scratch_init 0
		.amdhsa_user_sgpr_kernarg_preload_length 0
		.amdhsa_user_sgpr_kernarg_preload_offset 0
		.amdhsa_user_sgpr_private_segment_size 0
		.amdhsa_uses_dynamic_stack 0
		.amdhsa_system_sgpr_private_segment_wavefront_offset 0
		.amdhsa_system_sgpr_workgroup_id_x 1
		.amdhsa_system_sgpr_workgroup_id_y 0
		.amdhsa_system_sgpr_workgroup_id_z 0
		.amdhsa_system_sgpr_workgroup_info 0
		.amdhsa_system_vgpr_workitem_id 0
		.amdhsa_next_free_vgpr 1
		.amdhsa_next_free_sgpr 0
		.amdhsa_accum_offset 4
		.amdhsa_reserve_vcc 0
		.amdhsa_reserve_flat_scratch 0
		.amdhsa_float_round_mode_32 0
		.amdhsa_float_round_mode_16_64 0
		.amdhsa_float_denorm_mode_32 3
		.amdhsa_float_denorm_mode_16_64 3
		.amdhsa_dx10_clamp 1
		.amdhsa_ieee_mode 1
		.amdhsa_fp16_overflow 0
		.amdhsa_tg_split 0
		.amdhsa_exception_fp_ieee_invalid_op 0
		.amdhsa_exception_fp_denorm_src 0
		.amdhsa_exception_fp_ieee_div_zero 0
		.amdhsa_exception_fp_ieee_overflow 0
		.amdhsa_exception_fp_ieee_underflow 0
		.amdhsa_exception_fp_ieee_inexact 0
		.amdhsa_exception_int_div_zero 0
	.end_amdhsa_kernel
	.section	.text._ZN7rocprim17ROCPRIM_400000_NS6detail17trampoline_kernelINS0_14default_configENS1_38merge_sort_block_merge_config_selectorIjNS0_10empty_typeEEEZZNS1_27merge_sort_block_merge_implIS3_PjPS5_jNS1_19radix_merge_compareILb1ELb0EjNS0_19identity_decomposerEEEEE10hipError_tT0_T1_T2_jT3_P12ihipStream_tbPNSt15iterator_traitsISE_E10value_typeEPNSK_ISF_E10value_typeEPSG_NS1_7vsmem_tEENKUlT_SE_SF_SG_E_clIS8_S8_S9_S9_EESD_ST_SE_SF_SG_EUlST_E_NS1_11comp_targetILNS1_3genE8ELNS1_11target_archE1030ELNS1_3gpuE2ELNS1_3repE0EEENS1_48merge_mergepath_partition_config_static_selectorELNS0_4arch9wavefront6targetE1EEEvSF_,"axG",@progbits,_ZN7rocprim17ROCPRIM_400000_NS6detail17trampoline_kernelINS0_14default_configENS1_38merge_sort_block_merge_config_selectorIjNS0_10empty_typeEEEZZNS1_27merge_sort_block_merge_implIS3_PjPS5_jNS1_19radix_merge_compareILb1ELb0EjNS0_19identity_decomposerEEEEE10hipError_tT0_T1_T2_jT3_P12ihipStream_tbPNSt15iterator_traitsISE_E10value_typeEPNSK_ISF_E10value_typeEPSG_NS1_7vsmem_tEENKUlT_SE_SF_SG_E_clIS8_S8_S9_S9_EESD_ST_SE_SF_SG_EUlST_E_NS1_11comp_targetILNS1_3genE8ELNS1_11target_archE1030ELNS1_3gpuE2ELNS1_3repE0EEENS1_48merge_mergepath_partition_config_static_selectorELNS0_4arch9wavefront6targetE1EEEvSF_,comdat
.Lfunc_end2046:
	.size	_ZN7rocprim17ROCPRIM_400000_NS6detail17trampoline_kernelINS0_14default_configENS1_38merge_sort_block_merge_config_selectorIjNS0_10empty_typeEEEZZNS1_27merge_sort_block_merge_implIS3_PjPS5_jNS1_19radix_merge_compareILb1ELb0EjNS0_19identity_decomposerEEEEE10hipError_tT0_T1_T2_jT3_P12ihipStream_tbPNSt15iterator_traitsISE_E10value_typeEPNSK_ISF_E10value_typeEPSG_NS1_7vsmem_tEENKUlT_SE_SF_SG_E_clIS8_S8_S9_S9_EESD_ST_SE_SF_SG_EUlST_E_NS1_11comp_targetILNS1_3genE8ELNS1_11target_archE1030ELNS1_3gpuE2ELNS1_3repE0EEENS1_48merge_mergepath_partition_config_static_selectorELNS0_4arch9wavefront6targetE1EEEvSF_, .Lfunc_end2046-_ZN7rocprim17ROCPRIM_400000_NS6detail17trampoline_kernelINS0_14default_configENS1_38merge_sort_block_merge_config_selectorIjNS0_10empty_typeEEEZZNS1_27merge_sort_block_merge_implIS3_PjPS5_jNS1_19radix_merge_compareILb1ELb0EjNS0_19identity_decomposerEEEEE10hipError_tT0_T1_T2_jT3_P12ihipStream_tbPNSt15iterator_traitsISE_E10value_typeEPNSK_ISF_E10value_typeEPSG_NS1_7vsmem_tEENKUlT_SE_SF_SG_E_clIS8_S8_S9_S9_EESD_ST_SE_SF_SG_EUlST_E_NS1_11comp_targetILNS1_3genE8ELNS1_11target_archE1030ELNS1_3gpuE2ELNS1_3repE0EEENS1_48merge_mergepath_partition_config_static_selectorELNS0_4arch9wavefront6targetE1EEEvSF_
                                        ; -- End function
	.section	.AMDGPU.csdata,"",@progbits
; Kernel info:
; codeLenInByte = 0
; NumSgprs: 4
; NumVgprs: 0
; NumAgprs: 0
; TotalNumVgprs: 0
; ScratchSize: 0
; MemoryBound: 0
; FloatMode: 240
; IeeeMode: 1
; LDSByteSize: 0 bytes/workgroup (compile time only)
; SGPRBlocks: 0
; VGPRBlocks: 0
; NumSGPRsForWavesPerEU: 4
; NumVGPRsForWavesPerEU: 1
; AccumOffset: 4
; Occupancy: 8
; WaveLimiterHint : 0
; COMPUTE_PGM_RSRC2:SCRATCH_EN: 0
; COMPUTE_PGM_RSRC2:USER_SGPR: 6
; COMPUTE_PGM_RSRC2:TRAP_HANDLER: 0
; COMPUTE_PGM_RSRC2:TGID_X_EN: 1
; COMPUTE_PGM_RSRC2:TGID_Y_EN: 0
; COMPUTE_PGM_RSRC2:TGID_Z_EN: 0
; COMPUTE_PGM_RSRC2:TIDIG_COMP_CNT: 0
; COMPUTE_PGM_RSRC3_GFX90A:ACCUM_OFFSET: 0
; COMPUTE_PGM_RSRC3_GFX90A:TG_SPLIT: 0
	.section	.text._ZN7rocprim17ROCPRIM_400000_NS6detail17trampoline_kernelINS0_14default_configENS1_38merge_sort_block_merge_config_selectorIjNS0_10empty_typeEEEZZNS1_27merge_sort_block_merge_implIS3_PjPS5_jNS1_19radix_merge_compareILb1ELb0EjNS0_19identity_decomposerEEEEE10hipError_tT0_T1_T2_jT3_P12ihipStream_tbPNSt15iterator_traitsISE_E10value_typeEPNSK_ISF_E10value_typeEPSG_NS1_7vsmem_tEENKUlT_SE_SF_SG_E_clIS8_S8_S9_S9_EESD_ST_SE_SF_SG_EUlST_E0_NS1_11comp_targetILNS1_3genE0ELNS1_11target_archE4294967295ELNS1_3gpuE0ELNS1_3repE0EEENS1_38merge_mergepath_config_static_selectorELNS0_4arch9wavefront6targetE1EEEvSF_,"axG",@progbits,_ZN7rocprim17ROCPRIM_400000_NS6detail17trampoline_kernelINS0_14default_configENS1_38merge_sort_block_merge_config_selectorIjNS0_10empty_typeEEEZZNS1_27merge_sort_block_merge_implIS3_PjPS5_jNS1_19radix_merge_compareILb1ELb0EjNS0_19identity_decomposerEEEEE10hipError_tT0_T1_T2_jT3_P12ihipStream_tbPNSt15iterator_traitsISE_E10value_typeEPNSK_ISF_E10value_typeEPSG_NS1_7vsmem_tEENKUlT_SE_SF_SG_E_clIS8_S8_S9_S9_EESD_ST_SE_SF_SG_EUlST_E0_NS1_11comp_targetILNS1_3genE0ELNS1_11target_archE4294967295ELNS1_3gpuE0ELNS1_3repE0EEENS1_38merge_mergepath_config_static_selectorELNS0_4arch9wavefront6targetE1EEEvSF_,comdat
	.protected	_ZN7rocprim17ROCPRIM_400000_NS6detail17trampoline_kernelINS0_14default_configENS1_38merge_sort_block_merge_config_selectorIjNS0_10empty_typeEEEZZNS1_27merge_sort_block_merge_implIS3_PjPS5_jNS1_19radix_merge_compareILb1ELb0EjNS0_19identity_decomposerEEEEE10hipError_tT0_T1_T2_jT3_P12ihipStream_tbPNSt15iterator_traitsISE_E10value_typeEPNSK_ISF_E10value_typeEPSG_NS1_7vsmem_tEENKUlT_SE_SF_SG_E_clIS8_S8_S9_S9_EESD_ST_SE_SF_SG_EUlST_E0_NS1_11comp_targetILNS1_3genE0ELNS1_11target_archE4294967295ELNS1_3gpuE0ELNS1_3repE0EEENS1_38merge_mergepath_config_static_selectorELNS0_4arch9wavefront6targetE1EEEvSF_ ; -- Begin function _ZN7rocprim17ROCPRIM_400000_NS6detail17trampoline_kernelINS0_14default_configENS1_38merge_sort_block_merge_config_selectorIjNS0_10empty_typeEEEZZNS1_27merge_sort_block_merge_implIS3_PjPS5_jNS1_19radix_merge_compareILb1ELb0EjNS0_19identity_decomposerEEEEE10hipError_tT0_T1_T2_jT3_P12ihipStream_tbPNSt15iterator_traitsISE_E10value_typeEPNSK_ISF_E10value_typeEPSG_NS1_7vsmem_tEENKUlT_SE_SF_SG_E_clIS8_S8_S9_S9_EESD_ST_SE_SF_SG_EUlST_E0_NS1_11comp_targetILNS1_3genE0ELNS1_11target_archE4294967295ELNS1_3gpuE0ELNS1_3repE0EEENS1_38merge_mergepath_config_static_selectorELNS0_4arch9wavefront6targetE1EEEvSF_
	.globl	_ZN7rocprim17ROCPRIM_400000_NS6detail17trampoline_kernelINS0_14default_configENS1_38merge_sort_block_merge_config_selectorIjNS0_10empty_typeEEEZZNS1_27merge_sort_block_merge_implIS3_PjPS5_jNS1_19radix_merge_compareILb1ELb0EjNS0_19identity_decomposerEEEEE10hipError_tT0_T1_T2_jT3_P12ihipStream_tbPNSt15iterator_traitsISE_E10value_typeEPNSK_ISF_E10value_typeEPSG_NS1_7vsmem_tEENKUlT_SE_SF_SG_E_clIS8_S8_S9_S9_EESD_ST_SE_SF_SG_EUlST_E0_NS1_11comp_targetILNS1_3genE0ELNS1_11target_archE4294967295ELNS1_3gpuE0ELNS1_3repE0EEENS1_38merge_mergepath_config_static_selectorELNS0_4arch9wavefront6targetE1EEEvSF_
	.p2align	8
	.type	_ZN7rocprim17ROCPRIM_400000_NS6detail17trampoline_kernelINS0_14default_configENS1_38merge_sort_block_merge_config_selectorIjNS0_10empty_typeEEEZZNS1_27merge_sort_block_merge_implIS3_PjPS5_jNS1_19radix_merge_compareILb1ELb0EjNS0_19identity_decomposerEEEEE10hipError_tT0_T1_T2_jT3_P12ihipStream_tbPNSt15iterator_traitsISE_E10value_typeEPNSK_ISF_E10value_typeEPSG_NS1_7vsmem_tEENKUlT_SE_SF_SG_E_clIS8_S8_S9_S9_EESD_ST_SE_SF_SG_EUlST_E0_NS1_11comp_targetILNS1_3genE0ELNS1_11target_archE4294967295ELNS1_3gpuE0ELNS1_3repE0EEENS1_38merge_mergepath_config_static_selectorELNS0_4arch9wavefront6targetE1EEEvSF_,@function
_ZN7rocprim17ROCPRIM_400000_NS6detail17trampoline_kernelINS0_14default_configENS1_38merge_sort_block_merge_config_selectorIjNS0_10empty_typeEEEZZNS1_27merge_sort_block_merge_implIS3_PjPS5_jNS1_19radix_merge_compareILb1ELb0EjNS0_19identity_decomposerEEEEE10hipError_tT0_T1_T2_jT3_P12ihipStream_tbPNSt15iterator_traitsISE_E10value_typeEPNSK_ISF_E10value_typeEPSG_NS1_7vsmem_tEENKUlT_SE_SF_SG_E_clIS8_S8_S9_S9_EESD_ST_SE_SF_SG_EUlST_E0_NS1_11comp_targetILNS1_3genE0ELNS1_11target_archE4294967295ELNS1_3gpuE0ELNS1_3repE0EEENS1_38merge_mergepath_config_static_selectorELNS0_4arch9wavefront6targetE1EEEvSF_: ; @_ZN7rocprim17ROCPRIM_400000_NS6detail17trampoline_kernelINS0_14default_configENS1_38merge_sort_block_merge_config_selectorIjNS0_10empty_typeEEEZZNS1_27merge_sort_block_merge_implIS3_PjPS5_jNS1_19radix_merge_compareILb1ELb0EjNS0_19identity_decomposerEEEEE10hipError_tT0_T1_T2_jT3_P12ihipStream_tbPNSt15iterator_traitsISE_E10value_typeEPNSK_ISF_E10value_typeEPSG_NS1_7vsmem_tEENKUlT_SE_SF_SG_E_clIS8_S8_S9_S9_EESD_ST_SE_SF_SG_EUlST_E0_NS1_11comp_targetILNS1_3genE0ELNS1_11target_archE4294967295ELNS1_3gpuE0ELNS1_3repE0EEENS1_38merge_mergepath_config_static_selectorELNS0_4arch9wavefront6targetE1EEEvSF_
; %bb.0:
	.section	.rodata,"a",@progbits
	.p2align	6, 0x0
	.amdhsa_kernel _ZN7rocprim17ROCPRIM_400000_NS6detail17trampoline_kernelINS0_14default_configENS1_38merge_sort_block_merge_config_selectorIjNS0_10empty_typeEEEZZNS1_27merge_sort_block_merge_implIS3_PjPS5_jNS1_19radix_merge_compareILb1ELb0EjNS0_19identity_decomposerEEEEE10hipError_tT0_T1_T2_jT3_P12ihipStream_tbPNSt15iterator_traitsISE_E10value_typeEPNSK_ISF_E10value_typeEPSG_NS1_7vsmem_tEENKUlT_SE_SF_SG_E_clIS8_S8_S9_S9_EESD_ST_SE_SF_SG_EUlST_E0_NS1_11comp_targetILNS1_3genE0ELNS1_11target_archE4294967295ELNS1_3gpuE0ELNS1_3repE0EEENS1_38merge_mergepath_config_static_selectorELNS0_4arch9wavefront6targetE1EEEvSF_
		.amdhsa_group_segment_fixed_size 0
		.amdhsa_private_segment_fixed_size 0
		.amdhsa_kernarg_size 64
		.amdhsa_user_sgpr_count 6
		.amdhsa_user_sgpr_private_segment_buffer 1
		.amdhsa_user_sgpr_dispatch_ptr 0
		.amdhsa_user_sgpr_queue_ptr 0
		.amdhsa_user_sgpr_kernarg_segment_ptr 1
		.amdhsa_user_sgpr_dispatch_id 0
		.amdhsa_user_sgpr_flat_scratch_init 0
		.amdhsa_user_sgpr_kernarg_preload_length 0
		.amdhsa_user_sgpr_kernarg_preload_offset 0
		.amdhsa_user_sgpr_private_segment_size 0
		.amdhsa_uses_dynamic_stack 0
		.amdhsa_system_sgpr_private_segment_wavefront_offset 0
		.amdhsa_system_sgpr_workgroup_id_x 1
		.amdhsa_system_sgpr_workgroup_id_y 0
		.amdhsa_system_sgpr_workgroup_id_z 0
		.amdhsa_system_sgpr_workgroup_info 0
		.amdhsa_system_vgpr_workitem_id 0
		.amdhsa_next_free_vgpr 1
		.amdhsa_next_free_sgpr 0
		.amdhsa_accum_offset 4
		.amdhsa_reserve_vcc 0
		.amdhsa_reserve_flat_scratch 0
		.amdhsa_float_round_mode_32 0
		.amdhsa_float_round_mode_16_64 0
		.amdhsa_float_denorm_mode_32 3
		.amdhsa_float_denorm_mode_16_64 3
		.amdhsa_dx10_clamp 1
		.amdhsa_ieee_mode 1
		.amdhsa_fp16_overflow 0
		.amdhsa_tg_split 0
		.amdhsa_exception_fp_ieee_invalid_op 0
		.amdhsa_exception_fp_denorm_src 0
		.amdhsa_exception_fp_ieee_div_zero 0
		.amdhsa_exception_fp_ieee_overflow 0
		.amdhsa_exception_fp_ieee_underflow 0
		.amdhsa_exception_fp_ieee_inexact 0
		.amdhsa_exception_int_div_zero 0
	.end_amdhsa_kernel
	.section	.text._ZN7rocprim17ROCPRIM_400000_NS6detail17trampoline_kernelINS0_14default_configENS1_38merge_sort_block_merge_config_selectorIjNS0_10empty_typeEEEZZNS1_27merge_sort_block_merge_implIS3_PjPS5_jNS1_19radix_merge_compareILb1ELb0EjNS0_19identity_decomposerEEEEE10hipError_tT0_T1_T2_jT3_P12ihipStream_tbPNSt15iterator_traitsISE_E10value_typeEPNSK_ISF_E10value_typeEPSG_NS1_7vsmem_tEENKUlT_SE_SF_SG_E_clIS8_S8_S9_S9_EESD_ST_SE_SF_SG_EUlST_E0_NS1_11comp_targetILNS1_3genE0ELNS1_11target_archE4294967295ELNS1_3gpuE0ELNS1_3repE0EEENS1_38merge_mergepath_config_static_selectorELNS0_4arch9wavefront6targetE1EEEvSF_,"axG",@progbits,_ZN7rocprim17ROCPRIM_400000_NS6detail17trampoline_kernelINS0_14default_configENS1_38merge_sort_block_merge_config_selectorIjNS0_10empty_typeEEEZZNS1_27merge_sort_block_merge_implIS3_PjPS5_jNS1_19radix_merge_compareILb1ELb0EjNS0_19identity_decomposerEEEEE10hipError_tT0_T1_T2_jT3_P12ihipStream_tbPNSt15iterator_traitsISE_E10value_typeEPNSK_ISF_E10value_typeEPSG_NS1_7vsmem_tEENKUlT_SE_SF_SG_E_clIS8_S8_S9_S9_EESD_ST_SE_SF_SG_EUlST_E0_NS1_11comp_targetILNS1_3genE0ELNS1_11target_archE4294967295ELNS1_3gpuE0ELNS1_3repE0EEENS1_38merge_mergepath_config_static_selectorELNS0_4arch9wavefront6targetE1EEEvSF_,comdat
.Lfunc_end2047:
	.size	_ZN7rocprim17ROCPRIM_400000_NS6detail17trampoline_kernelINS0_14default_configENS1_38merge_sort_block_merge_config_selectorIjNS0_10empty_typeEEEZZNS1_27merge_sort_block_merge_implIS3_PjPS5_jNS1_19radix_merge_compareILb1ELb0EjNS0_19identity_decomposerEEEEE10hipError_tT0_T1_T2_jT3_P12ihipStream_tbPNSt15iterator_traitsISE_E10value_typeEPNSK_ISF_E10value_typeEPSG_NS1_7vsmem_tEENKUlT_SE_SF_SG_E_clIS8_S8_S9_S9_EESD_ST_SE_SF_SG_EUlST_E0_NS1_11comp_targetILNS1_3genE0ELNS1_11target_archE4294967295ELNS1_3gpuE0ELNS1_3repE0EEENS1_38merge_mergepath_config_static_selectorELNS0_4arch9wavefront6targetE1EEEvSF_, .Lfunc_end2047-_ZN7rocprim17ROCPRIM_400000_NS6detail17trampoline_kernelINS0_14default_configENS1_38merge_sort_block_merge_config_selectorIjNS0_10empty_typeEEEZZNS1_27merge_sort_block_merge_implIS3_PjPS5_jNS1_19radix_merge_compareILb1ELb0EjNS0_19identity_decomposerEEEEE10hipError_tT0_T1_T2_jT3_P12ihipStream_tbPNSt15iterator_traitsISE_E10value_typeEPNSK_ISF_E10value_typeEPSG_NS1_7vsmem_tEENKUlT_SE_SF_SG_E_clIS8_S8_S9_S9_EESD_ST_SE_SF_SG_EUlST_E0_NS1_11comp_targetILNS1_3genE0ELNS1_11target_archE4294967295ELNS1_3gpuE0ELNS1_3repE0EEENS1_38merge_mergepath_config_static_selectorELNS0_4arch9wavefront6targetE1EEEvSF_
                                        ; -- End function
	.section	.AMDGPU.csdata,"",@progbits
; Kernel info:
; codeLenInByte = 0
; NumSgprs: 4
; NumVgprs: 0
; NumAgprs: 0
; TotalNumVgprs: 0
; ScratchSize: 0
; MemoryBound: 0
; FloatMode: 240
; IeeeMode: 1
; LDSByteSize: 0 bytes/workgroup (compile time only)
; SGPRBlocks: 0
; VGPRBlocks: 0
; NumSGPRsForWavesPerEU: 4
; NumVGPRsForWavesPerEU: 1
; AccumOffset: 4
; Occupancy: 8
; WaveLimiterHint : 0
; COMPUTE_PGM_RSRC2:SCRATCH_EN: 0
; COMPUTE_PGM_RSRC2:USER_SGPR: 6
; COMPUTE_PGM_RSRC2:TRAP_HANDLER: 0
; COMPUTE_PGM_RSRC2:TGID_X_EN: 1
; COMPUTE_PGM_RSRC2:TGID_Y_EN: 0
; COMPUTE_PGM_RSRC2:TGID_Z_EN: 0
; COMPUTE_PGM_RSRC2:TIDIG_COMP_CNT: 0
; COMPUTE_PGM_RSRC3_GFX90A:ACCUM_OFFSET: 0
; COMPUTE_PGM_RSRC3_GFX90A:TG_SPLIT: 0
	.section	.text._ZN7rocprim17ROCPRIM_400000_NS6detail17trampoline_kernelINS0_14default_configENS1_38merge_sort_block_merge_config_selectorIjNS0_10empty_typeEEEZZNS1_27merge_sort_block_merge_implIS3_PjPS5_jNS1_19radix_merge_compareILb1ELb0EjNS0_19identity_decomposerEEEEE10hipError_tT0_T1_T2_jT3_P12ihipStream_tbPNSt15iterator_traitsISE_E10value_typeEPNSK_ISF_E10value_typeEPSG_NS1_7vsmem_tEENKUlT_SE_SF_SG_E_clIS8_S8_S9_S9_EESD_ST_SE_SF_SG_EUlST_E0_NS1_11comp_targetILNS1_3genE10ELNS1_11target_archE1201ELNS1_3gpuE5ELNS1_3repE0EEENS1_38merge_mergepath_config_static_selectorELNS0_4arch9wavefront6targetE1EEEvSF_,"axG",@progbits,_ZN7rocprim17ROCPRIM_400000_NS6detail17trampoline_kernelINS0_14default_configENS1_38merge_sort_block_merge_config_selectorIjNS0_10empty_typeEEEZZNS1_27merge_sort_block_merge_implIS3_PjPS5_jNS1_19radix_merge_compareILb1ELb0EjNS0_19identity_decomposerEEEEE10hipError_tT0_T1_T2_jT3_P12ihipStream_tbPNSt15iterator_traitsISE_E10value_typeEPNSK_ISF_E10value_typeEPSG_NS1_7vsmem_tEENKUlT_SE_SF_SG_E_clIS8_S8_S9_S9_EESD_ST_SE_SF_SG_EUlST_E0_NS1_11comp_targetILNS1_3genE10ELNS1_11target_archE1201ELNS1_3gpuE5ELNS1_3repE0EEENS1_38merge_mergepath_config_static_selectorELNS0_4arch9wavefront6targetE1EEEvSF_,comdat
	.protected	_ZN7rocprim17ROCPRIM_400000_NS6detail17trampoline_kernelINS0_14default_configENS1_38merge_sort_block_merge_config_selectorIjNS0_10empty_typeEEEZZNS1_27merge_sort_block_merge_implIS3_PjPS5_jNS1_19radix_merge_compareILb1ELb0EjNS0_19identity_decomposerEEEEE10hipError_tT0_T1_T2_jT3_P12ihipStream_tbPNSt15iterator_traitsISE_E10value_typeEPNSK_ISF_E10value_typeEPSG_NS1_7vsmem_tEENKUlT_SE_SF_SG_E_clIS8_S8_S9_S9_EESD_ST_SE_SF_SG_EUlST_E0_NS1_11comp_targetILNS1_3genE10ELNS1_11target_archE1201ELNS1_3gpuE5ELNS1_3repE0EEENS1_38merge_mergepath_config_static_selectorELNS0_4arch9wavefront6targetE1EEEvSF_ ; -- Begin function _ZN7rocprim17ROCPRIM_400000_NS6detail17trampoline_kernelINS0_14default_configENS1_38merge_sort_block_merge_config_selectorIjNS0_10empty_typeEEEZZNS1_27merge_sort_block_merge_implIS3_PjPS5_jNS1_19radix_merge_compareILb1ELb0EjNS0_19identity_decomposerEEEEE10hipError_tT0_T1_T2_jT3_P12ihipStream_tbPNSt15iterator_traitsISE_E10value_typeEPNSK_ISF_E10value_typeEPSG_NS1_7vsmem_tEENKUlT_SE_SF_SG_E_clIS8_S8_S9_S9_EESD_ST_SE_SF_SG_EUlST_E0_NS1_11comp_targetILNS1_3genE10ELNS1_11target_archE1201ELNS1_3gpuE5ELNS1_3repE0EEENS1_38merge_mergepath_config_static_selectorELNS0_4arch9wavefront6targetE1EEEvSF_
	.globl	_ZN7rocprim17ROCPRIM_400000_NS6detail17trampoline_kernelINS0_14default_configENS1_38merge_sort_block_merge_config_selectorIjNS0_10empty_typeEEEZZNS1_27merge_sort_block_merge_implIS3_PjPS5_jNS1_19radix_merge_compareILb1ELb0EjNS0_19identity_decomposerEEEEE10hipError_tT0_T1_T2_jT3_P12ihipStream_tbPNSt15iterator_traitsISE_E10value_typeEPNSK_ISF_E10value_typeEPSG_NS1_7vsmem_tEENKUlT_SE_SF_SG_E_clIS8_S8_S9_S9_EESD_ST_SE_SF_SG_EUlST_E0_NS1_11comp_targetILNS1_3genE10ELNS1_11target_archE1201ELNS1_3gpuE5ELNS1_3repE0EEENS1_38merge_mergepath_config_static_selectorELNS0_4arch9wavefront6targetE1EEEvSF_
	.p2align	8
	.type	_ZN7rocprim17ROCPRIM_400000_NS6detail17trampoline_kernelINS0_14default_configENS1_38merge_sort_block_merge_config_selectorIjNS0_10empty_typeEEEZZNS1_27merge_sort_block_merge_implIS3_PjPS5_jNS1_19radix_merge_compareILb1ELb0EjNS0_19identity_decomposerEEEEE10hipError_tT0_T1_T2_jT3_P12ihipStream_tbPNSt15iterator_traitsISE_E10value_typeEPNSK_ISF_E10value_typeEPSG_NS1_7vsmem_tEENKUlT_SE_SF_SG_E_clIS8_S8_S9_S9_EESD_ST_SE_SF_SG_EUlST_E0_NS1_11comp_targetILNS1_3genE10ELNS1_11target_archE1201ELNS1_3gpuE5ELNS1_3repE0EEENS1_38merge_mergepath_config_static_selectorELNS0_4arch9wavefront6targetE1EEEvSF_,@function
_ZN7rocprim17ROCPRIM_400000_NS6detail17trampoline_kernelINS0_14default_configENS1_38merge_sort_block_merge_config_selectorIjNS0_10empty_typeEEEZZNS1_27merge_sort_block_merge_implIS3_PjPS5_jNS1_19radix_merge_compareILb1ELb0EjNS0_19identity_decomposerEEEEE10hipError_tT0_T1_T2_jT3_P12ihipStream_tbPNSt15iterator_traitsISE_E10value_typeEPNSK_ISF_E10value_typeEPSG_NS1_7vsmem_tEENKUlT_SE_SF_SG_E_clIS8_S8_S9_S9_EESD_ST_SE_SF_SG_EUlST_E0_NS1_11comp_targetILNS1_3genE10ELNS1_11target_archE1201ELNS1_3gpuE5ELNS1_3repE0EEENS1_38merge_mergepath_config_static_selectorELNS0_4arch9wavefront6targetE1EEEvSF_: ; @_ZN7rocprim17ROCPRIM_400000_NS6detail17trampoline_kernelINS0_14default_configENS1_38merge_sort_block_merge_config_selectorIjNS0_10empty_typeEEEZZNS1_27merge_sort_block_merge_implIS3_PjPS5_jNS1_19radix_merge_compareILb1ELb0EjNS0_19identity_decomposerEEEEE10hipError_tT0_T1_T2_jT3_P12ihipStream_tbPNSt15iterator_traitsISE_E10value_typeEPNSK_ISF_E10value_typeEPSG_NS1_7vsmem_tEENKUlT_SE_SF_SG_E_clIS8_S8_S9_S9_EESD_ST_SE_SF_SG_EUlST_E0_NS1_11comp_targetILNS1_3genE10ELNS1_11target_archE1201ELNS1_3gpuE5ELNS1_3repE0EEENS1_38merge_mergepath_config_static_selectorELNS0_4arch9wavefront6targetE1EEEvSF_
; %bb.0:
	.section	.rodata,"a",@progbits
	.p2align	6, 0x0
	.amdhsa_kernel _ZN7rocprim17ROCPRIM_400000_NS6detail17trampoline_kernelINS0_14default_configENS1_38merge_sort_block_merge_config_selectorIjNS0_10empty_typeEEEZZNS1_27merge_sort_block_merge_implIS3_PjPS5_jNS1_19radix_merge_compareILb1ELb0EjNS0_19identity_decomposerEEEEE10hipError_tT0_T1_T2_jT3_P12ihipStream_tbPNSt15iterator_traitsISE_E10value_typeEPNSK_ISF_E10value_typeEPSG_NS1_7vsmem_tEENKUlT_SE_SF_SG_E_clIS8_S8_S9_S9_EESD_ST_SE_SF_SG_EUlST_E0_NS1_11comp_targetILNS1_3genE10ELNS1_11target_archE1201ELNS1_3gpuE5ELNS1_3repE0EEENS1_38merge_mergepath_config_static_selectorELNS0_4arch9wavefront6targetE1EEEvSF_
		.amdhsa_group_segment_fixed_size 0
		.amdhsa_private_segment_fixed_size 0
		.amdhsa_kernarg_size 64
		.amdhsa_user_sgpr_count 6
		.amdhsa_user_sgpr_private_segment_buffer 1
		.amdhsa_user_sgpr_dispatch_ptr 0
		.amdhsa_user_sgpr_queue_ptr 0
		.amdhsa_user_sgpr_kernarg_segment_ptr 1
		.amdhsa_user_sgpr_dispatch_id 0
		.amdhsa_user_sgpr_flat_scratch_init 0
		.amdhsa_user_sgpr_kernarg_preload_length 0
		.amdhsa_user_sgpr_kernarg_preload_offset 0
		.amdhsa_user_sgpr_private_segment_size 0
		.amdhsa_uses_dynamic_stack 0
		.amdhsa_system_sgpr_private_segment_wavefront_offset 0
		.amdhsa_system_sgpr_workgroup_id_x 1
		.amdhsa_system_sgpr_workgroup_id_y 0
		.amdhsa_system_sgpr_workgroup_id_z 0
		.amdhsa_system_sgpr_workgroup_info 0
		.amdhsa_system_vgpr_workitem_id 0
		.amdhsa_next_free_vgpr 1
		.amdhsa_next_free_sgpr 0
		.amdhsa_accum_offset 4
		.amdhsa_reserve_vcc 0
		.amdhsa_reserve_flat_scratch 0
		.amdhsa_float_round_mode_32 0
		.amdhsa_float_round_mode_16_64 0
		.amdhsa_float_denorm_mode_32 3
		.amdhsa_float_denorm_mode_16_64 3
		.amdhsa_dx10_clamp 1
		.amdhsa_ieee_mode 1
		.amdhsa_fp16_overflow 0
		.amdhsa_tg_split 0
		.amdhsa_exception_fp_ieee_invalid_op 0
		.amdhsa_exception_fp_denorm_src 0
		.amdhsa_exception_fp_ieee_div_zero 0
		.amdhsa_exception_fp_ieee_overflow 0
		.amdhsa_exception_fp_ieee_underflow 0
		.amdhsa_exception_fp_ieee_inexact 0
		.amdhsa_exception_int_div_zero 0
	.end_amdhsa_kernel
	.section	.text._ZN7rocprim17ROCPRIM_400000_NS6detail17trampoline_kernelINS0_14default_configENS1_38merge_sort_block_merge_config_selectorIjNS0_10empty_typeEEEZZNS1_27merge_sort_block_merge_implIS3_PjPS5_jNS1_19radix_merge_compareILb1ELb0EjNS0_19identity_decomposerEEEEE10hipError_tT0_T1_T2_jT3_P12ihipStream_tbPNSt15iterator_traitsISE_E10value_typeEPNSK_ISF_E10value_typeEPSG_NS1_7vsmem_tEENKUlT_SE_SF_SG_E_clIS8_S8_S9_S9_EESD_ST_SE_SF_SG_EUlST_E0_NS1_11comp_targetILNS1_3genE10ELNS1_11target_archE1201ELNS1_3gpuE5ELNS1_3repE0EEENS1_38merge_mergepath_config_static_selectorELNS0_4arch9wavefront6targetE1EEEvSF_,"axG",@progbits,_ZN7rocprim17ROCPRIM_400000_NS6detail17trampoline_kernelINS0_14default_configENS1_38merge_sort_block_merge_config_selectorIjNS0_10empty_typeEEEZZNS1_27merge_sort_block_merge_implIS3_PjPS5_jNS1_19radix_merge_compareILb1ELb0EjNS0_19identity_decomposerEEEEE10hipError_tT0_T1_T2_jT3_P12ihipStream_tbPNSt15iterator_traitsISE_E10value_typeEPNSK_ISF_E10value_typeEPSG_NS1_7vsmem_tEENKUlT_SE_SF_SG_E_clIS8_S8_S9_S9_EESD_ST_SE_SF_SG_EUlST_E0_NS1_11comp_targetILNS1_3genE10ELNS1_11target_archE1201ELNS1_3gpuE5ELNS1_3repE0EEENS1_38merge_mergepath_config_static_selectorELNS0_4arch9wavefront6targetE1EEEvSF_,comdat
.Lfunc_end2048:
	.size	_ZN7rocprim17ROCPRIM_400000_NS6detail17trampoline_kernelINS0_14default_configENS1_38merge_sort_block_merge_config_selectorIjNS0_10empty_typeEEEZZNS1_27merge_sort_block_merge_implIS3_PjPS5_jNS1_19radix_merge_compareILb1ELb0EjNS0_19identity_decomposerEEEEE10hipError_tT0_T1_T2_jT3_P12ihipStream_tbPNSt15iterator_traitsISE_E10value_typeEPNSK_ISF_E10value_typeEPSG_NS1_7vsmem_tEENKUlT_SE_SF_SG_E_clIS8_S8_S9_S9_EESD_ST_SE_SF_SG_EUlST_E0_NS1_11comp_targetILNS1_3genE10ELNS1_11target_archE1201ELNS1_3gpuE5ELNS1_3repE0EEENS1_38merge_mergepath_config_static_selectorELNS0_4arch9wavefront6targetE1EEEvSF_, .Lfunc_end2048-_ZN7rocprim17ROCPRIM_400000_NS6detail17trampoline_kernelINS0_14default_configENS1_38merge_sort_block_merge_config_selectorIjNS0_10empty_typeEEEZZNS1_27merge_sort_block_merge_implIS3_PjPS5_jNS1_19radix_merge_compareILb1ELb0EjNS0_19identity_decomposerEEEEE10hipError_tT0_T1_T2_jT3_P12ihipStream_tbPNSt15iterator_traitsISE_E10value_typeEPNSK_ISF_E10value_typeEPSG_NS1_7vsmem_tEENKUlT_SE_SF_SG_E_clIS8_S8_S9_S9_EESD_ST_SE_SF_SG_EUlST_E0_NS1_11comp_targetILNS1_3genE10ELNS1_11target_archE1201ELNS1_3gpuE5ELNS1_3repE0EEENS1_38merge_mergepath_config_static_selectorELNS0_4arch9wavefront6targetE1EEEvSF_
                                        ; -- End function
	.section	.AMDGPU.csdata,"",@progbits
; Kernel info:
; codeLenInByte = 0
; NumSgprs: 4
; NumVgprs: 0
; NumAgprs: 0
; TotalNumVgprs: 0
; ScratchSize: 0
; MemoryBound: 0
; FloatMode: 240
; IeeeMode: 1
; LDSByteSize: 0 bytes/workgroup (compile time only)
; SGPRBlocks: 0
; VGPRBlocks: 0
; NumSGPRsForWavesPerEU: 4
; NumVGPRsForWavesPerEU: 1
; AccumOffset: 4
; Occupancy: 8
; WaveLimiterHint : 0
; COMPUTE_PGM_RSRC2:SCRATCH_EN: 0
; COMPUTE_PGM_RSRC2:USER_SGPR: 6
; COMPUTE_PGM_RSRC2:TRAP_HANDLER: 0
; COMPUTE_PGM_RSRC2:TGID_X_EN: 1
; COMPUTE_PGM_RSRC2:TGID_Y_EN: 0
; COMPUTE_PGM_RSRC2:TGID_Z_EN: 0
; COMPUTE_PGM_RSRC2:TIDIG_COMP_CNT: 0
; COMPUTE_PGM_RSRC3_GFX90A:ACCUM_OFFSET: 0
; COMPUTE_PGM_RSRC3_GFX90A:TG_SPLIT: 0
	.section	.text._ZN7rocprim17ROCPRIM_400000_NS6detail17trampoline_kernelINS0_14default_configENS1_38merge_sort_block_merge_config_selectorIjNS0_10empty_typeEEEZZNS1_27merge_sort_block_merge_implIS3_PjPS5_jNS1_19radix_merge_compareILb1ELb0EjNS0_19identity_decomposerEEEEE10hipError_tT0_T1_T2_jT3_P12ihipStream_tbPNSt15iterator_traitsISE_E10value_typeEPNSK_ISF_E10value_typeEPSG_NS1_7vsmem_tEENKUlT_SE_SF_SG_E_clIS8_S8_S9_S9_EESD_ST_SE_SF_SG_EUlST_E0_NS1_11comp_targetILNS1_3genE5ELNS1_11target_archE942ELNS1_3gpuE9ELNS1_3repE0EEENS1_38merge_mergepath_config_static_selectorELNS0_4arch9wavefront6targetE1EEEvSF_,"axG",@progbits,_ZN7rocprim17ROCPRIM_400000_NS6detail17trampoline_kernelINS0_14default_configENS1_38merge_sort_block_merge_config_selectorIjNS0_10empty_typeEEEZZNS1_27merge_sort_block_merge_implIS3_PjPS5_jNS1_19radix_merge_compareILb1ELb0EjNS0_19identity_decomposerEEEEE10hipError_tT0_T1_T2_jT3_P12ihipStream_tbPNSt15iterator_traitsISE_E10value_typeEPNSK_ISF_E10value_typeEPSG_NS1_7vsmem_tEENKUlT_SE_SF_SG_E_clIS8_S8_S9_S9_EESD_ST_SE_SF_SG_EUlST_E0_NS1_11comp_targetILNS1_3genE5ELNS1_11target_archE942ELNS1_3gpuE9ELNS1_3repE0EEENS1_38merge_mergepath_config_static_selectorELNS0_4arch9wavefront6targetE1EEEvSF_,comdat
	.protected	_ZN7rocprim17ROCPRIM_400000_NS6detail17trampoline_kernelINS0_14default_configENS1_38merge_sort_block_merge_config_selectorIjNS0_10empty_typeEEEZZNS1_27merge_sort_block_merge_implIS3_PjPS5_jNS1_19radix_merge_compareILb1ELb0EjNS0_19identity_decomposerEEEEE10hipError_tT0_T1_T2_jT3_P12ihipStream_tbPNSt15iterator_traitsISE_E10value_typeEPNSK_ISF_E10value_typeEPSG_NS1_7vsmem_tEENKUlT_SE_SF_SG_E_clIS8_S8_S9_S9_EESD_ST_SE_SF_SG_EUlST_E0_NS1_11comp_targetILNS1_3genE5ELNS1_11target_archE942ELNS1_3gpuE9ELNS1_3repE0EEENS1_38merge_mergepath_config_static_selectorELNS0_4arch9wavefront6targetE1EEEvSF_ ; -- Begin function _ZN7rocprim17ROCPRIM_400000_NS6detail17trampoline_kernelINS0_14default_configENS1_38merge_sort_block_merge_config_selectorIjNS0_10empty_typeEEEZZNS1_27merge_sort_block_merge_implIS3_PjPS5_jNS1_19radix_merge_compareILb1ELb0EjNS0_19identity_decomposerEEEEE10hipError_tT0_T1_T2_jT3_P12ihipStream_tbPNSt15iterator_traitsISE_E10value_typeEPNSK_ISF_E10value_typeEPSG_NS1_7vsmem_tEENKUlT_SE_SF_SG_E_clIS8_S8_S9_S9_EESD_ST_SE_SF_SG_EUlST_E0_NS1_11comp_targetILNS1_3genE5ELNS1_11target_archE942ELNS1_3gpuE9ELNS1_3repE0EEENS1_38merge_mergepath_config_static_selectorELNS0_4arch9wavefront6targetE1EEEvSF_
	.globl	_ZN7rocprim17ROCPRIM_400000_NS6detail17trampoline_kernelINS0_14default_configENS1_38merge_sort_block_merge_config_selectorIjNS0_10empty_typeEEEZZNS1_27merge_sort_block_merge_implIS3_PjPS5_jNS1_19radix_merge_compareILb1ELb0EjNS0_19identity_decomposerEEEEE10hipError_tT0_T1_T2_jT3_P12ihipStream_tbPNSt15iterator_traitsISE_E10value_typeEPNSK_ISF_E10value_typeEPSG_NS1_7vsmem_tEENKUlT_SE_SF_SG_E_clIS8_S8_S9_S9_EESD_ST_SE_SF_SG_EUlST_E0_NS1_11comp_targetILNS1_3genE5ELNS1_11target_archE942ELNS1_3gpuE9ELNS1_3repE0EEENS1_38merge_mergepath_config_static_selectorELNS0_4arch9wavefront6targetE1EEEvSF_
	.p2align	8
	.type	_ZN7rocprim17ROCPRIM_400000_NS6detail17trampoline_kernelINS0_14default_configENS1_38merge_sort_block_merge_config_selectorIjNS0_10empty_typeEEEZZNS1_27merge_sort_block_merge_implIS3_PjPS5_jNS1_19radix_merge_compareILb1ELb0EjNS0_19identity_decomposerEEEEE10hipError_tT0_T1_T2_jT3_P12ihipStream_tbPNSt15iterator_traitsISE_E10value_typeEPNSK_ISF_E10value_typeEPSG_NS1_7vsmem_tEENKUlT_SE_SF_SG_E_clIS8_S8_S9_S9_EESD_ST_SE_SF_SG_EUlST_E0_NS1_11comp_targetILNS1_3genE5ELNS1_11target_archE942ELNS1_3gpuE9ELNS1_3repE0EEENS1_38merge_mergepath_config_static_selectorELNS0_4arch9wavefront6targetE1EEEvSF_,@function
_ZN7rocprim17ROCPRIM_400000_NS6detail17trampoline_kernelINS0_14default_configENS1_38merge_sort_block_merge_config_selectorIjNS0_10empty_typeEEEZZNS1_27merge_sort_block_merge_implIS3_PjPS5_jNS1_19radix_merge_compareILb1ELb0EjNS0_19identity_decomposerEEEEE10hipError_tT0_T1_T2_jT3_P12ihipStream_tbPNSt15iterator_traitsISE_E10value_typeEPNSK_ISF_E10value_typeEPSG_NS1_7vsmem_tEENKUlT_SE_SF_SG_E_clIS8_S8_S9_S9_EESD_ST_SE_SF_SG_EUlST_E0_NS1_11comp_targetILNS1_3genE5ELNS1_11target_archE942ELNS1_3gpuE9ELNS1_3repE0EEENS1_38merge_mergepath_config_static_selectorELNS0_4arch9wavefront6targetE1EEEvSF_: ; @_ZN7rocprim17ROCPRIM_400000_NS6detail17trampoline_kernelINS0_14default_configENS1_38merge_sort_block_merge_config_selectorIjNS0_10empty_typeEEEZZNS1_27merge_sort_block_merge_implIS3_PjPS5_jNS1_19radix_merge_compareILb1ELb0EjNS0_19identity_decomposerEEEEE10hipError_tT0_T1_T2_jT3_P12ihipStream_tbPNSt15iterator_traitsISE_E10value_typeEPNSK_ISF_E10value_typeEPSG_NS1_7vsmem_tEENKUlT_SE_SF_SG_E_clIS8_S8_S9_S9_EESD_ST_SE_SF_SG_EUlST_E0_NS1_11comp_targetILNS1_3genE5ELNS1_11target_archE942ELNS1_3gpuE9ELNS1_3repE0EEENS1_38merge_mergepath_config_static_selectorELNS0_4arch9wavefront6targetE1EEEvSF_
; %bb.0:
	.section	.rodata,"a",@progbits
	.p2align	6, 0x0
	.amdhsa_kernel _ZN7rocprim17ROCPRIM_400000_NS6detail17trampoline_kernelINS0_14default_configENS1_38merge_sort_block_merge_config_selectorIjNS0_10empty_typeEEEZZNS1_27merge_sort_block_merge_implIS3_PjPS5_jNS1_19radix_merge_compareILb1ELb0EjNS0_19identity_decomposerEEEEE10hipError_tT0_T1_T2_jT3_P12ihipStream_tbPNSt15iterator_traitsISE_E10value_typeEPNSK_ISF_E10value_typeEPSG_NS1_7vsmem_tEENKUlT_SE_SF_SG_E_clIS8_S8_S9_S9_EESD_ST_SE_SF_SG_EUlST_E0_NS1_11comp_targetILNS1_3genE5ELNS1_11target_archE942ELNS1_3gpuE9ELNS1_3repE0EEENS1_38merge_mergepath_config_static_selectorELNS0_4arch9wavefront6targetE1EEEvSF_
		.amdhsa_group_segment_fixed_size 0
		.amdhsa_private_segment_fixed_size 0
		.amdhsa_kernarg_size 64
		.amdhsa_user_sgpr_count 6
		.amdhsa_user_sgpr_private_segment_buffer 1
		.amdhsa_user_sgpr_dispatch_ptr 0
		.amdhsa_user_sgpr_queue_ptr 0
		.amdhsa_user_sgpr_kernarg_segment_ptr 1
		.amdhsa_user_sgpr_dispatch_id 0
		.amdhsa_user_sgpr_flat_scratch_init 0
		.amdhsa_user_sgpr_kernarg_preload_length 0
		.amdhsa_user_sgpr_kernarg_preload_offset 0
		.amdhsa_user_sgpr_private_segment_size 0
		.amdhsa_uses_dynamic_stack 0
		.amdhsa_system_sgpr_private_segment_wavefront_offset 0
		.amdhsa_system_sgpr_workgroup_id_x 1
		.amdhsa_system_sgpr_workgroup_id_y 0
		.amdhsa_system_sgpr_workgroup_id_z 0
		.amdhsa_system_sgpr_workgroup_info 0
		.amdhsa_system_vgpr_workitem_id 0
		.amdhsa_next_free_vgpr 1
		.amdhsa_next_free_sgpr 0
		.amdhsa_accum_offset 4
		.amdhsa_reserve_vcc 0
		.amdhsa_reserve_flat_scratch 0
		.amdhsa_float_round_mode_32 0
		.amdhsa_float_round_mode_16_64 0
		.amdhsa_float_denorm_mode_32 3
		.amdhsa_float_denorm_mode_16_64 3
		.amdhsa_dx10_clamp 1
		.amdhsa_ieee_mode 1
		.amdhsa_fp16_overflow 0
		.amdhsa_tg_split 0
		.amdhsa_exception_fp_ieee_invalid_op 0
		.amdhsa_exception_fp_denorm_src 0
		.amdhsa_exception_fp_ieee_div_zero 0
		.amdhsa_exception_fp_ieee_overflow 0
		.amdhsa_exception_fp_ieee_underflow 0
		.amdhsa_exception_fp_ieee_inexact 0
		.amdhsa_exception_int_div_zero 0
	.end_amdhsa_kernel
	.section	.text._ZN7rocprim17ROCPRIM_400000_NS6detail17trampoline_kernelINS0_14default_configENS1_38merge_sort_block_merge_config_selectorIjNS0_10empty_typeEEEZZNS1_27merge_sort_block_merge_implIS3_PjPS5_jNS1_19radix_merge_compareILb1ELb0EjNS0_19identity_decomposerEEEEE10hipError_tT0_T1_T2_jT3_P12ihipStream_tbPNSt15iterator_traitsISE_E10value_typeEPNSK_ISF_E10value_typeEPSG_NS1_7vsmem_tEENKUlT_SE_SF_SG_E_clIS8_S8_S9_S9_EESD_ST_SE_SF_SG_EUlST_E0_NS1_11comp_targetILNS1_3genE5ELNS1_11target_archE942ELNS1_3gpuE9ELNS1_3repE0EEENS1_38merge_mergepath_config_static_selectorELNS0_4arch9wavefront6targetE1EEEvSF_,"axG",@progbits,_ZN7rocprim17ROCPRIM_400000_NS6detail17trampoline_kernelINS0_14default_configENS1_38merge_sort_block_merge_config_selectorIjNS0_10empty_typeEEEZZNS1_27merge_sort_block_merge_implIS3_PjPS5_jNS1_19radix_merge_compareILb1ELb0EjNS0_19identity_decomposerEEEEE10hipError_tT0_T1_T2_jT3_P12ihipStream_tbPNSt15iterator_traitsISE_E10value_typeEPNSK_ISF_E10value_typeEPSG_NS1_7vsmem_tEENKUlT_SE_SF_SG_E_clIS8_S8_S9_S9_EESD_ST_SE_SF_SG_EUlST_E0_NS1_11comp_targetILNS1_3genE5ELNS1_11target_archE942ELNS1_3gpuE9ELNS1_3repE0EEENS1_38merge_mergepath_config_static_selectorELNS0_4arch9wavefront6targetE1EEEvSF_,comdat
.Lfunc_end2049:
	.size	_ZN7rocprim17ROCPRIM_400000_NS6detail17trampoline_kernelINS0_14default_configENS1_38merge_sort_block_merge_config_selectorIjNS0_10empty_typeEEEZZNS1_27merge_sort_block_merge_implIS3_PjPS5_jNS1_19radix_merge_compareILb1ELb0EjNS0_19identity_decomposerEEEEE10hipError_tT0_T1_T2_jT3_P12ihipStream_tbPNSt15iterator_traitsISE_E10value_typeEPNSK_ISF_E10value_typeEPSG_NS1_7vsmem_tEENKUlT_SE_SF_SG_E_clIS8_S8_S9_S9_EESD_ST_SE_SF_SG_EUlST_E0_NS1_11comp_targetILNS1_3genE5ELNS1_11target_archE942ELNS1_3gpuE9ELNS1_3repE0EEENS1_38merge_mergepath_config_static_selectorELNS0_4arch9wavefront6targetE1EEEvSF_, .Lfunc_end2049-_ZN7rocprim17ROCPRIM_400000_NS6detail17trampoline_kernelINS0_14default_configENS1_38merge_sort_block_merge_config_selectorIjNS0_10empty_typeEEEZZNS1_27merge_sort_block_merge_implIS3_PjPS5_jNS1_19radix_merge_compareILb1ELb0EjNS0_19identity_decomposerEEEEE10hipError_tT0_T1_T2_jT3_P12ihipStream_tbPNSt15iterator_traitsISE_E10value_typeEPNSK_ISF_E10value_typeEPSG_NS1_7vsmem_tEENKUlT_SE_SF_SG_E_clIS8_S8_S9_S9_EESD_ST_SE_SF_SG_EUlST_E0_NS1_11comp_targetILNS1_3genE5ELNS1_11target_archE942ELNS1_3gpuE9ELNS1_3repE0EEENS1_38merge_mergepath_config_static_selectorELNS0_4arch9wavefront6targetE1EEEvSF_
                                        ; -- End function
	.section	.AMDGPU.csdata,"",@progbits
; Kernel info:
; codeLenInByte = 0
; NumSgprs: 4
; NumVgprs: 0
; NumAgprs: 0
; TotalNumVgprs: 0
; ScratchSize: 0
; MemoryBound: 0
; FloatMode: 240
; IeeeMode: 1
; LDSByteSize: 0 bytes/workgroup (compile time only)
; SGPRBlocks: 0
; VGPRBlocks: 0
; NumSGPRsForWavesPerEU: 4
; NumVGPRsForWavesPerEU: 1
; AccumOffset: 4
; Occupancy: 8
; WaveLimiterHint : 0
; COMPUTE_PGM_RSRC2:SCRATCH_EN: 0
; COMPUTE_PGM_RSRC2:USER_SGPR: 6
; COMPUTE_PGM_RSRC2:TRAP_HANDLER: 0
; COMPUTE_PGM_RSRC2:TGID_X_EN: 1
; COMPUTE_PGM_RSRC2:TGID_Y_EN: 0
; COMPUTE_PGM_RSRC2:TGID_Z_EN: 0
; COMPUTE_PGM_RSRC2:TIDIG_COMP_CNT: 0
; COMPUTE_PGM_RSRC3_GFX90A:ACCUM_OFFSET: 0
; COMPUTE_PGM_RSRC3_GFX90A:TG_SPLIT: 0
	.section	.text._ZN7rocprim17ROCPRIM_400000_NS6detail17trampoline_kernelINS0_14default_configENS1_38merge_sort_block_merge_config_selectorIjNS0_10empty_typeEEEZZNS1_27merge_sort_block_merge_implIS3_PjPS5_jNS1_19radix_merge_compareILb1ELb0EjNS0_19identity_decomposerEEEEE10hipError_tT0_T1_T2_jT3_P12ihipStream_tbPNSt15iterator_traitsISE_E10value_typeEPNSK_ISF_E10value_typeEPSG_NS1_7vsmem_tEENKUlT_SE_SF_SG_E_clIS8_S8_S9_S9_EESD_ST_SE_SF_SG_EUlST_E0_NS1_11comp_targetILNS1_3genE4ELNS1_11target_archE910ELNS1_3gpuE8ELNS1_3repE0EEENS1_38merge_mergepath_config_static_selectorELNS0_4arch9wavefront6targetE1EEEvSF_,"axG",@progbits,_ZN7rocprim17ROCPRIM_400000_NS6detail17trampoline_kernelINS0_14default_configENS1_38merge_sort_block_merge_config_selectorIjNS0_10empty_typeEEEZZNS1_27merge_sort_block_merge_implIS3_PjPS5_jNS1_19radix_merge_compareILb1ELb0EjNS0_19identity_decomposerEEEEE10hipError_tT0_T1_T2_jT3_P12ihipStream_tbPNSt15iterator_traitsISE_E10value_typeEPNSK_ISF_E10value_typeEPSG_NS1_7vsmem_tEENKUlT_SE_SF_SG_E_clIS8_S8_S9_S9_EESD_ST_SE_SF_SG_EUlST_E0_NS1_11comp_targetILNS1_3genE4ELNS1_11target_archE910ELNS1_3gpuE8ELNS1_3repE0EEENS1_38merge_mergepath_config_static_selectorELNS0_4arch9wavefront6targetE1EEEvSF_,comdat
	.protected	_ZN7rocprim17ROCPRIM_400000_NS6detail17trampoline_kernelINS0_14default_configENS1_38merge_sort_block_merge_config_selectorIjNS0_10empty_typeEEEZZNS1_27merge_sort_block_merge_implIS3_PjPS5_jNS1_19radix_merge_compareILb1ELb0EjNS0_19identity_decomposerEEEEE10hipError_tT0_T1_T2_jT3_P12ihipStream_tbPNSt15iterator_traitsISE_E10value_typeEPNSK_ISF_E10value_typeEPSG_NS1_7vsmem_tEENKUlT_SE_SF_SG_E_clIS8_S8_S9_S9_EESD_ST_SE_SF_SG_EUlST_E0_NS1_11comp_targetILNS1_3genE4ELNS1_11target_archE910ELNS1_3gpuE8ELNS1_3repE0EEENS1_38merge_mergepath_config_static_selectorELNS0_4arch9wavefront6targetE1EEEvSF_ ; -- Begin function _ZN7rocprim17ROCPRIM_400000_NS6detail17trampoline_kernelINS0_14default_configENS1_38merge_sort_block_merge_config_selectorIjNS0_10empty_typeEEEZZNS1_27merge_sort_block_merge_implIS3_PjPS5_jNS1_19radix_merge_compareILb1ELb0EjNS0_19identity_decomposerEEEEE10hipError_tT0_T1_T2_jT3_P12ihipStream_tbPNSt15iterator_traitsISE_E10value_typeEPNSK_ISF_E10value_typeEPSG_NS1_7vsmem_tEENKUlT_SE_SF_SG_E_clIS8_S8_S9_S9_EESD_ST_SE_SF_SG_EUlST_E0_NS1_11comp_targetILNS1_3genE4ELNS1_11target_archE910ELNS1_3gpuE8ELNS1_3repE0EEENS1_38merge_mergepath_config_static_selectorELNS0_4arch9wavefront6targetE1EEEvSF_
	.globl	_ZN7rocprim17ROCPRIM_400000_NS6detail17trampoline_kernelINS0_14default_configENS1_38merge_sort_block_merge_config_selectorIjNS0_10empty_typeEEEZZNS1_27merge_sort_block_merge_implIS3_PjPS5_jNS1_19radix_merge_compareILb1ELb0EjNS0_19identity_decomposerEEEEE10hipError_tT0_T1_T2_jT3_P12ihipStream_tbPNSt15iterator_traitsISE_E10value_typeEPNSK_ISF_E10value_typeEPSG_NS1_7vsmem_tEENKUlT_SE_SF_SG_E_clIS8_S8_S9_S9_EESD_ST_SE_SF_SG_EUlST_E0_NS1_11comp_targetILNS1_3genE4ELNS1_11target_archE910ELNS1_3gpuE8ELNS1_3repE0EEENS1_38merge_mergepath_config_static_selectorELNS0_4arch9wavefront6targetE1EEEvSF_
	.p2align	8
	.type	_ZN7rocprim17ROCPRIM_400000_NS6detail17trampoline_kernelINS0_14default_configENS1_38merge_sort_block_merge_config_selectorIjNS0_10empty_typeEEEZZNS1_27merge_sort_block_merge_implIS3_PjPS5_jNS1_19radix_merge_compareILb1ELb0EjNS0_19identity_decomposerEEEEE10hipError_tT0_T1_T2_jT3_P12ihipStream_tbPNSt15iterator_traitsISE_E10value_typeEPNSK_ISF_E10value_typeEPSG_NS1_7vsmem_tEENKUlT_SE_SF_SG_E_clIS8_S8_S9_S9_EESD_ST_SE_SF_SG_EUlST_E0_NS1_11comp_targetILNS1_3genE4ELNS1_11target_archE910ELNS1_3gpuE8ELNS1_3repE0EEENS1_38merge_mergepath_config_static_selectorELNS0_4arch9wavefront6targetE1EEEvSF_,@function
_ZN7rocprim17ROCPRIM_400000_NS6detail17trampoline_kernelINS0_14default_configENS1_38merge_sort_block_merge_config_selectorIjNS0_10empty_typeEEEZZNS1_27merge_sort_block_merge_implIS3_PjPS5_jNS1_19radix_merge_compareILb1ELb0EjNS0_19identity_decomposerEEEEE10hipError_tT0_T1_T2_jT3_P12ihipStream_tbPNSt15iterator_traitsISE_E10value_typeEPNSK_ISF_E10value_typeEPSG_NS1_7vsmem_tEENKUlT_SE_SF_SG_E_clIS8_S8_S9_S9_EESD_ST_SE_SF_SG_EUlST_E0_NS1_11comp_targetILNS1_3genE4ELNS1_11target_archE910ELNS1_3gpuE8ELNS1_3repE0EEENS1_38merge_mergepath_config_static_selectorELNS0_4arch9wavefront6targetE1EEEvSF_: ; @_ZN7rocprim17ROCPRIM_400000_NS6detail17trampoline_kernelINS0_14default_configENS1_38merge_sort_block_merge_config_selectorIjNS0_10empty_typeEEEZZNS1_27merge_sort_block_merge_implIS3_PjPS5_jNS1_19radix_merge_compareILb1ELb0EjNS0_19identity_decomposerEEEEE10hipError_tT0_T1_T2_jT3_P12ihipStream_tbPNSt15iterator_traitsISE_E10value_typeEPNSK_ISF_E10value_typeEPSG_NS1_7vsmem_tEENKUlT_SE_SF_SG_E_clIS8_S8_S9_S9_EESD_ST_SE_SF_SG_EUlST_E0_NS1_11comp_targetILNS1_3genE4ELNS1_11target_archE910ELNS1_3gpuE8ELNS1_3repE0EEENS1_38merge_mergepath_config_static_selectorELNS0_4arch9wavefront6targetE1EEEvSF_
; %bb.0:
	s_load_dwordx2 s[10:11], s[4:5], 0x40
	s_load_dword s3, s[4:5], 0x30
	s_add_u32 s0, s4, 64
	s_addc_u32 s1, s5, 0
	s_waitcnt lgkmcnt(0)
	s_mul_i32 s2, s11, s8
	s_add_i32 s2, s2, s7
	s_mul_i32 s2, s2, s10
	s_add_i32 s2, s2, s6
	s_cmp_ge_u32 s2, s3
	s_cbranch_scc1 .LBB2050_43
; %bb.1:
	s_load_dwordx2 s[14:15], s[4:5], 0x28
	s_load_dwordx2 s[8:9], s[4:5], 0x38
	;; [unrolled: 1-line block ×3, first 2 shown]
	s_mov_b32 s3, 0
	s_mov_b32 s23, s3
	s_waitcnt lgkmcnt(0)
	s_lshr_b32 s17, s14, 10
	s_cmp_lg_u32 s2, s17
	s_cselect_b64 s[18:19], -1, 0
	s_lshl_b64 s[12:13], s[2:3], 2
	s_add_u32 s8, s8, s12
	s_addc_u32 s9, s9, s13
	s_lshr_b32 s7, s15, 9
	s_and_b32 s7, s7, 0x7ffffe
	s_load_dwordx2 s[8:9], s[8:9], 0x0
	s_sub_i32 s7, 0, s7
	s_and_b32 s11, s2, s7
	s_lshl_b32 s12, s11, 10
	s_lshl_b32 s16, s2, 10
	;; [unrolled: 1-line block ×3, first 2 shown]
	s_sub_i32 s13, s16, s12
	s_add_i32 s11, s11, s15
	s_add_i32 s13, s11, s13
	s_waitcnt lgkmcnt(0)
	s_sub_i32 s22, s13, s8
	s_sub_i32 s13, s13, s9
	;; [unrolled: 1-line block ×3, first 2 shown]
	s_min_u32 s22, s14, s22
	s_addk_i32 s13, 0x400
	s_or_b32 s7, s2, s7
	s_min_u32 s12, s14, s11
	s_add_i32 s11, s11, s15
	s_cmp_eq_u32 s7, -1
	s_cselect_b32 s7, s11, s13
	s_cselect_b32 s9, s12, s9
	s_min_u32 s7, s7, s14
	s_sub_i32 s15, s9, s8
	s_mov_b32 s9, s3
	s_sub_i32 s7, s7, s22
	s_lshl_b64 s[8:9], s[8:9], 2
	s_add_u32 s11, s20, s8
	s_addc_u32 s12, s21, s9
	s_lshl_b64 s[8:9], s[22:23], 2
	s_add_u32 s8, s20, s8
	s_addc_u32 s9, s21, s9
	s_cmp_lt_u32 s6, s10
	v_mov_b32_e32 v15, 0
	s_cselect_b32 s3, 12, 18
	global_load_dword v1, v15, s[0:1] offset:14
	s_add_u32 s0, s0, s3
	s_addc_u32 s1, s1, 0
	global_load_ushort v2, v15, s[0:1]
	s_cmp_eq_u32 s2, s17
	s_waitcnt vmcnt(1)
	v_lshrrev_b32_e32 v3, 16, v1
	v_and_b32_e32 v1, 0xffff, v1
	v_mul_lo_u32 v1, v1, v3
	s_waitcnt vmcnt(0)
	v_mul_lo_u32 v16, v1, v2
	v_add_u32_e32 v12, v16, v0
	v_lshlrev_b32_e32 v1, 2, v0
	v_add_u32_e32 v10, v12, v16
	s_cbranch_scc1 .LBB2050_3
; %bb.2:
	v_mov_b32_e32 v2, s12
	v_add_co_u32_e32 v4, vcc, s11, v1
	v_subrev_u32_e32 v14, s15, v0
	v_addc_co_u32_e32 v5, vcc, 0, v2, vcc
	v_lshlrev_b64 v[2:3], 2, v[14:15]
	v_mov_b32_e32 v6, s9
	v_add_co_u32_e32 v2, vcc, s8, v2
	v_addc_co_u32_e32 v3, vcc, v6, v3, vcc
	v_cmp_gt_u32_e32 vcc, s15, v0
	v_mov_b32_e32 v13, v15
	v_cndmask_b32_e32 v3, v3, v5, vcc
	v_cndmask_b32_e32 v2, v2, v4, vcc
	v_lshlrev_b64 v[4:5], 2, v[12:13]
	global_load_dword v2, v[2:3], off
	v_mov_b32_e32 v3, s12
	v_add_co_u32_e32 v6, vcc, s11, v4
	v_subrev_u32_e32 v14, s15, v12
	v_addc_co_u32_e32 v3, vcc, v3, v5, vcc
	v_lshlrev_b64 v[4:5], 2, v[14:15]
	v_mov_b32_e32 v7, s9
	v_add_co_u32_e32 v4, vcc, s8, v4
	v_addc_co_u32_e32 v5, vcc, v7, v5, vcc
	v_cmp_gt_u32_e32 vcc, s15, v12
	v_cndmask_b32_e32 v5, v5, v3, vcc
	v_cndmask_b32_e32 v4, v4, v6, vcc
	v_mov_b32_e32 v11, v15
	global_load_dword v3, v[4:5], off
	v_lshlrev_b64 v[4:5], 2, v[10:11]
	v_mov_b32_e32 v6, s12
	v_add_co_u32_e32 v7, vcc, s11, v4
	v_subrev_u32_e32 v14, s15, v10
	v_addc_co_u32_e32 v6, vcc, v6, v5, vcc
	v_lshlrev_b64 v[4:5], 2, v[14:15]
	v_mov_b32_e32 v8, s9
	v_add_co_u32_e32 v4, vcc, s8, v4
	v_addc_co_u32_e32 v5, vcc, v8, v5, vcc
	v_cmp_gt_u32_e32 vcc, s15, v10
	v_add_u32_e32 v14, v10, v16
	v_cndmask_b32_e32 v5, v5, v6, vcc
	v_cndmask_b32_e32 v4, v4, v7, vcc
	v_lshlrev_b64 v[6:7], 2, v[14:15]
	global_load_dword v4, v[4:5], off
	v_mov_b32_e32 v5, s12
	v_add_co_u32_e32 v8, vcc, s11, v6
	v_addc_co_u32_e32 v5, vcc, v5, v7, vcc
	v_subrev_u32_e32 v6, s15, v14
	v_mov_b32_e32 v7, v15
	v_lshlrev_b64 v[6:7], 2, v[6:7]
	v_mov_b32_e32 v9, s9
	v_add_co_u32_e32 v6, vcc, s8, v6
	v_addc_co_u32_e32 v7, vcc, v9, v7, vcc
	v_cmp_gt_u32_e32 vcc, s15, v14
	v_cndmask_b32_e32 v7, v7, v5, vcc
	v_cndmask_b32_e32 v6, v6, v8, vcc
	v_add_u32_e32 v14, v14, v16
	global_load_dword v5, v[6:7], off
	v_lshlrev_b64 v[6:7], 2, v[14:15]
	v_mov_b32_e32 v8, s12
	v_add_co_u32_e32 v9, vcc, s11, v6
	v_addc_co_u32_e32 v8, vcc, v8, v7, vcc
	v_subrev_u32_e32 v6, s15, v14
	v_mov_b32_e32 v7, v15
	v_lshlrev_b64 v[6:7], 2, v[6:7]
	v_mov_b32_e32 v11, s9
	v_add_co_u32_e32 v6, vcc, s8, v6
	v_addc_co_u32_e32 v7, vcc, v11, v7, vcc
	v_cmp_gt_u32_e32 vcc, s15, v14
	v_add_u32_e32 v14, v14, v16
	v_cndmask_b32_e32 v7, v7, v8, vcc
	v_cndmask_b32_e32 v6, v6, v9, vcc
	v_lshlrev_b64 v[8:9], 2, v[14:15]
	global_load_dword v6, v[6:7], off
	v_mov_b32_e32 v7, s12
	v_add_co_u32_e32 v11, vcc, s11, v8
	v_addc_co_u32_e32 v7, vcc, v7, v9, vcc
	v_subrev_u32_e32 v8, s15, v14
	v_mov_b32_e32 v9, v15
	v_lshlrev_b64 v[8:9], 2, v[8:9]
	v_mov_b32_e32 v13, s9
	v_add_co_u32_e32 v8, vcc, s8, v8
	v_addc_co_u32_e32 v9, vcc, v13, v9, vcc
	v_cmp_gt_u32_e32 vcc, s15, v14
	v_cndmask_b32_e32 v9, v9, v7, vcc
	v_cndmask_b32_e32 v8, v8, v11, vcc
	v_add_u32_e32 v14, v14, v16
	global_load_dword v7, v[8:9], off
	v_lshlrev_b64 v[8:9], 2, v[14:15]
	v_mov_b32_e32 v11, s12
	v_add_co_u32_e32 v13, vcc, s11, v8
	v_addc_co_u32_e32 v11, vcc, v11, v9, vcc
	v_subrev_u32_e32 v8, s15, v14
	v_mov_b32_e32 v9, v15
	v_lshlrev_b64 v[8:9], 2, v[8:9]
	v_mov_b32_e32 v17, s9
	v_add_co_u32_e32 v8, vcc, s8, v8
	v_addc_co_u32_e32 v9, vcc, v17, v9, vcc
	v_cmp_gt_u32_e32 vcc, s15, v14
	v_add_u32_e32 v14, v14, v16
	v_cndmask_b32_e32 v9, v9, v11, vcc
	v_cndmask_b32_e32 v8, v8, v13, vcc
	v_lshlrev_b64 v[18:19], 2, v[14:15]
	global_load_dword v8, v[8:9], off
	v_mov_b32_e32 v9, s12
	v_add_co_u32_e32 v11, vcc, s11, v18
	v_addc_co_u32_e32 v9, vcc, v9, v19, vcc
	v_cmp_gt_u32_e32 vcc, s15, v14
	v_subrev_u32_e32 v14, s15, v14
	v_lshlrev_b64 v[14:15], 2, v[14:15]
	v_mov_b32_e32 v13, s9
	v_add_co_u32_e64 v14, s[0:1], s8, v14
	v_addc_co_u32_e64 v13, s[0:1], v13, v15, s[0:1]
	v_cndmask_b32_e32 v15, v13, v9, vcc
	v_cndmask_b32_e32 v14, v14, v11, vcc
	global_load_dword v9, v[14:15], off
	s_add_i32 s17, s7, s15
	s_load_dwordx2 s[20:21], s[4:5], 0x10
	s_cbranch_execz .LBB2050_4
	s_branch .LBB2050_19
.LBB2050_3:
                                        ; implicit-def: $vgpr2_vgpr3_vgpr4_vgpr5_vgpr6_vgpr7_vgpr8_vgpr9
                                        ; implicit-def: $sgpr17
	s_load_dwordx2 s[20:21], s[4:5], 0x10
.LBB2050_4:
	s_add_i32 s17, s7, s15
	v_cmp_gt_u32_e32 vcc, s17, v0
                                        ; implicit-def: $vgpr2_vgpr3_vgpr4_vgpr5_vgpr6_vgpr7_vgpr8_vgpr9
	s_and_saveexec_b64 s[0:1], vcc
	s_cbranch_execnz .LBB2050_44
; %bb.5:
	s_or_b64 exec, exec, s[0:1]
	v_cmp_gt_u32_e32 vcc, s17, v12
	s_and_saveexec_b64 s[2:3], vcc
	s_cbranch_execnz .LBB2050_45
.LBB2050_6:
	s_or_b64 exec, exec, s[2:3]
	v_cmp_gt_u32_e32 vcc, s17, v10
	s_and_saveexec_b64 s[0:1], vcc
	s_cbranch_execz .LBB2050_8
.LBB2050_7:
	v_mov_b32_e32 v11, 0
	v_lshlrev_b64 v[12:13], 2, v[10:11]
	s_waitcnt vmcnt(5)
	v_mov_b32_e32 v4, s12
	v_add_co_u32_e32 v14, vcc, s11, v12
	v_addc_co_u32_e32 v4, vcc, v4, v13, vcc
	v_subrev_u32_e32 v12, s15, v10
	v_mov_b32_e32 v13, v11
	v_lshlrev_b64 v[12:13], 2, v[12:13]
	v_mov_b32_e32 v11, s9
	v_add_co_u32_e32 v12, vcc, s8, v12
	v_addc_co_u32_e32 v11, vcc, v11, v13, vcc
	v_cmp_gt_u32_e32 vcc, s15, v10
	v_cndmask_b32_e32 v13, v11, v4, vcc
	v_cndmask_b32_e32 v12, v12, v14, vcc
	global_load_dword v4, v[12:13], off
.LBB2050_8:
	s_or_b64 exec, exec, s[0:1]
	v_add_u32_e32 v10, v10, v16
	v_cmp_gt_u32_e32 vcc, s17, v10
	s_and_saveexec_b64 s[0:1], vcc
	s_cbranch_execz .LBB2050_10
; %bb.9:
	v_mov_b32_e32 v11, 0
	v_lshlrev_b64 v[12:13], 2, v[10:11]
	s_waitcnt vmcnt(4)
	v_mov_b32_e32 v5, s12
	v_add_co_u32_e32 v14, vcc, s11, v12
	v_addc_co_u32_e32 v5, vcc, v5, v13, vcc
	v_subrev_u32_e32 v12, s15, v10
	v_mov_b32_e32 v13, v11
	v_lshlrev_b64 v[12:13], 2, v[12:13]
	v_mov_b32_e32 v11, s9
	v_add_co_u32_e32 v12, vcc, s8, v12
	v_addc_co_u32_e32 v11, vcc, v11, v13, vcc
	v_cmp_gt_u32_e32 vcc, s15, v10
	v_cndmask_b32_e32 v13, v11, v5, vcc
	v_cndmask_b32_e32 v12, v12, v14, vcc
	global_load_dword v5, v[12:13], off
.LBB2050_10:
	s_or_b64 exec, exec, s[0:1]
	v_add_u32_e32 v10, v10, v16
	v_cmp_gt_u32_e32 vcc, s17, v10
	s_and_saveexec_b64 s[0:1], vcc
	s_cbranch_execz .LBB2050_12
; %bb.11:
	v_mov_b32_e32 v11, 0
	v_lshlrev_b64 v[12:13], 2, v[10:11]
	s_waitcnt vmcnt(3)
	v_mov_b32_e32 v6, s12
	v_add_co_u32_e32 v14, vcc, s11, v12
	v_addc_co_u32_e32 v6, vcc, v6, v13, vcc
	v_subrev_u32_e32 v12, s15, v10
	v_mov_b32_e32 v13, v11
	v_lshlrev_b64 v[12:13], 2, v[12:13]
	v_mov_b32_e32 v11, s9
	v_add_co_u32_e32 v12, vcc, s8, v12
	v_addc_co_u32_e32 v11, vcc, v11, v13, vcc
	v_cmp_gt_u32_e32 vcc, s15, v10
	v_cndmask_b32_e32 v13, v11, v6, vcc
	v_cndmask_b32_e32 v12, v12, v14, vcc
	global_load_dword v6, v[12:13], off
.LBB2050_12:
	;; [unrolled: 23-line block ×4, first 2 shown]
	s_or_b64 exec, exec, s[0:1]
	v_add_u32_e32 v10, v10, v16
	v_cmp_gt_u32_e32 vcc, s17, v10
	s_and_saveexec_b64 s[2:3], vcc
	s_cbranch_execz .LBB2050_18
; %bb.17:
	v_mov_b32_e32 v11, 0
	v_lshlrev_b64 v[12:13], 2, v[10:11]
	s_waitcnt vmcnt(0)
	v_mov_b32_e32 v9, s12
	v_add_co_u32_e32 v12, vcc, s11, v12
	v_addc_co_u32_e32 v9, vcc, v9, v13, vcc
	v_cmp_gt_u32_e32 vcc, s15, v10
	v_subrev_u32_e32 v10, s15, v10
	v_lshlrev_b64 v[10:11], 2, v[10:11]
	v_mov_b32_e32 v13, s9
	v_add_co_u32_e64 v10, s[0:1], s8, v10
	v_addc_co_u32_e64 v11, s[0:1], v13, v11, s[0:1]
	v_cndmask_b32_e32 v11, v11, v9, vcc
	v_cndmask_b32_e32 v10, v10, v12, vcc
	global_load_dword v9, v[10:11], off
.LBB2050_18:
	s_or_b64 exec, exec, s[2:3]
.LBB2050_19:
	v_lshlrev_b32_e32 v10, 3, v0
	v_min_u32_e32 v12, s17, v10
	v_sub_u32_e64 v11, v12, s7 clamp
	v_min_u32_e32 v13, s15, v12
	v_cmp_lt_u32_e32 vcc, v11, v13
	s_waitcnt vmcnt(0)
	ds_write2st64_b32 v1, v2, v3 offset1:2
	ds_write2st64_b32 v1, v4, v5 offset0:4 offset1:6
	ds_write2st64_b32 v1, v6, v7 offset0:8 offset1:10
	;; [unrolled: 1-line block ×3, first 2 shown]
	s_waitcnt lgkmcnt(0)
	s_barrier
	s_and_saveexec_b64 s[0:1], vcc
	s_cbranch_execz .LBB2050_23
; %bb.20:
	v_lshlrev_b32_e32 v14, 2, v12
	v_lshl_add_u32 v14, s15, 2, v14
	s_mov_b64 s[2:3], 0
.LBB2050_21:                            ; =>This Inner Loop Header: Depth=1
	v_add_u32_e32 v15, v13, v11
	v_lshrrev_b32_e32 v15, 1, v15
	v_not_b32_e32 v16, v15
	v_lshlrev_b32_e32 v17, 2, v15
	v_lshl_add_u32 v16, v16, 2, v14
	ds_read_b32 v17, v17
	ds_read_b32 v16, v16
	v_add_u32_e32 v18, 1, v15
	s_waitcnt lgkmcnt(0)
	v_cmp_gt_u32_e32 vcc, v16, v17
	v_cndmask_b32_e32 v13, v13, v15, vcc
	v_cndmask_b32_e32 v11, v18, v11, vcc
	v_cmp_ge_u32_e32 vcc, v11, v13
	s_or_b64 s[2:3], vcc, s[2:3]
	s_andn2_b64 exec, exec, s[2:3]
	s_cbranch_execnz .LBB2050_21
; %bb.22:
	s_or_b64 exec, exec, s[2:3]
.LBB2050_23:
	s_or_b64 exec, exec, s[0:1]
	v_sub_u32_e32 v12, v12, v11
	v_add_u32_e32 v12, s15, v12
	v_cmp_ge_u32_e32 vcc, s15, v11
	v_cmp_ge_u32_e64 s[0:1], s17, v12
	s_or_b64 s[0:1], vcc, s[0:1]
	s_and_saveexec_b64 s[22:23], s[0:1]
	s_cbranch_execz .LBB2050_29
; %bb.24:
	v_cmp_gt_u32_e32 vcc, s15, v11
                                        ; implicit-def: $vgpr2
	s_and_saveexec_b64 s[0:1], vcc
	s_cbranch_execz .LBB2050_26
; %bb.25:
	v_lshlrev_b32_e32 v2, 2, v11
	ds_read_b32 v2, v2
.LBB2050_26:
	s_or_b64 exec, exec, s[0:1]
	v_cmp_le_u32_e64 s[0:1], s17, v12
	v_cmp_gt_u32_e64 s[2:3], s17, v12
                                        ; implicit-def: $vgpr3
	s_and_saveexec_b64 s[4:5], s[2:3]
	s_cbranch_execz .LBB2050_28
; %bb.27:
	v_lshlrev_b32_e32 v3, 2, v12
	ds_read_b32 v3, v3
.LBB2050_28:
	s_or_b64 exec, exec, s[4:5]
	s_waitcnt lgkmcnt(0)
	v_cmp_le_u32_e64 s[2:3], v3, v2
	s_and_b64 s[2:3], vcc, s[2:3]
	s_or_b64 vcc, s[0:1], s[2:3]
	v_mov_b32_e32 v5, s17
	v_mov_b32_e32 v6, s15
	v_cndmask_b32_e32 v4, v12, v11, vcc
	v_cndmask_b32_e32 v7, v5, v6, vcc
	v_add_u32_e32 v4, 1, v4
	v_add_u32_e32 v7, -1, v7
	v_min_u32_e32 v7, v4, v7
	v_lshlrev_b32_e32 v7, 2, v7
	ds_read_b32 v7, v7
	v_cndmask_b32_e32 v9, v4, v12, vcc
	v_cndmask_b32_e32 v4, v11, v4, vcc
	v_cmp_gt_u32_e64 s[2:3], s15, v4
	v_cmp_le_u32_e64 s[0:1], s17, v9
	s_waitcnt lgkmcnt(0)
	v_cndmask_b32_e32 v8, v7, v3, vcc
	v_cndmask_b32_e32 v7, v2, v7, vcc
	v_cmp_le_u32_e64 s[4:5], v8, v7
	s_and_b64 s[2:3], s[2:3], s[4:5]
	s_or_b64 s[0:1], s[0:1], s[2:3]
	v_cndmask_b32_e64 v11, v9, v4, s[0:1]
	v_cndmask_b32_e64 v12, v5, v6, s[0:1]
	v_add_u32_e32 v11, 1, v11
	v_add_u32_e32 v12, -1, v12
	v_min_u32_e32 v12, v11, v12
	v_lshlrev_b32_e32 v12, 2, v12
	ds_read_b32 v12, v12
	v_cndmask_b32_e64 v4, v4, v11, s[0:1]
	v_cndmask_b32_e64 v9, v11, v9, s[0:1]
	v_cmp_gt_u32_e64 s[4:5], s15, v4
	v_cmp_le_u32_e64 s[2:3], s17, v9
	s_waitcnt lgkmcnt(0)
	v_cndmask_b32_e64 v13, v12, v8, s[0:1]
	v_cndmask_b32_e64 v12, v7, v12, s[0:1]
	v_cmp_le_u32_e64 s[6:7], v13, v12
	s_and_b64 s[4:5], s[4:5], s[6:7]
	s_or_b64 s[2:3], s[2:3], s[4:5]
	v_cndmask_b32_e64 v11, v9, v4, s[2:3]
	v_cndmask_b32_e64 v14, v5, v6, s[2:3]
	v_add_u32_e32 v11, 1, v11
	v_add_u32_e32 v14, -1, v14
	v_min_u32_e32 v14, v11, v14
	v_lshlrev_b32_e32 v14, 2, v14
	ds_read_b32 v14, v14
	v_cndmask_b32_e64 v4, v4, v11, s[2:3]
	v_cndmask_b32_e64 v9, v11, v9, s[2:3]
	v_cmp_gt_u32_e64 s[6:7], s15, v4
	v_cmp_le_u32_e64 s[4:5], s17, v9
	s_waitcnt lgkmcnt(0)
	v_cndmask_b32_e64 v15, v14, v13, s[2:3]
	v_cndmask_b32_e64 v14, v12, v14, s[2:3]
	;; [unrolled: 17-line block ×4, first 2 shown]
	v_cmp_le_u32_e64 s[12:13], v19, v18
	s_and_b64 s[10:11], s[10:11], s[12:13]
	s_or_b64 s[8:9], s[8:9], s[10:11]
	v_cndmask_b32_e64 v4, v9, v11, s[8:9]
	v_cndmask_b32_e64 v20, v5, v6, s[8:9]
	v_add_u32_e32 v21, 1, v4
	v_add_u32_e32 v4, -1, v20
	v_min_u32_e32 v4, v21, v4
	v_lshlrev_b32_e32 v4, 2, v4
	ds_read_b32 v20, v4
	v_cndmask_b32_e64 v4, v13, v12, s[2:3]
	v_cndmask_b32_e64 v11, v11, v21, s[8:9]
	v_cndmask_b32_e32 v2, v3, v2, vcc
	v_cndmask_b32_e64 v3, v8, v7, s[0:1]
	s_waitcnt lgkmcnt(0)
	v_cndmask_b32_e64 v12, v20, v19, s[8:9]
	v_cndmask_b32_e64 v13, v18, v20, s[8:9]
	v_cndmask_b32_e64 v9, v21, v9, s[8:9]
	v_cmp_gt_u32_e64 s[0:1], s15, v11
	v_cmp_le_u32_e64 s[2:3], v12, v13
	v_cmp_le_u32_e32 vcc, s17, v9
	s_and_b64 s[0:1], s[0:1], s[2:3]
	s_or_b64 vcc, vcc, s[0:1]
	v_cndmask_b32_e32 v7, v9, v11, vcc
	v_cndmask_b32_e32 v5, v5, v6, vcc
	v_add_u32_e32 v20, 1, v7
	v_add_u32_e32 v5, -1, v5
	v_min_u32_e32 v5, v20, v5
	v_lshlrev_b32_e32 v5, 2, v5
	ds_read_b32 v21, v5
	v_cndmask_b32_e32 v8, v12, v13, vcc
	v_cndmask_b32_e32 v11, v11, v20, vcc
	;; [unrolled: 1-line block ×3, first 2 shown]
	v_cmp_gt_u32_e64 s[0:1], s15, v11
	s_waitcnt lgkmcnt(0)
	v_cndmask_b32_e32 v12, v21, v12, vcc
	v_cndmask_b32_e32 v13, v13, v21, vcc
	v_cmp_le_u32_e64 s[2:3], v12, v13
	v_cmp_le_u32_e32 vcc, s17, v9
	s_and_b64 s[0:1], s[0:1], s[2:3]
	s_or_b64 vcc, vcc, s[0:1]
	v_cndmask_b32_e64 v5, v15, v14, s[4:5]
	v_cndmask_b32_e64 v6, v17, v16, s[6:7]
	;; [unrolled: 1-line block ×3, first 2 shown]
	v_cndmask_b32_e32 v9, v12, v13, vcc
.LBB2050_29:
	s_or_b64 exec, exec, s[22:23]
	v_and_b32_e32 v11, 0x7c, v0
	v_lshl_add_u32 v10, v10, 2, v11
	s_barrier
	s_barrier
	ds_write2_b32 v10, v2, v3 offset1:1
	ds_write2_b32 v10, v4, v5 offset0:2 offset1:3
	ds_write2_b32 v10, v6, v7 offset0:4 offset1:5
	;; [unrolled: 1-line block ×3, first 2 shown]
	v_lshrrev_b32_e32 v2, 3, v0
	v_and_b32_e32 v2, 12, v2
	v_or_b32_e32 v10, 0x80, v0
	v_add_u32_e32 v11, v1, v2
	v_lshrrev_b32_e32 v2, 3, v10
	v_and_b32_e32 v2, 28, v2
	v_or_b32_e32 v9, 0x100, v0
	v_add_u32_e32 v12, v1, v2
	;; [unrolled: 4-line block ×5, first 2 shown]
	v_lshrrev_b32_e32 v2, 3, v6
	v_and_b32_e32 v2, 0x5c, v2
	v_or_b32_e32 v5, 0x300, v0
	s_mov_b32 s17, 0
	v_add_u32_e32 v16, v1, v2
	v_lshrrev_b32_e32 v2, 3, v5
	s_lshl_b64 s[0:1], s[16:17], 2
	v_and_b32_e32 v2, 0x6c, v2
	v_or_b32_e32 v4, 0x380, v0
	s_add_u32 s0, s20, s0
	v_add_u32_e32 v17, v1, v2
	v_lshrrev_b32_e32 v2, 3, v4
	s_addc_u32 s1, s21, s1
	v_and_b32_e32 v2, 0x7c, v2
	v_add_u32_e32 v18, v1, v2
	v_mov_b32_e32 v3, s1
	v_add_co_u32_e32 v2, vcc, s0, v1
	v_addc_co_u32_e32 v3, vcc, 0, v3, vcc
	s_and_b64 vcc, exec, s[18:19]
	s_waitcnt lgkmcnt(0)
	s_cbranch_vccz .LBB2050_31
; %bb.30:
	s_barrier
	ds_read_b32 v19, v11
	ds_read_b32 v20, v12 offset:512
	ds_read_b32 v21, v13 offset:1024
	;; [unrolled: 1-line block ×7, first 2 shown]
	s_waitcnt lgkmcnt(7)
	global_store_dword v[2:3], v19, off
	s_waitcnt lgkmcnt(6)
	global_store_dword v[2:3], v20, off offset:512
	s_waitcnt lgkmcnt(5)
	global_store_dword v[2:3], v21, off offset:1024
	;; [unrolled: 2-line block ×6, first 2 shown]
	s_mov_b64 s[0:1], -1
	s_cbranch_execz .LBB2050_32
	s_branch .LBB2050_41
.LBB2050_31:
	s_mov_b64 s[0:1], 0
                                        ; implicit-def: $vgpr1
.LBB2050_32:
	s_barrier
	s_waitcnt lgkmcnt(0)
	ds_read_b32 v21, v12 offset:512
	ds_read_b32 v20, v13 offset:1024
	;; [unrolled: 1-line block ×7, first 2 shown]
	s_sub_i32 s2, s14, s16
	v_cmp_gt_u32_e32 vcc, s2, v0
	s_and_saveexec_b64 s[0:1], vcc
	s_cbranch_execnz .LBB2050_46
; %bb.33:
	s_or_b64 exec, exec, s[0:1]
	v_cmp_gt_u32_e32 vcc, s2, v10
	s_and_saveexec_b64 s[0:1], vcc
	s_cbranch_execnz .LBB2050_47
.LBB2050_34:
	s_or_b64 exec, exec, s[0:1]
	v_cmp_gt_u32_e32 vcc, s2, v9
	s_and_saveexec_b64 s[0:1], vcc
	s_cbranch_execnz .LBB2050_48
.LBB2050_35:
	s_or_b64 exec, exec, s[0:1]
	v_cmp_gt_u32_e32 vcc, s2, v8
	s_and_saveexec_b64 s[0:1], vcc
	s_cbranch_execnz .LBB2050_49
.LBB2050_36:
	s_or_b64 exec, exec, s[0:1]
	v_cmp_gt_u32_e32 vcc, s2, v7
	s_and_saveexec_b64 s[0:1], vcc
	s_cbranch_execnz .LBB2050_50
.LBB2050_37:
	s_or_b64 exec, exec, s[0:1]
	v_cmp_gt_u32_e32 vcc, s2, v6
	s_and_saveexec_b64 s[0:1], vcc
	s_cbranch_execnz .LBB2050_51
.LBB2050_38:
	s_or_b64 exec, exec, s[0:1]
	v_cmp_gt_u32_e32 vcc, s2, v5
	s_and_saveexec_b64 s[0:1], vcc
	s_cbranch_execz .LBB2050_40
.LBB2050_39:
	s_waitcnt lgkmcnt(1)
	global_store_dword v[2:3], v12, off offset:3072
.LBB2050_40:
	s_or_b64 exec, exec, s[0:1]
	v_cmp_gt_u32_e64 s[0:1], s2, v4
.LBB2050_41:
	s_and_saveexec_b64 s[2:3], s[0:1]
	s_cbranch_execz .LBB2050_43
; %bb.42:
	s_waitcnt lgkmcnt(0)
	global_store_dword v[2:3], v1, off offset:3584
.LBB2050_43:
	s_endpgm
.LBB2050_44:
	s_waitcnt vmcnt(7)
	v_mov_b32_e32 v2, s12
	s_waitcnt vmcnt(5)
	v_add_co_u32_e32 v4, vcc, s11, v1
	v_mov_b32_e32 v3, 0
	s_waitcnt vmcnt(4)
	v_addc_co_u32_e32 v5, vcc, 0, v2, vcc
	v_subrev_u32_e32 v2, s15, v0
	v_lshlrev_b64 v[2:3], 2, v[2:3]
	s_waitcnt vmcnt(3)
	v_mov_b32_e32 v6, s9
	v_add_co_u32_e32 v2, vcc, s8, v2
	v_addc_co_u32_e32 v3, vcc, v6, v3, vcc
	v_cmp_gt_u32_e32 vcc, s15, v0
	v_cndmask_b32_e32 v3, v3, v5, vcc
	v_cndmask_b32_e32 v2, v2, v4, vcc
	global_load_dword v2, v[2:3], off
	s_or_b64 exec, exec, s[0:1]
	v_cmp_gt_u32_e32 vcc, s17, v12
	s_and_saveexec_b64 s[2:3], vcc
	s_cbranch_execz .LBB2050_6
.LBB2050_45:
	v_mov_b32_e32 v13, 0
	v_lshlrev_b64 v[14:15], 2, v[12:13]
	s_waitcnt vmcnt(6)
	v_mov_b32_e32 v3, s12
	v_add_co_u32_e32 v11, vcc, s11, v14
	v_addc_co_u32_e32 v3, vcc, v3, v15, vcc
	v_cmp_gt_u32_e32 vcc, s15, v12
	v_subrev_u32_e32 v12, s15, v12
	v_lshlrev_b64 v[12:13], 2, v[12:13]
	v_mov_b32_e32 v14, s9
	v_add_co_u32_e64 v12, s[0:1], s8, v12
	v_addc_co_u32_e64 v13, s[0:1], v14, v13, s[0:1]
	v_cndmask_b32_e32 v13, v13, v3, vcc
	v_cndmask_b32_e32 v12, v12, v11, vcc
	global_load_dword v3, v[12:13], off
	s_or_b64 exec, exec, s[2:3]
	v_cmp_gt_u32_e32 vcc, s17, v10
	s_and_saveexec_b64 s[0:1], vcc
	s_cbranch_execnz .LBB2050_7
	s_branch .LBB2050_8
.LBB2050_46:
	ds_read_b32 v0, v11
	s_waitcnt lgkmcnt(0)
	global_store_dword v[2:3], v0, off
	s_or_b64 exec, exec, s[0:1]
	v_cmp_gt_u32_e32 vcc, s2, v10
	s_and_saveexec_b64 s[0:1], vcc
	s_cbranch_execz .LBB2050_34
.LBB2050_47:
	s_waitcnt lgkmcnt(6)
	global_store_dword v[2:3], v21, off offset:512
	s_or_b64 exec, exec, s[0:1]
	v_cmp_gt_u32_e32 vcc, s2, v9
	s_and_saveexec_b64 s[0:1], vcc
	s_cbranch_execz .LBB2050_35
.LBB2050_48:
	s_waitcnt lgkmcnt(5)
	global_store_dword v[2:3], v20, off offset:1024
	s_or_b64 exec, exec, s[0:1]
	v_cmp_gt_u32_e32 vcc, s2, v8
	s_and_saveexec_b64 s[0:1], vcc
	s_cbranch_execz .LBB2050_36
.LBB2050_49:
	s_waitcnt lgkmcnt(4)
	global_store_dword v[2:3], v19, off offset:1536
	s_or_b64 exec, exec, s[0:1]
	v_cmp_gt_u32_e32 vcc, s2, v7
	s_and_saveexec_b64 s[0:1], vcc
	s_cbranch_execz .LBB2050_37
.LBB2050_50:
	s_waitcnt lgkmcnt(3)
	global_store_dword v[2:3], v14, off offset:2048
	s_or_b64 exec, exec, s[0:1]
	v_cmp_gt_u32_e32 vcc, s2, v6
	s_and_saveexec_b64 s[0:1], vcc
	s_cbranch_execz .LBB2050_38
.LBB2050_51:
	s_waitcnt lgkmcnt(2)
	global_store_dword v[2:3], v13, off offset:2560
	s_or_b64 exec, exec, s[0:1]
	v_cmp_gt_u32_e32 vcc, s2, v5
	s_and_saveexec_b64 s[0:1], vcc
	s_cbranch_execnz .LBB2050_39
	s_branch .LBB2050_40
	.section	.rodata,"a",@progbits
	.p2align	6, 0x0
	.amdhsa_kernel _ZN7rocprim17ROCPRIM_400000_NS6detail17trampoline_kernelINS0_14default_configENS1_38merge_sort_block_merge_config_selectorIjNS0_10empty_typeEEEZZNS1_27merge_sort_block_merge_implIS3_PjPS5_jNS1_19radix_merge_compareILb1ELb0EjNS0_19identity_decomposerEEEEE10hipError_tT0_T1_T2_jT3_P12ihipStream_tbPNSt15iterator_traitsISE_E10value_typeEPNSK_ISF_E10value_typeEPSG_NS1_7vsmem_tEENKUlT_SE_SF_SG_E_clIS8_S8_S9_S9_EESD_ST_SE_SF_SG_EUlST_E0_NS1_11comp_targetILNS1_3genE4ELNS1_11target_archE910ELNS1_3gpuE8ELNS1_3repE0EEENS1_38merge_mergepath_config_static_selectorELNS0_4arch9wavefront6targetE1EEEvSF_
		.amdhsa_group_segment_fixed_size 4224
		.amdhsa_private_segment_fixed_size 0
		.amdhsa_kernarg_size 320
		.amdhsa_user_sgpr_count 6
		.amdhsa_user_sgpr_private_segment_buffer 1
		.amdhsa_user_sgpr_dispatch_ptr 0
		.amdhsa_user_sgpr_queue_ptr 0
		.amdhsa_user_sgpr_kernarg_segment_ptr 1
		.amdhsa_user_sgpr_dispatch_id 0
		.amdhsa_user_sgpr_flat_scratch_init 0
		.amdhsa_user_sgpr_kernarg_preload_length 0
		.amdhsa_user_sgpr_kernarg_preload_offset 0
		.amdhsa_user_sgpr_private_segment_size 0
		.amdhsa_uses_dynamic_stack 0
		.amdhsa_system_sgpr_private_segment_wavefront_offset 0
		.amdhsa_system_sgpr_workgroup_id_x 1
		.amdhsa_system_sgpr_workgroup_id_y 1
		.amdhsa_system_sgpr_workgroup_id_z 1
		.amdhsa_system_sgpr_workgroup_info 0
		.amdhsa_system_vgpr_workitem_id 0
		.amdhsa_next_free_vgpr 26
		.amdhsa_next_free_sgpr 24
		.amdhsa_accum_offset 28
		.amdhsa_reserve_vcc 1
		.amdhsa_reserve_flat_scratch 0
		.amdhsa_float_round_mode_32 0
		.amdhsa_float_round_mode_16_64 0
		.amdhsa_float_denorm_mode_32 3
		.amdhsa_float_denorm_mode_16_64 3
		.amdhsa_dx10_clamp 1
		.amdhsa_ieee_mode 1
		.amdhsa_fp16_overflow 0
		.amdhsa_tg_split 0
		.amdhsa_exception_fp_ieee_invalid_op 0
		.amdhsa_exception_fp_denorm_src 0
		.amdhsa_exception_fp_ieee_div_zero 0
		.amdhsa_exception_fp_ieee_overflow 0
		.amdhsa_exception_fp_ieee_underflow 0
		.amdhsa_exception_fp_ieee_inexact 0
		.amdhsa_exception_int_div_zero 0
	.end_amdhsa_kernel
	.section	.text._ZN7rocprim17ROCPRIM_400000_NS6detail17trampoline_kernelINS0_14default_configENS1_38merge_sort_block_merge_config_selectorIjNS0_10empty_typeEEEZZNS1_27merge_sort_block_merge_implIS3_PjPS5_jNS1_19radix_merge_compareILb1ELb0EjNS0_19identity_decomposerEEEEE10hipError_tT0_T1_T2_jT3_P12ihipStream_tbPNSt15iterator_traitsISE_E10value_typeEPNSK_ISF_E10value_typeEPSG_NS1_7vsmem_tEENKUlT_SE_SF_SG_E_clIS8_S8_S9_S9_EESD_ST_SE_SF_SG_EUlST_E0_NS1_11comp_targetILNS1_3genE4ELNS1_11target_archE910ELNS1_3gpuE8ELNS1_3repE0EEENS1_38merge_mergepath_config_static_selectorELNS0_4arch9wavefront6targetE1EEEvSF_,"axG",@progbits,_ZN7rocprim17ROCPRIM_400000_NS6detail17trampoline_kernelINS0_14default_configENS1_38merge_sort_block_merge_config_selectorIjNS0_10empty_typeEEEZZNS1_27merge_sort_block_merge_implIS3_PjPS5_jNS1_19radix_merge_compareILb1ELb0EjNS0_19identity_decomposerEEEEE10hipError_tT0_T1_T2_jT3_P12ihipStream_tbPNSt15iterator_traitsISE_E10value_typeEPNSK_ISF_E10value_typeEPSG_NS1_7vsmem_tEENKUlT_SE_SF_SG_E_clIS8_S8_S9_S9_EESD_ST_SE_SF_SG_EUlST_E0_NS1_11comp_targetILNS1_3genE4ELNS1_11target_archE910ELNS1_3gpuE8ELNS1_3repE0EEENS1_38merge_mergepath_config_static_selectorELNS0_4arch9wavefront6targetE1EEEvSF_,comdat
.Lfunc_end2050:
	.size	_ZN7rocprim17ROCPRIM_400000_NS6detail17trampoline_kernelINS0_14default_configENS1_38merge_sort_block_merge_config_selectorIjNS0_10empty_typeEEEZZNS1_27merge_sort_block_merge_implIS3_PjPS5_jNS1_19radix_merge_compareILb1ELb0EjNS0_19identity_decomposerEEEEE10hipError_tT0_T1_T2_jT3_P12ihipStream_tbPNSt15iterator_traitsISE_E10value_typeEPNSK_ISF_E10value_typeEPSG_NS1_7vsmem_tEENKUlT_SE_SF_SG_E_clIS8_S8_S9_S9_EESD_ST_SE_SF_SG_EUlST_E0_NS1_11comp_targetILNS1_3genE4ELNS1_11target_archE910ELNS1_3gpuE8ELNS1_3repE0EEENS1_38merge_mergepath_config_static_selectorELNS0_4arch9wavefront6targetE1EEEvSF_, .Lfunc_end2050-_ZN7rocprim17ROCPRIM_400000_NS6detail17trampoline_kernelINS0_14default_configENS1_38merge_sort_block_merge_config_selectorIjNS0_10empty_typeEEEZZNS1_27merge_sort_block_merge_implIS3_PjPS5_jNS1_19radix_merge_compareILb1ELb0EjNS0_19identity_decomposerEEEEE10hipError_tT0_T1_T2_jT3_P12ihipStream_tbPNSt15iterator_traitsISE_E10value_typeEPNSK_ISF_E10value_typeEPSG_NS1_7vsmem_tEENKUlT_SE_SF_SG_E_clIS8_S8_S9_S9_EESD_ST_SE_SF_SG_EUlST_E0_NS1_11comp_targetILNS1_3genE4ELNS1_11target_archE910ELNS1_3gpuE8ELNS1_3repE0EEENS1_38merge_mergepath_config_static_selectorELNS0_4arch9wavefront6targetE1EEEvSF_
                                        ; -- End function
	.section	.AMDGPU.csdata,"",@progbits
; Kernel info:
; codeLenInByte = 3628
; NumSgprs: 28
; NumVgprs: 26
; NumAgprs: 0
; TotalNumVgprs: 26
; ScratchSize: 0
; MemoryBound: 0
; FloatMode: 240
; IeeeMode: 1
; LDSByteSize: 4224 bytes/workgroup (compile time only)
; SGPRBlocks: 3
; VGPRBlocks: 3
; NumSGPRsForWavesPerEU: 28
; NumVGPRsForWavesPerEU: 26
; AccumOffset: 28
; Occupancy: 8
; WaveLimiterHint : 1
; COMPUTE_PGM_RSRC2:SCRATCH_EN: 0
; COMPUTE_PGM_RSRC2:USER_SGPR: 6
; COMPUTE_PGM_RSRC2:TRAP_HANDLER: 0
; COMPUTE_PGM_RSRC2:TGID_X_EN: 1
; COMPUTE_PGM_RSRC2:TGID_Y_EN: 1
; COMPUTE_PGM_RSRC2:TGID_Z_EN: 1
; COMPUTE_PGM_RSRC2:TIDIG_COMP_CNT: 0
; COMPUTE_PGM_RSRC3_GFX90A:ACCUM_OFFSET: 6
; COMPUTE_PGM_RSRC3_GFX90A:TG_SPLIT: 0
	.section	.text._ZN7rocprim17ROCPRIM_400000_NS6detail17trampoline_kernelINS0_14default_configENS1_38merge_sort_block_merge_config_selectorIjNS0_10empty_typeEEEZZNS1_27merge_sort_block_merge_implIS3_PjPS5_jNS1_19radix_merge_compareILb1ELb0EjNS0_19identity_decomposerEEEEE10hipError_tT0_T1_T2_jT3_P12ihipStream_tbPNSt15iterator_traitsISE_E10value_typeEPNSK_ISF_E10value_typeEPSG_NS1_7vsmem_tEENKUlT_SE_SF_SG_E_clIS8_S8_S9_S9_EESD_ST_SE_SF_SG_EUlST_E0_NS1_11comp_targetILNS1_3genE3ELNS1_11target_archE908ELNS1_3gpuE7ELNS1_3repE0EEENS1_38merge_mergepath_config_static_selectorELNS0_4arch9wavefront6targetE1EEEvSF_,"axG",@progbits,_ZN7rocprim17ROCPRIM_400000_NS6detail17trampoline_kernelINS0_14default_configENS1_38merge_sort_block_merge_config_selectorIjNS0_10empty_typeEEEZZNS1_27merge_sort_block_merge_implIS3_PjPS5_jNS1_19radix_merge_compareILb1ELb0EjNS0_19identity_decomposerEEEEE10hipError_tT0_T1_T2_jT3_P12ihipStream_tbPNSt15iterator_traitsISE_E10value_typeEPNSK_ISF_E10value_typeEPSG_NS1_7vsmem_tEENKUlT_SE_SF_SG_E_clIS8_S8_S9_S9_EESD_ST_SE_SF_SG_EUlST_E0_NS1_11comp_targetILNS1_3genE3ELNS1_11target_archE908ELNS1_3gpuE7ELNS1_3repE0EEENS1_38merge_mergepath_config_static_selectorELNS0_4arch9wavefront6targetE1EEEvSF_,comdat
	.protected	_ZN7rocprim17ROCPRIM_400000_NS6detail17trampoline_kernelINS0_14default_configENS1_38merge_sort_block_merge_config_selectorIjNS0_10empty_typeEEEZZNS1_27merge_sort_block_merge_implIS3_PjPS5_jNS1_19radix_merge_compareILb1ELb0EjNS0_19identity_decomposerEEEEE10hipError_tT0_T1_T2_jT3_P12ihipStream_tbPNSt15iterator_traitsISE_E10value_typeEPNSK_ISF_E10value_typeEPSG_NS1_7vsmem_tEENKUlT_SE_SF_SG_E_clIS8_S8_S9_S9_EESD_ST_SE_SF_SG_EUlST_E0_NS1_11comp_targetILNS1_3genE3ELNS1_11target_archE908ELNS1_3gpuE7ELNS1_3repE0EEENS1_38merge_mergepath_config_static_selectorELNS0_4arch9wavefront6targetE1EEEvSF_ ; -- Begin function _ZN7rocprim17ROCPRIM_400000_NS6detail17trampoline_kernelINS0_14default_configENS1_38merge_sort_block_merge_config_selectorIjNS0_10empty_typeEEEZZNS1_27merge_sort_block_merge_implIS3_PjPS5_jNS1_19radix_merge_compareILb1ELb0EjNS0_19identity_decomposerEEEEE10hipError_tT0_T1_T2_jT3_P12ihipStream_tbPNSt15iterator_traitsISE_E10value_typeEPNSK_ISF_E10value_typeEPSG_NS1_7vsmem_tEENKUlT_SE_SF_SG_E_clIS8_S8_S9_S9_EESD_ST_SE_SF_SG_EUlST_E0_NS1_11comp_targetILNS1_3genE3ELNS1_11target_archE908ELNS1_3gpuE7ELNS1_3repE0EEENS1_38merge_mergepath_config_static_selectorELNS0_4arch9wavefront6targetE1EEEvSF_
	.globl	_ZN7rocprim17ROCPRIM_400000_NS6detail17trampoline_kernelINS0_14default_configENS1_38merge_sort_block_merge_config_selectorIjNS0_10empty_typeEEEZZNS1_27merge_sort_block_merge_implIS3_PjPS5_jNS1_19radix_merge_compareILb1ELb0EjNS0_19identity_decomposerEEEEE10hipError_tT0_T1_T2_jT3_P12ihipStream_tbPNSt15iterator_traitsISE_E10value_typeEPNSK_ISF_E10value_typeEPSG_NS1_7vsmem_tEENKUlT_SE_SF_SG_E_clIS8_S8_S9_S9_EESD_ST_SE_SF_SG_EUlST_E0_NS1_11comp_targetILNS1_3genE3ELNS1_11target_archE908ELNS1_3gpuE7ELNS1_3repE0EEENS1_38merge_mergepath_config_static_selectorELNS0_4arch9wavefront6targetE1EEEvSF_
	.p2align	8
	.type	_ZN7rocprim17ROCPRIM_400000_NS6detail17trampoline_kernelINS0_14default_configENS1_38merge_sort_block_merge_config_selectorIjNS0_10empty_typeEEEZZNS1_27merge_sort_block_merge_implIS3_PjPS5_jNS1_19radix_merge_compareILb1ELb0EjNS0_19identity_decomposerEEEEE10hipError_tT0_T1_T2_jT3_P12ihipStream_tbPNSt15iterator_traitsISE_E10value_typeEPNSK_ISF_E10value_typeEPSG_NS1_7vsmem_tEENKUlT_SE_SF_SG_E_clIS8_S8_S9_S9_EESD_ST_SE_SF_SG_EUlST_E0_NS1_11comp_targetILNS1_3genE3ELNS1_11target_archE908ELNS1_3gpuE7ELNS1_3repE0EEENS1_38merge_mergepath_config_static_selectorELNS0_4arch9wavefront6targetE1EEEvSF_,@function
_ZN7rocprim17ROCPRIM_400000_NS6detail17trampoline_kernelINS0_14default_configENS1_38merge_sort_block_merge_config_selectorIjNS0_10empty_typeEEEZZNS1_27merge_sort_block_merge_implIS3_PjPS5_jNS1_19radix_merge_compareILb1ELb0EjNS0_19identity_decomposerEEEEE10hipError_tT0_T1_T2_jT3_P12ihipStream_tbPNSt15iterator_traitsISE_E10value_typeEPNSK_ISF_E10value_typeEPSG_NS1_7vsmem_tEENKUlT_SE_SF_SG_E_clIS8_S8_S9_S9_EESD_ST_SE_SF_SG_EUlST_E0_NS1_11comp_targetILNS1_3genE3ELNS1_11target_archE908ELNS1_3gpuE7ELNS1_3repE0EEENS1_38merge_mergepath_config_static_selectorELNS0_4arch9wavefront6targetE1EEEvSF_: ; @_ZN7rocprim17ROCPRIM_400000_NS6detail17trampoline_kernelINS0_14default_configENS1_38merge_sort_block_merge_config_selectorIjNS0_10empty_typeEEEZZNS1_27merge_sort_block_merge_implIS3_PjPS5_jNS1_19radix_merge_compareILb1ELb0EjNS0_19identity_decomposerEEEEE10hipError_tT0_T1_T2_jT3_P12ihipStream_tbPNSt15iterator_traitsISE_E10value_typeEPNSK_ISF_E10value_typeEPSG_NS1_7vsmem_tEENKUlT_SE_SF_SG_E_clIS8_S8_S9_S9_EESD_ST_SE_SF_SG_EUlST_E0_NS1_11comp_targetILNS1_3genE3ELNS1_11target_archE908ELNS1_3gpuE7ELNS1_3repE0EEENS1_38merge_mergepath_config_static_selectorELNS0_4arch9wavefront6targetE1EEEvSF_
; %bb.0:
	.section	.rodata,"a",@progbits
	.p2align	6, 0x0
	.amdhsa_kernel _ZN7rocprim17ROCPRIM_400000_NS6detail17trampoline_kernelINS0_14default_configENS1_38merge_sort_block_merge_config_selectorIjNS0_10empty_typeEEEZZNS1_27merge_sort_block_merge_implIS3_PjPS5_jNS1_19radix_merge_compareILb1ELb0EjNS0_19identity_decomposerEEEEE10hipError_tT0_T1_T2_jT3_P12ihipStream_tbPNSt15iterator_traitsISE_E10value_typeEPNSK_ISF_E10value_typeEPSG_NS1_7vsmem_tEENKUlT_SE_SF_SG_E_clIS8_S8_S9_S9_EESD_ST_SE_SF_SG_EUlST_E0_NS1_11comp_targetILNS1_3genE3ELNS1_11target_archE908ELNS1_3gpuE7ELNS1_3repE0EEENS1_38merge_mergepath_config_static_selectorELNS0_4arch9wavefront6targetE1EEEvSF_
		.amdhsa_group_segment_fixed_size 0
		.amdhsa_private_segment_fixed_size 0
		.amdhsa_kernarg_size 64
		.amdhsa_user_sgpr_count 6
		.amdhsa_user_sgpr_private_segment_buffer 1
		.amdhsa_user_sgpr_dispatch_ptr 0
		.amdhsa_user_sgpr_queue_ptr 0
		.amdhsa_user_sgpr_kernarg_segment_ptr 1
		.amdhsa_user_sgpr_dispatch_id 0
		.amdhsa_user_sgpr_flat_scratch_init 0
		.amdhsa_user_sgpr_kernarg_preload_length 0
		.amdhsa_user_sgpr_kernarg_preload_offset 0
		.amdhsa_user_sgpr_private_segment_size 0
		.amdhsa_uses_dynamic_stack 0
		.amdhsa_system_sgpr_private_segment_wavefront_offset 0
		.amdhsa_system_sgpr_workgroup_id_x 1
		.amdhsa_system_sgpr_workgroup_id_y 0
		.amdhsa_system_sgpr_workgroup_id_z 0
		.amdhsa_system_sgpr_workgroup_info 0
		.amdhsa_system_vgpr_workitem_id 0
		.amdhsa_next_free_vgpr 1
		.amdhsa_next_free_sgpr 0
		.amdhsa_accum_offset 4
		.amdhsa_reserve_vcc 0
		.amdhsa_reserve_flat_scratch 0
		.amdhsa_float_round_mode_32 0
		.amdhsa_float_round_mode_16_64 0
		.amdhsa_float_denorm_mode_32 3
		.amdhsa_float_denorm_mode_16_64 3
		.amdhsa_dx10_clamp 1
		.amdhsa_ieee_mode 1
		.amdhsa_fp16_overflow 0
		.amdhsa_tg_split 0
		.amdhsa_exception_fp_ieee_invalid_op 0
		.amdhsa_exception_fp_denorm_src 0
		.amdhsa_exception_fp_ieee_div_zero 0
		.amdhsa_exception_fp_ieee_overflow 0
		.amdhsa_exception_fp_ieee_underflow 0
		.amdhsa_exception_fp_ieee_inexact 0
		.amdhsa_exception_int_div_zero 0
	.end_amdhsa_kernel
	.section	.text._ZN7rocprim17ROCPRIM_400000_NS6detail17trampoline_kernelINS0_14default_configENS1_38merge_sort_block_merge_config_selectorIjNS0_10empty_typeEEEZZNS1_27merge_sort_block_merge_implIS3_PjPS5_jNS1_19radix_merge_compareILb1ELb0EjNS0_19identity_decomposerEEEEE10hipError_tT0_T1_T2_jT3_P12ihipStream_tbPNSt15iterator_traitsISE_E10value_typeEPNSK_ISF_E10value_typeEPSG_NS1_7vsmem_tEENKUlT_SE_SF_SG_E_clIS8_S8_S9_S9_EESD_ST_SE_SF_SG_EUlST_E0_NS1_11comp_targetILNS1_3genE3ELNS1_11target_archE908ELNS1_3gpuE7ELNS1_3repE0EEENS1_38merge_mergepath_config_static_selectorELNS0_4arch9wavefront6targetE1EEEvSF_,"axG",@progbits,_ZN7rocprim17ROCPRIM_400000_NS6detail17trampoline_kernelINS0_14default_configENS1_38merge_sort_block_merge_config_selectorIjNS0_10empty_typeEEEZZNS1_27merge_sort_block_merge_implIS3_PjPS5_jNS1_19radix_merge_compareILb1ELb0EjNS0_19identity_decomposerEEEEE10hipError_tT0_T1_T2_jT3_P12ihipStream_tbPNSt15iterator_traitsISE_E10value_typeEPNSK_ISF_E10value_typeEPSG_NS1_7vsmem_tEENKUlT_SE_SF_SG_E_clIS8_S8_S9_S9_EESD_ST_SE_SF_SG_EUlST_E0_NS1_11comp_targetILNS1_3genE3ELNS1_11target_archE908ELNS1_3gpuE7ELNS1_3repE0EEENS1_38merge_mergepath_config_static_selectorELNS0_4arch9wavefront6targetE1EEEvSF_,comdat
.Lfunc_end2051:
	.size	_ZN7rocprim17ROCPRIM_400000_NS6detail17trampoline_kernelINS0_14default_configENS1_38merge_sort_block_merge_config_selectorIjNS0_10empty_typeEEEZZNS1_27merge_sort_block_merge_implIS3_PjPS5_jNS1_19radix_merge_compareILb1ELb0EjNS0_19identity_decomposerEEEEE10hipError_tT0_T1_T2_jT3_P12ihipStream_tbPNSt15iterator_traitsISE_E10value_typeEPNSK_ISF_E10value_typeEPSG_NS1_7vsmem_tEENKUlT_SE_SF_SG_E_clIS8_S8_S9_S9_EESD_ST_SE_SF_SG_EUlST_E0_NS1_11comp_targetILNS1_3genE3ELNS1_11target_archE908ELNS1_3gpuE7ELNS1_3repE0EEENS1_38merge_mergepath_config_static_selectorELNS0_4arch9wavefront6targetE1EEEvSF_, .Lfunc_end2051-_ZN7rocprim17ROCPRIM_400000_NS6detail17trampoline_kernelINS0_14default_configENS1_38merge_sort_block_merge_config_selectorIjNS0_10empty_typeEEEZZNS1_27merge_sort_block_merge_implIS3_PjPS5_jNS1_19radix_merge_compareILb1ELb0EjNS0_19identity_decomposerEEEEE10hipError_tT0_T1_T2_jT3_P12ihipStream_tbPNSt15iterator_traitsISE_E10value_typeEPNSK_ISF_E10value_typeEPSG_NS1_7vsmem_tEENKUlT_SE_SF_SG_E_clIS8_S8_S9_S9_EESD_ST_SE_SF_SG_EUlST_E0_NS1_11comp_targetILNS1_3genE3ELNS1_11target_archE908ELNS1_3gpuE7ELNS1_3repE0EEENS1_38merge_mergepath_config_static_selectorELNS0_4arch9wavefront6targetE1EEEvSF_
                                        ; -- End function
	.section	.AMDGPU.csdata,"",@progbits
; Kernel info:
; codeLenInByte = 0
; NumSgprs: 4
; NumVgprs: 0
; NumAgprs: 0
; TotalNumVgprs: 0
; ScratchSize: 0
; MemoryBound: 0
; FloatMode: 240
; IeeeMode: 1
; LDSByteSize: 0 bytes/workgroup (compile time only)
; SGPRBlocks: 0
; VGPRBlocks: 0
; NumSGPRsForWavesPerEU: 4
; NumVGPRsForWavesPerEU: 1
; AccumOffset: 4
; Occupancy: 8
; WaveLimiterHint : 0
; COMPUTE_PGM_RSRC2:SCRATCH_EN: 0
; COMPUTE_PGM_RSRC2:USER_SGPR: 6
; COMPUTE_PGM_RSRC2:TRAP_HANDLER: 0
; COMPUTE_PGM_RSRC2:TGID_X_EN: 1
; COMPUTE_PGM_RSRC2:TGID_Y_EN: 0
; COMPUTE_PGM_RSRC2:TGID_Z_EN: 0
; COMPUTE_PGM_RSRC2:TIDIG_COMP_CNT: 0
; COMPUTE_PGM_RSRC3_GFX90A:ACCUM_OFFSET: 0
; COMPUTE_PGM_RSRC3_GFX90A:TG_SPLIT: 0
	.section	.text._ZN7rocprim17ROCPRIM_400000_NS6detail17trampoline_kernelINS0_14default_configENS1_38merge_sort_block_merge_config_selectorIjNS0_10empty_typeEEEZZNS1_27merge_sort_block_merge_implIS3_PjPS5_jNS1_19radix_merge_compareILb1ELb0EjNS0_19identity_decomposerEEEEE10hipError_tT0_T1_T2_jT3_P12ihipStream_tbPNSt15iterator_traitsISE_E10value_typeEPNSK_ISF_E10value_typeEPSG_NS1_7vsmem_tEENKUlT_SE_SF_SG_E_clIS8_S8_S9_S9_EESD_ST_SE_SF_SG_EUlST_E0_NS1_11comp_targetILNS1_3genE2ELNS1_11target_archE906ELNS1_3gpuE6ELNS1_3repE0EEENS1_38merge_mergepath_config_static_selectorELNS0_4arch9wavefront6targetE1EEEvSF_,"axG",@progbits,_ZN7rocprim17ROCPRIM_400000_NS6detail17trampoline_kernelINS0_14default_configENS1_38merge_sort_block_merge_config_selectorIjNS0_10empty_typeEEEZZNS1_27merge_sort_block_merge_implIS3_PjPS5_jNS1_19radix_merge_compareILb1ELb0EjNS0_19identity_decomposerEEEEE10hipError_tT0_T1_T2_jT3_P12ihipStream_tbPNSt15iterator_traitsISE_E10value_typeEPNSK_ISF_E10value_typeEPSG_NS1_7vsmem_tEENKUlT_SE_SF_SG_E_clIS8_S8_S9_S9_EESD_ST_SE_SF_SG_EUlST_E0_NS1_11comp_targetILNS1_3genE2ELNS1_11target_archE906ELNS1_3gpuE6ELNS1_3repE0EEENS1_38merge_mergepath_config_static_selectorELNS0_4arch9wavefront6targetE1EEEvSF_,comdat
	.protected	_ZN7rocprim17ROCPRIM_400000_NS6detail17trampoline_kernelINS0_14default_configENS1_38merge_sort_block_merge_config_selectorIjNS0_10empty_typeEEEZZNS1_27merge_sort_block_merge_implIS3_PjPS5_jNS1_19radix_merge_compareILb1ELb0EjNS0_19identity_decomposerEEEEE10hipError_tT0_T1_T2_jT3_P12ihipStream_tbPNSt15iterator_traitsISE_E10value_typeEPNSK_ISF_E10value_typeEPSG_NS1_7vsmem_tEENKUlT_SE_SF_SG_E_clIS8_S8_S9_S9_EESD_ST_SE_SF_SG_EUlST_E0_NS1_11comp_targetILNS1_3genE2ELNS1_11target_archE906ELNS1_3gpuE6ELNS1_3repE0EEENS1_38merge_mergepath_config_static_selectorELNS0_4arch9wavefront6targetE1EEEvSF_ ; -- Begin function _ZN7rocprim17ROCPRIM_400000_NS6detail17trampoline_kernelINS0_14default_configENS1_38merge_sort_block_merge_config_selectorIjNS0_10empty_typeEEEZZNS1_27merge_sort_block_merge_implIS3_PjPS5_jNS1_19radix_merge_compareILb1ELb0EjNS0_19identity_decomposerEEEEE10hipError_tT0_T1_T2_jT3_P12ihipStream_tbPNSt15iterator_traitsISE_E10value_typeEPNSK_ISF_E10value_typeEPSG_NS1_7vsmem_tEENKUlT_SE_SF_SG_E_clIS8_S8_S9_S9_EESD_ST_SE_SF_SG_EUlST_E0_NS1_11comp_targetILNS1_3genE2ELNS1_11target_archE906ELNS1_3gpuE6ELNS1_3repE0EEENS1_38merge_mergepath_config_static_selectorELNS0_4arch9wavefront6targetE1EEEvSF_
	.globl	_ZN7rocprim17ROCPRIM_400000_NS6detail17trampoline_kernelINS0_14default_configENS1_38merge_sort_block_merge_config_selectorIjNS0_10empty_typeEEEZZNS1_27merge_sort_block_merge_implIS3_PjPS5_jNS1_19radix_merge_compareILb1ELb0EjNS0_19identity_decomposerEEEEE10hipError_tT0_T1_T2_jT3_P12ihipStream_tbPNSt15iterator_traitsISE_E10value_typeEPNSK_ISF_E10value_typeEPSG_NS1_7vsmem_tEENKUlT_SE_SF_SG_E_clIS8_S8_S9_S9_EESD_ST_SE_SF_SG_EUlST_E0_NS1_11comp_targetILNS1_3genE2ELNS1_11target_archE906ELNS1_3gpuE6ELNS1_3repE0EEENS1_38merge_mergepath_config_static_selectorELNS0_4arch9wavefront6targetE1EEEvSF_
	.p2align	8
	.type	_ZN7rocprim17ROCPRIM_400000_NS6detail17trampoline_kernelINS0_14default_configENS1_38merge_sort_block_merge_config_selectorIjNS0_10empty_typeEEEZZNS1_27merge_sort_block_merge_implIS3_PjPS5_jNS1_19radix_merge_compareILb1ELb0EjNS0_19identity_decomposerEEEEE10hipError_tT0_T1_T2_jT3_P12ihipStream_tbPNSt15iterator_traitsISE_E10value_typeEPNSK_ISF_E10value_typeEPSG_NS1_7vsmem_tEENKUlT_SE_SF_SG_E_clIS8_S8_S9_S9_EESD_ST_SE_SF_SG_EUlST_E0_NS1_11comp_targetILNS1_3genE2ELNS1_11target_archE906ELNS1_3gpuE6ELNS1_3repE0EEENS1_38merge_mergepath_config_static_selectorELNS0_4arch9wavefront6targetE1EEEvSF_,@function
_ZN7rocprim17ROCPRIM_400000_NS6detail17trampoline_kernelINS0_14default_configENS1_38merge_sort_block_merge_config_selectorIjNS0_10empty_typeEEEZZNS1_27merge_sort_block_merge_implIS3_PjPS5_jNS1_19radix_merge_compareILb1ELb0EjNS0_19identity_decomposerEEEEE10hipError_tT0_T1_T2_jT3_P12ihipStream_tbPNSt15iterator_traitsISE_E10value_typeEPNSK_ISF_E10value_typeEPSG_NS1_7vsmem_tEENKUlT_SE_SF_SG_E_clIS8_S8_S9_S9_EESD_ST_SE_SF_SG_EUlST_E0_NS1_11comp_targetILNS1_3genE2ELNS1_11target_archE906ELNS1_3gpuE6ELNS1_3repE0EEENS1_38merge_mergepath_config_static_selectorELNS0_4arch9wavefront6targetE1EEEvSF_: ; @_ZN7rocprim17ROCPRIM_400000_NS6detail17trampoline_kernelINS0_14default_configENS1_38merge_sort_block_merge_config_selectorIjNS0_10empty_typeEEEZZNS1_27merge_sort_block_merge_implIS3_PjPS5_jNS1_19radix_merge_compareILb1ELb0EjNS0_19identity_decomposerEEEEE10hipError_tT0_T1_T2_jT3_P12ihipStream_tbPNSt15iterator_traitsISE_E10value_typeEPNSK_ISF_E10value_typeEPSG_NS1_7vsmem_tEENKUlT_SE_SF_SG_E_clIS8_S8_S9_S9_EESD_ST_SE_SF_SG_EUlST_E0_NS1_11comp_targetILNS1_3genE2ELNS1_11target_archE906ELNS1_3gpuE6ELNS1_3repE0EEENS1_38merge_mergepath_config_static_selectorELNS0_4arch9wavefront6targetE1EEEvSF_
; %bb.0:
	.section	.rodata,"a",@progbits
	.p2align	6, 0x0
	.amdhsa_kernel _ZN7rocprim17ROCPRIM_400000_NS6detail17trampoline_kernelINS0_14default_configENS1_38merge_sort_block_merge_config_selectorIjNS0_10empty_typeEEEZZNS1_27merge_sort_block_merge_implIS3_PjPS5_jNS1_19radix_merge_compareILb1ELb0EjNS0_19identity_decomposerEEEEE10hipError_tT0_T1_T2_jT3_P12ihipStream_tbPNSt15iterator_traitsISE_E10value_typeEPNSK_ISF_E10value_typeEPSG_NS1_7vsmem_tEENKUlT_SE_SF_SG_E_clIS8_S8_S9_S9_EESD_ST_SE_SF_SG_EUlST_E0_NS1_11comp_targetILNS1_3genE2ELNS1_11target_archE906ELNS1_3gpuE6ELNS1_3repE0EEENS1_38merge_mergepath_config_static_selectorELNS0_4arch9wavefront6targetE1EEEvSF_
		.amdhsa_group_segment_fixed_size 0
		.amdhsa_private_segment_fixed_size 0
		.amdhsa_kernarg_size 64
		.amdhsa_user_sgpr_count 6
		.amdhsa_user_sgpr_private_segment_buffer 1
		.amdhsa_user_sgpr_dispatch_ptr 0
		.amdhsa_user_sgpr_queue_ptr 0
		.amdhsa_user_sgpr_kernarg_segment_ptr 1
		.amdhsa_user_sgpr_dispatch_id 0
		.amdhsa_user_sgpr_flat_scratch_init 0
		.amdhsa_user_sgpr_kernarg_preload_length 0
		.amdhsa_user_sgpr_kernarg_preload_offset 0
		.amdhsa_user_sgpr_private_segment_size 0
		.amdhsa_uses_dynamic_stack 0
		.amdhsa_system_sgpr_private_segment_wavefront_offset 0
		.amdhsa_system_sgpr_workgroup_id_x 1
		.amdhsa_system_sgpr_workgroup_id_y 0
		.amdhsa_system_sgpr_workgroup_id_z 0
		.amdhsa_system_sgpr_workgroup_info 0
		.amdhsa_system_vgpr_workitem_id 0
		.amdhsa_next_free_vgpr 1
		.amdhsa_next_free_sgpr 0
		.amdhsa_accum_offset 4
		.amdhsa_reserve_vcc 0
		.amdhsa_reserve_flat_scratch 0
		.amdhsa_float_round_mode_32 0
		.amdhsa_float_round_mode_16_64 0
		.amdhsa_float_denorm_mode_32 3
		.amdhsa_float_denorm_mode_16_64 3
		.amdhsa_dx10_clamp 1
		.amdhsa_ieee_mode 1
		.amdhsa_fp16_overflow 0
		.amdhsa_tg_split 0
		.amdhsa_exception_fp_ieee_invalid_op 0
		.amdhsa_exception_fp_denorm_src 0
		.amdhsa_exception_fp_ieee_div_zero 0
		.amdhsa_exception_fp_ieee_overflow 0
		.amdhsa_exception_fp_ieee_underflow 0
		.amdhsa_exception_fp_ieee_inexact 0
		.amdhsa_exception_int_div_zero 0
	.end_amdhsa_kernel
	.section	.text._ZN7rocprim17ROCPRIM_400000_NS6detail17trampoline_kernelINS0_14default_configENS1_38merge_sort_block_merge_config_selectorIjNS0_10empty_typeEEEZZNS1_27merge_sort_block_merge_implIS3_PjPS5_jNS1_19radix_merge_compareILb1ELb0EjNS0_19identity_decomposerEEEEE10hipError_tT0_T1_T2_jT3_P12ihipStream_tbPNSt15iterator_traitsISE_E10value_typeEPNSK_ISF_E10value_typeEPSG_NS1_7vsmem_tEENKUlT_SE_SF_SG_E_clIS8_S8_S9_S9_EESD_ST_SE_SF_SG_EUlST_E0_NS1_11comp_targetILNS1_3genE2ELNS1_11target_archE906ELNS1_3gpuE6ELNS1_3repE0EEENS1_38merge_mergepath_config_static_selectorELNS0_4arch9wavefront6targetE1EEEvSF_,"axG",@progbits,_ZN7rocprim17ROCPRIM_400000_NS6detail17trampoline_kernelINS0_14default_configENS1_38merge_sort_block_merge_config_selectorIjNS0_10empty_typeEEEZZNS1_27merge_sort_block_merge_implIS3_PjPS5_jNS1_19radix_merge_compareILb1ELb0EjNS0_19identity_decomposerEEEEE10hipError_tT0_T1_T2_jT3_P12ihipStream_tbPNSt15iterator_traitsISE_E10value_typeEPNSK_ISF_E10value_typeEPSG_NS1_7vsmem_tEENKUlT_SE_SF_SG_E_clIS8_S8_S9_S9_EESD_ST_SE_SF_SG_EUlST_E0_NS1_11comp_targetILNS1_3genE2ELNS1_11target_archE906ELNS1_3gpuE6ELNS1_3repE0EEENS1_38merge_mergepath_config_static_selectorELNS0_4arch9wavefront6targetE1EEEvSF_,comdat
.Lfunc_end2052:
	.size	_ZN7rocprim17ROCPRIM_400000_NS6detail17trampoline_kernelINS0_14default_configENS1_38merge_sort_block_merge_config_selectorIjNS0_10empty_typeEEEZZNS1_27merge_sort_block_merge_implIS3_PjPS5_jNS1_19radix_merge_compareILb1ELb0EjNS0_19identity_decomposerEEEEE10hipError_tT0_T1_T2_jT3_P12ihipStream_tbPNSt15iterator_traitsISE_E10value_typeEPNSK_ISF_E10value_typeEPSG_NS1_7vsmem_tEENKUlT_SE_SF_SG_E_clIS8_S8_S9_S9_EESD_ST_SE_SF_SG_EUlST_E0_NS1_11comp_targetILNS1_3genE2ELNS1_11target_archE906ELNS1_3gpuE6ELNS1_3repE0EEENS1_38merge_mergepath_config_static_selectorELNS0_4arch9wavefront6targetE1EEEvSF_, .Lfunc_end2052-_ZN7rocprim17ROCPRIM_400000_NS6detail17trampoline_kernelINS0_14default_configENS1_38merge_sort_block_merge_config_selectorIjNS0_10empty_typeEEEZZNS1_27merge_sort_block_merge_implIS3_PjPS5_jNS1_19radix_merge_compareILb1ELb0EjNS0_19identity_decomposerEEEEE10hipError_tT0_T1_T2_jT3_P12ihipStream_tbPNSt15iterator_traitsISE_E10value_typeEPNSK_ISF_E10value_typeEPSG_NS1_7vsmem_tEENKUlT_SE_SF_SG_E_clIS8_S8_S9_S9_EESD_ST_SE_SF_SG_EUlST_E0_NS1_11comp_targetILNS1_3genE2ELNS1_11target_archE906ELNS1_3gpuE6ELNS1_3repE0EEENS1_38merge_mergepath_config_static_selectorELNS0_4arch9wavefront6targetE1EEEvSF_
                                        ; -- End function
	.section	.AMDGPU.csdata,"",@progbits
; Kernel info:
; codeLenInByte = 0
; NumSgprs: 4
; NumVgprs: 0
; NumAgprs: 0
; TotalNumVgprs: 0
; ScratchSize: 0
; MemoryBound: 0
; FloatMode: 240
; IeeeMode: 1
; LDSByteSize: 0 bytes/workgroup (compile time only)
; SGPRBlocks: 0
; VGPRBlocks: 0
; NumSGPRsForWavesPerEU: 4
; NumVGPRsForWavesPerEU: 1
; AccumOffset: 4
; Occupancy: 8
; WaveLimiterHint : 0
; COMPUTE_PGM_RSRC2:SCRATCH_EN: 0
; COMPUTE_PGM_RSRC2:USER_SGPR: 6
; COMPUTE_PGM_RSRC2:TRAP_HANDLER: 0
; COMPUTE_PGM_RSRC2:TGID_X_EN: 1
; COMPUTE_PGM_RSRC2:TGID_Y_EN: 0
; COMPUTE_PGM_RSRC2:TGID_Z_EN: 0
; COMPUTE_PGM_RSRC2:TIDIG_COMP_CNT: 0
; COMPUTE_PGM_RSRC3_GFX90A:ACCUM_OFFSET: 0
; COMPUTE_PGM_RSRC3_GFX90A:TG_SPLIT: 0
	.section	.text._ZN7rocprim17ROCPRIM_400000_NS6detail17trampoline_kernelINS0_14default_configENS1_38merge_sort_block_merge_config_selectorIjNS0_10empty_typeEEEZZNS1_27merge_sort_block_merge_implIS3_PjPS5_jNS1_19radix_merge_compareILb1ELb0EjNS0_19identity_decomposerEEEEE10hipError_tT0_T1_T2_jT3_P12ihipStream_tbPNSt15iterator_traitsISE_E10value_typeEPNSK_ISF_E10value_typeEPSG_NS1_7vsmem_tEENKUlT_SE_SF_SG_E_clIS8_S8_S9_S9_EESD_ST_SE_SF_SG_EUlST_E0_NS1_11comp_targetILNS1_3genE9ELNS1_11target_archE1100ELNS1_3gpuE3ELNS1_3repE0EEENS1_38merge_mergepath_config_static_selectorELNS0_4arch9wavefront6targetE1EEEvSF_,"axG",@progbits,_ZN7rocprim17ROCPRIM_400000_NS6detail17trampoline_kernelINS0_14default_configENS1_38merge_sort_block_merge_config_selectorIjNS0_10empty_typeEEEZZNS1_27merge_sort_block_merge_implIS3_PjPS5_jNS1_19radix_merge_compareILb1ELb0EjNS0_19identity_decomposerEEEEE10hipError_tT0_T1_T2_jT3_P12ihipStream_tbPNSt15iterator_traitsISE_E10value_typeEPNSK_ISF_E10value_typeEPSG_NS1_7vsmem_tEENKUlT_SE_SF_SG_E_clIS8_S8_S9_S9_EESD_ST_SE_SF_SG_EUlST_E0_NS1_11comp_targetILNS1_3genE9ELNS1_11target_archE1100ELNS1_3gpuE3ELNS1_3repE0EEENS1_38merge_mergepath_config_static_selectorELNS0_4arch9wavefront6targetE1EEEvSF_,comdat
	.protected	_ZN7rocprim17ROCPRIM_400000_NS6detail17trampoline_kernelINS0_14default_configENS1_38merge_sort_block_merge_config_selectorIjNS0_10empty_typeEEEZZNS1_27merge_sort_block_merge_implIS3_PjPS5_jNS1_19radix_merge_compareILb1ELb0EjNS0_19identity_decomposerEEEEE10hipError_tT0_T1_T2_jT3_P12ihipStream_tbPNSt15iterator_traitsISE_E10value_typeEPNSK_ISF_E10value_typeEPSG_NS1_7vsmem_tEENKUlT_SE_SF_SG_E_clIS8_S8_S9_S9_EESD_ST_SE_SF_SG_EUlST_E0_NS1_11comp_targetILNS1_3genE9ELNS1_11target_archE1100ELNS1_3gpuE3ELNS1_3repE0EEENS1_38merge_mergepath_config_static_selectorELNS0_4arch9wavefront6targetE1EEEvSF_ ; -- Begin function _ZN7rocprim17ROCPRIM_400000_NS6detail17trampoline_kernelINS0_14default_configENS1_38merge_sort_block_merge_config_selectorIjNS0_10empty_typeEEEZZNS1_27merge_sort_block_merge_implIS3_PjPS5_jNS1_19radix_merge_compareILb1ELb0EjNS0_19identity_decomposerEEEEE10hipError_tT0_T1_T2_jT3_P12ihipStream_tbPNSt15iterator_traitsISE_E10value_typeEPNSK_ISF_E10value_typeEPSG_NS1_7vsmem_tEENKUlT_SE_SF_SG_E_clIS8_S8_S9_S9_EESD_ST_SE_SF_SG_EUlST_E0_NS1_11comp_targetILNS1_3genE9ELNS1_11target_archE1100ELNS1_3gpuE3ELNS1_3repE0EEENS1_38merge_mergepath_config_static_selectorELNS0_4arch9wavefront6targetE1EEEvSF_
	.globl	_ZN7rocprim17ROCPRIM_400000_NS6detail17trampoline_kernelINS0_14default_configENS1_38merge_sort_block_merge_config_selectorIjNS0_10empty_typeEEEZZNS1_27merge_sort_block_merge_implIS3_PjPS5_jNS1_19radix_merge_compareILb1ELb0EjNS0_19identity_decomposerEEEEE10hipError_tT0_T1_T2_jT3_P12ihipStream_tbPNSt15iterator_traitsISE_E10value_typeEPNSK_ISF_E10value_typeEPSG_NS1_7vsmem_tEENKUlT_SE_SF_SG_E_clIS8_S8_S9_S9_EESD_ST_SE_SF_SG_EUlST_E0_NS1_11comp_targetILNS1_3genE9ELNS1_11target_archE1100ELNS1_3gpuE3ELNS1_3repE0EEENS1_38merge_mergepath_config_static_selectorELNS0_4arch9wavefront6targetE1EEEvSF_
	.p2align	8
	.type	_ZN7rocprim17ROCPRIM_400000_NS6detail17trampoline_kernelINS0_14default_configENS1_38merge_sort_block_merge_config_selectorIjNS0_10empty_typeEEEZZNS1_27merge_sort_block_merge_implIS3_PjPS5_jNS1_19radix_merge_compareILb1ELb0EjNS0_19identity_decomposerEEEEE10hipError_tT0_T1_T2_jT3_P12ihipStream_tbPNSt15iterator_traitsISE_E10value_typeEPNSK_ISF_E10value_typeEPSG_NS1_7vsmem_tEENKUlT_SE_SF_SG_E_clIS8_S8_S9_S9_EESD_ST_SE_SF_SG_EUlST_E0_NS1_11comp_targetILNS1_3genE9ELNS1_11target_archE1100ELNS1_3gpuE3ELNS1_3repE0EEENS1_38merge_mergepath_config_static_selectorELNS0_4arch9wavefront6targetE1EEEvSF_,@function
_ZN7rocprim17ROCPRIM_400000_NS6detail17trampoline_kernelINS0_14default_configENS1_38merge_sort_block_merge_config_selectorIjNS0_10empty_typeEEEZZNS1_27merge_sort_block_merge_implIS3_PjPS5_jNS1_19radix_merge_compareILb1ELb0EjNS0_19identity_decomposerEEEEE10hipError_tT0_T1_T2_jT3_P12ihipStream_tbPNSt15iterator_traitsISE_E10value_typeEPNSK_ISF_E10value_typeEPSG_NS1_7vsmem_tEENKUlT_SE_SF_SG_E_clIS8_S8_S9_S9_EESD_ST_SE_SF_SG_EUlST_E0_NS1_11comp_targetILNS1_3genE9ELNS1_11target_archE1100ELNS1_3gpuE3ELNS1_3repE0EEENS1_38merge_mergepath_config_static_selectorELNS0_4arch9wavefront6targetE1EEEvSF_: ; @_ZN7rocprim17ROCPRIM_400000_NS6detail17trampoline_kernelINS0_14default_configENS1_38merge_sort_block_merge_config_selectorIjNS0_10empty_typeEEEZZNS1_27merge_sort_block_merge_implIS3_PjPS5_jNS1_19radix_merge_compareILb1ELb0EjNS0_19identity_decomposerEEEEE10hipError_tT0_T1_T2_jT3_P12ihipStream_tbPNSt15iterator_traitsISE_E10value_typeEPNSK_ISF_E10value_typeEPSG_NS1_7vsmem_tEENKUlT_SE_SF_SG_E_clIS8_S8_S9_S9_EESD_ST_SE_SF_SG_EUlST_E0_NS1_11comp_targetILNS1_3genE9ELNS1_11target_archE1100ELNS1_3gpuE3ELNS1_3repE0EEENS1_38merge_mergepath_config_static_selectorELNS0_4arch9wavefront6targetE1EEEvSF_
; %bb.0:
	.section	.rodata,"a",@progbits
	.p2align	6, 0x0
	.amdhsa_kernel _ZN7rocprim17ROCPRIM_400000_NS6detail17trampoline_kernelINS0_14default_configENS1_38merge_sort_block_merge_config_selectorIjNS0_10empty_typeEEEZZNS1_27merge_sort_block_merge_implIS3_PjPS5_jNS1_19radix_merge_compareILb1ELb0EjNS0_19identity_decomposerEEEEE10hipError_tT0_T1_T2_jT3_P12ihipStream_tbPNSt15iterator_traitsISE_E10value_typeEPNSK_ISF_E10value_typeEPSG_NS1_7vsmem_tEENKUlT_SE_SF_SG_E_clIS8_S8_S9_S9_EESD_ST_SE_SF_SG_EUlST_E0_NS1_11comp_targetILNS1_3genE9ELNS1_11target_archE1100ELNS1_3gpuE3ELNS1_3repE0EEENS1_38merge_mergepath_config_static_selectorELNS0_4arch9wavefront6targetE1EEEvSF_
		.amdhsa_group_segment_fixed_size 0
		.amdhsa_private_segment_fixed_size 0
		.amdhsa_kernarg_size 64
		.amdhsa_user_sgpr_count 6
		.amdhsa_user_sgpr_private_segment_buffer 1
		.amdhsa_user_sgpr_dispatch_ptr 0
		.amdhsa_user_sgpr_queue_ptr 0
		.amdhsa_user_sgpr_kernarg_segment_ptr 1
		.amdhsa_user_sgpr_dispatch_id 0
		.amdhsa_user_sgpr_flat_scratch_init 0
		.amdhsa_user_sgpr_kernarg_preload_length 0
		.amdhsa_user_sgpr_kernarg_preload_offset 0
		.amdhsa_user_sgpr_private_segment_size 0
		.amdhsa_uses_dynamic_stack 0
		.amdhsa_system_sgpr_private_segment_wavefront_offset 0
		.amdhsa_system_sgpr_workgroup_id_x 1
		.amdhsa_system_sgpr_workgroup_id_y 0
		.amdhsa_system_sgpr_workgroup_id_z 0
		.amdhsa_system_sgpr_workgroup_info 0
		.amdhsa_system_vgpr_workitem_id 0
		.amdhsa_next_free_vgpr 1
		.amdhsa_next_free_sgpr 0
		.amdhsa_accum_offset 4
		.amdhsa_reserve_vcc 0
		.amdhsa_reserve_flat_scratch 0
		.amdhsa_float_round_mode_32 0
		.amdhsa_float_round_mode_16_64 0
		.amdhsa_float_denorm_mode_32 3
		.amdhsa_float_denorm_mode_16_64 3
		.amdhsa_dx10_clamp 1
		.amdhsa_ieee_mode 1
		.amdhsa_fp16_overflow 0
		.amdhsa_tg_split 0
		.amdhsa_exception_fp_ieee_invalid_op 0
		.amdhsa_exception_fp_denorm_src 0
		.amdhsa_exception_fp_ieee_div_zero 0
		.amdhsa_exception_fp_ieee_overflow 0
		.amdhsa_exception_fp_ieee_underflow 0
		.amdhsa_exception_fp_ieee_inexact 0
		.amdhsa_exception_int_div_zero 0
	.end_amdhsa_kernel
	.section	.text._ZN7rocprim17ROCPRIM_400000_NS6detail17trampoline_kernelINS0_14default_configENS1_38merge_sort_block_merge_config_selectorIjNS0_10empty_typeEEEZZNS1_27merge_sort_block_merge_implIS3_PjPS5_jNS1_19radix_merge_compareILb1ELb0EjNS0_19identity_decomposerEEEEE10hipError_tT0_T1_T2_jT3_P12ihipStream_tbPNSt15iterator_traitsISE_E10value_typeEPNSK_ISF_E10value_typeEPSG_NS1_7vsmem_tEENKUlT_SE_SF_SG_E_clIS8_S8_S9_S9_EESD_ST_SE_SF_SG_EUlST_E0_NS1_11comp_targetILNS1_3genE9ELNS1_11target_archE1100ELNS1_3gpuE3ELNS1_3repE0EEENS1_38merge_mergepath_config_static_selectorELNS0_4arch9wavefront6targetE1EEEvSF_,"axG",@progbits,_ZN7rocprim17ROCPRIM_400000_NS6detail17trampoline_kernelINS0_14default_configENS1_38merge_sort_block_merge_config_selectorIjNS0_10empty_typeEEEZZNS1_27merge_sort_block_merge_implIS3_PjPS5_jNS1_19radix_merge_compareILb1ELb0EjNS0_19identity_decomposerEEEEE10hipError_tT0_T1_T2_jT3_P12ihipStream_tbPNSt15iterator_traitsISE_E10value_typeEPNSK_ISF_E10value_typeEPSG_NS1_7vsmem_tEENKUlT_SE_SF_SG_E_clIS8_S8_S9_S9_EESD_ST_SE_SF_SG_EUlST_E0_NS1_11comp_targetILNS1_3genE9ELNS1_11target_archE1100ELNS1_3gpuE3ELNS1_3repE0EEENS1_38merge_mergepath_config_static_selectorELNS0_4arch9wavefront6targetE1EEEvSF_,comdat
.Lfunc_end2053:
	.size	_ZN7rocprim17ROCPRIM_400000_NS6detail17trampoline_kernelINS0_14default_configENS1_38merge_sort_block_merge_config_selectorIjNS0_10empty_typeEEEZZNS1_27merge_sort_block_merge_implIS3_PjPS5_jNS1_19radix_merge_compareILb1ELb0EjNS0_19identity_decomposerEEEEE10hipError_tT0_T1_T2_jT3_P12ihipStream_tbPNSt15iterator_traitsISE_E10value_typeEPNSK_ISF_E10value_typeEPSG_NS1_7vsmem_tEENKUlT_SE_SF_SG_E_clIS8_S8_S9_S9_EESD_ST_SE_SF_SG_EUlST_E0_NS1_11comp_targetILNS1_3genE9ELNS1_11target_archE1100ELNS1_3gpuE3ELNS1_3repE0EEENS1_38merge_mergepath_config_static_selectorELNS0_4arch9wavefront6targetE1EEEvSF_, .Lfunc_end2053-_ZN7rocprim17ROCPRIM_400000_NS6detail17trampoline_kernelINS0_14default_configENS1_38merge_sort_block_merge_config_selectorIjNS0_10empty_typeEEEZZNS1_27merge_sort_block_merge_implIS3_PjPS5_jNS1_19radix_merge_compareILb1ELb0EjNS0_19identity_decomposerEEEEE10hipError_tT0_T1_T2_jT3_P12ihipStream_tbPNSt15iterator_traitsISE_E10value_typeEPNSK_ISF_E10value_typeEPSG_NS1_7vsmem_tEENKUlT_SE_SF_SG_E_clIS8_S8_S9_S9_EESD_ST_SE_SF_SG_EUlST_E0_NS1_11comp_targetILNS1_3genE9ELNS1_11target_archE1100ELNS1_3gpuE3ELNS1_3repE0EEENS1_38merge_mergepath_config_static_selectorELNS0_4arch9wavefront6targetE1EEEvSF_
                                        ; -- End function
	.section	.AMDGPU.csdata,"",@progbits
; Kernel info:
; codeLenInByte = 0
; NumSgprs: 4
; NumVgprs: 0
; NumAgprs: 0
; TotalNumVgprs: 0
; ScratchSize: 0
; MemoryBound: 0
; FloatMode: 240
; IeeeMode: 1
; LDSByteSize: 0 bytes/workgroup (compile time only)
; SGPRBlocks: 0
; VGPRBlocks: 0
; NumSGPRsForWavesPerEU: 4
; NumVGPRsForWavesPerEU: 1
; AccumOffset: 4
; Occupancy: 8
; WaveLimiterHint : 0
; COMPUTE_PGM_RSRC2:SCRATCH_EN: 0
; COMPUTE_PGM_RSRC2:USER_SGPR: 6
; COMPUTE_PGM_RSRC2:TRAP_HANDLER: 0
; COMPUTE_PGM_RSRC2:TGID_X_EN: 1
; COMPUTE_PGM_RSRC2:TGID_Y_EN: 0
; COMPUTE_PGM_RSRC2:TGID_Z_EN: 0
; COMPUTE_PGM_RSRC2:TIDIG_COMP_CNT: 0
; COMPUTE_PGM_RSRC3_GFX90A:ACCUM_OFFSET: 0
; COMPUTE_PGM_RSRC3_GFX90A:TG_SPLIT: 0
	.section	.text._ZN7rocprim17ROCPRIM_400000_NS6detail17trampoline_kernelINS0_14default_configENS1_38merge_sort_block_merge_config_selectorIjNS0_10empty_typeEEEZZNS1_27merge_sort_block_merge_implIS3_PjPS5_jNS1_19radix_merge_compareILb1ELb0EjNS0_19identity_decomposerEEEEE10hipError_tT0_T1_T2_jT3_P12ihipStream_tbPNSt15iterator_traitsISE_E10value_typeEPNSK_ISF_E10value_typeEPSG_NS1_7vsmem_tEENKUlT_SE_SF_SG_E_clIS8_S8_S9_S9_EESD_ST_SE_SF_SG_EUlST_E0_NS1_11comp_targetILNS1_3genE8ELNS1_11target_archE1030ELNS1_3gpuE2ELNS1_3repE0EEENS1_38merge_mergepath_config_static_selectorELNS0_4arch9wavefront6targetE1EEEvSF_,"axG",@progbits,_ZN7rocprim17ROCPRIM_400000_NS6detail17trampoline_kernelINS0_14default_configENS1_38merge_sort_block_merge_config_selectorIjNS0_10empty_typeEEEZZNS1_27merge_sort_block_merge_implIS3_PjPS5_jNS1_19radix_merge_compareILb1ELb0EjNS0_19identity_decomposerEEEEE10hipError_tT0_T1_T2_jT3_P12ihipStream_tbPNSt15iterator_traitsISE_E10value_typeEPNSK_ISF_E10value_typeEPSG_NS1_7vsmem_tEENKUlT_SE_SF_SG_E_clIS8_S8_S9_S9_EESD_ST_SE_SF_SG_EUlST_E0_NS1_11comp_targetILNS1_3genE8ELNS1_11target_archE1030ELNS1_3gpuE2ELNS1_3repE0EEENS1_38merge_mergepath_config_static_selectorELNS0_4arch9wavefront6targetE1EEEvSF_,comdat
	.protected	_ZN7rocprim17ROCPRIM_400000_NS6detail17trampoline_kernelINS0_14default_configENS1_38merge_sort_block_merge_config_selectorIjNS0_10empty_typeEEEZZNS1_27merge_sort_block_merge_implIS3_PjPS5_jNS1_19radix_merge_compareILb1ELb0EjNS0_19identity_decomposerEEEEE10hipError_tT0_T1_T2_jT3_P12ihipStream_tbPNSt15iterator_traitsISE_E10value_typeEPNSK_ISF_E10value_typeEPSG_NS1_7vsmem_tEENKUlT_SE_SF_SG_E_clIS8_S8_S9_S9_EESD_ST_SE_SF_SG_EUlST_E0_NS1_11comp_targetILNS1_3genE8ELNS1_11target_archE1030ELNS1_3gpuE2ELNS1_3repE0EEENS1_38merge_mergepath_config_static_selectorELNS0_4arch9wavefront6targetE1EEEvSF_ ; -- Begin function _ZN7rocprim17ROCPRIM_400000_NS6detail17trampoline_kernelINS0_14default_configENS1_38merge_sort_block_merge_config_selectorIjNS0_10empty_typeEEEZZNS1_27merge_sort_block_merge_implIS3_PjPS5_jNS1_19radix_merge_compareILb1ELb0EjNS0_19identity_decomposerEEEEE10hipError_tT0_T1_T2_jT3_P12ihipStream_tbPNSt15iterator_traitsISE_E10value_typeEPNSK_ISF_E10value_typeEPSG_NS1_7vsmem_tEENKUlT_SE_SF_SG_E_clIS8_S8_S9_S9_EESD_ST_SE_SF_SG_EUlST_E0_NS1_11comp_targetILNS1_3genE8ELNS1_11target_archE1030ELNS1_3gpuE2ELNS1_3repE0EEENS1_38merge_mergepath_config_static_selectorELNS0_4arch9wavefront6targetE1EEEvSF_
	.globl	_ZN7rocprim17ROCPRIM_400000_NS6detail17trampoline_kernelINS0_14default_configENS1_38merge_sort_block_merge_config_selectorIjNS0_10empty_typeEEEZZNS1_27merge_sort_block_merge_implIS3_PjPS5_jNS1_19radix_merge_compareILb1ELb0EjNS0_19identity_decomposerEEEEE10hipError_tT0_T1_T2_jT3_P12ihipStream_tbPNSt15iterator_traitsISE_E10value_typeEPNSK_ISF_E10value_typeEPSG_NS1_7vsmem_tEENKUlT_SE_SF_SG_E_clIS8_S8_S9_S9_EESD_ST_SE_SF_SG_EUlST_E0_NS1_11comp_targetILNS1_3genE8ELNS1_11target_archE1030ELNS1_3gpuE2ELNS1_3repE0EEENS1_38merge_mergepath_config_static_selectorELNS0_4arch9wavefront6targetE1EEEvSF_
	.p2align	8
	.type	_ZN7rocprim17ROCPRIM_400000_NS6detail17trampoline_kernelINS0_14default_configENS1_38merge_sort_block_merge_config_selectorIjNS0_10empty_typeEEEZZNS1_27merge_sort_block_merge_implIS3_PjPS5_jNS1_19radix_merge_compareILb1ELb0EjNS0_19identity_decomposerEEEEE10hipError_tT0_T1_T2_jT3_P12ihipStream_tbPNSt15iterator_traitsISE_E10value_typeEPNSK_ISF_E10value_typeEPSG_NS1_7vsmem_tEENKUlT_SE_SF_SG_E_clIS8_S8_S9_S9_EESD_ST_SE_SF_SG_EUlST_E0_NS1_11comp_targetILNS1_3genE8ELNS1_11target_archE1030ELNS1_3gpuE2ELNS1_3repE0EEENS1_38merge_mergepath_config_static_selectorELNS0_4arch9wavefront6targetE1EEEvSF_,@function
_ZN7rocprim17ROCPRIM_400000_NS6detail17trampoline_kernelINS0_14default_configENS1_38merge_sort_block_merge_config_selectorIjNS0_10empty_typeEEEZZNS1_27merge_sort_block_merge_implIS3_PjPS5_jNS1_19radix_merge_compareILb1ELb0EjNS0_19identity_decomposerEEEEE10hipError_tT0_T1_T2_jT3_P12ihipStream_tbPNSt15iterator_traitsISE_E10value_typeEPNSK_ISF_E10value_typeEPSG_NS1_7vsmem_tEENKUlT_SE_SF_SG_E_clIS8_S8_S9_S9_EESD_ST_SE_SF_SG_EUlST_E0_NS1_11comp_targetILNS1_3genE8ELNS1_11target_archE1030ELNS1_3gpuE2ELNS1_3repE0EEENS1_38merge_mergepath_config_static_selectorELNS0_4arch9wavefront6targetE1EEEvSF_: ; @_ZN7rocprim17ROCPRIM_400000_NS6detail17trampoline_kernelINS0_14default_configENS1_38merge_sort_block_merge_config_selectorIjNS0_10empty_typeEEEZZNS1_27merge_sort_block_merge_implIS3_PjPS5_jNS1_19radix_merge_compareILb1ELb0EjNS0_19identity_decomposerEEEEE10hipError_tT0_T1_T2_jT3_P12ihipStream_tbPNSt15iterator_traitsISE_E10value_typeEPNSK_ISF_E10value_typeEPSG_NS1_7vsmem_tEENKUlT_SE_SF_SG_E_clIS8_S8_S9_S9_EESD_ST_SE_SF_SG_EUlST_E0_NS1_11comp_targetILNS1_3genE8ELNS1_11target_archE1030ELNS1_3gpuE2ELNS1_3repE0EEENS1_38merge_mergepath_config_static_selectorELNS0_4arch9wavefront6targetE1EEEvSF_
; %bb.0:
	.section	.rodata,"a",@progbits
	.p2align	6, 0x0
	.amdhsa_kernel _ZN7rocprim17ROCPRIM_400000_NS6detail17trampoline_kernelINS0_14default_configENS1_38merge_sort_block_merge_config_selectorIjNS0_10empty_typeEEEZZNS1_27merge_sort_block_merge_implIS3_PjPS5_jNS1_19radix_merge_compareILb1ELb0EjNS0_19identity_decomposerEEEEE10hipError_tT0_T1_T2_jT3_P12ihipStream_tbPNSt15iterator_traitsISE_E10value_typeEPNSK_ISF_E10value_typeEPSG_NS1_7vsmem_tEENKUlT_SE_SF_SG_E_clIS8_S8_S9_S9_EESD_ST_SE_SF_SG_EUlST_E0_NS1_11comp_targetILNS1_3genE8ELNS1_11target_archE1030ELNS1_3gpuE2ELNS1_3repE0EEENS1_38merge_mergepath_config_static_selectorELNS0_4arch9wavefront6targetE1EEEvSF_
		.amdhsa_group_segment_fixed_size 0
		.amdhsa_private_segment_fixed_size 0
		.amdhsa_kernarg_size 64
		.amdhsa_user_sgpr_count 6
		.amdhsa_user_sgpr_private_segment_buffer 1
		.amdhsa_user_sgpr_dispatch_ptr 0
		.amdhsa_user_sgpr_queue_ptr 0
		.amdhsa_user_sgpr_kernarg_segment_ptr 1
		.amdhsa_user_sgpr_dispatch_id 0
		.amdhsa_user_sgpr_flat_scratch_init 0
		.amdhsa_user_sgpr_kernarg_preload_length 0
		.amdhsa_user_sgpr_kernarg_preload_offset 0
		.amdhsa_user_sgpr_private_segment_size 0
		.amdhsa_uses_dynamic_stack 0
		.amdhsa_system_sgpr_private_segment_wavefront_offset 0
		.amdhsa_system_sgpr_workgroup_id_x 1
		.amdhsa_system_sgpr_workgroup_id_y 0
		.amdhsa_system_sgpr_workgroup_id_z 0
		.amdhsa_system_sgpr_workgroup_info 0
		.amdhsa_system_vgpr_workitem_id 0
		.amdhsa_next_free_vgpr 1
		.amdhsa_next_free_sgpr 0
		.amdhsa_accum_offset 4
		.amdhsa_reserve_vcc 0
		.amdhsa_reserve_flat_scratch 0
		.amdhsa_float_round_mode_32 0
		.amdhsa_float_round_mode_16_64 0
		.amdhsa_float_denorm_mode_32 3
		.amdhsa_float_denorm_mode_16_64 3
		.amdhsa_dx10_clamp 1
		.amdhsa_ieee_mode 1
		.amdhsa_fp16_overflow 0
		.amdhsa_tg_split 0
		.amdhsa_exception_fp_ieee_invalid_op 0
		.amdhsa_exception_fp_denorm_src 0
		.amdhsa_exception_fp_ieee_div_zero 0
		.amdhsa_exception_fp_ieee_overflow 0
		.amdhsa_exception_fp_ieee_underflow 0
		.amdhsa_exception_fp_ieee_inexact 0
		.amdhsa_exception_int_div_zero 0
	.end_amdhsa_kernel
	.section	.text._ZN7rocprim17ROCPRIM_400000_NS6detail17trampoline_kernelINS0_14default_configENS1_38merge_sort_block_merge_config_selectorIjNS0_10empty_typeEEEZZNS1_27merge_sort_block_merge_implIS3_PjPS5_jNS1_19radix_merge_compareILb1ELb0EjNS0_19identity_decomposerEEEEE10hipError_tT0_T1_T2_jT3_P12ihipStream_tbPNSt15iterator_traitsISE_E10value_typeEPNSK_ISF_E10value_typeEPSG_NS1_7vsmem_tEENKUlT_SE_SF_SG_E_clIS8_S8_S9_S9_EESD_ST_SE_SF_SG_EUlST_E0_NS1_11comp_targetILNS1_3genE8ELNS1_11target_archE1030ELNS1_3gpuE2ELNS1_3repE0EEENS1_38merge_mergepath_config_static_selectorELNS0_4arch9wavefront6targetE1EEEvSF_,"axG",@progbits,_ZN7rocprim17ROCPRIM_400000_NS6detail17trampoline_kernelINS0_14default_configENS1_38merge_sort_block_merge_config_selectorIjNS0_10empty_typeEEEZZNS1_27merge_sort_block_merge_implIS3_PjPS5_jNS1_19radix_merge_compareILb1ELb0EjNS0_19identity_decomposerEEEEE10hipError_tT0_T1_T2_jT3_P12ihipStream_tbPNSt15iterator_traitsISE_E10value_typeEPNSK_ISF_E10value_typeEPSG_NS1_7vsmem_tEENKUlT_SE_SF_SG_E_clIS8_S8_S9_S9_EESD_ST_SE_SF_SG_EUlST_E0_NS1_11comp_targetILNS1_3genE8ELNS1_11target_archE1030ELNS1_3gpuE2ELNS1_3repE0EEENS1_38merge_mergepath_config_static_selectorELNS0_4arch9wavefront6targetE1EEEvSF_,comdat
.Lfunc_end2054:
	.size	_ZN7rocprim17ROCPRIM_400000_NS6detail17trampoline_kernelINS0_14default_configENS1_38merge_sort_block_merge_config_selectorIjNS0_10empty_typeEEEZZNS1_27merge_sort_block_merge_implIS3_PjPS5_jNS1_19radix_merge_compareILb1ELb0EjNS0_19identity_decomposerEEEEE10hipError_tT0_T1_T2_jT3_P12ihipStream_tbPNSt15iterator_traitsISE_E10value_typeEPNSK_ISF_E10value_typeEPSG_NS1_7vsmem_tEENKUlT_SE_SF_SG_E_clIS8_S8_S9_S9_EESD_ST_SE_SF_SG_EUlST_E0_NS1_11comp_targetILNS1_3genE8ELNS1_11target_archE1030ELNS1_3gpuE2ELNS1_3repE0EEENS1_38merge_mergepath_config_static_selectorELNS0_4arch9wavefront6targetE1EEEvSF_, .Lfunc_end2054-_ZN7rocprim17ROCPRIM_400000_NS6detail17trampoline_kernelINS0_14default_configENS1_38merge_sort_block_merge_config_selectorIjNS0_10empty_typeEEEZZNS1_27merge_sort_block_merge_implIS3_PjPS5_jNS1_19radix_merge_compareILb1ELb0EjNS0_19identity_decomposerEEEEE10hipError_tT0_T1_T2_jT3_P12ihipStream_tbPNSt15iterator_traitsISE_E10value_typeEPNSK_ISF_E10value_typeEPSG_NS1_7vsmem_tEENKUlT_SE_SF_SG_E_clIS8_S8_S9_S9_EESD_ST_SE_SF_SG_EUlST_E0_NS1_11comp_targetILNS1_3genE8ELNS1_11target_archE1030ELNS1_3gpuE2ELNS1_3repE0EEENS1_38merge_mergepath_config_static_selectorELNS0_4arch9wavefront6targetE1EEEvSF_
                                        ; -- End function
	.section	.AMDGPU.csdata,"",@progbits
; Kernel info:
; codeLenInByte = 0
; NumSgprs: 4
; NumVgprs: 0
; NumAgprs: 0
; TotalNumVgprs: 0
; ScratchSize: 0
; MemoryBound: 0
; FloatMode: 240
; IeeeMode: 1
; LDSByteSize: 0 bytes/workgroup (compile time only)
; SGPRBlocks: 0
; VGPRBlocks: 0
; NumSGPRsForWavesPerEU: 4
; NumVGPRsForWavesPerEU: 1
; AccumOffset: 4
; Occupancy: 8
; WaveLimiterHint : 0
; COMPUTE_PGM_RSRC2:SCRATCH_EN: 0
; COMPUTE_PGM_RSRC2:USER_SGPR: 6
; COMPUTE_PGM_RSRC2:TRAP_HANDLER: 0
; COMPUTE_PGM_RSRC2:TGID_X_EN: 1
; COMPUTE_PGM_RSRC2:TGID_Y_EN: 0
; COMPUTE_PGM_RSRC2:TGID_Z_EN: 0
; COMPUTE_PGM_RSRC2:TIDIG_COMP_CNT: 0
; COMPUTE_PGM_RSRC3_GFX90A:ACCUM_OFFSET: 0
; COMPUTE_PGM_RSRC3_GFX90A:TG_SPLIT: 0
	.section	.text._ZN7rocprim17ROCPRIM_400000_NS6detail17trampoline_kernelINS0_14default_configENS1_38merge_sort_block_merge_config_selectorIjNS0_10empty_typeEEEZZNS1_27merge_sort_block_merge_implIS3_PjPS5_jNS1_19radix_merge_compareILb1ELb0EjNS0_19identity_decomposerEEEEE10hipError_tT0_T1_T2_jT3_P12ihipStream_tbPNSt15iterator_traitsISE_E10value_typeEPNSK_ISF_E10value_typeEPSG_NS1_7vsmem_tEENKUlT_SE_SF_SG_E_clIS8_S8_S9_S9_EESD_ST_SE_SF_SG_EUlST_E1_NS1_11comp_targetILNS1_3genE0ELNS1_11target_archE4294967295ELNS1_3gpuE0ELNS1_3repE0EEENS1_36merge_oddeven_config_static_selectorELNS0_4arch9wavefront6targetE1EEEvSF_,"axG",@progbits,_ZN7rocprim17ROCPRIM_400000_NS6detail17trampoline_kernelINS0_14default_configENS1_38merge_sort_block_merge_config_selectorIjNS0_10empty_typeEEEZZNS1_27merge_sort_block_merge_implIS3_PjPS5_jNS1_19radix_merge_compareILb1ELb0EjNS0_19identity_decomposerEEEEE10hipError_tT0_T1_T2_jT3_P12ihipStream_tbPNSt15iterator_traitsISE_E10value_typeEPNSK_ISF_E10value_typeEPSG_NS1_7vsmem_tEENKUlT_SE_SF_SG_E_clIS8_S8_S9_S9_EESD_ST_SE_SF_SG_EUlST_E1_NS1_11comp_targetILNS1_3genE0ELNS1_11target_archE4294967295ELNS1_3gpuE0ELNS1_3repE0EEENS1_36merge_oddeven_config_static_selectorELNS0_4arch9wavefront6targetE1EEEvSF_,comdat
	.protected	_ZN7rocprim17ROCPRIM_400000_NS6detail17trampoline_kernelINS0_14default_configENS1_38merge_sort_block_merge_config_selectorIjNS0_10empty_typeEEEZZNS1_27merge_sort_block_merge_implIS3_PjPS5_jNS1_19radix_merge_compareILb1ELb0EjNS0_19identity_decomposerEEEEE10hipError_tT0_T1_T2_jT3_P12ihipStream_tbPNSt15iterator_traitsISE_E10value_typeEPNSK_ISF_E10value_typeEPSG_NS1_7vsmem_tEENKUlT_SE_SF_SG_E_clIS8_S8_S9_S9_EESD_ST_SE_SF_SG_EUlST_E1_NS1_11comp_targetILNS1_3genE0ELNS1_11target_archE4294967295ELNS1_3gpuE0ELNS1_3repE0EEENS1_36merge_oddeven_config_static_selectorELNS0_4arch9wavefront6targetE1EEEvSF_ ; -- Begin function _ZN7rocprim17ROCPRIM_400000_NS6detail17trampoline_kernelINS0_14default_configENS1_38merge_sort_block_merge_config_selectorIjNS0_10empty_typeEEEZZNS1_27merge_sort_block_merge_implIS3_PjPS5_jNS1_19radix_merge_compareILb1ELb0EjNS0_19identity_decomposerEEEEE10hipError_tT0_T1_T2_jT3_P12ihipStream_tbPNSt15iterator_traitsISE_E10value_typeEPNSK_ISF_E10value_typeEPSG_NS1_7vsmem_tEENKUlT_SE_SF_SG_E_clIS8_S8_S9_S9_EESD_ST_SE_SF_SG_EUlST_E1_NS1_11comp_targetILNS1_3genE0ELNS1_11target_archE4294967295ELNS1_3gpuE0ELNS1_3repE0EEENS1_36merge_oddeven_config_static_selectorELNS0_4arch9wavefront6targetE1EEEvSF_
	.globl	_ZN7rocprim17ROCPRIM_400000_NS6detail17trampoline_kernelINS0_14default_configENS1_38merge_sort_block_merge_config_selectorIjNS0_10empty_typeEEEZZNS1_27merge_sort_block_merge_implIS3_PjPS5_jNS1_19radix_merge_compareILb1ELb0EjNS0_19identity_decomposerEEEEE10hipError_tT0_T1_T2_jT3_P12ihipStream_tbPNSt15iterator_traitsISE_E10value_typeEPNSK_ISF_E10value_typeEPSG_NS1_7vsmem_tEENKUlT_SE_SF_SG_E_clIS8_S8_S9_S9_EESD_ST_SE_SF_SG_EUlST_E1_NS1_11comp_targetILNS1_3genE0ELNS1_11target_archE4294967295ELNS1_3gpuE0ELNS1_3repE0EEENS1_36merge_oddeven_config_static_selectorELNS0_4arch9wavefront6targetE1EEEvSF_
	.p2align	8
	.type	_ZN7rocprim17ROCPRIM_400000_NS6detail17trampoline_kernelINS0_14default_configENS1_38merge_sort_block_merge_config_selectorIjNS0_10empty_typeEEEZZNS1_27merge_sort_block_merge_implIS3_PjPS5_jNS1_19radix_merge_compareILb1ELb0EjNS0_19identity_decomposerEEEEE10hipError_tT0_T1_T2_jT3_P12ihipStream_tbPNSt15iterator_traitsISE_E10value_typeEPNSK_ISF_E10value_typeEPSG_NS1_7vsmem_tEENKUlT_SE_SF_SG_E_clIS8_S8_S9_S9_EESD_ST_SE_SF_SG_EUlST_E1_NS1_11comp_targetILNS1_3genE0ELNS1_11target_archE4294967295ELNS1_3gpuE0ELNS1_3repE0EEENS1_36merge_oddeven_config_static_selectorELNS0_4arch9wavefront6targetE1EEEvSF_,@function
_ZN7rocprim17ROCPRIM_400000_NS6detail17trampoline_kernelINS0_14default_configENS1_38merge_sort_block_merge_config_selectorIjNS0_10empty_typeEEEZZNS1_27merge_sort_block_merge_implIS3_PjPS5_jNS1_19radix_merge_compareILb1ELb0EjNS0_19identity_decomposerEEEEE10hipError_tT0_T1_T2_jT3_P12ihipStream_tbPNSt15iterator_traitsISE_E10value_typeEPNSK_ISF_E10value_typeEPSG_NS1_7vsmem_tEENKUlT_SE_SF_SG_E_clIS8_S8_S9_S9_EESD_ST_SE_SF_SG_EUlST_E1_NS1_11comp_targetILNS1_3genE0ELNS1_11target_archE4294967295ELNS1_3gpuE0ELNS1_3repE0EEENS1_36merge_oddeven_config_static_selectorELNS0_4arch9wavefront6targetE1EEEvSF_: ; @_ZN7rocprim17ROCPRIM_400000_NS6detail17trampoline_kernelINS0_14default_configENS1_38merge_sort_block_merge_config_selectorIjNS0_10empty_typeEEEZZNS1_27merge_sort_block_merge_implIS3_PjPS5_jNS1_19radix_merge_compareILb1ELb0EjNS0_19identity_decomposerEEEEE10hipError_tT0_T1_T2_jT3_P12ihipStream_tbPNSt15iterator_traitsISE_E10value_typeEPNSK_ISF_E10value_typeEPSG_NS1_7vsmem_tEENKUlT_SE_SF_SG_E_clIS8_S8_S9_S9_EESD_ST_SE_SF_SG_EUlST_E1_NS1_11comp_targetILNS1_3genE0ELNS1_11target_archE4294967295ELNS1_3gpuE0ELNS1_3repE0EEENS1_36merge_oddeven_config_static_selectorELNS0_4arch9wavefront6targetE1EEEvSF_
; %bb.0:
	.section	.rodata,"a",@progbits
	.p2align	6, 0x0
	.amdhsa_kernel _ZN7rocprim17ROCPRIM_400000_NS6detail17trampoline_kernelINS0_14default_configENS1_38merge_sort_block_merge_config_selectorIjNS0_10empty_typeEEEZZNS1_27merge_sort_block_merge_implIS3_PjPS5_jNS1_19radix_merge_compareILb1ELb0EjNS0_19identity_decomposerEEEEE10hipError_tT0_T1_T2_jT3_P12ihipStream_tbPNSt15iterator_traitsISE_E10value_typeEPNSK_ISF_E10value_typeEPSG_NS1_7vsmem_tEENKUlT_SE_SF_SG_E_clIS8_S8_S9_S9_EESD_ST_SE_SF_SG_EUlST_E1_NS1_11comp_targetILNS1_3genE0ELNS1_11target_archE4294967295ELNS1_3gpuE0ELNS1_3repE0EEENS1_36merge_oddeven_config_static_selectorELNS0_4arch9wavefront6targetE1EEEvSF_
		.amdhsa_group_segment_fixed_size 0
		.amdhsa_private_segment_fixed_size 0
		.amdhsa_kernarg_size 48
		.amdhsa_user_sgpr_count 6
		.amdhsa_user_sgpr_private_segment_buffer 1
		.amdhsa_user_sgpr_dispatch_ptr 0
		.amdhsa_user_sgpr_queue_ptr 0
		.amdhsa_user_sgpr_kernarg_segment_ptr 1
		.amdhsa_user_sgpr_dispatch_id 0
		.amdhsa_user_sgpr_flat_scratch_init 0
		.amdhsa_user_sgpr_kernarg_preload_length 0
		.amdhsa_user_sgpr_kernarg_preload_offset 0
		.amdhsa_user_sgpr_private_segment_size 0
		.amdhsa_uses_dynamic_stack 0
		.amdhsa_system_sgpr_private_segment_wavefront_offset 0
		.amdhsa_system_sgpr_workgroup_id_x 1
		.amdhsa_system_sgpr_workgroup_id_y 0
		.amdhsa_system_sgpr_workgroup_id_z 0
		.amdhsa_system_sgpr_workgroup_info 0
		.amdhsa_system_vgpr_workitem_id 0
		.amdhsa_next_free_vgpr 1
		.amdhsa_next_free_sgpr 0
		.amdhsa_accum_offset 4
		.amdhsa_reserve_vcc 0
		.amdhsa_reserve_flat_scratch 0
		.amdhsa_float_round_mode_32 0
		.amdhsa_float_round_mode_16_64 0
		.amdhsa_float_denorm_mode_32 3
		.amdhsa_float_denorm_mode_16_64 3
		.amdhsa_dx10_clamp 1
		.amdhsa_ieee_mode 1
		.amdhsa_fp16_overflow 0
		.amdhsa_tg_split 0
		.amdhsa_exception_fp_ieee_invalid_op 0
		.amdhsa_exception_fp_denorm_src 0
		.amdhsa_exception_fp_ieee_div_zero 0
		.amdhsa_exception_fp_ieee_overflow 0
		.amdhsa_exception_fp_ieee_underflow 0
		.amdhsa_exception_fp_ieee_inexact 0
		.amdhsa_exception_int_div_zero 0
	.end_amdhsa_kernel
	.section	.text._ZN7rocprim17ROCPRIM_400000_NS6detail17trampoline_kernelINS0_14default_configENS1_38merge_sort_block_merge_config_selectorIjNS0_10empty_typeEEEZZNS1_27merge_sort_block_merge_implIS3_PjPS5_jNS1_19radix_merge_compareILb1ELb0EjNS0_19identity_decomposerEEEEE10hipError_tT0_T1_T2_jT3_P12ihipStream_tbPNSt15iterator_traitsISE_E10value_typeEPNSK_ISF_E10value_typeEPSG_NS1_7vsmem_tEENKUlT_SE_SF_SG_E_clIS8_S8_S9_S9_EESD_ST_SE_SF_SG_EUlST_E1_NS1_11comp_targetILNS1_3genE0ELNS1_11target_archE4294967295ELNS1_3gpuE0ELNS1_3repE0EEENS1_36merge_oddeven_config_static_selectorELNS0_4arch9wavefront6targetE1EEEvSF_,"axG",@progbits,_ZN7rocprim17ROCPRIM_400000_NS6detail17trampoline_kernelINS0_14default_configENS1_38merge_sort_block_merge_config_selectorIjNS0_10empty_typeEEEZZNS1_27merge_sort_block_merge_implIS3_PjPS5_jNS1_19radix_merge_compareILb1ELb0EjNS0_19identity_decomposerEEEEE10hipError_tT0_T1_T2_jT3_P12ihipStream_tbPNSt15iterator_traitsISE_E10value_typeEPNSK_ISF_E10value_typeEPSG_NS1_7vsmem_tEENKUlT_SE_SF_SG_E_clIS8_S8_S9_S9_EESD_ST_SE_SF_SG_EUlST_E1_NS1_11comp_targetILNS1_3genE0ELNS1_11target_archE4294967295ELNS1_3gpuE0ELNS1_3repE0EEENS1_36merge_oddeven_config_static_selectorELNS0_4arch9wavefront6targetE1EEEvSF_,comdat
.Lfunc_end2055:
	.size	_ZN7rocprim17ROCPRIM_400000_NS6detail17trampoline_kernelINS0_14default_configENS1_38merge_sort_block_merge_config_selectorIjNS0_10empty_typeEEEZZNS1_27merge_sort_block_merge_implIS3_PjPS5_jNS1_19radix_merge_compareILb1ELb0EjNS0_19identity_decomposerEEEEE10hipError_tT0_T1_T2_jT3_P12ihipStream_tbPNSt15iterator_traitsISE_E10value_typeEPNSK_ISF_E10value_typeEPSG_NS1_7vsmem_tEENKUlT_SE_SF_SG_E_clIS8_S8_S9_S9_EESD_ST_SE_SF_SG_EUlST_E1_NS1_11comp_targetILNS1_3genE0ELNS1_11target_archE4294967295ELNS1_3gpuE0ELNS1_3repE0EEENS1_36merge_oddeven_config_static_selectorELNS0_4arch9wavefront6targetE1EEEvSF_, .Lfunc_end2055-_ZN7rocprim17ROCPRIM_400000_NS6detail17trampoline_kernelINS0_14default_configENS1_38merge_sort_block_merge_config_selectorIjNS0_10empty_typeEEEZZNS1_27merge_sort_block_merge_implIS3_PjPS5_jNS1_19radix_merge_compareILb1ELb0EjNS0_19identity_decomposerEEEEE10hipError_tT0_T1_T2_jT3_P12ihipStream_tbPNSt15iterator_traitsISE_E10value_typeEPNSK_ISF_E10value_typeEPSG_NS1_7vsmem_tEENKUlT_SE_SF_SG_E_clIS8_S8_S9_S9_EESD_ST_SE_SF_SG_EUlST_E1_NS1_11comp_targetILNS1_3genE0ELNS1_11target_archE4294967295ELNS1_3gpuE0ELNS1_3repE0EEENS1_36merge_oddeven_config_static_selectorELNS0_4arch9wavefront6targetE1EEEvSF_
                                        ; -- End function
	.section	.AMDGPU.csdata,"",@progbits
; Kernel info:
; codeLenInByte = 0
; NumSgprs: 4
; NumVgprs: 0
; NumAgprs: 0
; TotalNumVgprs: 0
; ScratchSize: 0
; MemoryBound: 0
; FloatMode: 240
; IeeeMode: 1
; LDSByteSize: 0 bytes/workgroup (compile time only)
; SGPRBlocks: 0
; VGPRBlocks: 0
; NumSGPRsForWavesPerEU: 4
; NumVGPRsForWavesPerEU: 1
; AccumOffset: 4
; Occupancy: 8
; WaveLimiterHint : 0
; COMPUTE_PGM_RSRC2:SCRATCH_EN: 0
; COMPUTE_PGM_RSRC2:USER_SGPR: 6
; COMPUTE_PGM_RSRC2:TRAP_HANDLER: 0
; COMPUTE_PGM_RSRC2:TGID_X_EN: 1
; COMPUTE_PGM_RSRC2:TGID_Y_EN: 0
; COMPUTE_PGM_RSRC2:TGID_Z_EN: 0
; COMPUTE_PGM_RSRC2:TIDIG_COMP_CNT: 0
; COMPUTE_PGM_RSRC3_GFX90A:ACCUM_OFFSET: 0
; COMPUTE_PGM_RSRC3_GFX90A:TG_SPLIT: 0
	.section	.text._ZN7rocprim17ROCPRIM_400000_NS6detail17trampoline_kernelINS0_14default_configENS1_38merge_sort_block_merge_config_selectorIjNS0_10empty_typeEEEZZNS1_27merge_sort_block_merge_implIS3_PjPS5_jNS1_19radix_merge_compareILb1ELb0EjNS0_19identity_decomposerEEEEE10hipError_tT0_T1_T2_jT3_P12ihipStream_tbPNSt15iterator_traitsISE_E10value_typeEPNSK_ISF_E10value_typeEPSG_NS1_7vsmem_tEENKUlT_SE_SF_SG_E_clIS8_S8_S9_S9_EESD_ST_SE_SF_SG_EUlST_E1_NS1_11comp_targetILNS1_3genE10ELNS1_11target_archE1201ELNS1_3gpuE5ELNS1_3repE0EEENS1_36merge_oddeven_config_static_selectorELNS0_4arch9wavefront6targetE1EEEvSF_,"axG",@progbits,_ZN7rocprim17ROCPRIM_400000_NS6detail17trampoline_kernelINS0_14default_configENS1_38merge_sort_block_merge_config_selectorIjNS0_10empty_typeEEEZZNS1_27merge_sort_block_merge_implIS3_PjPS5_jNS1_19radix_merge_compareILb1ELb0EjNS0_19identity_decomposerEEEEE10hipError_tT0_T1_T2_jT3_P12ihipStream_tbPNSt15iterator_traitsISE_E10value_typeEPNSK_ISF_E10value_typeEPSG_NS1_7vsmem_tEENKUlT_SE_SF_SG_E_clIS8_S8_S9_S9_EESD_ST_SE_SF_SG_EUlST_E1_NS1_11comp_targetILNS1_3genE10ELNS1_11target_archE1201ELNS1_3gpuE5ELNS1_3repE0EEENS1_36merge_oddeven_config_static_selectorELNS0_4arch9wavefront6targetE1EEEvSF_,comdat
	.protected	_ZN7rocprim17ROCPRIM_400000_NS6detail17trampoline_kernelINS0_14default_configENS1_38merge_sort_block_merge_config_selectorIjNS0_10empty_typeEEEZZNS1_27merge_sort_block_merge_implIS3_PjPS5_jNS1_19radix_merge_compareILb1ELb0EjNS0_19identity_decomposerEEEEE10hipError_tT0_T1_T2_jT3_P12ihipStream_tbPNSt15iterator_traitsISE_E10value_typeEPNSK_ISF_E10value_typeEPSG_NS1_7vsmem_tEENKUlT_SE_SF_SG_E_clIS8_S8_S9_S9_EESD_ST_SE_SF_SG_EUlST_E1_NS1_11comp_targetILNS1_3genE10ELNS1_11target_archE1201ELNS1_3gpuE5ELNS1_3repE0EEENS1_36merge_oddeven_config_static_selectorELNS0_4arch9wavefront6targetE1EEEvSF_ ; -- Begin function _ZN7rocprim17ROCPRIM_400000_NS6detail17trampoline_kernelINS0_14default_configENS1_38merge_sort_block_merge_config_selectorIjNS0_10empty_typeEEEZZNS1_27merge_sort_block_merge_implIS3_PjPS5_jNS1_19radix_merge_compareILb1ELb0EjNS0_19identity_decomposerEEEEE10hipError_tT0_T1_T2_jT3_P12ihipStream_tbPNSt15iterator_traitsISE_E10value_typeEPNSK_ISF_E10value_typeEPSG_NS1_7vsmem_tEENKUlT_SE_SF_SG_E_clIS8_S8_S9_S9_EESD_ST_SE_SF_SG_EUlST_E1_NS1_11comp_targetILNS1_3genE10ELNS1_11target_archE1201ELNS1_3gpuE5ELNS1_3repE0EEENS1_36merge_oddeven_config_static_selectorELNS0_4arch9wavefront6targetE1EEEvSF_
	.globl	_ZN7rocprim17ROCPRIM_400000_NS6detail17trampoline_kernelINS0_14default_configENS1_38merge_sort_block_merge_config_selectorIjNS0_10empty_typeEEEZZNS1_27merge_sort_block_merge_implIS3_PjPS5_jNS1_19radix_merge_compareILb1ELb0EjNS0_19identity_decomposerEEEEE10hipError_tT0_T1_T2_jT3_P12ihipStream_tbPNSt15iterator_traitsISE_E10value_typeEPNSK_ISF_E10value_typeEPSG_NS1_7vsmem_tEENKUlT_SE_SF_SG_E_clIS8_S8_S9_S9_EESD_ST_SE_SF_SG_EUlST_E1_NS1_11comp_targetILNS1_3genE10ELNS1_11target_archE1201ELNS1_3gpuE5ELNS1_3repE0EEENS1_36merge_oddeven_config_static_selectorELNS0_4arch9wavefront6targetE1EEEvSF_
	.p2align	8
	.type	_ZN7rocprim17ROCPRIM_400000_NS6detail17trampoline_kernelINS0_14default_configENS1_38merge_sort_block_merge_config_selectorIjNS0_10empty_typeEEEZZNS1_27merge_sort_block_merge_implIS3_PjPS5_jNS1_19radix_merge_compareILb1ELb0EjNS0_19identity_decomposerEEEEE10hipError_tT0_T1_T2_jT3_P12ihipStream_tbPNSt15iterator_traitsISE_E10value_typeEPNSK_ISF_E10value_typeEPSG_NS1_7vsmem_tEENKUlT_SE_SF_SG_E_clIS8_S8_S9_S9_EESD_ST_SE_SF_SG_EUlST_E1_NS1_11comp_targetILNS1_3genE10ELNS1_11target_archE1201ELNS1_3gpuE5ELNS1_3repE0EEENS1_36merge_oddeven_config_static_selectorELNS0_4arch9wavefront6targetE1EEEvSF_,@function
_ZN7rocprim17ROCPRIM_400000_NS6detail17trampoline_kernelINS0_14default_configENS1_38merge_sort_block_merge_config_selectorIjNS0_10empty_typeEEEZZNS1_27merge_sort_block_merge_implIS3_PjPS5_jNS1_19radix_merge_compareILb1ELb0EjNS0_19identity_decomposerEEEEE10hipError_tT0_T1_T2_jT3_P12ihipStream_tbPNSt15iterator_traitsISE_E10value_typeEPNSK_ISF_E10value_typeEPSG_NS1_7vsmem_tEENKUlT_SE_SF_SG_E_clIS8_S8_S9_S9_EESD_ST_SE_SF_SG_EUlST_E1_NS1_11comp_targetILNS1_3genE10ELNS1_11target_archE1201ELNS1_3gpuE5ELNS1_3repE0EEENS1_36merge_oddeven_config_static_selectorELNS0_4arch9wavefront6targetE1EEEvSF_: ; @_ZN7rocprim17ROCPRIM_400000_NS6detail17trampoline_kernelINS0_14default_configENS1_38merge_sort_block_merge_config_selectorIjNS0_10empty_typeEEEZZNS1_27merge_sort_block_merge_implIS3_PjPS5_jNS1_19radix_merge_compareILb1ELb0EjNS0_19identity_decomposerEEEEE10hipError_tT0_T1_T2_jT3_P12ihipStream_tbPNSt15iterator_traitsISE_E10value_typeEPNSK_ISF_E10value_typeEPSG_NS1_7vsmem_tEENKUlT_SE_SF_SG_E_clIS8_S8_S9_S9_EESD_ST_SE_SF_SG_EUlST_E1_NS1_11comp_targetILNS1_3genE10ELNS1_11target_archE1201ELNS1_3gpuE5ELNS1_3repE0EEENS1_36merge_oddeven_config_static_selectorELNS0_4arch9wavefront6targetE1EEEvSF_
; %bb.0:
	.section	.rodata,"a",@progbits
	.p2align	6, 0x0
	.amdhsa_kernel _ZN7rocprim17ROCPRIM_400000_NS6detail17trampoline_kernelINS0_14default_configENS1_38merge_sort_block_merge_config_selectorIjNS0_10empty_typeEEEZZNS1_27merge_sort_block_merge_implIS3_PjPS5_jNS1_19radix_merge_compareILb1ELb0EjNS0_19identity_decomposerEEEEE10hipError_tT0_T1_T2_jT3_P12ihipStream_tbPNSt15iterator_traitsISE_E10value_typeEPNSK_ISF_E10value_typeEPSG_NS1_7vsmem_tEENKUlT_SE_SF_SG_E_clIS8_S8_S9_S9_EESD_ST_SE_SF_SG_EUlST_E1_NS1_11comp_targetILNS1_3genE10ELNS1_11target_archE1201ELNS1_3gpuE5ELNS1_3repE0EEENS1_36merge_oddeven_config_static_selectorELNS0_4arch9wavefront6targetE1EEEvSF_
		.amdhsa_group_segment_fixed_size 0
		.amdhsa_private_segment_fixed_size 0
		.amdhsa_kernarg_size 48
		.amdhsa_user_sgpr_count 6
		.amdhsa_user_sgpr_private_segment_buffer 1
		.amdhsa_user_sgpr_dispatch_ptr 0
		.amdhsa_user_sgpr_queue_ptr 0
		.amdhsa_user_sgpr_kernarg_segment_ptr 1
		.amdhsa_user_sgpr_dispatch_id 0
		.amdhsa_user_sgpr_flat_scratch_init 0
		.amdhsa_user_sgpr_kernarg_preload_length 0
		.amdhsa_user_sgpr_kernarg_preload_offset 0
		.amdhsa_user_sgpr_private_segment_size 0
		.amdhsa_uses_dynamic_stack 0
		.amdhsa_system_sgpr_private_segment_wavefront_offset 0
		.amdhsa_system_sgpr_workgroup_id_x 1
		.amdhsa_system_sgpr_workgroup_id_y 0
		.amdhsa_system_sgpr_workgroup_id_z 0
		.amdhsa_system_sgpr_workgroup_info 0
		.amdhsa_system_vgpr_workitem_id 0
		.amdhsa_next_free_vgpr 1
		.amdhsa_next_free_sgpr 0
		.amdhsa_accum_offset 4
		.amdhsa_reserve_vcc 0
		.amdhsa_reserve_flat_scratch 0
		.amdhsa_float_round_mode_32 0
		.amdhsa_float_round_mode_16_64 0
		.amdhsa_float_denorm_mode_32 3
		.amdhsa_float_denorm_mode_16_64 3
		.amdhsa_dx10_clamp 1
		.amdhsa_ieee_mode 1
		.amdhsa_fp16_overflow 0
		.amdhsa_tg_split 0
		.amdhsa_exception_fp_ieee_invalid_op 0
		.amdhsa_exception_fp_denorm_src 0
		.amdhsa_exception_fp_ieee_div_zero 0
		.amdhsa_exception_fp_ieee_overflow 0
		.amdhsa_exception_fp_ieee_underflow 0
		.amdhsa_exception_fp_ieee_inexact 0
		.amdhsa_exception_int_div_zero 0
	.end_amdhsa_kernel
	.section	.text._ZN7rocprim17ROCPRIM_400000_NS6detail17trampoline_kernelINS0_14default_configENS1_38merge_sort_block_merge_config_selectorIjNS0_10empty_typeEEEZZNS1_27merge_sort_block_merge_implIS3_PjPS5_jNS1_19radix_merge_compareILb1ELb0EjNS0_19identity_decomposerEEEEE10hipError_tT0_T1_T2_jT3_P12ihipStream_tbPNSt15iterator_traitsISE_E10value_typeEPNSK_ISF_E10value_typeEPSG_NS1_7vsmem_tEENKUlT_SE_SF_SG_E_clIS8_S8_S9_S9_EESD_ST_SE_SF_SG_EUlST_E1_NS1_11comp_targetILNS1_3genE10ELNS1_11target_archE1201ELNS1_3gpuE5ELNS1_3repE0EEENS1_36merge_oddeven_config_static_selectorELNS0_4arch9wavefront6targetE1EEEvSF_,"axG",@progbits,_ZN7rocprim17ROCPRIM_400000_NS6detail17trampoline_kernelINS0_14default_configENS1_38merge_sort_block_merge_config_selectorIjNS0_10empty_typeEEEZZNS1_27merge_sort_block_merge_implIS3_PjPS5_jNS1_19radix_merge_compareILb1ELb0EjNS0_19identity_decomposerEEEEE10hipError_tT0_T1_T2_jT3_P12ihipStream_tbPNSt15iterator_traitsISE_E10value_typeEPNSK_ISF_E10value_typeEPSG_NS1_7vsmem_tEENKUlT_SE_SF_SG_E_clIS8_S8_S9_S9_EESD_ST_SE_SF_SG_EUlST_E1_NS1_11comp_targetILNS1_3genE10ELNS1_11target_archE1201ELNS1_3gpuE5ELNS1_3repE0EEENS1_36merge_oddeven_config_static_selectorELNS0_4arch9wavefront6targetE1EEEvSF_,comdat
.Lfunc_end2056:
	.size	_ZN7rocprim17ROCPRIM_400000_NS6detail17trampoline_kernelINS0_14default_configENS1_38merge_sort_block_merge_config_selectorIjNS0_10empty_typeEEEZZNS1_27merge_sort_block_merge_implIS3_PjPS5_jNS1_19radix_merge_compareILb1ELb0EjNS0_19identity_decomposerEEEEE10hipError_tT0_T1_T2_jT3_P12ihipStream_tbPNSt15iterator_traitsISE_E10value_typeEPNSK_ISF_E10value_typeEPSG_NS1_7vsmem_tEENKUlT_SE_SF_SG_E_clIS8_S8_S9_S9_EESD_ST_SE_SF_SG_EUlST_E1_NS1_11comp_targetILNS1_3genE10ELNS1_11target_archE1201ELNS1_3gpuE5ELNS1_3repE0EEENS1_36merge_oddeven_config_static_selectorELNS0_4arch9wavefront6targetE1EEEvSF_, .Lfunc_end2056-_ZN7rocprim17ROCPRIM_400000_NS6detail17trampoline_kernelINS0_14default_configENS1_38merge_sort_block_merge_config_selectorIjNS0_10empty_typeEEEZZNS1_27merge_sort_block_merge_implIS3_PjPS5_jNS1_19radix_merge_compareILb1ELb0EjNS0_19identity_decomposerEEEEE10hipError_tT0_T1_T2_jT3_P12ihipStream_tbPNSt15iterator_traitsISE_E10value_typeEPNSK_ISF_E10value_typeEPSG_NS1_7vsmem_tEENKUlT_SE_SF_SG_E_clIS8_S8_S9_S9_EESD_ST_SE_SF_SG_EUlST_E1_NS1_11comp_targetILNS1_3genE10ELNS1_11target_archE1201ELNS1_3gpuE5ELNS1_3repE0EEENS1_36merge_oddeven_config_static_selectorELNS0_4arch9wavefront6targetE1EEEvSF_
                                        ; -- End function
	.section	.AMDGPU.csdata,"",@progbits
; Kernel info:
; codeLenInByte = 0
; NumSgprs: 4
; NumVgprs: 0
; NumAgprs: 0
; TotalNumVgprs: 0
; ScratchSize: 0
; MemoryBound: 0
; FloatMode: 240
; IeeeMode: 1
; LDSByteSize: 0 bytes/workgroup (compile time only)
; SGPRBlocks: 0
; VGPRBlocks: 0
; NumSGPRsForWavesPerEU: 4
; NumVGPRsForWavesPerEU: 1
; AccumOffset: 4
; Occupancy: 8
; WaveLimiterHint : 0
; COMPUTE_PGM_RSRC2:SCRATCH_EN: 0
; COMPUTE_PGM_RSRC2:USER_SGPR: 6
; COMPUTE_PGM_RSRC2:TRAP_HANDLER: 0
; COMPUTE_PGM_RSRC2:TGID_X_EN: 1
; COMPUTE_PGM_RSRC2:TGID_Y_EN: 0
; COMPUTE_PGM_RSRC2:TGID_Z_EN: 0
; COMPUTE_PGM_RSRC2:TIDIG_COMP_CNT: 0
; COMPUTE_PGM_RSRC3_GFX90A:ACCUM_OFFSET: 0
; COMPUTE_PGM_RSRC3_GFX90A:TG_SPLIT: 0
	.section	.text._ZN7rocprim17ROCPRIM_400000_NS6detail17trampoline_kernelINS0_14default_configENS1_38merge_sort_block_merge_config_selectorIjNS0_10empty_typeEEEZZNS1_27merge_sort_block_merge_implIS3_PjPS5_jNS1_19radix_merge_compareILb1ELb0EjNS0_19identity_decomposerEEEEE10hipError_tT0_T1_T2_jT3_P12ihipStream_tbPNSt15iterator_traitsISE_E10value_typeEPNSK_ISF_E10value_typeEPSG_NS1_7vsmem_tEENKUlT_SE_SF_SG_E_clIS8_S8_S9_S9_EESD_ST_SE_SF_SG_EUlST_E1_NS1_11comp_targetILNS1_3genE5ELNS1_11target_archE942ELNS1_3gpuE9ELNS1_3repE0EEENS1_36merge_oddeven_config_static_selectorELNS0_4arch9wavefront6targetE1EEEvSF_,"axG",@progbits,_ZN7rocprim17ROCPRIM_400000_NS6detail17trampoline_kernelINS0_14default_configENS1_38merge_sort_block_merge_config_selectorIjNS0_10empty_typeEEEZZNS1_27merge_sort_block_merge_implIS3_PjPS5_jNS1_19radix_merge_compareILb1ELb0EjNS0_19identity_decomposerEEEEE10hipError_tT0_T1_T2_jT3_P12ihipStream_tbPNSt15iterator_traitsISE_E10value_typeEPNSK_ISF_E10value_typeEPSG_NS1_7vsmem_tEENKUlT_SE_SF_SG_E_clIS8_S8_S9_S9_EESD_ST_SE_SF_SG_EUlST_E1_NS1_11comp_targetILNS1_3genE5ELNS1_11target_archE942ELNS1_3gpuE9ELNS1_3repE0EEENS1_36merge_oddeven_config_static_selectorELNS0_4arch9wavefront6targetE1EEEvSF_,comdat
	.protected	_ZN7rocprim17ROCPRIM_400000_NS6detail17trampoline_kernelINS0_14default_configENS1_38merge_sort_block_merge_config_selectorIjNS0_10empty_typeEEEZZNS1_27merge_sort_block_merge_implIS3_PjPS5_jNS1_19radix_merge_compareILb1ELb0EjNS0_19identity_decomposerEEEEE10hipError_tT0_T1_T2_jT3_P12ihipStream_tbPNSt15iterator_traitsISE_E10value_typeEPNSK_ISF_E10value_typeEPSG_NS1_7vsmem_tEENKUlT_SE_SF_SG_E_clIS8_S8_S9_S9_EESD_ST_SE_SF_SG_EUlST_E1_NS1_11comp_targetILNS1_3genE5ELNS1_11target_archE942ELNS1_3gpuE9ELNS1_3repE0EEENS1_36merge_oddeven_config_static_selectorELNS0_4arch9wavefront6targetE1EEEvSF_ ; -- Begin function _ZN7rocprim17ROCPRIM_400000_NS6detail17trampoline_kernelINS0_14default_configENS1_38merge_sort_block_merge_config_selectorIjNS0_10empty_typeEEEZZNS1_27merge_sort_block_merge_implIS3_PjPS5_jNS1_19radix_merge_compareILb1ELb0EjNS0_19identity_decomposerEEEEE10hipError_tT0_T1_T2_jT3_P12ihipStream_tbPNSt15iterator_traitsISE_E10value_typeEPNSK_ISF_E10value_typeEPSG_NS1_7vsmem_tEENKUlT_SE_SF_SG_E_clIS8_S8_S9_S9_EESD_ST_SE_SF_SG_EUlST_E1_NS1_11comp_targetILNS1_3genE5ELNS1_11target_archE942ELNS1_3gpuE9ELNS1_3repE0EEENS1_36merge_oddeven_config_static_selectorELNS0_4arch9wavefront6targetE1EEEvSF_
	.globl	_ZN7rocprim17ROCPRIM_400000_NS6detail17trampoline_kernelINS0_14default_configENS1_38merge_sort_block_merge_config_selectorIjNS0_10empty_typeEEEZZNS1_27merge_sort_block_merge_implIS3_PjPS5_jNS1_19radix_merge_compareILb1ELb0EjNS0_19identity_decomposerEEEEE10hipError_tT0_T1_T2_jT3_P12ihipStream_tbPNSt15iterator_traitsISE_E10value_typeEPNSK_ISF_E10value_typeEPSG_NS1_7vsmem_tEENKUlT_SE_SF_SG_E_clIS8_S8_S9_S9_EESD_ST_SE_SF_SG_EUlST_E1_NS1_11comp_targetILNS1_3genE5ELNS1_11target_archE942ELNS1_3gpuE9ELNS1_3repE0EEENS1_36merge_oddeven_config_static_selectorELNS0_4arch9wavefront6targetE1EEEvSF_
	.p2align	8
	.type	_ZN7rocprim17ROCPRIM_400000_NS6detail17trampoline_kernelINS0_14default_configENS1_38merge_sort_block_merge_config_selectorIjNS0_10empty_typeEEEZZNS1_27merge_sort_block_merge_implIS3_PjPS5_jNS1_19radix_merge_compareILb1ELb0EjNS0_19identity_decomposerEEEEE10hipError_tT0_T1_T2_jT3_P12ihipStream_tbPNSt15iterator_traitsISE_E10value_typeEPNSK_ISF_E10value_typeEPSG_NS1_7vsmem_tEENKUlT_SE_SF_SG_E_clIS8_S8_S9_S9_EESD_ST_SE_SF_SG_EUlST_E1_NS1_11comp_targetILNS1_3genE5ELNS1_11target_archE942ELNS1_3gpuE9ELNS1_3repE0EEENS1_36merge_oddeven_config_static_selectorELNS0_4arch9wavefront6targetE1EEEvSF_,@function
_ZN7rocprim17ROCPRIM_400000_NS6detail17trampoline_kernelINS0_14default_configENS1_38merge_sort_block_merge_config_selectorIjNS0_10empty_typeEEEZZNS1_27merge_sort_block_merge_implIS3_PjPS5_jNS1_19radix_merge_compareILb1ELb0EjNS0_19identity_decomposerEEEEE10hipError_tT0_T1_T2_jT3_P12ihipStream_tbPNSt15iterator_traitsISE_E10value_typeEPNSK_ISF_E10value_typeEPSG_NS1_7vsmem_tEENKUlT_SE_SF_SG_E_clIS8_S8_S9_S9_EESD_ST_SE_SF_SG_EUlST_E1_NS1_11comp_targetILNS1_3genE5ELNS1_11target_archE942ELNS1_3gpuE9ELNS1_3repE0EEENS1_36merge_oddeven_config_static_selectorELNS0_4arch9wavefront6targetE1EEEvSF_: ; @_ZN7rocprim17ROCPRIM_400000_NS6detail17trampoline_kernelINS0_14default_configENS1_38merge_sort_block_merge_config_selectorIjNS0_10empty_typeEEEZZNS1_27merge_sort_block_merge_implIS3_PjPS5_jNS1_19radix_merge_compareILb1ELb0EjNS0_19identity_decomposerEEEEE10hipError_tT0_T1_T2_jT3_P12ihipStream_tbPNSt15iterator_traitsISE_E10value_typeEPNSK_ISF_E10value_typeEPSG_NS1_7vsmem_tEENKUlT_SE_SF_SG_E_clIS8_S8_S9_S9_EESD_ST_SE_SF_SG_EUlST_E1_NS1_11comp_targetILNS1_3genE5ELNS1_11target_archE942ELNS1_3gpuE9ELNS1_3repE0EEENS1_36merge_oddeven_config_static_selectorELNS0_4arch9wavefront6targetE1EEEvSF_
; %bb.0:
	.section	.rodata,"a",@progbits
	.p2align	6, 0x0
	.amdhsa_kernel _ZN7rocprim17ROCPRIM_400000_NS6detail17trampoline_kernelINS0_14default_configENS1_38merge_sort_block_merge_config_selectorIjNS0_10empty_typeEEEZZNS1_27merge_sort_block_merge_implIS3_PjPS5_jNS1_19radix_merge_compareILb1ELb0EjNS0_19identity_decomposerEEEEE10hipError_tT0_T1_T2_jT3_P12ihipStream_tbPNSt15iterator_traitsISE_E10value_typeEPNSK_ISF_E10value_typeEPSG_NS1_7vsmem_tEENKUlT_SE_SF_SG_E_clIS8_S8_S9_S9_EESD_ST_SE_SF_SG_EUlST_E1_NS1_11comp_targetILNS1_3genE5ELNS1_11target_archE942ELNS1_3gpuE9ELNS1_3repE0EEENS1_36merge_oddeven_config_static_selectorELNS0_4arch9wavefront6targetE1EEEvSF_
		.amdhsa_group_segment_fixed_size 0
		.amdhsa_private_segment_fixed_size 0
		.amdhsa_kernarg_size 48
		.amdhsa_user_sgpr_count 6
		.amdhsa_user_sgpr_private_segment_buffer 1
		.amdhsa_user_sgpr_dispatch_ptr 0
		.amdhsa_user_sgpr_queue_ptr 0
		.amdhsa_user_sgpr_kernarg_segment_ptr 1
		.amdhsa_user_sgpr_dispatch_id 0
		.amdhsa_user_sgpr_flat_scratch_init 0
		.amdhsa_user_sgpr_kernarg_preload_length 0
		.amdhsa_user_sgpr_kernarg_preload_offset 0
		.amdhsa_user_sgpr_private_segment_size 0
		.amdhsa_uses_dynamic_stack 0
		.amdhsa_system_sgpr_private_segment_wavefront_offset 0
		.amdhsa_system_sgpr_workgroup_id_x 1
		.amdhsa_system_sgpr_workgroup_id_y 0
		.amdhsa_system_sgpr_workgroup_id_z 0
		.amdhsa_system_sgpr_workgroup_info 0
		.amdhsa_system_vgpr_workitem_id 0
		.amdhsa_next_free_vgpr 1
		.amdhsa_next_free_sgpr 0
		.amdhsa_accum_offset 4
		.amdhsa_reserve_vcc 0
		.amdhsa_reserve_flat_scratch 0
		.amdhsa_float_round_mode_32 0
		.amdhsa_float_round_mode_16_64 0
		.amdhsa_float_denorm_mode_32 3
		.amdhsa_float_denorm_mode_16_64 3
		.amdhsa_dx10_clamp 1
		.amdhsa_ieee_mode 1
		.amdhsa_fp16_overflow 0
		.amdhsa_tg_split 0
		.amdhsa_exception_fp_ieee_invalid_op 0
		.amdhsa_exception_fp_denorm_src 0
		.amdhsa_exception_fp_ieee_div_zero 0
		.amdhsa_exception_fp_ieee_overflow 0
		.amdhsa_exception_fp_ieee_underflow 0
		.amdhsa_exception_fp_ieee_inexact 0
		.amdhsa_exception_int_div_zero 0
	.end_amdhsa_kernel
	.section	.text._ZN7rocprim17ROCPRIM_400000_NS6detail17trampoline_kernelINS0_14default_configENS1_38merge_sort_block_merge_config_selectorIjNS0_10empty_typeEEEZZNS1_27merge_sort_block_merge_implIS3_PjPS5_jNS1_19radix_merge_compareILb1ELb0EjNS0_19identity_decomposerEEEEE10hipError_tT0_T1_T2_jT3_P12ihipStream_tbPNSt15iterator_traitsISE_E10value_typeEPNSK_ISF_E10value_typeEPSG_NS1_7vsmem_tEENKUlT_SE_SF_SG_E_clIS8_S8_S9_S9_EESD_ST_SE_SF_SG_EUlST_E1_NS1_11comp_targetILNS1_3genE5ELNS1_11target_archE942ELNS1_3gpuE9ELNS1_3repE0EEENS1_36merge_oddeven_config_static_selectorELNS0_4arch9wavefront6targetE1EEEvSF_,"axG",@progbits,_ZN7rocprim17ROCPRIM_400000_NS6detail17trampoline_kernelINS0_14default_configENS1_38merge_sort_block_merge_config_selectorIjNS0_10empty_typeEEEZZNS1_27merge_sort_block_merge_implIS3_PjPS5_jNS1_19radix_merge_compareILb1ELb0EjNS0_19identity_decomposerEEEEE10hipError_tT0_T1_T2_jT3_P12ihipStream_tbPNSt15iterator_traitsISE_E10value_typeEPNSK_ISF_E10value_typeEPSG_NS1_7vsmem_tEENKUlT_SE_SF_SG_E_clIS8_S8_S9_S9_EESD_ST_SE_SF_SG_EUlST_E1_NS1_11comp_targetILNS1_3genE5ELNS1_11target_archE942ELNS1_3gpuE9ELNS1_3repE0EEENS1_36merge_oddeven_config_static_selectorELNS0_4arch9wavefront6targetE1EEEvSF_,comdat
.Lfunc_end2057:
	.size	_ZN7rocprim17ROCPRIM_400000_NS6detail17trampoline_kernelINS0_14default_configENS1_38merge_sort_block_merge_config_selectorIjNS0_10empty_typeEEEZZNS1_27merge_sort_block_merge_implIS3_PjPS5_jNS1_19radix_merge_compareILb1ELb0EjNS0_19identity_decomposerEEEEE10hipError_tT0_T1_T2_jT3_P12ihipStream_tbPNSt15iterator_traitsISE_E10value_typeEPNSK_ISF_E10value_typeEPSG_NS1_7vsmem_tEENKUlT_SE_SF_SG_E_clIS8_S8_S9_S9_EESD_ST_SE_SF_SG_EUlST_E1_NS1_11comp_targetILNS1_3genE5ELNS1_11target_archE942ELNS1_3gpuE9ELNS1_3repE0EEENS1_36merge_oddeven_config_static_selectorELNS0_4arch9wavefront6targetE1EEEvSF_, .Lfunc_end2057-_ZN7rocprim17ROCPRIM_400000_NS6detail17trampoline_kernelINS0_14default_configENS1_38merge_sort_block_merge_config_selectorIjNS0_10empty_typeEEEZZNS1_27merge_sort_block_merge_implIS3_PjPS5_jNS1_19radix_merge_compareILb1ELb0EjNS0_19identity_decomposerEEEEE10hipError_tT0_T1_T2_jT3_P12ihipStream_tbPNSt15iterator_traitsISE_E10value_typeEPNSK_ISF_E10value_typeEPSG_NS1_7vsmem_tEENKUlT_SE_SF_SG_E_clIS8_S8_S9_S9_EESD_ST_SE_SF_SG_EUlST_E1_NS1_11comp_targetILNS1_3genE5ELNS1_11target_archE942ELNS1_3gpuE9ELNS1_3repE0EEENS1_36merge_oddeven_config_static_selectorELNS0_4arch9wavefront6targetE1EEEvSF_
                                        ; -- End function
	.section	.AMDGPU.csdata,"",@progbits
; Kernel info:
; codeLenInByte = 0
; NumSgprs: 4
; NumVgprs: 0
; NumAgprs: 0
; TotalNumVgprs: 0
; ScratchSize: 0
; MemoryBound: 0
; FloatMode: 240
; IeeeMode: 1
; LDSByteSize: 0 bytes/workgroup (compile time only)
; SGPRBlocks: 0
; VGPRBlocks: 0
; NumSGPRsForWavesPerEU: 4
; NumVGPRsForWavesPerEU: 1
; AccumOffset: 4
; Occupancy: 8
; WaveLimiterHint : 0
; COMPUTE_PGM_RSRC2:SCRATCH_EN: 0
; COMPUTE_PGM_RSRC2:USER_SGPR: 6
; COMPUTE_PGM_RSRC2:TRAP_HANDLER: 0
; COMPUTE_PGM_RSRC2:TGID_X_EN: 1
; COMPUTE_PGM_RSRC2:TGID_Y_EN: 0
; COMPUTE_PGM_RSRC2:TGID_Z_EN: 0
; COMPUTE_PGM_RSRC2:TIDIG_COMP_CNT: 0
; COMPUTE_PGM_RSRC3_GFX90A:ACCUM_OFFSET: 0
; COMPUTE_PGM_RSRC3_GFX90A:TG_SPLIT: 0
	.section	.text._ZN7rocprim17ROCPRIM_400000_NS6detail17trampoline_kernelINS0_14default_configENS1_38merge_sort_block_merge_config_selectorIjNS0_10empty_typeEEEZZNS1_27merge_sort_block_merge_implIS3_PjPS5_jNS1_19radix_merge_compareILb1ELb0EjNS0_19identity_decomposerEEEEE10hipError_tT0_T1_T2_jT3_P12ihipStream_tbPNSt15iterator_traitsISE_E10value_typeEPNSK_ISF_E10value_typeEPSG_NS1_7vsmem_tEENKUlT_SE_SF_SG_E_clIS8_S8_S9_S9_EESD_ST_SE_SF_SG_EUlST_E1_NS1_11comp_targetILNS1_3genE4ELNS1_11target_archE910ELNS1_3gpuE8ELNS1_3repE0EEENS1_36merge_oddeven_config_static_selectorELNS0_4arch9wavefront6targetE1EEEvSF_,"axG",@progbits,_ZN7rocprim17ROCPRIM_400000_NS6detail17trampoline_kernelINS0_14default_configENS1_38merge_sort_block_merge_config_selectorIjNS0_10empty_typeEEEZZNS1_27merge_sort_block_merge_implIS3_PjPS5_jNS1_19radix_merge_compareILb1ELb0EjNS0_19identity_decomposerEEEEE10hipError_tT0_T1_T2_jT3_P12ihipStream_tbPNSt15iterator_traitsISE_E10value_typeEPNSK_ISF_E10value_typeEPSG_NS1_7vsmem_tEENKUlT_SE_SF_SG_E_clIS8_S8_S9_S9_EESD_ST_SE_SF_SG_EUlST_E1_NS1_11comp_targetILNS1_3genE4ELNS1_11target_archE910ELNS1_3gpuE8ELNS1_3repE0EEENS1_36merge_oddeven_config_static_selectorELNS0_4arch9wavefront6targetE1EEEvSF_,comdat
	.protected	_ZN7rocprim17ROCPRIM_400000_NS6detail17trampoline_kernelINS0_14default_configENS1_38merge_sort_block_merge_config_selectorIjNS0_10empty_typeEEEZZNS1_27merge_sort_block_merge_implIS3_PjPS5_jNS1_19radix_merge_compareILb1ELb0EjNS0_19identity_decomposerEEEEE10hipError_tT0_T1_T2_jT3_P12ihipStream_tbPNSt15iterator_traitsISE_E10value_typeEPNSK_ISF_E10value_typeEPSG_NS1_7vsmem_tEENKUlT_SE_SF_SG_E_clIS8_S8_S9_S9_EESD_ST_SE_SF_SG_EUlST_E1_NS1_11comp_targetILNS1_3genE4ELNS1_11target_archE910ELNS1_3gpuE8ELNS1_3repE0EEENS1_36merge_oddeven_config_static_selectorELNS0_4arch9wavefront6targetE1EEEvSF_ ; -- Begin function _ZN7rocprim17ROCPRIM_400000_NS6detail17trampoline_kernelINS0_14default_configENS1_38merge_sort_block_merge_config_selectorIjNS0_10empty_typeEEEZZNS1_27merge_sort_block_merge_implIS3_PjPS5_jNS1_19radix_merge_compareILb1ELb0EjNS0_19identity_decomposerEEEEE10hipError_tT0_T1_T2_jT3_P12ihipStream_tbPNSt15iterator_traitsISE_E10value_typeEPNSK_ISF_E10value_typeEPSG_NS1_7vsmem_tEENKUlT_SE_SF_SG_E_clIS8_S8_S9_S9_EESD_ST_SE_SF_SG_EUlST_E1_NS1_11comp_targetILNS1_3genE4ELNS1_11target_archE910ELNS1_3gpuE8ELNS1_3repE0EEENS1_36merge_oddeven_config_static_selectorELNS0_4arch9wavefront6targetE1EEEvSF_
	.globl	_ZN7rocprim17ROCPRIM_400000_NS6detail17trampoline_kernelINS0_14default_configENS1_38merge_sort_block_merge_config_selectorIjNS0_10empty_typeEEEZZNS1_27merge_sort_block_merge_implIS3_PjPS5_jNS1_19radix_merge_compareILb1ELb0EjNS0_19identity_decomposerEEEEE10hipError_tT0_T1_T2_jT3_P12ihipStream_tbPNSt15iterator_traitsISE_E10value_typeEPNSK_ISF_E10value_typeEPSG_NS1_7vsmem_tEENKUlT_SE_SF_SG_E_clIS8_S8_S9_S9_EESD_ST_SE_SF_SG_EUlST_E1_NS1_11comp_targetILNS1_3genE4ELNS1_11target_archE910ELNS1_3gpuE8ELNS1_3repE0EEENS1_36merge_oddeven_config_static_selectorELNS0_4arch9wavefront6targetE1EEEvSF_
	.p2align	8
	.type	_ZN7rocprim17ROCPRIM_400000_NS6detail17trampoline_kernelINS0_14default_configENS1_38merge_sort_block_merge_config_selectorIjNS0_10empty_typeEEEZZNS1_27merge_sort_block_merge_implIS3_PjPS5_jNS1_19radix_merge_compareILb1ELb0EjNS0_19identity_decomposerEEEEE10hipError_tT0_T1_T2_jT3_P12ihipStream_tbPNSt15iterator_traitsISE_E10value_typeEPNSK_ISF_E10value_typeEPSG_NS1_7vsmem_tEENKUlT_SE_SF_SG_E_clIS8_S8_S9_S9_EESD_ST_SE_SF_SG_EUlST_E1_NS1_11comp_targetILNS1_3genE4ELNS1_11target_archE910ELNS1_3gpuE8ELNS1_3repE0EEENS1_36merge_oddeven_config_static_selectorELNS0_4arch9wavefront6targetE1EEEvSF_,@function
_ZN7rocprim17ROCPRIM_400000_NS6detail17trampoline_kernelINS0_14default_configENS1_38merge_sort_block_merge_config_selectorIjNS0_10empty_typeEEEZZNS1_27merge_sort_block_merge_implIS3_PjPS5_jNS1_19radix_merge_compareILb1ELb0EjNS0_19identity_decomposerEEEEE10hipError_tT0_T1_T2_jT3_P12ihipStream_tbPNSt15iterator_traitsISE_E10value_typeEPNSK_ISF_E10value_typeEPSG_NS1_7vsmem_tEENKUlT_SE_SF_SG_E_clIS8_S8_S9_S9_EESD_ST_SE_SF_SG_EUlST_E1_NS1_11comp_targetILNS1_3genE4ELNS1_11target_archE910ELNS1_3gpuE8ELNS1_3repE0EEENS1_36merge_oddeven_config_static_selectorELNS0_4arch9wavefront6targetE1EEEvSF_: ; @_ZN7rocprim17ROCPRIM_400000_NS6detail17trampoline_kernelINS0_14default_configENS1_38merge_sort_block_merge_config_selectorIjNS0_10empty_typeEEEZZNS1_27merge_sort_block_merge_implIS3_PjPS5_jNS1_19radix_merge_compareILb1ELb0EjNS0_19identity_decomposerEEEEE10hipError_tT0_T1_T2_jT3_P12ihipStream_tbPNSt15iterator_traitsISE_E10value_typeEPNSK_ISF_E10value_typeEPSG_NS1_7vsmem_tEENKUlT_SE_SF_SG_E_clIS8_S8_S9_S9_EESD_ST_SE_SF_SG_EUlST_E1_NS1_11comp_targetILNS1_3genE4ELNS1_11target_archE910ELNS1_3gpuE8ELNS1_3repE0EEENS1_36merge_oddeven_config_static_selectorELNS0_4arch9wavefront6targetE1EEEvSF_
; %bb.0:
	s_load_dword s18, s[4:5], 0x20
	s_waitcnt lgkmcnt(0)
	s_lshr_b32 s0, s18, 8
	s_cmp_lg_u32 s6, s0
	s_cselect_b64 s[14:15], -1, 0
	s_cmp_eq_u32 s6, s0
	s_cselect_b64 s[12:13], -1, 0
	s_lshl_b32 s16, s6, 8
	s_sub_i32 s0, s18, s16
	v_cmp_gt_u32_e64 s[2:3], s0, v0
	s_or_b64 s[0:1], s[14:15], s[2:3]
	s_and_saveexec_b64 s[8:9], s[0:1]
	s_cbranch_execz .LBB2058_20
; %bb.1:
	s_load_dwordx4 s[8:11], s[4:5], 0x0
	s_load_dword s19, s[4:5], 0x24
	s_mov_b32 s17, 0
	s_lshl_b64 s[0:1], s[16:17], 2
	v_lshlrev_b32_e32 v1, 2, v0
	s_waitcnt lgkmcnt(0)
	s_add_u32 s0, s8, s0
	s_addc_u32 s1, s9, s1
	global_load_dword v2, v1, s[0:1]
	s_lshr_b32 s0, s19, 8
	s_sub_i32 s1, 0, s0
	s_and_b32 s1, s6, s1
	s_and_b32 s0, s1, s0
	s_lshl_b32 s20, s1, 8
	s_sub_i32 s6, 0, s19
	s_cmp_eq_u32 s0, 0
	s_cselect_b64 s[0:1], -1, 0
	s_and_b64 s[4:5], s[0:1], exec
	s_cselect_b32 s17, s19, s6
	s_add_i32 s17, s17, s20
	s_cmp_lt_u32 s17, s18
	v_add_u32_e32 v0, s16, v0
	s_cbranch_scc1 .LBB2058_3
; %bb.2:
	v_cmp_gt_u32_e32 vcc, s18, v0
	s_or_b64 s[4:5], vcc, s[14:15]
	s_and_b64 s[4:5], s[4:5], exec
	s_cbranch_execz .LBB2058_4
	s_branch .LBB2058_18
.LBB2058_3:
	s_mov_b64 s[4:5], 0
.LBB2058_4:
	s_min_u32 s14, s17, s18
	s_add_i32 s6, s14, s19
	s_min_u32 s15, s6, s18
	s_min_u32 s6, s20, s14
	s_add_i32 s20, s20, s14
	v_subrev_u32_e32 v0, s20, v0
	v_add_u32_e32 v3, s6, v0
	s_and_b64 vcc, exec, s[12:13]
	s_cbranch_vccz .LBB2058_12
; %bb.5:
                                        ; implicit-def: $vgpr0
	s_and_saveexec_b64 s[6:7], s[2:3]
	s_cbranch_execz .LBB2058_11
; %bb.6:
	s_cmp_ge_u32 s17, s15
	v_mov_b32_e32 v4, s14
	s_cbranch_scc1 .LBB2058_10
; %bb.7:
	s_mov_b64 s[2:3], 0
	v_mov_b32_e32 v5, s15
	v_mov_b32_e32 v4, s14
	;; [unrolled: 1-line block ×4, first 2 shown]
.LBB2058_8:                             ; =>This Inner Loop Header: Depth=1
	v_add_u32_e32 v0, v4, v5
	v_lshrrev_b32_e32 v0, 1, v0
	v_lshlrev_b64 v[8:9], 2, v[0:1]
	v_add_co_u32_e32 v8, vcc, s8, v8
	v_addc_co_u32_e32 v9, vcc, v6, v9, vcc
	global_load_dword v7, v[8:9], off
	v_add_u32_e32 v8, 1, v0
	s_waitcnt vmcnt(0)
	v_cmp_gt_u32_e32 vcc, v7, v2
	v_cndmask_b32_e64 v9, 0, 1, vcc
	v_cmp_le_u32_e32 vcc, v2, v7
	v_cndmask_b32_e64 v7, 0, 1, vcc
	v_cndmask_b32_e64 v7, v7, v9, s[0:1]
	v_and_b32_e32 v7, 1, v7
	v_cmp_eq_u32_e32 vcc, 1, v7
	v_cndmask_b32_e32 v5, v0, v5, vcc
	v_cndmask_b32_e32 v4, v4, v8, vcc
	v_cmp_ge_u32_e32 vcc, v4, v5
	s_or_b64 s[2:3], vcc, s[2:3]
	s_andn2_b64 exec, exec, s[2:3]
	s_cbranch_execnz .LBB2058_8
; %bb.9:
	s_or_b64 exec, exec, s[2:3]
.LBB2058_10:
	v_add_u32_e32 v0, v4, v3
	s_or_b64 s[4:5], s[4:5], exec
.LBB2058_11:
	s_or_b64 exec, exec, s[6:7]
	s_branch .LBB2058_18
.LBB2058_12:
                                        ; implicit-def: $vgpr0
	s_cbranch_execz .LBB2058_18
; %bb.13:
	s_cmp_ge_u32 s17, s15
	v_mov_b32_e32 v4, s14
	s_cbranch_scc1 .LBB2058_17
; %bb.14:
	s_mov_b64 s[2:3], 0
	v_mov_b32_e32 v5, s15
	v_mov_b32_e32 v4, s14
	v_mov_b32_e32 v1, 0
	v_mov_b32_e32 v6, s9
.LBB2058_15:                            ; =>This Inner Loop Header: Depth=1
	v_add_u32_e32 v0, v4, v5
	v_lshrrev_b32_e32 v0, 1, v0
	v_lshlrev_b64 v[8:9], 2, v[0:1]
	v_add_co_u32_e32 v8, vcc, s8, v8
	v_addc_co_u32_e32 v9, vcc, v6, v9, vcc
	global_load_dword v7, v[8:9], off
	v_add_u32_e32 v8, 1, v0
	s_waitcnt vmcnt(0)
	v_cmp_gt_u32_e32 vcc, v7, v2
	v_cndmask_b32_e64 v9, 0, 1, vcc
	v_cmp_le_u32_e32 vcc, v2, v7
	v_cndmask_b32_e64 v7, 0, 1, vcc
	v_cndmask_b32_e64 v7, v7, v9, s[0:1]
	v_and_b32_e32 v7, 1, v7
	v_cmp_eq_u32_e32 vcc, 1, v7
	v_cndmask_b32_e32 v5, v0, v5, vcc
	v_cndmask_b32_e32 v4, v4, v8, vcc
	v_cmp_ge_u32_e32 vcc, v4, v5
	s_or_b64 s[2:3], vcc, s[2:3]
	s_andn2_b64 exec, exec, s[2:3]
	s_cbranch_execnz .LBB2058_15
; %bb.16:
	s_or_b64 exec, exec, s[2:3]
.LBB2058_17:
	v_add_u32_e32 v0, v4, v3
	s_mov_b64 s[4:5], -1
.LBB2058_18:
	s_and_b64 exec, exec, s[4:5]
	s_cbranch_execz .LBB2058_20
; %bb.19:
	v_mov_b32_e32 v1, 0
	v_lshlrev_b64 v[0:1], 2, v[0:1]
	v_mov_b32_e32 v3, s11
	v_add_co_u32_e32 v0, vcc, s10, v0
	v_addc_co_u32_e32 v1, vcc, v3, v1, vcc
	s_waitcnt vmcnt(0)
	global_store_dword v[0:1], v2, off
.LBB2058_20:
	s_endpgm
	.section	.rodata,"a",@progbits
	.p2align	6, 0x0
	.amdhsa_kernel _ZN7rocprim17ROCPRIM_400000_NS6detail17trampoline_kernelINS0_14default_configENS1_38merge_sort_block_merge_config_selectorIjNS0_10empty_typeEEEZZNS1_27merge_sort_block_merge_implIS3_PjPS5_jNS1_19radix_merge_compareILb1ELb0EjNS0_19identity_decomposerEEEEE10hipError_tT0_T1_T2_jT3_P12ihipStream_tbPNSt15iterator_traitsISE_E10value_typeEPNSK_ISF_E10value_typeEPSG_NS1_7vsmem_tEENKUlT_SE_SF_SG_E_clIS8_S8_S9_S9_EESD_ST_SE_SF_SG_EUlST_E1_NS1_11comp_targetILNS1_3genE4ELNS1_11target_archE910ELNS1_3gpuE8ELNS1_3repE0EEENS1_36merge_oddeven_config_static_selectorELNS0_4arch9wavefront6targetE1EEEvSF_
		.amdhsa_group_segment_fixed_size 0
		.amdhsa_private_segment_fixed_size 0
		.amdhsa_kernarg_size 48
		.amdhsa_user_sgpr_count 6
		.amdhsa_user_sgpr_private_segment_buffer 1
		.amdhsa_user_sgpr_dispatch_ptr 0
		.amdhsa_user_sgpr_queue_ptr 0
		.amdhsa_user_sgpr_kernarg_segment_ptr 1
		.amdhsa_user_sgpr_dispatch_id 0
		.amdhsa_user_sgpr_flat_scratch_init 0
		.amdhsa_user_sgpr_kernarg_preload_length 0
		.amdhsa_user_sgpr_kernarg_preload_offset 0
		.amdhsa_user_sgpr_private_segment_size 0
		.amdhsa_uses_dynamic_stack 0
		.amdhsa_system_sgpr_private_segment_wavefront_offset 0
		.amdhsa_system_sgpr_workgroup_id_x 1
		.amdhsa_system_sgpr_workgroup_id_y 0
		.amdhsa_system_sgpr_workgroup_id_z 0
		.amdhsa_system_sgpr_workgroup_info 0
		.amdhsa_system_vgpr_workitem_id 0
		.amdhsa_next_free_vgpr 10
		.amdhsa_next_free_sgpr 21
		.amdhsa_accum_offset 12
		.amdhsa_reserve_vcc 1
		.amdhsa_reserve_flat_scratch 0
		.amdhsa_float_round_mode_32 0
		.amdhsa_float_round_mode_16_64 0
		.amdhsa_float_denorm_mode_32 3
		.amdhsa_float_denorm_mode_16_64 3
		.amdhsa_dx10_clamp 1
		.amdhsa_ieee_mode 1
		.amdhsa_fp16_overflow 0
		.amdhsa_tg_split 0
		.amdhsa_exception_fp_ieee_invalid_op 0
		.amdhsa_exception_fp_denorm_src 0
		.amdhsa_exception_fp_ieee_div_zero 0
		.amdhsa_exception_fp_ieee_overflow 0
		.amdhsa_exception_fp_ieee_underflow 0
		.amdhsa_exception_fp_ieee_inexact 0
		.amdhsa_exception_int_div_zero 0
	.end_amdhsa_kernel
	.section	.text._ZN7rocprim17ROCPRIM_400000_NS6detail17trampoline_kernelINS0_14default_configENS1_38merge_sort_block_merge_config_selectorIjNS0_10empty_typeEEEZZNS1_27merge_sort_block_merge_implIS3_PjPS5_jNS1_19radix_merge_compareILb1ELb0EjNS0_19identity_decomposerEEEEE10hipError_tT0_T1_T2_jT3_P12ihipStream_tbPNSt15iterator_traitsISE_E10value_typeEPNSK_ISF_E10value_typeEPSG_NS1_7vsmem_tEENKUlT_SE_SF_SG_E_clIS8_S8_S9_S9_EESD_ST_SE_SF_SG_EUlST_E1_NS1_11comp_targetILNS1_3genE4ELNS1_11target_archE910ELNS1_3gpuE8ELNS1_3repE0EEENS1_36merge_oddeven_config_static_selectorELNS0_4arch9wavefront6targetE1EEEvSF_,"axG",@progbits,_ZN7rocprim17ROCPRIM_400000_NS6detail17trampoline_kernelINS0_14default_configENS1_38merge_sort_block_merge_config_selectorIjNS0_10empty_typeEEEZZNS1_27merge_sort_block_merge_implIS3_PjPS5_jNS1_19radix_merge_compareILb1ELb0EjNS0_19identity_decomposerEEEEE10hipError_tT0_T1_T2_jT3_P12ihipStream_tbPNSt15iterator_traitsISE_E10value_typeEPNSK_ISF_E10value_typeEPSG_NS1_7vsmem_tEENKUlT_SE_SF_SG_E_clIS8_S8_S9_S9_EESD_ST_SE_SF_SG_EUlST_E1_NS1_11comp_targetILNS1_3genE4ELNS1_11target_archE910ELNS1_3gpuE8ELNS1_3repE0EEENS1_36merge_oddeven_config_static_selectorELNS0_4arch9wavefront6targetE1EEEvSF_,comdat
.Lfunc_end2058:
	.size	_ZN7rocprim17ROCPRIM_400000_NS6detail17trampoline_kernelINS0_14default_configENS1_38merge_sort_block_merge_config_selectorIjNS0_10empty_typeEEEZZNS1_27merge_sort_block_merge_implIS3_PjPS5_jNS1_19radix_merge_compareILb1ELb0EjNS0_19identity_decomposerEEEEE10hipError_tT0_T1_T2_jT3_P12ihipStream_tbPNSt15iterator_traitsISE_E10value_typeEPNSK_ISF_E10value_typeEPSG_NS1_7vsmem_tEENKUlT_SE_SF_SG_E_clIS8_S8_S9_S9_EESD_ST_SE_SF_SG_EUlST_E1_NS1_11comp_targetILNS1_3genE4ELNS1_11target_archE910ELNS1_3gpuE8ELNS1_3repE0EEENS1_36merge_oddeven_config_static_selectorELNS0_4arch9wavefront6targetE1EEEvSF_, .Lfunc_end2058-_ZN7rocprim17ROCPRIM_400000_NS6detail17trampoline_kernelINS0_14default_configENS1_38merge_sort_block_merge_config_selectorIjNS0_10empty_typeEEEZZNS1_27merge_sort_block_merge_implIS3_PjPS5_jNS1_19radix_merge_compareILb1ELb0EjNS0_19identity_decomposerEEEEE10hipError_tT0_T1_T2_jT3_P12ihipStream_tbPNSt15iterator_traitsISE_E10value_typeEPNSK_ISF_E10value_typeEPSG_NS1_7vsmem_tEENKUlT_SE_SF_SG_E_clIS8_S8_S9_S9_EESD_ST_SE_SF_SG_EUlST_E1_NS1_11comp_targetILNS1_3genE4ELNS1_11target_archE910ELNS1_3gpuE8ELNS1_3repE0EEENS1_36merge_oddeven_config_static_selectorELNS0_4arch9wavefront6targetE1EEEvSF_
                                        ; -- End function
	.section	.AMDGPU.csdata,"",@progbits
; Kernel info:
; codeLenInByte = 588
; NumSgprs: 25
; NumVgprs: 10
; NumAgprs: 0
; TotalNumVgprs: 10
; ScratchSize: 0
; MemoryBound: 0
; FloatMode: 240
; IeeeMode: 1
; LDSByteSize: 0 bytes/workgroup (compile time only)
; SGPRBlocks: 3
; VGPRBlocks: 1
; NumSGPRsForWavesPerEU: 25
; NumVGPRsForWavesPerEU: 10
; AccumOffset: 12
; Occupancy: 8
; WaveLimiterHint : 0
; COMPUTE_PGM_RSRC2:SCRATCH_EN: 0
; COMPUTE_PGM_RSRC2:USER_SGPR: 6
; COMPUTE_PGM_RSRC2:TRAP_HANDLER: 0
; COMPUTE_PGM_RSRC2:TGID_X_EN: 1
; COMPUTE_PGM_RSRC2:TGID_Y_EN: 0
; COMPUTE_PGM_RSRC2:TGID_Z_EN: 0
; COMPUTE_PGM_RSRC2:TIDIG_COMP_CNT: 0
; COMPUTE_PGM_RSRC3_GFX90A:ACCUM_OFFSET: 2
; COMPUTE_PGM_RSRC3_GFX90A:TG_SPLIT: 0
	.section	.text._ZN7rocprim17ROCPRIM_400000_NS6detail17trampoline_kernelINS0_14default_configENS1_38merge_sort_block_merge_config_selectorIjNS0_10empty_typeEEEZZNS1_27merge_sort_block_merge_implIS3_PjPS5_jNS1_19radix_merge_compareILb1ELb0EjNS0_19identity_decomposerEEEEE10hipError_tT0_T1_T2_jT3_P12ihipStream_tbPNSt15iterator_traitsISE_E10value_typeEPNSK_ISF_E10value_typeEPSG_NS1_7vsmem_tEENKUlT_SE_SF_SG_E_clIS8_S8_S9_S9_EESD_ST_SE_SF_SG_EUlST_E1_NS1_11comp_targetILNS1_3genE3ELNS1_11target_archE908ELNS1_3gpuE7ELNS1_3repE0EEENS1_36merge_oddeven_config_static_selectorELNS0_4arch9wavefront6targetE1EEEvSF_,"axG",@progbits,_ZN7rocprim17ROCPRIM_400000_NS6detail17trampoline_kernelINS0_14default_configENS1_38merge_sort_block_merge_config_selectorIjNS0_10empty_typeEEEZZNS1_27merge_sort_block_merge_implIS3_PjPS5_jNS1_19radix_merge_compareILb1ELb0EjNS0_19identity_decomposerEEEEE10hipError_tT0_T1_T2_jT3_P12ihipStream_tbPNSt15iterator_traitsISE_E10value_typeEPNSK_ISF_E10value_typeEPSG_NS1_7vsmem_tEENKUlT_SE_SF_SG_E_clIS8_S8_S9_S9_EESD_ST_SE_SF_SG_EUlST_E1_NS1_11comp_targetILNS1_3genE3ELNS1_11target_archE908ELNS1_3gpuE7ELNS1_3repE0EEENS1_36merge_oddeven_config_static_selectorELNS0_4arch9wavefront6targetE1EEEvSF_,comdat
	.protected	_ZN7rocprim17ROCPRIM_400000_NS6detail17trampoline_kernelINS0_14default_configENS1_38merge_sort_block_merge_config_selectorIjNS0_10empty_typeEEEZZNS1_27merge_sort_block_merge_implIS3_PjPS5_jNS1_19radix_merge_compareILb1ELb0EjNS0_19identity_decomposerEEEEE10hipError_tT0_T1_T2_jT3_P12ihipStream_tbPNSt15iterator_traitsISE_E10value_typeEPNSK_ISF_E10value_typeEPSG_NS1_7vsmem_tEENKUlT_SE_SF_SG_E_clIS8_S8_S9_S9_EESD_ST_SE_SF_SG_EUlST_E1_NS1_11comp_targetILNS1_3genE3ELNS1_11target_archE908ELNS1_3gpuE7ELNS1_3repE0EEENS1_36merge_oddeven_config_static_selectorELNS0_4arch9wavefront6targetE1EEEvSF_ ; -- Begin function _ZN7rocprim17ROCPRIM_400000_NS6detail17trampoline_kernelINS0_14default_configENS1_38merge_sort_block_merge_config_selectorIjNS0_10empty_typeEEEZZNS1_27merge_sort_block_merge_implIS3_PjPS5_jNS1_19radix_merge_compareILb1ELb0EjNS0_19identity_decomposerEEEEE10hipError_tT0_T1_T2_jT3_P12ihipStream_tbPNSt15iterator_traitsISE_E10value_typeEPNSK_ISF_E10value_typeEPSG_NS1_7vsmem_tEENKUlT_SE_SF_SG_E_clIS8_S8_S9_S9_EESD_ST_SE_SF_SG_EUlST_E1_NS1_11comp_targetILNS1_3genE3ELNS1_11target_archE908ELNS1_3gpuE7ELNS1_3repE0EEENS1_36merge_oddeven_config_static_selectorELNS0_4arch9wavefront6targetE1EEEvSF_
	.globl	_ZN7rocprim17ROCPRIM_400000_NS6detail17trampoline_kernelINS0_14default_configENS1_38merge_sort_block_merge_config_selectorIjNS0_10empty_typeEEEZZNS1_27merge_sort_block_merge_implIS3_PjPS5_jNS1_19radix_merge_compareILb1ELb0EjNS0_19identity_decomposerEEEEE10hipError_tT0_T1_T2_jT3_P12ihipStream_tbPNSt15iterator_traitsISE_E10value_typeEPNSK_ISF_E10value_typeEPSG_NS1_7vsmem_tEENKUlT_SE_SF_SG_E_clIS8_S8_S9_S9_EESD_ST_SE_SF_SG_EUlST_E1_NS1_11comp_targetILNS1_3genE3ELNS1_11target_archE908ELNS1_3gpuE7ELNS1_3repE0EEENS1_36merge_oddeven_config_static_selectorELNS0_4arch9wavefront6targetE1EEEvSF_
	.p2align	8
	.type	_ZN7rocprim17ROCPRIM_400000_NS6detail17trampoline_kernelINS0_14default_configENS1_38merge_sort_block_merge_config_selectorIjNS0_10empty_typeEEEZZNS1_27merge_sort_block_merge_implIS3_PjPS5_jNS1_19radix_merge_compareILb1ELb0EjNS0_19identity_decomposerEEEEE10hipError_tT0_T1_T2_jT3_P12ihipStream_tbPNSt15iterator_traitsISE_E10value_typeEPNSK_ISF_E10value_typeEPSG_NS1_7vsmem_tEENKUlT_SE_SF_SG_E_clIS8_S8_S9_S9_EESD_ST_SE_SF_SG_EUlST_E1_NS1_11comp_targetILNS1_3genE3ELNS1_11target_archE908ELNS1_3gpuE7ELNS1_3repE0EEENS1_36merge_oddeven_config_static_selectorELNS0_4arch9wavefront6targetE1EEEvSF_,@function
_ZN7rocprim17ROCPRIM_400000_NS6detail17trampoline_kernelINS0_14default_configENS1_38merge_sort_block_merge_config_selectorIjNS0_10empty_typeEEEZZNS1_27merge_sort_block_merge_implIS3_PjPS5_jNS1_19radix_merge_compareILb1ELb0EjNS0_19identity_decomposerEEEEE10hipError_tT0_T1_T2_jT3_P12ihipStream_tbPNSt15iterator_traitsISE_E10value_typeEPNSK_ISF_E10value_typeEPSG_NS1_7vsmem_tEENKUlT_SE_SF_SG_E_clIS8_S8_S9_S9_EESD_ST_SE_SF_SG_EUlST_E1_NS1_11comp_targetILNS1_3genE3ELNS1_11target_archE908ELNS1_3gpuE7ELNS1_3repE0EEENS1_36merge_oddeven_config_static_selectorELNS0_4arch9wavefront6targetE1EEEvSF_: ; @_ZN7rocprim17ROCPRIM_400000_NS6detail17trampoline_kernelINS0_14default_configENS1_38merge_sort_block_merge_config_selectorIjNS0_10empty_typeEEEZZNS1_27merge_sort_block_merge_implIS3_PjPS5_jNS1_19radix_merge_compareILb1ELb0EjNS0_19identity_decomposerEEEEE10hipError_tT0_T1_T2_jT3_P12ihipStream_tbPNSt15iterator_traitsISE_E10value_typeEPNSK_ISF_E10value_typeEPSG_NS1_7vsmem_tEENKUlT_SE_SF_SG_E_clIS8_S8_S9_S9_EESD_ST_SE_SF_SG_EUlST_E1_NS1_11comp_targetILNS1_3genE3ELNS1_11target_archE908ELNS1_3gpuE7ELNS1_3repE0EEENS1_36merge_oddeven_config_static_selectorELNS0_4arch9wavefront6targetE1EEEvSF_
; %bb.0:
	.section	.rodata,"a",@progbits
	.p2align	6, 0x0
	.amdhsa_kernel _ZN7rocprim17ROCPRIM_400000_NS6detail17trampoline_kernelINS0_14default_configENS1_38merge_sort_block_merge_config_selectorIjNS0_10empty_typeEEEZZNS1_27merge_sort_block_merge_implIS3_PjPS5_jNS1_19radix_merge_compareILb1ELb0EjNS0_19identity_decomposerEEEEE10hipError_tT0_T1_T2_jT3_P12ihipStream_tbPNSt15iterator_traitsISE_E10value_typeEPNSK_ISF_E10value_typeEPSG_NS1_7vsmem_tEENKUlT_SE_SF_SG_E_clIS8_S8_S9_S9_EESD_ST_SE_SF_SG_EUlST_E1_NS1_11comp_targetILNS1_3genE3ELNS1_11target_archE908ELNS1_3gpuE7ELNS1_3repE0EEENS1_36merge_oddeven_config_static_selectorELNS0_4arch9wavefront6targetE1EEEvSF_
		.amdhsa_group_segment_fixed_size 0
		.amdhsa_private_segment_fixed_size 0
		.amdhsa_kernarg_size 48
		.amdhsa_user_sgpr_count 6
		.amdhsa_user_sgpr_private_segment_buffer 1
		.amdhsa_user_sgpr_dispatch_ptr 0
		.amdhsa_user_sgpr_queue_ptr 0
		.amdhsa_user_sgpr_kernarg_segment_ptr 1
		.amdhsa_user_sgpr_dispatch_id 0
		.amdhsa_user_sgpr_flat_scratch_init 0
		.amdhsa_user_sgpr_kernarg_preload_length 0
		.amdhsa_user_sgpr_kernarg_preload_offset 0
		.amdhsa_user_sgpr_private_segment_size 0
		.amdhsa_uses_dynamic_stack 0
		.amdhsa_system_sgpr_private_segment_wavefront_offset 0
		.amdhsa_system_sgpr_workgroup_id_x 1
		.amdhsa_system_sgpr_workgroup_id_y 0
		.amdhsa_system_sgpr_workgroup_id_z 0
		.amdhsa_system_sgpr_workgroup_info 0
		.amdhsa_system_vgpr_workitem_id 0
		.amdhsa_next_free_vgpr 1
		.amdhsa_next_free_sgpr 0
		.amdhsa_accum_offset 4
		.amdhsa_reserve_vcc 0
		.amdhsa_reserve_flat_scratch 0
		.amdhsa_float_round_mode_32 0
		.amdhsa_float_round_mode_16_64 0
		.amdhsa_float_denorm_mode_32 3
		.amdhsa_float_denorm_mode_16_64 3
		.amdhsa_dx10_clamp 1
		.amdhsa_ieee_mode 1
		.amdhsa_fp16_overflow 0
		.amdhsa_tg_split 0
		.amdhsa_exception_fp_ieee_invalid_op 0
		.amdhsa_exception_fp_denorm_src 0
		.amdhsa_exception_fp_ieee_div_zero 0
		.amdhsa_exception_fp_ieee_overflow 0
		.amdhsa_exception_fp_ieee_underflow 0
		.amdhsa_exception_fp_ieee_inexact 0
		.amdhsa_exception_int_div_zero 0
	.end_amdhsa_kernel
	.section	.text._ZN7rocprim17ROCPRIM_400000_NS6detail17trampoline_kernelINS0_14default_configENS1_38merge_sort_block_merge_config_selectorIjNS0_10empty_typeEEEZZNS1_27merge_sort_block_merge_implIS3_PjPS5_jNS1_19radix_merge_compareILb1ELb0EjNS0_19identity_decomposerEEEEE10hipError_tT0_T1_T2_jT3_P12ihipStream_tbPNSt15iterator_traitsISE_E10value_typeEPNSK_ISF_E10value_typeEPSG_NS1_7vsmem_tEENKUlT_SE_SF_SG_E_clIS8_S8_S9_S9_EESD_ST_SE_SF_SG_EUlST_E1_NS1_11comp_targetILNS1_3genE3ELNS1_11target_archE908ELNS1_3gpuE7ELNS1_3repE0EEENS1_36merge_oddeven_config_static_selectorELNS0_4arch9wavefront6targetE1EEEvSF_,"axG",@progbits,_ZN7rocprim17ROCPRIM_400000_NS6detail17trampoline_kernelINS0_14default_configENS1_38merge_sort_block_merge_config_selectorIjNS0_10empty_typeEEEZZNS1_27merge_sort_block_merge_implIS3_PjPS5_jNS1_19radix_merge_compareILb1ELb0EjNS0_19identity_decomposerEEEEE10hipError_tT0_T1_T2_jT3_P12ihipStream_tbPNSt15iterator_traitsISE_E10value_typeEPNSK_ISF_E10value_typeEPSG_NS1_7vsmem_tEENKUlT_SE_SF_SG_E_clIS8_S8_S9_S9_EESD_ST_SE_SF_SG_EUlST_E1_NS1_11comp_targetILNS1_3genE3ELNS1_11target_archE908ELNS1_3gpuE7ELNS1_3repE0EEENS1_36merge_oddeven_config_static_selectorELNS0_4arch9wavefront6targetE1EEEvSF_,comdat
.Lfunc_end2059:
	.size	_ZN7rocprim17ROCPRIM_400000_NS6detail17trampoline_kernelINS0_14default_configENS1_38merge_sort_block_merge_config_selectorIjNS0_10empty_typeEEEZZNS1_27merge_sort_block_merge_implIS3_PjPS5_jNS1_19radix_merge_compareILb1ELb0EjNS0_19identity_decomposerEEEEE10hipError_tT0_T1_T2_jT3_P12ihipStream_tbPNSt15iterator_traitsISE_E10value_typeEPNSK_ISF_E10value_typeEPSG_NS1_7vsmem_tEENKUlT_SE_SF_SG_E_clIS8_S8_S9_S9_EESD_ST_SE_SF_SG_EUlST_E1_NS1_11comp_targetILNS1_3genE3ELNS1_11target_archE908ELNS1_3gpuE7ELNS1_3repE0EEENS1_36merge_oddeven_config_static_selectorELNS0_4arch9wavefront6targetE1EEEvSF_, .Lfunc_end2059-_ZN7rocprim17ROCPRIM_400000_NS6detail17trampoline_kernelINS0_14default_configENS1_38merge_sort_block_merge_config_selectorIjNS0_10empty_typeEEEZZNS1_27merge_sort_block_merge_implIS3_PjPS5_jNS1_19radix_merge_compareILb1ELb0EjNS0_19identity_decomposerEEEEE10hipError_tT0_T1_T2_jT3_P12ihipStream_tbPNSt15iterator_traitsISE_E10value_typeEPNSK_ISF_E10value_typeEPSG_NS1_7vsmem_tEENKUlT_SE_SF_SG_E_clIS8_S8_S9_S9_EESD_ST_SE_SF_SG_EUlST_E1_NS1_11comp_targetILNS1_3genE3ELNS1_11target_archE908ELNS1_3gpuE7ELNS1_3repE0EEENS1_36merge_oddeven_config_static_selectorELNS0_4arch9wavefront6targetE1EEEvSF_
                                        ; -- End function
	.section	.AMDGPU.csdata,"",@progbits
; Kernel info:
; codeLenInByte = 0
; NumSgprs: 4
; NumVgprs: 0
; NumAgprs: 0
; TotalNumVgprs: 0
; ScratchSize: 0
; MemoryBound: 0
; FloatMode: 240
; IeeeMode: 1
; LDSByteSize: 0 bytes/workgroup (compile time only)
; SGPRBlocks: 0
; VGPRBlocks: 0
; NumSGPRsForWavesPerEU: 4
; NumVGPRsForWavesPerEU: 1
; AccumOffset: 4
; Occupancy: 8
; WaveLimiterHint : 0
; COMPUTE_PGM_RSRC2:SCRATCH_EN: 0
; COMPUTE_PGM_RSRC2:USER_SGPR: 6
; COMPUTE_PGM_RSRC2:TRAP_HANDLER: 0
; COMPUTE_PGM_RSRC2:TGID_X_EN: 1
; COMPUTE_PGM_RSRC2:TGID_Y_EN: 0
; COMPUTE_PGM_RSRC2:TGID_Z_EN: 0
; COMPUTE_PGM_RSRC2:TIDIG_COMP_CNT: 0
; COMPUTE_PGM_RSRC3_GFX90A:ACCUM_OFFSET: 0
; COMPUTE_PGM_RSRC3_GFX90A:TG_SPLIT: 0
	.section	.text._ZN7rocprim17ROCPRIM_400000_NS6detail17trampoline_kernelINS0_14default_configENS1_38merge_sort_block_merge_config_selectorIjNS0_10empty_typeEEEZZNS1_27merge_sort_block_merge_implIS3_PjPS5_jNS1_19radix_merge_compareILb1ELb0EjNS0_19identity_decomposerEEEEE10hipError_tT0_T1_T2_jT3_P12ihipStream_tbPNSt15iterator_traitsISE_E10value_typeEPNSK_ISF_E10value_typeEPSG_NS1_7vsmem_tEENKUlT_SE_SF_SG_E_clIS8_S8_S9_S9_EESD_ST_SE_SF_SG_EUlST_E1_NS1_11comp_targetILNS1_3genE2ELNS1_11target_archE906ELNS1_3gpuE6ELNS1_3repE0EEENS1_36merge_oddeven_config_static_selectorELNS0_4arch9wavefront6targetE1EEEvSF_,"axG",@progbits,_ZN7rocprim17ROCPRIM_400000_NS6detail17trampoline_kernelINS0_14default_configENS1_38merge_sort_block_merge_config_selectorIjNS0_10empty_typeEEEZZNS1_27merge_sort_block_merge_implIS3_PjPS5_jNS1_19radix_merge_compareILb1ELb0EjNS0_19identity_decomposerEEEEE10hipError_tT0_T1_T2_jT3_P12ihipStream_tbPNSt15iterator_traitsISE_E10value_typeEPNSK_ISF_E10value_typeEPSG_NS1_7vsmem_tEENKUlT_SE_SF_SG_E_clIS8_S8_S9_S9_EESD_ST_SE_SF_SG_EUlST_E1_NS1_11comp_targetILNS1_3genE2ELNS1_11target_archE906ELNS1_3gpuE6ELNS1_3repE0EEENS1_36merge_oddeven_config_static_selectorELNS0_4arch9wavefront6targetE1EEEvSF_,comdat
	.protected	_ZN7rocprim17ROCPRIM_400000_NS6detail17trampoline_kernelINS0_14default_configENS1_38merge_sort_block_merge_config_selectorIjNS0_10empty_typeEEEZZNS1_27merge_sort_block_merge_implIS3_PjPS5_jNS1_19radix_merge_compareILb1ELb0EjNS0_19identity_decomposerEEEEE10hipError_tT0_T1_T2_jT3_P12ihipStream_tbPNSt15iterator_traitsISE_E10value_typeEPNSK_ISF_E10value_typeEPSG_NS1_7vsmem_tEENKUlT_SE_SF_SG_E_clIS8_S8_S9_S9_EESD_ST_SE_SF_SG_EUlST_E1_NS1_11comp_targetILNS1_3genE2ELNS1_11target_archE906ELNS1_3gpuE6ELNS1_3repE0EEENS1_36merge_oddeven_config_static_selectorELNS0_4arch9wavefront6targetE1EEEvSF_ ; -- Begin function _ZN7rocprim17ROCPRIM_400000_NS6detail17trampoline_kernelINS0_14default_configENS1_38merge_sort_block_merge_config_selectorIjNS0_10empty_typeEEEZZNS1_27merge_sort_block_merge_implIS3_PjPS5_jNS1_19radix_merge_compareILb1ELb0EjNS0_19identity_decomposerEEEEE10hipError_tT0_T1_T2_jT3_P12ihipStream_tbPNSt15iterator_traitsISE_E10value_typeEPNSK_ISF_E10value_typeEPSG_NS1_7vsmem_tEENKUlT_SE_SF_SG_E_clIS8_S8_S9_S9_EESD_ST_SE_SF_SG_EUlST_E1_NS1_11comp_targetILNS1_3genE2ELNS1_11target_archE906ELNS1_3gpuE6ELNS1_3repE0EEENS1_36merge_oddeven_config_static_selectorELNS0_4arch9wavefront6targetE1EEEvSF_
	.globl	_ZN7rocprim17ROCPRIM_400000_NS6detail17trampoline_kernelINS0_14default_configENS1_38merge_sort_block_merge_config_selectorIjNS0_10empty_typeEEEZZNS1_27merge_sort_block_merge_implIS3_PjPS5_jNS1_19radix_merge_compareILb1ELb0EjNS0_19identity_decomposerEEEEE10hipError_tT0_T1_T2_jT3_P12ihipStream_tbPNSt15iterator_traitsISE_E10value_typeEPNSK_ISF_E10value_typeEPSG_NS1_7vsmem_tEENKUlT_SE_SF_SG_E_clIS8_S8_S9_S9_EESD_ST_SE_SF_SG_EUlST_E1_NS1_11comp_targetILNS1_3genE2ELNS1_11target_archE906ELNS1_3gpuE6ELNS1_3repE0EEENS1_36merge_oddeven_config_static_selectorELNS0_4arch9wavefront6targetE1EEEvSF_
	.p2align	8
	.type	_ZN7rocprim17ROCPRIM_400000_NS6detail17trampoline_kernelINS0_14default_configENS1_38merge_sort_block_merge_config_selectorIjNS0_10empty_typeEEEZZNS1_27merge_sort_block_merge_implIS3_PjPS5_jNS1_19radix_merge_compareILb1ELb0EjNS0_19identity_decomposerEEEEE10hipError_tT0_T1_T2_jT3_P12ihipStream_tbPNSt15iterator_traitsISE_E10value_typeEPNSK_ISF_E10value_typeEPSG_NS1_7vsmem_tEENKUlT_SE_SF_SG_E_clIS8_S8_S9_S9_EESD_ST_SE_SF_SG_EUlST_E1_NS1_11comp_targetILNS1_3genE2ELNS1_11target_archE906ELNS1_3gpuE6ELNS1_3repE0EEENS1_36merge_oddeven_config_static_selectorELNS0_4arch9wavefront6targetE1EEEvSF_,@function
_ZN7rocprim17ROCPRIM_400000_NS6detail17trampoline_kernelINS0_14default_configENS1_38merge_sort_block_merge_config_selectorIjNS0_10empty_typeEEEZZNS1_27merge_sort_block_merge_implIS3_PjPS5_jNS1_19radix_merge_compareILb1ELb0EjNS0_19identity_decomposerEEEEE10hipError_tT0_T1_T2_jT3_P12ihipStream_tbPNSt15iterator_traitsISE_E10value_typeEPNSK_ISF_E10value_typeEPSG_NS1_7vsmem_tEENKUlT_SE_SF_SG_E_clIS8_S8_S9_S9_EESD_ST_SE_SF_SG_EUlST_E1_NS1_11comp_targetILNS1_3genE2ELNS1_11target_archE906ELNS1_3gpuE6ELNS1_3repE0EEENS1_36merge_oddeven_config_static_selectorELNS0_4arch9wavefront6targetE1EEEvSF_: ; @_ZN7rocprim17ROCPRIM_400000_NS6detail17trampoline_kernelINS0_14default_configENS1_38merge_sort_block_merge_config_selectorIjNS0_10empty_typeEEEZZNS1_27merge_sort_block_merge_implIS3_PjPS5_jNS1_19radix_merge_compareILb1ELb0EjNS0_19identity_decomposerEEEEE10hipError_tT0_T1_T2_jT3_P12ihipStream_tbPNSt15iterator_traitsISE_E10value_typeEPNSK_ISF_E10value_typeEPSG_NS1_7vsmem_tEENKUlT_SE_SF_SG_E_clIS8_S8_S9_S9_EESD_ST_SE_SF_SG_EUlST_E1_NS1_11comp_targetILNS1_3genE2ELNS1_11target_archE906ELNS1_3gpuE6ELNS1_3repE0EEENS1_36merge_oddeven_config_static_selectorELNS0_4arch9wavefront6targetE1EEEvSF_
; %bb.0:
	.section	.rodata,"a",@progbits
	.p2align	6, 0x0
	.amdhsa_kernel _ZN7rocprim17ROCPRIM_400000_NS6detail17trampoline_kernelINS0_14default_configENS1_38merge_sort_block_merge_config_selectorIjNS0_10empty_typeEEEZZNS1_27merge_sort_block_merge_implIS3_PjPS5_jNS1_19radix_merge_compareILb1ELb0EjNS0_19identity_decomposerEEEEE10hipError_tT0_T1_T2_jT3_P12ihipStream_tbPNSt15iterator_traitsISE_E10value_typeEPNSK_ISF_E10value_typeEPSG_NS1_7vsmem_tEENKUlT_SE_SF_SG_E_clIS8_S8_S9_S9_EESD_ST_SE_SF_SG_EUlST_E1_NS1_11comp_targetILNS1_3genE2ELNS1_11target_archE906ELNS1_3gpuE6ELNS1_3repE0EEENS1_36merge_oddeven_config_static_selectorELNS0_4arch9wavefront6targetE1EEEvSF_
		.amdhsa_group_segment_fixed_size 0
		.amdhsa_private_segment_fixed_size 0
		.amdhsa_kernarg_size 48
		.amdhsa_user_sgpr_count 6
		.amdhsa_user_sgpr_private_segment_buffer 1
		.amdhsa_user_sgpr_dispatch_ptr 0
		.amdhsa_user_sgpr_queue_ptr 0
		.amdhsa_user_sgpr_kernarg_segment_ptr 1
		.amdhsa_user_sgpr_dispatch_id 0
		.amdhsa_user_sgpr_flat_scratch_init 0
		.amdhsa_user_sgpr_kernarg_preload_length 0
		.amdhsa_user_sgpr_kernarg_preload_offset 0
		.amdhsa_user_sgpr_private_segment_size 0
		.amdhsa_uses_dynamic_stack 0
		.amdhsa_system_sgpr_private_segment_wavefront_offset 0
		.amdhsa_system_sgpr_workgroup_id_x 1
		.amdhsa_system_sgpr_workgroup_id_y 0
		.amdhsa_system_sgpr_workgroup_id_z 0
		.amdhsa_system_sgpr_workgroup_info 0
		.amdhsa_system_vgpr_workitem_id 0
		.amdhsa_next_free_vgpr 1
		.amdhsa_next_free_sgpr 0
		.amdhsa_accum_offset 4
		.amdhsa_reserve_vcc 0
		.amdhsa_reserve_flat_scratch 0
		.amdhsa_float_round_mode_32 0
		.amdhsa_float_round_mode_16_64 0
		.amdhsa_float_denorm_mode_32 3
		.amdhsa_float_denorm_mode_16_64 3
		.amdhsa_dx10_clamp 1
		.amdhsa_ieee_mode 1
		.amdhsa_fp16_overflow 0
		.amdhsa_tg_split 0
		.amdhsa_exception_fp_ieee_invalid_op 0
		.amdhsa_exception_fp_denorm_src 0
		.amdhsa_exception_fp_ieee_div_zero 0
		.amdhsa_exception_fp_ieee_overflow 0
		.amdhsa_exception_fp_ieee_underflow 0
		.amdhsa_exception_fp_ieee_inexact 0
		.amdhsa_exception_int_div_zero 0
	.end_amdhsa_kernel
	.section	.text._ZN7rocprim17ROCPRIM_400000_NS6detail17trampoline_kernelINS0_14default_configENS1_38merge_sort_block_merge_config_selectorIjNS0_10empty_typeEEEZZNS1_27merge_sort_block_merge_implIS3_PjPS5_jNS1_19radix_merge_compareILb1ELb0EjNS0_19identity_decomposerEEEEE10hipError_tT0_T1_T2_jT3_P12ihipStream_tbPNSt15iterator_traitsISE_E10value_typeEPNSK_ISF_E10value_typeEPSG_NS1_7vsmem_tEENKUlT_SE_SF_SG_E_clIS8_S8_S9_S9_EESD_ST_SE_SF_SG_EUlST_E1_NS1_11comp_targetILNS1_3genE2ELNS1_11target_archE906ELNS1_3gpuE6ELNS1_3repE0EEENS1_36merge_oddeven_config_static_selectorELNS0_4arch9wavefront6targetE1EEEvSF_,"axG",@progbits,_ZN7rocprim17ROCPRIM_400000_NS6detail17trampoline_kernelINS0_14default_configENS1_38merge_sort_block_merge_config_selectorIjNS0_10empty_typeEEEZZNS1_27merge_sort_block_merge_implIS3_PjPS5_jNS1_19radix_merge_compareILb1ELb0EjNS0_19identity_decomposerEEEEE10hipError_tT0_T1_T2_jT3_P12ihipStream_tbPNSt15iterator_traitsISE_E10value_typeEPNSK_ISF_E10value_typeEPSG_NS1_7vsmem_tEENKUlT_SE_SF_SG_E_clIS8_S8_S9_S9_EESD_ST_SE_SF_SG_EUlST_E1_NS1_11comp_targetILNS1_3genE2ELNS1_11target_archE906ELNS1_3gpuE6ELNS1_3repE0EEENS1_36merge_oddeven_config_static_selectorELNS0_4arch9wavefront6targetE1EEEvSF_,comdat
.Lfunc_end2060:
	.size	_ZN7rocprim17ROCPRIM_400000_NS6detail17trampoline_kernelINS0_14default_configENS1_38merge_sort_block_merge_config_selectorIjNS0_10empty_typeEEEZZNS1_27merge_sort_block_merge_implIS3_PjPS5_jNS1_19radix_merge_compareILb1ELb0EjNS0_19identity_decomposerEEEEE10hipError_tT0_T1_T2_jT3_P12ihipStream_tbPNSt15iterator_traitsISE_E10value_typeEPNSK_ISF_E10value_typeEPSG_NS1_7vsmem_tEENKUlT_SE_SF_SG_E_clIS8_S8_S9_S9_EESD_ST_SE_SF_SG_EUlST_E1_NS1_11comp_targetILNS1_3genE2ELNS1_11target_archE906ELNS1_3gpuE6ELNS1_3repE0EEENS1_36merge_oddeven_config_static_selectorELNS0_4arch9wavefront6targetE1EEEvSF_, .Lfunc_end2060-_ZN7rocprim17ROCPRIM_400000_NS6detail17trampoline_kernelINS0_14default_configENS1_38merge_sort_block_merge_config_selectorIjNS0_10empty_typeEEEZZNS1_27merge_sort_block_merge_implIS3_PjPS5_jNS1_19radix_merge_compareILb1ELb0EjNS0_19identity_decomposerEEEEE10hipError_tT0_T1_T2_jT3_P12ihipStream_tbPNSt15iterator_traitsISE_E10value_typeEPNSK_ISF_E10value_typeEPSG_NS1_7vsmem_tEENKUlT_SE_SF_SG_E_clIS8_S8_S9_S9_EESD_ST_SE_SF_SG_EUlST_E1_NS1_11comp_targetILNS1_3genE2ELNS1_11target_archE906ELNS1_3gpuE6ELNS1_3repE0EEENS1_36merge_oddeven_config_static_selectorELNS0_4arch9wavefront6targetE1EEEvSF_
                                        ; -- End function
	.section	.AMDGPU.csdata,"",@progbits
; Kernel info:
; codeLenInByte = 0
; NumSgprs: 4
; NumVgprs: 0
; NumAgprs: 0
; TotalNumVgprs: 0
; ScratchSize: 0
; MemoryBound: 0
; FloatMode: 240
; IeeeMode: 1
; LDSByteSize: 0 bytes/workgroup (compile time only)
; SGPRBlocks: 0
; VGPRBlocks: 0
; NumSGPRsForWavesPerEU: 4
; NumVGPRsForWavesPerEU: 1
; AccumOffset: 4
; Occupancy: 8
; WaveLimiterHint : 0
; COMPUTE_PGM_RSRC2:SCRATCH_EN: 0
; COMPUTE_PGM_RSRC2:USER_SGPR: 6
; COMPUTE_PGM_RSRC2:TRAP_HANDLER: 0
; COMPUTE_PGM_RSRC2:TGID_X_EN: 1
; COMPUTE_PGM_RSRC2:TGID_Y_EN: 0
; COMPUTE_PGM_RSRC2:TGID_Z_EN: 0
; COMPUTE_PGM_RSRC2:TIDIG_COMP_CNT: 0
; COMPUTE_PGM_RSRC3_GFX90A:ACCUM_OFFSET: 0
; COMPUTE_PGM_RSRC3_GFX90A:TG_SPLIT: 0
	.section	.text._ZN7rocprim17ROCPRIM_400000_NS6detail17trampoline_kernelINS0_14default_configENS1_38merge_sort_block_merge_config_selectorIjNS0_10empty_typeEEEZZNS1_27merge_sort_block_merge_implIS3_PjPS5_jNS1_19radix_merge_compareILb1ELb0EjNS0_19identity_decomposerEEEEE10hipError_tT0_T1_T2_jT3_P12ihipStream_tbPNSt15iterator_traitsISE_E10value_typeEPNSK_ISF_E10value_typeEPSG_NS1_7vsmem_tEENKUlT_SE_SF_SG_E_clIS8_S8_S9_S9_EESD_ST_SE_SF_SG_EUlST_E1_NS1_11comp_targetILNS1_3genE9ELNS1_11target_archE1100ELNS1_3gpuE3ELNS1_3repE0EEENS1_36merge_oddeven_config_static_selectorELNS0_4arch9wavefront6targetE1EEEvSF_,"axG",@progbits,_ZN7rocprim17ROCPRIM_400000_NS6detail17trampoline_kernelINS0_14default_configENS1_38merge_sort_block_merge_config_selectorIjNS0_10empty_typeEEEZZNS1_27merge_sort_block_merge_implIS3_PjPS5_jNS1_19radix_merge_compareILb1ELb0EjNS0_19identity_decomposerEEEEE10hipError_tT0_T1_T2_jT3_P12ihipStream_tbPNSt15iterator_traitsISE_E10value_typeEPNSK_ISF_E10value_typeEPSG_NS1_7vsmem_tEENKUlT_SE_SF_SG_E_clIS8_S8_S9_S9_EESD_ST_SE_SF_SG_EUlST_E1_NS1_11comp_targetILNS1_3genE9ELNS1_11target_archE1100ELNS1_3gpuE3ELNS1_3repE0EEENS1_36merge_oddeven_config_static_selectorELNS0_4arch9wavefront6targetE1EEEvSF_,comdat
	.protected	_ZN7rocprim17ROCPRIM_400000_NS6detail17trampoline_kernelINS0_14default_configENS1_38merge_sort_block_merge_config_selectorIjNS0_10empty_typeEEEZZNS1_27merge_sort_block_merge_implIS3_PjPS5_jNS1_19radix_merge_compareILb1ELb0EjNS0_19identity_decomposerEEEEE10hipError_tT0_T1_T2_jT3_P12ihipStream_tbPNSt15iterator_traitsISE_E10value_typeEPNSK_ISF_E10value_typeEPSG_NS1_7vsmem_tEENKUlT_SE_SF_SG_E_clIS8_S8_S9_S9_EESD_ST_SE_SF_SG_EUlST_E1_NS1_11comp_targetILNS1_3genE9ELNS1_11target_archE1100ELNS1_3gpuE3ELNS1_3repE0EEENS1_36merge_oddeven_config_static_selectorELNS0_4arch9wavefront6targetE1EEEvSF_ ; -- Begin function _ZN7rocprim17ROCPRIM_400000_NS6detail17trampoline_kernelINS0_14default_configENS1_38merge_sort_block_merge_config_selectorIjNS0_10empty_typeEEEZZNS1_27merge_sort_block_merge_implIS3_PjPS5_jNS1_19radix_merge_compareILb1ELb0EjNS0_19identity_decomposerEEEEE10hipError_tT0_T1_T2_jT3_P12ihipStream_tbPNSt15iterator_traitsISE_E10value_typeEPNSK_ISF_E10value_typeEPSG_NS1_7vsmem_tEENKUlT_SE_SF_SG_E_clIS8_S8_S9_S9_EESD_ST_SE_SF_SG_EUlST_E1_NS1_11comp_targetILNS1_3genE9ELNS1_11target_archE1100ELNS1_3gpuE3ELNS1_3repE0EEENS1_36merge_oddeven_config_static_selectorELNS0_4arch9wavefront6targetE1EEEvSF_
	.globl	_ZN7rocprim17ROCPRIM_400000_NS6detail17trampoline_kernelINS0_14default_configENS1_38merge_sort_block_merge_config_selectorIjNS0_10empty_typeEEEZZNS1_27merge_sort_block_merge_implIS3_PjPS5_jNS1_19radix_merge_compareILb1ELb0EjNS0_19identity_decomposerEEEEE10hipError_tT0_T1_T2_jT3_P12ihipStream_tbPNSt15iterator_traitsISE_E10value_typeEPNSK_ISF_E10value_typeEPSG_NS1_7vsmem_tEENKUlT_SE_SF_SG_E_clIS8_S8_S9_S9_EESD_ST_SE_SF_SG_EUlST_E1_NS1_11comp_targetILNS1_3genE9ELNS1_11target_archE1100ELNS1_3gpuE3ELNS1_3repE0EEENS1_36merge_oddeven_config_static_selectorELNS0_4arch9wavefront6targetE1EEEvSF_
	.p2align	8
	.type	_ZN7rocprim17ROCPRIM_400000_NS6detail17trampoline_kernelINS0_14default_configENS1_38merge_sort_block_merge_config_selectorIjNS0_10empty_typeEEEZZNS1_27merge_sort_block_merge_implIS3_PjPS5_jNS1_19radix_merge_compareILb1ELb0EjNS0_19identity_decomposerEEEEE10hipError_tT0_T1_T2_jT3_P12ihipStream_tbPNSt15iterator_traitsISE_E10value_typeEPNSK_ISF_E10value_typeEPSG_NS1_7vsmem_tEENKUlT_SE_SF_SG_E_clIS8_S8_S9_S9_EESD_ST_SE_SF_SG_EUlST_E1_NS1_11comp_targetILNS1_3genE9ELNS1_11target_archE1100ELNS1_3gpuE3ELNS1_3repE0EEENS1_36merge_oddeven_config_static_selectorELNS0_4arch9wavefront6targetE1EEEvSF_,@function
_ZN7rocprim17ROCPRIM_400000_NS6detail17trampoline_kernelINS0_14default_configENS1_38merge_sort_block_merge_config_selectorIjNS0_10empty_typeEEEZZNS1_27merge_sort_block_merge_implIS3_PjPS5_jNS1_19radix_merge_compareILb1ELb0EjNS0_19identity_decomposerEEEEE10hipError_tT0_T1_T2_jT3_P12ihipStream_tbPNSt15iterator_traitsISE_E10value_typeEPNSK_ISF_E10value_typeEPSG_NS1_7vsmem_tEENKUlT_SE_SF_SG_E_clIS8_S8_S9_S9_EESD_ST_SE_SF_SG_EUlST_E1_NS1_11comp_targetILNS1_3genE9ELNS1_11target_archE1100ELNS1_3gpuE3ELNS1_3repE0EEENS1_36merge_oddeven_config_static_selectorELNS0_4arch9wavefront6targetE1EEEvSF_: ; @_ZN7rocprim17ROCPRIM_400000_NS6detail17trampoline_kernelINS0_14default_configENS1_38merge_sort_block_merge_config_selectorIjNS0_10empty_typeEEEZZNS1_27merge_sort_block_merge_implIS3_PjPS5_jNS1_19radix_merge_compareILb1ELb0EjNS0_19identity_decomposerEEEEE10hipError_tT0_T1_T2_jT3_P12ihipStream_tbPNSt15iterator_traitsISE_E10value_typeEPNSK_ISF_E10value_typeEPSG_NS1_7vsmem_tEENKUlT_SE_SF_SG_E_clIS8_S8_S9_S9_EESD_ST_SE_SF_SG_EUlST_E1_NS1_11comp_targetILNS1_3genE9ELNS1_11target_archE1100ELNS1_3gpuE3ELNS1_3repE0EEENS1_36merge_oddeven_config_static_selectorELNS0_4arch9wavefront6targetE1EEEvSF_
; %bb.0:
	.section	.rodata,"a",@progbits
	.p2align	6, 0x0
	.amdhsa_kernel _ZN7rocprim17ROCPRIM_400000_NS6detail17trampoline_kernelINS0_14default_configENS1_38merge_sort_block_merge_config_selectorIjNS0_10empty_typeEEEZZNS1_27merge_sort_block_merge_implIS3_PjPS5_jNS1_19radix_merge_compareILb1ELb0EjNS0_19identity_decomposerEEEEE10hipError_tT0_T1_T2_jT3_P12ihipStream_tbPNSt15iterator_traitsISE_E10value_typeEPNSK_ISF_E10value_typeEPSG_NS1_7vsmem_tEENKUlT_SE_SF_SG_E_clIS8_S8_S9_S9_EESD_ST_SE_SF_SG_EUlST_E1_NS1_11comp_targetILNS1_3genE9ELNS1_11target_archE1100ELNS1_3gpuE3ELNS1_3repE0EEENS1_36merge_oddeven_config_static_selectorELNS0_4arch9wavefront6targetE1EEEvSF_
		.amdhsa_group_segment_fixed_size 0
		.amdhsa_private_segment_fixed_size 0
		.amdhsa_kernarg_size 48
		.amdhsa_user_sgpr_count 6
		.amdhsa_user_sgpr_private_segment_buffer 1
		.amdhsa_user_sgpr_dispatch_ptr 0
		.amdhsa_user_sgpr_queue_ptr 0
		.amdhsa_user_sgpr_kernarg_segment_ptr 1
		.amdhsa_user_sgpr_dispatch_id 0
		.amdhsa_user_sgpr_flat_scratch_init 0
		.amdhsa_user_sgpr_kernarg_preload_length 0
		.amdhsa_user_sgpr_kernarg_preload_offset 0
		.amdhsa_user_sgpr_private_segment_size 0
		.amdhsa_uses_dynamic_stack 0
		.amdhsa_system_sgpr_private_segment_wavefront_offset 0
		.amdhsa_system_sgpr_workgroup_id_x 1
		.amdhsa_system_sgpr_workgroup_id_y 0
		.amdhsa_system_sgpr_workgroup_id_z 0
		.amdhsa_system_sgpr_workgroup_info 0
		.amdhsa_system_vgpr_workitem_id 0
		.amdhsa_next_free_vgpr 1
		.amdhsa_next_free_sgpr 0
		.amdhsa_accum_offset 4
		.amdhsa_reserve_vcc 0
		.amdhsa_reserve_flat_scratch 0
		.amdhsa_float_round_mode_32 0
		.amdhsa_float_round_mode_16_64 0
		.amdhsa_float_denorm_mode_32 3
		.amdhsa_float_denorm_mode_16_64 3
		.amdhsa_dx10_clamp 1
		.amdhsa_ieee_mode 1
		.amdhsa_fp16_overflow 0
		.amdhsa_tg_split 0
		.amdhsa_exception_fp_ieee_invalid_op 0
		.amdhsa_exception_fp_denorm_src 0
		.amdhsa_exception_fp_ieee_div_zero 0
		.amdhsa_exception_fp_ieee_overflow 0
		.amdhsa_exception_fp_ieee_underflow 0
		.amdhsa_exception_fp_ieee_inexact 0
		.amdhsa_exception_int_div_zero 0
	.end_amdhsa_kernel
	.section	.text._ZN7rocprim17ROCPRIM_400000_NS6detail17trampoline_kernelINS0_14default_configENS1_38merge_sort_block_merge_config_selectorIjNS0_10empty_typeEEEZZNS1_27merge_sort_block_merge_implIS3_PjPS5_jNS1_19radix_merge_compareILb1ELb0EjNS0_19identity_decomposerEEEEE10hipError_tT0_T1_T2_jT3_P12ihipStream_tbPNSt15iterator_traitsISE_E10value_typeEPNSK_ISF_E10value_typeEPSG_NS1_7vsmem_tEENKUlT_SE_SF_SG_E_clIS8_S8_S9_S9_EESD_ST_SE_SF_SG_EUlST_E1_NS1_11comp_targetILNS1_3genE9ELNS1_11target_archE1100ELNS1_3gpuE3ELNS1_3repE0EEENS1_36merge_oddeven_config_static_selectorELNS0_4arch9wavefront6targetE1EEEvSF_,"axG",@progbits,_ZN7rocprim17ROCPRIM_400000_NS6detail17trampoline_kernelINS0_14default_configENS1_38merge_sort_block_merge_config_selectorIjNS0_10empty_typeEEEZZNS1_27merge_sort_block_merge_implIS3_PjPS5_jNS1_19radix_merge_compareILb1ELb0EjNS0_19identity_decomposerEEEEE10hipError_tT0_T1_T2_jT3_P12ihipStream_tbPNSt15iterator_traitsISE_E10value_typeEPNSK_ISF_E10value_typeEPSG_NS1_7vsmem_tEENKUlT_SE_SF_SG_E_clIS8_S8_S9_S9_EESD_ST_SE_SF_SG_EUlST_E1_NS1_11comp_targetILNS1_3genE9ELNS1_11target_archE1100ELNS1_3gpuE3ELNS1_3repE0EEENS1_36merge_oddeven_config_static_selectorELNS0_4arch9wavefront6targetE1EEEvSF_,comdat
.Lfunc_end2061:
	.size	_ZN7rocprim17ROCPRIM_400000_NS6detail17trampoline_kernelINS0_14default_configENS1_38merge_sort_block_merge_config_selectorIjNS0_10empty_typeEEEZZNS1_27merge_sort_block_merge_implIS3_PjPS5_jNS1_19radix_merge_compareILb1ELb0EjNS0_19identity_decomposerEEEEE10hipError_tT0_T1_T2_jT3_P12ihipStream_tbPNSt15iterator_traitsISE_E10value_typeEPNSK_ISF_E10value_typeEPSG_NS1_7vsmem_tEENKUlT_SE_SF_SG_E_clIS8_S8_S9_S9_EESD_ST_SE_SF_SG_EUlST_E1_NS1_11comp_targetILNS1_3genE9ELNS1_11target_archE1100ELNS1_3gpuE3ELNS1_3repE0EEENS1_36merge_oddeven_config_static_selectorELNS0_4arch9wavefront6targetE1EEEvSF_, .Lfunc_end2061-_ZN7rocprim17ROCPRIM_400000_NS6detail17trampoline_kernelINS0_14default_configENS1_38merge_sort_block_merge_config_selectorIjNS0_10empty_typeEEEZZNS1_27merge_sort_block_merge_implIS3_PjPS5_jNS1_19radix_merge_compareILb1ELb0EjNS0_19identity_decomposerEEEEE10hipError_tT0_T1_T2_jT3_P12ihipStream_tbPNSt15iterator_traitsISE_E10value_typeEPNSK_ISF_E10value_typeEPSG_NS1_7vsmem_tEENKUlT_SE_SF_SG_E_clIS8_S8_S9_S9_EESD_ST_SE_SF_SG_EUlST_E1_NS1_11comp_targetILNS1_3genE9ELNS1_11target_archE1100ELNS1_3gpuE3ELNS1_3repE0EEENS1_36merge_oddeven_config_static_selectorELNS0_4arch9wavefront6targetE1EEEvSF_
                                        ; -- End function
	.section	.AMDGPU.csdata,"",@progbits
; Kernel info:
; codeLenInByte = 0
; NumSgprs: 4
; NumVgprs: 0
; NumAgprs: 0
; TotalNumVgprs: 0
; ScratchSize: 0
; MemoryBound: 0
; FloatMode: 240
; IeeeMode: 1
; LDSByteSize: 0 bytes/workgroup (compile time only)
; SGPRBlocks: 0
; VGPRBlocks: 0
; NumSGPRsForWavesPerEU: 4
; NumVGPRsForWavesPerEU: 1
; AccumOffset: 4
; Occupancy: 8
; WaveLimiterHint : 0
; COMPUTE_PGM_RSRC2:SCRATCH_EN: 0
; COMPUTE_PGM_RSRC2:USER_SGPR: 6
; COMPUTE_PGM_RSRC2:TRAP_HANDLER: 0
; COMPUTE_PGM_RSRC2:TGID_X_EN: 1
; COMPUTE_PGM_RSRC2:TGID_Y_EN: 0
; COMPUTE_PGM_RSRC2:TGID_Z_EN: 0
; COMPUTE_PGM_RSRC2:TIDIG_COMP_CNT: 0
; COMPUTE_PGM_RSRC3_GFX90A:ACCUM_OFFSET: 0
; COMPUTE_PGM_RSRC3_GFX90A:TG_SPLIT: 0
	.section	.text._ZN7rocprim17ROCPRIM_400000_NS6detail17trampoline_kernelINS0_14default_configENS1_38merge_sort_block_merge_config_selectorIjNS0_10empty_typeEEEZZNS1_27merge_sort_block_merge_implIS3_PjPS5_jNS1_19radix_merge_compareILb1ELb0EjNS0_19identity_decomposerEEEEE10hipError_tT0_T1_T2_jT3_P12ihipStream_tbPNSt15iterator_traitsISE_E10value_typeEPNSK_ISF_E10value_typeEPSG_NS1_7vsmem_tEENKUlT_SE_SF_SG_E_clIS8_S8_S9_S9_EESD_ST_SE_SF_SG_EUlST_E1_NS1_11comp_targetILNS1_3genE8ELNS1_11target_archE1030ELNS1_3gpuE2ELNS1_3repE0EEENS1_36merge_oddeven_config_static_selectorELNS0_4arch9wavefront6targetE1EEEvSF_,"axG",@progbits,_ZN7rocprim17ROCPRIM_400000_NS6detail17trampoline_kernelINS0_14default_configENS1_38merge_sort_block_merge_config_selectorIjNS0_10empty_typeEEEZZNS1_27merge_sort_block_merge_implIS3_PjPS5_jNS1_19radix_merge_compareILb1ELb0EjNS0_19identity_decomposerEEEEE10hipError_tT0_T1_T2_jT3_P12ihipStream_tbPNSt15iterator_traitsISE_E10value_typeEPNSK_ISF_E10value_typeEPSG_NS1_7vsmem_tEENKUlT_SE_SF_SG_E_clIS8_S8_S9_S9_EESD_ST_SE_SF_SG_EUlST_E1_NS1_11comp_targetILNS1_3genE8ELNS1_11target_archE1030ELNS1_3gpuE2ELNS1_3repE0EEENS1_36merge_oddeven_config_static_selectorELNS0_4arch9wavefront6targetE1EEEvSF_,comdat
	.protected	_ZN7rocprim17ROCPRIM_400000_NS6detail17trampoline_kernelINS0_14default_configENS1_38merge_sort_block_merge_config_selectorIjNS0_10empty_typeEEEZZNS1_27merge_sort_block_merge_implIS3_PjPS5_jNS1_19radix_merge_compareILb1ELb0EjNS0_19identity_decomposerEEEEE10hipError_tT0_T1_T2_jT3_P12ihipStream_tbPNSt15iterator_traitsISE_E10value_typeEPNSK_ISF_E10value_typeEPSG_NS1_7vsmem_tEENKUlT_SE_SF_SG_E_clIS8_S8_S9_S9_EESD_ST_SE_SF_SG_EUlST_E1_NS1_11comp_targetILNS1_3genE8ELNS1_11target_archE1030ELNS1_3gpuE2ELNS1_3repE0EEENS1_36merge_oddeven_config_static_selectorELNS0_4arch9wavefront6targetE1EEEvSF_ ; -- Begin function _ZN7rocprim17ROCPRIM_400000_NS6detail17trampoline_kernelINS0_14default_configENS1_38merge_sort_block_merge_config_selectorIjNS0_10empty_typeEEEZZNS1_27merge_sort_block_merge_implIS3_PjPS5_jNS1_19radix_merge_compareILb1ELb0EjNS0_19identity_decomposerEEEEE10hipError_tT0_T1_T2_jT3_P12ihipStream_tbPNSt15iterator_traitsISE_E10value_typeEPNSK_ISF_E10value_typeEPSG_NS1_7vsmem_tEENKUlT_SE_SF_SG_E_clIS8_S8_S9_S9_EESD_ST_SE_SF_SG_EUlST_E1_NS1_11comp_targetILNS1_3genE8ELNS1_11target_archE1030ELNS1_3gpuE2ELNS1_3repE0EEENS1_36merge_oddeven_config_static_selectorELNS0_4arch9wavefront6targetE1EEEvSF_
	.globl	_ZN7rocprim17ROCPRIM_400000_NS6detail17trampoline_kernelINS0_14default_configENS1_38merge_sort_block_merge_config_selectorIjNS0_10empty_typeEEEZZNS1_27merge_sort_block_merge_implIS3_PjPS5_jNS1_19radix_merge_compareILb1ELb0EjNS0_19identity_decomposerEEEEE10hipError_tT0_T1_T2_jT3_P12ihipStream_tbPNSt15iterator_traitsISE_E10value_typeEPNSK_ISF_E10value_typeEPSG_NS1_7vsmem_tEENKUlT_SE_SF_SG_E_clIS8_S8_S9_S9_EESD_ST_SE_SF_SG_EUlST_E1_NS1_11comp_targetILNS1_3genE8ELNS1_11target_archE1030ELNS1_3gpuE2ELNS1_3repE0EEENS1_36merge_oddeven_config_static_selectorELNS0_4arch9wavefront6targetE1EEEvSF_
	.p2align	8
	.type	_ZN7rocprim17ROCPRIM_400000_NS6detail17trampoline_kernelINS0_14default_configENS1_38merge_sort_block_merge_config_selectorIjNS0_10empty_typeEEEZZNS1_27merge_sort_block_merge_implIS3_PjPS5_jNS1_19radix_merge_compareILb1ELb0EjNS0_19identity_decomposerEEEEE10hipError_tT0_T1_T2_jT3_P12ihipStream_tbPNSt15iterator_traitsISE_E10value_typeEPNSK_ISF_E10value_typeEPSG_NS1_7vsmem_tEENKUlT_SE_SF_SG_E_clIS8_S8_S9_S9_EESD_ST_SE_SF_SG_EUlST_E1_NS1_11comp_targetILNS1_3genE8ELNS1_11target_archE1030ELNS1_3gpuE2ELNS1_3repE0EEENS1_36merge_oddeven_config_static_selectorELNS0_4arch9wavefront6targetE1EEEvSF_,@function
_ZN7rocprim17ROCPRIM_400000_NS6detail17trampoline_kernelINS0_14default_configENS1_38merge_sort_block_merge_config_selectorIjNS0_10empty_typeEEEZZNS1_27merge_sort_block_merge_implIS3_PjPS5_jNS1_19radix_merge_compareILb1ELb0EjNS0_19identity_decomposerEEEEE10hipError_tT0_T1_T2_jT3_P12ihipStream_tbPNSt15iterator_traitsISE_E10value_typeEPNSK_ISF_E10value_typeEPSG_NS1_7vsmem_tEENKUlT_SE_SF_SG_E_clIS8_S8_S9_S9_EESD_ST_SE_SF_SG_EUlST_E1_NS1_11comp_targetILNS1_3genE8ELNS1_11target_archE1030ELNS1_3gpuE2ELNS1_3repE0EEENS1_36merge_oddeven_config_static_selectorELNS0_4arch9wavefront6targetE1EEEvSF_: ; @_ZN7rocprim17ROCPRIM_400000_NS6detail17trampoline_kernelINS0_14default_configENS1_38merge_sort_block_merge_config_selectorIjNS0_10empty_typeEEEZZNS1_27merge_sort_block_merge_implIS3_PjPS5_jNS1_19radix_merge_compareILb1ELb0EjNS0_19identity_decomposerEEEEE10hipError_tT0_T1_T2_jT3_P12ihipStream_tbPNSt15iterator_traitsISE_E10value_typeEPNSK_ISF_E10value_typeEPSG_NS1_7vsmem_tEENKUlT_SE_SF_SG_E_clIS8_S8_S9_S9_EESD_ST_SE_SF_SG_EUlST_E1_NS1_11comp_targetILNS1_3genE8ELNS1_11target_archE1030ELNS1_3gpuE2ELNS1_3repE0EEENS1_36merge_oddeven_config_static_selectorELNS0_4arch9wavefront6targetE1EEEvSF_
; %bb.0:
	.section	.rodata,"a",@progbits
	.p2align	6, 0x0
	.amdhsa_kernel _ZN7rocprim17ROCPRIM_400000_NS6detail17trampoline_kernelINS0_14default_configENS1_38merge_sort_block_merge_config_selectorIjNS0_10empty_typeEEEZZNS1_27merge_sort_block_merge_implIS3_PjPS5_jNS1_19radix_merge_compareILb1ELb0EjNS0_19identity_decomposerEEEEE10hipError_tT0_T1_T2_jT3_P12ihipStream_tbPNSt15iterator_traitsISE_E10value_typeEPNSK_ISF_E10value_typeEPSG_NS1_7vsmem_tEENKUlT_SE_SF_SG_E_clIS8_S8_S9_S9_EESD_ST_SE_SF_SG_EUlST_E1_NS1_11comp_targetILNS1_3genE8ELNS1_11target_archE1030ELNS1_3gpuE2ELNS1_3repE0EEENS1_36merge_oddeven_config_static_selectorELNS0_4arch9wavefront6targetE1EEEvSF_
		.amdhsa_group_segment_fixed_size 0
		.amdhsa_private_segment_fixed_size 0
		.amdhsa_kernarg_size 48
		.amdhsa_user_sgpr_count 6
		.amdhsa_user_sgpr_private_segment_buffer 1
		.amdhsa_user_sgpr_dispatch_ptr 0
		.amdhsa_user_sgpr_queue_ptr 0
		.amdhsa_user_sgpr_kernarg_segment_ptr 1
		.amdhsa_user_sgpr_dispatch_id 0
		.amdhsa_user_sgpr_flat_scratch_init 0
		.amdhsa_user_sgpr_kernarg_preload_length 0
		.amdhsa_user_sgpr_kernarg_preload_offset 0
		.amdhsa_user_sgpr_private_segment_size 0
		.amdhsa_uses_dynamic_stack 0
		.amdhsa_system_sgpr_private_segment_wavefront_offset 0
		.amdhsa_system_sgpr_workgroup_id_x 1
		.amdhsa_system_sgpr_workgroup_id_y 0
		.amdhsa_system_sgpr_workgroup_id_z 0
		.amdhsa_system_sgpr_workgroup_info 0
		.amdhsa_system_vgpr_workitem_id 0
		.amdhsa_next_free_vgpr 1
		.amdhsa_next_free_sgpr 0
		.amdhsa_accum_offset 4
		.amdhsa_reserve_vcc 0
		.amdhsa_reserve_flat_scratch 0
		.amdhsa_float_round_mode_32 0
		.amdhsa_float_round_mode_16_64 0
		.amdhsa_float_denorm_mode_32 3
		.amdhsa_float_denorm_mode_16_64 3
		.amdhsa_dx10_clamp 1
		.amdhsa_ieee_mode 1
		.amdhsa_fp16_overflow 0
		.amdhsa_tg_split 0
		.amdhsa_exception_fp_ieee_invalid_op 0
		.amdhsa_exception_fp_denorm_src 0
		.amdhsa_exception_fp_ieee_div_zero 0
		.amdhsa_exception_fp_ieee_overflow 0
		.amdhsa_exception_fp_ieee_underflow 0
		.amdhsa_exception_fp_ieee_inexact 0
		.amdhsa_exception_int_div_zero 0
	.end_amdhsa_kernel
	.section	.text._ZN7rocprim17ROCPRIM_400000_NS6detail17trampoline_kernelINS0_14default_configENS1_38merge_sort_block_merge_config_selectorIjNS0_10empty_typeEEEZZNS1_27merge_sort_block_merge_implIS3_PjPS5_jNS1_19radix_merge_compareILb1ELb0EjNS0_19identity_decomposerEEEEE10hipError_tT0_T1_T2_jT3_P12ihipStream_tbPNSt15iterator_traitsISE_E10value_typeEPNSK_ISF_E10value_typeEPSG_NS1_7vsmem_tEENKUlT_SE_SF_SG_E_clIS8_S8_S9_S9_EESD_ST_SE_SF_SG_EUlST_E1_NS1_11comp_targetILNS1_3genE8ELNS1_11target_archE1030ELNS1_3gpuE2ELNS1_3repE0EEENS1_36merge_oddeven_config_static_selectorELNS0_4arch9wavefront6targetE1EEEvSF_,"axG",@progbits,_ZN7rocprim17ROCPRIM_400000_NS6detail17trampoline_kernelINS0_14default_configENS1_38merge_sort_block_merge_config_selectorIjNS0_10empty_typeEEEZZNS1_27merge_sort_block_merge_implIS3_PjPS5_jNS1_19radix_merge_compareILb1ELb0EjNS0_19identity_decomposerEEEEE10hipError_tT0_T1_T2_jT3_P12ihipStream_tbPNSt15iterator_traitsISE_E10value_typeEPNSK_ISF_E10value_typeEPSG_NS1_7vsmem_tEENKUlT_SE_SF_SG_E_clIS8_S8_S9_S9_EESD_ST_SE_SF_SG_EUlST_E1_NS1_11comp_targetILNS1_3genE8ELNS1_11target_archE1030ELNS1_3gpuE2ELNS1_3repE0EEENS1_36merge_oddeven_config_static_selectorELNS0_4arch9wavefront6targetE1EEEvSF_,comdat
.Lfunc_end2062:
	.size	_ZN7rocprim17ROCPRIM_400000_NS6detail17trampoline_kernelINS0_14default_configENS1_38merge_sort_block_merge_config_selectorIjNS0_10empty_typeEEEZZNS1_27merge_sort_block_merge_implIS3_PjPS5_jNS1_19radix_merge_compareILb1ELb0EjNS0_19identity_decomposerEEEEE10hipError_tT0_T1_T2_jT3_P12ihipStream_tbPNSt15iterator_traitsISE_E10value_typeEPNSK_ISF_E10value_typeEPSG_NS1_7vsmem_tEENKUlT_SE_SF_SG_E_clIS8_S8_S9_S9_EESD_ST_SE_SF_SG_EUlST_E1_NS1_11comp_targetILNS1_3genE8ELNS1_11target_archE1030ELNS1_3gpuE2ELNS1_3repE0EEENS1_36merge_oddeven_config_static_selectorELNS0_4arch9wavefront6targetE1EEEvSF_, .Lfunc_end2062-_ZN7rocprim17ROCPRIM_400000_NS6detail17trampoline_kernelINS0_14default_configENS1_38merge_sort_block_merge_config_selectorIjNS0_10empty_typeEEEZZNS1_27merge_sort_block_merge_implIS3_PjPS5_jNS1_19radix_merge_compareILb1ELb0EjNS0_19identity_decomposerEEEEE10hipError_tT0_T1_T2_jT3_P12ihipStream_tbPNSt15iterator_traitsISE_E10value_typeEPNSK_ISF_E10value_typeEPSG_NS1_7vsmem_tEENKUlT_SE_SF_SG_E_clIS8_S8_S9_S9_EESD_ST_SE_SF_SG_EUlST_E1_NS1_11comp_targetILNS1_3genE8ELNS1_11target_archE1030ELNS1_3gpuE2ELNS1_3repE0EEENS1_36merge_oddeven_config_static_selectorELNS0_4arch9wavefront6targetE1EEEvSF_
                                        ; -- End function
	.section	.AMDGPU.csdata,"",@progbits
; Kernel info:
; codeLenInByte = 0
; NumSgprs: 4
; NumVgprs: 0
; NumAgprs: 0
; TotalNumVgprs: 0
; ScratchSize: 0
; MemoryBound: 0
; FloatMode: 240
; IeeeMode: 1
; LDSByteSize: 0 bytes/workgroup (compile time only)
; SGPRBlocks: 0
; VGPRBlocks: 0
; NumSGPRsForWavesPerEU: 4
; NumVGPRsForWavesPerEU: 1
; AccumOffset: 4
; Occupancy: 8
; WaveLimiterHint : 0
; COMPUTE_PGM_RSRC2:SCRATCH_EN: 0
; COMPUTE_PGM_RSRC2:USER_SGPR: 6
; COMPUTE_PGM_RSRC2:TRAP_HANDLER: 0
; COMPUTE_PGM_RSRC2:TGID_X_EN: 1
; COMPUTE_PGM_RSRC2:TGID_Y_EN: 0
; COMPUTE_PGM_RSRC2:TGID_Z_EN: 0
; COMPUTE_PGM_RSRC2:TIDIG_COMP_CNT: 0
; COMPUTE_PGM_RSRC3_GFX90A:ACCUM_OFFSET: 0
; COMPUTE_PGM_RSRC3_GFX90A:TG_SPLIT: 0
	.section	.text._ZN7rocprim17ROCPRIM_400000_NS6detail17trampoline_kernelINS0_14default_configENS1_38merge_sort_block_merge_config_selectorIjNS0_10empty_typeEEEZZNS1_27merge_sort_block_merge_implIS3_PjPS5_jNS1_19radix_merge_compareILb1ELb1EjNS0_19identity_decomposerEEEEE10hipError_tT0_T1_T2_jT3_P12ihipStream_tbPNSt15iterator_traitsISE_E10value_typeEPNSK_ISF_E10value_typeEPSG_NS1_7vsmem_tEENKUlT_SE_SF_SG_E_clIS8_S8_S9_S9_EESD_ST_SE_SF_SG_EUlST_E_NS1_11comp_targetILNS1_3genE0ELNS1_11target_archE4294967295ELNS1_3gpuE0ELNS1_3repE0EEENS1_48merge_mergepath_partition_config_static_selectorELNS0_4arch9wavefront6targetE1EEEvSF_,"axG",@progbits,_ZN7rocprim17ROCPRIM_400000_NS6detail17trampoline_kernelINS0_14default_configENS1_38merge_sort_block_merge_config_selectorIjNS0_10empty_typeEEEZZNS1_27merge_sort_block_merge_implIS3_PjPS5_jNS1_19radix_merge_compareILb1ELb1EjNS0_19identity_decomposerEEEEE10hipError_tT0_T1_T2_jT3_P12ihipStream_tbPNSt15iterator_traitsISE_E10value_typeEPNSK_ISF_E10value_typeEPSG_NS1_7vsmem_tEENKUlT_SE_SF_SG_E_clIS8_S8_S9_S9_EESD_ST_SE_SF_SG_EUlST_E_NS1_11comp_targetILNS1_3genE0ELNS1_11target_archE4294967295ELNS1_3gpuE0ELNS1_3repE0EEENS1_48merge_mergepath_partition_config_static_selectorELNS0_4arch9wavefront6targetE1EEEvSF_,comdat
	.protected	_ZN7rocprim17ROCPRIM_400000_NS6detail17trampoline_kernelINS0_14default_configENS1_38merge_sort_block_merge_config_selectorIjNS0_10empty_typeEEEZZNS1_27merge_sort_block_merge_implIS3_PjPS5_jNS1_19radix_merge_compareILb1ELb1EjNS0_19identity_decomposerEEEEE10hipError_tT0_T1_T2_jT3_P12ihipStream_tbPNSt15iterator_traitsISE_E10value_typeEPNSK_ISF_E10value_typeEPSG_NS1_7vsmem_tEENKUlT_SE_SF_SG_E_clIS8_S8_S9_S9_EESD_ST_SE_SF_SG_EUlST_E_NS1_11comp_targetILNS1_3genE0ELNS1_11target_archE4294967295ELNS1_3gpuE0ELNS1_3repE0EEENS1_48merge_mergepath_partition_config_static_selectorELNS0_4arch9wavefront6targetE1EEEvSF_ ; -- Begin function _ZN7rocprim17ROCPRIM_400000_NS6detail17trampoline_kernelINS0_14default_configENS1_38merge_sort_block_merge_config_selectorIjNS0_10empty_typeEEEZZNS1_27merge_sort_block_merge_implIS3_PjPS5_jNS1_19radix_merge_compareILb1ELb1EjNS0_19identity_decomposerEEEEE10hipError_tT0_T1_T2_jT3_P12ihipStream_tbPNSt15iterator_traitsISE_E10value_typeEPNSK_ISF_E10value_typeEPSG_NS1_7vsmem_tEENKUlT_SE_SF_SG_E_clIS8_S8_S9_S9_EESD_ST_SE_SF_SG_EUlST_E_NS1_11comp_targetILNS1_3genE0ELNS1_11target_archE4294967295ELNS1_3gpuE0ELNS1_3repE0EEENS1_48merge_mergepath_partition_config_static_selectorELNS0_4arch9wavefront6targetE1EEEvSF_
	.globl	_ZN7rocprim17ROCPRIM_400000_NS6detail17trampoline_kernelINS0_14default_configENS1_38merge_sort_block_merge_config_selectorIjNS0_10empty_typeEEEZZNS1_27merge_sort_block_merge_implIS3_PjPS5_jNS1_19radix_merge_compareILb1ELb1EjNS0_19identity_decomposerEEEEE10hipError_tT0_T1_T2_jT3_P12ihipStream_tbPNSt15iterator_traitsISE_E10value_typeEPNSK_ISF_E10value_typeEPSG_NS1_7vsmem_tEENKUlT_SE_SF_SG_E_clIS8_S8_S9_S9_EESD_ST_SE_SF_SG_EUlST_E_NS1_11comp_targetILNS1_3genE0ELNS1_11target_archE4294967295ELNS1_3gpuE0ELNS1_3repE0EEENS1_48merge_mergepath_partition_config_static_selectorELNS0_4arch9wavefront6targetE1EEEvSF_
	.p2align	8
	.type	_ZN7rocprim17ROCPRIM_400000_NS6detail17trampoline_kernelINS0_14default_configENS1_38merge_sort_block_merge_config_selectorIjNS0_10empty_typeEEEZZNS1_27merge_sort_block_merge_implIS3_PjPS5_jNS1_19radix_merge_compareILb1ELb1EjNS0_19identity_decomposerEEEEE10hipError_tT0_T1_T2_jT3_P12ihipStream_tbPNSt15iterator_traitsISE_E10value_typeEPNSK_ISF_E10value_typeEPSG_NS1_7vsmem_tEENKUlT_SE_SF_SG_E_clIS8_S8_S9_S9_EESD_ST_SE_SF_SG_EUlST_E_NS1_11comp_targetILNS1_3genE0ELNS1_11target_archE4294967295ELNS1_3gpuE0ELNS1_3repE0EEENS1_48merge_mergepath_partition_config_static_selectorELNS0_4arch9wavefront6targetE1EEEvSF_,@function
_ZN7rocprim17ROCPRIM_400000_NS6detail17trampoline_kernelINS0_14default_configENS1_38merge_sort_block_merge_config_selectorIjNS0_10empty_typeEEEZZNS1_27merge_sort_block_merge_implIS3_PjPS5_jNS1_19radix_merge_compareILb1ELb1EjNS0_19identity_decomposerEEEEE10hipError_tT0_T1_T2_jT3_P12ihipStream_tbPNSt15iterator_traitsISE_E10value_typeEPNSK_ISF_E10value_typeEPSG_NS1_7vsmem_tEENKUlT_SE_SF_SG_E_clIS8_S8_S9_S9_EESD_ST_SE_SF_SG_EUlST_E_NS1_11comp_targetILNS1_3genE0ELNS1_11target_archE4294967295ELNS1_3gpuE0ELNS1_3repE0EEENS1_48merge_mergepath_partition_config_static_selectorELNS0_4arch9wavefront6targetE1EEEvSF_: ; @_ZN7rocprim17ROCPRIM_400000_NS6detail17trampoline_kernelINS0_14default_configENS1_38merge_sort_block_merge_config_selectorIjNS0_10empty_typeEEEZZNS1_27merge_sort_block_merge_implIS3_PjPS5_jNS1_19radix_merge_compareILb1ELb1EjNS0_19identity_decomposerEEEEE10hipError_tT0_T1_T2_jT3_P12ihipStream_tbPNSt15iterator_traitsISE_E10value_typeEPNSK_ISF_E10value_typeEPSG_NS1_7vsmem_tEENKUlT_SE_SF_SG_E_clIS8_S8_S9_S9_EESD_ST_SE_SF_SG_EUlST_E_NS1_11comp_targetILNS1_3genE0ELNS1_11target_archE4294967295ELNS1_3gpuE0ELNS1_3repE0EEENS1_48merge_mergepath_partition_config_static_selectorELNS0_4arch9wavefront6targetE1EEEvSF_
; %bb.0:
	.section	.rodata,"a",@progbits
	.p2align	6, 0x0
	.amdhsa_kernel _ZN7rocprim17ROCPRIM_400000_NS6detail17trampoline_kernelINS0_14default_configENS1_38merge_sort_block_merge_config_selectorIjNS0_10empty_typeEEEZZNS1_27merge_sort_block_merge_implIS3_PjPS5_jNS1_19radix_merge_compareILb1ELb1EjNS0_19identity_decomposerEEEEE10hipError_tT0_T1_T2_jT3_P12ihipStream_tbPNSt15iterator_traitsISE_E10value_typeEPNSK_ISF_E10value_typeEPSG_NS1_7vsmem_tEENKUlT_SE_SF_SG_E_clIS8_S8_S9_S9_EESD_ST_SE_SF_SG_EUlST_E_NS1_11comp_targetILNS1_3genE0ELNS1_11target_archE4294967295ELNS1_3gpuE0ELNS1_3repE0EEENS1_48merge_mergepath_partition_config_static_selectorELNS0_4arch9wavefront6targetE1EEEvSF_
		.amdhsa_group_segment_fixed_size 0
		.amdhsa_private_segment_fixed_size 0
		.amdhsa_kernarg_size 40
		.amdhsa_user_sgpr_count 6
		.amdhsa_user_sgpr_private_segment_buffer 1
		.amdhsa_user_sgpr_dispatch_ptr 0
		.amdhsa_user_sgpr_queue_ptr 0
		.amdhsa_user_sgpr_kernarg_segment_ptr 1
		.amdhsa_user_sgpr_dispatch_id 0
		.amdhsa_user_sgpr_flat_scratch_init 0
		.amdhsa_user_sgpr_kernarg_preload_length 0
		.amdhsa_user_sgpr_kernarg_preload_offset 0
		.amdhsa_user_sgpr_private_segment_size 0
		.amdhsa_uses_dynamic_stack 0
		.amdhsa_system_sgpr_private_segment_wavefront_offset 0
		.amdhsa_system_sgpr_workgroup_id_x 1
		.amdhsa_system_sgpr_workgroup_id_y 0
		.amdhsa_system_sgpr_workgroup_id_z 0
		.amdhsa_system_sgpr_workgroup_info 0
		.amdhsa_system_vgpr_workitem_id 0
		.amdhsa_next_free_vgpr 1
		.amdhsa_next_free_sgpr 0
		.amdhsa_accum_offset 4
		.amdhsa_reserve_vcc 0
		.amdhsa_reserve_flat_scratch 0
		.amdhsa_float_round_mode_32 0
		.amdhsa_float_round_mode_16_64 0
		.amdhsa_float_denorm_mode_32 3
		.amdhsa_float_denorm_mode_16_64 3
		.amdhsa_dx10_clamp 1
		.amdhsa_ieee_mode 1
		.amdhsa_fp16_overflow 0
		.amdhsa_tg_split 0
		.amdhsa_exception_fp_ieee_invalid_op 0
		.amdhsa_exception_fp_denorm_src 0
		.amdhsa_exception_fp_ieee_div_zero 0
		.amdhsa_exception_fp_ieee_overflow 0
		.amdhsa_exception_fp_ieee_underflow 0
		.amdhsa_exception_fp_ieee_inexact 0
		.amdhsa_exception_int_div_zero 0
	.end_amdhsa_kernel
	.section	.text._ZN7rocprim17ROCPRIM_400000_NS6detail17trampoline_kernelINS0_14default_configENS1_38merge_sort_block_merge_config_selectorIjNS0_10empty_typeEEEZZNS1_27merge_sort_block_merge_implIS3_PjPS5_jNS1_19radix_merge_compareILb1ELb1EjNS0_19identity_decomposerEEEEE10hipError_tT0_T1_T2_jT3_P12ihipStream_tbPNSt15iterator_traitsISE_E10value_typeEPNSK_ISF_E10value_typeEPSG_NS1_7vsmem_tEENKUlT_SE_SF_SG_E_clIS8_S8_S9_S9_EESD_ST_SE_SF_SG_EUlST_E_NS1_11comp_targetILNS1_3genE0ELNS1_11target_archE4294967295ELNS1_3gpuE0ELNS1_3repE0EEENS1_48merge_mergepath_partition_config_static_selectorELNS0_4arch9wavefront6targetE1EEEvSF_,"axG",@progbits,_ZN7rocprim17ROCPRIM_400000_NS6detail17trampoline_kernelINS0_14default_configENS1_38merge_sort_block_merge_config_selectorIjNS0_10empty_typeEEEZZNS1_27merge_sort_block_merge_implIS3_PjPS5_jNS1_19radix_merge_compareILb1ELb1EjNS0_19identity_decomposerEEEEE10hipError_tT0_T1_T2_jT3_P12ihipStream_tbPNSt15iterator_traitsISE_E10value_typeEPNSK_ISF_E10value_typeEPSG_NS1_7vsmem_tEENKUlT_SE_SF_SG_E_clIS8_S8_S9_S9_EESD_ST_SE_SF_SG_EUlST_E_NS1_11comp_targetILNS1_3genE0ELNS1_11target_archE4294967295ELNS1_3gpuE0ELNS1_3repE0EEENS1_48merge_mergepath_partition_config_static_selectorELNS0_4arch9wavefront6targetE1EEEvSF_,comdat
.Lfunc_end2063:
	.size	_ZN7rocprim17ROCPRIM_400000_NS6detail17trampoline_kernelINS0_14default_configENS1_38merge_sort_block_merge_config_selectorIjNS0_10empty_typeEEEZZNS1_27merge_sort_block_merge_implIS3_PjPS5_jNS1_19radix_merge_compareILb1ELb1EjNS0_19identity_decomposerEEEEE10hipError_tT0_T1_T2_jT3_P12ihipStream_tbPNSt15iterator_traitsISE_E10value_typeEPNSK_ISF_E10value_typeEPSG_NS1_7vsmem_tEENKUlT_SE_SF_SG_E_clIS8_S8_S9_S9_EESD_ST_SE_SF_SG_EUlST_E_NS1_11comp_targetILNS1_3genE0ELNS1_11target_archE4294967295ELNS1_3gpuE0ELNS1_3repE0EEENS1_48merge_mergepath_partition_config_static_selectorELNS0_4arch9wavefront6targetE1EEEvSF_, .Lfunc_end2063-_ZN7rocprim17ROCPRIM_400000_NS6detail17trampoline_kernelINS0_14default_configENS1_38merge_sort_block_merge_config_selectorIjNS0_10empty_typeEEEZZNS1_27merge_sort_block_merge_implIS3_PjPS5_jNS1_19radix_merge_compareILb1ELb1EjNS0_19identity_decomposerEEEEE10hipError_tT0_T1_T2_jT3_P12ihipStream_tbPNSt15iterator_traitsISE_E10value_typeEPNSK_ISF_E10value_typeEPSG_NS1_7vsmem_tEENKUlT_SE_SF_SG_E_clIS8_S8_S9_S9_EESD_ST_SE_SF_SG_EUlST_E_NS1_11comp_targetILNS1_3genE0ELNS1_11target_archE4294967295ELNS1_3gpuE0ELNS1_3repE0EEENS1_48merge_mergepath_partition_config_static_selectorELNS0_4arch9wavefront6targetE1EEEvSF_
                                        ; -- End function
	.section	.AMDGPU.csdata,"",@progbits
; Kernel info:
; codeLenInByte = 0
; NumSgprs: 4
; NumVgprs: 0
; NumAgprs: 0
; TotalNumVgprs: 0
; ScratchSize: 0
; MemoryBound: 0
; FloatMode: 240
; IeeeMode: 1
; LDSByteSize: 0 bytes/workgroup (compile time only)
; SGPRBlocks: 0
; VGPRBlocks: 0
; NumSGPRsForWavesPerEU: 4
; NumVGPRsForWavesPerEU: 1
; AccumOffset: 4
; Occupancy: 8
; WaveLimiterHint : 0
; COMPUTE_PGM_RSRC2:SCRATCH_EN: 0
; COMPUTE_PGM_RSRC2:USER_SGPR: 6
; COMPUTE_PGM_RSRC2:TRAP_HANDLER: 0
; COMPUTE_PGM_RSRC2:TGID_X_EN: 1
; COMPUTE_PGM_RSRC2:TGID_Y_EN: 0
; COMPUTE_PGM_RSRC2:TGID_Z_EN: 0
; COMPUTE_PGM_RSRC2:TIDIG_COMP_CNT: 0
; COMPUTE_PGM_RSRC3_GFX90A:ACCUM_OFFSET: 0
; COMPUTE_PGM_RSRC3_GFX90A:TG_SPLIT: 0
	.section	.text._ZN7rocprim17ROCPRIM_400000_NS6detail17trampoline_kernelINS0_14default_configENS1_38merge_sort_block_merge_config_selectorIjNS0_10empty_typeEEEZZNS1_27merge_sort_block_merge_implIS3_PjPS5_jNS1_19radix_merge_compareILb1ELb1EjNS0_19identity_decomposerEEEEE10hipError_tT0_T1_T2_jT3_P12ihipStream_tbPNSt15iterator_traitsISE_E10value_typeEPNSK_ISF_E10value_typeEPSG_NS1_7vsmem_tEENKUlT_SE_SF_SG_E_clIS8_S8_S9_S9_EESD_ST_SE_SF_SG_EUlST_E_NS1_11comp_targetILNS1_3genE10ELNS1_11target_archE1201ELNS1_3gpuE5ELNS1_3repE0EEENS1_48merge_mergepath_partition_config_static_selectorELNS0_4arch9wavefront6targetE1EEEvSF_,"axG",@progbits,_ZN7rocprim17ROCPRIM_400000_NS6detail17trampoline_kernelINS0_14default_configENS1_38merge_sort_block_merge_config_selectorIjNS0_10empty_typeEEEZZNS1_27merge_sort_block_merge_implIS3_PjPS5_jNS1_19radix_merge_compareILb1ELb1EjNS0_19identity_decomposerEEEEE10hipError_tT0_T1_T2_jT3_P12ihipStream_tbPNSt15iterator_traitsISE_E10value_typeEPNSK_ISF_E10value_typeEPSG_NS1_7vsmem_tEENKUlT_SE_SF_SG_E_clIS8_S8_S9_S9_EESD_ST_SE_SF_SG_EUlST_E_NS1_11comp_targetILNS1_3genE10ELNS1_11target_archE1201ELNS1_3gpuE5ELNS1_3repE0EEENS1_48merge_mergepath_partition_config_static_selectorELNS0_4arch9wavefront6targetE1EEEvSF_,comdat
	.protected	_ZN7rocprim17ROCPRIM_400000_NS6detail17trampoline_kernelINS0_14default_configENS1_38merge_sort_block_merge_config_selectorIjNS0_10empty_typeEEEZZNS1_27merge_sort_block_merge_implIS3_PjPS5_jNS1_19radix_merge_compareILb1ELb1EjNS0_19identity_decomposerEEEEE10hipError_tT0_T1_T2_jT3_P12ihipStream_tbPNSt15iterator_traitsISE_E10value_typeEPNSK_ISF_E10value_typeEPSG_NS1_7vsmem_tEENKUlT_SE_SF_SG_E_clIS8_S8_S9_S9_EESD_ST_SE_SF_SG_EUlST_E_NS1_11comp_targetILNS1_3genE10ELNS1_11target_archE1201ELNS1_3gpuE5ELNS1_3repE0EEENS1_48merge_mergepath_partition_config_static_selectorELNS0_4arch9wavefront6targetE1EEEvSF_ ; -- Begin function _ZN7rocprim17ROCPRIM_400000_NS6detail17trampoline_kernelINS0_14default_configENS1_38merge_sort_block_merge_config_selectorIjNS0_10empty_typeEEEZZNS1_27merge_sort_block_merge_implIS3_PjPS5_jNS1_19radix_merge_compareILb1ELb1EjNS0_19identity_decomposerEEEEE10hipError_tT0_T1_T2_jT3_P12ihipStream_tbPNSt15iterator_traitsISE_E10value_typeEPNSK_ISF_E10value_typeEPSG_NS1_7vsmem_tEENKUlT_SE_SF_SG_E_clIS8_S8_S9_S9_EESD_ST_SE_SF_SG_EUlST_E_NS1_11comp_targetILNS1_3genE10ELNS1_11target_archE1201ELNS1_3gpuE5ELNS1_3repE0EEENS1_48merge_mergepath_partition_config_static_selectorELNS0_4arch9wavefront6targetE1EEEvSF_
	.globl	_ZN7rocprim17ROCPRIM_400000_NS6detail17trampoline_kernelINS0_14default_configENS1_38merge_sort_block_merge_config_selectorIjNS0_10empty_typeEEEZZNS1_27merge_sort_block_merge_implIS3_PjPS5_jNS1_19radix_merge_compareILb1ELb1EjNS0_19identity_decomposerEEEEE10hipError_tT0_T1_T2_jT3_P12ihipStream_tbPNSt15iterator_traitsISE_E10value_typeEPNSK_ISF_E10value_typeEPSG_NS1_7vsmem_tEENKUlT_SE_SF_SG_E_clIS8_S8_S9_S9_EESD_ST_SE_SF_SG_EUlST_E_NS1_11comp_targetILNS1_3genE10ELNS1_11target_archE1201ELNS1_3gpuE5ELNS1_3repE0EEENS1_48merge_mergepath_partition_config_static_selectorELNS0_4arch9wavefront6targetE1EEEvSF_
	.p2align	8
	.type	_ZN7rocprim17ROCPRIM_400000_NS6detail17trampoline_kernelINS0_14default_configENS1_38merge_sort_block_merge_config_selectorIjNS0_10empty_typeEEEZZNS1_27merge_sort_block_merge_implIS3_PjPS5_jNS1_19radix_merge_compareILb1ELb1EjNS0_19identity_decomposerEEEEE10hipError_tT0_T1_T2_jT3_P12ihipStream_tbPNSt15iterator_traitsISE_E10value_typeEPNSK_ISF_E10value_typeEPSG_NS1_7vsmem_tEENKUlT_SE_SF_SG_E_clIS8_S8_S9_S9_EESD_ST_SE_SF_SG_EUlST_E_NS1_11comp_targetILNS1_3genE10ELNS1_11target_archE1201ELNS1_3gpuE5ELNS1_3repE0EEENS1_48merge_mergepath_partition_config_static_selectorELNS0_4arch9wavefront6targetE1EEEvSF_,@function
_ZN7rocprim17ROCPRIM_400000_NS6detail17trampoline_kernelINS0_14default_configENS1_38merge_sort_block_merge_config_selectorIjNS0_10empty_typeEEEZZNS1_27merge_sort_block_merge_implIS3_PjPS5_jNS1_19radix_merge_compareILb1ELb1EjNS0_19identity_decomposerEEEEE10hipError_tT0_T1_T2_jT3_P12ihipStream_tbPNSt15iterator_traitsISE_E10value_typeEPNSK_ISF_E10value_typeEPSG_NS1_7vsmem_tEENKUlT_SE_SF_SG_E_clIS8_S8_S9_S9_EESD_ST_SE_SF_SG_EUlST_E_NS1_11comp_targetILNS1_3genE10ELNS1_11target_archE1201ELNS1_3gpuE5ELNS1_3repE0EEENS1_48merge_mergepath_partition_config_static_selectorELNS0_4arch9wavefront6targetE1EEEvSF_: ; @_ZN7rocprim17ROCPRIM_400000_NS6detail17trampoline_kernelINS0_14default_configENS1_38merge_sort_block_merge_config_selectorIjNS0_10empty_typeEEEZZNS1_27merge_sort_block_merge_implIS3_PjPS5_jNS1_19radix_merge_compareILb1ELb1EjNS0_19identity_decomposerEEEEE10hipError_tT0_T1_T2_jT3_P12ihipStream_tbPNSt15iterator_traitsISE_E10value_typeEPNSK_ISF_E10value_typeEPSG_NS1_7vsmem_tEENKUlT_SE_SF_SG_E_clIS8_S8_S9_S9_EESD_ST_SE_SF_SG_EUlST_E_NS1_11comp_targetILNS1_3genE10ELNS1_11target_archE1201ELNS1_3gpuE5ELNS1_3repE0EEENS1_48merge_mergepath_partition_config_static_selectorELNS0_4arch9wavefront6targetE1EEEvSF_
; %bb.0:
	.section	.rodata,"a",@progbits
	.p2align	6, 0x0
	.amdhsa_kernel _ZN7rocprim17ROCPRIM_400000_NS6detail17trampoline_kernelINS0_14default_configENS1_38merge_sort_block_merge_config_selectorIjNS0_10empty_typeEEEZZNS1_27merge_sort_block_merge_implIS3_PjPS5_jNS1_19radix_merge_compareILb1ELb1EjNS0_19identity_decomposerEEEEE10hipError_tT0_T1_T2_jT3_P12ihipStream_tbPNSt15iterator_traitsISE_E10value_typeEPNSK_ISF_E10value_typeEPSG_NS1_7vsmem_tEENKUlT_SE_SF_SG_E_clIS8_S8_S9_S9_EESD_ST_SE_SF_SG_EUlST_E_NS1_11comp_targetILNS1_3genE10ELNS1_11target_archE1201ELNS1_3gpuE5ELNS1_3repE0EEENS1_48merge_mergepath_partition_config_static_selectorELNS0_4arch9wavefront6targetE1EEEvSF_
		.amdhsa_group_segment_fixed_size 0
		.amdhsa_private_segment_fixed_size 0
		.amdhsa_kernarg_size 40
		.amdhsa_user_sgpr_count 6
		.amdhsa_user_sgpr_private_segment_buffer 1
		.amdhsa_user_sgpr_dispatch_ptr 0
		.amdhsa_user_sgpr_queue_ptr 0
		.amdhsa_user_sgpr_kernarg_segment_ptr 1
		.amdhsa_user_sgpr_dispatch_id 0
		.amdhsa_user_sgpr_flat_scratch_init 0
		.amdhsa_user_sgpr_kernarg_preload_length 0
		.amdhsa_user_sgpr_kernarg_preload_offset 0
		.amdhsa_user_sgpr_private_segment_size 0
		.amdhsa_uses_dynamic_stack 0
		.amdhsa_system_sgpr_private_segment_wavefront_offset 0
		.amdhsa_system_sgpr_workgroup_id_x 1
		.amdhsa_system_sgpr_workgroup_id_y 0
		.amdhsa_system_sgpr_workgroup_id_z 0
		.amdhsa_system_sgpr_workgroup_info 0
		.amdhsa_system_vgpr_workitem_id 0
		.amdhsa_next_free_vgpr 1
		.amdhsa_next_free_sgpr 0
		.amdhsa_accum_offset 4
		.amdhsa_reserve_vcc 0
		.amdhsa_reserve_flat_scratch 0
		.amdhsa_float_round_mode_32 0
		.amdhsa_float_round_mode_16_64 0
		.amdhsa_float_denorm_mode_32 3
		.amdhsa_float_denorm_mode_16_64 3
		.amdhsa_dx10_clamp 1
		.amdhsa_ieee_mode 1
		.amdhsa_fp16_overflow 0
		.amdhsa_tg_split 0
		.amdhsa_exception_fp_ieee_invalid_op 0
		.amdhsa_exception_fp_denorm_src 0
		.amdhsa_exception_fp_ieee_div_zero 0
		.amdhsa_exception_fp_ieee_overflow 0
		.amdhsa_exception_fp_ieee_underflow 0
		.amdhsa_exception_fp_ieee_inexact 0
		.amdhsa_exception_int_div_zero 0
	.end_amdhsa_kernel
	.section	.text._ZN7rocprim17ROCPRIM_400000_NS6detail17trampoline_kernelINS0_14default_configENS1_38merge_sort_block_merge_config_selectorIjNS0_10empty_typeEEEZZNS1_27merge_sort_block_merge_implIS3_PjPS5_jNS1_19radix_merge_compareILb1ELb1EjNS0_19identity_decomposerEEEEE10hipError_tT0_T1_T2_jT3_P12ihipStream_tbPNSt15iterator_traitsISE_E10value_typeEPNSK_ISF_E10value_typeEPSG_NS1_7vsmem_tEENKUlT_SE_SF_SG_E_clIS8_S8_S9_S9_EESD_ST_SE_SF_SG_EUlST_E_NS1_11comp_targetILNS1_3genE10ELNS1_11target_archE1201ELNS1_3gpuE5ELNS1_3repE0EEENS1_48merge_mergepath_partition_config_static_selectorELNS0_4arch9wavefront6targetE1EEEvSF_,"axG",@progbits,_ZN7rocprim17ROCPRIM_400000_NS6detail17trampoline_kernelINS0_14default_configENS1_38merge_sort_block_merge_config_selectorIjNS0_10empty_typeEEEZZNS1_27merge_sort_block_merge_implIS3_PjPS5_jNS1_19radix_merge_compareILb1ELb1EjNS0_19identity_decomposerEEEEE10hipError_tT0_T1_T2_jT3_P12ihipStream_tbPNSt15iterator_traitsISE_E10value_typeEPNSK_ISF_E10value_typeEPSG_NS1_7vsmem_tEENKUlT_SE_SF_SG_E_clIS8_S8_S9_S9_EESD_ST_SE_SF_SG_EUlST_E_NS1_11comp_targetILNS1_3genE10ELNS1_11target_archE1201ELNS1_3gpuE5ELNS1_3repE0EEENS1_48merge_mergepath_partition_config_static_selectorELNS0_4arch9wavefront6targetE1EEEvSF_,comdat
.Lfunc_end2064:
	.size	_ZN7rocprim17ROCPRIM_400000_NS6detail17trampoline_kernelINS0_14default_configENS1_38merge_sort_block_merge_config_selectorIjNS0_10empty_typeEEEZZNS1_27merge_sort_block_merge_implIS3_PjPS5_jNS1_19radix_merge_compareILb1ELb1EjNS0_19identity_decomposerEEEEE10hipError_tT0_T1_T2_jT3_P12ihipStream_tbPNSt15iterator_traitsISE_E10value_typeEPNSK_ISF_E10value_typeEPSG_NS1_7vsmem_tEENKUlT_SE_SF_SG_E_clIS8_S8_S9_S9_EESD_ST_SE_SF_SG_EUlST_E_NS1_11comp_targetILNS1_3genE10ELNS1_11target_archE1201ELNS1_3gpuE5ELNS1_3repE0EEENS1_48merge_mergepath_partition_config_static_selectorELNS0_4arch9wavefront6targetE1EEEvSF_, .Lfunc_end2064-_ZN7rocprim17ROCPRIM_400000_NS6detail17trampoline_kernelINS0_14default_configENS1_38merge_sort_block_merge_config_selectorIjNS0_10empty_typeEEEZZNS1_27merge_sort_block_merge_implIS3_PjPS5_jNS1_19radix_merge_compareILb1ELb1EjNS0_19identity_decomposerEEEEE10hipError_tT0_T1_T2_jT3_P12ihipStream_tbPNSt15iterator_traitsISE_E10value_typeEPNSK_ISF_E10value_typeEPSG_NS1_7vsmem_tEENKUlT_SE_SF_SG_E_clIS8_S8_S9_S9_EESD_ST_SE_SF_SG_EUlST_E_NS1_11comp_targetILNS1_3genE10ELNS1_11target_archE1201ELNS1_3gpuE5ELNS1_3repE0EEENS1_48merge_mergepath_partition_config_static_selectorELNS0_4arch9wavefront6targetE1EEEvSF_
                                        ; -- End function
	.section	.AMDGPU.csdata,"",@progbits
; Kernel info:
; codeLenInByte = 0
; NumSgprs: 4
; NumVgprs: 0
; NumAgprs: 0
; TotalNumVgprs: 0
; ScratchSize: 0
; MemoryBound: 0
; FloatMode: 240
; IeeeMode: 1
; LDSByteSize: 0 bytes/workgroup (compile time only)
; SGPRBlocks: 0
; VGPRBlocks: 0
; NumSGPRsForWavesPerEU: 4
; NumVGPRsForWavesPerEU: 1
; AccumOffset: 4
; Occupancy: 8
; WaveLimiterHint : 0
; COMPUTE_PGM_RSRC2:SCRATCH_EN: 0
; COMPUTE_PGM_RSRC2:USER_SGPR: 6
; COMPUTE_PGM_RSRC2:TRAP_HANDLER: 0
; COMPUTE_PGM_RSRC2:TGID_X_EN: 1
; COMPUTE_PGM_RSRC2:TGID_Y_EN: 0
; COMPUTE_PGM_RSRC2:TGID_Z_EN: 0
; COMPUTE_PGM_RSRC2:TIDIG_COMP_CNT: 0
; COMPUTE_PGM_RSRC3_GFX90A:ACCUM_OFFSET: 0
; COMPUTE_PGM_RSRC3_GFX90A:TG_SPLIT: 0
	.section	.text._ZN7rocprim17ROCPRIM_400000_NS6detail17trampoline_kernelINS0_14default_configENS1_38merge_sort_block_merge_config_selectorIjNS0_10empty_typeEEEZZNS1_27merge_sort_block_merge_implIS3_PjPS5_jNS1_19radix_merge_compareILb1ELb1EjNS0_19identity_decomposerEEEEE10hipError_tT0_T1_T2_jT3_P12ihipStream_tbPNSt15iterator_traitsISE_E10value_typeEPNSK_ISF_E10value_typeEPSG_NS1_7vsmem_tEENKUlT_SE_SF_SG_E_clIS8_S8_S9_S9_EESD_ST_SE_SF_SG_EUlST_E_NS1_11comp_targetILNS1_3genE5ELNS1_11target_archE942ELNS1_3gpuE9ELNS1_3repE0EEENS1_48merge_mergepath_partition_config_static_selectorELNS0_4arch9wavefront6targetE1EEEvSF_,"axG",@progbits,_ZN7rocprim17ROCPRIM_400000_NS6detail17trampoline_kernelINS0_14default_configENS1_38merge_sort_block_merge_config_selectorIjNS0_10empty_typeEEEZZNS1_27merge_sort_block_merge_implIS3_PjPS5_jNS1_19radix_merge_compareILb1ELb1EjNS0_19identity_decomposerEEEEE10hipError_tT0_T1_T2_jT3_P12ihipStream_tbPNSt15iterator_traitsISE_E10value_typeEPNSK_ISF_E10value_typeEPSG_NS1_7vsmem_tEENKUlT_SE_SF_SG_E_clIS8_S8_S9_S9_EESD_ST_SE_SF_SG_EUlST_E_NS1_11comp_targetILNS1_3genE5ELNS1_11target_archE942ELNS1_3gpuE9ELNS1_3repE0EEENS1_48merge_mergepath_partition_config_static_selectorELNS0_4arch9wavefront6targetE1EEEvSF_,comdat
	.protected	_ZN7rocprim17ROCPRIM_400000_NS6detail17trampoline_kernelINS0_14default_configENS1_38merge_sort_block_merge_config_selectorIjNS0_10empty_typeEEEZZNS1_27merge_sort_block_merge_implIS3_PjPS5_jNS1_19radix_merge_compareILb1ELb1EjNS0_19identity_decomposerEEEEE10hipError_tT0_T1_T2_jT3_P12ihipStream_tbPNSt15iterator_traitsISE_E10value_typeEPNSK_ISF_E10value_typeEPSG_NS1_7vsmem_tEENKUlT_SE_SF_SG_E_clIS8_S8_S9_S9_EESD_ST_SE_SF_SG_EUlST_E_NS1_11comp_targetILNS1_3genE5ELNS1_11target_archE942ELNS1_3gpuE9ELNS1_3repE0EEENS1_48merge_mergepath_partition_config_static_selectorELNS0_4arch9wavefront6targetE1EEEvSF_ ; -- Begin function _ZN7rocprim17ROCPRIM_400000_NS6detail17trampoline_kernelINS0_14default_configENS1_38merge_sort_block_merge_config_selectorIjNS0_10empty_typeEEEZZNS1_27merge_sort_block_merge_implIS3_PjPS5_jNS1_19radix_merge_compareILb1ELb1EjNS0_19identity_decomposerEEEEE10hipError_tT0_T1_T2_jT3_P12ihipStream_tbPNSt15iterator_traitsISE_E10value_typeEPNSK_ISF_E10value_typeEPSG_NS1_7vsmem_tEENKUlT_SE_SF_SG_E_clIS8_S8_S9_S9_EESD_ST_SE_SF_SG_EUlST_E_NS1_11comp_targetILNS1_3genE5ELNS1_11target_archE942ELNS1_3gpuE9ELNS1_3repE0EEENS1_48merge_mergepath_partition_config_static_selectorELNS0_4arch9wavefront6targetE1EEEvSF_
	.globl	_ZN7rocprim17ROCPRIM_400000_NS6detail17trampoline_kernelINS0_14default_configENS1_38merge_sort_block_merge_config_selectorIjNS0_10empty_typeEEEZZNS1_27merge_sort_block_merge_implIS3_PjPS5_jNS1_19radix_merge_compareILb1ELb1EjNS0_19identity_decomposerEEEEE10hipError_tT0_T1_T2_jT3_P12ihipStream_tbPNSt15iterator_traitsISE_E10value_typeEPNSK_ISF_E10value_typeEPSG_NS1_7vsmem_tEENKUlT_SE_SF_SG_E_clIS8_S8_S9_S9_EESD_ST_SE_SF_SG_EUlST_E_NS1_11comp_targetILNS1_3genE5ELNS1_11target_archE942ELNS1_3gpuE9ELNS1_3repE0EEENS1_48merge_mergepath_partition_config_static_selectorELNS0_4arch9wavefront6targetE1EEEvSF_
	.p2align	8
	.type	_ZN7rocprim17ROCPRIM_400000_NS6detail17trampoline_kernelINS0_14default_configENS1_38merge_sort_block_merge_config_selectorIjNS0_10empty_typeEEEZZNS1_27merge_sort_block_merge_implIS3_PjPS5_jNS1_19radix_merge_compareILb1ELb1EjNS0_19identity_decomposerEEEEE10hipError_tT0_T1_T2_jT3_P12ihipStream_tbPNSt15iterator_traitsISE_E10value_typeEPNSK_ISF_E10value_typeEPSG_NS1_7vsmem_tEENKUlT_SE_SF_SG_E_clIS8_S8_S9_S9_EESD_ST_SE_SF_SG_EUlST_E_NS1_11comp_targetILNS1_3genE5ELNS1_11target_archE942ELNS1_3gpuE9ELNS1_3repE0EEENS1_48merge_mergepath_partition_config_static_selectorELNS0_4arch9wavefront6targetE1EEEvSF_,@function
_ZN7rocprim17ROCPRIM_400000_NS6detail17trampoline_kernelINS0_14default_configENS1_38merge_sort_block_merge_config_selectorIjNS0_10empty_typeEEEZZNS1_27merge_sort_block_merge_implIS3_PjPS5_jNS1_19radix_merge_compareILb1ELb1EjNS0_19identity_decomposerEEEEE10hipError_tT0_T1_T2_jT3_P12ihipStream_tbPNSt15iterator_traitsISE_E10value_typeEPNSK_ISF_E10value_typeEPSG_NS1_7vsmem_tEENKUlT_SE_SF_SG_E_clIS8_S8_S9_S9_EESD_ST_SE_SF_SG_EUlST_E_NS1_11comp_targetILNS1_3genE5ELNS1_11target_archE942ELNS1_3gpuE9ELNS1_3repE0EEENS1_48merge_mergepath_partition_config_static_selectorELNS0_4arch9wavefront6targetE1EEEvSF_: ; @_ZN7rocprim17ROCPRIM_400000_NS6detail17trampoline_kernelINS0_14default_configENS1_38merge_sort_block_merge_config_selectorIjNS0_10empty_typeEEEZZNS1_27merge_sort_block_merge_implIS3_PjPS5_jNS1_19radix_merge_compareILb1ELb1EjNS0_19identity_decomposerEEEEE10hipError_tT0_T1_T2_jT3_P12ihipStream_tbPNSt15iterator_traitsISE_E10value_typeEPNSK_ISF_E10value_typeEPSG_NS1_7vsmem_tEENKUlT_SE_SF_SG_E_clIS8_S8_S9_S9_EESD_ST_SE_SF_SG_EUlST_E_NS1_11comp_targetILNS1_3genE5ELNS1_11target_archE942ELNS1_3gpuE9ELNS1_3repE0EEENS1_48merge_mergepath_partition_config_static_selectorELNS0_4arch9wavefront6targetE1EEEvSF_
; %bb.0:
	.section	.rodata,"a",@progbits
	.p2align	6, 0x0
	.amdhsa_kernel _ZN7rocprim17ROCPRIM_400000_NS6detail17trampoline_kernelINS0_14default_configENS1_38merge_sort_block_merge_config_selectorIjNS0_10empty_typeEEEZZNS1_27merge_sort_block_merge_implIS3_PjPS5_jNS1_19radix_merge_compareILb1ELb1EjNS0_19identity_decomposerEEEEE10hipError_tT0_T1_T2_jT3_P12ihipStream_tbPNSt15iterator_traitsISE_E10value_typeEPNSK_ISF_E10value_typeEPSG_NS1_7vsmem_tEENKUlT_SE_SF_SG_E_clIS8_S8_S9_S9_EESD_ST_SE_SF_SG_EUlST_E_NS1_11comp_targetILNS1_3genE5ELNS1_11target_archE942ELNS1_3gpuE9ELNS1_3repE0EEENS1_48merge_mergepath_partition_config_static_selectorELNS0_4arch9wavefront6targetE1EEEvSF_
		.amdhsa_group_segment_fixed_size 0
		.amdhsa_private_segment_fixed_size 0
		.amdhsa_kernarg_size 40
		.amdhsa_user_sgpr_count 6
		.amdhsa_user_sgpr_private_segment_buffer 1
		.amdhsa_user_sgpr_dispatch_ptr 0
		.amdhsa_user_sgpr_queue_ptr 0
		.amdhsa_user_sgpr_kernarg_segment_ptr 1
		.amdhsa_user_sgpr_dispatch_id 0
		.amdhsa_user_sgpr_flat_scratch_init 0
		.amdhsa_user_sgpr_kernarg_preload_length 0
		.amdhsa_user_sgpr_kernarg_preload_offset 0
		.amdhsa_user_sgpr_private_segment_size 0
		.amdhsa_uses_dynamic_stack 0
		.amdhsa_system_sgpr_private_segment_wavefront_offset 0
		.amdhsa_system_sgpr_workgroup_id_x 1
		.amdhsa_system_sgpr_workgroup_id_y 0
		.amdhsa_system_sgpr_workgroup_id_z 0
		.amdhsa_system_sgpr_workgroup_info 0
		.amdhsa_system_vgpr_workitem_id 0
		.amdhsa_next_free_vgpr 1
		.amdhsa_next_free_sgpr 0
		.amdhsa_accum_offset 4
		.amdhsa_reserve_vcc 0
		.amdhsa_reserve_flat_scratch 0
		.amdhsa_float_round_mode_32 0
		.amdhsa_float_round_mode_16_64 0
		.amdhsa_float_denorm_mode_32 3
		.amdhsa_float_denorm_mode_16_64 3
		.amdhsa_dx10_clamp 1
		.amdhsa_ieee_mode 1
		.amdhsa_fp16_overflow 0
		.amdhsa_tg_split 0
		.amdhsa_exception_fp_ieee_invalid_op 0
		.amdhsa_exception_fp_denorm_src 0
		.amdhsa_exception_fp_ieee_div_zero 0
		.amdhsa_exception_fp_ieee_overflow 0
		.amdhsa_exception_fp_ieee_underflow 0
		.amdhsa_exception_fp_ieee_inexact 0
		.amdhsa_exception_int_div_zero 0
	.end_amdhsa_kernel
	.section	.text._ZN7rocprim17ROCPRIM_400000_NS6detail17trampoline_kernelINS0_14default_configENS1_38merge_sort_block_merge_config_selectorIjNS0_10empty_typeEEEZZNS1_27merge_sort_block_merge_implIS3_PjPS5_jNS1_19radix_merge_compareILb1ELb1EjNS0_19identity_decomposerEEEEE10hipError_tT0_T1_T2_jT3_P12ihipStream_tbPNSt15iterator_traitsISE_E10value_typeEPNSK_ISF_E10value_typeEPSG_NS1_7vsmem_tEENKUlT_SE_SF_SG_E_clIS8_S8_S9_S9_EESD_ST_SE_SF_SG_EUlST_E_NS1_11comp_targetILNS1_3genE5ELNS1_11target_archE942ELNS1_3gpuE9ELNS1_3repE0EEENS1_48merge_mergepath_partition_config_static_selectorELNS0_4arch9wavefront6targetE1EEEvSF_,"axG",@progbits,_ZN7rocprim17ROCPRIM_400000_NS6detail17trampoline_kernelINS0_14default_configENS1_38merge_sort_block_merge_config_selectorIjNS0_10empty_typeEEEZZNS1_27merge_sort_block_merge_implIS3_PjPS5_jNS1_19radix_merge_compareILb1ELb1EjNS0_19identity_decomposerEEEEE10hipError_tT0_T1_T2_jT3_P12ihipStream_tbPNSt15iterator_traitsISE_E10value_typeEPNSK_ISF_E10value_typeEPSG_NS1_7vsmem_tEENKUlT_SE_SF_SG_E_clIS8_S8_S9_S9_EESD_ST_SE_SF_SG_EUlST_E_NS1_11comp_targetILNS1_3genE5ELNS1_11target_archE942ELNS1_3gpuE9ELNS1_3repE0EEENS1_48merge_mergepath_partition_config_static_selectorELNS0_4arch9wavefront6targetE1EEEvSF_,comdat
.Lfunc_end2065:
	.size	_ZN7rocprim17ROCPRIM_400000_NS6detail17trampoline_kernelINS0_14default_configENS1_38merge_sort_block_merge_config_selectorIjNS0_10empty_typeEEEZZNS1_27merge_sort_block_merge_implIS3_PjPS5_jNS1_19radix_merge_compareILb1ELb1EjNS0_19identity_decomposerEEEEE10hipError_tT0_T1_T2_jT3_P12ihipStream_tbPNSt15iterator_traitsISE_E10value_typeEPNSK_ISF_E10value_typeEPSG_NS1_7vsmem_tEENKUlT_SE_SF_SG_E_clIS8_S8_S9_S9_EESD_ST_SE_SF_SG_EUlST_E_NS1_11comp_targetILNS1_3genE5ELNS1_11target_archE942ELNS1_3gpuE9ELNS1_3repE0EEENS1_48merge_mergepath_partition_config_static_selectorELNS0_4arch9wavefront6targetE1EEEvSF_, .Lfunc_end2065-_ZN7rocprim17ROCPRIM_400000_NS6detail17trampoline_kernelINS0_14default_configENS1_38merge_sort_block_merge_config_selectorIjNS0_10empty_typeEEEZZNS1_27merge_sort_block_merge_implIS3_PjPS5_jNS1_19radix_merge_compareILb1ELb1EjNS0_19identity_decomposerEEEEE10hipError_tT0_T1_T2_jT3_P12ihipStream_tbPNSt15iterator_traitsISE_E10value_typeEPNSK_ISF_E10value_typeEPSG_NS1_7vsmem_tEENKUlT_SE_SF_SG_E_clIS8_S8_S9_S9_EESD_ST_SE_SF_SG_EUlST_E_NS1_11comp_targetILNS1_3genE5ELNS1_11target_archE942ELNS1_3gpuE9ELNS1_3repE0EEENS1_48merge_mergepath_partition_config_static_selectorELNS0_4arch9wavefront6targetE1EEEvSF_
                                        ; -- End function
	.section	.AMDGPU.csdata,"",@progbits
; Kernel info:
; codeLenInByte = 0
; NumSgprs: 4
; NumVgprs: 0
; NumAgprs: 0
; TotalNumVgprs: 0
; ScratchSize: 0
; MemoryBound: 0
; FloatMode: 240
; IeeeMode: 1
; LDSByteSize: 0 bytes/workgroup (compile time only)
; SGPRBlocks: 0
; VGPRBlocks: 0
; NumSGPRsForWavesPerEU: 4
; NumVGPRsForWavesPerEU: 1
; AccumOffset: 4
; Occupancy: 8
; WaveLimiterHint : 0
; COMPUTE_PGM_RSRC2:SCRATCH_EN: 0
; COMPUTE_PGM_RSRC2:USER_SGPR: 6
; COMPUTE_PGM_RSRC2:TRAP_HANDLER: 0
; COMPUTE_PGM_RSRC2:TGID_X_EN: 1
; COMPUTE_PGM_RSRC2:TGID_Y_EN: 0
; COMPUTE_PGM_RSRC2:TGID_Z_EN: 0
; COMPUTE_PGM_RSRC2:TIDIG_COMP_CNT: 0
; COMPUTE_PGM_RSRC3_GFX90A:ACCUM_OFFSET: 0
; COMPUTE_PGM_RSRC3_GFX90A:TG_SPLIT: 0
	.section	.text._ZN7rocprim17ROCPRIM_400000_NS6detail17trampoline_kernelINS0_14default_configENS1_38merge_sort_block_merge_config_selectorIjNS0_10empty_typeEEEZZNS1_27merge_sort_block_merge_implIS3_PjPS5_jNS1_19radix_merge_compareILb1ELb1EjNS0_19identity_decomposerEEEEE10hipError_tT0_T1_T2_jT3_P12ihipStream_tbPNSt15iterator_traitsISE_E10value_typeEPNSK_ISF_E10value_typeEPSG_NS1_7vsmem_tEENKUlT_SE_SF_SG_E_clIS8_S8_S9_S9_EESD_ST_SE_SF_SG_EUlST_E_NS1_11comp_targetILNS1_3genE4ELNS1_11target_archE910ELNS1_3gpuE8ELNS1_3repE0EEENS1_48merge_mergepath_partition_config_static_selectorELNS0_4arch9wavefront6targetE1EEEvSF_,"axG",@progbits,_ZN7rocprim17ROCPRIM_400000_NS6detail17trampoline_kernelINS0_14default_configENS1_38merge_sort_block_merge_config_selectorIjNS0_10empty_typeEEEZZNS1_27merge_sort_block_merge_implIS3_PjPS5_jNS1_19radix_merge_compareILb1ELb1EjNS0_19identity_decomposerEEEEE10hipError_tT0_T1_T2_jT3_P12ihipStream_tbPNSt15iterator_traitsISE_E10value_typeEPNSK_ISF_E10value_typeEPSG_NS1_7vsmem_tEENKUlT_SE_SF_SG_E_clIS8_S8_S9_S9_EESD_ST_SE_SF_SG_EUlST_E_NS1_11comp_targetILNS1_3genE4ELNS1_11target_archE910ELNS1_3gpuE8ELNS1_3repE0EEENS1_48merge_mergepath_partition_config_static_selectorELNS0_4arch9wavefront6targetE1EEEvSF_,comdat
	.protected	_ZN7rocprim17ROCPRIM_400000_NS6detail17trampoline_kernelINS0_14default_configENS1_38merge_sort_block_merge_config_selectorIjNS0_10empty_typeEEEZZNS1_27merge_sort_block_merge_implIS3_PjPS5_jNS1_19radix_merge_compareILb1ELb1EjNS0_19identity_decomposerEEEEE10hipError_tT0_T1_T2_jT3_P12ihipStream_tbPNSt15iterator_traitsISE_E10value_typeEPNSK_ISF_E10value_typeEPSG_NS1_7vsmem_tEENKUlT_SE_SF_SG_E_clIS8_S8_S9_S9_EESD_ST_SE_SF_SG_EUlST_E_NS1_11comp_targetILNS1_3genE4ELNS1_11target_archE910ELNS1_3gpuE8ELNS1_3repE0EEENS1_48merge_mergepath_partition_config_static_selectorELNS0_4arch9wavefront6targetE1EEEvSF_ ; -- Begin function _ZN7rocprim17ROCPRIM_400000_NS6detail17trampoline_kernelINS0_14default_configENS1_38merge_sort_block_merge_config_selectorIjNS0_10empty_typeEEEZZNS1_27merge_sort_block_merge_implIS3_PjPS5_jNS1_19radix_merge_compareILb1ELb1EjNS0_19identity_decomposerEEEEE10hipError_tT0_T1_T2_jT3_P12ihipStream_tbPNSt15iterator_traitsISE_E10value_typeEPNSK_ISF_E10value_typeEPSG_NS1_7vsmem_tEENKUlT_SE_SF_SG_E_clIS8_S8_S9_S9_EESD_ST_SE_SF_SG_EUlST_E_NS1_11comp_targetILNS1_3genE4ELNS1_11target_archE910ELNS1_3gpuE8ELNS1_3repE0EEENS1_48merge_mergepath_partition_config_static_selectorELNS0_4arch9wavefront6targetE1EEEvSF_
	.globl	_ZN7rocprim17ROCPRIM_400000_NS6detail17trampoline_kernelINS0_14default_configENS1_38merge_sort_block_merge_config_selectorIjNS0_10empty_typeEEEZZNS1_27merge_sort_block_merge_implIS3_PjPS5_jNS1_19radix_merge_compareILb1ELb1EjNS0_19identity_decomposerEEEEE10hipError_tT0_T1_T2_jT3_P12ihipStream_tbPNSt15iterator_traitsISE_E10value_typeEPNSK_ISF_E10value_typeEPSG_NS1_7vsmem_tEENKUlT_SE_SF_SG_E_clIS8_S8_S9_S9_EESD_ST_SE_SF_SG_EUlST_E_NS1_11comp_targetILNS1_3genE4ELNS1_11target_archE910ELNS1_3gpuE8ELNS1_3repE0EEENS1_48merge_mergepath_partition_config_static_selectorELNS0_4arch9wavefront6targetE1EEEvSF_
	.p2align	8
	.type	_ZN7rocprim17ROCPRIM_400000_NS6detail17trampoline_kernelINS0_14default_configENS1_38merge_sort_block_merge_config_selectorIjNS0_10empty_typeEEEZZNS1_27merge_sort_block_merge_implIS3_PjPS5_jNS1_19radix_merge_compareILb1ELb1EjNS0_19identity_decomposerEEEEE10hipError_tT0_T1_T2_jT3_P12ihipStream_tbPNSt15iterator_traitsISE_E10value_typeEPNSK_ISF_E10value_typeEPSG_NS1_7vsmem_tEENKUlT_SE_SF_SG_E_clIS8_S8_S9_S9_EESD_ST_SE_SF_SG_EUlST_E_NS1_11comp_targetILNS1_3genE4ELNS1_11target_archE910ELNS1_3gpuE8ELNS1_3repE0EEENS1_48merge_mergepath_partition_config_static_selectorELNS0_4arch9wavefront6targetE1EEEvSF_,@function
_ZN7rocprim17ROCPRIM_400000_NS6detail17trampoline_kernelINS0_14default_configENS1_38merge_sort_block_merge_config_selectorIjNS0_10empty_typeEEEZZNS1_27merge_sort_block_merge_implIS3_PjPS5_jNS1_19radix_merge_compareILb1ELb1EjNS0_19identity_decomposerEEEEE10hipError_tT0_T1_T2_jT3_P12ihipStream_tbPNSt15iterator_traitsISE_E10value_typeEPNSK_ISF_E10value_typeEPSG_NS1_7vsmem_tEENKUlT_SE_SF_SG_E_clIS8_S8_S9_S9_EESD_ST_SE_SF_SG_EUlST_E_NS1_11comp_targetILNS1_3genE4ELNS1_11target_archE910ELNS1_3gpuE8ELNS1_3repE0EEENS1_48merge_mergepath_partition_config_static_selectorELNS0_4arch9wavefront6targetE1EEEvSF_: ; @_ZN7rocprim17ROCPRIM_400000_NS6detail17trampoline_kernelINS0_14default_configENS1_38merge_sort_block_merge_config_selectorIjNS0_10empty_typeEEEZZNS1_27merge_sort_block_merge_implIS3_PjPS5_jNS1_19radix_merge_compareILb1ELb1EjNS0_19identity_decomposerEEEEE10hipError_tT0_T1_T2_jT3_P12ihipStream_tbPNSt15iterator_traitsISE_E10value_typeEPNSK_ISF_E10value_typeEPSG_NS1_7vsmem_tEENKUlT_SE_SF_SG_E_clIS8_S8_S9_S9_EESD_ST_SE_SF_SG_EUlST_E_NS1_11comp_targetILNS1_3genE4ELNS1_11target_archE910ELNS1_3gpuE8ELNS1_3repE0EEENS1_48merge_mergepath_partition_config_static_selectorELNS0_4arch9wavefront6targetE1EEEvSF_
; %bb.0:
	s_load_dword s0, s[4:5], 0x0
	v_lshl_or_b32 v0, s6, 7, v0
	s_waitcnt lgkmcnt(0)
	v_cmp_gt_u32_e32 vcc, s0, v0
	s_and_saveexec_b64 s[0:1], vcc
	s_cbranch_execz .LBB2066_6
; %bb.1:
	s_load_dwordx2 s[2:3], s[4:5], 0x4
	s_load_dwordx2 s[0:1], s[4:5], 0x20
	s_waitcnt lgkmcnt(0)
	s_lshr_b32 s6, s2, 9
	s_and_b32 s6, s6, 0x7ffffe
	s_add_i32 s7, s6, -1
	s_sub_i32 s6, 0, s6
	v_and_b32_e32 v1, s6, v0
	v_lshlrev_b32_e32 v1, 10, v1
	v_min_u32_e32 v2, s3, v1
	v_add_u32_e32 v1, s2, v1
	v_min_u32_e32 v4, s3, v1
	v_add_u32_e32 v1, s2, v4
	v_and_b32_e32 v3, s7, v0
	v_min_u32_e32 v1, s3, v1
	v_sub_u32_e32 v5, v1, v2
	v_lshlrev_b32_e32 v3, 10, v3
	v_min_u32_e32 v6, v5, v3
	v_sub_u32_e32 v3, v4, v2
	v_sub_u32_e32 v1, v1, v4
	v_sub_u32_e64 v1, v6, v1 clamp
	v_min_u32_e32 v7, v6, v3
	v_cmp_lt_u32_e32 vcc, v1, v7
	s_and_saveexec_b64 s[2:3], vcc
	s_cbranch_execz .LBB2066_5
; %bb.2:
	s_load_dwordx2 s[8:9], s[4:5], 0x10
	s_load_dword s6, s[4:5], 0x18
	v_mov_b32_e32 v5, 0
	v_mov_b32_e32 v3, v5
	v_lshlrev_b64 v[8:9], 2, v[2:3]
	s_waitcnt lgkmcnt(0)
	v_mov_b32_e32 v12, s9
	v_add_co_u32_e32 v3, vcc, s8, v8
	v_addc_co_u32_e32 v8, vcc, v12, v9, vcc
	v_lshlrev_b64 v[10:11], 2, v[4:5]
	v_add_co_u32_e32 v9, vcc, s8, v10
	v_addc_co_u32_e32 v10, vcc, v12, v11, vcc
	s_mov_b64 s[4:5], 0
.LBB2066_3:                             ; =>This Inner Loop Header: Depth=1
	v_add_u32_e32 v4, v7, v1
	v_lshrrev_b32_e32 v4, 1, v4
	v_lshlrev_b64 v[14:15], 2, v[4:5]
	v_mov_b32_e32 v13, v5
	v_xad_u32 v12, v4, -1, v6
	v_add_co_u32_e32 v14, vcc, v3, v14
	v_addc_co_u32_e32 v15, vcc, v8, v15, vcc
	v_lshlrev_b64 v[12:13], 2, v[12:13]
	v_add_co_u32_e32 v12, vcc, v9, v12
	v_addc_co_u32_e32 v13, vcc, v10, v13, vcc
	global_load_dword v11, v[14:15], off
	global_load_dword v16, v[12:13], off
	v_add_u32_e32 v12, 1, v4
	s_waitcnt vmcnt(1)
	v_and_b32_e32 v11, s6, v11
	s_waitcnt vmcnt(0)
	v_and_b32_e32 v13, s6, v16
	v_cmp_gt_u32_e32 vcc, v13, v11
	v_cndmask_b32_e32 v7, v7, v4, vcc
	v_cndmask_b32_e32 v1, v12, v1, vcc
	v_cmp_ge_u32_e32 vcc, v1, v7
	s_or_b64 s[4:5], vcc, s[4:5]
	s_andn2_b64 exec, exec, s[4:5]
	s_cbranch_execnz .LBB2066_3
; %bb.4:
	s_or_b64 exec, exec, s[4:5]
.LBB2066_5:
	s_or_b64 exec, exec, s[2:3]
	v_add_u32_e32 v2, v1, v2
	v_mov_b32_e32 v1, 0
	v_lshlrev_b64 v[0:1], 2, v[0:1]
	v_mov_b32_e32 v3, s1
	v_add_co_u32_e32 v0, vcc, s0, v0
	v_addc_co_u32_e32 v1, vcc, v3, v1, vcc
	global_store_dword v[0:1], v2, off
.LBB2066_6:
	s_endpgm
	.section	.rodata,"a",@progbits
	.p2align	6, 0x0
	.amdhsa_kernel _ZN7rocprim17ROCPRIM_400000_NS6detail17trampoline_kernelINS0_14default_configENS1_38merge_sort_block_merge_config_selectorIjNS0_10empty_typeEEEZZNS1_27merge_sort_block_merge_implIS3_PjPS5_jNS1_19radix_merge_compareILb1ELb1EjNS0_19identity_decomposerEEEEE10hipError_tT0_T1_T2_jT3_P12ihipStream_tbPNSt15iterator_traitsISE_E10value_typeEPNSK_ISF_E10value_typeEPSG_NS1_7vsmem_tEENKUlT_SE_SF_SG_E_clIS8_S8_S9_S9_EESD_ST_SE_SF_SG_EUlST_E_NS1_11comp_targetILNS1_3genE4ELNS1_11target_archE910ELNS1_3gpuE8ELNS1_3repE0EEENS1_48merge_mergepath_partition_config_static_selectorELNS0_4arch9wavefront6targetE1EEEvSF_
		.amdhsa_group_segment_fixed_size 0
		.amdhsa_private_segment_fixed_size 0
		.amdhsa_kernarg_size 40
		.amdhsa_user_sgpr_count 6
		.amdhsa_user_sgpr_private_segment_buffer 1
		.amdhsa_user_sgpr_dispatch_ptr 0
		.amdhsa_user_sgpr_queue_ptr 0
		.amdhsa_user_sgpr_kernarg_segment_ptr 1
		.amdhsa_user_sgpr_dispatch_id 0
		.amdhsa_user_sgpr_flat_scratch_init 0
		.amdhsa_user_sgpr_kernarg_preload_length 0
		.amdhsa_user_sgpr_kernarg_preload_offset 0
		.amdhsa_user_sgpr_private_segment_size 0
		.amdhsa_uses_dynamic_stack 0
		.amdhsa_system_sgpr_private_segment_wavefront_offset 0
		.amdhsa_system_sgpr_workgroup_id_x 1
		.amdhsa_system_sgpr_workgroup_id_y 0
		.amdhsa_system_sgpr_workgroup_id_z 0
		.amdhsa_system_sgpr_workgroup_info 0
		.amdhsa_system_vgpr_workitem_id 0
		.amdhsa_next_free_vgpr 17
		.amdhsa_next_free_sgpr 10
		.amdhsa_accum_offset 20
		.amdhsa_reserve_vcc 1
		.amdhsa_reserve_flat_scratch 0
		.amdhsa_float_round_mode_32 0
		.amdhsa_float_round_mode_16_64 0
		.amdhsa_float_denorm_mode_32 3
		.amdhsa_float_denorm_mode_16_64 3
		.amdhsa_dx10_clamp 1
		.amdhsa_ieee_mode 1
		.amdhsa_fp16_overflow 0
		.amdhsa_tg_split 0
		.amdhsa_exception_fp_ieee_invalid_op 0
		.amdhsa_exception_fp_denorm_src 0
		.amdhsa_exception_fp_ieee_div_zero 0
		.amdhsa_exception_fp_ieee_overflow 0
		.amdhsa_exception_fp_ieee_underflow 0
		.amdhsa_exception_fp_ieee_inexact 0
		.amdhsa_exception_int_div_zero 0
	.end_amdhsa_kernel
	.section	.text._ZN7rocprim17ROCPRIM_400000_NS6detail17trampoline_kernelINS0_14default_configENS1_38merge_sort_block_merge_config_selectorIjNS0_10empty_typeEEEZZNS1_27merge_sort_block_merge_implIS3_PjPS5_jNS1_19radix_merge_compareILb1ELb1EjNS0_19identity_decomposerEEEEE10hipError_tT0_T1_T2_jT3_P12ihipStream_tbPNSt15iterator_traitsISE_E10value_typeEPNSK_ISF_E10value_typeEPSG_NS1_7vsmem_tEENKUlT_SE_SF_SG_E_clIS8_S8_S9_S9_EESD_ST_SE_SF_SG_EUlST_E_NS1_11comp_targetILNS1_3genE4ELNS1_11target_archE910ELNS1_3gpuE8ELNS1_3repE0EEENS1_48merge_mergepath_partition_config_static_selectorELNS0_4arch9wavefront6targetE1EEEvSF_,"axG",@progbits,_ZN7rocprim17ROCPRIM_400000_NS6detail17trampoline_kernelINS0_14default_configENS1_38merge_sort_block_merge_config_selectorIjNS0_10empty_typeEEEZZNS1_27merge_sort_block_merge_implIS3_PjPS5_jNS1_19radix_merge_compareILb1ELb1EjNS0_19identity_decomposerEEEEE10hipError_tT0_T1_T2_jT3_P12ihipStream_tbPNSt15iterator_traitsISE_E10value_typeEPNSK_ISF_E10value_typeEPSG_NS1_7vsmem_tEENKUlT_SE_SF_SG_E_clIS8_S8_S9_S9_EESD_ST_SE_SF_SG_EUlST_E_NS1_11comp_targetILNS1_3genE4ELNS1_11target_archE910ELNS1_3gpuE8ELNS1_3repE0EEENS1_48merge_mergepath_partition_config_static_selectorELNS0_4arch9wavefront6targetE1EEEvSF_,comdat
.Lfunc_end2066:
	.size	_ZN7rocprim17ROCPRIM_400000_NS6detail17trampoline_kernelINS0_14default_configENS1_38merge_sort_block_merge_config_selectorIjNS0_10empty_typeEEEZZNS1_27merge_sort_block_merge_implIS3_PjPS5_jNS1_19radix_merge_compareILb1ELb1EjNS0_19identity_decomposerEEEEE10hipError_tT0_T1_T2_jT3_P12ihipStream_tbPNSt15iterator_traitsISE_E10value_typeEPNSK_ISF_E10value_typeEPSG_NS1_7vsmem_tEENKUlT_SE_SF_SG_E_clIS8_S8_S9_S9_EESD_ST_SE_SF_SG_EUlST_E_NS1_11comp_targetILNS1_3genE4ELNS1_11target_archE910ELNS1_3gpuE8ELNS1_3repE0EEENS1_48merge_mergepath_partition_config_static_selectorELNS0_4arch9wavefront6targetE1EEEvSF_, .Lfunc_end2066-_ZN7rocprim17ROCPRIM_400000_NS6detail17trampoline_kernelINS0_14default_configENS1_38merge_sort_block_merge_config_selectorIjNS0_10empty_typeEEEZZNS1_27merge_sort_block_merge_implIS3_PjPS5_jNS1_19radix_merge_compareILb1ELb1EjNS0_19identity_decomposerEEEEE10hipError_tT0_T1_T2_jT3_P12ihipStream_tbPNSt15iterator_traitsISE_E10value_typeEPNSK_ISF_E10value_typeEPSG_NS1_7vsmem_tEENKUlT_SE_SF_SG_E_clIS8_S8_S9_S9_EESD_ST_SE_SF_SG_EUlST_E_NS1_11comp_targetILNS1_3genE4ELNS1_11target_archE910ELNS1_3gpuE8ELNS1_3repE0EEENS1_48merge_mergepath_partition_config_static_selectorELNS0_4arch9wavefront6targetE1EEEvSF_
                                        ; -- End function
	.section	.AMDGPU.csdata,"",@progbits
; Kernel info:
; codeLenInByte = 380
; NumSgprs: 14
; NumVgprs: 17
; NumAgprs: 0
; TotalNumVgprs: 17
; ScratchSize: 0
; MemoryBound: 0
; FloatMode: 240
; IeeeMode: 1
; LDSByteSize: 0 bytes/workgroup (compile time only)
; SGPRBlocks: 1
; VGPRBlocks: 2
; NumSGPRsForWavesPerEU: 14
; NumVGPRsForWavesPerEU: 17
; AccumOffset: 20
; Occupancy: 8
; WaveLimiterHint : 0
; COMPUTE_PGM_RSRC2:SCRATCH_EN: 0
; COMPUTE_PGM_RSRC2:USER_SGPR: 6
; COMPUTE_PGM_RSRC2:TRAP_HANDLER: 0
; COMPUTE_PGM_RSRC2:TGID_X_EN: 1
; COMPUTE_PGM_RSRC2:TGID_Y_EN: 0
; COMPUTE_PGM_RSRC2:TGID_Z_EN: 0
; COMPUTE_PGM_RSRC2:TIDIG_COMP_CNT: 0
; COMPUTE_PGM_RSRC3_GFX90A:ACCUM_OFFSET: 4
; COMPUTE_PGM_RSRC3_GFX90A:TG_SPLIT: 0
	.section	.text._ZN7rocprim17ROCPRIM_400000_NS6detail17trampoline_kernelINS0_14default_configENS1_38merge_sort_block_merge_config_selectorIjNS0_10empty_typeEEEZZNS1_27merge_sort_block_merge_implIS3_PjPS5_jNS1_19radix_merge_compareILb1ELb1EjNS0_19identity_decomposerEEEEE10hipError_tT0_T1_T2_jT3_P12ihipStream_tbPNSt15iterator_traitsISE_E10value_typeEPNSK_ISF_E10value_typeEPSG_NS1_7vsmem_tEENKUlT_SE_SF_SG_E_clIS8_S8_S9_S9_EESD_ST_SE_SF_SG_EUlST_E_NS1_11comp_targetILNS1_3genE3ELNS1_11target_archE908ELNS1_3gpuE7ELNS1_3repE0EEENS1_48merge_mergepath_partition_config_static_selectorELNS0_4arch9wavefront6targetE1EEEvSF_,"axG",@progbits,_ZN7rocprim17ROCPRIM_400000_NS6detail17trampoline_kernelINS0_14default_configENS1_38merge_sort_block_merge_config_selectorIjNS0_10empty_typeEEEZZNS1_27merge_sort_block_merge_implIS3_PjPS5_jNS1_19radix_merge_compareILb1ELb1EjNS0_19identity_decomposerEEEEE10hipError_tT0_T1_T2_jT3_P12ihipStream_tbPNSt15iterator_traitsISE_E10value_typeEPNSK_ISF_E10value_typeEPSG_NS1_7vsmem_tEENKUlT_SE_SF_SG_E_clIS8_S8_S9_S9_EESD_ST_SE_SF_SG_EUlST_E_NS1_11comp_targetILNS1_3genE3ELNS1_11target_archE908ELNS1_3gpuE7ELNS1_3repE0EEENS1_48merge_mergepath_partition_config_static_selectorELNS0_4arch9wavefront6targetE1EEEvSF_,comdat
	.protected	_ZN7rocprim17ROCPRIM_400000_NS6detail17trampoline_kernelINS0_14default_configENS1_38merge_sort_block_merge_config_selectorIjNS0_10empty_typeEEEZZNS1_27merge_sort_block_merge_implIS3_PjPS5_jNS1_19radix_merge_compareILb1ELb1EjNS0_19identity_decomposerEEEEE10hipError_tT0_T1_T2_jT3_P12ihipStream_tbPNSt15iterator_traitsISE_E10value_typeEPNSK_ISF_E10value_typeEPSG_NS1_7vsmem_tEENKUlT_SE_SF_SG_E_clIS8_S8_S9_S9_EESD_ST_SE_SF_SG_EUlST_E_NS1_11comp_targetILNS1_3genE3ELNS1_11target_archE908ELNS1_3gpuE7ELNS1_3repE0EEENS1_48merge_mergepath_partition_config_static_selectorELNS0_4arch9wavefront6targetE1EEEvSF_ ; -- Begin function _ZN7rocprim17ROCPRIM_400000_NS6detail17trampoline_kernelINS0_14default_configENS1_38merge_sort_block_merge_config_selectorIjNS0_10empty_typeEEEZZNS1_27merge_sort_block_merge_implIS3_PjPS5_jNS1_19radix_merge_compareILb1ELb1EjNS0_19identity_decomposerEEEEE10hipError_tT0_T1_T2_jT3_P12ihipStream_tbPNSt15iterator_traitsISE_E10value_typeEPNSK_ISF_E10value_typeEPSG_NS1_7vsmem_tEENKUlT_SE_SF_SG_E_clIS8_S8_S9_S9_EESD_ST_SE_SF_SG_EUlST_E_NS1_11comp_targetILNS1_3genE3ELNS1_11target_archE908ELNS1_3gpuE7ELNS1_3repE0EEENS1_48merge_mergepath_partition_config_static_selectorELNS0_4arch9wavefront6targetE1EEEvSF_
	.globl	_ZN7rocprim17ROCPRIM_400000_NS6detail17trampoline_kernelINS0_14default_configENS1_38merge_sort_block_merge_config_selectorIjNS0_10empty_typeEEEZZNS1_27merge_sort_block_merge_implIS3_PjPS5_jNS1_19radix_merge_compareILb1ELb1EjNS0_19identity_decomposerEEEEE10hipError_tT0_T1_T2_jT3_P12ihipStream_tbPNSt15iterator_traitsISE_E10value_typeEPNSK_ISF_E10value_typeEPSG_NS1_7vsmem_tEENKUlT_SE_SF_SG_E_clIS8_S8_S9_S9_EESD_ST_SE_SF_SG_EUlST_E_NS1_11comp_targetILNS1_3genE3ELNS1_11target_archE908ELNS1_3gpuE7ELNS1_3repE0EEENS1_48merge_mergepath_partition_config_static_selectorELNS0_4arch9wavefront6targetE1EEEvSF_
	.p2align	8
	.type	_ZN7rocprim17ROCPRIM_400000_NS6detail17trampoline_kernelINS0_14default_configENS1_38merge_sort_block_merge_config_selectorIjNS0_10empty_typeEEEZZNS1_27merge_sort_block_merge_implIS3_PjPS5_jNS1_19radix_merge_compareILb1ELb1EjNS0_19identity_decomposerEEEEE10hipError_tT0_T1_T2_jT3_P12ihipStream_tbPNSt15iterator_traitsISE_E10value_typeEPNSK_ISF_E10value_typeEPSG_NS1_7vsmem_tEENKUlT_SE_SF_SG_E_clIS8_S8_S9_S9_EESD_ST_SE_SF_SG_EUlST_E_NS1_11comp_targetILNS1_3genE3ELNS1_11target_archE908ELNS1_3gpuE7ELNS1_3repE0EEENS1_48merge_mergepath_partition_config_static_selectorELNS0_4arch9wavefront6targetE1EEEvSF_,@function
_ZN7rocprim17ROCPRIM_400000_NS6detail17trampoline_kernelINS0_14default_configENS1_38merge_sort_block_merge_config_selectorIjNS0_10empty_typeEEEZZNS1_27merge_sort_block_merge_implIS3_PjPS5_jNS1_19radix_merge_compareILb1ELb1EjNS0_19identity_decomposerEEEEE10hipError_tT0_T1_T2_jT3_P12ihipStream_tbPNSt15iterator_traitsISE_E10value_typeEPNSK_ISF_E10value_typeEPSG_NS1_7vsmem_tEENKUlT_SE_SF_SG_E_clIS8_S8_S9_S9_EESD_ST_SE_SF_SG_EUlST_E_NS1_11comp_targetILNS1_3genE3ELNS1_11target_archE908ELNS1_3gpuE7ELNS1_3repE0EEENS1_48merge_mergepath_partition_config_static_selectorELNS0_4arch9wavefront6targetE1EEEvSF_: ; @_ZN7rocprim17ROCPRIM_400000_NS6detail17trampoline_kernelINS0_14default_configENS1_38merge_sort_block_merge_config_selectorIjNS0_10empty_typeEEEZZNS1_27merge_sort_block_merge_implIS3_PjPS5_jNS1_19radix_merge_compareILb1ELb1EjNS0_19identity_decomposerEEEEE10hipError_tT0_T1_T2_jT3_P12ihipStream_tbPNSt15iterator_traitsISE_E10value_typeEPNSK_ISF_E10value_typeEPSG_NS1_7vsmem_tEENKUlT_SE_SF_SG_E_clIS8_S8_S9_S9_EESD_ST_SE_SF_SG_EUlST_E_NS1_11comp_targetILNS1_3genE3ELNS1_11target_archE908ELNS1_3gpuE7ELNS1_3repE0EEENS1_48merge_mergepath_partition_config_static_selectorELNS0_4arch9wavefront6targetE1EEEvSF_
; %bb.0:
	.section	.rodata,"a",@progbits
	.p2align	6, 0x0
	.amdhsa_kernel _ZN7rocprim17ROCPRIM_400000_NS6detail17trampoline_kernelINS0_14default_configENS1_38merge_sort_block_merge_config_selectorIjNS0_10empty_typeEEEZZNS1_27merge_sort_block_merge_implIS3_PjPS5_jNS1_19radix_merge_compareILb1ELb1EjNS0_19identity_decomposerEEEEE10hipError_tT0_T1_T2_jT3_P12ihipStream_tbPNSt15iterator_traitsISE_E10value_typeEPNSK_ISF_E10value_typeEPSG_NS1_7vsmem_tEENKUlT_SE_SF_SG_E_clIS8_S8_S9_S9_EESD_ST_SE_SF_SG_EUlST_E_NS1_11comp_targetILNS1_3genE3ELNS1_11target_archE908ELNS1_3gpuE7ELNS1_3repE0EEENS1_48merge_mergepath_partition_config_static_selectorELNS0_4arch9wavefront6targetE1EEEvSF_
		.amdhsa_group_segment_fixed_size 0
		.amdhsa_private_segment_fixed_size 0
		.amdhsa_kernarg_size 40
		.amdhsa_user_sgpr_count 6
		.amdhsa_user_sgpr_private_segment_buffer 1
		.amdhsa_user_sgpr_dispatch_ptr 0
		.amdhsa_user_sgpr_queue_ptr 0
		.amdhsa_user_sgpr_kernarg_segment_ptr 1
		.amdhsa_user_sgpr_dispatch_id 0
		.amdhsa_user_sgpr_flat_scratch_init 0
		.amdhsa_user_sgpr_kernarg_preload_length 0
		.amdhsa_user_sgpr_kernarg_preload_offset 0
		.amdhsa_user_sgpr_private_segment_size 0
		.amdhsa_uses_dynamic_stack 0
		.amdhsa_system_sgpr_private_segment_wavefront_offset 0
		.amdhsa_system_sgpr_workgroup_id_x 1
		.amdhsa_system_sgpr_workgroup_id_y 0
		.amdhsa_system_sgpr_workgroup_id_z 0
		.amdhsa_system_sgpr_workgroup_info 0
		.amdhsa_system_vgpr_workitem_id 0
		.amdhsa_next_free_vgpr 1
		.amdhsa_next_free_sgpr 0
		.amdhsa_accum_offset 4
		.amdhsa_reserve_vcc 0
		.amdhsa_reserve_flat_scratch 0
		.amdhsa_float_round_mode_32 0
		.amdhsa_float_round_mode_16_64 0
		.amdhsa_float_denorm_mode_32 3
		.amdhsa_float_denorm_mode_16_64 3
		.amdhsa_dx10_clamp 1
		.amdhsa_ieee_mode 1
		.amdhsa_fp16_overflow 0
		.amdhsa_tg_split 0
		.amdhsa_exception_fp_ieee_invalid_op 0
		.amdhsa_exception_fp_denorm_src 0
		.amdhsa_exception_fp_ieee_div_zero 0
		.amdhsa_exception_fp_ieee_overflow 0
		.amdhsa_exception_fp_ieee_underflow 0
		.amdhsa_exception_fp_ieee_inexact 0
		.amdhsa_exception_int_div_zero 0
	.end_amdhsa_kernel
	.section	.text._ZN7rocprim17ROCPRIM_400000_NS6detail17trampoline_kernelINS0_14default_configENS1_38merge_sort_block_merge_config_selectorIjNS0_10empty_typeEEEZZNS1_27merge_sort_block_merge_implIS3_PjPS5_jNS1_19radix_merge_compareILb1ELb1EjNS0_19identity_decomposerEEEEE10hipError_tT0_T1_T2_jT3_P12ihipStream_tbPNSt15iterator_traitsISE_E10value_typeEPNSK_ISF_E10value_typeEPSG_NS1_7vsmem_tEENKUlT_SE_SF_SG_E_clIS8_S8_S9_S9_EESD_ST_SE_SF_SG_EUlST_E_NS1_11comp_targetILNS1_3genE3ELNS1_11target_archE908ELNS1_3gpuE7ELNS1_3repE0EEENS1_48merge_mergepath_partition_config_static_selectorELNS0_4arch9wavefront6targetE1EEEvSF_,"axG",@progbits,_ZN7rocprim17ROCPRIM_400000_NS6detail17trampoline_kernelINS0_14default_configENS1_38merge_sort_block_merge_config_selectorIjNS0_10empty_typeEEEZZNS1_27merge_sort_block_merge_implIS3_PjPS5_jNS1_19radix_merge_compareILb1ELb1EjNS0_19identity_decomposerEEEEE10hipError_tT0_T1_T2_jT3_P12ihipStream_tbPNSt15iterator_traitsISE_E10value_typeEPNSK_ISF_E10value_typeEPSG_NS1_7vsmem_tEENKUlT_SE_SF_SG_E_clIS8_S8_S9_S9_EESD_ST_SE_SF_SG_EUlST_E_NS1_11comp_targetILNS1_3genE3ELNS1_11target_archE908ELNS1_3gpuE7ELNS1_3repE0EEENS1_48merge_mergepath_partition_config_static_selectorELNS0_4arch9wavefront6targetE1EEEvSF_,comdat
.Lfunc_end2067:
	.size	_ZN7rocprim17ROCPRIM_400000_NS6detail17trampoline_kernelINS0_14default_configENS1_38merge_sort_block_merge_config_selectorIjNS0_10empty_typeEEEZZNS1_27merge_sort_block_merge_implIS3_PjPS5_jNS1_19radix_merge_compareILb1ELb1EjNS0_19identity_decomposerEEEEE10hipError_tT0_T1_T2_jT3_P12ihipStream_tbPNSt15iterator_traitsISE_E10value_typeEPNSK_ISF_E10value_typeEPSG_NS1_7vsmem_tEENKUlT_SE_SF_SG_E_clIS8_S8_S9_S9_EESD_ST_SE_SF_SG_EUlST_E_NS1_11comp_targetILNS1_3genE3ELNS1_11target_archE908ELNS1_3gpuE7ELNS1_3repE0EEENS1_48merge_mergepath_partition_config_static_selectorELNS0_4arch9wavefront6targetE1EEEvSF_, .Lfunc_end2067-_ZN7rocprim17ROCPRIM_400000_NS6detail17trampoline_kernelINS0_14default_configENS1_38merge_sort_block_merge_config_selectorIjNS0_10empty_typeEEEZZNS1_27merge_sort_block_merge_implIS3_PjPS5_jNS1_19radix_merge_compareILb1ELb1EjNS0_19identity_decomposerEEEEE10hipError_tT0_T1_T2_jT3_P12ihipStream_tbPNSt15iterator_traitsISE_E10value_typeEPNSK_ISF_E10value_typeEPSG_NS1_7vsmem_tEENKUlT_SE_SF_SG_E_clIS8_S8_S9_S9_EESD_ST_SE_SF_SG_EUlST_E_NS1_11comp_targetILNS1_3genE3ELNS1_11target_archE908ELNS1_3gpuE7ELNS1_3repE0EEENS1_48merge_mergepath_partition_config_static_selectorELNS0_4arch9wavefront6targetE1EEEvSF_
                                        ; -- End function
	.section	.AMDGPU.csdata,"",@progbits
; Kernel info:
; codeLenInByte = 0
; NumSgprs: 4
; NumVgprs: 0
; NumAgprs: 0
; TotalNumVgprs: 0
; ScratchSize: 0
; MemoryBound: 0
; FloatMode: 240
; IeeeMode: 1
; LDSByteSize: 0 bytes/workgroup (compile time only)
; SGPRBlocks: 0
; VGPRBlocks: 0
; NumSGPRsForWavesPerEU: 4
; NumVGPRsForWavesPerEU: 1
; AccumOffset: 4
; Occupancy: 8
; WaveLimiterHint : 0
; COMPUTE_PGM_RSRC2:SCRATCH_EN: 0
; COMPUTE_PGM_RSRC2:USER_SGPR: 6
; COMPUTE_PGM_RSRC2:TRAP_HANDLER: 0
; COMPUTE_PGM_RSRC2:TGID_X_EN: 1
; COMPUTE_PGM_RSRC2:TGID_Y_EN: 0
; COMPUTE_PGM_RSRC2:TGID_Z_EN: 0
; COMPUTE_PGM_RSRC2:TIDIG_COMP_CNT: 0
; COMPUTE_PGM_RSRC3_GFX90A:ACCUM_OFFSET: 0
; COMPUTE_PGM_RSRC3_GFX90A:TG_SPLIT: 0
	.section	.text._ZN7rocprim17ROCPRIM_400000_NS6detail17trampoline_kernelINS0_14default_configENS1_38merge_sort_block_merge_config_selectorIjNS0_10empty_typeEEEZZNS1_27merge_sort_block_merge_implIS3_PjPS5_jNS1_19radix_merge_compareILb1ELb1EjNS0_19identity_decomposerEEEEE10hipError_tT0_T1_T2_jT3_P12ihipStream_tbPNSt15iterator_traitsISE_E10value_typeEPNSK_ISF_E10value_typeEPSG_NS1_7vsmem_tEENKUlT_SE_SF_SG_E_clIS8_S8_S9_S9_EESD_ST_SE_SF_SG_EUlST_E_NS1_11comp_targetILNS1_3genE2ELNS1_11target_archE906ELNS1_3gpuE6ELNS1_3repE0EEENS1_48merge_mergepath_partition_config_static_selectorELNS0_4arch9wavefront6targetE1EEEvSF_,"axG",@progbits,_ZN7rocprim17ROCPRIM_400000_NS6detail17trampoline_kernelINS0_14default_configENS1_38merge_sort_block_merge_config_selectorIjNS0_10empty_typeEEEZZNS1_27merge_sort_block_merge_implIS3_PjPS5_jNS1_19radix_merge_compareILb1ELb1EjNS0_19identity_decomposerEEEEE10hipError_tT0_T1_T2_jT3_P12ihipStream_tbPNSt15iterator_traitsISE_E10value_typeEPNSK_ISF_E10value_typeEPSG_NS1_7vsmem_tEENKUlT_SE_SF_SG_E_clIS8_S8_S9_S9_EESD_ST_SE_SF_SG_EUlST_E_NS1_11comp_targetILNS1_3genE2ELNS1_11target_archE906ELNS1_3gpuE6ELNS1_3repE0EEENS1_48merge_mergepath_partition_config_static_selectorELNS0_4arch9wavefront6targetE1EEEvSF_,comdat
	.protected	_ZN7rocprim17ROCPRIM_400000_NS6detail17trampoline_kernelINS0_14default_configENS1_38merge_sort_block_merge_config_selectorIjNS0_10empty_typeEEEZZNS1_27merge_sort_block_merge_implIS3_PjPS5_jNS1_19radix_merge_compareILb1ELb1EjNS0_19identity_decomposerEEEEE10hipError_tT0_T1_T2_jT3_P12ihipStream_tbPNSt15iterator_traitsISE_E10value_typeEPNSK_ISF_E10value_typeEPSG_NS1_7vsmem_tEENKUlT_SE_SF_SG_E_clIS8_S8_S9_S9_EESD_ST_SE_SF_SG_EUlST_E_NS1_11comp_targetILNS1_3genE2ELNS1_11target_archE906ELNS1_3gpuE6ELNS1_3repE0EEENS1_48merge_mergepath_partition_config_static_selectorELNS0_4arch9wavefront6targetE1EEEvSF_ ; -- Begin function _ZN7rocprim17ROCPRIM_400000_NS6detail17trampoline_kernelINS0_14default_configENS1_38merge_sort_block_merge_config_selectorIjNS0_10empty_typeEEEZZNS1_27merge_sort_block_merge_implIS3_PjPS5_jNS1_19radix_merge_compareILb1ELb1EjNS0_19identity_decomposerEEEEE10hipError_tT0_T1_T2_jT3_P12ihipStream_tbPNSt15iterator_traitsISE_E10value_typeEPNSK_ISF_E10value_typeEPSG_NS1_7vsmem_tEENKUlT_SE_SF_SG_E_clIS8_S8_S9_S9_EESD_ST_SE_SF_SG_EUlST_E_NS1_11comp_targetILNS1_3genE2ELNS1_11target_archE906ELNS1_3gpuE6ELNS1_3repE0EEENS1_48merge_mergepath_partition_config_static_selectorELNS0_4arch9wavefront6targetE1EEEvSF_
	.globl	_ZN7rocprim17ROCPRIM_400000_NS6detail17trampoline_kernelINS0_14default_configENS1_38merge_sort_block_merge_config_selectorIjNS0_10empty_typeEEEZZNS1_27merge_sort_block_merge_implIS3_PjPS5_jNS1_19radix_merge_compareILb1ELb1EjNS0_19identity_decomposerEEEEE10hipError_tT0_T1_T2_jT3_P12ihipStream_tbPNSt15iterator_traitsISE_E10value_typeEPNSK_ISF_E10value_typeEPSG_NS1_7vsmem_tEENKUlT_SE_SF_SG_E_clIS8_S8_S9_S9_EESD_ST_SE_SF_SG_EUlST_E_NS1_11comp_targetILNS1_3genE2ELNS1_11target_archE906ELNS1_3gpuE6ELNS1_3repE0EEENS1_48merge_mergepath_partition_config_static_selectorELNS0_4arch9wavefront6targetE1EEEvSF_
	.p2align	8
	.type	_ZN7rocprim17ROCPRIM_400000_NS6detail17trampoline_kernelINS0_14default_configENS1_38merge_sort_block_merge_config_selectorIjNS0_10empty_typeEEEZZNS1_27merge_sort_block_merge_implIS3_PjPS5_jNS1_19radix_merge_compareILb1ELb1EjNS0_19identity_decomposerEEEEE10hipError_tT0_T1_T2_jT3_P12ihipStream_tbPNSt15iterator_traitsISE_E10value_typeEPNSK_ISF_E10value_typeEPSG_NS1_7vsmem_tEENKUlT_SE_SF_SG_E_clIS8_S8_S9_S9_EESD_ST_SE_SF_SG_EUlST_E_NS1_11comp_targetILNS1_3genE2ELNS1_11target_archE906ELNS1_3gpuE6ELNS1_3repE0EEENS1_48merge_mergepath_partition_config_static_selectorELNS0_4arch9wavefront6targetE1EEEvSF_,@function
_ZN7rocprim17ROCPRIM_400000_NS6detail17trampoline_kernelINS0_14default_configENS1_38merge_sort_block_merge_config_selectorIjNS0_10empty_typeEEEZZNS1_27merge_sort_block_merge_implIS3_PjPS5_jNS1_19radix_merge_compareILb1ELb1EjNS0_19identity_decomposerEEEEE10hipError_tT0_T1_T2_jT3_P12ihipStream_tbPNSt15iterator_traitsISE_E10value_typeEPNSK_ISF_E10value_typeEPSG_NS1_7vsmem_tEENKUlT_SE_SF_SG_E_clIS8_S8_S9_S9_EESD_ST_SE_SF_SG_EUlST_E_NS1_11comp_targetILNS1_3genE2ELNS1_11target_archE906ELNS1_3gpuE6ELNS1_3repE0EEENS1_48merge_mergepath_partition_config_static_selectorELNS0_4arch9wavefront6targetE1EEEvSF_: ; @_ZN7rocprim17ROCPRIM_400000_NS6detail17trampoline_kernelINS0_14default_configENS1_38merge_sort_block_merge_config_selectorIjNS0_10empty_typeEEEZZNS1_27merge_sort_block_merge_implIS3_PjPS5_jNS1_19radix_merge_compareILb1ELb1EjNS0_19identity_decomposerEEEEE10hipError_tT0_T1_T2_jT3_P12ihipStream_tbPNSt15iterator_traitsISE_E10value_typeEPNSK_ISF_E10value_typeEPSG_NS1_7vsmem_tEENKUlT_SE_SF_SG_E_clIS8_S8_S9_S9_EESD_ST_SE_SF_SG_EUlST_E_NS1_11comp_targetILNS1_3genE2ELNS1_11target_archE906ELNS1_3gpuE6ELNS1_3repE0EEENS1_48merge_mergepath_partition_config_static_selectorELNS0_4arch9wavefront6targetE1EEEvSF_
; %bb.0:
	.section	.rodata,"a",@progbits
	.p2align	6, 0x0
	.amdhsa_kernel _ZN7rocprim17ROCPRIM_400000_NS6detail17trampoline_kernelINS0_14default_configENS1_38merge_sort_block_merge_config_selectorIjNS0_10empty_typeEEEZZNS1_27merge_sort_block_merge_implIS3_PjPS5_jNS1_19radix_merge_compareILb1ELb1EjNS0_19identity_decomposerEEEEE10hipError_tT0_T1_T2_jT3_P12ihipStream_tbPNSt15iterator_traitsISE_E10value_typeEPNSK_ISF_E10value_typeEPSG_NS1_7vsmem_tEENKUlT_SE_SF_SG_E_clIS8_S8_S9_S9_EESD_ST_SE_SF_SG_EUlST_E_NS1_11comp_targetILNS1_3genE2ELNS1_11target_archE906ELNS1_3gpuE6ELNS1_3repE0EEENS1_48merge_mergepath_partition_config_static_selectorELNS0_4arch9wavefront6targetE1EEEvSF_
		.amdhsa_group_segment_fixed_size 0
		.amdhsa_private_segment_fixed_size 0
		.amdhsa_kernarg_size 40
		.amdhsa_user_sgpr_count 6
		.amdhsa_user_sgpr_private_segment_buffer 1
		.amdhsa_user_sgpr_dispatch_ptr 0
		.amdhsa_user_sgpr_queue_ptr 0
		.amdhsa_user_sgpr_kernarg_segment_ptr 1
		.amdhsa_user_sgpr_dispatch_id 0
		.amdhsa_user_sgpr_flat_scratch_init 0
		.amdhsa_user_sgpr_kernarg_preload_length 0
		.amdhsa_user_sgpr_kernarg_preload_offset 0
		.amdhsa_user_sgpr_private_segment_size 0
		.amdhsa_uses_dynamic_stack 0
		.amdhsa_system_sgpr_private_segment_wavefront_offset 0
		.amdhsa_system_sgpr_workgroup_id_x 1
		.amdhsa_system_sgpr_workgroup_id_y 0
		.amdhsa_system_sgpr_workgroup_id_z 0
		.amdhsa_system_sgpr_workgroup_info 0
		.amdhsa_system_vgpr_workitem_id 0
		.amdhsa_next_free_vgpr 1
		.amdhsa_next_free_sgpr 0
		.amdhsa_accum_offset 4
		.amdhsa_reserve_vcc 0
		.amdhsa_reserve_flat_scratch 0
		.amdhsa_float_round_mode_32 0
		.amdhsa_float_round_mode_16_64 0
		.amdhsa_float_denorm_mode_32 3
		.amdhsa_float_denorm_mode_16_64 3
		.amdhsa_dx10_clamp 1
		.amdhsa_ieee_mode 1
		.amdhsa_fp16_overflow 0
		.amdhsa_tg_split 0
		.amdhsa_exception_fp_ieee_invalid_op 0
		.amdhsa_exception_fp_denorm_src 0
		.amdhsa_exception_fp_ieee_div_zero 0
		.amdhsa_exception_fp_ieee_overflow 0
		.amdhsa_exception_fp_ieee_underflow 0
		.amdhsa_exception_fp_ieee_inexact 0
		.amdhsa_exception_int_div_zero 0
	.end_amdhsa_kernel
	.section	.text._ZN7rocprim17ROCPRIM_400000_NS6detail17trampoline_kernelINS0_14default_configENS1_38merge_sort_block_merge_config_selectorIjNS0_10empty_typeEEEZZNS1_27merge_sort_block_merge_implIS3_PjPS5_jNS1_19radix_merge_compareILb1ELb1EjNS0_19identity_decomposerEEEEE10hipError_tT0_T1_T2_jT3_P12ihipStream_tbPNSt15iterator_traitsISE_E10value_typeEPNSK_ISF_E10value_typeEPSG_NS1_7vsmem_tEENKUlT_SE_SF_SG_E_clIS8_S8_S9_S9_EESD_ST_SE_SF_SG_EUlST_E_NS1_11comp_targetILNS1_3genE2ELNS1_11target_archE906ELNS1_3gpuE6ELNS1_3repE0EEENS1_48merge_mergepath_partition_config_static_selectorELNS0_4arch9wavefront6targetE1EEEvSF_,"axG",@progbits,_ZN7rocprim17ROCPRIM_400000_NS6detail17trampoline_kernelINS0_14default_configENS1_38merge_sort_block_merge_config_selectorIjNS0_10empty_typeEEEZZNS1_27merge_sort_block_merge_implIS3_PjPS5_jNS1_19radix_merge_compareILb1ELb1EjNS0_19identity_decomposerEEEEE10hipError_tT0_T1_T2_jT3_P12ihipStream_tbPNSt15iterator_traitsISE_E10value_typeEPNSK_ISF_E10value_typeEPSG_NS1_7vsmem_tEENKUlT_SE_SF_SG_E_clIS8_S8_S9_S9_EESD_ST_SE_SF_SG_EUlST_E_NS1_11comp_targetILNS1_3genE2ELNS1_11target_archE906ELNS1_3gpuE6ELNS1_3repE0EEENS1_48merge_mergepath_partition_config_static_selectorELNS0_4arch9wavefront6targetE1EEEvSF_,comdat
.Lfunc_end2068:
	.size	_ZN7rocprim17ROCPRIM_400000_NS6detail17trampoline_kernelINS0_14default_configENS1_38merge_sort_block_merge_config_selectorIjNS0_10empty_typeEEEZZNS1_27merge_sort_block_merge_implIS3_PjPS5_jNS1_19radix_merge_compareILb1ELb1EjNS0_19identity_decomposerEEEEE10hipError_tT0_T1_T2_jT3_P12ihipStream_tbPNSt15iterator_traitsISE_E10value_typeEPNSK_ISF_E10value_typeEPSG_NS1_7vsmem_tEENKUlT_SE_SF_SG_E_clIS8_S8_S9_S9_EESD_ST_SE_SF_SG_EUlST_E_NS1_11comp_targetILNS1_3genE2ELNS1_11target_archE906ELNS1_3gpuE6ELNS1_3repE0EEENS1_48merge_mergepath_partition_config_static_selectorELNS0_4arch9wavefront6targetE1EEEvSF_, .Lfunc_end2068-_ZN7rocprim17ROCPRIM_400000_NS6detail17trampoline_kernelINS0_14default_configENS1_38merge_sort_block_merge_config_selectorIjNS0_10empty_typeEEEZZNS1_27merge_sort_block_merge_implIS3_PjPS5_jNS1_19radix_merge_compareILb1ELb1EjNS0_19identity_decomposerEEEEE10hipError_tT0_T1_T2_jT3_P12ihipStream_tbPNSt15iterator_traitsISE_E10value_typeEPNSK_ISF_E10value_typeEPSG_NS1_7vsmem_tEENKUlT_SE_SF_SG_E_clIS8_S8_S9_S9_EESD_ST_SE_SF_SG_EUlST_E_NS1_11comp_targetILNS1_3genE2ELNS1_11target_archE906ELNS1_3gpuE6ELNS1_3repE0EEENS1_48merge_mergepath_partition_config_static_selectorELNS0_4arch9wavefront6targetE1EEEvSF_
                                        ; -- End function
	.section	.AMDGPU.csdata,"",@progbits
; Kernel info:
; codeLenInByte = 0
; NumSgprs: 4
; NumVgprs: 0
; NumAgprs: 0
; TotalNumVgprs: 0
; ScratchSize: 0
; MemoryBound: 0
; FloatMode: 240
; IeeeMode: 1
; LDSByteSize: 0 bytes/workgroup (compile time only)
; SGPRBlocks: 0
; VGPRBlocks: 0
; NumSGPRsForWavesPerEU: 4
; NumVGPRsForWavesPerEU: 1
; AccumOffset: 4
; Occupancy: 8
; WaveLimiterHint : 0
; COMPUTE_PGM_RSRC2:SCRATCH_EN: 0
; COMPUTE_PGM_RSRC2:USER_SGPR: 6
; COMPUTE_PGM_RSRC2:TRAP_HANDLER: 0
; COMPUTE_PGM_RSRC2:TGID_X_EN: 1
; COMPUTE_PGM_RSRC2:TGID_Y_EN: 0
; COMPUTE_PGM_RSRC2:TGID_Z_EN: 0
; COMPUTE_PGM_RSRC2:TIDIG_COMP_CNT: 0
; COMPUTE_PGM_RSRC3_GFX90A:ACCUM_OFFSET: 0
; COMPUTE_PGM_RSRC3_GFX90A:TG_SPLIT: 0
	.section	.text._ZN7rocprim17ROCPRIM_400000_NS6detail17trampoline_kernelINS0_14default_configENS1_38merge_sort_block_merge_config_selectorIjNS0_10empty_typeEEEZZNS1_27merge_sort_block_merge_implIS3_PjPS5_jNS1_19radix_merge_compareILb1ELb1EjNS0_19identity_decomposerEEEEE10hipError_tT0_T1_T2_jT3_P12ihipStream_tbPNSt15iterator_traitsISE_E10value_typeEPNSK_ISF_E10value_typeEPSG_NS1_7vsmem_tEENKUlT_SE_SF_SG_E_clIS8_S8_S9_S9_EESD_ST_SE_SF_SG_EUlST_E_NS1_11comp_targetILNS1_3genE9ELNS1_11target_archE1100ELNS1_3gpuE3ELNS1_3repE0EEENS1_48merge_mergepath_partition_config_static_selectorELNS0_4arch9wavefront6targetE1EEEvSF_,"axG",@progbits,_ZN7rocprim17ROCPRIM_400000_NS6detail17trampoline_kernelINS0_14default_configENS1_38merge_sort_block_merge_config_selectorIjNS0_10empty_typeEEEZZNS1_27merge_sort_block_merge_implIS3_PjPS5_jNS1_19radix_merge_compareILb1ELb1EjNS0_19identity_decomposerEEEEE10hipError_tT0_T1_T2_jT3_P12ihipStream_tbPNSt15iterator_traitsISE_E10value_typeEPNSK_ISF_E10value_typeEPSG_NS1_7vsmem_tEENKUlT_SE_SF_SG_E_clIS8_S8_S9_S9_EESD_ST_SE_SF_SG_EUlST_E_NS1_11comp_targetILNS1_3genE9ELNS1_11target_archE1100ELNS1_3gpuE3ELNS1_3repE0EEENS1_48merge_mergepath_partition_config_static_selectorELNS0_4arch9wavefront6targetE1EEEvSF_,comdat
	.protected	_ZN7rocprim17ROCPRIM_400000_NS6detail17trampoline_kernelINS0_14default_configENS1_38merge_sort_block_merge_config_selectorIjNS0_10empty_typeEEEZZNS1_27merge_sort_block_merge_implIS3_PjPS5_jNS1_19radix_merge_compareILb1ELb1EjNS0_19identity_decomposerEEEEE10hipError_tT0_T1_T2_jT3_P12ihipStream_tbPNSt15iterator_traitsISE_E10value_typeEPNSK_ISF_E10value_typeEPSG_NS1_7vsmem_tEENKUlT_SE_SF_SG_E_clIS8_S8_S9_S9_EESD_ST_SE_SF_SG_EUlST_E_NS1_11comp_targetILNS1_3genE9ELNS1_11target_archE1100ELNS1_3gpuE3ELNS1_3repE0EEENS1_48merge_mergepath_partition_config_static_selectorELNS0_4arch9wavefront6targetE1EEEvSF_ ; -- Begin function _ZN7rocprim17ROCPRIM_400000_NS6detail17trampoline_kernelINS0_14default_configENS1_38merge_sort_block_merge_config_selectorIjNS0_10empty_typeEEEZZNS1_27merge_sort_block_merge_implIS3_PjPS5_jNS1_19radix_merge_compareILb1ELb1EjNS0_19identity_decomposerEEEEE10hipError_tT0_T1_T2_jT3_P12ihipStream_tbPNSt15iterator_traitsISE_E10value_typeEPNSK_ISF_E10value_typeEPSG_NS1_7vsmem_tEENKUlT_SE_SF_SG_E_clIS8_S8_S9_S9_EESD_ST_SE_SF_SG_EUlST_E_NS1_11comp_targetILNS1_3genE9ELNS1_11target_archE1100ELNS1_3gpuE3ELNS1_3repE0EEENS1_48merge_mergepath_partition_config_static_selectorELNS0_4arch9wavefront6targetE1EEEvSF_
	.globl	_ZN7rocprim17ROCPRIM_400000_NS6detail17trampoline_kernelINS0_14default_configENS1_38merge_sort_block_merge_config_selectorIjNS0_10empty_typeEEEZZNS1_27merge_sort_block_merge_implIS3_PjPS5_jNS1_19radix_merge_compareILb1ELb1EjNS0_19identity_decomposerEEEEE10hipError_tT0_T1_T2_jT3_P12ihipStream_tbPNSt15iterator_traitsISE_E10value_typeEPNSK_ISF_E10value_typeEPSG_NS1_7vsmem_tEENKUlT_SE_SF_SG_E_clIS8_S8_S9_S9_EESD_ST_SE_SF_SG_EUlST_E_NS1_11comp_targetILNS1_3genE9ELNS1_11target_archE1100ELNS1_3gpuE3ELNS1_3repE0EEENS1_48merge_mergepath_partition_config_static_selectorELNS0_4arch9wavefront6targetE1EEEvSF_
	.p2align	8
	.type	_ZN7rocprim17ROCPRIM_400000_NS6detail17trampoline_kernelINS0_14default_configENS1_38merge_sort_block_merge_config_selectorIjNS0_10empty_typeEEEZZNS1_27merge_sort_block_merge_implIS3_PjPS5_jNS1_19radix_merge_compareILb1ELb1EjNS0_19identity_decomposerEEEEE10hipError_tT0_T1_T2_jT3_P12ihipStream_tbPNSt15iterator_traitsISE_E10value_typeEPNSK_ISF_E10value_typeEPSG_NS1_7vsmem_tEENKUlT_SE_SF_SG_E_clIS8_S8_S9_S9_EESD_ST_SE_SF_SG_EUlST_E_NS1_11comp_targetILNS1_3genE9ELNS1_11target_archE1100ELNS1_3gpuE3ELNS1_3repE0EEENS1_48merge_mergepath_partition_config_static_selectorELNS0_4arch9wavefront6targetE1EEEvSF_,@function
_ZN7rocprim17ROCPRIM_400000_NS6detail17trampoline_kernelINS0_14default_configENS1_38merge_sort_block_merge_config_selectorIjNS0_10empty_typeEEEZZNS1_27merge_sort_block_merge_implIS3_PjPS5_jNS1_19radix_merge_compareILb1ELb1EjNS0_19identity_decomposerEEEEE10hipError_tT0_T1_T2_jT3_P12ihipStream_tbPNSt15iterator_traitsISE_E10value_typeEPNSK_ISF_E10value_typeEPSG_NS1_7vsmem_tEENKUlT_SE_SF_SG_E_clIS8_S8_S9_S9_EESD_ST_SE_SF_SG_EUlST_E_NS1_11comp_targetILNS1_3genE9ELNS1_11target_archE1100ELNS1_3gpuE3ELNS1_3repE0EEENS1_48merge_mergepath_partition_config_static_selectorELNS0_4arch9wavefront6targetE1EEEvSF_: ; @_ZN7rocprim17ROCPRIM_400000_NS6detail17trampoline_kernelINS0_14default_configENS1_38merge_sort_block_merge_config_selectorIjNS0_10empty_typeEEEZZNS1_27merge_sort_block_merge_implIS3_PjPS5_jNS1_19radix_merge_compareILb1ELb1EjNS0_19identity_decomposerEEEEE10hipError_tT0_T1_T2_jT3_P12ihipStream_tbPNSt15iterator_traitsISE_E10value_typeEPNSK_ISF_E10value_typeEPSG_NS1_7vsmem_tEENKUlT_SE_SF_SG_E_clIS8_S8_S9_S9_EESD_ST_SE_SF_SG_EUlST_E_NS1_11comp_targetILNS1_3genE9ELNS1_11target_archE1100ELNS1_3gpuE3ELNS1_3repE0EEENS1_48merge_mergepath_partition_config_static_selectorELNS0_4arch9wavefront6targetE1EEEvSF_
; %bb.0:
	.section	.rodata,"a",@progbits
	.p2align	6, 0x0
	.amdhsa_kernel _ZN7rocprim17ROCPRIM_400000_NS6detail17trampoline_kernelINS0_14default_configENS1_38merge_sort_block_merge_config_selectorIjNS0_10empty_typeEEEZZNS1_27merge_sort_block_merge_implIS3_PjPS5_jNS1_19radix_merge_compareILb1ELb1EjNS0_19identity_decomposerEEEEE10hipError_tT0_T1_T2_jT3_P12ihipStream_tbPNSt15iterator_traitsISE_E10value_typeEPNSK_ISF_E10value_typeEPSG_NS1_7vsmem_tEENKUlT_SE_SF_SG_E_clIS8_S8_S9_S9_EESD_ST_SE_SF_SG_EUlST_E_NS1_11comp_targetILNS1_3genE9ELNS1_11target_archE1100ELNS1_3gpuE3ELNS1_3repE0EEENS1_48merge_mergepath_partition_config_static_selectorELNS0_4arch9wavefront6targetE1EEEvSF_
		.amdhsa_group_segment_fixed_size 0
		.amdhsa_private_segment_fixed_size 0
		.amdhsa_kernarg_size 40
		.amdhsa_user_sgpr_count 6
		.amdhsa_user_sgpr_private_segment_buffer 1
		.amdhsa_user_sgpr_dispatch_ptr 0
		.amdhsa_user_sgpr_queue_ptr 0
		.amdhsa_user_sgpr_kernarg_segment_ptr 1
		.amdhsa_user_sgpr_dispatch_id 0
		.amdhsa_user_sgpr_flat_scratch_init 0
		.amdhsa_user_sgpr_kernarg_preload_length 0
		.amdhsa_user_sgpr_kernarg_preload_offset 0
		.amdhsa_user_sgpr_private_segment_size 0
		.amdhsa_uses_dynamic_stack 0
		.amdhsa_system_sgpr_private_segment_wavefront_offset 0
		.amdhsa_system_sgpr_workgroup_id_x 1
		.amdhsa_system_sgpr_workgroup_id_y 0
		.amdhsa_system_sgpr_workgroup_id_z 0
		.amdhsa_system_sgpr_workgroup_info 0
		.amdhsa_system_vgpr_workitem_id 0
		.amdhsa_next_free_vgpr 1
		.amdhsa_next_free_sgpr 0
		.amdhsa_accum_offset 4
		.amdhsa_reserve_vcc 0
		.amdhsa_reserve_flat_scratch 0
		.amdhsa_float_round_mode_32 0
		.amdhsa_float_round_mode_16_64 0
		.amdhsa_float_denorm_mode_32 3
		.amdhsa_float_denorm_mode_16_64 3
		.amdhsa_dx10_clamp 1
		.amdhsa_ieee_mode 1
		.amdhsa_fp16_overflow 0
		.amdhsa_tg_split 0
		.amdhsa_exception_fp_ieee_invalid_op 0
		.amdhsa_exception_fp_denorm_src 0
		.amdhsa_exception_fp_ieee_div_zero 0
		.amdhsa_exception_fp_ieee_overflow 0
		.amdhsa_exception_fp_ieee_underflow 0
		.amdhsa_exception_fp_ieee_inexact 0
		.amdhsa_exception_int_div_zero 0
	.end_amdhsa_kernel
	.section	.text._ZN7rocprim17ROCPRIM_400000_NS6detail17trampoline_kernelINS0_14default_configENS1_38merge_sort_block_merge_config_selectorIjNS0_10empty_typeEEEZZNS1_27merge_sort_block_merge_implIS3_PjPS5_jNS1_19radix_merge_compareILb1ELb1EjNS0_19identity_decomposerEEEEE10hipError_tT0_T1_T2_jT3_P12ihipStream_tbPNSt15iterator_traitsISE_E10value_typeEPNSK_ISF_E10value_typeEPSG_NS1_7vsmem_tEENKUlT_SE_SF_SG_E_clIS8_S8_S9_S9_EESD_ST_SE_SF_SG_EUlST_E_NS1_11comp_targetILNS1_3genE9ELNS1_11target_archE1100ELNS1_3gpuE3ELNS1_3repE0EEENS1_48merge_mergepath_partition_config_static_selectorELNS0_4arch9wavefront6targetE1EEEvSF_,"axG",@progbits,_ZN7rocprim17ROCPRIM_400000_NS6detail17trampoline_kernelINS0_14default_configENS1_38merge_sort_block_merge_config_selectorIjNS0_10empty_typeEEEZZNS1_27merge_sort_block_merge_implIS3_PjPS5_jNS1_19radix_merge_compareILb1ELb1EjNS0_19identity_decomposerEEEEE10hipError_tT0_T1_T2_jT3_P12ihipStream_tbPNSt15iterator_traitsISE_E10value_typeEPNSK_ISF_E10value_typeEPSG_NS1_7vsmem_tEENKUlT_SE_SF_SG_E_clIS8_S8_S9_S9_EESD_ST_SE_SF_SG_EUlST_E_NS1_11comp_targetILNS1_3genE9ELNS1_11target_archE1100ELNS1_3gpuE3ELNS1_3repE0EEENS1_48merge_mergepath_partition_config_static_selectorELNS0_4arch9wavefront6targetE1EEEvSF_,comdat
.Lfunc_end2069:
	.size	_ZN7rocprim17ROCPRIM_400000_NS6detail17trampoline_kernelINS0_14default_configENS1_38merge_sort_block_merge_config_selectorIjNS0_10empty_typeEEEZZNS1_27merge_sort_block_merge_implIS3_PjPS5_jNS1_19radix_merge_compareILb1ELb1EjNS0_19identity_decomposerEEEEE10hipError_tT0_T1_T2_jT3_P12ihipStream_tbPNSt15iterator_traitsISE_E10value_typeEPNSK_ISF_E10value_typeEPSG_NS1_7vsmem_tEENKUlT_SE_SF_SG_E_clIS8_S8_S9_S9_EESD_ST_SE_SF_SG_EUlST_E_NS1_11comp_targetILNS1_3genE9ELNS1_11target_archE1100ELNS1_3gpuE3ELNS1_3repE0EEENS1_48merge_mergepath_partition_config_static_selectorELNS0_4arch9wavefront6targetE1EEEvSF_, .Lfunc_end2069-_ZN7rocprim17ROCPRIM_400000_NS6detail17trampoline_kernelINS0_14default_configENS1_38merge_sort_block_merge_config_selectorIjNS0_10empty_typeEEEZZNS1_27merge_sort_block_merge_implIS3_PjPS5_jNS1_19radix_merge_compareILb1ELb1EjNS0_19identity_decomposerEEEEE10hipError_tT0_T1_T2_jT3_P12ihipStream_tbPNSt15iterator_traitsISE_E10value_typeEPNSK_ISF_E10value_typeEPSG_NS1_7vsmem_tEENKUlT_SE_SF_SG_E_clIS8_S8_S9_S9_EESD_ST_SE_SF_SG_EUlST_E_NS1_11comp_targetILNS1_3genE9ELNS1_11target_archE1100ELNS1_3gpuE3ELNS1_3repE0EEENS1_48merge_mergepath_partition_config_static_selectorELNS0_4arch9wavefront6targetE1EEEvSF_
                                        ; -- End function
	.section	.AMDGPU.csdata,"",@progbits
; Kernel info:
; codeLenInByte = 0
; NumSgprs: 4
; NumVgprs: 0
; NumAgprs: 0
; TotalNumVgprs: 0
; ScratchSize: 0
; MemoryBound: 0
; FloatMode: 240
; IeeeMode: 1
; LDSByteSize: 0 bytes/workgroup (compile time only)
; SGPRBlocks: 0
; VGPRBlocks: 0
; NumSGPRsForWavesPerEU: 4
; NumVGPRsForWavesPerEU: 1
; AccumOffset: 4
; Occupancy: 8
; WaveLimiterHint : 0
; COMPUTE_PGM_RSRC2:SCRATCH_EN: 0
; COMPUTE_PGM_RSRC2:USER_SGPR: 6
; COMPUTE_PGM_RSRC2:TRAP_HANDLER: 0
; COMPUTE_PGM_RSRC2:TGID_X_EN: 1
; COMPUTE_PGM_RSRC2:TGID_Y_EN: 0
; COMPUTE_PGM_RSRC2:TGID_Z_EN: 0
; COMPUTE_PGM_RSRC2:TIDIG_COMP_CNT: 0
; COMPUTE_PGM_RSRC3_GFX90A:ACCUM_OFFSET: 0
; COMPUTE_PGM_RSRC3_GFX90A:TG_SPLIT: 0
	.section	.text._ZN7rocprim17ROCPRIM_400000_NS6detail17trampoline_kernelINS0_14default_configENS1_38merge_sort_block_merge_config_selectorIjNS0_10empty_typeEEEZZNS1_27merge_sort_block_merge_implIS3_PjPS5_jNS1_19radix_merge_compareILb1ELb1EjNS0_19identity_decomposerEEEEE10hipError_tT0_T1_T2_jT3_P12ihipStream_tbPNSt15iterator_traitsISE_E10value_typeEPNSK_ISF_E10value_typeEPSG_NS1_7vsmem_tEENKUlT_SE_SF_SG_E_clIS8_S8_S9_S9_EESD_ST_SE_SF_SG_EUlST_E_NS1_11comp_targetILNS1_3genE8ELNS1_11target_archE1030ELNS1_3gpuE2ELNS1_3repE0EEENS1_48merge_mergepath_partition_config_static_selectorELNS0_4arch9wavefront6targetE1EEEvSF_,"axG",@progbits,_ZN7rocprim17ROCPRIM_400000_NS6detail17trampoline_kernelINS0_14default_configENS1_38merge_sort_block_merge_config_selectorIjNS0_10empty_typeEEEZZNS1_27merge_sort_block_merge_implIS3_PjPS5_jNS1_19radix_merge_compareILb1ELb1EjNS0_19identity_decomposerEEEEE10hipError_tT0_T1_T2_jT3_P12ihipStream_tbPNSt15iterator_traitsISE_E10value_typeEPNSK_ISF_E10value_typeEPSG_NS1_7vsmem_tEENKUlT_SE_SF_SG_E_clIS8_S8_S9_S9_EESD_ST_SE_SF_SG_EUlST_E_NS1_11comp_targetILNS1_3genE8ELNS1_11target_archE1030ELNS1_3gpuE2ELNS1_3repE0EEENS1_48merge_mergepath_partition_config_static_selectorELNS0_4arch9wavefront6targetE1EEEvSF_,comdat
	.protected	_ZN7rocprim17ROCPRIM_400000_NS6detail17trampoline_kernelINS0_14default_configENS1_38merge_sort_block_merge_config_selectorIjNS0_10empty_typeEEEZZNS1_27merge_sort_block_merge_implIS3_PjPS5_jNS1_19radix_merge_compareILb1ELb1EjNS0_19identity_decomposerEEEEE10hipError_tT0_T1_T2_jT3_P12ihipStream_tbPNSt15iterator_traitsISE_E10value_typeEPNSK_ISF_E10value_typeEPSG_NS1_7vsmem_tEENKUlT_SE_SF_SG_E_clIS8_S8_S9_S9_EESD_ST_SE_SF_SG_EUlST_E_NS1_11comp_targetILNS1_3genE8ELNS1_11target_archE1030ELNS1_3gpuE2ELNS1_3repE0EEENS1_48merge_mergepath_partition_config_static_selectorELNS0_4arch9wavefront6targetE1EEEvSF_ ; -- Begin function _ZN7rocprim17ROCPRIM_400000_NS6detail17trampoline_kernelINS0_14default_configENS1_38merge_sort_block_merge_config_selectorIjNS0_10empty_typeEEEZZNS1_27merge_sort_block_merge_implIS3_PjPS5_jNS1_19radix_merge_compareILb1ELb1EjNS0_19identity_decomposerEEEEE10hipError_tT0_T1_T2_jT3_P12ihipStream_tbPNSt15iterator_traitsISE_E10value_typeEPNSK_ISF_E10value_typeEPSG_NS1_7vsmem_tEENKUlT_SE_SF_SG_E_clIS8_S8_S9_S9_EESD_ST_SE_SF_SG_EUlST_E_NS1_11comp_targetILNS1_3genE8ELNS1_11target_archE1030ELNS1_3gpuE2ELNS1_3repE0EEENS1_48merge_mergepath_partition_config_static_selectorELNS0_4arch9wavefront6targetE1EEEvSF_
	.globl	_ZN7rocprim17ROCPRIM_400000_NS6detail17trampoline_kernelINS0_14default_configENS1_38merge_sort_block_merge_config_selectorIjNS0_10empty_typeEEEZZNS1_27merge_sort_block_merge_implIS3_PjPS5_jNS1_19radix_merge_compareILb1ELb1EjNS0_19identity_decomposerEEEEE10hipError_tT0_T1_T2_jT3_P12ihipStream_tbPNSt15iterator_traitsISE_E10value_typeEPNSK_ISF_E10value_typeEPSG_NS1_7vsmem_tEENKUlT_SE_SF_SG_E_clIS8_S8_S9_S9_EESD_ST_SE_SF_SG_EUlST_E_NS1_11comp_targetILNS1_3genE8ELNS1_11target_archE1030ELNS1_3gpuE2ELNS1_3repE0EEENS1_48merge_mergepath_partition_config_static_selectorELNS0_4arch9wavefront6targetE1EEEvSF_
	.p2align	8
	.type	_ZN7rocprim17ROCPRIM_400000_NS6detail17trampoline_kernelINS0_14default_configENS1_38merge_sort_block_merge_config_selectorIjNS0_10empty_typeEEEZZNS1_27merge_sort_block_merge_implIS3_PjPS5_jNS1_19radix_merge_compareILb1ELb1EjNS0_19identity_decomposerEEEEE10hipError_tT0_T1_T2_jT3_P12ihipStream_tbPNSt15iterator_traitsISE_E10value_typeEPNSK_ISF_E10value_typeEPSG_NS1_7vsmem_tEENKUlT_SE_SF_SG_E_clIS8_S8_S9_S9_EESD_ST_SE_SF_SG_EUlST_E_NS1_11comp_targetILNS1_3genE8ELNS1_11target_archE1030ELNS1_3gpuE2ELNS1_3repE0EEENS1_48merge_mergepath_partition_config_static_selectorELNS0_4arch9wavefront6targetE1EEEvSF_,@function
_ZN7rocprim17ROCPRIM_400000_NS6detail17trampoline_kernelINS0_14default_configENS1_38merge_sort_block_merge_config_selectorIjNS0_10empty_typeEEEZZNS1_27merge_sort_block_merge_implIS3_PjPS5_jNS1_19radix_merge_compareILb1ELb1EjNS0_19identity_decomposerEEEEE10hipError_tT0_T1_T2_jT3_P12ihipStream_tbPNSt15iterator_traitsISE_E10value_typeEPNSK_ISF_E10value_typeEPSG_NS1_7vsmem_tEENKUlT_SE_SF_SG_E_clIS8_S8_S9_S9_EESD_ST_SE_SF_SG_EUlST_E_NS1_11comp_targetILNS1_3genE8ELNS1_11target_archE1030ELNS1_3gpuE2ELNS1_3repE0EEENS1_48merge_mergepath_partition_config_static_selectorELNS0_4arch9wavefront6targetE1EEEvSF_: ; @_ZN7rocprim17ROCPRIM_400000_NS6detail17trampoline_kernelINS0_14default_configENS1_38merge_sort_block_merge_config_selectorIjNS0_10empty_typeEEEZZNS1_27merge_sort_block_merge_implIS3_PjPS5_jNS1_19radix_merge_compareILb1ELb1EjNS0_19identity_decomposerEEEEE10hipError_tT0_T1_T2_jT3_P12ihipStream_tbPNSt15iterator_traitsISE_E10value_typeEPNSK_ISF_E10value_typeEPSG_NS1_7vsmem_tEENKUlT_SE_SF_SG_E_clIS8_S8_S9_S9_EESD_ST_SE_SF_SG_EUlST_E_NS1_11comp_targetILNS1_3genE8ELNS1_11target_archE1030ELNS1_3gpuE2ELNS1_3repE0EEENS1_48merge_mergepath_partition_config_static_selectorELNS0_4arch9wavefront6targetE1EEEvSF_
; %bb.0:
	.section	.rodata,"a",@progbits
	.p2align	6, 0x0
	.amdhsa_kernel _ZN7rocprim17ROCPRIM_400000_NS6detail17trampoline_kernelINS0_14default_configENS1_38merge_sort_block_merge_config_selectorIjNS0_10empty_typeEEEZZNS1_27merge_sort_block_merge_implIS3_PjPS5_jNS1_19radix_merge_compareILb1ELb1EjNS0_19identity_decomposerEEEEE10hipError_tT0_T1_T2_jT3_P12ihipStream_tbPNSt15iterator_traitsISE_E10value_typeEPNSK_ISF_E10value_typeEPSG_NS1_7vsmem_tEENKUlT_SE_SF_SG_E_clIS8_S8_S9_S9_EESD_ST_SE_SF_SG_EUlST_E_NS1_11comp_targetILNS1_3genE8ELNS1_11target_archE1030ELNS1_3gpuE2ELNS1_3repE0EEENS1_48merge_mergepath_partition_config_static_selectorELNS0_4arch9wavefront6targetE1EEEvSF_
		.amdhsa_group_segment_fixed_size 0
		.amdhsa_private_segment_fixed_size 0
		.amdhsa_kernarg_size 40
		.amdhsa_user_sgpr_count 6
		.amdhsa_user_sgpr_private_segment_buffer 1
		.amdhsa_user_sgpr_dispatch_ptr 0
		.amdhsa_user_sgpr_queue_ptr 0
		.amdhsa_user_sgpr_kernarg_segment_ptr 1
		.amdhsa_user_sgpr_dispatch_id 0
		.amdhsa_user_sgpr_flat_scratch_init 0
		.amdhsa_user_sgpr_kernarg_preload_length 0
		.amdhsa_user_sgpr_kernarg_preload_offset 0
		.amdhsa_user_sgpr_private_segment_size 0
		.amdhsa_uses_dynamic_stack 0
		.amdhsa_system_sgpr_private_segment_wavefront_offset 0
		.amdhsa_system_sgpr_workgroup_id_x 1
		.amdhsa_system_sgpr_workgroup_id_y 0
		.amdhsa_system_sgpr_workgroup_id_z 0
		.amdhsa_system_sgpr_workgroup_info 0
		.amdhsa_system_vgpr_workitem_id 0
		.amdhsa_next_free_vgpr 1
		.amdhsa_next_free_sgpr 0
		.amdhsa_accum_offset 4
		.amdhsa_reserve_vcc 0
		.amdhsa_reserve_flat_scratch 0
		.amdhsa_float_round_mode_32 0
		.amdhsa_float_round_mode_16_64 0
		.amdhsa_float_denorm_mode_32 3
		.amdhsa_float_denorm_mode_16_64 3
		.amdhsa_dx10_clamp 1
		.amdhsa_ieee_mode 1
		.amdhsa_fp16_overflow 0
		.amdhsa_tg_split 0
		.amdhsa_exception_fp_ieee_invalid_op 0
		.amdhsa_exception_fp_denorm_src 0
		.amdhsa_exception_fp_ieee_div_zero 0
		.amdhsa_exception_fp_ieee_overflow 0
		.amdhsa_exception_fp_ieee_underflow 0
		.amdhsa_exception_fp_ieee_inexact 0
		.amdhsa_exception_int_div_zero 0
	.end_amdhsa_kernel
	.section	.text._ZN7rocprim17ROCPRIM_400000_NS6detail17trampoline_kernelINS0_14default_configENS1_38merge_sort_block_merge_config_selectorIjNS0_10empty_typeEEEZZNS1_27merge_sort_block_merge_implIS3_PjPS5_jNS1_19radix_merge_compareILb1ELb1EjNS0_19identity_decomposerEEEEE10hipError_tT0_T1_T2_jT3_P12ihipStream_tbPNSt15iterator_traitsISE_E10value_typeEPNSK_ISF_E10value_typeEPSG_NS1_7vsmem_tEENKUlT_SE_SF_SG_E_clIS8_S8_S9_S9_EESD_ST_SE_SF_SG_EUlST_E_NS1_11comp_targetILNS1_3genE8ELNS1_11target_archE1030ELNS1_3gpuE2ELNS1_3repE0EEENS1_48merge_mergepath_partition_config_static_selectorELNS0_4arch9wavefront6targetE1EEEvSF_,"axG",@progbits,_ZN7rocprim17ROCPRIM_400000_NS6detail17trampoline_kernelINS0_14default_configENS1_38merge_sort_block_merge_config_selectorIjNS0_10empty_typeEEEZZNS1_27merge_sort_block_merge_implIS3_PjPS5_jNS1_19radix_merge_compareILb1ELb1EjNS0_19identity_decomposerEEEEE10hipError_tT0_T1_T2_jT3_P12ihipStream_tbPNSt15iterator_traitsISE_E10value_typeEPNSK_ISF_E10value_typeEPSG_NS1_7vsmem_tEENKUlT_SE_SF_SG_E_clIS8_S8_S9_S9_EESD_ST_SE_SF_SG_EUlST_E_NS1_11comp_targetILNS1_3genE8ELNS1_11target_archE1030ELNS1_3gpuE2ELNS1_3repE0EEENS1_48merge_mergepath_partition_config_static_selectorELNS0_4arch9wavefront6targetE1EEEvSF_,comdat
.Lfunc_end2070:
	.size	_ZN7rocprim17ROCPRIM_400000_NS6detail17trampoline_kernelINS0_14default_configENS1_38merge_sort_block_merge_config_selectorIjNS0_10empty_typeEEEZZNS1_27merge_sort_block_merge_implIS3_PjPS5_jNS1_19radix_merge_compareILb1ELb1EjNS0_19identity_decomposerEEEEE10hipError_tT0_T1_T2_jT3_P12ihipStream_tbPNSt15iterator_traitsISE_E10value_typeEPNSK_ISF_E10value_typeEPSG_NS1_7vsmem_tEENKUlT_SE_SF_SG_E_clIS8_S8_S9_S9_EESD_ST_SE_SF_SG_EUlST_E_NS1_11comp_targetILNS1_3genE8ELNS1_11target_archE1030ELNS1_3gpuE2ELNS1_3repE0EEENS1_48merge_mergepath_partition_config_static_selectorELNS0_4arch9wavefront6targetE1EEEvSF_, .Lfunc_end2070-_ZN7rocprim17ROCPRIM_400000_NS6detail17trampoline_kernelINS0_14default_configENS1_38merge_sort_block_merge_config_selectorIjNS0_10empty_typeEEEZZNS1_27merge_sort_block_merge_implIS3_PjPS5_jNS1_19radix_merge_compareILb1ELb1EjNS0_19identity_decomposerEEEEE10hipError_tT0_T1_T2_jT3_P12ihipStream_tbPNSt15iterator_traitsISE_E10value_typeEPNSK_ISF_E10value_typeEPSG_NS1_7vsmem_tEENKUlT_SE_SF_SG_E_clIS8_S8_S9_S9_EESD_ST_SE_SF_SG_EUlST_E_NS1_11comp_targetILNS1_3genE8ELNS1_11target_archE1030ELNS1_3gpuE2ELNS1_3repE0EEENS1_48merge_mergepath_partition_config_static_selectorELNS0_4arch9wavefront6targetE1EEEvSF_
                                        ; -- End function
	.section	.AMDGPU.csdata,"",@progbits
; Kernel info:
; codeLenInByte = 0
; NumSgprs: 4
; NumVgprs: 0
; NumAgprs: 0
; TotalNumVgprs: 0
; ScratchSize: 0
; MemoryBound: 0
; FloatMode: 240
; IeeeMode: 1
; LDSByteSize: 0 bytes/workgroup (compile time only)
; SGPRBlocks: 0
; VGPRBlocks: 0
; NumSGPRsForWavesPerEU: 4
; NumVGPRsForWavesPerEU: 1
; AccumOffset: 4
; Occupancy: 8
; WaveLimiterHint : 0
; COMPUTE_PGM_RSRC2:SCRATCH_EN: 0
; COMPUTE_PGM_RSRC2:USER_SGPR: 6
; COMPUTE_PGM_RSRC2:TRAP_HANDLER: 0
; COMPUTE_PGM_RSRC2:TGID_X_EN: 1
; COMPUTE_PGM_RSRC2:TGID_Y_EN: 0
; COMPUTE_PGM_RSRC2:TGID_Z_EN: 0
; COMPUTE_PGM_RSRC2:TIDIG_COMP_CNT: 0
; COMPUTE_PGM_RSRC3_GFX90A:ACCUM_OFFSET: 0
; COMPUTE_PGM_RSRC3_GFX90A:TG_SPLIT: 0
	.section	.text._ZN7rocprim17ROCPRIM_400000_NS6detail17trampoline_kernelINS0_14default_configENS1_38merge_sort_block_merge_config_selectorIjNS0_10empty_typeEEEZZNS1_27merge_sort_block_merge_implIS3_PjPS5_jNS1_19radix_merge_compareILb1ELb1EjNS0_19identity_decomposerEEEEE10hipError_tT0_T1_T2_jT3_P12ihipStream_tbPNSt15iterator_traitsISE_E10value_typeEPNSK_ISF_E10value_typeEPSG_NS1_7vsmem_tEENKUlT_SE_SF_SG_E_clIS8_S8_S9_S9_EESD_ST_SE_SF_SG_EUlST_E0_NS1_11comp_targetILNS1_3genE0ELNS1_11target_archE4294967295ELNS1_3gpuE0ELNS1_3repE0EEENS1_38merge_mergepath_config_static_selectorELNS0_4arch9wavefront6targetE1EEEvSF_,"axG",@progbits,_ZN7rocprim17ROCPRIM_400000_NS6detail17trampoline_kernelINS0_14default_configENS1_38merge_sort_block_merge_config_selectorIjNS0_10empty_typeEEEZZNS1_27merge_sort_block_merge_implIS3_PjPS5_jNS1_19radix_merge_compareILb1ELb1EjNS0_19identity_decomposerEEEEE10hipError_tT0_T1_T2_jT3_P12ihipStream_tbPNSt15iterator_traitsISE_E10value_typeEPNSK_ISF_E10value_typeEPSG_NS1_7vsmem_tEENKUlT_SE_SF_SG_E_clIS8_S8_S9_S9_EESD_ST_SE_SF_SG_EUlST_E0_NS1_11comp_targetILNS1_3genE0ELNS1_11target_archE4294967295ELNS1_3gpuE0ELNS1_3repE0EEENS1_38merge_mergepath_config_static_selectorELNS0_4arch9wavefront6targetE1EEEvSF_,comdat
	.protected	_ZN7rocprim17ROCPRIM_400000_NS6detail17trampoline_kernelINS0_14default_configENS1_38merge_sort_block_merge_config_selectorIjNS0_10empty_typeEEEZZNS1_27merge_sort_block_merge_implIS3_PjPS5_jNS1_19radix_merge_compareILb1ELb1EjNS0_19identity_decomposerEEEEE10hipError_tT0_T1_T2_jT3_P12ihipStream_tbPNSt15iterator_traitsISE_E10value_typeEPNSK_ISF_E10value_typeEPSG_NS1_7vsmem_tEENKUlT_SE_SF_SG_E_clIS8_S8_S9_S9_EESD_ST_SE_SF_SG_EUlST_E0_NS1_11comp_targetILNS1_3genE0ELNS1_11target_archE4294967295ELNS1_3gpuE0ELNS1_3repE0EEENS1_38merge_mergepath_config_static_selectorELNS0_4arch9wavefront6targetE1EEEvSF_ ; -- Begin function _ZN7rocprim17ROCPRIM_400000_NS6detail17trampoline_kernelINS0_14default_configENS1_38merge_sort_block_merge_config_selectorIjNS0_10empty_typeEEEZZNS1_27merge_sort_block_merge_implIS3_PjPS5_jNS1_19radix_merge_compareILb1ELb1EjNS0_19identity_decomposerEEEEE10hipError_tT0_T1_T2_jT3_P12ihipStream_tbPNSt15iterator_traitsISE_E10value_typeEPNSK_ISF_E10value_typeEPSG_NS1_7vsmem_tEENKUlT_SE_SF_SG_E_clIS8_S8_S9_S9_EESD_ST_SE_SF_SG_EUlST_E0_NS1_11comp_targetILNS1_3genE0ELNS1_11target_archE4294967295ELNS1_3gpuE0ELNS1_3repE0EEENS1_38merge_mergepath_config_static_selectorELNS0_4arch9wavefront6targetE1EEEvSF_
	.globl	_ZN7rocprim17ROCPRIM_400000_NS6detail17trampoline_kernelINS0_14default_configENS1_38merge_sort_block_merge_config_selectorIjNS0_10empty_typeEEEZZNS1_27merge_sort_block_merge_implIS3_PjPS5_jNS1_19radix_merge_compareILb1ELb1EjNS0_19identity_decomposerEEEEE10hipError_tT0_T1_T2_jT3_P12ihipStream_tbPNSt15iterator_traitsISE_E10value_typeEPNSK_ISF_E10value_typeEPSG_NS1_7vsmem_tEENKUlT_SE_SF_SG_E_clIS8_S8_S9_S9_EESD_ST_SE_SF_SG_EUlST_E0_NS1_11comp_targetILNS1_3genE0ELNS1_11target_archE4294967295ELNS1_3gpuE0ELNS1_3repE0EEENS1_38merge_mergepath_config_static_selectorELNS0_4arch9wavefront6targetE1EEEvSF_
	.p2align	8
	.type	_ZN7rocprim17ROCPRIM_400000_NS6detail17trampoline_kernelINS0_14default_configENS1_38merge_sort_block_merge_config_selectorIjNS0_10empty_typeEEEZZNS1_27merge_sort_block_merge_implIS3_PjPS5_jNS1_19radix_merge_compareILb1ELb1EjNS0_19identity_decomposerEEEEE10hipError_tT0_T1_T2_jT3_P12ihipStream_tbPNSt15iterator_traitsISE_E10value_typeEPNSK_ISF_E10value_typeEPSG_NS1_7vsmem_tEENKUlT_SE_SF_SG_E_clIS8_S8_S9_S9_EESD_ST_SE_SF_SG_EUlST_E0_NS1_11comp_targetILNS1_3genE0ELNS1_11target_archE4294967295ELNS1_3gpuE0ELNS1_3repE0EEENS1_38merge_mergepath_config_static_selectorELNS0_4arch9wavefront6targetE1EEEvSF_,@function
_ZN7rocprim17ROCPRIM_400000_NS6detail17trampoline_kernelINS0_14default_configENS1_38merge_sort_block_merge_config_selectorIjNS0_10empty_typeEEEZZNS1_27merge_sort_block_merge_implIS3_PjPS5_jNS1_19radix_merge_compareILb1ELb1EjNS0_19identity_decomposerEEEEE10hipError_tT0_T1_T2_jT3_P12ihipStream_tbPNSt15iterator_traitsISE_E10value_typeEPNSK_ISF_E10value_typeEPSG_NS1_7vsmem_tEENKUlT_SE_SF_SG_E_clIS8_S8_S9_S9_EESD_ST_SE_SF_SG_EUlST_E0_NS1_11comp_targetILNS1_3genE0ELNS1_11target_archE4294967295ELNS1_3gpuE0ELNS1_3repE0EEENS1_38merge_mergepath_config_static_selectorELNS0_4arch9wavefront6targetE1EEEvSF_: ; @_ZN7rocprim17ROCPRIM_400000_NS6detail17trampoline_kernelINS0_14default_configENS1_38merge_sort_block_merge_config_selectorIjNS0_10empty_typeEEEZZNS1_27merge_sort_block_merge_implIS3_PjPS5_jNS1_19radix_merge_compareILb1ELb1EjNS0_19identity_decomposerEEEEE10hipError_tT0_T1_T2_jT3_P12ihipStream_tbPNSt15iterator_traitsISE_E10value_typeEPNSK_ISF_E10value_typeEPSG_NS1_7vsmem_tEENKUlT_SE_SF_SG_E_clIS8_S8_S9_S9_EESD_ST_SE_SF_SG_EUlST_E0_NS1_11comp_targetILNS1_3genE0ELNS1_11target_archE4294967295ELNS1_3gpuE0ELNS1_3repE0EEENS1_38merge_mergepath_config_static_selectorELNS0_4arch9wavefront6targetE1EEEvSF_
; %bb.0:
	.section	.rodata,"a",@progbits
	.p2align	6, 0x0
	.amdhsa_kernel _ZN7rocprim17ROCPRIM_400000_NS6detail17trampoline_kernelINS0_14default_configENS1_38merge_sort_block_merge_config_selectorIjNS0_10empty_typeEEEZZNS1_27merge_sort_block_merge_implIS3_PjPS5_jNS1_19radix_merge_compareILb1ELb1EjNS0_19identity_decomposerEEEEE10hipError_tT0_T1_T2_jT3_P12ihipStream_tbPNSt15iterator_traitsISE_E10value_typeEPNSK_ISF_E10value_typeEPSG_NS1_7vsmem_tEENKUlT_SE_SF_SG_E_clIS8_S8_S9_S9_EESD_ST_SE_SF_SG_EUlST_E0_NS1_11comp_targetILNS1_3genE0ELNS1_11target_archE4294967295ELNS1_3gpuE0ELNS1_3repE0EEENS1_38merge_mergepath_config_static_selectorELNS0_4arch9wavefront6targetE1EEEvSF_
		.amdhsa_group_segment_fixed_size 0
		.amdhsa_private_segment_fixed_size 0
		.amdhsa_kernarg_size 64
		.amdhsa_user_sgpr_count 6
		.amdhsa_user_sgpr_private_segment_buffer 1
		.amdhsa_user_sgpr_dispatch_ptr 0
		.amdhsa_user_sgpr_queue_ptr 0
		.amdhsa_user_sgpr_kernarg_segment_ptr 1
		.amdhsa_user_sgpr_dispatch_id 0
		.amdhsa_user_sgpr_flat_scratch_init 0
		.amdhsa_user_sgpr_kernarg_preload_length 0
		.amdhsa_user_sgpr_kernarg_preload_offset 0
		.amdhsa_user_sgpr_private_segment_size 0
		.amdhsa_uses_dynamic_stack 0
		.amdhsa_system_sgpr_private_segment_wavefront_offset 0
		.amdhsa_system_sgpr_workgroup_id_x 1
		.amdhsa_system_sgpr_workgroup_id_y 0
		.amdhsa_system_sgpr_workgroup_id_z 0
		.amdhsa_system_sgpr_workgroup_info 0
		.amdhsa_system_vgpr_workitem_id 0
		.amdhsa_next_free_vgpr 1
		.amdhsa_next_free_sgpr 0
		.amdhsa_accum_offset 4
		.amdhsa_reserve_vcc 0
		.amdhsa_reserve_flat_scratch 0
		.amdhsa_float_round_mode_32 0
		.amdhsa_float_round_mode_16_64 0
		.amdhsa_float_denorm_mode_32 3
		.amdhsa_float_denorm_mode_16_64 3
		.amdhsa_dx10_clamp 1
		.amdhsa_ieee_mode 1
		.amdhsa_fp16_overflow 0
		.amdhsa_tg_split 0
		.amdhsa_exception_fp_ieee_invalid_op 0
		.amdhsa_exception_fp_denorm_src 0
		.amdhsa_exception_fp_ieee_div_zero 0
		.amdhsa_exception_fp_ieee_overflow 0
		.amdhsa_exception_fp_ieee_underflow 0
		.amdhsa_exception_fp_ieee_inexact 0
		.amdhsa_exception_int_div_zero 0
	.end_amdhsa_kernel
	.section	.text._ZN7rocprim17ROCPRIM_400000_NS6detail17trampoline_kernelINS0_14default_configENS1_38merge_sort_block_merge_config_selectorIjNS0_10empty_typeEEEZZNS1_27merge_sort_block_merge_implIS3_PjPS5_jNS1_19radix_merge_compareILb1ELb1EjNS0_19identity_decomposerEEEEE10hipError_tT0_T1_T2_jT3_P12ihipStream_tbPNSt15iterator_traitsISE_E10value_typeEPNSK_ISF_E10value_typeEPSG_NS1_7vsmem_tEENKUlT_SE_SF_SG_E_clIS8_S8_S9_S9_EESD_ST_SE_SF_SG_EUlST_E0_NS1_11comp_targetILNS1_3genE0ELNS1_11target_archE4294967295ELNS1_3gpuE0ELNS1_3repE0EEENS1_38merge_mergepath_config_static_selectorELNS0_4arch9wavefront6targetE1EEEvSF_,"axG",@progbits,_ZN7rocprim17ROCPRIM_400000_NS6detail17trampoline_kernelINS0_14default_configENS1_38merge_sort_block_merge_config_selectorIjNS0_10empty_typeEEEZZNS1_27merge_sort_block_merge_implIS3_PjPS5_jNS1_19radix_merge_compareILb1ELb1EjNS0_19identity_decomposerEEEEE10hipError_tT0_T1_T2_jT3_P12ihipStream_tbPNSt15iterator_traitsISE_E10value_typeEPNSK_ISF_E10value_typeEPSG_NS1_7vsmem_tEENKUlT_SE_SF_SG_E_clIS8_S8_S9_S9_EESD_ST_SE_SF_SG_EUlST_E0_NS1_11comp_targetILNS1_3genE0ELNS1_11target_archE4294967295ELNS1_3gpuE0ELNS1_3repE0EEENS1_38merge_mergepath_config_static_selectorELNS0_4arch9wavefront6targetE1EEEvSF_,comdat
.Lfunc_end2071:
	.size	_ZN7rocprim17ROCPRIM_400000_NS6detail17trampoline_kernelINS0_14default_configENS1_38merge_sort_block_merge_config_selectorIjNS0_10empty_typeEEEZZNS1_27merge_sort_block_merge_implIS3_PjPS5_jNS1_19radix_merge_compareILb1ELb1EjNS0_19identity_decomposerEEEEE10hipError_tT0_T1_T2_jT3_P12ihipStream_tbPNSt15iterator_traitsISE_E10value_typeEPNSK_ISF_E10value_typeEPSG_NS1_7vsmem_tEENKUlT_SE_SF_SG_E_clIS8_S8_S9_S9_EESD_ST_SE_SF_SG_EUlST_E0_NS1_11comp_targetILNS1_3genE0ELNS1_11target_archE4294967295ELNS1_3gpuE0ELNS1_3repE0EEENS1_38merge_mergepath_config_static_selectorELNS0_4arch9wavefront6targetE1EEEvSF_, .Lfunc_end2071-_ZN7rocprim17ROCPRIM_400000_NS6detail17trampoline_kernelINS0_14default_configENS1_38merge_sort_block_merge_config_selectorIjNS0_10empty_typeEEEZZNS1_27merge_sort_block_merge_implIS3_PjPS5_jNS1_19radix_merge_compareILb1ELb1EjNS0_19identity_decomposerEEEEE10hipError_tT0_T1_T2_jT3_P12ihipStream_tbPNSt15iterator_traitsISE_E10value_typeEPNSK_ISF_E10value_typeEPSG_NS1_7vsmem_tEENKUlT_SE_SF_SG_E_clIS8_S8_S9_S9_EESD_ST_SE_SF_SG_EUlST_E0_NS1_11comp_targetILNS1_3genE0ELNS1_11target_archE4294967295ELNS1_3gpuE0ELNS1_3repE0EEENS1_38merge_mergepath_config_static_selectorELNS0_4arch9wavefront6targetE1EEEvSF_
                                        ; -- End function
	.section	.AMDGPU.csdata,"",@progbits
; Kernel info:
; codeLenInByte = 0
; NumSgprs: 4
; NumVgprs: 0
; NumAgprs: 0
; TotalNumVgprs: 0
; ScratchSize: 0
; MemoryBound: 0
; FloatMode: 240
; IeeeMode: 1
; LDSByteSize: 0 bytes/workgroup (compile time only)
; SGPRBlocks: 0
; VGPRBlocks: 0
; NumSGPRsForWavesPerEU: 4
; NumVGPRsForWavesPerEU: 1
; AccumOffset: 4
; Occupancy: 8
; WaveLimiterHint : 0
; COMPUTE_PGM_RSRC2:SCRATCH_EN: 0
; COMPUTE_PGM_RSRC2:USER_SGPR: 6
; COMPUTE_PGM_RSRC2:TRAP_HANDLER: 0
; COMPUTE_PGM_RSRC2:TGID_X_EN: 1
; COMPUTE_PGM_RSRC2:TGID_Y_EN: 0
; COMPUTE_PGM_RSRC2:TGID_Z_EN: 0
; COMPUTE_PGM_RSRC2:TIDIG_COMP_CNT: 0
; COMPUTE_PGM_RSRC3_GFX90A:ACCUM_OFFSET: 0
; COMPUTE_PGM_RSRC3_GFX90A:TG_SPLIT: 0
	.section	.text._ZN7rocprim17ROCPRIM_400000_NS6detail17trampoline_kernelINS0_14default_configENS1_38merge_sort_block_merge_config_selectorIjNS0_10empty_typeEEEZZNS1_27merge_sort_block_merge_implIS3_PjPS5_jNS1_19radix_merge_compareILb1ELb1EjNS0_19identity_decomposerEEEEE10hipError_tT0_T1_T2_jT3_P12ihipStream_tbPNSt15iterator_traitsISE_E10value_typeEPNSK_ISF_E10value_typeEPSG_NS1_7vsmem_tEENKUlT_SE_SF_SG_E_clIS8_S8_S9_S9_EESD_ST_SE_SF_SG_EUlST_E0_NS1_11comp_targetILNS1_3genE10ELNS1_11target_archE1201ELNS1_3gpuE5ELNS1_3repE0EEENS1_38merge_mergepath_config_static_selectorELNS0_4arch9wavefront6targetE1EEEvSF_,"axG",@progbits,_ZN7rocprim17ROCPRIM_400000_NS6detail17trampoline_kernelINS0_14default_configENS1_38merge_sort_block_merge_config_selectorIjNS0_10empty_typeEEEZZNS1_27merge_sort_block_merge_implIS3_PjPS5_jNS1_19radix_merge_compareILb1ELb1EjNS0_19identity_decomposerEEEEE10hipError_tT0_T1_T2_jT3_P12ihipStream_tbPNSt15iterator_traitsISE_E10value_typeEPNSK_ISF_E10value_typeEPSG_NS1_7vsmem_tEENKUlT_SE_SF_SG_E_clIS8_S8_S9_S9_EESD_ST_SE_SF_SG_EUlST_E0_NS1_11comp_targetILNS1_3genE10ELNS1_11target_archE1201ELNS1_3gpuE5ELNS1_3repE0EEENS1_38merge_mergepath_config_static_selectorELNS0_4arch9wavefront6targetE1EEEvSF_,comdat
	.protected	_ZN7rocprim17ROCPRIM_400000_NS6detail17trampoline_kernelINS0_14default_configENS1_38merge_sort_block_merge_config_selectorIjNS0_10empty_typeEEEZZNS1_27merge_sort_block_merge_implIS3_PjPS5_jNS1_19radix_merge_compareILb1ELb1EjNS0_19identity_decomposerEEEEE10hipError_tT0_T1_T2_jT3_P12ihipStream_tbPNSt15iterator_traitsISE_E10value_typeEPNSK_ISF_E10value_typeEPSG_NS1_7vsmem_tEENKUlT_SE_SF_SG_E_clIS8_S8_S9_S9_EESD_ST_SE_SF_SG_EUlST_E0_NS1_11comp_targetILNS1_3genE10ELNS1_11target_archE1201ELNS1_3gpuE5ELNS1_3repE0EEENS1_38merge_mergepath_config_static_selectorELNS0_4arch9wavefront6targetE1EEEvSF_ ; -- Begin function _ZN7rocprim17ROCPRIM_400000_NS6detail17trampoline_kernelINS0_14default_configENS1_38merge_sort_block_merge_config_selectorIjNS0_10empty_typeEEEZZNS1_27merge_sort_block_merge_implIS3_PjPS5_jNS1_19radix_merge_compareILb1ELb1EjNS0_19identity_decomposerEEEEE10hipError_tT0_T1_T2_jT3_P12ihipStream_tbPNSt15iterator_traitsISE_E10value_typeEPNSK_ISF_E10value_typeEPSG_NS1_7vsmem_tEENKUlT_SE_SF_SG_E_clIS8_S8_S9_S9_EESD_ST_SE_SF_SG_EUlST_E0_NS1_11comp_targetILNS1_3genE10ELNS1_11target_archE1201ELNS1_3gpuE5ELNS1_3repE0EEENS1_38merge_mergepath_config_static_selectorELNS0_4arch9wavefront6targetE1EEEvSF_
	.globl	_ZN7rocprim17ROCPRIM_400000_NS6detail17trampoline_kernelINS0_14default_configENS1_38merge_sort_block_merge_config_selectorIjNS0_10empty_typeEEEZZNS1_27merge_sort_block_merge_implIS3_PjPS5_jNS1_19radix_merge_compareILb1ELb1EjNS0_19identity_decomposerEEEEE10hipError_tT0_T1_T2_jT3_P12ihipStream_tbPNSt15iterator_traitsISE_E10value_typeEPNSK_ISF_E10value_typeEPSG_NS1_7vsmem_tEENKUlT_SE_SF_SG_E_clIS8_S8_S9_S9_EESD_ST_SE_SF_SG_EUlST_E0_NS1_11comp_targetILNS1_3genE10ELNS1_11target_archE1201ELNS1_3gpuE5ELNS1_3repE0EEENS1_38merge_mergepath_config_static_selectorELNS0_4arch9wavefront6targetE1EEEvSF_
	.p2align	8
	.type	_ZN7rocprim17ROCPRIM_400000_NS6detail17trampoline_kernelINS0_14default_configENS1_38merge_sort_block_merge_config_selectorIjNS0_10empty_typeEEEZZNS1_27merge_sort_block_merge_implIS3_PjPS5_jNS1_19radix_merge_compareILb1ELb1EjNS0_19identity_decomposerEEEEE10hipError_tT0_T1_T2_jT3_P12ihipStream_tbPNSt15iterator_traitsISE_E10value_typeEPNSK_ISF_E10value_typeEPSG_NS1_7vsmem_tEENKUlT_SE_SF_SG_E_clIS8_S8_S9_S9_EESD_ST_SE_SF_SG_EUlST_E0_NS1_11comp_targetILNS1_3genE10ELNS1_11target_archE1201ELNS1_3gpuE5ELNS1_3repE0EEENS1_38merge_mergepath_config_static_selectorELNS0_4arch9wavefront6targetE1EEEvSF_,@function
_ZN7rocprim17ROCPRIM_400000_NS6detail17trampoline_kernelINS0_14default_configENS1_38merge_sort_block_merge_config_selectorIjNS0_10empty_typeEEEZZNS1_27merge_sort_block_merge_implIS3_PjPS5_jNS1_19radix_merge_compareILb1ELb1EjNS0_19identity_decomposerEEEEE10hipError_tT0_T1_T2_jT3_P12ihipStream_tbPNSt15iterator_traitsISE_E10value_typeEPNSK_ISF_E10value_typeEPSG_NS1_7vsmem_tEENKUlT_SE_SF_SG_E_clIS8_S8_S9_S9_EESD_ST_SE_SF_SG_EUlST_E0_NS1_11comp_targetILNS1_3genE10ELNS1_11target_archE1201ELNS1_3gpuE5ELNS1_3repE0EEENS1_38merge_mergepath_config_static_selectorELNS0_4arch9wavefront6targetE1EEEvSF_: ; @_ZN7rocprim17ROCPRIM_400000_NS6detail17trampoline_kernelINS0_14default_configENS1_38merge_sort_block_merge_config_selectorIjNS0_10empty_typeEEEZZNS1_27merge_sort_block_merge_implIS3_PjPS5_jNS1_19radix_merge_compareILb1ELb1EjNS0_19identity_decomposerEEEEE10hipError_tT0_T1_T2_jT3_P12ihipStream_tbPNSt15iterator_traitsISE_E10value_typeEPNSK_ISF_E10value_typeEPSG_NS1_7vsmem_tEENKUlT_SE_SF_SG_E_clIS8_S8_S9_S9_EESD_ST_SE_SF_SG_EUlST_E0_NS1_11comp_targetILNS1_3genE10ELNS1_11target_archE1201ELNS1_3gpuE5ELNS1_3repE0EEENS1_38merge_mergepath_config_static_selectorELNS0_4arch9wavefront6targetE1EEEvSF_
; %bb.0:
	.section	.rodata,"a",@progbits
	.p2align	6, 0x0
	.amdhsa_kernel _ZN7rocprim17ROCPRIM_400000_NS6detail17trampoline_kernelINS0_14default_configENS1_38merge_sort_block_merge_config_selectorIjNS0_10empty_typeEEEZZNS1_27merge_sort_block_merge_implIS3_PjPS5_jNS1_19radix_merge_compareILb1ELb1EjNS0_19identity_decomposerEEEEE10hipError_tT0_T1_T2_jT3_P12ihipStream_tbPNSt15iterator_traitsISE_E10value_typeEPNSK_ISF_E10value_typeEPSG_NS1_7vsmem_tEENKUlT_SE_SF_SG_E_clIS8_S8_S9_S9_EESD_ST_SE_SF_SG_EUlST_E0_NS1_11comp_targetILNS1_3genE10ELNS1_11target_archE1201ELNS1_3gpuE5ELNS1_3repE0EEENS1_38merge_mergepath_config_static_selectorELNS0_4arch9wavefront6targetE1EEEvSF_
		.amdhsa_group_segment_fixed_size 0
		.amdhsa_private_segment_fixed_size 0
		.amdhsa_kernarg_size 64
		.amdhsa_user_sgpr_count 6
		.amdhsa_user_sgpr_private_segment_buffer 1
		.amdhsa_user_sgpr_dispatch_ptr 0
		.amdhsa_user_sgpr_queue_ptr 0
		.amdhsa_user_sgpr_kernarg_segment_ptr 1
		.amdhsa_user_sgpr_dispatch_id 0
		.amdhsa_user_sgpr_flat_scratch_init 0
		.amdhsa_user_sgpr_kernarg_preload_length 0
		.amdhsa_user_sgpr_kernarg_preload_offset 0
		.amdhsa_user_sgpr_private_segment_size 0
		.amdhsa_uses_dynamic_stack 0
		.amdhsa_system_sgpr_private_segment_wavefront_offset 0
		.amdhsa_system_sgpr_workgroup_id_x 1
		.amdhsa_system_sgpr_workgroup_id_y 0
		.amdhsa_system_sgpr_workgroup_id_z 0
		.amdhsa_system_sgpr_workgroup_info 0
		.amdhsa_system_vgpr_workitem_id 0
		.amdhsa_next_free_vgpr 1
		.amdhsa_next_free_sgpr 0
		.amdhsa_accum_offset 4
		.amdhsa_reserve_vcc 0
		.amdhsa_reserve_flat_scratch 0
		.amdhsa_float_round_mode_32 0
		.amdhsa_float_round_mode_16_64 0
		.amdhsa_float_denorm_mode_32 3
		.amdhsa_float_denorm_mode_16_64 3
		.amdhsa_dx10_clamp 1
		.amdhsa_ieee_mode 1
		.amdhsa_fp16_overflow 0
		.amdhsa_tg_split 0
		.amdhsa_exception_fp_ieee_invalid_op 0
		.amdhsa_exception_fp_denorm_src 0
		.amdhsa_exception_fp_ieee_div_zero 0
		.amdhsa_exception_fp_ieee_overflow 0
		.amdhsa_exception_fp_ieee_underflow 0
		.amdhsa_exception_fp_ieee_inexact 0
		.amdhsa_exception_int_div_zero 0
	.end_amdhsa_kernel
	.section	.text._ZN7rocprim17ROCPRIM_400000_NS6detail17trampoline_kernelINS0_14default_configENS1_38merge_sort_block_merge_config_selectorIjNS0_10empty_typeEEEZZNS1_27merge_sort_block_merge_implIS3_PjPS5_jNS1_19radix_merge_compareILb1ELb1EjNS0_19identity_decomposerEEEEE10hipError_tT0_T1_T2_jT3_P12ihipStream_tbPNSt15iterator_traitsISE_E10value_typeEPNSK_ISF_E10value_typeEPSG_NS1_7vsmem_tEENKUlT_SE_SF_SG_E_clIS8_S8_S9_S9_EESD_ST_SE_SF_SG_EUlST_E0_NS1_11comp_targetILNS1_3genE10ELNS1_11target_archE1201ELNS1_3gpuE5ELNS1_3repE0EEENS1_38merge_mergepath_config_static_selectorELNS0_4arch9wavefront6targetE1EEEvSF_,"axG",@progbits,_ZN7rocprim17ROCPRIM_400000_NS6detail17trampoline_kernelINS0_14default_configENS1_38merge_sort_block_merge_config_selectorIjNS0_10empty_typeEEEZZNS1_27merge_sort_block_merge_implIS3_PjPS5_jNS1_19radix_merge_compareILb1ELb1EjNS0_19identity_decomposerEEEEE10hipError_tT0_T1_T2_jT3_P12ihipStream_tbPNSt15iterator_traitsISE_E10value_typeEPNSK_ISF_E10value_typeEPSG_NS1_7vsmem_tEENKUlT_SE_SF_SG_E_clIS8_S8_S9_S9_EESD_ST_SE_SF_SG_EUlST_E0_NS1_11comp_targetILNS1_3genE10ELNS1_11target_archE1201ELNS1_3gpuE5ELNS1_3repE0EEENS1_38merge_mergepath_config_static_selectorELNS0_4arch9wavefront6targetE1EEEvSF_,comdat
.Lfunc_end2072:
	.size	_ZN7rocprim17ROCPRIM_400000_NS6detail17trampoline_kernelINS0_14default_configENS1_38merge_sort_block_merge_config_selectorIjNS0_10empty_typeEEEZZNS1_27merge_sort_block_merge_implIS3_PjPS5_jNS1_19radix_merge_compareILb1ELb1EjNS0_19identity_decomposerEEEEE10hipError_tT0_T1_T2_jT3_P12ihipStream_tbPNSt15iterator_traitsISE_E10value_typeEPNSK_ISF_E10value_typeEPSG_NS1_7vsmem_tEENKUlT_SE_SF_SG_E_clIS8_S8_S9_S9_EESD_ST_SE_SF_SG_EUlST_E0_NS1_11comp_targetILNS1_3genE10ELNS1_11target_archE1201ELNS1_3gpuE5ELNS1_3repE0EEENS1_38merge_mergepath_config_static_selectorELNS0_4arch9wavefront6targetE1EEEvSF_, .Lfunc_end2072-_ZN7rocprim17ROCPRIM_400000_NS6detail17trampoline_kernelINS0_14default_configENS1_38merge_sort_block_merge_config_selectorIjNS0_10empty_typeEEEZZNS1_27merge_sort_block_merge_implIS3_PjPS5_jNS1_19radix_merge_compareILb1ELb1EjNS0_19identity_decomposerEEEEE10hipError_tT0_T1_T2_jT3_P12ihipStream_tbPNSt15iterator_traitsISE_E10value_typeEPNSK_ISF_E10value_typeEPSG_NS1_7vsmem_tEENKUlT_SE_SF_SG_E_clIS8_S8_S9_S9_EESD_ST_SE_SF_SG_EUlST_E0_NS1_11comp_targetILNS1_3genE10ELNS1_11target_archE1201ELNS1_3gpuE5ELNS1_3repE0EEENS1_38merge_mergepath_config_static_selectorELNS0_4arch9wavefront6targetE1EEEvSF_
                                        ; -- End function
	.section	.AMDGPU.csdata,"",@progbits
; Kernel info:
; codeLenInByte = 0
; NumSgprs: 4
; NumVgprs: 0
; NumAgprs: 0
; TotalNumVgprs: 0
; ScratchSize: 0
; MemoryBound: 0
; FloatMode: 240
; IeeeMode: 1
; LDSByteSize: 0 bytes/workgroup (compile time only)
; SGPRBlocks: 0
; VGPRBlocks: 0
; NumSGPRsForWavesPerEU: 4
; NumVGPRsForWavesPerEU: 1
; AccumOffset: 4
; Occupancy: 8
; WaveLimiterHint : 0
; COMPUTE_PGM_RSRC2:SCRATCH_EN: 0
; COMPUTE_PGM_RSRC2:USER_SGPR: 6
; COMPUTE_PGM_RSRC2:TRAP_HANDLER: 0
; COMPUTE_PGM_RSRC2:TGID_X_EN: 1
; COMPUTE_PGM_RSRC2:TGID_Y_EN: 0
; COMPUTE_PGM_RSRC2:TGID_Z_EN: 0
; COMPUTE_PGM_RSRC2:TIDIG_COMP_CNT: 0
; COMPUTE_PGM_RSRC3_GFX90A:ACCUM_OFFSET: 0
; COMPUTE_PGM_RSRC3_GFX90A:TG_SPLIT: 0
	.section	.text._ZN7rocprim17ROCPRIM_400000_NS6detail17trampoline_kernelINS0_14default_configENS1_38merge_sort_block_merge_config_selectorIjNS0_10empty_typeEEEZZNS1_27merge_sort_block_merge_implIS3_PjPS5_jNS1_19radix_merge_compareILb1ELb1EjNS0_19identity_decomposerEEEEE10hipError_tT0_T1_T2_jT3_P12ihipStream_tbPNSt15iterator_traitsISE_E10value_typeEPNSK_ISF_E10value_typeEPSG_NS1_7vsmem_tEENKUlT_SE_SF_SG_E_clIS8_S8_S9_S9_EESD_ST_SE_SF_SG_EUlST_E0_NS1_11comp_targetILNS1_3genE5ELNS1_11target_archE942ELNS1_3gpuE9ELNS1_3repE0EEENS1_38merge_mergepath_config_static_selectorELNS0_4arch9wavefront6targetE1EEEvSF_,"axG",@progbits,_ZN7rocprim17ROCPRIM_400000_NS6detail17trampoline_kernelINS0_14default_configENS1_38merge_sort_block_merge_config_selectorIjNS0_10empty_typeEEEZZNS1_27merge_sort_block_merge_implIS3_PjPS5_jNS1_19radix_merge_compareILb1ELb1EjNS0_19identity_decomposerEEEEE10hipError_tT0_T1_T2_jT3_P12ihipStream_tbPNSt15iterator_traitsISE_E10value_typeEPNSK_ISF_E10value_typeEPSG_NS1_7vsmem_tEENKUlT_SE_SF_SG_E_clIS8_S8_S9_S9_EESD_ST_SE_SF_SG_EUlST_E0_NS1_11comp_targetILNS1_3genE5ELNS1_11target_archE942ELNS1_3gpuE9ELNS1_3repE0EEENS1_38merge_mergepath_config_static_selectorELNS0_4arch9wavefront6targetE1EEEvSF_,comdat
	.protected	_ZN7rocprim17ROCPRIM_400000_NS6detail17trampoline_kernelINS0_14default_configENS1_38merge_sort_block_merge_config_selectorIjNS0_10empty_typeEEEZZNS1_27merge_sort_block_merge_implIS3_PjPS5_jNS1_19radix_merge_compareILb1ELb1EjNS0_19identity_decomposerEEEEE10hipError_tT0_T1_T2_jT3_P12ihipStream_tbPNSt15iterator_traitsISE_E10value_typeEPNSK_ISF_E10value_typeEPSG_NS1_7vsmem_tEENKUlT_SE_SF_SG_E_clIS8_S8_S9_S9_EESD_ST_SE_SF_SG_EUlST_E0_NS1_11comp_targetILNS1_3genE5ELNS1_11target_archE942ELNS1_3gpuE9ELNS1_3repE0EEENS1_38merge_mergepath_config_static_selectorELNS0_4arch9wavefront6targetE1EEEvSF_ ; -- Begin function _ZN7rocprim17ROCPRIM_400000_NS6detail17trampoline_kernelINS0_14default_configENS1_38merge_sort_block_merge_config_selectorIjNS0_10empty_typeEEEZZNS1_27merge_sort_block_merge_implIS3_PjPS5_jNS1_19radix_merge_compareILb1ELb1EjNS0_19identity_decomposerEEEEE10hipError_tT0_T1_T2_jT3_P12ihipStream_tbPNSt15iterator_traitsISE_E10value_typeEPNSK_ISF_E10value_typeEPSG_NS1_7vsmem_tEENKUlT_SE_SF_SG_E_clIS8_S8_S9_S9_EESD_ST_SE_SF_SG_EUlST_E0_NS1_11comp_targetILNS1_3genE5ELNS1_11target_archE942ELNS1_3gpuE9ELNS1_3repE0EEENS1_38merge_mergepath_config_static_selectorELNS0_4arch9wavefront6targetE1EEEvSF_
	.globl	_ZN7rocprim17ROCPRIM_400000_NS6detail17trampoline_kernelINS0_14default_configENS1_38merge_sort_block_merge_config_selectorIjNS0_10empty_typeEEEZZNS1_27merge_sort_block_merge_implIS3_PjPS5_jNS1_19radix_merge_compareILb1ELb1EjNS0_19identity_decomposerEEEEE10hipError_tT0_T1_T2_jT3_P12ihipStream_tbPNSt15iterator_traitsISE_E10value_typeEPNSK_ISF_E10value_typeEPSG_NS1_7vsmem_tEENKUlT_SE_SF_SG_E_clIS8_S8_S9_S9_EESD_ST_SE_SF_SG_EUlST_E0_NS1_11comp_targetILNS1_3genE5ELNS1_11target_archE942ELNS1_3gpuE9ELNS1_3repE0EEENS1_38merge_mergepath_config_static_selectorELNS0_4arch9wavefront6targetE1EEEvSF_
	.p2align	8
	.type	_ZN7rocprim17ROCPRIM_400000_NS6detail17trampoline_kernelINS0_14default_configENS1_38merge_sort_block_merge_config_selectorIjNS0_10empty_typeEEEZZNS1_27merge_sort_block_merge_implIS3_PjPS5_jNS1_19radix_merge_compareILb1ELb1EjNS0_19identity_decomposerEEEEE10hipError_tT0_T1_T2_jT3_P12ihipStream_tbPNSt15iterator_traitsISE_E10value_typeEPNSK_ISF_E10value_typeEPSG_NS1_7vsmem_tEENKUlT_SE_SF_SG_E_clIS8_S8_S9_S9_EESD_ST_SE_SF_SG_EUlST_E0_NS1_11comp_targetILNS1_3genE5ELNS1_11target_archE942ELNS1_3gpuE9ELNS1_3repE0EEENS1_38merge_mergepath_config_static_selectorELNS0_4arch9wavefront6targetE1EEEvSF_,@function
_ZN7rocprim17ROCPRIM_400000_NS6detail17trampoline_kernelINS0_14default_configENS1_38merge_sort_block_merge_config_selectorIjNS0_10empty_typeEEEZZNS1_27merge_sort_block_merge_implIS3_PjPS5_jNS1_19radix_merge_compareILb1ELb1EjNS0_19identity_decomposerEEEEE10hipError_tT0_T1_T2_jT3_P12ihipStream_tbPNSt15iterator_traitsISE_E10value_typeEPNSK_ISF_E10value_typeEPSG_NS1_7vsmem_tEENKUlT_SE_SF_SG_E_clIS8_S8_S9_S9_EESD_ST_SE_SF_SG_EUlST_E0_NS1_11comp_targetILNS1_3genE5ELNS1_11target_archE942ELNS1_3gpuE9ELNS1_3repE0EEENS1_38merge_mergepath_config_static_selectorELNS0_4arch9wavefront6targetE1EEEvSF_: ; @_ZN7rocprim17ROCPRIM_400000_NS6detail17trampoline_kernelINS0_14default_configENS1_38merge_sort_block_merge_config_selectorIjNS0_10empty_typeEEEZZNS1_27merge_sort_block_merge_implIS3_PjPS5_jNS1_19radix_merge_compareILb1ELb1EjNS0_19identity_decomposerEEEEE10hipError_tT0_T1_T2_jT3_P12ihipStream_tbPNSt15iterator_traitsISE_E10value_typeEPNSK_ISF_E10value_typeEPSG_NS1_7vsmem_tEENKUlT_SE_SF_SG_E_clIS8_S8_S9_S9_EESD_ST_SE_SF_SG_EUlST_E0_NS1_11comp_targetILNS1_3genE5ELNS1_11target_archE942ELNS1_3gpuE9ELNS1_3repE0EEENS1_38merge_mergepath_config_static_selectorELNS0_4arch9wavefront6targetE1EEEvSF_
; %bb.0:
	.section	.rodata,"a",@progbits
	.p2align	6, 0x0
	.amdhsa_kernel _ZN7rocprim17ROCPRIM_400000_NS6detail17trampoline_kernelINS0_14default_configENS1_38merge_sort_block_merge_config_selectorIjNS0_10empty_typeEEEZZNS1_27merge_sort_block_merge_implIS3_PjPS5_jNS1_19radix_merge_compareILb1ELb1EjNS0_19identity_decomposerEEEEE10hipError_tT0_T1_T2_jT3_P12ihipStream_tbPNSt15iterator_traitsISE_E10value_typeEPNSK_ISF_E10value_typeEPSG_NS1_7vsmem_tEENKUlT_SE_SF_SG_E_clIS8_S8_S9_S9_EESD_ST_SE_SF_SG_EUlST_E0_NS1_11comp_targetILNS1_3genE5ELNS1_11target_archE942ELNS1_3gpuE9ELNS1_3repE0EEENS1_38merge_mergepath_config_static_selectorELNS0_4arch9wavefront6targetE1EEEvSF_
		.amdhsa_group_segment_fixed_size 0
		.amdhsa_private_segment_fixed_size 0
		.amdhsa_kernarg_size 64
		.amdhsa_user_sgpr_count 6
		.amdhsa_user_sgpr_private_segment_buffer 1
		.amdhsa_user_sgpr_dispatch_ptr 0
		.amdhsa_user_sgpr_queue_ptr 0
		.amdhsa_user_sgpr_kernarg_segment_ptr 1
		.amdhsa_user_sgpr_dispatch_id 0
		.amdhsa_user_sgpr_flat_scratch_init 0
		.amdhsa_user_sgpr_kernarg_preload_length 0
		.amdhsa_user_sgpr_kernarg_preload_offset 0
		.amdhsa_user_sgpr_private_segment_size 0
		.amdhsa_uses_dynamic_stack 0
		.amdhsa_system_sgpr_private_segment_wavefront_offset 0
		.amdhsa_system_sgpr_workgroup_id_x 1
		.amdhsa_system_sgpr_workgroup_id_y 0
		.amdhsa_system_sgpr_workgroup_id_z 0
		.amdhsa_system_sgpr_workgroup_info 0
		.amdhsa_system_vgpr_workitem_id 0
		.amdhsa_next_free_vgpr 1
		.amdhsa_next_free_sgpr 0
		.amdhsa_accum_offset 4
		.amdhsa_reserve_vcc 0
		.amdhsa_reserve_flat_scratch 0
		.amdhsa_float_round_mode_32 0
		.amdhsa_float_round_mode_16_64 0
		.amdhsa_float_denorm_mode_32 3
		.amdhsa_float_denorm_mode_16_64 3
		.amdhsa_dx10_clamp 1
		.amdhsa_ieee_mode 1
		.amdhsa_fp16_overflow 0
		.amdhsa_tg_split 0
		.amdhsa_exception_fp_ieee_invalid_op 0
		.amdhsa_exception_fp_denorm_src 0
		.amdhsa_exception_fp_ieee_div_zero 0
		.amdhsa_exception_fp_ieee_overflow 0
		.amdhsa_exception_fp_ieee_underflow 0
		.amdhsa_exception_fp_ieee_inexact 0
		.amdhsa_exception_int_div_zero 0
	.end_amdhsa_kernel
	.section	.text._ZN7rocprim17ROCPRIM_400000_NS6detail17trampoline_kernelINS0_14default_configENS1_38merge_sort_block_merge_config_selectorIjNS0_10empty_typeEEEZZNS1_27merge_sort_block_merge_implIS3_PjPS5_jNS1_19radix_merge_compareILb1ELb1EjNS0_19identity_decomposerEEEEE10hipError_tT0_T1_T2_jT3_P12ihipStream_tbPNSt15iterator_traitsISE_E10value_typeEPNSK_ISF_E10value_typeEPSG_NS1_7vsmem_tEENKUlT_SE_SF_SG_E_clIS8_S8_S9_S9_EESD_ST_SE_SF_SG_EUlST_E0_NS1_11comp_targetILNS1_3genE5ELNS1_11target_archE942ELNS1_3gpuE9ELNS1_3repE0EEENS1_38merge_mergepath_config_static_selectorELNS0_4arch9wavefront6targetE1EEEvSF_,"axG",@progbits,_ZN7rocprim17ROCPRIM_400000_NS6detail17trampoline_kernelINS0_14default_configENS1_38merge_sort_block_merge_config_selectorIjNS0_10empty_typeEEEZZNS1_27merge_sort_block_merge_implIS3_PjPS5_jNS1_19radix_merge_compareILb1ELb1EjNS0_19identity_decomposerEEEEE10hipError_tT0_T1_T2_jT3_P12ihipStream_tbPNSt15iterator_traitsISE_E10value_typeEPNSK_ISF_E10value_typeEPSG_NS1_7vsmem_tEENKUlT_SE_SF_SG_E_clIS8_S8_S9_S9_EESD_ST_SE_SF_SG_EUlST_E0_NS1_11comp_targetILNS1_3genE5ELNS1_11target_archE942ELNS1_3gpuE9ELNS1_3repE0EEENS1_38merge_mergepath_config_static_selectorELNS0_4arch9wavefront6targetE1EEEvSF_,comdat
.Lfunc_end2073:
	.size	_ZN7rocprim17ROCPRIM_400000_NS6detail17trampoline_kernelINS0_14default_configENS1_38merge_sort_block_merge_config_selectorIjNS0_10empty_typeEEEZZNS1_27merge_sort_block_merge_implIS3_PjPS5_jNS1_19radix_merge_compareILb1ELb1EjNS0_19identity_decomposerEEEEE10hipError_tT0_T1_T2_jT3_P12ihipStream_tbPNSt15iterator_traitsISE_E10value_typeEPNSK_ISF_E10value_typeEPSG_NS1_7vsmem_tEENKUlT_SE_SF_SG_E_clIS8_S8_S9_S9_EESD_ST_SE_SF_SG_EUlST_E0_NS1_11comp_targetILNS1_3genE5ELNS1_11target_archE942ELNS1_3gpuE9ELNS1_3repE0EEENS1_38merge_mergepath_config_static_selectorELNS0_4arch9wavefront6targetE1EEEvSF_, .Lfunc_end2073-_ZN7rocprim17ROCPRIM_400000_NS6detail17trampoline_kernelINS0_14default_configENS1_38merge_sort_block_merge_config_selectorIjNS0_10empty_typeEEEZZNS1_27merge_sort_block_merge_implIS3_PjPS5_jNS1_19radix_merge_compareILb1ELb1EjNS0_19identity_decomposerEEEEE10hipError_tT0_T1_T2_jT3_P12ihipStream_tbPNSt15iterator_traitsISE_E10value_typeEPNSK_ISF_E10value_typeEPSG_NS1_7vsmem_tEENKUlT_SE_SF_SG_E_clIS8_S8_S9_S9_EESD_ST_SE_SF_SG_EUlST_E0_NS1_11comp_targetILNS1_3genE5ELNS1_11target_archE942ELNS1_3gpuE9ELNS1_3repE0EEENS1_38merge_mergepath_config_static_selectorELNS0_4arch9wavefront6targetE1EEEvSF_
                                        ; -- End function
	.section	.AMDGPU.csdata,"",@progbits
; Kernel info:
; codeLenInByte = 0
; NumSgprs: 4
; NumVgprs: 0
; NumAgprs: 0
; TotalNumVgprs: 0
; ScratchSize: 0
; MemoryBound: 0
; FloatMode: 240
; IeeeMode: 1
; LDSByteSize: 0 bytes/workgroup (compile time only)
; SGPRBlocks: 0
; VGPRBlocks: 0
; NumSGPRsForWavesPerEU: 4
; NumVGPRsForWavesPerEU: 1
; AccumOffset: 4
; Occupancy: 8
; WaveLimiterHint : 0
; COMPUTE_PGM_RSRC2:SCRATCH_EN: 0
; COMPUTE_PGM_RSRC2:USER_SGPR: 6
; COMPUTE_PGM_RSRC2:TRAP_HANDLER: 0
; COMPUTE_PGM_RSRC2:TGID_X_EN: 1
; COMPUTE_PGM_RSRC2:TGID_Y_EN: 0
; COMPUTE_PGM_RSRC2:TGID_Z_EN: 0
; COMPUTE_PGM_RSRC2:TIDIG_COMP_CNT: 0
; COMPUTE_PGM_RSRC3_GFX90A:ACCUM_OFFSET: 0
; COMPUTE_PGM_RSRC3_GFX90A:TG_SPLIT: 0
	.section	.text._ZN7rocprim17ROCPRIM_400000_NS6detail17trampoline_kernelINS0_14default_configENS1_38merge_sort_block_merge_config_selectorIjNS0_10empty_typeEEEZZNS1_27merge_sort_block_merge_implIS3_PjPS5_jNS1_19radix_merge_compareILb1ELb1EjNS0_19identity_decomposerEEEEE10hipError_tT0_T1_T2_jT3_P12ihipStream_tbPNSt15iterator_traitsISE_E10value_typeEPNSK_ISF_E10value_typeEPSG_NS1_7vsmem_tEENKUlT_SE_SF_SG_E_clIS8_S8_S9_S9_EESD_ST_SE_SF_SG_EUlST_E0_NS1_11comp_targetILNS1_3genE4ELNS1_11target_archE910ELNS1_3gpuE8ELNS1_3repE0EEENS1_38merge_mergepath_config_static_selectorELNS0_4arch9wavefront6targetE1EEEvSF_,"axG",@progbits,_ZN7rocprim17ROCPRIM_400000_NS6detail17trampoline_kernelINS0_14default_configENS1_38merge_sort_block_merge_config_selectorIjNS0_10empty_typeEEEZZNS1_27merge_sort_block_merge_implIS3_PjPS5_jNS1_19radix_merge_compareILb1ELb1EjNS0_19identity_decomposerEEEEE10hipError_tT0_T1_T2_jT3_P12ihipStream_tbPNSt15iterator_traitsISE_E10value_typeEPNSK_ISF_E10value_typeEPSG_NS1_7vsmem_tEENKUlT_SE_SF_SG_E_clIS8_S8_S9_S9_EESD_ST_SE_SF_SG_EUlST_E0_NS1_11comp_targetILNS1_3genE4ELNS1_11target_archE910ELNS1_3gpuE8ELNS1_3repE0EEENS1_38merge_mergepath_config_static_selectorELNS0_4arch9wavefront6targetE1EEEvSF_,comdat
	.protected	_ZN7rocprim17ROCPRIM_400000_NS6detail17trampoline_kernelINS0_14default_configENS1_38merge_sort_block_merge_config_selectorIjNS0_10empty_typeEEEZZNS1_27merge_sort_block_merge_implIS3_PjPS5_jNS1_19radix_merge_compareILb1ELb1EjNS0_19identity_decomposerEEEEE10hipError_tT0_T1_T2_jT3_P12ihipStream_tbPNSt15iterator_traitsISE_E10value_typeEPNSK_ISF_E10value_typeEPSG_NS1_7vsmem_tEENKUlT_SE_SF_SG_E_clIS8_S8_S9_S9_EESD_ST_SE_SF_SG_EUlST_E0_NS1_11comp_targetILNS1_3genE4ELNS1_11target_archE910ELNS1_3gpuE8ELNS1_3repE0EEENS1_38merge_mergepath_config_static_selectorELNS0_4arch9wavefront6targetE1EEEvSF_ ; -- Begin function _ZN7rocprim17ROCPRIM_400000_NS6detail17trampoline_kernelINS0_14default_configENS1_38merge_sort_block_merge_config_selectorIjNS0_10empty_typeEEEZZNS1_27merge_sort_block_merge_implIS3_PjPS5_jNS1_19radix_merge_compareILb1ELb1EjNS0_19identity_decomposerEEEEE10hipError_tT0_T1_T2_jT3_P12ihipStream_tbPNSt15iterator_traitsISE_E10value_typeEPNSK_ISF_E10value_typeEPSG_NS1_7vsmem_tEENKUlT_SE_SF_SG_E_clIS8_S8_S9_S9_EESD_ST_SE_SF_SG_EUlST_E0_NS1_11comp_targetILNS1_3genE4ELNS1_11target_archE910ELNS1_3gpuE8ELNS1_3repE0EEENS1_38merge_mergepath_config_static_selectorELNS0_4arch9wavefront6targetE1EEEvSF_
	.globl	_ZN7rocprim17ROCPRIM_400000_NS6detail17trampoline_kernelINS0_14default_configENS1_38merge_sort_block_merge_config_selectorIjNS0_10empty_typeEEEZZNS1_27merge_sort_block_merge_implIS3_PjPS5_jNS1_19radix_merge_compareILb1ELb1EjNS0_19identity_decomposerEEEEE10hipError_tT0_T1_T2_jT3_P12ihipStream_tbPNSt15iterator_traitsISE_E10value_typeEPNSK_ISF_E10value_typeEPSG_NS1_7vsmem_tEENKUlT_SE_SF_SG_E_clIS8_S8_S9_S9_EESD_ST_SE_SF_SG_EUlST_E0_NS1_11comp_targetILNS1_3genE4ELNS1_11target_archE910ELNS1_3gpuE8ELNS1_3repE0EEENS1_38merge_mergepath_config_static_selectorELNS0_4arch9wavefront6targetE1EEEvSF_
	.p2align	8
	.type	_ZN7rocprim17ROCPRIM_400000_NS6detail17trampoline_kernelINS0_14default_configENS1_38merge_sort_block_merge_config_selectorIjNS0_10empty_typeEEEZZNS1_27merge_sort_block_merge_implIS3_PjPS5_jNS1_19radix_merge_compareILb1ELb1EjNS0_19identity_decomposerEEEEE10hipError_tT0_T1_T2_jT3_P12ihipStream_tbPNSt15iterator_traitsISE_E10value_typeEPNSK_ISF_E10value_typeEPSG_NS1_7vsmem_tEENKUlT_SE_SF_SG_E_clIS8_S8_S9_S9_EESD_ST_SE_SF_SG_EUlST_E0_NS1_11comp_targetILNS1_3genE4ELNS1_11target_archE910ELNS1_3gpuE8ELNS1_3repE0EEENS1_38merge_mergepath_config_static_selectorELNS0_4arch9wavefront6targetE1EEEvSF_,@function
_ZN7rocprim17ROCPRIM_400000_NS6detail17trampoline_kernelINS0_14default_configENS1_38merge_sort_block_merge_config_selectorIjNS0_10empty_typeEEEZZNS1_27merge_sort_block_merge_implIS3_PjPS5_jNS1_19radix_merge_compareILb1ELb1EjNS0_19identity_decomposerEEEEE10hipError_tT0_T1_T2_jT3_P12ihipStream_tbPNSt15iterator_traitsISE_E10value_typeEPNSK_ISF_E10value_typeEPSG_NS1_7vsmem_tEENKUlT_SE_SF_SG_E_clIS8_S8_S9_S9_EESD_ST_SE_SF_SG_EUlST_E0_NS1_11comp_targetILNS1_3genE4ELNS1_11target_archE910ELNS1_3gpuE8ELNS1_3repE0EEENS1_38merge_mergepath_config_static_selectorELNS0_4arch9wavefront6targetE1EEEvSF_: ; @_ZN7rocprim17ROCPRIM_400000_NS6detail17trampoline_kernelINS0_14default_configENS1_38merge_sort_block_merge_config_selectorIjNS0_10empty_typeEEEZZNS1_27merge_sort_block_merge_implIS3_PjPS5_jNS1_19radix_merge_compareILb1ELb1EjNS0_19identity_decomposerEEEEE10hipError_tT0_T1_T2_jT3_P12ihipStream_tbPNSt15iterator_traitsISE_E10value_typeEPNSK_ISF_E10value_typeEPSG_NS1_7vsmem_tEENKUlT_SE_SF_SG_E_clIS8_S8_S9_S9_EESD_ST_SE_SF_SG_EUlST_E0_NS1_11comp_targetILNS1_3genE4ELNS1_11target_archE910ELNS1_3gpuE8ELNS1_3repE0EEENS1_38merge_mergepath_config_static_selectorELNS0_4arch9wavefront6targetE1EEEvSF_
; %bb.0:
	s_load_dwordx2 s[10:11], s[4:5], 0x40
	s_load_dwordx2 s[16:17], s[4:5], 0x30
	s_add_u32 s0, s4, 64
	s_addc_u32 s1, s5, 0
	s_waitcnt lgkmcnt(0)
	s_mul_i32 s2, s11, s8
	s_add_i32 s2, s2, s7
	s_mul_i32 s2, s2, s10
	s_add_i32 s2, s2, s6
	s_cmp_ge_u32 s2, s16
	s_cbranch_scc1 .LBB2074_43
; %bb.1:
	s_load_dwordx2 s[14:15], s[4:5], 0x28
	s_load_dwordx2 s[8:9], s[4:5], 0x38
	;; [unrolled: 1-line block ×3, first 2 shown]
	s_mov_b32 s3, 0
	s_mov_b32 s23, s3
	s_waitcnt lgkmcnt(0)
	s_lshr_b32 s24, s14, 10
	s_cmp_lg_u32 s2, s24
	s_cselect_b64 s[18:19], -1, 0
	s_lshl_b64 s[12:13], s[2:3], 2
	s_add_u32 s8, s8, s12
	s_addc_u32 s9, s9, s13
	s_lshr_b32 s7, s15, 9
	s_and_b32 s7, s7, 0x7ffffe
	s_load_dwordx2 s[8:9], s[8:9], 0x0
	s_sub_i32 s7, 0, s7
	s_and_b32 s11, s2, s7
	s_lshl_b32 s12, s11, 10
	s_lshl_b32 s16, s2, 10
	s_lshl_b32 s11, s11, 11
	s_sub_i32 s13, s16, s12
	s_add_i32 s11, s11, s15
	s_add_i32 s13, s11, s13
	s_waitcnt lgkmcnt(0)
	s_sub_i32 s22, s13, s8
	s_sub_i32 s13, s13, s9
	;; [unrolled: 1-line block ×3, first 2 shown]
	s_min_u32 s22, s14, s22
	s_addk_i32 s13, 0x400
	s_or_b32 s7, s2, s7
	s_min_u32 s12, s14, s11
	s_add_i32 s11, s11, s15
	s_cmp_eq_u32 s7, -1
	s_cselect_b32 s7, s11, s13
	s_cselect_b32 s9, s12, s9
	s_min_u32 s7, s7, s14
	s_sub_i32 s15, s9, s8
	s_mov_b32 s9, s3
	s_sub_i32 s7, s7, s22
	s_lshl_b64 s[8:9], s[8:9], 2
	s_add_u32 s11, s20, s8
	s_addc_u32 s12, s21, s9
	s_lshl_b64 s[8:9], s[22:23], 2
	s_add_u32 s8, s20, s8
	s_addc_u32 s9, s21, s9
	s_cmp_lt_u32 s6, s10
	v_mov_b32_e32 v15, 0
	s_cselect_b32 s3, 12, 18
	global_load_dword v1, v15, s[0:1] offset:14
	s_add_u32 s0, s0, s3
	s_addc_u32 s1, s1, 0
	global_load_ushort v2, v15, s[0:1]
	s_cmp_eq_u32 s2, s24
	s_waitcnt vmcnt(1)
	v_lshrrev_b32_e32 v3, 16, v1
	v_and_b32_e32 v1, 0xffff, v1
	v_mul_lo_u32 v1, v1, v3
	s_waitcnt vmcnt(0)
	v_mul_lo_u32 v16, v1, v2
	v_add_u32_e32 v12, v16, v0
	v_lshlrev_b32_e32 v1, 2, v0
	v_add_u32_e32 v10, v12, v16
	s_cbranch_scc1 .LBB2074_3
; %bb.2:
	v_mov_b32_e32 v2, s12
	v_add_co_u32_e32 v4, vcc, s11, v1
	v_subrev_u32_e32 v14, s15, v0
	v_addc_co_u32_e32 v5, vcc, 0, v2, vcc
	v_lshlrev_b64 v[2:3], 2, v[14:15]
	v_mov_b32_e32 v6, s9
	v_add_co_u32_e32 v2, vcc, s8, v2
	v_addc_co_u32_e32 v3, vcc, v6, v3, vcc
	v_cmp_gt_u32_e32 vcc, s15, v0
	v_mov_b32_e32 v13, v15
	v_cndmask_b32_e32 v3, v3, v5, vcc
	v_cndmask_b32_e32 v2, v2, v4, vcc
	v_lshlrev_b64 v[4:5], 2, v[12:13]
	global_load_dword v2, v[2:3], off
	v_mov_b32_e32 v3, s12
	v_add_co_u32_e32 v6, vcc, s11, v4
	v_subrev_u32_e32 v14, s15, v12
	v_addc_co_u32_e32 v3, vcc, v3, v5, vcc
	v_lshlrev_b64 v[4:5], 2, v[14:15]
	v_mov_b32_e32 v7, s9
	v_add_co_u32_e32 v4, vcc, s8, v4
	v_addc_co_u32_e32 v5, vcc, v7, v5, vcc
	v_cmp_gt_u32_e32 vcc, s15, v12
	v_cndmask_b32_e32 v5, v5, v3, vcc
	v_cndmask_b32_e32 v4, v4, v6, vcc
	v_mov_b32_e32 v11, v15
	global_load_dword v3, v[4:5], off
	v_lshlrev_b64 v[4:5], 2, v[10:11]
	v_mov_b32_e32 v6, s12
	v_add_co_u32_e32 v7, vcc, s11, v4
	v_subrev_u32_e32 v14, s15, v10
	v_addc_co_u32_e32 v6, vcc, v6, v5, vcc
	v_lshlrev_b64 v[4:5], 2, v[14:15]
	v_mov_b32_e32 v8, s9
	v_add_co_u32_e32 v4, vcc, s8, v4
	v_addc_co_u32_e32 v5, vcc, v8, v5, vcc
	v_cmp_gt_u32_e32 vcc, s15, v10
	v_add_u32_e32 v14, v10, v16
	v_cndmask_b32_e32 v5, v5, v6, vcc
	v_cndmask_b32_e32 v4, v4, v7, vcc
	v_lshlrev_b64 v[6:7], 2, v[14:15]
	global_load_dword v4, v[4:5], off
	v_mov_b32_e32 v5, s12
	v_add_co_u32_e32 v8, vcc, s11, v6
	v_addc_co_u32_e32 v5, vcc, v5, v7, vcc
	v_subrev_u32_e32 v6, s15, v14
	v_mov_b32_e32 v7, v15
	v_lshlrev_b64 v[6:7], 2, v[6:7]
	v_mov_b32_e32 v9, s9
	v_add_co_u32_e32 v6, vcc, s8, v6
	v_addc_co_u32_e32 v7, vcc, v9, v7, vcc
	v_cmp_gt_u32_e32 vcc, s15, v14
	v_cndmask_b32_e32 v7, v7, v5, vcc
	v_cndmask_b32_e32 v6, v6, v8, vcc
	v_add_u32_e32 v14, v14, v16
	global_load_dword v5, v[6:7], off
	v_lshlrev_b64 v[6:7], 2, v[14:15]
	v_mov_b32_e32 v8, s12
	v_add_co_u32_e32 v9, vcc, s11, v6
	v_addc_co_u32_e32 v8, vcc, v8, v7, vcc
	v_subrev_u32_e32 v6, s15, v14
	v_mov_b32_e32 v7, v15
	v_lshlrev_b64 v[6:7], 2, v[6:7]
	v_mov_b32_e32 v11, s9
	v_add_co_u32_e32 v6, vcc, s8, v6
	v_addc_co_u32_e32 v7, vcc, v11, v7, vcc
	v_cmp_gt_u32_e32 vcc, s15, v14
	v_add_u32_e32 v14, v14, v16
	v_cndmask_b32_e32 v7, v7, v8, vcc
	v_cndmask_b32_e32 v6, v6, v9, vcc
	v_lshlrev_b64 v[8:9], 2, v[14:15]
	global_load_dword v6, v[6:7], off
	v_mov_b32_e32 v7, s12
	v_add_co_u32_e32 v11, vcc, s11, v8
	v_addc_co_u32_e32 v7, vcc, v7, v9, vcc
	v_subrev_u32_e32 v8, s15, v14
	v_mov_b32_e32 v9, v15
	v_lshlrev_b64 v[8:9], 2, v[8:9]
	v_mov_b32_e32 v13, s9
	v_add_co_u32_e32 v8, vcc, s8, v8
	v_addc_co_u32_e32 v9, vcc, v13, v9, vcc
	v_cmp_gt_u32_e32 vcc, s15, v14
	v_cndmask_b32_e32 v9, v9, v7, vcc
	v_cndmask_b32_e32 v8, v8, v11, vcc
	v_add_u32_e32 v14, v14, v16
	global_load_dword v7, v[8:9], off
	v_lshlrev_b64 v[8:9], 2, v[14:15]
	v_mov_b32_e32 v11, s12
	v_add_co_u32_e32 v13, vcc, s11, v8
	v_addc_co_u32_e32 v11, vcc, v11, v9, vcc
	v_subrev_u32_e32 v8, s15, v14
	v_mov_b32_e32 v9, v15
	v_lshlrev_b64 v[8:9], 2, v[8:9]
	v_mov_b32_e32 v17, s9
	v_add_co_u32_e32 v8, vcc, s8, v8
	v_addc_co_u32_e32 v9, vcc, v17, v9, vcc
	v_cmp_gt_u32_e32 vcc, s15, v14
	v_add_u32_e32 v14, v14, v16
	v_cndmask_b32_e32 v9, v9, v11, vcc
	v_cndmask_b32_e32 v8, v8, v13, vcc
	v_lshlrev_b64 v[18:19], 2, v[14:15]
	global_load_dword v8, v[8:9], off
	v_mov_b32_e32 v9, s12
	v_add_co_u32_e32 v11, vcc, s11, v18
	v_addc_co_u32_e32 v9, vcc, v9, v19, vcc
	v_cmp_gt_u32_e32 vcc, s15, v14
	v_subrev_u32_e32 v14, s15, v14
	v_lshlrev_b64 v[14:15], 2, v[14:15]
	v_mov_b32_e32 v13, s9
	v_add_co_u32_e64 v14, s[0:1], s8, v14
	v_addc_co_u32_e64 v13, s[0:1], v13, v15, s[0:1]
	v_cndmask_b32_e32 v15, v13, v9, vcc
	v_cndmask_b32_e32 v14, v14, v11, vcc
	global_load_dword v9, v[14:15], off
	s_add_i32 s24, s7, s15
	s_load_dwordx2 s[20:21], s[4:5], 0x10
	s_cbranch_execz .LBB2074_4
	s_branch .LBB2074_19
.LBB2074_3:
                                        ; implicit-def: $vgpr2_vgpr3_vgpr4_vgpr5_vgpr6_vgpr7_vgpr8_vgpr9
                                        ; implicit-def: $sgpr24
	s_load_dwordx2 s[20:21], s[4:5], 0x10
.LBB2074_4:
	s_add_i32 s24, s7, s15
	v_cmp_gt_u32_e32 vcc, s24, v0
                                        ; implicit-def: $vgpr2_vgpr3_vgpr4_vgpr5_vgpr6_vgpr7_vgpr8_vgpr9
	s_and_saveexec_b64 s[0:1], vcc
	s_cbranch_execnz .LBB2074_44
; %bb.5:
	s_or_b64 exec, exec, s[0:1]
	v_cmp_gt_u32_e32 vcc, s24, v12
	s_and_saveexec_b64 s[2:3], vcc
	s_cbranch_execnz .LBB2074_45
.LBB2074_6:
	s_or_b64 exec, exec, s[2:3]
	v_cmp_gt_u32_e32 vcc, s24, v10
	s_and_saveexec_b64 s[0:1], vcc
	s_cbranch_execz .LBB2074_8
.LBB2074_7:
	v_mov_b32_e32 v11, 0
	v_lshlrev_b64 v[12:13], 2, v[10:11]
	s_waitcnt vmcnt(5)
	v_mov_b32_e32 v4, s12
	v_add_co_u32_e32 v14, vcc, s11, v12
	v_addc_co_u32_e32 v4, vcc, v4, v13, vcc
	v_subrev_u32_e32 v12, s15, v10
	v_mov_b32_e32 v13, v11
	v_lshlrev_b64 v[12:13], 2, v[12:13]
	v_mov_b32_e32 v11, s9
	v_add_co_u32_e32 v12, vcc, s8, v12
	v_addc_co_u32_e32 v11, vcc, v11, v13, vcc
	v_cmp_gt_u32_e32 vcc, s15, v10
	v_cndmask_b32_e32 v13, v11, v4, vcc
	v_cndmask_b32_e32 v12, v12, v14, vcc
	global_load_dword v4, v[12:13], off
.LBB2074_8:
	s_or_b64 exec, exec, s[0:1]
	v_add_u32_e32 v10, v10, v16
	v_cmp_gt_u32_e32 vcc, s24, v10
	s_and_saveexec_b64 s[0:1], vcc
	s_cbranch_execz .LBB2074_10
; %bb.9:
	v_mov_b32_e32 v11, 0
	v_lshlrev_b64 v[12:13], 2, v[10:11]
	s_waitcnt vmcnt(4)
	v_mov_b32_e32 v5, s12
	v_add_co_u32_e32 v14, vcc, s11, v12
	v_addc_co_u32_e32 v5, vcc, v5, v13, vcc
	v_subrev_u32_e32 v12, s15, v10
	v_mov_b32_e32 v13, v11
	v_lshlrev_b64 v[12:13], 2, v[12:13]
	v_mov_b32_e32 v11, s9
	v_add_co_u32_e32 v12, vcc, s8, v12
	v_addc_co_u32_e32 v11, vcc, v11, v13, vcc
	v_cmp_gt_u32_e32 vcc, s15, v10
	v_cndmask_b32_e32 v13, v11, v5, vcc
	v_cndmask_b32_e32 v12, v12, v14, vcc
	global_load_dword v5, v[12:13], off
.LBB2074_10:
	s_or_b64 exec, exec, s[0:1]
	v_add_u32_e32 v10, v10, v16
	v_cmp_gt_u32_e32 vcc, s24, v10
	s_and_saveexec_b64 s[0:1], vcc
	s_cbranch_execz .LBB2074_12
; %bb.11:
	v_mov_b32_e32 v11, 0
	v_lshlrev_b64 v[12:13], 2, v[10:11]
	s_waitcnt vmcnt(3)
	v_mov_b32_e32 v6, s12
	v_add_co_u32_e32 v14, vcc, s11, v12
	v_addc_co_u32_e32 v6, vcc, v6, v13, vcc
	v_subrev_u32_e32 v12, s15, v10
	v_mov_b32_e32 v13, v11
	v_lshlrev_b64 v[12:13], 2, v[12:13]
	v_mov_b32_e32 v11, s9
	v_add_co_u32_e32 v12, vcc, s8, v12
	v_addc_co_u32_e32 v11, vcc, v11, v13, vcc
	v_cmp_gt_u32_e32 vcc, s15, v10
	v_cndmask_b32_e32 v13, v11, v6, vcc
	v_cndmask_b32_e32 v12, v12, v14, vcc
	global_load_dword v6, v[12:13], off
.LBB2074_12:
	;; [unrolled: 23-line block ×4, first 2 shown]
	s_or_b64 exec, exec, s[0:1]
	v_add_u32_e32 v10, v10, v16
	v_cmp_gt_u32_e32 vcc, s24, v10
	s_and_saveexec_b64 s[2:3], vcc
	s_cbranch_execz .LBB2074_18
; %bb.17:
	v_mov_b32_e32 v11, 0
	v_lshlrev_b64 v[12:13], 2, v[10:11]
	s_waitcnt vmcnt(0)
	v_mov_b32_e32 v9, s12
	v_add_co_u32_e32 v12, vcc, s11, v12
	v_addc_co_u32_e32 v9, vcc, v9, v13, vcc
	v_cmp_gt_u32_e32 vcc, s15, v10
	v_subrev_u32_e32 v10, s15, v10
	v_lshlrev_b64 v[10:11], 2, v[10:11]
	v_mov_b32_e32 v13, s9
	v_add_co_u32_e64 v10, s[0:1], s8, v10
	v_addc_co_u32_e64 v11, s[0:1], v13, v11, s[0:1]
	v_cndmask_b32_e32 v11, v11, v9, vcc
	v_cndmask_b32_e32 v10, v10, v12, vcc
	global_load_dword v9, v[10:11], off
.LBB2074_18:
	s_or_b64 exec, exec, s[2:3]
.LBB2074_19:
	v_lshlrev_b32_e32 v10, 3, v0
	v_min_u32_e32 v12, s24, v10
	v_sub_u32_e64 v11, v12, s7 clamp
	v_min_u32_e32 v13, s15, v12
	v_cmp_lt_u32_e32 vcc, v11, v13
	s_waitcnt vmcnt(0)
	ds_write2st64_b32 v1, v2, v3 offset1:2
	ds_write2st64_b32 v1, v4, v5 offset0:4 offset1:6
	ds_write2st64_b32 v1, v6, v7 offset0:8 offset1:10
	;; [unrolled: 1-line block ×3, first 2 shown]
	s_waitcnt lgkmcnt(0)
	s_barrier
	s_and_saveexec_b64 s[0:1], vcc
	s_cbranch_execz .LBB2074_23
; %bb.20:
	v_lshlrev_b32_e32 v14, 2, v12
	v_lshl_add_u32 v14, s15, 2, v14
	s_mov_b64 s[2:3], 0
.LBB2074_21:                            ; =>This Inner Loop Header: Depth=1
	v_add_u32_e32 v15, v13, v11
	v_lshrrev_b32_e32 v15, 1, v15
	v_not_b32_e32 v16, v15
	v_lshlrev_b32_e32 v17, 2, v15
	v_lshl_add_u32 v16, v16, 2, v14
	ds_read_b32 v17, v17
	ds_read_b32 v16, v16
	v_add_u32_e32 v18, 1, v15
	s_waitcnt lgkmcnt(1)
	v_and_b32_e32 v17, s17, v17
	s_waitcnt lgkmcnt(0)
	v_and_b32_e32 v16, s17, v16
	v_cmp_gt_u32_e32 vcc, v16, v17
	v_cndmask_b32_e32 v13, v13, v15, vcc
	v_cndmask_b32_e32 v11, v18, v11, vcc
	v_cmp_ge_u32_e32 vcc, v11, v13
	s_or_b64 s[2:3], vcc, s[2:3]
	s_andn2_b64 exec, exec, s[2:3]
	s_cbranch_execnz .LBB2074_21
; %bb.22:
	s_or_b64 exec, exec, s[2:3]
.LBB2074_23:
	s_or_b64 exec, exec, s[0:1]
	v_sub_u32_e32 v12, v12, v11
	v_add_u32_e32 v12, s15, v12
	v_cmp_ge_u32_e32 vcc, s15, v11
	v_cmp_ge_u32_e64 s[0:1], s24, v12
	s_or_b64 s[0:1], vcc, s[0:1]
	s_and_saveexec_b64 s[22:23], s[0:1]
	s_cbranch_execz .LBB2074_29
; %bb.24:
	v_cmp_gt_u32_e32 vcc, s15, v11
                                        ; implicit-def: $vgpr2
	s_and_saveexec_b64 s[0:1], vcc
	s_cbranch_execz .LBB2074_26
; %bb.25:
	v_lshlrev_b32_e32 v2, 2, v11
	ds_read_b32 v2, v2
.LBB2074_26:
	s_or_b64 exec, exec, s[0:1]
	v_cmp_le_u32_e64 s[0:1], s24, v12
	v_cmp_gt_u32_e64 s[2:3], s24, v12
                                        ; implicit-def: $vgpr3
	s_and_saveexec_b64 s[4:5], s[2:3]
	s_cbranch_execz .LBB2074_28
; %bb.27:
	v_lshlrev_b32_e32 v3, 2, v12
	ds_read_b32 v3, v3
.LBB2074_28:
	s_or_b64 exec, exec, s[4:5]
	s_waitcnt lgkmcnt(0)
	v_and_b32_e32 v4, s17, v3
	v_and_b32_e32 v5, s17, v2
	v_cmp_le_u32_e64 s[2:3], v4, v5
	s_and_b64 s[2:3], vcc, s[2:3]
	s_or_b64 vcc, s[0:1], s[2:3]
	v_mov_b32_e32 v5, s24
	v_mov_b32_e32 v6, s15
	v_cndmask_b32_e32 v4, v12, v11, vcc
	v_cndmask_b32_e32 v7, v5, v6, vcc
	v_add_u32_e32 v4, 1, v4
	v_add_u32_e32 v7, -1, v7
	v_min_u32_e32 v7, v4, v7
	v_lshlrev_b32_e32 v7, 2, v7
	ds_read_b32 v7, v7
	v_cndmask_b32_e32 v9, v4, v12, vcc
	v_cndmask_b32_e32 v4, v11, v4, vcc
	v_cmp_gt_u32_e64 s[2:3], s15, v4
	v_cmp_le_u32_e64 s[0:1], s24, v9
	s_waitcnt lgkmcnt(0)
	v_cndmask_b32_e32 v8, v7, v3, vcc
	v_cndmask_b32_e32 v7, v2, v7, vcc
	v_and_b32_e32 v11, s17, v8
	v_and_b32_e32 v12, s17, v7
	v_cmp_le_u32_e64 s[4:5], v11, v12
	s_and_b64 s[2:3], s[2:3], s[4:5]
	s_or_b64 s[0:1], s[0:1], s[2:3]
	v_cndmask_b32_e64 v11, v9, v4, s[0:1]
	v_cndmask_b32_e64 v12, v5, v6, s[0:1]
	v_add_u32_e32 v11, 1, v11
	v_add_u32_e32 v12, -1, v12
	v_min_u32_e32 v12, v11, v12
	v_lshlrev_b32_e32 v12, 2, v12
	ds_read_b32 v12, v12
	v_cndmask_b32_e64 v9, v11, v9, s[0:1]
	v_cndmask_b32_e64 v4, v4, v11, s[0:1]
	v_cmp_gt_u32_e64 s[4:5], s15, v4
	v_cmp_le_u32_e64 s[2:3], s24, v9
	s_waitcnt lgkmcnt(0)
	v_cndmask_b32_e64 v13, v12, v8, s[0:1]
	v_cndmask_b32_e64 v12, v7, v12, s[0:1]
	v_and_b32_e32 v11, s17, v13
	v_and_b32_e32 v14, s17, v12
	v_cmp_le_u32_e64 s[6:7], v11, v14
	s_and_b64 s[4:5], s[4:5], s[6:7]
	s_or_b64 s[2:3], s[2:3], s[4:5]
	v_cndmask_b32_e64 v11, v9, v4, s[2:3]
	v_cndmask_b32_e64 v14, v5, v6, s[2:3]
	v_add_u32_e32 v11, 1, v11
	v_add_u32_e32 v14, -1, v14
	v_min_u32_e32 v14, v11, v14
	v_lshlrev_b32_e32 v14, 2, v14
	ds_read_b32 v14, v14
	v_cndmask_b32_e64 v9, v11, v9, s[2:3]
	v_cndmask_b32_e64 v4, v4, v11, s[2:3]
	v_cmp_gt_u32_e64 s[6:7], s15, v4
	v_cmp_le_u32_e64 s[4:5], s24, v9
	s_waitcnt lgkmcnt(0)
	v_cndmask_b32_e64 v15, v14, v13, s[2:3]
	v_cndmask_b32_e64 v14, v12, v14, s[2:3]
	;; [unrolled: 19-line block ×4, first 2 shown]
	v_and_b32_e32 v4, s17, v19
	v_and_b32_e32 v20, s17, v18
	v_cmp_le_u32_e64 s[12:13], v4, v20
	s_and_b64 s[10:11], s[10:11], s[12:13]
	s_or_b64 s[8:9], s[8:9], s[10:11]
	v_cndmask_b32_e64 v4, v9, v11, s[8:9]
	v_cndmask_b32_e64 v20, v5, v6, s[8:9]
	v_add_u32_e32 v21, 1, v4
	v_add_u32_e32 v4, -1, v20
	v_min_u32_e32 v4, v21, v4
	v_lshlrev_b32_e32 v4, 2, v4
	ds_read_b32 v20, v4
	v_cndmask_b32_e64 v4, v13, v12, s[2:3]
	v_cndmask_b32_e32 v2, v3, v2, vcc
	v_cndmask_b32_e64 v3, v8, v7, s[0:1]
	v_cndmask_b32_e64 v11, v11, v21, s[8:9]
	s_waitcnt lgkmcnt(0)
	v_cndmask_b32_e64 v12, v20, v19, s[8:9]
	v_cndmask_b32_e64 v13, v18, v20, s[8:9]
	v_and_b32_e32 v7, s17, v12
	v_and_b32_e32 v8, s17, v13
	v_cndmask_b32_e64 v9, v21, v9, s[8:9]
	v_cmp_gt_u32_e64 s[0:1], s15, v11
	v_cmp_le_u32_e64 s[2:3], v7, v8
	v_cmp_le_u32_e32 vcc, s24, v9
	s_and_b64 s[0:1], s[0:1], s[2:3]
	s_or_b64 vcc, vcc, s[0:1]
	v_cndmask_b32_e32 v7, v9, v11, vcc
	v_cndmask_b32_e32 v5, v5, v6, vcc
	v_add_u32_e32 v20, 1, v7
	v_add_u32_e32 v5, -1, v5
	v_min_u32_e32 v5, v20, v5
	v_lshlrev_b32_e32 v5, 2, v5
	ds_read_b32 v21, v5
	v_cndmask_b32_e32 v8, v12, v13, vcc
	v_cndmask_b32_e32 v9, v20, v9, vcc
	;; [unrolled: 1-line block ×3, first 2 shown]
	v_cmp_gt_u32_e64 s[0:1], s15, v11
	s_waitcnt lgkmcnt(0)
	v_cndmask_b32_e32 v12, v21, v12, vcc
	v_cndmask_b32_e32 v13, v13, v21, vcc
	v_cmp_le_u32_e32 vcc, s24, v9
	v_and_b32_e32 v9, s17, v12
	v_and_b32_e32 v11, s17, v13
	v_cmp_le_u32_e64 s[2:3], v9, v11
	s_and_b64 s[0:1], s[0:1], s[2:3]
	s_or_b64 vcc, vcc, s[0:1]
	v_cndmask_b32_e64 v5, v15, v14, s[4:5]
	v_cndmask_b32_e64 v6, v17, v16, s[6:7]
	;; [unrolled: 1-line block ×3, first 2 shown]
	v_cndmask_b32_e32 v9, v12, v13, vcc
.LBB2074_29:
	s_or_b64 exec, exec, s[22:23]
	v_and_b32_e32 v11, 0x7c, v0
	v_lshl_add_u32 v10, v10, 2, v11
	s_barrier
	s_barrier
	ds_write2_b32 v10, v2, v3 offset1:1
	ds_write2_b32 v10, v4, v5 offset0:2 offset1:3
	ds_write2_b32 v10, v6, v7 offset0:4 offset1:5
	;; [unrolled: 1-line block ×3, first 2 shown]
	v_lshrrev_b32_e32 v2, 3, v0
	v_and_b32_e32 v2, 12, v2
	v_or_b32_e32 v10, 0x80, v0
	v_add_u32_e32 v11, v1, v2
	v_lshrrev_b32_e32 v2, 3, v10
	v_and_b32_e32 v2, 28, v2
	v_or_b32_e32 v9, 0x100, v0
	v_add_u32_e32 v12, v1, v2
	;; [unrolled: 4-line block ×5, first 2 shown]
	v_lshrrev_b32_e32 v2, 3, v6
	v_and_b32_e32 v2, 0x5c, v2
	v_or_b32_e32 v5, 0x300, v0
	s_mov_b32 s17, 0
	v_add_u32_e32 v16, v1, v2
	v_lshrrev_b32_e32 v2, 3, v5
	s_lshl_b64 s[0:1], s[16:17], 2
	v_and_b32_e32 v2, 0x6c, v2
	v_or_b32_e32 v4, 0x380, v0
	s_add_u32 s0, s20, s0
	v_add_u32_e32 v17, v1, v2
	v_lshrrev_b32_e32 v2, 3, v4
	s_addc_u32 s1, s21, s1
	v_and_b32_e32 v2, 0x7c, v2
	v_add_u32_e32 v18, v1, v2
	v_mov_b32_e32 v3, s1
	v_add_co_u32_e32 v2, vcc, s0, v1
	v_addc_co_u32_e32 v3, vcc, 0, v3, vcc
	s_and_b64 vcc, exec, s[18:19]
	s_waitcnt lgkmcnt(0)
	s_cbranch_vccz .LBB2074_31
; %bb.30:
	s_barrier
	ds_read_b32 v19, v11
	ds_read_b32 v20, v12 offset:512
	ds_read_b32 v21, v13 offset:1024
	ds_read_b32 v22, v14 offset:1536
	ds_read_b32 v23, v15 offset:2048
	ds_read_b32 v24, v16 offset:2560
	ds_read_b32 v25, v17 offset:3072
	ds_read_b32 v1, v18 offset:3584
	s_waitcnt lgkmcnt(7)
	global_store_dword v[2:3], v19, off
	s_waitcnt lgkmcnt(6)
	global_store_dword v[2:3], v20, off offset:512
	s_waitcnt lgkmcnt(5)
	global_store_dword v[2:3], v21, off offset:1024
	;; [unrolled: 2-line block ×6, first 2 shown]
	s_mov_b64 s[0:1], -1
	s_cbranch_execz .LBB2074_32
	s_branch .LBB2074_41
.LBB2074_31:
	s_mov_b64 s[0:1], 0
                                        ; implicit-def: $vgpr1
.LBB2074_32:
	s_barrier
	s_waitcnt lgkmcnt(0)
	ds_read_b32 v21, v12 offset:512
	ds_read_b32 v20, v13 offset:1024
	;; [unrolled: 1-line block ×7, first 2 shown]
	s_sub_i32 s2, s14, s16
	v_cmp_gt_u32_e32 vcc, s2, v0
	s_and_saveexec_b64 s[0:1], vcc
	s_cbranch_execnz .LBB2074_46
; %bb.33:
	s_or_b64 exec, exec, s[0:1]
	v_cmp_gt_u32_e32 vcc, s2, v10
	s_and_saveexec_b64 s[0:1], vcc
	s_cbranch_execnz .LBB2074_47
.LBB2074_34:
	s_or_b64 exec, exec, s[0:1]
	v_cmp_gt_u32_e32 vcc, s2, v9
	s_and_saveexec_b64 s[0:1], vcc
	s_cbranch_execnz .LBB2074_48
.LBB2074_35:
	s_or_b64 exec, exec, s[0:1]
	v_cmp_gt_u32_e32 vcc, s2, v8
	s_and_saveexec_b64 s[0:1], vcc
	s_cbranch_execnz .LBB2074_49
.LBB2074_36:
	s_or_b64 exec, exec, s[0:1]
	v_cmp_gt_u32_e32 vcc, s2, v7
	s_and_saveexec_b64 s[0:1], vcc
	s_cbranch_execnz .LBB2074_50
.LBB2074_37:
	s_or_b64 exec, exec, s[0:1]
	v_cmp_gt_u32_e32 vcc, s2, v6
	s_and_saveexec_b64 s[0:1], vcc
	s_cbranch_execnz .LBB2074_51
.LBB2074_38:
	s_or_b64 exec, exec, s[0:1]
	v_cmp_gt_u32_e32 vcc, s2, v5
	s_and_saveexec_b64 s[0:1], vcc
	s_cbranch_execz .LBB2074_40
.LBB2074_39:
	s_waitcnt lgkmcnt(1)
	global_store_dword v[2:3], v12, off offset:3072
.LBB2074_40:
	s_or_b64 exec, exec, s[0:1]
	v_cmp_gt_u32_e64 s[0:1], s2, v4
.LBB2074_41:
	s_and_saveexec_b64 s[2:3], s[0:1]
	s_cbranch_execz .LBB2074_43
; %bb.42:
	s_waitcnt lgkmcnt(0)
	global_store_dword v[2:3], v1, off offset:3584
.LBB2074_43:
	s_endpgm
.LBB2074_44:
	s_waitcnt vmcnt(7)
	v_mov_b32_e32 v2, s12
	s_waitcnt vmcnt(5)
	v_add_co_u32_e32 v4, vcc, s11, v1
	v_mov_b32_e32 v3, 0
	s_waitcnt vmcnt(4)
	v_addc_co_u32_e32 v5, vcc, 0, v2, vcc
	v_subrev_u32_e32 v2, s15, v0
	v_lshlrev_b64 v[2:3], 2, v[2:3]
	s_waitcnt vmcnt(3)
	v_mov_b32_e32 v6, s9
	v_add_co_u32_e32 v2, vcc, s8, v2
	v_addc_co_u32_e32 v3, vcc, v6, v3, vcc
	v_cmp_gt_u32_e32 vcc, s15, v0
	v_cndmask_b32_e32 v3, v3, v5, vcc
	v_cndmask_b32_e32 v2, v2, v4, vcc
	global_load_dword v2, v[2:3], off
	s_or_b64 exec, exec, s[0:1]
	v_cmp_gt_u32_e32 vcc, s24, v12
	s_and_saveexec_b64 s[2:3], vcc
	s_cbranch_execz .LBB2074_6
.LBB2074_45:
	v_mov_b32_e32 v13, 0
	v_lshlrev_b64 v[14:15], 2, v[12:13]
	s_waitcnt vmcnt(6)
	v_mov_b32_e32 v3, s12
	v_add_co_u32_e32 v11, vcc, s11, v14
	v_addc_co_u32_e32 v3, vcc, v3, v15, vcc
	v_cmp_gt_u32_e32 vcc, s15, v12
	v_subrev_u32_e32 v12, s15, v12
	v_lshlrev_b64 v[12:13], 2, v[12:13]
	v_mov_b32_e32 v14, s9
	v_add_co_u32_e64 v12, s[0:1], s8, v12
	v_addc_co_u32_e64 v13, s[0:1], v14, v13, s[0:1]
	v_cndmask_b32_e32 v13, v13, v3, vcc
	v_cndmask_b32_e32 v12, v12, v11, vcc
	global_load_dword v3, v[12:13], off
	s_or_b64 exec, exec, s[2:3]
	v_cmp_gt_u32_e32 vcc, s24, v10
	s_and_saveexec_b64 s[0:1], vcc
	s_cbranch_execnz .LBB2074_7
	s_branch .LBB2074_8
.LBB2074_46:
	ds_read_b32 v0, v11
	s_waitcnt lgkmcnt(0)
	global_store_dword v[2:3], v0, off
	s_or_b64 exec, exec, s[0:1]
	v_cmp_gt_u32_e32 vcc, s2, v10
	s_and_saveexec_b64 s[0:1], vcc
	s_cbranch_execz .LBB2074_34
.LBB2074_47:
	s_waitcnt lgkmcnt(6)
	global_store_dword v[2:3], v21, off offset:512
	s_or_b64 exec, exec, s[0:1]
	v_cmp_gt_u32_e32 vcc, s2, v9
	s_and_saveexec_b64 s[0:1], vcc
	s_cbranch_execz .LBB2074_35
.LBB2074_48:
	s_waitcnt lgkmcnt(5)
	global_store_dword v[2:3], v20, off offset:1024
	s_or_b64 exec, exec, s[0:1]
	v_cmp_gt_u32_e32 vcc, s2, v8
	s_and_saveexec_b64 s[0:1], vcc
	s_cbranch_execz .LBB2074_36
.LBB2074_49:
	s_waitcnt lgkmcnt(4)
	global_store_dword v[2:3], v19, off offset:1536
	s_or_b64 exec, exec, s[0:1]
	v_cmp_gt_u32_e32 vcc, s2, v7
	s_and_saveexec_b64 s[0:1], vcc
	s_cbranch_execz .LBB2074_37
.LBB2074_50:
	s_waitcnt lgkmcnt(3)
	global_store_dword v[2:3], v14, off offset:2048
	s_or_b64 exec, exec, s[0:1]
	v_cmp_gt_u32_e32 vcc, s2, v6
	s_and_saveexec_b64 s[0:1], vcc
	s_cbranch_execz .LBB2074_38
.LBB2074_51:
	s_waitcnt lgkmcnt(2)
	global_store_dword v[2:3], v13, off offset:2560
	s_or_b64 exec, exec, s[0:1]
	v_cmp_gt_u32_e32 vcc, s2, v5
	s_and_saveexec_b64 s[0:1], vcc
	s_cbranch_execnz .LBB2074_39
	s_branch .LBB2074_40
	.section	.rodata,"a",@progbits
	.p2align	6, 0x0
	.amdhsa_kernel _ZN7rocprim17ROCPRIM_400000_NS6detail17trampoline_kernelINS0_14default_configENS1_38merge_sort_block_merge_config_selectorIjNS0_10empty_typeEEEZZNS1_27merge_sort_block_merge_implIS3_PjPS5_jNS1_19radix_merge_compareILb1ELb1EjNS0_19identity_decomposerEEEEE10hipError_tT0_T1_T2_jT3_P12ihipStream_tbPNSt15iterator_traitsISE_E10value_typeEPNSK_ISF_E10value_typeEPSG_NS1_7vsmem_tEENKUlT_SE_SF_SG_E_clIS8_S8_S9_S9_EESD_ST_SE_SF_SG_EUlST_E0_NS1_11comp_targetILNS1_3genE4ELNS1_11target_archE910ELNS1_3gpuE8ELNS1_3repE0EEENS1_38merge_mergepath_config_static_selectorELNS0_4arch9wavefront6targetE1EEEvSF_
		.amdhsa_group_segment_fixed_size 4224
		.amdhsa_private_segment_fixed_size 0
		.amdhsa_kernarg_size 320
		.amdhsa_user_sgpr_count 6
		.amdhsa_user_sgpr_private_segment_buffer 1
		.amdhsa_user_sgpr_dispatch_ptr 0
		.amdhsa_user_sgpr_queue_ptr 0
		.amdhsa_user_sgpr_kernarg_segment_ptr 1
		.amdhsa_user_sgpr_dispatch_id 0
		.amdhsa_user_sgpr_flat_scratch_init 0
		.amdhsa_user_sgpr_kernarg_preload_length 0
		.amdhsa_user_sgpr_kernarg_preload_offset 0
		.amdhsa_user_sgpr_private_segment_size 0
		.amdhsa_uses_dynamic_stack 0
		.amdhsa_system_sgpr_private_segment_wavefront_offset 0
		.amdhsa_system_sgpr_workgroup_id_x 1
		.amdhsa_system_sgpr_workgroup_id_y 1
		.amdhsa_system_sgpr_workgroup_id_z 1
		.amdhsa_system_sgpr_workgroup_info 0
		.amdhsa_system_vgpr_workitem_id 0
		.amdhsa_next_free_vgpr 26
		.amdhsa_next_free_sgpr 25
		.amdhsa_accum_offset 28
		.amdhsa_reserve_vcc 1
		.amdhsa_reserve_flat_scratch 0
		.amdhsa_float_round_mode_32 0
		.amdhsa_float_round_mode_16_64 0
		.amdhsa_float_denorm_mode_32 3
		.amdhsa_float_denorm_mode_16_64 3
		.amdhsa_dx10_clamp 1
		.amdhsa_ieee_mode 1
		.amdhsa_fp16_overflow 0
		.amdhsa_tg_split 0
		.amdhsa_exception_fp_ieee_invalid_op 0
		.amdhsa_exception_fp_denorm_src 0
		.amdhsa_exception_fp_ieee_div_zero 0
		.amdhsa_exception_fp_ieee_overflow 0
		.amdhsa_exception_fp_ieee_underflow 0
		.amdhsa_exception_fp_ieee_inexact 0
		.amdhsa_exception_int_div_zero 0
	.end_amdhsa_kernel
	.section	.text._ZN7rocprim17ROCPRIM_400000_NS6detail17trampoline_kernelINS0_14default_configENS1_38merge_sort_block_merge_config_selectorIjNS0_10empty_typeEEEZZNS1_27merge_sort_block_merge_implIS3_PjPS5_jNS1_19radix_merge_compareILb1ELb1EjNS0_19identity_decomposerEEEEE10hipError_tT0_T1_T2_jT3_P12ihipStream_tbPNSt15iterator_traitsISE_E10value_typeEPNSK_ISF_E10value_typeEPSG_NS1_7vsmem_tEENKUlT_SE_SF_SG_E_clIS8_S8_S9_S9_EESD_ST_SE_SF_SG_EUlST_E0_NS1_11comp_targetILNS1_3genE4ELNS1_11target_archE910ELNS1_3gpuE8ELNS1_3repE0EEENS1_38merge_mergepath_config_static_selectorELNS0_4arch9wavefront6targetE1EEEvSF_,"axG",@progbits,_ZN7rocprim17ROCPRIM_400000_NS6detail17trampoline_kernelINS0_14default_configENS1_38merge_sort_block_merge_config_selectorIjNS0_10empty_typeEEEZZNS1_27merge_sort_block_merge_implIS3_PjPS5_jNS1_19radix_merge_compareILb1ELb1EjNS0_19identity_decomposerEEEEE10hipError_tT0_T1_T2_jT3_P12ihipStream_tbPNSt15iterator_traitsISE_E10value_typeEPNSK_ISF_E10value_typeEPSG_NS1_7vsmem_tEENKUlT_SE_SF_SG_E_clIS8_S8_S9_S9_EESD_ST_SE_SF_SG_EUlST_E0_NS1_11comp_targetILNS1_3genE4ELNS1_11target_archE910ELNS1_3gpuE8ELNS1_3repE0EEENS1_38merge_mergepath_config_static_selectorELNS0_4arch9wavefront6targetE1EEEvSF_,comdat
.Lfunc_end2074:
	.size	_ZN7rocprim17ROCPRIM_400000_NS6detail17trampoline_kernelINS0_14default_configENS1_38merge_sort_block_merge_config_selectorIjNS0_10empty_typeEEEZZNS1_27merge_sort_block_merge_implIS3_PjPS5_jNS1_19radix_merge_compareILb1ELb1EjNS0_19identity_decomposerEEEEE10hipError_tT0_T1_T2_jT3_P12ihipStream_tbPNSt15iterator_traitsISE_E10value_typeEPNSK_ISF_E10value_typeEPSG_NS1_7vsmem_tEENKUlT_SE_SF_SG_E_clIS8_S8_S9_S9_EESD_ST_SE_SF_SG_EUlST_E0_NS1_11comp_targetILNS1_3genE4ELNS1_11target_archE910ELNS1_3gpuE8ELNS1_3repE0EEENS1_38merge_mergepath_config_static_selectorELNS0_4arch9wavefront6targetE1EEEvSF_, .Lfunc_end2074-_ZN7rocprim17ROCPRIM_400000_NS6detail17trampoline_kernelINS0_14default_configENS1_38merge_sort_block_merge_config_selectorIjNS0_10empty_typeEEEZZNS1_27merge_sort_block_merge_implIS3_PjPS5_jNS1_19radix_merge_compareILb1ELb1EjNS0_19identity_decomposerEEEEE10hipError_tT0_T1_T2_jT3_P12ihipStream_tbPNSt15iterator_traitsISE_E10value_typeEPNSK_ISF_E10value_typeEPSG_NS1_7vsmem_tEENKUlT_SE_SF_SG_E_clIS8_S8_S9_S9_EESD_ST_SE_SF_SG_EUlST_E0_NS1_11comp_targetILNS1_3genE4ELNS1_11target_archE910ELNS1_3gpuE8ELNS1_3repE0EEENS1_38merge_mergepath_config_static_selectorELNS0_4arch9wavefront6targetE1EEEvSF_
                                        ; -- End function
	.section	.AMDGPU.csdata,"",@progbits
; Kernel info:
; codeLenInByte = 3704
; NumSgprs: 29
; NumVgprs: 26
; NumAgprs: 0
; TotalNumVgprs: 26
; ScratchSize: 0
; MemoryBound: 0
; FloatMode: 240
; IeeeMode: 1
; LDSByteSize: 4224 bytes/workgroup (compile time only)
; SGPRBlocks: 3
; VGPRBlocks: 3
; NumSGPRsForWavesPerEU: 29
; NumVGPRsForWavesPerEU: 26
; AccumOffset: 28
; Occupancy: 8
; WaveLimiterHint : 1
; COMPUTE_PGM_RSRC2:SCRATCH_EN: 0
; COMPUTE_PGM_RSRC2:USER_SGPR: 6
; COMPUTE_PGM_RSRC2:TRAP_HANDLER: 0
; COMPUTE_PGM_RSRC2:TGID_X_EN: 1
; COMPUTE_PGM_RSRC2:TGID_Y_EN: 1
; COMPUTE_PGM_RSRC2:TGID_Z_EN: 1
; COMPUTE_PGM_RSRC2:TIDIG_COMP_CNT: 0
; COMPUTE_PGM_RSRC3_GFX90A:ACCUM_OFFSET: 6
; COMPUTE_PGM_RSRC3_GFX90A:TG_SPLIT: 0
	.section	.text._ZN7rocprim17ROCPRIM_400000_NS6detail17trampoline_kernelINS0_14default_configENS1_38merge_sort_block_merge_config_selectorIjNS0_10empty_typeEEEZZNS1_27merge_sort_block_merge_implIS3_PjPS5_jNS1_19radix_merge_compareILb1ELb1EjNS0_19identity_decomposerEEEEE10hipError_tT0_T1_T2_jT3_P12ihipStream_tbPNSt15iterator_traitsISE_E10value_typeEPNSK_ISF_E10value_typeEPSG_NS1_7vsmem_tEENKUlT_SE_SF_SG_E_clIS8_S8_S9_S9_EESD_ST_SE_SF_SG_EUlST_E0_NS1_11comp_targetILNS1_3genE3ELNS1_11target_archE908ELNS1_3gpuE7ELNS1_3repE0EEENS1_38merge_mergepath_config_static_selectorELNS0_4arch9wavefront6targetE1EEEvSF_,"axG",@progbits,_ZN7rocprim17ROCPRIM_400000_NS6detail17trampoline_kernelINS0_14default_configENS1_38merge_sort_block_merge_config_selectorIjNS0_10empty_typeEEEZZNS1_27merge_sort_block_merge_implIS3_PjPS5_jNS1_19radix_merge_compareILb1ELb1EjNS0_19identity_decomposerEEEEE10hipError_tT0_T1_T2_jT3_P12ihipStream_tbPNSt15iterator_traitsISE_E10value_typeEPNSK_ISF_E10value_typeEPSG_NS1_7vsmem_tEENKUlT_SE_SF_SG_E_clIS8_S8_S9_S9_EESD_ST_SE_SF_SG_EUlST_E0_NS1_11comp_targetILNS1_3genE3ELNS1_11target_archE908ELNS1_3gpuE7ELNS1_3repE0EEENS1_38merge_mergepath_config_static_selectorELNS0_4arch9wavefront6targetE1EEEvSF_,comdat
	.protected	_ZN7rocprim17ROCPRIM_400000_NS6detail17trampoline_kernelINS0_14default_configENS1_38merge_sort_block_merge_config_selectorIjNS0_10empty_typeEEEZZNS1_27merge_sort_block_merge_implIS3_PjPS5_jNS1_19radix_merge_compareILb1ELb1EjNS0_19identity_decomposerEEEEE10hipError_tT0_T1_T2_jT3_P12ihipStream_tbPNSt15iterator_traitsISE_E10value_typeEPNSK_ISF_E10value_typeEPSG_NS1_7vsmem_tEENKUlT_SE_SF_SG_E_clIS8_S8_S9_S9_EESD_ST_SE_SF_SG_EUlST_E0_NS1_11comp_targetILNS1_3genE3ELNS1_11target_archE908ELNS1_3gpuE7ELNS1_3repE0EEENS1_38merge_mergepath_config_static_selectorELNS0_4arch9wavefront6targetE1EEEvSF_ ; -- Begin function _ZN7rocprim17ROCPRIM_400000_NS6detail17trampoline_kernelINS0_14default_configENS1_38merge_sort_block_merge_config_selectorIjNS0_10empty_typeEEEZZNS1_27merge_sort_block_merge_implIS3_PjPS5_jNS1_19radix_merge_compareILb1ELb1EjNS0_19identity_decomposerEEEEE10hipError_tT0_T1_T2_jT3_P12ihipStream_tbPNSt15iterator_traitsISE_E10value_typeEPNSK_ISF_E10value_typeEPSG_NS1_7vsmem_tEENKUlT_SE_SF_SG_E_clIS8_S8_S9_S9_EESD_ST_SE_SF_SG_EUlST_E0_NS1_11comp_targetILNS1_3genE3ELNS1_11target_archE908ELNS1_3gpuE7ELNS1_3repE0EEENS1_38merge_mergepath_config_static_selectorELNS0_4arch9wavefront6targetE1EEEvSF_
	.globl	_ZN7rocprim17ROCPRIM_400000_NS6detail17trampoline_kernelINS0_14default_configENS1_38merge_sort_block_merge_config_selectorIjNS0_10empty_typeEEEZZNS1_27merge_sort_block_merge_implIS3_PjPS5_jNS1_19radix_merge_compareILb1ELb1EjNS0_19identity_decomposerEEEEE10hipError_tT0_T1_T2_jT3_P12ihipStream_tbPNSt15iterator_traitsISE_E10value_typeEPNSK_ISF_E10value_typeEPSG_NS1_7vsmem_tEENKUlT_SE_SF_SG_E_clIS8_S8_S9_S9_EESD_ST_SE_SF_SG_EUlST_E0_NS1_11comp_targetILNS1_3genE3ELNS1_11target_archE908ELNS1_3gpuE7ELNS1_3repE0EEENS1_38merge_mergepath_config_static_selectorELNS0_4arch9wavefront6targetE1EEEvSF_
	.p2align	8
	.type	_ZN7rocprim17ROCPRIM_400000_NS6detail17trampoline_kernelINS0_14default_configENS1_38merge_sort_block_merge_config_selectorIjNS0_10empty_typeEEEZZNS1_27merge_sort_block_merge_implIS3_PjPS5_jNS1_19radix_merge_compareILb1ELb1EjNS0_19identity_decomposerEEEEE10hipError_tT0_T1_T2_jT3_P12ihipStream_tbPNSt15iterator_traitsISE_E10value_typeEPNSK_ISF_E10value_typeEPSG_NS1_7vsmem_tEENKUlT_SE_SF_SG_E_clIS8_S8_S9_S9_EESD_ST_SE_SF_SG_EUlST_E0_NS1_11comp_targetILNS1_3genE3ELNS1_11target_archE908ELNS1_3gpuE7ELNS1_3repE0EEENS1_38merge_mergepath_config_static_selectorELNS0_4arch9wavefront6targetE1EEEvSF_,@function
_ZN7rocprim17ROCPRIM_400000_NS6detail17trampoline_kernelINS0_14default_configENS1_38merge_sort_block_merge_config_selectorIjNS0_10empty_typeEEEZZNS1_27merge_sort_block_merge_implIS3_PjPS5_jNS1_19radix_merge_compareILb1ELb1EjNS0_19identity_decomposerEEEEE10hipError_tT0_T1_T2_jT3_P12ihipStream_tbPNSt15iterator_traitsISE_E10value_typeEPNSK_ISF_E10value_typeEPSG_NS1_7vsmem_tEENKUlT_SE_SF_SG_E_clIS8_S8_S9_S9_EESD_ST_SE_SF_SG_EUlST_E0_NS1_11comp_targetILNS1_3genE3ELNS1_11target_archE908ELNS1_3gpuE7ELNS1_3repE0EEENS1_38merge_mergepath_config_static_selectorELNS0_4arch9wavefront6targetE1EEEvSF_: ; @_ZN7rocprim17ROCPRIM_400000_NS6detail17trampoline_kernelINS0_14default_configENS1_38merge_sort_block_merge_config_selectorIjNS0_10empty_typeEEEZZNS1_27merge_sort_block_merge_implIS3_PjPS5_jNS1_19radix_merge_compareILb1ELb1EjNS0_19identity_decomposerEEEEE10hipError_tT0_T1_T2_jT3_P12ihipStream_tbPNSt15iterator_traitsISE_E10value_typeEPNSK_ISF_E10value_typeEPSG_NS1_7vsmem_tEENKUlT_SE_SF_SG_E_clIS8_S8_S9_S9_EESD_ST_SE_SF_SG_EUlST_E0_NS1_11comp_targetILNS1_3genE3ELNS1_11target_archE908ELNS1_3gpuE7ELNS1_3repE0EEENS1_38merge_mergepath_config_static_selectorELNS0_4arch9wavefront6targetE1EEEvSF_
; %bb.0:
	.section	.rodata,"a",@progbits
	.p2align	6, 0x0
	.amdhsa_kernel _ZN7rocprim17ROCPRIM_400000_NS6detail17trampoline_kernelINS0_14default_configENS1_38merge_sort_block_merge_config_selectorIjNS0_10empty_typeEEEZZNS1_27merge_sort_block_merge_implIS3_PjPS5_jNS1_19radix_merge_compareILb1ELb1EjNS0_19identity_decomposerEEEEE10hipError_tT0_T1_T2_jT3_P12ihipStream_tbPNSt15iterator_traitsISE_E10value_typeEPNSK_ISF_E10value_typeEPSG_NS1_7vsmem_tEENKUlT_SE_SF_SG_E_clIS8_S8_S9_S9_EESD_ST_SE_SF_SG_EUlST_E0_NS1_11comp_targetILNS1_3genE3ELNS1_11target_archE908ELNS1_3gpuE7ELNS1_3repE0EEENS1_38merge_mergepath_config_static_selectorELNS0_4arch9wavefront6targetE1EEEvSF_
		.amdhsa_group_segment_fixed_size 0
		.amdhsa_private_segment_fixed_size 0
		.amdhsa_kernarg_size 64
		.amdhsa_user_sgpr_count 6
		.amdhsa_user_sgpr_private_segment_buffer 1
		.amdhsa_user_sgpr_dispatch_ptr 0
		.amdhsa_user_sgpr_queue_ptr 0
		.amdhsa_user_sgpr_kernarg_segment_ptr 1
		.amdhsa_user_sgpr_dispatch_id 0
		.amdhsa_user_sgpr_flat_scratch_init 0
		.amdhsa_user_sgpr_kernarg_preload_length 0
		.amdhsa_user_sgpr_kernarg_preload_offset 0
		.amdhsa_user_sgpr_private_segment_size 0
		.amdhsa_uses_dynamic_stack 0
		.amdhsa_system_sgpr_private_segment_wavefront_offset 0
		.amdhsa_system_sgpr_workgroup_id_x 1
		.amdhsa_system_sgpr_workgroup_id_y 0
		.amdhsa_system_sgpr_workgroup_id_z 0
		.amdhsa_system_sgpr_workgroup_info 0
		.amdhsa_system_vgpr_workitem_id 0
		.amdhsa_next_free_vgpr 1
		.amdhsa_next_free_sgpr 0
		.amdhsa_accum_offset 4
		.amdhsa_reserve_vcc 0
		.amdhsa_reserve_flat_scratch 0
		.amdhsa_float_round_mode_32 0
		.amdhsa_float_round_mode_16_64 0
		.amdhsa_float_denorm_mode_32 3
		.amdhsa_float_denorm_mode_16_64 3
		.amdhsa_dx10_clamp 1
		.amdhsa_ieee_mode 1
		.amdhsa_fp16_overflow 0
		.amdhsa_tg_split 0
		.amdhsa_exception_fp_ieee_invalid_op 0
		.amdhsa_exception_fp_denorm_src 0
		.amdhsa_exception_fp_ieee_div_zero 0
		.amdhsa_exception_fp_ieee_overflow 0
		.amdhsa_exception_fp_ieee_underflow 0
		.amdhsa_exception_fp_ieee_inexact 0
		.amdhsa_exception_int_div_zero 0
	.end_amdhsa_kernel
	.section	.text._ZN7rocprim17ROCPRIM_400000_NS6detail17trampoline_kernelINS0_14default_configENS1_38merge_sort_block_merge_config_selectorIjNS0_10empty_typeEEEZZNS1_27merge_sort_block_merge_implIS3_PjPS5_jNS1_19radix_merge_compareILb1ELb1EjNS0_19identity_decomposerEEEEE10hipError_tT0_T1_T2_jT3_P12ihipStream_tbPNSt15iterator_traitsISE_E10value_typeEPNSK_ISF_E10value_typeEPSG_NS1_7vsmem_tEENKUlT_SE_SF_SG_E_clIS8_S8_S9_S9_EESD_ST_SE_SF_SG_EUlST_E0_NS1_11comp_targetILNS1_3genE3ELNS1_11target_archE908ELNS1_3gpuE7ELNS1_3repE0EEENS1_38merge_mergepath_config_static_selectorELNS0_4arch9wavefront6targetE1EEEvSF_,"axG",@progbits,_ZN7rocprim17ROCPRIM_400000_NS6detail17trampoline_kernelINS0_14default_configENS1_38merge_sort_block_merge_config_selectorIjNS0_10empty_typeEEEZZNS1_27merge_sort_block_merge_implIS3_PjPS5_jNS1_19radix_merge_compareILb1ELb1EjNS0_19identity_decomposerEEEEE10hipError_tT0_T1_T2_jT3_P12ihipStream_tbPNSt15iterator_traitsISE_E10value_typeEPNSK_ISF_E10value_typeEPSG_NS1_7vsmem_tEENKUlT_SE_SF_SG_E_clIS8_S8_S9_S9_EESD_ST_SE_SF_SG_EUlST_E0_NS1_11comp_targetILNS1_3genE3ELNS1_11target_archE908ELNS1_3gpuE7ELNS1_3repE0EEENS1_38merge_mergepath_config_static_selectorELNS0_4arch9wavefront6targetE1EEEvSF_,comdat
.Lfunc_end2075:
	.size	_ZN7rocprim17ROCPRIM_400000_NS6detail17trampoline_kernelINS0_14default_configENS1_38merge_sort_block_merge_config_selectorIjNS0_10empty_typeEEEZZNS1_27merge_sort_block_merge_implIS3_PjPS5_jNS1_19radix_merge_compareILb1ELb1EjNS0_19identity_decomposerEEEEE10hipError_tT0_T1_T2_jT3_P12ihipStream_tbPNSt15iterator_traitsISE_E10value_typeEPNSK_ISF_E10value_typeEPSG_NS1_7vsmem_tEENKUlT_SE_SF_SG_E_clIS8_S8_S9_S9_EESD_ST_SE_SF_SG_EUlST_E0_NS1_11comp_targetILNS1_3genE3ELNS1_11target_archE908ELNS1_3gpuE7ELNS1_3repE0EEENS1_38merge_mergepath_config_static_selectorELNS0_4arch9wavefront6targetE1EEEvSF_, .Lfunc_end2075-_ZN7rocprim17ROCPRIM_400000_NS6detail17trampoline_kernelINS0_14default_configENS1_38merge_sort_block_merge_config_selectorIjNS0_10empty_typeEEEZZNS1_27merge_sort_block_merge_implIS3_PjPS5_jNS1_19radix_merge_compareILb1ELb1EjNS0_19identity_decomposerEEEEE10hipError_tT0_T1_T2_jT3_P12ihipStream_tbPNSt15iterator_traitsISE_E10value_typeEPNSK_ISF_E10value_typeEPSG_NS1_7vsmem_tEENKUlT_SE_SF_SG_E_clIS8_S8_S9_S9_EESD_ST_SE_SF_SG_EUlST_E0_NS1_11comp_targetILNS1_3genE3ELNS1_11target_archE908ELNS1_3gpuE7ELNS1_3repE0EEENS1_38merge_mergepath_config_static_selectorELNS0_4arch9wavefront6targetE1EEEvSF_
                                        ; -- End function
	.section	.AMDGPU.csdata,"",@progbits
; Kernel info:
; codeLenInByte = 0
; NumSgprs: 4
; NumVgprs: 0
; NumAgprs: 0
; TotalNumVgprs: 0
; ScratchSize: 0
; MemoryBound: 0
; FloatMode: 240
; IeeeMode: 1
; LDSByteSize: 0 bytes/workgroup (compile time only)
; SGPRBlocks: 0
; VGPRBlocks: 0
; NumSGPRsForWavesPerEU: 4
; NumVGPRsForWavesPerEU: 1
; AccumOffset: 4
; Occupancy: 8
; WaveLimiterHint : 0
; COMPUTE_PGM_RSRC2:SCRATCH_EN: 0
; COMPUTE_PGM_RSRC2:USER_SGPR: 6
; COMPUTE_PGM_RSRC2:TRAP_HANDLER: 0
; COMPUTE_PGM_RSRC2:TGID_X_EN: 1
; COMPUTE_PGM_RSRC2:TGID_Y_EN: 0
; COMPUTE_PGM_RSRC2:TGID_Z_EN: 0
; COMPUTE_PGM_RSRC2:TIDIG_COMP_CNT: 0
; COMPUTE_PGM_RSRC3_GFX90A:ACCUM_OFFSET: 0
; COMPUTE_PGM_RSRC3_GFX90A:TG_SPLIT: 0
	.section	.text._ZN7rocprim17ROCPRIM_400000_NS6detail17trampoline_kernelINS0_14default_configENS1_38merge_sort_block_merge_config_selectorIjNS0_10empty_typeEEEZZNS1_27merge_sort_block_merge_implIS3_PjPS5_jNS1_19radix_merge_compareILb1ELb1EjNS0_19identity_decomposerEEEEE10hipError_tT0_T1_T2_jT3_P12ihipStream_tbPNSt15iterator_traitsISE_E10value_typeEPNSK_ISF_E10value_typeEPSG_NS1_7vsmem_tEENKUlT_SE_SF_SG_E_clIS8_S8_S9_S9_EESD_ST_SE_SF_SG_EUlST_E0_NS1_11comp_targetILNS1_3genE2ELNS1_11target_archE906ELNS1_3gpuE6ELNS1_3repE0EEENS1_38merge_mergepath_config_static_selectorELNS0_4arch9wavefront6targetE1EEEvSF_,"axG",@progbits,_ZN7rocprim17ROCPRIM_400000_NS6detail17trampoline_kernelINS0_14default_configENS1_38merge_sort_block_merge_config_selectorIjNS0_10empty_typeEEEZZNS1_27merge_sort_block_merge_implIS3_PjPS5_jNS1_19radix_merge_compareILb1ELb1EjNS0_19identity_decomposerEEEEE10hipError_tT0_T1_T2_jT3_P12ihipStream_tbPNSt15iterator_traitsISE_E10value_typeEPNSK_ISF_E10value_typeEPSG_NS1_7vsmem_tEENKUlT_SE_SF_SG_E_clIS8_S8_S9_S9_EESD_ST_SE_SF_SG_EUlST_E0_NS1_11comp_targetILNS1_3genE2ELNS1_11target_archE906ELNS1_3gpuE6ELNS1_3repE0EEENS1_38merge_mergepath_config_static_selectorELNS0_4arch9wavefront6targetE1EEEvSF_,comdat
	.protected	_ZN7rocprim17ROCPRIM_400000_NS6detail17trampoline_kernelINS0_14default_configENS1_38merge_sort_block_merge_config_selectorIjNS0_10empty_typeEEEZZNS1_27merge_sort_block_merge_implIS3_PjPS5_jNS1_19radix_merge_compareILb1ELb1EjNS0_19identity_decomposerEEEEE10hipError_tT0_T1_T2_jT3_P12ihipStream_tbPNSt15iterator_traitsISE_E10value_typeEPNSK_ISF_E10value_typeEPSG_NS1_7vsmem_tEENKUlT_SE_SF_SG_E_clIS8_S8_S9_S9_EESD_ST_SE_SF_SG_EUlST_E0_NS1_11comp_targetILNS1_3genE2ELNS1_11target_archE906ELNS1_3gpuE6ELNS1_3repE0EEENS1_38merge_mergepath_config_static_selectorELNS0_4arch9wavefront6targetE1EEEvSF_ ; -- Begin function _ZN7rocprim17ROCPRIM_400000_NS6detail17trampoline_kernelINS0_14default_configENS1_38merge_sort_block_merge_config_selectorIjNS0_10empty_typeEEEZZNS1_27merge_sort_block_merge_implIS3_PjPS5_jNS1_19radix_merge_compareILb1ELb1EjNS0_19identity_decomposerEEEEE10hipError_tT0_T1_T2_jT3_P12ihipStream_tbPNSt15iterator_traitsISE_E10value_typeEPNSK_ISF_E10value_typeEPSG_NS1_7vsmem_tEENKUlT_SE_SF_SG_E_clIS8_S8_S9_S9_EESD_ST_SE_SF_SG_EUlST_E0_NS1_11comp_targetILNS1_3genE2ELNS1_11target_archE906ELNS1_3gpuE6ELNS1_3repE0EEENS1_38merge_mergepath_config_static_selectorELNS0_4arch9wavefront6targetE1EEEvSF_
	.globl	_ZN7rocprim17ROCPRIM_400000_NS6detail17trampoline_kernelINS0_14default_configENS1_38merge_sort_block_merge_config_selectorIjNS0_10empty_typeEEEZZNS1_27merge_sort_block_merge_implIS3_PjPS5_jNS1_19radix_merge_compareILb1ELb1EjNS0_19identity_decomposerEEEEE10hipError_tT0_T1_T2_jT3_P12ihipStream_tbPNSt15iterator_traitsISE_E10value_typeEPNSK_ISF_E10value_typeEPSG_NS1_7vsmem_tEENKUlT_SE_SF_SG_E_clIS8_S8_S9_S9_EESD_ST_SE_SF_SG_EUlST_E0_NS1_11comp_targetILNS1_3genE2ELNS1_11target_archE906ELNS1_3gpuE6ELNS1_3repE0EEENS1_38merge_mergepath_config_static_selectorELNS0_4arch9wavefront6targetE1EEEvSF_
	.p2align	8
	.type	_ZN7rocprim17ROCPRIM_400000_NS6detail17trampoline_kernelINS0_14default_configENS1_38merge_sort_block_merge_config_selectorIjNS0_10empty_typeEEEZZNS1_27merge_sort_block_merge_implIS3_PjPS5_jNS1_19radix_merge_compareILb1ELb1EjNS0_19identity_decomposerEEEEE10hipError_tT0_T1_T2_jT3_P12ihipStream_tbPNSt15iterator_traitsISE_E10value_typeEPNSK_ISF_E10value_typeEPSG_NS1_7vsmem_tEENKUlT_SE_SF_SG_E_clIS8_S8_S9_S9_EESD_ST_SE_SF_SG_EUlST_E0_NS1_11comp_targetILNS1_3genE2ELNS1_11target_archE906ELNS1_3gpuE6ELNS1_3repE0EEENS1_38merge_mergepath_config_static_selectorELNS0_4arch9wavefront6targetE1EEEvSF_,@function
_ZN7rocprim17ROCPRIM_400000_NS6detail17trampoline_kernelINS0_14default_configENS1_38merge_sort_block_merge_config_selectorIjNS0_10empty_typeEEEZZNS1_27merge_sort_block_merge_implIS3_PjPS5_jNS1_19radix_merge_compareILb1ELb1EjNS0_19identity_decomposerEEEEE10hipError_tT0_T1_T2_jT3_P12ihipStream_tbPNSt15iterator_traitsISE_E10value_typeEPNSK_ISF_E10value_typeEPSG_NS1_7vsmem_tEENKUlT_SE_SF_SG_E_clIS8_S8_S9_S9_EESD_ST_SE_SF_SG_EUlST_E0_NS1_11comp_targetILNS1_3genE2ELNS1_11target_archE906ELNS1_3gpuE6ELNS1_3repE0EEENS1_38merge_mergepath_config_static_selectorELNS0_4arch9wavefront6targetE1EEEvSF_: ; @_ZN7rocprim17ROCPRIM_400000_NS6detail17trampoline_kernelINS0_14default_configENS1_38merge_sort_block_merge_config_selectorIjNS0_10empty_typeEEEZZNS1_27merge_sort_block_merge_implIS3_PjPS5_jNS1_19radix_merge_compareILb1ELb1EjNS0_19identity_decomposerEEEEE10hipError_tT0_T1_T2_jT3_P12ihipStream_tbPNSt15iterator_traitsISE_E10value_typeEPNSK_ISF_E10value_typeEPSG_NS1_7vsmem_tEENKUlT_SE_SF_SG_E_clIS8_S8_S9_S9_EESD_ST_SE_SF_SG_EUlST_E0_NS1_11comp_targetILNS1_3genE2ELNS1_11target_archE906ELNS1_3gpuE6ELNS1_3repE0EEENS1_38merge_mergepath_config_static_selectorELNS0_4arch9wavefront6targetE1EEEvSF_
; %bb.0:
	.section	.rodata,"a",@progbits
	.p2align	6, 0x0
	.amdhsa_kernel _ZN7rocprim17ROCPRIM_400000_NS6detail17trampoline_kernelINS0_14default_configENS1_38merge_sort_block_merge_config_selectorIjNS0_10empty_typeEEEZZNS1_27merge_sort_block_merge_implIS3_PjPS5_jNS1_19radix_merge_compareILb1ELb1EjNS0_19identity_decomposerEEEEE10hipError_tT0_T1_T2_jT3_P12ihipStream_tbPNSt15iterator_traitsISE_E10value_typeEPNSK_ISF_E10value_typeEPSG_NS1_7vsmem_tEENKUlT_SE_SF_SG_E_clIS8_S8_S9_S9_EESD_ST_SE_SF_SG_EUlST_E0_NS1_11comp_targetILNS1_3genE2ELNS1_11target_archE906ELNS1_3gpuE6ELNS1_3repE0EEENS1_38merge_mergepath_config_static_selectorELNS0_4arch9wavefront6targetE1EEEvSF_
		.amdhsa_group_segment_fixed_size 0
		.amdhsa_private_segment_fixed_size 0
		.amdhsa_kernarg_size 64
		.amdhsa_user_sgpr_count 6
		.amdhsa_user_sgpr_private_segment_buffer 1
		.amdhsa_user_sgpr_dispatch_ptr 0
		.amdhsa_user_sgpr_queue_ptr 0
		.amdhsa_user_sgpr_kernarg_segment_ptr 1
		.amdhsa_user_sgpr_dispatch_id 0
		.amdhsa_user_sgpr_flat_scratch_init 0
		.amdhsa_user_sgpr_kernarg_preload_length 0
		.amdhsa_user_sgpr_kernarg_preload_offset 0
		.amdhsa_user_sgpr_private_segment_size 0
		.amdhsa_uses_dynamic_stack 0
		.amdhsa_system_sgpr_private_segment_wavefront_offset 0
		.amdhsa_system_sgpr_workgroup_id_x 1
		.amdhsa_system_sgpr_workgroup_id_y 0
		.amdhsa_system_sgpr_workgroup_id_z 0
		.amdhsa_system_sgpr_workgroup_info 0
		.amdhsa_system_vgpr_workitem_id 0
		.amdhsa_next_free_vgpr 1
		.amdhsa_next_free_sgpr 0
		.amdhsa_accum_offset 4
		.amdhsa_reserve_vcc 0
		.amdhsa_reserve_flat_scratch 0
		.amdhsa_float_round_mode_32 0
		.amdhsa_float_round_mode_16_64 0
		.amdhsa_float_denorm_mode_32 3
		.amdhsa_float_denorm_mode_16_64 3
		.amdhsa_dx10_clamp 1
		.amdhsa_ieee_mode 1
		.amdhsa_fp16_overflow 0
		.amdhsa_tg_split 0
		.amdhsa_exception_fp_ieee_invalid_op 0
		.amdhsa_exception_fp_denorm_src 0
		.amdhsa_exception_fp_ieee_div_zero 0
		.amdhsa_exception_fp_ieee_overflow 0
		.amdhsa_exception_fp_ieee_underflow 0
		.amdhsa_exception_fp_ieee_inexact 0
		.amdhsa_exception_int_div_zero 0
	.end_amdhsa_kernel
	.section	.text._ZN7rocprim17ROCPRIM_400000_NS6detail17trampoline_kernelINS0_14default_configENS1_38merge_sort_block_merge_config_selectorIjNS0_10empty_typeEEEZZNS1_27merge_sort_block_merge_implIS3_PjPS5_jNS1_19radix_merge_compareILb1ELb1EjNS0_19identity_decomposerEEEEE10hipError_tT0_T1_T2_jT3_P12ihipStream_tbPNSt15iterator_traitsISE_E10value_typeEPNSK_ISF_E10value_typeEPSG_NS1_7vsmem_tEENKUlT_SE_SF_SG_E_clIS8_S8_S9_S9_EESD_ST_SE_SF_SG_EUlST_E0_NS1_11comp_targetILNS1_3genE2ELNS1_11target_archE906ELNS1_3gpuE6ELNS1_3repE0EEENS1_38merge_mergepath_config_static_selectorELNS0_4arch9wavefront6targetE1EEEvSF_,"axG",@progbits,_ZN7rocprim17ROCPRIM_400000_NS6detail17trampoline_kernelINS0_14default_configENS1_38merge_sort_block_merge_config_selectorIjNS0_10empty_typeEEEZZNS1_27merge_sort_block_merge_implIS3_PjPS5_jNS1_19radix_merge_compareILb1ELb1EjNS0_19identity_decomposerEEEEE10hipError_tT0_T1_T2_jT3_P12ihipStream_tbPNSt15iterator_traitsISE_E10value_typeEPNSK_ISF_E10value_typeEPSG_NS1_7vsmem_tEENKUlT_SE_SF_SG_E_clIS8_S8_S9_S9_EESD_ST_SE_SF_SG_EUlST_E0_NS1_11comp_targetILNS1_3genE2ELNS1_11target_archE906ELNS1_3gpuE6ELNS1_3repE0EEENS1_38merge_mergepath_config_static_selectorELNS0_4arch9wavefront6targetE1EEEvSF_,comdat
.Lfunc_end2076:
	.size	_ZN7rocprim17ROCPRIM_400000_NS6detail17trampoline_kernelINS0_14default_configENS1_38merge_sort_block_merge_config_selectorIjNS0_10empty_typeEEEZZNS1_27merge_sort_block_merge_implIS3_PjPS5_jNS1_19radix_merge_compareILb1ELb1EjNS0_19identity_decomposerEEEEE10hipError_tT0_T1_T2_jT3_P12ihipStream_tbPNSt15iterator_traitsISE_E10value_typeEPNSK_ISF_E10value_typeEPSG_NS1_7vsmem_tEENKUlT_SE_SF_SG_E_clIS8_S8_S9_S9_EESD_ST_SE_SF_SG_EUlST_E0_NS1_11comp_targetILNS1_3genE2ELNS1_11target_archE906ELNS1_3gpuE6ELNS1_3repE0EEENS1_38merge_mergepath_config_static_selectorELNS0_4arch9wavefront6targetE1EEEvSF_, .Lfunc_end2076-_ZN7rocprim17ROCPRIM_400000_NS6detail17trampoline_kernelINS0_14default_configENS1_38merge_sort_block_merge_config_selectorIjNS0_10empty_typeEEEZZNS1_27merge_sort_block_merge_implIS3_PjPS5_jNS1_19radix_merge_compareILb1ELb1EjNS0_19identity_decomposerEEEEE10hipError_tT0_T1_T2_jT3_P12ihipStream_tbPNSt15iterator_traitsISE_E10value_typeEPNSK_ISF_E10value_typeEPSG_NS1_7vsmem_tEENKUlT_SE_SF_SG_E_clIS8_S8_S9_S9_EESD_ST_SE_SF_SG_EUlST_E0_NS1_11comp_targetILNS1_3genE2ELNS1_11target_archE906ELNS1_3gpuE6ELNS1_3repE0EEENS1_38merge_mergepath_config_static_selectorELNS0_4arch9wavefront6targetE1EEEvSF_
                                        ; -- End function
	.section	.AMDGPU.csdata,"",@progbits
; Kernel info:
; codeLenInByte = 0
; NumSgprs: 4
; NumVgprs: 0
; NumAgprs: 0
; TotalNumVgprs: 0
; ScratchSize: 0
; MemoryBound: 0
; FloatMode: 240
; IeeeMode: 1
; LDSByteSize: 0 bytes/workgroup (compile time only)
; SGPRBlocks: 0
; VGPRBlocks: 0
; NumSGPRsForWavesPerEU: 4
; NumVGPRsForWavesPerEU: 1
; AccumOffset: 4
; Occupancy: 8
; WaveLimiterHint : 0
; COMPUTE_PGM_RSRC2:SCRATCH_EN: 0
; COMPUTE_PGM_RSRC2:USER_SGPR: 6
; COMPUTE_PGM_RSRC2:TRAP_HANDLER: 0
; COMPUTE_PGM_RSRC2:TGID_X_EN: 1
; COMPUTE_PGM_RSRC2:TGID_Y_EN: 0
; COMPUTE_PGM_RSRC2:TGID_Z_EN: 0
; COMPUTE_PGM_RSRC2:TIDIG_COMP_CNT: 0
; COMPUTE_PGM_RSRC3_GFX90A:ACCUM_OFFSET: 0
; COMPUTE_PGM_RSRC3_GFX90A:TG_SPLIT: 0
	.section	.text._ZN7rocprim17ROCPRIM_400000_NS6detail17trampoline_kernelINS0_14default_configENS1_38merge_sort_block_merge_config_selectorIjNS0_10empty_typeEEEZZNS1_27merge_sort_block_merge_implIS3_PjPS5_jNS1_19radix_merge_compareILb1ELb1EjNS0_19identity_decomposerEEEEE10hipError_tT0_T1_T2_jT3_P12ihipStream_tbPNSt15iterator_traitsISE_E10value_typeEPNSK_ISF_E10value_typeEPSG_NS1_7vsmem_tEENKUlT_SE_SF_SG_E_clIS8_S8_S9_S9_EESD_ST_SE_SF_SG_EUlST_E0_NS1_11comp_targetILNS1_3genE9ELNS1_11target_archE1100ELNS1_3gpuE3ELNS1_3repE0EEENS1_38merge_mergepath_config_static_selectorELNS0_4arch9wavefront6targetE1EEEvSF_,"axG",@progbits,_ZN7rocprim17ROCPRIM_400000_NS6detail17trampoline_kernelINS0_14default_configENS1_38merge_sort_block_merge_config_selectorIjNS0_10empty_typeEEEZZNS1_27merge_sort_block_merge_implIS3_PjPS5_jNS1_19radix_merge_compareILb1ELb1EjNS0_19identity_decomposerEEEEE10hipError_tT0_T1_T2_jT3_P12ihipStream_tbPNSt15iterator_traitsISE_E10value_typeEPNSK_ISF_E10value_typeEPSG_NS1_7vsmem_tEENKUlT_SE_SF_SG_E_clIS8_S8_S9_S9_EESD_ST_SE_SF_SG_EUlST_E0_NS1_11comp_targetILNS1_3genE9ELNS1_11target_archE1100ELNS1_3gpuE3ELNS1_3repE0EEENS1_38merge_mergepath_config_static_selectorELNS0_4arch9wavefront6targetE1EEEvSF_,comdat
	.protected	_ZN7rocprim17ROCPRIM_400000_NS6detail17trampoline_kernelINS0_14default_configENS1_38merge_sort_block_merge_config_selectorIjNS0_10empty_typeEEEZZNS1_27merge_sort_block_merge_implIS3_PjPS5_jNS1_19radix_merge_compareILb1ELb1EjNS0_19identity_decomposerEEEEE10hipError_tT0_T1_T2_jT3_P12ihipStream_tbPNSt15iterator_traitsISE_E10value_typeEPNSK_ISF_E10value_typeEPSG_NS1_7vsmem_tEENKUlT_SE_SF_SG_E_clIS8_S8_S9_S9_EESD_ST_SE_SF_SG_EUlST_E0_NS1_11comp_targetILNS1_3genE9ELNS1_11target_archE1100ELNS1_3gpuE3ELNS1_3repE0EEENS1_38merge_mergepath_config_static_selectorELNS0_4arch9wavefront6targetE1EEEvSF_ ; -- Begin function _ZN7rocprim17ROCPRIM_400000_NS6detail17trampoline_kernelINS0_14default_configENS1_38merge_sort_block_merge_config_selectorIjNS0_10empty_typeEEEZZNS1_27merge_sort_block_merge_implIS3_PjPS5_jNS1_19radix_merge_compareILb1ELb1EjNS0_19identity_decomposerEEEEE10hipError_tT0_T1_T2_jT3_P12ihipStream_tbPNSt15iterator_traitsISE_E10value_typeEPNSK_ISF_E10value_typeEPSG_NS1_7vsmem_tEENKUlT_SE_SF_SG_E_clIS8_S8_S9_S9_EESD_ST_SE_SF_SG_EUlST_E0_NS1_11comp_targetILNS1_3genE9ELNS1_11target_archE1100ELNS1_3gpuE3ELNS1_3repE0EEENS1_38merge_mergepath_config_static_selectorELNS0_4arch9wavefront6targetE1EEEvSF_
	.globl	_ZN7rocprim17ROCPRIM_400000_NS6detail17trampoline_kernelINS0_14default_configENS1_38merge_sort_block_merge_config_selectorIjNS0_10empty_typeEEEZZNS1_27merge_sort_block_merge_implIS3_PjPS5_jNS1_19radix_merge_compareILb1ELb1EjNS0_19identity_decomposerEEEEE10hipError_tT0_T1_T2_jT3_P12ihipStream_tbPNSt15iterator_traitsISE_E10value_typeEPNSK_ISF_E10value_typeEPSG_NS1_7vsmem_tEENKUlT_SE_SF_SG_E_clIS8_S8_S9_S9_EESD_ST_SE_SF_SG_EUlST_E0_NS1_11comp_targetILNS1_3genE9ELNS1_11target_archE1100ELNS1_3gpuE3ELNS1_3repE0EEENS1_38merge_mergepath_config_static_selectorELNS0_4arch9wavefront6targetE1EEEvSF_
	.p2align	8
	.type	_ZN7rocprim17ROCPRIM_400000_NS6detail17trampoline_kernelINS0_14default_configENS1_38merge_sort_block_merge_config_selectorIjNS0_10empty_typeEEEZZNS1_27merge_sort_block_merge_implIS3_PjPS5_jNS1_19radix_merge_compareILb1ELb1EjNS0_19identity_decomposerEEEEE10hipError_tT0_T1_T2_jT3_P12ihipStream_tbPNSt15iterator_traitsISE_E10value_typeEPNSK_ISF_E10value_typeEPSG_NS1_7vsmem_tEENKUlT_SE_SF_SG_E_clIS8_S8_S9_S9_EESD_ST_SE_SF_SG_EUlST_E0_NS1_11comp_targetILNS1_3genE9ELNS1_11target_archE1100ELNS1_3gpuE3ELNS1_3repE0EEENS1_38merge_mergepath_config_static_selectorELNS0_4arch9wavefront6targetE1EEEvSF_,@function
_ZN7rocprim17ROCPRIM_400000_NS6detail17trampoline_kernelINS0_14default_configENS1_38merge_sort_block_merge_config_selectorIjNS0_10empty_typeEEEZZNS1_27merge_sort_block_merge_implIS3_PjPS5_jNS1_19radix_merge_compareILb1ELb1EjNS0_19identity_decomposerEEEEE10hipError_tT0_T1_T2_jT3_P12ihipStream_tbPNSt15iterator_traitsISE_E10value_typeEPNSK_ISF_E10value_typeEPSG_NS1_7vsmem_tEENKUlT_SE_SF_SG_E_clIS8_S8_S9_S9_EESD_ST_SE_SF_SG_EUlST_E0_NS1_11comp_targetILNS1_3genE9ELNS1_11target_archE1100ELNS1_3gpuE3ELNS1_3repE0EEENS1_38merge_mergepath_config_static_selectorELNS0_4arch9wavefront6targetE1EEEvSF_: ; @_ZN7rocprim17ROCPRIM_400000_NS6detail17trampoline_kernelINS0_14default_configENS1_38merge_sort_block_merge_config_selectorIjNS0_10empty_typeEEEZZNS1_27merge_sort_block_merge_implIS3_PjPS5_jNS1_19radix_merge_compareILb1ELb1EjNS0_19identity_decomposerEEEEE10hipError_tT0_T1_T2_jT3_P12ihipStream_tbPNSt15iterator_traitsISE_E10value_typeEPNSK_ISF_E10value_typeEPSG_NS1_7vsmem_tEENKUlT_SE_SF_SG_E_clIS8_S8_S9_S9_EESD_ST_SE_SF_SG_EUlST_E0_NS1_11comp_targetILNS1_3genE9ELNS1_11target_archE1100ELNS1_3gpuE3ELNS1_3repE0EEENS1_38merge_mergepath_config_static_selectorELNS0_4arch9wavefront6targetE1EEEvSF_
; %bb.0:
	.section	.rodata,"a",@progbits
	.p2align	6, 0x0
	.amdhsa_kernel _ZN7rocprim17ROCPRIM_400000_NS6detail17trampoline_kernelINS0_14default_configENS1_38merge_sort_block_merge_config_selectorIjNS0_10empty_typeEEEZZNS1_27merge_sort_block_merge_implIS3_PjPS5_jNS1_19radix_merge_compareILb1ELb1EjNS0_19identity_decomposerEEEEE10hipError_tT0_T1_T2_jT3_P12ihipStream_tbPNSt15iterator_traitsISE_E10value_typeEPNSK_ISF_E10value_typeEPSG_NS1_7vsmem_tEENKUlT_SE_SF_SG_E_clIS8_S8_S9_S9_EESD_ST_SE_SF_SG_EUlST_E0_NS1_11comp_targetILNS1_3genE9ELNS1_11target_archE1100ELNS1_3gpuE3ELNS1_3repE0EEENS1_38merge_mergepath_config_static_selectorELNS0_4arch9wavefront6targetE1EEEvSF_
		.amdhsa_group_segment_fixed_size 0
		.amdhsa_private_segment_fixed_size 0
		.amdhsa_kernarg_size 64
		.amdhsa_user_sgpr_count 6
		.amdhsa_user_sgpr_private_segment_buffer 1
		.amdhsa_user_sgpr_dispatch_ptr 0
		.amdhsa_user_sgpr_queue_ptr 0
		.amdhsa_user_sgpr_kernarg_segment_ptr 1
		.amdhsa_user_sgpr_dispatch_id 0
		.amdhsa_user_sgpr_flat_scratch_init 0
		.amdhsa_user_sgpr_kernarg_preload_length 0
		.amdhsa_user_sgpr_kernarg_preload_offset 0
		.amdhsa_user_sgpr_private_segment_size 0
		.amdhsa_uses_dynamic_stack 0
		.amdhsa_system_sgpr_private_segment_wavefront_offset 0
		.amdhsa_system_sgpr_workgroup_id_x 1
		.amdhsa_system_sgpr_workgroup_id_y 0
		.amdhsa_system_sgpr_workgroup_id_z 0
		.amdhsa_system_sgpr_workgroup_info 0
		.amdhsa_system_vgpr_workitem_id 0
		.amdhsa_next_free_vgpr 1
		.amdhsa_next_free_sgpr 0
		.amdhsa_accum_offset 4
		.amdhsa_reserve_vcc 0
		.amdhsa_reserve_flat_scratch 0
		.amdhsa_float_round_mode_32 0
		.amdhsa_float_round_mode_16_64 0
		.amdhsa_float_denorm_mode_32 3
		.amdhsa_float_denorm_mode_16_64 3
		.amdhsa_dx10_clamp 1
		.amdhsa_ieee_mode 1
		.amdhsa_fp16_overflow 0
		.amdhsa_tg_split 0
		.amdhsa_exception_fp_ieee_invalid_op 0
		.amdhsa_exception_fp_denorm_src 0
		.amdhsa_exception_fp_ieee_div_zero 0
		.amdhsa_exception_fp_ieee_overflow 0
		.amdhsa_exception_fp_ieee_underflow 0
		.amdhsa_exception_fp_ieee_inexact 0
		.amdhsa_exception_int_div_zero 0
	.end_amdhsa_kernel
	.section	.text._ZN7rocprim17ROCPRIM_400000_NS6detail17trampoline_kernelINS0_14default_configENS1_38merge_sort_block_merge_config_selectorIjNS0_10empty_typeEEEZZNS1_27merge_sort_block_merge_implIS3_PjPS5_jNS1_19radix_merge_compareILb1ELb1EjNS0_19identity_decomposerEEEEE10hipError_tT0_T1_T2_jT3_P12ihipStream_tbPNSt15iterator_traitsISE_E10value_typeEPNSK_ISF_E10value_typeEPSG_NS1_7vsmem_tEENKUlT_SE_SF_SG_E_clIS8_S8_S9_S9_EESD_ST_SE_SF_SG_EUlST_E0_NS1_11comp_targetILNS1_3genE9ELNS1_11target_archE1100ELNS1_3gpuE3ELNS1_3repE0EEENS1_38merge_mergepath_config_static_selectorELNS0_4arch9wavefront6targetE1EEEvSF_,"axG",@progbits,_ZN7rocprim17ROCPRIM_400000_NS6detail17trampoline_kernelINS0_14default_configENS1_38merge_sort_block_merge_config_selectorIjNS0_10empty_typeEEEZZNS1_27merge_sort_block_merge_implIS3_PjPS5_jNS1_19radix_merge_compareILb1ELb1EjNS0_19identity_decomposerEEEEE10hipError_tT0_T1_T2_jT3_P12ihipStream_tbPNSt15iterator_traitsISE_E10value_typeEPNSK_ISF_E10value_typeEPSG_NS1_7vsmem_tEENKUlT_SE_SF_SG_E_clIS8_S8_S9_S9_EESD_ST_SE_SF_SG_EUlST_E0_NS1_11comp_targetILNS1_3genE9ELNS1_11target_archE1100ELNS1_3gpuE3ELNS1_3repE0EEENS1_38merge_mergepath_config_static_selectorELNS0_4arch9wavefront6targetE1EEEvSF_,comdat
.Lfunc_end2077:
	.size	_ZN7rocprim17ROCPRIM_400000_NS6detail17trampoline_kernelINS0_14default_configENS1_38merge_sort_block_merge_config_selectorIjNS0_10empty_typeEEEZZNS1_27merge_sort_block_merge_implIS3_PjPS5_jNS1_19radix_merge_compareILb1ELb1EjNS0_19identity_decomposerEEEEE10hipError_tT0_T1_T2_jT3_P12ihipStream_tbPNSt15iterator_traitsISE_E10value_typeEPNSK_ISF_E10value_typeEPSG_NS1_7vsmem_tEENKUlT_SE_SF_SG_E_clIS8_S8_S9_S9_EESD_ST_SE_SF_SG_EUlST_E0_NS1_11comp_targetILNS1_3genE9ELNS1_11target_archE1100ELNS1_3gpuE3ELNS1_3repE0EEENS1_38merge_mergepath_config_static_selectorELNS0_4arch9wavefront6targetE1EEEvSF_, .Lfunc_end2077-_ZN7rocprim17ROCPRIM_400000_NS6detail17trampoline_kernelINS0_14default_configENS1_38merge_sort_block_merge_config_selectorIjNS0_10empty_typeEEEZZNS1_27merge_sort_block_merge_implIS3_PjPS5_jNS1_19radix_merge_compareILb1ELb1EjNS0_19identity_decomposerEEEEE10hipError_tT0_T1_T2_jT3_P12ihipStream_tbPNSt15iterator_traitsISE_E10value_typeEPNSK_ISF_E10value_typeEPSG_NS1_7vsmem_tEENKUlT_SE_SF_SG_E_clIS8_S8_S9_S9_EESD_ST_SE_SF_SG_EUlST_E0_NS1_11comp_targetILNS1_3genE9ELNS1_11target_archE1100ELNS1_3gpuE3ELNS1_3repE0EEENS1_38merge_mergepath_config_static_selectorELNS0_4arch9wavefront6targetE1EEEvSF_
                                        ; -- End function
	.section	.AMDGPU.csdata,"",@progbits
; Kernel info:
; codeLenInByte = 0
; NumSgprs: 4
; NumVgprs: 0
; NumAgprs: 0
; TotalNumVgprs: 0
; ScratchSize: 0
; MemoryBound: 0
; FloatMode: 240
; IeeeMode: 1
; LDSByteSize: 0 bytes/workgroup (compile time only)
; SGPRBlocks: 0
; VGPRBlocks: 0
; NumSGPRsForWavesPerEU: 4
; NumVGPRsForWavesPerEU: 1
; AccumOffset: 4
; Occupancy: 8
; WaveLimiterHint : 0
; COMPUTE_PGM_RSRC2:SCRATCH_EN: 0
; COMPUTE_PGM_RSRC2:USER_SGPR: 6
; COMPUTE_PGM_RSRC2:TRAP_HANDLER: 0
; COMPUTE_PGM_RSRC2:TGID_X_EN: 1
; COMPUTE_PGM_RSRC2:TGID_Y_EN: 0
; COMPUTE_PGM_RSRC2:TGID_Z_EN: 0
; COMPUTE_PGM_RSRC2:TIDIG_COMP_CNT: 0
; COMPUTE_PGM_RSRC3_GFX90A:ACCUM_OFFSET: 0
; COMPUTE_PGM_RSRC3_GFX90A:TG_SPLIT: 0
	.section	.text._ZN7rocprim17ROCPRIM_400000_NS6detail17trampoline_kernelINS0_14default_configENS1_38merge_sort_block_merge_config_selectorIjNS0_10empty_typeEEEZZNS1_27merge_sort_block_merge_implIS3_PjPS5_jNS1_19radix_merge_compareILb1ELb1EjNS0_19identity_decomposerEEEEE10hipError_tT0_T1_T2_jT3_P12ihipStream_tbPNSt15iterator_traitsISE_E10value_typeEPNSK_ISF_E10value_typeEPSG_NS1_7vsmem_tEENKUlT_SE_SF_SG_E_clIS8_S8_S9_S9_EESD_ST_SE_SF_SG_EUlST_E0_NS1_11comp_targetILNS1_3genE8ELNS1_11target_archE1030ELNS1_3gpuE2ELNS1_3repE0EEENS1_38merge_mergepath_config_static_selectorELNS0_4arch9wavefront6targetE1EEEvSF_,"axG",@progbits,_ZN7rocprim17ROCPRIM_400000_NS6detail17trampoline_kernelINS0_14default_configENS1_38merge_sort_block_merge_config_selectorIjNS0_10empty_typeEEEZZNS1_27merge_sort_block_merge_implIS3_PjPS5_jNS1_19radix_merge_compareILb1ELb1EjNS0_19identity_decomposerEEEEE10hipError_tT0_T1_T2_jT3_P12ihipStream_tbPNSt15iterator_traitsISE_E10value_typeEPNSK_ISF_E10value_typeEPSG_NS1_7vsmem_tEENKUlT_SE_SF_SG_E_clIS8_S8_S9_S9_EESD_ST_SE_SF_SG_EUlST_E0_NS1_11comp_targetILNS1_3genE8ELNS1_11target_archE1030ELNS1_3gpuE2ELNS1_3repE0EEENS1_38merge_mergepath_config_static_selectorELNS0_4arch9wavefront6targetE1EEEvSF_,comdat
	.protected	_ZN7rocprim17ROCPRIM_400000_NS6detail17trampoline_kernelINS0_14default_configENS1_38merge_sort_block_merge_config_selectorIjNS0_10empty_typeEEEZZNS1_27merge_sort_block_merge_implIS3_PjPS5_jNS1_19radix_merge_compareILb1ELb1EjNS0_19identity_decomposerEEEEE10hipError_tT0_T1_T2_jT3_P12ihipStream_tbPNSt15iterator_traitsISE_E10value_typeEPNSK_ISF_E10value_typeEPSG_NS1_7vsmem_tEENKUlT_SE_SF_SG_E_clIS8_S8_S9_S9_EESD_ST_SE_SF_SG_EUlST_E0_NS1_11comp_targetILNS1_3genE8ELNS1_11target_archE1030ELNS1_3gpuE2ELNS1_3repE0EEENS1_38merge_mergepath_config_static_selectorELNS0_4arch9wavefront6targetE1EEEvSF_ ; -- Begin function _ZN7rocprim17ROCPRIM_400000_NS6detail17trampoline_kernelINS0_14default_configENS1_38merge_sort_block_merge_config_selectorIjNS0_10empty_typeEEEZZNS1_27merge_sort_block_merge_implIS3_PjPS5_jNS1_19radix_merge_compareILb1ELb1EjNS0_19identity_decomposerEEEEE10hipError_tT0_T1_T2_jT3_P12ihipStream_tbPNSt15iterator_traitsISE_E10value_typeEPNSK_ISF_E10value_typeEPSG_NS1_7vsmem_tEENKUlT_SE_SF_SG_E_clIS8_S8_S9_S9_EESD_ST_SE_SF_SG_EUlST_E0_NS1_11comp_targetILNS1_3genE8ELNS1_11target_archE1030ELNS1_3gpuE2ELNS1_3repE0EEENS1_38merge_mergepath_config_static_selectorELNS0_4arch9wavefront6targetE1EEEvSF_
	.globl	_ZN7rocprim17ROCPRIM_400000_NS6detail17trampoline_kernelINS0_14default_configENS1_38merge_sort_block_merge_config_selectorIjNS0_10empty_typeEEEZZNS1_27merge_sort_block_merge_implIS3_PjPS5_jNS1_19radix_merge_compareILb1ELb1EjNS0_19identity_decomposerEEEEE10hipError_tT0_T1_T2_jT3_P12ihipStream_tbPNSt15iterator_traitsISE_E10value_typeEPNSK_ISF_E10value_typeEPSG_NS1_7vsmem_tEENKUlT_SE_SF_SG_E_clIS8_S8_S9_S9_EESD_ST_SE_SF_SG_EUlST_E0_NS1_11comp_targetILNS1_3genE8ELNS1_11target_archE1030ELNS1_3gpuE2ELNS1_3repE0EEENS1_38merge_mergepath_config_static_selectorELNS0_4arch9wavefront6targetE1EEEvSF_
	.p2align	8
	.type	_ZN7rocprim17ROCPRIM_400000_NS6detail17trampoline_kernelINS0_14default_configENS1_38merge_sort_block_merge_config_selectorIjNS0_10empty_typeEEEZZNS1_27merge_sort_block_merge_implIS3_PjPS5_jNS1_19radix_merge_compareILb1ELb1EjNS0_19identity_decomposerEEEEE10hipError_tT0_T1_T2_jT3_P12ihipStream_tbPNSt15iterator_traitsISE_E10value_typeEPNSK_ISF_E10value_typeEPSG_NS1_7vsmem_tEENKUlT_SE_SF_SG_E_clIS8_S8_S9_S9_EESD_ST_SE_SF_SG_EUlST_E0_NS1_11comp_targetILNS1_3genE8ELNS1_11target_archE1030ELNS1_3gpuE2ELNS1_3repE0EEENS1_38merge_mergepath_config_static_selectorELNS0_4arch9wavefront6targetE1EEEvSF_,@function
_ZN7rocprim17ROCPRIM_400000_NS6detail17trampoline_kernelINS0_14default_configENS1_38merge_sort_block_merge_config_selectorIjNS0_10empty_typeEEEZZNS1_27merge_sort_block_merge_implIS3_PjPS5_jNS1_19radix_merge_compareILb1ELb1EjNS0_19identity_decomposerEEEEE10hipError_tT0_T1_T2_jT3_P12ihipStream_tbPNSt15iterator_traitsISE_E10value_typeEPNSK_ISF_E10value_typeEPSG_NS1_7vsmem_tEENKUlT_SE_SF_SG_E_clIS8_S8_S9_S9_EESD_ST_SE_SF_SG_EUlST_E0_NS1_11comp_targetILNS1_3genE8ELNS1_11target_archE1030ELNS1_3gpuE2ELNS1_3repE0EEENS1_38merge_mergepath_config_static_selectorELNS0_4arch9wavefront6targetE1EEEvSF_: ; @_ZN7rocprim17ROCPRIM_400000_NS6detail17trampoline_kernelINS0_14default_configENS1_38merge_sort_block_merge_config_selectorIjNS0_10empty_typeEEEZZNS1_27merge_sort_block_merge_implIS3_PjPS5_jNS1_19radix_merge_compareILb1ELb1EjNS0_19identity_decomposerEEEEE10hipError_tT0_T1_T2_jT3_P12ihipStream_tbPNSt15iterator_traitsISE_E10value_typeEPNSK_ISF_E10value_typeEPSG_NS1_7vsmem_tEENKUlT_SE_SF_SG_E_clIS8_S8_S9_S9_EESD_ST_SE_SF_SG_EUlST_E0_NS1_11comp_targetILNS1_3genE8ELNS1_11target_archE1030ELNS1_3gpuE2ELNS1_3repE0EEENS1_38merge_mergepath_config_static_selectorELNS0_4arch9wavefront6targetE1EEEvSF_
; %bb.0:
	.section	.rodata,"a",@progbits
	.p2align	6, 0x0
	.amdhsa_kernel _ZN7rocprim17ROCPRIM_400000_NS6detail17trampoline_kernelINS0_14default_configENS1_38merge_sort_block_merge_config_selectorIjNS0_10empty_typeEEEZZNS1_27merge_sort_block_merge_implIS3_PjPS5_jNS1_19radix_merge_compareILb1ELb1EjNS0_19identity_decomposerEEEEE10hipError_tT0_T1_T2_jT3_P12ihipStream_tbPNSt15iterator_traitsISE_E10value_typeEPNSK_ISF_E10value_typeEPSG_NS1_7vsmem_tEENKUlT_SE_SF_SG_E_clIS8_S8_S9_S9_EESD_ST_SE_SF_SG_EUlST_E0_NS1_11comp_targetILNS1_3genE8ELNS1_11target_archE1030ELNS1_3gpuE2ELNS1_3repE0EEENS1_38merge_mergepath_config_static_selectorELNS0_4arch9wavefront6targetE1EEEvSF_
		.amdhsa_group_segment_fixed_size 0
		.amdhsa_private_segment_fixed_size 0
		.amdhsa_kernarg_size 64
		.amdhsa_user_sgpr_count 6
		.amdhsa_user_sgpr_private_segment_buffer 1
		.amdhsa_user_sgpr_dispatch_ptr 0
		.amdhsa_user_sgpr_queue_ptr 0
		.amdhsa_user_sgpr_kernarg_segment_ptr 1
		.amdhsa_user_sgpr_dispatch_id 0
		.amdhsa_user_sgpr_flat_scratch_init 0
		.amdhsa_user_sgpr_kernarg_preload_length 0
		.amdhsa_user_sgpr_kernarg_preload_offset 0
		.amdhsa_user_sgpr_private_segment_size 0
		.amdhsa_uses_dynamic_stack 0
		.amdhsa_system_sgpr_private_segment_wavefront_offset 0
		.amdhsa_system_sgpr_workgroup_id_x 1
		.amdhsa_system_sgpr_workgroup_id_y 0
		.amdhsa_system_sgpr_workgroup_id_z 0
		.amdhsa_system_sgpr_workgroup_info 0
		.amdhsa_system_vgpr_workitem_id 0
		.amdhsa_next_free_vgpr 1
		.amdhsa_next_free_sgpr 0
		.amdhsa_accum_offset 4
		.amdhsa_reserve_vcc 0
		.amdhsa_reserve_flat_scratch 0
		.amdhsa_float_round_mode_32 0
		.amdhsa_float_round_mode_16_64 0
		.amdhsa_float_denorm_mode_32 3
		.amdhsa_float_denorm_mode_16_64 3
		.amdhsa_dx10_clamp 1
		.amdhsa_ieee_mode 1
		.amdhsa_fp16_overflow 0
		.amdhsa_tg_split 0
		.amdhsa_exception_fp_ieee_invalid_op 0
		.amdhsa_exception_fp_denorm_src 0
		.amdhsa_exception_fp_ieee_div_zero 0
		.amdhsa_exception_fp_ieee_overflow 0
		.amdhsa_exception_fp_ieee_underflow 0
		.amdhsa_exception_fp_ieee_inexact 0
		.amdhsa_exception_int_div_zero 0
	.end_amdhsa_kernel
	.section	.text._ZN7rocprim17ROCPRIM_400000_NS6detail17trampoline_kernelINS0_14default_configENS1_38merge_sort_block_merge_config_selectorIjNS0_10empty_typeEEEZZNS1_27merge_sort_block_merge_implIS3_PjPS5_jNS1_19radix_merge_compareILb1ELb1EjNS0_19identity_decomposerEEEEE10hipError_tT0_T1_T2_jT3_P12ihipStream_tbPNSt15iterator_traitsISE_E10value_typeEPNSK_ISF_E10value_typeEPSG_NS1_7vsmem_tEENKUlT_SE_SF_SG_E_clIS8_S8_S9_S9_EESD_ST_SE_SF_SG_EUlST_E0_NS1_11comp_targetILNS1_3genE8ELNS1_11target_archE1030ELNS1_3gpuE2ELNS1_3repE0EEENS1_38merge_mergepath_config_static_selectorELNS0_4arch9wavefront6targetE1EEEvSF_,"axG",@progbits,_ZN7rocprim17ROCPRIM_400000_NS6detail17trampoline_kernelINS0_14default_configENS1_38merge_sort_block_merge_config_selectorIjNS0_10empty_typeEEEZZNS1_27merge_sort_block_merge_implIS3_PjPS5_jNS1_19radix_merge_compareILb1ELb1EjNS0_19identity_decomposerEEEEE10hipError_tT0_T1_T2_jT3_P12ihipStream_tbPNSt15iterator_traitsISE_E10value_typeEPNSK_ISF_E10value_typeEPSG_NS1_7vsmem_tEENKUlT_SE_SF_SG_E_clIS8_S8_S9_S9_EESD_ST_SE_SF_SG_EUlST_E0_NS1_11comp_targetILNS1_3genE8ELNS1_11target_archE1030ELNS1_3gpuE2ELNS1_3repE0EEENS1_38merge_mergepath_config_static_selectorELNS0_4arch9wavefront6targetE1EEEvSF_,comdat
.Lfunc_end2078:
	.size	_ZN7rocprim17ROCPRIM_400000_NS6detail17trampoline_kernelINS0_14default_configENS1_38merge_sort_block_merge_config_selectorIjNS0_10empty_typeEEEZZNS1_27merge_sort_block_merge_implIS3_PjPS5_jNS1_19radix_merge_compareILb1ELb1EjNS0_19identity_decomposerEEEEE10hipError_tT0_T1_T2_jT3_P12ihipStream_tbPNSt15iterator_traitsISE_E10value_typeEPNSK_ISF_E10value_typeEPSG_NS1_7vsmem_tEENKUlT_SE_SF_SG_E_clIS8_S8_S9_S9_EESD_ST_SE_SF_SG_EUlST_E0_NS1_11comp_targetILNS1_3genE8ELNS1_11target_archE1030ELNS1_3gpuE2ELNS1_3repE0EEENS1_38merge_mergepath_config_static_selectorELNS0_4arch9wavefront6targetE1EEEvSF_, .Lfunc_end2078-_ZN7rocprim17ROCPRIM_400000_NS6detail17trampoline_kernelINS0_14default_configENS1_38merge_sort_block_merge_config_selectorIjNS0_10empty_typeEEEZZNS1_27merge_sort_block_merge_implIS3_PjPS5_jNS1_19radix_merge_compareILb1ELb1EjNS0_19identity_decomposerEEEEE10hipError_tT0_T1_T2_jT3_P12ihipStream_tbPNSt15iterator_traitsISE_E10value_typeEPNSK_ISF_E10value_typeEPSG_NS1_7vsmem_tEENKUlT_SE_SF_SG_E_clIS8_S8_S9_S9_EESD_ST_SE_SF_SG_EUlST_E0_NS1_11comp_targetILNS1_3genE8ELNS1_11target_archE1030ELNS1_3gpuE2ELNS1_3repE0EEENS1_38merge_mergepath_config_static_selectorELNS0_4arch9wavefront6targetE1EEEvSF_
                                        ; -- End function
	.section	.AMDGPU.csdata,"",@progbits
; Kernel info:
; codeLenInByte = 0
; NumSgprs: 4
; NumVgprs: 0
; NumAgprs: 0
; TotalNumVgprs: 0
; ScratchSize: 0
; MemoryBound: 0
; FloatMode: 240
; IeeeMode: 1
; LDSByteSize: 0 bytes/workgroup (compile time only)
; SGPRBlocks: 0
; VGPRBlocks: 0
; NumSGPRsForWavesPerEU: 4
; NumVGPRsForWavesPerEU: 1
; AccumOffset: 4
; Occupancy: 8
; WaveLimiterHint : 0
; COMPUTE_PGM_RSRC2:SCRATCH_EN: 0
; COMPUTE_PGM_RSRC2:USER_SGPR: 6
; COMPUTE_PGM_RSRC2:TRAP_HANDLER: 0
; COMPUTE_PGM_RSRC2:TGID_X_EN: 1
; COMPUTE_PGM_RSRC2:TGID_Y_EN: 0
; COMPUTE_PGM_RSRC2:TGID_Z_EN: 0
; COMPUTE_PGM_RSRC2:TIDIG_COMP_CNT: 0
; COMPUTE_PGM_RSRC3_GFX90A:ACCUM_OFFSET: 0
; COMPUTE_PGM_RSRC3_GFX90A:TG_SPLIT: 0
	.section	.text._ZN7rocprim17ROCPRIM_400000_NS6detail17trampoline_kernelINS0_14default_configENS1_38merge_sort_block_merge_config_selectorIjNS0_10empty_typeEEEZZNS1_27merge_sort_block_merge_implIS3_PjPS5_jNS1_19radix_merge_compareILb1ELb1EjNS0_19identity_decomposerEEEEE10hipError_tT0_T1_T2_jT3_P12ihipStream_tbPNSt15iterator_traitsISE_E10value_typeEPNSK_ISF_E10value_typeEPSG_NS1_7vsmem_tEENKUlT_SE_SF_SG_E_clIS8_S8_S9_S9_EESD_ST_SE_SF_SG_EUlST_E1_NS1_11comp_targetILNS1_3genE0ELNS1_11target_archE4294967295ELNS1_3gpuE0ELNS1_3repE0EEENS1_36merge_oddeven_config_static_selectorELNS0_4arch9wavefront6targetE1EEEvSF_,"axG",@progbits,_ZN7rocprim17ROCPRIM_400000_NS6detail17trampoline_kernelINS0_14default_configENS1_38merge_sort_block_merge_config_selectorIjNS0_10empty_typeEEEZZNS1_27merge_sort_block_merge_implIS3_PjPS5_jNS1_19radix_merge_compareILb1ELb1EjNS0_19identity_decomposerEEEEE10hipError_tT0_T1_T2_jT3_P12ihipStream_tbPNSt15iterator_traitsISE_E10value_typeEPNSK_ISF_E10value_typeEPSG_NS1_7vsmem_tEENKUlT_SE_SF_SG_E_clIS8_S8_S9_S9_EESD_ST_SE_SF_SG_EUlST_E1_NS1_11comp_targetILNS1_3genE0ELNS1_11target_archE4294967295ELNS1_3gpuE0ELNS1_3repE0EEENS1_36merge_oddeven_config_static_selectorELNS0_4arch9wavefront6targetE1EEEvSF_,comdat
	.protected	_ZN7rocprim17ROCPRIM_400000_NS6detail17trampoline_kernelINS0_14default_configENS1_38merge_sort_block_merge_config_selectorIjNS0_10empty_typeEEEZZNS1_27merge_sort_block_merge_implIS3_PjPS5_jNS1_19radix_merge_compareILb1ELb1EjNS0_19identity_decomposerEEEEE10hipError_tT0_T1_T2_jT3_P12ihipStream_tbPNSt15iterator_traitsISE_E10value_typeEPNSK_ISF_E10value_typeEPSG_NS1_7vsmem_tEENKUlT_SE_SF_SG_E_clIS8_S8_S9_S9_EESD_ST_SE_SF_SG_EUlST_E1_NS1_11comp_targetILNS1_3genE0ELNS1_11target_archE4294967295ELNS1_3gpuE0ELNS1_3repE0EEENS1_36merge_oddeven_config_static_selectorELNS0_4arch9wavefront6targetE1EEEvSF_ ; -- Begin function _ZN7rocprim17ROCPRIM_400000_NS6detail17trampoline_kernelINS0_14default_configENS1_38merge_sort_block_merge_config_selectorIjNS0_10empty_typeEEEZZNS1_27merge_sort_block_merge_implIS3_PjPS5_jNS1_19radix_merge_compareILb1ELb1EjNS0_19identity_decomposerEEEEE10hipError_tT0_T1_T2_jT3_P12ihipStream_tbPNSt15iterator_traitsISE_E10value_typeEPNSK_ISF_E10value_typeEPSG_NS1_7vsmem_tEENKUlT_SE_SF_SG_E_clIS8_S8_S9_S9_EESD_ST_SE_SF_SG_EUlST_E1_NS1_11comp_targetILNS1_3genE0ELNS1_11target_archE4294967295ELNS1_3gpuE0ELNS1_3repE0EEENS1_36merge_oddeven_config_static_selectorELNS0_4arch9wavefront6targetE1EEEvSF_
	.globl	_ZN7rocprim17ROCPRIM_400000_NS6detail17trampoline_kernelINS0_14default_configENS1_38merge_sort_block_merge_config_selectorIjNS0_10empty_typeEEEZZNS1_27merge_sort_block_merge_implIS3_PjPS5_jNS1_19radix_merge_compareILb1ELb1EjNS0_19identity_decomposerEEEEE10hipError_tT0_T1_T2_jT3_P12ihipStream_tbPNSt15iterator_traitsISE_E10value_typeEPNSK_ISF_E10value_typeEPSG_NS1_7vsmem_tEENKUlT_SE_SF_SG_E_clIS8_S8_S9_S9_EESD_ST_SE_SF_SG_EUlST_E1_NS1_11comp_targetILNS1_3genE0ELNS1_11target_archE4294967295ELNS1_3gpuE0ELNS1_3repE0EEENS1_36merge_oddeven_config_static_selectorELNS0_4arch9wavefront6targetE1EEEvSF_
	.p2align	8
	.type	_ZN7rocprim17ROCPRIM_400000_NS6detail17trampoline_kernelINS0_14default_configENS1_38merge_sort_block_merge_config_selectorIjNS0_10empty_typeEEEZZNS1_27merge_sort_block_merge_implIS3_PjPS5_jNS1_19radix_merge_compareILb1ELb1EjNS0_19identity_decomposerEEEEE10hipError_tT0_T1_T2_jT3_P12ihipStream_tbPNSt15iterator_traitsISE_E10value_typeEPNSK_ISF_E10value_typeEPSG_NS1_7vsmem_tEENKUlT_SE_SF_SG_E_clIS8_S8_S9_S9_EESD_ST_SE_SF_SG_EUlST_E1_NS1_11comp_targetILNS1_3genE0ELNS1_11target_archE4294967295ELNS1_3gpuE0ELNS1_3repE0EEENS1_36merge_oddeven_config_static_selectorELNS0_4arch9wavefront6targetE1EEEvSF_,@function
_ZN7rocprim17ROCPRIM_400000_NS6detail17trampoline_kernelINS0_14default_configENS1_38merge_sort_block_merge_config_selectorIjNS0_10empty_typeEEEZZNS1_27merge_sort_block_merge_implIS3_PjPS5_jNS1_19radix_merge_compareILb1ELb1EjNS0_19identity_decomposerEEEEE10hipError_tT0_T1_T2_jT3_P12ihipStream_tbPNSt15iterator_traitsISE_E10value_typeEPNSK_ISF_E10value_typeEPSG_NS1_7vsmem_tEENKUlT_SE_SF_SG_E_clIS8_S8_S9_S9_EESD_ST_SE_SF_SG_EUlST_E1_NS1_11comp_targetILNS1_3genE0ELNS1_11target_archE4294967295ELNS1_3gpuE0ELNS1_3repE0EEENS1_36merge_oddeven_config_static_selectorELNS0_4arch9wavefront6targetE1EEEvSF_: ; @_ZN7rocprim17ROCPRIM_400000_NS6detail17trampoline_kernelINS0_14default_configENS1_38merge_sort_block_merge_config_selectorIjNS0_10empty_typeEEEZZNS1_27merge_sort_block_merge_implIS3_PjPS5_jNS1_19radix_merge_compareILb1ELb1EjNS0_19identity_decomposerEEEEE10hipError_tT0_T1_T2_jT3_P12ihipStream_tbPNSt15iterator_traitsISE_E10value_typeEPNSK_ISF_E10value_typeEPSG_NS1_7vsmem_tEENKUlT_SE_SF_SG_E_clIS8_S8_S9_S9_EESD_ST_SE_SF_SG_EUlST_E1_NS1_11comp_targetILNS1_3genE0ELNS1_11target_archE4294967295ELNS1_3gpuE0ELNS1_3repE0EEENS1_36merge_oddeven_config_static_selectorELNS0_4arch9wavefront6targetE1EEEvSF_
; %bb.0:
	.section	.rodata,"a",@progbits
	.p2align	6, 0x0
	.amdhsa_kernel _ZN7rocprim17ROCPRIM_400000_NS6detail17trampoline_kernelINS0_14default_configENS1_38merge_sort_block_merge_config_selectorIjNS0_10empty_typeEEEZZNS1_27merge_sort_block_merge_implIS3_PjPS5_jNS1_19radix_merge_compareILb1ELb1EjNS0_19identity_decomposerEEEEE10hipError_tT0_T1_T2_jT3_P12ihipStream_tbPNSt15iterator_traitsISE_E10value_typeEPNSK_ISF_E10value_typeEPSG_NS1_7vsmem_tEENKUlT_SE_SF_SG_E_clIS8_S8_S9_S9_EESD_ST_SE_SF_SG_EUlST_E1_NS1_11comp_targetILNS1_3genE0ELNS1_11target_archE4294967295ELNS1_3gpuE0ELNS1_3repE0EEENS1_36merge_oddeven_config_static_selectorELNS0_4arch9wavefront6targetE1EEEvSF_
		.amdhsa_group_segment_fixed_size 0
		.amdhsa_private_segment_fixed_size 0
		.amdhsa_kernarg_size 48
		.amdhsa_user_sgpr_count 6
		.amdhsa_user_sgpr_private_segment_buffer 1
		.amdhsa_user_sgpr_dispatch_ptr 0
		.amdhsa_user_sgpr_queue_ptr 0
		.amdhsa_user_sgpr_kernarg_segment_ptr 1
		.amdhsa_user_sgpr_dispatch_id 0
		.amdhsa_user_sgpr_flat_scratch_init 0
		.amdhsa_user_sgpr_kernarg_preload_length 0
		.amdhsa_user_sgpr_kernarg_preload_offset 0
		.amdhsa_user_sgpr_private_segment_size 0
		.amdhsa_uses_dynamic_stack 0
		.amdhsa_system_sgpr_private_segment_wavefront_offset 0
		.amdhsa_system_sgpr_workgroup_id_x 1
		.amdhsa_system_sgpr_workgroup_id_y 0
		.amdhsa_system_sgpr_workgroup_id_z 0
		.amdhsa_system_sgpr_workgroup_info 0
		.amdhsa_system_vgpr_workitem_id 0
		.amdhsa_next_free_vgpr 1
		.amdhsa_next_free_sgpr 0
		.amdhsa_accum_offset 4
		.amdhsa_reserve_vcc 0
		.amdhsa_reserve_flat_scratch 0
		.amdhsa_float_round_mode_32 0
		.amdhsa_float_round_mode_16_64 0
		.amdhsa_float_denorm_mode_32 3
		.amdhsa_float_denorm_mode_16_64 3
		.amdhsa_dx10_clamp 1
		.amdhsa_ieee_mode 1
		.amdhsa_fp16_overflow 0
		.amdhsa_tg_split 0
		.amdhsa_exception_fp_ieee_invalid_op 0
		.amdhsa_exception_fp_denorm_src 0
		.amdhsa_exception_fp_ieee_div_zero 0
		.amdhsa_exception_fp_ieee_overflow 0
		.amdhsa_exception_fp_ieee_underflow 0
		.amdhsa_exception_fp_ieee_inexact 0
		.amdhsa_exception_int_div_zero 0
	.end_amdhsa_kernel
	.section	.text._ZN7rocprim17ROCPRIM_400000_NS6detail17trampoline_kernelINS0_14default_configENS1_38merge_sort_block_merge_config_selectorIjNS0_10empty_typeEEEZZNS1_27merge_sort_block_merge_implIS3_PjPS5_jNS1_19radix_merge_compareILb1ELb1EjNS0_19identity_decomposerEEEEE10hipError_tT0_T1_T2_jT3_P12ihipStream_tbPNSt15iterator_traitsISE_E10value_typeEPNSK_ISF_E10value_typeEPSG_NS1_7vsmem_tEENKUlT_SE_SF_SG_E_clIS8_S8_S9_S9_EESD_ST_SE_SF_SG_EUlST_E1_NS1_11comp_targetILNS1_3genE0ELNS1_11target_archE4294967295ELNS1_3gpuE0ELNS1_3repE0EEENS1_36merge_oddeven_config_static_selectorELNS0_4arch9wavefront6targetE1EEEvSF_,"axG",@progbits,_ZN7rocprim17ROCPRIM_400000_NS6detail17trampoline_kernelINS0_14default_configENS1_38merge_sort_block_merge_config_selectorIjNS0_10empty_typeEEEZZNS1_27merge_sort_block_merge_implIS3_PjPS5_jNS1_19radix_merge_compareILb1ELb1EjNS0_19identity_decomposerEEEEE10hipError_tT0_T1_T2_jT3_P12ihipStream_tbPNSt15iterator_traitsISE_E10value_typeEPNSK_ISF_E10value_typeEPSG_NS1_7vsmem_tEENKUlT_SE_SF_SG_E_clIS8_S8_S9_S9_EESD_ST_SE_SF_SG_EUlST_E1_NS1_11comp_targetILNS1_3genE0ELNS1_11target_archE4294967295ELNS1_3gpuE0ELNS1_3repE0EEENS1_36merge_oddeven_config_static_selectorELNS0_4arch9wavefront6targetE1EEEvSF_,comdat
.Lfunc_end2079:
	.size	_ZN7rocprim17ROCPRIM_400000_NS6detail17trampoline_kernelINS0_14default_configENS1_38merge_sort_block_merge_config_selectorIjNS0_10empty_typeEEEZZNS1_27merge_sort_block_merge_implIS3_PjPS5_jNS1_19radix_merge_compareILb1ELb1EjNS0_19identity_decomposerEEEEE10hipError_tT0_T1_T2_jT3_P12ihipStream_tbPNSt15iterator_traitsISE_E10value_typeEPNSK_ISF_E10value_typeEPSG_NS1_7vsmem_tEENKUlT_SE_SF_SG_E_clIS8_S8_S9_S9_EESD_ST_SE_SF_SG_EUlST_E1_NS1_11comp_targetILNS1_3genE0ELNS1_11target_archE4294967295ELNS1_3gpuE0ELNS1_3repE0EEENS1_36merge_oddeven_config_static_selectorELNS0_4arch9wavefront6targetE1EEEvSF_, .Lfunc_end2079-_ZN7rocprim17ROCPRIM_400000_NS6detail17trampoline_kernelINS0_14default_configENS1_38merge_sort_block_merge_config_selectorIjNS0_10empty_typeEEEZZNS1_27merge_sort_block_merge_implIS3_PjPS5_jNS1_19radix_merge_compareILb1ELb1EjNS0_19identity_decomposerEEEEE10hipError_tT0_T1_T2_jT3_P12ihipStream_tbPNSt15iterator_traitsISE_E10value_typeEPNSK_ISF_E10value_typeEPSG_NS1_7vsmem_tEENKUlT_SE_SF_SG_E_clIS8_S8_S9_S9_EESD_ST_SE_SF_SG_EUlST_E1_NS1_11comp_targetILNS1_3genE0ELNS1_11target_archE4294967295ELNS1_3gpuE0ELNS1_3repE0EEENS1_36merge_oddeven_config_static_selectorELNS0_4arch9wavefront6targetE1EEEvSF_
                                        ; -- End function
	.section	.AMDGPU.csdata,"",@progbits
; Kernel info:
; codeLenInByte = 0
; NumSgprs: 4
; NumVgprs: 0
; NumAgprs: 0
; TotalNumVgprs: 0
; ScratchSize: 0
; MemoryBound: 0
; FloatMode: 240
; IeeeMode: 1
; LDSByteSize: 0 bytes/workgroup (compile time only)
; SGPRBlocks: 0
; VGPRBlocks: 0
; NumSGPRsForWavesPerEU: 4
; NumVGPRsForWavesPerEU: 1
; AccumOffset: 4
; Occupancy: 8
; WaveLimiterHint : 0
; COMPUTE_PGM_RSRC2:SCRATCH_EN: 0
; COMPUTE_PGM_RSRC2:USER_SGPR: 6
; COMPUTE_PGM_RSRC2:TRAP_HANDLER: 0
; COMPUTE_PGM_RSRC2:TGID_X_EN: 1
; COMPUTE_PGM_RSRC2:TGID_Y_EN: 0
; COMPUTE_PGM_RSRC2:TGID_Z_EN: 0
; COMPUTE_PGM_RSRC2:TIDIG_COMP_CNT: 0
; COMPUTE_PGM_RSRC3_GFX90A:ACCUM_OFFSET: 0
; COMPUTE_PGM_RSRC3_GFX90A:TG_SPLIT: 0
	.section	.text._ZN7rocprim17ROCPRIM_400000_NS6detail17trampoline_kernelINS0_14default_configENS1_38merge_sort_block_merge_config_selectorIjNS0_10empty_typeEEEZZNS1_27merge_sort_block_merge_implIS3_PjPS5_jNS1_19radix_merge_compareILb1ELb1EjNS0_19identity_decomposerEEEEE10hipError_tT0_T1_T2_jT3_P12ihipStream_tbPNSt15iterator_traitsISE_E10value_typeEPNSK_ISF_E10value_typeEPSG_NS1_7vsmem_tEENKUlT_SE_SF_SG_E_clIS8_S8_S9_S9_EESD_ST_SE_SF_SG_EUlST_E1_NS1_11comp_targetILNS1_3genE10ELNS1_11target_archE1201ELNS1_3gpuE5ELNS1_3repE0EEENS1_36merge_oddeven_config_static_selectorELNS0_4arch9wavefront6targetE1EEEvSF_,"axG",@progbits,_ZN7rocprim17ROCPRIM_400000_NS6detail17trampoline_kernelINS0_14default_configENS1_38merge_sort_block_merge_config_selectorIjNS0_10empty_typeEEEZZNS1_27merge_sort_block_merge_implIS3_PjPS5_jNS1_19radix_merge_compareILb1ELb1EjNS0_19identity_decomposerEEEEE10hipError_tT0_T1_T2_jT3_P12ihipStream_tbPNSt15iterator_traitsISE_E10value_typeEPNSK_ISF_E10value_typeEPSG_NS1_7vsmem_tEENKUlT_SE_SF_SG_E_clIS8_S8_S9_S9_EESD_ST_SE_SF_SG_EUlST_E1_NS1_11comp_targetILNS1_3genE10ELNS1_11target_archE1201ELNS1_3gpuE5ELNS1_3repE0EEENS1_36merge_oddeven_config_static_selectorELNS0_4arch9wavefront6targetE1EEEvSF_,comdat
	.protected	_ZN7rocprim17ROCPRIM_400000_NS6detail17trampoline_kernelINS0_14default_configENS1_38merge_sort_block_merge_config_selectorIjNS0_10empty_typeEEEZZNS1_27merge_sort_block_merge_implIS3_PjPS5_jNS1_19radix_merge_compareILb1ELb1EjNS0_19identity_decomposerEEEEE10hipError_tT0_T1_T2_jT3_P12ihipStream_tbPNSt15iterator_traitsISE_E10value_typeEPNSK_ISF_E10value_typeEPSG_NS1_7vsmem_tEENKUlT_SE_SF_SG_E_clIS8_S8_S9_S9_EESD_ST_SE_SF_SG_EUlST_E1_NS1_11comp_targetILNS1_3genE10ELNS1_11target_archE1201ELNS1_3gpuE5ELNS1_3repE0EEENS1_36merge_oddeven_config_static_selectorELNS0_4arch9wavefront6targetE1EEEvSF_ ; -- Begin function _ZN7rocprim17ROCPRIM_400000_NS6detail17trampoline_kernelINS0_14default_configENS1_38merge_sort_block_merge_config_selectorIjNS0_10empty_typeEEEZZNS1_27merge_sort_block_merge_implIS3_PjPS5_jNS1_19radix_merge_compareILb1ELb1EjNS0_19identity_decomposerEEEEE10hipError_tT0_T1_T2_jT3_P12ihipStream_tbPNSt15iterator_traitsISE_E10value_typeEPNSK_ISF_E10value_typeEPSG_NS1_7vsmem_tEENKUlT_SE_SF_SG_E_clIS8_S8_S9_S9_EESD_ST_SE_SF_SG_EUlST_E1_NS1_11comp_targetILNS1_3genE10ELNS1_11target_archE1201ELNS1_3gpuE5ELNS1_3repE0EEENS1_36merge_oddeven_config_static_selectorELNS0_4arch9wavefront6targetE1EEEvSF_
	.globl	_ZN7rocprim17ROCPRIM_400000_NS6detail17trampoline_kernelINS0_14default_configENS1_38merge_sort_block_merge_config_selectorIjNS0_10empty_typeEEEZZNS1_27merge_sort_block_merge_implIS3_PjPS5_jNS1_19radix_merge_compareILb1ELb1EjNS0_19identity_decomposerEEEEE10hipError_tT0_T1_T2_jT3_P12ihipStream_tbPNSt15iterator_traitsISE_E10value_typeEPNSK_ISF_E10value_typeEPSG_NS1_7vsmem_tEENKUlT_SE_SF_SG_E_clIS8_S8_S9_S9_EESD_ST_SE_SF_SG_EUlST_E1_NS1_11comp_targetILNS1_3genE10ELNS1_11target_archE1201ELNS1_3gpuE5ELNS1_3repE0EEENS1_36merge_oddeven_config_static_selectorELNS0_4arch9wavefront6targetE1EEEvSF_
	.p2align	8
	.type	_ZN7rocprim17ROCPRIM_400000_NS6detail17trampoline_kernelINS0_14default_configENS1_38merge_sort_block_merge_config_selectorIjNS0_10empty_typeEEEZZNS1_27merge_sort_block_merge_implIS3_PjPS5_jNS1_19radix_merge_compareILb1ELb1EjNS0_19identity_decomposerEEEEE10hipError_tT0_T1_T2_jT3_P12ihipStream_tbPNSt15iterator_traitsISE_E10value_typeEPNSK_ISF_E10value_typeEPSG_NS1_7vsmem_tEENKUlT_SE_SF_SG_E_clIS8_S8_S9_S9_EESD_ST_SE_SF_SG_EUlST_E1_NS1_11comp_targetILNS1_3genE10ELNS1_11target_archE1201ELNS1_3gpuE5ELNS1_3repE0EEENS1_36merge_oddeven_config_static_selectorELNS0_4arch9wavefront6targetE1EEEvSF_,@function
_ZN7rocprim17ROCPRIM_400000_NS6detail17trampoline_kernelINS0_14default_configENS1_38merge_sort_block_merge_config_selectorIjNS0_10empty_typeEEEZZNS1_27merge_sort_block_merge_implIS3_PjPS5_jNS1_19radix_merge_compareILb1ELb1EjNS0_19identity_decomposerEEEEE10hipError_tT0_T1_T2_jT3_P12ihipStream_tbPNSt15iterator_traitsISE_E10value_typeEPNSK_ISF_E10value_typeEPSG_NS1_7vsmem_tEENKUlT_SE_SF_SG_E_clIS8_S8_S9_S9_EESD_ST_SE_SF_SG_EUlST_E1_NS1_11comp_targetILNS1_3genE10ELNS1_11target_archE1201ELNS1_3gpuE5ELNS1_3repE0EEENS1_36merge_oddeven_config_static_selectorELNS0_4arch9wavefront6targetE1EEEvSF_: ; @_ZN7rocprim17ROCPRIM_400000_NS6detail17trampoline_kernelINS0_14default_configENS1_38merge_sort_block_merge_config_selectorIjNS0_10empty_typeEEEZZNS1_27merge_sort_block_merge_implIS3_PjPS5_jNS1_19radix_merge_compareILb1ELb1EjNS0_19identity_decomposerEEEEE10hipError_tT0_T1_T2_jT3_P12ihipStream_tbPNSt15iterator_traitsISE_E10value_typeEPNSK_ISF_E10value_typeEPSG_NS1_7vsmem_tEENKUlT_SE_SF_SG_E_clIS8_S8_S9_S9_EESD_ST_SE_SF_SG_EUlST_E1_NS1_11comp_targetILNS1_3genE10ELNS1_11target_archE1201ELNS1_3gpuE5ELNS1_3repE0EEENS1_36merge_oddeven_config_static_selectorELNS0_4arch9wavefront6targetE1EEEvSF_
; %bb.0:
	.section	.rodata,"a",@progbits
	.p2align	6, 0x0
	.amdhsa_kernel _ZN7rocprim17ROCPRIM_400000_NS6detail17trampoline_kernelINS0_14default_configENS1_38merge_sort_block_merge_config_selectorIjNS0_10empty_typeEEEZZNS1_27merge_sort_block_merge_implIS3_PjPS5_jNS1_19radix_merge_compareILb1ELb1EjNS0_19identity_decomposerEEEEE10hipError_tT0_T1_T2_jT3_P12ihipStream_tbPNSt15iterator_traitsISE_E10value_typeEPNSK_ISF_E10value_typeEPSG_NS1_7vsmem_tEENKUlT_SE_SF_SG_E_clIS8_S8_S9_S9_EESD_ST_SE_SF_SG_EUlST_E1_NS1_11comp_targetILNS1_3genE10ELNS1_11target_archE1201ELNS1_3gpuE5ELNS1_3repE0EEENS1_36merge_oddeven_config_static_selectorELNS0_4arch9wavefront6targetE1EEEvSF_
		.amdhsa_group_segment_fixed_size 0
		.amdhsa_private_segment_fixed_size 0
		.amdhsa_kernarg_size 48
		.amdhsa_user_sgpr_count 6
		.amdhsa_user_sgpr_private_segment_buffer 1
		.amdhsa_user_sgpr_dispatch_ptr 0
		.amdhsa_user_sgpr_queue_ptr 0
		.amdhsa_user_sgpr_kernarg_segment_ptr 1
		.amdhsa_user_sgpr_dispatch_id 0
		.amdhsa_user_sgpr_flat_scratch_init 0
		.amdhsa_user_sgpr_kernarg_preload_length 0
		.amdhsa_user_sgpr_kernarg_preload_offset 0
		.amdhsa_user_sgpr_private_segment_size 0
		.amdhsa_uses_dynamic_stack 0
		.amdhsa_system_sgpr_private_segment_wavefront_offset 0
		.amdhsa_system_sgpr_workgroup_id_x 1
		.amdhsa_system_sgpr_workgroup_id_y 0
		.amdhsa_system_sgpr_workgroup_id_z 0
		.amdhsa_system_sgpr_workgroup_info 0
		.amdhsa_system_vgpr_workitem_id 0
		.amdhsa_next_free_vgpr 1
		.amdhsa_next_free_sgpr 0
		.amdhsa_accum_offset 4
		.amdhsa_reserve_vcc 0
		.amdhsa_reserve_flat_scratch 0
		.amdhsa_float_round_mode_32 0
		.amdhsa_float_round_mode_16_64 0
		.amdhsa_float_denorm_mode_32 3
		.amdhsa_float_denorm_mode_16_64 3
		.amdhsa_dx10_clamp 1
		.amdhsa_ieee_mode 1
		.amdhsa_fp16_overflow 0
		.amdhsa_tg_split 0
		.amdhsa_exception_fp_ieee_invalid_op 0
		.amdhsa_exception_fp_denorm_src 0
		.amdhsa_exception_fp_ieee_div_zero 0
		.amdhsa_exception_fp_ieee_overflow 0
		.amdhsa_exception_fp_ieee_underflow 0
		.amdhsa_exception_fp_ieee_inexact 0
		.amdhsa_exception_int_div_zero 0
	.end_amdhsa_kernel
	.section	.text._ZN7rocprim17ROCPRIM_400000_NS6detail17trampoline_kernelINS0_14default_configENS1_38merge_sort_block_merge_config_selectorIjNS0_10empty_typeEEEZZNS1_27merge_sort_block_merge_implIS3_PjPS5_jNS1_19radix_merge_compareILb1ELb1EjNS0_19identity_decomposerEEEEE10hipError_tT0_T1_T2_jT3_P12ihipStream_tbPNSt15iterator_traitsISE_E10value_typeEPNSK_ISF_E10value_typeEPSG_NS1_7vsmem_tEENKUlT_SE_SF_SG_E_clIS8_S8_S9_S9_EESD_ST_SE_SF_SG_EUlST_E1_NS1_11comp_targetILNS1_3genE10ELNS1_11target_archE1201ELNS1_3gpuE5ELNS1_3repE0EEENS1_36merge_oddeven_config_static_selectorELNS0_4arch9wavefront6targetE1EEEvSF_,"axG",@progbits,_ZN7rocprim17ROCPRIM_400000_NS6detail17trampoline_kernelINS0_14default_configENS1_38merge_sort_block_merge_config_selectorIjNS0_10empty_typeEEEZZNS1_27merge_sort_block_merge_implIS3_PjPS5_jNS1_19radix_merge_compareILb1ELb1EjNS0_19identity_decomposerEEEEE10hipError_tT0_T1_T2_jT3_P12ihipStream_tbPNSt15iterator_traitsISE_E10value_typeEPNSK_ISF_E10value_typeEPSG_NS1_7vsmem_tEENKUlT_SE_SF_SG_E_clIS8_S8_S9_S9_EESD_ST_SE_SF_SG_EUlST_E1_NS1_11comp_targetILNS1_3genE10ELNS1_11target_archE1201ELNS1_3gpuE5ELNS1_3repE0EEENS1_36merge_oddeven_config_static_selectorELNS0_4arch9wavefront6targetE1EEEvSF_,comdat
.Lfunc_end2080:
	.size	_ZN7rocprim17ROCPRIM_400000_NS6detail17trampoline_kernelINS0_14default_configENS1_38merge_sort_block_merge_config_selectorIjNS0_10empty_typeEEEZZNS1_27merge_sort_block_merge_implIS3_PjPS5_jNS1_19radix_merge_compareILb1ELb1EjNS0_19identity_decomposerEEEEE10hipError_tT0_T1_T2_jT3_P12ihipStream_tbPNSt15iterator_traitsISE_E10value_typeEPNSK_ISF_E10value_typeEPSG_NS1_7vsmem_tEENKUlT_SE_SF_SG_E_clIS8_S8_S9_S9_EESD_ST_SE_SF_SG_EUlST_E1_NS1_11comp_targetILNS1_3genE10ELNS1_11target_archE1201ELNS1_3gpuE5ELNS1_3repE0EEENS1_36merge_oddeven_config_static_selectorELNS0_4arch9wavefront6targetE1EEEvSF_, .Lfunc_end2080-_ZN7rocprim17ROCPRIM_400000_NS6detail17trampoline_kernelINS0_14default_configENS1_38merge_sort_block_merge_config_selectorIjNS0_10empty_typeEEEZZNS1_27merge_sort_block_merge_implIS3_PjPS5_jNS1_19radix_merge_compareILb1ELb1EjNS0_19identity_decomposerEEEEE10hipError_tT0_T1_T2_jT3_P12ihipStream_tbPNSt15iterator_traitsISE_E10value_typeEPNSK_ISF_E10value_typeEPSG_NS1_7vsmem_tEENKUlT_SE_SF_SG_E_clIS8_S8_S9_S9_EESD_ST_SE_SF_SG_EUlST_E1_NS1_11comp_targetILNS1_3genE10ELNS1_11target_archE1201ELNS1_3gpuE5ELNS1_3repE0EEENS1_36merge_oddeven_config_static_selectorELNS0_4arch9wavefront6targetE1EEEvSF_
                                        ; -- End function
	.section	.AMDGPU.csdata,"",@progbits
; Kernel info:
; codeLenInByte = 0
; NumSgprs: 4
; NumVgprs: 0
; NumAgprs: 0
; TotalNumVgprs: 0
; ScratchSize: 0
; MemoryBound: 0
; FloatMode: 240
; IeeeMode: 1
; LDSByteSize: 0 bytes/workgroup (compile time only)
; SGPRBlocks: 0
; VGPRBlocks: 0
; NumSGPRsForWavesPerEU: 4
; NumVGPRsForWavesPerEU: 1
; AccumOffset: 4
; Occupancy: 8
; WaveLimiterHint : 0
; COMPUTE_PGM_RSRC2:SCRATCH_EN: 0
; COMPUTE_PGM_RSRC2:USER_SGPR: 6
; COMPUTE_PGM_RSRC2:TRAP_HANDLER: 0
; COMPUTE_PGM_RSRC2:TGID_X_EN: 1
; COMPUTE_PGM_RSRC2:TGID_Y_EN: 0
; COMPUTE_PGM_RSRC2:TGID_Z_EN: 0
; COMPUTE_PGM_RSRC2:TIDIG_COMP_CNT: 0
; COMPUTE_PGM_RSRC3_GFX90A:ACCUM_OFFSET: 0
; COMPUTE_PGM_RSRC3_GFX90A:TG_SPLIT: 0
	.section	.text._ZN7rocprim17ROCPRIM_400000_NS6detail17trampoline_kernelINS0_14default_configENS1_38merge_sort_block_merge_config_selectorIjNS0_10empty_typeEEEZZNS1_27merge_sort_block_merge_implIS3_PjPS5_jNS1_19radix_merge_compareILb1ELb1EjNS0_19identity_decomposerEEEEE10hipError_tT0_T1_T2_jT3_P12ihipStream_tbPNSt15iterator_traitsISE_E10value_typeEPNSK_ISF_E10value_typeEPSG_NS1_7vsmem_tEENKUlT_SE_SF_SG_E_clIS8_S8_S9_S9_EESD_ST_SE_SF_SG_EUlST_E1_NS1_11comp_targetILNS1_3genE5ELNS1_11target_archE942ELNS1_3gpuE9ELNS1_3repE0EEENS1_36merge_oddeven_config_static_selectorELNS0_4arch9wavefront6targetE1EEEvSF_,"axG",@progbits,_ZN7rocprim17ROCPRIM_400000_NS6detail17trampoline_kernelINS0_14default_configENS1_38merge_sort_block_merge_config_selectorIjNS0_10empty_typeEEEZZNS1_27merge_sort_block_merge_implIS3_PjPS5_jNS1_19radix_merge_compareILb1ELb1EjNS0_19identity_decomposerEEEEE10hipError_tT0_T1_T2_jT3_P12ihipStream_tbPNSt15iterator_traitsISE_E10value_typeEPNSK_ISF_E10value_typeEPSG_NS1_7vsmem_tEENKUlT_SE_SF_SG_E_clIS8_S8_S9_S9_EESD_ST_SE_SF_SG_EUlST_E1_NS1_11comp_targetILNS1_3genE5ELNS1_11target_archE942ELNS1_3gpuE9ELNS1_3repE0EEENS1_36merge_oddeven_config_static_selectorELNS0_4arch9wavefront6targetE1EEEvSF_,comdat
	.protected	_ZN7rocprim17ROCPRIM_400000_NS6detail17trampoline_kernelINS0_14default_configENS1_38merge_sort_block_merge_config_selectorIjNS0_10empty_typeEEEZZNS1_27merge_sort_block_merge_implIS3_PjPS5_jNS1_19radix_merge_compareILb1ELb1EjNS0_19identity_decomposerEEEEE10hipError_tT0_T1_T2_jT3_P12ihipStream_tbPNSt15iterator_traitsISE_E10value_typeEPNSK_ISF_E10value_typeEPSG_NS1_7vsmem_tEENKUlT_SE_SF_SG_E_clIS8_S8_S9_S9_EESD_ST_SE_SF_SG_EUlST_E1_NS1_11comp_targetILNS1_3genE5ELNS1_11target_archE942ELNS1_3gpuE9ELNS1_3repE0EEENS1_36merge_oddeven_config_static_selectorELNS0_4arch9wavefront6targetE1EEEvSF_ ; -- Begin function _ZN7rocprim17ROCPRIM_400000_NS6detail17trampoline_kernelINS0_14default_configENS1_38merge_sort_block_merge_config_selectorIjNS0_10empty_typeEEEZZNS1_27merge_sort_block_merge_implIS3_PjPS5_jNS1_19radix_merge_compareILb1ELb1EjNS0_19identity_decomposerEEEEE10hipError_tT0_T1_T2_jT3_P12ihipStream_tbPNSt15iterator_traitsISE_E10value_typeEPNSK_ISF_E10value_typeEPSG_NS1_7vsmem_tEENKUlT_SE_SF_SG_E_clIS8_S8_S9_S9_EESD_ST_SE_SF_SG_EUlST_E1_NS1_11comp_targetILNS1_3genE5ELNS1_11target_archE942ELNS1_3gpuE9ELNS1_3repE0EEENS1_36merge_oddeven_config_static_selectorELNS0_4arch9wavefront6targetE1EEEvSF_
	.globl	_ZN7rocprim17ROCPRIM_400000_NS6detail17trampoline_kernelINS0_14default_configENS1_38merge_sort_block_merge_config_selectorIjNS0_10empty_typeEEEZZNS1_27merge_sort_block_merge_implIS3_PjPS5_jNS1_19radix_merge_compareILb1ELb1EjNS0_19identity_decomposerEEEEE10hipError_tT0_T1_T2_jT3_P12ihipStream_tbPNSt15iterator_traitsISE_E10value_typeEPNSK_ISF_E10value_typeEPSG_NS1_7vsmem_tEENKUlT_SE_SF_SG_E_clIS8_S8_S9_S9_EESD_ST_SE_SF_SG_EUlST_E1_NS1_11comp_targetILNS1_3genE5ELNS1_11target_archE942ELNS1_3gpuE9ELNS1_3repE0EEENS1_36merge_oddeven_config_static_selectorELNS0_4arch9wavefront6targetE1EEEvSF_
	.p2align	8
	.type	_ZN7rocprim17ROCPRIM_400000_NS6detail17trampoline_kernelINS0_14default_configENS1_38merge_sort_block_merge_config_selectorIjNS0_10empty_typeEEEZZNS1_27merge_sort_block_merge_implIS3_PjPS5_jNS1_19radix_merge_compareILb1ELb1EjNS0_19identity_decomposerEEEEE10hipError_tT0_T1_T2_jT3_P12ihipStream_tbPNSt15iterator_traitsISE_E10value_typeEPNSK_ISF_E10value_typeEPSG_NS1_7vsmem_tEENKUlT_SE_SF_SG_E_clIS8_S8_S9_S9_EESD_ST_SE_SF_SG_EUlST_E1_NS1_11comp_targetILNS1_3genE5ELNS1_11target_archE942ELNS1_3gpuE9ELNS1_3repE0EEENS1_36merge_oddeven_config_static_selectorELNS0_4arch9wavefront6targetE1EEEvSF_,@function
_ZN7rocprim17ROCPRIM_400000_NS6detail17trampoline_kernelINS0_14default_configENS1_38merge_sort_block_merge_config_selectorIjNS0_10empty_typeEEEZZNS1_27merge_sort_block_merge_implIS3_PjPS5_jNS1_19radix_merge_compareILb1ELb1EjNS0_19identity_decomposerEEEEE10hipError_tT0_T1_T2_jT3_P12ihipStream_tbPNSt15iterator_traitsISE_E10value_typeEPNSK_ISF_E10value_typeEPSG_NS1_7vsmem_tEENKUlT_SE_SF_SG_E_clIS8_S8_S9_S9_EESD_ST_SE_SF_SG_EUlST_E1_NS1_11comp_targetILNS1_3genE5ELNS1_11target_archE942ELNS1_3gpuE9ELNS1_3repE0EEENS1_36merge_oddeven_config_static_selectorELNS0_4arch9wavefront6targetE1EEEvSF_: ; @_ZN7rocprim17ROCPRIM_400000_NS6detail17trampoline_kernelINS0_14default_configENS1_38merge_sort_block_merge_config_selectorIjNS0_10empty_typeEEEZZNS1_27merge_sort_block_merge_implIS3_PjPS5_jNS1_19radix_merge_compareILb1ELb1EjNS0_19identity_decomposerEEEEE10hipError_tT0_T1_T2_jT3_P12ihipStream_tbPNSt15iterator_traitsISE_E10value_typeEPNSK_ISF_E10value_typeEPSG_NS1_7vsmem_tEENKUlT_SE_SF_SG_E_clIS8_S8_S9_S9_EESD_ST_SE_SF_SG_EUlST_E1_NS1_11comp_targetILNS1_3genE5ELNS1_11target_archE942ELNS1_3gpuE9ELNS1_3repE0EEENS1_36merge_oddeven_config_static_selectorELNS0_4arch9wavefront6targetE1EEEvSF_
; %bb.0:
	.section	.rodata,"a",@progbits
	.p2align	6, 0x0
	.amdhsa_kernel _ZN7rocprim17ROCPRIM_400000_NS6detail17trampoline_kernelINS0_14default_configENS1_38merge_sort_block_merge_config_selectorIjNS0_10empty_typeEEEZZNS1_27merge_sort_block_merge_implIS3_PjPS5_jNS1_19radix_merge_compareILb1ELb1EjNS0_19identity_decomposerEEEEE10hipError_tT0_T1_T2_jT3_P12ihipStream_tbPNSt15iterator_traitsISE_E10value_typeEPNSK_ISF_E10value_typeEPSG_NS1_7vsmem_tEENKUlT_SE_SF_SG_E_clIS8_S8_S9_S9_EESD_ST_SE_SF_SG_EUlST_E1_NS1_11comp_targetILNS1_3genE5ELNS1_11target_archE942ELNS1_3gpuE9ELNS1_3repE0EEENS1_36merge_oddeven_config_static_selectorELNS0_4arch9wavefront6targetE1EEEvSF_
		.amdhsa_group_segment_fixed_size 0
		.amdhsa_private_segment_fixed_size 0
		.amdhsa_kernarg_size 48
		.amdhsa_user_sgpr_count 6
		.amdhsa_user_sgpr_private_segment_buffer 1
		.amdhsa_user_sgpr_dispatch_ptr 0
		.amdhsa_user_sgpr_queue_ptr 0
		.amdhsa_user_sgpr_kernarg_segment_ptr 1
		.amdhsa_user_sgpr_dispatch_id 0
		.amdhsa_user_sgpr_flat_scratch_init 0
		.amdhsa_user_sgpr_kernarg_preload_length 0
		.amdhsa_user_sgpr_kernarg_preload_offset 0
		.amdhsa_user_sgpr_private_segment_size 0
		.amdhsa_uses_dynamic_stack 0
		.amdhsa_system_sgpr_private_segment_wavefront_offset 0
		.amdhsa_system_sgpr_workgroup_id_x 1
		.amdhsa_system_sgpr_workgroup_id_y 0
		.amdhsa_system_sgpr_workgroup_id_z 0
		.amdhsa_system_sgpr_workgroup_info 0
		.amdhsa_system_vgpr_workitem_id 0
		.amdhsa_next_free_vgpr 1
		.amdhsa_next_free_sgpr 0
		.amdhsa_accum_offset 4
		.amdhsa_reserve_vcc 0
		.amdhsa_reserve_flat_scratch 0
		.amdhsa_float_round_mode_32 0
		.amdhsa_float_round_mode_16_64 0
		.amdhsa_float_denorm_mode_32 3
		.amdhsa_float_denorm_mode_16_64 3
		.amdhsa_dx10_clamp 1
		.amdhsa_ieee_mode 1
		.amdhsa_fp16_overflow 0
		.amdhsa_tg_split 0
		.amdhsa_exception_fp_ieee_invalid_op 0
		.amdhsa_exception_fp_denorm_src 0
		.amdhsa_exception_fp_ieee_div_zero 0
		.amdhsa_exception_fp_ieee_overflow 0
		.amdhsa_exception_fp_ieee_underflow 0
		.amdhsa_exception_fp_ieee_inexact 0
		.amdhsa_exception_int_div_zero 0
	.end_amdhsa_kernel
	.section	.text._ZN7rocprim17ROCPRIM_400000_NS6detail17trampoline_kernelINS0_14default_configENS1_38merge_sort_block_merge_config_selectorIjNS0_10empty_typeEEEZZNS1_27merge_sort_block_merge_implIS3_PjPS5_jNS1_19radix_merge_compareILb1ELb1EjNS0_19identity_decomposerEEEEE10hipError_tT0_T1_T2_jT3_P12ihipStream_tbPNSt15iterator_traitsISE_E10value_typeEPNSK_ISF_E10value_typeEPSG_NS1_7vsmem_tEENKUlT_SE_SF_SG_E_clIS8_S8_S9_S9_EESD_ST_SE_SF_SG_EUlST_E1_NS1_11comp_targetILNS1_3genE5ELNS1_11target_archE942ELNS1_3gpuE9ELNS1_3repE0EEENS1_36merge_oddeven_config_static_selectorELNS0_4arch9wavefront6targetE1EEEvSF_,"axG",@progbits,_ZN7rocprim17ROCPRIM_400000_NS6detail17trampoline_kernelINS0_14default_configENS1_38merge_sort_block_merge_config_selectorIjNS0_10empty_typeEEEZZNS1_27merge_sort_block_merge_implIS3_PjPS5_jNS1_19radix_merge_compareILb1ELb1EjNS0_19identity_decomposerEEEEE10hipError_tT0_T1_T2_jT3_P12ihipStream_tbPNSt15iterator_traitsISE_E10value_typeEPNSK_ISF_E10value_typeEPSG_NS1_7vsmem_tEENKUlT_SE_SF_SG_E_clIS8_S8_S9_S9_EESD_ST_SE_SF_SG_EUlST_E1_NS1_11comp_targetILNS1_3genE5ELNS1_11target_archE942ELNS1_3gpuE9ELNS1_3repE0EEENS1_36merge_oddeven_config_static_selectorELNS0_4arch9wavefront6targetE1EEEvSF_,comdat
.Lfunc_end2081:
	.size	_ZN7rocprim17ROCPRIM_400000_NS6detail17trampoline_kernelINS0_14default_configENS1_38merge_sort_block_merge_config_selectorIjNS0_10empty_typeEEEZZNS1_27merge_sort_block_merge_implIS3_PjPS5_jNS1_19radix_merge_compareILb1ELb1EjNS0_19identity_decomposerEEEEE10hipError_tT0_T1_T2_jT3_P12ihipStream_tbPNSt15iterator_traitsISE_E10value_typeEPNSK_ISF_E10value_typeEPSG_NS1_7vsmem_tEENKUlT_SE_SF_SG_E_clIS8_S8_S9_S9_EESD_ST_SE_SF_SG_EUlST_E1_NS1_11comp_targetILNS1_3genE5ELNS1_11target_archE942ELNS1_3gpuE9ELNS1_3repE0EEENS1_36merge_oddeven_config_static_selectorELNS0_4arch9wavefront6targetE1EEEvSF_, .Lfunc_end2081-_ZN7rocprim17ROCPRIM_400000_NS6detail17trampoline_kernelINS0_14default_configENS1_38merge_sort_block_merge_config_selectorIjNS0_10empty_typeEEEZZNS1_27merge_sort_block_merge_implIS3_PjPS5_jNS1_19radix_merge_compareILb1ELb1EjNS0_19identity_decomposerEEEEE10hipError_tT0_T1_T2_jT3_P12ihipStream_tbPNSt15iterator_traitsISE_E10value_typeEPNSK_ISF_E10value_typeEPSG_NS1_7vsmem_tEENKUlT_SE_SF_SG_E_clIS8_S8_S9_S9_EESD_ST_SE_SF_SG_EUlST_E1_NS1_11comp_targetILNS1_3genE5ELNS1_11target_archE942ELNS1_3gpuE9ELNS1_3repE0EEENS1_36merge_oddeven_config_static_selectorELNS0_4arch9wavefront6targetE1EEEvSF_
                                        ; -- End function
	.section	.AMDGPU.csdata,"",@progbits
; Kernel info:
; codeLenInByte = 0
; NumSgprs: 4
; NumVgprs: 0
; NumAgprs: 0
; TotalNumVgprs: 0
; ScratchSize: 0
; MemoryBound: 0
; FloatMode: 240
; IeeeMode: 1
; LDSByteSize: 0 bytes/workgroup (compile time only)
; SGPRBlocks: 0
; VGPRBlocks: 0
; NumSGPRsForWavesPerEU: 4
; NumVGPRsForWavesPerEU: 1
; AccumOffset: 4
; Occupancy: 8
; WaveLimiterHint : 0
; COMPUTE_PGM_RSRC2:SCRATCH_EN: 0
; COMPUTE_PGM_RSRC2:USER_SGPR: 6
; COMPUTE_PGM_RSRC2:TRAP_HANDLER: 0
; COMPUTE_PGM_RSRC2:TGID_X_EN: 1
; COMPUTE_PGM_RSRC2:TGID_Y_EN: 0
; COMPUTE_PGM_RSRC2:TGID_Z_EN: 0
; COMPUTE_PGM_RSRC2:TIDIG_COMP_CNT: 0
; COMPUTE_PGM_RSRC3_GFX90A:ACCUM_OFFSET: 0
; COMPUTE_PGM_RSRC3_GFX90A:TG_SPLIT: 0
	.section	.text._ZN7rocprim17ROCPRIM_400000_NS6detail17trampoline_kernelINS0_14default_configENS1_38merge_sort_block_merge_config_selectorIjNS0_10empty_typeEEEZZNS1_27merge_sort_block_merge_implIS3_PjPS5_jNS1_19radix_merge_compareILb1ELb1EjNS0_19identity_decomposerEEEEE10hipError_tT0_T1_T2_jT3_P12ihipStream_tbPNSt15iterator_traitsISE_E10value_typeEPNSK_ISF_E10value_typeEPSG_NS1_7vsmem_tEENKUlT_SE_SF_SG_E_clIS8_S8_S9_S9_EESD_ST_SE_SF_SG_EUlST_E1_NS1_11comp_targetILNS1_3genE4ELNS1_11target_archE910ELNS1_3gpuE8ELNS1_3repE0EEENS1_36merge_oddeven_config_static_selectorELNS0_4arch9wavefront6targetE1EEEvSF_,"axG",@progbits,_ZN7rocprim17ROCPRIM_400000_NS6detail17trampoline_kernelINS0_14default_configENS1_38merge_sort_block_merge_config_selectorIjNS0_10empty_typeEEEZZNS1_27merge_sort_block_merge_implIS3_PjPS5_jNS1_19radix_merge_compareILb1ELb1EjNS0_19identity_decomposerEEEEE10hipError_tT0_T1_T2_jT3_P12ihipStream_tbPNSt15iterator_traitsISE_E10value_typeEPNSK_ISF_E10value_typeEPSG_NS1_7vsmem_tEENKUlT_SE_SF_SG_E_clIS8_S8_S9_S9_EESD_ST_SE_SF_SG_EUlST_E1_NS1_11comp_targetILNS1_3genE4ELNS1_11target_archE910ELNS1_3gpuE8ELNS1_3repE0EEENS1_36merge_oddeven_config_static_selectorELNS0_4arch9wavefront6targetE1EEEvSF_,comdat
	.protected	_ZN7rocprim17ROCPRIM_400000_NS6detail17trampoline_kernelINS0_14default_configENS1_38merge_sort_block_merge_config_selectorIjNS0_10empty_typeEEEZZNS1_27merge_sort_block_merge_implIS3_PjPS5_jNS1_19radix_merge_compareILb1ELb1EjNS0_19identity_decomposerEEEEE10hipError_tT0_T1_T2_jT3_P12ihipStream_tbPNSt15iterator_traitsISE_E10value_typeEPNSK_ISF_E10value_typeEPSG_NS1_7vsmem_tEENKUlT_SE_SF_SG_E_clIS8_S8_S9_S9_EESD_ST_SE_SF_SG_EUlST_E1_NS1_11comp_targetILNS1_3genE4ELNS1_11target_archE910ELNS1_3gpuE8ELNS1_3repE0EEENS1_36merge_oddeven_config_static_selectorELNS0_4arch9wavefront6targetE1EEEvSF_ ; -- Begin function _ZN7rocprim17ROCPRIM_400000_NS6detail17trampoline_kernelINS0_14default_configENS1_38merge_sort_block_merge_config_selectorIjNS0_10empty_typeEEEZZNS1_27merge_sort_block_merge_implIS3_PjPS5_jNS1_19radix_merge_compareILb1ELb1EjNS0_19identity_decomposerEEEEE10hipError_tT0_T1_T2_jT3_P12ihipStream_tbPNSt15iterator_traitsISE_E10value_typeEPNSK_ISF_E10value_typeEPSG_NS1_7vsmem_tEENKUlT_SE_SF_SG_E_clIS8_S8_S9_S9_EESD_ST_SE_SF_SG_EUlST_E1_NS1_11comp_targetILNS1_3genE4ELNS1_11target_archE910ELNS1_3gpuE8ELNS1_3repE0EEENS1_36merge_oddeven_config_static_selectorELNS0_4arch9wavefront6targetE1EEEvSF_
	.globl	_ZN7rocprim17ROCPRIM_400000_NS6detail17trampoline_kernelINS0_14default_configENS1_38merge_sort_block_merge_config_selectorIjNS0_10empty_typeEEEZZNS1_27merge_sort_block_merge_implIS3_PjPS5_jNS1_19radix_merge_compareILb1ELb1EjNS0_19identity_decomposerEEEEE10hipError_tT0_T1_T2_jT3_P12ihipStream_tbPNSt15iterator_traitsISE_E10value_typeEPNSK_ISF_E10value_typeEPSG_NS1_7vsmem_tEENKUlT_SE_SF_SG_E_clIS8_S8_S9_S9_EESD_ST_SE_SF_SG_EUlST_E1_NS1_11comp_targetILNS1_3genE4ELNS1_11target_archE910ELNS1_3gpuE8ELNS1_3repE0EEENS1_36merge_oddeven_config_static_selectorELNS0_4arch9wavefront6targetE1EEEvSF_
	.p2align	8
	.type	_ZN7rocprim17ROCPRIM_400000_NS6detail17trampoline_kernelINS0_14default_configENS1_38merge_sort_block_merge_config_selectorIjNS0_10empty_typeEEEZZNS1_27merge_sort_block_merge_implIS3_PjPS5_jNS1_19radix_merge_compareILb1ELb1EjNS0_19identity_decomposerEEEEE10hipError_tT0_T1_T2_jT3_P12ihipStream_tbPNSt15iterator_traitsISE_E10value_typeEPNSK_ISF_E10value_typeEPSG_NS1_7vsmem_tEENKUlT_SE_SF_SG_E_clIS8_S8_S9_S9_EESD_ST_SE_SF_SG_EUlST_E1_NS1_11comp_targetILNS1_3genE4ELNS1_11target_archE910ELNS1_3gpuE8ELNS1_3repE0EEENS1_36merge_oddeven_config_static_selectorELNS0_4arch9wavefront6targetE1EEEvSF_,@function
_ZN7rocprim17ROCPRIM_400000_NS6detail17trampoline_kernelINS0_14default_configENS1_38merge_sort_block_merge_config_selectorIjNS0_10empty_typeEEEZZNS1_27merge_sort_block_merge_implIS3_PjPS5_jNS1_19radix_merge_compareILb1ELb1EjNS0_19identity_decomposerEEEEE10hipError_tT0_T1_T2_jT3_P12ihipStream_tbPNSt15iterator_traitsISE_E10value_typeEPNSK_ISF_E10value_typeEPSG_NS1_7vsmem_tEENKUlT_SE_SF_SG_E_clIS8_S8_S9_S9_EESD_ST_SE_SF_SG_EUlST_E1_NS1_11comp_targetILNS1_3genE4ELNS1_11target_archE910ELNS1_3gpuE8ELNS1_3repE0EEENS1_36merge_oddeven_config_static_selectorELNS0_4arch9wavefront6targetE1EEEvSF_: ; @_ZN7rocprim17ROCPRIM_400000_NS6detail17trampoline_kernelINS0_14default_configENS1_38merge_sort_block_merge_config_selectorIjNS0_10empty_typeEEEZZNS1_27merge_sort_block_merge_implIS3_PjPS5_jNS1_19radix_merge_compareILb1ELb1EjNS0_19identity_decomposerEEEEE10hipError_tT0_T1_T2_jT3_P12ihipStream_tbPNSt15iterator_traitsISE_E10value_typeEPNSK_ISF_E10value_typeEPSG_NS1_7vsmem_tEENKUlT_SE_SF_SG_E_clIS8_S8_S9_S9_EESD_ST_SE_SF_SG_EUlST_E1_NS1_11comp_targetILNS1_3genE4ELNS1_11target_archE910ELNS1_3gpuE8ELNS1_3repE0EEENS1_36merge_oddeven_config_static_selectorELNS0_4arch9wavefront6targetE1EEEvSF_
; %bb.0:
	s_load_dword s18, s[4:5], 0x20
	s_waitcnt lgkmcnt(0)
	s_lshr_b32 s0, s18, 8
	s_cmp_lg_u32 s6, s0
	s_cselect_b64 s[14:15], -1, 0
	s_cmp_eq_u32 s6, s0
	s_cselect_b64 s[12:13], -1, 0
	s_lshl_b32 s16, s6, 8
	s_sub_i32 s0, s18, s16
	v_cmp_gt_u32_e64 s[2:3], s0, v0
	s_or_b64 s[0:1], s[14:15], s[2:3]
	s_and_saveexec_b64 s[8:9], s[0:1]
	s_cbranch_execz .LBB2082_20
; %bb.1:
	s_load_dwordx4 s[8:11], s[4:5], 0x0
	s_load_dword s19, s[4:5], 0x24
	s_mov_b32 s17, 0
	s_lshl_b64 s[0:1], s[16:17], 2
	v_lshlrev_b32_e32 v1, 2, v0
	s_waitcnt lgkmcnt(0)
	s_add_u32 s0, s8, s0
	s_addc_u32 s1, s9, s1
	global_load_dword v2, v1, s[0:1]
	s_lshr_b32 s0, s19, 8
	s_sub_i32 s1, 0, s0
	s_and_b32 s1, s6, s1
	s_and_b32 s0, s1, s0
	s_lshl_b32 s20, s1, 8
	s_sub_i32 s17, 0, s19
	s_cmp_eq_u32 s0, 0
	s_cselect_b64 s[0:1], -1, 0
	s_and_b64 s[6:7], s[0:1], exec
	s_cselect_b32 s17, s19, s17
	s_add_i32 s17, s17, s20
	s_cmp_lt_u32 s17, s18
	v_add_u32_e32 v0, s16, v0
	s_cbranch_scc1 .LBB2082_3
; %bb.2:
	v_cmp_gt_u32_e32 vcc, s18, v0
	s_or_b64 s[6:7], vcc, s[14:15]
	s_and_b64 s[6:7], s[6:7], exec
	s_cbranch_execz .LBB2082_4
	s_branch .LBB2082_18
.LBB2082_3:
	s_mov_b64 s[6:7], 0
.LBB2082_4:
	s_load_dword s14, s[4:5], 0x28
	s_min_u32 s15, s17, s18
	s_add_i32 s4, s15, s19
	s_min_u32 s16, s4, s18
	s_min_u32 s4, s20, s15
	s_add_i32 s20, s20, s15
	v_subrev_u32_e32 v0, s20, v0
	v_add_u32_e32 v3, s4, v0
	s_and_b64 vcc, exec, s[12:13]
	s_cbranch_vccz .LBB2082_12
; %bb.5:
                                        ; implicit-def: $vgpr0
	s_and_saveexec_b64 s[4:5], s[2:3]
	s_cbranch_execz .LBB2082_11
; %bb.6:
	s_cmp_ge_u32 s17, s16
	v_mov_b32_e32 v4, s15
	s_cbranch_scc1 .LBB2082_10
; %bb.7:
	s_waitcnt vmcnt(0) lgkmcnt(0)
	v_and_b32_e32 v5, s14, v2
	s_mov_b64 s[2:3], 0
	v_mov_b32_e32 v6, s16
	v_mov_b32_e32 v4, s15
	;; [unrolled: 1-line block ×4, first 2 shown]
.LBB2082_8:                             ; =>This Inner Loop Header: Depth=1
	v_add_u32_e32 v0, v4, v6
	v_lshrrev_b32_e32 v0, 1, v0
	v_lshlrev_b64 v[8:9], 2, v[0:1]
	v_add_co_u32_e32 v8, vcc, s8, v8
	v_addc_co_u32_e32 v9, vcc, v7, v9, vcc
	global_load_dword v8, v[8:9], off
	v_add_u32_e32 v9, 1, v0
	s_waitcnt vmcnt(0)
	v_and_b32_e32 v8, s14, v8
	v_cmp_gt_u32_e32 vcc, v8, v5
	v_cndmask_b32_e64 v10, 0, 1, vcc
	v_cmp_le_u32_e32 vcc, v5, v8
	v_cndmask_b32_e64 v8, 0, 1, vcc
	v_cndmask_b32_e64 v8, v8, v10, s[0:1]
	v_and_b32_e32 v8, 1, v8
	v_cmp_eq_u32_e32 vcc, 1, v8
	v_cndmask_b32_e32 v6, v0, v6, vcc
	v_cndmask_b32_e32 v4, v4, v9, vcc
	v_cmp_ge_u32_e32 vcc, v4, v6
	s_or_b64 s[2:3], vcc, s[2:3]
	s_andn2_b64 exec, exec, s[2:3]
	s_cbranch_execnz .LBB2082_8
; %bb.9:
	s_or_b64 exec, exec, s[2:3]
.LBB2082_10:
	v_add_u32_e32 v0, v4, v3
	s_or_b64 s[6:7], s[6:7], exec
.LBB2082_11:
	s_or_b64 exec, exec, s[4:5]
	s_branch .LBB2082_18
.LBB2082_12:
                                        ; implicit-def: $vgpr0
	s_cbranch_execz .LBB2082_18
; %bb.13:
	s_cmp_ge_u32 s17, s16
	v_mov_b32_e32 v4, s15
	s_cbranch_scc1 .LBB2082_17
; %bb.14:
	s_waitcnt vmcnt(0) lgkmcnt(0)
	v_and_b32_e32 v5, s14, v2
	s_mov_b64 s[2:3], 0
	v_mov_b32_e32 v6, s16
	v_mov_b32_e32 v4, s15
	;; [unrolled: 1-line block ×4, first 2 shown]
.LBB2082_15:                            ; =>This Inner Loop Header: Depth=1
	v_add_u32_e32 v0, v4, v6
	v_lshrrev_b32_e32 v0, 1, v0
	v_lshlrev_b64 v[8:9], 2, v[0:1]
	v_add_co_u32_e32 v8, vcc, s8, v8
	v_addc_co_u32_e32 v9, vcc, v7, v9, vcc
	global_load_dword v8, v[8:9], off
	v_add_u32_e32 v9, 1, v0
	s_waitcnt vmcnt(0)
	v_and_b32_e32 v8, s14, v8
	v_cmp_gt_u32_e32 vcc, v8, v5
	v_cndmask_b32_e64 v10, 0, 1, vcc
	v_cmp_le_u32_e32 vcc, v5, v8
	v_cndmask_b32_e64 v8, 0, 1, vcc
	v_cndmask_b32_e64 v8, v8, v10, s[0:1]
	v_and_b32_e32 v8, 1, v8
	v_cmp_eq_u32_e32 vcc, 1, v8
	v_cndmask_b32_e32 v6, v0, v6, vcc
	v_cndmask_b32_e32 v4, v4, v9, vcc
	v_cmp_ge_u32_e32 vcc, v4, v6
	s_or_b64 s[2:3], vcc, s[2:3]
	s_andn2_b64 exec, exec, s[2:3]
	s_cbranch_execnz .LBB2082_15
; %bb.16:
	s_or_b64 exec, exec, s[2:3]
.LBB2082_17:
	v_add_u32_e32 v0, v4, v3
	s_mov_b64 s[6:7], -1
.LBB2082_18:
	s_and_b64 exec, exec, s[6:7]
	s_cbranch_execz .LBB2082_20
; %bb.19:
	v_mov_b32_e32 v1, 0
	v_lshlrev_b64 v[0:1], 2, v[0:1]
	v_mov_b32_e32 v3, s11
	v_add_co_u32_e32 v0, vcc, s10, v0
	v_addc_co_u32_e32 v1, vcc, v3, v1, vcc
	s_waitcnt vmcnt(0)
	global_store_dword v[0:1], v2, off
.LBB2082_20:
	s_endpgm
	.section	.rodata,"a",@progbits
	.p2align	6, 0x0
	.amdhsa_kernel _ZN7rocprim17ROCPRIM_400000_NS6detail17trampoline_kernelINS0_14default_configENS1_38merge_sort_block_merge_config_selectorIjNS0_10empty_typeEEEZZNS1_27merge_sort_block_merge_implIS3_PjPS5_jNS1_19radix_merge_compareILb1ELb1EjNS0_19identity_decomposerEEEEE10hipError_tT0_T1_T2_jT3_P12ihipStream_tbPNSt15iterator_traitsISE_E10value_typeEPNSK_ISF_E10value_typeEPSG_NS1_7vsmem_tEENKUlT_SE_SF_SG_E_clIS8_S8_S9_S9_EESD_ST_SE_SF_SG_EUlST_E1_NS1_11comp_targetILNS1_3genE4ELNS1_11target_archE910ELNS1_3gpuE8ELNS1_3repE0EEENS1_36merge_oddeven_config_static_selectorELNS0_4arch9wavefront6targetE1EEEvSF_
		.amdhsa_group_segment_fixed_size 0
		.amdhsa_private_segment_fixed_size 0
		.amdhsa_kernarg_size 48
		.amdhsa_user_sgpr_count 6
		.amdhsa_user_sgpr_private_segment_buffer 1
		.amdhsa_user_sgpr_dispatch_ptr 0
		.amdhsa_user_sgpr_queue_ptr 0
		.amdhsa_user_sgpr_kernarg_segment_ptr 1
		.amdhsa_user_sgpr_dispatch_id 0
		.amdhsa_user_sgpr_flat_scratch_init 0
		.amdhsa_user_sgpr_kernarg_preload_length 0
		.amdhsa_user_sgpr_kernarg_preload_offset 0
		.amdhsa_user_sgpr_private_segment_size 0
		.amdhsa_uses_dynamic_stack 0
		.amdhsa_system_sgpr_private_segment_wavefront_offset 0
		.amdhsa_system_sgpr_workgroup_id_x 1
		.amdhsa_system_sgpr_workgroup_id_y 0
		.amdhsa_system_sgpr_workgroup_id_z 0
		.amdhsa_system_sgpr_workgroup_info 0
		.amdhsa_system_vgpr_workitem_id 0
		.amdhsa_next_free_vgpr 11
		.amdhsa_next_free_sgpr 21
		.amdhsa_accum_offset 12
		.amdhsa_reserve_vcc 1
		.amdhsa_reserve_flat_scratch 0
		.amdhsa_float_round_mode_32 0
		.amdhsa_float_round_mode_16_64 0
		.amdhsa_float_denorm_mode_32 3
		.amdhsa_float_denorm_mode_16_64 3
		.amdhsa_dx10_clamp 1
		.amdhsa_ieee_mode 1
		.amdhsa_fp16_overflow 0
		.amdhsa_tg_split 0
		.amdhsa_exception_fp_ieee_invalid_op 0
		.amdhsa_exception_fp_denorm_src 0
		.amdhsa_exception_fp_ieee_div_zero 0
		.amdhsa_exception_fp_ieee_overflow 0
		.amdhsa_exception_fp_ieee_underflow 0
		.amdhsa_exception_fp_ieee_inexact 0
		.amdhsa_exception_int_div_zero 0
	.end_amdhsa_kernel
	.section	.text._ZN7rocprim17ROCPRIM_400000_NS6detail17trampoline_kernelINS0_14default_configENS1_38merge_sort_block_merge_config_selectorIjNS0_10empty_typeEEEZZNS1_27merge_sort_block_merge_implIS3_PjPS5_jNS1_19radix_merge_compareILb1ELb1EjNS0_19identity_decomposerEEEEE10hipError_tT0_T1_T2_jT3_P12ihipStream_tbPNSt15iterator_traitsISE_E10value_typeEPNSK_ISF_E10value_typeEPSG_NS1_7vsmem_tEENKUlT_SE_SF_SG_E_clIS8_S8_S9_S9_EESD_ST_SE_SF_SG_EUlST_E1_NS1_11comp_targetILNS1_3genE4ELNS1_11target_archE910ELNS1_3gpuE8ELNS1_3repE0EEENS1_36merge_oddeven_config_static_selectorELNS0_4arch9wavefront6targetE1EEEvSF_,"axG",@progbits,_ZN7rocprim17ROCPRIM_400000_NS6detail17trampoline_kernelINS0_14default_configENS1_38merge_sort_block_merge_config_selectorIjNS0_10empty_typeEEEZZNS1_27merge_sort_block_merge_implIS3_PjPS5_jNS1_19radix_merge_compareILb1ELb1EjNS0_19identity_decomposerEEEEE10hipError_tT0_T1_T2_jT3_P12ihipStream_tbPNSt15iterator_traitsISE_E10value_typeEPNSK_ISF_E10value_typeEPSG_NS1_7vsmem_tEENKUlT_SE_SF_SG_E_clIS8_S8_S9_S9_EESD_ST_SE_SF_SG_EUlST_E1_NS1_11comp_targetILNS1_3genE4ELNS1_11target_archE910ELNS1_3gpuE8ELNS1_3repE0EEENS1_36merge_oddeven_config_static_selectorELNS0_4arch9wavefront6targetE1EEEvSF_,comdat
.Lfunc_end2082:
	.size	_ZN7rocprim17ROCPRIM_400000_NS6detail17trampoline_kernelINS0_14default_configENS1_38merge_sort_block_merge_config_selectorIjNS0_10empty_typeEEEZZNS1_27merge_sort_block_merge_implIS3_PjPS5_jNS1_19radix_merge_compareILb1ELb1EjNS0_19identity_decomposerEEEEE10hipError_tT0_T1_T2_jT3_P12ihipStream_tbPNSt15iterator_traitsISE_E10value_typeEPNSK_ISF_E10value_typeEPSG_NS1_7vsmem_tEENKUlT_SE_SF_SG_E_clIS8_S8_S9_S9_EESD_ST_SE_SF_SG_EUlST_E1_NS1_11comp_targetILNS1_3genE4ELNS1_11target_archE910ELNS1_3gpuE8ELNS1_3repE0EEENS1_36merge_oddeven_config_static_selectorELNS0_4arch9wavefront6targetE1EEEvSF_, .Lfunc_end2082-_ZN7rocprim17ROCPRIM_400000_NS6detail17trampoline_kernelINS0_14default_configENS1_38merge_sort_block_merge_config_selectorIjNS0_10empty_typeEEEZZNS1_27merge_sort_block_merge_implIS3_PjPS5_jNS1_19radix_merge_compareILb1ELb1EjNS0_19identity_decomposerEEEEE10hipError_tT0_T1_T2_jT3_P12ihipStream_tbPNSt15iterator_traitsISE_E10value_typeEPNSK_ISF_E10value_typeEPSG_NS1_7vsmem_tEENKUlT_SE_SF_SG_E_clIS8_S8_S9_S9_EESD_ST_SE_SF_SG_EUlST_E1_NS1_11comp_targetILNS1_3genE4ELNS1_11target_archE910ELNS1_3gpuE8ELNS1_3repE0EEENS1_36merge_oddeven_config_static_selectorELNS0_4arch9wavefront6targetE1EEEvSF_
                                        ; -- End function
	.section	.AMDGPU.csdata,"",@progbits
; Kernel info:
; codeLenInByte = 620
; NumSgprs: 25
; NumVgprs: 11
; NumAgprs: 0
; TotalNumVgprs: 11
; ScratchSize: 0
; MemoryBound: 0
; FloatMode: 240
; IeeeMode: 1
; LDSByteSize: 0 bytes/workgroup (compile time only)
; SGPRBlocks: 3
; VGPRBlocks: 1
; NumSGPRsForWavesPerEU: 25
; NumVGPRsForWavesPerEU: 11
; AccumOffset: 12
; Occupancy: 8
; WaveLimiterHint : 0
; COMPUTE_PGM_RSRC2:SCRATCH_EN: 0
; COMPUTE_PGM_RSRC2:USER_SGPR: 6
; COMPUTE_PGM_RSRC2:TRAP_HANDLER: 0
; COMPUTE_PGM_RSRC2:TGID_X_EN: 1
; COMPUTE_PGM_RSRC2:TGID_Y_EN: 0
; COMPUTE_PGM_RSRC2:TGID_Z_EN: 0
; COMPUTE_PGM_RSRC2:TIDIG_COMP_CNT: 0
; COMPUTE_PGM_RSRC3_GFX90A:ACCUM_OFFSET: 2
; COMPUTE_PGM_RSRC3_GFX90A:TG_SPLIT: 0
	.section	.text._ZN7rocprim17ROCPRIM_400000_NS6detail17trampoline_kernelINS0_14default_configENS1_38merge_sort_block_merge_config_selectorIjNS0_10empty_typeEEEZZNS1_27merge_sort_block_merge_implIS3_PjPS5_jNS1_19radix_merge_compareILb1ELb1EjNS0_19identity_decomposerEEEEE10hipError_tT0_T1_T2_jT3_P12ihipStream_tbPNSt15iterator_traitsISE_E10value_typeEPNSK_ISF_E10value_typeEPSG_NS1_7vsmem_tEENKUlT_SE_SF_SG_E_clIS8_S8_S9_S9_EESD_ST_SE_SF_SG_EUlST_E1_NS1_11comp_targetILNS1_3genE3ELNS1_11target_archE908ELNS1_3gpuE7ELNS1_3repE0EEENS1_36merge_oddeven_config_static_selectorELNS0_4arch9wavefront6targetE1EEEvSF_,"axG",@progbits,_ZN7rocprim17ROCPRIM_400000_NS6detail17trampoline_kernelINS0_14default_configENS1_38merge_sort_block_merge_config_selectorIjNS0_10empty_typeEEEZZNS1_27merge_sort_block_merge_implIS3_PjPS5_jNS1_19radix_merge_compareILb1ELb1EjNS0_19identity_decomposerEEEEE10hipError_tT0_T1_T2_jT3_P12ihipStream_tbPNSt15iterator_traitsISE_E10value_typeEPNSK_ISF_E10value_typeEPSG_NS1_7vsmem_tEENKUlT_SE_SF_SG_E_clIS8_S8_S9_S9_EESD_ST_SE_SF_SG_EUlST_E1_NS1_11comp_targetILNS1_3genE3ELNS1_11target_archE908ELNS1_3gpuE7ELNS1_3repE0EEENS1_36merge_oddeven_config_static_selectorELNS0_4arch9wavefront6targetE1EEEvSF_,comdat
	.protected	_ZN7rocprim17ROCPRIM_400000_NS6detail17trampoline_kernelINS0_14default_configENS1_38merge_sort_block_merge_config_selectorIjNS0_10empty_typeEEEZZNS1_27merge_sort_block_merge_implIS3_PjPS5_jNS1_19radix_merge_compareILb1ELb1EjNS0_19identity_decomposerEEEEE10hipError_tT0_T1_T2_jT3_P12ihipStream_tbPNSt15iterator_traitsISE_E10value_typeEPNSK_ISF_E10value_typeEPSG_NS1_7vsmem_tEENKUlT_SE_SF_SG_E_clIS8_S8_S9_S9_EESD_ST_SE_SF_SG_EUlST_E1_NS1_11comp_targetILNS1_3genE3ELNS1_11target_archE908ELNS1_3gpuE7ELNS1_3repE0EEENS1_36merge_oddeven_config_static_selectorELNS0_4arch9wavefront6targetE1EEEvSF_ ; -- Begin function _ZN7rocprim17ROCPRIM_400000_NS6detail17trampoline_kernelINS0_14default_configENS1_38merge_sort_block_merge_config_selectorIjNS0_10empty_typeEEEZZNS1_27merge_sort_block_merge_implIS3_PjPS5_jNS1_19radix_merge_compareILb1ELb1EjNS0_19identity_decomposerEEEEE10hipError_tT0_T1_T2_jT3_P12ihipStream_tbPNSt15iterator_traitsISE_E10value_typeEPNSK_ISF_E10value_typeEPSG_NS1_7vsmem_tEENKUlT_SE_SF_SG_E_clIS8_S8_S9_S9_EESD_ST_SE_SF_SG_EUlST_E1_NS1_11comp_targetILNS1_3genE3ELNS1_11target_archE908ELNS1_3gpuE7ELNS1_3repE0EEENS1_36merge_oddeven_config_static_selectorELNS0_4arch9wavefront6targetE1EEEvSF_
	.globl	_ZN7rocprim17ROCPRIM_400000_NS6detail17trampoline_kernelINS0_14default_configENS1_38merge_sort_block_merge_config_selectorIjNS0_10empty_typeEEEZZNS1_27merge_sort_block_merge_implIS3_PjPS5_jNS1_19radix_merge_compareILb1ELb1EjNS0_19identity_decomposerEEEEE10hipError_tT0_T1_T2_jT3_P12ihipStream_tbPNSt15iterator_traitsISE_E10value_typeEPNSK_ISF_E10value_typeEPSG_NS1_7vsmem_tEENKUlT_SE_SF_SG_E_clIS8_S8_S9_S9_EESD_ST_SE_SF_SG_EUlST_E1_NS1_11comp_targetILNS1_3genE3ELNS1_11target_archE908ELNS1_3gpuE7ELNS1_3repE0EEENS1_36merge_oddeven_config_static_selectorELNS0_4arch9wavefront6targetE1EEEvSF_
	.p2align	8
	.type	_ZN7rocprim17ROCPRIM_400000_NS6detail17trampoline_kernelINS0_14default_configENS1_38merge_sort_block_merge_config_selectorIjNS0_10empty_typeEEEZZNS1_27merge_sort_block_merge_implIS3_PjPS5_jNS1_19radix_merge_compareILb1ELb1EjNS0_19identity_decomposerEEEEE10hipError_tT0_T1_T2_jT3_P12ihipStream_tbPNSt15iterator_traitsISE_E10value_typeEPNSK_ISF_E10value_typeEPSG_NS1_7vsmem_tEENKUlT_SE_SF_SG_E_clIS8_S8_S9_S9_EESD_ST_SE_SF_SG_EUlST_E1_NS1_11comp_targetILNS1_3genE3ELNS1_11target_archE908ELNS1_3gpuE7ELNS1_3repE0EEENS1_36merge_oddeven_config_static_selectorELNS0_4arch9wavefront6targetE1EEEvSF_,@function
_ZN7rocprim17ROCPRIM_400000_NS6detail17trampoline_kernelINS0_14default_configENS1_38merge_sort_block_merge_config_selectorIjNS0_10empty_typeEEEZZNS1_27merge_sort_block_merge_implIS3_PjPS5_jNS1_19radix_merge_compareILb1ELb1EjNS0_19identity_decomposerEEEEE10hipError_tT0_T1_T2_jT3_P12ihipStream_tbPNSt15iterator_traitsISE_E10value_typeEPNSK_ISF_E10value_typeEPSG_NS1_7vsmem_tEENKUlT_SE_SF_SG_E_clIS8_S8_S9_S9_EESD_ST_SE_SF_SG_EUlST_E1_NS1_11comp_targetILNS1_3genE3ELNS1_11target_archE908ELNS1_3gpuE7ELNS1_3repE0EEENS1_36merge_oddeven_config_static_selectorELNS0_4arch9wavefront6targetE1EEEvSF_: ; @_ZN7rocprim17ROCPRIM_400000_NS6detail17trampoline_kernelINS0_14default_configENS1_38merge_sort_block_merge_config_selectorIjNS0_10empty_typeEEEZZNS1_27merge_sort_block_merge_implIS3_PjPS5_jNS1_19radix_merge_compareILb1ELb1EjNS0_19identity_decomposerEEEEE10hipError_tT0_T1_T2_jT3_P12ihipStream_tbPNSt15iterator_traitsISE_E10value_typeEPNSK_ISF_E10value_typeEPSG_NS1_7vsmem_tEENKUlT_SE_SF_SG_E_clIS8_S8_S9_S9_EESD_ST_SE_SF_SG_EUlST_E1_NS1_11comp_targetILNS1_3genE3ELNS1_11target_archE908ELNS1_3gpuE7ELNS1_3repE0EEENS1_36merge_oddeven_config_static_selectorELNS0_4arch9wavefront6targetE1EEEvSF_
; %bb.0:
	.section	.rodata,"a",@progbits
	.p2align	6, 0x0
	.amdhsa_kernel _ZN7rocprim17ROCPRIM_400000_NS6detail17trampoline_kernelINS0_14default_configENS1_38merge_sort_block_merge_config_selectorIjNS0_10empty_typeEEEZZNS1_27merge_sort_block_merge_implIS3_PjPS5_jNS1_19radix_merge_compareILb1ELb1EjNS0_19identity_decomposerEEEEE10hipError_tT0_T1_T2_jT3_P12ihipStream_tbPNSt15iterator_traitsISE_E10value_typeEPNSK_ISF_E10value_typeEPSG_NS1_7vsmem_tEENKUlT_SE_SF_SG_E_clIS8_S8_S9_S9_EESD_ST_SE_SF_SG_EUlST_E1_NS1_11comp_targetILNS1_3genE3ELNS1_11target_archE908ELNS1_3gpuE7ELNS1_3repE0EEENS1_36merge_oddeven_config_static_selectorELNS0_4arch9wavefront6targetE1EEEvSF_
		.amdhsa_group_segment_fixed_size 0
		.amdhsa_private_segment_fixed_size 0
		.amdhsa_kernarg_size 48
		.amdhsa_user_sgpr_count 6
		.amdhsa_user_sgpr_private_segment_buffer 1
		.amdhsa_user_sgpr_dispatch_ptr 0
		.amdhsa_user_sgpr_queue_ptr 0
		.amdhsa_user_sgpr_kernarg_segment_ptr 1
		.amdhsa_user_sgpr_dispatch_id 0
		.amdhsa_user_sgpr_flat_scratch_init 0
		.amdhsa_user_sgpr_kernarg_preload_length 0
		.amdhsa_user_sgpr_kernarg_preload_offset 0
		.amdhsa_user_sgpr_private_segment_size 0
		.amdhsa_uses_dynamic_stack 0
		.amdhsa_system_sgpr_private_segment_wavefront_offset 0
		.amdhsa_system_sgpr_workgroup_id_x 1
		.amdhsa_system_sgpr_workgroup_id_y 0
		.amdhsa_system_sgpr_workgroup_id_z 0
		.amdhsa_system_sgpr_workgroup_info 0
		.amdhsa_system_vgpr_workitem_id 0
		.amdhsa_next_free_vgpr 1
		.amdhsa_next_free_sgpr 0
		.amdhsa_accum_offset 4
		.amdhsa_reserve_vcc 0
		.amdhsa_reserve_flat_scratch 0
		.amdhsa_float_round_mode_32 0
		.amdhsa_float_round_mode_16_64 0
		.amdhsa_float_denorm_mode_32 3
		.amdhsa_float_denorm_mode_16_64 3
		.amdhsa_dx10_clamp 1
		.amdhsa_ieee_mode 1
		.amdhsa_fp16_overflow 0
		.amdhsa_tg_split 0
		.amdhsa_exception_fp_ieee_invalid_op 0
		.amdhsa_exception_fp_denorm_src 0
		.amdhsa_exception_fp_ieee_div_zero 0
		.amdhsa_exception_fp_ieee_overflow 0
		.amdhsa_exception_fp_ieee_underflow 0
		.amdhsa_exception_fp_ieee_inexact 0
		.amdhsa_exception_int_div_zero 0
	.end_amdhsa_kernel
	.section	.text._ZN7rocprim17ROCPRIM_400000_NS6detail17trampoline_kernelINS0_14default_configENS1_38merge_sort_block_merge_config_selectorIjNS0_10empty_typeEEEZZNS1_27merge_sort_block_merge_implIS3_PjPS5_jNS1_19radix_merge_compareILb1ELb1EjNS0_19identity_decomposerEEEEE10hipError_tT0_T1_T2_jT3_P12ihipStream_tbPNSt15iterator_traitsISE_E10value_typeEPNSK_ISF_E10value_typeEPSG_NS1_7vsmem_tEENKUlT_SE_SF_SG_E_clIS8_S8_S9_S9_EESD_ST_SE_SF_SG_EUlST_E1_NS1_11comp_targetILNS1_3genE3ELNS1_11target_archE908ELNS1_3gpuE7ELNS1_3repE0EEENS1_36merge_oddeven_config_static_selectorELNS0_4arch9wavefront6targetE1EEEvSF_,"axG",@progbits,_ZN7rocprim17ROCPRIM_400000_NS6detail17trampoline_kernelINS0_14default_configENS1_38merge_sort_block_merge_config_selectorIjNS0_10empty_typeEEEZZNS1_27merge_sort_block_merge_implIS3_PjPS5_jNS1_19radix_merge_compareILb1ELb1EjNS0_19identity_decomposerEEEEE10hipError_tT0_T1_T2_jT3_P12ihipStream_tbPNSt15iterator_traitsISE_E10value_typeEPNSK_ISF_E10value_typeEPSG_NS1_7vsmem_tEENKUlT_SE_SF_SG_E_clIS8_S8_S9_S9_EESD_ST_SE_SF_SG_EUlST_E1_NS1_11comp_targetILNS1_3genE3ELNS1_11target_archE908ELNS1_3gpuE7ELNS1_3repE0EEENS1_36merge_oddeven_config_static_selectorELNS0_4arch9wavefront6targetE1EEEvSF_,comdat
.Lfunc_end2083:
	.size	_ZN7rocprim17ROCPRIM_400000_NS6detail17trampoline_kernelINS0_14default_configENS1_38merge_sort_block_merge_config_selectorIjNS0_10empty_typeEEEZZNS1_27merge_sort_block_merge_implIS3_PjPS5_jNS1_19radix_merge_compareILb1ELb1EjNS0_19identity_decomposerEEEEE10hipError_tT0_T1_T2_jT3_P12ihipStream_tbPNSt15iterator_traitsISE_E10value_typeEPNSK_ISF_E10value_typeEPSG_NS1_7vsmem_tEENKUlT_SE_SF_SG_E_clIS8_S8_S9_S9_EESD_ST_SE_SF_SG_EUlST_E1_NS1_11comp_targetILNS1_3genE3ELNS1_11target_archE908ELNS1_3gpuE7ELNS1_3repE0EEENS1_36merge_oddeven_config_static_selectorELNS0_4arch9wavefront6targetE1EEEvSF_, .Lfunc_end2083-_ZN7rocprim17ROCPRIM_400000_NS6detail17trampoline_kernelINS0_14default_configENS1_38merge_sort_block_merge_config_selectorIjNS0_10empty_typeEEEZZNS1_27merge_sort_block_merge_implIS3_PjPS5_jNS1_19radix_merge_compareILb1ELb1EjNS0_19identity_decomposerEEEEE10hipError_tT0_T1_T2_jT3_P12ihipStream_tbPNSt15iterator_traitsISE_E10value_typeEPNSK_ISF_E10value_typeEPSG_NS1_7vsmem_tEENKUlT_SE_SF_SG_E_clIS8_S8_S9_S9_EESD_ST_SE_SF_SG_EUlST_E1_NS1_11comp_targetILNS1_3genE3ELNS1_11target_archE908ELNS1_3gpuE7ELNS1_3repE0EEENS1_36merge_oddeven_config_static_selectorELNS0_4arch9wavefront6targetE1EEEvSF_
                                        ; -- End function
	.section	.AMDGPU.csdata,"",@progbits
; Kernel info:
; codeLenInByte = 0
; NumSgprs: 4
; NumVgprs: 0
; NumAgprs: 0
; TotalNumVgprs: 0
; ScratchSize: 0
; MemoryBound: 0
; FloatMode: 240
; IeeeMode: 1
; LDSByteSize: 0 bytes/workgroup (compile time only)
; SGPRBlocks: 0
; VGPRBlocks: 0
; NumSGPRsForWavesPerEU: 4
; NumVGPRsForWavesPerEU: 1
; AccumOffset: 4
; Occupancy: 8
; WaveLimiterHint : 0
; COMPUTE_PGM_RSRC2:SCRATCH_EN: 0
; COMPUTE_PGM_RSRC2:USER_SGPR: 6
; COMPUTE_PGM_RSRC2:TRAP_HANDLER: 0
; COMPUTE_PGM_RSRC2:TGID_X_EN: 1
; COMPUTE_PGM_RSRC2:TGID_Y_EN: 0
; COMPUTE_PGM_RSRC2:TGID_Z_EN: 0
; COMPUTE_PGM_RSRC2:TIDIG_COMP_CNT: 0
; COMPUTE_PGM_RSRC3_GFX90A:ACCUM_OFFSET: 0
; COMPUTE_PGM_RSRC3_GFX90A:TG_SPLIT: 0
	.section	.text._ZN7rocprim17ROCPRIM_400000_NS6detail17trampoline_kernelINS0_14default_configENS1_38merge_sort_block_merge_config_selectorIjNS0_10empty_typeEEEZZNS1_27merge_sort_block_merge_implIS3_PjPS5_jNS1_19radix_merge_compareILb1ELb1EjNS0_19identity_decomposerEEEEE10hipError_tT0_T1_T2_jT3_P12ihipStream_tbPNSt15iterator_traitsISE_E10value_typeEPNSK_ISF_E10value_typeEPSG_NS1_7vsmem_tEENKUlT_SE_SF_SG_E_clIS8_S8_S9_S9_EESD_ST_SE_SF_SG_EUlST_E1_NS1_11comp_targetILNS1_3genE2ELNS1_11target_archE906ELNS1_3gpuE6ELNS1_3repE0EEENS1_36merge_oddeven_config_static_selectorELNS0_4arch9wavefront6targetE1EEEvSF_,"axG",@progbits,_ZN7rocprim17ROCPRIM_400000_NS6detail17trampoline_kernelINS0_14default_configENS1_38merge_sort_block_merge_config_selectorIjNS0_10empty_typeEEEZZNS1_27merge_sort_block_merge_implIS3_PjPS5_jNS1_19radix_merge_compareILb1ELb1EjNS0_19identity_decomposerEEEEE10hipError_tT0_T1_T2_jT3_P12ihipStream_tbPNSt15iterator_traitsISE_E10value_typeEPNSK_ISF_E10value_typeEPSG_NS1_7vsmem_tEENKUlT_SE_SF_SG_E_clIS8_S8_S9_S9_EESD_ST_SE_SF_SG_EUlST_E1_NS1_11comp_targetILNS1_3genE2ELNS1_11target_archE906ELNS1_3gpuE6ELNS1_3repE0EEENS1_36merge_oddeven_config_static_selectorELNS0_4arch9wavefront6targetE1EEEvSF_,comdat
	.protected	_ZN7rocprim17ROCPRIM_400000_NS6detail17trampoline_kernelINS0_14default_configENS1_38merge_sort_block_merge_config_selectorIjNS0_10empty_typeEEEZZNS1_27merge_sort_block_merge_implIS3_PjPS5_jNS1_19radix_merge_compareILb1ELb1EjNS0_19identity_decomposerEEEEE10hipError_tT0_T1_T2_jT3_P12ihipStream_tbPNSt15iterator_traitsISE_E10value_typeEPNSK_ISF_E10value_typeEPSG_NS1_7vsmem_tEENKUlT_SE_SF_SG_E_clIS8_S8_S9_S9_EESD_ST_SE_SF_SG_EUlST_E1_NS1_11comp_targetILNS1_3genE2ELNS1_11target_archE906ELNS1_3gpuE6ELNS1_3repE0EEENS1_36merge_oddeven_config_static_selectorELNS0_4arch9wavefront6targetE1EEEvSF_ ; -- Begin function _ZN7rocprim17ROCPRIM_400000_NS6detail17trampoline_kernelINS0_14default_configENS1_38merge_sort_block_merge_config_selectorIjNS0_10empty_typeEEEZZNS1_27merge_sort_block_merge_implIS3_PjPS5_jNS1_19radix_merge_compareILb1ELb1EjNS0_19identity_decomposerEEEEE10hipError_tT0_T1_T2_jT3_P12ihipStream_tbPNSt15iterator_traitsISE_E10value_typeEPNSK_ISF_E10value_typeEPSG_NS1_7vsmem_tEENKUlT_SE_SF_SG_E_clIS8_S8_S9_S9_EESD_ST_SE_SF_SG_EUlST_E1_NS1_11comp_targetILNS1_3genE2ELNS1_11target_archE906ELNS1_3gpuE6ELNS1_3repE0EEENS1_36merge_oddeven_config_static_selectorELNS0_4arch9wavefront6targetE1EEEvSF_
	.globl	_ZN7rocprim17ROCPRIM_400000_NS6detail17trampoline_kernelINS0_14default_configENS1_38merge_sort_block_merge_config_selectorIjNS0_10empty_typeEEEZZNS1_27merge_sort_block_merge_implIS3_PjPS5_jNS1_19radix_merge_compareILb1ELb1EjNS0_19identity_decomposerEEEEE10hipError_tT0_T1_T2_jT3_P12ihipStream_tbPNSt15iterator_traitsISE_E10value_typeEPNSK_ISF_E10value_typeEPSG_NS1_7vsmem_tEENKUlT_SE_SF_SG_E_clIS8_S8_S9_S9_EESD_ST_SE_SF_SG_EUlST_E1_NS1_11comp_targetILNS1_3genE2ELNS1_11target_archE906ELNS1_3gpuE6ELNS1_3repE0EEENS1_36merge_oddeven_config_static_selectorELNS0_4arch9wavefront6targetE1EEEvSF_
	.p2align	8
	.type	_ZN7rocprim17ROCPRIM_400000_NS6detail17trampoline_kernelINS0_14default_configENS1_38merge_sort_block_merge_config_selectorIjNS0_10empty_typeEEEZZNS1_27merge_sort_block_merge_implIS3_PjPS5_jNS1_19radix_merge_compareILb1ELb1EjNS0_19identity_decomposerEEEEE10hipError_tT0_T1_T2_jT3_P12ihipStream_tbPNSt15iterator_traitsISE_E10value_typeEPNSK_ISF_E10value_typeEPSG_NS1_7vsmem_tEENKUlT_SE_SF_SG_E_clIS8_S8_S9_S9_EESD_ST_SE_SF_SG_EUlST_E1_NS1_11comp_targetILNS1_3genE2ELNS1_11target_archE906ELNS1_3gpuE6ELNS1_3repE0EEENS1_36merge_oddeven_config_static_selectorELNS0_4arch9wavefront6targetE1EEEvSF_,@function
_ZN7rocprim17ROCPRIM_400000_NS6detail17trampoline_kernelINS0_14default_configENS1_38merge_sort_block_merge_config_selectorIjNS0_10empty_typeEEEZZNS1_27merge_sort_block_merge_implIS3_PjPS5_jNS1_19radix_merge_compareILb1ELb1EjNS0_19identity_decomposerEEEEE10hipError_tT0_T1_T2_jT3_P12ihipStream_tbPNSt15iterator_traitsISE_E10value_typeEPNSK_ISF_E10value_typeEPSG_NS1_7vsmem_tEENKUlT_SE_SF_SG_E_clIS8_S8_S9_S9_EESD_ST_SE_SF_SG_EUlST_E1_NS1_11comp_targetILNS1_3genE2ELNS1_11target_archE906ELNS1_3gpuE6ELNS1_3repE0EEENS1_36merge_oddeven_config_static_selectorELNS0_4arch9wavefront6targetE1EEEvSF_: ; @_ZN7rocprim17ROCPRIM_400000_NS6detail17trampoline_kernelINS0_14default_configENS1_38merge_sort_block_merge_config_selectorIjNS0_10empty_typeEEEZZNS1_27merge_sort_block_merge_implIS3_PjPS5_jNS1_19radix_merge_compareILb1ELb1EjNS0_19identity_decomposerEEEEE10hipError_tT0_T1_T2_jT3_P12ihipStream_tbPNSt15iterator_traitsISE_E10value_typeEPNSK_ISF_E10value_typeEPSG_NS1_7vsmem_tEENKUlT_SE_SF_SG_E_clIS8_S8_S9_S9_EESD_ST_SE_SF_SG_EUlST_E1_NS1_11comp_targetILNS1_3genE2ELNS1_11target_archE906ELNS1_3gpuE6ELNS1_3repE0EEENS1_36merge_oddeven_config_static_selectorELNS0_4arch9wavefront6targetE1EEEvSF_
; %bb.0:
	.section	.rodata,"a",@progbits
	.p2align	6, 0x0
	.amdhsa_kernel _ZN7rocprim17ROCPRIM_400000_NS6detail17trampoline_kernelINS0_14default_configENS1_38merge_sort_block_merge_config_selectorIjNS0_10empty_typeEEEZZNS1_27merge_sort_block_merge_implIS3_PjPS5_jNS1_19radix_merge_compareILb1ELb1EjNS0_19identity_decomposerEEEEE10hipError_tT0_T1_T2_jT3_P12ihipStream_tbPNSt15iterator_traitsISE_E10value_typeEPNSK_ISF_E10value_typeEPSG_NS1_7vsmem_tEENKUlT_SE_SF_SG_E_clIS8_S8_S9_S9_EESD_ST_SE_SF_SG_EUlST_E1_NS1_11comp_targetILNS1_3genE2ELNS1_11target_archE906ELNS1_3gpuE6ELNS1_3repE0EEENS1_36merge_oddeven_config_static_selectorELNS0_4arch9wavefront6targetE1EEEvSF_
		.amdhsa_group_segment_fixed_size 0
		.amdhsa_private_segment_fixed_size 0
		.amdhsa_kernarg_size 48
		.amdhsa_user_sgpr_count 6
		.amdhsa_user_sgpr_private_segment_buffer 1
		.amdhsa_user_sgpr_dispatch_ptr 0
		.amdhsa_user_sgpr_queue_ptr 0
		.amdhsa_user_sgpr_kernarg_segment_ptr 1
		.amdhsa_user_sgpr_dispatch_id 0
		.amdhsa_user_sgpr_flat_scratch_init 0
		.amdhsa_user_sgpr_kernarg_preload_length 0
		.amdhsa_user_sgpr_kernarg_preload_offset 0
		.amdhsa_user_sgpr_private_segment_size 0
		.amdhsa_uses_dynamic_stack 0
		.amdhsa_system_sgpr_private_segment_wavefront_offset 0
		.amdhsa_system_sgpr_workgroup_id_x 1
		.amdhsa_system_sgpr_workgroup_id_y 0
		.amdhsa_system_sgpr_workgroup_id_z 0
		.amdhsa_system_sgpr_workgroup_info 0
		.amdhsa_system_vgpr_workitem_id 0
		.amdhsa_next_free_vgpr 1
		.amdhsa_next_free_sgpr 0
		.amdhsa_accum_offset 4
		.amdhsa_reserve_vcc 0
		.amdhsa_reserve_flat_scratch 0
		.amdhsa_float_round_mode_32 0
		.amdhsa_float_round_mode_16_64 0
		.amdhsa_float_denorm_mode_32 3
		.amdhsa_float_denorm_mode_16_64 3
		.amdhsa_dx10_clamp 1
		.amdhsa_ieee_mode 1
		.amdhsa_fp16_overflow 0
		.amdhsa_tg_split 0
		.amdhsa_exception_fp_ieee_invalid_op 0
		.amdhsa_exception_fp_denorm_src 0
		.amdhsa_exception_fp_ieee_div_zero 0
		.amdhsa_exception_fp_ieee_overflow 0
		.amdhsa_exception_fp_ieee_underflow 0
		.amdhsa_exception_fp_ieee_inexact 0
		.amdhsa_exception_int_div_zero 0
	.end_amdhsa_kernel
	.section	.text._ZN7rocprim17ROCPRIM_400000_NS6detail17trampoline_kernelINS0_14default_configENS1_38merge_sort_block_merge_config_selectorIjNS0_10empty_typeEEEZZNS1_27merge_sort_block_merge_implIS3_PjPS5_jNS1_19radix_merge_compareILb1ELb1EjNS0_19identity_decomposerEEEEE10hipError_tT0_T1_T2_jT3_P12ihipStream_tbPNSt15iterator_traitsISE_E10value_typeEPNSK_ISF_E10value_typeEPSG_NS1_7vsmem_tEENKUlT_SE_SF_SG_E_clIS8_S8_S9_S9_EESD_ST_SE_SF_SG_EUlST_E1_NS1_11comp_targetILNS1_3genE2ELNS1_11target_archE906ELNS1_3gpuE6ELNS1_3repE0EEENS1_36merge_oddeven_config_static_selectorELNS0_4arch9wavefront6targetE1EEEvSF_,"axG",@progbits,_ZN7rocprim17ROCPRIM_400000_NS6detail17trampoline_kernelINS0_14default_configENS1_38merge_sort_block_merge_config_selectorIjNS0_10empty_typeEEEZZNS1_27merge_sort_block_merge_implIS3_PjPS5_jNS1_19radix_merge_compareILb1ELb1EjNS0_19identity_decomposerEEEEE10hipError_tT0_T1_T2_jT3_P12ihipStream_tbPNSt15iterator_traitsISE_E10value_typeEPNSK_ISF_E10value_typeEPSG_NS1_7vsmem_tEENKUlT_SE_SF_SG_E_clIS8_S8_S9_S9_EESD_ST_SE_SF_SG_EUlST_E1_NS1_11comp_targetILNS1_3genE2ELNS1_11target_archE906ELNS1_3gpuE6ELNS1_3repE0EEENS1_36merge_oddeven_config_static_selectorELNS0_4arch9wavefront6targetE1EEEvSF_,comdat
.Lfunc_end2084:
	.size	_ZN7rocprim17ROCPRIM_400000_NS6detail17trampoline_kernelINS0_14default_configENS1_38merge_sort_block_merge_config_selectorIjNS0_10empty_typeEEEZZNS1_27merge_sort_block_merge_implIS3_PjPS5_jNS1_19radix_merge_compareILb1ELb1EjNS0_19identity_decomposerEEEEE10hipError_tT0_T1_T2_jT3_P12ihipStream_tbPNSt15iterator_traitsISE_E10value_typeEPNSK_ISF_E10value_typeEPSG_NS1_7vsmem_tEENKUlT_SE_SF_SG_E_clIS8_S8_S9_S9_EESD_ST_SE_SF_SG_EUlST_E1_NS1_11comp_targetILNS1_3genE2ELNS1_11target_archE906ELNS1_3gpuE6ELNS1_3repE0EEENS1_36merge_oddeven_config_static_selectorELNS0_4arch9wavefront6targetE1EEEvSF_, .Lfunc_end2084-_ZN7rocprim17ROCPRIM_400000_NS6detail17trampoline_kernelINS0_14default_configENS1_38merge_sort_block_merge_config_selectorIjNS0_10empty_typeEEEZZNS1_27merge_sort_block_merge_implIS3_PjPS5_jNS1_19radix_merge_compareILb1ELb1EjNS0_19identity_decomposerEEEEE10hipError_tT0_T1_T2_jT3_P12ihipStream_tbPNSt15iterator_traitsISE_E10value_typeEPNSK_ISF_E10value_typeEPSG_NS1_7vsmem_tEENKUlT_SE_SF_SG_E_clIS8_S8_S9_S9_EESD_ST_SE_SF_SG_EUlST_E1_NS1_11comp_targetILNS1_3genE2ELNS1_11target_archE906ELNS1_3gpuE6ELNS1_3repE0EEENS1_36merge_oddeven_config_static_selectorELNS0_4arch9wavefront6targetE1EEEvSF_
                                        ; -- End function
	.section	.AMDGPU.csdata,"",@progbits
; Kernel info:
; codeLenInByte = 0
; NumSgprs: 4
; NumVgprs: 0
; NumAgprs: 0
; TotalNumVgprs: 0
; ScratchSize: 0
; MemoryBound: 0
; FloatMode: 240
; IeeeMode: 1
; LDSByteSize: 0 bytes/workgroup (compile time only)
; SGPRBlocks: 0
; VGPRBlocks: 0
; NumSGPRsForWavesPerEU: 4
; NumVGPRsForWavesPerEU: 1
; AccumOffset: 4
; Occupancy: 8
; WaveLimiterHint : 0
; COMPUTE_PGM_RSRC2:SCRATCH_EN: 0
; COMPUTE_PGM_RSRC2:USER_SGPR: 6
; COMPUTE_PGM_RSRC2:TRAP_HANDLER: 0
; COMPUTE_PGM_RSRC2:TGID_X_EN: 1
; COMPUTE_PGM_RSRC2:TGID_Y_EN: 0
; COMPUTE_PGM_RSRC2:TGID_Z_EN: 0
; COMPUTE_PGM_RSRC2:TIDIG_COMP_CNT: 0
; COMPUTE_PGM_RSRC3_GFX90A:ACCUM_OFFSET: 0
; COMPUTE_PGM_RSRC3_GFX90A:TG_SPLIT: 0
	.section	.text._ZN7rocprim17ROCPRIM_400000_NS6detail17trampoline_kernelINS0_14default_configENS1_38merge_sort_block_merge_config_selectorIjNS0_10empty_typeEEEZZNS1_27merge_sort_block_merge_implIS3_PjPS5_jNS1_19radix_merge_compareILb1ELb1EjNS0_19identity_decomposerEEEEE10hipError_tT0_T1_T2_jT3_P12ihipStream_tbPNSt15iterator_traitsISE_E10value_typeEPNSK_ISF_E10value_typeEPSG_NS1_7vsmem_tEENKUlT_SE_SF_SG_E_clIS8_S8_S9_S9_EESD_ST_SE_SF_SG_EUlST_E1_NS1_11comp_targetILNS1_3genE9ELNS1_11target_archE1100ELNS1_3gpuE3ELNS1_3repE0EEENS1_36merge_oddeven_config_static_selectorELNS0_4arch9wavefront6targetE1EEEvSF_,"axG",@progbits,_ZN7rocprim17ROCPRIM_400000_NS6detail17trampoline_kernelINS0_14default_configENS1_38merge_sort_block_merge_config_selectorIjNS0_10empty_typeEEEZZNS1_27merge_sort_block_merge_implIS3_PjPS5_jNS1_19radix_merge_compareILb1ELb1EjNS0_19identity_decomposerEEEEE10hipError_tT0_T1_T2_jT3_P12ihipStream_tbPNSt15iterator_traitsISE_E10value_typeEPNSK_ISF_E10value_typeEPSG_NS1_7vsmem_tEENKUlT_SE_SF_SG_E_clIS8_S8_S9_S9_EESD_ST_SE_SF_SG_EUlST_E1_NS1_11comp_targetILNS1_3genE9ELNS1_11target_archE1100ELNS1_3gpuE3ELNS1_3repE0EEENS1_36merge_oddeven_config_static_selectorELNS0_4arch9wavefront6targetE1EEEvSF_,comdat
	.protected	_ZN7rocprim17ROCPRIM_400000_NS6detail17trampoline_kernelINS0_14default_configENS1_38merge_sort_block_merge_config_selectorIjNS0_10empty_typeEEEZZNS1_27merge_sort_block_merge_implIS3_PjPS5_jNS1_19radix_merge_compareILb1ELb1EjNS0_19identity_decomposerEEEEE10hipError_tT0_T1_T2_jT3_P12ihipStream_tbPNSt15iterator_traitsISE_E10value_typeEPNSK_ISF_E10value_typeEPSG_NS1_7vsmem_tEENKUlT_SE_SF_SG_E_clIS8_S8_S9_S9_EESD_ST_SE_SF_SG_EUlST_E1_NS1_11comp_targetILNS1_3genE9ELNS1_11target_archE1100ELNS1_3gpuE3ELNS1_3repE0EEENS1_36merge_oddeven_config_static_selectorELNS0_4arch9wavefront6targetE1EEEvSF_ ; -- Begin function _ZN7rocprim17ROCPRIM_400000_NS6detail17trampoline_kernelINS0_14default_configENS1_38merge_sort_block_merge_config_selectorIjNS0_10empty_typeEEEZZNS1_27merge_sort_block_merge_implIS3_PjPS5_jNS1_19radix_merge_compareILb1ELb1EjNS0_19identity_decomposerEEEEE10hipError_tT0_T1_T2_jT3_P12ihipStream_tbPNSt15iterator_traitsISE_E10value_typeEPNSK_ISF_E10value_typeEPSG_NS1_7vsmem_tEENKUlT_SE_SF_SG_E_clIS8_S8_S9_S9_EESD_ST_SE_SF_SG_EUlST_E1_NS1_11comp_targetILNS1_3genE9ELNS1_11target_archE1100ELNS1_3gpuE3ELNS1_3repE0EEENS1_36merge_oddeven_config_static_selectorELNS0_4arch9wavefront6targetE1EEEvSF_
	.globl	_ZN7rocprim17ROCPRIM_400000_NS6detail17trampoline_kernelINS0_14default_configENS1_38merge_sort_block_merge_config_selectorIjNS0_10empty_typeEEEZZNS1_27merge_sort_block_merge_implIS3_PjPS5_jNS1_19radix_merge_compareILb1ELb1EjNS0_19identity_decomposerEEEEE10hipError_tT0_T1_T2_jT3_P12ihipStream_tbPNSt15iterator_traitsISE_E10value_typeEPNSK_ISF_E10value_typeEPSG_NS1_7vsmem_tEENKUlT_SE_SF_SG_E_clIS8_S8_S9_S9_EESD_ST_SE_SF_SG_EUlST_E1_NS1_11comp_targetILNS1_3genE9ELNS1_11target_archE1100ELNS1_3gpuE3ELNS1_3repE0EEENS1_36merge_oddeven_config_static_selectorELNS0_4arch9wavefront6targetE1EEEvSF_
	.p2align	8
	.type	_ZN7rocprim17ROCPRIM_400000_NS6detail17trampoline_kernelINS0_14default_configENS1_38merge_sort_block_merge_config_selectorIjNS0_10empty_typeEEEZZNS1_27merge_sort_block_merge_implIS3_PjPS5_jNS1_19radix_merge_compareILb1ELb1EjNS0_19identity_decomposerEEEEE10hipError_tT0_T1_T2_jT3_P12ihipStream_tbPNSt15iterator_traitsISE_E10value_typeEPNSK_ISF_E10value_typeEPSG_NS1_7vsmem_tEENKUlT_SE_SF_SG_E_clIS8_S8_S9_S9_EESD_ST_SE_SF_SG_EUlST_E1_NS1_11comp_targetILNS1_3genE9ELNS1_11target_archE1100ELNS1_3gpuE3ELNS1_3repE0EEENS1_36merge_oddeven_config_static_selectorELNS0_4arch9wavefront6targetE1EEEvSF_,@function
_ZN7rocprim17ROCPRIM_400000_NS6detail17trampoline_kernelINS0_14default_configENS1_38merge_sort_block_merge_config_selectorIjNS0_10empty_typeEEEZZNS1_27merge_sort_block_merge_implIS3_PjPS5_jNS1_19radix_merge_compareILb1ELb1EjNS0_19identity_decomposerEEEEE10hipError_tT0_T1_T2_jT3_P12ihipStream_tbPNSt15iterator_traitsISE_E10value_typeEPNSK_ISF_E10value_typeEPSG_NS1_7vsmem_tEENKUlT_SE_SF_SG_E_clIS8_S8_S9_S9_EESD_ST_SE_SF_SG_EUlST_E1_NS1_11comp_targetILNS1_3genE9ELNS1_11target_archE1100ELNS1_3gpuE3ELNS1_3repE0EEENS1_36merge_oddeven_config_static_selectorELNS0_4arch9wavefront6targetE1EEEvSF_: ; @_ZN7rocprim17ROCPRIM_400000_NS6detail17trampoline_kernelINS0_14default_configENS1_38merge_sort_block_merge_config_selectorIjNS0_10empty_typeEEEZZNS1_27merge_sort_block_merge_implIS3_PjPS5_jNS1_19radix_merge_compareILb1ELb1EjNS0_19identity_decomposerEEEEE10hipError_tT0_T1_T2_jT3_P12ihipStream_tbPNSt15iterator_traitsISE_E10value_typeEPNSK_ISF_E10value_typeEPSG_NS1_7vsmem_tEENKUlT_SE_SF_SG_E_clIS8_S8_S9_S9_EESD_ST_SE_SF_SG_EUlST_E1_NS1_11comp_targetILNS1_3genE9ELNS1_11target_archE1100ELNS1_3gpuE3ELNS1_3repE0EEENS1_36merge_oddeven_config_static_selectorELNS0_4arch9wavefront6targetE1EEEvSF_
; %bb.0:
	.section	.rodata,"a",@progbits
	.p2align	6, 0x0
	.amdhsa_kernel _ZN7rocprim17ROCPRIM_400000_NS6detail17trampoline_kernelINS0_14default_configENS1_38merge_sort_block_merge_config_selectorIjNS0_10empty_typeEEEZZNS1_27merge_sort_block_merge_implIS3_PjPS5_jNS1_19radix_merge_compareILb1ELb1EjNS0_19identity_decomposerEEEEE10hipError_tT0_T1_T2_jT3_P12ihipStream_tbPNSt15iterator_traitsISE_E10value_typeEPNSK_ISF_E10value_typeEPSG_NS1_7vsmem_tEENKUlT_SE_SF_SG_E_clIS8_S8_S9_S9_EESD_ST_SE_SF_SG_EUlST_E1_NS1_11comp_targetILNS1_3genE9ELNS1_11target_archE1100ELNS1_3gpuE3ELNS1_3repE0EEENS1_36merge_oddeven_config_static_selectorELNS0_4arch9wavefront6targetE1EEEvSF_
		.amdhsa_group_segment_fixed_size 0
		.amdhsa_private_segment_fixed_size 0
		.amdhsa_kernarg_size 48
		.amdhsa_user_sgpr_count 6
		.amdhsa_user_sgpr_private_segment_buffer 1
		.amdhsa_user_sgpr_dispatch_ptr 0
		.amdhsa_user_sgpr_queue_ptr 0
		.amdhsa_user_sgpr_kernarg_segment_ptr 1
		.amdhsa_user_sgpr_dispatch_id 0
		.amdhsa_user_sgpr_flat_scratch_init 0
		.amdhsa_user_sgpr_kernarg_preload_length 0
		.amdhsa_user_sgpr_kernarg_preload_offset 0
		.amdhsa_user_sgpr_private_segment_size 0
		.amdhsa_uses_dynamic_stack 0
		.amdhsa_system_sgpr_private_segment_wavefront_offset 0
		.amdhsa_system_sgpr_workgroup_id_x 1
		.amdhsa_system_sgpr_workgroup_id_y 0
		.amdhsa_system_sgpr_workgroup_id_z 0
		.amdhsa_system_sgpr_workgroup_info 0
		.amdhsa_system_vgpr_workitem_id 0
		.amdhsa_next_free_vgpr 1
		.amdhsa_next_free_sgpr 0
		.amdhsa_accum_offset 4
		.amdhsa_reserve_vcc 0
		.amdhsa_reserve_flat_scratch 0
		.amdhsa_float_round_mode_32 0
		.amdhsa_float_round_mode_16_64 0
		.amdhsa_float_denorm_mode_32 3
		.amdhsa_float_denorm_mode_16_64 3
		.amdhsa_dx10_clamp 1
		.amdhsa_ieee_mode 1
		.amdhsa_fp16_overflow 0
		.amdhsa_tg_split 0
		.amdhsa_exception_fp_ieee_invalid_op 0
		.amdhsa_exception_fp_denorm_src 0
		.amdhsa_exception_fp_ieee_div_zero 0
		.amdhsa_exception_fp_ieee_overflow 0
		.amdhsa_exception_fp_ieee_underflow 0
		.amdhsa_exception_fp_ieee_inexact 0
		.amdhsa_exception_int_div_zero 0
	.end_amdhsa_kernel
	.section	.text._ZN7rocprim17ROCPRIM_400000_NS6detail17trampoline_kernelINS0_14default_configENS1_38merge_sort_block_merge_config_selectorIjNS0_10empty_typeEEEZZNS1_27merge_sort_block_merge_implIS3_PjPS5_jNS1_19radix_merge_compareILb1ELb1EjNS0_19identity_decomposerEEEEE10hipError_tT0_T1_T2_jT3_P12ihipStream_tbPNSt15iterator_traitsISE_E10value_typeEPNSK_ISF_E10value_typeEPSG_NS1_7vsmem_tEENKUlT_SE_SF_SG_E_clIS8_S8_S9_S9_EESD_ST_SE_SF_SG_EUlST_E1_NS1_11comp_targetILNS1_3genE9ELNS1_11target_archE1100ELNS1_3gpuE3ELNS1_3repE0EEENS1_36merge_oddeven_config_static_selectorELNS0_4arch9wavefront6targetE1EEEvSF_,"axG",@progbits,_ZN7rocprim17ROCPRIM_400000_NS6detail17trampoline_kernelINS0_14default_configENS1_38merge_sort_block_merge_config_selectorIjNS0_10empty_typeEEEZZNS1_27merge_sort_block_merge_implIS3_PjPS5_jNS1_19radix_merge_compareILb1ELb1EjNS0_19identity_decomposerEEEEE10hipError_tT0_T1_T2_jT3_P12ihipStream_tbPNSt15iterator_traitsISE_E10value_typeEPNSK_ISF_E10value_typeEPSG_NS1_7vsmem_tEENKUlT_SE_SF_SG_E_clIS8_S8_S9_S9_EESD_ST_SE_SF_SG_EUlST_E1_NS1_11comp_targetILNS1_3genE9ELNS1_11target_archE1100ELNS1_3gpuE3ELNS1_3repE0EEENS1_36merge_oddeven_config_static_selectorELNS0_4arch9wavefront6targetE1EEEvSF_,comdat
.Lfunc_end2085:
	.size	_ZN7rocprim17ROCPRIM_400000_NS6detail17trampoline_kernelINS0_14default_configENS1_38merge_sort_block_merge_config_selectorIjNS0_10empty_typeEEEZZNS1_27merge_sort_block_merge_implIS3_PjPS5_jNS1_19radix_merge_compareILb1ELb1EjNS0_19identity_decomposerEEEEE10hipError_tT0_T1_T2_jT3_P12ihipStream_tbPNSt15iterator_traitsISE_E10value_typeEPNSK_ISF_E10value_typeEPSG_NS1_7vsmem_tEENKUlT_SE_SF_SG_E_clIS8_S8_S9_S9_EESD_ST_SE_SF_SG_EUlST_E1_NS1_11comp_targetILNS1_3genE9ELNS1_11target_archE1100ELNS1_3gpuE3ELNS1_3repE0EEENS1_36merge_oddeven_config_static_selectorELNS0_4arch9wavefront6targetE1EEEvSF_, .Lfunc_end2085-_ZN7rocprim17ROCPRIM_400000_NS6detail17trampoline_kernelINS0_14default_configENS1_38merge_sort_block_merge_config_selectorIjNS0_10empty_typeEEEZZNS1_27merge_sort_block_merge_implIS3_PjPS5_jNS1_19radix_merge_compareILb1ELb1EjNS0_19identity_decomposerEEEEE10hipError_tT0_T1_T2_jT3_P12ihipStream_tbPNSt15iterator_traitsISE_E10value_typeEPNSK_ISF_E10value_typeEPSG_NS1_7vsmem_tEENKUlT_SE_SF_SG_E_clIS8_S8_S9_S9_EESD_ST_SE_SF_SG_EUlST_E1_NS1_11comp_targetILNS1_3genE9ELNS1_11target_archE1100ELNS1_3gpuE3ELNS1_3repE0EEENS1_36merge_oddeven_config_static_selectorELNS0_4arch9wavefront6targetE1EEEvSF_
                                        ; -- End function
	.section	.AMDGPU.csdata,"",@progbits
; Kernel info:
; codeLenInByte = 0
; NumSgprs: 4
; NumVgprs: 0
; NumAgprs: 0
; TotalNumVgprs: 0
; ScratchSize: 0
; MemoryBound: 0
; FloatMode: 240
; IeeeMode: 1
; LDSByteSize: 0 bytes/workgroup (compile time only)
; SGPRBlocks: 0
; VGPRBlocks: 0
; NumSGPRsForWavesPerEU: 4
; NumVGPRsForWavesPerEU: 1
; AccumOffset: 4
; Occupancy: 8
; WaveLimiterHint : 0
; COMPUTE_PGM_RSRC2:SCRATCH_EN: 0
; COMPUTE_PGM_RSRC2:USER_SGPR: 6
; COMPUTE_PGM_RSRC2:TRAP_HANDLER: 0
; COMPUTE_PGM_RSRC2:TGID_X_EN: 1
; COMPUTE_PGM_RSRC2:TGID_Y_EN: 0
; COMPUTE_PGM_RSRC2:TGID_Z_EN: 0
; COMPUTE_PGM_RSRC2:TIDIG_COMP_CNT: 0
; COMPUTE_PGM_RSRC3_GFX90A:ACCUM_OFFSET: 0
; COMPUTE_PGM_RSRC3_GFX90A:TG_SPLIT: 0
	.section	.text._ZN7rocprim17ROCPRIM_400000_NS6detail17trampoline_kernelINS0_14default_configENS1_38merge_sort_block_merge_config_selectorIjNS0_10empty_typeEEEZZNS1_27merge_sort_block_merge_implIS3_PjPS5_jNS1_19radix_merge_compareILb1ELb1EjNS0_19identity_decomposerEEEEE10hipError_tT0_T1_T2_jT3_P12ihipStream_tbPNSt15iterator_traitsISE_E10value_typeEPNSK_ISF_E10value_typeEPSG_NS1_7vsmem_tEENKUlT_SE_SF_SG_E_clIS8_S8_S9_S9_EESD_ST_SE_SF_SG_EUlST_E1_NS1_11comp_targetILNS1_3genE8ELNS1_11target_archE1030ELNS1_3gpuE2ELNS1_3repE0EEENS1_36merge_oddeven_config_static_selectorELNS0_4arch9wavefront6targetE1EEEvSF_,"axG",@progbits,_ZN7rocprim17ROCPRIM_400000_NS6detail17trampoline_kernelINS0_14default_configENS1_38merge_sort_block_merge_config_selectorIjNS0_10empty_typeEEEZZNS1_27merge_sort_block_merge_implIS3_PjPS5_jNS1_19radix_merge_compareILb1ELb1EjNS0_19identity_decomposerEEEEE10hipError_tT0_T1_T2_jT3_P12ihipStream_tbPNSt15iterator_traitsISE_E10value_typeEPNSK_ISF_E10value_typeEPSG_NS1_7vsmem_tEENKUlT_SE_SF_SG_E_clIS8_S8_S9_S9_EESD_ST_SE_SF_SG_EUlST_E1_NS1_11comp_targetILNS1_3genE8ELNS1_11target_archE1030ELNS1_3gpuE2ELNS1_3repE0EEENS1_36merge_oddeven_config_static_selectorELNS0_4arch9wavefront6targetE1EEEvSF_,comdat
	.protected	_ZN7rocprim17ROCPRIM_400000_NS6detail17trampoline_kernelINS0_14default_configENS1_38merge_sort_block_merge_config_selectorIjNS0_10empty_typeEEEZZNS1_27merge_sort_block_merge_implIS3_PjPS5_jNS1_19radix_merge_compareILb1ELb1EjNS0_19identity_decomposerEEEEE10hipError_tT0_T1_T2_jT3_P12ihipStream_tbPNSt15iterator_traitsISE_E10value_typeEPNSK_ISF_E10value_typeEPSG_NS1_7vsmem_tEENKUlT_SE_SF_SG_E_clIS8_S8_S9_S9_EESD_ST_SE_SF_SG_EUlST_E1_NS1_11comp_targetILNS1_3genE8ELNS1_11target_archE1030ELNS1_3gpuE2ELNS1_3repE0EEENS1_36merge_oddeven_config_static_selectorELNS0_4arch9wavefront6targetE1EEEvSF_ ; -- Begin function _ZN7rocprim17ROCPRIM_400000_NS6detail17trampoline_kernelINS0_14default_configENS1_38merge_sort_block_merge_config_selectorIjNS0_10empty_typeEEEZZNS1_27merge_sort_block_merge_implIS3_PjPS5_jNS1_19radix_merge_compareILb1ELb1EjNS0_19identity_decomposerEEEEE10hipError_tT0_T1_T2_jT3_P12ihipStream_tbPNSt15iterator_traitsISE_E10value_typeEPNSK_ISF_E10value_typeEPSG_NS1_7vsmem_tEENKUlT_SE_SF_SG_E_clIS8_S8_S9_S9_EESD_ST_SE_SF_SG_EUlST_E1_NS1_11comp_targetILNS1_3genE8ELNS1_11target_archE1030ELNS1_3gpuE2ELNS1_3repE0EEENS1_36merge_oddeven_config_static_selectorELNS0_4arch9wavefront6targetE1EEEvSF_
	.globl	_ZN7rocprim17ROCPRIM_400000_NS6detail17trampoline_kernelINS0_14default_configENS1_38merge_sort_block_merge_config_selectorIjNS0_10empty_typeEEEZZNS1_27merge_sort_block_merge_implIS3_PjPS5_jNS1_19radix_merge_compareILb1ELb1EjNS0_19identity_decomposerEEEEE10hipError_tT0_T1_T2_jT3_P12ihipStream_tbPNSt15iterator_traitsISE_E10value_typeEPNSK_ISF_E10value_typeEPSG_NS1_7vsmem_tEENKUlT_SE_SF_SG_E_clIS8_S8_S9_S9_EESD_ST_SE_SF_SG_EUlST_E1_NS1_11comp_targetILNS1_3genE8ELNS1_11target_archE1030ELNS1_3gpuE2ELNS1_3repE0EEENS1_36merge_oddeven_config_static_selectorELNS0_4arch9wavefront6targetE1EEEvSF_
	.p2align	8
	.type	_ZN7rocprim17ROCPRIM_400000_NS6detail17trampoline_kernelINS0_14default_configENS1_38merge_sort_block_merge_config_selectorIjNS0_10empty_typeEEEZZNS1_27merge_sort_block_merge_implIS3_PjPS5_jNS1_19radix_merge_compareILb1ELb1EjNS0_19identity_decomposerEEEEE10hipError_tT0_T1_T2_jT3_P12ihipStream_tbPNSt15iterator_traitsISE_E10value_typeEPNSK_ISF_E10value_typeEPSG_NS1_7vsmem_tEENKUlT_SE_SF_SG_E_clIS8_S8_S9_S9_EESD_ST_SE_SF_SG_EUlST_E1_NS1_11comp_targetILNS1_3genE8ELNS1_11target_archE1030ELNS1_3gpuE2ELNS1_3repE0EEENS1_36merge_oddeven_config_static_selectorELNS0_4arch9wavefront6targetE1EEEvSF_,@function
_ZN7rocprim17ROCPRIM_400000_NS6detail17trampoline_kernelINS0_14default_configENS1_38merge_sort_block_merge_config_selectorIjNS0_10empty_typeEEEZZNS1_27merge_sort_block_merge_implIS3_PjPS5_jNS1_19radix_merge_compareILb1ELb1EjNS0_19identity_decomposerEEEEE10hipError_tT0_T1_T2_jT3_P12ihipStream_tbPNSt15iterator_traitsISE_E10value_typeEPNSK_ISF_E10value_typeEPSG_NS1_7vsmem_tEENKUlT_SE_SF_SG_E_clIS8_S8_S9_S9_EESD_ST_SE_SF_SG_EUlST_E1_NS1_11comp_targetILNS1_3genE8ELNS1_11target_archE1030ELNS1_3gpuE2ELNS1_3repE0EEENS1_36merge_oddeven_config_static_selectorELNS0_4arch9wavefront6targetE1EEEvSF_: ; @_ZN7rocprim17ROCPRIM_400000_NS6detail17trampoline_kernelINS0_14default_configENS1_38merge_sort_block_merge_config_selectorIjNS0_10empty_typeEEEZZNS1_27merge_sort_block_merge_implIS3_PjPS5_jNS1_19radix_merge_compareILb1ELb1EjNS0_19identity_decomposerEEEEE10hipError_tT0_T1_T2_jT3_P12ihipStream_tbPNSt15iterator_traitsISE_E10value_typeEPNSK_ISF_E10value_typeEPSG_NS1_7vsmem_tEENKUlT_SE_SF_SG_E_clIS8_S8_S9_S9_EESD_ST_SE_SF_SG_EUlST_E1_NS1_11comp_targetILNS1_3genE8ELNS1_11target_archE1030ELNS1_3gpuE2ELNS1_3repE0EEENS1_36merge_oddeven_config_static_selectorELNS0_4arch9wavefront6targetE1EEEvSF_
; %bb.0:
	.section	.rodata,"a",@progbits
	.p2align	6, 0x0
	.amdhsa_kernel _ZN7rocprim17ROCPRIM_400000_NS6detail17trampoline_kernelINS0_14default_configENS1_38merge_sort_block_merge_config_selectorIjNS0_10empty_typeEEEZZNS1_27merge_sort_block_merge_implIS3_PjPS5_jNS1_19radix_merge_compareILb1ELb1EjNS0_19identity_decomposerEEEEE10hipError_tT0_T1_T2_jT3_P12ihipStream_tbPNSt15iterator_traitsISE_E10value_typeEPNSK_ISF_E10value_typeEPSG_NS1_7vsmem_tEENKUlT_SE_SF_SG_E_clIS8_S8_S9_S9_EESD_ST_SE_SF_SG_EUlST_E1_NS1_11comp_targetILNS1_3genE8ELNS1_11target_archE1030ELNS1_3gpuE2ELNS1_3repE0EEENS1_36merge_oddeven_config_static_selectorELNS0_4arch9wavefront6targetE1EEEvSF_
		.amdhsa_group_segment_fixed_size 0
		.amdhsa_private_segment_fixed_size 0
		.amdhsa_kernarg_size 48
		.amdhsa_user_sgpr_count 6
		.amdhsa_user_sgpr_private_segment_buffer 1
		.amdhsa_user_sgpr_dispatch_ptr 0
		.amdhsa_user_sgpr_queue_ptr 0
		.amdhsa_user_sgpr_kernarg_segment_ptr 1
		.amdhsa_user_sgpr_dispatch_id 0
		.amdhsa_user_sgpr_flat_scratch_init 0
		.amdhsa_user_sgpr_kernarg_preload_length 0
		.amdhsa_user_sgpr_kernarg_preload_offset 0
		.amdhsa_user_sgpr_private_segment_size 0
		.amdhsa_uses_dynamic_stack 0
		.amdhsa_system_sgpr_private_segment_wavefront_offset 0
		.amdhsa_system_sgpr_workgroup_id_x 1
		.amdhsa_system_sgpr_workgroup_id_y 0
		.amdhsa_system_sgpr_workgroup_id_z 0
		.amdhsa_system_sgpr_workgroup_info 0
		.amdhsa_system_vgpr_workitem_id 0
		.amdhsa_next_free_vgpr 1
		.amdhsa_next_free_sgpr 0
		.amdhsa_accum_offset 4
		.amdhsa_reserve_vcc 0
		.amdhsa_reserve_flat_scratch 0
		.amdhsa_float_round_mode_32 0
		.amdhsa_float_round_mode_16_64 0
		.amdhsa_float_denorm_mode_32 3
		.amdhsa_float_denorm_mode_16_64 3
		.amdhsa_dx10_clamp 1
		.amdhsa_ieee_mode 1
		.amdhsa_fp16_overflow 0
		.amdhsa_tg_split 0
		.amdhsa_exception_fp_ieee_invalid_op 0
		.amdhsa_exception_fp_denorm_src 0
		.amdhsa_exception_fp_ieee_div_zero 0
		.amdhsa_exception_fp_ieee_overflow 0
		.amdhsa_exception_fp_ieee_underflow 0
		.amdhsa_exception_fp_ieee_inexact 0
		.amdhsa_exception_int_div_zero 0
	.end_amdhsa_kernel
	.section	.text._ZN7rocprim17ROCPRIM_400000_NS6detail17trampoline_kernelINS0_14default_configENS1_38merge_sort_block_merge_config_selectorIjNS0_10empty_typeEEEZZNS1_27merge_sort_block_merge_implIS3_PjPS5_jNS1_19radix_merge_compareILb1ELb1EjNS0_19identity_decomposerEEEEE10hipError_tT0_T1_T2_jT3_P12ihipStream_tbPNSt15iterator_traitsISE_E10value_typeEPNSK_ISF_E10value_typeEPSG_NS1_7vsmem_tEENKUlT_SE_SF_SG_E_clIS8_S8_S9_S9_EESD_ST_SE_SF_SG_EUlST_E1_NS1_11comp_targetILNS1_3genE8ELNS1_11target_archE1030ELNS1_3gpuE2ELNS1_3repE0EEENS1_36merge_oddeven_config_static_selectorELNS0_4arch9wavefront6targetE1EEEvSF_,"axG",@progbits,_ZN7rocprim17ROCPRIM_400000_NS6detail17trampoline_kernelINS0_14default_configENS1_38merge_sort_block_merge_config_selectorIjNS0_10empty_typeEEEZZNS1_27merge_sort_block_merge_implIS3_PjPS5_jNS1_19radix_merge_compareILb1ELb1EjNS0_19identity_decomposerEEEEE10hipError_tT0_T1_T2_jT3_P12ihipStream_tbPNSt15iterator_traitsISE_E10value_typeEPNSK_ISF_E10value_typeEPSG_NS1_7vsmem_tEENKUlT_SE_SF_SG_E_clIS8_S8_S9_S9_EESD_ST_SE_SF_SG_EUlST_E1_NS1_11comp_targetILNS1_3genE8ELNS1_11target_archE1030ELNS1_3gpuE2ELNS1_3repE0EEENS1_36merge_oddeven_config_static_selectorELNS0_4arch9wavefront6targetE1EEEvSF_,comdat
.Lfunc_end2086:
	.size	_ZN7rocprim17ROCPRIM_400000_NS6detail17trampoline_kernelINS0_14default_configENS1_38merge_sort_block_merge_config_selectorIjNS0_10empty_typeEEEZZNS1_27merge_sort_block_merge_implIS3_PjPS5_jNS1_19radix_merge_compareILb1ELb1EjNS0_19identity_decomposerEEEEE10hipError_tT0_T1_T2_jT3_P12ihipStream_tbPNSt15iterator_traitsISE_E10value_typeEPNSK_ISF_E10value_typeEPSG_NS1_7vsmem_tEENKUlT_SE_SF_SG_E_clIS8_S8_S9_S9_EESD_ST_SE_SF_SG_EUlST_E1_NS1_11comp_targetILNS1_3genE8ELNS1_11target_archE1030ELNS1_3gpuE2ELNS1_3repE0EEENS1_36merge_oddeven_config_static_selectorELNS0_4arch9wavefront6targetE1EEEvSF_, .Lfunc_end2086-_ZN7rocprim17ROCPRIM_400000_NS6detail17trampoline_kernelINS0_14default_configENS1_38merge_sort_block_merge_config_selectorIjNS0_10empty_typeEEEZZNS1_27merge_sort_block_merge_implIS3_PjPS5_jNS1_19radix_merge_compareILb1ELb1EjNS0_19identity_decomposerEEEEE10hipError_tT0_T1_T2_jT3_P12ihipStream_tbPNSt15iterator_traitsISE_E10value_typeEPNSK_ISF_E10value_typeEPSG_NS1_7vsmem_tEENKUlT_SE_SF_SG_E_clIS8_S8_S9_S9_EESD_ST_SE_SF_SG_EUlST_E1_NS1_11comp_targetILNS1_3genE8ELNS1_11target_archE1030ELNS1_3gpuE2ELNS1_3repE0EEENS1_36merge_oddeven_config_static_selectorELNS0_4arch9wavefront6targetE1EEEvSF_
                                        ; -- End function
	.section	.AMDGPU.csdata,"",@progbits
; Kernel info:
; codeLenInByte = 0
; NumSgprs: 4
; NumVgprs: 0
; NumAgprs: 0
; TotalNumVgprs: 0
; ScratchSize: 0
; MemoryBound: 0
; FloatMode: 240
; IeeeMode: 1
; LDSByteSize: 0 bytes/workgroup (compile time only)
; SGPRBlocks: 0
; VGPRBlocks: 0
; NumSGPRsForWavesPerEU: 4
; NumVGPRsForWavesPerEU: 1
; AccumOffset: 4
; Occupancy: 8
; WaveLimiterHint : 0
; COMPUTE_PGM_RSRC2:SCRATCH_EN: 0
; COMPUTE_PGM_RSRC2:USER_SGPR: 6
; COMPUTE_PGM_RSRC2:TRAP_HANDLER: 0
; COMPUTE_PGM_RSRC2:TGID_X_EN: 1
; COMPUTE_PGM_RSRC2:TGID_Y_EN: 0
; COMPUTE_PGM_RSRC2:TGID_Z_EN: 0
; COMPUTE_PGM_RSRC2:TIDIG_COMP_CNT: 0
; COMPUTE_PGM_RSRC3_GFX90A:ACCUM_OFFSET: 0
; COMPUTE_PGM_RSRC3_GFX90A:TG_SPLIT: 0
	.section	.text._ZN7rocprim17ROCPRIM_400000_NS6detail17trampoline_kernelINS0_14default_configENS1_35radix_sort_onesweep_config_selectorIjNS0_10empty_typeEEEZNS1_34radix_sort_onesweep_global_offsetsIS3_Lb1EPjPS5_mNS0_19identity_decomposerEEE10hipError_tT1_T2_PT3_SE_jT4_jjP12ihipStream_tbEUlT_E_NS1_11comp_targetILNS1_3genE0ELNS1_11target_archE4294967295ELNS1_3gpuE0ELNS1_3repE0EEENS1_52radix_sort_onesweep_histogram_config_static_selectorELNS0_4arch9wavefront6targetE1EEEvSC_,"axG",@progbits,_ZN7rocprim17ROCPRIM_400000_NS6detail17trampoline_kernelINS0_14default_configENS1_35radix_sort_onesweep_config_selectorIjNS0_10empty_typeEEEZNS1_34radix_sort_onesweep_global_offsetsIS3_Lb1EPjPS5_mNS0_19identity_decomposerEEE10hipError_tT1_T2_PT3_SE_jT4_jjP12ihipStream_tbEUlT_E_NS1_11comp_targetILNS1_3genE0ELNS1_11target_archE4294967295ELNS1_3gpuE0ELNS1_3repE0EEENS1_52radix_sort_onesweep_histogram_config_static_selectorELNS0_4arch9wavefront6targetE1EEEvSC_,comdat
	.protected	_ZN7rocprim17ROCPRIM_400000_NS6detail17trampoline_kernelINS0_14default_configENS1_35radix_sort_onesweep_config_selectorIjNS0_10empty_typeEEEZNS1_34radix_sort_onesweep_global_offsetsIS3_Lb1EPjPS5_mNS0_19identity_decomposerEEE10hipError_tT1_T2_PT3_SE_jT4_jjP12ihipStream_tbEUlT_E_NS1_11comp_targetILNS1_3genE0ELNS1_11target_archE4294967295ELNS1_3gpuE0ELNS1_3repE0EEENS1_52radix_sort_onesweep_histogram_config_static_selectorELNS0_4arch9wavefront6targetE1EEEvSC_ ; -- Begin function _ZN7rocprim17ROCPRIM_400000_NS6detail17trampoline_kernelINS0_14default_configENS1_35radix_sort_onesweep_config_selectorIjNS0_10empty_typeEEEZNS1_34radix_sort_onesweep_global_offsetsIS3_Lb1EPjPS5_mNS0_19identity_decomposerEEE10hipError_tT1_T2_PT3_SE_jT4_jjP12ihipStream_tbEUlT_E_NS1_11comp_targetILNS1_3genE0ELNS1_11target_archE4294967295ELNS1_3gpuE0ELNS1_3repE0EEENS1_52radix_sort_onesweep_histogram_config_static_selectorELNS0_4arch9wavefront6targetE1EEEvSC_
	.globl	_ZN7rocprim17ROCPRIM_400000_NS6detail17trampoline_kernelINS0_14default_configENS1_35radix_sort_onesweep_config_selectorIjNS0_10empty_typeEEEZNS1_34radix_sort_onesweep_global_offsetsIS3_Lb1EPjPS5_mNS0_19identity_decomposerEEE10hipError_tT1_T2_PT3_SE_jT4_jjP12ihipStream_tbEUlT_E_NS1_11comp_targetILNS1_3genE0ELNS1_11target_archE4294967295ELNS1_3gpuE0ELNS1_3repE0EEENS1_52radix_sort_onesweep_histogram_config_static_selectorELNS0_4arch9wavefront6targetE1EEEvSC_
	.p2align	8
	.type	_ZN7rocprim17ROCPRIM_400000_NS6detail17trampoline_kernelINS0_14default_configENS1_35radix_sort_onesweep_config_selectorIjNS0_10empty_typeEEEZNS1_34radix_sort_onesweep_global_offsetsIS3_Lb1EPjPS5_mNS0_19identity_decomposerEEE10hipError_tT1_T2_PT3_SE_jT4_jjP12ihipStream_tbEUlT_E_NS1_11comp_targetILNS1_3genE0ELNS1_11target_archE4294967295ELNS1_3gpuE0ELNS1_3repE0EEENS1_52radix_sort_onesweep_histogram_config_static_selectorELNS0_4arch9wavefront6targetE1EEEvSC_,@function
_ZN7rocprim17ROCPRIM_400000_NS6detail17trampoline_kernelINS0_14default_configENS1_35radix_sort_onesweep_config_selectorIjNS0_10empty_typeEEEZNS1_34radix_sort_onesweep_global_offsetsIS3_Lb1EPjPS5_mNS0_19identity_decomposerEEE10hipError_tT1_T2_PT3_SE_jT4_jjP12ihipStream_tbEUlT_E_NS1_11comp_targetILNS1_3genE0ELNS1_11target_archE4294967295ELNS1_3gpuE0ELNS1_3repE0EEENS1_52radix_sort_onesweep_histogram_config_static_selectorELNS0_4arch9wavefront6targetE1EEEvSC_: ; @_ZN7rocprim17ROCPRIM_400000_NS6detail17trampoline_kernelINS0_14default_configENS1_35radix_sort_onesweep_config_selectorIjNS0_10empty_typeEEEZNS1_34radix_sort_onesweep_global_offsetsIS3_Lb1EPjPS5_mNS0_19identity_decomposerEEE10hipError_tT1_T2_PT3_SE_jT4_jjP12ihipStream_tbEUlT_E_NS1_11comp_targetILNS1_3genE0ELNS1_11target_archE4294967295ELNS1_3gpuE0ELNS1_3repE0EEENS1_52radix_sort_onesweep_histogram_config_static_selectorELNS0_4arch9wavefront6targetE1EEEvSC_
; %bb.0:
	.section	.rodata,"a",@progbits
	.p2align	6, 0x0
	.amdhsa_kernel _ZN7rocprim17ROCPRIM_400000_NS6detail17trampoline_kernelINS0_14default_configENS1_35radix_sort_onesweep_config_selectorIjNS0_10empty_typeEEEZNS1_34radix_sort_onesweep_global_offsetsIS3_Lb1EPjPS5_mNS0_19identity_decomposerEEE10hipError_tT1_T2_PT3_SE_jT4_jjP12ihipStream_tbEUlT_E_NS1_11comp_targetILNS1_3genE0ELNS1_11target_archE4294967295ELNS1_3gpuE0ELNS1_3repE0EEENS1_52radix_sort_onesweep_histogram_config_static_selectorELNS0_4arch9wavefront6targetE1EEEvSC_
		.amdhsa_group_segment_fixed_size 0
		.amdhsa_private_segment_fixed_size 0
		.amdhsa_kernarg_size 48
		.amdhsa_user_sgpr_count 6
		.amdhsa_user_sgpr_private_segment_buffer 1
		.amdhsa_user_sgpr_dispatch_ptr 0
		.amdhsa_user_sgpr_queue_ptr 0
		.amdhsa_user_sgpr_kernarg_segment_ptr 1
		.amdhsa_user_sgpr_dispatch_id 0
		.amdhsa_user_sgpr_flat_scratch_init 0
		.amdhsa_user_sgpr_kernarg_preload_length 0
		.amdhsa_user_sgpr_kernarg_preload_offset 0
		.amdhsa_user_sgpr_private_segment_size 0
		.amdhsa_uses_dynamic_stack 0
		.amdhsa_system_sgpr_private_segment_wavefront_offset 0
		.amdhsa_system_sgpr_workgroup_id_x 1
		.amdhsa_system_sgpr_workgroup_id_y 0
		.amdhsa_system_sgpr_workgroup_id_z 0
		.amdhsa_system_sgpr_workgroup_info 0
		.amdhsa_system_vgpr_workitem_id 0
		.amdhsa_next_free_vgpr 1
		.amdhsa_next_free_sgpr 0
		.amdhsa_accum_offset 4
		.amdhsa_reserve_vcc 0
		.amdhsa_reserve_flat_scratch 0
		.amdhsa_float_round_mode_32 0
		.amdhsa_float_round_mode_16_64 0
		.amdhsa_float_denorm_mode_32 3
		.amdhsa_float_denorm_mode_16_64 3
		.amdhsa_dx10_clamp 1
		.amdhsa_ieee_mode 1
		.amdhsa_fp16_overflow 0
		.amdhsa_tg_split 0
		.amdhsa_exception_fp_ieee_invalid_op 0
		.amdhsa_exception_fp_denorm_src 0
		.amdhsa_exception_fp_ieee_div_zero 0
		.amdhsa_exception_fp_ieee_overflow 0
		.amdhsa_exception_fp_ieee_underflow 0
		.amdhsa_exception_fp_ieee_inexact 0
		.amdhsa_exception_int_div_zero 0
	.end_amdhsa_kernel
	.section	.text._ZN7rocprim17ROCPRIM_400000_NS6detail17trampoline_kernelINS0_14default_configENS1_35radix_sort_onesweep_config_selectorIjNS0_10empty_typeEEEZNS1_34radix_sort_onesweep_global_offsetsIS3_Lb1EPjPS5_mNS0_19identity_decomposerEEE10hipError_tT1_T2_PT3_SE_jT4_jjP12ihipStream_tbEUlT_E_NS1_11comp_targetILNS1_3genE0ELNS1_11target_archE4294967295ELNS1_3gpuE0ELNS1_3repE0EEENS1_52radix_sort_onesweep_histogram_config_static_selectorELNS0_4arch9wavefront6targetE1EEEvSC_,"axG",@progbits,_ZN7rocprim17ROCPRIM_400000_NS6detail17trampoline_kernelINS0_14default_configENS1_35radix_sort_onesweep_config_selectorIjNS0_10empty_typeEEEZNS1_34radix_sort_onesweep_global_offsetsIS3_Lb1EPjPS5_mNS0_19identity_decomposerEEE10hipError_tT1_T2_PT3_SE_jT4_jjP12ihipStream_tbEUlT_E_NS1_11comp_targetILNS1_3genE0ELNS1_11target_archE4294967295ELNS1_3gpuE0ELNS1_3repE0EEENS1_52radix_sort_onesweep_histogram_config_static_selectorELNS0_4arch9wavefront6targetE1EEEvSC_,comdat
.Lfunc_end2087:
	.size	_ZN7rocprim17ROCPRIM_400000_NS6detail17trampoline_kernelINS0_14default_configENS1_35radix_sort_onesweep_config_selectorIjNS0_10empty_typeEEEZNS1_34radix_sort_onesweep_global_offsetsIS3_Lb1EPjPS5_mNS0_19identity_decomposerEEE10hipError_tT1_T2_PT3_SE_jT4_jjP12ihipStream_tbEUlT_E_NS1_11comp_targetILNS1_3genE0ELNS1_11target_archE4294967295ELNS1_3gpuE0ELNS1_3repE0EEENS1_52radix_sort_onesweep_histogram_config_static_selectorELNS0_4arch9wavefront6targetE1EEEvSC_, .Lfunc_end2087-_ZN7rocprim17ROCPRIM_400000_NS6detail17trampoline_kernelINS0_14default_configENS1_35radix_sort_onesweep_config_selectorIjNS0_10empty_typeEEEZNS1_34radix_sort_onesweep_global_offsetsIS3_Lb1EPjPS5_mNS0_19identity_decomposerEEE10hipError_tT1_T2_PT3_SE_jT4_jjP12ihipStream_tbEUlT_E_NS1_11comp_targetILNS1_3genE0ELNS1_11target_archE4294967295ELNS1_3gpuE0ELNS1_3repE0EEENS1_52radix_sort_onesweep_histogram_config_static_selectorELNS0_4arch9wavefront6targetE1EEEvSC_
                                        ; -- End function
	.section	.AMDGPU.csdata,"",@progbits
; Kernel info:
; codeLenInByte = 0
; NumSgprs: 4
; NumVgprs: 0
; NumAgprs: 0
; TotalNumVgprs: 0
; ScratchSize: 0
; MemoryBound: 0
; FloatMode: 240
; IeeeMode: 1
; LDSByteSize: 0 bytes/workgroup (compile time only)
; SGPRBlocks: 0
; VGPRBlocks: 0
; NumSGPRsForWavesPerEU: 4
; NumVGPRsForWavesPerEU: 1
; AccumOffset: 4
; Occupancy: 8
; WaveLimiterHint : 0
; COMPUTE_PGM_RSRC2:SCRATCH_EN: 0
; COMPUTE_PGM_RSRC2:USER_SGPR: 6
; COMPUTE_PGM_RSRC2:TRAP_HANDLER: 0
; COMPUTE_PGM_RSRC2:TGID_X_EN: 1
; COMPUTE_PGM_RSRC2:TGID_Y_EN: 0
; COMPUTE_PGM_RSRC2:TGID_Z_EN: 0
; COMPUTE_PGM_RSRC2:TIDIG_COMP_CNT: 0
; COMPUTE_PGM_RSRC3_GFX90A:ACCUM_OFFSET: 0
; COMPUTE_PGM_RSRC3_GFX90A:TG_SPLIT: 0
	.section	.text._ZN7rocprim17ROCPRIM_400000_NS6detail17trampoline_kernelINS0_14default_configENS1_35radix_sort_onesweep_config_selectorIjNS0_10empty_typeEEEZNS1_34radix_sort_onesweep_global_offsetsIS3_Lb1EPjPS5_mNS0_19identity_decomposerEEE10hipError_tT1_T2_PT3_SE_jT4_jjP12ihipStream_tbEUlT_E_NS1_11comp_targetILNS1_3genE6ELNS1_11target_archE950ELNS1_3gpuE13ELNS1_3repE0EEENS1_52radix_sort_onesweep_histogram_config_static_selectorELNS0_4arch9wavefront6targetE1EEEvSC_,"axG",@progbits,_ZN7rocprim17ROCPRIM_400000_NS6detail17trampoline_kernelINS0_14default_configENS1_35radix_sort_onesweep_config_selectorIjNS0_10empty_typeEEEZNS1_34radix_sort_onesweep_global_offsetsIS3_Lb1EPjPS5_mNS0_19identity_decomposerEEE10hipError_tT1_T2_PT3_SE_jT4_jjP12ihipStream_tbEUlT_E_NS1_11comp_targetILNS1_3genE6ELNS1_11target_archE950ELNS1_3gpuE13ELNS1_3repE0EEENS1_52radix_sort_onesweep_histogram_config_static_selectorELNS0_4arch9wavefront6targetE1EEEvSC_,comdat
	.protected	_ZN7rocprim17ROCPRIM_400000_NS6detail17trampoline_kernelINS0_14default_configENS1_35radix_sort_onesweep_config_selectorIjNS0_10empty_typeEEEZNS1_34radix_sort_onesweep_global_offsetsIS3_Lb1EPjPS5_mNS0_19identity_decomposerEEE10hipError_tT1_T2_PT3_SE_jT4_jjP12ihipStream_tbEUlT_E_NS1_11comp_targetILNS1_3genE6ELNS1_11target_archE950ELNS1_3gpuE13ELNS1_3repE0EEENS1_52radix_sort_onesweep_histogram_config_static_selectorELNS0_4arch9wavefront6targetE1EEEvSC_ ; -- Begin function _ZN7rocprim17ROCPRIM_400000_NS6detail17trampoline_kernelINS0_14default_configENS1_35radix_sort_onesweep_config_selectorIjNS0_10empty_typeEEEZNS1_34radix_sort_onesweep_global_offsetsIS3_Lb1EPjPS5_mNS0_19identity_decomposerEEE10hipError_tT1_T2_PT3_SE_jT4_jjP12ihipStream_tbEUlT_E_NS1_11comp_targetILNS1_3genE6ELNS1_11target_archE950ELNS1_3gpuE13ELNS1_3repE0EEENS1_52radix_sort_onesweep_histogram_config_static_selectorELNS0_4arch9wavefront6targetE1EEEvSC_
	.globl	_ZN7rocprim17ROCPRIM_400000_NS6detail17trampoline_kernelINS0_14default_configENS1_35radix_sort_onesweep_config_selectorIjNS0_10empty_typeEEEZNS1_34radix_sort_onesweep_global_offsetsIS3_Lb1EPjPS5_mNS0_19identity_decomposerEEE10hipError_tT1_T2_PT3_SE_jT4_jjP12ihipStream_tbEUlT_E_NS1_11comp_targetILNS1_3genE6ELNS1_11target_archE950ELNS1_3gpuE13ELNS1_3repE0EEENS1_52radix_sort_onesweep_histogram_config_static_selectorELNS0_4arch9wavefront6targetE1EEEvSC_
	.p2align	8
	.type	_ZN7rocprim17ROCPRIM_400000_NS6detail17trampoline_kernelINS0_14default_configENS1_35radix_sort_onesweep_config_selectorIjNS0_10empty_typeEEEZNS1_34radix_sort_onesweep_global_offsetsIS3_Lb1EPjPS5_mNS0_19identity_decomposerEEE10hipError_tT1_T2_PT3_SE_jT4_jjP12ihipStream_tbEUlT_E_NS1_11comp_targetILNS1_3genE6ELNS1_11target_archE950ELNS1_3gpuE13ELNS1_3repE0EEENS1_52radix_sort_onesweep_histogram_config_static_selectorELNS0_4arch9wavefront6targetE1EEEvSC_,@function
_ZN7rocprim17ROCPRIM_400000_NS6detail17trampoline_kernelINS0_14default_configENS1_35radix_sort_onesweep_config_selectorIjNS0_10empty_typeEEEZNS1_34radix_sort_onesweep_global_offsetsIS3_Lb1EPjPS5_mNS0_19identity_decomposerEEE10hipError_tT1_T2_PT3_SE_jT4_jjP12ihipStream_tbEUlT_E_NS1_11comp_targetILNS1_3genE6ELNS1_11target_archE950ELNS1_3gpuE13ELNS1_3repE0EEENS1_52radix_sort_onesweep_histogram_config_static_selectorELNS0_4arch9wavefront6targetE1EEEvSC_: ; @_ZN7rocprim17ROCPRIM_400000_NS6detail17trampoline_kernelINS0_14default_configENS1_35radix_sort_onesweep_config_selectorIjNS0_10empty_typeEEEZNS1_34radix_sort_onesweep_global_offsetsIS3_Lb1EPjPS5_mNS0_19identity_decomposerEEE10hipError_tT1_T2_PT3_SE_jT4_jjP12ihipStream_tbEUlT_E_NS1_11comp_targetILNS1_3genE6ELNS1_11target_archE950ELNS1_3gpuE13ELNS1_3repE0EEENS1_52radix_sort_onesweep_histogram_config_static_selectorELNS0_4arch9wavefront6targetE1EEEvSC_
; %bb.0:
	.section	.rodata,"a",@progbits
	.p2align	6, 0x0
	.amdhsa_kernel _ZN7rocprim17ROCPRIM_400000_NS6detail17trampoline_kernelINS0_14default_configENS1_35radix_sort_onesweep_config_selectorIjNS0_10empty_typeEEEZNS1_34radix_sort_onesweep_global_offsetsIS3_Lb1EPjPS5_mNS0_19identity_decomposerEEE10hipError_tT1_T2_PT3_SE_jT4_jjP12ihipStream_tbEUlT_E_NS1_11comp_targetILNS1_3genE6ELNS1_11target_archE950ELNS1_3gpuE13ELNS1_3repE0EEENS1_52radix_sort_onesweep_histogram_config_static_selectorELNS0_4arch9wavefront6targetE1EEEvSC_
		.amdhsa_group_segment_fixed_size 0
		.amdhsa_private_segment_fixed_size 0
		.amdhsa_kernarg_size 48
		.amdhsa_user_sgpr_count 6
		.amdhsa_user_sgpr_private_segment_buffer 1
		.amdhsa_user_sgpr_dispatch_ptr 0
		.amdhsa_user_sgpr_queue_ptr 0
		.amdhsa_user_sgpr_kernarg_segment_ptr 1
		.amdhsa_user_sgpr_dispatch_id 0
		.amdhsa_user_sgpr_flat_scratch_init 0
		.amdhsa_user_sgpr_kernarg_preload_length 0
		.amdhsa_user_sgpr_kernarg_preload_offset 0
		.amdhsa_user_sgpr_private_segment_size 0
		.amdhsa_uses_dynamic_stack 0
		.amdhsa_system_sgpr_private_segment_wavefront_offset 0
		.amdhsa_system_sgpr_workgroup_id_x 1
		.amdhsa_system_sgpr_workgroup_id_y 0
		.amdhsa_system_sgpr_workgroup_id_z 0
		.amdhsa_system_sgpr_workgroup_info 0
		.amdhsa_system_vgpr_workitem_id 0
		.amdhsa_next_free_vgpr 1
		.amdhsa_next_free_sgpr 0
		.amdhsa_accum_offset 4
		.amdhsa_reserve_vcc 0
		.amdhsa_reserve_flat_scratch 0
		.amdhsa_float_round_mode_32 0
		.amdhsa_float_round_mode_16_64 0
		.amdhsa_float_denorm_mode_32 3
		.amdhsa_float_denorm_mode_16_64 3
		.amdhsa_dx10_clamp 1
		.amdhsa_ieee_mode 1
		.amdhsa_fp16_overflow 0
		.amdhsa_tg_split 0
		.amdhsa_exception_fp_ieee_invalid_op 0
		.amdhsa_exception_fp_denorm_src 0
		.amdhsa_exception_fp_ieee_div_zero 0
		.amdhsa_exception_fp_ieee_overflow 0
		.amdhsa_exception_fp_ieee_underflow 0
		.amdhsa_exception_fp_ieee_inexact 0
		.amdhsa_exception_int_div_zero 0
	.end_amdhsa_kernel
	.section	.text._ZN7rocprim17ROCPRIM_400000_NS6detail17trampoline_kernelINS0_14default_configENS1_35radix_sort_onesweep_config_selectorIjNS0_10empty_typeEEEZNS1_34radix_sort_onesweep_global_offsetsIS3_Lb1EPjPS5_mNS0_19identity_decomposerEEE10hipError_tT1_T2_PT3_SE_jT4_jjP12ihipStream_tbEUlT_E_NS1_11comp_targetILNS1_3genE6ELNS1_11target_archE950ELNS1_3gpuE13ELNS1_3repE0EEENS1_52radix_sort_onesweep_histogram_config_static_selectorELNS0_4arch9wavefront6targetE1EEEvSC_,"axG",@progbits,_ZN7rocprim17ROCPRIM_400000_NS6detail17trampoline_kernelINS0_14default_configENS1_35radix_sort_onesweep_config_selectorIjNS0_10empty_typeEEEZNS1_34radix_sort_onesweep_global_offsetsIS3_Lb1EPjPS5_mNS0_19identity_decomposerEEE10hipError_tT1_T2_PT3_SE_jT4_jjP12ihipStream_tbEUlT_E_NS1_11comp_targetILNS1_3genE6ELNS1_11target_archE950ELNS1_3gpuE13ELNS1_3repE0EEENS1_52radix_sort_onesweep_histogram_config_static_selectorELNS0_4arch9wavefront6targetE1EEEvSC_,comdat
.Lfunc_end2088:
	.size	_ZN7rocprim17ROCPRIM_400000_NS6detail17trampoline_kernelINS0_14default_configENS1_35radix_sort_onesweep_config_selectorIjNS0_10empty_typeEEEZNS1_34radix_sort_onesweep_global_offsetsIS3_Lb1EPjPS5_mNS0_19identity_decomposerEEE10hipError_tT1_T2_PT3_SE_jT4_jjP12ihipStream_tbEUlT_E_NS1_11comp_targetILNS1_3genE6ELNS1_11target_archE950ELNS1_3gpuE13ELNS1_3repE0EEENS1_52radix_sort_onesweep_histogram_config_static_selectorELNS0_4arch9wavefront6targetE1EEEvSC_, .Lfunc_end2088-_ZN7rocprim17ROCPRIM_400000_NS6detail17trampoline_kernelINS0_14default_configENS1_35radix_sort_onesweep_config_selectorIjNS0_10empty_typeEEEZNS1_34radix_sort_onesweep_global_offsetsIS3_Lb1EPjPS5_mNS0_19identity_decomposerEEE10hipError_tT1_T2_PT3_SE_jT4_jjP12ihipStream_tbEUlT_E_NS1_11comp_targetILNS1_3genE6ELNS1_11target_archE950ELNS1_3gpuE13ELNS1_3repE0EEENS1_52radix_sort_onesweep_histogram_config_static_selectorELNS0_4arch9wavefront6targetE1EEEvSC_
                                        ; -- End function
	.section	.AMDGPU.csdata,"",@progbits
; Kernel info:
; codeLenInByte = 0
; NumSgprs: 4
; NumVgprs: 0
; NumAgprs: 0
; TotalNumVgprs: 0
; ScratchSize: 0
; MemoryBound: 0
; FloatMode: 240
; IeeeMode: 1
; LDSByteSize: 0 bytes/workgroup (compile time only)
; SGPRBlocks: 0
; VGPRBlocks: 0
; NumSGPRsForWavesPerEU: 4
; NumVGPRsForWavesPerEU: 1
; AccumOffset: 4
; Occupancy: 8
; WaveLimiterHint : 0
; COMPUTE_PGM_RSRC2:SCRATCH_EN: 0
; COMPUTE_PGM_RSRC2:USER_SGPR: 6
; COMPUTE_PGM_RSRC2:TRAP_HANDLER: 0
; COMPUTE_PGM_RSRC2:TGID_X_EN: 1
; COMPUTE_PGM_RSRC2:TGID_Y_EN: 0
; COMPUTE_PGM_RSRC2:TGID_Z_EN: 0
; COMPUTE_PGM_RSRC2:TIDIG_COMP_CNT: 0
; COMPUTE_PGM_RSRC3_GFX90A:ACCUM_OFFSET: 0
; COMPUTE_PGM_RSRC3_GFX90A:TG_SPLIT: 0
	.section	.text._ZN7rocprim17ROCPRIM_400000_NS6detail17trampoline_kernelINS0_14default_configENS1_35radix_sort_onesweep_config_selectorIjNS0_10empty_typeEEEZNS1_34radix_sort_onesweep_global_offsetsIS3_Lb1EPjPS5_mNS0_19identity_decomposerEEE10hipError_tT1_T2_PT3_SE_jT4_jjP12ihipStream_tbEUlT_E_NS1_11comp_targetILNS1_3genE5ELNS1_11target_archE942ELNS1_3gpuE9ELNS1_3repE0EEENS1_52radix_sort_onesweep_histogram_config_static_selectorELNS0_4arch9wavefront6targetE1EEEvSC_,"axG",@progbits,_ZN7rocprim17ROCPRIM_400000_NS6detail17trampoline_kernelINS0_14default_configENS1_35radix_sort_onesweep_config_selectorIjNS0_10empty_typeEEEZNS1_34radix_sort_onesweep_global_offsetsIS3_Lb1EPjPS5_mNS0_19identity_decomposerEEE10hipError_tT1_T2_PT3_SE_jT4_jjP12ihipStream_tbEUlT_E_NS1_11comp_targetILNS1_3genE5ELNS1_11target_archE942ELNS1_3gpuE9ELNS1_3repE0EEENS1_52radix_sort_onesweep_histogram_config_static_selectorELNS0_4arch9wavefront6targetE1EEEvSC_,comdat
	.protected	_ZN7rocprim17ROCPRIM_400000_NS6detail17trampoline_kernelINS0_14default_configENS1_35radix_sort_onesweep_config_selectorIjNS0_10empty_typeEEEZNS1_34radix_sort_onesweep_global_offsetsIS3_Lb1EPjPS5_mNS0_19identity_decomposerEEE10hipError_tT1_T2_PT3_SE_jT4_jjP12ihipStream_tbEUlT_E_NS1_11comp_targetILNS1_3genE5ELNS1_11target_archE942ELNS1_3gpuE9ELNS1_3repE0EEENS1_52radix_sort_onesweep_histogram_config_static_selectorELNS0_4arch9wavefront6targetE1EEEvSC_ ; -- Begin function _ZN7rocprim17ROCPRIM_400000_NS6detail17trampoline_kernelINS0_14default_configENS1_35radix_sort_onesweep_config_selectorIjNS0_10empty_typeEEEZNS1_34radix_sort_onesweep_global_offsetsIS3_Lb1EPjPS5_mNS0_19identity_decomposerEEE10hipError_tT1_T2_PT3_SE_jT4_jjP12ihipStream_tbEUlT_E_NS1_11comp_targetILNS1_3genE5ELNS1_11target_archE942ELNS1_3gpuE9ELNS1_3repE0EEENS1_52radix_sort_onesweep_histogram_config_static_selectorELNS0_4arch9wavefront6targetE1EEEvSC_
	.globl	_ZN7rocprim17ROCPRIM_400000_NS6detail17trampoline_kernelINS0_14default_configENS1_35radix_sort_onesweep_config_selectorIjNS0_10empty_typeEEEZNS1_34radix_sort_onesweep_global_offsetsIS3_Lb1EPjPS5_mNS0_19identity_decomposerEEE10hipError_tT1_T2_PT3_SE_jT4_jjP12ihipStream_tbEUlT_E_NS1_11comp_targetILNS1_3genE5ELNS1_11target_archE942ELNS1_3gpuE9ELNS1_3repE0EEENS1_52radix_sort_onesweep_histogram_config_static_selectorELNS0_4arch9wavefront6targetE1EEEvSC_
	.p2align	8
	.type	_ZN7rocprim17ROCPRIM_400000_NS6detail17trampoline_kernelINS0_14default_configENS1_35radix_sort_onesweep_config_selectorIjNS0_10empty_typeEEEZNS1_34radix_sort_onesweep_global_offsetsIS3_Lb1EPjPS5_mNS0_19identity_decomposerEEE10hipError_tT1_T2_PT3_SE_jT4_jjP12ihipStream_tbEUlT_E_NS1_11comp_targetILNS1_3genE5ELNS1_11target_archE942ELNS1_3gpuE9ELNS1_3repE0EEENS1_52radix_sort_onesweep_histogram_config_static_selectorELNS0_4arch9wavefront6targetE1EEEvSC_,@function
_ZN7rocprim17ROCPRIM_400000_NS6detail17trampoline_kernelINS0_14default_configENS1_35radix_sort_onesweep_config_selectorIjNS0_10empty_typeEEEZNS1_34radix_sort_onesweep_global_offsetsIS3_Lb1EPjPS5_mNS0_19identity_decomposerEEE10hipError_tT1_T2_PT3_SE_jT4_jjP12ihipStream_tbEUlT_E_NS1_11comp_targetILNS1_3genE5ELNS1_11target_archE942ELNS1_3gpuE9ELNS1_3repE0EEENS1_52radix_sort_onesweep_histogram_config_static_selectorELNS0_4arch9wavefront6targetE1EEEvSC_: ; @_ZN7rocprim17ROCPRIM_400000_NS6detail17trampoline_kernelINS0_14default_configENS1_35radix_sort_onesweep_config_selectorIjNS0_10empty_typeEEEZNS1_34radix_sort_onesweep_global_offsetsIS3_Lb1EPjPS5_mNS0_19identity_decomposerEEE10hipError_tT1_T2_PT3_SE_jT4_jjP12ihipStream_tbEUlT_E_NS1_11comp_targetILNS1_3genE5ELNS1_11target_archE942ELNS1_3gpuE9ELNS1_3repE0EEENS1_52radix_sort_onesweep_histogram_config_static_selectorELNS0_4arch9wavefront6targetE1EEEvSC_
; %bb.0:
	.section	.rodata,"a",@progbits
	.p2align	6, 0x0
	.amdhsa_kernel _ZN7rocprim17ROCPRIM_400000_NS6detail17trampoline_kernelINS0_14default_configENS1_35radix_sort_onesweep_config_selectorIjNS0_10empty_typeEEEZNS1_34radix_sort_onesweep_global_offsetsIS3_Lb1EPjPS5_mNS0_19identity_decomposerEEE10hipError_tT1_T2_PT3_SE_jT4_jjP12ihipStream_tbEUlT_E_NS1_11comp_targetILNS1_3genE5ELNS1_11target_archE942ELNS1_3gpuE9ELNS1_3repE0EEENS1_52radix_sort_onesweep_histogram_config_static_selectorELNS0_4arch9wavefront6targetE1EEEvSC_
		.amdhsa_group_segment_fixed_size 0
		.amdhsa_private_segment_fixed_size 0
		.amdhsa_kernarg_size 48
		.amdhsa_user_sgpr_count 6
		.amdhsa_user_sgpr_private_segment_buffer 1
		.amdhsa_user_sgpr_dispatch_ptr 0
		.amdhsa_user_sgpr_queue_ptr 0
		.amdhsa_user_sgpr_kernarg_segment_ptr 1
		.amdhsa_user_sgpr_dispatch_id 0
		.amdhsa_user_sgpr_flat_scratch_init 0
		.amdhsa_user_sgpr_kernarg_preload_length 0
		.amdhsa_user_sgpr_kernarg_preload_offset 0
		.amdhsa_user_sgpr_private_segment_size 0
		.amdhsa_uses_dynamic_stack 0
		.amdhsa_system_sgpr_private_segment_wavefront_offset 0
		.amdhsa_system_sgpr_workgroup_id_x 1
		.amdhsa_system_sgpr_workgroup_id_y 0
		.amdhsa_system_sgpr_workgroup_id_z 0
		.amdhsa_system_sgpr_workgroup_info 0
		.amdhsa_system_vgpr_workitem_id 0
		.amdhsa_next_free_vgpr 1
		.amdhsa_next_free_sgpr 0
		.amdhsa_accum_offset 4
		.amdhsa_reserve_vcc 0
		.amdhsa_reserve_flat_scratch 0
		.amdhsa_float_round_mode_32 0
		.amdhsa_float_round_mode_16_64 0
		.amdhsa_float_denorm_mode_32 3
		.amdhsa_float_denorm_mode_16_64 3
		.amdhsa_dx10_clamp 1
		.amdhsa_ieee_mode 1
		.amdhsa_fp16_overflow 0
		.amdhsa_tg_split 0
		.amdhsa_exception_fp_ieee_invalid_op 0
		.amdhsa_exception_fp_denorm_src 0
		.amdhsa_exception_fp_ieee_div_zero 0
		.amdhsa_exception_fp_ieee_overflow 0
		.amdhsa_exception_fp_ieee_underflow 0
		.amdhsa_exception_fp_ieee_inexact 0
		.amdhsa_exception_int_div_zero 0
	.end_amdhsa_kernel
	.section	.text._ZN7rocprim17ROCPRIM_400000_NS6detail17trampoline_kernelINS0_14default_configENS1_35radix_sort_onesweep_config_selectorIjNS0_10empty_typeEEEZNS1_34radix_sort_onesweep_global_offsetsIS3_Lb1EPjPS5_mNS0_19identity_decomposerEEE10hipError_tT1_T2_PT3_SE_jT4_jjP12ihipStream_tbEUlT_E_NS1_11comp_targetILNS1_3genE5ELNS1_11target_archE942ELNS1_3gpuE9ELNS1_3repE0EEENS1_52radix_sort_onesweep_histogram_config_static_selectorELNS0_4arch9wavefront6targetE1EEEvSC_,"axG",@progbits,_ZN7rocprim17ROCPRIM_400000_NS6detail17trampoline_kernelINS0_14default_configENS1_35radix_sort_onesweep_config_selectorIjNS0_10empty_typeEEEZNS1_34radix_sort_onesweep_global_offsetsIS3_Lb1EPjPS5_mNS0_19identity_decomposerEEE10hipError_tT1_T2_PT3_SE_jT4_jjP12ihipStream_tbEUlT_E_NS1_11comp_targetILNS1_3genE5ELNS1_11target_archE942ELNS1_3gpuE9ELNS1_3repE0EEENS1_52radix_sort_onesweep_histogram_config_static_selectorELNS0_4arch9wavefront6targetE1EEEvSC_,comdat
.Lfunc_end2089:
	.size	_ZN7rocprim17ROCPRIM_400000_NS6detail17trampoline_kernelINS0_14default_configENS1_35radix_sort_onesweep_config_selectorIjNS0_10empty_typeEEEZNS1_34radix_sort_onesweep_global_offsetsIS3_Lb1EPjPS5_mNS0_19identity_decomposerEEE10hipError_tT1_T2_PT3_SE_jT4_jjP12ihipStream_tbEUlT_E_NS1_11comp_targetILNS1_3genE5ELNS1_11target_archE942ELNS1_3gpuE9ELNS1_3repE0EEENS1_52radix_sort_onesweep_histogram_config_static_selectorELNS0_4arch9wavefront6targetE1EEEvSC_, .Lfunc_end2089-_ZN7rocprim17ROCPRIM_400000_NS6detail17trampoline_kernelINS0_14default_configENS1_35radix_sort_onesweep_config_selectorIjNS0_10empty_typeEEEZNS1_34radix_sort_onesweep_global_offsetsIS3_Lb1EPjPS5_mNS0_19identity_decomposerEEE10hipError_tT1_T2_PT3_SE_jT4_jjP12ihipStream_tbEUlT_E_NS1_11comp_targetILNS1_3genE5ELNS1_11target_archE942ELNS1_3gpuE9ELNS1_3repE0EEENS1_52radix_sort_onesweep_histogram_config_static_selectorELNS0_4arch9wavefront6targetE1EEEvSC_
                                        ; -- End function
	.section	.AMDGPU.csdata,"",@progbits
; Kernel info:
; codeLenInByte = 0
; NumSgprs: 4
; NumVgprs: 0
; NumAgprs: 0
; TotalNumVgprs: 0
; ScratchSize: 0
; MemoryBound: 0
; FloatMode: 240
; IeeeMode: 1
; LDSByteSize: 0 bytes/workgroup (compile time only)
; SGPRBlocks: 0
; VGPRBlocks: 0
; NumSGPRsForWavesPerEU: 4
; NumVGPRsForWavesPerEU: 1
; AccumOffset: 4
; Occupancy: 8
; WaveLimiterHint : 0
; COMPUTE_PGM_RSRC2:SCRATCH_EN: 0
; COMPUTE_PGM_RSRC2:USER_SGPR: 6
; COMPUTE_PGM_RSRC2:TRAP_HANDLER: 0
; COMPUTE_PGM_RSRC2:TGID_X_EN: 1
; COMPUTE_PGM_RSRC2:TGID_Y_EN: 0
; COMPUTE_PGM_RSRC2:TGID_Z_EN: 0
; COMPUTE_PGM_RSRC2:TIDIG_COMP_CNT: 0
; COMPUTE_PGM_RSRC3_GFX90A:ACCUM_OFFSET: 0
; COMPUTE_PGM_RSRC3_GFX90A:TG_SPLIT: 0
	.section	.text._ZN7rocprim17ROCPRIM_400000_NS6detail17trampoline_kernelINS0_14default_configENS1_35radix_sort_onesweep_config_selectorIjNS0_10empty_typeEEEZNS1_34radix_sort_onesweep_global_offsetsIS3_Lb1EPjPS5_mNS0_19identity_decomposerEEE10hipError_tT1_T2_PT3_SE_jT4_jjP12ihipStream_tbEUlT_E_NS1_11comp_targetILNS1_3genE2ELNS1_11target_archE906ELNS1_3gpuE6ELNS1_3repE0EEENS1_52radix_sort_onesweep_histogram_config_static_selectorELNS0_4arch9wavefront6targetE1EEEvSC_,"axG",@progbits,_ZN7rocprim17ROCPRIM_400000_NS6detail17trampoline_kernelINS0_14default_configENS1_35radix_sort_onesweep_config_selectorIjNS0_10empty_typeEEEZNS1_34radix_sort_onesweep_global_offsetsIS3_Lb1EPjPS5_mNS0_19identity_decomposerEEE10hipError_tT1_T2_PT3_SE_jT4_jjP12ihipStream_tbEUlT_E_NS1_11comp_targetILNS1_3genE2ELNS1_11target_archE906ELNS1_3gpuE6ELNS1_3repE0EEENS1_52radix_sort_onesweep_histogram_config_static_selectorELNS0_4arch9wavefront6targetE1EEEvSC_,comdat
	.protected	_ZN7rocprim17ROCPRIM_400000_NS6detail17trampoline_kernelINS0_14default_configENS1_35radix_sort_onesweep_config_selectorIjNS0_10empty_typeEEEZNS1_34radix_sort_onesweep_global_offsetsIS3_Lb1EPjPS5_mNS0_19identity_decomposerEEE10hipError_tT1_T2_PT3_SE_jT4_jjP12ihipStream_tbEUlT_E_NS1_11comp_targetILNS1_3genE2ELNS1_11target_archE906ELNS1_3gpuE6ELNS1_3repE0EEENS1_52radix_sort_onesweep_histogram_config_static_selectorELNS0_4arch9wavefront6targetE1EEEvSC_ ; -- Begin function _ZN7rocprim17ROCPRIM_400000_NS6detail17trampoline_kernelINS0_14default_configENS1_35radix_sort_onesweep_config_selectorIjNS0_10empty_typeEEEZNS1_34radix_sort_onesweep_global_offsetsIS3_Lb1EPjPS5_mNS0_19identity_decomposerEEE10hipError_tT1_T2_PT3_SE_jT4_jjP12ihipStream_tbEUlT_E_NS1_11comp_targetILNS1_3genE2ELNS1_11target_archE906ELNS1_3gpuE6ELNS1_3repE0EEENS1_52radix_sort_onesweep_histogram_config_static_selectorELNS0_4arch9wavefront6targetE1EEEvSC_
	.globl	_ZN7rocprim17ROCPRIM_400000_NS6detail17trampoline_kernelINS0_14default_configENS1_35radix_sort_onesweep_config_selectorIjNS0_10empty_typeEEEZNS1_34radix_sort_onesweep_global_offsetsIS3_Lb1EPjPS5_mNS0_19identity_decomposerEEE10hipError_tT1_T2_PT3_SE_jT4_jjP12ihipStream_tbEUlT_E_NS1_11comp_targetILNS1_3genE2ELNS1_11target_archE906ELNS1_3gpuE6ELNS1_3repE0EEENS1_52radix_sort_onesweep_histogram_config_static_selectorELNS0_4arch9wavefront6targetE1EEEvSC_
	.p2align	8
	.type	_ZN7rocprim17ROCPRIM_400000_NS6detail17trampoline_kernelINS0_14default_configENS1_35radix_sort_onesweep_config_selectorIjNS0_10empty_typeEEEZNS1_34radix_sort_onesweep_global_offsetsIS3_Lb1EPjPS5_mNS0_19identity_decomposerEEE10hipError_tT1_T2_PT3_SE_jT4_jjP12ihipStream_tbEUlT_E_NS1_11comp_targetILNS1_3genE2ELNS1_11target_archE906ELNS1_3gpuE6ELNS1_3repE0EEENS1_52radix_sort_onesweep_histogram_config_static_selectorELNS0_4arch9wavefront6targetE1EEEvSC_,@function
_ZN7rocprim17ROCPRIM_400000_NS6detail17trampoline_kernelINS0_14default_configENS1_35radix_sort_onesweep_config_selectorIjNS0_10empty_typeEEEZNS1_34radix_sort_onesweep_global_offsetsIS3_Lb1EPjPS5_mNS0_19identity_decomposerEEE10hipError_tT1_T2_PT3_SE_jT4_jjP12ihipStream_tbEUlT_E_NS1_11comp_targetILNS1_3genE2ELNS1_11target_archE906ELNS1_3gpuE6ELNS1_3repE0EEENS1_52radix_sort_onesweep_histogram_config_static_selectorELNS0_4arch9wavefront6targetE1EEEvSC_: ; @_ZN7rocprim17ROCPRIM_400000_NS6detail17trampoline_kernelINS0_14default_configENS1_35radix_sort_onesweep_config_selectorIjNS0_10empty_typeEEEZNS1_34radix_sort_onesweep_global_offsetsIS3_Lb1EPjPS5_mNS0_19identity_decomposerEEE10hipError_tT1_T2_PT3_SE_jT4_jjP12ihipStream_tbEUlT_E_NS1_11comp_targetILNS1_3genE2ELNS1_11target_archE906ELNS1_3gpuE6ELNS1_3repE0EEENS1_52radix_sort_onesweep_histogram_config_static_selectorELNS0_4arch9wavefront6targetE1EEEvSC_
; %bb.0:
	.section	.rodata,"a",@progbits
	.p2align	6, 0x0
	.amdhsa_kernel _ZN7rocprim17ROCPRIM_400000_NS6detail17trampoline_kernelINS0_14default_configENS1_35radix_sort_onesweep_config_selectorIjNS0_10empty_typeEEEZNS1_34radix_sort_onesweep_global_offsetsIS3_Lb1EPjPS5_mNS0_19identity_decomposerEEE10hipError_tT1_T2_PT3_SE_jT4_jjP12ihipStream_tbEUlT_E_NS1_11comp_targetILNS1_3genE2ELNS1_11target_archE906ELNS1_3gpuE6ELNS1_3repE0EEENS1_52radix_sort_onesweep_histogram_config_static_selectorELNS0_4arch9wavefront6targetE1EEEvSC_
		.amdhsa_group_segment_fixed_size 0
		.amdhsa_private_segment_fixed_size 0
		.amdhsa_kernarg_size 48
		.amdhsa_user_sgpr_count 6
		.amdhsa_user_sgpr_private_segment_buffer 1
		.amdhsa_user_sgpr_dispatch_ptr 0
		.amdhsa_user_sgpr_queue_ptr 0
		.amdhsa_user_sgpr_kernarg_segment_ptr 1
		.amdhsa_user_sgpr_dispatch_id 0
		.amdhsa_user_sgpr_flat_scratch_init 0
		.amdhsa_user_sgpr_kernarg_preload_length 0
		.amdhsa_user_sgpr_kernarg_preload_offset 0
		.amdhsa_user_sgpr_private_segment_size 0
		.amdhsa_uses_dynamic_stack 0
		.amdhsa_system_sgpr_private_segment_wavefront_offset 0
		.amdhsa_system_sgpr_workgroup_id_x 1
		.amdhsa_system_sgpr_workgroup_id_y 0
		.amdhsa_system_sgpr_workgroup_id_z 0
		.amdhsa_system_sgpr_workgroup_info 0
		.amdhsa_system_vgpr_workitem_id 0
		.amdhsa_next_free_vgpr 1
		.amdhsa_next_free_sgpr 0
		.amdhsa_accum_offset 4
		.amdhsa_reserve_vcc 0
		.amdhsa_reserve_flat_scratch 0
		.amdhsa_float_round_mode_32 0
		.amdhsa_float_round_mode_16_64 0
		.amdhsa_float_denorm_mode_32 3
		.amdhsa_float_denorm_mode_16_64 3
		.amdhsa_dx10_clamp 1
		.amdhsa_ieee_mode 1
		.amdhsa_fp16_overflow 0
		.amdhsa_tg_split 0
		.amdhsa_exception_fp_ieee_invalid_op 0
		.amdhsa_exception_fp_denorm_src 0
		.amdhsa_exception_fp_ieee_div_zero 0
		.amdhsa_exception_fp_ieee_overflow 0
		.amdhsa_exception_fp_ieee_underflow 0
		.amdhsa_exception_fp_ieee_inexact 0
		.amdhsa_exception_int_div_zero 0
	.end_amdhsa_kernel
	.section	.text._ZN7rocprim17ROCPRIM_400000_NS6detail17trampoline_kernelINS0_14default_configENS1_35radix_sort_onesweep_config_selectorIjNS0_10empty_typeEEEZNS1_34radix_sort_onesweep_global_offsetsIS3_Lb1EPjPS5_mNS0_19identity_decomposerEEE10hipError_tT1_T2_PT3_SE_jT4_jjP12ihipStream_tbEUlT_E_NS1_11comp_targetILNS1_3genE2ELNS1_11target_archE906ELNS1_3gpuE6ELNS1_3repE0EEENS1_52radix_sort_onesweep_histogram_config_static_selectorELNS0_4arch9wavefront6targetE1EEEvSC_,"axG",@progbits,_ZN7rocprim17ROCPRIM_400000_NS6detail17trampoline_kernelINS0_14default_configENS1_35radix_sort_onesweep_config_selectorIjNS0_10empty_typeEEEZNS1_34radix_sort_onesweep_global_offsetsIS3_Lb1EPjPS5_mNS0_19identity_decomposerEEE10hipError_tT1_T2_PT3_SE_jT4_jjP12ihipStream_tbEUlT_E_NS1_11comp_targetILNS1_3genE2ELNS1_11target_archE906ELNS1_3gpuE6ELNS1_3repE0EEENS1_52radix_sort_onesweep_histogram_config_static_selectorELNS0_4arch9wavefront6targetE1EEEvSC_,comdat
.Lfunc_end2090:
	.size	_ZN7rocprim17ROCPRIM_400000_NS6detail17trampoline_kernelINS0_14default_configENS1_35radix_sort_onesweep_config_selectorIjNS0_10empty_typeEEEZNS1_34radix_sort_onesweep_global_offsetsIS3_Lb1EPjPS5_mNS0_19identity_decomposerEEE10hipError_tT1_T2_PT3_SE_jT4_jjP12ihipStream_tbEUlT_E_NS1_11comp_targetILNS1_3genE2ELNS1_11target_archE906ELNS1_3gpuE6ELNS1_3repE0EEENS1_52radix_sort_onesweep_histogram_config_static_selectorELNS0_4arch9wavefront6targetE1EEEvSC_, .Lfunc_end2090-_ZN7rocprim17ROCPRIM_400000_NS6detail17trampoline_kernelINS0_14default_configENS1_35radix_sort_onesweep_config_selectorIjNS0_10empty_typeEEEZNS1_34radix_sort_onesweep_global_offsetsIS3_Lb1EPjPS5_mNS0_19identity_decomposerEEE10hipError_tT1_T2_PT3_SE_jT4_jjP12ihipStream_tbEUlT_E_NS1_11comp_targetILNS1_3genE2ELNS1_11target_archE906ELNS1_3gpuE6ELNS1_3repE0EEENS1_52radix_sort_onesweep_histogram_config_static_selectorELNS0_4arch9wavefront6targetE1EEEvSC_
                                        ; -- End function
	.section	.AMDGPU.csdata,"",@progbits
; Kernel info:
; codeLenInByte = 0
; NumSgprs: 4
; NumVgprs: 0
; NumAgprs: 0
; TotalNumVgprs: 0
; ScratchSize: 0
; MemoryBound: 0
; FloatMode: 240
; IeeeMode: 1
; LDSByteSize: 0 bytes/workgroup (compile time only)
; SGPRBlocks: 0
; VGPRBlocks: 0
; NumSGPRsForWavesPerEU: 4
; NumVGPRsForWavesPerEU: 1
; AccumOffset: 4
; Occupancy: 8
; WaveLimiterHint : 0
; COMPUTE_PGM_RSRC2:SCRATCH_EN: 0
; COMPUTE_PGM_RSRC2:USER_SGPR: 6
; COMPUTE_PGM_RSRC2:TRAP_HANDLER: 0
; COMPUTE_PGM_RSRC2:TGID_X_EN: 1
; COMPUTE_PGM_RSRC2:TGID_Y_EN: 0
; COMPUTE_PGM_RSRC2:TGID_Z_EN: 0
; COMPUTE_PGM_RSRC2:TIDIG_COMP_CNT: 0
; COMPUTE_PGM_RSRC3_GFX90A:ACCUM_OFFSET: 0
; COMPUTE_PGM_RSRC3_GFX90A:TG_SPLIT: 0
	.section	.text._ZN7rocprim17ROCPRIM_400000_NS6detail17trampoline_kernelINS0_14default_configENS1_35radix_sort_onesweep_config_selectorIjNS0_10empty_typeEEEZNS1_34radix_sort_onesweep_global_offsetsIS3_Lb1EPjPS5_mNS0_19identity_decomposerEEE10hipError_tT1_T2_PT3_SE_jT4_jjP12ihipStream_tbEUlT_E_NS1_11comp_targetILNS1_3genE4ELNS1_11target_archE910ELNS1_3gpuE8ELNS1_3repE0EEENS1_52radix_sort_onesweep_histogram_config_static_selectorELNS0_4arch9wavefront6targetE1EEEvSC_,"axG",@progbits,_ZN7rocprim17ROCPRIM_400000_NS6detail17trampoline_kernelINS0_14default_configENS1_35radix_sort_onesweep_config_selectorIjNS0_10empty_typeEEEZNS1_34radix_sort_onesweep_global_offsetsIS3_Lb1EPjPS5_mNS0_19identity_decomposerEEE10hipError_tT1_T2_PT3_SE_jT4_jjP12ihipStream_tbEUlT_E_NS1_11comp_targetILNS1_3genE4ELNS1_11target_archE910ELNS1_3gpuE8ELNS1_3repE0EEENS1_52radix_sort_onesweep_histogram_config_static_selectorELNS0_4arch9wavefront6targetE1EEEvSC_,comdat
	.protected	_ZN7rocprim17ROCPRIM_400000_NS6detail17trampoline_kernelINS0_14default_configENS1_35radix_sort_onesweep_config_selectorIjNS0_10empty_typeEEEZNS1_34radix_sort_onesweep_global_offsetsIS3_Lb1EPjPS5_mNS0_19identity_decomposerEEE10hipError_tT1_T2_PT3_SE_jT4_jjP12ihipStream_tbEUlT_E_NS1_11comp_targetILNS1_3genE4ELNS1_11target_archE910ELNS1_3gpuE8ELNS1_3repE0EEENS1_52radix_sort_onesweep_histogram_config_static_selectorELNS0_4arch9wavefront6targetE1EEEvSC_ ; -- Begin function _ZN7rocprim17ROCPRIM_400000_NS6detail17trampoline_kernelINS0_14default_configENS1_35radix_sort_onesweep_config_selectorIjNS0_10empty_typeEEEZNS1_34radix_sort_onesweep_global_offsetsIS3_Lb1EPjPS5_mNS0_19identity_decomposerEEE10hipError_tT1_T2_PT3_SE_jT4_jjP12ihipStream_tbEUlT_E_NS1_11comp_targetILNS1_3genE4ELNS1_11target_archE910ELNS1_3gpuE8ELNS1_3repE0EEENS1_52radix_sort_onesweep_histogram_config_static_selectorELNS0_4arch9wavefront6targetE1EEEvSC_
	.globl	_ZN7rocprim17ROCPRIM_400000_NS6detail17trampoline_kernelINS0_14default_configENS1_35radix_sort_onesweep_config_selectorIjNS0_10empty_typeEEEZNS1_34radix_sort_onesweep_global_offsetsIS3_Lb1EPjPS5_mNS0_19identity_decomposerEEE10hipError_tT1_T2_PT3_SE_jT4_jjP12ihipStream_tbEUlT_E_NS1_11comp_targetILNS1_3genE4ELNS1_11target_archE910ELNS1_3gpuE8ELNS1_3repE0EEENS1_52radix_sort_onesweep_histogram_config_static_selectorELNS0_4arch9wavefront6targetE1EEEvSC_
	.p2align	8
	.type	_ZN7rocprim17ROCPRIM_400000_NS6detail17trampoline_kernelINS0_14default_configENS1_35radix_sort_onesweep_config_selectorIjNS0_10empty_typeEEEZNS1_34radix_sort_onesweep_global_offsetsIS3_Lb1EPjPS5_mNS0_19identity_decomposerEEE10hipError_tT1_T2_PT3_SE_jT4_jjP12ihipStream_tbEUlT_E_NS1_11comp_targetILNS1_3genE4ELNS1_11target_archE910ELNS1_3gpuE8ELNS1_3repE0EEENS1_52radix_sort_onesweep_histogram_config_static_selectorELNS0_4arch9wavefront6targetE1EEEvSC_,@function
_ZN7rocprim17ROCPRIM_400000_NS6detail17trampoline_kernelINS0_14default_configENS1_35radix_sort_onesweep_config_selectorIjNS0_10empty_typeEEEZNS1_34radix_sort_onesweep_global_offsetsIS3_Lb1EPjPS5_mNS0_19identity_decomposerEEE10hipError_tT1_T2_PT3_SE_jT4_jjP12ihipStream_tbEUlT_E_NS1_11comp_targetILNS1_3genE4ELNS1_11target_archE910ELNS1_3gpuE8ELNS1_3repE0EEENS1_52radix_sort_onesweep_histogram_config_static_selectorELNS0_4arch9wavefront6targetE1EEEvSC_: ; @_ZN7rocprim17ROCPRIM_400000_NS6detail17trampoline_kernelINS0_14default_configENS1_35radix_sort_onesweep_config_selectorIjNS0_10empty_typeEEEZNS1_34radix_sort_onesweep_global_offsetsIS3_Lb1EPjPS5_mNS0_19identity_decomposerEEE10hipError_tT1_T2_PT3_SE_jT4_jjP12ihipStream_tbEUlT_E_NS1_11comp_targetILNS1_3genE4ELNS1_11target_archE910ELNS1_3gpuE8ELNS1_3repE0EEENS1_52radix_sort_onesweep_histogram_config_static_selectorELNS0_4arch9wavefront6targetE1EEEvSC_
; %bb.0:
	s_load_dwordx2 s[10:11], s[4:5], 0x18
	s_load_dwordx4 s[0:3], s[4:5], 0x0
	s_load_dwordx2 s[8:9], s[4:5], 0x24
	v_mov_b32_e32 v2, s6
	v_mov_b32_e32 v3, 0
	s_mul_hi_u32 s7, s6, 0xc000
	s_mul_i32 s6, s6, 0xc000
	s_waitcnt lgkmcnt(0)
	v_cmp_le_u64_e32 vcc, s[10:11], v[2:3]
	s_add_u32 s6, s0, s6
	s_addc_u32 s7, s1, s7
	s_mov_b64 s[0:1], -1
	s_cbranch_vccz .LBB2091_235
; %bb.1:
	s_load_dword s16, s[4:5], 0x10
	s_mul_i32 s0, s10, 0xffffd000
                                        ; implicit-def: $vgpr24
	s_waitcnt lgkmcnt(0)
	s_add_i32 s16, s16, s0
	v_cmp_gt_u32_e32 vcc, s16, v0
	s_and_saveexec_b64 s[0:1], vcc
	s_cbranch_execz .LBB2091_3
; %bb.2:
	v_lshlrev_b32_e32 v1, 2, v0
	global_load_dword v24, v1, s[6:7]
.LBB2091_3:
	s_or_b64 exec, exec, s[0:1]
	v_or_b32_e32 v22, 0x400, v0
	v_cmp_gt_u32_e32 vcc, s16, v22
                                        ; implicit-def: $vgpr23
	s_and_saveexec_b64 s[0:1], vcc
	s_cbranch_execz .LBB2091_5
; %bb.4:
	v_lshlrev_b32_e32 v1, 2, v22
	global_load_dword v23, v1, s[6:7]
.LBB2091_5:
	s_or_b64 exec, exec, s[0:1]
	v_or_b32_e32 v20, 0x800, v0
	v_cmp_gt_u32_e32 vcc, s16, v20
                                        ; implicit-def: $vgpr21
	s_and_saveexec_b64 s[0:1], vcc
	s_cbranch_execz .LBB2091_7
; %bb.6:
	v_lshlrev_b32_e32 v1, 2, v20
	global_load_dword v21, v1, s[6:7]
.LBB2091_7:
	s_or_b64 exec, exec, s[0:1]
	v_or_b32_e32 v18, 0xc00, v0
	v_cmp_gt_u32_e32 vcc, s16, v18
                                        ; implicit-def: $vgpr19
	s_and_saveexec_b64 s[0:1], vcc
	s_cbranch_execz .LBB2091_9
; %bb.8:
	v_lshlrev_b32_e32 v1, 2, v18
	global_load_dword v19, v1, s[6:7]
.LBB2091_9:
	s_or_b64 exec, exec, s[0:1]
	v_or_b32_e32 v16, 0x1000, v0
	v_cmp_gt_u32_e32 vcc, s16, v16
                                        ; implicit-def: $vgpr17
	s_and_saveexec_b64 s[0:1], vcc
	s_cbranch_execz .LBB2091_11
; %bb.10:
	v_lshlrev_b32_e32 v1, 2, v16
	global_load_dword v17, v1, s[6:7]
.LBB2091_11:
	s_or_b64 exec, exec, s[0:1]
	v_or_b32_e32 v14, 0x1400, v0
	v_cmp_gt_u32_e32 vcc, s16, v14
                                        ; implicit-def: $vgpr15
	s_and_saveexec_b64 s[0:1], vcc
	s_cbranch_execz .LBB2091_13
; %bb.12:
	v_lshlrev_b32_e32 v1, 2, v14
	global_load_dword v15, v1, s[6:7]
.LBB2091_13:
	s_or_b64 exec, exec, s[0:1]
	v_or_b32_e32 v12, 0x1800, v0
	v_cmp_gt_u32_e32 vcc, s16, v12
                                        ; implicit-def: $vgpr13
	s_and_saveexec_b64 s[0:1], vcc
	s_cbranch_execz .LBB2091_15
; %bb.14:
	v_lshlrev_b32_e32 v1, 2, v12
	global_load_dword v13, v1, s[6:7]
.LBB2091_15:
	s_or_b64 exec, exec, s[0:1]
	v_or_b32_e32 v10, 0x1c00, v0
	v_cmp_gt_u32_e32 vcc, s16, v10
                                        ; implicit-def: $vgpr11
	s_and_saveexec_b64 s[0:1], vcc
	s_cbranch_execz .LBB2091_17
; %bb.16:
	v_lshlrev_b32_e32 v1, 2, v10
	global_load_dword v11, v1, s[6:7]
.LBB2091_17:
	s_or_b64 exec, exec, s[0:1]
	v_or_b32_e32 v8, 0x2000, v0
	v_cmp_gt_u32_e32 vcc, s16, v8
                                        ; implicit-def: $vgpr9
	s_and_saveexec_b64 s[0:1], vcc
	s_cbranch_execz .LBB2091_19
; %bb.18:
	v_lshlrev_b32_e32 v1, 2, v8
	global_load_dword v9, v1, s[6:7]
.LBB2091_19:
	s_or_b64 exec, exec, s[0:1]
	v_or_b32_e32 v6, 0x2400, v0
	v_cmp_gt_u32_e32 vcc, s16, v6
                                        ; implicit-def: $vgpr7
	s_and_saveexec_b64 s[0:1], vcc
	s_cbranch_execz .LBB2091_21
; %bb.20:
	v_lshlrev_b32_e32 v1, 2, v6
	global_load_dword v7, v1, s[6:7]
.LBB2091_21:
	s_or_b64 exec, exec, s[0:1]
	v_or_b32_e32 v4, 0x2800, v0
	v_cmp_gt_u32_e32 vcc, s16, v4
                                        ; implicit-def: $vgpr5
	s_and_saveexec_b64 s[0:1], vcc
	s_cbranch_execz .LBB2091_23
; %bb.22:
	v_lshlrev_b32_e32 v1, 2, v4
	global_load_dword v5, v1, s[6:7]
.LBB2091_23:
	s_or_b64 exec, exec, s[0:1]
	v_or_b32_e32 v2, 0x2c00, v0
	v_cmp_gt_u32_e32 vcc, s16, v2
                                        ; implicit-def: $vgpr3
	s_and_saveexec_b64 s[0:1], vcc
	s_cbranch_execz .LBB2091_25
; %bb.24:
	v_lshlrev_b32_e32 v1, 2, v2
	global_load_dword v3, v1, s[6:7]
.LBB2091_25:
	s_or_b64 exec, exec, s[0:1]
	s_cmp_le_u32 s9, s8
	s_cselect_b64 s[4:5], -1, 0
	v_cmp_le_u32_e32 vcc, s16, v0
	s_and_b64 s[0:1], s[4:5], exec
	v_lshlrev_b32_e32 v25, 2, v0
	v_mov_b32_e32 v26, 0
	s_cselect_b32 s17, 8, 10
	s_or_b64 s[0:1], s[4:5], vcc
	v_and_b32_e32 v1, 3, v0
	ds_write2st64_b32 v25, v26, v26 offset1:16
	ds_write2st64_b32 v25, v26, v26 offset0:32 offset1:48
	s_waitcnt vmcnt(0)
	v_not_b32_e32 v24, v24
	s_xor_b64 s[10:11], s[0:1], -1
	v_mov_b32_e32 v25, s17
	s_waitcnt lgkmcnt(0)
	s_barrier
	s_and_saveexec_b64 s[0:1], s[10:11]
	s_cbranch_execz .LBB2091_27
; %bb.26:
	s_sub_i32 s10, s9, s8
	s_min_u32 s10, s10, 8
	v_lshrrev_b32_e32 v25, s8, v24
	v_bfe_u32 v25, v25, 0, s10
	v_lshlrev_b32_e32 v26, 2, v1
	v_lshl_or_b32 v25, v25, 4, v26
	v_mov_b32_e32 v26, 1
	ds_add_u32 v25, v26
	v_mov_b32_e32 v25, 0
.LBB2091_27:
	s_or_b64 exec, exec, s[0:1]
	v_cmp_gt_i32_e64 s[0:1], 10, v25
	s_mov_b64 s[12:13], -1
	s_and_saveexec_b64 s[10:11], s[0:1]
; %bb.28:
	v_cmp_eq_u32_e64 s[0:1], 0, v25
	s_orn2_b64 s[12:13], s[0:1], exec
; %bb.29:
	s_or_b64 exec, exec, s[10:11]
	s_and_saveexec_b64 s[10:11], s[12:13]
	s_cbranch_execz .LBB2091_42
; %bb.30:
	s_add_i32 s12, s8, 8
	s_cmp_le_u32 s9, s12
	s_cselect_b64 s[0:1], -1, 0
	s_and_b64 s[14:15], s[0:1], exec
	s_cselect_b32 s13, 8, 10
	s_or_b64 s[0:1], s[0:1], vcc
	s_xor_b64 s[14:15], s[0:1], -1
	v_mov_b32_e32 v25, s13
	s_and_saveexec_b64 s[0:1], s[14:15]
	s_cbranch_execz .LBB2091_32
; %bb.31:
	s_sub_i32 s13, s9, s12
	s_min_u32 s13, s13, 8
	v_lshrrev_b32_e32 v25, s12, v24
	v_bfe_u32 v25, v25, 0, s13
	v_lshlrev_b32_e32 v26, 2, v1
	v_lshl_or_b32 v25, v25, 4, v26
	v_mov_b32_e32 v26, 1
	ds_add_u32 v25, v26 offset:4096
	v_mov_b32_e32 v25, 0
.LBB2091_32:
	s_or_b64 exec, exec, s[0:1]
	v_cmp_gt_i32_e64 s[0:1], 10, v25
	s_mov_b64 s[12:13], -1
	s_and_saveexec_b64 s[14:15], s[0:1]
; %bb.33:
	v_cmp_eq_u32_e64 s[0:1], 0, v25
	s_orn2_b64 s[12:13], s[0:1], exec
; %bb.34:
	s_or_b64 exec, exec, s[14:15]
	s_and_b64 exec, exec, s[12:13]
	s_cbranch_execz .LBB2091_42
; %bb.35:
	s_add_i32 s12, s8, 16
	s_cmp_le_u32 s9, s12
	s_cselect_b64 s[0:1], -1, 0
	s_and_b64 s[14:15], s[0:1], exec
	s_cselect_b32 s13, 8, 10
	s_or_b64 s[0:1], s[0:1], vcc
	s_xor_b64 s[14:15], s[0:1], -1
	v_mov_b32_e32 v25, s13
	s_and_saveexec_b64 s[0:1], s[14:15]
	s_cbranch_execz .LBB2091_37
; %bb.36:
	s_sub_i32 s13, s9, s12
	s_min_u32 s13, s13, 8
	v_lshrrev_b32_e32 v25, s12, v24
	v_bfe_u32 v25, v25, 0, s13
	v_lshlrev_b32_e32 v26, 2, v1
	v_lshl_or_b32 v25, v25, 4, v26
	v_mov_b32_e32 v26, 1
	ds_add_u32 v25, v26 offset:8192
	v_mov_b32_e32 v25, 0
.LBB2091_37:
	s_or_b64 exec, exec, s[0:1]
	v_cmp_gt_i32_e64 s[0:1], 10, v25
	s_mov_b64 s[12:13], -1
	s_and_saveexec_b64 s[14:15], s[0:1]
; %bb.38:
	v_cmp_eq_u32_e64 s[0:1], 0, v25
	s_orn2_b64 s[12:13], s[0:1], exec
; %bb.39:
	s_or_b64 exec, exec, s[14:15]
	s_and_b64 exec, exec, s[12:13]
	s_cbranch_execz .LBB2091_42
; %bb.40:
	s_add_i32 s0, s8, 24
	s_cmp_gt_u32 s9, s0
	s_cselect_b64 s[12:13], -1, 0
	s_xor_b64 s[14:15], vcc, -1
	s_and_b64 s[12:13], s[12:13], s[14:15]
	s_and_b64 exec, exec, s[12:13]
	s_cbranch_execz .LBB2091_42
; %bb.41:
	s_sub_i32 s1, s9, s0
	s_min_u32 s1, s1, 8
	v_lshrrev_b32_e32 v24, s0, v24
	v_bfe_u32 v24, v24, 0, s1
	v_lshlrev_b32_e32 v25, 2, v1
	v_lshl_or_b32 v24, v24, 4, v25
	v_mov_b32_e32 v25, 1
	ds_add_u32 v24, v25 offset:12288
.LBB2091_42:
	s_or_b64 exec, exec, s[10:11]
	v_cmp_le_u32_e32 vcc, s16, v22
	s_or_b64 s[0:1], s[4:5], vcc
	v_not_b32_e32 v23, v23
	s_xor_b64 s[10:11], s[0:1], -1
	v_mov_b32_e32 v22, s17
	s_and_saveexec_b64 s[0:1], s[10:11]
	s_cbranch_execz .LBB2091_44
; %bb.43:
	s_sub_i32 s10, s9, s8
	s_min_u32 s10, s10, 8
	v_lshrrev_b32_e32 v22, s8, v23
	v_bfe_u32 v22, v22, 0, s10
	v_lshlrev_b32_e32 v24, 2, v1
	v_lshl_or_b32 v22, v22, 4, v24
	v_mov_b32_e32 v24, 1
	ds_add_u32 v22, v24
	v_mov_b32_e32 v22, 0
.LBB2091_44:
	s_or_b64 exec, exec, s[0:1]
	v_cmp_gt_i32_e64 s[0:1], 10, v22
	s_mov_b64 s[12:13], -1
	s_and_saveexec_b64 s[10:11], s[0:1]
; %bb.45:
	v_cmp_eq_u32_e64 s[0:1], 0, v22
	s_orn2_b64 s[12:13], s[0:1], exec
; %bb.46:
	s_or_b64 exec, exec, s[10:11]
	s_and_saveexec_b64 s[10:11], s[12:13]
	s_cbranch_execz .LBB2091_59
; %bb.47:
	s_add_i32 s12, s8, 8
	s_cmp_le_u32 s9, s12
	s_cselect_b64 s[0:1], -1, 0
	s_and_b64 s[14:15], s[0:1], exec
	s_cselect_b32 s13, 8, 10
	s_or_b64 s[0:1], s[0:1], vcc
	s_xor_b64 s[14:15], s[0:1], -1
	v_mov_b32_e32 v22, s13
	s_and_saveexec_b64 s[0:1], s[14:15]
	s_cbranch_execz .LBB2091_49
; %bb.48:
	s_sub_i32 s13, s9, s12
	s_min_u32 s13, s13, 8
	v_lshrrev_b32_e32 v22, s12, v23
	v_bfe_u32 v22, v22, 0, s13
	v_lshlrev_b32_e32 v24, 2, v1
	v_lshl_or_b32 v22, v22, 4, v24
	v_mov_b32_e32 v24, 1
	ds_add_u32 v22, v24 offset:4096
	v_mov_b32_e32 v22, 0
.LBB2091_49:
	s_or_b64 exec, exec, s[0:1]
	v_cmp_gt_i32_e64 s[0:1], 10, v22
	s_mov_b64 s[12:13], -1
	s_and_saveexec_b64 s[14:15], s[0:1]
; %bb.50:
	v_cmp_eq_u32_e64 s[0:1], 0, v22
	s_orn2_b64 s[12:13], s[0:1], exec
; %bb.51:
	s_or_b64 exec, exec, s[14:15]
	s_and_b64 exec, exec, s[12:13]
	s_cbranch_execz .LBB2091_59
; %bb.52:
	s_add_i32 s12, s8, 16
	s_cmp_le_u32 s9, s12
	s_cselect_b64 s[0:1], -1, 0
	s_and_b64 s[14:15], s[0:1], exec
	s_cselect_b32 s13, 8, 10
	s_or_b64 s[0:1], s[0:1], vcc
	s_xor_b64 s[14:15], s[0:1], -1
	v_mov_b32_e32 v22, s13
	s_and_saveexec_b64 s[0:1], s[14:15]
	s_cbranch_execz .LBB2091_54
; %bb.53:
	s_sub_i32 s13, s9, s12
	s_min_u32 s13, s13, 8
	v_lshrrev_b32_e32 v22, s12, v23
	v_bfe_u32 v22, v22, 0, s13
	v_lshlrev_b32_e32 v24, 2, v1
	v_lshl_or_b32 v22, v22, 4, v24
	v_mov_b32_e32 v24, 1
	ds_add_u32 v22, v24 offset:8192
	v_mov_b32_e32 v22, 0
.LBB2091_54:
	s_or_b64 exec, exec, s[0:1]
	v_cmp_gt_i32_e64 s[0:1], 10, v22
	s_mov_b64 s[12:13], -1
	s_and_saveexec_b64 s[14:15], s[0:1]
; %bb.55:
	v_cmp_eq_u32_e64 s[0:1], 0, v22
	s_orn2_b64 s[12:13], s[0:1], exec
; %bb.56:
	s_or_b64 exec, exec, s[14:15]
	s_and_b64 exec, exec, s[12:13]
	s_cbranch_execz .LBB2091_59
; %bb.57:
	s_add_i32 s0, s8, 24
	s_cmp_gt_u32 s9, s0
	s_cselect_b64 s[12:13], -1, 0
	s_xor_b64 s[14:15], vcc, -1
	s_and_b64 s[12:13], s[12:13], s[14:15]
	s_and_b64 exec, exec, s[12:13]
	s_cbranch_execz .LBB2091_59
; %bb.58:
	s_sub_i32 s1, s9, s0
	s_min_u32 s1, s1, 8
	v_lshrrev_b32_e32 v22, s0, v23
	v_bfe_u32 v22, v22, 0, s1
	v_lshlrev_b32_e32 v23, 2, v1
	v_lshl_or_b32 v22, v22, 4, v23
	v_mov_b32_e32 v23, 1
	ds_add_u32 v22, v23 offset:12288
.LBB2091_59:
	s_or_b64 exec, exec, s[10:11]
	v_cmp_le_u32_e32 vcc, s16, v20
	s_or_b64 s[0:1], s[4:5], vcc
	v_not_b32_e32 v21, v21
	s_xor_b64 s[10:11], s[0:1], -1
	v_mov_b32_e32 v20, s17
	s_and_saveexec_b64 s[0:1], s[10:11]
	s_cbranch_execz .LBB2091_61
; %bb.60:
	s_sub_i32 s10, s9, s8
	s_min_u32 s10, s10, 8
	v_lshrrev_b32_e32 v20, s8, v21
	v_bfe_u32 v20, v20, 0, s10
	v_lshlrev_b32_e32 v22, 2, v1
	v_lshl_or_b32 v20, v20, 4, v22
	v_mov_b32_e32 v22, 1
	ds_add_u32 v20, v22
	v_mov_b32_e32 v20, 0
.LBB2091_61:
	s_or_b64 exec, exec, s[0:1]
	v_cmp_gt_i32_e64 s[0:1], 10, v20
	s_mov_b64 s[12:13], -1
	s_and_saveexec_b64 s[10:11], s[0:1]
; %bb.62:
	v_cmp_eq_u32_e64 s[0:1], 0, v20
	s_orn2_b64 s[12:13], s[0:1], exec
; %bb.63:
	s_or_b64 exec, exec, s[10:11]
	s_and_saveexec_b64 s[10:11], s[12:13]
	s_cbranch_execz .LBB2091_76
; %bb.64:
	s_add_i32 s12, s8, 8
	s_cmp_le_u32 s9, s12
	s_cselect_b64 s[0:1], -1, 0
	s_and_b64 s[14:15], s[0:1], exec
	s_cselect_b32 s13, 8, 10
	s_or_b64 s[0:1], s[0:1], vcc
	s_xor_b64 s[14:15], s[0:1], -1
	v_mov_b32_e32 v20, s13
	s_and_saveexec_b64 s[0:1], s[14:15]
	s_cbranch_execz .LBB2091_66
; %bb.65:
	s_sub_i32 s13, s9, s12
	s_min_u32 s13, s13, 8
	v_lshrrev_b32_e32 v20, s12, v21
	v_bfe_u32 v20, v20, 0, s13
	v_lshlrev_b32_e32 v22, 2, v1
	v_lshl_or_b32 v20, v20, 4, v22
	v_mov_b32_e32 v22, 1
	ds_add_u32 v20, v22 offset:4096
	v_mov_b32_e32 v20, 0
.LBB2091_66:
	s_or_b64 exec, exec, s[0:1]
	v_cmp_gt_i32_e64 s[0:1], 10, v20
	s_mov_b64 s[12:13], -1
	s_and_saveexec_b64 s[14:15], s[0:1]
; %bb.67:
	v_cmp_eq_u32_e64 s[0:1], 0, v20
	s_orn2_b64 s[12:13], s[0:1], exec
; %bb.68:
	s_or_b64 exec, exec, s[14:15]
	s_and_b64 exec, exec, s[12:13]
	s_cbranch_execz .LBB2091_76
; %bb.69:
	s_add_i32 s12, s8, 16
	s_cmp_le_u32 s9, s12
	s_cselect_b64 s[0:1], -1, 0
	s_and_b64 s[14:15], s[0:1], exec
	s_cselect_b32 s13, 8, 10
	s_or_b64 s[0:1], s[0:1], vcc
	s_xor_b64 s[14:15], s[0:1], -1
	v_mov_b32_e32 v20, s13
	s_and_saveexec_b64 s[0:1], s[14:15]
	s_cbranch_execz .LBB2091_71
; %bb.70:
	s_sub_i32 s13, s9, s12
	s_min_u32 s13, s13, 8
	v_lshrrev_b32_e32 v20, s12, v21
	v_bfe_u32 v20, v20, 0, s13
	v_lshlrev_b32_e32 v22, 2, v1
	v_lshl_or_b32 v20, v20, 4, v22
	v_mov_b32_e32 v22, 1
	ds_add_u32 v20, v22 offset:8192
	v_mov_b32_e32 v20, 0
.LBB2091_71:
	s_or_b64 exec, exec, s[0:1]
	v_cmp_gt_i32_e64 s[0:1], 10, v20
	s_mov_b64 s[12:13], -1
	s_and_saveexec_b64 s[14:15], s[0:1]
; %bb.72:
	v_cmp_eq_u32_e64 s[0:1], 0, v20
	s_orn2_b64 s[12:13], s[0:1], exec
; %bb.73:
	s_or_b64 exec, exec, s[14:15]
	s_and_b64 exec, exec, s[12:13]
	s_cbranch_execz .LBB2091_76
; %bb.74:
	s_add_i32 s0, s8, 24
	s_cmp_gt_u32 s9, s0
	s_cselect_b64 s[12:13], -1, 0
	s_xor_b64 s[14:15], vcc, -1
	s_and_b64 s[12:13], s[12:13], s[14:15]
	s_and_b64 exec, exec, s[12:13]
	s_cbranch_execz .LBB2091_76
; %bb.75:
	s_sub_i32 s1, s9, s0
	s_min_u32 s1, s1, 8
	v_lshrrev_b32_e32 v20, s0, v21
	v_bfe_u32 v20, v20, 0, s1
	v_lshlrev_b32_e32 v21, 2, v1
	v_lshl_or_b32 v20, v20, 4, v21
	v_mov_b32_e32 v21, 1
	ds_add_u32 v20, v21 offset:12288
.LBB2091_76:
	s_or_b64 exec, exec, s[10:11]
	v_cmp_le_u32_e32 vcc, s16, v18
	s_or_b64 s[0:1], s[4:5], vcc
	v_not_b32_e32 v19, v19
	s_xor_b64 s[10:11], s[0:1], -1
	v_mov_b32_e32 v18, s17
	s_and_saveexec_b64 s[0:1], s[10:11]
	s_cbranch_execz .LBB2091_78
; %bb.77:
	s_sub_i32 s10, s9, s8
	s_min_u32 s10, s10, 8
	v_lshrrev_b32_e32 v18, s8, v19
	v_bfe_u32 v18, v18, 0, s10
	v_lshlrev_b32_e32 v20, 2, v1
	v_lshl_or_b32 v18, v18, 4, v20
	v_mov_b32_e32 v20, 1
	ds_add_u32 v18, v20
	v_mov_b32_e32 v18, 0
.LBB2091_78:
	s_or_b64 exec, exec, s[0:1]
	v_cmp_gt_i32_e64 s[0:1], 10, v18
	s_mov_b64 s[12:13], -1
	s_and_saveexec_b64 s[10:11], s[0:1]
; %bb.79:
	v_cmp_eq_u32_e64 s[0:1], 0, v18
	s_orn2_b64 s[12:13], s[0:1], exec
; %bb.80:
	s_or_b64 exec, exec, s[10:11]
	s_and_saveexec_b64 s[10:11], s[12:13]
	s_cbranch_execz .LBB2091_93
; %bb.81:
	s_add_i32 s12, s8, 8
	s_cmp_le_u32 s9, s12
	s_cselect_b64 s[0:1], -1, 0
	s_and_b64 s[14:15], s[0:1], exec
	s_cselect_b32 s13, 8, 10
	s_or_b64 s[0:1], s[0:1], vcc
	s_xor_b64 s[14:15], s[0:1], -1
	v_mov_b32_e32 v18, s13
	s_and_saveexec_b64 s[0:1], s[14:15]
	s_cbranch_execz .LBB2091_83
; %bb.82:
	s_sub_i32 s13, s9, s12
	s_min_u32 s13, s13, 8
	v_lshrrev_b32_e32 v18, s12, v19
	v_bfe_u32 v18, v18, 0, s13
	v_lshlrev_b32_e32 v20, 2, v1
	v_lshl_or_b32 v18, v18, 4, v20
	v_mov_b32_e32 v20, 1
	ds_add_u32 v18, v20 offset:4096
	v_mov_b32_e32 v18, 0
.LBB2091_83:
	s_or_b64 exec, exec, s[0:1]
	v_cmp_gt_i32_e64 s[0:1], 10, v18
	s_mov_b64 s[12:13], -1
	s_and_saveexec_b64 s[14:15], s[0:1]
; %bb.84:
	v_cmp_eq_u32_e64 s[0:1], 0, v18
	s_orn2_b64 s[12:13], s[0:1], exec
; %bb.85:
	s_or_b64 exec, exec, s[14:15]
	s_and_b64 exec, exec, s[12:13]
	s_cbranch_execz .LBB2091_93
; %bb.86:
	s_add_i32 s12, s8, 16
	s_cmp_le_u32 s9, s12
	s_cselect_b64 s[0:1], -1, 0
	s_and_b64 s[14:15], s[0:1], exec
	s_cselect_b32 s13, 8, 10
	s_or_b64 s[0:1], s[0:1], vcc
	s_xor_b64 s[14:15], s[0:1], -1
	v_mov_b32_e32 v18, s13
	s_and_saveexec_b64 s[0:1], s[14:15]
	s_cbranch_execz .LBB2091_88
; %bb.87:
	s_sub_i32 s13, s9, s12
	s_min_u32 s13, s13, 8
	v_lshrrev_b32_e32 v18, s12, v19
	v_bfe_u32 v18, v18, 0, s13
	v_lshlrev_b32_e32 v20, 2, v1
	v_lshl_or_b32 v18, v18, 4, v20
	v_mov_b32_e32 v20, 1
	ds_add_u32 v18, v20 offset:8192
	v_mov_b32_e32 v18, 0
.LBB2091_88:
	s_or_b64 exec, exec, s[0:1]
	v_cmp_gt_i32_e64 s[0:1], 10, v18
	s_mov_b64 s[12:13], -1
	s_and_saveexec_b64 s[14:15], s[0:1]
; %bb.89:
	v_cmp_eq_u32_e64 s[0:1], 0, v18
	s_orn2_b64 s[12:13], s[0:1], exec
; %bb.90:
	s_or_b64 exec, exec, s[14:15]
	s_and_b64 exec, exec, s[12:13]
	s_cbranch_execz .LBB2091_93
; %bb.91:
	s_add_i32 s0, s8, 24
	s_cmp_gt_u32 s9, s0
	s_cselect_b64 s[12:13], -1, 0
	s_xor_b64 s[14:15], vcc, -1
	s_and_b64 s[12:13], s[12:13], s[14:15]
	s_and_b64 exec, exec, s[12:13]
	s_cbranch_execz .LBB2091_93
; %bb.92:
	s_sub_i32 s1, s9, s0
	s_min_u32 s1, s1, 8
	v_lshrrev_b32_e32 v18, s0, v19
	v_bfe_u32 v18, v18, 0, s1
	v_lshlrev_b32_e32 v19, 2, v1
	v_lshl_or_b32 v18, v18, 4, v19
	v_mov_b32_e32 v19, 1
	ds_add_u32 v18, v19 offset:12288
.LBB2091_93:
	s_or_b64 exec, exec, s[10:11]
	v_cmp_le_u32_e32 vcc, s16, v16
	s_or_b64 s[0:1], s[4:5], vcc
	v_not_b32_e32 v17, v17
	s_xor_b64 s[10:11], s[0:1], -1
	v_mov_b32_e32 v16, s17
	s_and_saveexec_b64 s[0:1], s[10:11]
	s_cbranch_execz .LBB2091_95
; %bb.94:
	s_sub_i32 s10, s9, s8
	s_min_u32 s10, s10, 8
	v_lshrrev_b32_e32 v16, s8, v17
	v_bfe_u32 v16, v16, 0, s10
	v_lshlrev_b32_e32 v18, 2, v1
	v_lshl_or_b32 v16, v16, 4, v18
	v_mov_b32_e32 v18, 1
	ds_add_u32 v16, v18
	v_mov_b32_e32 v16, 0
.LBB2091_95:
	s_or_b64 exec, exec, s[0:1]
	v_cmp_gt_i32_e64 s[0:1], 10, v16
	s_mov_b64 s[12:13], -1
	s_and_saveexec_b64 s[10:11], s[0:1]
; %bb.96:
	v_cmp_eq_u32_e64 s[0:1], 0, v16
	s_orn2_b64 s[12:13], s[0:1], exec
; %bb.97:
	s_or_b64 exec, exec, s[10:11]
	s_and_saveexec_b64 s[10:11], s[12:13]
	s_cbranch_execz .LBB2091_110
; %bb.98:
	s_add_i32 s12, s8, 8
	s_cmp_le_u32 s9, s12
	s_cselect_b64 s[0:1], -1, 0
	s_and_b64 s[14:15], s[0:1], exec
	s_cselect_b32 s13, 8, 10
	s_or_b64 s[0:1], s[0:1], vcc
	s_xor_b64 s[14:15], s[0:1], -1
	v_mov_b32_e32 v16, s13
	s_and_saveexec_b64 s[0:1], s[14:15]
	s_cbranch_execz .LBB2091_100
; %bb.99:
	s_sub_i32 s13, s9, s12
	s_min_u32 s13, s13, 8
	v_lshrrev_b32_e32 v16, s12, v17
	v_bfe_u32 v16, v16, 0, s13
	v_lshlrev_b32_e32 v18, 2, v1
	v_lshl_or_b32 v16, v16, 4, v18
	v_mov_b32_e32 v18, 1
	ds_add_u32 v16, v18 offset:4096
	v_mov_b32_e32 v16, 0
.LBB2091_100:
	s_or_b64 exec, exec, s[0:1]
	v_cmp_gt_i32_e64 s[0:1], 10, v16
	s_mov_b64 s[12:13], -1
	s_and_saveexec_b64 s[14:15], s[0:1]
; %bb.101:
	v_cmp_eq_u32_e64 s[0:1], 0, v16
	s_orn2_b64 s[12:13], s[0:1], exec
; %bb.102:
	s_or_b64 exec, exec, s[14:15]
	s_and_b64 exec, exec, s[12:13]
	s_cbranch_execz .LBB2091_110
; %bb.103:
	s_add_i32 s12, s8, 16
	s_cmp_le_u32 s9, s12
	s_cselect_b64 s[0:1], -1, 0
	s_and_b64 s[14:15], s[0:1], exec
	s_cselect_b32 s13, 8, 10
	s_or_b64 s[0:1], s[0:1], vcc
	s_xor_b64 s[14:15], s[0:1], -1
	v_mov_b32_e32 v16, s13
	s_and_saveexec_b64 s[0:1], s[14:15]
	s_cbranch_execz .LBB2091_105
; %bb.104:
	s_sub_i32 s13, s9, s12
	s_min_u32 s13, s13, 8
	v_lshrrev_b32_e32 v16, s12, v17
	v_bfe_u32 v16, v16, 0, s13
	v_lshlrev_b32_e32 v18, 2, v1
	v_lshl_or_b32 v16, v16, 4, v18
	v_mov_b32_e32 v18, 1
	ds_add_u32 v16, v18 offset:8192
	v_mov_b32_e32 v16, 0
.LBB2091_105:
	s_or_b64 exec, exec, s[0:1]
	v_cmp_gt_i32_e64 s[0:1], 10, v16
	s_mov_b64 s[12:13], -1
	s_and_saveexec_b64 s[14:15], s[0:1]
; %bb.106:
	v_cmp_eq_u32_e64 s[0:1], 0, v16
	s_orn2_b64 s[12:13], s[0:1], exec
; %bb.107:
	s_or_b64 exec, exec, s[14:15]
	s_and_b64 exec, exec, s[12:13]
	s_cbranch_execz .LBB2091_110
; %bb.108:
	s_add_i32 s0, s8, 24
	s_cmp_gt_u32 s9, s0
	s_cselect_b64 s[12:13], -1, 0
	s_xor_b64 s[14:15], vcc, -1
	s_and_b64 s[12:13], s[12:13], s[14:15]
	s_and_b64 exec, exec, s[12:13]
	s_cbranch_execz .LBB2091_110
; %bb.109:
	s_sub_i32 s1, s9, s0
	s_min_u32 s1, s1, 8
	v_lshrrev_b32_e32 v16, s0, v17
	v_bfe_u32 v16, v16, 0, s1
	v_lshlrev_b32_e32 v17, 2, v1
	v_lshl_or_b32 v16, v16, 4, v17
	v_mov_b32_e32 v17, 1
	ds_add_u32 v16, v17 offset:12288
.LBB2091_110:
	s_or_b64 exec, exec, s[10:11]
	v_cmp_le_u32_e32 vcc, s16, v14
	s_or_b64 s[0:1], s[4:5], vcc
	v_not_b32_e32 v15, v15
	s_xor_b64 s[10:11], s[0:1], -1
	v_mov_b32_e32 v14, s17
	s_and_saveexec_b64 s[0:1], s[10:11]
	s_cbranch_execz .LBB2091_112
; %bb.111:
	s_sub_i32 s10, s9, s8
	s_min_u32 s10, s10, 8
	v_lshrrev_b32_e32 v14, s8, v15
	v_bfe_u32 v14, v14, 0, s10
	v_lshlrev_b32_e32 v16, 2, v1
	v_lshl_or_b32 v14, v14, 4, v16
	v_mov_b32_e32 v16, 1
	ds_add_u32 v14, v16
	v_mov_b32_e32 v14, 0
.LBB2091_112:
	s_or_b64 exec, exec, s[0:1]
	v_cmp_gt_i32_e64 s[0:1], 10, v14
	s_mov_b64 s[12:13], -1
	s_and_saveexec_b64 s[10:11], s[0:1]
; %bb.113:
	v_cmp_eq_u32_e64 s[0:1], 0, v14
	s_orn2_b64 s[12:13], s[0:1], exec
; %bb.114:
	s_or_b64 exec, exec, s[10:11]
	s_and_saveexec_b64 s[10:11], s[12:13]
	s_cbranch_execz .LBB2091_127
; %bb.115:
	s_add_i32 s12, s8, 8
	s_cmp_le_u32 s9, s12
	s_cselect_b64 s[0:1], -1, 0
	s_and_b64 s[14:15], s[0:1], exec
	s_cselect_b32 s13, 8, 10
	s_or_b64 s[0:1], s[0:1], vcc
	s_xor_b64 s[14:15], s[0:1], -1
	v_mov_b32_e32 v14, s13
	s_and_saveexec_b64 s[0:1], s[14:15]
	s_cbranch_execz .LBB2091_117
; %bb.116:
	s_sub_i32 s13, s9, s12
	s_min_u32 s13, s13, 8
	v_lshrrev_b32_e32 v14, s12, v15
	v_bfe_u32 v14, v14, 0, s13
	v_lshlrev_b32_e32 v16, 2, v1
	v_lshl_or_b32 v14, v14, 4, v16
	v_mov_b32_e32 v16, 1
	ds_add_u32 v14, v16 offset:4096
	v_mov_b32_e32 v14, 0
.LBB2091_117:
	s_or_b64 exec, exec, s[0:1]
	v_cmp_gt_i32_e64 s[0:1], 10, v14
	s_mov_b64 s[12:13], -1
	s_and_saveexec_b64 s[14:15], s[0:1]
; %bb.118:
	v_cmp_eq_u32_e64 s[0:1], 0, v14
	s_orn2_b64 s[12:13], s[0:1], exec
; %bb.119:
	s_or_b64 exec, exec, s[14:15]
	s_and_b64 exec, exec, s[12:13]
	s_cbranch_execz .LBB2091_127
; %bb.120:
	s_add_i32 s12, s8, 16
	s_cmp_le_u32 s9, s12
	s_cselect_b64 s[0:1], -1, 0
	s_and_b64 s[14:15], s[0:1], exec
	s_cselect_b32 s13, 8, 10
	s_or_b64 s[0:1], s[0:1], vcc
	s_xor_b64 s[14:15], s[0:1], -1
	v_mov_b32_e32 v14, s13
	s_and_saveexec_b64 s[0:1], s[14:15]
	s_cbranch_execz .LBB2091_122
; %bb.121:
	s_sub_i32 s13, s9, s12
	s_min_u32 s13, s13, 8
	v_lshrrev_b32_e32 v14, s12, v15
	v_bfe_u32 v14, v14, 0, s13
	v_lshlrev_b32_e32 v16, 2, v1
	v_lshl_or_b32 v14, v14, 4, v16
	v_mov_b32_e32 v16, 1
	ds_add_u32 v14, v16 offset:8192
	v_mov_b32_e32 v14, 0
.LBB2091_122:
	s_or_b64 exec, exec, s[0:1]
	v_cmp_gt_i32_e64 s[0:1], 10, v14
	s_mov_b64 s[12:13], -1
	s_and_saveexec_b64 s[14:15], s[0:1]
; %bb.123:
	v_cmp_eq_u32_e64 s[0:1], 0, v14
	s_orn2_b64 s[12:13], s[0:1], exec
; %bb.124:
	s_or_b64 exec, exec, s[14:15]
	s_and_b64 exec, exec, s[12:13]
	s_cbranch_execz .LBB2091_127
; %bb.125:
	s_add_i32 s0, s8, 24
	s_cmp_gt_u32 s9, s0
	s_cselect_b64 s[12:13], -1, 0
	s_xor_b64 s[14:15], vcc, -1
	s_and_b64 s[12:13], s[12:13], s[14:15]
	s_and_b64 exec, exec, s[12:13]
	s_cbranch_execz .LBB2091_127
; %bb.126:
	s_sub_i32 s1, s9, s0
	s_min_u32 s1, s1, 8
	v_lshrrev_b32_e32 v14, s0, v15
	v_bfe_u32 v14, v14, 0, s1
	v_lshlrev_b32_e32 v15, 2, v1
	v_lshl_or_b32 v14, v14, 4, v15
	v_mov_b32_e32 v15, 1
	ds_add_u32 v14, v15 offset:12288
.LBB2091_127:
	s_or_b64 exec, exec, s[10:11]
	v_cmp_le_u32_e32 vcc, s16, v12
	s_or_b64 s[0:1], s[4:5], vcc
	v_not_b32_e32 v13, v13
	s_xor_b64 s[10:11], s[0:1], -1
	v_mov_b32_e32 v12, s17
	s_and_saveexec_b64 s[0:1], s[10:11]
	s_cbranch_execz .LBB2091_129
; %bb.128:
	s_sub_i32 s10, s9, s8
	s_min_u32 s10, s10, 8
	v_lshrrev_b32_e32 v12, s8, v13
	v_bfe_u32 v12, v12, 0, s10
	v_lshlrev_b32_e32 v14, 2, v1
	v_lshl_or_b32 v12, v12, 4, v14
	v_mov_b32_e32 v14, 1
	ds_add_u32 v12, v14
	v_mov_b32_e32 v12, 0
.LBB2091_129:
	s_or_b64 exec, exec, s[0:1]
	v_cmp_gt_i32_e64 s[0:1], 10, v12
	s_mov_b64 s[12:13], -1
	s_and_saveexec_b64 s[10:11], s[0:1]
; %bb.130:
	v_cmp_eq_u32_e64 s[0:1], 0, v12
	s_orn2_b64 s[12:13], s[0:1], exec
; %bb.131:
	s_or_b64 exec, exec, s[10:11]
	s_and_saveexec_b64 s[10:11], s[12:13]
	s_cbranch_execz .LBB2091_144
; %bb.132:
	s_add_i32 s12, s8, 8
	s_cmp_le_u32 s9, s12
	s_cselect_b64 s[0:1], -1, 0
	s_and_b64 s[14:15], s[0:1], exec
	s_cselect_b32 s13, 8, 10
	s_or_b64 s[0:1], s[0:1], vcc
	s_xor_b64 s[14:15], s[0:1], -1
	v_mov_b32_e32 v12, s13
	s_and_saveexec_b64 s[0:1], s[14:15]
	s_cbranch_execz .LBB2091_134
; %bb.133:
	s_sub_i32 s13, s9, s12
	s_min_u32 s13, s13, 8
	v_lshrrev_b32_e32 v12, s12, v13
	v_bfe_u32 v12, v12, 0, s13
	v_lshlrev_b32_e32 v14, 2, v1
	v_lshl_or_b32 v12, v12, 4, v14
	v_mov_b32_e32 v14, 1
	ds_add_u32 v12, v14 offset:4096
	v_mov_b32_e32 v12, 0
.LBB2091_134:
	s_or_b64 exec, exec, s[0:1]
	v_cmp_gt_i32_e64 s[0:1], 10, v12
	s_mov_b64 s[12:13], -1
	s_and_saveexec_b64 s[14:15], s[0:1]
; %bb.135:
	v_cmp_eq_u32_e64 s[0:1], 0, v12
	s_orn2_b64 s[12:13], s[0:1], exec
; %bb.136:
	s_or_b64 exec, exec, s[14:15]
	s_and_b64 exec, exec, s[12:13]
	s_cbranch_execz .LBB2091_144
; %bb.137:
	s_add_i32 s12, s8, 16
	s_cmp_le_u32 s9, s12
	s_cselect_b64 s[0:1], -1, 0
	s_and_b64 s[14:15], s[0:1], exec
	s_cselect_b32 s13, 8, 10
	s_or_b64 s[0:1], s[0:1], vcc
	s_xor_b64 s[14:15], s[0:1], -1
	v_mov_b32_e32 v12, s13
	s_and_saveexec_b64 s[0:1], s[14:15]
	s_cbranch_execz .LBB2091_139
; %bb.138:
	s_sub_i32 s13, s9, s12
	s_min_u32 s13, s13, 8
	v_lshrrev_b32_e32 v12, s12, v13
	v_bfe_u32 v12, v12, 0, s13
	v_lshlrev_b32_e32 v14, 2, v1
	v_lshl_or_b32 v12, v12, 4, v14
	v_mov_b32_e32 v14, 1
	ds_add_u32 v12, v14 offset:8192
	v_mov_b32_e32 v12, 0
.LBB2091_139:
	s_or_b64 exec, exec, s[0:1]
	v_cmp_gt_i32_e64 s[0:1], 10, v12
	s_mov_b64 s[12:13], -1
	s_and_saveexec_b64 s[14:15], s[0:1]
; %bb.140:
	v_cmp_eq_u32_e64 s[0:1], 0, v12
	s_orn2_b64 s[12:13], s[0:1], exec
; %bb.141:
	s_or_b64 exec, exec, s[14:15]
	s_and_b64 exec, exec, s[12:13]
	s_cbranch_execz .LBB2091_144
; %bb.142:
	s_add_i32 s0, s8, 24
	s_cmp_gt_u32 s9, s0
	s_cselect_b64 s[12:13], -1, 0
	s_xor_b64 s[14:15], vcc, -1
	s_and_b64 s[12:13], s[12:13], s[14:15]
	s_and_b64 exec, exec, s[12:13]
	s_cbranch_execz .LBB2091_144
; %bb.143:
	s_sub_i32 s1, s9, s0
	s_min_u32 s1, s1, 8
	v_lshrrev_b32_e32 v12, s0, v13
	v_bfe_u32 v12, v12, 0, s1
	v_lshlrev_b32_e32 v13, 2, v1
	v_lshl_or_b32 v12, v12, 4, v13
	v_mov_b32_e32 v13, 1
	ds_add_u32 v12, v13 offset:12288
.LBB2091_144:
	s_or_b64 exec, exec, s[10:11]
	v_cmp_le_u32_e32 vcc, s16, v10
	s_or_b64 s[0:1], s[4:5], vcc
	v_not_b32_e32 v11, v11
	s_xor_b64 s[10:11], s[0:1], -1
	v_mov_b32_e32 v10, s17
	s_and_saveexec_b64 s[0:1], s[10:11]
	s_cbranch_execz .LBB2091_146
; %bb.145:
	s_sub_i32 s10, s9, s8
	s_min_u32 s10, s10, 8
	v_lshrrev_b32_e32 v10, s8, v11
	v_bfe_u32 v10, v10, 0, s10
	v_lshlrev_b32_e32 v12, 2, v1
	v_lshl_or_b32 v10, v10, 4, v12
	v_mov_b32_e32 v12, 1
	ds_add_u32 v10, v12
	v_mov_b32_e32 v10, 0
.LBB2091_146:
	s_or_b64 exec, exec, s[0:1]
	v_cmp_gt_i32_e64 s[0:1], 10, v10
	s_mov_b64 s[12:13], -1
	s_and_saveexec_b64 s[10:11], s[0:1]
; %bb.147:
	v_cmp_eq_u32_e64 s[0:1], 0, v10
	s_orn2_b64 s[12:13], s[0:1], exec
; %bb.148:
	s_or_b64 exec, exec, s[10:11]
	s_and_saveexec_b64 s[10:11], s[12:13]
	s_cbranch_execz .LBB2091_161
; %bb.149:
	s_add_i32 s12, s8, 8
	s_cmp_le_u32 s9, s12
	s_cselect_b64 s[0:1], -1, 0
	s_and_b64 s[14:15], s[0:1], exec
	s_cselect_b32 s13, 8, 10
	s_or_b64 s[0:1], s[0:1], vcc
	s_xor_b64 s[14:15], s[0:1], -1
	v_mov_b32_e32 v10, s13
	s_and_saveexec_b64 s[0:1], s[14:15]
	s_cbranch_execz .LBB2091_151
; %bb.150:
	s_sub_i32 s13, s9, s12
	s_min_u32 s13, s13, 8
	v_lshrrev_b32_e32 v10, s12, v11
	v_bfe_u32 v10, v10, 0, s13
	v_lshlrev_b32_e32 v12, 2, v1
	v_lshl_or_b32 v10, v10, 4, v12
	v_mov_b32_e32 v12, 1
	ds_add_u32 v10, v12 offset:4096
	v_mov_b32_e32 v10, 0
.LBB2091_151:
	s_or_b64 exec, exec, s[0:1]
	v_cmp_gt_i32_e64 s[0:1], 10, v10
	s_mov_b64 s[12:13], -1
	s_and_saveexec_b64 s[14:15], s[0:1]
; %bb.152:
	v_cmp_eq_u32_e64 s[0:1], 0, v10
	s_orn2_b64 s[12:13], s[0:1], exec
; %bb.153:
	s_or_b64 exec, exec, s[14:15]
	s_and_b64 exec, exec, s[12:13]
	s_cbranch_execz .LBB2091_161
; %bb.154:
	s_add_i32 s12, s8, 16
	s_cmp_le_u32 s9, s12
	s_cselect_b64 s[0:1], -1, 0
	s_and_b64 s[14:15], s[0:1], exec
	s_cselect_b32 s13, 8, 10
	s_or_b64 s[0:1], s[0:1], vcc
	s_xor_b64 s[14:15], s[0:1], -1
	v_mov_b32_e32 v10, s13
	s_and_saveexec_b64 s[0:1], s[14:15]
	s_cbranch_execz .LBB2091_156
; %bb.155:
	s_sub_i32 s13, s9, s12
	s_min_u32 s13, s13, 8
	v_lshrrev_b32_e32 v10, s12, v11
	v_bfe_u32 v10, v10, 0, s13
	v_lshlrev_b32_e32 v12, 2, v1
	v_lshl_or_b32 v10, v10, 4, v12
	v_mov_b32_e32 v12, 1
	ds_add_u32 v10, v12 offset:8192
	v_mov_b32_e32 v10, 0
.LBB2091_156:
	s_or_b64 exec, exec, s[0:1]
	v_cmp_gt_i32_e64 s[0:1], 10, v10
	s_mov_b64 s[12:13], -1
	s_and_saveexec_b64 s[14:15], s[0:1]
; %bb.157:
	v_cmp_eq_u32_e64 s[0:1], 0, v10
	s_orn2_b64 s[12:13], s[0:1], exec
; %bb.158:
	s_or_b64 exec, exec, s[14:15]
	s_and_b64 exec, exec, s[12:13]
	s_cbranch_execz .LBB2091_161
; %bb.159:
	s_add_i32 s0, s8, 24
	s_cmp_gt_u32 s9, s0
	s_cselect_b64 s[12:13], -1, 0
	s_xor_b64 s[14:15], vcc, -1
	s_and_b64 s[12:13], s[12:13], s[14:15]
	s_and_b64 exec, exec, s[12:13]
	s_cbranch_execz .LBB2091_161
; %bb.160:
	s_sub_i32 s1, s9, s0
	s_min_u32 s1, s1, 8
	v_lshrrev_b32_e32 v10, s0, v11
	v_bfe_u32 v10, v10, 0, s1
	v_lshlrev_b32_e32 v11, 2, v1
	v_lshl_or_b32 v10, v10, 4, v11
	v_mov_b32_e32 v11, 1
	ds_add_u32 v10, v11 offset:12288
.LBB2091_161:
	s_or_b64 exec, exec, s[10:11]
	v_cmp_le_u32_e32 vcc, s16, v8
	s_or_b64 s[0:1], s[4:5], vcc
	v_not_b32_e32 v9, v9
	s_xor_b64 s[10:11], s[0:1], -1
	v_mov_b32_e32 v8, s17
	s_and_saveexec_b64 s[0:1], s[10:11]
	s_cbranch_execz .LBB2091_163
; %bb.162:
	s_sub_i32 s10, s9, s8
	s_min_u32 s10, s10, 8
	v_lshrrev_b32_e32 v8, s8, v9
	v_bfe_u32 v8, v8, 0, s10
	v_lshlrev_b32_e32 v10, 2, v1
	v_lshl_or_b32 v8, v8, 4, v10
	v_mov_b32_e32 v10, 1
	ds_add_u32 v8, v10
	v_mov_b32_e32 v8, 0
.LBB2091_163:
	s_or_b64 exec, exec, s[0:1]
	v_cmp_gt_i32_e64 s[0:1], 10, v8
	s_mov_b64 s[12:13], -1
	s_and_saveexec_b64 s[10:11], s[0:1]
; %bb.164:
	v_cmp_eq_u32_e64 s[0:1], 0, v8
	s_orn2_b64 s[12:13], s[0:1], exec
; %bb.165:
	s_or_b64 exec, exec, s[10:11]
	s_and_saveexec_b64 s[10:11], s[12:13]
	s_cbranch_execz .LBB2091_178
; %bb.166:
	s_add_i32 s12, s8, 8
	s_cmp_le_u32 s9, s12
	s_cselect_b64 s[0:1], -1, 0
	s_and_b64 s[14:15], s[0:1], exec
	s_cselect_b32 s13, 8, 10
	s_or_b64 s[0:1], s[0:1], vcc
	s_xor_b64 s[14:15], s[0:1], -1
	v_mov_b32_e32 v8, s13
	s_and_saveexec_b64 s[0:1], s[14:15]
	s_cbranch_execz .LBB2091_168
; %bb.167:
	s_sub_i32 s13, s9, s12
	s_min_u32 s13, s13, 8
	v_lshrrev_b32_e32 v8, s12, v9
	v_bfe_u32 v8, v8, 0, s13
	v_lshlrev_b32_e32 v10, 2, v1
	v_lshl_or_b32 v8, v8, 4, v10
	v_mov_b32_e32 v10, 1
	ds_add_u32 v8, v10 offset:4096
	v_mov_b32_e32 v8, 0
.LBB2091_168:
	s_or_b64 exec, exec, s[0:1]
	v_cmp_gt_i32_e64 s[0:1], 10, v8
	s_mov_b64 s[12:13], -1
	s_and_saveexec_b64 s[14:15], s[0:1]
; %bb.169:
	v_cmp_eq_u32_e64 s[0:1], 0, v8
	s_orn2_b64 s[12:13], s[0:1], exec
; %bb.170:
	s_or_b64 exec, exec, s[14:15]
	s_and_b64 exec, exec, s[12:13]
	s_cbranch_execz .LBB2091_178
; %bb.171:
	s_add_i32 s12, s8, 16
	s_cmp_le_u32 s9, s12
	s_cselect_b64 s[0:1], -1, 0
	s_and_b64 s[14:15], s[0:1], exec
	s_cselect_b32 s13, 8, 10
	s_or_b64 s[0:1], s[0:1], vcc
	s_xor_b64 s[14:15], s[0:1], -1
	v_mov_b32_e32 v8, s13
	s_and_saveexec_b64 s[0:1], s[14:15]
	s_cbranch_execz .LBB2091_173
; %bb.172:
	s_sub_i32 s13, s9, s12
	s_min_u32 s13, s13, 8
	v_lshrrev_b32_e32 v8, s12, v9
	v_bfe_u32 v8, v8, 0, s13
	v_lshlrev_b32_e32 v10, 2, v1
	v_lshl_or_b32 v8, v8, 4, v10
	v_mov_b32_e32 v10, 1
	ds_add_u32 v8, v10 offset:8192
	v_mov_b32_e32 v8, 0
.LBB2091_173:
	s_or_b64 exec, exec, s[0:1]
	v_cmp_gt_i32_e64 s[0:1], 10, v8
	s_mov_b64 s[12:13], -1
	s_and_saveexec_b64 s[14:15], s[0:1]
; %bb.174:
	v_cmp_eq_u32_e64 s[0:1], 0, v8
	s_orn2_b64 s[12:13], s[0:1], exec
; %bb.175:
	s_or_b64 exec, exec, s[14:15]
	s_and_b64 exec, exec, s[12:13]
	s_cbranch_execz .LBB2091_178
; %bb.176:
	s_add_i32 s0, s8, 24
	s_cmp_gt_u32 s9, s0
	s_cselect_b64 s[12:13], -1, 0
	s_xor_b64 s[14:15], vcc, -1
	s_and_b64 s[12:13], s[12:13], s[14:15]
	s_and_b64 exec, exec, s[12:13]
	s_cbranch_execz .LBB2091_178
; %bb.177:
	s_sub_i32 s1, s9, s0
	s_min_u32 s1, s1, 8
	v_lshrrev_b32_e32 v8, s0, v9
	v_bfe_u32 v8, v8, 0, s1
	v_lshlrev_b32_e32 v9, 2, v1
	v_lshl_or_b32 v8, v8, 4, v9
	v_mov_b32_e32 v9, 1
	ds_add_u32 v8, v9 offset:12288
.LBB2091_178:
	s_or_b64 exec, exec, s[10:11]
	v_cmp_le_u32_e32 vcc, s16, v6
	s_or_b64 s[0:1], s[4:5], vcc
	v_not_b32_e32 v7, v7
	s_xor_b64 s[10:11], s[0:1], -1
	v_mov_b32_e32 v6, s17
	s_and_saveexec_b64 s[0:1], s[10:11]
	s_cbranch_execz .LBB2091_180
; %bb.179:
	s_sub_i32 s10, s9, s8
	s_min_u32 s10, s10, 8
	v_lshrrev_b32_e32 v6, s8, v7
	v_bfe_u32 v6, v6, 0, s10
	v_lshlrev_b32_e32 v8, 2, v1
	v_lshl_or_b32 v6, v6, 4, v8
	v_mov_b32_e32 v8, 1
	ds_add_u32 v6, v8
	v_mov_b32_e32 v6, 0
.LBB2091_180:
	s_or_b64 exec, exec, s[0:1]
	v_cmp_gt_i32_e64 s[0:1], 10, v6
	s_mov_b64 s[12:13], -1
	s_and_saveexec_b64 s[10:11], s[0:1]
; %bb.181:
	v_cmp_eq_u32_e64 s[0:1], 0, v6
	s_orn2_b64 s[12:13], s[0:1], exec
; %bb.182:
	s_or_b64 exec, exec, s[10:11]
	s_and_saveexec_b64 s[10:11], s[12:13]
	s_cbranch_execz .LBB2091_195
; %bb.183:
	s_add_i32 s12, s8, 8
	s_cmp_le_u32 s9, s12
	s_cselect_b64 s[0:1], -1, 0
	s_and_b64 s[14:15], s[0:1], exec
	s_cselect_b32 s13, 8, 10
	s_or_b64 s[0:1], s[0:1], vcc
	s_xor_b64 s[14:15], s[0:1], -1
	v_mov_b32_e32 v6, s13
	s_and_saveexec_b64 s[0:1], s[14:15]
	s_cbranch_execz .LBB2091_185
; %bb.184:
	s_sub_i32 s13, s9, s12
	s_min_u32 s13, s13, 8
	v_lshrrev_b32_e32 v6, s12, v7
	v_bfe_u32 v6, v6, 0, s13
	v_lshlrev_b32_e32 v8, 2, v1
	v_lshl_or_b32 v6, v6, 4, v8
	v_mov_b32_e32 v8, 1
	ds_add_u32 v6, v8 offset:4096
	v_mov_b32_e32 v6, 0
.LBB2091_185:
	s_or_b64 exec, exec, s[0:1]
	v_cmp_gt_i32_e64 s[0:1], 10, v6
	s_mov_b64 s[12:13], -1
	s_and_saveexec_b64 s[14:15], s[0:1]
; %bb.186:
	v_cmp_eq_u32_e64 s[0:1], 0, v6
	s_orn2_b64 s[12:13], s[0:1], exec
; %bb.187:
	s_or_b64 exec, exec, s[14:15]
	s_and_b64 exec, exec, s[12:13]
	s_cbranch_execz .LBB2091_195
; %bb.188:
	s_add_i32 s12, s8, 16
	s_cmp_le_u32 s9, s12
	s_cselect_b64 s[0:1], -1, 0
	s_and_b64 s[14:15], s[0:1], exec
	s_cselect_b32 s13, 8, 10
	s_or_b64 s[0:1], s[0:1], vcc
	s_xor_b64 s[14:15], s[0:1], -1
	v_mov_b32_e32 v6, s13
	s_and_saveexec_b64 s[0:1], s[14:15]
	s_cbranch_execz .LBB2091_190
; %bb.189:
	s_sub_i32 s13, s9, s12
	s_min_u32 s13, s13, 8
	v_lshrrev_b32_e32 v6, s12, v7
	v_bfe_u32 v6, v6, 0, s13
	v_lshlrev_b32_e32 v8, 2, v1
	v_lshl_or_b32 v6, v6, 4, v8
	v_mov_b32_e32 v8, 1
	ds_add_u32 v6, v8 offset:8192
	v_mov_b32_e32 v6, 0
.LBB2091_190:
	s_or_b64 exec, exec, s[0:1]
	v_cmp_gt_i32_e64 s[0:1], 10, v6
	s_mov_b64 s[12:13], -1
	s_and_saveexec_b64 s[14:15], s[0:1]
; %bb.191:
	v_cmp_eq_u32_e64 s[0:1], 0, v6
	s_orn2_b64 s[12:13], s[0:1], exec
; %bb.192:
	s_or_b64 exec, exec, s[14:15]
	s_and_b64 exec, exec, s[12:13]
	s_cbranch_execz .LBB2091_195
; %bb.193:
	s_add_i32 s0, s8, 24
	s_cmp_gt_u32 s9, s0
	s_cselect_b64 s[12:13], -1, 0
	s_xor_b64 s[14:15], vcc, -1
	s_and_b64 s[12:13], s[12:13], s[14:15]
	s_and_b64 exec, exec, s[12:13]
	s_cbranch_execz .LBB2091_195
; %bb.194:
	s_sub_i32 s1, s9, s0
	s_min_u32 s1, s1, 8
	v_lshrrev_b32_e32 v6, s0, v7
	v_bfe_u32 v6, v6, 0, s1
	v_lshlrev_b32_e32 v7, 2, v1
	v_lshl_or_b32 v6, v6, 4, v7
	v_mov_b32_e32 v7, 1
	ds_add_u32 v6, v7 offset:12288
.LBB2091_195:
	s_or_b64 exec, exec, s[10:11]
	v_cmp_le_u32_e32 vcc, s16, v4
	s_or_b64 s[0:1], s[4:5], vcc
	v_not_b32_e32 v5, v5
	s_xor_b64 s[10:11], s[0:1], -1
	v_mov_b32_e32 v4, s17
	s_and_saveexec_b64 s[0:1], s[10:11]
	s_cbranch_execz .LBB2091_197
; %bb.196:
	s_sub_i32 s10, s9, s8
	s_min_u32 s10, s10, 8
	v_lshrrev_b32_e32 v4, s8, v5
	v_bfe_u32 v4, v4, 0, s10
	v_lshlrev_b32_e32 v6, 2, v1
	v_lshl_or_b32 v4, v4, 4, v6
	v_mov_b32_e32 v6, 1
	ds_add_u32 v4, v6
	v_mov_b32_e32 v4, 0
.LBB2091_197:
	s_or_b64 exec, exec, s[0:1]
	v_cmp_gt_i32_e64 s[0:1], 10, v4
	s_mov_b64 s[12:13], -1
	s_and_saveexec_b64 s[10:11], s[0:1]
; %bb.198:
	v_cmp_eq_u32_e64 s[0:1], 0, v4
	s_orn2_b64 s[12:13], s[0:1], exec
; %bb.199:
	s_or_b64 exec, exec, s[10:11]
	s_and_saveexec_b64 s[10:11], s[12:13]
	s_cbranch_execz .LBB2091_212
; %bb.200:
	s_add_i32 s12, s8, 8
	s_cmp_le_u32 s9, s12
	s_cselect_b64 s[0:1], -1, 0
	s_and_b64 s[14:15], s[0:1], exec
	s_cselect_b32 s13, 8, 10
	s_or_b64 s[0:1], s[0:1], vcc
	s_xor_b64 s[14:15], s[0:1], -1
	v_mov_b32_e32 v4, s13
	s_and_saveexec_b64 s[0:1], s[14:15]
	s_cbranch_execz .LBB2091_202
; %bb.201:
	s_sub_i32 s13, s9, s12
	s_min_u32 s13, s13, 8
	v_lshrrev_b32_e32 v4, s12, v5
	v_bfe_u32 v4, v4, 0, s13
	v_lshlrev_b32_e32 v6, 2, v1
	v_lshl_or_b32 v4, v4, 4, v6
	v_mov_b32_e32 v6, 1
	ds_add_u32 v4, v6 offset:4096
	v_mov_b32_e32 v4, 0
.LBB2091_202:
	s_or_b64 exec, exec, s[0:1]
	v_cmp_gt_i32_e64 s[0:1], 10, v4
	s_mov_b64 s[12:13], -1
	s_and_saveexec_b64 s[14:15], s[0:1]
; %bb.203:
	v_cmp_eq_u32_e64 s[0:1], 0, v4
	s_orn2_b64 s[12:13], s[0:1], exec
; %bb.204:
	s_or_b64 exec, exec, s[14:15]
	s_and_b64 exec, exec, s[12:13]
	s_cbranch_execz .LBB2091_212
; %bb.205:
	s_add_i32 s12, s8, 16
	s_cmp_le_u32 s9, s12
	s_cselect_b64 s[0:1], -1, 0
	s_and_b64 s[14:15], s[0:1], exec
	s_cselect_b32 s13, 8, 10
	s_or_b64 s[0:1], s[0:1], vcc
	s_xor_b64 s[14:15], s[0:1], -1
	v_mov_b32_e32 v4, s13
	s_and_saveexec_b64 s[0:1], s[14:15]
	s_cbranch_execz .LBB2091_207
; %bb.206:
	s_sub_i32 s13, s9, s12
	s_min_u32 s13, s13, 8
	v_lshrrev_b32_e32 v4, s12, v5
	v_bfe_u32 v4, v4, 0, s13
	v_lshlrev_b32_e32 v6, 2, v1
	v_lshl_or_b32 v4, v4, 4, v6
	v_mov_b32_e32 v6, 1
	ds_add_u32 v4, v6 offset:8192
	v_mov_b32_e32 v4, 0
.LBB2091_207:
	s_or_b64 exec, exec, s[0:1]
	v_cmp_gt_i32_e64 s[0:1], 10, v4
	s_mov_b64 s[12:13], -1
	s_and_saveexec_b64 s[14:15], s[0:1]
; %bb.208:
	v_cmp_eq_u32_e64 s[0:1], 0, v4
	s_orn2_b64 s[12:13], s[0:1], exec
; %bb.209:
	s_or_b64 exec, exec, s[14:15]
	s_and_b64 exec, exec, s[12:13]
	s_cbranch_execz .LBB2091_212
; %bb.210:
	s_add_i32 s0, s8, 24
	s_cmp_gt_u32 s9, s0
	s_cselect_b64 s[12:13], -1, 0
	s_xor_b64 s[14:15], vcc, -1
	s_and_b64 s[12:13], s[12:13], s[14:15]
	s_and_b64 exec, exec, s[12:13]
	s_cbranch_execz .LBB2091_212
; %bb.211:
	s_sub_i32 s1, s9, s0
	s_min_u32 s1, s1, 8
	v_lshrrev_b32_e32 v4, s0, v5
	v_bfe_u32 v4, v4, 0, s1
	v_lshlrev_b32_e32 v5, 2, v1
	v_lshl_or_b32 v4, v4, 4, v5
	v_mov_b32_e32 v5, 1
	ds_add_u32 v4, v5 offset:12288
.LBB2091_212:
	s_or_b64 exec, exec, s[10:11]
	v_cmp_le_u32_e32 vcc, s16, v2
	s_or_b64 s[0:1], s[4:5], vcc
	v_not_b32_e32 v3, v3
	s_xor_b64 s[4:5], s[0:1], -1
	v_mov_b32_e32 v2, s17
	s_and_saveexec_b64 s[0:1], s[4:5]
	s_cbranch_execz .LBB2091_214
; %bb.213:
	s_sub_i32 s4, s9, s8
	s_min_u32 s4, s4, 8
	v_lshrrev_b32_e32 v2, s8, v3
	v_bfe_u32 v2, v2, 0, s4
	v_lshlrev_b32_e32 v4, 2, v1
	v_lshl_or_b32 v2, v2, 4, v4
	v_mov_b32_e32 v4, 1
	ds_add_u32 v2, v4
	v_mov_b32_e32 v2, 0
.LBB2091_214:
	s_or_b64 exec, exec, s[0:1]
	v_cmp_gt_i32_e64 s[0:1], 10, v2
	s_mov_b64 s[10:11], -1
	s_and_saveexec_b64 s[4:5], s[0:1]
; %bb.215:
	v_cmp_eq_u32_e64 s[0:1], 0, v2
	s_orn2_b64 s[10:11], s[0:1], exec
; %bb.216:
	s_or_b64 exec, exec, s[4:5]
	s_and_saveexec_b64 s[4:5], s[10:11]
	s_cbranch_execz .LBB2091_229
; %bb.217:
	s_add_i32 s10, s8, 8
	s_cmp_le_u32 s9, s10
	s_cselect_b64 s[0:1], -1, 0
	s_and_b64 s[12:13], s[0:1], exec
	s_cselect_b32 s11, 8, 10
	s_or_b64 s[0:1], s[0:1], vcc
	s_xor_b64 s[12:13], s[0:1], -1
	v_mov_b32_e32 v2, s11
	s_and_saveexec_b64 s[0:1], s[12:13]
	s_cbranch_execz .LBB2091_219
; %bb.218:
	s_sub_i32 s11, s9, s10
	s_min_u32 s11, s11, 8
	v_lshrrev_b32_e32 v2, s10, v3
	v_bfe_u32 v2, v2, 0, s11
	v_lshlrev_b32_e32 v4, 2, v1
	v_lshl_or_b32 v2, v2, 4, v4
	v_mov_b32_e32 v4, 1
	ds_add_u32 v2, v4 offset:4096
	v_mov_b32_e32 v2, 0
.LBB2091_219:
	s_or_b64 exec, exec, s[0:1]
	v_cmp_gt_i32_e64 s[0:1], 10, v2
	s_mov_b64 s[10:11], -1
	s_and_saveexec_b64 s[12:13], s[0:1]
; %bb.220:
	v_cmp_eq_u32_e64 s[0:1], 0, v2
	s_orn2_b64 s[10:11], s[0:1], exec
; %bb.221:
	s_or_b64 exec, exec, s[12:13]
	s_and_b64 exec, exec, s[10:11]
	s_cbranch_execz .LBB2091_229
; %bb.222:
	s_add_i32 s10, s8, 16
	s_cmp_le_u32 s9, s10
	s_cselect_b64 s[0:1], -1, 0
	s_and_b64 s[12:13], s[0:1], exec
	s_cselect_b32 s11, 8, 10
	s_or_b64 s[0:1], s[0:1], vcc
	s_xor_b64 s[12:13], s[0:1], -1
	v_mov_b32_e32 v2, s11
	s_and_saveexec_b64 s[0:1], s[12:13]
	s_cbranch_execz .LBB2091_224
; %bb.223:
	s_sub_i32 s11, s9, s10
	s_min_u32 s11, s11, 8
	v_lshrrev_b32_e32 v2, s10, v3
	v_bfe_u32 v2, v2, 0, s11
	v_lshlrev_b32_e32 v4, 2, v1
	v_lshl_or_b32 v2, v2, 4, v4
	v_mov_b32_e32 v4, 1
	ds_add_u32 v2, v4 offset:8192
	v_mov_b32_e32 v2, 0
.LBB2091_224:
	s_or_b64 exec, exec, s[0:1]
	v_cmp_gt_i32_e64 s[0:1], 10, v2
	s_mov_b64 s[10:11], -1
	s_and_saveexec_b64 s[12:13], s[0:1]
; %bb.225:
	v_cmp_eq_u32_e64 s[0:1], 0, v2
	s_orn2_b64 s[10:11], s[0:1], exec
; %bb.226:
	s_or_b64 exec, exec, s[12:13]
	s_and_b64 exec, exec, s[10:11]
	s_cbranch_execz .LBB2091_229
; %bb.227:
	s_add_i32 s0, s8, 24
	s_cmp_gt_u32 s9, s0
	s_cselect_b64 s[10:11], -1, 0
	s_xor_b64 s[12:13], vcc, -1
	s_and_b64 s[10:11], s[10:11], s[12:13]
	s_and_b64 exec, exec, s[10:11]
	s_cbranch_execz .LBB2091_229
; %bb.228:
	s_sub_i32 s1, s9, s0
	s_min_u32 s1, s1, 8
	v_lshrrev_b32_e32 v2, s0, v3
	v_bfe_u32 v2, v2, 0, s1
	v_lshlrev_b32_e32 v1, 2, v1
	v_lshl_or_b32 v1, v2, 4, v1
	v_mov_b32_e32 v2, 1
	ds_add_u32 v1, v2 offset:12288
.LBB2091_229:
	s_or_b64 exec, exec, s[4:5]
	s_cmp_gt_u32 s9, s8
	s_waitcnt lgkmcnt(0)
	s_barrier
	s_cbranch_scc0 .LBB2091_234
; %bb.230:
	s_movk_i32 s0, 0x100
	v_cmp_gt_u32_e32 vcc, s0, v0
	v_lshlrev_b32_e32 v1, 4, v0
	v_mov_b32_e32 v3, 0
	v_mov_b32_e32 v2, v0
	s_mov_b32 s10, s8
	s_branch .LBB2091_232
.LBB2091_231:                           ;   in Loop: Header=BB2091_232 Depth=1
	s_or_b64 exec, exec, s[4:5]
	s_add_i32 s10, s10, 8
	v_add_u32_e32 v2, 0x100, v2
	s_cmp_lt_u32 s10, s9
	v_add_u32_e32 v1, 0x1000, v1
	s_cbranch_scc0 .LBB2091_234
.LBB2091_232:                           ; =>This Inner Loop Header: Depth=1
	s_and_saveexec_b64 s[4:5], vcc
	s_cbranch_execz .LBB2091_231
; %bb.233:                              ;   in Loop: Header=BB2091_232 Depth=1
	ds_read2_b32 v[4:5], v1 offset1:1
	ds_read2_b32 v[6:7], v1 offset0:2 offset1:3
	v_lshlrev_b64 v[8:9], 3, v[2:3]
	v_mov_b32_e32 v10, s3
	s_waitcnt lgkmcnt(1)
	v_add_u32_e32 v4, v5, v4
	s_waitcnt lgkmcnt(0)
	v_add3_u32 v4, v4, v6, v7
	v_add_co_u32_e64 v6, s[0:1], s2, v8
	v_addc_co_u32_e64 v7, s[0:1], v10, v9, s[0:1]
	v_mov_b32_e32 v5, v3
	global_atomic_add_x2 v[6:7], v[4:5], off
	s_branch .LBB2091_231
.LBB2091_234:
	s_mov_b64 s[0:1], 0
.LBB2091_235:
	s_and_b64 vcc, exec, s[0:1]
	s_cbranch_vccz .LBB2091_319
; %bb.236:
	v_lshlrev_b32_e32 v4, 2, v0
	v_mov_b32_e32 v1, s7
	v_add_co_u32_e32 v13, vcc, s6, v4
	v_addc_co_u32_e32 v1, vcc, 0, v1, vcc
	v_add_co_u32_e32 v2, vcc, 0x1000, v13
	v_addc_co_u32_e32 v3, vcc, 0, v1, vcc
	;; [unrolled: 2-line block ×8, first 2 shown]
	global_load_dword v5, v4, s[6:7]
	global_load_dword v6, v[2:3], off
	global_load_dword v7, v[14:15], off
	;; [unrolled: 1-line block ×7, first 2 shown]
	v_add_co_u32_e32 v2, vcc, 0x8000, v13
	v_addc_co_u32_e32 v3, vcc, 0, v1, vcc
	v_add_co_u32_e32 v18, vcc, 0x9000, v13
	v_addc_co_u32_e32 v19, vcc, 0, v1, vcc
	;; [unrolled: 2-line block ×4, first 2 shown]
	global_load_dword v13, v[2:3], off
	global_load_dword v14, v[18:19], off
	;; [unrolled: 1-line block ×4, first 2 shown]
	s_cmp_eq_u32 s8, 0
	s_cselect_b64 s[0:1], -1, 0
	s_cmp_eq_u32 s9, 32
	s_cselect_b64 s[4:5], -1, 0
	s_and_b64 s[4:5], s[0:1], s[4:5]
	s_mov_b64 s[0:1], -1
	s_and_b64 vcc, exec, s[4:5]
	s_cbranch_vccnz .LBB2091_316
; %bb.237:
	s_cmp_gt_u32 s9, s8
	s_cselect_b64 s[0:1], -1, 0
	v_mov_b32_e32 v1, 0
	s_and_b64 vcc, exec, s[0:1]
	ds_write2st64_b32 v4, v1, v1 offset1:16
	ds_write2st64_b32 v4, v1, v1 offset0:32 offset1:48
	s_waitcnt lgkmcnt(0)
	s_barrier
	s_cbranch_vccz .LBB2091_310
; %bb.238:
	s_sub_i32 s4, s9, s8
	s_min_u32 s4, s4, 8
	s_waitcnt vmcnt(11)
	v_not_b32_e32 v17, v5
	s_lshl_b32 s4, -1, s4
	v_and_b32_e32 v1, 3, v0
	s_not_b32 s13, s4
	v_lshrrev_b32_e32 v2, s8, v17
	v_and_b32_e32 v18, s13, v2
	v_lshlrev_b32_e32 v2, 2, v1
	v_lshl_or_b32 v18, v18, 4, v2
	v_mov_b32_e32 v19, 1
	ds_add_u32 v18, v19
	s_add_i32 s12, s8, 8
	s_waitcnt vmcnt(10)
	v_not_b32_e32 v3, v6
	s_cmp_le_u32 s9, s12
	s_cselect_b64 s[4:5], -1, 0
	v_lshrrev_b32_e32 v18, s8, v3
	s_and_b64 vcc, exec, s[4:5]
	v_and_b32_e32 v18, s13, v18
	s_cbranch_vccz .LBB2091_240
; %bb.239:
	v_lshl_or_b32 v19, v18, 2, v1
	s_mov_b64 s[6:7], -1
	s_cbranch_execz .LBB2091_241
	s_branch .LBB2091_248
.LBB2091_240:
	s_mov_b64 s[6:7], 0
                                        ; implicit-def: $vgpr19
.LBB2091_241:
	s_sub_i32 s10, s9, s12
	s_min_u32 s10, s10, 8
	s_lshl_b32 s10, -1, s10
	s_not_b32 s15, s10
	v_lshrrev_b32_e32 v19, s12, v17
	v_and_b32_e32 v19, s15, v19
	v_lshl_or_b32 v20, v19, 4, v2
	v_mov_b32_e32 v19, 1
	ds_add_u32 v20, v19 offset:4096
	s_add_i32 s14, s8, 16
	s_cmp_gt_u32 s9, s14
	s_cselect_b64 s[10:11], -1, 0
	s_cmp_le_u32 s9, s14
	s_cbranch_scc1 .LBB2091_244
; %bb.242:
	s_sub_i32 s16, s9, s14
	s_min_u32 s16, s16, 8
	v_lshrrev_b32_e32 v20, s14, v17
	v_bfe_u32 v20, v20, 0, s16
	v_lshl_or_b32 v20, v20, 4, v2
	ds_add_u32 v20, v19 offset:8192
	s_add_i32 s16, s8, 24
	s_cmp_le_u32 s9, s16
	s_cbranch_scc1 .LBB2091_244
; %bb.243:
	s_sub_i32 s17, s9, s16
	s_min_u32 s17, s17, 8
	v_lshrrev_b32_e32 v17, s16, v17
	v_bfe_u32 v17, v17, 0, s17
	v_lshl_or_b32 v17, v17, 4, v2
	v_mov_b32_e32 v20, 1
	ds_add_u32 v17, v20 offset:12288
.LBB2091_244:
	v_lshl_or_b32 v17, v18, 4, v2
	ds_add_u32 v17, v19
	v_lshrrev_b32_e32 v17, s12, v3
	v_and_b32_e32 v17, s15, v17
	v_lshl_or_b32 v17, v17, 4, v2
	ds_add_u32 v17, v19 offset:4096
	s_andn2_b64 vcc, exec, s[10:11]
	s_cbranch_vccnz .LBB2091_247
; %bb.245:
	s_sub_i32 s10, s9, s14
	s_min_u32 s10, s10, 8
	v_lshrrev_b32_e32 v17, s14, v3
	v_bfe_u32 v17, v17, 0, s10
	v_lshl_or_b32 v17, v17, 4, v2
	v_mov_b32_e32 v18, 1
	ds_add_u32 v17, v18 offset:8192
	s_add_i32 s10, s8, 24
	s_cmp_gt_u32 s9, s10
	s_cbranch_scc0 .LBB2091_247
; %bb.246:
	s_sub_i32 s6, s9, s10
	s_min_u32 s6, s6, 8
	v_lshrrev_b32_e32 v3, s10, v3
	v_bfe_u32 v3, v3, 0, s6
	v_lshl_or_b32 v3, v3, 2, v1
	v_add_u32_e32 v19, 0xc00, v3
	s_mov_b64 s[6:7], -1
	s_branch .LBB2091_248
.LBB2091_247:
                                        ; implicit-def: $vgpr19
.LBB2091_248:
	s_and_b64 vcc, exec, s[6:7]
	s_cbranch_vccz .LBB2091_250
; %bb.249:
	v_lshlrev_b32_e32 v3, 2, v19
	v_mov_b32_e32 v17, 1
	ds_add_u32 v3, v17
.LBB2091_250:
	s_waitcnt vmcnt(9)
	v_not_b32_e32 v17, v7
	v_lshrrev_b32_e32 v18, s8, v17
	v_and_b32_e32 v18, s13, v18
	v_lshl_or_b32 v18, v18, 4, v2
	v_mov_b32_e32 v19, 1
	ds_add_u32 v18, v19
	s_waitcnt vmcnt(8)
	v_not_b32_e32 v3, v8
	v_lshrrev_b32_e32 v18, s8, v3
	s_and_b64 vcc, exec, s[4:5]
	v_and_b32_e32 v18, s13, v18
	s_cbranch_vccz .LBB2091_252
; %bb.251:
	v_lshl_or_b32 v19, v18, 2, v1
	s_mov_b64 s[6:7], -1
	s_cbranch_execz .LBB2091_253
	s_branch .LBB2091_260
.LBB2091_252:
	s_mov_b64 s[6:7], 0
                                        ; implicit-def: $vgpr19
.LBB2091_253:
	s_sub_i32 s10, s9, s12
	s_min_u32 s10, s10, 8
	s_lshl_b32 s10, -1, s10
	s_not_b32 s15, s10
	v_lshrrev_b32_e32 v19, s12, v17
	v_and_b32_e32 v19, s15, v19
	v_lshl_or_b32 v20, v19, 4, v2
	v_mov_b32_e32 v19, 1
	ds_add_u32 v20, v19 offset:4096
	s_add_i32 s14, s8, 16
	s_cmp_gt_u32 s9, s14
	s_cselect_b64 s[10:11], -1, 0
	s_cmp_le_u32 s9, s14
	s_cbranch_scc1 .LBB2091_256
; %bb.254:
	s_sub_i32 s16, s9, s14
	s_min_u32 s16, s16, 8
	v_lshrrev_b32_e32 v20, s14, v17
	v_bfe_u32 v20, v20, 0, s16
	v_lshl_or_b32 v20, v20, 4, v2
	ds_add_u32 v20, v19 offset:8192
	s_add_i32 s16, s8, 24
	s_cmp_le_u32 s9, s16
	s_cbranch_scc1 .LBB2091_256
; %bb.255:
	s_sub_i32 s17, s9, s16
	s_min_u32 s17, s17, 8
	v_lshrrev_b32_e32 v17, s16, v17
	v_bfe_u32 v17, v17, 0, s17
	v_lshl_or_b32 v17, v17, 4, v2
	v_mov_b32_e32 v20, 1
	ds_add_u32 v17, v20 offset:12288
.LBB2091_256:
	v_lshl_or_b32 v17, v18, 4, v2
	ds_add_u32 v17, v19
	v_lshrrev_b32_e32 v17, s12, v3
	v_and_b32_e32 v17, s15, v17
	v_lshl_or_b32 v17, v17, 4, v2
	ds_add_u32 v17, v19 offset:4096
	s_andn2_b64 vcc, exec, s[10:11]
	s_cbranch_vccnz .LBB2091_259
; %bb.257:
	s_sub_i32 s10, s9, s14
	s_min_u32 s10, s10, 8
	v_lshrrev_b32_e32 v17, s14, v3
	v_bfe_u32 v17, v17, 0, s10
	v_lshl_or_b32 v17, v17, 4, v2
	v_mov_b32_e32 v18, 1
	ds_add_u32 v17, v18 offset:8192
	s_add_i32 s10, s8, 24
	s_cmp_gt_u32 s9, s10
	s_cbranch_scc0 .LBB2091_259
; %bb.258:
	s_sub_i32 s6, s9, s10
	s_min_u32 s6, s6, 8
	v_lshrrev_b32_e32 v3, s10, v3
	v_bfe_u32 v3, v3, 0, s6
	v_lshl_or_b32 v3, v3, 2, v1
	v_add_u32_e32 v19, 0xc00, v3
	s_mov_b64 s[6:7], -1
	s_branch .LBB2091_260
.LBB2091_259:
                                        ; implicit-def: $vgpr19
.LBB2091_260:
	s_and_b64 vcc, exec, s[6:7]
	s_cbranch_vccz .LBB2091_262
; %bb.261:
	v_lshlrev_b32_e32 v3, 2, v19
	v_mov_b32_e32 v17, 1
	ds_add_u32 v3, v17
.LBB2091_262:
	s_waitcnt vmcnt(7)
	v_not_b32_e32 v17, v9
	v_lshrrev_b32_e32 v18, s8, v17
	v_and_b32_e32 v18, s13, v18
	v_lshl_or_b32 v18, v18, 4, v2
	v_mov_b32_e32 v19, 1
	ds_add_u32 v18, v19
	s_waitcnt vmcnt(6)
	v_not_b32_e32 v3, v10
	v_lshrrev_b32_e32 v18, s8, v3
	s_and_b64 vcc, exec, s[4:5]
	v_and_b32_e32 v18, s13, v18
	s_cbranch_vccz .LBB2091_264
; %bb.263:
	v_lshl_or_b32 v19, v18, 2, v1
	s_mov_b64 s[6:7], -1
	s_cbranch_execz .LBB2091_265
	s_branch .LBB2091_272
.LBB2091_264:
	s_mov_b64 s[6:7], 0
                                        ; implicit-def: $vgpr19
.LBB2091_265:
	s_sub_i32 s10, s9, s12
	s_min_u32 s10, s10, 8
	s_lshl_b32 s10, -1, s10
	s_not_b32 s15, s10
	v_lshrrev_b32_e32 v19, s12, v17
	v_and_b32_e32 v19, s15, v19
	v_lshl_or_b32 v20, v19, 4, v2
	v_mov_b32_e32 v19, 1
	ds_add_u32 v20, v19 offset:4096
	s_add_i32 s14, s8, 16
	s_cmp_gt_u32 s9, s14
	s_cselect_b64 s[10:11], -1, 0
	s_cmp_le_u32 s9, s14
	s_cbranch_scc1 .LBB2091_268
; %bb.266:
	s_sub_i32 s16, s9, s14
	s_min_u32 s16, s16, 8
	v_lshrrev_b32_e32 v20, s14, v17
	v_bfe_u32 v20, v20, 0, s16
	v_lshl_or_b32 v20, v20, 4, v2
	ds_add_u32 v20, v19 offset:8192
	s_add_i32 s16, s8, 24
	s_cmp_le_u32 s9, s16
	s_cbranch_scc1 .LBB2091_268
; %bb.267:
	s_sub_i32 s17, s9, s16
	s_min_u32 s17, s17, 8
	v_lshrrev_b32_e32 v17, s16, v17
	v_bfe_u32 v17, v17, 0, s17
	v_lshl_or_b32 v17, v17, 4, v2
	v_mov_b32_e32 v20, 1
	ds_add_u32 v17, v20 offset:12288
.LBB2091_268:
	v_lshl_or_b32 v17, v18, 4, v2
	ds_add_u32 v17, v19
	v_lshrrev_b32_e32 v17, s12, v3
	v_and_b32_e32 v17, s15, v17
	v_lshl_or_b32 v17, v17, 4, v2
	ds_add_u32 v17, v19 offset:4096
	s_andn2_b64 vcc, exec, s[10:11]
	s_cbranch_vccnz .LBB2091_271
; %bb.269:
	s_sub_i32 s10, s9, s14
	s_min_u32 s10, s10, 8
	v_lshrrev_b32_e32 v17, s14, v3
	v_bfe_u32 v17, v17, 0, s10
	v_lshl_or_b32 v17, v17, 4, v2
	v_mov_b32_e32 v18, 1
	ds_add_u32 v17, v18 offset:8192
	s_add_i32 s10, s8, 24
	s_cmp_gt_u32 s9, s10
	s_cbranch_scc0 .LBB2091_271
; %bb.270:
	s_sub_i32 s6, s9, s10
	s_min_u32 s6, s6, 8
	v_lshrrev_b32_e32 v3, s10, v3
	v_bfe_u32 v3, v3, 0, s6
	v_lshl_or_b32 v3, v3, 2, v1
	v_add_u32_e32 v19, 0xc00, v3
	s_mov_b64 s[6:7], -1
	s_branch .LBB2091_272
.LBB2091_271:
                                        ; implicit-def: $vgpr19
.LBB2091_272:
	s_and_b64 vcc, exec, s[6:7]
	s_cbranch_vccz .LBB2091_274
; %bb.273:
	v_lshlrev_b32_e32 v3, 2, v19
	v_mov_b32_e32 v17, 1
	ds_add_u32 v3, v17
.LBB2091_274:
	s_waitcnt vmcnt(5)
	v_not_b32_e32 v17, v11
	v_lshrrev_b32_e32 v18, s8, v17
	v_and_b32_e32 v18, s13, v18
	v_lshl_or_b32 v18, v18, 4, v2
	v_mov_b32_e32 v19, 1
	ds_add_u32 v18, v19
	s_waitcnt vmcnt(4)
	v_not_b32_e32 v3, v12
	v_lshrrev_b32_e32 v18, s8, v3
	s_and_b64 vcc, exec, s[4:5]
	v_and_b32_e32 v18, s13, v18
	s_cbranch_vccz .LBB2091_276
; %bb.275:
	v_lshl_or_b32 v19, v18, 2, v1
	s_mov_b64 s[6:7], -1
	s_cbranch_execz .LBB2091_277
	s_branch .LBB2091_284
.LBB2091_276:
	s_mov_b64 s[6:7], 0
                                        ; implicit-def: $vgpr19
.LBB2091_277:
	s_sub_i32 s10, s9, s12
	s_min_u32 s10, s10, 8
	s_lshl_b32 s10, -1, s10
	s_not_b32 s15, s10
	v_lshrrev_b32_e32 v19, s12, v17
	v_and_b32_e32 v19, s15, v19
	v_lshl_or_b32 v20, v19, 4, v2
	v_mov_b32_e32 v19, 1
	ds_add_u32 v20, v19 offset:4096
	s_add_i32 s14, s8, 16
	s_cmp_gt_u32 s9, s14
	s_cselect_b64 s[10:11], -1, 0
	s_cmp_le_u32 s9, s14
	s_cbranch_scc1 .LBB2091_280
; %bb.278:
	s_sub_i32 s16, s9, s14
	s_min_u32 s16, s16, 8
	v_lshrrev_b32_e32 v20, s14, v17
	v_bfe_u32 v20, v20, 0, s16
	v_lshl_or_b32 v20, v20, 4, v2
	ds_add_u32 v20, v19 offset:8192
	s_add_i32 s16, s8, 24
	s_cmp_le_u32 s9, s16
	s_cbranch_scc1 .LBB2091_280
; %bb.279:
	s_sub_i32 s17, s9, s16
	s_min_u32 s17, s17, 8
	v_lshrrev_b32_e32 v17, s16, v17
	v_bfe_u32 v17, v17, 0, s17
	v_lshl_or_b32 v17, v17, 4, v2
	v_mov_b32_e32 v20, 1
	ds_add_u32 v17, v20 offset:12288
.LBB2091_280:
	v_lshl_or_b32 v17, v18, 4, v2
	ds_add_u32 v17, v19
	v_lshrrev_b32_e32 v17, s12, v3
	v_and_b32_e32 v17, s15, v17
	v_lshl_or_b32 v17, v17, 4, v2
	ds_add_u32 v17, v19 offset:4096
	s_andn2_b64 vcc, exec, s[10:11]
	s_cbranch_vccnz .LBB2091_283
; %bb.281:
	s_sub_i32 s10, s9, s14
	s_min_u32 s10, s10, 8
	v_lshrrev_b32_e32 v17, s14, v3
	v_bfe_u32 v17, v17, 0, s10
	v_lshl_or_b32 v17, v17, 4, v2
	v_mov_b32_e32 v18, 1
	ds_add_u32 v17, v18 offset:8192
	s_add_i32 s10, s8, 24
	s_cmp_gt_u32 s9, s10
	s_cbranch_scc0 .LBB2091_283
; %bb.282:
	s_sub_i32 s6, s9, s10
	s_min_u32 s6, s6, 8
	v_lshrrev_b32_e32 v3, s10, v3
	v_bfe_u32 v3, v3, 0, s6
	v_lshl_or_b32 v3, v3, 2, v1
	v_add_u32_e32 v19, 0xc00, v3
	s_mov_b64 s[6:7], -1
	s_branch .LBB2091_284
.LBB2091_283:
                                        ; implicit-def: $vgpr19
.LBB2091_284:
	s_and_b64 vcc, exec, s[6:7]
	s_cbranch_vccz .LBB2091_286
; %bb.285:
	v_lshlrev_b32_e32 v3, 2, v19
	v_mov_b32_e32 v17, 1
	ds_add_u32 v3, v17
.LBB2091_286:
	s_waitcnt vmcnt(3)
	v_not_b32_e32 v17, v13
	v_lshrrev_b32_e32 v18, s8, v17
	v_and_b32_e32 v18, s13, v18
	v_lshl_or_b32 v18, v18, 4, v2
	v_mov_b32_e32 v19, 1
	ds_add_u32 v18, v19
	s_waitcnt vmcnt(2)
	v_not_b32_e32 v3, v14
	v_lshrrev_b32_e32 v18, s8, v3
	s_and_b64 vcc, exec, s[4:5]
	v_and_b32_e32 v18, s13, v18
	s_cbranch_vccz .LBB2091_288
; %bb.287:
	v_lshl_or_b32 v19, v18, 2, v1
	s_mov_b64 s[6:7], -1
	s_cbranch_execz .LBB2091_289
	s_branch .LBB2091_296
.LBB2091_288:
	s_mov_b64 s[6:7], 0
                                        ; implicit-def: $vgpr19
.LBB2091_289:
	s_sub_i32 s10, s9, s12
	s_min_u32 s10, s10, 8
	s_lshl_b32 s10, -1, s10
	s_not_b32 s15, s10
	v_lshrrev_b32_e32 v19, s12, v17
	v_and_b32_e32 v19, s15, v19
	v_lshl_or_b32 v20, v19, 4, v2
	v_mov_b32_e32 v19, 1
	ds_add_u32 v20, v19 offset:4096
	s_add_i32 s14, s8, 16
	s_cmp_gt_u32 s9, s14
	s_cselect_b64 s[10:11], -1, 0
	s_cmp_le_u32 s9, s14
	s_cbranch_scc1 .LBB2091_292
; %bb.290:
	s_sub_i32 s16, s9, s14
	s_min_u32 s16, s16, 8
	v_lshrrev_b32_e32 v20, s14, v17
	v_bfe_u32 v20, v20, 0, s16
	v_lshl_or_b32 v20, v20, 4, v2
	ds_add_u32 v20, v19 offset:8192
	s_add_i32 s16, s8, 24
	s_cmp_le_u32 s9, s16
	s_cbranch_scc1 .LBB2091_292
; %bb.291:
	s_sub_i32 s17, s9, s16
	s_min_u32 s17, s17, 8
	v_lshrrev_b32_e32 v17, s16, v17
	v_bfe_u32 v17, v17, 0, s17
	v_lshl_or_b32 v17, v17, 4, v2
	v_mov_b32_e32 v20, 1
	ds_add_u32 v17, v20 offset:12288
.LBB2091_292:
	v_lshl_or_b32 v17, v18, 4, v2
	ds_add_u32 v17, v19
	v_lshrrev_b32_e32 v17, s12, v3
	v_and_b32_e32 v17, s15, v17
	v_lshl_or_b32 v17, v17, 4, v2
	ds_add_u32 v17, v19 offset:4096
	s_andn2_b64 vcc, exec, s[10:11]
	s_cbranch_vccnz .LBB2091_295
; %bb.293:
	s_sub_i32 s10, s9, s14
	s_min_u32 s10, s10, 8
	v_lshrrev_b32_e32 v17, s14, v3
	v_bfe_u32 v17, v17, 0, s10
	v_lshl_or_b32 v17, v17, 4, v2
	v_mov_b32_e32 v18, 1
	ds_add_u32 v17, v18 offset:8192
	s_add_i32 s10, s8, 24
	s_cmp_gt_u32 s9, s10
	s_cbranch_scc0 .LBB2091_295
; %bb.294:
	s_sub_i32 s6, s9, s10
	s_min_u32 s6, s6, 8
	v_lshrrev_b32_e32 v3, s10, v3
	v_bfe_u32 v3, v3, 0, s6
	v_lshl_or_b32 v3, v3, 2, v1
	v_add_u32_e32 v19, 0xc00, v3
	s_mov_b64 s[6:7], -1
	s_branch .LBB2091_296
.LBB2091_295:
                                        ; implicit-def: $vgpr19
.LBB2091_296:
	s_and_b64 vcc, exec, s[6:7]
	s_cbranch_vccz .LBB2091_298
; %bb.297:
	v_lshlrev_b32_e32 v3, 2, v19
	v_mov_b32_e32 v17, 1
	ds_add_u32 v3, v17
.LBB2091_298:
	s_waitcnt vmcnt(1)
	v_not_b32_e32 v17, v15
	v_lshrrev_b32_e32 v18, s8, v17
	v_and_b32_e32 v18, s13, v18
	v_lshl_or_b32 v18, v18, 4, v2
	v_mov_b32_e32 v19, 1
	ds_add_u32 v18, v19
	s_waitcnt vmcnt(0)
	v_not_b32_e32 v3, v16
	v_lshrrev_b32_e32 v18, s8, v3
	s_and_b64 vcc, exec, s[4:5]
	v_and_b32_e32 v18, s13, v18
	s_cbranch_vccz .LBB2091_300
; %bb.299:
	v_lshl_or_b32 v19, v18, 2, v1
	s_mov_b64 s[4:5], -1
	s_cbranch_execz .LBB2091_301
	s_branch .LBB2091_308
.LBB2091_300:
	s_mov_b64 s[4:5], 0
                                        ; implicit-def: $vgpr19
.LBB2091_301:
	s_sub_i32 s6, s9, s12
	s_min_u32 s6, s6, 8
	s_lshl_b32 s6, -1, s6
	s_not_b32 s11, s6
	v_lshrrev_b32_e32 v19, s12, v17
	v_and_b32_e32 v19, s11, v19
	v_lshl_or_b32 v20, v19, 4, v2
	v_mov_b32_e32 v19, 1
	ds_add_u32 v20, v19 offset:4096
	s_add_i32 s10, s8, 16
	s_cmp_gt_u32 s9, s10
	s_cselect_b64 s[6:7], -1, 0
	s_cmp_le_u32 s9, s10
	s_cbranch_scc1 .LBB2091_304
; %bb.302:
	s_sub_i32 s13, s9, s10
	s_min_u32 s13, s13, 8
	v_lshrrev_b32_e32 v20, s10, v17
	v_bfe_u32 v20, v20, 0, s13
	v_lshl_or_b32 v20, v20, 4, v2
	ds_add_u32 v20, v19 offset:8192
	s_add_i32 s13, s8, 24
	s_cmp_le_u32 s9, s13
	s_cbranch_scc1 .LBB2091_304
; %bb.303:
	v_lshrrev_b32_e32 v17, s13, v17
	s_sub_i32 s13, s9, s13
	s_min_u32 s13, s13, 8
	v_bfe_u32 v17, v17, 0, s13
	v_lshl_or_b32 v17, v17, 4, v2
	v_mov_b32_e32 v20, 1
	ds_add_u32 v17, v20 offset:12288
.LBB2091_304:
	v_lshl_or_b32 v17, v18, 4, v2
	ds_add_u32 v17, v19
	v_lshrrev_b32_e32 v17, s12, v3
	v_and_b32_e32 v17, s11, v17
	v_lshl_or_b32 v17, v17, 4, v2
	ds_add_u32 v17, v19 offset:4096
	s_andn2_b64 vcc, exec, s[6:7]
	s_cbranch_vccnz .LBB2091_307
; %bb.305:
	s_sub_i32 s6, s9, s10
	s_min_u32 s6, s6, 8
	v_lshrrev_b32_e32 v17, s10, v3
	v_bfe_u32 v17, v17, 0, s6
	v_lshl_or_b32 v2, v17, 4, v2
	v_mov_b32_e32 v17, 1
	ds_add_u32 v2, v17 offset:8192
	s_add_i32 s6, s8, 24
	s_cmp_gt_u32 s9, s6
	s_cbranch_scc0 .LBB2091_307
; %bb.306:
	s_sub_i32 s4, s9, s6
	s_min_u32 s4, s4, 8
	v_lshrrev_b32_e32 v2, s6, v3
	v_bfe_u32 v2, v2, 0, s4
	v_lshl_or_b32 v1, v2, 2, v1
	v_add_u32_e32 v19, 0xc00, v1
	s_mov_b64 s[4:5], -1
	s_branch .LBB2091_308
.LBB2091_307:
                                        ; implicit-def: $vgpr19
.LBB2091_308:
	s_and_b64 vcc, exec, s[4:5]
	s_cbranch_vccz .LBB2091_310
; %bb.309:
	v_lshlrev_b32_e32 v1, 2, v19
	v_mov_b32_e32 v2, 1
	ds_add_u32 v1, v2
.LBB2091_310:
	s_and_b64 vcc, exec, s[0:1]
	s_waitcnt lgkmcnt(0)
	s_barrier
	s_cbranch_vccz .LBB2091_315
; %bb.311:
	s_movk_i32 s0, 0x100
	v_cmp_gt_u32_e32 vcc, s0, v0
	v_lshlrev_b32_e32 v1, 4, v0
	v_mov_b32_e32 v3, 0
	v_mov_b32_e32 v2, v0
	s_branch .LBB2091_313
.LBB2091_312:                           ;   in Loop: Header=BB2091_313 Depth=1
	s_or_b64 exec, exec, s[4:5]
	s_add_i32 s8, s8, 8
	v_add_u32_e32 v2, 0x100, v2
	s_cmp_ge_u32 s8, s9
	v_add_u32_e32 v1, 0x1000, v1
	s_cbranch_scc1 .LBB2091_315
.LBB2091_313:                           ; =>This Inner Loop Header: Depth=1
	s_and_saveexec_b64 s[4:5], vcc
	s_cbranch_execz .LBB2091_312
; %bb.314:                              ;   in Loop: Header=BB2091_313 Depth=1
	ds_read2_b32 v[18:19], v1 offset1:1
	ds_read2_b32 v[20:21], v1 offset0:2 offset1:3
	v_lshlrev_b64 v[22:23], 3, v[2:3]
	v_mov_b32_e32 v17, s3
	s_waitcnt lgkmcnt(1)
	v_add_u32_e32 v18, v19, v18
	s_waitcnt lgkmcnt(0)
	v_add3_u32 v18, v18, v20, v21
	v_add_co_u32_e64 v20, s[0:1], s2, v22
	v_addc_co_u32_e64 v21, s[0:1], v17, v23, s[0:1]
	v_mov_b32_e32 v19, v3
	global_atomic_add_x2 v[20:21], v[18:19], off
	s_branch .LBB2091_312
.LBB2091_315:
	s_mov_b64 s[0:1], 0
.LBB2091_316:
	s_and_b64 vcc, exec, s[0:1]
	s_cbranch_vccz .LBB2091_319
; %bb.317:
	s_waitcnt vmcnt(11)
	v_not_b32_e32 v2, v5
	s_waitcnt vmcnt(10)
	v_not_b32_e32 v3, v6
	;; [unrolled: 2-line block ×8, first 2 shown]
	v_and_b32_e32 v14, 3, v0
	v_lshlrev_b32_e32 v15, 2, v2
	s_movk_i32 s0, 0x3fc
	v_mov_b32_e32 v1, 0
	v_and_or_b32 v15, v15, s0, v14
	ds_write2st64_b32 v4, v1, v1 offset1:16
	ds_write2st64_b32 v4, v1, v1 offset0:32 offset1:48
	v_not_b32_e32 v4, v7
	v_not_b32_e32 v7, v10
	;; [unrolled: 1-line block ×3, first 2 shown]
	s_waitcnt vmcnt(0)
	v_not_b32_e32 v13, v16
	v_lshlrev_b32_e32 v15, 2, v15
	v_mov_b32_e32 v16, 1
	s_waitcnt lgkmcnt(0)
	s_barrier
	ds_add_u32 v15, v16
	v_bfe_u32 v15, v2, 8, 8
	v_lshl_or_b32 v15, v15, 2, v14
	v_lshlrev_b32_e32 v15, 2, v15
	ds_add_u32 v15, v16 offset:4096
	v_bfe_u32 v15, v2, 16, 8
	v_lshl_or_b32 v15, v15, 2, v14
	v_lshrrev_b32_e32 v2, 24, v2
	v_lshlrev_b32_e32 v15, 2, v15
	v_lshl_or_b32 v2, v2, 2, v14
	ds_add_u32 v15, v16 offset:8192
	v_lshlrev_b32_e32 v2, 2, v2
	ds_add_u32 v2, v16 offset:12288
	v_lshlrev_b32_e32 v2, 2, v3
	v_and_or_b32 v2, v2, s0, v14
	v_lshlrev_b32_e32 v2, 2, v2
	ds_add_u32 v2, v16
	v_bfe_u32 v2, v3, 8, 8
	v_lshl_or_b32 v2, v2, 2, v14
	v_lshlrev_b32_e32 v2, 2, v2
	ds_add_u32 v2, v16 offset:4096
	v_bfe_u32 v2, v3, 16, 8
	v_lshl_or_b32 v2, v2, 2, v14
	v_lshlrev_b32_e32 v2, 2, v2
	ds_add_u32 v2, v16 offset:8192
	v_lshrrev_b32_e32 v2, 24, v3
	v_lshl_or_b32 v2, v2, 2, v14
	v_lshlrev_b32_e32 v2, 2, v2
	ds_add_u32 v2, v16 offset:12288
	v_lshlrev_b32_e32 v2, 2, v4
	v_and_or_b32 v2, v2, s0, v14
	v_lshlrev_b32_e32 v2, 2, v2
	ds_add_u32 v2, v16
	v_bfe_u32 v2, v4, 8, 8
	v_lshl_or_b32 v2, v2, 2, v14
	v_lshlrev_b32_e32 v2, 2, v2
	ds_add_u32 v2, v16 offset:4096
	v_bfe_u32 v2, v4, 16, 8
	v_lshl_or_b32 v2, v2, 2, v14
	v_lshlrev_b32_e32 v2, 2, v2
	ds_add_u32 v2, v16 offset:8192
	v_lshrrev_b32_e32 v2, 24, v4
	v_lshl_or_b32 v2, v2, 2, v14
	;; [unrolled: 16-line block ×11, first 2 shown]
	v_lshlrev_b32_e32 v2, 2, v2
	ds_add_u32 v2, v16 offset:12288
	s_movk_i32 s0, 0x100
	v_cmp_gt_u32_e32 vcc, s0, v0
	s_waitcnt lgkmcnt(0)
	s_barrier
	s_and_saveexec_b64 s[0:1], vcc
	s_cbranch_execz .LBB2091_319
; %bb.318:
	v_lshlrev_b32_e32 v6, 4, v0
	ds_read2_b32 v[2:3], v6 offset1:1
	ds_read2_b32 v[4:5], v6 offset0:2 offset1:3
	v_lshlrev_b32_e32 v7, 3, v0
	v_add_u32_e32 v8, 0x1000, v6
	v_add_u32_e32 v9, 0x1008, v6
	s_waitcnt lgkmcnt(1)
	v_add_u32_e32 v0, v3, v2
	s_waitcnt lgkmcnt(0)
	v_add3_u32 v0, v0, v4, v5
	global_atomic_add_x2 v7, v[0:1], s[2:3]
	ds_read2_b32 v[2:3], v8 offset1:1
	ds_read2_b32 v[4:5], v9 offset1:1
	v_add_u32_e32 v8, 0x2000, v6
	v_add_u32_e32 v9, 0x2008, v6
	s_waitcnt lgkmcnt(1)
	v_add_u32_e32 v0, v3, v2
	s_waitcnt lgkmcnt(0)
	v_add3_u32 v0, v0, v4, v5
	global_atomic_add_x2 v7, v[0:1], s[2:3] offset:2048
	ds_read2_b32 v[2:3], v8 offset1:1
	ds_read2_b32 v[4:5], v9 offset1:1
	v_or_b32_e32 v8, 0x1000, v7
	v_add_u32_e32 v9, 0x3000, v6
	v_add_u32_e32 v6, 0x3008, v6
	s_waitcnt lgkmcnt(1)
	v_add_u32_e32 v0, v3, v2
	s_waitcnt lgkmcnt(0)
	v_add3_u32 v0, v0, v4, v5
	global_atomic_add_x2 v8, v[0:1], s[2:3]
	ds_read2_b32 v[2:3], v9 offset1:1
	ds_read2_b32 v[4:5], v6 offset1:1
	s_waitcnt lgkmcnt(1)
	v_add_u32_e32 v0, v3, v2
	s_waitcnt lgkmcnt(0)
	v_add3_u32 v0, v0, v4, v5
	v_or_b32_e32 v2, 0x1800, v7
	global_atomic_add_x2 v2, v[0:1], s[2:3]
.LBB2091_319:
	s_endpgm
	.section	.rodata,"a",@progbits
	.p2align	6, 0x0
	.amdhsa_kernel _ZN7rocprim17ROCPRIM_400000_NS6detail17trampoline_kernelINS0_14default_configENS1_35radix_sort_onesweep_config_selectorIjNS0_10empty_typeEEEZNS1_34radix_sort_onesweep_global_offsetsIS3_Lb1EPjPS5_mNS0_19identity_decomposerEEE10hipError_tT1_T2_PT3_SE_jT4_jjP12ihipStream_tbEUlT_E_NS1_11comp_targetILNS1_3genE4ELNS1_11target_archE910ELNS1_3gpuE8ELNS1_3repE0EEENS1_52radix_sort_onesweep_histogram_config_static_selectorELNS0_4arch9wavefront6targetE1EEEvSC_
		.amdhsa_group_segment_fixed_size 16384
		.amdhsa_private_segment_fixed_size 0
		.amdhsa_kernarg_size 48
		.amdhsa_user_sgpr_count 6
		.amdhsa_user_sgpr_private_segment_buffer 1
		.amdhsa_user_sgpr_dispatch_ptr 0
		.amdhsa_user_sgpr_queue_ptr 0
		.amdhsa_user_sgpr_kernarg_segment_ptr 1
		.amdhsa_user_sgpr_dispatch_id 0
		.amdhsa_user_sgpr_flat_scratch_init 0
		.amdhsa_user_sgpr_kernarg_preload_length 0
		.amdhsa_user_sgpr_kernarg_preload_offset 0
		.amdhsa_user_sgpr_private_segment_size 0
		.amdhsa_uses_dynamic_stack 0
		.amdhsa_system_sgpr_private_segment_wavefront_offset 0
		.amdhsa_system_sgpr_workgroup_id_x 1
		.amdhsa_system_sgpr_workgroup_id_y 0
		.amdhsa_system_sgpr_workgroup_id_z 0
		.amdhsa_system_sgpr_workgroup_info 0
		.amdhsa_system_vgpr_workitem_id 0
		.amdhsa_next_free_vgpr 27
		.amdhsa_next_free_sgpr 18
		.amdhsa_accum_offset 28
		.amdhsa_reserve_vcc 1
		.amdhsa_reserve_flat_scratch 0
		.amdhsa_float_round_mode_32 0
		.amdhsa_float_round_mode_16_64 0
		.amdhsa_float_denorm_mode_32 3
		.amdhsa_float_denorm_mode_16_64 3
		.amdhsa_dx10_clamp 1
		.amdhsa_ieee_mode 1
		.amdhsa_fp16_overflow 0
		.amdhsa_tg_split 0
		.amdhsa_exception_fp_ieee_invalid_op 0
		.amdhsa_exception_fp_denorm_src 0
		.amdhsa_exception_fp_ieee_div_zero 0
		.amdhsa_exception_fp_ieee_overflow 0
		.amdhsa_exception_fp_ieee_underflow 0
		.amdhsa_exception_fp_ieee_inexact 0
		.amdhsa_exception_int_div_zero 0
	.end_amdhsa_kernel
	.section	.text._ZN7rocprim17ROCPRIM_400000_NS6detail17trampoline_kernelINS0_14default_configENS1_35radix_sort_onesweep_config_selectorIjNS0_10empty_typeEEEZNS1_34radix_sort_onesweep_global_offsetsIS3_Lb1EPjPS5_mNS0_19identity_decomposerEEE10hipError_tT1_T2_PT3_SE_jT4_jjP12ihipStream_tbEUlT_E_NS1_11comp_targetILNS1_3genE4ELNS1_11target_archE910ELNS1_3gpuE8ELNS1_3repE0EEENS1_52radix_sort_onesweep_histogram_config_static_selectorELNS0_4arch9wavefront6targetE1EEEvSC_,"axG",@progbits,_ZN7rocprim17ROCPRIM_400000_NS6detail17trampoline_kernelINS0_14default_configENS1_35radix_sort_onesweep_config_selectorIjNS0_10empty_typeEEEZNS1_34radix_sort_onesweep_global_offsetsIS3_Lb1EPjPS5_mNS0_19identity_decomposerEEE10hipError_tT1_T2_PT3_SE_jT4_jjP12ihipStream_tbEUlT_E_NS1_11comp_targetILNS1_3genE4ELNS1_11target_archE910ELNS1_3gpuE8ELNS1_3repE0EEENS1_52radix_sort_onesweep_histogram_config_static_selectorELNS0_4arch9wavefront6targetE1EEEvSC_,comdat
.Lfunc_end2091:
	.size	_ZN7rocprim17ROCPRIM_400000_NS6detail17trampoline_kernelINS0_14default_configENS1_35radix_sort_onesweep_config_selectorIjNS0_10empty_typeEEEZNS1_34radix_sort_onesweep_global_offsetsIS3_Lb1EPjPS5_mNS0_19identity_decomposerEEE10hipError_tT1_T2_PT3_SE_jT4_jjP12ihipStream_tbEUlT_E_NS1_11comp_targetILNS1_3genE4ELNS1_11target_archE910ELNS1_3gpuE8ELNS1_3repE0EEENS1_52radix_sort_onesweep_histogram_config_static_selectorELNS0_4arch9wavefront6targetE1EEEvSC_, .Lfunc_end2091-_ZN7rocprim17ROCPRIM_400000_NS6detail17trampoline_kernelINS0_14default_configENS1_35radix_sort_onesweep_config_selectorIjNS0_10empty_typeEEEZNS1_34radix_sort_onesweep_global_offsetsIS3_Lb1EPjPS5_mNS0_19identity_decomposerEEE10hipError_tT1_T2_PT3_SE_jT4_jjP12ihipStream_tbEUlT_E_NS1_11comp_targetILNS1_3genE4ELNS1_11target_archE910ELNS1_3gpuE8ELNS1_3repE0EEENS1_52radix_sort_onesweep_histogram_config_static_selectorELNS0_4arch9wavefront6targetE1EEEvSC_
                                        ; -- End function
	.section	.AMDGPU.csdata,"",@progbits
; Kernel info:
; codeLenInByte = 10872
; NumSgprs: 22
; NumVgprs: 27
; NumAgprs: 0
; TotalNumVgprs: 27
; ScratchSize: 0
; MemoryBound: 0
; FloatMode: 240
; IeeeMode: 1
; LDSByteSize: 16384 bytes/workgroup (compile time only)
; SGPRBlocks: 2
; VGPRBlocks: 3
; NumSGPRsForWavesPerEU: 22
; NumVGPRsForWavesPerEU: 27
; AccumOffset: 28
; Occupancy: 8
; WaveLimiterHint : 1
; COMPUTE_PGM_RSRC2:SCRATCH_EN: 0
; COMPUTE_PGM_RSRC2:USER_SGPR: 6
; COMPUTE_PGM_RSRC2:TRAP_HANDLER: 0
; COMPUTE_PGM_RSRC2:TGID_X_EN: 1
; COMPUTE_PGM_RSRC2:TGID_Y_EN: 0
; COMPUTE_PGM_RSRC2:TGID_Z_EN: 0
; COMPUTE_PGM_RSRC2:TIDIG_COMP_CNT: 0
; COMPUTE_PGM_RSRC3_GFX90A:ACCUM_OFFSET: 6
; COMPUTE_PGM_RSRC3_GFX90A:TG_SPLIT: 0
	.section	.text._ZN7rocprim17ROCPRIM_400000_NS6detail17trampoline_kernelINS0_14default_configENS1_35radix_sort_onesweep_config_selectorIjNS0_10empty_typeEEEZNS1_34radix_sort_onesweep_global_offsetsIS3_Lb1EPjPS5_mNS0_19identity_decomposerEEE10hipError_tT1_T2_PT3_SE_jT4_jjP12ihipStream_tbEUlT_E_NS1_11comp_targetILNS1_3genE3ELNS1_11target_archE908ELNS1_3gpuE7ELNS1_3repE0EEENS1_52radix_sort_onesweep_histogram_config_static_selectorELNS0_4arch9wavefront6targetE1EEEvSC_,"axG",@progbits,_ZN7rocprim17ROCPRIM_400000_NS6detail17trampoline_kernelINS0_14default_configENS1_35radix_sort_onesweep_config_selectorIjNS0_10empty_typeEEEZNS1_34radix_sort_onesweep_global_offsetsIS3_Lb1EPjPS5_mNS0_19identity_decomposerEEE10hipError_tT1_T2_PT3_SE_jT4_jjP12ihipStream_tbEUlT_E_NS1_11comp_targetILNS1_3genE3ELNS1_11target_archE908ELNS1_3gpuE7ELNS1_3repE0EEENS1_52radix_sort_onesweep_histogram_config_static_selectorELNS0_4arch9wavefront6targetE1EEEvSC_,comdat
	.protected	_ZN7rocprim17ROCPRIM_400000_NS6detail17trampoline_kernelINS0_14default_configENS1_35radix_sort_onesweep_config_selectorIjNS0_10empty_typeEEEZNS1_34radix_sort_onesweep_global_offsetsIS3_Lb1EPjPS5_mNS0_19identity_decomposerEEE10hipError_tT1_T2_PT3_SE_jT4_jjP12ihipStream_tbEUlT_E_NS1_11comp_targetILNS1_3genE3ELNS1_11target_archE908ELNS1_3gpuE7ELNS1_3repE0EEENS1_52radix_sort_onesweep_histogram_config_static_selectorELNS0_4arch9wavefront6targetE1EEEvSC_ ; -- Begin function _ZN7rocprim17ROCPRIM_400000_NS6detail17trampoline_kernelINS0_14default_configENS1_35radix_sort_onesweep_config_selectorIjNS0_10empty_typeEEEZNS1_34radix_sort_onesweep_global_offsetsIS3_Lb1EPjPS5_mNS0_19identity_decomposerEEE10hipError_tT1_T2_PT3_SE_jT4_jjP12ihipStream_tbEUlT_E_NS1_11comp_targetILNS1_3genE3ELNS1_11target_archE908ELNS1_3gpuE7ELNS1_3repE0EEENS1_52radix_sort_onesweep_histogram_config_static_selectorELNS0_4arch9wavefront6targetE1EEEvSC_
	.globl	_ZN7rocprim17ROCPRIM_400000_NS6detail17trampoline_kernelINS0_14default_configENS1_35radix_sort_onesweep_config_selectorIjNS0_10empty_typeEEEZNS1_34radix_sort_onesweep_global_offsetsIS3_Lb1EPjPS5_mNS0_19identity_decomposerEEE10hipError_tT1_T2_PT3_SE_jT4_jjP12ihipStream_tbEUlT_E_NS1_11comp_targetILNS1_3genE3ELNS1_11target_archE908ELNS1_3gpuE7ELNS1_3repE0EEENS1_52radix_sort_onesweep_histogram_config_static_selectorELNS0_4arch9wavefront6targetE1EEEvSC_
	.p2align	8
	.type	_ZN7rocprim17ROCPRIM_400000_NS6detail17trampoline_kernelINS0_14default_configENS1_35radix_sort_onesweep_config_selectorIjNS0_10empty_typeEEEZNS1_34radix_sort_onesweep_global_offsetsIS3_Lb1EPjPS5_mNS0_19identity_decomposerEEE10hipError_tT1_T2_PT3_SE_jT4_jjP12ihipStream_tbEUlT_E_NS1_11comp_targetILNS1_3genE3ELNS1_11target_archE908ELNS1_3gpuE7ELNS1_3repE0EEENS1_52radix_sort_onesweep_histogram_config_static_selectorELNS0_4arch9wavefront6targetE1EEEvSC_,@function
_ZN7rocprim17ROCPRIM_400000_NS6detail17trampoline_kernelINS0_14default_configENS1_35radix_sort_onesweep_config_selectorIjNS0_10empty_typeEEEZNS1_34radix_sort_onesweep_global_offsetsIS3_Lb1EPjPS5_mNS0_19identity_decomposerEEE10hipError_tT1_T2_PT3_SE_jT4_jjP12ihipStream_tbEUlT_E_NS1_11comp_targetILNS1_3genE3ELNS1_11target_archE908ELNS1_3gpuE7ELNS1_3repE0EEENS1_52radix_sort_onesweep_histogram_config_static_selectorELNS0_4arch9wavefront6targetE1EEEvSC_: ; @_ZN7rocprim17ROCPRIM_400000_NS6detail17trampoline_kernelINS0_14default_configENS1_35radix_sort_onesweep_config_selectorIjNS0_10empty_typeEEEZNS1_34radix_sort_onesweep_global_offsetsIS3_Lb1EPjPS5_mNS0_19identity_decomposerEEE10hipError_tT1_T2_PT3_SE_jT4_jjP12ihipStream_tbEUlT_E_NS1_11comp_targetILNS1_3genE3ELNS1_11target_archE908ELNS1_3gpuE7ELNS1_3repE0EEENS1_52radix_sort_onesweep_histogram_config_static_selectorELNS0_4arch9wavefront6targetE1EEEvSC_
; %bb.0:
	.section	.rodata,"a",@progbits
	.p2align	6, 0x0
	.amdhsa_kernel _ZN7rocprim17ROCPRIM_400000_NS6detail17trampoline_kernelINS0_14default_configENS1_35radix_sort_onesweep_config_selectorIjNS0_10empty_typeEEEZNS1_34radix_sort_onesweep_global_offsetsIS3_Lb1EPjPS5_mNS0_19identity_decomposerEEE10hipError_tT1_T2_PT3_SE_jT4_jjP12ihipStream_tbEUlT_E_NS1_11comp_targetILNS1_3genE3ELNS1_11target_archE908ELNS1_3gpuE7ELNS1_3repE0EEENS1_52radix_sort_onesweep_histogram_config_static_selectorELNS0_4arch9wavefront6targetE1EEEvSC_
		.amdhsa_group_segment_fixed_size 0
		.amdhsa_private_segment_fixed_size 0
		.amdhsa_kernarg_size 48
		.amdhsa_user_sgpr_count 6
		.amdhsa_user_sgpr_private_segment_buffer 1
		.amdhsa_user_sgpr_dispatch_ptr 0
		.amdhsa_user_sgpr_queue_ptr 0
		.amdhsa_user_sgpr_kernarg_segment_ptr 1
		.amdhsa_user_sgpr_dispatch_id 0
		.amdhsa_user_sgpr_flat_scratch_init 0
		.amdhsa_user_sgpr_kernarg_preload_length 0
		.amdhsa_user_sgpr_kernarg_preload_offset 0
		.amdhsa_user_sgpr_private_segment_size 0
		.amdhsa_uses_dynamic_stack 0
		.amdhsa_system_sgpr_private_segment_wavefront_offset 0
		.amdhsa_system_sgpr_workgroup_id_x 1
		.amdhsa_system_sgpr_workgroup_id_y 0
		.amdhsa_system_sgpr_workgroup_id_z 0
		.amdhsa_system_sgpr_workgroup_info 0
		.amdhsa_system_vgpr_workitem_id 0
		.amdhsa_next_free_vgpr 1
		.amdhsa_next_free_sgpr 0
		.amdhsa_accum_offset 4
		.amdhsa_reserve_vcc 0
		.amdhsa_reserve_flat_scratch 0
		.amdhsa_float_round_mode_32 0
		.amdhsa_float_round_mode_16_64 0
		.amdhsa_float_denorm_mode_32 3
		.amdhsa_float_denorm_mode_16_64 3
		.amdhsa_dx10_clamp 1
		.amdhsa_ieee_mode 1
		.amdhsa_fp16_overflow 0
		.amdhsa_tg_split 0
		.amdhsa_exception_fp_ieee_invalid_op 0
		.amdhsa_exception_fp_denorm_src 0
		.amdhsa_exception_fp_ieee_div_zero 0
		.amdhsa_exception_fp_ieee_overflow 0
		.amdhsa_exception_fp_ieee_underflow 0
		.amdhsa_exception_fp_ieee_inexact 0
		.amdhsa_exception_int_div_zero 0
	.end_amdhsa_kernel
	.section	.text._ZN7rocprim17ROCPRIM_400000_NS6detail17trampoline_kernelINS0_14default_configENS1_35radix_sort_onesweep_config_selectorIjNS0_10empty_typeEEEZNS1_34radix_sort_onesweep_global_offsetsIS3_Lb1EPjPS5_mNS0_19identity_decomposerEEE10hipError_tT1_T2_PT3_SE_jT4_jjP12ihipStream_tbEUlT_E_NS1_11comp_targetILNS1_3genE3ELNS1_11target_archE908ELNS1_3gpuE7ELNS1_3repE0EEENS1_52radix_sort_onesweep_histogram_config_static_selectorELNS0_4arch9wavefront6targetE1EEEvSC_,"axG",@progbits,_ZN7rocprim17ROCPRIM_400000_NS6detail17trampoline_kernelINS0_14default_configENS1_35radix_sort_onesweep_config_selectorIjNS0_10empty_typeEEEZNS1_34radix_sort_onesweep_global_offsetsIS3_Lb1EPjPS5_mNS0_19identity_decomposerEEE10hipError_tT1_T2_PT3_SE_jT4_jjP12ihipStream_tbEUlT_E_NS1_11comp_targetILNS1_3genE3ELNS1_11target_archE908ELNS1_3gpuE7ELNS1_3repE0EEENS1_52radix_sort_onesweep_histogram_config_static_selectorELNS0_4arch9wavefront6targetE1EEEvSC_,comdat
.Lfunc_end2092:
	.size	_ZN7rocprim17ROCPRIM_400000_NS6detail17trampoline_kernelINS0_14default_configENS1_35radix_sort_onesweep_config_selectorIjNS0_10empty_typeEEEZNS1_34radix_sort_onesweep_global_offsetsIS3_Lb1EPjPS5_mNS0_19identity_decomposerEEE10hipError_tT1_T2_PT3_SE_jT4_jjP12ihipStream_tbEUlT_E_NS1_11comp_targetILNS1_3genE3ELNS1_11target_archE908ELNS1_3gpuE7ELNS1_3repE0EEENS1_52radix_sort_onesweep_histogram_config_static_selectorELNS0_4arch9wavefront6targetE1EEEvSC_, .Lfunc_end2092-_ZN7rocprim17ROCPRIM_400000_NS6detail17trampoline_kernelINS0_14default_configENS1_35radix_sort_onesweep_config_selectorIjNS0_10empty_typeEEEZNS1_34radix_sort_onesweep_global_offsetsIS3_Lb1EPjPS5_mNS0_19identity_decomposerEEE10hipError_tT1_T2_PT3_SE_jT4_jjP12ihipStream_tbEUlT_E_NS1_11comp_targetILNS1_3genE3ELNS1_11target_archE908ELNS1_3gpuE7ELNS1_3repE0EEENS1_52radix_sort_onesweep_histogram_config_static_selectorELNS0_4arch9wavefront6targetE1EEEvSC_
                                        ; -- End function
	.section	.AMDGPU.csdata,"",@progbits
; Kernel info:
; codeLenInByte = 0
; NumSgprs: 4
; NumVgprs: 0
; NumAgprs: 0
; TotalNumVgprs: 0
; ScratchSize: 0
; MemoryBound: 0
; FloatMode: 240
; IeeeMode: 1
; LDSByteSize: 0 bytes/workgroup (compile time only)
; SGPRBlocks: 0
; VGPRBlocks: 0
; NumSGPRsForWavesPerEU: 4
; NumVGPRsForWavesPerEU: 1
; AccumOffset: 4
; Occupancy: 8
; WaveLimiterHint : 0
; COMPUTE_PGM_RSRC2:SCRATCH_EN: 0
; COMPUTE_PGM_RSRC2:USER_SGPR: 6
; COMPUTE_PGM_RSRC2:TRAP_HANDLER: 0
; COMPUTE_PGM_RSRC2:TGID_X_EN: 1
; COMPUTE_PGM_RSRC2:TGID_Y_EN: 0
; COMPUTE_PGM_RSRC2:TGID_Z_EN: 0
; COMPUTE_PGM_RSRC2:TIDIG_COMP_CNT: 0
; COMPUTE_PGM_RSRC3_GFX90A:ACCUM_OFFSET: 0
; COMPUTE_PGM_RSRC3_GFX90A:TG_SPLIT: 0
	.section	.text._ZN7rocprim17ROCPRIM_400000_NS6detail17trampoline_kernelINS0_14default_configENS1_35radix_sort_onesweep_config_selectorIjNS0_10empty_typeEEEZNS1_34radix_sort_onesweep_global_offsetsIS3_Lb1EPjPS5_mNS0_19identity_decomposerEEE10hipError_tT1_T2_PT3_SE_jT4_jjP12ihipStream_tbEUlT_E_NS1_11comp_targetILNS1_3genE10ELNS1_11target_archE1201ELNS1_3gpuE5ELNS1_3repE0EEENS1_52radix_sort_onesweep_histogram_config_static_selectorELNS0_4arch9wavefront6targetE1EEEvSC_,"axG",@progbits,_ZN7rocprim17ROCPRIM_400000_NS6detail17trampoline_kernelINS0_14default_configENS1_35radix_sort_onesweep_config_selectorIjNS0_10empty_typeEEEZNS1_34radix_sort_onesweep_global_offsetsIS3_Lb1EPjPS5_mNS0_19identity_decomposerEEE10hipError_tT1_T2_PT3_SE_jT4_jjP12ihipStream_tbEUlT_E_NS1_11comp_targetILNS1_3genE10ELNS1_11target_archE1201ELNS1_3gpuE5ELNS1_3repE0EEENS1_52radix_sort_onesweep_histogram_config_static_selectorELNS0_4arch9wavefront6targetE1EEEvSC_,comdat
	.protected	_ZN7rocprim17ROCPRIM_400000_NS6detail17trampoline_kernelINS0_14default_configENS1_35radix_sort_onesweep_config_selectorIjNS0_10empty_typeEEEZNS1_34radix_sort_onesweep_global_offsetsIS3_Lb1EPjPS5_mNS0_19identity_decomposerEEE10hipError_tT1_T2_PT3_SE_jT4_jjP12ihipStream_tbEUlT_E_NS1_11comp_targetILNS1_3genE10ELNS1_11target_archE1201ELNS1_3gpuE5ELNS1_3repE0EEENS1_52radix_sort_onesweep_histogram_config_static_selectorELNS0_4arch9wavefront6targetE1EEEvSC_ ; -- Begin function _ZN7rocprim17ROCPRIM_400000_NS6detail17trampoline_kernelINS0_14default_configENS1_35radix_sort_onesweep_config_selectorIjNS0_10empty_typeEEEZNS1_34radix_sort_onesweep_global_offsetsIS3_Lb1EPjPS5_mNS0_19identity_decomposerEEE10hipError_tT1_T2_PT3_SE_jT4_jjP12ihipStream_tbEUlT_E_NS1_11comp_targetILNS1_3genE10ELNS1_11target_archE1201ELNS1_3gpuE5ELNS1_3repE0EEENS1_52radix_sort_onesweep_histogram_config_static_selectorELNS0_4arch9wavefront6targetE1EEEvSC_
	.globl	_ZN7rocprim17ROCPRIM_400000_NS6detail17trampoline_kernelINS0_14default_configENS1_35radix_sort_onesweep_config_selectorIjNS0_10empty_typeEEEZNS1_34radix_sort_onesweep_global_offsetsIS3_Lb1EPjPS5_mNS0_19identity_decomposerEEE10hipError_tT1_T2_PT3_SE_jT4_jjP12ihipStream_tbEUlT_E_NS1_11comp_targetILNS1_3genE10ELNS1_11target_archE1201ELNS1_3gpuE5ELNS1_3repE0EEENS1_52radix_sort_onesweep_histogram_config_static_selectorELNS0_4arch9wavefront6targetE1EEEvSC_
	.p2align	8
	.type	_ZN7rocprim17ROCPRIM_400000_NS6detail17trampoline_kernelINS0_14default_configENS1_35radix_sort_onesweep_config_selectorIjNS0_10empty_typeEEEZNS1_34radix_sort_onesweep_global_offsetsIS3_Lb1EPjPS5_mNS0_19identity_decomposerEEE10hipError_tT1_T2_PT3_SE_jT4_jjP12ihipStream_tbEUlT_E_NS1_11comp_targetILNS1_3genE10ELNS1_11target_archE1201ELNS1_3gpuE5ELNS1_3repE0EEENS1_52radix_sort_onesweep_histogram_config_static_selectorELNS0_4arch9wavefront6targetE1EEEvSC_,@function
_ZN7rocprim17ROCPRIM_400000_NS6detail17trampoline_kernelINS0_14default_configENS1_35radix_sort_onesweep_config_selectorIjNS0_10empty_typeEEEZNS1_34radix_sort_onesweep_global_offsetsIS3_Lb1EPjPS5_mNS0_19identity_decomposerEEE10hipError_tT1_T2_PT3_SE_jT4_jjP12ihipStream_tbEUlT_E_NS1_11comp_targetILNS1_3genE10ELNS1_11target_archE1201ELNS1_3gpuE5ELNS1_3repE0EEENS1_52radix_sort_onesweep_histogram_config_static_selectorELNS0_4arch9wavefront6targetE1EEEvSC_: ; @_ZN7rocprim17ROCPRIM_400000_NS6detail17trampoline_kernelINS0_14default_configENS1_35radix_sort_onesweep_config_selectorIjNS0_10empty_typeEEEZNS1_34radix_sort_onesweep_global_offsetsIS3_Lb1EPjPS5_mNS0_19identity_decomposerEEE10hipError_tT1_T2_PT3_SE_jT4_jjP12ihipStream_tbEUlT_E_NS1_11comp_targetILNS1_3genE10ELNS1_11target_archE1201ELNS1_3gpuE5ELNS1_3repE0EEENS1_52radix_sort_onesweep_histogram_config_static_selectorELNS0_4arch9wavefront6targetE1EEEvSC_
; %bb.0:
	.section	.rodata,"a",@progbits
	.p2align	6, 0x0
	.amdhsa_kernel _ZN7rocprim17ROCPRIM_400000_NS6detail17trampoline_kernelINS0_14default_configENS1_35radix_sort_onesweep_config_selectorIjNS0_10empty_typeEEEZNS1_34radix_sort_onesweep_global_offsetsIS3_Lb1EPjPS5_mNS0_19identity_decomposerEEE10hipError_tT1_T2_PT3_SE_jT4_jjP12ihipStream_tbEUlT_E_NS1_11comp_targetILNS1_3genE10ELNS1_11target_archE1201ELNS1_3gpuE5ELNS1_3repE0EEENS1_52radix_sort_onesweep_histogram_config_static_selectorELNS0_4arch9wavefront6targetE1EEEvSC_
		.amdhsa_group_segment_fixed_size 0
		.amdhsa_private_segment_fixed_size 0
		.amdhsa_kernarg_size 48
		.amdhsa_user_sgpr_count 6
		.amdhsa_user_sgpr_private_segment_buffer 1
		.amdhsa_user_sgpr_dispatch_ptr 0
		.amdhsa_user_sgpr_queue_ptr 0
		.amdhsa_user_sgpr_kernarg_segment_ptr 1
		.amdhsa_user_sgpr_dispatch_id 0
		.amdhsa_user_sgpr_flat_scratch_init 0
		.amdhsa_user_sgpr_kernarg_preload_length 0
		.amdhsa_user_sgpr_kernarg_preload_offset 0
		.amdhsa_user_sgpr_private_segment_size 0
		.amdhsa_uses_dynamic_stack 0
		.amdhsa_system_sgpr_private_segment_wavefront_offset 0
		.amdhsa_system_sgpr_workgroup_id_x 1
		.amdhsa_system_sgpr_workgroup_id_y 0
		.amdhsa_system_sgpr_workgroup_id_z 0
		.amdhsa_system_sgpr_workgroup_info 0
		.amdhsa_system_vgpr_workitem_id 0
		.amdhsa_next_free_vgpr 1
		.amdhsa_next_free_sgpr 0
		.amdhsa_accum_offset 4
		.amdhsa_reserve_vcc 0
		.amdhsa_reserve_flat_scratch 0
		.amdhsa_float_round_mode_32 0
		.amdhsa_float_round_mode_16_64 0
		.amdhsa_float_denorm_mode_32 3
		.amdhsa_float_denorm_mode_16_64 3
		.amdhsa_dx10_clamp 1
		.amdhsa_ieee_mode 1
		.amdhsa_fp16_overflow 0
		.amdhsa_tg_split 0
		.amdhsa_exception_fp_ieee_invalid_op 0
		.amdhsa_exception_fp_denorm_src 0
		.amdhsa_exception_fp_ieee_div_zero 0
		.amdhsa_exception_fp_ieee_overflow 0
		.amdhsa_exception_fp_ieee_underflow 0
		.amdhsa_exception_fp_ieee_inexact 0
		.amdhsa_exception_int_div_zero 0
	.end_amdhsa_kernel
	.section	.text._ZN7rocprim17ROCPRIM_400000_NS6detail17trampoline_kernelINS0_14default_configENS1_35radix_sort_onesweep_config_selectorIjNS0_10empty_typeEEEZNS1_34radix_sort_onesweep_global_offsetsIS3_Lb1EPjPS5_mNS0_19identity_decomposerEEE10hipError_tT1_T2_PT3_SE_jT4_jjP12ihipStream_tbEUlT_E_NS1_11comp_targetILNS1_3genE10ELNS1_11target_archE1201ELNS1_3gpuE5ELNS1_3repE0EEENS1_52radix_sort_onesweep_histogram_config_static_selectorELNS0_4arch9wavefront6targetE1EEEvSC_,"axG",@progbits,_ZN7rocprim17ROCPRIM_400000_NS6detail17trampoline_kernelINS0_14default_configENS1_35radix_sort_onesweep_config_selectorIjNS0_10empty_typeEEEZNS1_34radix_sort_onesweep_global_offsetsIS3_Lb1EPjPS5_mNS0_19identity_decomposerEEE10hipError_tT1_T2_PT3_SE_jT4_jjP12ihipStream_tbEUlT_E_NS1_11comp_targetILNS1_3genE10ELNS1_11target_archE1201ELNS1_3gpuE5ELNS1_3repE0EEENS1_52radix_sort_onesweep_histogram_config_static_selectorELNS0_4arch9wavefront6targetE1EEEvSC_,comdat
.Lfunc_end2093:
	.size	_ZN7rocprim17ROCPRIM_400000_NS6detail17trampoline_kernelINS0_14default_configENS1_35radix_sort_onesweep_config_selectorIjNS0_10empty_typeEEEZNS1_34radix_sort_onesweep_global_offsetsIS3_Lb1EPjPS5_mNS0_19identity_decomposerEEE10hipError_tT1_T2_PT3_SE_jT4_jjP12ihipStream_tbEUlT_E_NS1_11comp_targetILNS1_3genE10ELNS1_11target_archE1201ELNS1_3gpuE5ELNS1_3repE0EEENS1_52radix_sort_onesweep_histogram_config_static_selectorELNS0_4arch9wavefront6targetE1EEEvSC_, .Lfunc_end2093-_ZN7rocprim17ROCPRIM_400000_NS6detail17trampoline_kernelINS0_14default_configENS1_35radix_sort_onesweep_config_selectorIjNS0_10empty_typeEEEZNS1_34radix_sort_onesweep_global_offsetsIS3_Lb1EPjPS5_mNS0_19identity_decomposerEEE10hipError_tT1_T2_PT3_SE_jT4_jjP12ihipStream_tbEUlT_E_NS1_11comp_targetILNS1_3genE10ELNS1_11target_archE1201ELNS1_3gpuE5ELNS1_3repE0EEENS1_52radix_sort_onesweep_histogram_config_static_selectorELNS0_4arch9wavefront6targetE1EEEvSC_
                                        ; -- End function
	.section	.AMDGPU.csdata,"",@progbits
; Kernel info:
; codeLenInByte = 0
; NumSgprs: 4
; NumVgprs: 0
; NumAgprs: 0
; TotalNumVgprs: 0
; ScratchSize: 0
; MemoryBound: 0
; FloatMode: 240
; IeeeMode: 1
; LDSByteSize: 0 bytes/workgroup (compile time only)
; SGPRBlocks: 0
; VGPRBlocks: 0
; NumSGPRsForWavesPerEU: 4
; NumVGPRsForWavesPerEU: 1
; AccumOffset: 4
; Occupancy: 8
; WaveLimiterHint : 0
; COMPUTE_PGM_RSRC2:SCRATCH_EN: 0
; COMPUTE_PGM_RSRC2:USER_SGPR: 6
; COMPUTE_PGM_RSRC2:TRAP_HANDLER: 0
; COMPUTE_PGM_RSRC2:TGID_X_EN: 1
; COMPUTE_PGM_RSRC2:TGID_Y_EN: 0
; COMPUTE_PGM_RSRC2:TGID_Z_EN: 0
; COMPUTE_PGM_RSRC2:TIDIG_COMP_CNT: 0
; COMPUTE_PGM_RSRC3_GFX90A:ACCUM_OFFSET: 0
; COMPUTE_PGM_RSRC3_GFX90A:TG_SPLIT: 0
	.section	.text._ZN7rocprim17ROCPRIM_400000_NS6detail17trampoline_kernelINS0_14default_configENS1_35radix_sort_onesweep_config_selectorIjNS0_10empty_typeEEEZNS1_34radix_sort_onesweep_global_offsetsIS3_Lb1EPjPS5_mNS0_19identity_decomposerEEE10hipError_tT1_T2_PT3_SE_jT4_jjP12ihipStream_tbEUlT_E_NS1_11comp_targetILNS1_3genE9ELNS1_11target_archE1100ELNS1_3gpuE3ELNS1_3repE0EEENS1_52radix_sort_onesweep_histogram_config_static_selectorELNS0_4arch9wavefront6targetE1EEEvSC_,"axG",@progbits,_ZN7rocprim17ROCPRIM_400000_NS6detail17trampoline_kernelINS0_14default_configENS1_35radix_sort_onesweep_config_selectorIjNS0_10empty_typeEEEZNS1_34radix_sort_onesweep_global_offsetsIS3_Lb1EPjPS5_mNS0_19identity_decomposerEEE10hipError_tT1_T2_PT3_SE_jT4_jjP12ihipStream_tbEUlT_E_NS1_11comp_targetILNS1_3genE9ELNS1_11target_archE1100ELNS1_3gpuE3ELNS1_3repE0EEENS1_52radix_sort_onesweep_histogram_config_static_selectorELNS0_4arch9wavefront6targetE1EEEvSC_,comdat
	.protected	_ZN7rocprim17ROCPRIM_400000_NS6detail17trampoline_kernelINS0_14default_configENS1_35radix_sort_onesweep_config_selectorIjNS0_10empty_typeEEEZNS1_34radix_sort_onesweep_global_offsetsIS3_Lb1EPjPS5_mNS0_19identity_decomposerEEE10hipError_tT1_T2_PT3_SE_jT4_jjP12ihipStream_tbEUlT_E_NS1_11comp_targetILNS1_3genE9ELNS1_11target_archE1100ELNS1_3gpuE3ELNS1_3repE0EEENS1_52radix_sort_onesweep_histogram_config_static_selectorELNS0_4arch9wavefront6targetE1EEEvSC_ ; -- Begin function _ZN7rocprim17ROCPRIM_400000_NS6detail17trampoline_kernelINS0_14default_configENS1_35radix_sort_onesweep_config_selectorIjNS0_10empty_typeEEEZNS1_34radix_sort_onesweep_global_offsetsIS3_Lb1EPjPS5_mNS0_19identity_decomposerEEE10hipError_tT1_T2_PT3_SE_jT4_jjP12ihipStream_tbEUlT_E_NS1_11comp_targetILNS1_3genE9ELNS1_11target_archE1100ELNS1_3gpuE3ELNS1_3repE0EEENS1_52radix_sort_onesweep_histogram_config_static_selectorELNS0_4arch9wavefront6targetE1EEEvSC_
	.globl	_ZN7rocprim17ROCPRIM_400000_NS6detail17trampoline_kernelINS0_14default_configENS1_35radix_sort_onesweep_config_selectorIjNS0_10empty_typeEEEZNS1_34radix_sort_onesweep_global_offsetsIS3_Lb1EPjPS5_mNS0_19identity_decomposerEEE10hipError_tT1_T2_PT3_SE_jT4_jjP12ihipStream_tbEUlT_E_NS1_11comp_targetILNS1_3genE9ELNS1_11target_archE1100ELNS1_3gpuE3ELNS1_3repE0EEENS1_52radix_sort_onesweep_histogram_config_static_selectorELNS0_4arch9wavefront6targetE1EEEvSC_
	.p2align	8
	.type	_ZN7rocprim17ROCPRIM_400000_NS6detail17trampoline_kernelINS0_14default_configENS1_35radix_sort_onesweep_config_selectorIjNS0_10empty_typeEEEZNS1_34radix_sort_onesweep_global_offsetsIS3_Lb1EPjPS5_mNS0_19identity_decomposerEEE10hipError_tT1_T2_PT3_SE_jT4_jjP12ihipStream_tbEUlT_E_NS1_11comp_targetILNS1_3genE9ELNS1_11target_archE1100ELNS1_3gpuE3ELNS1_3repE0EEENS1_52radix_sort_onesweep_histogram_config_static_selectorELNS0_4arch9wavefront6targetE1EEEvSC_,@function
_ZN7rocprim17ROCPRIM_400000_NS6detail17trampoline_kernelINS0_14default_configENS1_35radix_sort_onesweep_config_selectorIjNS0_10empty_typeEEEZNS1_34radix_sort_onesweep_global_offsetsIS3_Lb1EPjPS5_mNS0_19identity_decomposerEEE10hipError_tT1_T2_PT3_SE_jT4_jjP12ihipStream_tbEUlT_E_NS1_11comp_targetILNS1_3genE9ELNS1_11target_archE1100ELNS1_3gpuE3ELNS1_3repE0EEENS1_52radix_sort_onesweep_histogram_config_static_selectorELNS0_4arch9wavefront6targetE1EEEvSC_: ; @_ZN7rocprim17ROCPRIM_400000_NS6detail17trampoline_kernelINS0_14default_configENS1_35radix_sort_onesweep_config_selectorIjNS0_10empty_typeEEEZNS1_34radix_sort_onesweep_global_offsetsIS3_Lb1EPjPS5_mNS0_19identity_decomposerEEE10hipError_tT1_T2_PT3_SE_jT4_jjP12ihipStream_tbEUlT_E_NS1_11comp_targetILNS1_3genE9ELNS1_11target_archE1100ELNS1_3gpuE3ELNS1_3repE0EEENS1_52radix_sort_onesweep_histogram_config_static_selectorELNS0_4arch9wavefront6targetE1EEEvSC_
; %bb.0:
	.section	.rodata,"a",@progbits
	.p2align	6, 0x0
	.amdhsa_kernel _ZN7rocprim17ROCPRIM_400000_NS6detail17trampoline_kernelINS0_14default_configENS1_35radix_sort_onesweep_config_selectorIjNS0_10empty_typeEEEZNS1_34radix_sort_onesweep_global_offsetsIS3_Lb1EPjPS5_mNS0_19identity_decomposerEEE10hipError_tT1_T2_PT3_SE_jT4_jjP12ihipStream_tbEUlT_E_NS1_11comp_targetILNS1_3genE9ELNS1_11target_archE1100ELNS1_3gpuE3ELNS1_3repE0EEENS1_52radix_sort_onesweep_histogram_config_static_selectorELNS0_4arch9wavefront6targetE1EEEvSC_
		.amdhsa_group_segment_fixed_size 0
		.amdhsa_private_segment_fixed_size 0
		.amdhsa_kernarg_size 48
		.amdhsa_user_sgpr_count 6
		.amdhsa_user_sgpr_private_segment_buffer 1
		.amdhsa_user_sgpr_dispatch_ptr 0
		.amdhsa_user_sgpr_queue_ptr 0
		.amdhsa_user_sgpr_kernarg_segment_ptr 1
		.amdhsa_user_sgpr_dispatch_id 0
		.amdhsa_user_sgpr_flat_scratch_init 0
		.amdhsa_user_sgpr_kernarg_preload_length 0
		.amdhsa_user_sgpr_kernarg_preload_offset 0
		.amdhsa_user_sgpr_private_segment_size 0
		.amdhsa_uses_dynamic_stack 0
		.amdhsa_system_sgpr_private_segment_wavefront_offset 0
		.amdhsa_system_sgpr_workgroup_id_x 1
		.amdhsa_system_sgpr_workgroup_id_y 0
		.amdhsa_system_sgpr_workgroup_id_z 0
		.amdhsa_system_sgpr_workgroup_info 0
		.amdhsa_system_vgpr_workitem_id 0
		.amdhsa_next_free_vgpr 1
		.amdhsa_next_free_sgpr 0
		.amdhsa_accum_offset 4
		.amdhsa_reserve_vcc 0
		.amdhsa_reserve_flat_scratch 0
		.amdhsa_float_round_mode_32 0
		.amdhsa_float_round_mode_16_64 0
		.amdhsa_float_denorm_mode_32 3
		.amdhsa_float_denorm_mode_16_64 3
		.amdhsa_dx10_clamp 1
		.amdhsa_ieee_mode 1
		.amdhsa_fp16_overflow 0
		.amdhsa_tg_split 0
		.amdhsa_exception_fp_ieee_invalid_op 0
		.amdhsa_exception_fp_denorm_src 0
		.amdhsa_exception_fp_ieee_div_zero 0
		.amdhsa_exception_fp_ieee_overflow 0
		.amdhsa_exception_fp_ieee_underflow 0
		.amdhsa_exception_fp_ieee_inexact 0
		.amdhsa_exception_int_div_zero 0
	.end_amdhsa_kernel
	.section	.text._ZN7rocprim17ROCPRIM_400000_NS6detail17trampoline_kernelINS0_14default_configENS1_35radix_sort_onesweep_config_selectorIjNS0_10empty_typeEEEZNS1_34radix_sort_onesweep_global_offsetsIS3_Lb1EPjPS5_mNS0_19identity_decomposerEEE10hipError_tT1_T2_PT3_SE_jT4_jjP12ihipStream_tbEUlT_E_NS1_11comp_targetILNS1_3genE9ELNS1_11target_archE1100ELNS1_3gpuE3ELNS1_3repE0EEENS1_52radix_sort_onesweep_histogram_config_static_selectorELNS0_4arch9wavefront6targetE1EEEvSC_,"axG",@progbits,_ZN7rocprim17ROCPRIM_400000_NS6detail17trampoline_kernelINS0_14default_configENS1_35radix_sort_onesweep_config_selectorIjNS0_10empty_typeEEEZNS1_34radix_sort_onesweep_global_offsetsIS3_Lb1EPjPS5_mNS0_19identity_decomposerEEE10hipError_tT1_T2_PT3_SE_jT4_jjP12ihipStream_tbEUlT_E_NS1_11comp_targetILNS1_3genE9ELNS1_11target_archE1100ELNS1_3gpuE3ELNS1_3repE0EEENS1_52radix_sort_onesweep_histogram_config_static_selectorELNS0_4arch9wavefront6targetE1EEEvSC_,comdat
.Lfunc_end2094:
	.size	_ZN7rocprim17ROCPRIM_400000_NS6detail17trampoline_kernelINS0_14default_configENS1_35radix_sort_onesweep_config_selectorIjNS0_10empty_typeEEEZNS1_34radix_sort_onesweep_global_offsetsIS3_Lb1EPjPS5_mNS0_19identity_decomposerEEE10hipError_tT1_T2_PT3_SE_jT4_jjP12ihipStream_tbEUlT_E_NS1_11comp_targetILNS1_3genE9ELNS1_11target_archE1100ELNS1_3gpuE3ELNS1_3repE0EEENS1_52radix_sort_onesweep_histogram_config_static_selectorELNS0_4arch9wavefront6targetE1EEEvSC_, .Lfunc_end2094-_ZN7rocprim17ROCPRIM_400000_NS6detail17trampoline_kernelINS0_14default_configENS1_35radix_sort_onesweep_config_selectorIjNS0_10empty_typeEEEZNS1_34radix_sort_onesweep_global_offsetsIS3_Lb1EPjPS5_mNS0_19identity_decomposerEEE10hipError_tT1_T2_PT3_SE_jT4_jjP12ihipStream_tbEUlT_E_NS1_11comp_targetILNS1_3genE9ELNS1_11target_archE1100ELNS1_3gpuE3ELNS1_3repE0EEENS1_52radix_sort_onesweep_histogram_config_static_selectorELNS0_4arch9wavefront6targetE1EEEvSC_
                                        ; -- End function
	.section	.AMDGPU.csdata,"",@progbits
; Kernel info:
; codeLenInByte = 0
; NumSgprs: 4
; NumVgprs: 0
; NumAgprs: 0
; TotalNumVgprs: 0
; ScratchSize: 0
; MemoryBound: 0
; FloatMode: 240
; IeeeMode: 1
; LDSByteSize: 0 bytes/workgroup (compile time only)
; SGPRBlocks: 0
; VGPRBlocks: 0
; NumSGPRsForWavesPerEU: 4
; NumVGPRsForWavesPerEU: 1
; AccumOffset: 4
; Occupancy: 8
; WaveLimiterHint : 0
; COMPUTE_PGM_RSRC2:SCRATCH_EN: 0
; COMPUTE_PGM_RSRC2:USER_SGPR: 6
; COMPUTE_PGM_RSRC2:TRAP_HANDLER: 0
; COMPUTE_PGM_RSRC2:TGID_X_EN: 1
; COMPUTE_PGM_RSRC2:TGID_Y_EN: 0
; COMPUTE_PGM_RSRC2:TGID_Z_EN: 0
; COMPUTE_PGM_RSRC2:TIDIG_COMP_CNT: 0
; COMPUTE_PGM_RSRC3_GFX90A:ACCUM_OFFSET: 0
; COMPUTE_PGM_RSRC3_GFX90A:TG_SPLIT: 0
	.section	.text._ZN7rocprim17ROCPRIM_400000_NS6detail17trampoline_kernelINS0_14default_configENS1_35radix_sort_onesweep_config_selectorIjNS0_10empty_typeEEEZNS1_34radix_sort_onesweep_global_offsetsIS3_Lb1EPjPS5_mNS0_19identity_decomposerEEE10hipError_tT1_T2_PT3_SE_jT4_jjP12ihipStream_tbEUlT_E_NS1_11comp_targetILNS1_3genE8ELNS1_11target_archE1030ELNS1_3gpuE2ELNS1_3repE0EEENS1_52radix_sort_onesweep_histogram_config_static_selectorELNS0_4arch9wavefront6targetE1EEEvSC_,"axG",@progbits,_ZN7rocprim17ROCPRIM_400000_NS6detail17trampoline_kernelINS0_14default_configENS1_35radix_sort_onesweep_config_selectorIjNS0_10empty_typeEEEZNS1_34radix_sort_onesweep_global_offsetsIS3_Lb1EPjPS5_mNS0_19identity_decomposerEEE10hipError_tT1_T2_PT3_SE_jT4_jjP12ihipStream_tbEUlT_E_NS1_11comp_targetILNS1_3genE8ELNS1_11target_archE1030ELNS1_3gpuE2ELNS1_3repE0EEENS1_52radix_sort_onesweep_histogram_config_static_selectorELNS0_4arch9wavefront6targetE1EEEvSC_,comdat
	.protected	_ZN7rocprim17ROCPRIM_400000_NS6detail17trampoline_kernelINS0_14default_configENS1_35radix_sort_onesweep_config_selectorIjNS0_10empty_typeEEEZNS1_34radix_sort_onesweep_global_offsetsIS3_Lb1EPjPS5_mNS0_19identity_decomposerEEE10hipError_tT1_T2_PT3_SE_jT4_jjP12ihipStream_tbEUlT_E_NS1_11comp_targetILNS1_3genE8ELNS1_11target_archE1030ELNS1_3gpuE2ELNS1_3repE0EEENS1_52radix_sort_onesweep_histogram_config_static_selectorELNS0_4arch9wavefront6targetE1EEEvSC_ ; -- Begin function _ZN7rocprim17ROCPRIM_400000_NS6detail17trampoline_kernelINS0_14default_configENS1_35radix_sort_onesweep_config_selectorIjNS0_10empty_typeEEEZNS1_34radix_sort_onesweep_global_offsetsIS3_Lb1EPjPS5_mNS0_19identity_decomposerEEE10hipError_tT1_T2_PT3_SE_jT4_jjP12ihipStream_tbEUlT_E_NS1_11comp_targetILNS1_3genE8ELNS1_11target_archE1030ELNS1_3gpuE2ELNS1_3repE0EEENS1_52radix_sort_onesweep_histogram_config_static_selectorELNS0_4arch9wavefront6targetE1EEEvSC_
	.globl	_ZN7rocprim17ROCPRIM_400000_NS6detail17trampoline_kernelINS0_14default_configENS1_35radix_sort_onesweep_config_selectorIjNS0_10empty_typeEEEZNS1_34radix_sort_onesweep_global_offsetsIS3_Lb1EPjPS5_mNS0_19identity_decomposerEEE10hipError_tT1_T2_PT3_SE_jT4_jjP12ihipStream_tbEUlT_E_NS1_11comp_targetILNS1_3genE8ELNS1_11target_archE1030ELNS1_3gpuE2ELNS1_3repE0EEENS1_52radix_sort_onesweep_histogram_config_static_selectorELNS0_4arch9wavefront6targetE1EEEvSC_
	.p2align	8
	.type	_ZN7rocprim17ROCPRIM_400000_NS6detail17trampoline_kernelINS0_14default_configENS1_35radix_sort_onesweep_config_selectorIjNS0_10empty_typeEEEZNS1_34radix_sort_onesweep_global_offsetsIS3_Lb1EPjPS5_mNS0_19identity_decomposerEEE10hipError_tT1_T2_PT3_SE_jT4_jjP12ihipStream_tbEUlT_E_NS1_11comp_targetILNS1_3genE8ELNS1_11target_archE1030ELNS1_3gpuE2ELNS1_3repE0EEENS1_52radix_sort_onesweep_histogram_config_static_selectorELNS0_4arch9wavefront6targetE1EEEvSC_,@function
_ZN7rocprim17ROCPRIM_400000_NS6detail17trampoline_kernelINS0_14default_configENS1_35radix_sort_onesweep_config_selectorIjNS0_10empty_typeEEEZNS1_34radix_sort_onesweep_global_offsetsIS3_Lb1EPjPS5_mNS0_19identity_decomposerEEE10hipError_tT1_T2_PT3_SE_jT4_jjP12ihipStream_tbEUlT_E_NS1_11comp_targetILNS1_3genE8ELNS1_11target_archE1030ELNS1_3gpuE2ELNS1_3repE0EEENS1_52radix_sort_onesweep_histogram_config_static_selectorELNS0_4arch9wavefront6targetE1EEEvSC_: ; @_ZN7rocprim17ROCPRIM_400000_NS6detail17trampoline_kernelINS0_14default_configENS1_35radix_sort_onesweep_config_selectorIjNS0_10empty_typeEEEZNS1_34radix_sort_onesweep_global_offsetsIS3_Lb1EPjPS5_mNS0_19identity_decomposerEEE10hipError_tT1_T2_PT3_SE_jT4_jjP12ihipStream_tbEUlT_E_NS1_11comp_targetILNS1_3genE8ELNS1_11target_archE1030ELNS1_3gpuE2ELNS1_3repE0EEENS1_52radix_sort_onesweep_histogram_config_static_selectorELNS0_4arch9wavefront6targetE1EEEvSC_
; %bb.0:
	.section	.rodata,"a",@progbits
	.p2align	6, 0x0
	.amdhsa_kernel _ZN7rocprim17ROCPRIM_400000_NS6detail17trampoline_kernelINS0_14default_configENS1_35radix_sort_onesweep_config_selectorIjNS0_10empty_typeEEEZNS1_34radix_sort_onesweep_global_offsetsIS3_Lb1EPjPS5_mNS0_19identity_decomposerEEE10hipError_tT1_T2_PT3_SE_jT4_jjP12ihipStream_tbEUlT_E_NS1_11comp_targetILNS1_3genE8ELNS1_11target_archE1030ELNS1_3gpuE2ELNS1_3repE0EEENS1_52radix_sort_onesweep_histogram_config_static_selectorELNS0_4arch9wavefront6targetE1EEEvSC_
		.amdhsa_group_segment_fixed_size 0
		.amdhsa_private_segment_fixed_size 0
		.amdhsa_kernarg_size 48
		.amdhsa_user_sgpr_count 6
		.amdhsa_user_sgpr_private_segment_buffer 1
		.amdhsa_user_sgpr_dispatch_ptr 0
		.amdhsa_user_sgpr_queue_ptr 0
		.amdhsa_user_sgpr_kernarg_segment_ptr 1
		.amdhsa_user_sgpr_dispatch_id 0
		.amdhsa_user_sgpr_flat_scratch_init 0
		.amdhsa_user_sgpr_kernarg_preload_length 0
		.amdhsa_user_sgpr_kernarg_preload_offset 0
		.amdhsa_user_sgpr_private_segment_size 0
		.amdhsa_uses_dynamic_stack 0
		.amdhsa_system_sgpr_private_segment_wavefront_offset 0
		.amdhsa_system_sgpr_workgroup_id_x 1
		.amdhsa_system_sgpr_workgroup_id_y 0
		.amdhsa_system_sgpr_workgroup_id_z 0
		.amdhsa_system_sgpr_workgroup_info 0
		.amdhsa_system_vgpr_workitem_id 0
		.amdhsa_next_free_vgpr 1
		.amdhsa_next_free_sgpr 0
		.amdhsa_accum_offset 4
		.amdhsa_reserve_vcc 0
		.amdhsa_reserve_flat_scratch 0
		.amdhsa_float_round_mode_32 0
		.amdhsa_float_round_mode_16_64 0
		.amdhsa_float_denorm_mode_32 3
		.amdhsa_float_denorm_mode_16_64 3
		.amdhsa_dx10_clamp 1
		.amdhsa_ieee_mode 1
		.amdhsa_fp16_overflow 0
		.amdhsa_tg_split 0
		.amdhsa_exception_fp_ieee_invalid_op 0
		.amdhsa_exception_fp_denorm_src 0
		.amdhsa_exception_fp_ieee_div_zero 0
		.amdhsa_exception_fp_ieee_overflow 0
		.amdhsa_exception_fp_ieee_underflow 0
		.amdhsa_exception_fp_ieee_inexact 0
		.amdhsa_exception_int_div_zero 0
	.end_amdhsa_kernel
	.section	.text._ZN7rocprim17ROCPRIM_400000_NS6detail17trampoline_kernelINS0_14default_configENS1_35radix_sort_onesweep_config_selectorIjNS0_10empty_typeEEEZNS1_34radix_sort_onesweep_global_offsetsIS3_Lb1EPjPS5_mNS0_19identity_decomposerEEE10hipError_tT1_T2_PT3_SE_jT4_jjP12ihipStream_tbEUlT_E_NS1_11comp_targetILNS1_3genE8ELNS1_11target_archE1030ELNS1_3gpuE2ELNS1_3repE0EEENS1_52radix_sort_onesweep_histogram_config_static_selectorELNS0_4arch9wavefront6targetE1EEEvSC_,"axG",@progbits,_ZN7rocprim17ROCPRIM_400000_NS6detail17trampoline_kernelINS0_14default_configENS1_35radix_sort_onesweep_config_selectorIjNS0_10empty_typeEEEZNS1_34radix_sort_onesweep_global_offsetsIS3_Lb1EPjPS5_mNS0_19identity_decomposerEEE10hipError_tT1_T2_PT3_SE_jT4_jjP12ihipStream_tbEUlT_E_NS1_11comp_targetILNS1_3genE8ELNS1_11target_archE1030ELNS1_3gpuE2ELNS1_3repE0EEENS1_52radix_sort_onesweep_histogram_config_static_selectorELNS0_4arch9wavefront6targetE1EEEvSC_,comdat
.Lfunc_end2095:
	.size	_ZN7rocprim17ROCPRIM_400000_NS6detail17trampoline_kernelINS0_14default_configENS1_35radix_sort_onesweep_config_selectorIjNS0_10empty_typeEEEZNS1_34radix_sort_onesweep_global_offsetsIS3_Lb1EPjPS5_mNS0_19identity_decomposerEEE10hipError_tT1_T2_PT3_SE_jT4_jjP12ihipStream_tbEUlT_E_NS1_11comp_targetILNS1_3genE8ELNS1_11target_archE1030ELNS1_3gpuE2ELNS1_3repE0EEENS1_52radix_sort_onesweep_histogram_config_static_selectorELNS0_4arch9wavefront6targetE1EEEvSC_, .Lfunc_end2095-_ZN7rocprim17ROCPRIM_400000_NS6detail17trampoline_kernelINS0_14default_configENS1_35radix_sort_onesweep_config_selectorIjNS0_10empty_typeEEEZNS1_34radix_sort_onesweep_global_offsetsIS3_Lb1EPjPS5_mNS0_19identity_decomposerEEE10hipError_tT1_T2_PT3_SE_jT4_jjP12ihipStream_tbEUlT_E_NS1_11comp_targetILNS1_3genE8ELNS1_11target_archE1030ELNS1_3gpuE2ELNS1_3repE0EEENS1_52radix_sort_onesweep_histogram_config_static_selectorELNS0_4arch9wavefront6targetE1EEEvSC_
                                        ; -- End function
	.section	.AMDGPU.csdata,"",@progbits
; Kernel info:
; codeLenInByte = 0
; NumSgprs: 4
; NumVgprs: 0
; NumAgprs: 0
; TotalNumVgprs: 0
; ScratchSize: 0
; MemoryBound: 0
; FloatMode: 240
; IeeeMode: 1
; LDSByteSize: 0 bytes/workgroup (compile time only)
; SGPRBlocks: 0
; VGPRBlocks: 0
; NumSGPRsForWavesPerEU: 4
; NumVGPRsForWavesPerEU: 1
; AccumOffset: 4
; Occupancy: 8
; WaveLimiterHint : 0
; COMPUTE_PGM_RSRC2:SCRATCH_EN: 0
; COMPUTE_PGM_RSRC2:USER_SGPR: 6
; COMPUTE_PGM_RSRC2:TRAP_HANDLER: 0
; COMPUTE_PGM_RSRC2:TGID_X_EN: 1
; COMPUTE_PGM_RSRC2:TGID_Y_EN: 0
; COMPUTE_PGM_RSRC2:TGID_Z_EN: 0
; COMPUTE_PGM_RSRC2:TIDIG_COMP_CNT: 0
; COMPUTE_PGM_RSRC3_GFX90A:ACCUM_OFFSET: 0
; COMPUTE_PGM_RSRC3_GFX90A:TG_SPLIT: 0
	.section	.text._ZN7rocprim17ROCPRIM_400000_NS6detail17trampoline_kernelINS0_14default_configENS1_35radix_sort_onesweep_config_selectorIjNS0_10empty_typeEEEZNS1_34radix_sort_onesweep_global_offsetsIS3_Lb1EPjPS5_mNS0_19identity_decomposerEEE10hipError_tT1_T2_PT3_SE_jT4_jjP12ihipStream_tbEUlT_E0_NS1_11comp_targetILNS1_3genE0ELNS1_11target_archE4294967295ELNS1_3gpuE0ELNS1_3repE0EEENS1_52radix_sort_onesweep_histogram_config_static_selectorELNS0_4arch9wavefront6targetE1EEEvSC_,"axG",@progbits,_ZN7rocprim17ROCPRIM_400000_NS6detail17trampoline_kernelINS0_14default_configENS1_35radix_sort_onesweep_config_selectorIjNS0_10empty_typeEEEZNS1_34radix_sort_onesweep_global_offsetsIS3_Lb1EPjPS5_mNS0_19identity_decomposerEEE10hipError_tT1_T2_PT3_SE_jT4_jjP12ihipStream_tbEUlT_E0_NS1_11comp_targetILNS1_3genE0ELNS1_11target_archE4294967295ELNS1_3gpuE0ELNS1_3repE0EEENS1_52radix_sort_onesweep_histogram_config_static_selectorELNS0_4arch9wavefront6targetE1EEEvSC_,comdat
	.protected	_ZN7rocprim17ROCPRIM_400000_NS6detail17trampoline_kernelINS0_14default_configENS1_35radix_sort_onesweep_config_selectorIjNS0_10empty_typeEEEZNS1_34radix_sort_onesweep_global_offsetsIS3_Lb1EPjPS5_mNS0_19identity_decomposerEEE10hipError_tT1_T2_PT3_SE_jT4_jjP12ihipStream_tbEUlT_E0_NS1_11comp_targetILNS1_3genE0ELNS1_11target_archE4294967295ELNS1_3gpuE0ELNS1_3repE0EEENS1_52radix_sort_onesweep_histogram_config_static_selectorELNS0_4arch9wavefront6targetE1EEEvSC_ ; -- Begin function _ZN7rocprim17ROCPRIM_400000_NS6detail17trampoline_kernelINS0_14default_configENS1_35radix_sort_onesweep_config_selectorIjNS0_10empty_typeEEEZNS1_34radix_sort_onesweep_global_offsetsIS3_Lb1EPjPS5_mNS0_19identity_decomposerEEE10hipError_tT1_T2_PT3_SE_jT4_jjP12ihipStream_tbEUlT_E0_NS1_11comp_targetILNS1_3genE0ELNS1_11target_archE4294967295ELNS1_3gpuE0ELNS1_3repE0EEENS1_52radix_sort_onesweep_histogram_config_static_selectorELNS0_4arch9wavefront6targetE1EEEvSC_
	.globl	_ZN7rocprim17ROCPRIM_400000_NS6detail17trampoline_kernelINS0_14default_configENS1_35radix_sort_onesweep_config_selectorIjNS0_10empty_typeEEEZNS1_34radix_sort_onesweep_global_offsetsIS3_Lb1EPjPS5_mNS0_19identity_decomposerEEE10hipError_tT1_T2_PT3_SE_jT4_jjP12ihipStream_tbEUlT_E0_NS1_11comp_targetILNS1_3genE0ELNS1_11target_archE4294967295ELNS1_3gpuE0ELNS1_3repE0EEENS1_52radix_sort_onesweep_histogram_config_static_selectorELNS0_4arch9wavefront6targetE1EEEvSC_
	.p2align	8
	.type	_ZN7rocprim17ROCPRIM_400000_NS6detail17trampoline_kernelINS0_14default_configENS1_35radix_sort_onesweep_config_selectorIjNS0_10empty_typeEEEZNS1_34radix_sort_onesweep_global_offsetsIS3_Lb1EPjPS5_mNS0_19identity_decomposerEEE10hipError_tT1_T2_PT3_SE_jT4_jjP12ihipStream_tbEUlT_E0_NS1_11comp_targetILNS1_3genE0ELNS1_11target_archE4294967295ELNS1_3gpuE0ELNS1_3repE0EEENS1_52radix_sort_onesweep_histogram_config_static_selectorELNS0_4arch9wavefront6targetE1EEEvSC_,@function
_ZN7rocprim17ROCPRIM_400000_NS6detail17trampoline_kernelINS0_14default_configENS1_35radix_sort_onesweep_config_selectorIjNS0_10empty_typeEEEZNS1_34radix_sort_onesweep_global_offsetsIS3_Lb1EPjPS5_mNS0_19identity_decomposerEEE10hipError_tT1_T2_PT3_SE_jT4_jjP12ihipStream_tbEUlT_E0_NS1_11comp_targetILNS1_3genE0ELNS1_11target_archE4294967295ELNS1_3gpuE0ELNS1_3repE0EEENS1_52radix_sort_onesweep_histogram_config_static_selectorELNS0_4arch9wavefront6targetE1EEEvSC_: ; @_ZN7rocprim17ROCPRIM_400000_NS6detail17trampoline_kernelINS0_14default_configENS1_35radix_sort_onesweep_config_selectorIjNS0_10empty_typeEEEZNS1_34radix_sort_onesweep_global_offsetsIS3_Lb1EPjPS5_mNS0_19identity_decomposerEEE10hipError_tT1_T2_PT3_SE_jT4_jjP12ihipStream_tbEUlT_E0_NS1_11comp_targetILNS1_3genE0ELNS1_11target_archE4294967295ELNS1_3gpuE0ELNS1_3repE0EEENS1_52radix_sort_onesweep_histogram_config_static_selectorELNS0_4arch9wavefront6targetE1EEEvSC_
; %bb.0:
	.section	.rodata,"a",@progbits
	.p2align	6, 0x0
	.amdhsa_kernel _ZN7rocprim17ROCPRIM_400000_NS6detail17trampoline_kernelINS0_14default_configENS1_35radix_sort_onesweep_config_selectorIjNS0_10empty_typeEEEZNS1_34radix_sort_onesweep_global_offsetsIS3_Lb1EPjPS5_mNS0_19identity_decomposerEEE10hipError_tT1_T2_PT3_SE_jT4_jjP12ihipStream_tbEUlT_E0_NS1_11comp_targetILNS1_3genE0ELNS1_11target_archE4294967295ELNS1_3gpuE0ELNS1_3repE0EEENS1_52radix_sort_onesweep_histogram_config_static_selectorELNS0_4arch9wavefront6targetE1EEEvSC_
		.amdhsa_group_segment_fixed_size 0
		.amdhsa_private_segment_fixed_size 0
		.amdhsa_kernarg_size 8
		.amdhsa_user_sgpr_count 6
		.amdhsa_user_sgpr_private_segment_buffer 1
		.amdhsa_user_sgpr_dispatch_ptr 0
		.amdhsa_user_sgpr_queue_ptr 0
		.amdhsa_user_sgpr_kernarg_segment_ptr 1
		.amdhsa_user_sgpr_dispatch_id 0
		.amdhsa_user_sgpr_flat_scratch_init 0
		.amdhsa_user_sgpr_kernarg_preload_length 0
		.amdhsa_user_sgpr_kernarg_preload_offset 0
		.amdhsa_user_sgpr_private_segment_size 0
		.amdhsa_uses_dynamic_stack 0
		.amdhsa_system_sgpr_private_segment_wavefront_offset 0
		.amdhsa_system_sgpr_workgroup_id_x 1
		.amdhsa_system_sgpr_workgroup_id_y 0
		.amdhsa_system_sgpr_workgroup_id_z 0
		.amdhsa_system_sgpr_workgroup_info 0
		.amdhsa_system_vgpr_workitem_id 0
		.amdhsa_next_free_vgpr 1
		.amdhsa_next_free_sgpr 0
		.amdhsa_accum_offset 4
		.amdhsa_reserve_vcc 0
		.amdhsa_reserve_flat_scratch 0
		.amdhsa_float_round_mode_32 0
		.amdhsa_float_round_mode_16_64 0
		.amdhsa_float_denorm_mode_32 3
		.amdhsa_float_denorm_mode_16_64 3
		.amdhsa_dx10_clamp 1
		.amdhsa_ieee_mode 1
		.amdhsa_fp16_overflow 0
		.amdhsa_tg_split 0
		.amdhsa_exception_fp_ieee_invalid_op 0
		.amdhsa_exception_fp_denorm_src 0
		.amdhsa_exception_fp_ieee_div_zero 0
		.amdhsa_exception_fp_ieee_overflow 0
		.amdhsa_exception_fp_ieee_underflow 0
		.amdhsa_exception_fp_ieee_inexact 0
		.amdhsa_exception_int_div_zero 0
	.end_amdhsa_kernel
	.section	.text._ZN7rocprim17ROCPRIM_400000_NS6detail17trampoline_kernelINS0_14default_configENS1_35radix_sort_onesweep_config_selectorIjNS0_10empty_typeEEEZNS1_34radix_sort_onesweep_global_offsetsIS3_Lb1EPjPS5_mNS0_19identity_decomposerEEE10hipError_tT1_T2_PT3_SE_jT4_jjP12ihipStream_tbEUlT_E0_NS1_11comp_targetILNS1_3genE0ELNS1_11target_archE4294967295ELNS1_3gpuE0ELNS1_3repE0EEENS1_52radix_sort_onesweep_histogram_config_static_selectorELNS0_4arch9wavefront6targetE1EEEvSC_,"axG",@progbits,_ZN7rocprim17ROCPRIM_400000_NS6detail17trampoline_kernelINS0_14default_configENS1_35radix_sort_onesweep_config_selectorIjNS0_10empty_typeEEEZNS1_34radix_sort_onesweep_global_offsetsIS3_Lb1EPjPS5_mNS0_19identity_decomposerEEE10hipError_tT1_T2_PT3_SE_jT4_jjP12ihipStream_tbEUlT_E0_NS1_11comp_targetILNS1_3genE0ELNS1_11target_archE4294967295ELNS1_3gpuE0ELNS1_3repE0EEENS1_52radix_sort_onesweep_histogram_config_static_selectorELNS0_4arch9wavefront6targetE1EEEvSC_,comdat
.Lfunc_end2096:
	.size	_ZN7rocprim17ROCPRIM_400000_NS6detail17trampoline_kernelINS0_14default_configENS1_35radix_sort_onesweep_config_selectorIjNS0_10empty_typeEEEZNS1_34radix_sort_onesweep_global_offsetsIS3_Lb1EPjPS5_mNS0_19identity_decomposerEEE10hipError_tT1_T2_PT3_SE_jT4_jjP12ihipStream_tbEUlT_E0_NS1_11comp_targetILNS1_3genE0ELNS1_11target_archE4294967295ELNS1_3gpuE0ELNS1_3repE0EEENS1_52radix_sort_onesweep_histogram_config_static_selectorELNS0_4arch9wavefront6targetE1EEEvSC_, .Lfunc_end2096-_ZN7rocprim17ROCPRIM_400000_NS6detail17trampoline_kernelINS0_14default_configENS1_35radix_sort_onesweep_config_selectorIjNS0_10empty_typeEEEZNS1_34radix_sort_onesweep_global_offsetsIS3_Lb1EPjPS5_mNS0_19identity_decomposerEEE10hipError_tT1_T2_PT3_SE_jT4_jjP12ihipStream_tbEUlT_E0_NS1_11comp_targetILNS1_3genE0ELNS1_11target_archE4294967295ELNS1_3gpuE0ELNS1_3repE0EEENS1_52radix_sort_onesweep_histogram_config_static_selectorELNS0_4arch9wavefront6targetE1EEEvSC_
                                        ; -- End function
	.section	.AMDGPU.csdata,"",@progbits
; Kernel info:
; codeLenInByte = 0
; NumSgprs: 4
; NumVgprs: 0
; NumAgprs: 0
; TotalNumVgprs: 0
; ScratchSize: 0
; MemoryBound: 0
; FloatMode: 240
; IeeeMode: 1
; LDSByteSize: 0 bytes/workgroup (compile time only)
; SGPRBlocks: 0
; VGPRBlocks: 0
; NumSGPRsForWavesPerEU: 4
; NumVGPRsForWavesPerEU: 1
; AccumOffset: 4
; Occupancy: 8
; WaveLimiterHint : 0
; COMPUTE_PGM_RSRC2:SCRATCH_EN: 0
; COMPUTE_PGM_RSRC2:USER_SGPR: 6
; COMPUTE_PGM_RSRC2:TRAP_HANDLER: 0
; COMPUTE_PGM_RSRC2:TGID_X_EN: 1
; COMPUTE_PGM_RSRC2:TGID_Y_EN: 0
; COMPUTE_PGM_RSRC2:TGID_Z_EN: 0
; COMPUTE_PGM_RSRC2:TIDIG_COMP_CNT: 0
; COMPUTE_PGM_RSRC3_GFX90A:ACCUM_OFFSET: 0
; COMPUTE_PGM_RSRC3_GFX90A:TG_SPLIT: 0
	.section	.text._ZN7rocprim17ROCPRIM_400000_NS6detail17trampoline_kernelINS0_14default_configENS1_35radix_sort_onesweep_config_selectorIjNS0_10empty_typeEEEZNS1_34radix_sort_onesweep_global_offsetsIS3_Lb1EPjPS5_mNS0_19identity_decomposerEEE10hipError_tT1_T2_PT3_SE_jT4_jjP12ihipStream_tbEUlT_E0_NS1_11comp_targetILNS1_3genE6ELNS1_11target_archE950ELNS1_3gpuE13ELNS1_3repE0EEENS1_52radix_sort_onesweep_histogram_config_static_selectorELNS0_4arch9wavefront6targetE1EEEvSC_,"axG",@progbits,_ZN7rocprim17ROCPRIM_400000_NS6detail17trampoline_kernelINS0_14default_configENS1_35radix_sort_onesweep_config_selectorIjNS0_10empty_typeEEEZNS1_34radix_sort_onesweep_global_offsetsIS3_Lb1EPjPS5_mNS0_19identity_decomposerEEE10hipError_tT1_T2_PT3_SE_jT4_jjP12ihipStream_tbEUlT_E0_NS1_11comp_targetILNS1_3genE6ELNS1_11target_archE950ELNS1_3gpuE13ELNS1_3repE0EEENS1_52radix_sort_onesweep_histogram_config_static_selectorELNS0_4arch9wavefront6targetE1EEEvSC_,comdat
	.protected	_ZN7rocprim17ROCPRIM_400000_NS6detail17trampoline_kernelINS0_14default_configENS1_35radix_sort_onesweep_config_selectorIjNS0_10empty_typeEEEZNS1_34radix_sort_onesweep_global_offsetsIS3_Lb1EPjPS5_mNS0_19identity_decomposerEEE10hipError_tT1_T2_PT3_SE_jT4_jjP12ihipStream_tbEUlT_E0_NS1_11comp_targetILNS1_3genE6ELNS1_11target_archE950ELNS1_3gpuE13ELNS1_3repE0EEENS1_52radix_sort_onesweep_histogram_config_static_selectorELNS0_4arch9wavefront6targetE1EEEvSC_ ; -- Begin function _ZN7rocprim17ROCPRIM_400000_NS6detail17trampoline_kernelINS0_14default_configENS1_35radix_sort_onesweep_config_selectorIjNS0_10empty_typeEEEZNS1_34radix_sort_onesweep_global_offsetsIS3_Lb1EPjPS5_mNS0_19identity_decomposerEEE10hipError_tT1_T2_PT3_SE_jT4_jjP12ihipStream_tbEUlT_E0_NS1_11comp_targetILNS1_3genE6ELNS1_11target_archE950ELNS1_3gpuE13ELNS1_3repE0EEENS1_52radix_sort_onesweep_histogram_config_static_selectorELNS0_4arch9wavefront6targetE1EEEvSC_
	.globl	_ZN7rocprim17ROCPRIM_400000_NS6detail17trampoline_kernelINS0_14default_configENS1_35radix_sort_onesweep_config_selectorIjNS0_10empty_typeEEEZNS1_34radix_sort_onesweep_global_offsetsIS3_Lb1EPjPS5_mNS0_19identity_decomposerEEE10hipError_tT1_T2_PT3_SE_jT4_jjP12ihipStream_tbEUlT_E0_NS1_11comp_targetILNS1_3genE6ELNS1_11target_archE950ELNS1_3gpuE13ELNS1_3repE0EEENS1_52radix_sort_onesweep_histogram_config_static_selectorELNS0_4arch9wavefront6targetE1EEEvSC_
	.p2align	8
	.type	_ZN7rocprim17ROCPRIM_400000_NS6detail17trampoline_kernelINS0_14default_configENS1_35radix_sort_onesweep_config_selectorIjNS0_10empty_typeEEEZNS1_34radix_sort_onesweep_global_offsetsIS3_Lb1EPjPS5_mNS0_19identity_decomposerEEE10hipError_tT1_T2_PT3_SE_jT4_jjP12ihipStream_tbEUlT_E0_NS1_11comp_targetILNS1_3genE6ELNS1_11target_archE950ELNS1_3gpuE13ELNS1_3repE0EEENS1_52radix_sort_onesweep_histogram_config_static_selectorELNS0_4arch9wavefront6targetE1EEEvSC_,@function
_ZN7rocprim17ROCPRIM_400000_NS6detail17trampoline_kernelINS0_14default_configENS1_35radix_sort_onesweep_config_selectorIjNS0_10empty_typeEEEZNS1_34radix_sort_onesweep_global_offsetsIS3_Lb1EPjPS5_mNS0_19identity_decomposerEEE10hipError_tT1_T2_PT3_SE_jT4_jjP12ihipStream_tbEUlT_E0_NS1_11comp_targetILNS1_3genE6ELNS1_11target_archE950ELNS1_3gpuE13ELNS1_3repE0EEENS1_52radix_sort_onesweep_histogram_config_static_selectorELNS0_4arch9wavefront6targetE1EEEvSC_: ; @_ZN7rocprim17ROCPRIM_400000_NS6detail17trampoline_kernelINS0_14default_configENS1_35radix_sort_onesweep_config_selectorIjNS0_10empty_typeEEEZNS1_34radix_sort_onesweep_global_offsetsIS3_Lb1EPjPS5_mNS0_19identity_decomposerEEE10hipError_tT1_T2_PT3_SE_jT4_jjP12ihipStream_tbEUlT_E0_NS1_11comp_targetILNS1_3genE6ELNS1_11target_archE950ELNS1_3gpuE13ELNS1_3repE0EEENS1_52radix_sort_onesweep_histogram_config_static_selectorELNS0_4arch9wavefront6targetE1EEEvSC_
; %bb.0:
	.section	.rodata,"a",@progbits
	.p2align	6, 0x0
	.amdhsa_kernel _ZN7rocprim17ROCPRIM_400000_NS6detail17trampoline_kernelINS0_14default_configENS1_35radix_sort_onesweep_config_selectorIjNS0_10empty_typeEEEZNS1_34radix_sort_onesweep_global_offsetsIS3_Lb1EPjPS5_mNS0_19identity_decomposerEEE10hipError_tT1_T2_PT3_SE_jT4_jjP12ihipStream_tbEUlT_E0_NS1_11comp_targetILNS1_3genE6ELNS1_11target_archE950ELNS1_3gpuE13ELNS1_3repE0EEENS1_52radix_sort_onesweep_histogram_config_static_selectorELNS0_4arch9wavefront6targetE1EEEvSC_
		.amdhsa_group_segment_fixed_size 0
		.amdhsa_private_segment_fixed_size 0
		.amdhsa_kernarg_size 8
		.amdhsa_user_sgpr_count 6
		.amdhsa_user_sgpr_private_segment_buffer 1
		.amdhsa_user_sgpr_dispatch_ptr 0
		.amdhsa_user_sgpr_queue_ptr 0
		.amdhsa_user_sgpr_kernarg_segment_ptr 1
		.amdhsa_user_sgpr_dispatch_id 0
		.amdhsa_user_sgpr_flat_scratch_init 0
		.amdhsa_user_sgpr_kernarg_preload_length 0
		.amdhsa_user_sgpr_kernarg_preload_offset 0
		.amdhsa_user_sgpr_private_segment_size 0
		.amdhsa_uses_dynamic_stack 0
		.amdhsa_system_sgpr_private_segment_wavefront_offset 0
		.amdhsa_system_sgpr_workgroup_id_x 1
		.amdhsa_system_sgpr_workgroup_id_y 0
		.amdhsa_system_sgpr_workgroup_id_z 0
		.amdhsa_system_sgpr_workgroup_info 0
		.amdhsa_system_vgpr_workitem_id 0
		.amdhsa_next_free_vgpr 1
		.amdhsa_next_free_sgpr 0
		.amdhsa_accum_offset 4
		.amdhsa_reserve_vcc 0
		.amdhsa_reserve_flat_scratch 0
		.amdhsa_float_round_mode_32 0
		.amdhsa_float_round_mode_16_64 0
		.amdhsa_float_denorm_mode_32 3
		.amdhsa_float_denorm_mode_16_64 3
		.amdhsa_dx10_clamp 1
		.amdhsa_ieee_mode 1
		.amdhsa_fp16_overflow 0
		.amdhsa_tg_split 0
		.amdhsa_exception_fp_ieee_invalid_op 0
		.amdhsa_exception_fp_denorm_src 0
		.amdhsa_exception_fp_ieee_div_zero 0
		.amdhsa_exception_fp_ieee_overflow 0
		.amdhsa_exception_fp_ieee_underflow 0
		.amdhsa_exception_fp_ieee_inexact 0
		.amdhsa_exception_int_div_zero 0
	.end_amdhsa_kernel
	.section	.text._ZN7rocprim17ROCPRIM_400000_NS6detail17trampoline_kernelINS0_14default_configENS1_35radix_sort_onesweep_config_selectorIjNS0_10empty_typeEEEZNS1_34radix_sort_onesweep_global_offsetsIS3_Lb1EPjPS5_mNS0_19identity_decomposerEEE10hipError_tT1_T2_PT3_SE_jT4_jjP12ihipStream_tbEUlT_E0_NS1_11comp_targetILNS1_3genE6ELNS1_11target_archE950ELNS1_3gpuE13ELNS1_3repE0EEENS1_52radix_sort_onesweep_histogram_config_static_selectorELNS0_4arch9wavefront6targetE1EEEvSC_,"axG",@progbits,_ZN7rocprim17ROCPRIM_400000_NS6detail17trampoline_kernelINS0_14default_configENS1_35radix_sort_onesweep_config_selectorIjNS0_10empty_typeEEEZNS1_34radix_sort_onesweep_global_offsetsIS3_Lb1EPjPS5_mNS0_19identity_decomposerEEE10hipError_tT1_T2_PT3_SE_jT4_jjP12ihipStream_tbEUlT_E0_NS1_11comp_targetILNS1_3genE6ELNS1_11target_archE950ELNS1_3gpuE13ELNS1_3repE0EEENS1_52radix_sort_onesweep_histogram_config_static_selectorELNS0_4arch9wavefront6targetE1EEEvSC_,comdat
.Lfunc_end2097:
	.size	_ZN7rocprim17ROCPRIM_400000_NS6detail17trampoline_kernelINS0_14default_configENS1_35radix_sort_onesweep_config_selectorIjNS0_10empty_typeEEEZNS1_34radix_sort_onesweep_global_offsetsIS3_Lb1EPjPS5_mNS0_19identity_decomposerEEE10hipError_tT1_T2_PT3_SE_jT4_jjP12ihipStream_tbEUlT_E0_NS1_11comp_targetILNS1_3genE6ELNS1_11target_archE950ELNS1_3gpuE13ELNS1_3repE0EEENS1_52radix_sort_onesweep_histogram_config_static_selectorELNS0_4arch9wavefront6targetE1EEEvSC_, .Lfunc_end2097-_ZN7rocprim17ROCPRIM_400000_NS6detail17trampoline_kernelINS0_14default_configENS1_35radix_sort_onesweep_config_selectorIjNS0_10empty_typeEEEZNS1_34radix_sort_onesweep_global_offsetsIS3_Lb1EPjPS5_mNS0_19identity_decomposerEEE10hipError_tT1_T2_PT3_SE_jT4_jjP12ihipStream_tbEUlT_E0_NS1_11comp_targetILNS1_3genE6ELNS1_11target_archE950ELNS1_3gpuE13ELNS1_3repE0EEENS1_52radix_sort_onesweep_histogram_config_static_selectorELNS0_4arch9wavefront6targetE1EEEvSC_
                                        ; -- End function
	.section	.AMDGPU.csdata,"",@progbits
; Kernel info:
; codeLenInByte = 0
; NumSgprs: 4
; NumVgprs: 0
; NumAgprs: 0
; TotalNumVgprs: 0
; ScratchSize: 0
; MemoryBound: 0
; FloatMode: 240
; IeeeMode: 1
; LDSByteSize: 0 bytes/workgroup (compile time only)
; SGPRBlocks: 0
; VGPRBlocks: 0
; NumSGPRsForWavesPerEU: 4
; NumVGPRsForWavesPerEU: 1
; AccumOffset: 4
; Occupancy: 8
; WaveLimiterHint : 0
; COMPUTE_PGM_RSRC2:SCRATCH_EN: 0
; COMPUTE_PGM_RSRC2:USER_SGPR: 6
; COMPUTE_PGM_RSRC2:TRAP_HANDLER: 0
; COMPUTE_PGM_RSRC2:TGID_X_EN: 1
; COMPUTE_PGM_RSRC2:TGID_Y_EN: 0
; COMPUTE_PGM_RSRC2:TGID_Z_EN: 0
; COMPUTE_PGM_RSRC2:TIDIG_COMP_CNT: 0
; COMPUTE_PGM_RSRC3_GFX90A:ACCUM_OFFSET: 0
; COMPUTE_PGM_RSRC3_GFX90A:TG_SPLIT: 0
	.section	.text._ZN7rocprim17ROCPRIM_400000_NS6detail17trampoline_kernelINS0_14default_configENS1_35radix_sort_onesweep_config_selectorIjNS0_10empty_typeEEEZNS1_34radix_sort_onesweep_global_offsetsIS3_Lb1EPjPS5_mNS0_19identity_decomposerEEE10hipError_tT1_T2_PT3_SE_jT4_jjP12ihipStream_tbEUlT_E0_NS1_11comp_targetILNS1_3genE5ELNS1_11target_archE942ELNS1_3gpuE9ELNS1_3repE0EEENS1_52radix_sort_onesweep_histogram_config_static_selectorELNS0_4arch9wavefront6targetE1EEEvSC_,"axG",@progbits,_ZN7rocprim17ROCPRIM_400000_NS6detail17trampoline_kernelINS0_14default_configENS1_35radix_sort_onesweep_config_selectorIjNS0_10empty_typeEEEZNS1_34radix_sort_onesweep_global_offsetsIS3_Lb1EPjPS5_mNS0_19identity_decomposerEEE10hipError_tT1_T2_PT3_SE_jT4_jjP12ihipStream_tbEUlT_E0_NS1_11comp_targetILNS1_3genE5ELNS1_11target_archE942ELNS1_3gpuE9ELNS1_3repE0EEENS1_52radix_sort_onesweep_histogram_config_static_selectorELNS0_4arch9wavefront6targetE1EEEvSC_,comdat
	.protected	_ZN7rocprim17ROCPRIM_400000_NS6detail17trampoline_kernelINS0_14default_configENS1_35radix_sort_onesweep_config_selectorIjNS0_10empty_typeEEEZNS1_34radix_sort_onesweep_global_offsetsIS3_Lb1EPjPS5_mNS0_19identity_decomposerEEE10hipError_tT1_T2_PT3_SE_jT4_jjP12ihipStream_tbEUlT_E0_NS1_11comp_targetILNS1_3genE5ELNS1_11target_archE942ELNS1_3gpuE9ELNS1_3repE0EEENS1_52radix_sort_onesweep_histogram_config_static_selectorELNS0_4arch9wavefront6targetE1EEEvSC_ ; -- Begin function _ZN7rocprim17ROCPRIM_400000_NS6detail17trampoline_kernelINS0_14default_configENS1_35radix_sort_onesweep_config_selectorIjNS0_10empty_typeEEEZNS1_34radix_sort_onesweep_global_offsetsIS3_Lb1EPjPS5_mNS0_19identity_decomposerEEE10hipError_tT1_T2_PT3_SE_jT4_jjP12ihipStream_tbEUlT_E0_NS1_11comp_targetILNS1_3genE5ELNS1_11target_archE942ELNS1_3gpuE9ELNS1_3repE0EEENS1_52radix_sort_onesweep_histogram_config_static_selectorELNS0_4arch9wavefront6targetE1EEEvSC_
	.globl	_ZN7rocprim17ROCPRIM_400000_NS6detail17trampoline_kernelINS0_14default_configENS1_35radix_sort_onesweep_config_selectorIjNS0_10empty_typeEEEZNS1_34radix_sort_onesweep_global_offsetsIS3_Lb1EPjPS5_mNS0_19identity_decomposerEEE10hipError_tT1_T2_PT3_SE_jT4_jjP12ihipStream_tbEUlT_E0_NS1_11comp_targetILNS1_3genE5ELNS1_11target_archE942ELNS1_3gpuE9ELNS1_3repE0EEENS1_52radix_sort_onesweep_histogram_config_static_selectorELNS0_4arch9wavefront6targetE1EEEvSC_
	.p2align	8
	.type	_ZN7rocprim17ROCPRIM_400000_NS6detail17trampoline_kernelINS0_14default_configENS1_35radix_sort_onesweep_config_selectorIjNS0_10empty_typeEEEZNS1_34radix_sort_onesweep_global_offsetsIS3_Lb1EPjPS5_mNS0_19identity_decomposerEEE10hipError_tT1_T2_PT3_SE_jT4_jjP12ihipStream_tbEUlT_E0_NS1_11comp_targetILNS1_3genE5ELNS1_11target_archE942ELNS1_3gpuE9ELNS1_3repE0EEENS1_52radix_sort_onesweep_histogram_config_static_selectorELNS0_4arch9wavefront6targetE1EEEvSC_,@function
_ZN7rocprim17ROCPRIM_400000_NS6detail17trampoline_kernelINS0_14default_configENS1_35radix_sort_onesweep_config_selectorIjNS0_10empty_typeEEEZNS1_34radix_sort_onesweep_global_offsetsIS3_Lb1EPjPS5_mNS0_19identity_decomposerEEE10hipError_tT1_T2_PT3_SE_jT4_jjP12ihipStream_tbEUlT_E0_NS1_11comp_targetILNS1_3genE5ELNS1_11target_archE942ELNS1_3gpuE9ELNS1_3repE0EEENS1_52radix_sort_onesweep_histogram_config_static_selectorELNS0_4arch9wavefront6targetE1EEEvSC_: ; @_ZN7rocprim17ROCPRIM_400000_NS6detail17trampoline_kernelINS0_14default_configENS1_35radix_sort_onesweep_config_selectorIjNS0_10empty_typeEEEZNS1_34radix_sort_onesweep_global_offsetsIS3_Lb1EPjPS5_mNS0_19identity_decomposerEEE10hipError_tT1_T2_PT3_SE_jT4_jjP12ihipStream_tbEUlT_E0_NS1_11comp_targetILNS1_3genE5ELNS1_11target_archE942ELNS1_3gpuE9ELNS1_3repE0EEENS1_52radix_sort_onesweep_histogram_config_static_selectorELNS0_4arch9wavefront6targetE1EEEvSC_
; %bb.0:
	.section	.rodata,"a",@progbits
	.p2align	6, 0x0
	.amdhsa_kernel _ZN7rocprim17ROCPRIM_400000_NS6detail17trampoline_kernelINS0_14default_configENS1_35radix_sort_onesweep_config_selectorIjNS0_10empty_typeEEEZNS1_34radix_sort_onesweep_global_offsetsIS3_Lb1EPjPS5_mNS0_19identity_decomposerEEE10hipError_tT1_T2_PT3_SE_jT4_jjP12ihipStream_tbEUlT_E0_NS1_11comp_targetILNS1_3genE5ELNS1_11target_archE942ELNS1_3gpuE9ELNS1_3repE0EEENS1_52radix_sort_onesweep_histogram_config_static_selectorELNS0_4arch9wavefront6targetE1EEEvSC_
		.amdhsa_group_segment_fixed_size 0
		.amdhsa_private_segment_fixed_size 0
		.amdhsa_kernarg_size 8
		.amdhsa_user_sgpr_count 6
		.amdhsa_user_sgpr_private_segment_buffer 1
		.amdhsa_user_sgpr_dispatch_ptr 0
		.amdhsa_user_sgpr_queue_ptr 0
		.amdhsa_user_sgpr_kernarg_segment_ptr 1
		.amdhsa_user_sgpr_dispatch_id 0
		.amdhsa_user_sgpr_flat_scratch_init 0
		.amdhsa_user_sgpr_kernarg_preload_length 0
		.amdhsa_user_sgpr_kernarg_preload_offset 0
		.amdhsa_user_sgpr_private_segment_size 0
		.amdhsa_uses_dynamic_stack 0
		.amdhsa_system_sgpr_private_segment_wavefront_offset 0
		.amdhsa_system_sgpr_workgroup_id_x 1
		.amdhsa_system_sgpr_workgroup_id_y 0
		.amdhsa_system_sgpr_workgroup_id_z 0
		.amdhsa_system_sgpr_workgroup_info 0
		.amdhsa_system_vgpr_workitem_id 0
		.amdhsa_next_free_vgpr 1
		.amdhsa_next_free_sgpr 0
		.amdhsa_accum_offset 4
		.amdhsa_reserve_vcc 0
		.amdhsa_reserve_flat_scratch 0
		.amdhsa_float_round_mode_32 0
		.amdhsa_float_round_mode_16_64 0
		.amdhsa_float_denorm_mode_32 3
		.amdhsa_float_denorm_mode_16_64 3
		.amdhsa_dx10_clamp 1
		.amdhsa_ieee_mode 1
		.amdhsa_fp16_overflow 0
		.amdhsa_tg_split 0
		.amdhsa_exception_fp_ieee_invalid_op 0
		.amdhsa_exception_fp_denorm_src 0
		.amdhsa_exception_fp_ieee_div_zero 0
		.amdhsa_exception_fp_ieee_overflow 0
		.amdhsa_exception_fp_ieee_underflow 0
		.amdhsa_exception_fp_ieee_inexact 0
		.amdhsa_exception_int_div_zero 0
	.end_amdhsa_kernel
	.section	.text._ZN7rocprim17ROCPRIM_400000_NS6detail17trampoline_kernelINS0_14default_configENS1_35radix_sort_onesweep_config_selectorIjNS0_10empty_typeEEEZNS1_34radix_sort_onesweep_global_offsetsIS3_Lb1EPjPS5_mNS0_19identity_decomposerEEE10hipError_tT1_T2_PT3_SE_jT4_jjP12ihipStream_tbEUlT_E0_NS1_11comp_targetILNS1_3genE5ELNS1_11target_archE942ELNS1_3gpuE9ELNS1_3repE0EEENS1_52radix_sort_onesweep_histogram_config_static_selectorELNS0_4arch9wavefront6targetE1EEEvSC_,"axG",@progbits,_ZN7rocprim17ROCPRIM_400000_NS6detail17trampoline_kernelINS0_14default_configENS1_35radix_sort_onesweep_config_selectorIjNS0_10empty_typeEEEZNS1_34radix_sort_onesweep_global_offsetsIS3_Lb1EPjPS5_mNS0_19identity_decomposerEEE10hipError_tT1_T2_PT3_SE_jT4_jjP12ihipStream_tbEUlT_E0_NS1_11comp_targetILNS1_3genE5ELNS1_11target_archE942ELNS1_3gpuE9ELNS1_3repE0EEENS1_52radix_sort_onesweep_histogram_config_static_selectorELNS0_4arch9wavefront6targetE1EEEvSC_,comdat
.Lfunc_end2098:
	.size	_ZN7rocprim17ROCPRIM_400000_NS6detail17trampoline_kernelINS0_14default_configENS1_35radix_sort_onesweep_config_selectorIjNS0_10empty_typeEEEZNS1_34radix_sort_onesweep_global_offsetsIS3_Lb1EPjPS5_mNS0_19identity_decomposerEEE10hipError_tT1_T2_PT3_SE_jT4_jjP12ihipStream_tbEUlT_E0_NS1_11comp_targetILNS1_3genE5ELNS1_11target_archE942ELNS1_3gpuE9ELNS1_3repE0EEENS1_52radix_sort_onesweep_histogram_config_static_selectorELNS0_4arch9wavefront6targetE1EEEvSC_, .Lfunc_end2098-_ZN7rocprim17ROCPRIM_400000_NS6detail17trampoline_kernelINS0_14default_configENS1_35radix_sort_onesweep_config_selectorIjNS0_10empty_typeEEEZNS1_34radix_sort_onesweep_global_offsetsIS3_Lb1EPjPS5_mNS0_19identity_decomposerEEE10hipError_tT1_T2_PT3_SE_jT4_jjP12ihipStream_tbEUlT_E0_NS1_11comp_targetILNS1_3genE5ELNS1_11target_archE942ELNS1_3gpuE9ELNS1_3repE0EEENS1_52radix_sort_onesweep_histogram_config_static_selectorELNS0_4arch9wavefront6targetE1EEEvSC_
                                        ; -- End function
	.section	.AMDGPU.csdata,"",@progbits
; Kernel info:
; codeLenInByte = 0
; NumSgprs: 4
; NumVgprs: 0
; NumAgprs: 0
; TotalNumVgprs: 0
; ScratchSize: 0
; MemoryBound: 0
; FloatMode: 240
; IeeeMode: 1
; LDSByteSize: 0 bytes/workgroup (compile time only)
; SGPRBlocks: 0
; VGPRBlocks: 0
; NumSGPRsForWavesPerEU: 4
; NumVGPRsForWavesPerEU: 1
; AccumOffset: 4
; Occupancy: 8
; WaveLimiterHint : 0
; COMPUTE_PGM_RSRC2:SCRATCH_EN: 0
; COMPUTE_PGM_RSRC2:USER_SGPR: 6
; COMPUTE_PGM_RSRC2:TRAP_HANDLER: 0
; COMPUTE_PGM_RSRC2:TGID_X_EN: 1
; COMPUTE_PGM_RSRC2:TGID_Y_EN: 0
; COMPUTE_PGM_RSRC2:TGID_Z_EN: 0
; COMPUTE_PGM_RSRC2:TIDIG_COMP_CNT: 0
; COMPUTE_PGM_RSRC3_GFX90A:ACCUM_OFFSET: 0
; COMPUTE_PGM_RSRC3_GFX90A:TG_SPLIT: 0
	.section	.text._ZN7rocprim17ROCPRIM_400000_NS6detail17trampoline_kernelINS0_14default_configENS1_35radix_sort_onesweep_config_selectorIjNS0_10empty_typeEEEZNS1_34radix_sort_onesweep_global_offsetsIS3_Lb1EPjPS5_mNS0_19identity_decomposerEEE10hipError_tT1_T2_PT3_SE_jT4_jjP12ihipStream_tbEUlT_E0_NS1_11comp_targetILNS1_3genE2ELNS1_11target_archE906ELNS1_3gpuE6ELNS1_3repE0EEENS1_52radix_sort_onesweep_histogram_config_static_selectorELNS0_4arch9wavefront6targetE1EEEvSC_,"axG",@progbits,_ZN7rocprim17ROCPRIM_400000_NS6detail17trampoline_kernelINS0_14default_configENS1_35radix_sort_onesweep_config_selectorIjNS0_10empty_typeEEEZNS1_34radix_sort_onesweep_global_offsetsIS3_Lb1EPjPS5_mNS0_19identity_decomposerEEE10hipError_tT1_T2_PT3_SE_jT4_jjP12ihipStream_tbEUlT_E0_NS1_11comp_targetILNS1_3genE2ELNS1_11target_archE906ELNS1_3gpuE6ELNS1_3repE0EEENS1_52radix_sort_onesweep_histogram_config_static_selectorELNS0_4arch9wavefront6targetE1EEEvSC_,comdat
	.protected	_ZN7rocprim17ROCPRIM_400000_NS6detail17trampoline_kernelINS0_14default_configENS1_35radix_sort_onesweep_config_selectorIjNS0_10empty_typeEEEZNS1_34radix_sort_onesweep_global_offsetsIS3_Lb1EPjPS5_mNS0_19identity_decomposerEEE10hipError_tT1_T2_PT3_SE_jT4_jjP12ihipStream_tbEUlT_E0_NS1_11comp_targetILNS1_3genE2ELNS1_11target_archE906ELNS1_3gpuE6ELNS1_3repE0EEENS1_52radix_sort_onesweep_histogram_config_static_selectorELNS0_4arch9wavefront6targetE1EEEvSC_ ; -- Begin function _ZN7rocprim17ROCPRIM_400000_NS6detail17trampoline_kernelINS0_14default_configENS1_35radix_sort_onesweep_config_selectorIjNS0_10empty_typeEEEZNS1_34radix_sort_onesweep_global_offsetsIS3_Lb1EPjPS5_mNS0_19identity_decomposerEEE10hipError_tT1_T2_PT3_SE_jT4_jjP12ihipStream_tbEUlT_E0_NS1_11comp_targetILNS1_3genE2ELNS1_11target_archE906ELNS1_3gpuE6ELNS1_3repE0EEENS1_52radix_sort_onesweep_histogram_config_static_selectorELNS0_4arch9wavefront6targetE1EEEvSC_
	.globl	_ZN7rocprim17ROCPRIM_400000_NS6detail17trampoline_kernelINS0_14default_configENS1_35radix_sort_onesweep_config_selectorIjNS0_10empty_typeEEEZNS1_34radix_sort_onesweep_global_offsetsIS3_Lb1EPjPS5_mNS0_19identity_decomposerEEE10hipError_tT1_T2_PT3_SE_jT4_jjP12ihipStream_tbEUlT_E0_NS1_11comp_targetILNS1_3genE2ELNS1_11target_archE906ELNS1_3gpuE6ELNS1_3repE0EEENS1_52radix_sort_onesweep_histogram_config_static_selectorELNS0_4arch9wavefront6targetE1EEEvSC_
	.p2align	8
	.type	_ZN7rocprim17ROCPRIM_400000_NS6detail17trampoline_kernelINS0_14default_configENS1_35radix_sort_onesweep_config_selectorIjNS0_10empty_typeEEEZNS1_34radix_sort_onesweep_global_offsetsIS3_Lb1EPjPS5_mNS0_19identity_decomposerEEE10hipError_tT1_T2_PT3_SE_jT4_jjP12ihipStream_tbEUlT_E0_NS1_11comp_targetILNS1_3genE2ELNS1_11target_archE906ELNS1_3gpuE6ELNS1_3repE0EEENS1_52radix_sort_onesweep_histogram_config_static_selectorELNS0_4arch9wavefront6targetE1EEEvSC_,@function
_ZN7rocprim17ROCPRIM_400000_NS6detail17trampoline_kernelINS0_14default_configENS1_35radix_sort_onesweep_config_selectorIjNS0_10empty_typeEEEZNS1_34radix_sort_onesweep_global_offsetsIS3_Lb1EPjPS5_mNS0_19identity_decomposerEEE10hipError_tT1_T2_PT3_SE_jT4_jjP12ihipStream_tbEUlT_E0_NS1_11comp_targetILNS1_3genE2ELNS1_11target_archE906ELNS1_3gpuE6ELNS1_3repE0EEENS1_52radix_sort_onesweep_histogram_config_static_selectorELNS0_4arch9wavefront6targetE1EEEvSC_: ; @_ZN7rocprim17ROCPRIM_400000_NS6detail17trampoline_kernelINS0_14default_configENS1_35radix_sort_onesweep_config_selectorIjNS0_10empty_typeEEEZNS1_34radix_sort_onesweep_global_offsetsIS3_Lb1EPjPS5_mNS0_19identity_decomposerEEE10hipError_tT1_T2_PT3_SE_jT4_jjP12ihipStream_tbEUlT_E0_NS1_11comp_targetILNS1_3genE2ELNS1_11target_archE906ELNS1_3gpuE6ELNS1_3repE0EEENS1_52radix_sort_onesweep_histogram_config_static_selectorELNS0_4arch9wavefront6targetE1EEEvSC_
; %bb.0:
	.section	.rodata,"a",@progbits
	.p2align	6, 0x0
	.amdhsa_kernel _ZN7rocprim17ROCPRIM_400000_NS6detail17trampoline_kernelINS0_14default_configENS1_35radix_sort_onesweep_config_selectorIjNS0_10empty_typeEEEZNS1_34radix_sort_onesweep_global_offsetsIS3_Lb1EPjPS5_mNS0_19identity_decomposerEEE10hipError_tT1_T2_PT3_SE_jT4_jjP12ihipStream_tbEUlT_E0_NS1_11comp_targetILNS1_3genE2ELNS1_11target_archE906ELNS1_3gpuE6ELNS1_3repE0EEENS1_52radix_sort_onesweep_histogram_config_static_selectorELNS0_4arch9wavefront6targetE1EEEvSC_
		.amdhsa_group_segment_fixed_size 0
		.amdhsa_private_segment_fixed_size 0
		.amdhsa_kernarg_size 8
		.amdhsa_user_sgpr_count 6
		.amdhsa_user_sgpr_private_segment_buffer 1
		.amdhsa_user_sgpr_dispatch_ptr 0
		.amdhsa_user_sgpr_queue_ptr 0
		.amdhsa_user_sgpr_kernarg_segment_ptr 1
		.amdhsa_user_sgpr_dispatch_id 0
		.amdhsa_user_sgpr_flat_scratch_init 0
		.amdhsa_user_sgpr_kernarg_preload_length 0
		.amdhsa_user_sgpr_kernarg_preload_offset 0
		.amdhsa_user_sgpr_private_segment_size 0
		.amdhsa_uses_dynamic_stack 0
		.amdhsa_system_sgpr_private_segment_wavefront_offset 0
		.amdhsa_system_sgpr_workgroup_id_x 1
		.amdhsa_system_sgpr_workgroup_id_y 0
		.amdhsa_system_sgpr_workgroup_id_z 0
		.amdhsa_system_sgpr_workgroup_info 0
		.amdhsa_system_vgpr_workitem_id 0
		.amdhsa_next_free_vgpr 1
		.amdhsa_next_free_sgpr 0
		.amdhsa_accum_offset 4
		.amdhsa_reserve_vcc 0
		.amdhsa_reserve_flat_scratch 0
		.amdhsa_float_round_mode_32 0
		.amdhsa_float_round_mode_16_64 0
		.amdhsa_float_denorm_mode_32 3
		.amdhsa_float_denorm_mode_16_64 3
		.amdhsa_dx10_clamp 1
		.amdhsa_ieee_mode 1
		.amdhsa_fp16_overflow 0
		.amdhsa_tg_split 0
		.amdhsa_exception_fp_ieee_invalid_op 0
		.amdhsa_exception_fp_denorm_src 0
		.amdhsa_exception_fp_ieee_div_zero 0
		.amdhsa_exception_fp_ieee_overflow 0
		.amdhsa_exception_fp_ieee_underflow 0
		.amdhsa_exception_fp_ieee_inexact 0
		.amdhsa_exception_int_div_zero 0
	.end_amdhsa_kernel
	.section	.text._ZN7rocprim17ROCPRIM_400000_NS6detail17trampoline_kernelINS0_14default_configENS1_35radix_sort_onesweep_config_selectorIjNS0_10empty_typeEEEZNS1_34radix_sort_onesweep_global_offsetsIS3_Lb1EPjPS5_mNS0_19identity_decomposerEEE10hipError_tT1_T2_PT3_SE_jT4_jjP12ihipStream_tbEUlT_E0_NS1_11comp_targetILNS1_3genE2ELNS1_11target_archE906ELNS1_3gpuE6ELNS1_3repE0EEENS1_52radix_sort_onesweep_histogram_config_static_selectorELNS0_4arch9wavefront6targetE1EEEvSC_,"axG",@progbits,_ZN7rocprim17ROCPRIM_400000_NS6detail17trampoline_kernelINS0_14default_configENS1_35radix_sort_onesweep_config_selectorIjNS0_10empty_typeEEEZNS1_34radix_sort_onesweep_global_offsetsIS3_Lb1EPjPS5_mNS0_19identity_decomposerEEE10hipError_tT1_T2_PT3_SE_jT4_jjP12ihipStream_tbEUlT_E0_NS1_11comp_targetILNS1_3genE2ELNS1_11target_archE906ELNS1_3gpuE6ELNS1_3repE0EEENS1_52radix_sort_onesweep_histogram_config_static_selectorELNS0_4arch9wavefront6targetE1EEEvSC_,comdat
.Lfunc_end2099:
	.size	_ZN7rocprim17ROCPRIM_400000_NS6detail17trampoline_kernelINS0_14default_configENS1_35radix_sort_onesweep_config_selectorIjNS0_10empty_typeEEEZNS1_34radix_sort_onesweep_global_offsetsIS3_Lb1EPjPS5_mNS0_19identity_decomposerEEE10hipError_tT1_T2_PT3_SE_jT4_jjP12ihipStream_tbEUlT_E0_NS1_11comp_targetILNS1_3genE2ELNS1_11target_archE906ELNS1_3gpuE6ELNS1_3repE0EEENS1_52radix_sort_onesweep_histogram_config_static_selectorELNS0_4arch9wavefront6targetE1EEEvSC_, .Lfunc_end2099-_ZN7rocprim17ROCPRIM_400000_NS6detail17trampoline_kernelINS0_14default_configENS1_35radix_sort_onesweep_config_selectorIjNS0_10empty_typeEEEZNS1_34radix_sort_onesweep_global_offsetsIS3_Lb1EPjPS5_mNS0_19identity_decomposerEEE10hipError_tT1_T2_PT3_SE_jT4_jjP12ihipStream_tbEUlT_E0_NS1_11comp_targetILNS1_3genE2ELNS1_11target_archE906ELNS1_3gpuE6ELNS1_3repE0EEENS1_52radix_sort_onesweep_histogram_config_static_selectorELNS0_4arch9wavefront6targetE1EEEvSC_
                                        ; -- End function
	.section	.AMDGPU.csdata,"",@progbits
; Kernel info:
; codeLenInByte = 0
; NumSgprs: 4
; NumVgprs: 0
; NumAgprs: 0
; TotalNumVgprs: 0
; ScratchSize: 0
; MemoryBound: 0
; FloatMode: 240
; IeeeMode: 1
; LDSByteSize: 0 bytes/workgroup (compile time only)
; SGPRBlocks: 0
; VGPRBlocks: 0
; NumSGPRsForWavesPerEU: 4
; NumVGPRsForWavesPerEU: 1
; AccumOffset: 4
; Occupancy: 8
; WaveLimiterHint : 0
; COMPUTE_PGM_RSRC2:SCRATCH_EN: 0
; COMPUTE_PGM_RSRC2:USER_SGPR: 6
; COMPUTE_PGM_RSRC2:TRAP_HANDLER: 0
; COMPUTE_PGM_RSRC2:TGID_X_EN: 1
; COMPUTE_PGM_RSRC2:TGID_Y_EN: 0
; COMPUTE_PGM_RSRC2:TGID_Z_EN: 0
; COMPUTE_PGM_RSRC2:TIDIG_COMP_CNT: 0
; COMPUTE_PGM_RSRC3_GFX90A:ACCUM_OFFSET: 0
; COMPUTE_PGM_RSRC3_GFX90A:TG_SPLIT: 0
	.section	.text._ZN7rocprim17ROCPRIM_400000_NS6detail17trampoline_kernelINS0_14default_configENS1_35radix_sort_onesweep_config_selectorIjNS0_10empty_typeEEEZNS1_34radix_sort_onesweep_global_offsetsIS3_Lb1EPjPS5_mNS0_19identity_decomposerEEE10hipError_tT1_T2_PT3_SE_jT4_jjP12ihipStream_tbEUlT_E0_NS1_11comp_targetILNS1_3genE4ELNS1_11target_archE910ELNS1_3gpuE8ELNS1_3repE0EEENS1_52radix_sort_onesweep_histogram_config_static_selectorELNS0_4arch9wavefront6targetE1EEEvSC_,"axG",@progbits,_ZN7rocprim17ROCPRIM_400000_NS6detail17trampoline_kernelINS0_14default_configENS1_35radix_sort_onesweep_config_selectorIjNS0_10empty_typeEEEZNS1_34radix_sort_onesweep_global_offsetsIS3_Lb1EPjPS5_mNS0_19identity_decomposerEEE10hipError_tT1_T2_PT3_SE_jT4_jjP12ihipStream_tbEUlT_E0_NS1_11comp_targetILNS1_3genE4ELNS1_11target_archE910ELNS1_3gpuE8ELNS1_3repE0EEENS1_52radix_sort_onesweep_histogram_config_static_selectorELNS0_4arch9wavefront6targetE1EEEvSC_,comdat
	.protected	_ZN7rocprim17ROCPRIM_400000_NS6detail17trampoline_kernelINS0_14default_configENS1_35radix_sort_onesweep_config_selectorIjNS0_10empty_typeEEEZNS1_34radix_sort_onesweep_global_offsetsIS3_Lb1EPjPS5_mNS0_19identity_decomposerEEE10hipError_tT1_T2_PT3_SE_jT4_jjP12ihipStream_tbEUlT_E0_NS1_11comp_targetILNS1_3genE4ELNS1_11target_archE910ELNS1_3gpuE8ELNS1_3repE0EEENS1_52radix_sort_onesweep_histogram_config_static_selectorELNS0_4arch9wavefront6targetE1EEEvSC_ ; -- Begin function _ZN7rocprim17ROCPRIM_400000_NS6detail17trampoline_kernelINS0_14default_configENS1_35radix_sort_onesweep_config_selectorIjNS0_10empty_typeEEEZNS1_34radix_sort_onesweep_global_offsetsIS3_Lb1EPjPS5_mNS0_19identity_decomposerEEE10hipError_tT1_T2_PT3_SE_jT4_jjP12ihipStream_tbEUlT_E0_NS1_11comp_targetILNS1_3genE4ELNS1_11target_archE910ELNS1_3gpuE8ELNS1_3repE0EEENS1_52radix_sort_onesweep_histogram_config_static_selectorELNS0_4arch9wavefront6targetE1EEEvSC_
	.globl	_ZN7rocprim17ROCPRIM_400000_NS6detail17trampoline_kernelINS0_14default_configENS1_35radix_sort_onesweep_config_selectorIjNS0_10empty_typeEEEZNS1_34radix_sort_onesweep_global_offsetsIS3_Lb1EPjPS5_mNS0_19identity_decomposerEEE10hipError_tT1_T2_PT3_SE_jT4_jjP12ihipStream_tbEUlT_E0_NS1_11comp_targetILNS1_3genE4ELNS1_11target_archE910ELNS1_3gpuE8ELNS1_3repE0EEENS1_52radix_sort_onesweep_histogram_config_static_selectorELNS0_4arch9wavefront6targetE1EEEvSC_
	.p2align	8
	.type	_ZN7rocprim17ROCPRIM_400000_NS6detail17trampoline_kernelINS0_14default_configENS1_35radix_sort_onesweep_config_selectorIjNS0_10empty_typeEEEZNS1_34radix_sort_onesweep_global_offsetsIS3_Lb1EPjPS5_mNS0_19identity_decomposerEEE10hipError_tT1_T2_PT3_SE_jT4_jjP12ihipStream_tbEUlT_E0_NS1_11comp_targetILNS1_3genE4ELNS1_11target_archE910ELNS1_3gpuE8ELNS1_3repE0EEENS1_52radix_sort_onesweep_histogram_config_static_selectorELNS0_4arch9wavefront6targetE1EEEvSC_,@function
_ZN7rocprim17ROCPRIM_400000_NS6detail17trampoline_kernelINS0_14default_configENS1_35radix_sort_onesweep_config_selectorIjNS0_10empty_typeEEEZNS1_34radix_sort_onesweep_global_offsetsIS3_Lb1EPjPS5_mNS0_19identity_decomposerEEE10hipError_tT1_T2_PT3_SE_jT4_jjP12ihipStream_tbEUlT_E0_NS1_11comp_targetILNS1_3genE4ELNS1_11target_archE910ELNS1_3gpuE8ELNS1_3repE0EEENS1_52radix_sort_onesweep_histogram_config_static_selectorELNS0_4arch9wavefront6targetE1EEEvSC_: ; @_ZN7rocprim17ROCPRIM_400000_NS6detail17trampoline_kernelINS0_14default_configENS1_35radix_sort_onesweep_config_selectorIjNS0_10empty_typeEEEZNS1_34radix_sort_onesweep_global_offsetsIS3_Lb1EPjPS5_mNS0_19identity_decomposerEEE10hipError_tT1_T2_PT3_SE_jT4_jjP12ihipStream_tbEUlT_E0_NS1_11comp_targetILNS1_3genE4ELNS1_11target_archE910ELNS1_3gpuE8ELNS1_3repE0EEENS1_52radix_sort_onesweep_histogram_config_static_selectorELNS0_4arch9wavefront6targetE1EEEvSC_
; %bb.0:
	s_load_dwordx2 s[0:1], s[4:5], 0x0
	s_lshl_b32 s2, s6, 8
	s_mov_b32 s3, 0
	s_lshl_b64 s[2:3], s[2:3], 3
	v_lshlrev_b32_e32 v5, 3, v0
	s_waitcnt lgkmcnt(0)
	s_add_u32 s14, s0, s2
	s_movk_i32 s0, 0x100
	s_addc_u32 s15, s1, s3
	v_cmp_gt_u32_e32 vcc, s0, v0
                                        ; implicit-def: $vgpr2_vgpr3
	s_and_saveexec_b64 s[0:1], vcc
	s_cbranch_execz .LBB2100_2
; %bb.1:
	global_load_dwordx2 v[2:3], v5, s[14:15]
.LBB2100_2:
	s_or_b64 exec, exec, s[0:1]
	s_waitcnt vmcnt(0)
	v_mov_b32_dpp v4, v2 row_shr:1 row_mask:0xf bank_mask:0xf
	v_add_co_u32_e64 v4, s[0:1], v2, v4
	v_mbcnt_lo_u32_b32 v1, -1, 0
	v_addc_co_u32_e64 v8, s[0:1], 0, v3, s[0:1]
	v_mbcnt_hi_u32_b32 v6, -1, v1
	v_mov_b32_dpp v7, v3 row_shr:1 row_mask:0xf bank_mask:0xf
	v_add_co_u32_e64 v9, s[0:1], 0, v4
	v_and_b32_e32 v1, 15, v6
	v_addc_co_u32_e64 v7, s[0:1], v7, v8, s[0:1]
	v_cmp_eq_u32_e64 s[0:1], 0, v1
	v_cndmask_b32_e64 v4, v4, v2, s[0:1]
	v_cndmask_b32_e64 v7, v7, v3, s[0:1]
	v_cndmask_b32_e64 v8, v9, v2, s[0:1]
	v_mov_b32_dpp v9, v4 row_shr:2 row_mask:0xf bank_mask:0xf
	v_mov_b32_dpp v10, v7 row_shr:2 row_mask:0xf bank_mask:0xf
	v_add_co_u32_e64 v9, s[2:3], v9, v8
	v_cmp_lt_u32_e64 s[4:5], 1, v1
	v_addc_co_u32_e64 v10, s[2:3], v10, v7, s[2:3]
	v_cndmask_b32_e64 v4, v4, v9, s[4:5]
	v_cndmask_b32_e64 v7, v7, v10, s[4:5]
	v_cndmask_b32_e64 v8, v8, v9, s[4:5]
	v_mov_b32_dpp v9, v4 row_shr:4 row_mask:0xf bank_mask:0xf
	v_mov_b32_dpp v10, v7 row_shr:4 row_mask:0xf bank_mask:0xf
	v_add_co_u32_e64 v9, s[2:3], v9, v8
	v_cmp_lt_u32_e64 s[6:7], 3, v1
	v_addc_co_u32_e64 v10, s[2:3], v10, v7, s[2:3]
	;; [unrolled: 8-line block ×3, first 2 shown]
	v_cndmask_b32_e64 v11, v4, v9, s[8:9]
	v_cndmask_b32_e64 v1, v7, v10, s[8:9]
	;; [unrolled: 1-line block ×3, first 2 shown]
	v_mov_b32_dpp v7, v11 row_bcast:15 row_mask:0xf bank_mask:0xf
	v_mov_b32_dpp v8, v1 row_bcast:15 row_mask:0xf bank_mask:0xf
	v_and_b32_e32 v10, 16, v6
	v_add_co_u32_e64 v7, s[2:3], v7, v4
	v_addc_co_u32_e64 v9, s[2:3], v8, v1, s[2:3]
	v_cmp_eq_u32_e64 s[10:11], 0, v10
	v_cndmask_b32_e64 v10, v9, v1, s[10:11]
	v_cndmask_b32_e64 v8, v7, v11, s[10:11]
	v_cmp_eq_u32_e64 s[2:3], 0, v6
	v_mov_b32_dpp v10, v10 row_bcast:31 row_mask:0xf bank_mask:0xf
	v_mov_b32_dpp v8, v8 row_bcast:31 row_mask:0xf bank_mask:0xf
	v_cmp_ne_u32_e64 s[12:13], 0, v6
	s_and_saveexec_b64 s[16:17], s[12:13]
; %bb.3:
	v_cndmask_b32_e64 v1, v9, v1, s[10:11]
	v_cndmask_b32_e64 v2, v7, v4, s[10:11]
	v_cmp_lt_u32_e64 s[10:11], 31, v6
	v_cndmask_b32_e64 v4, 0, v8, s[10:11]
	v_cndmask_b32_e64 v3, 0, v10, s[10:11]
	v_add_co_u32_e64 v2, s[10:11], v4, v2
	v_addc_co_u32_e64 v3, s[10:11], v3, v1, s[10:11]
; %bb.4:
	s_or_b64 exec, exec, s[16:17]
	v_and_b32_e32 v1, 63, v0
	v_lshrrev_b32_e32 v4, 6, v0
	v_cmp_eq_u32_e64 s[10:11], 63, v1
	s_and_saveexec_b64 s[12:13], s[10:11]
	s_cbranch_execz .LBB2100_6
; %bb.5:
	v_lshlrev_b32_e32 v1, 3, v4
	ds_write_b64 v1, v[2:3]
.LBB2100_6:
	s_or_b64 exec, exec, s[12:13]
	v_cmp_gt_u32_e64 s[10:11], 16, v0
	s_waitcnt lgkmcnt(0)
	s_barrier
	s_and_saveexec_b64 s[12:13], s[10:11]
	s_cbranch_execz .LBB2100_8
; %bb.7:
	ds_read_b64 v[8:9], v5
	s_waitcnt lgkmcnt(0)
	s_nop 0
	v_mov_b32_dpp v1, v8 row_shr:1 row_mask:0xf bank_mask:0xf
	v_add_co_u32_e64 v1, s[10:11], v8, v1
	v_addc_co_u32_e64 v10, s[10:11], 0, v9, s[10:11]
	v_mov_b32_dpp v7, v9 row_shr:1 row_mask:0xf bank_mask:0xf
	v_add_co_u32_e64 v11, s[10:11], 0, v1
	v_addc_co_u32_e64 v7, s[10:11], v7, v10, s[10:11]
	v_cndmask_b32_e64 v1, v1, v8, s[0:1]
	v_cndmask_b32_e64 v7, v7, v9, s[0:1]
	v_cndmask_b32_e64 v10, v11, v8, s[0:1]
	v_mov_b32_dpp v11, v1 row_shr:2 row_mask:0xf bank_mask:0xf
	v_mov_b32_dpp v12, v7 row_shr:2 row_mask:0xf bank_mask:0xf
	v_add_co_u32_e64 v11, s[10:11], v11, v10
	v_addc_co_u32_e64 v12, s[10:11], v12, v7, s[10:11]
	v_cndmask_b32_e64 v1, v1, v11, s[4:5]
	v_cndmask_b32_e64 v7, v7, v12, s[4:5]
	v_cndmask_b32_e64 v10, v10, v11, s[4:5]
	v_mov_b32_dpp v11, v1 row_shr:4 row_mask:0xf bank_mask:0xf
	;; [unrolled: 7-line block ×3, first 2 shown]
	v_mov_b32_dpp v12, v7 row_shr:8 row_mask:0xf bank_mask:0xf
	v_cndmask_b32_e64 v1, 0, v1, s[8:9]
	v_cndmask_b32_e64 v11, 0, v12, s[8:9]
	v_add_co_u32_e64 v1, s[4:5], v1, v10
	v_addc_co_u32_e64 v7, s[4:5], v11, v7, s[4:5]
	v_cndmask_b32_e64 v9, v7, v9, s[0:1]
	v_cndmask_b32_e64 v8, v1, v8, s[0:1]
	ds_write_b64 v5, v[8:9]
.LBB2100_8:
	s_or_b64 exec, exec, s[12:13]
	v_cmp_lt_u32_e64 s[0:1], 63, v0
	v_pk_mov_b32 v[0:1], 0, 0
	s_waitcnt lgkmcnt(0)
	s_barrier
	s_and_saveexec_b64 s[4:5], s[0:1]
	s_cbranch_execz .LBB2100_10
; %bb.9:
	v_lshl_add_u32 v0, v4, 3, -8
	ds_read_b64 v[0:1], v0
.LBB2100_10:
	s_or_b64 exec, exec, s[4:5]
	s_waitcnt lgkmcnt(0)
	v_add_co_u32_e64 v2, s[0:1], v0, v2
	v_addc_co_u32_e64 v3, s[0:1], v1, v3, s[0:1]
	v_add_u32_e32 v4, -1, v6
	v_and_b32_e32 v7, 64, v6
	v_cmp_lt_i32_e64 s[0:1], v4, v7
	v_cndmask_b32_e64 v4, v4, v6, s[0:1]
	v_lshlrev_b32_e32 v4, 2, v4
	ds_bpermute_b32 v2, v4, v2
	ds_bpermute_b32 v3, v4, v3
	s_and_saveexec_b64 s[0:1], vcc
	s_cbranch_execz .LBB2100_12
; %bb.11:
	s_waitcnt lgkmcnt(0)
	v_cndmask_b32_e64 v1, v3, v1, s[2:3]
	v_cndmask_b32_e64 v0, v2, v0, s[2:3]
	global_store_dwordx2 v5, v[0:1], s[14:15]
.LBB2100_12:
	s_endpgm
	.section	.rodata,"a",@progbits
	.p2align	6, 0x0
	.amdhsa_kernel _ZN7rocprim17ROCPRIM_400000_NS6detail17trampoline_kernelINS0_14default_configENS1_35radix_sort_onesweep_config_selectorIjNS0_10empty_typeEEEZNS1_34radix_sort_onesweep_global_offsetsIS3_Lb1EPjPS5_mNS0_19identity_decomposerEEE10hipError_tT1_T2_PT3_SE_jT4_jjP12ihipStream_tbEUlT_E0_NS1_11comp_targetILNS1_3genE4ELNS1_11target_archE910ELNS1_3gpuE8ELNS1_3repE0EEENS1_52radix_sort_onesweep_histogram_config_static_selectorELNS0_4arch9wavefront6targetE1EEEvSC_
		.amdhsa_group_segment_fixed_size 128
		.amdhsa_private_segment_fixed_size 0
		.amdhsa_kernarg_size 8
		.amdhsa_user_sgpr_count 6
		.amdhsa_user_sgpr_private_segment_buffer 1
		.amdhsa_user_sgpr_dispatch_ptr 0
		.amdhsa_user_sgpr_queue_ptr 0
		.amdhsa_user_sgpr_kernarg_segment_ptr 1
		.amdhsa_user_sgpr_dispatch_id 0
		.amdhsa_user_sgpr_flat_scratch_init 0
		.amdhsa_user_sgpr_kernarg_preload_length 0
		.amdhsa_user_sgpr_kernarg_preload_offset 0
		.amdhsa_user_sgpr_private_segment_size 0
		.amdhsa_uses_dynamic_stack 0
		.amdhsa_system_sgpr_private_segment_wavefront_offset 0
		.amdhsa_system_sgpr_workgroup_id_x 1
		.amdhsa_system_sgpr_workgroup_id_y 0
		.amdhsa_system_sgpr_workgroup_id_z 0
		.amdhsa_system_sgpr_workgroup_info 0
		.amdhsa_system_vgpr_workitem_id 0
		.amdhsa_next_free_vgpr 13
		.amdhsa_next_free_sgpr 18
		.amdhsa_accum_offset 16
		.amdhsa_reserve_vcc 1
		.amdhsa_reserve_flat_scratch 0
		.amdhsa_float_round_mode_32 0
		.amdhsa_float_round_mode_16_64 0
		.amdhsa_float_denorm_mode_32 3
		.amdhsa_float_denorm_mode_16_64 3
		.amdhsa_dx10_clamp 1
		.amdhsa_ieee_mode 1
		.amdhsa_fp16_overflow 0
		.amdhsa_tg_split 0
		.amdhsa_exception_fp_ieee_invalid_op 0
		.amdhsa_exception_fp_denorm_src 0
		.amdhsa_exception_fp_ieee_div_zero 0
		.amdhsa_exception_fp_ieee_overflow 0
		.amdhsa_exception_fp_ieee_underflow 0
		.amdhsa_exception_fp_ieee_inexact 0
		.amdhsa_exception_int_div_zero 0
	.end_amdhsa_kernel
	.section	.text._ZN7rocprim17ROCPRIM_400000_NS6detail17trampoline_kernelINS0_14default_configENS1_35radix_sort_onesweep_config_selectorIjNS0_10empty_typeEEEZNS1_34radix_sort_onesweep_global_offsetsIS3_Lb1EPjPS5_mNS0_19identity_decomposerEEE10hipError_tT1_T2_PT3_SE_jT4_jjP12ihipStream_tbEUlT_E0_NS1_11comp_targetILNS1_3genE4ELNS1_11target_archE910ELNS1_3gpuE8ELNS1_3repE0EEENS1_52radix_sort_onesweep_histogram_config_static_selectorELNS0_4arch9wavefront6targetE1EEEvSC_,"axG",@progbits,_ZN7rocprim17ROCPRIM_400000_NS6detail17trampoline_kernelINS0_14default_configENS1_35radix_sort_onesweep_config_selectorIjNS0_10empty_typeEEEZNS1_34radix_sort_onesweep_global_offsetsIS3_Lb1EPjPS5_mNS0_19identity_decomposerEEE10hipError_tT1_T2_PT3_SE_jT4_jjP12ihipStream_tbEUlT_E0_NS1_11comp_targetILNS1_3genE4ELNS1_11target_archE910ELNS1_3gpuE8ELNS1_3repE0EEENS1_52radix_sort_onesweep_histogram_config_static_selectorELNS0_4arch9wavefront6targetE1EEEvSC_,comdat
.Lfunc_end2100:
	.size	_ZN7rocprim17ROCPRIM_400000_NS6detail17trampoline_kernelINS0_14default_configENS1_35radix_sort_onesweep_config_selectorIjNS0_10empty_typeEEEZNS1_34radix_sort_onesweep_global_offsetsIS3_Lb1EPjPS5_mNS0_19identity_decomposerEEE10hipError_tT1_T2_PT3_SE_jT4_jjP12ihipStream_tbEUlT_E0_NS1_11comp_targetILNS1_3genE4ELNS1_11target_archE910ELNS1_3gpuE8ELNS1_3repE0EEENS1_52radix_sort_onesweep_histogram_config_static_selectorELNS0_4arch9wavefront6targetE1EEEvSC_, .Lfunc_end2100-_ZN7rocprim17ROCPRIM_400000_NS6detail17trampoline_kernelINS0_14default_configENS1_35radix_sort_onesweep_config_selectorIjNS0_10empty_typeEEEZNS1_34radix_sort_onesweep_global_offsetsIS3_Lb1EPjPS5_mNS0_19identity_decomposerEEE10hipError_tT1_T2_PT3_SE_jT4_jjP12ihipStream_tbEUlT_E0_NS1_11comp_targetILNS1_3genE4ELNS1_11target_archE910ELNS1_3gpuE8ELNS1_3repE0EEENS1_52radix_sort_onesweep_histogram_config_static_selectorELNS0_4arch9wavefront6targetE1EEEvSC_
                                        ; -- End function
	.section	.AMDGPU.csdata,"",@progbits
; Kernel info:
; codeLenInByte = 1012
; NumSgprs: 22
; NumVgprs: 13
; NumAgprs: 0
; TotalNumVgprs: 13
; ScratchSize: 0
; MemoryBound: 0
; FloatMode: 240
; IeeeMode: 1
; LDSByteSize: 128 bytes/workgroup (compile time only)
; SGPRBlocks: 2
; VGPRBlocks: 1
; NumSGPRsForWavesPerEU: 22
; NumVGPRsForWavesPerEU: 13
; AccumOffset: 16
; Occupancy: 8
; WaveLimiterHint : 0
; COMPUTE_PGM_RSRC2:SCRATCH_EN: 0
; COMPUTE_PGM_RSRC2:USER_SGPR: 6
; COMPUTE_PGM_RSRC2:TRAP_HANDLER: 0
; COMPUTE_PGM_RSRC2:TGID_X_EN: 1
; COMPUTE_PGM_RSRC2:TGID_Y_EN: 0
; COMPUTE_PGM_RSRC2:TGID_Z_EN: 0
; COMPUTE_PGM_RSRC2:TIDIG_COMP_CNT: 0
; COMPUTE_PGM_RSRC3_GFX90A:ACCUM_OFFSET: 3
; COMPUTE_PGM_RSRC3_GFX90A:TG_SPLIT: 0
	.section	.text._ZN7rocprim17ROCPRIM_400000_NS6detail17trampoline_kernelINS0_14default_configENS1_35radix_sort_onesweep_config_selectorIjNS0_10empty_typeEEEZNS1_34radix_sort_onesweep_global_offsetsIS3_Lb1EPjPS5_mNS0_19identity_decomposerEEE10hipError_tT1_T2_PT3_SE_jT4_jjP12ihipStream_tbEUlT_E0_NS1_11comp_targetILNS1_3genE3ELNS1_11target_archE908ELNS1_3gpuE7ELNS1_3repE0EEENS1_52radix_sort_onesweep_histogram_config_static_selectorELNS0_4arch9wavefront6targetE1EEEvSC_,"axG",@progbits,_ZN7rocprim17ROCPRIM_400000_NS6detail17trampoline_kernelINS0_14default_configENS1_35radix_sort_onesweep_config_selectorIjNS0_10empty_typeEEEZNS1_34radix_sort_onesweep_global_offsetsIS3_Lb1EPjPS5_mNS0_19identity_decomposerEEE10hipError_tT1_T2_PT3_SE_jT4_jjP12ihipStream_tbEUlT_E0_NS1_11comp_targetILNS1_3genE3ELNS1_11target_archE908ELNS1_3gpuE7ELNS1_3repE0EEENS1_52radix_sort_onesweep_histogram_config_static_selectorELNS0_4arch9wavefront6targetE1EEEvSC_,comdat
	.protected	_ZN7rocprim17ROCPRIM_400000_NS6detail17trampoline_kernelINS0_14default_configENS1_35radix_sort_onesweep_config_selectorIjNS0_10empty_typeEEEZNS1_34radix_sort_onesweep_global_offsetsIS3_Lb1EPjPS5_mNS0_19identity_decomposerEEE10hipError_tT1_T2_PT3_SE_jT4_jjP12ihipStream_tbEUlT_E0_NS1_11comp_targetILNS1_3genE3ELNS1_11target_archE908ELNS1_3gpuE7ELNS1_3repE0EEENS1_52radix_sort_onesweep_histogram_config_static_selectorELNS0_4arch9wavefront6targetE1EEEvSC_ ; -- Begin function _ZN7rocprim17ROCPRIM_400000_NS6detail17trampoline_kernelINS0_14default_configENS1_35radix_sort_onesweep_config_selectorIjNS0_10empty_typeEEEZNS1_34radix_sort_onesweep_global_offsetsIS3_Lb1EPjPS5_mNS0_19identity_decomposerEEE10hipError_tT1_T2_PT3_SE_jT4_jjP12ihipStream_tbEUlT_E0_NS1_11comp_targetILNS1_3genE3ELNS1_11target_archE908ELNS1_3gpuE7ELNS1_3repE0EEENS1_52radix_sort_onesweep_histogram_config_static_selectorELNS0_4arch9wavefront6targetE1EEEvSC_
	.globl	_ZN7rocprim17ROCPRIM_400000_NS6detail17trampoline_kernelINS0_14default_configENS1_35radix_sort_onesweep_config_selectorIjNS0_10empty_typeEEEZNS1_34radix_sort_onesweep_global_offsetsIS3_Lb1EPjPS5_mNS0_19identity_decomposerEEE10hipError_tT1_T2_PT3_SE_jT4_jjP12ihipStream_tbEUlT_E0_NS1_11comp_targetILNS1_3genE3ELNS1_11target_archE908ELNS1_3gpuE7ELNS1_3repE0EEENS1_52radix_sort_onesweep_histogram_config_static_selectorELNS0_4arch9wavefront6targetE1EEEvSC_
	.p2align	8
	.type	_ZN7rocprim17ROCPRIM_400000_NS6detail17trampoline_kernelINS0_14default_configENS1_35radix_sort_onesweep_config_selectorIjNS0_10empty_typeEEEZNS1_34radix_sort_onesweep_global_offsetsIS3_Lb1EPjPS5_mNS0_19identity_decomposerEEE10hipError_tT1_T2_PT3_SE_jT4_jjP12ihipStream_tbEUlT_E0_NS1_11comp_targetILNS1_3genE3ELNS1_11target_archE908ELNS1_3gpuE7ELNS1_3repE0EEENS1_52radix_sort_onesweep_histogram_config_static_selectorELNS0_4arch9wavefront6targetE1EEEvSC_,@function
_ZN7rocprim17ROCPRIM_400000_NS6detail17trampoline_kernelINS0_14default_configENS1_35radix_sort_onesweep_config_selectorIjNS0_10empty_typeEEEZNS1_34radix_sort_onesweep_global_offsetsIS3_Lb1EPjPS5_mNS0_19identity_decomposerEEE10hipError_tT1_T2_PT3_SE_jT4_jjP12ihipStream_tbEUlT_E0_NS1_11comp_targetILNS1_3genE3ELNS1_11target_archE908ELNS1_3gpuE7ELNS1_3repE0EEENS1_52radix_sort_onesweep_histogram_config_static_selectorELNS0_4arch9wavefront6targetE1EEEvSC_: ; @_ZN7rocprim17ROCPRIM_400000_NS6detail17trampoline_kernelINS0_14default_configENS1_35radix_sort_onesweep_config_selectorIjNS0_10empty_typeEEEZNS1_34radix_sort_onesweep_global_offsetsIS3_Lb1EPjPS5_mNS0_19identity_decomposerEEE10hipError_tT1_T2_PT3_SE_jT4_jjP12ihipStream_tbEUlT_E0_NS1_11comp_targetILNS1_3genE3ELNS1_11target_archE908ELNS1_3gpuE7ELNS1_3repE0EEENS1_52radix_sort_onesweep_histogram_config_static_selectorELNS0_4arch9wavefront6targetE1EEEvSC_
; %bb.0:
	.section	.rodata,"a",@progbits
	.p2align	6, 0x0
	.amdhsa_kernel _ZN7rocprim17ROCPRIM_400000_NS6detail17trampoline_kernelINS0_14default_configENS1_35radix_sort_onesweep_config_selectorIjNS0_10empty_typeEEEZNS1_34radix_sort_onesweep_global_offsetsIS3_Lb1EPjPS5_mNS0_19identity_decomposerEEE10hipError_tT1_T2_PT3_SE_jT4_jjP12ihipStream_tbEUlT_E0_NS1_11comp_targetILNS1_3genE3ELNS1_11target_archE908ELNS1_3gpuE7ELNS1_3repE0EEENS1_52radix_sort_onesweep_histogram_config_static_selectorELNS0_4arch9wavefront6targetE1EEEvSC_
		.amdhsa_group_segment_fixed_size 0
		.amdhsa_private_segment_fixed_size 0
		.amdhsa_kernarg_size 8
		.amdhsa_user_sgpr_count 6
		.amdhsa_user_sgpr_private_segment_buffer 1
		.amdhsa_user_sgpr_dispatch_ptr 0
		.amdhsa_user_sgpr_queue_ptr 0
		.amdhsa_user_sgpr_kernarg_segment_ptr 1
		.amdhsa_user_sgpr_dispatch_id 0
		.amdhsa_user_sgpr_flat_scratch_init 0
		.amdhsa_user_sgpr_kernarg_preload_length 0
		.amdhsa_user_sgpr_kernarg_preload_offset 0
		.amdhsa_user_sgpr_private_segment_size 0
		.amdhsa_uses_dynamic_stack 0
		.amdhsa_system_sgpr_private_segment_wavefront_offset 0
		.amdhsa_system_sgpr_workgroup_id_x 1
		.amdhsa_system_sgpr_workgroup_id_y 0
		.amdhsa_system_sgpr_workgroup_id_z 0
		.amdhsa_system_sgpr_workgroup_info 0
		.amdhsa_system_vgpr_workitem_id 0
		.amdhsa_next_free_vgpr 1
		.amdhsa_next_free_sgpr 0
		.amdhsa_accum_offset 4
		.amdhsa_reserve_vcc 0
		.amdhsa_reserve_flat_scratch 0
		.amdhsa_float_round_mode_32 0
		.amdhsa_float_round_mode_16_64 0
		.amdhsa_float_denorm_mode_32 3
		.amdhsa_float_denorm_mode_16_64 3
		.amdhsa_dx10_clamp 1
		.amdhsa_ieee_mode 1
		.amdhsa_fp16_overflow 0
		.amdhsa_tg_split 0
		.amdhsa_exception_fp_ieee_invalid_op 0
		.amdhsa_exception_fp_denorm_src 0
		.amdhsa_exception_fp_ieee_div_zero 0
		.amdhsa_exception_fp_ieee_overflow 0
		.amdhsa_exception_fp_ieee_underflow 0
		.amdhsa_exception_fp_ieee_inexact 0
		.amdhsa_exception_int_div_zero 0
	.end_amdhsa_kernel
	.section	.text._ZN7rocprim17ROCPRIM_400000_NS6detail17trampoline_kernelINS0_14default_configENS1_35radix_sort_onesweep_config_selectorIjNS0_10empty_typeEEEZNS1_34radix_sort_onesweep_global_offsetsIS3_Lb1EPjPS5_mNS0_19identity_decomposerEEE10hipError_tT1_T2_PT3_SE_jT4_jjP12ihipStream_tbEUlT_E0_NS1_11comp_targetILNS1_3genE3ELNS1_11target_archE908ELNS1_3gpuE7ELNS1_3repE0EEENS1_52radix_sort_onesweep_histogram_config_static_selectorELNS0_4arch9wavefront6targetE1EEEvSC_,"axG",@progbits,_ZN7rocprim17ROCPRIM_400000_NS6detail17trampoline_kernelINS0_14default_configENS1_35radix_sort_onesweep_config_selectorIjNS0_10empty_typeEEEZNS1_34radix_sort_onesweep_global_offsetsIS3_Lb1EPjPS5_mNS0_19identity_decomposerEEE10hipError_tT1_T2_PT3_SE_jT4_jjP12ihipStream_tbEUlT_E0_NS1_11comp_targetILNS1_3genE3ELNS1_11target_archE908ELNS1_3gpuE7ELNS1_3repE0EEENS1_52radix_sort_onesweep_histogram_config_static_selectorELNS0_4arch9wavefront6targetE1EEEvSC_,comdat
.Lfunc_end2101:
	.size	_ZN7rocprim17ROCPRIM_400000_NS6detail17trampoline_kernelINS0_14default_configENS1_35radix_sort_onesweep_config_selectorIjNS0_10empty_typeEEEZNS1_34radix_sort_onesweep_global_offsetsIS3_Lb1EPjPS5_mNS0_19identity_decomposerEEE10hipError_tT1_T2_PT3_SE_jT4_jjP12ihipStream_tbEUlT_E0_NS1_11comp_targetILNS1_3genE3ELNS1_11target_archE908ELNS1_3gpuE7ELNS1_3repE0EEENS1_52radix_sort_onesweep_histogram_config_static_selectorELNS0_4arch9wavefront6targetE1EEEvSC_, .Lfunc_end2101-_ZN7rocprim17ROCPRIM_400000_NS6detail17trampoline_kernelINS0_14default_configENS1_35radix_sort_onesweep_config_selectorIjNS0_10empty_typeEEEZNS1_34radix_sort_onesweep_global_offsetsIS3_Lb1EPjPS5_mNS0_19identity_decomposerEEE10hipError_tT1_T2_PT3_SE_jT4_jjP12ihipStream_tbEUlT_E0_NS1_11comp_targetILNS1_3genE3ELNS1_11target_archE908ELNS1_3gpuE7ELNS1_3repE0EEENS1_52radix_sort_onesweep_histogram_config_static_selectorELNS0_4arch9wavefront6targetE1EEEvSC_
                                        ; -- End function
	.section	.AMDGPU.csdata,"",@progbits
; Kernel info:
; codeLenInByte = 0
; NumSgprs: 4
; NumVgprs: 0
; NumAgprs: 0
; TotalNumVgprs: 0
; ScratchSize: 0
; MemoryBound: 0
; FloatMode: 240
; IeeeMode: 1
; LDSByteSize: 0 bytes/workgroup (compile time only)
; SGPRBlocks: 0
; VGPRBlocks: 0
; NumSGPRsForWavesPerEU: 4
; NumVGPRsForWavesPerEU: 1
; AccumOffset: 4
; Occupancy: 8
; WaveLimiterHint : 0
; COMPUTE_PGM_RSRC2:SCRATCH_EN: 0
; COMPUTE_PGM_RSRC2:USER_SGPR: 6
; COMPUTE_PGM_RSRC2:TRAP_HANDLER: 0
; COMPUTE_PGM_RSRC2:TGID_X_EN: 1
; COMPUTE_PGM_RSRC2:TGID_Y_EN: 0
; COMPUTE_PGM_RSRC2:TGID_Z_EN: 0
; COMPUTE_PGM_RSRC2:TIDIG_COMP_CNT: 0
; COMPUTE_PGM_RSRC3_GFX90A:ACCUM_OFFSET: 0
; COMPUTE_PGM_RSRC3_GFX90A:TG_SPLIT: 0
	.section	.text._ZN7rocprim17ROCPRIM_400000_NS6detail17trampoline_kernelINS0_14default_configENS1_35radix_sort_onesweep_config_selectorIjNS0_10empty_typeEEEZNS1_34radix_sort_onesweep_global_offsetsIS3_Lb1EPjPS5_mNS0_19identity_decomposerEEE10hipError_tT1_T2_PT3_SE_jT4_jjP12ihipStream_tbEUlT_E0_NS1_11comp_targetILNS1_3genE10ELNS1_11target_archE1201ELNS1_3gpuE5ELNS1_3repE0EEENS1_52radix_sort_onesweep_histogram_config_static_selectorELNS0_4arch9wavefront6targetE1EEEvSC_,"axG",@progbits,_ZN7rocprim17ROCPRIM_400000_NS6detail17trampoline_kernelINS0_14default_configENS1_35radix_sort_onesweep_config_selectorIjNS0_10empty_typeEEEZNS1_34radix_sort_onesweep_global_offsetsIS3_Lb1EPjPS5_mNS0_19identity_decomposerEEE10hipError_tT1_T2_PT3_SE_jT4_jjP12ihipStream_tbEUlT_E0_NS1_11comp_targetILNS1_3genE10ELNS1_11target_archE1201ELNS1_3gpuE5ELNS1_3repE0EEENS1_52radix_sort_onesweep_histogram_config_static_selectorELNS0_4arch9wavefront6targetE1EEEvSC_,comdat
	.protected	_ZN7rocprim17ROCPRIM_400000_NS6detail17trampoline_kernelINS0_14default_configENS1_35radix_sort_onesweep_config_selectorIjNS0_10empty_typeEEEZNS1_34radix_sort_onesweep_global_offsetsIS3_Lb1EPjPS5_mNS0_19identity_decomposerEEE10hipError_tT1_T2_PT3_SE_jT4_jjP12ihipStream_tbEUlT_E0_NS1_11comp_targetILNS1_3genE10ELNS1_11target_archE1201ELNS1_3gpuE5ELNS1_3repE0EEENS1_52radix_sort_onesweep_histogram_config_static_selectorELNS0_4arch9wavefront6targetE1EEEvSC_ ; -- Begin function _ZN7rocprim17ROCPRIM_400000_NS6detail17trampoline_kernelINS0_14default_configENS1_35radix_sort_onesweep_config_selectorIjNS0_10empty_typeEEEZNS1_34radix_sort_onesweep_global_offsetsIS3_Lb1EPjPS5_mNS0_19identity_decomposerEEE10hipError_tT1_T2_PT3_SE_jT4_jjP12ihipStream_tbEUlT_E0_NS1_11comp_targetILNS1_3genE10ELNS1_11target_archE1201ELNS1_3gpuE5ELNS1_3repE0EEENS1_52radix_sort_onesweep_histogram_config_static_selectorELNS0_4arch9wavefront6targetE1EEEvSC_
	.globl	_ZN7rocprim17ROCPRIM_400000_NS6detail17trampoline_kernelINS0_14default_configENS1_35radix_sort_onesweep_config_selectorIjNS0_10empty_typeEEEZNS1_34radix_sort_onesweep_global_offsetsIS3_Lb1EPjPS5_mNS0_19identity_decomposerEEE10hipError_tT1_T2_PT3_SE_jT4_jjP12ihipStream_tbEUlT_E0_NS1_11comp_targetILNS1_3genE10ELNS1_11target_archE1201ELNS1_3gpuE5ELNS1_3repE0EEENS1_52radix_sort_onesweep_histogram_config_static_selectorELNS0_4arch9wavefront6targetE1EEEvSC_
	.p2align	8
	.type	_ZN7rocprim17ROCPRIM_400000_NS6detail17trampoline_kernelINS0_14default_configENS1_35radix_sort_onesweep_config_selectorIjNS0_10empty_typeEEEZNS1_34radix_sort_onesweep_global_offsetsIS3_Lb1EPjPS5_mNS0_19identity_decomposerEEE10hipError_tT1_T2_PT3_SE_jT4_jjP12ihipStream_tbEUlT_E0_NS1_11comp_targetILNS1_3genE10ELNS1_11target_archE1201ELNS1_3gpuE5ELNS1_3repE0EEENS1_52radix_sort_onesweep_histogram_config_static_selectorELNS0_4arch9wavefront6targetE1EEEvSC_,@function
_ZN7rocprim17ROCPRIM_400000_NS6detail17trampoline_kernelINS0_14default_configENS1_35radix_sort_onesweep_config_selectorIjNS0_10empty_typeEEEZNS1_34radix_sort_onesweep_global_offsetsIS3_Lb1EPjPS5_mNS0_19identity_decomposerEEE10hipError_tT1_T2_PT3_SE_jT4_jjP12ihipStream_tbEUlT_E0_NS1_11comp_targetILNS1_3genE10ELNS1_11target_archE1201ELNS1_3gpuE5ELNS1_3repE0EEENS1_52radix_sort_onesweep_histogram_config_static_selectorELNS0_4arch9wavefront6targetE1EEEvSC_: ; @_ZN7rocprim17ROCPRIM_400000_NS6detail17trampoline_kernelINS0_14default_configENS1_35radix_sort_onesweep_config_selectorIjNS0_10empty_typeEEEZNS1_34radix_sort_onesweep_global_offsetsIS3_Lb1EPjPS5_mNS0_19identity_decomposerEEE10hipError_tT1_T2_PT3_SE_jT4_jjP12ihipStream_tbEUlT_E0_NS1_11comp_targetILNS1_3genE10ELNS1_11target_archE1201ELNS1_3gpuE5ELNS1_3repE0EEENS1_52radix_sort_onesweep_histogram_config_static_selectorELNS0_4arch9wavefront6targetE1EEEvSC_
; %bb.0:
	.section	.rodata,"a",@progbits
	.p2align	6, 0x0
	.amdhsa_kernel _ZN7rocprim17ROCPRIM_400000_NS6detail17trampoline_kernelINS0_14default_configENS1_35radix_sort_onesweep_config_selectorIjNS0_10empty_typeEEEZNS1_34radix_sort_onesweep_global_offsetsIS3_Lb1EPjPS5_mNS0_19identity_decomposerEEE10hipError_tT1_T2_PT3_SE_jT4_jjP12ihipStream_tbEUlT_E0_NS1_11comp_targetILNS1_3genE10ELNS1_11target_archE1201ELNS1_3gpuE5ELNS1_3repE0EEENS1_52radix_sort_onesweep_histogram_config_static_selectorELNS0_4arch9wavefront6targetE1EEEvSC_
		.amdhsa_group_segment_fixed_size 0
		.amdhsa_private_segment_fixed_size 0
		.amdhsa_kernarg_size 8
		.amdhsa_user_sgpr_count 6
		.amdhsa_user_sgpr_private_segment_buffer 1
		.amdhsa_user_sgpr_dispatch_ptr 0
		.amdhsa_user_sgpr_queue_ptr 0
		.amdhsa_user_sgpr_kernarg_segment_ptr 1
		.amdhsa_user_sgpr_dispatch_id 0
		.amdhsa_user_sgpr_flat_scratch_init 0
		.amdhsa_user_sgpr_kernarg_preload_length 0
		.amdhsa_user_sgpr_kernarg_preload_offset 0
		.amdhsa_user_sgpr_private_segment_size 0
		.amdhsa_uses_dynamic_stack 0
		.amdhsa_system_sgpr_private_segment_wavefront_offset 0
		.amdhsa_system_sgpr_workgroup_id_x 1
		.amdhsa_system_sgpr_workgroup_id_y 0
		.amdhsa_system_sgpr_workgroup_id_z 0
		.amdhsa_system_sgpr_workgroup_info 0
		.amdhsa_system_vgpr_workitem_id 0
		.amdhsa_next_free_vgpr 1
		.amdhsa_next_free_sgpr 0
		.amdhsa_accum_offset 4
		.amdhsa_reserve_vcc 0
		.amdhsa_reserve_flat_scratch 0
		.amdhsa_float_round_mode_32 0
		.amdhsa_float_round_mode_16_64 0
		.amdhsa_float_denorm_mode_32 3
		.amdhsa_float_denorm_mode_16_64 3
		.amdhsa_dx10_clamp 1
		.amdhsa_ieee_mode 1
		.amdhsa_fp16_overflow 0
		.amdhsa_tg_split 0
		.amdhsa_exception_fp_ieee_invalid_op 0
		.amdhsa_exception_fp_denorm_src 0
		.amdhsa_exception_fp_ieee_div_zero 0
		.amdhsa_exception_fp_ieee_overflow 0
		.amdhsa_exception_fp_ieee_underflow 0
		.amdhsa_exception_fp_ieee_inexact 0
		.amdhsa_exception_int_div_zero 0
	.end_amdhsa_kernel
	.section	.text._ZN7rocprim17ROCPRIM_400000_NS6detail17trampoline_kernelINS0_14default_configENS1_35radix_sort_onesweep_config_selectorIjNS0_10empty_typeEEEZNS1_34radix_sort_onesweep_global_offsetsIS3_Lb1EPjPS5_mNS0_19identity_decomposerEEE10hipError_tT1_T2_PT3_SE_jT4_jjP12ihipStream_tbEUlT_E0_NS1_11comp_targetILNS1_3genE10ELNS1_11target_archE1201ELNS1_3gpuE5ELNS1_3repE0EEENS1_52radix_sort_onesweep_histogram_config_static_selectorELNS0_4arch9wavefront6targetE1EEEvSC_,"axG",@progbits,_ZN7rocprim17ROCPRIM_400000_NS6detail17trampoline_kernelINS0_14default_configENS1_35radix_sort_onesweep_config_selectorIjNS0_10empty_typeEEEZNS1_34radix_sort_onesweep_global_offsetsIS3_Lb1EPjPS5_mNS0_19identity_decomposerEEE10hipError_tT1_T2_PT3_SE_jT4_jjP12ihipStream_tbEUlT_E0_NS1_11comp_targetILNS1_3genE10ELNS1_11target_archE1201ELNS1_3gpuE5ELNS1_3repE0EEENS1_52radix_sort_onesweep_histogram_config_static_selectorELNS0_4arch9wavefront6targetE1EEEvSC_,comdat
.Lfunc_end2102:
	.size	_ZN7rocprim17ROCPRIM_400000_NS6detail17trampoline_kernelINS0_14default_configENS1_35radix_sort_onesweep_config_selectorIjNS0_10empty_typeEEEZNS1_34radix_sort_onesweep_global_offsetsIS3_Lb1EPjPS5_mNS0_19identity_decomposerEEE10hipError_tT1_T2_PT3_SE_jT4_jjP12ihipStream_tbEUlT_E0_NS1_11comp_targetILNS1_3genE10ELNS1_11target_archE1201ELNS1_3gpuE5ELNS1_3repE0EEENS1_52radix_sort_onesweep_histogram_config_static_selectorELNS0_4arch9wavefront6targetE1EEEvSC_, .Lfunc_end2102-_ZN7rocprim17ROCPRIM_400000_NS6detail17trampoline_kernelINS0_14default_configENS1_35radix_sort_onesweep_config_selectorIjNS0_10empty_typeEEEZNS1_34radix_sort_onesweep_global_offsetsIS3_Lb1EPjPS5_mNS0_19identity_decomposerEEE10hipError_tT1_T2_PT3_SE_jT4_jjP12ihipStream_tbEUlT_E0_NS1_11comp_targetILNS1_3genE10ELNS1_11target_archE1201ELNS1_3gpuE5ELNS1_3repE0EEENS1_52radix_sort_onesweep_histogram_config_static_selectorELNS0_4arch9wavefront6targetE1EEEvSC_
                                        ; -- End function
	.section	.AMDGPU.csdata,"",@progbits
; Kernel info:
; codeLenInByte = 0
; NumSgprs: 4
; NumVgprs: 0
; NumAgprs: 0
; TotalNumVgprs: 0
; ScratchSize: 0
; MemoryBound: 0
; FloatMode: 240
; IeeeMode: 1
; LDSByteSize: 0 bytes/workgroup (compile time only)
; SGPRBlocks: 0
; VGPRBlocks: 0
; NumSGPRsForWavesPerEU: 4
; NumVGPRsForWavesPerEU: 1
; AccumOffset: 4
; Occupancy: 8
; WaveLimiterHint : 0
; COMPUTE_PGM_RSRC2:SCRATCH_EN: 0
; COMPUTE_PGM_RSRC2:USER_SGPR: 6
; COMPUTE_PGM_RSRC2:TRAP_HANDLER: 0
; COMPUTE_PGM_RSRC2:TGID_X_EN: 1
; COMPUTE_PGM_RSRC2:TGID_Y_EN: 0
; COMPUTE_PGM_RSRC2:TGID_Z_EN: 0
; COMPUTE_PGM_RSRC2:TIDIG_COMP_CNT: 0
; COMPUTE_PGM_RSRC3_GFX90A:ACCUM_OFFSET: 0
; COMPUTE_PGM_RSRC3_GFX90A:TG_SPLIT: 0
	.section	.text._ZN7rocprim17ROCPRIM_400000_NS6detail17trampoline_kernelINS0_14default_configENS1_35radix_sort_onesweep_config_selectorIjNS0_10empty_typeEEEZNS1_34radix_sort_onesweep_global_offsetsIS3_Lb1EPjPS5_mNS0_19identity_decomposerEEE10hipError_tT1_T2_PT3_SE_jT4_jjP12ihipStream_tbEUlT_E0_NS1_11comp_targetILNS1_3genE9ELNS1_11target_archE1100ELNS1_3gpuE3ELNS1_3repE0EEENS1_52radix_sort_onesweep_histogram_config_static_selectorELNS0_4arch9wavefront6targetE1EEEvSC_,"axG",@progbits,_ZN7rocprim17ROCPRIM_400000_NS6detail17trampoline_kernelINS0_14default_configENS1_35radix_sort_onesweep_config_selectorIjNS0_10empty_typeEEEZNS1_34radix_sort_onesweep_global_offsetsIS3_Lb1EPjPS5_mNS0_19identity_decomposerEEE10hipError_tT1_T2_PT3_SE_jT4_jjP12ihipStream_tbEUlT_E0_NS1_11comp_targetILNS1_3genE9ELNS1_11target_archE1100ELNS1_3gpuE3ELNS1_3repE0EEENS1_52radix_sort_onesweep_histogram_config_static_selectorELNS0_4arch9wavefront6targetE1EEEvSC_,comdat
	.protected	_ZN7rocprim17ROCPRIM_400000_NS6detail17trampoline_kernelINS0_14default_configENS1_35radix_sort_onesweep_config_selectorIjNS0_10empty_typeEEEZNS1_34radix_sort_onesweep_global_offsetsIS3_Lb1EPjPS5_mNS0_19identity_decomposerEEE10hipError_tT1_T2_PT3_SE_jT4_jjP12ihipStream_tbEUlT_E0_NS1_11comp_targetILNS1_3genE9ELNS1_11target_archE1100ELNS1_3gpuE3ELNS1_3repE0EEENS1_52radix_sort_onesweep_histogram_config_static_selectorELNS0_4arch9wavefront6targetE1EEEvSC_ ; -- Begin function _ZN7rocprim17ROCPRIM_400000_NS6detail17trampoline_kernelINS0_14default_configENS1_35radix_sort_onesweep_config_selectorIjNS0_10empty_typeEEEZNS1_34radix_sort_onesweep_global_offsetsIS3_Lb1EPjPS5_mNS0_19identity_decomposerEEE10hipError_tT1_T2_PT3_SE_jT4_jjP12ihipStream_tbEUlT_E0_NS1_11comp_targetILNS1_3genE9ELNS1_11target_archE1100ELNS1_3gpuE3ELNS1_3repE0EEENS1_52radix_sort_onesweep_histogram_config_static_selectorELNS0_4arch9wavefront6targetE1EEEvSC_
	.globl	_ZN7rocprim17ROCPRIM_400000_NS6detail17trampoline_kernelINS0_14default_configENS1_35radix_sort_onesweep_config_selectorIjNS0_10empty_typeEEEZNS1_34radix_sort_onesweep_global_offsetsIS3_Lb1EPjPS5_mNS0_19identity_decomposerEEE10hipError_tT1_T2_PT3_SE_jT4_jjP12ihipStream_tbEUlT_E0_NS1_11comp_targetILNS1_3genE9ELNS1_11target_archE1100ELNS1_3gpuE3ELNS1_3repE0EEENS1_52radix_sort_onesweep_histogram_config_static_selectorELNS0_4arch9wavefront6targetE1EEEvSC_
	.p2align	8
	.type	_ZN7rocprim17ROCPRIM_400000_NS6detail17trampoline_kernelINS0_14default_configENS1_35radix_sort_onesweep_config_selectorIjNS0_10empty_typeEEEZNS1_34radix_sort_onesweep_global_offsetsIS3_Lb1EPjPS5_mNS0_19identity_decomposerEEE10hipError_tT1_T2_PT3_SE_jT4_jjP12ihipStream_tbEUlT_E0_NS1_11comp_targetILNS1_3genE9ELNS1_11target_archE1100ELNS1_3gpuE3ELNS1_3repE0EEENS1_52radix_sort_onesweep_histogram_config_static_selectorELNS0_4arch9wavefront6targetE1EEEvSC_,@function
_ZN7rocprim17ROCPRIM_400000_NS6detail17trampoline_kernelINS0_14default_configENS1_35radix_sort_onesweep_config_selectorIjNS0_10empty_typeEEEZNS1_34radix_sort_onesweep_global_offsetsIS3_Lb1EPjPS5_mNS0_19identity_decomposerEEE10hipError_tT1_T2_PT3_SE_jT4_jjP12ihipStream_tbEUlT_E0_NS1_11comp_targetILNS1_3genE9ELNS1_11target_archE1100ELNS1_3gpuE3ELNS1_3repE0EEENS1_52radix_sort_onesweep_histogram_config_static_selectorELNS0_4arch9wavefront6targetE1EEEvSC_: ; @_ZN7rocprim17ROCPRIM_400000_NS6detail17trampoline_kernelINS0_14default_configENS1_35radix_sort_onesweep_config_selectorIjNS0_10empty_typeEEEZNS1_34radix_sort_onesweep_global_offsetsIS3_Lb1EPjPS5_mNS0_19identity_decomposerEEE10hipError_tT1_T2_PT3_SE_jT4_jjP12ihipStream_tbEUlT_E0_NS1_11comp_targetILNS1_3genE9ELNS1_11target_archE1100ELNS1_3gpuE3ELNS1_3repE0EEENS1_52radix_sort_onesweep_histogram_config_static_selectorELNS0_4arch9wavefront6targetE1EEEvSC_
; %bb.0:
	.section	.rodata,"a",@progbits
	.p2align	6, 0x0
	.amdhsa_kernel _ZN7rocprim17ROCPRIM_400000_NS6detail17trampoline_kernelINS0_14default_configENS1_35radix_sort_onesweep_config_selectorIjNS0_10empty_typeEEEZNS1_34radix_sort_onesweep_global_offsetsIS3_Lb1EPjPS5_mNS0_19identity_decomposerEEE10hipError_tT1_T2_PT3_SE_jT4_jjP12ihipStream_tbEUlT_E0_NS1_11comp_targetILNS1_3genE9ELNS1_11target_archE1100ELNS1_3gpuE3ELNS1_3repE0EEENS1_52radix_sort_onesweep_histogram_config_static_selectorELNS0_4arch9wavefront6targetE1EEEvSC_
		.amdhsa_group_segment_fixed_size 0
		.amdhsa_private_segment_fixed_size 0
		.amdhsa_kernarg_size 8
		.amdhsa_user_sgpr_count 6
		.amdhsa_user_sgpr_private_segment_buffer 1
		.amdhsa_user_sgpr_dispatch_ptr 0
		.amdhsa_user_sgpr_queue_ptr 0
		.amdhsa_user_sgpr_kernarg_segment_ptr 1
		.amdhsa_user_sgpr_dispatch_id 0
		.amdhsa_user_sgpr_flat_scratch_init 0
		.amdhsa_user_sgpr_kernarg_preload_length 0
		.amdhsa_user_sgpr_kernarg_preload_offset 0
		.amdhsa_user_sgpr_private_segment_size 0
		.amdhsa_uses_dynamic_stack 0
		.amdhsa_system_sgpr_private_segment_wavefront_offset 0
		.amdhsa_system_sgpr_workgroup_id_x 1
		.amdhsa_system_sgpr_workgroup_id_y 0
		.amdhsa_system_sgpr_workgroup_id_z 0
		.amdhsa_system_sgpr_workgroup_info 0
		.amdhsa_system_vgpr_workitem_id 0
		.amdhsa_next_free_vgpr 1
		.amdhsa_next_free_sgpr 0
		.amdhsa_accum_offset 4
		.amdhsa_reserve_vcc 0
		.amdhsa_reserve_flat_scratch 0
		.amdhsa_float_round_mode_32 0
		.amdhsa_float_round_mode_16_64 0
		.amdhsa_float_denorm_mode_32 3
		.amdhsa_float_denorm_mode_16_64 3
		.amdhsa_dx10_clamp 1
		.amdhsa_ieee_mode 1
		.amdhsa_fp16_overflow 0
		.amdhsa_tg_split 0
		.amdhsa_exception_fp_ieee_invalid_op 0
		.amdhsa_exception_fp_denorm_src 0
		.amdhsa_exception_fp_ieee_div_zero 0
		.amdhsa_exception_fp_ieee_overflow 0
		.amdhsa_exception_fp_ieee_underflow 0
		.amdhsa_exception_fp_ieee_inexact 0
		.amdhsa_exception_int_div_zero 0
	.end_amdhsa_kernel
	.section	.text._ZN7rocprim17ROCPRIM_400000_NS6detail17trampoline_kernelINS0_14default_configENS1_35radix_sort_onesweep_config_selectorIjNS0_10empty_typeEEEZNS1_34radix_sort_onesweep_global_offsetsIS3_Lb1EPjPS5_mNS0_19identity_decomposerEEE10hipError_tT1_T2_PT3_SE_jT4_jjP12ihipStream_tbEUlT_E0_NS1_11comp_targetILNS1_3genE9ELNS1_11target_archE1100ELNS1_3gpuE3ELNS1_3repE0EEENS1_52radix_sort_onesweep_histogram_config_static_selectorELNS0_4arch9wavefront6targetE1EEEvSC_,"axG",@progbits,_ZN7rocprim17ROCPRIM_400000_NS6detail17trampoline_kernelINS0_14default_configENS1_35radix_sort_onesweep_config_selectorIjNS0_10empty_typeEEEZNS1_34radix_sort_onesweep_global_offsetsIS3_Lb1EPjPS5_mNS0_19identity_decomposerEEE10hipError_tT1_T2_PT3_SE_jT4_jjP12ihipStream_tbEUlT_E0_NS1_11comp_targetILNS1_3genE9ELNS1_11target_archE1100ELNS1_3gpuE3ELNS1_3repE0EEENS1_52radix_sort_onesweep_histogram_config_static_selectorELNS0_4arch9wavefront6targetE1EEEvSC_,comdat
.Lfunc_end2103:
	.size	_ZN7rocprim17ROCPRIM_400000_NS6detail17trampoline_kernelINS0_14default_configENS1_35radix_sort_onesweep_config_selectorIjNS0_10empty_typeEEEZNS1_34radix_sort_onesweep_global_offsetsIS3_Lb1EPjPS5_mNS0_19identity_decomposerEEE10hipError_tT1_T2_PT3_SE_jT4_jjP12ihipStream_tbEUlT_E0_NS1_11comp_targetILNS1_3genE9ELNS1_11target_archE1100ELNS1_3gpuE3ELNS1_3repE0EEENS1_52radix_sort_onesweep_histogram_config_static_selectorELNS0_4arch9wavefront6targetE1EEEvSC_, .Lfunc_end2103-_ZN7rocprim17ROCPRIM_400000_NS6detail17trampoline_kernelINS0_14default_configENS1_35radix_sort_onesweep_config_selectorIjNS0_10empty_typeEEEZNS1_34radix_sort_onesweep_global_offsetsIS3_Lb1EPjPS5_mNS0_19identity_decomposerEEE10hipError_tT1_T2_PT3_SE_jT4_jjP12ihipStream_tbEUlT_E0_NS1_11comp_targetILNS1_3genE9ELNS1_11target_archE1100ELNS1_3gpuE3ELNS1_3repE0EEENS1_52radix_sort_onesweep_histogram_config_static_selectorELNS0_4arch9wavefront6targetE1EEEvSC_
                                        ; -- End function
	.section	.AMDGPU.csdata,"",@progbits
; Kernel info:
; codeLenInByte = 0
; NumSgprs: 4
; NumVgprs: 0
; NumAgprs: 0
; TotalNumVgprs: 0
; ScratchSize: 0
; MemoryBound: 0
; FloatMode: 240
; IeeeMode: 1
; LDSByteSize: 0 bytes/workgroup (compile time only)
; SGPRBlocks: 0
; VGPRBlocks: 0
; NumSGPRsForWavesPerEU: 4
; NumVGPRsForWavesPerEU: 1
; AccumOffset: 4
; Occupancy: 8
; WaveLimiterHint : 0
; COMPUTE_PGM_RSRC2:SCRATCH_EN: 0
; COMPUTE_PGM_RSRC2:USER_SGPR: 6
; COMPUTE_PGM_RSRC2:TRAP_HANDLER: 0
; COMPUTE_PGM_RSRC2:TGID_X_EN: 1
; COMPUTE_PGM_RSRC2:TGID_Y_EN: 0
; COMPUTE_PGM_RSRC2:TGID_Z_EN: 0
; COMPUTE_PGM_RSRC2:TIDIG_COMP_CNT: 0
; COMPUTE_PGM_RSRC3_GFX90A:ACCUM_OFFSET: 0
; COMPUTE_PGM_RSRC3_GFX90A:TG_SPLIT: 0
	.section	.text._ZN7rocprim17ROCPRIM_400000_NS6detail17trampoline_kernelINS0_14default_configENS1_35radix_sort_onesweep_config_selectorIjNS0_10empty_typeEEEZNS1_34radix_sort_onesweep_global_offsetsIS3_Lb1EPjPS5_mNS0_19identity_decomposerEEE10hipError_tT1_T2_PT3_SE_jT4_jjP12ihipStream_tbEUlT_E0_NS1_11comp_targetILNS1_3genE8ELNS1_11target_archE1030ELNS1_3gpuE2ELNS1_3repE0EEENS1_52radix_sort_onesweep_histogram_config_static_selectorELNS0_4arch9wavefront6targetE1EEEvSC_,"axG",@progbits,_ZN7rocprim17ROCPRIM_400000_NS6detail17trampoline_kernelINS0_14default_configENS1_35radix_sort_onesweep_config_selectorIjNS0_10empty_typeEEEZNS1_34radix_sort_onesweep_global_offsetsIS3_Lb1EPjPS5_mNS0_19identity_decomposerEEE10hipError_tT1_T2_PT3_SE_jT4_jjP12ihipStream_tbEUlT_E0_NS1_11comp_targetILNS1_3genE8ELNS1_11target_archE1030ELNS1_3gpuE2ELNS1_3repE0EEENS1_52radix_sort_onesweep_histogram_config_static_selectorELNS0_4arch9wavefront6targetE1EEEvSC_,comdat
	.protected	_ZN7rocprim17ROCPRIM_400000_NS6detail17trampoline_kernelINS0_14default_configENS1_35radix_sort_onesweep_config_selectorIjNS0_10empty_typeEEEZNS1_34radix_sort_onesweep_global_offsetsIS3_Lb1EPjPS5_mNS0_19identity_decomposerEEE10hipError_tT1_T2_PT3_SE_jT4_jjP12ihipStream_tbEUlT_E0_NS1_11comp_targetILNS1_3genE8ELNS1_11target_archE1030ELNS1_3gpuE2ELNS1_3repE0EEENS1_52radix_sort_onesweep_histogram_config_static_selectorELNS0_4arch9wavefront6targetE1EEEvSC_ ; -- Begin function _ZN7rocprim17ROCPRIM_400000_NS6detail17trampoline_kernelINS0_14default_configENS1_35radix_sort_onesweep_config_selectorIjNS0_10empty_typeEEEZNS1_34radix_sort_onesweep_global_offsetsIS3_Lb1EPjPS5_mNS0_19identity_decomposerEEE10hipError_tT1_T2_PT3_SE_jT4_jjP12ihipStream_tbEUlT_E0_NS1_11comp_targetILNS1_3genE8ELNS1_11target_archE1030ELNS1_3gpuE2ELNS1_3repE0EEENS1_52radix_sort_onesweep_histogram_config_static_selectorELNS0_4arch9wavefront6targetE1EEEvSC_
	.globl	_ZN7rocprim17ROCPRIM_400000_NS6detail17trampoline_kernelINS0_14default_configENS1_35radix_sort_onesweep_config_selectorIjNS0_10empty_typeEEEZNS1_34radix_sort_onesweep_global_offsetsIS3_Lb1EPjPS5_mNS0_19identity_decomposerEEE10hipError_tT1_T2_PT3_SE_jT4_jjP12ihipStream_tbEUlT_E0_NS1_11comp_targetILNS1_3genE8ELNS1_11target_archE1030ELNS1_3gpuE2ELNS1_3repE0EEENS1_52radix_sort_onesweep_histogram_config_static_selectorELNS0_4arch9wavefront6targetE1EEEvSC_
	.p2align	8
	.type	_ZN7rocprim17ROCPRIM_400000_NS6detail17trampoline_kernelINS0_14default_configENS1_35radix_sort_onesweep_config_selectorIjNS0_10empty_typeEEEZNS1_34radix_sort_onesweep_global_offsetsIS3_Lb1EPjPS5_mNS0_19identity_decomposerEEE10hipError_tT1_T2_PT3_SE_jT4_jjP12ihipStream_tbEUlT_E0_NS1_11comp_targetILNS1_3genE8ELNS1_11target_archE1030ELNS1_3gpuE2ELNS1_3repE0EEENS1_52radix_sort_onesweep_histogram_config_static_selectorELNS0_4arch9wavefront6targetE1EEEvSC_,@function
_ZN7rocprim17ROCPRIM_400000_NS6detail17trampoline_kernelINS0_14default_configENS1_35radix_sort_onesweep_config_selectorIjNS0_10empty_typeEEEZNS1_34radix_sort_onesweep_global_offsetsIS3_Lb1EPjPS5_mNS0_19identity_decomposerEEE10hipError_tT1_T2_PT3_SE_jT4_jjP12ihipStream_tbEUlT_E0_NS1_11comp_targetILNS1_3genE8ELNS1_11target_archE1030ELNS1_3gpuE2ELNS1_3repE0EEENS1_52radix_sort_onesweep_histogram_config_static_selectorELNS0_4arch9wavefront6targetE1EEEvSC_: ; @_ZN7rocprim17ROCPRIM_400000_NS6detail17trampoline_kernelINS0_14default_configENS1_35radix_sort_onesweep_config_selectorIjNS0_10empty_typeEEEZNS1_34radix_sort_onesweep_global_offsetsIS3_Lb1EPjPS5_mNS0_19identity_decomposerEEE10hipError_tT1_T2_PT3_SE_jT4_jjP12ihipStream_tbEUlT_E0_NS1_11comp_targetILNS1_3genE8ELNS1_11target_archE1030ELNS1_3gpuE2ELNS1_3repE0EEENS1_52radix_sort_onesweep_histogram_config_static_selectorELNS0_4arch9wavefront6targetE1EEEvSC_
; %bb.0:
	.section	.rodata,"a",@progbits
	.p2align	6, 0x0
	.amdhsa_kernel _ZN7rocprim17ROCPRIM_400000_NS6detail17trampoline_kernelINS0_14default_configENS1_35radix_sort_onesweep_config_selectorIjNS0_10empty_typeEEEZNS1_34radix_sort_onesweep_global_offsetsIS3_Lb1EPjPS5_mNS0_19identity_decomposerEEE10hipError_tT1_T2_PT3_SE_jT4_jjP12ihipStream_tbEUlT_E0_NS1_11comp_targetILNS1_3genE8ELNS1_11target_archE1030ELNS1_3gpuE2ELNS1_3repE0EEENS1_52radix_sort_onesweep_histogram_config_static_selectorELNS0_4arch9wavefront6targetE1EEEvSC_
		.amdhsa_group_segment_fixed_size 0
		.amdhsa_private_segment_fixed_size 0
		.amdhsa_kernarg_size 8
		.amdhsa_user_sgpr_count 6
		.amdhsa_user_sgpr_private_segment_buffer 1
		.amdhsa_user_sgpr_dispatch_ptr 0
		.amdhsa_user_sgpr_queue_ptr 0
		.amdhsa_user_sgpr_kernarg_segment_ptr 1
		.amdhsa_user_sgpr_dispatch_id 0
		.amdhsa_user_sgpr_flat_scratch_init 0
		.amdhsa_user_sgpr_kernarg_preload_length 0
		.amdhsa_user_sgpr_kernarg_preload_offset 0
		.amdhsa_user_sgpr_private_segment_size 0
		.amdhsa_uses_dynamic_stack 0
		.amdhsa_system_sgpr_private_segment_wavefront_offset 0
		.amdhsa_system_sgpr_workgroup_id_x 1
		.amdhsa_system_sgpr_workgroup_id_y 0
		.amdhsa_system_sgpr_workgroup_id_z 0
		.amdhsa_system_sgpr_workgroup_info 0
		.amdhsa_system_vgpr_workitem_id 0
		.amdhsa_next_free_vgpr 1
		.amdhsa_next_free_sgpr 0
		.amdhsa_accum_offset 4
		.amdhsa_reserve_vcc 0
		.amdhsa_reserve_flat_scratch 0
		.amdhsa_float_round_mode_32 0
		.amdhsa_float_round_mode_16_64 0
		.amdhsa_float_denorm_mode_32 3
		.amdhsa_float_denorm_mode_16_64 3
		.amdhsa_dx10_clamp 1
		.amdhsa_ieee_mode 1
		.amdhsa_fp16_overflow 0
		.amdhsa_tg_split 0
		.amdhsa_exception_fp_ieee_invalid_op 0
		.amdhsa_exception_fp_denorm_src 0
		.amdhsa_exception_fp_ieee_div_zero 0
		.amdhsa_exception_fp_ieee_overflow 0
		.amdhsa_exception_fp_ieee_underflow 0
		.amdhsa_exception_fp_ieee_inexact 0
		.amdhsa_exception_int_div_zero 0
	.end_amdhsa_kernel
	.section	.text._ZN7rocprim17ROCPRIM_400000_NS6detail17trampoline_kernelINS0_14default_configENS1_35radix_sort_onesweep_config_selectorIjNS0_10empty_typeEEEZNS1_34radix_sort_onesweep_global_offsetsIS3_Lb1EPjPS5_mNS0_19identity_decomposerEEE10hipError_tT1_T2_PT3_SE_jT4_jjP12ihipStream_tbEUlT_E0_NS1_11comp_targetILNS1_3genE8ELNS1_11target_archE1030ELNS1_3gpuE2ELNS1_3repE0EEENS1_52radix_sort_onesweep_histogram_config_static_selectorELNS0_4arch9wavefront6targetE1EEEvSC_,"axG",@progbits,_ZN7rocprim17ROCPRIM_400000_NS6detail17trampoline_kernelINS0_14default_configENS1_35radix_sort_onesweep_config_selectorIjNS0_10empty_typeEEEZNS1_34radix_sort_onesweep_global_offsetsIS3_Lb1EPjPS5_mNS0_19identity_decomposerEEE10hipError_tT1_T2_PT3_SE_jT4_jjP12ihipStream_tbEUlT_E0_NS1_11comp_targetILNS1_3genE8ELNS1_11target_archE1030ELNS1_3gpuE2ELNS1_3repE0EEENS1_52radix_sort_onesweep_histogram_config_static_selectorELNS0_4arch9wavefront6targetE1EEEvSC_,comdat
.Lfunc_end2104:
	.size	_ZN7rocprim17ROCPRIM_400000_NS6detail17trampoline_kernelINS0_14default_configENS1_35radix_sort_onesweep_config_selectorIjNS0_10empty_typeEEEZNS1_34radix_sort_onesweep_global_offsetsIS3_Lb1EPjPS5_mNS0_19identity_decomposerEEE10hipError_tT1_T2_PT3_SE_jT4_jjP12ihipStream_tbEUlT_E0_NS1_11comp_targetILNS1_3genE8ELNS1_11target_archE1030ELNS1_3gpuE2ELNS1_3repE0EEENS1_52radix_sort_onesweep_histogram_config_static_selectorELNS0_4arch9wavefront6targetE1EEEvSC_, .Lfunc_end2104-_ZN7rocprim17ROCPRIM_400000_NS6detail17trampoline_kernelINS0_14default_configENS1_35radix_sort_onesweep_config_selectorIjNS0_10empty_typeEEEZNS1_34radix_sort_onesweep_global_offsetsIS3_Lb1EPjPS5_mNS0_19identity_decomposerEEE10hipError_tT1_T2_PT3_SE_jT4_jjP12ihipStream_tbEUlT_E0_NS1_11comp_targetILNS1_3genE8ELNS1_11target_archE1030ELNS1_3gpuE2ELNS1_3repE0EEENS1_52radix_sort_onesweep_histogram_config_static_selectorELNS0_4arch9wavefront6targetE1EEEvSC_
                                        ; -- End function
	.section	.AMDGPU.csdata,"",@progbits
; Kernel info:
; codeLenInByte = 0
; NumSgprs: 4
; NumVgprs: 0
; NumAgprs: 0
; TotalNumVgprs: 0
; ScratchSize: 0
; MemoryBound: 0
; FloatMode: 240
; IeeeMode: 1
; LDSByteSize: 0 bytes/workgroup (compile time only)
; SGPRBlocks: 0
; VGPRBlocks: 0
; NumSGPRsForWavesPerEU: 4
; NumVGPRsForWavesPerEU: 1
; AccumOffset: 4
; Occupancy: 8
; WaveLimiterHint : 0
; COMPUTE_PGM_RSRC2:SCRATCH_EN: 0
; COMPUTE_PGM_RSRC2:USER_SGPR: 6
; COMPUTE_PGM_RSRC2:TRAP_HANDLER: 0
; COMPUTE_PGM_RSRC2:TGID_X_EN: 1
; COMPUTE_PGM_RSRC2:TGID_Y_EN: 0
; COMPUTE_PGM_RSRC2:TGID_Z_EN: 0
; COMPUTE_PGM_RSRC2:TIDIG_COMP_CNT: 0
; COMPUTE_PGM_RSRC3_GFX90A:ACCUM_OFFSET: 0
; COMPUTE_PGM_RSRC3_GFX90A:TG_SPLIT: 0
	.section	.text._ZN7rocprim17ROCPRIM_400000_NS6detail17trampoline_kernelINS0_14default_configENS1_35radix_sort_onesweep_config_selectorIjNS0_10empty_typeEEEZZNS1_29radix_sort_onesweep_iterationIS3_Lb1EPjS8_PS5_S9_mNS0_19identity_decomposerENS1_16block_id_wrapperIjLb1EEEEE10hipError_tT1_PNSt15iterator_traitsISE_E10value_typeET2_T3_PNSF_ISK_E10value_typeET4_T5_PSP_SQ_PNS1_23onesweep_lookback_stateEbbT6_jjT7_P12ihipStream_tbENKUlT_T0_SE_SJ_E_clIS8_S8_S9_S9_EEDaSX_SY_SE_SJ_EUlSX_E_NS1_11comp_targetILNS1_3genE0ELNS1_11target_archE4294967295ELNS1_3gpuE0ELNS1_3repE0EEENS1_47radix_sort_onesweep_sort_config_static_selectorELNS0_4arch9wavefront6targetE1EEEvSE_,"axG",@progbits,_ZN7rocprim17ROCPRIM_400000_NS6detail17trampoline_kernelINS0_14default_configENS1_35radix_sort_onesweep_config_selectorIjNS0_10empty_typeEEEZZNS1_29radix_sort_onesweep_iterationIS3_Lb1EPjS8_PS5_S9_mNS0_19identity_decomposerENS1_16block_id_wrapperIjLb1EEEEE10hipError_tT1_PNSt15iterator_traitsISE_E10value_typeET2_T3_PNSF_ISK_E10value_typeET4_T5_PSP_SQ_PNS1_23onesweep_lookback_stateEbbT6_jjT7_P12ihipStream_tbENKUlT_T0_SE_SJ_E_clIS8_S8_S9_S9_EEDaSX_SY_SE_SJ_EUlSX_E_NS1_11comp_targetILNS1_3genE0ELNS1_11target_archE4294967295ELNS1_3gpuE0ELNS1_3repE0EEENS1_47radix_sort_onesweep_sort_config_static_selectorELNS0_4arch9wavefront6targetE1EEEvSE_,comdat
	.protected	_ZN7rocprim17ROCPRIM_400000_NS6detail17trampoline_kernelINS0_14default_configENS1_35radix_sort_onesweep_config_selectorIjNS0_10empty_typeEEEZZNS1_29radix_sort_onesweep_iterationIS3_Lb1EPjS8_PS5_S9_mNS0_19identity_decomposerENS1_16block_id_wrapperIjLb1EEEEE10hipError_tT1_PNSt15iterator_traitsISE_E10value_typeET2_T3_PNSF_ISK_E10value_typeET4_T5_PSP_SQ_PNS1_23onesweep_lookback_stateEbbT6_jjT7_P12ihipStream_tbENKUlT_T0_SE_SJ_E_clIS8_S8_S9_S9_EEDaSX_SY_SE_SJ_EUlSX_E_NS1_11comp_targetILNS1_3genE0ELNS1_11target_archE4294967295ELNS1_3gpuE0ELNS1_3repE0EEENS1_47radix_sort_onesweep_sort_config_static_selectorELNS0_4arch9wavefront6targetE1EEEvSE_ ; -- Begin function _ZN7rocprim17ROCPRIM_400000_NS6detail17trampoline_kernelINS0_14default_configENS1_35radix_sort_onesweep_config_selectorIjNS0_10empty_typeEEEZZNS1_29radix_sort_onesweep_iterationIS3_Lb1EPjS8_PS5_S9_mNS0_19identity_decomposerENS1_16block_id_wrapperIjLb1EEEEE10hipError_tT1_PNSt15iterator_traitsISE_E10value_typeET2_T3_PNSF_ISK_E10value_typeET4_T5_PSP_SQ_PNS1_23onesweep_lookback_stateEbbT6_jjT7_P12ihipStream_tbENKUlT_T0_SE_SJ_E_clIS8_S8_S9_S9_EEDaSX_SY_SE_SJ_EUlSX_E_NS1_11comp_targetILNS1_3genE0ELNS1_11target_archE4294967295ELNS1_3gpuE0ELNS1_3repE0EEENS1_47radix_sort_onesweep_sort_config_static_selectorELNS0_4arch9wavefront6targetE1EEEvSE_
	.globl	_ZN7rocprim17ROCPRIM_400000_NS6detail17trampoline_kernelINS0_14default_configENS1_35radix_sort_onesweep_config_selectorIjNS0_10empty_typeEEEZZNS1_29radix_sort_onesweep_iterationIS3_Lb1EPjS8_PS5_S9_mNS0_19identity_decomposerENS1_16block_id_wrapperIjLb1EEEEE10hipError_tT1_PNSt15iterator_traitsISE_E10value_typeET2_T3_PNSF_ISK_E10value_typeET4_T5_PSP_SQ_PNS1_23onesweep_lookback_stateEbbT6_jjT7_P12ihipStream_tbENKUlT_T0_SE_SJ_E_clIS8_S8_S9_S9_EEDaSX_SY_SE_SJ_EUlSX_E_NS1_11comp_targetILNS1_3genE0ELNS1_11target_archE4294967295ELNS1_3gpuE0ELNS1_3repE0EEENS1_47radix_sort_onesweep_sort_config_static_selectorELNS0_4arch9wavefront6targetE1EEEvSE_
	.p2align	8
	.type	_ZN7rocprim17ROCPRIM_400000_NS6detail17trampoline_kernelINS0_14default_configENS1_35radix_sort_onesweep_config_selectorIjNS0_10empty_typeEEEZZNS1_29radix_sort_onesweep_iterationIS3_Lb1EPjS8_PS5_S9_mNS0_19identity_decomposerENS1_16block_id_wrapperIjLb1EEEEE10hipError_tT1_PNSt15iterator_traitsISE_E10value_typeET2_T3_PNSF_ISK_E10value_typeET4_T5_PSP_SQ_PNS1_23onesweep_lookback_stateEbbT6_jjT7_P12ihipStream_tbENKUlT_T0_SE_SJ_E_clIS8_S8_S9_S9_EEDaSX_SY_SE_SJ_EUlSX_E_NS1_11comp_targetILNS1_3genE0ELNS1_11target_archE4294967295ELNS1_3gpuE0ELNS1_3repE0EEENS1_47radix_sort_onesweep_sort_config_static_selectorELNS0_4arch9wavefront6targetE1EEEvSE_,@function
_ZN7rocprim17ROCPRIM_400000_NS6detail17trampoline_kernelINS0_14default_configENS1_35radix_sort_onesweep_config_selectorIjNS0_10empty_typeEEEZZNS1_29radix_sort_onesweep_iterationIS3_Lb1EPjS8_PS5_S9_mNS0_19identity_decomposerENS1_16block_id_wrapperIjLb1EEEEE10hipError_tT1_PNSt15iterator_traitsISE_E10value_typeET2_T3_PNSF_ISK_E10value_typeET4_T5_PSP_SQ_PNS1_23onesweep_lookback_stateEbbT6_jjT7_P12ihipStream_tbENKUlT_T0_SE_SJ_E_clIS8_S8_S9_S9_EEDaSX_SY_SE_SJ_EUlSX_E_NS1_11comp_targetILNS1_3genE0ELNS1_11target_archE4294967295ELNS1_3gpuE0ELNS1_3repE0EEENS1_47radix_sort_onesweep_sort_config_static_selectorELNS0_4arch9wavefront6targetE1EEEvSE_: ; @_ZN7rocprim17ROCPRIM_400000_NS6detail17trampoline_kernelINS0_14default_configENS1_35radix_sort_onesweep_config_selectorIjNS0_10empty_typeEEEZZNS1_29radix_sort_onesweep_iterationIS3_Lb1EPjS8_PS5_S9_mNS0_19identity_decomposerENS1_16block_id_wrapperIjLb1EEEEE10hipError_tT1_PNSt15iterator_traitsISE_E10value_typeET2_T3_PNSF_ISK_E10value_typeET4_T5_PSP_SQ_PNS1_23onesweep_lookback_stateEbbT6_jjT7_P12ihipStream_tbENKUlT_T0_SE_SJ_E_clIS8_S8_S9_S9_EEDaSX_SY_SE_SJ_EUlSX_E_NS1_11comp_targetILNS1_3genE0ELNS1_11target_archE4294967295ELNS1_3gpuE0ELNS1_3repE0EEENS1_47radix_sort_onesweep_sort_config_static_selectorELNS0_4arch9wavefront6targetE1EEEvSE_
; %bb.0:
	.section	.rodata,"a",@progbits
	.p2align	6, 0x0
	.amdhsa_kernel _ZN7rocprim17ROCPRIM_400000_NS6detail17trampoline_kernelINS0_14default_configENS1_35radix_sort_onesweep_config_selectorIjNS0_10empty_typeEEEZZNS1_29radix_sort_onesweep_iterationIS3_Lb1EPjS8_PS5_S9_mNS0_19identity_decomposerENS1_16block_id_wrapperIjLb1EEEEE10hipError_tT1_PNSt15iterator_traitsISE_E10value_typeET2_T3_PNSF_ISK_E10value_typeET4_T5_PSP_SQ_PNS1_23onesweep_lookback_stateEbbT6_jjT7_P12ihipStream_tbENKUlT_T0_SE_SJ_E_clIS8_S8_S9_S9_EEDaSX_SY_SE_SJ_EUlSX_E_NS1_11comp_targetILNS1_3genE0ELNS1_11target_archE4294967295ELNS1_3gpuE0ELNS1_3repE0EEENS1_47radix_sort_onesweep_sort_config_static_selectorELNS0_4arch9wavefront6targetE1EEEvSE_
		.amdhsa_group_segment_fixed_size 0
		.amdhsa_private_segment_fixed_size 0
		.amdhsa_kernarg_size 88
		.amdhsa_user_sgpr_count 6
		.amdhsa_user_sgpr_private_segment_buffer 1
		.amdhsa_user_sgpr_dispatch_ptr 0
		.amdhsa_user_sgpr_queue_ptr 0
		.amdhsa_user_sgpr_kernarg_segment_ptr 1
		.amdhsa_user_sgpr_dispatch_id 0
		.amdhsa_user_sgpr_flat_scratch_init 0
		.amdhsa_user_sgpr_kernarg_preload_length 0
		.amdhsa_user_sgpr_kernarg_preload_offset 0
		.amdhsa_user_sgpr_private_segment_size 0
		.amdhsa_uses_dynamic_stack 0
		.amdhsa_system_sgpr_private_segment_wavefront_offset 0
		.amdhsa_system_sgpr_workgroup_id_x 1
		.amdhsa_system_sgpr_workgroup_id_y 0
		.amdhsa_system_sgpr_workgroup_id_z 0
		.amdhsa_system_sgpr_workgroup_info 0
		.amdhsa_system_vgpr_workitem_id 0
		.amdhsa_next_free_vgpr 1
		.amdhsa_next_free_sgpr 0
		.amdhsa_accum_offset 4
		.amdhsa_reserve_vcc 0
		.amdhsa_reserve_flat_scratch 0
		.amdhsa_float_round_mode_32 0
		.amdhsa_float_round_mode_16_64 0
		.amdhsa_float_denorm_mode_32 3
		.amdhsa_float_denorm_mode_16_64 3
		.amdhsa_dx10_clamp 1
		.amdhsa_ieee_mode 1
		.amdhsa_fp16_overflow 0
		.amdhsa_tg_split 0
		.amdhsa_exception_fp_ieee_invalid_op 0
		.amdhsa_exception_fp_denorm_src 0
		.amdhsa_exception_fp_ieee_div_zero 0
		.amdhsa_exception_fp_ieee_overflow 0
		.amdhsa_exception_fp_ieee_underflow 0
		.amdhsa_exception_fp_ieee_inexact 0
		.amdhsa_exception_int_div_zero 0
	.end_amdhsa_kernel
	.section	.text._ZN7rocprim17ROCPRIM_400000_NS6detail17trampoline_kernelINS0_14default_configENS1_35radix_sort_onesweep_config_selectorIjNS0_10empty_typeEEEZZNS1_29radix_sort_onesweep_iterationIS3_Lb1EPjS8_PS5_S9_mNS0_19identity_decomposerENS1_16block_id_wrapperIjLb1EEEEE10hipError_tT1_PNSt15iterator_traitsISE_E10value_typeET2_T3_PNSF_ISK_E10value_typeET4_T5_PSP_SQ_PNS1_23onesweep_lookback_stateEbbT6_jjT7_P12ihipStream_tbENKUlT_T0_SE_SJ_E_clIS8_S8_S9_S9_EEDaSX_SY_SE_SJ_EUlSX_E_NS1_11comp_targetILNS1_3genE0ELNS1_11target_archE4294967295ELNS1_3gpuE0ELNS1_3repE0EEENS1_47radix_sort_onesweep_sort_config_static_selectorELNS0_4arch9wavefront6targetE1EEEvSE_,"axG",@progbits,_ZN7rocprim17ROCPRIM_400000_NS6detail17trampoline_kernelINS0_14default_configENS1_35radix_sort_onesweep_config_selectorIjNS0_10empty_typeEEEZZNS1_29radix_sort_onesweep_iterationIS3_Lb1EPjS8_PS5_S9_mNS0_19identity_decomposerENS1_16block_id_wrapperIjLb1EEEEE10hipError_tT1_PNSt15iterator_traitsISE_E10value_typeET2_T3_PNSF_ISK_E10value_typeET4_T5_PSP_SQ_PNS1_23onesweep_lookback_stateEbbT6_jjT7_P12ihipStream_tbENKUlT_T0_SE_SJ_E_clIS8_S8_S9_S9_EEDaSX_SY_SE_SJ_EUlSX_E_NS1_11comp_targetILNS1_3genE0ELNS1_11target_archE4294967295ELNS1_3gpuE0ELNS1_3repE0EEENS1_47radix_sort_onesweep_sort_config_static_selectorELNS0_4arch9wavefront6targetE1EEEvSE_,comdat
.Lfunc_end2105:
	.size	_ZN7rocprim17ROCPRIM_400000_NS6detail17trampoline_kernelINS0_14default_configENS1_35radix_sort_onesweep_config_selectorIjNS0_10empty_typeEEEZZNS1_29radix_sort_onesweep_iterationIS3_Lb1EPjS8_PS5_S9_mNS0_19identity_decomposerENS1_16block_id_wrapperIjLb1EEEEE10hipError_tT1_PNSt15iterator_traitsISE_E10value_typeET2_T3_PNSF_ISK_E10value_typeET4_T5_PSP_SQ_PNS1_23onesweep_lookback_stateEbbT6_jjT7_P12ihipStream_tbENKUlT_T0_SE_SJ_E_clIS8_S8_S9_S9_EEDaSX_SY_SE_SJ_EUlSX_E_NS1_11comp_targetILNS1_3genE0ELNS1_11target_archE4294967295ELNS1_3gpuE0ELNS1_3repE0EEENS1_47radix_sort_onesweep_sort_config_static_selectorELNS0_4arch9wavefront6targetE1EEEvSE_, .Lfunc_end2105-_ZN7rocprim17ROCPRIM_400000_NS6detail17trampoline_kernelINS0_14default_configENS1_35radix_sort_onesweep_config_selectorIjNS0_10empty_typeEEEZZNS1_29radix_sort_onesweep_iterationIS3_Lb1EPjS8_PS5_S9_mNS0_19identity_decomposerENS1_16block_id_wrapperIjLb1EEEEE10hipError_tT1_PNSt15iterator_traitsISE_E10value_typeET2_T3_PNSF_ISK_E10value_typeET4_T5_PSP_SQ_PNS1_23onesweep_lookback_stateEbbT6_jjT7_P12ihipStream_tbENKUlT_T0_SE_SJ_E_clIS8_S8_S9_S9_EEDaSX_SY_SE_SJ_EUlSX_E_NS1_11comp_targetILNS1_3genE0ELNS1_11target_archE4294967295ELNS1_3gpuE0ELNS1_3repE0EEENS1_47radix_sort_onesweep_sort_config_static_selectorELNS0_4arch9wavefront6targetE1EEEvSE_
                                        ; -- End function
	.section	.AMDGPU.csdata,"",@progbits
; Kernel info:
; codeLenInByte = 0
; NumSgprs: 4
; NumVgprs: 0
; NumAgprs: 0
; TotalNumVgprs: 0
; ScratchSize: 0
; MemoryBound: 0
; FloatMode: 240
; IeeeMode: 1
; LDSByteSize: 0 bytes/workgroup (compile time only)
; SGPRBlocks: 0
; VGPRBlocks: 0
; NumSGPRsForWavesPerEU: 4
; NumVGPRsForWavesPerEU: 1
; AccumOffset: 4
; Occupancy: 8
; WaveLimiterHint : 0
; COMPUTE_PGM_RSRC2:SCRATCH_EN: 0
; COMPUTE_PGM_RSRC2:USER_SGPR: 6
; COMPUTE_PGM_RSRC2:TRAP_HANDLER: 0
; COMPUTE_PGM_RSRC2:TGID_X_EN: 1
; COMPUTE_PGM_RSRC2:TGID_Y_EN: 0
; COMPUTE_PGM_RSRC2:TGID_Z_EN: 0
; COMPUTE_PGM_RSRC2:TIDIG_COMP_CNT: 0
; COMPUTE_PGM_RSRC3_GFX90A:ACCUM_OFFSET: 0
; COMPUTE_PGM_RSRC3_GFX90A:TG_SPLIT: 0
	.section	.text._ZN7rocprim17ROCPRIM_400000_NS6detail17trampoline_kernelINS0_14default_configENS1_35radix_sort_onesweep_config_selectorIjNS0_10empty_typeEEEZZNS1_29radix_sort_onesweep_iterationIS3_Lb1EPjS8_PS5_S9_mNS0_19identity_decomposerENS1_16block_id_wrapperIjLb1EEEEE10hipError_tT1_PNSt15iterator_traitsISE_E10value_typeET2_T3_PNSF_ISK_E10value_typeET4_T5_PSP_SQ_PNS1_23onesweep_lookback_stateEbbT6_jjT7_P12ihipStream_tbENKUlT_T0_SE_SJ_E_clIS8_S8_S9_S9_EEDaSX_SY_SE_SJ_EUlSX_E_NS1_11comp_targetILNS1_3genE6ELNS1_11target_archE950ELNS1_3gpuE13ELNS1_3repE0EEENS1_47radix_sort_onesweep_sort_config_static_selectorELNS0_4arch9wavefront6targetE1EEEvSE_,"axG",@progbits,_ZN7rocprim17ROCPRIM_400000_NS6detail17trampoline_kernelINS0_14default_configENS1_35radix_sort_onesweep_config_selectorIjNS0_10empty_typeEEEZZNS1_29radix_sort_onesweep_iterationIS3_Lb1EPjS8_PS5_S9_mNS0_19identity_decomposerENS1_16block_id_wrapperIjLb1EEEEE10hipError_tT1_PNSt15iterator_traitsISE_E10value_typeET2_T3_PNSF_ISK_E10value_typeET4_T5_PSP_SQ_PNS1_23onesweep_lookback_stateEbbT6_jjT7_P12ihipStream_tbENKUlT_T0_SE_SJ_E_clIS8_S8_S9_S9_EEDaSX_SY_SE_SJ_EUlSX_E_NS1_11comp_targetILNS1_3genE6ELNS1_11target_archE950ELNS1_3gpuE13ELNS1_3repE0EEENS1_47radix_sort_onesweep_sort_config_static_selectorELNS0_4arch9wavefront6targetE1EEEvSE_,comdat
	.protected	_ZN7rocprim17ROCPRIM_400000_NS6detail17trampoline_kernelINS0_14default_configENS1_35radix_sort_onesweep_config_selectorIjNS0_10empty_typeEEEZZNS1_29radix_sort_onesweep_iterationIS3_Lb1EPjS8_PS5_S9_mNS0_19identity_decomposerENS1_16block_id_wrapperIjLb1EEEEE10hipError_tT1_PNSt15iterator_traitsISE_E10value_typeET2_T3_PNSF_ISK_E10value_typeET4_T5_PSP_SQ_PNS1_23onesweep_lookback_stateEbbT6_jjT7_P12ihipStream_tbENKUlT_T0_SE_SJ_E_clIS8_S8_S9_S9_EEDaSX_SY_SE_SJ_EUlSX_E_NS1_11comp_targetILNS1_3genE6ELNS1_11target_archE950ELNS1_3gpuE13ELNS1_3repE0EEENS1_47radix_sort_onesweep_sort_config_static_selectorELNS0_4arch9wavefront6targetE1EEEvSE_ ; -- Begin function _ZN7rocprim17ROCPRIM_400000_NS6detail17trampoline_kernelINS0_14default_configENS1_35radix_sort_onesweep_config_selectorIjNS0_10empty_typeEEEZZNS1_29radix_sort_onesweep_iterationIS3_Lb1EPjS8_PS5_S9_mNS0_19identity_decomposerENS1_16block_id_wrapperIjLb1EEEEE10hipError_tT1_PNSt15iterator_traitsISE_E10value_typeET2_T3_PNSF_ISK_E10value_typeET4_T5_PSP_SQ_PNS1_23onesweep_lookback_stateEbbT6_jjT7_P12ihipStream_tbENKUlT_T0_SE_SJ_E_clIS8_S8_S9_S9_EEDaSX_SY_SE_SJ_EUlSX_E_NS1_11comp_targetILNS1_3genE6ELNS1_11target_archE950ELNS1_3gpuE13ELNS1_3repE0EEENS1_47radix_sort_onesweep_sort_config_static_selectorELNS0_4arch9wavefront6targetE1EEEvSE_
	.globl	_ZN7rocprim17ROCPRIM_400000_NS6detail17trampoline_kernelINS0_14default_configENS1_35radix_sort_onesweep_config_selectorIjNS0_10empty_typeEEEZZNS1_29radix_sort_onesweep_iterationIS3_Lb1EPjS8_PS5_S9_mNS0_19identity_decomposerENS1_16block_id_wrapperIjLb1EEEEE10hipError_tT1_PNSt15iterator_traitsISE_E10value_typeET2_T3_PNSF_ISK_E10value_typeET4_T5_PSP_SQ_PNS1_23onesweep_lookback_stateEbbT6_jjT7_P12ihipStream_tbENKUlT_T0_SE_SJ_E_clIS8_S8_S9_S9_EEDaSX_SY_SE_SJ_EUlSX_E_NS1_11comp_targetILNS1_3genE6ELNS1_11target_archE950ELNS1_3gpuE13ELNS1_3repE0EEENS1_47radix_sort_onesweep_sort_config_static_selectorELNS0_4arch9wavefront6targetE1EEEvSE_
	.p2align	8
	.type	_ZN7rocprim17ROCPRIM_400000_NS6detail17trampoline_kernelINS0_14default_configENS1_35radix_sort_onesweep_config_selectorIjNS0_10empty_typeEEEZZNS1_29radix_sort_onesweep_iterationIS3_Lb1EPjS8_PS5_S9_mNS0_19identity_decomposerENS1_16block_id_wrapperIjLb1EEEEE10hipError_tT1_PNSt15iterator_traitsISE_E10value_typeET2_T3_PNSF_ISK_E10value_typeET4_T5_PSP_SQ_PNS1_23onesweep_lookback_stateEbbT6_jjT7_P12ihipStream_tbENKUlT_T0_SE_SJ_E_clIS8_S8_S9_S9_EEDaSX_SY_SE_SJ_EUlSX_E_NS1_11comp_targetILNS1_3genE6ELNS1_11target_archE950ELNS1_3gpuE13ELNS1_3repE0EEENS1_47radix_sort_onesweep_sort_config_static_selectorELNS0_4arch9wavefront6targetE1EEEvSE_,@function
_ZN7rocprim17ROCPRIM_400000_NS6detail17trampoline_kernelINS0_14default_configENS1_35radix_sort_onesweep_config_selectorIjNS0_10empty_typeEEEZZNS1_29radix_sort_onesweep_iterationIS3_Lb1EPjS8_PS5_S9_mNS0_19identity_decomposerENS1_16block_id_wrapperIjLb1EEEEE10hipError_tT1_PNSt15iterator_traitsISE_E10value_typeET2_T3_PNSF_ISK_E10value_typeET4_T5_PSP_SQ_PNS1_23onesweep_lookback_stateEbbT6_jjT7_P12ihipStream_tbENKUlT_T0_SE_SJ_E_clIS8_S8_S9_S9_EEDaSX_SY_SE_SJ_EUlSX_E_NS1_11comp_targetILNS1_3genE6ELNS1_11target_archE950ELNS1_3gpuE13ELNS1_3repE0EEENS1_47radix_sort_onesweep_sort_config_static_selectorELNS0_4arch9wavefront6targetE1EEEvSE_: ; @_ZN7rocprim17ROCPRIM_400000_NS6detail17trampoline_kernelINS0_14default_configENS1_35radix_sort_onesweep_config_selectorIjNS0_10empty_typeEEEZZNS1_29radix_sort_onesweep_iterationIS3_Lb1EPjS8_PS5_S9_mNS0_19identity_decomposerENS1_16block_id_wrapperIjLb1EEEEE10hipError_tT1_PNSt15iterator_traitsISE_E10value_typeET2_T3_PNSF_ISK_E10value_typeET4_T5_PSP_SQ_PNS1_23onesweep_lookback_stateEbbT6_jjT7_P12ihipStream_tbENKUlT_T0_SE_SJ_E_clIS8_S8_S9_S9_EEDaSX_SY_SE_SJ_EUlSX_E_NS1_11comp_targetILNS1_3genE6ELNS1_11target_archE950ELNS1_3gpuE13ELNS1_3repE0EEENS1_47radix_sort_onesweep_sort_config_static_selectorELNS0_4arch9wavefront6targetE1EEEvSE_
; %bb.0:
	.section	.rodata,"a",@progbits
	.p2align	6, 0x0
	.amdhsa_kernel _ZN7rocprim17ROCPRIM_400000_NS6detail17trampoline_kernelINS0_14default_configENS1_35radix_sort_onesweep_config_selectorIjNS0_10empty_typeEEEZZNS1_29radix_sort_onesweep_iterationIS3_Lb1EPjS8_PS5_S9_mNS0_19identity_decomposerENS1_16block_id_wrapperIjLb1EEEEE10hipError_tT1_PNSt15iterator_traitsISE_E10value_typeET2_T3_PNSF_ISK_E10value_typeET4_T5_PSP_SQ_PNS1_23onesweep_lookback_stateEbbT6_jjT7_P12ihipStream_tbENKUlT_T0_SE_SJ_E_clIS8_S8_S9_S9_EEDaSX_SY_SE_SJ_EUlSX_E_NS1_11comp_targetILNS1_3genE6ELNS1_11target_archE950ELNS1_3gpuE13ELNS1_3repE0EEENS1_47radix_sort_onesweep_sort_config_static_selectorELNS0_4arch9wavefront6targetE1EEEvSE_
		.amdhsa_group_segment_fixed_size 0
		.amdhsa_private_segment_fixed_size 0
		.amdhsa_kernarg_size 88
		.amdhsa_user_sgpr_count 6
		.amdhsa_user_sgpr_private_segment_buffer 1
		.amdhsa_user_sgpr_dispatch_ptr 0
		.amdhsa_user_sgpr_queue_ptr 0
		.amdhsa_user_sgpr_kernarg_segment_ptr 1
		.amdhsa_user_sgpr_dispatch_id 0
		.amdhsa_user_sgpr_flat_scratch_init 0
		.amdhsa_user_sgpr_kernarg_preload_length 0
		.amdhsa_user_sgpr_kernarg_preload_offset 0
		.amdhsa_user_sgpr_private_segment_size 0
		.amdhsa_uses_dynamic_stack 0
		.amdhsa_system_sgpr_private_segment_wavefront_offset 0
		.amdhsa_system_sgpr_workgroup_id_x 1
		.amdhsa_system_sgpr_workgroup_id_y 0
		.amdhsa_system_sgpr_workgroup_id_z 0
		.amdhsa_system_sgpr_workgroup_info 0
		.amdhsa_system_vgpr_workitem_id 0
		.amdhsa_next_free_vgpr 1
		.amdhsa_next_free_sgpr 0
		.amdhsa_accum_offset 4
		.amdhsa_reserve_vcc 0
		.amdhsa_reserve_flat_scratch 0
		.amdhsa_float_round_mode_32 0
		.amdhsa_float_round_mode_16_64 0
		.amdhsa_float_denorm_mode_32 3
		.amdhsa_float_denorm_mode_16_64 3
		.amdhsa_dx10_clamp 1
		.amdhsa_ieee_mode 1
		.amdhsa_fp16_overflow 0
		.amdhsa_tg_split 0
		.amdhsa_exception_fp_ieee_invalid_op 0
		.amdhsa_exception_fp_denorm_src 0
		.amdhsa_exception_fp_ieee_div_zero 0
		.amdhsa_exception_fp_ieee_overflow 0
		.amdhsa_exception_fp_ieee_underflow 0
		.amdhsa_exception_fp_ieee_inexact 0
		.amdhsa_exception_int_div_zero 0
	.end_amdhsa_kernel
	.section	.text._ZN7rocprim17ROCPRIM_400000_NS6detail17trampoline_kernelINS0_14default_configENS1_35radix_sort_onesweep_config_selectorIjNS0_10empty_typeEEEZZNS1_29radix_sort_onesweep_iterationIS3_Lb1EPjS8_PS5_S9_mNS0_19identity_decomposerENS1_16block_id_wrapperIjLb1EEEEE10hipError_tT1_PNSt15iterator_traitsISE_E10value_typeET2_T3_PNSF_ISK_E10value_typeET4_T5_PSP_SQ_PNS1_23onesweep_lookback_stateEbbT6_jjT7_P12ihipStream_tbENKUlT_T0_SE_SJ_E_clIS8_S8_S9_S9_EEDaSX_SY_SE_SJ_EUlSX_E_NS1_11comp_targetILNS1_3genE6ELNS1_11target_archE950ELNS1_3gpuE13ELNS1_3repE0EEENS1_47radix_sort_onesweep_sort_config_static_selectorELNS0_4arch9wavefront6targetE1EEEvSE_,"axG",@progbits,_ZN7rocprim17ROCPRIM_400000_NS6detail17trampoline_kernelINS0_14default_configENS1_35radix_sort_onesweep_config_selectorIjNS0_10empty_typeEEEZZNS1_29radix_sort_onesweep_iterationIS3_Lb1EPjS8_PS5_S9_mNS0_19identity_decomposerENS1_16block_id_wrapperIjLb1EEEEE10hipError_tT1_PNSt15iterator_traitsISE_E10value_typeET2_T3_PNSF_ISK_E10value_typeET4_T5_PSP_SQ_PNS1_23onesweep_lookback_stateEbbT6_jjT7_P12ihipStream_tbENKUlT_T0_SE_SJ_E_clIS8_S8_S9_S9_EEDaSX_SY_SE_SJ_EUlSX_E_NS1_11comp_targetILNS1_3genE6ELNS1_11target_archE950ELNS1_3gpuE13ELNS1_3repE0EEENS1_47radix_sort_onesweep_sort_config_static_selectorELNS0_4arch9wavefront6targetE1EEEvSE_,comdat
.Lfunc_end2106:
	.size	_ZN7rocprim17ROCPRIM_400000_NS6detail17trampoline_kernelINS0_14default_configENS1_35radix_sort_onesweep_config_selectorIjNS0_10empty_typeEEEZZNS1_29radix_sort_onesweep_iterationIS3_Lb1EPjS8_PS5_S9_mNS0_19identity_decomposerENS1_16block_id_wrapperIjLb1EEEEE10hipError_tT1_PNSt15iterator_traitsISE_E10value_typeET2_T3_PNSF_ISK_E10value_typeET4_T5_PSP_SQ_PNS1_23onesweep_lookback_stateEbbT6_jjT7_P12ihipStream_tbENKUlT_T0_SE_SJ_E_clIS8_S8_S9_S9_EEDaSX_SY_SE_SJ_EUlSX_E_NS1_11comp_targetILNS1_3genE6ELNS1_11target_archE950ELNS1_3gpuE13ELNS1_3repE0EEENS1_47radix_sort_onesweep_sort_config_static_selectorELNS0_4arch9wavefront6targetE1EEEvSE_, .Lfunc_end2106-_ZN7rocprim17ROCPRIM_400000_NS6detail17trampoline_kernelINS0_14default_configENS1_35radix_sort_onesweep_config_selectorIjNS0_10empty_typeEEEZZNS1_29radix_sort_onesweep_iterationIS3_Lb1EPjS8_PS5_S9_mNS0_19identity_decomposerENS1_16block_id_wrapperIjLb1EEEEE10hipError_tT1_PNSt15iterator_traitsISE_E10value_typeET2_T3_PNSF_ISK_E10value_typeET4_T5_PSP_SQ_PNS1_23onesweep_lookback_stateEbbT6_jjT7_P12ihipStream_tbENKUlT_T0_SE_SJ_E_clIS8_S8_S9_S9_EEDaSX_SY_SE_SJ_EUlSX_E_NS1_11comp_targetILNS1_3genE6ELNS1_11target_archE950ELNS1_3gpuE13ELNS1_3repE0EEENS1_47radix_sort_onesweep_sort_config_static_selectorELNS0_4arch9wavefront6targetE1EEEvSE_
                                        ; -- End function
	.section	.AMDGPU.csdata,"",@progbits
; Kernel info:
; codeLenInByte = 0
; NumSgprs: 4
; NumVgprs: 0
; NumAgprs: 0
; TotalNumVgprs: 0
; ScratchSize: 0
; MemoryBound: 0
; FloatMode: 240
; IeeeMode: 1
; LDSByteSize: 0 bytes/workgroup (compile time only)
; SGPRBlocks: 0
; VGPRBlocks: 0
; NumSGPRsForWavesPerEU: 4
; NumVGPRsForWavesPerEU: 1
; AccumOffset: 4
; Occupancy: 8
; WaveLimiterHint : 0
; COMPUTE_PGM_RSRC2:SCRATCH_EN: 0
; COMPUTE_PGM_RSRC2:USER_SGPR: 6
; COMPUTE_PGM_RSRC2:TRAP_HANDLER: 0
; COMPUTE_PGM_RSRC2:TGID_X_EN: 1
; COMPUTE_PGM_RSRC2:TGID_Y_EN: 0
; COMPUTE_PGM_RSRC2:TGID_Z_EN: 0
; COMPUTE_PGM_RSRC2:TIDIG_COMP_CNT: 0
; COMPUTE_PGM_RSRC3_GFX90A:ACCUM_OFFSET: 0
; COMPUTE_PGM_RSRC3_GFX90A:TG_SPLIT: 0
	.section	.text._ZN7rocprim17ROCPRIM_400000_NS6detail17trampoline_kernelINS0_14default_configENS1_35radix_sort_onesweep_config_selectorIjNS0_10empty_typeEEEZZNS1_29radix_sort_onesweep_iterationIS3_Lb1EPjS8_PS5_S9_mNS0_19identity_decomposerENS1_16block_id_wrapperIjLb1EEEEE10hipError_tT1_PNSt15iterator_traitsISE_E10value_typeET2_T3_PNSF_ISK_E10value_typeET4_T5_PSP_SQ_PNS1_23onesweep_lookback_stateEbbT6_jjT7_P12ihipStream_tbENKUlT_T0_SE_SJ_E_clIS8_S8_S9_S9_EEDaSX_SY_SE_SJ_EUlSX_E_NS1_11comp_targetILNS1_3genE5ELNS1_11target_archE942ELNS1_3gpuE9ELNS1_3repE0EEENS1_47radix_sort_onesweep_sort_config_static_selectorELNS0_4arch9wavefront6targetE1EEEvSE_,"axG",@progbits,_ZN7rocprim17ROCPRIM_400000_NS6detail17trampoline_kernelINS0_14default_configENS1_35radix_sort_onesweep_config_selectorIjNS0_10empty_typeEEEZZNS1_29radix_sort_onesweep_iterationIS3_Lb1EPjS8_PS5_S9_mNS0_19identity_decomposerENS1_16block_id_wrapperIjLb1EEEEE10hipError_tT1_PNSt15iterator_traitsISE_E10value_typeET2_T3_PNSF_ISK_E10value_typeET4_T5_PSP_SQ_PNS1_23onesweep_lookback_stateEbbT6_jjT7_P12ihipStream_tbENKUlT_T0_SE_SJ_E_clIS8_S8_S9_S9_EEDaSX_SY_SE_SJ_EUlSX_E_NS1_11comp_targetILNS1_3genE5ELNS1_11target_archE942ELNS1_3gpuE9ELNS1_3repE0EEENS1_47radix_sort_onesweep_sort_config_static_selectorELNS0_4arch9wavefront6targetE1EEEvSE_,comdat
	.protected	_ZN7rocprim17ROCPRIM_400000_NS6detail17trampoline_kernelINS0_14default_configENS1_35radix_sort_onesweep_config_selectorIjNS0_10empty_typeEEEZZNS1_29radix_sort_onesweep_iterationIS3_Lb1EPjS8_PS5_S9_mNS0_19identity_decomposerENS1_16block_id_wrapperIjLb1EEEEE10hipError_tT1_PNSt15iterator_traitsISE_E10value_typeET2_T3_PNSF_ISK_E10value_typeET4_T5_PSP_SQ_PNS1_23onesweep_lookback_stateEbbT6_jjT7_P12ihipStream_tbENKUlT_T0_SE_SJ_E_clIS8_S8_S9_S9_EEDaSX_SY_SE_SJ_EUlSX_E_NS1_11comp_targetILNS1_3genE5ELNS1_11target_archE942ELNS1_3gpuE9ELNS1_3repE0EEENS1_47radix_sort_onesweep_sort_config_static_selectorELNS0_4arch9wavefront6targetE1EEEvSE_ ; -- Begin function _ZN7rocprim17ROCPRIM_400000_NS6detail17trampoline_kernelINS0_14default_configENS1_35radix_sort_onesweep_config_selectorIjNS0_10empty_typeEEEZZNS1_29radix_sort_onesweep_iterationIS3_Lb1EPjS8_PS5_S9_mNS0_19identity_decomposerENS1_16block_id_wrapperIjLb1EEEEE10hipError_tT1_PNSt15iterator_traitsISE_E10value_typeET2_T3_PNSF_ISK_E10value_typeET4_T5_PSP_SQ_PNS1_23onesweep_lookback_stateEbbT6_jjT7_P12ihipStream_tbENKUlT_T0_SE_SJ_E_clIS8_S8_S9_S9_EEDaSX_SY_SE_SJ_EUlSX_E_NS1_11comp_targetILNS1_3genE5ELNS1_11target_archE942ELNS1_3gpuE9ELNS1_3repE0EEENS1_47radix_sort_onesweep_sort_config_static_selectorELNS0_4arch9wavefront6targetE1EEEvSE_
	.globl	_ZN7rocprim17ROCPRIM_400000_NS6detail17trampoline_kernelINS0_14default_configENS1_35radix_sort_onesweep_config_selectorIjNS0_10empty_typeEEEZZNS1_29radix_sort_onesweep_iterationIS3_Lb1EPjS8_PS5_S9_mNS0_19identity_decomposerENS1_16block_id_wrapperIjLb1EEEEE10hipError_tT1_PNSt15iterator_traitsISE_E10value_typeET2_T3_PNSF_ISK_E10value_typeET4_T5_PSP_SQ_PNS1_23onesweep_lookback_stateEbbT6_jjT7_P12ihipStream_tbENKUlT_T0_SE_SJ_E_clIS8_S8_S9_S9_EEDaSX_SY_SE_SJ_EUlSX_E_NS1_11comp_targetILNS1_3genE5ELNS1_11target_archE942ELNS1_3gpuE9ELNS1_3repE0EEENS1_47radix_sort_onesweep_sort_config_static_selectorELNS0_4arch9wavefront6targetE1EEEvSE_
	.p2align	8
	.type	_ZN7rocprim17ROCPRIM_400000_NS6detail17trampoline_kernelINS0_14default_configENS1_35radix_sort_onesweep_config_selectorIjNS0_10empty_typeEEEZZNS1_29radix_sort_onesweep_iterationIS3_Lb1EPjS8_PS5_S9_mNS0_19identity_decomposerENS1_16block_id_wrapperIjLb1EEEEE10hipError_tT1_PNSt15iterator_traitsISE_E10value_typeET2_T3_PNSF_ISK_E10value_typeET4_T5_PSP_SQ_PNS1_23onesweep_lookback_stateEbbT6_jjT7_P12ihipStream_tbENKUlT_T0_SE_SJ_E_clIS8_S8_S9_S9_EEDaSX_SY_SE_SJ_EUlSX_E_NS1_11comp_targetILNS1_3genE5ELNS1_11target_archE942ELNS1_3gpuE9ELNS1_3repE0EEENS1_47radix_sort_onesweep_sort_config_static_selectorELNS0_4arch9wavefront6targetE1EEEvSE_,@function
_ZN7rocprim17ROCPRIM_400000_NS6detail17trampoline_kernelINS0_14default_configENS1_35radix_sort_onesweep_config_selectorIjNS0_10empty_typeEEEZZNS1_29radix_sort_onesweep_iterationIS3_Lb1EPjS8_PS5_S9_mNS0_19identity_decomposerENS1_16block_id_wrapperIjLb1EEEEE10hipError_tT1_PNSt15iterator_traitsISE_E10value_typeET2_T3_PNSF_ISK_E10value_typeET4_T5_PSP_SQ_PNS1_23onesweep_lookback_stateEbbT6_jjT7_P12ihipStream_tbENKUlT_T0_SE_SJ_E_clIS8_S8_S9_S9_EEDaSX_SY_SE_SJ_EUlSX_E_NS1_11comp_targetILNS1_3genE5ELNS1_11target_archE942ELNS1_3gpuE9ELNS1_3repE0EEENS1_47radix_sort_onesweep_sort_config_static_selectorELNS0_4arch9wavefront6targetE1EEEvSE_: ; @_ZN7rocprim17ROCPRIM_400000_NS6detail17trampoline_kernelINS0_14default_configENS1_35radix_sort_onesweep_config_selectorIjNS0_10empty_typeEEEZZNS1_29radix_sort_onesweep_iterationIS3_Lb1EPjS8_PS5_S9_mNS0_19identity_decomposerENS1_16block_id_wrapperIjLb1EEEEE10hipError_tT1_PNSt15iterator_traitsISE_E10value_typeET2_T3_PNSF_ISK_E10value_typeET4_T5_PSP_SQ_PNS1_23onesweep_lookback_stateEbbT6_jjT7_P12ihipStream_tbENKUlT_T0_SE_SJ_E_clIS8_S8_S9_S9_EEDaSX_SY_SE_SJ_EUlSX_E_NS1_11comp_targetILNS1_3genE5ELNS1_11target_archE942ELNS1_3gpuE9ELNS1_3repE0EEENS1_47radix_sort_onesweep_sort_config_static_selectorELNS0_4arch9wavefront6targetE1EEEvSE_
; %bb.0:
	.section	.rodata,"a",@progbits
	.p2align	6, 0x0
	.amdhsa_kernel _ZN7rocprim17ROCPRIM_400000_NS6detail17trampoline_kernelINS0_14default_configENS1_35radix_sort_onesweep_config_selectorIjNS0_10empty_typeEEEZZNS1_29radix_sort_onesweep_iterationIS3_Lb1EPjS8_PS5_S9_mNS0_19identity_decomposerENS1_16block_id_wrapperIjLb1EEEEE10hipError_tT1_PNSt15iterator_traitsISE_E10value_typeET2_T3_PNSF_ISK_E10value_typeET4_T5_PSP_SQ_PNS1_23onesweep_lookback_stateEbbT6_jjT7_P12ihipStream_tbENKUlT_T0_SE_SJ_E_clIS8_S8_S9_S9_EEDaSX_SY_SE_SJ_EUlSX_E_NS1_11comp_targetILNS1_3genE5ELNS1_11target_archE942ELNS1_3gpuE9ELNS1_3repE0EEENS1_47radix_sort_onesweep_sort_config_static_selectorELNS0_4arch9wavefront6targetE1EEEvSE_
		.amdhsa_group_segment_fixed_size 0
		.amdhsa_private_segment_fixed_size 0
		.amdhsa_kernarg_size 88
		.amdhsa_user_sgpr_count 6
		.amdhsa_user_sgpr_private_segment_buffer 1
		.amdhsa_user_sgpr_dispatch_ptr 0
		.amdhsa_user_sgpr_queue_ptr 0
		.amdhsa_user_sgpr_kernarg_segment_ptr 1
		.amdhsa_user_sgpr_dispatch_id 0
		.amdhsa_user_sgpr_flat_scratch_init 0
		.amdhsa_user_sgpr_kernarg_preload_length 0
		.amdhsa_user_sgpr_kernarg_preload_offset 0
		.amdhsa_user_sgpr_private_segment_size 0
		.amdhsa_uses_dynamic_stack 0
		.amdhsa_system_sgpr_private_segment_wavefront_offset 0
		.amdhsa_system_sgpr_workgroup_id_x 1
		.amdhsa_system_sgpr_workgroup_id_y 0
		.amdhsa_system_sgpr_workgroup_id_z 0
		.amdhsa_system_sgpr_workgroup_info 0
		.amdhsa_system_vgpr_workitem_id 0
		.amdhsa_next_free_vgpr 1
		.amdhsa_next_free_sgpr 0
		.amdhsa_accum_offset 4
		.amdhsa_reserve_vcc 0
		.amdhsa_reserve_flat_scratch 0
		.amdhsa_float_round_mode_32 0
		.amdhsa_float_round_mode_16_64 0
		.amdhsa_float_denorm_mode_32 3
		.amdhsa_float_denorm_mode_16_64 3
		.amdhsa_dx10_clamp 1
		.amdhsa_ieee_mode 1
		.amdhsa_fp16_overflow 0
		.amdhsa_tg_split 0
		.amdhsa_exception_fp_ieee_invalid_op 0
		.amdhsa_exception_fp_denorm_src 0
		.amdhsa_exception_fp_ieee_div_zero 0
		.amdhsa_exception_fp_ieee_overflow 0
		.amdhsa_exception_fp_ieee_underflow 0
		.amdhsa_exception_fp_ieee_inexact 0
		.amdhsa_exception_int_div_zero 0
	.end_amdhsa_kernel
	.section	.text._ZN7rocprim17ROCPRIM_400000_NS6detail17trampoline_kernelINS0_14default_configENS1_35radix_sort_onesweep_config_selectorIjNS0_10empty_typeEEEZZNS1_29radix_sort_onesweep_iterationIS3_Lb1EPjS8_PS5_S9_mNS0_19identity_decomposerENS1_16block_id_wrapperIjLb1EEEEE10hipError_tT1_PNSt15iterator_traitsISE_E10value_typeET2_T3_PNSF_ISK_E10value_typeET4_T5_PSP_SQ_PNS1_23onesweep_lookback_stateEbbT6_jjT7_P12ihipStream_tbENKUlT_T0_SE_SJ_E_clIS8_S8_S9_S9_EEDaSX_SY_SE_SJ_EUlSX_E_NS1_11comp_targetILNS1_3genE5ELNS1_11target_archE942ELNS1_3gpuE9ELNS1_3repE0EEENS1_47radix_sort_onesweep_sort_config_static_selectorELNS0_4arch9wavefront6targetE1EEEvSE_,"axG",@progbits,_ZN7rocprim17ROCPRIM_400000_NS6detail17trampoline_kernelINS0_14default_configENS1_35radix_sort_onesweep_config_selectorIjNS0_10empty_typeEEEZZNS1_29radix_sort_onesweep_iterationIS3_Lb1EPjS8_PS5_S9_mNS0_19identity_decomposerENS1_16block_id_wrapperIjLb1EEEEE10hipError_tT1_PNSt15iterator_traitsISE_E10value_typeET2_T3_PNSF_ISK_E10value_typeET4_T5_PSP_SQ_PNS1_23onesweep_lookback_stateEbbT6_jjT7_P12ihipStream_tbENKUlT_T0_SE_SJ_E_clIS8_S8_S9_S9_EEDaSX_SY_SE_SJ_EUlSX_E_NS1_11comp_targetILNS1_3genE5ELNS1_11target_archE942ELNS1_3gpuE9ELNS1_3repE0EEENS1_47radix_sort_onesweep_sort_config_static_selectorELNS0_4arch9wavefront6targetE1EEEvSE_,comdat
.Lfunc_end2107:
	.size	_ZN7rocprim17ROCPRIM_400000_NS6detail17trampoline_kernelINS0_14default_configENS1_35radix_sort_onesweep_config_selectorIjNS0_10empty_typeEEEZZNS1_29radix_sort_onesweep_iterationIS3_Lb1EPjS8_PS5_S9_mNS0_19identity_decomposerENS1_16block_id_wrapperIjLb1EEEEE10hipError_tT1_PNSt15iterator_traitsISE_E10value_typeET2_T3_PNSF_ISK_E10value_typeET4_T5_PSP_SQ_PNS1_23onesweep_lookback_stateEbbT6_jjT7_P12ihipStream_tbENKUlT_T0_SE_SJ_E_clIS8_S8_S9_S9_EEDaSX_SY_SE_SJ_EUlSX_E_NS1_11comp_targetILNS1_3genE5ELNS1_11target_archE942ELNS1_3gpuE9ELNS1_3repE0EEENS1_47radix_sort_onesweep_sort_config_static_selectorELNS0_4arch9wavefront6targetE1EEEvSE_, .Lfunc_end2107-_ZN7rocprim17ROCPRIM_400000_NS6detail17trampoline_kernelINS0_14default_configENS1_35radix_sort_onesweep_config_selectorIjNS0_10empty_typeEEEZZNS1_29radix_sort_onesweep_iterationIS3_Lb1EPjS8_PS5_S9_mNS0_19identity_decomposerENS1_16block_id_wrapperIjLb1EEEEE10hipError_tT1_PNSt15iterator_traitsISE_E10value_typeET2_T3_PNSF_ISK_E10value_typeET4_T5_PSP_SQ_PNS1_23onesweep_lookback_stateEbbT6_jjT7_P12ihipStream_tbENKUlT_T0_SE_SJ_E_clIS8_S8_S9_S9_EEDaSX_SY_SE_SJ_EUlSX_E_NS1_11comp_targetILNS1_3genE5ELNS1_11target_archE942ELNS1_3gpuE9ELNS1_3repE0EEENS1_47radix_sort_onesweep_sort_config_static_selectorELNS0_4arch9wavefront6targetE1EEEvSE_
                                        ; -- End function
	.section	.AMDGPU.csdata,"",@progbits
; Kernel info:
; codeLenInByte = 0
; NumSgprs: 4
; NumVgprs: 0
; NumAgprs: 0
; TotalNumVgprs: 0
; ScratchSize: 0
; MemoryBound: 0
; FloatMode: 240
; IeeeMode: 1
; LDSByteSize: 0 bytes/workgroup (compile time only)
; SGPRBlocks: 0
; VGPRBlocks: 0
; NumSGPRsForWavesPerEU: 4
; NumVGPRsForWavesPerEU: 1
; AccumOffset: 4
; Occupancy: 8
; WaveLimiterHint : 0
; COMPUTE_PGM_RSRC2:SCRATCH_EN: 0
; COMPUTE_PGM_RSRC2:USER_SGPR: 6
; COMPUTE_PGM_RSRC2:TRAP_HANDLER: 0
; COMPUTE_PGM_RSRC2:TGID_X_EN: 1
; COMPUTE_PGM_RSRC2:TGID_Y_EN: 0
; COMPUTE_PGM_RSRC2:TGID_Z_EN: 0
; COMPUTE_PGM_RSRC2:TIDIG_COMP_CNT: 0
; COMPUTE_PGM_RSRC3_GFX90A:ACCUM_OFFSET: 0
; COMPUTE_PGM_RSRC3_GFX90A:TG_SPLIT: 0
	.section	.text._ZN7rocprim17ROCPRIM_400000_NS6detail17trampoline_kernelINS0_14default_configENS1_35radix_sort_onesweep_config_selectorIjNS0_10empty_typeEEEZZNS1_29radix_sort_onesweep_iterationIS3_Lb1EPjS8_PS5_S9_mNS0_19identity_decomposerENS1_16block_id_wrapperIjLb1EEEEE10hipError_tT1_PNSt15iterator_traitsISE_E10value_typeET2_T3_PNSF_ISK_E10value_typeET4_T5_PSP_SQ_PNS1_23onesweep_lookback_stateEbbT6_jjT7_P12ihipStream_tbENKUlT_T0_SE_SJ_E_clIS8_S8_S9_S9_EEDaSX_SY_SE_SJ_EUlSX_E_NS1_11comp_targetILNS1_3genE2ELNS1_11target_archE906ELNS1_3gpuE6ELNS1_3repE0EEENS1_47radix_sort_onesweep_sort_config_static_selectorELNS0_4arch9wavefront6targetE1EEEvSE_,"axG",@progbits,_ZN7rocprim17ROCPRIM_400000_NS6detail17trampoline_kernelINS0_14default_configENS1_35radix_sort_onesweep_config_selectorIjNS0_10empty_typeEEEZZNS1_29radix_sort_onesweep_iterationIS3_Lb1EPjS8_PS5_S9_mNS0_19identity_decomposerENS1_16block_id_wrapperIjLb1EEEEE10hipError_tT1_PNSt15iterator_traitsISE_E10value_typeET2_T3_PNSF_ISK_E10value_typeET4_T5_PSP_SQ_PNS1_23onesweep_lookback_stateEbbT6_jjT7_P12ihipStream_tbENKUlT_T0_SE_SJ_E_clIS8_S8_S9_S9_EEDaSX_SY_SE_SJ_EUlSX_E_NS1_11comp_targetILNS1_3genE2ELNS1_11target_archE906ELNS1_3gpuE6ELNS1_3repE0EEENS1_47radix_sort_onesweep_sort_config_static_selectorELNS0_4arch9wavefront6targetE1EEEvSE_,comdat
	.protected	_ZN7rocprim17ROCPRIM_400000_NS6detail17trampoline_kernelINS0_14default_configENS1_35radix_sort_onesweep_config_selectorIjNS0_10empty_typeEEEZZNS1_29radix_sort_onesweep_iterationIS3_Lb1EPjS8_PS5_S9_mNS0_19identity_decomposerENS1_16block_id_wrapperIjLb1EEEEE10hipError_tT1_PNSt15iterator_traitsISE_E10value_typeET2_T3_PNSF_ISK_E10value_typeET4_T5_PSP_SQ_PNS1_23onesweep_lookback_stateEbbT6_jjT7_P12ihipStream_tbENKUlT_T0_SE_SJ_E_clIS8_S8_S9_S9_EEDaSX_SY_SE_SJ_EUlSX_E_NS1_11comp_targetILNS1_3genE2ELNS1_11target_archE906ELNS1_3gpuE6ELNS1_3repE0EEENS1_47radix_sort_onesweep_sort_config_static_selectorELNS0_4arch9wavefront6targetE1EEEvSE_ ; -- Begin function _ZN7rocprim17ROCPRIM_400000_NS6detail17trampoline_kernelINS0_14default_configENS1_35radix_sort_onesweep_config_selectorIjNS0_10empty_typeEEEZZNS1_29radix_sort_onesweep_iterationIS3_Lb1EPjS8_PS5_S9_mNS0_19identity_decomposerENS1_16block_id_wrapperIjLb1EEEEE10hipError_tT1_PNSt15iterator_traitsISE_E10value_typeET2_T3_PNSF_ISK_E10value_typeET4_T5_PSP_SQ_PNS1_23onesweep_lookback_stateEbbT6_jjT7_P12ihipStream_tbENKUlT_T0_SE_SJ_E_clIS8_S8_S9_S9_EEDaSX_SY_SE_SJ_EUlSX_E_NS1_11comp_targetILNS1_3genE2ELNS1_11target_archE906ELNS1_3gpuE6ELNS1_3repE0EEENS1_47radix_sort_onesweep_sort_config_static_selectorELNS0_4arch9wavefront6targetE1EEEvSE_
	.globl	_ZN7rocprim17ROCPRIM_400000_NS6detail17trampoline_kernelINS0_14default_configENS1_35radix_sort_onesweep_config_selectorIjNS0_10empty_typeEEEZZNS1_29radix_sort_onesweep_iterationIS3_Lb1EPjS8_PS5_S9_mNS0_19identity_decomposerENS1_16block_id_wrapperIjLb1EEEEE10hipError_tT1_PNSt15iterator_traitsISE_E10value_typeET2_T3_PNSF_ISK_E10value_typeET4_T5_PSP_SQ_PNS1_23onesweep_lookback_stateEbbT6_jjT7_P12ihipStream_tbENKUlT_T0_SE_SJ_E_clIS8_S8_S9_S9_EEDaSX_SY_SE_SJ_EUlSX_E_NS1_11comp_targetILNS1_3genE2ELNS1_11target_archE906ELNS1_3gpuE6ELNS1_3repE0EEENS1_47radix_sort_onesweep_sort_config_static_selectorELNS0_4arch9wavefront6targetE1EEEvSE_
	.p2align	8
	.type	_ZN7rocprim17ROCPRIM_400000_NS6detail17trampoline_kernelINS0_14default_configENS1_35radix_sort_onesweep_config_selectorIjNS0_10empty_typeEEEZZNS1_29radix_sort_onesweep_iterationIS3_Lb1EPjS8_PS5_S9_mNS0_19identity_decomposerENS1_16block_id_wrapperIjLb1EEEEE10hipError_tT1_PNSt15iterator_traitsISE_E10value_typeET2_T3_PNSF_ISK_E10value_typeET4_T5_PSP_SQ_PNS1_23onesweep_lookback_stateEbbT6_jjT7_P12ihipStream_tbENKUlT_T0_SE_SJ_E_clIS8_S8_S9_S9_EEDaSX_SY_SE_SJ_EUlSX_E_NS1_11comp_targetILNS1_3genE2ELNS1_11target_archE906ELNS1_3gpuE6ELNS1_3repE0EEENS1_47radix_sort_onesweep_sort_config_static_selectorELNS0_4arch9wavefront6targetE1EEEvSE_,@function
_ZN7rocprim17ROCPRIM_400000_NS6detail17trampoline_kernelINS0_14default_configENS1_35radix_sort_onesweep_config_selectorIjNS0_10empty_typeEEEZZNS1_29radix_sort_onesweep_iterationIS3_Lb1EPjS8_PS5_S9_mNS0_19identity_decomposerENS1_16block_id_wrapperIjLb1EEEEE10hipError_tT1_PNSt15iterator_traitsISE_E10value_typeET2_T3_PNSF_ISK_E10value_typeET4_T5_PSP_SQ_PNS1_23onesweep_lookback_stateEbbT6_jjT7_P12ihipStream_tbENKUlT_T0_SE_SJ_E_clIS8_S8_S9_S9_EEDaSX_SY_SE_SJ_EUlSX_E_NS1_11comp_targetILNS1_3genE2ELNS1_11target_archE906ELNS1_3gpuE6ELNS1_3repE0EEENS1_47radix_sort_onesweep_sort_config_static_selectorELNS0_4arch9wavefront6targetE1EEEvSE_: ; @_ZN7rocprim17ROCPRIM_400000_NS6detail17trampoline_kernelINS0_14default_configENS1_35radix_sort_onesweep_config_selectorIjNS0_10empty_typeEEEZZNS1_29radix_sort_onesweep_iterationIS3_Lb1EPjS8_PS5_S9_mNS0_19identity_decomposerENS1_16block_id_wrapperIjLb1EEEEE10hipError_tT1_PNSt15iterator_traitsISE_E10value_typeET2_T3_PNSF_ISK_E10value_typeET4_T5_PSP_SQ_PNS1_23onesweep_lookback_stateEbbT6_jjT7_P12ihipStream_tbENKUlT_T0_SE_SJ_E_clIS8_S8_S9_S9_EEDaSX_SY_SE_SJ_EUlSX_E_NS1_11comp_targetILNS1_3genE2ELNS1_11target_archE906ELNS1_3gpuE6ELNS1_3repE0EEENS1_47radix_sort_onesweep_sort_config_static_selectorELNS0_4arch9wavefront6targetE1EEEvSE_
; %bb.0:
	.section	.rodata,"a",@progbits
	.p2align	6, 0x0
	.amdhsa_kernel _ZN7rocprim17ROCPRIM_400000_NS6detail17trampoline_kernelINS0_14default_configENS1_35radix_sort_onesweep_config_selectorIjNS0_10empty_typeEEEZZNS1_29radix_sort_onesweep_iterationIS3_Lb1EPjS8_PS5_S9_mNS0_19identity_decomposerENS1_16block_id_wrapperIjLb1EEEEE10hipError_tT1_PNSt15iterator_traitsISE_E10value_typeET2_T3_PNSF_ISK_E10value_typeET4_T5_PSP_SQ_PNS1_23onesweep_lookback_stateEbbT6_jjT7_P12ihipStream_tbENKUlT_T0_SE_SJ_E_clIS8_S8_S9_S9_EEDaSX_SY_SE_SJ_EUlSX_E_NS1_11comp_targetILNS1_3genE2ELNS1_11target_archE906ELNS1_3gpuE6ELNS1_3repE0EEENS1_47radix_sort_onesweep_sort_config_static_selectorELNS0_4arch9wavefront6targetE1EEEvSE_
		.amdhsa_group_segment_fixed_size 0
		.amdhsa_private_segment_fixed_size 0
		.amdhsa_kernarg_size 88
		.amdhsa_user_sgpr_count 6
		.amdhsa_user_sgpr_private_segment_buffer 1
		.amdhsa_user_sgpr_dispatch_ptr 0
		.amdhsa_user_sgpr_queue_ptr 0
		.amdhsa_user_sgpr_kernarg_segment_ptr 1
		.amdhsa_user_sgpr_dispatch_id 0
		.amdhsa_user_sgpr_flat_scratch_init 0
		.amdhsa_user_sgpr_kernarg_preload_length 0
		.amdhsa_user_sgpr_kernarg_preload_offset 0
		.amdhsa_user_sgpr_private_segment_size 0
		.amdhsa_uses_dynamic_stack 0
		.amdhsa_system_sgpr_private_segment_wavefront_offset 0
		.amdhsa_system_sgpr_workgroup_id_x 1
		.amdhsa_system_sgpr_workgroup_id_y 0
		.amdhsa_system_sgpr_workgroup_id_z 0
		.amdhsa_system_sgpr_workgroup_info 0
		.amdhsa_system_vgpr_workitem_id 0
		.amdhsa_next_free_vgpr 1
		.amdhsa_next_free_sgpr 0
		.amdhsa_accum_offset 4
		.amdhsa_reserve_vcc 0
		.amdhsa_reserve_flat_scratch 0
		.amdhsa_float_round_mode_32 0
		.amdhsa_float_round_mode_16_64 0
		.amdhsa_float_denorm_mode_32 3
		.amdhsa_float_denorm_mode_16_64 3
		.amdhsa_dx10_clamp 1
		.amdhsa_ieee_mode 1
		.amdhsa_fp16_overflow 0
		.amdhsa_tg_split 0
		.amdhsa_exception_fp_ieee_invalid_op 0
		.amdhsa_exception_fp_denorm_src 0
		.amdhsa_exception_fp_ieee_div_zero 0
		.amdhsa_exception_fp_ieee_overflow 0
		.amdhsa_exception_fp_ieee_underflow 0
		.amdhsa_exception_fp_ieee_inexact 0
		.amdhsa_exception_int_div_zero 0
	.end_amdhsa_kernel
	.section	.text._ZN7rocprim17ROCPRIM_400000_NS6detail17trampoline_kernelINS0_14default_configENS1_35radix_sort_onesweep_config_selectorIjNS0_10empty_typeEEEZZNS1_29radix_sort_onesweep_iterationIS3_Lb1EPjS8_PS5_S9_mNS0_19identity_decomposerENS1_16block_id_wrapperIjLb1EEEEE10hipError_tT1_PNSt15iterator_traitsISE_E10value_typeET2_T3_PNSF_ISK_E10value_typeET4_T5_PSP_SQ_PNS1_23onesweep_lookback_stateEbbT6_jjT7_P12ihipStream_tbENKUlT_T0_SE_SJ_E_clIS8_S8_S9_S9_EEDaSX_SY_SE_SJ_EUlSX_E_NS1_11comp_targetILNS1_3genE2ELNS1_11target_archE906ELNS1_3gpuE6ELNS1_3repE0EEENS1_47radix_sort_onesweep_sort_config_static_selectorELNS0_4arch9wavefront6targetE1EEEvSE_,"axG",@progbits,_ZN7rocprim17ROCPRIM_400000_NS6detail17trampoline_kernelINS0_14default_configENS1_35radix_sort_onesweep_config_selectorIjNS0_10empty_typeEEEZZNS1_29radix_sort_onesweep_iterationIS3_Lb1EPjS8_PS5_S9_mNS0_19identity_decomposerENS1_16block_id_wrapperIjLb1EEEEE10hipError_tT1_PNSt15iterator_traitsISE_E10value_typeET2_T3_PNSF_ISK_E10value_typeET4_T5_PSP_SQ_PNS1_23onesweep_lookback_stateEbbT6_jjT7_P12ihipStream_tbENKUlT_T0_SE_SJ_E_clIS8_S8_S9_S9_EEDaSX_SY_SE_SJ_EUlSX_E_NS1_11comp_targetILNS1_3genE2ELNS1_11target_archE906ELNS1_3gpuE6ELNS1_3repE0EEENS1_47radix_sort_onesweep_sort_config_static_selectorELNS0_4arch9wavefront6targetE1EEEvSE_,comdat
.Lfunc_end2108:
	.size	_ZN7rocprim17ROCPRIM_400000_NS6detail17trampoline_kernelINS0_14default_configENS1_35radix_sort_onesweep_config_selectorIjNS0_10empty_typeEEEZZNS1_29radix_sort_onesweep_iterationIS3_Lb1EPjS8_PS5_S9_mNS0_19identity_decomposerENS1_16block_id_wrapperIjLb1EEEEE10hipError_tT1_PNSt15iterator_traitsISE_E10value_typeET2_T3_PNSF_ISK_E10value_typeET4_T5_PSP_SQ_PNS1_23onesweep_lookback_stateEbbT6_jjT7_P12ihipStream_tbENKUlT_T0_SE_SJ_E_clIS8_S8_S9_S9_EEDaSX_SY_SE_SJ_EUlSX_E_NS1_11comp_targetILNS1_3genE2ELNS1_11target_archE906ELNS1_3gpuE6ELNS1_3repE0EEENS1_47radix_sort_onesweep_sort_config_static_selectorELNS0_4arch9wavefront6targetE1EEEvSE_, .Lfunc_end2108-_ZN7rocprim17ROCPRIM_400000_NS6detail17trampoline_kernelINS0_14default_configENS1_35radix_sort_onesweep_config_selectorIjNS0_10empty_typeEEEZZNS1_29radix_sort_onesweep_iterationIS3_Lb1EPjS8_PS5_S9_mNS0_19identity_decomposerENS1_16block_id_wrapperIjLb1EEEEE10hipError_tT1_PNSt15iterator_traitsISE_E10value_typeET2_T3_PNSF_ISK_E10value_typeET4_T5_PSP_SQ_PNS1_23onesweep_lookback_stateEbbT6_jjT7_P12ihipStream_tbENKUlT_T0_SE_SJ_E_clIS8_S8_S9_S9_EEDaSX_SY_SE_SJ_EUlSX_E_NS1_11comp_targetILNS1_3genE2ELNS1_11target_archE906ELNS1_3gpuE6ELNS1_3repE0EEENS1_47radix_sort_onesweep_sort_config_static_selectorELNS0_4arch9wavefront6targetE1EEEvSE_
                                        ; -- End function
	.section	.AMDGPU.csdata,"",@progbits
; Kernel info:
; codeLenInByte = 0
; NumSgprs: 4
; NumVgprs: 0
; NumAgprs: 0
; TotalNumVgprs: 0
; ScratchSize: 0
; MemoryBound: 0
; FloatMode: 240
; IeeeMode: 1
; LDSByteSize: 0 bytes/workgroup (compile time only)
; SGPRBlocks: 0
; VGPRBlocks: 0
; NumSGPRsForWavesPerEU: 4
; NumVGPRsForWavesPerEU: 1
; AccumOffset: 4
; Occupancy: 8
; WaveLimiterHint : 0
; COMPUTE_PGM_RSRC2:SCRATCH_EN: 0
; COMPUTE_PGM_RSRC2:USER_SGPR: 6
; COMPUTE_PGM_RSRC2:TRAP_HANDLER: 0
; COMPUTE_PGM_RSRC2:TGID_X_EN: 1
; COMPUTE_PGM_RSRC2:TGID_Y_EN: 0
; COMPUTE_PGM_RSRC2:TGID_Z_EN: 0
; COMPUTE_PGM_RSRC2:TIDIG_COMP_CNT: 0
; COMPUTE_PGM_RSRC3_GFX90A:ACCUM_OFFSET: 0
; COMPUTE_PGM_RSRC3_GFX90A:TG_SPLIT: 0
	.section	.text._ZN7rocprim17ROCPRIM_400000_NS6detail17trampoline_kernelINS0_14default_configENS1_35radix_sort_onesweep_config_selectorIjNS0_10empty_typeEEEZZNS1_29radix_sort_onesweep_iterationIS3_Lb1EPjS8_PS5_S9_mNS0_19identity_decomposerENS1_16block_id_wrapperIjLb1EEEEE10hipError_tT1_PNSt15iterator_traitsISE_E10value_typeET2_T3_PNSF_ISK_E10value_typeET4_T5_PSP_SQ_PNS1_23onesweep_lookback_stateEbbT6_jjT7_P12ihipStream_tbENKUlT_T0_SE_SJ_E_clIS8_S8_S9_S9_EEDaSX_SY_SE_SJ_EUlSX_E_NS1_11comp_targetILNS1_3genE4ELNS1_11target_archE910ELNS1_3gpuE8ELNS1_3repE0EEENS1_47radix_sort_onesweep_sort_config_static_selectorELNS0_4arch9wavefront6targetE1EEEvSE_,"axG",@progbits,_ZN7rocprim17ROCPRIM_400000_NS6detail17trampoline_kernelINS0_14default_configENS1_35radix_sort_onesweep_config_selectorIjNS0_10empty_typeEEEZZNS1_29radix_sort_onesweep_iterationIS3_Lb1EPjS8_PS5_S9_mNS0_19identity_decomposerENS1_16block_id_wrapperIjLb1EEEEE10hipError_tT1_PNSt15iterator_traitsISE_E10value_typeET2_T3_PNSF_ISK_E10value_typeET4_T5_PSP_SQ_PNS1_23onesweep_lookback_stateEbbT6_jjT7_P12ihipStream_tbENKUlT_T0_SE_SJ_E_clIS8_S8_S9_S9_EEDaSX_SY_SE_SJ_EUlSX_E_NS1_11comp_targetILNS1_3genE4ELNS1_11target_archE910ELNS1_3gpuE8ELNS1_3repE0EEENS1_47radix_sort_onesweep_sort_config_static_selectorELNS0_4arch9wavefront6targetE1EEEvSE_,comdat
	.protected	_ZN7rocprim17ROCPRIM_400000_NS6detail17trampoline_kernelINS0_14default_configENS1_35radix_sort_onesweep_config_selectorIjNS0_10empty_typeEEEZZNS1_29radix_sort_onesweep_iterationIS3_Lb1EPjS8_PS5_S9_mNS0_19identity_decomposerENS1_16block_id_wrapperIjLb1EEEEE10hipError_tT1_PNSt15iterator_traitsISE_E10value_typeET2_T3_PNSF_ISK_E10value_typeET4_T5_PSP_SQ_PNS1_23onesweep_lookback_stateEbbT6_jjT7_P12ihipStream_tbENKUlT_T0_SE_SJ_E_clIS8_S8_S9_S9_EEDaSX_SY_SE_SJ_EUlSX_E_NS1_11comp_targetILNS1_3genE4ELNS1_11target_archE910ELNS1_3gpuE8ELNS1_3repE0EEENS1_47radix_sort_onesweep_sort_config_static_selectorELNS0_4arch9wavefront6targetE1EEEvSE_ ; -- Begin function _ZN7rocprim17ROCPRIM_400000_NS6detail17trampoline_kernelINS0_14default_configENS1_35radix_sort_onesweep_config_selectorIjNS0_10empty_typeEEEZZNS1_29radix_sort_onesweep_iterationIS3_Lb1EPjS8_PS5_S9_mNS0_19identity_decomposerENS1_16block_id_wrapperIjLb1EEEEE10hipError_tT1_PNSt15iterator_traitsISE_E10value_typeET2_T3_PNSF_ISK_E10value_typeET4_T5_PSP_SQ_PNS1_23onesweep_lookback_stateEbbT6_jjT7_P12ihipStream_tbENKUlT_T0_SE_SJ_E_clIS8_S8_S9_S9_EEDaSX_SY_SE_SJ_EUlSX_E_NS1_11comp_targetILNS1_3genE4ELNS1_11target_archE910ELNS1_3gpuE8ELNS1_3repE0EEENS1_47radix_sort_onesweep_sort_config_static_selectorELNS0_4arch9wavefront6targetE1EEEvSE_
	.globl	_ZN7rocprim17ROCPRIM_400000_NS6detail17trampoline_kernelINS0_14default_configENS1_35radix_sort_onesweep_config_selectorIjNS0_10empty_typeEEEZZNS1_29radix_sort_onesweep_iterationIS3_Lb1EPjS8_PS5_S9_mNS0_19identity_decomposerENS1_16block_id_wrapperIjLb1EEEEE10hipError_tT1_PNSt15iterator_traitsISE_E10value_typeET2_T3_PNSF_ISK_E10value_typeET4_T5_PSP_SQ_PNS1_23onesweep_lookback_stateEbbT6_jjT7_P12ihipStream_tbENKUlT_T0_SE_SJ_E_clIS8_S8_S9_S9_EEDaSX_SY_SE_SJ_EUlSX_E_NS1_11comp_targetILNS1_3genE4ELNS1_11target_archE910ELNS1_3gpuE8ELNS1_3repE0EEENS1_47radix_sort_onesweep_sort_config_static_selectorELNS0_4arch9wavefront6targetE1EEEvSE_
	.p2align	8
	.type	_ZN7rocprim17ROCPRIM_400000_NS6detail17trampoline_kernelINS0_14default_configENS1_35radix_sort_onesweep_config_selectorIjNS0_10empty_typeEEEZZNS1_29radix_sort_onesweep_iterationIS3_Lb1EPjS8_PS5_S9_mNS0_19identity_decomposerENS1_16block_id_wrapperIjLb1EEEEE10hipError_tT1_PNSt15iterator_traitsISE_E10value_typeET2_T3_PNSF_ISK_E10value_typeET4_T5_PSP_SQ_PNS1_23onesweep_lookback_stateEbbT6_jjT7_P12ihipStream_tbENKUlT_T0_SE_SJ_E_clIS8_S8_S9_S9_EEDaSX_SY_SE_SJ_EUlSX_E_NS1_11comp_targetILNS1_3genE4ELNS1_11target_archE910ELNS1_3gpuE8ELNS1_3repE0EEENS1_47radix_sort_onesweep_sort_config_static_selectorELNS0_4arch9wavefront6targetE1EEEvSE_,@function
_ZN7rocprim17ROCPRIM_400000_NS6detail17trampoline_kernelINS0_14default_configENS1_35radix_sort_onesweep_config_selectorIjNS0_10empty_typeEEEZZNS1_29radix_sort_onesweep_iterationIS3_Lb1EPjS8_PS5_S9_mNS0_19identity_decomposerENS1_16block_id_wrapperIjLb1EEEEE10hipError_tT1_PNSt15iterator_traitsISE_E10value_typeET2_T3_PNSF_ISK_E10value_typeET4_T5_PSP_SQ_PNS1_23onesweep_lookback_stateEbbT6_jjT7_P12ihipStream_tbENKUlT_T0_SE_SJ_E_clIS8_S8_S9_S9_EEDaSX_SY_SE_SJ_EUlSX_E_NS1_11comp_targetILNS1_3genE4ELNS1_11target_archE910ELNS1_3gpuE8ELNS1_3repE0EEENS1_47radix_sort_onesweep_sort_config_static_selectorELNS0_4arch9wavefront6targetE1EEEvSE_: ; @_ZN7rocprim17ROCPRIM_400000_NS6detail17trampoline_kernelINS0_14default_configENS1_35radix_sort_onesweep_config_selectorIjNS0_10empty_typeEEEZZNS1_29radix_sort_onesweep_iterationIS3_Lb1EPjS8_PS5_S9_mNS0_19identity_decomposerENS1_16block_id_wrapperIjLb1EEEEE10hipError_tT1_PNSt15iterator_traitsISE_E10value_typeET2_T3_PNSF_ISK_E10value_typeET4_T5_PSP_SQ_PNS1_23onesweep_lookback_stateEbbT6_jjT7_P12ihipStream_tbENKUlT_T0_SE_SJ_E_clIS8_S8_S9_S9_EEDaSX_SY_SE_SJ_EUlSX_E_NS1_11comp_targetILNS1_3genE4ELNS1_11target_archE910ELNS1_3gpuE8ELNS1_3repE0EEENS1_47radix_sort_onesweep_sort_config_static_selectorELNS0_4arch9wavefront6targetE1EEEvSE_
; %bb.0:
	s_load_dwordx4 s[16:19], s[4:5], 0x28
	s_load_dwordx2 s[14:15], s[4:5], 0x38
	s_load_dwordx4 s[20:23], s[4:5], 0x44
	v_and_b32_e32 v2, 0x3ff, v0
	v_cmp_eq_u32_e64 s[0:1], 0, v2
	s_and_saveexec_b64 s[2:3], s[0:1]
	s_cbranch_execz .LBB2109_4
; %bb.1:
	s_mov_b64 s[10:11], exec
	v_mbcnt_lo_u32_b32 v1, s10, 0
	v_mbcnt_hi_u32_b32 v1, s11, v1
	v_cmp_eq_u32_e32 vcc, 0, v1
                                        ; implicit-def: $vgpr3
	s_and_saveexec_b64 s[8:9], vcc
	s_cbranch_execz .LBB2109_3
; %bb.2:
	s_load_dwordx2 s[12:13], s[4:5], 0x50
	s_bcnt1_i32_b64 s7, s[10:11]
	v_mov_b32_e32 v3, 0
	v_mov_b32_e32 v4, s7
	s_waitcnt lgkmcnt(0)
	global_atomic_add v3, v3, v4, s[12:13] glc
.LBB2109_3:
	s_or_b64 exec, exec, s[8:9]
	s_waitcnt vmcnt(0)
	v_readfirstlane_b32 s7, v3
	v_add_u32_e32 v1, s7, v1
	v_mov_b32_e32 v3, 0
	ds_write_b32 v3, v1 offset:20544
.LBB2109_4:
	s_or_b64 exec, exec, s[2:3]
	v_mov_b32_e32 v3, 0
	s_load_dwordx4 s[24:27], s[4:5], 0x0
	s_load_dword s2, s[4:5], 0x20
	s_waitcnt lgkmcnt(0)
	s_barrier
	ds_read_b32 v1, v3 offset:20544
	v_mbcnt_lo_u32_b32 v12, -1, 0
	s_waitcnt lgkmcnt(0)
	s_barrier
	v_readfirstlane_b32 s30, v1
	v_cmp_le_u32_e32 vcc, s22, v1
	s_mul_i32 s28, s30, 0x3000
	s_cbranch_vccz .LBB2109_85
; %bb.5:
	s_mul_i32 s7, s22, 0xffffd000
	s_mov_b32 s29, 0
	s_add_i32 s7, s7, s2
	s_lshl_b64 s[2:3], s[28:29], 2
	v_mbcnt_hi_u32_b32 v1, -1, v12
	s_add_u32 s2, s24, s2
	v_and_b32_e32 v6, 63, v1
	v_and_b32_e32 v4, 0x3c0, v2
	s_addc_u32 s3, s25, s3
	v_mul_u32_u24_e32 v7, 12, v4
	v_lshlrev_b32_e32 v4, 2, v6
	v_mov_b32_e32 v5, s3
	v_add_co_u32_e32 v4, vcc, s2, v4
	v_addc_co_u32_e32 v5, vcc, 0, v5, vcc
	v_lshlrev_b32_e32 v8, 2, v7
	v_add_co_u32_e32 v4, vcc, v4, v8
	v_addc_co_u32_e32 v5, vcc, 0, v5, vcc
	v_or_b32_e32 v6, v6, v7
	v_cmp_gt_u32_e32 vcc, s7, v6
	s_and_saveexec_b64 s[2:3], vcc
	s_cbranch_execz .LBB2109_7
; %bb.6:
	global_load_dword v3, v[4:5], off
.LBB2109_7:
	s_or_b64 exec, exec, s[2:3]
	v_or_b32_e32 v7, 64, v6
	v_cmp_gt_u32_e32 vcc, s7, v7
	v_mov_b32_e32 v15, 0
	v_mov_b32_e32 v9, 0
	s_and_saveexec_b64 s[2:3], vcc
	s_cbranch_execz .LBB2109_9
; %bb.8:
	global_load_dword v9, v[4:5], off offset:256
.LBB2109_9:
	s_or_b64 exec, exec, s[2:3]
	v_or_b32_e32 v7, 0x80, v6
	v_cmp_gt_u32_e32 vcc, s7, v7
	s_and_saveexec_b64 s[2:3], vcc
	s_cbranch_execz .LBB2109_11
; %bb.10:
	global_load_dword v15, v[4:5], off offset:512
.LBB2109_11:
	s_or_b64 exec, exec, s[2:3]
	v_or_b32_e32 v7, 0xc0, v6
	v_cmp_gt_u32_e32 vcc, s7, v7
	v_mov_b32_e32 v21, 0
	v_mov_b32_e32 v18, 0
	s_and_saveexec_b64 s[2:3], vcc
	s_cbranch_execz .LBB2109_13
; %bb.12:
	global_load_dword v18, v[4:5], off offset:768
.LBB2109_13:
	s_or_b64 exec, exec, s[2:3]
	v_add_u32_e32 v7, 0x100, v6
	v_cmp_gt_u32_e32 vcc, s7, v7
	s_and_saveexec_b64 s[2:3], vcc
	s_cbranch_execz .LBB2109_15
; %bb.14:
	global_load_dword v21, v[4:5], off offset:1024
.LBB2109_15:
	s_or_b64 exec, exec, s[2:3]
	v_add_u32_e32 v7, 0x140, v6
	v_cmp_gt_u32_e32 vcc, s7, v7
	v_mov_b32_e32 v28, 0
	v_mov_b32_e32 v24, 0
	s_and_saveexec_b64 s[2:3], vcc
	s_cbranch_execz .LBB2109_17
; %bb.16:
	global_load_dword v24, v[4:5], off offset:1280
.LBB2109_17:
	s_or_b64 exec, exec, s[2:3]
	v_add_u32_e32 v7, 0x180, v6
	v_cmp_gt_u32_e32 vcc, s7, v7
	s_and_saveexec_b64 s[2:3], vcc
	s_cbranch_execz .LBB2109_19
; %bb.18:
	global_load_dword v28, v[4:5], off offset:1536
.LBB2109_19:
	s_or_b64 exec, exec, s[2:3]
	v_add_u32_e32 v7, 0x1c0, v6
	;; [unrolled: 18-line block ×4, first 2 shown]
	v_cmp_gt_u32_e32 vcc, s7, v6
	v_mov_b32_e32 v6, 0
	v_mov_b32_e32 v10, 0
	s_and_saveexec_b64 s[2:3], vcc
	s_cbranch_execz .LBB2109_29
; %bb.28:
	global_load_dword v10, v[4:5], off offset:2816
.LBB2109_29:
	s_or_b64 exec, exec, s[2:3]
	s_load_dword s2, s[4:5], 0x64
	s_load_dword s29, s[4:5], 0x58
	s_add_u32 s3, s4, 0x58
	s_addc_u32 s8, s5, 0
	s_waitcnt vmcnt(0)
	v_not_b32_e32 v13, v3
	s_waitcnt lgkmcnt(0)
	s_lshr_b32 s9, s2, 16
	s_cmp_lt_u32 s6, s29
	s_cselect_b32 s2, 12, 18
	s_add_u32 s2, s3, s2
	s_addc_u32 s3, s8, 0
	global_load_ushort v4, v6, s[2:3]
	s_lshl_b32 s2, -1, s21
	v_lshrrev_b32_e32 v8, s20, v13
	s_not_b32 s31, s2
	v_and_b32_e32 v8, s31, v8
	v_and_b32_e32 v16, 1, v8
	v_bfe_u32 v5, v0, 10, 10
	v_bfe_u32 v7, v0, 20, 10
	v_add_co_u32_e32 v17, vcc, -1, v16
	v_mad_u32_u24 v5, v7, s9, v5
	v_lshlrev_b32_e32 v7, 30, v8
	v_addc_co_u32_e64 v19, s[2:3], 0, -1, vcc
	v_cmp_ne_u32_e32 vcc, 0, v16
	v_cmp_gt_i64_e64 s[2:3], 0, v[6:7]
	v_not_b32_e32 v16, v7
	v_lshlrev_b32_e32 v7, 29, v8
	v_xor_b32_e32 v19, vcc_hi, v19
	v_xor_b32_e32 v17, vcc_lo, v17
	v_ashrrev_i32_e32 v16, 31, v16
	v_cmp_gt_i64_e32 vcc, 0, v[6:7]
	v_not_b32_e32 v20, v7
	v_lshlrev_b32_e32 v7, 28, v8
	v_and_b32_e32 v19, exec_hi, v19
	v_and_b32_e32 v17, exec_lo, v17
	v_xor_b32_e32 v22, s3, v16
	v_xor_b32_e32 v16, s2, v16
	v_ashrrev_i32_e32 v20, 31, v20
	v_cmp_gt_i64_e64 s[2:3], 0, v[6:7]
	v_not_b32_e32 v23, v7
	v_lshlrev_b32_e32 v7, 27, v8
	v_and_b32_e32 v19, v19, v22
	v_and_b32_e32 v16, v17, v16
	v_xor_b32_e32 v17, vcc_hi, v20
	v_xor_b32_e32 v20, vcc_lo, v20
	v_ashrrev_i32_e32 v22, 31, v23
	v_cmp_gt_i64_e32 vcc, 0, v[6:7]
	v_not_b32_e32 v23, v7
	v_lshlrev_b32_e32 v7, 26, v8
	v_mul_u32_u24_e32 v3, 5, v2
	v_and_b32_e32 v17, v19, v17
	v_and_b32_e32 v16, v16, v20
	v_xor_b32_e32 v19, s3, v22
	v_xor_b32_e32 v20, s2, v22
	v_ashrrev_i32_e32 v22, 31, v23
	v_cmp_gt_i64_e64 s[2:3], 0, v[6:7]
	v_not_b32_e32 v23, v7
	v_lshlrev_b32_e32 v7, 25, v8
	v_lshlrev_b32_e32 v3, 2, v3
	v_and_b32_e32 v17, v17, v19
	v_and_b32_e32 v16, v16, v20
	v_xor_b32_e32 v19, vcc_hi, v22
	v_xor_b32_e32 v20, vcc_lo, v22
	v_ashrrev_i32_e32 v22, 31, v23
	v_cmp_gt_i64_e32 vcc, 0, v[6:7]
	v_not_b32_e32 v23, v7
	v_lshlrev_b32_e32 v7, 24, v8
	ds_write2_b32 v3, v6, v6 offset0:16 offset1:17
	ds_write2_b32 v3, v6, v6 offset0:18 offset1:19
	ds_write_b32 v3, v6 offset:80
	v_lshl_add_u32 v14, v8, 4, v8
	v_and_b32_e32 v8, v17, v19
	v_and_b32_e32 v16, v16, v20
	v_xor_b32_e32 v17, s3, v22
	v_xor_b32_e32 v19, s2, v22
	v_ashrrev_i32_e32 v20, 31, v23
	v_cmp_gt_i64_e64 s[2:3], 0, v[6:7]
	v_not_b32_e32 v6, v7
	v_and_b32_e32 v7, v8, v17
	v_and_b32_e32 v8, v16, v19
	v_xor_b32_e32 v16, vcc_hi, v20
	v_xor_b32_e32 v17, vcc_lo, v20
	v_ashrrev_i32_e32 v6, 31, v6
	v_and_b32_e32 v7, v7, v16
	v_and_b32_e32 v16, v8, v17
	s_waitcnt lgkmcnt(0)
	s_barrier
	s_waitcnt lgkmcnt(0)
	; wave barrier
	s_waitcnt vmcnt(0)
	v_mad_u64_u32 v[4:5], s[8:9], v5, v4, v[2:3]
	v_lshrrev_b32_e32 v29, 6, v4
	v_xor_b32_e32 v4, s3, v6
	v_xor_b32_e32 v6, s2, v6
	v_and_b32_e32 v5, v7, v4
	v_and_b32_e32 v4, v16, v6
	v_mbcnt_lo_u32_b32 v6, v4, 0
	v_mbcnt_hi_u32_b32 v16, v5, v6
	v_cmp_eq_u32_e32 vcc, 0, v16
	v_cmp_ne_u64_e64 s[2:3], 0, v[4:5]
	v_add_lshl_u32 v8, v29, v14, 2
	s_and_b64 s[8:9], s[2:3], vcc
	s_and_saveexec_b64 s[2:3], s[8:9]
	s_cbranch_execz .LBB2109_31
; %bb.30:
	v_bcnt_u32_b32 v4, v4, 0
	v_bcnt_u32_b32 v4, v5, v4
	ds_write_b32 v8, v4 offset:64
.LBB2109_31:
	s_or_b64 exec, exec, s[2:3]
	v_not_b32_e32 v14, v9
	v_lshrrev_b32_e32 v4, s20, v14
	v_and_b32_e32 v6, s31, v4
	v_and_b32_e32 v5, 1, v6
	v_add_co_u32_e32 v7, vcc, -1, v5
	v_addc_co_u32_e64 v19, s[2:3], 0, -1, vcc
	v_cmp_ne_u32_e32 vcc, 0, v5
	v_lshl_add_u32 v4, v6, 4, v6
	v_xor_b32_e32 v5, vcc_hi, v19
	v_add_lshl_u32 v9, v29, v4, 2
	v_mov_b32_e32 v4, 0
	v_and_b32_e32 v19, exec_hi, v5
	v_lshlrev_b32_e32 v5, 30, v6
	v_xor_b32_e32 v7, vcc_lo, v7
	v_cmp_gt_i64_e32 vcc, 0, v[4:5]
	v_not_b32_e32 v5, v5
	v_ashrrev_i32_e32 v5, 31, v5
	v_and_b32_e32 v7, exec_lo, v7
	v_xor_b32_e32 v20, vcc_hi, v5
	v_xor_b32_e32 v5, vcc_lo, v5
	v_and_b32_e32 v7, v7, v5
	v_lshlrev_b32_e32 v5, 29, v6
	v_cmp_gt_i64_e32 vcc, 0, v[4:5]
	v_not_b32_e32 v5, v5
	v_ashrrev_i32_e32 v5, 31, v5
	v_and_b32_e32 v19, v19, v20
	v_xor_b32_e32 v20, vcc_hi, v5
	v_xor_b32_e32 v5, vcc_lo, v5
	v_and_b32_e32 v7, v7, v5
	v_lshlrev_b32_e32 v5, 28, v6
	v_cmp_gt_i64_e32 vcc, 0, v[4:5]
	v_not_b32_e32 v5, v5
	v_ashrrev_i32_e32 v5, 31, v5
	v_and_b32_e32 v19, v19, v20
	;; [unrolled: 8-line block ×5, first 2 shown]
	v_xor_b32_e32 v20, vcc_hi, v5
	v_xor_b32_e32 v5, vcc_lo, v5
	v_and_b32_e32 v19, v19, v20
	v_and_b32_e32 v20, v7, v5
	v_lshlrev_b32_e32 v5, 24, v6
	v_cmp_gt_i64_e32 vcc, 0, v[4:5]
	v_not_b32_e32 v5, v5
	v_ashrrev_i32_e32 v5, 31, v5
	v_xor_b32_e32 v6, vcc_hi, v5
	v_xor_b32_e32 v5, vcc_lo, v5
	; wave barrier
	ds_read_b32 v17, v9 offset:64
	v_and_b32_e32 v7, v19, v6
	v_and_b32_e32 v6, v20, v5
	v_mbcnt_lo_u32_b32 v5, v6, 0
	v_mbcnt_hi_u32_b32 v19, v7, v5
	v_cmp_eq_u32_e32 vcc, 0, v19
	v_cmp_ne_u64_e64 s[2:3], 0, v[6:7]
	s_and_b64 s[8:9], s[2:3], vcc
	; wave barrier
	s_and_saveexec_b64 s[2:3], s[8:9]
	s_cbranch_execz .LBB2109_33
; %bb.32:
	v_bcnt_u32_b32 v5, v6, 0
	v_bcnt_u32_b32 v5, v7, v5
	s_waitcnt lgkmcnt(0)
	v_add_u32_e32 v5, v17, v5
	ds_write_b32 v9, v5 offset:64
.LBB2109_33:
	s_or_b64 exec, exec, s[2:3]
	v_not_b32_e32 v15, v15
	v_lshrrev_b32_e32 v5, s20, v15
	v_and_b32_e32 v6, s31, v5
	v_lshl_add_u32 v5, v6, 4, v6
	v_add_lshl_u32 v26, v29, v5, 2
	v_and_b32_e32 v5, 1, v6
	v_add_co_u32_e32 v7, vcc, -1, v5
	v_addc_co_u32_e64 v22, s[2:3], 0, -1, vcc
	v_cmp_ne_u32_e32 vcc, 0, v5
	v_xor_b32_e32 v5, vcc_hi, v22
	v_and_b32_e32 v22, exec_hi, v5
	v_lshlrev_b32_e32 v5, 30, v6
	v_xor_b32_e32 v7, vcc_lo, v7
	v_cmp_gt_i64_e32 vcc, 0, v[4:5]
	v_not_b32_e32 v5, v5
	v_ashrrev_i32_e32 v5, 31, v5
	v_and_b32_e32 v7, exec_lo, v7
	v_xor_b32_e32 v23, vcc_hi, v5
	v_xor_b32_e32 v5, vcc_lo, v5
	v_and_b32_e32 v7, v7, v5
	v_lshlrev_b32_e32 v5, 29, v6
	v_cmp_gt_i64_e32 vcc, 0, v[4:5]
	v_not_b32_e32 v5, v5
	v_ashrrev_i32_e32 v5, 31, v5
	v_and_b32_e32 v22, v22, v23
	v_xor_b32_e32 v23, vcc_hi, v5
	v_xor_b32_e32 v5, vcc_lo, v5
	v_and_b32_e32 v7, v7, v5
	v_lshlrev_b32_e32 v5, 28, v6
	v_cmp_gt_i64_e32 vcc, 0, v[4:5]
	v_not_b32_e32 v5, v5
	v_ashrrev_i32_e32 v5, 31, v5
	v_and_b32_e32 v22, v22, v23
	;; [unrolled: 8-line block ×5, first 2 shown]
	v_xor_b32_e32 v23, vcc_hi, v5
	v_xor_b32_e32 v5, vcc_lo, v5
	v_and_b32_e32 v7, v7, v5
	v_lshlrev_b32_e32 v5, 24, v6
	v_cmp_gt_i64_e32 vcc, 0, v[4:5]
	v_not_b32_e32 v4, v5
	v_ashrrev_i32_e32 v4, 31, v4
	v_xor_b32_e32 v5, vcc_hi, v4
	v_xor_b32_e32 v4, vcc_lo, v4
	; wave barrier
	ds_read_b32 v20, v26 offset:64
	v_and_b32_e32 v22, v22, v23
	v_and_b32_e32 v4, v7, v4
	;; [unrolled: 1-line block ×3, first 2 shown]
	v_mbcnt_lo_u32_b32 v6, v4, 0
	v_mbcnt_hi_u32_b32 v22, v5, v6
	v_cmp_eq_u32_e32 vcc, 0, v22
	v_cmp_ne_u64_e64 s[2:3], 0, v[4:5]
	s_and_b64 s[8:9], s[2:3], vcc
	; wave barrier
	s_and_saveexec_b64 s[2:3], s[8:9]
	s_cbranch_execz .LBB2109_35
; %bb.34:
	v_bcnt_u32_b32 v4, v4, 0
	v_bcnt_u32_b32 v4, v5, v4
	s_waitcnt lgkmcnt(0)
	v_add_u32_e32 v4, v20, v4
	ds_write_b32 v26, v4 offset:64
.LBB2109_35:
	s_or_b64 exec, exec, s[2:3]
	v_not_b32_e32 v18, v18
	v_lshrrev_b32_e32 v4, s20, v18
	v_and_b32_e32 v6, s31, v4
	v_and_b32_e32 v5, 1, v6
	v_add_co_u32_e32 v7, vcc, -1, v5
	v_addc_co_u32_e64 v25, s[2:3], 0, -1, vcc
	v_cmp_ne_u32_e32 vcc, 0, v5
	v_lshl_add_u32 v4, v6, 4, v6
	v_xor_b32_e32 v5, vcc_hi, v25
	v_add_lshl_u32 v32, v29, v4, 2
	v_mov_b32_e32 v4, 0
	v_and_b32_e32 v25, exec_hi, v5
	v_lshlrev_b32_e32 v5, 30, v6
	v_xor_b32_e32 v7, vcc_lo, v7
	v_cmp_gt_i64_e32 vcc, 0, v[4:5]
	v_not_b32_e32 v5, v5
	v_ashrrev_i32_e32 v5, 31, v5
	v_and_b32_e32 v7, exec_lo, v7
	v_xor_b32_e32 v27, vcc_hi, v5
	v_xor_b32_e32 v5, vcc_lo, v5
	v_and_b32_e32 v7, v7, v5
	v_lshlrev_b32_e32 v5, 29, v6
	v_cmp_gt_i64_e32 vcc, 0, v[4:5]
	v_not_b32_e32 v5, v5
	v_ashrrev_i32_e32 v5, 31, v5
	v_and_b32_e32 v25, v25, v27
	v_xor_b32_e32 v27, vcc_hi, v5
	v_xor_b32_e32 v5, vcc_lo, v5
	v_and_b32_e32 v7, v7, v5
	v_lshlrev_b32_e32 v5, 28, v6
	v_cmp_gt_i64_e32 vcc, 0, v[4:5]
	v_not_b32_e32 v5, v5
	v_ashrrev_i32_e32 v5, 31, v5
	v_and_b32_e32 v25, v25, v27
	;; [unrolled: 8-line block ×5, first 2 shown]
	v_xor_b32_e32 v27, vcc_hi, v5
	v_xor_b32_e32 v5, vcc_lo, v5
	v_and_b32_e32 v25, v25, v27
	v_and_b32_e32 v27, v7, v5
	v_lshlrev_b32_e32 v5, 24, v6
	v_cmp_gt_i64_e32 vcc, 0, v[4:5]
	v_not_b32_e32 v5, v5
	v_ashrrev_i32_e32 v5, 31, v5
	v_xor_b32_e32 v6, vcc_hi, v5
	v_xor_b32_e32 v5, vcc_lo, v5
	; wave barrier
	ds_read_b32 v23, v32 offset:64
	v_and_b32_e32 v7, v25, v6
	v_and_b32_e32 v6, v27, v5
	v_mbcnt_lo_u32_b32 v5, v6, 0
	v_mbcnt_hi_u32_b32 v25, v7, v5
	v_cmp_eq_u32_e32 vcc, 0, v25
	v_cmp_ne_u64_e64 s[2:3], 0, v[6:7]
	s_and_b64 s[8:9], s[2:3], vcc
	; wave barrier
	s_and_saveexec_b64 s[2:3], s[8:9]
	s_cbranch_execz .LBB2109_37
; %bb.36:
	v_bcnt_u32_b32 v5, v6, 0
	v_bcnt_u32_b32 v5, v7, v5
	s_waitcnt lgkmcnt(0)
	v_add_u32_e32 v5, v23, v5
	ds_write_b32 v32, v5 offset:64
.LBB2109_37:
	s_or_b64 exec, exec, s[2:3]
	v_not_b32_e32 v21, v21
	v_lshrrev_b32_e32 v5, s20, v21
	v_and_b32_e32 v6, s31, v5
	v_lshl_add_u32 v5, v6, 4, v6
	v_add_lshl_u32 v37, v29, v5, 2
	v_and_b32_e32 v5, 1, v6
	v_add_co_u32_e32 v7, vcc, -1, v5
	v_addc_co_u32_e64 v30, s[2:3], 0, -1, vcc
	v_cmp_ne_u32_e32 vcc, 0, v5
	v_xor_b32_e32 v5, vcc_hi, v30
	v_and_b32_e32 v30, exec_hi, v5
	v_lshlrev_b32_e32 v5, 30, v6
	v_xor_b32_e32 v7, vcc_lo, v7
	v_cmp_gt_i64_e32 vcc, 0, v[4:5]
	v_not_b32_e32 v5, v5
	v_ashrrev_i32_e32 v5, 31, v5
	v_and_b32_e32 v7, exec_lo, v7
	v_xor_b32_e32 v33, vcc_hi, v5
	v_xor_b32_e32 v5, vcc_lo, v5
	v_and_b32_e32 v7, v7, v5
	v_lshlrev_b32_e32 v5, 29, v6
	v_cmp_gt_i64_e32 vcc, 0, v[4:5]
	v_not_b32_e32 v5, v5
	v_ashrrev_i32_e32 v5, 31, v5
	v_and_b32_e32 v30, v30, v33
	v_xor_b32_e32 v33, vcc_hi, v5
	v_xor_b32_e32 v5, vcc_lo, v5
	v_and_b32_e32 v7, v7, v5
	v_lshlrev_b32_e32 v5, 28, v6
	v_cmp_gt_i64_e32 vcc, 0, v[4:5]
	v_not_b32_e32 v5, v5
	v_ashrrev_i32_e32 v5, 31, v5
	v_and_b32_e32 v30, v30, v33
	;; [unrolled: 8-line block ×5, first 2 shown]
	v_xor_b32_e32 v33, vcc_hi, v5
	v_xor_b32_e32 v5, vcc_lo, v5
	v_and_b32_e32 v7, v7, v5
	v_lshlrev_b32_e32 v5, 24, v6
	v_cmp_gt_i64_e32 vcc, 0, v[4:5]
	v_not_b32_e32 v4, v5
	v_ashrrev_i32_e32 v4, 31, v4
	v_xor_b32_e32 v5, vcc_hi, v4
	v_xor_b32_e32 v4, vcc_lo, v4
	; wave barrier
	ds_read_b32 v27, v37 offset:64
	v_and_b32_e32 v30, v30, v33
	v_and_b32_e32 v4, v7, v4
	;; [unrolled: 1-line block ×3, first 2 shown]
	v_mbcnt_lo_u32_b32 v6, v4, 0
	v_mbcnt_hi_u32_b32 v30, v5, v6
	v_cmp_eq_u32_e32 vcc, 0, v30
	v_cmp_ne_u64_e64 s[2:3], 0, v[4:5]
	s_and_b64 s[8:9], s[2:3], vcc
	; wave barrier
	s_and_saveexec_b64 s[2:3], s[8:9]
	s_cbranch_execz .LBB2109_39
; %bb.38:
	v_bcnt_u32_b32 v4, v4, 0
	v_bcnt_u32_b32 v4, v5, v4
	s_waitcnt lgkmcnt(0)
	v_add_u32_e32 v4, v27, v4
	ds_write_b32 v37, v4 offset:64
.LBB2109_39:
	s_or_b64 exec, exec, s[2:3]
	v_not_b32_e32 v24, v24
	v_lshrrev_b32_e32 v4, s20, v24
	v_and_b32_e32 v6, s31, v4
	v_and_b32_e32 v5, 1, v6
	v_add_co_u32_e32 v7, vcc, -1, v5
	v_addc_co_u32_e64 v36, s[2:3], 0, -1, vcc
	v_cmp_ne_u32_e32 vcc, 0, v5
	v_lshl_add_u32 v4, v6, 4, v6
	v_xor_b32_e32 v5, vcc_hi, v36
	v_add_lshl_u32 v40, v29, v4, 2
	v_mov_b32_e32 v4, 0
	v_and_b32_e32 v36, exec_hi, v5
	v_lshlrev_b32_e32 v5, 30, v6
	v_xor_b32_e32 v7, vcc_lo, v7
	v_cmp_gt_i64_e32 vcc, 0, v[4:5]
	v_not_b32_e32 v5, v5
	v_ashrrev_i32_e32 v5, 31, v5
	v_and_b32_e32 v7, exec_lo, v7
	v_xor_b32_e32 v38, vcc_hi, v5
	v_xor_b32_e32 v5, vcc_lo, v5
	v_and_b32_e32 v7, v7, v5
	v_lshlrev_b32_e32 v5, 29, v6
	v_cmp_gt_i64_e32 vcc, 0, v[4:5]
	v_not_b32_e32 v5, v5
	v_ashrrev_i32_e32 v5, 31, v5
	v_and_b32_e32 v36, v36, v38
	v_xor_b32_e32 v38, vcc_hi, v5
	v_xor_b32_e32 v5, vcc_lo, v5
	v_and_b32_e32 v7, v7, v5
	v_lshlrev_b32_e32 v5, 28, v6
	v_cmp_gt_i64_e32 vcc, 0, v[4:5]
	v_not_b32_e32 v5, v5
	v_ashrrev_i32_e32 v5, 31, v5
	v_and_b32_e32 v36, v36, v38
	;; [unrolled: 8-line block ×5, first 2 shown]
	v_xor_b32_e32 v38, vcc_hi, v5
	v_xor_b32_e32 v5, vcc_lo, v5
	v_and_b32_e32 v36, v36, v38
	v_and_b32_e32 v38, v7, v5
	v_lshlrev_b32_e32 v5, 24, v6
	v_cmp_gt_i64_e32 vcc, 0, v[4:5]
	v_not_b32_e32 v5, v5
	v_ashrrev_i32_e32 v5, 31, v5
	v_xor_b32_e32 v6, vcc_hi, v5
	v_xor_b32_e32 v5, vcc_lo, v5
	; wave barrier
	ds_read_b32 v33, v40 offset:64
	v_and_b32_e32 v7, v36, v6
	v_and_b32_e32 v6, v38, v5
	v_mbcnt_lo_u32_b32 v5, v6, 0
	v_mbcnt_hi_u32_b32 v36, v7, v5
	v_cmp_eq_u32_e32 vcc, 0, v36
	v_cmp_ne_u64_e64 s[2:3], 0, v[6:7]
	s_and_b64 s[8:9], s[2:3], vcc
	; wave barrier
	s_and_saveexec_b64 s[2:3], s[8:9]
	s_cbranch_execz .LBB2109_41
; %bb.40:
	v_bcnt_u32_b32 v5, v6, 0
	v_bcnt_u32_b32 v5, v7, v5
	s_waitcnt lgkmcnt(0)
	v_add_u32_e32 v5, v33, v5
	ds_write_b32 v40, v5 offset:64
.LBB2109_41:
	s_or_b64 exec, exec, s[2:3]
	v_not_b32_e32 v28, v28
	v_lshrrev_b32_e32 v5, s20, v28
	v_and_b32_e32 v6, s31, v5
	v_lshl_add_u32 v5, v6, 4, v6
	v_add_lshl_u32 v43, v29, v5, 2
	v_and_b32_e32 v5, 1, v6
	v_add_co_u32_e32 v7, vcc, -1, v5
	v_addc_co_u32_e64 v39, s[2:3], 0, -1, vcc
	v_cmp_ne_u32_e32 vcc, 0, v5
	v_xor_b32_e32 v5, vcc_hi, v39
	v_and_b32_e32 v39, exec_hi, v5
	v_lshlrev_b32_e32 v5, 30, v6
	v_xor_b32_e32 v7, vcc_lo, v7
	v_cmp_gt_i64_e32 vcc, 0, v[4:5]
	v_not_b32_e32 v5, v5
	v_ashrrev_i32_e32 v5, 31, v5
	v_and_b32_e32 v7, exec_lo, v7
	v_xor_b32_e32 v41, vcc_hi, v5
	v_xor_b32_e32 v5, vcc_lo, v5
	v_and_b32_e32 v7, v7, v5
	v_lshlrev_b32_e32 v5, 29, v6
	v_cmp_gt_i64_e32 vcc, 0, v[4:5]
	v_not_b32_e32 v5, v5
	v_ashrrev_i32_e32 v5, 31, v5
	v_and_b32_e32 v39, v39, v41
	v_xor_b32_e32 v41, vcc_hi, v5
	v_xor_b32_e32 v5, vcc_lo, v5
	v_and_b32_e32 v7, v7, v5
	v_lshlrev_b32_e32 v5, 28, v6
	v_cmp_gt_i64_e32 vcc, 0, v[4:5]
	v_not_b32_e32 v5, v5
	v_ashrrev_i32_e32 v5, 31, v5
	v_and_b32_e32 v39, v39, v41
	;; [unrolled: 8-line block ×5, first 2 shown]
	v_xor_b32_e32 v41, vcc_hi, v5
	v_xor_b32_e32 v5, vcc_lo, v5
	v_and_b32_e32 v7, v7, v5
	v_lshlrev_b32_e32 v5, 24, v6
	v_cmp_gt_i64_e32 vcc, 0, v[4:5]
	v_not_b32_e32 v4, v5
	v_ashrrev_i32_e32 v4, 31, v4
	v_xor_b32_e32 v5, vcc_hi, v4
	v_xor_b32_e32 v4, vcc_lo, v4
	; wave barrier
	ds_read_b32 v38, v43 offset:64
	v_and_b32_e32 v39, v39, v41
	v_and_b32_e32 v4, v7, v4
	;; [unrolled: 1-line block ×3, first 2 shown]
	v_mbcnt_lo_u32_b32 v6, v4, 0
	v_mbcnt_hi_u32_b32 v39, v5, v6
	v_cmp_eq_u32_e32 vcc, 0, v39
	v_cmp_ne_u64_e64 s[2:3], 0, v[4:5]
	s_and_b64 s[8:9], s[2:3], vcc
	; wave barrier
	s_and_saveexec_b64 s[2:3], s[8:9]
	s_cbranch_execz .LBB2109_43
; %bb.42:
	v_bcnt_u32_b32 v4, v4, 0
	v_bcnt_u32_b32 v4, v5, v4
	s_waitcnt lgkmcnt(0)
	v_add_u32_e32 v4, v38, v4
	ds_write_b32 v43, v4 offset:64
.LBB2109_43:
	s_or_b64 exec, exec, s[2:3]
	v_not_b32_e32 v34, v34
	v_lshrrev_b32_e32 v4, s20, v34
	v_and_b32_e32 v6, s31, v4
	v_and_b32_e32 v5, 1, v6
	v_add_co_u32_e32 v7, vcc, -1, v5
	v_addc_co_u32_e64 v42, s[2:3], 0, -1, vcc
	v_cmp_ne_u32_e32 vcc, 0, v5
	v_lshl_add_u32 v4, v6, 4, v6
	v_xor_b32_e32 v5, vcc_hi, v42
	v_add_lshl_u32 v47, v29, v4, 2
	v_mov_b32_e32 v4, 0
	v_and_b32_e32 v42, exec_hi, v5
	v_lshlrev_b32_e32 v5, 30, v6
	v_xor_b32_e32 v7, vcc_lo, v7
	v_cmp_gt_i64_e32 vcc, 0, v[4:5]
	v_not_b32_e32 v5, v5
	v_ashrrev_i32_e32 v5, 31, v5
	v_and_b32_e32 v7, exec_lo, v7
	v_xor_b32_e32 v44, vcc_hi, v5
	v_xor_b32_e32 v5, vcc_lo, v5
	v_and_b32_e32 v7, v7, v5
	v_lshlrev_b32_e32 v5, 29, v6
	v_cmp_gt_i64_e32 vcc, 0, v[4:5]
	v_not_b32_e32 v5, v5
	v_ashrrev_i32_e32 v5, 31, v5
	v_and_b32_e32 v42, v42, v44
	v_xor_b32_e32 v44, vcc_hi, v5
	v_xor_b32_e32 v5, vcc_lo, v5
	v_and_b32_e32 v7, v7, v5
	v_lshlrev_b32_e32 v5, 28, v6
	v_cmp_gt_i64_e32 vcc, 0, v[4:5]
	v_not_b32_e32 v5, v5
	v_ashrrev_i32_e32 v5, 31, v5
	v_and_b32_e32 v42, v42, v44
	;; [unrolled: 8-line block ×5, first 2 shown]
	v_xor_b32_e32 v44, vcc_hi, v5
	v_xor_b32_e32 v5, vcc_lo, v5
	v_and_b32_e32 v42, v42, v44
	v_and_b32_e32 v44, v7, v5
	v_lshlrev_b32_e32 v5, 24, v6
	v_cmp_gt_i64_e32 vcc, 0, v[4:5]
	v_not_b32_e32 v5, v5
	v_ashrrev_i32_e32 v5, 31, v5
	v_xor_b32_e32 v6, vcc_hi, v5
	v_xor_b32_e32 v5, vcc_lo, v5
	; wave barrier
	ds_read_b32 v41, v47 offset:64
	v_and_b32_e32 v7, v42, v6
	v_and_b32_e32 v6, v44, v5
	v_mbcnt_lo_u32_b32 v5, v6, 0
	v_mbcnt_hi_u32_b32 v42, v7, v5
	v_cmp_eq_u32_e32 vcc, 0, v42
	v_cmp_ne_u64_e64 s[2:3], 0, v[6:7]
	s_and_b64 s[8:9], s[2:3], vcc
	; wave barrier
	s_and_saveexec_b64 s[2:3], s[8:9]
	s_cbranch_execz .LBB2109_45
; %bb.44:
	v_bcnt_u32_b32 v5, v6, 0
	v_bcnt_u32_b32 v5, v7, v5
	s_waitcnt lgkmcnt(0)
	v_add_u32_e32 v5, v41, v5
	ds_write_b32 v47, v5 offset:64
.LBB2109_45:
	s_or_b64 exec, exec, s[2:3]
	v_not_b32_e32 v35, v35
	v_lshrrev_b32_e32 v5, s20, v35
	v_and_b32_e32 v6, s31, v5
	v_lshl_add_u32 v5, v6, 4, v6
	v_add_lshl_u32 v51, v29, v5, 2
	v_and_b32_e32 v5, 1, v6
	v_add_co_u32_e32 v7, vcc, -1, v5
	v_addc_co_u32_e64 v45, s[2:3], 0, -1, vcc
	v_cmp_ne_u32_e32 vcc, 0, v5
	v_xor_b32_e32 v5, vcc_hi, v45
	v_and_b32_e32 v45, exec_hi, v5
	v_lshlrev_b32_e32 v5, 30, v6
	v_xor_b32_e32 v7, vcc_lo, v7
	v_cmp_gt_i64_e32 vcc, 0, v[4:5]
	v_not_b32_e32 v5, v5
	v_ashrrev_i32_e32 v5, 31, v5
	v_and_b32_e32 v7, exec_lo, v7
	v_xor_b32_e32 v46, vcc_hi, v5
	v_xor_b32_e32 v5, vcc_lo, v5
	v_and_b32_e32 v7, v7, v5
	v_lshlrev_b32_e32 v5, 29, v6
	v_cmp_gt_i64_e32 vcc, 0, v[4:5]
	v_not_b32_e32 v5, v5
	v_ashrrev_i32_e32 v5, 31, v5
	v_and_b32_e32 v45, v45, v46
	v_xor_b32_e32 v46, vcc_hi, v5
	v_xor_b32_e32 v5, vcc_lo, v5
	v_and_b32_e32 v7, v7, v5
	v_lshlrev_b32_e32 v5, 28, v6
	v_cmp_gt_i64_e32 vcc, 0, v[4:5]
	v_not_b32_e32 v5, v5
	v_ashrrev_i32_e32 v5, 31, v5
	v_and_b32_e32 v45, v45, v46
	;; [unrolled: 8-line block ×5, first 2 shown]
	v_xor_b32_e32 v46, vcc_hi, v5
	v_xor_b32_e32 v5, vcc_lo, v5
	v_and_b32_e32 v7, v7, v5
	v_lshlrev_b32_e32 v5, 24, v6
	v_cmp_gt_i64_e32 vcc, 0, v[4:5]
	v_not_b32_e32 v4, v5
	v_ashrrev_i32_e32 v4, 31, v4
	v_xor_b32_e32 v5, vcc_hi, v4
	v_xor_b32_e32 v4, vcc_lo, v4
	; wave barrier
	ds_read_b32 v44, v51 offset:64
	v_and_b32_e32 v45, v45, v46
	v_and_b32_e32 v4, v7, v4
	;; [unrolled: 1-line block ×3, first 2 shown]
	v_mbcnt_lo_u32_b32 v6, v4, 0
	v_mbcnt_hi_u32_b32 v46, v5, v6
	v_cmp_eq_u32_e32 vcc, 0, v46
	v_cmp_ne_u64_e64 s[2:3], 0, v[4:5]
	s_and_b64 s[8:9], s[2:3], vcc
	; wave barrier
	s_and_saveexec_b64 s[2:3], s[8:9]
	s_cbranch_execz .LBB2109_47
; %bb.46:
	v_bcnt_u32_b32 v4, v4, 0
	v_bcnt_u32_b32 v4, v5, v4
	s_waitcnt lgkmcnt(0)
	v_add_u32_e32 v4, v44, v4
	ds_write_b32 v51, v4 offset:64
.LBB2109_47:
	s_or_b64 exec, exec, s[2:3]
	v_not_b32_e32 v31, v31
	v_lshrrev_b32_e32 v4, s20, v31
	v_and_b32_e32 v6, s31, v4
	v_and_b32_e32 v5, 1, v6
	v_add_co_u32_e32 v7, vcc, -1, v5
	v_addc_co_u32_e64 v45, s[2:3], 0, -1, vcc
	v_cmp_ne_u32_e32 vcc, 0, v5
	v_lshl_add_u32 v4, v6, 4, v6
	v_xor_b32_e32 v5, vcc_hi, v45
	v_add_lshl_u32 v54, v29, v4, 2
	v_mov_b32_e32 v4, 0
	v_and_b32_e32 v45, exec_hi, v5
	v_lshlrev_b32_e32 v5, 30, v6
	v_xor_b32_e32 v7, vcc_lo, v7
	v_cmp_gt_i64_e32 vcc, 0, v[4:5]
	v_not_b32_e32 v5, v5
	v_ashrrev_i32_e32 v5, 31, v5
	v_and_b32_e32 v7, exec_lo, v7
	v_xor_b32_e32 v49, vcc_hi, v5
	v_xor_b32_e32 v5, vcc_lo, v5
	v_and_b32_e32 v7, v7, v5
	v_lshlrev_b32_e32 v5, 29, v6
	v_cmp_gt_i64_e32 vcc, 0, v[4:5]
	v_not_b32_e32 v5, v5
	v_ashrrev_i32_e32 v5, 31, v5
	v_and_b32_e32 v45, v45, v49
	v_xor_b32_e32 v49, vcc_hi, v5
	v_xor_b32_e32 v5, vcc_lo, v5
	v_and_b32_e32 v7, v7, v5
	v_lshlrev_b32_e32 v5, 28, v6
	v_cmp_gt_i64_e32 vcc, 0, v[4:5]
	v_not_b32_e32 v5, v5
	v_ashrrev_i32_e32 v5, 31, v5
	v_and_b32_e32 v45, v45, v49
	;; [unrolled: 8-line block ×5, first 2 shown]
	v_xor_b32_e32 v49, vcc_hi, v5
	v_xor_b32_e32 v5, vcc_lo, v5
	v_and_b32_e32 v45, v45, v49
	v_and_b32_e32 v49, v7, v5
	v_lshlrev_b32_e32 v5, 24, v6
	v_cmp_gt_i64_e32 vcc, 0, v[4:5]
	v_not_b32_e32 v5, v5
	v_ashrrev_i32_e32 v5, 31, v5
	v_xor_b32_e32 v6, vcc_hi, v5
	v_xor_b32_e32 v5, vcc_lo, v5
	; wave barrier
	ds_read_b32 v48, v54 offset:64
	v_and_b32_e32 v7, v45, v6
	v_and_b32_e32 v6, v49, v5
	v_mbcnt_lo_u32_b32 v5, v6, 0
	v_mbcnt_hi_u32_b32 v50, v7, v5
	v_cmp_eq_u32_e32 vcc, 0, v50
	v_cmp_ne_u64_e64 s[2:3], 0, v[6:7]
	s_and_b64 s[8:9], s[2:3], vcc
	; wave barrier
	s_and_saveexec_b64 s[2:3], s[8:9]
	s_cbranch_execz .LBB2109_49
; %bb.48:
	v_bcnt_u32_b32 v5, v6, 0
	v_bcnt_u32_b32 v5, v7, v5
	s_waitcnt lgkmcnt(0)
	v_add_u32_e32 v5, v48, v5
	ds_write_b32 v54, v5 offset:64
.LBB2109_49:
	s_or_b64 exec, exec, s[2:3]
	v_not_b32_e32 v45, v11
	v_lshrrev_b32_e32 v5, s20, v45
	v_and_b32_e32 v6, s31, v5
	v_lshl_add_u32 v5, v6, 4, v6
	v_add_lshl_u32 v11, v29, v5, 2
	v_and_b32_e32 v5, 1, v6
	v_add_co_u32_e32 v7, vcc, -1, v5
	v_addc_co_u32_e64 v49, s[2:3], 0, -1, vcc
	v_cmp_ne_u32_e32 vcc, 0, v5
	v_xor_b32_e32 v5, vcc_hi, v49
	v_and_b32_e32 v49, exec_hi, v5
	v_lshlrev_b32_e32 v5, 30, v6
	v_xor_b32_e32 v7, vcc_lo, v7
	v_cmp_gt_i64_e32 vcc, 0, v[4:5]
	v_not_b32_e32 v5, v5
	v_ashrrev_i32_e32 v5, 31, v5
	v_and_b32_e32 v7, exec_lo, v7
	v_xor_b32_e32 v53, vcc_hi, v5
	v_xor_b32_e32 v5, vcc_lo, v5
	v_and_b32_e32 v7, v7, v5
	v_lshlrev_b32_e32 v5, 29, v6
	v_cmp_gt_i64_e32 vcc, 0, v[4:5]
	v_not_b32_e32 v5, v5
	v_ashrrev_i32_e32 v5, 31, v5
	v_and_b32_e32 v49, v49, v53
	v_xor_b32_e32 v53, vcc_hi, v5
	v_xor_b32_e32 v5, vcc_lo, v5
	v_and_b32_e32 v7, v7, v5
	v_lshlrev_b32_e32 v5, 28, v6
	v_cmp_gt_i64_e32 vcc, 0, v[4:5]
	v_not_b32_e32 v5, v5
	v_ashrrev_i32_e32 v5, 31, v5
	v_and_b32_e32 v49, v49, v53
	;; [unrolled: 8-line block ×5, first 2 shown]
	v_xor_b32_e32 v53, vcc_hi, v5
	v_xor_b32_e32 v5, vcc_lo, v5
	v_and_b32_e32 v7, v7, v5
	v_lshlrev_b32_e32 v5, 24, v6
	v_cmp_gt_i64_e32 vcc, 0, v[4:5]
	v_not_b32_e32 v4, v5
	v_ashrrev_i32_e32 v4, 31, v4
	v_xor_b32_e32 v5, vcc_hi, v4
	v_xor_b32_e32 v4, vcc_lo, v4
	; wave barrier
	ds_read_b32 v52, v11 offset:64
	v_and_b32_e32 v49, v49, v53
	v_and_b32_e32 v4, v7, v4
	;; [unrolled: 1-line block ×3, first 2 shown]
	v_mbcnt_lo_u32_b32 v6, v4, 0
	v_mbcnt_hi_u32_b32 v53, v5, v6
	v_cmp_eq_u32_e32 vcc, 0, v53
	v_cmp_ne_u64_e64 s[2:3], 0, v[4:5]
	s_and_b64 s[8:9], s[2:3], vcc
	; wave barrier
	s_and_saveexec_b64 s[2:3], s[8:9]
	s_cbranch_execz .LBB2109_51
; %bb.50:
	v_bcnt_u32_b32 v4, v4, 0
	v_bcnt_u32_b32 v4, v5, v4
	s_waitcnt lgkmcnt(0)
	v_add_u32_e32 v4, v52, v4
	ds_write_b32 v11, v4 offset:64
.LBB2109_51:
	s_or_b64 exec, exec, s[2:3]
	v_not_b32_e32 v49, v10
	v_lshrrev_b32_e32 v4, s20, v49
	v_and_b32_e32 v6, s31, v4
	v_and_b32_e32 v5, 1, v6
	v_add_co_u32_e32 v7, vcc, -1, v5
	v_addc_co_u32_e64 v55, s[2:3], 0, -1, vcc
	v_cmp_ne_u32_e32 vcc, 0, v5
	v_lshl_add_u32 v4, v6, 4, v6
	v_xor_b32_e32 v5, vcc_hi, v55
	v_add_lshl_u32 v10, v29, v4, 2
	v_mov_b32_e32 v4, 0
	v_and_b32_e32 v55, exec_hi, v5
	v_lshlrev_b32_e32 v5, 30, v6
	v_xor_b32_e32 v7, vcc_lo, v7
	v_cmp_gt_i64_e32 vcc, 0, v[4:5]
	v_not_b32_e32 v5, v5
	v_ashrrev_i32_e32 v5, 31, v5
	v_and_b32_e32 v7, exec_lo, v7
	v_xor_b32_e32 v57, vcc_hi, v5
	v_xor_b32_e32 v5, vcc_lo, v5
	v_and_b32_e32 v7, v7, v5
	v_lshlrev_b32_e32 v5, 29, v6
	v_cmp_gt_i64_e32 vcc, 0, v[4:5]
	v_not_b32_e32 v5, v5
	v_ashrrev_i32_e32 v5, 31, v5
	v_and_b32_e32 v55, v55, v57
	v_xor_b32_e32 v57, vcc_hi, v5
	v_xor_b32_e32 v5, vcc_lo, v5
	v_and_b32_e32 v7, v7, v5
	v_lshlrev_b32_e32 v5, 28, v6
	v_cmp_gt_i64_e32 vcc, 0, v[4:5]
	v_not_b32_e32 v5, v5
	v_ashrrev_i32_e32 v5, 31, v5
	v_and_b32_e32 v55, v55, v57
	v_xor_b32_e32 v57, vcc_hi, v5
	v_xor_b32_e32 v5, vcc_lo, v5
	v_and_b32_e32 v7, v7, v5
	v_lshlrev_b32_e32 v5, 27, v6
	v_cmp_gt_i64_e32 vcc, 0, v[4:5]
	v_not_b32_e32 v5, v5
	v_ashrrev_i32_e32 v5, 31, v5
	v_and_b32_e32 v55, v55, v57
	v_xor_b32_e32 v57, vcc_hi, v5
	v_xor_b32_e32 v5, vcc_lo, v5
	v_and_b32_e32 v7, v7, v5
	v_lshlrev_b32_e32 v5, 26, v6
	v_cmp_gt_i64_e32 vcc, 0, v[4:5]
	v_not_b32_e32 v5, v5
	v_ashrrev_i32_e32 v5, 31, v5
	v_and_b32_e32 v55, v55, v57
	v_xor_b32_e32 v57, vcc_hi, v5
	v_xor_b32_e32 v5, vcc_lo, v5
	v_and_b32_e32 v7, v7, v5
	v_lshlrev_b32_e32 v5, 25, v6
	v_cmp_gt_i64_e32 vcc, 0, v[4:5]
	v_not_b32_e32 v5, v5
	v_ashrrev_i32_e32 v5, 31, v5
	v_and_b32_e32 v55, v55, v57
	v_xor_b32_e32 v57, vcc_hi, v5
	v_xor_b32_e32 v5, vcc_lo, v5
	v_and_b32_e32 v7, v7, v5
	v_lshlrev_b32_e32 v5, 24, v6
	v_cmp_gt_i64_e32 vcc, 0, v[4:5]
	v_not_b32_e32 v4, v5
	v_ashrrev_i32_e32 v4, 31, v4
	v_xor_b32_e32 v5, vcc_hi, v4
	v_xor_b32_e32 v4, vcc_lo, v4
	; wave barrier
	ds_read_b32 v29, v10 offset:64
	v_and_b32_e32 v55, v55, v57
	v_and_b32_e32 v4, v7, v4
	v_and_b32_e32 v5, v55, v5
	v_mbcnt_lo_u32_b32 v6, v4, 0
	v_mbcnt_hi_u32_b32 v55, v5, v6
	v_cmp_eq_u32_e32 vcc, 0, v55
	v_cmp_ne_u64_e64 s[2:3], 0, v[4:5]
	v_add_u32_e32 v56, 64, v3
	s_and_b64 s[8:9], s[2:3], vcc
	; wave barrier
	s_and_saveexec_b64 s[2:3], s[8:9]
	s_cbranch_execz .LBB2109_53
; %bb.52:
	v_bcnt_u32_b32 v4, v4, 0
	v_bcnt_u32_b32 v4, v5, v4
	s_waitcnt lgkmcnt(0)
	v_add_u32_e32 v4, v29, v4
	ds_write_b32 v10, v4 offset:64
.LBB2109_53:
	s_or_b64 exec, exec, s[2:3]
	; wave barrier
	s_waitcnt lgkmcnt(0)
	s_barrier
	ds_read2_b32 v[6:7], v3 offset0:16 offset1:17
	ds_read2_b32 v[4:5], v56 offset0:2 offset1:3
	ds_read_b32 v57, v56 offset:16
	v_cmp_lt_u32_e64 s[12:13], 31, v1
	s_waitcnt lgkmcnt(1)
	v_add3_u32 v58, v7, v6, v4
	s_waitcnt lgkmcnt(0)
	v_add3_u32 v57, v58, v5, v57
	v_and_b32_e32 v58, 15, v1
	v_cmp_eq_u32_e32 vcc, 0, v58
	v_mov_b32_dpp v59, v57 row_shr:1 row_mask:0xf bank_mask:0xf
	v_cndmask_b32_e64 v59, v59, 0, vcc
	v_add_u32_e32 v57, v59, v57
	v_cmp_lt_u32_e64 s[2:3], 1, v58
	v_cmp_lt_u32_e64 s[10:11], 3, v58
	v_mov_b32_dpp v59, v57 row_shr:2 row_mask:0xf bank_mask:0xf
	v_cndmask_b32_e64 v59, 0, v59, s[2:3]
	v_add_u32_e32 v57, v57, v59
	v_cmp_lt_u32_e64 s[8:9], 7, v58
	s_nop 0
	v_mov_b32_dpp v59, v57 row_shr:4 row_mask:0xf bank_mask:0xf
	v_cndmask_b32_e64 v59, 0, v59, s[10:11]
	v_add_u32_e32 v57, v57, v59
	s_nop 1
	v_mov_b32_dpp v59, v57 row_shr:8 row_mask:0xf bank_mask:0xf
	v_cndmask_b32_e64 v58, 0, v59, s[8:9]
	v_add_u32_e32 v57, v57, v58
	v_bfe_i32 v59, v1, 4, 1
	s_nop 0
	v_mov_b32_dpp v58, v57 row_bcast:15 row_mask:0xf bank_mask:0xf
	v_and_b32_e32 v58, v59, v58
	v_add_u32_e32 v57, v57, v58
	v_and_b32_e32 v59, 63, v2
	s_nop 0
	v_mov_b32_dpp v58, v57 row_bcast:31 row_mask:0xf bank_mask:0xf
	v_cndmask_b32_e64 v58, 0, v58, s[12:13]
	v_add_u32_e32 v57, v57, v58
	v_lshrrev_b32_e32 v58, 6, v2
	v_cmp_eq_u32_e64 s[12:13], 63, v59
	s_and_saveexec_b64 s[22:23], s[12:13]
	s_cbranch_execz .LBB2109_55
; %bb.54:
	v_lshlrev_b32_e32 v59, 2, v58
	ds_write_b32 v59, v57
.LBB2109_55:
	s_or_b64 exec, exec, s[22:23]
	v_cmp_gt_u32_e64 s[12:13], 16, v2
	s_waitcnt lgkmcnt(0)
	s_barrier
	s_and_saveexec_b64 s[22:23], s[12:13]
	s_cbranch_execz .LBB2109_57
; %bb.56:
	v_lshlrev_b32_e32 v59, 2, v2
	ds_read_b32 v60, v59
	s_waitcnt lgkmcnt(0)
	s_nop 0
	v_mov_b32_dpp v61, v60 row_shr:1 row_mask:0xf bank_mask:0xf
	v_cndmask_b32_e64 v61, v61, 0, vcc
	v_add_u32_e32 v60, v61, v60
	s_nop 1
	v_mov_b32_dpp v61, v60 row_shr:2 row_mask:0xf bank_mask:0xf
	v_cndmask_b32_e64 v61, 0, v61, s[2:3]
	v_add_u32_e32 v60, v60, v61
	s_nop 1
	v_mov_b32_dpp v61, v60 row_shr:4 row_mask:0xf bank_mask:0xf
	v_cndmask_b32_e64 v61, 0, v61, s[10:11]
	;; [unrolled: 4-line block ×3, first 2 shown]
	v_add_u32_e32 v60, v60, v61
	ds_write_b32 v59, v60
.LBB2109_57:
	s_or_b64 exec, exec, s[22:23]
	v_cmp_lt_u32_e32 vcc, 63, v2
	v_mov_b32_e32 v59, 0
	s_waitcnt lgkmcnt(0)
	s_barrier
	s_and_saveexec_b64 s[2:3], vcc
	s_cbranch_execz .LBB2109_59
; %bb.58:
	v_lshl_add_u32 v58, v58, 2, -4
	ds_read_b32 v59, v58
.LBB2109_59:
	s_or_b64 exec, exec, s[2:3]
	v_add_u32_e32 v58, -1, v1
	v_and_b32_e32 v60, 64, v1
	v_cmp_lt_i32_e32 vcc, v58, v60
	v_cndmask_b32_e32 v58, v58, v1, vcc
	s_waitcnt lgkmcnt(0)
	v_add_u32_e32 v57, v59, v57
	v_lshlrev_b32_e32 v58, 2, v58
	ds_bpermute_b32 v57, v58, v57
	v_cmp_eq_u32_e32 vcc, 0, v1
	s_movk_i32 s8, 0xff
	s_movk_i32 s2, 0x100
	v_cmp_gt_u32_e64 s[2:3], s2, v2
	s_waitcnt lgkmcnt(0)
	v_cndmask_b32_e32 v1, v57, v59, vcc
	v_cndmask_b32_e64 v1, v1, 0, s[0:1]
	v_add_u32_e32 v6, v1, v6
	v_add_u32_e32 v7, v6, v7
	;; [unrolled: 1-line block ×4, first 2 shown]
	ds_write2_b32 v3, v1, v6 offset0:16 offset1:17
	ds_write2_b32 v56, v7, v4 offset0:2 offset1:3
	ds_write_b32 v56, v5 offset:16
	s_waitcnt lgkmcnt(0)
	s_barrier
	ds_read_b32 v57, v8 offset:64
	ds_read_b32 v1, v9 offset:64
	;; [unrolled: 1-line block ×12, first 2 shown]
	v_cmp_lt_u32_e32 vcc, s8, v2
	v_pk_mov_b32 v[4:5], 0, 0
                                        ; implicit-def: $vgpr40
	s_and_saveexec_b64 s[10:11], s[2:3]
	s_cbranch_execz .LBB2109_63
; %bb.60:
	v_mul_u32_u24_e32 v3, 17, v2
	v_lshlrev_b32_e32 v5, 2, v3
	ds_read_b32 v4, v5 offset:64
	v_cmp_ne_u32_e64 s[8:9], s8, v2
	v_mov_b32_e32 v3, 0x3000
	s_and_saveexec_b64 s[12:13], s[8:9]
	s_cbranch_execz .LBB2109_62
; %bb.61:
	ds_read_b32 v3, v5 offset:132
.LBB2109_62:
	s_or_b64 exec, exec, s[12:13]
	s_waitcnt lgkmcnt(0)
	v_sub_u32_e32 v40, v3, v4
	v_mov_b32_e32 v5, 0
.LBB2109_63:
	s_or_b64 exec, exec, s[10:11]
	s_waitcnt lgkmcnt(0)
	s_barrier
	s_and_saveexec_b64 s[8:9], vcc
	s_xor_b64 s[8:9], exec, s[8:9]
; %bb.64:
	v_mov_b32_e32 v3, 0
; %bb.65:
	s_andn2_saveexec_b64 s[8:9], s[8:9]
	s_cbranch_execz .LBB2109_75
; %bb.66:
	v_lshl_or_b32 v6, s30, 8, v2
	v_mov_b32_e32 v7, 0
	v_lshlrev_b64 v[8:9], 2, v[6:7]
	v_mov_b32_e32 v3, s15
	v_add_co_u32_e32 v8, vcc, s14, v8
	v_addc_co_u32_e32 v9, vcc, v3, v9, vcc
	v_or_b32_e32 v6, 2.0, v40
	s_mov_b64 s[10:11], 0
	s_brev_b32 s33, 1
	s_mov_b32 s34, s30
	v_mov_b32_e32 v60, 0
	global_store_dword v[8:9], v6, off
                                        ; implicit-def: $sgpr12_sgpr13
	s_branch .LBB2109_68
.LBB2109_67:                            ;   in Loop: Header=BB2109_68 Depth=1
	s_or_b64 exec, exec, s[12:13]
	v_and_b32_e32 v10, 0x3fffffff, v61
	v_add_u32_e32 v60, v10, v60
	v_cmp_eq_u32_e64 s[12:13], s33, v6
	s_and_b64 s[22:23], exec, s[12:13]
	s_or_b64 s[10:11], s[22:23], s[10:11]
	s_andn2_b64 exec, exec, s[10:11]
	s_cbranch_execz .LBB2109_74
.LBB2109_68:                            ; =>This Loop Header: Depth=1
                                        ;     Child Loop BB2109_71 Depth 2
	s_or_b64 s[12:13], s[12:13], exec
	s_cmp_eq_u32 s34, 0
	s_cbranch_scc1 .LBB2109_73
; %bb.69:                               ;   in Loop: Header=BB2109_68 Depth=1
	s_add_i32 s34, s34, -1
	v_lshl_or_b32 v6, s34, 8, v2
	v_lshlrev_b64 v[10:11], 2, v[6:7]
	v_add_co_u32_e32 v10, vcc, s14, v10
	v_addc_co_u32_e32 v11, vcc, v3, v11, vcc
	global_load_dword v61, v[10:11], off glc
	s_waitcnt vmcnt(0)
	v_and_b32_e32 v6, -2.0, v61
	v_cmp_eq_u32_e32 vcc, 0, v6
	s_and_saveexec_b64 s[12:13], vcc
	s_cbranch_execz .LBB2109_67
; %bb.70:                               ;   in Loop: Header=BB2109_68 Depth=1
	s_mov_b64 s[22:23], 0
.LBB2109_71:                            ;   Parent Loop BB2109_68 Depth=1
                                        ; =>  This Inner Loop Header: Depth=2
	global_load_dword v61, v[10:11], off glc
	s_waitcnt vmcnt(0)
	v_and_b32_e32 v6, -2.0, v61
	v_cmp_ne_u32_e32 vcc, 0, v6
	s_or_b64 s[22:23], vcc, s[22:23]
	s_andn2_b64 exec, exec, s[22:23]
	s_cbranch_execnz .LBB2109_71
; %bb.72:                               ;   in Loop: Header=BB2109_68 Depth=1
	s_or_b64 exec, exec, s[22:23]
	s_branch .LBB2109_67
.LBB2109_73:                            ;   in Loop: Header=BB2109_68 Depth=1
                                        ; implicit-def: $sgpr34
	s_and_b64 s[22:23], exec, s[12:13]
	s_or_b64 s[10:11], s[22:23], s[10:11]
	s_andn2_b64 exec, exec, s[10:11]
	s_cbranch_execnz .LBB2109_68
.LBB2109_74:
	s_or_b64 exec, exec, s[10:11]
	v_add_u32_e32 v3, v60, v40
	v_or_b32_e32 v3, 0x80000000, v3
	global_store_dword v[8:9], v3, off
	v_lshlrev_b32_e32 v8, 3, v2
	global_load_dwordx2 v[6:7], v8, s[16:17]
	v_sub_co_u32_e32 v9, vcc, v60, v4
	v_subb_co_u32_e32 v10, vcc, 0, v5, vcc
	v_mov_b32_e32 v3, 0
	s_waitcnt vmcnt(0)
	v_add_co_u32_e32 v6, vcc, v9, v6
	v_addc_co_u32_e32 v7, vcc, v10, v7, vcc
	ds_write_b64 v8, v[6:7]
.LBB2109_75:
	s_or_b64 exec, exec, s[8:9]
	v_add3_u32 v33, v36, v56, v33
	v_add3_u32 v27, v30, v37, v27
	v_lshlrev_b64 v[36:37], 2, v[2:3]
	v_lshlrev_b32_e32 v8, 2, v2
	v_add3_u32 v17, v19, v1, v17
	v_mov_b32_e32 v1, s27
	v_add_co_u32_e32 v6, vcc, s26, v36
	v_add_u32_e32 v7, v57, v16
	v_add_u32_e32 v9, 0x800, v8
	v_add3_u32 v10, v55, v59, v29
	v_add3_u32 v11, v53, v58, v52
	;; [unrolled: 1-line block ×8, first 2 shown]
	v_addc_co_u32_e32 v1, vcc, v1, v37, vcc
	s_mov_b32 s10, 0
	v_mov_b32_e32 v19, v2
	s_branch .LBB2109_77
.LBB2109_76:                            ;   in Loop: Header=BB2109_77 Depth=1
	s_or_b64 exec, exec, s[8:9]
	s_addk_i32 s10, 0xf000
	v_add_co_u32_e32 v6, vcc, 0x4000, v6
	v_addc_co_u32_e32 v1, vcc, 0, v1, vcc
	s_cmpk_eq_i32 s10, 0xd000
	v_add_u32_e32 v19, 0x1000, v19
	s_barrier
	s_cbranch_scc1 .LBB2109_86
.LBB2109_77:                            ; =>This Inner Loop Header: Depth=1
	v_add_u32_e32 v22, s10, v7
	v_min_u32_e32 v22, 0x1000, v22
	v_lshlrev_b32_e32 v22, 2, v22
	ds_write_b32 v22, v13 offset:2048
	v_add_u32_e32 v22, s10, v17
	v_min_u32_e32 v22, 0x1000, v22
	v_lshlrev_b32_e32 v22, 2, v22
	ds_write_b32 v22, v14 offset:2048
	;; [unrolled: 4-line block ×11, first 2 shown]
	v_add_u32_e32 v22, s10, v10
	v_min_u32_e32 v22, 0x1000, v22
	v_lshlrev_b32_e32 v22, 2, v22
	v_cmp_gt_u32_e32 vcc, s7, v19
	ds_write_b32 v22, v49 offset:2048
	s_waitcnt lgkmcnt(0)
	s_barrier
	s_and_saveexec_b64 s[8:9], vcc
	s_cbranch_execz .LBB2109_79
; %bb.78:                               ;   in Loop: Header=BB2109_77 Depth=1
	ds_read_b32 v22, v8 offset:2048
	s_waitcnt lgkmcnt(0)
	v_lshrrev_b32_e32 v25, s20, v22
	v_and_b32_e32 v25, s31, v25
	v_lshlrev_b32_e32 v25, 3, v25
	ds_read_b64 v[36:37], v25
	v_not_b32_e32 v22, v22
	s_waitcnt lgkmcnt(0)
	v_lshlrev_b64 v[36:37], 2, v[36:37]
	v_add_co_u32_e32 v36, vcc, v6, v36
	v_addc_co_u32_e32 v37, vcc, v1, v37, vcc
	global_store_dword v[36:37], v22, off
.LBB2109_79:                            ;   in Loop: Header=BB2109_77 Depth=1
	s_or_b64 exec, exec, s[8:9]
	v_add_u32_e32 v22, 0x400, v19
	v_cmp_gt_u32_e32 vcc, s7, v22
	s_and_saveexec_b64 s[8:9], vcc
	s_cbranch_execz .LBB2109_81
; %bb.80:                               ;   in Loop: Header=BB2109_77 Depth=1
	ds_read_b32 v22, v9 offset:4096
	s_waitcnt lgkmcnt(0)
	v_lshrrev_b32_e32 v25, s20, v22
	v_and_b32_e32 v25, s31, v25
	v_lshlrev_b32_e32 v25, 3, v25
	ds_read_b64 v[36:37], v25
	v_not_b32_e32 v22, v22
	s_waitcnt lgkmcnt(0)
	v_lshlrev_b64 v[36:37], 2, v[36:37]
	v_add_co_u32_e32 v25, vcc, v6, v36
	v_addc_co_u32_e32 v26, vcc, v1, v37, vcc
	v_add_co_u32_e32 v36, vcc, 0x1000, v25
	v_addc_co_u32_e32 v37, vcc, 0, v26, vcc
	global_store_dword v[36:37], v22, off
.LBB2109_81:                            ;   in Loop: Header=BB2109_77 Depth=1
	s_or_b64 exec, exec, s[8:9]
	v_add_u32_e32 v22, 0x800, v19
	v_cmp_gt_u32_e32 vcc, s7, v22
	s_and_saveexec_b64 s[8:9], vcc
	s_cbranch_execz .LBB2109_83
; %bb.82:                               ;   in Loop: Header=BB2109_77 Depth=1
	ds_read_b32 v22, v9 offset:8192
	s_waitcnt lgkmcnt(0)
	v_lshrrev_b32_e32 v25, s20, v22
	v_and_b32_e32 v25, s31, v25
	v_lshlrev_b32_e32 v25, 3, v25
	ds_read_b64 v[36:37], v25
	v_not_b32_e32 v22, v22
	s_waitcnt lgkmcnt(0)
	v_lshlrev_b64 v[36:37], 2, v[36:37]
	v_add_co_u32_e32 v25, vcc, v6, v36
	v_addc_co_u32_e32 v26, vcc, v1, v37, vcc
	v_add_co_u32_e32 v36, vcc, 0x2000, v25
	v_addc_co_u32_e32 v37, vcc, 0, v26, vcc
	global_store_dword v[36:37], v22, off
.LBB2109_83:                            ;   in Loop: Header=BB2109_77 Depth=1
	s_or_b64 exec, exec, s[8:9]
	v_add_u32_e32 v22, 0xc00, v19
	v_cmp_gt_u32_e32 vcc, s7, v22
	s_and_saveexec_b64 s[8:9], vcc
	s_cbranch_execz .LBB2109_76
; %bb.84:                               ;   in Loop: Header=BB2109_77 Depth=1
	ds_read_b32 v22, v9 offset:12288
	s_waitcnt lgkmcnt(0)
	v_lshrrev_b32_e32 v25, s20, v22
	v_and_b32_e32 v25, s31, v25
	v_lshlrev_b32_e32 v25, 3, v25
	ds_read_b64 v[36:37], v25
	v_not_b32_e32 v22, v22
	s_waitcnt lgkmcnt(0)
	v_lshlrev_b64 v[36:37], 2, v[36:37]
	v_add_co_u32_e32 v25, vcc, v6, v36
	v_addc_co_u32_e32 v26, vcc, v1, v37, vcc
	v_add_co_u32_e32 v36, vcc, 0x3000, v25
	v_addc_co_u32_e32 v37, vcc, 0, v26, vcc
	global_store_dword v[36:37], v22, off
	s_branch .LBB2109_76
.LBB2109_85:
	s_mov_b64 s[2:3], 0
                                        ; implicit-def: $vgpr4_vgpr5
                                        ; implicit-def: $vgpr40
	s_cbranch_execnz .LBB2109_87
	s_branch .LBB2109_136
.LBB2109_86:
	s_add_i32 s29, s29, -1
	s_cmp_eq_u32 s29, s30
	s_cselect_b64 s[8:9], -1, 0
	s_and_b64 s[2:3], s[2:3], s[8:9]
	s_branch .LBB2109_136
.LBB2109_87:
	s_mov_b32 s29, 0
	v_mbcnt_hi_u32_b32 v3, -1, v12
	s_lshl_b64 s[2:3], s[28:29], 2
	v_and_b32_e32 v1, 63, v3
	s_add_u32 s2, s24, s2
	v_lshlrev_b32_e32 v1, 2, v1
	v_add_co_u32_e32 v1, vcc, s2, v1
	s_load_dword s12, s[4:5], 0x58
	s_load_dword s2, s[4:5], 0x64
	s_addc_u32 s3, s25, s3
	v_and_b32_e32 v5, 0x3c0, v2
	v_mul_u32_u24_e32 v5, 12, v5
	v_mov_b32_e32 v6, s3
	v_addc_co_u32_e32 v6, vcc, 0, v6, vcc
	v_lshlrev_b32_e32 v5, 2, v5
	s_add_u32 s3, s4, 0x58
	v_add_co_u32_e32 v10, vcc, v1, v5
	s_addc_u32 s4, s5, 0
	s_waitcnt lgkmcnt(0)
	s_lshr_b32 s5, s2, 16
	v_addc_co_u32_e32 v11, vcc, 0, v6, vcc
	s_cmp_lt_u32 s6, s12
	global_load_dword v1, v[10:11], off
	s_cselect_b32 s2, 12, 18
	s_add_u32 s2, s3, s2
	v_mov_b32_e32 v4, 0
	s_addc_u32 s3, s4, 0
	global_load_ushort v5, v4, s[2:3]
	v_mul_u32_u24_e32 v6, 5, v2
	v_lshlrev_b32_e32 v6, 2, v6
	ds_write2_b32 v6, v4, v4 offset0:16 offset1:17
	ds_write2_b32 v6, v4, v4 offset0:18 offset1:19
	ds_write_b32 v6, v4 offset:80
	global_load_dword v8, v[10:11], off offset:256
	global_load_dword v12, v[10:11], off offset:512
	;; [unrolled: 1-line block ×11, first 2 shown]
	s_lshl_b32 s2, -1, s21
	v_bfe_u32 v7, v0, 10, 10
	v_bfe_u32 v0, v0, 20, 10
	s_not_b32 s13, s2
	v_mad_u32_u24 v0, v0, s5, v7
	s_waitcnt lgkmcnt(0)
	s_barrier
	s_waitcnt lgkmcnt(0)
	; wave barrier
	s_waitcnt vmcnt(12)
	v_not_b32_e32 v10, v1
	v_lshrrev_b32_e32 v1, s20, v10
	v_and_b32_e32 v11, s13, v1
	v_and_b32_e32 v7, 1, v11
	s_waitcnt vmcnt(11)
	v_mad_u64_u32 v[0:1], s[2:3], v0, v5, v[2:3]
	v_lshrrev_b32_e32 v24, 6, v0
	v_add_co_u32_e32 v0, vcc, -1, v7
	v_lshlrev_b32_e32 v5, 30, v11
	v_addc_co_u32_e64 v14, s[2:3], 0, -1, vcc
	v_lshl_add_u32 v1, v11, 4, v11
	v_cmp_ne_u32_e32 vcc, 0, v7
	v_cmp_gt_i64_e64 s[2:3], 0, v[4:5]
	v_not_b32_e32 v15, v5
	v_lshlrev_b32_e32 v5, 29, v11
	v_add_lshl_u32 v7, v24, v1, 2
	v_xor_b32_e32 v1, vcc_hi, v14
	v_xor_b32_e32 v0, vcc_lo, v0
	v_ashrrev_i32_e32 v14, 31, v15
	v_cmp_gt_i64_e32 vcc, 0, v[4:5]
	v_not_b32_e32 v15, v5
	v_lshlrev_b32_e32 v5, 28, v11
	v_and_b32_e32 v1, exec_hi, v1
	v_and_b32_e32 v0, exec_lo, v0
	v_xor_b32_e32 v16, s3, v14
	v_xor_b32_e32 v14, s2, v14
	v_ashrrev_i32_e32 v15, 31, v15
	v_cmp_gt_i64_e64 s[2:3], 0, v[4:5]
	v_not_b32_e32 v5, v5
	v_and_b32_e32 v1, v1, v16
	v_and_b32_e32 v0, v0, v14
	v_xor_b32_e32 v14, vcc_hi, v15
	v_xor_b32_e32 v15, vcc_lo, v15
	v_ashrrev_i32_e32 v5, 31, v5
	v_and_b32_e32 v1, v1, v14
	v_and_b32_e32 v0, v0, v15
	v_xor_b32_e32 v14, s3, v5
	v_xor_b32_e32 v5, s2, v5
	v_and_b32_e32 v0, v0, v5
	v_lshlrev_b32_e32 v5, 27, v11
	v_cmp_gt_i64_e32 vcc, 0, v[4:5]
	v_not_b32_e32 v5, v5
	v_ashrrev_i32_e32 v5, 31, v5
	v_and_b32_e32 v1, v1, v14
	v_xor_b32_e32 v14, vcc_hi, v5
	v_xor_b32_e32 v5, vcc_lo, v5
	v_and_b32_e32 v0, v0, v5
	v_lshlrev_b32_e32 v5, 26, v11
	v_cmp_gt_i64_e32 vcc, 0, v[4:5]
	v_not_b32_e32 v5, v5
	v_ashrrev_i32_e32 v5, 31, v5
	v_and_b32_e32 v1, v1, v14
	v_xor_b32_e32 v14, vcc_hi, v5
	v_xor_b32_e32 v5, vcc_lo, v5
	;; [unrolled: 8-line block ×3, first 2 shown]
	v_and_b32_e32 v0, v0, v5
	v_lshlrev_b32_e32 v5, 24, v11
	v_cmp_gt_i64_e32 vcc, 0, v[4:5]
	v_not_b32_e32 v5, v5
	v_ashrrev_i32_e32 v5, 31, v5
	v_xor_b32_e32 v11, vcc_hi, v5
	v_xor_b32_e32 v5, vcc_lo, v5
	v_and_b32_e32 v1, v1, v14
	v_and_b32_e32 v0, v0, v5
	;; [unrolled: 1-line block ×3, first 2 shown]
	v_mbcnt_lo_u32_b32 v5, v0, 0
	v_mbcnt_hi_u32_b32 v14, v1, v5
	v_cmp_eq_u32_e32 vcc, 0, v14
	v_cmp_ne_u64_e64 s[2:3], 0, v[0:1]
	s_and_b64 s[4:5], s[2:3], vcc
	s_and_saveexec_b64 s[2:3], s[4:5]
	s_cbranch_execz .LBB2109_89
; %bb.88:
	v_bcnt_u32_b32 v0, v0, 0
	v_bcnt_u32_b32 v0, v1, v0
	ds_write_b32 v7, v0 offset:64
.LBB2109_89:
	s_or_b64 exec, exec, s[2:3]
	s_waitcnt vmcnt(10)
	v_not_b32_e32 v11, v8
	v_lshrrev_b32_e32 v0, s20, v11
	v_and_b32_e32 v0, s13, v0
	v_lshl_add_u32 v1, v0, 4, v0
	v_add_lshl_u32 v8, v24, v1, 2
	v_and_b32_e32 v1, 1, v0
	v_add_co_u32_e32 v5, vcc, -1, v1
	v_addc_co_u32_e64 v16, s[2:3], 0, -1, vcc
	v_cmp_ne_u32_e32 vcc, 0, v1
	v_xor_b32_e32 v5, vcc_lo, v5
	v_xor_b32_e32 v1, vcc_hi, v16
	v_and_b32_e32 v16, exec_lo, v5
	v_lshlrev_b32_e32 v5, 30, v0
	v_cmp_gt_i64_e32 vcc, 0, v[4:5]
	v_not_b32_e32 v5, v5
	v_ashrrev_i32_e32 v5, 31, v5
	v_xor_b32_e32 v18, vcc_hi, v5
	v_xor_b32_e32 v5, vcc_lo, v5
	v_and_b32_e32 v16, v16, v5
	v_lshlrev_b32_e32 v5, 29, v0
	v_cmp_gt_i64_e32 vcc, 0, v[4:5]
	v_not_b32_e32 v5, v5
	v_and_b32_e32 v1, exec_hi, v1
	v_ashrrev_i32_e32 v5, 31, v5
	v_and_b32_e32 v1, v1, v18
	v_xor_b32_e32 v18, vcc_hi, v5
	v_xor_b32_e32 v5, vcc_lo, v5
	v_and_b32_e32 v16, v16, v5
	v_lshlrev_b32_e32 v5, 28, v0
	v_cmp_gt_i64_e32 vcc, 0, v[4:5]
	v_not_b32_e32 v5, v5
	v_ashrrev_i32_e32 v5, 31, v5
	v_and_b32_e32 v1, v1, v18
	v_xor_b32_e32 v18, vcc_hi, v5
	v_xor_b32_e32 v5, vcc_lo, v5
	v_and_b32_e32 v16, v16, v5
	v_lshlrev_b32_e32 v5, 27, v0
	v_cmp_gt_i64_e32 vcc, 0, v[4:5]
	v_not_b32_e32 v5, v5
	v_ashrrev_i32_e32 v5, 31, v5
	v_and_b32_e32 v1, v1, v18
	v_xor_b32_e32 v18, vcc_hi, v5
	v_xor_b32_e32 v5, vcc_lo, v5
	v_and_b32_e32 v16, v16, v5
	v_lshlrev_b32_e32 v5, 26, v0
	v_cmp_gt_i64_e32 vcc, 0, v[4:5]
	v_not_b32_e32 v5, v5
	v_ashrrev_i32_e32 v5, 31, v5
	v_and_b32_e32 v1, v1, v18
	v_xor_b32_e32 v18, vcc_hi, v5
	v_xor_b32_e32 v5, vcc_lo, v5
	v_and_b32_e32 v16, v16, v5
	v_lshlrev_b32_e32 v5, 25, v0
	v_cmp_gt_i64_e32 vcc, 0, v[4:5]
	v_not_b32_e32 v5, v5
	v_ashrrev_i32_e32 v5, 31, v5
	v_and_b32_e32 v1, v1, v18
	v_xor_b32_e32 v18, vcc_hi, v5
	v_xor_b32_e32 v5, vcc_lo, v5
	v_and_b32_e32 v16, v16, v5
	v_lshlrev_b32_e32 v5, 24, v0
	v_not_b32_e32 v0, v5
	v_cmp_gt_i64_e32 vcc, 0, v[4:5]
	v_ashrrev_i32_e32 v0, 31, v0
	v_xor_b32_e32 v4, vcc_hi, v0
	v_xor_b32_e32 v0, vcc_lo, v0
	; wave barrier
	ds_read_b32 v15, v8 offset:64
	v_and_b32_e32 v1, v1, v18
	v_and_b32_e32 v0, v16, v0
	;; [unrolled: 1-line block ×3, first 2 shown]
	v_mbcnt_lo_u32_b32 v4, v0, 0
	v_mbcnt_hi_u32_b32 v16, v1, v4
	v_cmp_eq_u32_e32 vcc, 0, v16
	v_cmp_ne_u64_e64 s[2:3], 0, v[0:1]
	s_and_b64 s[4:5], s[2:3], vcc
	; wave barrier
	s_and_saveexec_b64 s[2:3], s[4:5]
	s_cbranch_execz .LBB2109_91
; %bb.90:
	v_bcnt_u32_b32 v0, v0, 0
	v_bcnt_u32_b32 v0, v1, v0
	s_waitcnt lgkmcnt(0)
	v_add_u32_e32 v0, v15, v0
	ds_write_b32 v8, v0 offset:64
.LBB2109_91:
	s_or_b64 exec, exec, s[2:3]
	s_waitcnt vmcnt(9)
	v_not_b32_e32 v12, v12
	v_lshrrev_b32_e32 v0, s20, v12
	v_and_b32_e32 v4, s13, v0
	v_and_b32_e32 v1, 1, v4
	v_add_co_u32_e32 v5, vcc, -1, v1
	v_addc_co_u32_e64 v19, s[2:3], 0, -1, vcc
	v_cmp_ne_u32_e32 vcc, 0, v1
	v_lshl_add_u32 v0, v4, 4, v4
	v_xor_b32_e32 v1, vcc_hi, v19
	v_add_lshl_u32 v25, v24, v0, 2
	v_mov_b32_e32 v0, 0
	v_and_b32_e32 v19, exec_hi, v1
	v_lshlrev_b32_e32 v1, 30, v4
	v_xor_b32_e32 v5, vcc_lo, v5
	v_cmp_gt_i64_e32 vcc, 0, v[0:1]
	v_not_b32_e32 v1, v1
	v_ashrrev_i32_e32 v1, 31, v1
	v_and_b32_e32 v5, exec_lo, v5
	v_xor_b32_e32 v21, vcc_hi, v1
	v_xor_b32_e32 v1, vcc_lo, v1
	v_and_b32_e32 v5, v5, v1
	v_lshlrev_b32_e32 v1, 29, v4
	v_cmp_gt_i64_e32 vcc, 0, v[0:1]
	v_not_b32_e32 v1, v1
	v_ashrrev_i32_e32 v1, 31, v1
	v_and_b32_e32 v19, v19, v21
	v_xor_b32_e32 v21, vcc_hi, v1
	v_xor_b32_e32 v1, vcc_lo, v1
	v_and_b32_e32 v5, v5, v1
	v_lshlrev_b32_e32 v1, 28, v4
	v_cmp_gt_i64_e32 vcc, 0, v[0:1]
	v_not_b32_e32 v1, v1
	v_ashrrev_i32_e32 v1, 31, v1
	v_and_b32_e32 v19, v19, v21
	v_xor_b32_e32 v21, vcc_hi, v1
	v_xor_b32_e32 v1, vcc_lo, v1
	v_and_b32_e32 v5, v5, v1
	v_lshlrev_b32_e32 v1, 27, v4
	v_cmp_gt_i64_e32 vcc, 0, v[0:1]
	v_not_b32_e32 v1, v1
	v_ashrrev_i32_e32 v1, 31, v1
	v_and_b32_e32 v19, v19, v21
	v_xor_b32_e32 v21, vcc_hi, v1
	v_xor_b32_e32 v1, vcc_lo, v1
	v_and_b32_e32 v5, v5, v1
	v_lshlrev_b32_e32 v1, 26, v4
	v_cmp_gt_i64_e32 vcc, 0, v[0:1]
	v_not_b32_e32 v1, v1
	v_ashrrev_i32_e32 v1, 31, v1
	v_and_b32_e32 v19, v19, v21
	v_xor_b32_e32 v21, vcc_hi, v1
	v_xor_b32_e32 v1, vcc_lo, v1
	v_and_b32_e32 v5, v5, v1
	v_lshlrev_b32_e32 v1, 25, v4
	v_cmp_gt_i64_e32 vcc, 0, v[0:1]
	v_not_b32_e32 v1, v1
	v_ashrrev_i32_e32 v1, 31, v1
	v_and_b32_e32 v19, v19, v21
	v_xor_b32_e32 v21, vcc_hi, v1
	v_xor_b32_e32 v1, vcc_lo, v1
	v_and_b32_e32 v19, v19, v21
	v_and_b32_e32 v21, v5, v1
	v_lshlrev_b32_e32 v1, 24, v4
	v_cmp_gt_i64_e32 vcc, 0, v[0:1]
	v_not_b32_e32 v1, v1
	v_ashrrev_i32_e32 v1, 31, v1
	v_xor_b32_e32 v4, vcc_hi, v1
	v_xor_b32_e32 v1, vcc_lo, v1
	; wave barrier
	ds_read_b32 v18, v25 offset:64
	v_and_b32_e32 v5, v19, v4
	v_and_b32_e32 v4, v21, v1
	v_mbcnt_lo_u32_b32 v1, v4, 0
	v_mbcnt_hi_u32_b32 v19, v5, v1
	v_cmp_eq_u32_e32 vcc, 0, v19
	v_cmp_ne_u64_e64 s[2:3], 0, v[4:5]
	s_and_b64 s[4:5], s[2:3], vcc
	; wave barrier
	s_and_saveexec_b64 s[2:3], s[4:5]
	s_cbranch_execz .LBB2109_93
; %bb.92:
	v_bcnt_u32_b32 v1, v4, 0
	v_bcnt_u32_b32 v1, v5, v1
	s_waitcnt lgkmcnt(0)
	v_add_u32_e32 v1, v18, v1
	ds_write_b32 v25, v1 offset:64
.LBB2109_93:
	s_or_b64 exec, exec, s[2:3]
	s_waitcnt vmcnt(8)
	v_not_b32_e32 v13, v13
	v_lshrrev_b32_e32 v1, s20, v13
	v_and_b32_e32 v4, s13, v1
	v_lshl_add_u32 v1, v4, 4, v4
	v_add_lshl_u32 v30, v24, v1, 2
	v_and_b32_e32 v1, 1, v4
	v_add_co_u32_e32 v5, vcc, -1, v1
	v_addc_co_u32_e64 v22, s[2:3], 0, -1, vcc
	v_cmp_ne_u32_e32 vcc, 0, v1
	v_xor_b32_e32 v1, vcc_hi, v22
	v_and_b32_e32 v22, exec_hi, v1
	v_lshlrev_b32_e32 v1, 30, v4
	v_xor_b32_e32 v5, vcc_lo, v5
	v_cmp_gt_i64_e32 vcc, 0, v[0:1]
	v_not_b32_e32 v1, v1
	v_ashrrev_i32_e32 v1, 31, v1
	v_and_b32_e32 v5, exec_lo, v5
	v_xor_b32_e32 v26, vcc_hi, v1
	v_xor_b32_e32 v1, vcc_lo, v1
	v_and_b32_e32 v5, v5, v1
	v_lshlrev_b32_e32 v1, 29, v4
	v_cmp_gt_i64_e32 vcc, 0, v[0:1]
	v_not_b32_e32 v1, v1
	v_ashrrev_i32_e32 v1, 31, v1
	v_and_b32_e32 v22, v22, v26
	v_xor_b32_e32 v26, vcc_hi, v1
	v_xor_b32_e32 v1, vcc_lo, v1
	v_and_b32_e32 v5, v5, v1
	v_lshlrev_b32_e32 v1, 28, v4
	v_cmp_gt_i64_e32 vcc, 0, v[0:1]
	v_not_b32_e32 v1, v1
	v_ashrrev_i32_e32 v1, 31, v1
	v_and_b32_e32 v22, v22, v26
	;; [unrolled: 8-line block ×5, first 2 shown]
	v_xor_b32_e32 v26, vcc_hi, v1
	v_xor_b32_e32 v1, vcc_lo, v1
	v_and_b32_e32 v5, v5, v1
	v_lshlrev_b32_e32 v1, 24, v4
	v_cmp_gt_i64_e32 vcc, 0, v[0:1]
	v_not_b32_e32 v0, v1
	v_ashrrev_i32_e32 v0, 31, v0
	v_xor_b32_e32 v1, vcc_hi, v0
	v_xor_b32_e32 v0, vcc_lo, v0
	; wave barrier
	ds_read_b32 v21, v30 offset:64
	v_and_b32_e32 v22, v22, v26
	v_and_b32_e32 v0, v5, v0
	v_and_b32_e32 v1, v22, v1
	v_mbcnt_lo_u32_b32 v4, v0, 0
	v_mbcnt_hi_u32_b32 v22, v1, v4
	v_cmp_eq_u32_e32 vcc, 0, v22
	v_cmp_ne_u64_e64 s[2:3], 0, v[0:1]
	s_and_b64 s[4:5], s[2:3], vcc
	; wave barrier
	s_and_saveexec_b64 s[2:3], s[4:5]
	s_cbranch_execz .LBB2109_95
; %bb.94:
	v_bcnt_u32_b32 v0, v0, 0
	v_bcnt_u32_b32 v0, v1, v0
	s_waitcnt lgkmcnt(0)
	v_add_u32_e32 v0, v21, v0
	ds_write_b32 v30, v0 offset:64
.LBB2109_95:
	s_or_b64 exec, exec, s[2:3]
	s_waitcnt vmcnt(7)
	v_not_b32_e32 v17, v17
	v_lshrrev_b32_e32 v0, s20, v17
	v_and_b32_e32 v4, s13, v0
	v_and_b32_e32 v1, 1, v4
	v_add_co_u32_e32 v5, vcc, -1, v1
	v_addc_co_u32_e64 v28, s[2:3], 0, -1, vcc
	v_cmp_ne_u32_e32 vcc, 0, v1
	v_lshl_add_u32 v0, v4, 4, v4
	v_xor_b32_e32 v1, vcc_hi, v28
	v_add_lshl_u32 v35, v24, v0, 2
	v_mov_b32_e32 v0, 0
	v_and_b32_e32 v28, exec_hi, v1
	v_lshlrev_b32_e32 v1, 30, v4
	v_xor_b32_e32 v5, vcc_lo, v5
	v_cmp_gt_i64_e32 vcc, 0, v[0:1]
	v_not_b32_e32 v1, v1
	v_ashrrev_i32_e32 v1, 31, v1
	v_and_b32_e32 v5, exec_lo, v5
	v_xor_b32_e32 v31, vcc_hi, v1
	v_xor_b32_e32 v1, vcc_lo, v1
	v_and_b32_e32 v5, v5, v1
	v_lshlrev_b32_e32 v1, 29, v4
	v_cmp_gt_i64_e32 vcc, 0, v[0:1]
	v_not_b32_e32 v1, v1
	v_ashrrev_i32_e32 v1, 31, v1
	v_and_b32_e32 v28, v28, v31
	v_xor_b32_e32 v31, vcc_hi, v1
	v_xor_b32_e32 v1, vcc_lo, v1
	v_and_b32_e32 v5, v5, v1
	v_lshlrev_b32_e32 v1, 28, v4
	v_cmp_gt_i64_e32 vcc, 0, v[0:1]
	v_not_b32_e32 v1, v1
	v_ashrrev_i32_e32 v1, 31, v1
	v_and_b32_e32 v28, v28, v31
	;; [unrolled: 8-line block ×5, first 2 shown]
	v_xor_b32_e32 v31, vcc_hi, v1
	v_xor_b32_e32 v1, vcc_lo, v1
	v_and_b32_e32 v28, v28, v31
	v_and_b32_e32 v31, v5, v1
	v_lshlrev_b32_e32 v1, 24, v4
	v_cmp_gt_i64_e32 vcc, 0, v[0:1]
	v_not_b32_e32 v1, v1
	v_ashrrev_i32_e32 v1, 31, v1
	v_xor_b32_e32 v4, vcc_hi, v1
	v_xor_b32_e32 v1, vcc_lo, v1
	; wave barrier
	ds_read_b32 v26, v35 offset:64
	v_and_b32_e32 v5, v28, v4
	v_and_b32_e32 v4, v31, v1
	v_mbcnt_lo_u32_b32 v1, v4, 0
	v_mbcnt_hi_u32_b32 v28, v5, v1
	v_cmp_eq_u32_e32 vcc, 0, v28
	v_cmp_ne_u64_e64 s[2:3], 0, v[4:5]
	s_and_b64 s[4:5], s[2:3], vcc
	; wave barrier
	s_and_saveexec_b64 s[2:3], s[4:5]
	s_cbranch_execz .LBB2109_97
; %bb.96:
	v_bcnt_u32_b32 v1, v4, 0
	v_bcnt_u32_b32 v1, v5, v1
	s_waitcnt lgkmcnt(0)
	v_add_u32_e32 v1, v26, v1
	ds_write_b32 v35, v1 offset:64
.LBB2109_97:
	s_or_b64 exec, exec, s[2:3]
	s_waitcnt vmcnt(6)
	v_not_b32_e32 v20, v20
	v_lshrrev_b32_e32 v1, s20, v20
	v_and_b32_e32 v4, s13, v1
	v_lshl_add_u32 v1, v4, 4, v4
	v_add_lshl_u32 v38, v24, v1, 2
	v_and_b32_e32 v1, 1, v4
	v_add_co_u32_e32 v5, vcc, -1, v1
	v_addc_co_u32_e64 v33, s[2:3], 0, -1, vcc
	v_cmp_ne_u32_e32 vcc, 0, v1
	v_xor_b32_e32 v1, vcc_hi, v33
	v_and_b32_e32 v33, exec_hi, v1
	v_lshlrev_b32_e32 v1, 30, v4
	v_xor_b32_e32 v5, vcc_lo, v5
	v_cmp_gt_i64_e32 vcc, 0, v[0:1]
	v_not_b32_e32 v1, v1
	v_ashrrev_i32_e32 v1, 31, v1
	v_and_b32_e32 v5, exec_lo, v5
	v_xor_b32_e32 v36, vcc_hi, v1
	v_xor_b32_e32 v1, vcc_lo, v1
	v_and_b32_e32 v5, v5, v1
	v_lshlrev_b32_e32 v1, 29, v4
	v_cmp_gt_i64_e32 vcc, 0, v[0:1]
	v_not_b32_e32 v1, v1
	v_ashrrev_i32_e32 v1, 31, v1
	v_and_b32_e32 v33, v33, v36
	v_xor_b32_e32 v36, vcc_hi, v1
	v_xor_b32_e32 v1, vcc_lo, v1
	v_and_b32_e32 v5, v5, v1
	v_lshlrev_b32_e32 v1, 28, v4
	v_cmp_gt_i64_e32 vcc, 0, v[0:1]
	v_not_b32_e32 v1, v1
	v_ashrrev_i32_e32 v1, 31, v1
	v_and_b32_e32 v33, v33, v36
	;; [unrolled: 8-line block ×5, first 2 shown]
	v_xor_b32_e32 v36, vcc_hi, v1
	v_xor_b32_e32 v1, vcc_lo, v1
	v_and_b32_e32 v5, v5, v1
	v_lshlrev_b32_e32 v1, 24, v4
	v_cmp_gt_i64_e32 vcc, 0, v[0:1]
	v_not_b32_e32 v0, v1
	v_ashrrev_i32_e32 v0, 31, v0
	v_xor_b32_e32 v1, vcc_hi, v0
	v_xor_b32_e32 v0, vcc_lo, v0
	; wave barrier
	ds_read_b32 v31, v38 offset:64
	v_and_b32_e32 v33, v33, v36
	v_and_b32_e32 v0, v5, v0
	;; [unrolled: 1-line block ×3, first 2 shown]
	v_mbcnt_lo_u32_b32 v4, v0, 0
	v_mbcnt_hi_u32_b32 v33, v1, v4
	v_cmp_eq_u32_e32 vcc, 0, v33
	v_cmp_ne_u64_e64 s[2:3], 0, v[0:1]
	s_and_b64 s[4:5], s[2:3], vcc
	; wave barrier
	s_and_saveexec_b64 s[2:3], s[4:5]
	s_cbranch_execz .LBB2109_99
; %bb.98:
	v_bcnt_u32_b32 v0, v0, 0
	v_bcnt_u32_b32 v0, v1, v0
	s_waitcnt lgkmcnt(0)
	v_add_u32_e32 v0, v31, v0
	ds_write_b32 v38, v0 offset:64
.LBB2109_99:
	s_or_b64 exec, exec, s[2:3]
	s_waitcnt vmcnt(5)
	v_not_b32_e32 v23, v23
	v_lshrrev_b32_e32 v0, s20, v23
	v_and_b32_e32 v4, s13, v0
	v_and_b32_e32 v1, 1, v4
	v_add_co_u32_e32 v5, vcc, -1, v1
	v_addc_co_u32_e64 v37, s[2:3], 0, -1, vcc
	v_cmp_ne_u32_e32 vcc, 0, v1
	v_lshl_add_u32 v0, v4, 4, v4
	v_xor_b32_e32 v1, vcc_hi, v37
	v_add_lshl_u32 v40, v24, v0, 2
	v_mov_b32_e32 v0, 0
	v_and_b32_e32 v37, exec_hi, v1
	v_lshlrev_b32_e32 v1, 30, v4
	v_xor_b32_e32 v5, vcc_lo, v5
	v_cmp_gt_i64_e32 vcc, 0, v[0:1]
	v_not_b32_e32 v1, v1
	v_ashrrev_i32_e32 v1, 31, v1
	v_and_b32_e32 v5, exec_lo, v5
	v_xor_b32_e32 v39, vcc_hi, v1
	v_xor_b32_e32 v1, vcc_lo, v1
	v_and_b32_e32 v5, v5, v1
	v_lshlrev_b32_e32 v1, 29, v4
	v_cmp_gt_i64_e32 vcc, 0, v[0:1]
	v_not_b32_e32 v1, v1
	v_ashrrev_i32_e32 v1, 31, v1
	v_and_b32_e32 v37, v37, v39
	v_xor_b32_e32 v39, vcc_hi, v1
	v_xor_b32_e32 v1, vcc_lo, v1
	v_and_b32_e32 v5, v5, v1
	v_lshlrev_b32_e32 v1, 28, v4
	v_cmp_gt_i64_e32 vcc, 0, v[0:1]
	v_not_b32_e32 v1, v1
	v_ashrrev_i32_e32 v1, 31, v1
	v_and_b32_e32 v37, v37, v39
	;; [unrolled: 8-line block ×5, first 2 shown]
	v_xor_b32_e32 v39, vcc_hi, v1
	v_xor_b32_e32 v1, vcc_lo, v1
	v_and_b32_e32 v37, v37, v39
	v_and_b32_e32 v39, v5, v1
	v_lshlrev_b32_e32 v1, 24, v4
	v_cmp_gt_i64_e32 vcc, 0, v[0:1]
	v_not_b32_e32 v1, v1
	v_ashrrev_i32_e32 v1, 31, v1
	v_xor_b32_e32 v4, vcc_hi, v1
	v_xor_b32_e32 v1, vcc_lo, v1
	; wave barrier
	ds_read_b32 v36, v40 offset:64
	v_and_b32_e32 v5, v37, v4
	v_and_b32_e32 v4, v39, v1
	v_mbcnt_lo_u32_b32 v1, v4, 0
	v_mbcnt_hi_u32_b32 v37, v5, v1
	v_cmp_eq_u32_e32 vcc, 0, v37
	v_cmp_ne_u64_e64 s[2:3], 0, v[4:5]
	s_and_b64 s[4:5], s[2:3], vcc
	; wave barrier
	s_and_saveexec_b64 s[2:3], s[4:5]
	s_cbranch_execz .LBB2109_101
; %bb.100:
	v_bcnt_u32_b32 v1, v4, 0
	v_bcnt_u32_b32 v1, v5, v1
	s_waitcnt lgkmcnt(0)
	v_add_u32_e32 v1, v36, v1
	ds_write_b32 v40, v1 offset:64
.LBB2109_101:
	s_or_b64 exec, exec, s[2:3]
	s_waitcnt vmcnt(4)
	v_not_b32_e32 v29, v29
	v_lshrrev_b32_e32 v1, s20, v29
	v_and_b32_e32 v4, s13, v1
	v_lshl_add_u32 v1, v4, 4, v4
	v_add_lshl_u32 v45, v24, v1, 2
	v_and_b32_e32 v1, 1, v4
	v_add_co_u32_e32 v5, vcc, -1, v1
	v_addc_co_u32_e64 v41, s[2:3], 0, -1, vcc
	v_cmp_ne_u32_e32 vcc, 0, v1
	v_xor_b32_e32 v1, vcc_hi, v41
	v_and_b32_e32 v41, exec_hi, v1
	v_lshlrev_b32_e32 v1, 30, v4
	v_xor_b32_e32 v5, vcc_lo, v5
	v_cmp_gt_i64_e32 vcc, 0, v[0:1]
	v_not_b32_e32 v1, v1
	v_ashrrev_i32_e32 v1, 31, v1
	v_and_b32_e32 v5, exec_lo, v5
	v_xor_b32_e32 v42, vcc_hi, v1
	v_xor_b32_e32 v1, vcc_lo, v1
	v_and_b32_e32 v5, v5, v1
	v_lshlrev_b32_e32 v1, 29, v4
	v_cmp_gt_i64_e32 vcc, 0, v[0:1]
	v_not_b32_e32 v1, v1
	v_ashrrev_i32_e32 v1, 31, v1
	v_and_b32_e32 v41, v41, v42
	v_xor_b32_e32 v42, vcc_hi, v1
	v_xor_b32_e32 v1, vcc_lo, v1
	v_and_b32_e32 v5, v5, v1
	v_lshlrev_b32_e32 v1, 28, v4
	v_cmp_gt_i64_e32 vcc, 0, v[0:1]
	v_not_b32_e32 v1, v1
	v_ashrrev_i32_e32 v1, 31, v1
	v_and_b32_e32 v41, v41, v42
	;; [unrolled: 8-line block ×5, first 2 shown]
	v_xor_b32_e32 v42, vcc_hi, v1
	v_xor_b32_e32 v1, vcc_lo, v1
	v_and_b32_e32 v5, v5, v1
	v_lshlrev_b32_e32 v1, 24, v4
	v_cmp_gt_i64_e32 vcc, 0, v[0:1]
	v_not_b32_e32 v0, v1
	v_ashrrev_i32_e32 v0, 31, v0
	v_xor_b32_e32 v1, vcc_hi, v0
	v_xor_b32_e32 v0, vcc_lo, v0
	; wave barrier
	ds_read_b32 v39, v45 offset:64
	v_and_b32_e32 v41, v41, v42
	v_and_b32_e32 v0, v5, v0
	;; [unrolled: 1-line block ×3, first 2 shown]
	v_mbcnt_lo_u32_b32 v4, v0, 0
	v_mbcnt_hi_u32_b32 v41, v1, v4
	v_cmp_eq_u32_e32 vcc, 0, v41
	v_cmp_ne_u64_e64 s[2:3], 0, v[0:1]
	s_and_b64 s[4:5], s[2:3], vcc
	; wave barrier
	s_and_saveexec_b64 s[2:3], s[4:5]
	s_cbranch_execz .LBB2109_103
; %bb.102:
	v_bcnt_u32_b32 v0, v0, 0
	v_bcnt_u32_b32 v0, v1, v0
	s_waitcnt lgkmcnt(0)
	v_add_u32_e32 v0, v39, v0
	ds_write_b32 v45, v0 offset:64
.LBB2109_103:
	s_or_b64 exec, exec, s[2:3]
	s_waitcnt vmcnt(3)
	v_not_b32_e32 v34, v34
	v_lshrrev_b32_e32 v0, s20, v34
	v_and_b32_e32 v4, s13, v0
	v_and_b32_e32 v1, 1, v4
	v_add_co_u32_e32 v5, vcc, -1, v1
	v_addc_co_u32_e64 v43, s[2:3], 0, -1, vcc
	v_cmp_ne_u32_e32 vcc, 0, v1
	v_lshl_add_u32 v0, v4, 4, v4
	v_xor_b32_e32 v1, vcc_hi, v43
	v_add_lshl_u32 v48, v24, v0, 2
	v_mov_b32_e32 v0, 0
	v_and_b32_e32 v43, exec_hi, v1
	v_lshlrev_b32_e32 v1, 30, v4
	v_xor_b32_e32 v5, vcc_lo, v5
	v_cmp_gt_i64_e32 vcc, 0, v[0:1]
	v_not_b32_e32 v1, v1
	v_ashrrev_i32_e32 v1, 31, v1
	v_and_b32_e32 v5, exec_lo, v5
	v_xor_b32_e32 v44, vcc_hi, v1
	v_xor_b32_e32 v1, vcc_lo, v1
	v_and_b32_e32 v5, v5, v1
	v_lshlrev_b32_e32 v1, 29, v4
	v_cmp_gt_i64_e32 vcc, 0, v[0:1]
	v_not_b32_e32 v1, v1
	v_ashrrev_i32_e32 v1, 31, v1
	v_and_b32_e32 v43, v43, v44
	v_xor_b32_e32 v44, vcc_hi, v1
	v_xor_b32_e32 v1, vcc_lo, v1
	v_and_b32_e32 v5, v5, v1
	v_lshlrev_b32_e32 v1, 28, v4
	v_cmp_gt_i64_e32 vcc, 0, v[0:1]
	v_not_b32_e32 v1, v1
	v_ashrrev_i32_e32 v1, 31, v1
	v_and_b32_e32 v43, v43, v44
	;; [unrolled: 8-line block ×5, first 2 shown]
	v_xor_b32_e32 v44, vcc_hi, v1
	v_xor_b32_e32 v1, vcc_lo, v1
	v_and_b32_e32 v43, v43, v44
	v_and_b32_e32 v44, v5, v1
	v_lshlrev_b32_e32 v1, 24, v4
	v_cmp_gt_i64_e32 vcc, 0, v[0:1]
	v_not_b32_e32 v1, v1
	v_ashrrev_i32_e32 v1, 31, v1
	v_xor_b32_e32 v4, vcc_hi, v1
	v_xor_b32_e32 v1, vcc_lo, v1
	; wave barrier
	ds_read_b32 v42, v48 offset:64
	v_and_b32_e32 v5, v43, v4
	v_and_b32_e32 v4, v44, v1
	v_mbcnt_lo_u32_b32 v1, v4, 0
	v_mbcnt_hi_u32_b32 v43, v5, v1
	v_cmp_eq_u32_e32 vcc, 0, v43
	v_cmp_ne_u64_e64 s[2:3], 0, v[4:5]
	s_and_b64 s[4:5], s[2:3], vcc
	; wave barrier
	s_and_saveexec_b64 s[2:3], s[4:5]
	s_cbranch_execz .LBB2109_105
; %bb.104:
	v_bcnt_u32_b32 v1, v4, 0
	v_bcnt_u32_b32 v1, v5, v1
	s_waitcnt lgkmcnt(0)
	v_add_u32_e32 v1, v42, v1
	ds_write_b32 v48, v1 offset:64
.LBB2109_105:
	s_or_b64 exec, exec, s[2:3]
	s_waitcnt vmcnt(2)
	v_not_b32_e32 v32, v32
	v_lshrrev_b32_e32 v1, s20, v32
	v_and_b32_e32 v4, s13, v1
	v_lshl_add_u32 v1, v4, 4, v4
	v_add_lshl_u32 v51, v24, v1, 2
	v_and_b32_e32 v1, 1, v4
	v_add_co_u32_e32 v5, vcc, -1, v1
	v_addc_co_u32_e64 v44, s[2:3], 0, -1, vcc
	v_cmp_ne_u32_e32 vcc, 0, v1
	v_xor_b32_e32 v1, vcc_hi, v44
	v_and_b32_e32 v44, exec_hi, v1
	v_lshlrev_b32_e32 v1, 30, v4
	v_xor_b32_e32 v5, vcc_lo, v5
	v_cmp_gt_i64_e32 vcc, 0, v[0:1]
	v_not_b32_e32 v1, v1
	v_ashrrev_i32_e32 v1, 31, v1
	v_and_b32_e32 v5, exec_lo, v5
	v_xor_b32_e32 v47, vcc_hi, v1
	v_xor_b32_e32 v1, vcc_lo, v1
	v_and_b32_e32 v5, v5, v1
	v_lshlrev_b32_e32 v1, 29, v4
	v_cmp_gt_i64_e32 vcc, 0, v[0:1]
	v_not_b32_e32 v1, v1
	v_ashrrev_i32_e32 v1, 31, v1
	v_and_b32_e32 v44, v44, v47
	v_xor_b32_e32 v47, vcc_hi, v1
	v_xor_b32_e32 v1, vcc_lo, v1
	v_and_b32_e32 v5, v5, v1
	v_lshlrev_b32_e32 v1, 28, v4
	v_cmp_gt_i64_e32 vcc, 0, v[0:1]
	v_not_b32_e32 v1, v1
	v_ashrrev_i32_e32 v1, 31, v1
	v_and_b32_e32 v44, v44, v47
	;; [unrolled: 8-line block ×5, first 2 shown]
	v_xor_b32_e32 v47, vcc_hi, v1
	v_xor_b32_e32 v1, vcc_lo, v1
	v_and_b32_e32 v5, v5, v1
	v_lshlrev_b32_e32 v1, 24, v4
	v_cmp_gt_i64_e32 vcc, 0, v[0:1]
	v_not_b32_e32 v0, v1
	v_ashrrev_i32_e32 v0, 31, v0
	v_xor_b32_e32 v1, vcc_hi, v0
	v_xor_b32_e32 v0, vcc_lo, v0
	; wave barrier
	ds_read_b32 v46, v51 offset:64
	v_and_b32_e32 v44, v44, v47
	v_and_b32_e32 v0, v5, v0
	;; [unrolled: 1-line block ×3, first 2 shown]
	v_mbcnt_lo_u32_b32 v4, v0, 0
	v_mbcnt_hi_u32_b32 v47, v1, v4
	v_cmp_eq_u32_e32 vcc, 0, v47
	v_cmp_ne_u64_e64 s[2:3], 0, v[0:1]
	s_and_b64 s[4:5], s[2:3], vcc
	; wave barrier
	s_and_saveexec_b64 s[2:3], s[4:5]
	s_cbranch_execz .LBB2109_107
; %bb.106:
	v_bcnt_u32_b32 v0, v0, 0
	v_bcnt_u32_b32 v0, v1, v0
	s_waitcnt lgkmcnt(0)
	v_add_u32_e32 v0, v46, v0
	ds_write_b32 v51, v0 offset:64
.LBB2109_107:
	s_or_b64 exec, exec, s[2:3]
	s_waitcnt vmcnt(1)
	v_not_b32_e32 v27, v27
	v_lshrrev_b32_e32 v0, s20, v27
	v_and_b32_e32 v4, s13, v0
	v_and_b32_e32 v1, 1, v4
	v_add_co_u32_e32 v5, vcc, -1, v1
	v_addc_co_u32_e64 v44, s[2:3], 0, -1, vcc
	v_cmp_ne_u32_e32 vcc, 0, v1
	v_lshl_add_u32 v0, v4, 4, v4
	v_xor_b32_e32 v1, vcc_hi, v44
	v_add_lshl_u32 v54, v24, v0, 2
	v_mov_b32_e32 v0, 0
	v_and_b32_e32 v44, exec_hi, v1
	v_lshlrev_b32_e32 v1, 30, v4
	v_xor_b32_e32 v5, vcc_lo, v5
	v_cmp_gt_i64_e32 vcc, 0, v[0:1]
	v_not_b32_e32 v1, v1
	v_ashrrev_i32_e32 v1, 31, v1
	v_and_b32_e32 v5, exec_lo, v5
	v_xor_b32_e32 v50, vcc_hi, v1
	v_xor_b32_e32 v1, vcc_lo, v1
	v_and_b32_e32 v5, v5, v1
	v_lshlrev_b32_e32 v1, 29, v4
	v_cmp_gt_i64_e32 vcc, 0, v[0:1]
	v_not_b32_e32 v1, v1
	v_ashrrev_i32_e32 v1, 31, v1
	v_and_b32_e32 v44, v44, v50
	v_xor_b32_e32 v50, vcc_hi, v1
	v_xor_b32_e32 v1, vcc_lo, v1
	v_and_b32_e32 v5, v5, v1
	v_lshlrev_b32_e32 v1, 28, v4
	v_cmp_gt_i64_e32 vcc, 0, v[0:1]
	v_not_b32_e32 v1, v1
	v_ashrrev_i32_e32 v1, 31, v1
	v_and_b32_e32 v44, v44, v50
	;; [unrolled: 8-line block ×5, first 2 shown]
	v_xor_b32_e32 v50, vcc_hi, v1
	v_xor_b32_e32 v1, vcc_lo, v1
	v_and_b32_e32 v44, v44, v50
	v_and_b32_e32 v50, v5, v1
	v_lshlrev_b32_e32 v1, 24, v4
	v_cmp_gt_i64_e32 vcc, 0, v[0:1]
	v_not_b32_e32 v1, v1
	v_ashrrev_i32_e32 v1, 31, v1
	v_xor_b32_e32 v4, vcc_hi, v1
	v_xor_b32_e32 v1, vcc_lo, v1
	; wave barrier
	ds_read_b32 v49, v54 offset:64
	v_and_b32_e32 v5, v44, v4
	v_and_b32_e32 v4, v50, v1
	v_mbcnt_lo_u32_b32 v1, v4, 0
	v_mbcnt_hi_u32_b32 v50, v5, v1
	v_cmp_eq_u32_e32 vcc, 0, v50
	v_cmp_ne_u64_e64 s[2:3], 0, v[4:5]
	s_and_b64 s[4:5], s[2:3], vcc
	; wave barrier
	s_and_saveexec_b64 s[2:3], s[4:5]
	s_cbranch_execz .LBB2109_109
; %bb.108:
	v_bcnt_u32_b32 v1, v4, 0
	v_bcnt_u32_b32 v1, v5, v1
	s_waitcnt lgkmcnt(0)
	v_add_u32_e32 v1, v49, v1
	ds_write_b32 v54, v1 offset:64
.LBB2109_109:
	s_or_b64 exec, exec, s[2:3]
	s_waitcnt vmcnt(0)
	v_not_b32_e32 v44, v9
	v_lshrrev_b32_e32 v1, s20, v44
	v_and_b32_e32 v4, s13, v1
	v_lshl_add_u32 v1, v4, 4, v4
	v_add_lshl_u32 v9, v24, v1, 2
	v_and_b32_e32 v1, 1, v4
	v_add_co_u32_e32 v5, vcc, -1, v1
	v_addc_co_u32_e64 v24, s[2:3], 0, -1, vcc
	v_cmp_ne_u32_e32 vcc, 0, v1
	v_xor_b32_e32 v1, vcc_hi, v24
	v_and_b32_e32 v24, exec_hi, v1
	v_lshlrev_b32_e32 v1, 30, v4
	v_xor_b32_e32 v5, vcc_lo, v5
	v_cmp_gt_i64_e32 vcc, 0, v[0:1]
	v_not_b32_e32 v1, v1
	v_ashrrev_i32_e32 v1, 31, v1
	v_and_b32_e32 v5, exec_lo, v5
	v_xor_b32_e32 v53, vcc_hi, v1
	v_xor_b32_e32 v1, vcc_lo, v1
	v_and_b32_e32 v5, v5, v1
	v_lshlrev_b32_e32 v1, 29, v4
	v_cmp_gt_i64_e32 vcc, 0, v[0:1]
	v_not_b32_e32 v1, v1
	v_ashrrev_i32_e32 v1, 31, v1
	v_and_b32_e32 v24, v24, v53
	v_xor_b32_e32 v53, vcc_hi, v1
	v_xor_b32_e32 v1, vcc_lo, v1
	v_and_b32_e32 v5, v5, v1
	v_lshlrev_b32_e32 v1, 28, v4
	v_cmp_gt_i64_e32 vcc, 0, v[0:1]
	v_not_b32_e32 v1, v1
	v_ashrrev_i32_e32 v1, 31, v1
	v_and_b32_e32 v24, v24, v53
	;; [unrolled: 8-line block ×5, first 2 shown]
	v_xor_b32_e32 v53, vcc_hi, v1
	v_xor_b32_e32 v1, vcc_lo, v1
	v_and_b32_e32 v5, v5, v1
	v_lshlrev_b32_e32 v1, 24, v4
	v_cmp_gt_i64_e32 vcc, 0, v[0:1]
	v_not_b32_e32 v0, v1
	v_ashrrev_i32_e32 v0, 31, v0
	v_xor_b32_e32 v1, vcc_hi, v0
	v_xor_b32_e32 v0, vcc_lo, v0
	; wave barrier
	ds_read_b32 v52, v9 offset:64
	v_and_b32_e32 v24, v24, v53
	v_and_b32_e32 v0, v5, v0
	;; [unrolled: 1-line block ×3, first 2 shown]
	v_mbcnt_lo_u32_b32 v4, v0, 0
	v_mbcnt_hi_u32_b32 v53, v1, v4
	v_cmp_eq_u32_e32 vcc, 0, v53
	v_cmp_ne_u64_e64 s[2:3], 0, v[0:1]
	v_add_u32_e32 v55, 64, v6
	s_and_b64 s[4:5], s[2:3], vcc
	; wave barrier
	s_and_saveexec_b64 s[2:3], s[4:5]
	s_cbranch_execz .LBB2109_111
; %bb.110:
	v_bcnt_u32_b32 v0, v0, 0
	v_bcnt_u32_b32 v0, v1, v0
	s_waitcnt lgkmcnt(0)
	v_add_u32_e32 v0, v52, v0
	ds_write_b32 v9, v0 offset:64
.LBB2109_111:
	s_or_b64 exec, exec, s[2:3]
	; wave barrier
	s_waitcnt lgkmcnt(0)
	s_barrier
	ds_read2_b32 v[4:5], v6 offset0:16 offset1:17
	ds_read2_b32 v[0:1], v55 offset0:2 offset1:3
	ds_read_b32 v24, v55 offset:16
	v_cmp_lt_u32_e64 s[8:9], 31, v3
	s_waitcnt lgkmcnt(1)
	v_add3_u32 v56, v5, v4, v0
	s_waitcnt lgkmcnt(0)
	v_add3_u32 v24, v56, v1, v24
	v_and_b32_e32 v56, 15, v3
	v_cmp_eq_u32_e32 vcc, 0, v56
	v_mov_b32_dpp v57, v24 row_shr:1 row_mask:0xf bank_mask:0xf
	v_cndmask_b32_e64 v57, v57, 0, vcc
	v_add_u32_e32 v24, v57, v24
	v_cmp_lt_u32_e64 s[2:3], 1, v56
	v_cmp_lt_u32_e64 s[4:5], 3, v56
	v_mov_b32_dpp v57, v24 row_shr:2 row_mask:0xf bank_mask:0xf
	v_cndmask_b32_e64 v57, 0, v57, s[2:3]
	v_add_u32_e32 v24, v24, v57
	v_cmp_lt_u32_e64 s[6:7], 7, v56
	s_nop 0
	v_mov_b32_dpp v57, v24 row_shr:4 row_mask:0xf bank_mask:0xf
	v_cndmask_b32_e64 v57, 0, v57, s[4:5]
	v_add_u32_e32 v24, v24, v57
	s_nop 1
	v_mov_b32_dpp v57, v24 row_shr:8 row_mask:0xf bank_mask:0xf
	v_cndmask_b32_e64 v56, 0, v57, s[6:7]
	v_add_u32_e32 v24, v24, v56
	v_bfe_i32 v57, v3, 4, 1
	s_nop 0
	v_mov_b32_dpp v56, v24 row_bcast:15 row_mask:0xf bank_mask:0xf
	v_and_b32_e32 v56, v57, v56
	v_add_u32_e32 v24, v24, v56
	v_lshrrev_b32_e32 v57, 6, v2
	s_nop 0
	v_mov_b32_dpp v56, v24 row_bcast:31 row_mask:0xf bank_mask:0xf
	v_cndmask_b32_e64 v56, 0, v56, s[8:9]
	v_add_u32_e32 v56, v24, v56
	v_and_b32_e32 v24, 63, v2
	v_cmp_eq_u32_e64 s[8:9], 63, v24
	s_and_saveexec_b64 s[10:11], s[8:9]
	s_cbranch_execz .LBB2109_113
; %bb.112:
	v_lshlrev_b32_e32 v24, 2, v57
	ds_write_b32 v24, v56
.LBB2109_113:
	s_or_b64 exec, exec, s[10:11]
	v_cmp_gt_u32_e64 s[8:9], 16, v2
	v_lshlrev_b32_e32 v24, 2, v2
	s_waitcnt lgkmcnt(0)
	s_barrier
	s_and_saveexec_b64 s[10:11], s[8:9]
	s_cbranch_execz .LBB2109_115
; %bb.114:
	ds_read_b32 v58, v24
	s_waitcnt lgkmcnt(0)
	s_nop 0
	v_mov_b32_dpp v59, v58 row_shr:1 row_mask:0xf bank_mask:0xf
	v_cndmask_b32_e64 v59, v59, 0, vcc
	v_add_u32_e32 v58, v59, v58
	s_nop 1
	v_mov_b32_dpp v59, v58 row_shr:2 row_mask:0xf bank_mask:0xf
	v_cndmask_b32_e64 v59, 0, v59, s[2:3]
	v_add_u32_e32 v58, v58, v59
	s_nop 1
	v_mov_b32_dpp v59, v58 row_shr:4 row_mask:0xf bank_mask:0xf
	v_cndmask_b32_e64 v59, 0, v59, s[4:5]
	;; [unrolled: 4-line block ×3, first 2 shown]
	v_add_u32_e32 v58, v58, v59
	ds_write_b32 v24, v58
.LBB2109_115:
	s_or_b64 exec, exec, s[10:11]
	v_cmp_lt_u32_e32 vcc, 63, v2
	v_mov_b32_e32 v58, 0
	s_waitcnt lgkmcnt(0)
	s_barrier
	s_and_saveexec_b64 s[2:3], vcc
	s_cbranch_execz .LBB2109_117
; %bb.116:
	v_lshl_add_u32 v57, v57, 2, -4
	ds_read_b32 v58, v57
.LBB2109_117:
	s_or_b64 exec, exec, s[2:3]
	v_add_u32_e32 v57, -1, v3
	v_and_b32_e32 v59, 64, v3
	v_cmp_lt_i32_e32 vcc, v57, v59
	v_cndmask_b32_e32 v57, v57, v3, vcc
	s_waitcnt lgkmcnt(0)
	v_add_u32_e32 v56, v58, v56
	v_lshlrev_b32_e32 v57, 2, v57
	ds_bpermute_b32 v56, v57, v56
	v_cmp_eq_u32_e32 vcc, 0, v3
	s_movk_i32 s2, 0xff
	s_waitcnt lgkmcnt(0)
	v_cndmask_b32_e32 v3, v56, v58, vcc
	v_cndmask_b32_e64 v3, v3, 0, s[0:1]
	v_add_u32_e32 v4, v3, v4
	v_add_u32_e32 v5, v4, v5
	;; [unrolled: 1-line block ×4, first 2 shown]
	ds_write2_b32 v6, v3, v4 offset0:16 offset1:17
	ds_write2_b32 v55, v5, v0 offset0:2 offset1:3
	ds_write_b32 v55, v1 offset:16
	s_waitcnt lgkmcnt(0)
	s_barrier
	ds_read_b32 v59, v7 offset:64
	ds_read_b32 v55, v8 offset:64
	;; [unrolled: 1-line block ×12, first 2 shown]
	s_movk_i32 s0, 0x100
	v_cmp_lt_u32_e32 vcc, s2, v2
	v_cmp_gt_u32_e64 s[0:1], s0, v2
	v_pk_mov_b32 v[4:5], 0, 0
                                        ; implicit-def: $vgpr40
	s_and_saveexec_b64 s[4:5], s[0:1]
	s_cbranch_execz .LBB2109_121
; %bb.118:
	v_mul_u32_u24_e32 v0, 17, v2
	v_lshlrev_b32_e32 v1, 2, v0
	ds_read_b32 v4, v1 offset:64
	v_cmp_ne_u32_e64 s[2:3], s2, v2
	v_mov_b32_e32 v0, 0x3000
	s_and_saveexec_b64 s[6:7], s[2:3]
	s_cbranch_execz .LBB2109_120
; %bb.119:
	ds_read_b32 v0, v1 offset:132
.LBB2109_120:
	s_or_b64 exec, exec, s[6:7]
	s_waitcnt lgkmcnt(0)
	v_sub_u32_e32 v40, v0, v4
	v_mov_b32_e32 v5, 0
.LBB2109_121:
	s_or_b64 exec, exec, s[4:5]
	s_waitcnt lgkmcnt(0)
	s_barrier
	s_and_saveexec_b64 s[2:3], vcc
	s_xor_b64 s[2:3], exec, s[2:3]
; %bb.122:
	v_mov_b32_e32 v3, 0
; %bb.123:
	s_andn2_saveexec_b64 s[2:3], s[2:3]
	s_cbranch_execz .LBB2109_133
; %bb.124:
	v_lshl_or_b32 v0, s30, 8, v2
	v_mov_b32_e32 v1, 0
	v_lshlrev_b64 v[6:7], 2, v[0:1]
	v_mov_b32_e32 v3, s15
	v_add_co_u32_e32 v6, vcc, s14, v6
	v_addc_co_u32_e32 v7, vcc, v3, v7, vcc
	v_or_b32_e32 v0, 2.0, v40
	s_mov_b64 s[4:5], 0
	s_brev_b32 s10, 1
	s_mov_b32 s11, s30
	v_mov_b32_e32 v54, 0
	global_store_dword v[6:7], v0, off
                                        ; implicit-def: $sgpr6_sgpr7
	s_branch .LBB2109_127
.LBB2109_125:                           ;   in Loop: Header=BB2109_127 Depth=1
	s_or_b64 exec, exec, s[8:9]
.LBB2109_126:                           ;   in Loop: Header=BB2109_127 Depth=1
	s_or_b64 exec, exec, s[6:7]
	v_and_b32_e32 v8, 0x3fffffff, v60
	v_add_u32_e32 v54, v8, v54
	v_cmp_eq_u32_e64 s[6:7], s10, v0
	s_and_b64 s[8:9], exec, s[6:7]
	s_or_b64 s[4:5], s[8:9], s[4:5]
	s_andn2_b64 exec, exec, s[4:5]
	s_cbranch_execz .LBB2109_132
.LBB2109_127:                           ; =>This Loop Header: Depth=1
                                        ;     Child Loop BB2109_130 Depth 2
	s_or_b64 s[6:7], s[6:7], exec
	s_cmp_eq_u32 s11, 0
	s_cbranch_scc1 .LBB2109_131
; %bb.128:                              ;   in Loop: Header=BB2109_127 Depth=1
	s_add_i32 s11, s11, -1
	v_lshl_or_b32 v0, s11, 8, v2
	v_lshlrev_b64 v[8:9], 2, v[0:1]
	v_add_co_u32_e32 v8, vcc, s14, v8
	v_addc_co_u32_e32 v9, vcc, v3, v9, vcc
	global_load_dword v60, v[8:9], off glc
	s_waitcnt vmcnt(0)
	v_and_b32_e32 v0, -2.0, v60
	v_cmp_eq_u32_e32 vcc, 0, v0
	s_and_saveexec_b64 s[6:7], vcc
	s_cbranch_execz .LBB2109_126
; %bb.129:                              ;   in Loop: Header=BB2109_127 Depth=1
	s_mov_b64 s[8:9], 0
.LBB2109_130:                           ;   Parent Loop BB2109_127 Depth=1
                                        ; =>  This Inner Loop Header: Depth=2
	global_load_dword v60, v[8:9], off glc
	s_waitcnt vmcnt(0)
	v_and_b32_e32 v0, -2.0, v60
	v_cmp_ne_u32_e32 vcc, 0, v0
	s_or_b64 s[8:9], vcc, s[8:9]
	s_andn2_b64 exec, exec, s[8:9]
	s_cbranch_execnz .LBB2109_130
	s_branch .LBB2109_125
.LBB2109_131:                           ;   in Loop: Header=BB2109_127 Depth=1
                                        ; implicit-def: $sgpr11
	s_and_b64 s[8:9], exec, s[6:7]
	s_or_b64 s[4:5], s[8:9], s[4:5]
	s_andn2_b64 exec, exec, s[4:5]
	s_cbranch_execnz .LBB2109_127
.LBB2109_132:
	s_or_b64 exec, exec, s[4:5]
	v_add_u32_e32 v0, v54, v40
	v_or_b32_e32 v0, 0x80000000, v0
	global_store_dword v[6:7], v0, off
	v_lshlrev_b32_e32 v6, 3, v2
	global_load_dwordx2 v[0:1], v6, s[16:17]
	v_sub_co_u32_e32 v7, vcc, v54, v4
	v_subb_co_u32_e32 v8, vcc, 0, v5, vcc
	v_mov_b32_e32 v3, 0
	s_waitcnt vmcnt(0)
	v_add_co_u32_e32 v0, vcc, v7, v0
	v_addc_co_u32_e32 v1, vcc, v8, v1, vcc
	ds_write_b64 v6, v[0:1]
.LBB2109_133:
	s_or_b64 exec, exec, s[2:3]
	v_lshlrev_b64 v[0:1], 2, v[2:3]
	v_add3_u32 v15, v16, v55, v15
	v_mov_b32_e32 v16, s27
	v_add_co_u32_e32 v0, vcc, s26, v0
	v_add_u32_e32 v6, v59, v14
	v_add_u32_e32 v7, 0x800, v24
	v_add3_u32 v8, v53, v51, v52
	v_add3_u32 v9, v50, v48, v49
	;; [unrolled: 1-line block ×10, first 2 shown]
	v_addc_co_u32_e32 v1, vcc, v16, v1, vcc
	s_mov_b32 s2, 0
	s_movk_i32 s3, 0x1000
	s_movk_i32 s4, 0x2000
.LBB2109_134:                           ; =>This Inner Loop Header: Depth=1
	v_add_u32_e32 v16, s2, v6
	v_add_u32_e32 v36, s2, v31
	;; [unrolled: 1-line block ×12, first 2 shown]
	v_min_u32_e32 v16, 0x1000, v16
	v_min_u32_e32 v36, 0x1000, v36
	;; [unrolled: 1-line block ×12, first 2 shown]
	v_lshlrev_b32_e32 v16, 2, v16
	v_lshlrev_b32_e32 v36, 2, v36
	v_lshlrev_b32_e32 v37, 2, v37
	v_lshlrev_b32_e32 v19, 2, v19
	v_lshlrev_b32_e32 v22, 2, v22
	v_lshlrev_b32_e32 v28, 2, v28
	v_lshlrev_b32_e32 v33, 2, v33
	v_lshlrev_b32_e32 v38, 2, v38
	v_lshlrev_b32_e32 v39, 2, v39
	v_lshlrev_b32_e32 v41, 2, v41
	v_lshlrev_b32_e32 v42, 2, v42
	v_lshlrev_b32_e32 v43, 2, v43
	ds_write_b32 v16, v10 offset:2048
	ds_write_b32 v19, v11 offset:2048
	;; [unrolled: 1-line block ×12, first 2 shown]
	s_waitcnt lgkmcnt(0)
	s_barrier
	ds_read_b32 v16, v24 offset:2048
	ds_read2st64_b32 v[36:37], v7 offset0:16 offset1:32
	s_addk_i32 s2, 0xf000
	s_cmpk_lg_i32 s2, 0xd000
	s_waitcnt lgkmcnt(1)
	v_lshrrev_b32_e32 v19, s20, v16
	s_waitcnt lgkmcnt(0)
	v_lshrrev_b32_e32 v22, s20, v36
	v_lshrrev_b32_e32 v33, s20, v37
	v_and_b32_e32 v19, s13, v19
	v_and_b32_e32 v22, s13, v22
	;; [unrolled: 1-line block ×3, first 2 shown]
	v_lshlrev_b32_e32 v19, 3, v19
	v_not_b32_e32 v28, v36
	v_not_b32_e32 v41, v37
	v_lshlrev_b32_e32 v22, 3, v22
	v_lshlrev_b32_e32 v33, 3, v33
	ds_read_b64 v[36:37], v19
	ds_read_b64 v[38:39], v22
	;; [unrolled: 1-line block ×3, first 2 shown]
	ds_read_b32 v19, v7 offset:12288
	v_not_b32_e32 v16, v16
	s_waitcnt lgkmcnt(3)
	v_lshlrev_b64 v[36:37], 2, v[36:37]
	v_add_co_u32_e32 v36, vcc, v0, v36
	s_waitcnt lgkmcnt(2)
	v_lshlrev_b64 v[38:39], 2, v[38:39]
	v_addc_co_u32_e32 v37, vcc, v1, v37, vcc
	v_add_co_u32_e32 v33, vcc, v0, v38
	s_waitcnt lgkmcnt(1)
	v_lshlrev_b64 v[42:43], 2, v[42:43]
	v_addc_co_u32_e32 v38, vcc, v1, v39, vcc
	v_add_co_u32_e32 v39, vcc, v0, v42
	s_waitcnt lgkmcnt(0)
	v_lshrrev_b32_e32 v22, s20, v19
	v_addc_co_u32_e32 v42, vcc, v1, v43, vcc
	v_and_b32_e32 v22, s13, v22
	global_store_dword v[36:37], v16, off
	v_add_co_u32_e32 v36, vcc, s3, v33
	v_addc_co_u32_e32 v37, vcc, 0, v38, vcc
	v_lshlrev_b32_e32 v16, 3, v22
	global_store_dword v[36:37], v28, off
	ds_read_b64 v[36:37], v16
	v_add_co_u32_e32 v38, vcc, s4, v39
	v_addc_co_u32_e32 v39, vcc, 0, v42, vcc
	s_waitcnt lgkmcnt(0)
	v_lshlrev_b64 v[36:37], 2, v[36:37]
	v_add_co_u32_e32 v16, vcc, v0, v36
	v_addc_co_u32_e32 v22, vcc, v1, v37, vcc
	v_add_co_u32_e32 v36, vcc, 0x3000, v16
	v_addc_co_u32_e32 v37, vcc, 0, v22, vcc
	v_add_co_u32_e32 v0, vcc, 0x4000, v0
	v_not_b32_e32 v19, v19
	v_addc_co_u32_e32 v1, vcc, 0, v1, vcc
	global_store_dword v[38:39], v41, off
	global_store_dword v[36:37], v19, off
	s_barrier
	s_cbranch_scc1 .LBB2109_134
; %bb.135:
	s_add_i32 s12, s12, -1
	s_cmp_eq_u32 s12, s30
	s_cselect_b64 s[2:3], -1, 0
	s_and_b64 s[2:3], s[0:1], s[2:3]
.LBB2109_136:
	s_and_saveexec_b64 s[0:1], s[2:3]
	s_cbranch_execnz .LBB2109_138
; %bb.137:
	s_endpgm
.LBB2109_138:
	v_lshlrev_b32_e32 v6, 3, v2
	v_lshlrev_b64 v[0:1], 3, v[2:3]
	ds_read_b64 v[2:3], v6
	v_add_co_u32_e32 v4, vcc, v4, v40
	v_addc_co_u32_e32 v5, vcc, 0, v5, vcc
	v_mov_b32_e32 v7, s19
	v_add_co_u32_e32 v0, vcc, s18, v0
	v_addc_co_u32_e32 v1, vcc, v7, v1, vcc
	s_waitcnt lgkmcnt(0)
	v_add_co_u32_e32 v2, vcc, v4, v2
	v_addc_co_u32_e32 v3, vcc, v5, v3, vcc
	global_store_dwordx2 v[0:1], v[2:3], off
	s_endpgm
	.section	.rodata,"a",@progbits
	.p2align	6, 0x0
	.amdhsa_kernel _ZN7rocprim17ROCPRIM_400000_NS6detail17trampoline_kernelINS0_14default_configENS1_35radix_sort_onesweep_config_selectorIjNS0_10empty_typeEEEZZNS1_29radix_sort_onesweep_iterationIS3_Lb1EPjS8_PS5_S9_mNS0_19identity_decomposerENS1_16block_id_wrapperIjLb1EEEEE10hipError_tT1_PNSt15iterator_traitsISE_E10value_typeET2_T3_PNSF_ISK_E10value_typeET4_T5_PSP_SQ_PNS1_23onesweep_lookback_stateEbbT6_jjT7_P12ihipStream_tbENKUlT_T0_SE_SJ_E_clIS8_S8_S9_S9_EEDaSX_SY_SE_SJ_EUlSX_E_NS1_11comp_targetILNS1_3genE4ELNS1_11target_archE910ELNS1_3gpuE8ELNS1_3repE0EEENS1_47radix_sort_onesweep_sort_config_static_selectorELNS0_4arch9wavefront6targetE1EEEvSE_
		.amdhsa_group_segment_fixed_size 20552
		.amdhsa_private_segment_fixed_size 0
		.amdhsa_kernarg_size 344
		.amdhsa_user_sgpr_count 6
		.amdhsa_user_sgpr_private_segment_buffer 1
		.amdhsa_user_sgpr_dispatch_ptr 0
		.amdhsa_user_sgpr_queue_ptr 0
		.amdhsa_user_sgpr_kernarg_segment_ptr 1
		.amdhsa_user_sgpr_dispatch_id 0
		.amdhsa_user_sgpr_flat_scratch_init 0
		.amdhsa_user_sgpr_kernarg_preload_length 0
		.amdhsa_user_sgpr_kernarg_preload_offset 0
		.amdhsa_user_sgpr_private_segment_size 0
		.amdhsa_uses_dynamic_stack 0
		.amdhsa_system_sgpr_private_segment_wavefront_offset 0
		.amdhsa_system_sgpr_workgroup_id_x 1
		.amdhsa_system_sgpr_workgroup_id_y 0
		.amdhsa_system_sgpr_workgroup_id_z 0
		.amdhsa_system_sgpr_workgroup_info 0
		.amdhsa_system_vgpr_workitem_id 2
		.amdhsa_next_free_vgpr 62
		.amdhsa_next_free_sgpr 35
		.amdhsa_accum_offset 64
		.amdhsa_reserve_vcc 1
		.amdhsa_reserve_flat_scratch 0
		.amdhsa_float_round_mode_32 0
		.amdhsa_float_round_mode_16_64 0
		.amdhsa_float_denorm_mode_32 3
		.amdhsa_float_denorm_mode_16_64 3
		.amdhsa_dx10_clamp 1
		.amdhsa_ieee_mode 1
		.amdhsa_fp16_overflow 0
		.amdhsa_tg_split 0
		.amdhsa_exception_fp_ieee_invalid_op 0
		.amdhsa_exception_fp_denorm_src 0
		.amdhsa_exception_fp_ieee_div_zero 0
		.amdhsa_exception_fp_ieee_overflow 0
		.amdhsa_exception_fp_ieee_underflow 0
		.amdhsa_exception_fp_ieee_inexact 0
		.amdhsa_exception_int_div_zero 0
	.end_amdhsa_kernel
	.section	.text._ZN7rocprim17ROCPRIM_400000_NS6detail17trampoline_kernelINS0_14default_configENS1_35radix_sort_onesweep_config_selectorIjNS0_10empty_typeEEEZZNS1_29radix_sort_onesweep_iterationIS3_Lb1EPjS8_PS5_S9_mNS0_19identity_decomposerENS1_16block_id_wrapperIjLb1EEEEE10hipError_tT1_PNSt15iterator_traitsISE_E10value_typeET2_T3_PNSF_ISK_E10value_typeET4_T5_PSP_SQ_PNS1_23onesweep_lookback_stateEbbT6_jjT7_P12ihipStream_tbENKUlT_T0_SE_SJ_E_clIS8_S8_S9_S9_EEDaSX_SY_SE_SJ_EUlSX_E_NS1_11comp_targetILNS1_3genE4ELNS1_11target_archE910ELNS1_3gpuE8ELNS1_3repE0EEENS1_47radix_sort_onesweep_sort_config_static_selectorELNS0_4arch9wavefront6targetE1EEEvSE_,"axG",@progbits,_ZN7rocprim17ROCPRIM_400000_NS6detail17trampoline_kernelINS0_14default_configENS1_35radix_sort_onesweep_config_selectorIjNS0_10empty_typeEEEZZNS1_29radix_sort_onesweep_iterationIS3_Lb1EPjS8_PS5_S9_mNS0_19identity_decomposerENS1_16block_id_wrapperIjLb1EEEEE10hipError_tT1_PNSt15iterator_traitsISE_E10value_typeET2_T3_PNSF_ISK_E10value_typeET4_T5_PSP_SQ_PNS1_23onesweep_lookback_stateEbbT6_jjT7_P12ihipStream_tbENKUlT_T0_SE_SJ_E_clIS8_S8_S9_S9_EEDaSX_SY_SE_SJ_EUlSX_E_NS1_11comp_targetILNS1_3genE4ELNS1_11target_archE910ELNS1_3gpuE8ELNS1_3repE0EEENS1_47radix_sort_onesweep_sort_config_static_selectorELNS0_4arch9wavefront6targetE1EEEvSE_,comdat
.Lfunc_end2109:
	.size	_ZN7rocprim17ROCPRIM_400000_NS6detail17trampoline_kernelINS0_14default_configENS1_35radix_sort_onesweep_config_selectorIjNS0_10empty_typeEEEZZNS1_29radix_sort_onesweep_iterationIS3_Lb1EPjS8_PS5_S9_mNS0_19identity_decomposerENS1_16block_id_wrapperIjLb1EEEEE10hipError_tT1_PNSt15iterator_traitsISE_E10value_typeET2_T3_PNSF_ISK_E10value_typeET4_T5_PSP_SQ_PNS1_23onesweep_lookback_stateEbbT6_jjT7_P12ihipStream_tbENKUlT_T0_SE_SJ_E_clIS8_S8_S9_S9_EEDaSX_SY_SE_SJ_EUlSX_E_NS1_11comp_targetILNS1_3genE4ELNS1_11target_archE910ELNS1_3gpuE8ELNS1_3repE0EEENS1_47radix_sort_onesweep_sort_config_static_selectorELNS0_4arch9wavefront6targetE1EEEvSE_, .Lfunc_end2109-_ZN7rocprim17ROCPRIM_400000_NS6detail17trampoline_kernelINS0_14default_configENS1_35radix_sort_onesweep_config_selectorIjNS0_10empty_typeEEEZZNS1_29radix_sort_onesweep_iterationIS3_Lb1EPjS8_PS5_S9_mNS0_19identity_decomposerENS1_16block_id_wrapperIjLb1EEEEE10hipError_tT1_PNSt15iterator_traitsISE_E10value_typeET2_T3_PNSF_ISK_E10value_typeET4_T5_PSP_SQ_PNS1_23onesweep_lookback_stateEbbT6_jjT7_P12ihipStream_tbENKUlT_T0_SE_SJ_E_clIS8_S8_S9_S9_EEDaSX_SY_SE_SJ_EUlSX_E_NS1_11comp_targetILNS1_3genE4ELNS1_11target_archE910ELNS1_3gpuE8ELNS1_3repE0EEENS1_47radix_sort_onesweep_sort_config_static_selectorELNS0_4arch9wavefront6targetE1EEEvSE_
                                        ; -- End function
	.section	.AMDGPU.csdata,"",@progbits
; Kernel info:
; codeLenInByte = 14128
; NumSgprs: 39
; NumVgprs: 62
; NumAgprs: 0
; TotalNumVgprs: 62
; ScratchSize: 0
; MemoryBound: 0
; FloatMode: 240
; IeeeMode: 1
; LDSByteSize: 20552 bytes/workgroup (compile time only)
; SGPRBlocks: 4
; VGPRBlocks: 7
; NumSGPRsForWavesPerEU: 39
; NumVGPRsForWavesPerEU: 62
; AccumOffset: 64
; Occupancy: 8
; WaveLimiterHint : 1
; COMPUTE_PGM_RSRC2:SCRATCH_EN: 0
; COMPUTE_PGM_RSRC2:USER_SGPR: 6
; COMPUTE_PGM_RSRC2:TRAP_HANDLER: 0
; COMPUTE_PGM_RSRC2:TGID_X_EN: 1
; COMPUTE_PGM_RSRC2:TGID_Y_EN: 0
; COMPUTE_PGM_RSRC2:TGID_Z_EN: 0
; COMPUTE_PGM_RSRC2:TIDIG_COMP_CNT: 2
; COMPUTE_PGM_RSRC3_GFX90A:ACCUM_OFFSET: 15
; COMPUTE_PGM_RSRC3_GFX90A:TG_SPLIT: 0
	.section	.text._ZN7rocprim17ROCPRIM_400000_NS6detail17trampoline_kernelINS0_14default_configENS1_35radix_sort_onesweep_config_selectorIjNS0_10empty_typeEEEZZNS1_29radix_sort_onesweep_iterationIS3_Lb1EPjS8_PS5_S9_mNS0_19identity_decomposerENS1_16block_id_wrapperIjLb1EEEEE10hipError_tT1_PNSt15iterator_traitsISE_E10value_typeET2_T3_PNSF_ISK_E10value_typeET4_T5_PSP_SQ_PNS1_23onesweep_lookback_stateEbbT6_jjT7_P12ihipStream_tbENKUlT_T0_SE_SJ_E_clIS8_S8_S9_S9_EEDaSX_SY_SE_SJ_EUlSX_E_NS1_11comp_targetILNS1_3genE3ELNS1_11target_archE908ELNS1_3gpuE7ELNS1_3repE0EEENS1_47radix_sort_onesweep_sort_config_static_selectorELNS0_4arch9wavefront6targetE1EEEvSE_,"axG",@progbits,_ZN7rocprim17ROCPRIM_400000_NS6detail17trampoline_kernelINS0_14default_configENS1_35radix_sort_onesweep_config_selectorIjNS0_10empty_typeEEEZZNS1_29radix_sort_onesweep_iterationIS3_Lb1EPjS8_PS5_S9_mNS0_19identity_decomposerENS1_16block_id_wrapperIjLb1EEEEE10hipError_tT1_PNSt15iterator_traitsISE_E10value_typeET2_T3_PNSF_ISK_E10value_typeET4_T5_PSP_SQ_PNS1_23onesweep_lookback_stateEbbT6_jjT7_P12ihipStream_tbENKUlT_T0_SE_SJ_E_clIS8_S8_S9_S9_EEDaSX_SY_SE_SJ_EUlSX_E_NS1_11comp_targetILNS1_3genE3ELNS1_11target_archE908ELNS1_3gpuE7ELNS1_3repE0EEENS1_47radix_sort_onesweep_sort_config_static_selectorELNS0_4arch9wavefront6targetE1EEEvSE_,comdat
	.protected	_ZN7rocprim17ROCPRIM_400000_NS6detail17trampoline_kernelINS0_14default_configENS1_35radix_sort_onesweep_config_selectorIjNS0_10empty_typeEEEZZNS1_29radix_sort_onesweep_iterationIS3_Lb1EPjS8_PS5_S9_mNS0_19identity_decomposerENS1_16block_id_wrapperIjLb1EEEEE10hipError_tT1_PNSt15iterator_traitsISE_E10value_typeET2_T3_PNSF_ISK_E10value_typeET4_T5_PSP_SQ_PNS1_23onesweep_lookback_stateEbbT6_jjT7_P12ihipStream_tbENKUlT_T0_SE_SJ_E_clIS8_S8_S9_S9_EEDaSX_SY_SE_SJ_EUlSX_E_NS1_11comp_targetILNS1_3genE3ELNS1_11target_archE908ELNS1_3gpuE7ELNS1_3repE0EEENS1_47radix_sort_onesweep_sort_config_static_selectorELNS0_4arch9wavefront6targetE1EEEvSE_ ; -- Begin function _ZN7rocprim17ROCPRIM_400000_NS6detail17trampoline_kernelINS0_14default_configENS1_35radix_sort_onesweep_config_selectorIjNS0_10empty_typeEEEZZNS1_29radix_sort_onesweep_iterationIS3_Lb1EPjS8_PS5_S9_mNS0_19identity_decomposerENS1_16block_id_wrapperIjLb1EEEEE10hipError_tT1_PNSt15iterator_traitsISE_E10value_typeET2_T3_PNSF_ISK_E10value_typeET4_T5_PSP_SQ_PNS1_23onesweep_lookback_stateEbbT6_jjT7_P12ihipStream_tbENKUlT_T0_SE_SJ_E_clIS8_S8_S9_S9_EEDaSX_SY_SE_SJ_EUlSX_E_NS1_11comp_targetILNS1_3genE3ELNS1_11target_archE908ELNS1_3gpuE7ELNS1_3repE0EEENS1_47radix_sort_onesweep_sort_config_static_selectorELNS0_4arch9wavefront6targetE1EEEvSE_
	.globl	_ZN7rocprim17ROCPRIM_400000_NS6detail17trampoline_kernelINS0_14default_configENS1_35radix_sort_onesweep_config_selectorIjNS0_10empty_typeEEEZZNS1_29radix_sort_onesweep_iterationIS3_Lb1EPjS8_PS5_S9_mNS0_19identity_decomposerENS1_16block_id_wrapperIjLb1EEEEE10hipError_tT1_PNSt15iterator_traitsISE_E10value_typeET2_T3_PNSF_ISK_E10value_typeET4_T5_PSP_SQ_PNS1_23onesweep_lookback_stateEbbT6_jjT7_P12ihipStream_tbENKUlT_T0_SE_SJ_E_clIS8_S8_S9_S9_EEDaSX_SY_SE_SJ_EUlSX_E_NS1_11comp_targetILNS1_3genE3ELNS1_11target_archE908ELNS1_3gpuE7ELNS1_3repE0EEENS1_47radix_sort_onesweep_sort_config_static_selectorELNS0_4arch9wavefront6targetE1EEEvSE_
	.p2align	8
	.type	_ZN7rocprim17ROCPRIM_400000_NS6detail17trampoline_kernelINS0_14default_configENS1_35radix_sort_onesweep_config_selectorIjNS0_10empty_typeEEEZZNS1_29radix_sort_onesweep_iterationIS3_Lb1EPjS8_PS5_S9_mNS0_19identity_decomposerENS1_16block_id_wrapperIjLb1EEEEE10hipError_tT1_PNSt15iterator_traitsISE_E10value_typeET2_T3_PNSF_ISK_E10value_typeET4_T5_PSP_SQ_PNS1_23onesweep_lookback_stateEbbT6_jjT7_P12ihipStream_tbENKUlT_T0_SE_SJ_E_clIS8_S8_S9_S9_EEDaSX_SY_SE_SJ_EUlSX_E_NS1_11comp_targetILNS1_3genE3ELNS1_11target_archE908ELNS1_3gpuE7ELNS1_3repE0EEENS1_47radix_sort_onesweep_sort_config_static_selectorELNS0_4arch9wavefront6targetE1EEEvSE_,@function
_ZN7rocprim17ROCPRIM_400000_NS6detail17trampoline_kernelINS0_14default_configENS1_35radix_sort_onesweep_config_selectorIjNS0_10empty_typeEEEZZNS1_29radix_sort_onesweep_iterationIS3_Lb1EPjS8_PS5_S9_mNS0_19identity_decomposerENS1_16block_id_wrapperIjLb1EEEEE10hipError_tT1_PNSt15iterator_traitsISE_E10value_typeET2_T3_PNSF_ISK_E10value_typeET4_T5_PSP_SQ_PNS1_23onesweep_lookback_stateEbbT6_jjT7_P12ihipStream_tbENKUlT_T0_SE_SJ_E_clIS8_S8_S9_S9_EEDaSX_SY_SE_SJ_EUlSX_E_NS1_11comp_targetILNS1_3genE3ELNS1_11target_archE908ELNS1_3gpuE7ELNS1_3repE0EEENS1_47radix_sort_onesweep_sort_config_static_selectorELNS0_4arch9wavefront6targetE1EEEvSE_: ; @_ZN7rocprim17ROCPRIM_400000_NS6detail17trampoline_kernelINS0_14default_configENS1_35radix_sort_onesweep_config_selectorIjNS0_10empty_typeEEEZZNS1_29radix_sort_onesweep_iterationIS3_Lb1EPjS8_PS5_S9_mNS0_19identity_decomposerENS1_16block_id_wrapperIjLb1EEEEE10hipError_tT1_PNSt15iterator_traitsISE_E10value_typeET2_T3_PNSF_ISK_E10value_typeET4_T5_PSP_SQ_PNS1_23onesweep_lookback_stateEbbT6_jjT7_P12ihipStream_tbENKUlT_T0_SE_SJ_E_clIS8_S8_S9_S9_EEDaSX_SY_SE_SJ_EUlSX_E_NS1_11comp_targetILNS1_3genE3ELNS1_11target_archE908ELNS1_3gpuE7ELNS1_3repE0EEENS1_47radix_sort_onesweep_sort_config_static_selectorELNS0_4arch9wavefront6targetE1EEEvSE_
; %bb.0:
	.section	.rodata,"a",@progbits
	.p2align	6, 0x0
	.amdhsa_kernel _ZN7rocprim17ROCPRIM_400000_NS6detail17trampoline_kernelINS0_14default_configENS1_35radix_sort_onesweep_config_selectorIjNS0_10empty_typeEEEZZNS1_29radix_sort_onesweep_iterationIS3_Lb1EPjS8_PS5_S9_mNS0_19identity_decomposerENS1_16block_id_wrapperIjLb1EEEEE10hipError_tT1_PNSt15iterator_traitsISE_E10value_typeET2_T3_PNSF_ISK_E10value_typeET4_T5_PSP_SQ_PNS1_23onesweep_lookback_stateEbbT6_jjT7_P12ihipStream_tbENKUlT_T0_SE_SJ_E_clIS8_S8_S9_S9_EEDaSX_SY_SE_SJ_EUlSX_E_NS1_11comp_targetILNS1_3genE3ELNS1_11target_archE908ELNS1_3gpuE7ELNS1_3repE0EEENS1_47radix_sort_onesweep_sort_config_static_selectorELNS0_4arch9wavefront6targetE1EEEvSE_
		.amdhsa_group_segment_fixed_size 0
		.amdhsa_private_segment_fixed_size 0
		.amdhsa_kernarg_size 88
		.amdhsa_user_sgpr_count 6
		.amdhsa_user_sgpr_private_segment_buffer 1
		.amdhsa_user_sgpr_dispatch_ptr 0
		.amdhsa_user_sgpr_queue_ptr 0
		.amdhsa_user_sgpr_kernarg_segment_ptr 1
		.amdhsa_user_sgpr_dispatch_id 0
		.amdhsa_user_sgpr_flat_scratch_init 0
		.amdhsa_user_sgpr_kernarg_preload_length 0
		.amdhsa_user_sgpr_kernarg_preload_offset 0
		.amdhsa_user_sgpr_private_segment_size 0
		.amdhsa_uses_dynamic_stack 0
		.amdhsa_system_sgpr_private_segment_wavefront_offset 0
		.amdhsa_system_sgpr_workgroup_id_x 1
		.amdhsa_system_sgpr_workgroup_id_y 0
		.amdhsa_system_sgpr_workgroup_id_z 0
		.amdhsa_system_sgpr_workgroup_info 0
		.amdhsa_system_vgpr_workitem_id 0
		.amdhsa_next_free_vgpr 1
		.amdhsa_next_free_sgpr 0
		.amdhsa_accum_offset 4
		.amdhsa_reserve_vcc 0
		.amdhsa_reserve_flat_scratch 0
		.amdhsa_float_round_mode_32 0
		.amdhsa_float_round_mode_16_64 0
		.amdhsa_float_denorm_mode_32 3
		.amdhsa_float_denorm_mode_16_64 3
		.amdhsa_dx10_clamp 1
		.amdhsa_ieee_mode 1
		.amdhsa_fp16_overflow 0
		.amdhsa_tg_split 0
		.amdhsa_exception_fp_ieee_invalid_op 0
		.amdhsa_exception_fp_denorm_src 0
		.amdhsa_exception_fp_ieee_div_zero 0
		.amdhsa_exception_fp_ieee_overflow 0
		.amdhsa_exception_fp_ieee_underflow 0
		.amdhsa_exception_fp_ieee_inexact 0
		.amdhsa_exception_int_div_zero 0
	.end_amdhsa_kernel
	.section	.text._ZN7rocprim17ROCPRIM_400000_NS6detail17trampoline_kernelINS0_14default_configENS1_35radix_sort_onesweep_config_selectorIjNS0_10empty_typeEEEZZNS1_29radix_sort_onesweep_iterationIS3_Lb1EPjS8_PS5_S9_mNS0_19identity_decomposerENS1_16block_id_wrapperIjLb1EEEEE10hipError_tT1_PNSt15iterator_traitsISE_E10value_typeET2_T3_PNSF_ISK_E10value_typeET4_T5_PSP_SQ_PNS1_23onesweep_lookback_stateEbbT6_jjT7_P12ihipStream_tbENKUlT_T0_SE_SJ_E_clIS8_S8_S9_S9_EEDaSX_SY_SE_SJ_EUlSX_E_NS1_11comp_targetILNS1_3genE3ELNS1_11target_archE908ELNS1_3gpuE7ELNS1_3repE0EEENS1_47radix_sort_onesweep_sort_config_static_selectorELNS0_4arch9wavefront6targetE1EEEvSE_,"axG",@progbits,_ZN7rocprim17ROCPRIM_400000_NS6detail17trampoline_kernelINS0_14default_configENS1_35radix_sort_onesweep_config_selectorIjNS0_10empty_typeEEEZZNS1_29radix_sort_onesweep_iterationIS3_Lb1EPjS8_PS5_S9_mNS0_19identity_decomposerENS1_16block_id_wrapperIjLb1EEEEE10hipError_tT1_PNSt15iterator_traitsISE_E10value_typeET2_T3_PNSF_ISK_E10value_typeET4_T5_PSP_SQ_PNS1_23onesweep_lookback_stateEbbT6_jjT7_P12ihipStream_tbENKUlT_T0_SE_SJ_E_clIS8_S8_S9_S9_EEDaSX_SY_SE_SJ_EUlSX_E_NS1_11comp_targetILNS1_3genE3ELNS1_11target_archE908ELNS1_3gpuE7ELNS1_3repE0EEENS1_47radix_sort_onesweep_sort_config_static_selectorELNS0_4arch9wavefront6targetE1EEEvSE_,comdat
.Lfunc_end2110:
	.size	_ZN7rocprim17ROCPRIM_400000_NS6detail17trampoline_kernelINS0_14default_configENS1_35radix_sort_onesweep_config_selectorIjNS0_10empty_typeEEEZZNS1_29radix_sort_onesweep_iterationIS3_Lb1EPjS8_PS5_S9_mNS0_19identity_decomposerENS1_16block_id_wrapperIjLb1EEEEE10hipError_tT1_PNSt15iterator_traitsISE_E10value_typeET2_T3_PNSF_ISK_E10value_typeET4_T5_PSP_SQ_PNS1_23onesweep_lookback_stateEbbT6_jjT7_P12ihipStream_tbENKUlT_T0_SE_SJ_E_clIS8_S8_S9_S9_EEDaSX_SY_SE_SJ_EUlSX_E_NS1_11comp_targetILNS1_3genE3ELNS1_11target_archE908ELNS1_3gpuE7ELNS1_3repE0EEENS1_47radix_sort_onesweep_sort_config_static_selectorELNS0_4arch9wavefront6targetE1EEEvSE_, .Lfunc_end2110-_ZN7rocprim17ROCPRIM_400000_NS6detail17trampoline_kernelINS0_14default_configENS1_35radix_sort_onesweep_config_selectorIjNS0_10empty_typeEEEZZNS1_29radix_sort_onesweep_iterationIS3_Lb1EPjS8_PS5_S9_mNS0_19identity_decomposerENS1_16block_id_wrapperIjLb1EEEEE10hipError_tT1_PNSt15iterator_traitsISE_E10value_typeET2_T3_PNSF_ISK_E10value_typeET4_T5_PSP_SQ_PNS1_23onesweep_lookback_stateEbbT6_jjT7_P12ihipStream_tbENKUlT_T0_SE_SJ_E_clIS8_S8_S9_S9_EEDaSX_SY_SE_SJ_EUlSX_E_NS1_11comp_targetILNS1_3genE3ELNS1_11target_archE908ELNS1_3gpuE7ELNS1_3repE0EEENS1_47radix_sort_onesweep_sort_config_static_selectorELNS0_4arch9wavefront6targetE1EEEvSE_
                                        ; -- End function
	.section	.AMDGPU.csdata,"",@progbits
; Kernel info:
; codeLenInByte = 0
; NumSgprs: 4
; NumVgprs: 0
; NumAgprs: 0
; TotalNumVgprs: 0
; ScratchSize: 0
; MemoryBound: 0
; FloatMode: 240
; IeeeMode: 1
; LDSByteSize: 0 bytes/workgroup (compile time only)
; SGPRBlocks: 0
; VGPRBlocks: 0
; NumSGPRsForWavesPerEU: 4
; NumVGPRsForWavesPerEU: 1
; AccumOffset: 4
; Occupancy: 8
; WaveLimiterHint : 0
; COMPUTE_PGM_RSRC2:SCRATCH_EN: 0
; COMPUTE_PGM_RSRC2:USER_SGPR: 6
; COMPUTE_PGM_RSRC2:TRAP_HANDLER: 0
; COMPUTE_PGM_RSRC2:TGID_X_EN: 1
; COMPUTE_PGM_RSRC2:TGID_Y_EN: 0
; COMPUTE_PGM_RSRC2:TGID_Z_EN: 0
; COMPUTE_PGM_RSRC2:TIDIG_COMP_CNT: 0
; COMPUTE_PGM_RSRC3_GFX90A:ACCUM_OFFSET: 0
; COMPUTE_PGM_RSRC3_GFX90A:TG_SPLIT: 0
	.section	.text._ZN7rocprim17ROCPRIM_400000_NS6detail17trampoline_kernelINS0_14default_configENS1_35radix_sort_onesweep_config_selectorIjNS0_10empty_typeEEEZZNS1_29radix_sort_onesweep_iterationIS3_Lb1EPjS8_PS5_S9_mNS0_19identity_decomposerENS1_16block_id_wrapperIjLb1EEEEE10hipError_tT1_PNSt15iterator_traitsISE_E10value_typeET2_T3_PNSF_ISK_E10value_typeET4_T5_PSP_SQ_PNS1_23onesweep_lookback_stateEbbT6_jjT7_P12ihipStream_tbENKUlT_T0_SE_SJ_E_clIS8_S8_S9_S9_EEDaSX_SY_SE_SJ_EUlSX_E_NS1_11comp_targetILNS1_3genE10ELNS1_11target_archE1201ELNS1_3gpuE5ELNS1_3repE0EEENS1_47radix_sort_onesweep_sort_config_static_selectorELNS0_4arch9wavefront6targetE1EEEvSE_,"axG",@progbits,_ZN7rocprim17ROCPRIM_400000_NS6detail17trampoline_kernelINS0_14default_configENS1_35radix_sort_onesweep_config_selectorIjNS0_10empty_typeEEEZZNS1_29radix_sort_onesweep_iterationIS3_Lb1EPjS8_PS5_S9_mNS0_19identity_decomposerENS1_16block_id_wrapperIjLb1EEEEE10hipError_tT1_PNSt15iterator_traitsISE_E10value_typeET2_T3_PNSF_ISK_E10value_typeET4_T5_PSP_SQ_PNS1_23onesweep_lookback_stateEbbT6_jjT7_P12ihipStream_tbENKUlT_T0_SE_SJ_E_clIS8_S8_S9_S9_EEDaSX_SY_SE_SJ_EUlSX_E_NS1_11comp_targetILNS1_3genE10ELNS1_11target_archE1201ELNS1_3gpuE5ELNS1_3repE0EEENS1_47radix_sort_onesweep_sort_config_static_selectorELNS0_4arch9wavefront6targetE1EEEvSE_,comdat
	.protected	_ZN7rocprim17ROCPRIM_400000_NS6detail17trampoline_kernelINS0_14default_configENS1_35radix_sort_onesweep_config_selectorIjNS0_10empty_typeEEEZZNS1_29radix_sort_onesweep_iterationIS3_Lb1EPjS8_PS5_S9_mNS0_19identity_decomposerENS1_16block_id_wrapperIjLb1EEEEE10hipError_tT1_PNSt15iterator_traitsISE_E10value_typeET2_T3_PNSF_ISK_E10value_typeET4_T5_PSP_SQ_PNS1_23onesweep_lookback_stateEbbT6_jjT7_P12ihipStream_tbENKUlT_T0_SE_SJ_E_clIS8_S8_S9_S9_EEDaSX_SY_SE_SJ_EUlSX_E_NS1_11comp_targetILNS1_3genE10ELNS1_11target_archE1201ELNS1_3gpuE5ELNS1_3repE0EEENS1_47radix_sort_onesweep_sort_config_static_selectorELNS0_4arch9wavefront6targetE1EEEvSE_ ; -- Begin function _ZN7rocprim17ROCPRIM_400000_NS6detail17trampoline_kernelINS0_14default_configENS1_35radix_sort_onesweep_config_selectorIjNS0_10empty_typeEEEZZNS1_29radix_sort_onesweep_iterationIS3_Lb1EPjS8_PS5_S9_mNS0_19identity_decomposerENS1_16block_id_wrapperIjLb1EEEEE10hipError_tT1_PNSt15iterator_traitsISE_E10value_typeET2_T3_PNSF_ISK_E10value_typeET4_T5_PSP_SQ_PNS1_23onesweep_lookback_stateEbbT6_jjT7_P12ihipStream_tbENKUlT_T0_SE_SJ_E_clIS8_S8_S9_S9_EEDaSX_SY_SE_SJ_EUlSX_E_NS1_11comp_targetILNS1_3genE10ELNS1_11target_archE1201ELNS1_3gpuE5ELNS1_3repE0EEENS1_47radix_sort_onesweep_sort_config_static_selectorELNS0_4arch9wavefront6targetE1EEEvSE_
	.globl	_ZN7rocprim17ROCPRIM_400000_NS6detail17trampoline_kernelINS0_14default_configENS1_35radix_sort_onesweep_config_selectorIjNS0_10empty_typeEEEZZNS1_29radix_sort_onesweep_iterationIS3_Lb1EPjS8_PS5_S9_mNS0_19identity_decomposerENS1_16block_id_wrapperIjLb1EEEEE10hipError_tT1_PNSt15iterator_traitsISE_E10value_typeET2_T3_PNSF_ISK_E10value_typeET4_T5_PSP_SQ_PNS1_23onesweep_lookback_stateEbbT6_jjT7_P12ihipStream_tbENKUlT_T0_SE_SJ_E_clIS8_S8_S9_S9_EEDaSX_SY_SE_SJ_EUlSX_E_NS1_11comp_targetILNS1_3genE10ELNS1_11target_archE1201ELNS1_3gpuE5ELNS1_3repE0EEENS1_47radix_sort_onesweep_sort_config_static_selectorELNS0_4arch9wavefront6targetE1EEEvSE_
	.p2align	8
	.type	_ZN7rocprim17ROCPRIM_400000_NS6detail17trampoline_kernelINS0_14default_configENS1_35radix_sort_onesweep_config_selectorIjNS0_10empty_typeEEEZZNS1_29radix_sort_onesweep_iterationIS3_Lb1EPjS8_PS5_S9_mNS0_19identity_decomposerENS1_16block_id_wrapperIjLb1EEEEE10hipError_tT1_PNSt15iterator_traitsISE_E10value_typeET2_T3_PNSF_ISK_E10value_typeET4_T5_PSP_SQ_PNS1_23onesweep_lookback_stateEbbT6_jjT7_P12ihipStream_tbENKUlT_T0_SE_SJ_E_clIS8_S8_S9_S9_EEDaSX_SY_SE_SJ_EUlSX_E_NS1_11comp_targetILNS1_3genE10ELNS1_11target_archE1201ELNS1_3gpuE5ELNS1_3repE0EEENS1_47radix_sort_onesweep_sort_config_static_selectorELNS0_4arch9wavefront6targetE1EEEvSE_,@function
_ZN7rocprim17ROCPRIM_400000_NS6detail17trampoline_kernelINS0_14default_configENS1_35radix_sort_onesweep_config_selectorIjNS0_10empty_typeEEEZZNS1_29radix_sort_onesweep_iterationIS3_Lb1EPjS8_PS5_S9_mNS0_19identity_decomposerENS1_16block_id_wrapperIjLb1EEEEE10hipError_tT1_PNSt15iterator_traitsISE_E10value_typeET2_T3_PNSF_ISK_E10value_typeET4_T5_PSP_SQ_PNS1_23onesweep_lookback_stateEbbT6_jjT7_P12ihipStream_tbENKUlT_T0_SE_SJ_E_clIS8_S8_S9_S9_EEDaSX_SY_SE_SJ_EUlSX_E_NS1_11comp_targetILNS1_3genE10ELNS1_11target_archE1201ELNS1_3gpuE5ELNS1_3repE0EEENS1_47radix_sort_onesweep_sort_config_static_selectorELNS0_4arch9wavefront6targetE1EEEvSE_: ; @_ZN7rocprim17ROCPRIM_400000_NS6detail17trampoline_kernelINS0_14default_configENS1_35radix_sort_onesweep_config_selectorIjNS0_10empty_typeEEEZZNS1_29radix_sort_onesweep_iterationIS3_Lb1EPjS8_PS5_S9_mNS0_19identity_decomposerENS1_16block_id_wrapperIjLb1EEEEE10hipError_tT1_PNSt15iterator_traitsISE_E10value_typeET2_T3_PNSF_ISK_E10value_typeET4_T5_PSP_SQ_PNS1_23onesweep_lookback_stateEbbT6_jjT7_P12ihipStream_tbENKUlT_T0_SE_SJ_E_clIS8_S8_S9_S9_EEDaSX_SY_SE_SJ_EUlSX_E_NS1_11comp_targetILNS1_3genE10ELNS1_11target_archE1201ELNS1_3gpuE5ELNS1_3repE0EEENS1_47radix_sort_onesweep_sort_config_static_selectorELNS0_4arch9wavefront6targetE1EEEvSE_
; %bb.0:
	.section	.rodata,"a",@progbits
	.p2align	6, 0x0
	.amdhsa_kernel _ZN7rocprim17ROCPRIM_400000_NS6detail17trampoline_kernelINS0_14default_configENS1_35radix_sort_onesweep_config_selectorIjNS0_10empty_typeEEEZZNS1_29radix_sort_onesweep_iterationIS3_Lb1EPjS8_PS5_S9_mNS0_19identity_decomposerENS1_16block_id_wrapperIjLb1EEEEE10hipError_tT1_PNSt15iterator_traitsISE_E10value_typeET2_T3_PNSF_ISK_E10value_typeET4_T5_PSP_SQ_PNS1_23onesweep_lookback_stateEbbT6_jjT7_P12ihipStream_tbENKUlT_T0_SE_SJ_E_clIS8_S8_S9_S9_EEDaSX_SY_SE_SJ_EUlSX_E_NS1_11comp_targetILNS1_3genE10ELNS1_11target_archE1201ELNS1_3gpuE5ELNS1_3repE0EEENS1_47radix_sort_onesweep_sort_config_static_selectorELNS0_4arch9wavefront6targetE1EEEvSE_
		.amdhsa_group_segment_fixed_size 0
		.amdhsa_private_segment_fixed_size 0
		.amdhsa_kernarg_size 88
		.amdhsa_user_sgpr_count 6
		.amdhsa_user_sgpr_private_segment_buffer 1
		.amdhsa_user_sgpr_dispatch_ptr 0
		.amdhsa_user_sgpr_queue_ptr 0
		.amdhsa_user_sgpr_kernarg_segment_ptr 1
		.amdhsa_user_sgpr_dispatch_id 0
		.amdhsa_user_sgpr_flat_scratch_init 0
		.amdhsa_user_sgpr_kernarg_preload_length 0
		.amdhsa_user_sgpr_kernarg_preload_offset 0
		.amdhsa_user_sgpr_private_segment_size 0
		.amdhsa_uses_dynamic_stack 0
		.amdhsa_system_sgpr_private_segment_wavefront_offset 0
		.amdhsa_system_sgpr_workgroup_id_x 1
		.amdhsa_system_sgpr_workgroup_id_y 0
		.amdhsa_system_sgpr_workgroup_id_z 0
		.amdhsa_system_sgpr_workgroup_info 0
		.amdhsa_system_vgpr_workitem_id 0
		.amdhsa_next_free_vgpr 1
		.amdhsa_next_free_sgpr 0
		.amdhsa_accum_offset 4
		.amdhsa_reserve_vcc 0
		.amdhsa_reserve_flat_scratch 0
		.amdhsa_float_round_mode_32 0
		.amdhsa_float_round_mode_16_64 0
		.amdhsa_float_denorm_mode_32 3
		.amdhsa_float_denorm_mode_16_64 3
		.amdhsa_dx10_clamp 1
		.amdhsa_ieee_mode 1
		.amdhsa_fp16_overflow 0
		.amdhsa_tg_split 0
		.amdhsa_exception_fp_ieee_invalid_op 0
		.amdhsa_exception_fp_denorm_src 0
		.amdhsa_exception_fp_ieee_div_zero 0
		.amdhsa_exception_fp_ieee_overflow 0
		.amdhsa_exception_fp_ieee_underflow 0
		.amdhsa_exception_fp_ieee_inexact 0
		.amdhsa_exception_int_div_zero 0
	.end_amdhsa_kernel
	.section	.text._ZN7rocprim17ROCPRIM_400000_NS6detail17trampoline_kernelINS0_14default_configENS1_35radix_sort_onesweep_config_selectorIjNS0_10empty_typeEEEZZNS1_29radix_sort_onesweep_iterationIS3_Lb1EPjS8_PS5_S9_mNS0_19identity_decomposerENS1_16block_id_wrapperIjLb1EEEEE10hipError_tT1_PNSt15iterator_traitsISE_E10value_typeET2_T3_PNSF_ISK_E10value_typeET4_T5_PSP_SQ_PNS1_23onesweep_lookback_stateEbbT6_jjT7_P12ihipStream_tbENKUlT_T0_SE_SJ_E_clIS8_S8_S9_S9_EEDaSX_SY_SE_SJ_EUlSX_E_NS1_11comp_targetILNS1_3genE10ELNS1_11target_archE1201ELNS1_3gpuE5ELNS1_3repE0EEENS1_47radix_sort_onesweep_sort_config_static_selectorELNS0_4arch9wavefront6targetE1EEEvSE_,"axG",@progbits,_ZN7rocprim17ROCPRIM_400000_NS6detail17trampoline_kernelINS0_14default_configENS1_35radix_sort_onesweep_config_selectorIjNS0_10empty_typeEEEZZNS1_29radix_sort_onesweep_iterationIS3_Lb1EPjS8_PS5_S9_mNS0_19identity_decomposerENS1_16block_id_wrapperIjLb1EEEEE10hipError_tT1_PNSt15iterator_traitsISE_E10value_typeET2_T3_PNSF_ISK_E10value_typeET4_T5_PSP_SQ_PNS1_23onesweep_lookback_stateEbbT6_jjT7_P12ihipStream_tbENKUlT_T0_SE_SJ_E_clIS8_S8_S9_S9_EEDaSX_SY_SE_SJ_EUlSX_E_NS1_11comp_targetILNS1_3genE10ELNS1_11target_archE1201ELNS1_3gpuE5ELNS1_3repE0EEENS1_47radix_sort_onesweep_sort_config_static_selectorELNS0_4arch9wavefront6targetE1EEEvSE_,comdat
.Lfunc_end2111:
	.size	_ZN7rocprim17ROCPRIM_400000_NS6detail17trampoline_kernelINS0_14default_configENS1_35radix_sort_onesweep_config_selectorIjNS0_10empty_typeEEEZZNS1_29radix_sort_onesweep_iterationIS3_Lb1EPjS8_PS5_S9_mNS0_19identity_decomposerENS1_16block_id_wrapperIjLb1EEEEE10hipError_tT1_PNSt15iterator_traitsISE_E10value_typeET2_T3_PNSF_ISK_E10value_typeET4_T5_PSP_SQ_PNS1_23onesweep_lookback_stateEbbT6_jjT7_P12ihipStream_tbENKUlT_T0_SE_SJ_E_clIS8_S8_S9_S9_EEDaSX_SY_SE_SJ_EUlSX_E_NS1_11comp_targetILNS1_3genE10ELNS1_11target_archE1201ELNS1_3gpuE5ELNS1_3repE0EEENS1_47radix_sort_onesweep_sort_config_static_selectorELNS0_4arch9wavefront6targetE1EEEvSE_, .Lfunc_end2111-_ZN7rocprim17ROCPRIM_400000_NS6detail17trampoline_kernelINS0_14default_configENS1_35radix_sort_onesweep_config_selectorIjNS0_10empty_typeEEEZZNS1_29radix_sort_onesweep_iterationIS3_Lb1EPjS8_PS5_S9_mNS0_19identity_decomposerENS1_16block_id_wrapperIjLb1EEEEE10hipError_tT1_PNSt15iterator_traitsISE_E10value_typeET2_T3_PNSF_ISK_E10value_typeET4_T5_PSP_SQ_PNS1_23onesweep_lookback_stateEbbT6_jjT7_P12ihipStream_tbENKUlT_T0_SE_SJ_E_clIS8_S8_S9_S9_EEDaSX_SY_SE_SJ_EUlSX_E_NS1_11comp_targetILNS1_3genE10ELNS1_11target_archE1201ELNS1_3gpuE5ELNS1_3repE0EEENS1_47radix_sort_onesweep_sort_config_static_selectorELNS0_4arch9wavefront6targetE1EEEvSE_
                                        ; -- End function
	.section	.AMDGPU.csdata,"",@progbits
; Kernel info:
; codeLenInByte = 0
; NumSgprs: 4
; NumVgprs: 0
; NumAgprs: 0
; TotalNumVgprs: 0
; ScratchSize: 0
; MemoryBound: 0
; FloatMode: 240
; IeeeMode: 1
; LDSByteSize: 0 bytes/workgroup (compile time only)
; SGPRBlocks: 0
; VGPRBlocks: 0
; NumSGPRsForWavesPerEU: 4
; NumVGPRsForWavesPerEU: 1
; AccumOffset: 4
; Occupancy: 8
; WaveLimiterHint : 0
; COMPUTE_PGM_RSRC2:SCRATCH_EN: 0
; COMPUTE_PGM_RSRC2:USER_SGPR: 6
; COMPUTE_PGM_RSRC2:TRAP_HANDLER: 0
; COMPUTE_PGM_RSRC2:TGID_X_EN: 1
; COMPUTE_PGM_RSRC2:TGID_Y_EN: 0
; COMPUTE_PGM_RSRC2:TGID_Z_EN: 0
; COMPUTE_PGM_RSRC2:TIDIG_COMP_CNT: 0
; COMPUTE_PGM_RSRC3_GFX90A:ACCUM_OFFSET: 0
; COMPUTE_PGM_RSRC3_GFX90A:TG_SPLIT: 0
	.section	.text._ZN7rocprim17ROCPRIM_400000_NS6detail17trampoline_kernelINS0_14default_configENS1_35radix_sort_onesweep_config_selectorIjNS0_10empty_typeEEEZZNS1_29radix_sort_onesweep_iterationIS3_Lb1EPjS8_PS5_S9_mNS0_19identity_decomposerENS1_16block_id_wrapperIjLb1EEEEE10hipError_tT1_PNSt15iterator_traitsISE_E10value_typeET2_T3_PNSF_ISK_E10value_typeET4_T5_PSP_SQ_PNS1_23onesweep_lookback_stateEbbT6_jjT7_P12ihipStream_tbENKUlT_T0_SE_SJ_E_clIS8_S8_S9_S9_EEDaSX_SY_SE_SJ_EUlSX_E_NS1_11comp_targetILNS1_3genE9ELNS1_11target_archE1100ELNS1_3gpuE3ELNS1_3repE0EEENS1_47radix_sort_onesweep_sort_config_static_selectorELNS0_4arch9wavefront6targetE1EEEvSE_,"axG",@progbits,_ZN7rocprim17ROCPRIM_400000_NS6detail17trampoline_kernelINS0_14default_configENS1_35radix_sort_onesweep_config_selectorIjNS0_10empty_typeEEEZZNS1_29radix_sort_onesweep_iterationIS3_Lb1EPjS8_PS5_S9_mNS0_19identity_decomposerENS1_16block_id_wrapperIjLb1EEEEE10hipError_tT1_PNSt15iterator_traitsISE_E10value_typeET2_T3_PNSF_ISK_E10value_typeET4_T5_PSP_SQ_PNS1_23onesweep_lookback_stateEbbT6_jjT7_P12ihipStream_tbENKUlT_T0_SE_SJ_E_clIS8_S8_S9_S9_EEDaSX_SY_SE_SJ_EUlSX_E_NS1_11comp_targetILNS1_3genE9ELNS1_11target_archE1100ELNS1_3gpuE3ELNS1_3repE0EEENS1_47radix_sort_onesweep_sort_config_static_selectorELNS0_4arch9wavefront6targetE1EEEvSE_,comdat
	.protected	_ZN7rocprim17ROCPRIM_400000_NS6detail17trampoline_kernelINS0_14default_configENS1_35radix_sort_onesweep_config_selectorIjNS0_10empty_typeEEEZZNS1_29radix_sort_onesweep_iterationIS3_Lb1EPjS8_PS5_S9_mNS0_19identity_decomposerENS1_16block_id_wrapperIjLb1EEEEE10hipError_tT1_PNSt15iterator_traitsISE_E10value_typeET2_T3_PNSF_ISK_E10value_typeET4_T5_PSP_SQ_PNS1_23onesweep_lookback_stateEbbT6_jjT7_P12ihipStream_tbENKUlT_T0_SE_SJ_E_clIS8_S8_S9_S9_EEDaSX_SY_SE_SJ_EUlSX_E_NS1_11comp_targetILNS1_3genE9ELNS1_11target_archE1100ELNS1_3gpuE3ELNS1_3repE0EEENS1_47radix_sort_onesweep_sort_config_static_selectorELNS0_4arch9wavefront6targetE1EEEvSE_ ; -- Begin function _ZN7rocprim17ROCPRIM_400000_NS6detail17trampoline_kernelINS0_14default_configENS1_35radix_sort_onesweep_config_selectorIjNS0_10empty_typeEEEZZNS1_29radix_sort_onesweep_iterationIS3_Lb1EPjS8_PS5_S9_mNS0_19identity_decomposerENS1_16block_id_wrapperIjLb1EEEEE10hipError_tT1_PNSt15iterator_traitsISE_E10value_typeET2_T3_PNSF_ISK_E10value_typeET4_T5_PSP_SQ_PNS1_23onesweep_lookback_stateEbbT6_jjT7_P12ihipStream_tbENKUlT_T0_SE_SJ_E_clIS8_S8_S9_S9_EEDaSX_SY_SE_SJ_EUlSX_E_NS1_11comp_targetILNS1_3genE9ELNS1_11target_archE1100ELNS1_3gpuE3ELNS1_3repE0EEENS1_47radix_sort_onesweep_sort_config_static_selectorELNS0_4arch9wavefront6targetE1EEEvSE_
	.globl	_ZN7rocprim17ROCPRIM_400000_NS6detail17trampoline_kernelINS0_14default_configENS1_35radix_sort_onesweep_config_selectorIjNS0_10empty_typeEEEZZNS1_29radix_sort_onesweep_iterationIS3_Lb1EPjS8_PS5_S9_mNS0_19identity_decomposerENS1_16block_id_wrapperIjLb1EEEEE10hipError_tT1_PNSt15iterator_traitsISE_E10value_typeET2_T3_PNSF_ISK_E10value_typeET4_T5_PSP_SQ_PNS1_23onesweep_lookback_stateEbbT6_jjT7_P12ihipStream_tbENKUlT_T0_SE_SJ_E_clIS8_S8_S9_S9_EEDaSX_SY_SE_SJ_EUlSX_E_NS1_11comp_targetILNS1_3genE9ELNS1_11target_archE1100ELNS1_3gpuE3ELNS1_3repE0EEENS1_47radix_sort_onesweep_sort_config_static_selectorELNS0_4arch9wavefront6targetE1EEEvSE_
	.p2align	8
	.type	_ZN7rocprim17ROCPRIM_400000_NS6detail17trampoline_kernelINS0_14default_configENS1_35radix_sort_onesweep_config_selectorIjNS0_10empty_typeEEEZZNS1_29radix_sort_onesweep_iterationIS3_Lb1EPjS8_PS5_S9_mNS0_19identity_decomposerENS1_16block_id_wrapperIjLb1EEEEE10hipError_tT1_PNSt15iterator_traitsISE_E10value_typeET2_T3_PNSF_ISK_E10value_typeET4_T5_PSP_SQ_PNS1_23onesweep_lookback_stateEbbT6_jjT7_P12ihipStream_tbENKUlT_T0_SE_SJ_E_clIS8_S8_S9_S9_EEDaSX_SY_SE_SJ_EUlSX_E_NS1_11comp_targetILNS1_3genE9ELNS1_11target_archE1100ELNS1_3gpuE3ELNS1_3repE0EEENS1_47radix_sort_onesweep_sort_config_static_selectorELNS0_4arch9wavefront6targetE1EEEvSE_,@function
_ZN7rocprim17ROCPRIM_400000_NS6detail17trampoline_kernelINS0_14default_configENS1_35radix_sort_onesweep_config_selectorIjNS0_10empty_typeEEEZZNS1_29radix_sort_onesweep_iterationIS3_Lb1EPjS8_PS5_S9_mNS0_19identity_decomposerENS1_16block_id_wrapperIjLb1EEEEE10hipError_tT1_PNSt15iterator_traitsISE_E10value_typeET2_T3_PNSF_ISK_E10value_typeET4_T5_PSP_SQ_PNS1_23onesweep_lookback_stateEbbT6_jjT7_P12ihipStream_tbENKUlT_T0_SE_SJ_E_clIS8_S8_S9_S9_EEDaSX_SY_SE_SJ_EUlSX_E_NS1_11comp_targetILNS1_3genE9ELNS1_11target_archE1100ELNS1_3gpuE3ELNS1_3repE0EEENS1_47radix_sort_onesweep_sort_config_static_selectorELNS0_4arch9wavefront6targetE1EEEvSE_: ; @_ZN7rocprim17ROCPRIM_400000_NS6detail17trampoline_kernelINS0_14default_configENS1_35radix_sort_onesweep_config_selectorIjNS0_10empty_typeEEEZZNS1_29radix_sort_onesweep_iterationIS3_Lb1EPjS8_PS5_S9_mNS0_19identity_decomposerENS1_16block_id_wrapperIjLb1EEEEE10hipError_tT1_PNSt15iterator_traitsISE_E10value_typeET2_T3_PNSF_ISK_E10value_typeET4_T5_PSP_SQ_PNS1_23onesweep_lookback_stateEbbT6_jjT7_P12ihipStream_tbENKUlT_T0_SE_SJ_E_clIS8_S8_S9_S9_EEDaSX_SY_SE_SJ_EUlSX_E_NS1_11comp_targetILNS1_3genE9ELNS1_11target_archE1100ELNS1_3gpuE3ELNS1_3repE0EEENS1_47radix_sort_onesweep_sort_config_static_selectorELNS0_4arch9wavefront6targetE1EEEvSE_
; %bb.0:
	.section	.rodata,"a",@progbits
	.p2align	6, 0x0
	.amdhsa_kernel _ZN7rocprim17ROCPRIM_400000_NS6detail17trampoline_kernelINS0_14default_configENS1_35radix_sort_onesweep_config_selectorIjNS0_10empty_typeEEEZZNS1_29radix_sort_onesweep_iterationIS3_Lb1EPjS8_PS5_S9_mNS0_19identity_decomposerENS1_16block_id_wrapperIjLb1EEEEE10hipError_tT1_PNSt15iterator_traitsISE_E10value_typeET2_T3_PNSF_ISK_E10value_typeET4_T5_PSP_SQ_PNS1_23onesweep_lookback_stateEbbT6_jjT7_P12ihipStream_tbENKUlT_T0_SE_SJ_E_clIS8_S8_S9_S9_EEDaSX_SY_SE_SJ_EUlSX_E_NS1_11comp_targetILNS1_3genE9ELNS1_11target_archE1100ELNS1_3gpuE3ELNS1_3repE0EEENS1_47radix_sort_onesweep_sort_config_static_selectorELNS0_4arch9wavefront6targetE1EEEvSE_
		.amdhsa_group_segment_fixed_size 0
		.amdhsa_private_segment_fixed_size 0
		.amdhsa_kernarg_size 88
		.amdhsa_user_sgpr_count 6
		.amdhsa_user_sgpr_private_segment_buffer 1
		.amdhsa_user_sgpr_dispatch_ptr 0
		.amdhsa_user_sgpr_queue_ptr 0
		.amdhsa_user_sgpr_kernarg_segment_ptr 1
		.amdhsa_user_sgpr_dispatch_id 0
		.amdhsa_user_sgpr_flat_scratch_init 0
		.amdhsa_user_sgpr_kernarg_preload_length 0
		.amdhsa_user_sgpr_kernarg_preload_offset 0
		.amdhsa_user_sgpr_private_segment_size 0
		.amdhsa_uses_dynamic_stack 0
		.amdhsa_system_sgpr_private_segment_wavefront_offset 0
		.amdhsa_system_sgpr_workgroup_id_x 1
		.amdhsa_system_sgpr_workgroup_id_y 0
		.amdhsa_system_sgpr_workgroup_id_z 0
		.amdhsa_system_sgpr_workgroup_info 0
		.amdhsa_system_vgpr_workitem_id 0
		.amdhsa_next_free_vgpr 1
		.amdhsa_next_free_sgpr 0
		.amdhsa_accum_offset 4
		.amdhsa_reserve_vcc 0
		.amdhsa_reserve_flat_scratch 0
		.amdhsa_float_round_mode_32 0
		.amdhsa_float_round_mode_16_64 0
		.amdhsa_float_denorm_mode_32 3
		.amdhsa_float_denorm_mode_16_64 3
		.amdhsa_dx10_clamp 1
		.amdhsa_ieee_mode 1
		.amdhsa_fp16_overflow 0
		.amdhsa_tg_split 0
		.amdhsa_exception_fp_ieee_invalid_op 0
		.amdhsa_exception_fp_denorm_src 0
		.amdhsa_exception_fp_ieee_div_zero 0
		.amdhsa_exception_fp_ieee_overflow 0
		.amdhsa_exception_fp_ieee_underflow 0
		.amdhsa_exception_fp_ieee_inexact 0
		.amdhsa_exception_int_div_zero 0
	.end_amdhsa_kernel
	.section	.text._ZN7rocprim17ROCPRIM_400000_NS6detail17trampoline_kernelINS0_14default_configENS1_35radix_sort_onesweep_config_selectorIjNS0_10empty_typeEEEZZNS1_29radix_sort_onesweep_iterationIS3_Lb1EPjS8_PS5_S9_mNS0_19identity_decomposerENS1_16block_id_wrapperIjLb1EEEEE10hipError_tT1_PNSt15iterator_traitsISE_E10value_typeET2_T3_PNSF_ISK_E10value_typeET4_T5_PSP_SQ_PNS1_23onesweep_lookback_stateEbbT6_jjT7_P12ihipStream_tbENKUlT_T0_SE_SJ_E_clIS8_S8_S9_S9_EEDaSX_SY_SE_SJ_EUlSX_E_NS1_11comp_targetILNS1_3genE9ELNS1_11target_archE1100ELNS1_3gpuE3ELNS1_3repE0EEENS1_47radix_sort_onesweep_sort_config_static_selectorELNS0_4arch9wavefront6targetE1EEEvSE_,"axG",@progbits,_ZN7rocprim17ROCPRIM_400000_NS6detail17trampoline_kernelINS0_14default_configENS1_35radix_sort_onesweep_config_selectorIjNS0_10empty_typeEEEZZNS1_29radix_sort_onesweep_iterationIS3_Lb1EPjS8_PS5_S9_mNS0_19identity_decomposerENS1_16block_id_wrapperIjLb1EEEEE10hipError_tT1_PNSt15iterator_traitsISE_E10value_typeET2_T3_PNSF_ISK_E10value_typeET4_T5_PSP_SQ_PNS1_23onesweep_lookback_stateEbbT6_jjT7_P12ihipStream_tbENKUlT_T0_SE_SJ_E_clIS8_S8_S9_S9_EEDaSX_SY_SE_SJ_EUlSX_E_NS1_11comp_targetILNS1_3genE9ELNS1_11target_archE1100ELNS1_3gpuE3ELNS1_3repE0EEENS1_47radix_sort_onesweep_sort_config_static_selectorELNS0_4arch9wavefront6targetE1EEEvSE_,comdat
.Lfunc_end2112:
	.size	_ZN7rocprim17ROCPRIM_400000_NS6detail17trampoline_kernelINS0_14default_configENS1_35radix_sort_onesweep_config_selectorIjNS0_10empty_typeEEEZZNS1_29radix_sort_onesweep_iterationIS3_Lb1EPjS8_PS5_S9_mNS0_19identity_decomposerENS1_16block_id_wrapperIjLb1EEEEE10hipError_tT1_PNSt15iterator_traitsISE_E10value_typeET2_T3_PNSF_ISK_E10value_typeET4_T5_PSP_SQ_PNS1_23onesweep_lookback_stateEbbT6_jjT7_P12ihipStream_tbENKUlT_T0_SE_SJ_E_clIS8_S8_S9_S9_EEDaSX_SY_SE_SJ_EUlSX_E_NS1_11comp_targetILNS1_3genE9ELNS1_11target_archE1100ELNS1_3gpuE3ELNS1_3repE0EEENS1_47radix_sort_onesweep_sort_config_static_selectorELNS0_4arch9wavefront6targetE1EEEvSE_, .Lfunc_end2112-_ZN7rocprim17ROCPRIM_400000_NS6detail17trampoline_kernelINS0_14default_configENS1_35radix_sort_onesweep_config_selectorIjNS0_10empty_typeEEEZZNS1_29radix_sort_onesweep_iterationIS3_Lb1EPjS8_PS5_S9_mNS0_19identity_decomposerENS1_16block_id_wrapperIjLb1EEEEE10hipError_tT1_PNSt15iterator_traitsISE_E10value_typeET2_T3_PNSF_ISK_E10value_typeET4_T5_PSP_SQ_PNS1_23onesweep_lookback_stateEbbT6_jjT7_P12ihipStream_tbENKUlT_T0_SE_SJ_E_clIS8_S8_S9_S9_EEDaSX_SY_SE_SJ_EUlSX_E_NS1_11comp_targetILNS1_3genE9ELNS1_11target_archE1100ELNS1_3gpuE3ELNS1_3repE0EEENS1_47radix_sort_onesweep_sort_config_static_selectorELNS0_4arch9wavefront6targetE1EEEvSE_
                                        ; -- End function
	.section	.AMDGPU.csdata,"",@progbits
; Kernel info:
; codeLenInByte = 0
; NumSgprs: 4
; NumVgprs: 0
; NumAgprs: 0
; TotalNumVgprs: 0
; ScratchSize: 0
; MemoryBound: 0
; FloatMode: 240
; IeeeMode: 1
; LDSByteSize: 0 bytes/workgroup (compile time only)
; SGPRBlocks: 0
; VGPRBlocks: 0
; NumSGPRsForWavesPerEU: 4
; NumVGPRsForWavesPerEU: 1
; AccumOffset: 4
; Occupancy: 8
; WaveLimiterHint : 0
; COMPUTE_PGM_RSRC2:SCRATCH_EN: 0
; COMPUTE_PGM_RSRC2:USER_SGPR: 6
; COMPUTE_PGM_RSRC2:TRAP_HANDLER: 0
; COMPUTE_PGM_RSRC2:TGID_X_EN: 1
; COMPUTE_PGM_RSRC2:TGID_Y_EN: 0
; COMPUTE_PGM_RSRC2:TGID_Z_EN: 0
; COMPUTE_PGM_RSRC2:TIDIG_COMP_CNT: 0
; COMPUTE_PGM_RSRC3_GFX90A:ACCUM_OFFSET: 0
; COMPUTE_PGM_RSRC3_GFX90A:TG_SPLIT: 0
	.section	.text._ZN7rocprim17ROCPRIM_400000_NS6detail17trampoline_kernelINS0_14default_configENS1_35radix_sort_onesweep_config_selectorIjNS0_10empty_typeEEEZZNS1_29radix_sort_onesweep_iterationIS3_Lb1EPjS8_PS5_S9_mNS0_19identity_decomposerENS1_16block_id_wrapperIjLb1EEEEE10hipError_tT1_PNSt15iterator_traitsISE_E10value_typeET2_T3_PNSF_ISK_E10value_typeET4_T5_PSP_SQ_PNS1_23onesweep_lookback_stateEbbT6_jjT7_P12ihipStream_tbENKUlT_T0_SE_SJ_E_clIS8_S8_S9_S9_EEDaSX_SY_SE_SJ_EUlSX_E_NS1_11comp_targetILNS1_3genE8ELNS1_11target_archE1030ELNS1_3gpuE2ELNS1_3repE0EEENS1_47radix_sort_onesweep_sort_config_static_selectorELNS0_4arch9wavefront6targetE1EEEvSE_,"axG",@progbits,_ZN7rocprim17ROCPRIM_400000_NS6detail17trampoline_kernelINS0_14default_configENS1_35radix_sort_onesweep_config_selectorIjNS0_10empty_typeEEEZZNS1_29radix_sort_onesweep_iterationIS3_Lb1EPjS8_PS5_S9_mNS0_19identity_decomposerENS1_16block_id_wrapperIjLb1EEEEE10hipError_tT1_PNSt15iterator_traitsISE_E10value_typeET2_T3_PNSF_ISK_E10value_typeET4_T5_PSP_SQ_PNS1_23onesweep_lookback_stateEbbT6_jjT7_P12ihipStream_tbENKUlT_T0_SE_SJ_E_clIS8_S8_S9_S9_EEDaSX_SY_SE_SJ_EUlSX_E_NS1_11comp_targetILNS1_3genE8ELNS1_11target_archE1030ELNS1_3gpuE2ELNS1_3repE0EEENS1_47radix_sort_onesweep_sort_config_static_selectorELNS0_4arch9wavefront6targetE1EEEvSE_,comdat
	.protected	_ZN7rocprim17ROCPRIM_400000_NS6detail17trampoline_kernelINS0_14default_configENS1_35radix_sort_onesweep_config_selectorIjNS0_10empty_typeEEEZZNS1_29radix_sort_onesweep_iterationIS3_Lb1EPjS8_PS5_S9_mNS0_19identity_decomposerENS1_16block_id_wrapperIjLb1EEEEE10hipError_tT1_PNSt15iterator_traitsISE_E10value_typeET2_T3_PNSF_ISK_E10value_typeET4_T5_PSP_SQ_PNS1_23onesweep_lookback_stateEbbT6_jjT7_P12ihipStream_tbENKUlT_T0_SE_SJ_E_clIS8_S8_S9_S9_EEDaSX_SY_SE_SJ_EUlSX_E_NS1_11comp_targetILNS1_3genE8ELNS1_11target_archE1030ELNS1_3gpuE2ELNS1_3repE0EEENS1_47radix_sort_onesweep_sort_config_static_selectorELNS0_4arch9wavefront6targetE1EEEvSE_ ; -- Begin function _ZN7rocprim17ROCPRIM_400000_NS6detail17trampoline_kernelINS0_14default_configENS1_35radix_sort_onesweep_config_selectorIjNS0_10empty_typeEEEZZNS1_29radix_sort_onesweep_iterationIS3_Lb1EPjS8_PS5_S9_mNS0_19identity_decomposerENS1_16block_id_wrapperIjLb1EEEEE10hipError_tT1_PNSt15iterator_traitsISE_E10value_typeET2_T3_PNSF_ISK_E10value_typeET4_T5_PSP_SQ_PNS1_23onesweep_lookback_stateEbbT6_jjT7_P12ihipStream_tbENKUlT_T0_SE_SJ_E_clIS8_S8_S9_S9_EEDaSX_SY_SE_SJ_EUlSX_E_NS1_11comp_targetILNS1_3genE8ELNS1_11target_archE1030ELNS1_3gpuE2ELNS1_3repE0EEENS1_47radix_sort_onesweep_sort_config_static_selectorELNS0_4arch9wavefront6targetE1EEEvSE_
	.globl	_ZN7rocprim17ROCPRIM_400000_NS6detail17trampoline_kernelINS0_14default_configENS1_35radix_sort_onesweep_config_selectorIjNS0_10empty_typeEEEZZNS1_29radix_sort_onesweep_iterationIS3_Lb1EPjS8_PS5_S9_mNS0_19identity_decomposerENS1_16block_id_wrapperIjLb1EEEEE10hipError_tT1_PNSt15iterator_traitsISE_E10value_typeET2_T3_PNSF_ISK_E10value_typeET4_T5_PSP_SQ_PNS1_23onesweep_lookback_stateEbbT6_jjT7_P12ihipStream_tbENKUlT_T0_SE_SJ_E_clIS8_S8_S9_S9_EEDaSX_SY_SE_SJ_EUlSX_E_NS1_11comp_targetILNS1_3genE8ELNS1_11target_archE1030ELNS1_3gpuE2ELNS1_3repE0EEENS1_47radix_sort_onesweep_sort_config_static_selectorELNS0_4arch9wavefront6targetE1EEEvSE_
	.p2align	8
	.type	_ZN7rocprim17ROCPRIM_400000_NS6detail17trampoline_kernelINS0_14default_configENS1_35radix_sort_onesweep_config_selectorIjNS0_10empty_typeEEEZZNS1_29radix_sort_onesweep_iterationIS3_Lb1EPjS8_PS5_S9_mNS0_19identity_decomposerENS1_16block_id_wrapperIjLb1EEEEE10hipError_tT1_PNSt15iterator_traitsISE_E10value_typeET2_T3_PNSF_ISK_E10value_typeET4_T5_PSP_SQ_PNS1_23onesweep_lookback_stateEbbT6_jjT7_P12ihipStream_tbENKUlT_T0_SE_SJ_E_clIS8_S8_S9_S9_EEDaSX_SY_SE_SJ_EUlSX_E_NS1_11comp_targetILNS1_3genE8ELNS1_11target_archE1030ELNS1_3gpuE2ELNS1_3repE0EEENS1_47radix_sort_onesweep_sort_config_static_selectorELNS0_4arch9wavefront6targetE1EEEvSE_,@function
_ZN7rocprim17ROCPRIM_400000_NS6detail17trampoline_kernelINS0_14default_configENS1_35radix_sort_onesweep_config_selectorIjNS0_10empty_typeEEEZZNS1_29radix_sort_onesweep_iterationIS3_Lb1EPjS8_PS5_S9_mNS0_19identity_decomposerENS1_16block_id_wrapperIjLb1EEEEE10hipError_tT1_PNSt15iterator_traitsISE_E10value_typeET2_T3_PNSF_ISK_E10value_typeET4_T5_PSP_SQ_PNS1_23onesweep_lookback_stateEbbT6_jjT7_P12ihipStream_tbENKUlT_T0_SE_SJ_E_clIS8_S8_S9_S9_EEDaSX_SY_SE_SJ_EUlSX_E_NS1_11comp_targetILNS1_3genE8ELNS1_11target_archE1030ELNS1_3gpuE2ELNS1_3repE0EEENS1_47radix_sort_onesweep_sort_config_static_selectorELNS0_4arch9wavefront6targetE1EEEvSE_: ; @_ZN7rocprim17ROCPRIM_400000_NS6detail17trampoline_kernelINS0_14default_configENS1_35radix_sort_onesweep_config_selectorIjNS0_10empty_typeEEEZZNS1_29radix_sort_onesweep_iterationIS3_Lb1EPjS8_PS5_S9_mNS0_19identity_decomposerENS1_16block_id_wrapperIjLb1EEEEE10hipError_tT1_PNSt15iterator_traitsISE_E10value_typeET2_T3_PNSF_ISK_E10value_typeET4_T5_PSP_SQ_PNS1_23onesweep_lookback_stateEbbT6_jjT7_P12ihipStream_tbENKUlT_T0_SE_SJ_E_clIS8_S8_S9_S9_EEDaSX_SY_SE_SJ_EUlSX_E_NS1_11comp_targetILNS1_3genE8ELNS1_11target_archE1030ELNS1_3gpuE2ELNS1_3repE0EEENS1_47radix_sort_onesweep_sort_config_static_selectorELNS0_4arch9wavefront6targetE1EEEvSE_
; %bb.0:
	.section	.rodata,"a",@progbits
	.p2align	6, 0x0
	.amdhsa_kernel _ZN7rocprim17ROCPRIM_400000_NS6detail17trampoline_kernelINS0_14default_configENS1_35radix_sort_onesweep_config_selectorIjNS0_10empty_typeEEEZZNS1_29radix_sort_onesweep_iterationIS3_Lb1EPjS8_PS5_S9_mNS0_19identity_decomposerENS1_16block_id_wrapperIjLb1EEEEE10hipError_tT1_PNSt15iterator_traitsISE_E10value_typeET2_T3_PNSF_ISK_E10value_typeET4_T5_PSP_SQ_PNS1_23onesweep_lookback_stateEbbT6_jjT7_P12ihipStream_tbENKUlT_T0_SE_SJ_E_clIS8_S8_S9_S9_EEDaSX_SY_SE_SJ_EUlSX_E_NS1_11comp_targetILNS1_3genE8ELNS1_11target_archE1030ELNS1_3gpuE2ELNS1_3repE0EEENS1_47radix_sort_onesweep_sort_config_static_selectorELNS0_4arch9wavefront6targetE1EEEvSE_
		.amdhsa_group_segment_fixed_size 0
		.amdhsa_private_segment_fixed_size 0
		.amdhsa_kernarg_size 88
		.amdhsa_user_sgpr_count 6
		.amdhsa_user_sgpr_private_segment_buffer 1
		.amdhsa_user_sgpr_dispatch_ptr 0
		.amdhsa_user_sgpr_queue_ptr 0
		.amdhsa_user_sgpr_kernarg_segment_ptr 1
		.amdhsa_user_sgpr_dispatch_id 0
		.amdhsa_user_sgpr_flat_scratch_init 0
		.amdhsa_user_sgpr_kernarg_preload_length 0
		.amdhsa_user_sgpr_kernarg_preload_offset 0
		.amdhsa_user_sgpr_private_segment_size 0
		.amdhsa_uses_dynamic_stack 0
		.amdhsa_system_sgpr_private_segment_wavefront_offset 0
		.amdhsa_system_sgpr_workgroup_id_x 1
		.amdhsa_system_sgpr_workgroup_id_y 0
		.amdhsa_system_sgpr_workgroup_id_z 0
		.amdhsa_system_sgpr_workgroup_info 0
		.amdhsa_system_vgpr_workitem_id 0
		.amdhsa_next_free_vgpr 1
		.amdhsa_next_free_sgpr 0
		.amdhsa_accum_offset 4
		.amdhsa_reserve_vcc 0
		.amdhsa_reserve_flat_scratch 0
		.amdhsa_float_round_mode_32 0
		.amdhsa_float_round_mode_16_64 0
		.amdhsa_float_denorm_mode_32 3
		.amdhsa_float_denorm_mode_16_64 3
		.amdhsa_dx10_clamp 1
		.amdhsa_ieee_mode 1
		.amdhsa_fp16_overflow 0
		.amdhsa_tg_split 0
		.amdhsa_exception_fp_ieee_invalid_op 0
		.amdhsa_exception_fp_denorm_src 0
		.amdhsa_exception_fp_ieee_div_zero 0
		.amdhsa_exception_fp_ieee_overflow 0
		.amdhsa_exception_fp_ieee_underflow 0
		.amdhsa_exception_fp_ieee_inexact 0
		.amdhsa_exception_int_div_zero 0
	.end_amdhsa_kernel
	.section	.text._ZN7rocprim17ROCPRIM_400000_NS6detail17trampoline_kernelINS0_14default_configENS1_35radix_sort_onesweep_config_selectorIjNS0_10empty_typeEEEZZNS1_29radix_sort_onesweep_iterationIS3_Lb1EPjS8_PS5_S9_mNS0_19identity_decomposerENS1_16block_id_wrapperIjLb1EEEEE10hipError_tT1_PNSt15iterator_traitsISE_E10value_typeET2_T3_PNSF_ISK_E10value_typeET4_T5_PSP_SQ_PNS1_23onesweep_lookback_stateEbbT6_jjT7_P12ihipStream_tbENKUlT_T0_SE_SJ_E_clIS8_S8_S9_S9_EEDaSX_SY_SE_SJ_EUlSX_E_NS1_11comp_targetILNS1_3genE8ELNS1_11target_archE1030ELNS1_3gpuE2ELNS1_3repE0EEENS1_47radix_sort_onesweep_sort_config_static_selectorELNS0_4arch9wavefront6targetE1EEEvSE_,"axG",@progbits,_ZN7rocprim17ROCPRIM_400000_NS6detail17trampoline_kernelINS0_14default_configENS1_35radix_sort_onesweep_config_selectorIjNS0_10empty_typeEEEZZNS1_29radix_sort_onesweep_iterationIS3_Lb1EPjS8_PS5_S9_mNS0_19identity_decomposerENS1_16block_id_wrapperIjLb1EEEEE10hipError_tT1_PNSt15iterator_traitsISE_E10value_typeET2_T3_PNSF_ISK_E10value_typeET4_T5_PSP_SQ_PNS1_23onesweep_lookback_stateEbbT6_jjT7_P12ihipStream_tbENKUlT_T0_SE_SJ_E_clIS8_S8_S9_S9_EEDaSX_SY_SE_SJ_EUlSX_E_NS1_11comp_targetILNS1_3genE8ELNS1_11target_archE1030ELNS1_3gpuE2ELNS1_3repE0EEENS1_47radix_sort_onesweep_sort_config_static_selectorELNS0_4arch9wavefront6targetE1EEEvSE_,comdat
.Lfunc_end2113:
	.size	_ZN7rocprim17ROCPRIM_400000_NS6detail17trampoline_kernelINS0_14default_configENS1_35radix_sort_onesweep_config_selectorIjNS0_10empty_typeEEEZZNS1_29radix_sort_onesweep_iterationIS3_Lb1EPjS8_PS5_S9_mNS0_19identity_decomposerENS1_16block_id_wrapperIjLb1EEEEE10hipError_tT1_PNSt15iterator_traitsISE_E10value_typeET2_T3_PNSF_ISK_E10value_typeET4_T5_PSP_SQ_PNS1_23onesweep_lookback_stateEbbT6_jjT7_P12ihipStream_tbENKUlT_T0_SE_SJ_E_clIS8_S8_S9_S9_EEDaSX_SY_SE_SJ_EUlSX_E_NS1_11comp_targetILNS1_3genE8ELNS1_11target_archE1030ELNS1_3gpuE2ELNS1_3repE0EEENS1_47radix_sort_onesweep_sort_config_static_selectorELNS0_4arch9wavefront6targetE1EEEvSE_, .Lfunc_end2113-_ZN7rocprim17ROCPRIM_400000_NS6detail17trampoline_kernelINS0_14default_configENS1_35radix_sort_onesweep_config_selectorIjNS0_10empty_typeEEEZZNS1_29radix_sort_onesweep_iterationIS3_Lb1EPjS8_PS5_S9_mNS0_19identity_decomposerENS1_16block_id_wrapperIjLb1EEEEE10hipError_tT1_PNSt15iterator_traitsISE_E10value_typeET2_T3_PNSF_ISK_E10value_typeET4_T5_PSP_SQ_PNS1_23onesweep_lookback_stateEbbT6_jjT7_P12ihipStream_tbENKUlT_T0_SE_SJ_E_clIS8_S8_S9_S9_EEDaSX_SY_SE_SJ_EUlSX_E_NS1_11comp_targetILNS1_3genE8ELNS1_11target_archE1030ELNS1_3gpuE2ELNS1_3repE0EEENS1_47radix_sort_onesweep_sort_config_static_selectorELNS0_4arch9wavefront6targetE1EEEvSE_
                                        ; -- End function
	.section	.AMDGPU.csdata,"",@progbits
; Kernel info:
; codeLenInByte = 0
; NumSgprs: 4
; NumVgprs: 0
; NumAgprs: 0
; TotalNumVgprs: 0
; ScratchSize: 0
; MemoryBound: 0
; FloatMode: 240
; IeeeMode: 1
; LDSByteSize: 0 bytes/workgroup (compile time only)
; SGPRBlocks: 0
; VGPRBlocks: 0
; NumSGPRsForWavesPerEU: 4
; NumVGPRsForWavesPerEU: 1
; AccumOffset: 4
; Occupancy: 8
; WaveLimiterHint : 0
; COMPUTE_PGM_RSRC2:SCRATCH_EN: 0
; COMPUTE_PGM_RSRC2:USER_SGPR: 6
; COMPUTE_PGM_RSRC2:TRAP_HANDLER: 0
; COMPUTE_PGM_RSRC2:TGID_X_EN: 1
; COMPUTE_PGM_RSRC2:TGID_Y_EN: 0
; COMPUTE_PGM_RSRC2:TGID_Z_EN: 0
; COMPUTE_PGM_RSRC2:TIDIG_COMP_CNT: 0
; COMPUTE_PGM_RSRC3_GFX90A:ACCUM_OFFSET: 0
; COMPUTE_PGM_RSRC3_GFX90A:TG_SPLIT: 0
	.section	.text._ZN7rocprim17ROCPRIM_400000_NS6detail17trampoline_kernelINS0_14default_configENS1_35radix_sort_onesweep_config_selectorIjNS0_10empty_typeEEEZZNS1_29radix_sort_onesweep_iterationIS3_Lb1EPjS8_PS5_S9_mNS0_19identity_decomposerENS1_16block_id_wrapperIjLb0EEEEE10hipError_tT1_PNSt15iterator_traitsISE_E10value_typeET2_T3_PNSF_ISK_E10value_typeET4_T5_PSP_SQ_PNS1_23onesweep_lookback_stateEbbT6_jjT7_P12ihipStream_tbENKUlT_T0_SE_SJ_E_clIS8_S8_S9_S9_EEDaSX_SY_SE_SJ_EUlSX_E_NS1_11comp_targetILNS1_3genE0ELNS1_11target_archE4294967295ELNS1_3gpuE0ELNS1_3repE0EEENS1_47radix_sort_onesweep_sort_config_static_selectorELNS0_4arch9wavefront6targetE1EEEvSE_,"axG",@progbits,_ZN7rocprim17ROCPRIM_400000_NS6detail17trampoline_kernelINS0_14default_configENS1_35radix_sort_onesweep_config_selectorIjNS0_10empty_typeEEEZZNS1_29radix_sort_onesweep_iterationIS3_Lb1EPjS8_PS5_S9_mNS0_19identity_decomposerENS1_16block_id_wrapperIjLb0EEEEE10hipError_tT1_PNSt15iterator_traitsISE_E10value_typeET2_T3_PNSF_ISK_E10value_typeET4_T5_PSP_SQ_PNS1_23onesweep_lookback_stateEbbT6_jjT7_P12ihipStream_tbENKUlT_T0_SE_SJ_E_clIS8_S8_S9_S9_EEDaSX_SY_SE_SJ_EUlSX_E_NS1_11comp_targetILNS1_3genE0ELNS1_11target_archE4294967295ELNS1_3gpuE0ELNS1_3repE0EEENS1_47radix_sort_onesweep_sort_config_static_selectorELNS0_4arch9wavefront6targetE1EEEvSE_,comdat
	.protected	_ZN7rocprim17ROCPRIM_400000_NS6detail17trampoline_kernelINS0_14default_configENS1_35radix_sort_onesweep_config_selectorIjNS0_10empty_typeEEEZZNS1_29radix_sort_onesweep_iterationIS3_Lb1EPjS8_PS5_S9_mNS0_19identity_decomposerENS1_16block_id_wrapperIjLb0EEEEE10hipError_tT1_PNSt15iterator_traitsISE_E10value_typeET2_T3_PNSF_ISK_E10value_typeET4_T5_PSP_SQ_PNS1_23onesweep_lookback_stateEbbT6_jjT7_P12ihipStream_tbENKUlT_T0_SE_SJ_E_clIS8_S8_S9_S9_EEDaSX_SY_SE_SJ_EUlSX_E_NS1_11comp_targetILNS1_3genE0ELNS1_11target_archE4294967295ELNS1_3gpuE0ELNS1_3repE0EEENS1_47radix_sort_onesweep_sort_config_static_selectorELNS0_4arch9wavefront6targetE1EEEvSE_ ; -- Begin function _ZN7rocprim17ROCPRIM_400000_NS6detail17trampoline_kernelINS0_14default_configENS1_35radix_sort_onesweep_config_selectorIjNS0_10empty_typeEEEZZNS1_29radix_sort_onesweep_iterationIS3_Lb1EPjS8_PS5_S9_mNS0_19identity_decomposerENS1_16block_id_wrapperIjLb0EEEEE10hipError_tT1_PNSt15iterator_traitsISE_E10value_typeET2_T3_PNSF_ISK_E10value_typeET4_T5_PSP_SQ_PNS1_23onesweep_lookback_stateEbbT6_jjT7_P12ihipStream_tbENKUlT_T0_SE_SJ_E_clIS8_S8_S9_S9_EEDaSX_SY_SE_SJ_EUlSX_E_NS1_11comp_targetILNS1_3genE0ELNS1_11target_archE4294967295ELNS1_3gpuE0ELNS1_3repE0EEENS1_47radix_sort_onesweep_sort_config_static_selectorELNS0_4arch9wavefront6targetE1EEEvSE_
	.globl	_ZN7rocprim17ROCPRIM_400000_NS6detail17trampoline_kernelINS0_14default_configENS1_35radix_sort_onesweep_config_selectorIjNS0_10empty_typeEEEZZNS1_29radix_sort_onesweep_iterationIS3_Lb1EPjS8_PS5_S9_mNS0_19identity_decomposerENS1_16block_id_wrapperIjLb0EEEEE10hipError_tT1_PNSt15iterator_traitsISE_E10value_typeET2_T3_PNSF_ISK_E10value_typeET4_T5_PSP_SQ_PNS1_23onesweep_lookback_stateEbbT6_jjT7_P12ihipStream_tbENKUlT_T0_SE_SJ_E_clIS8_S8_S9_S9_EEDaSX_SY_SE_SJ_EUlSX_E_NS1_11comp_targetILNS1_3genE0ELNS1_11target_archE4294967295ELNS1_3gpuE0ELNS1_3repE0EEENS1_47radix_sort_onesweep_sort_config_static_selectorELNS0_4arch9wavefront6targetE1EEEvSE_
	.p2align	8
	.type	_ZN7rocprim17ROCPRIM_400000_NS6detail17trampoline_kernelINS0_14default_configENS1_35radix_sort_onesweep_config_selectorIjNS0_10empty_typeEEEZZNS1_29radix_sort_onesweep_iterationIS3_Lb1EPjS8_PS5_S9_mNS0_19identity_decomposerENS1_16block_id_wrapperIjLb0EEEEE10hipError_tT1_PNSt15iterator_traitsISE_E10value_typeET2_T3_PNSF_ISK_E10value_typeET4_T5_PSP_SQ_PNS1_23onesweep_lookback_stateEbbT6_jjT7_P12ihipStream_tbENKUlT_T0_SE_SJ_E_clIS8_S8_S9_S9_EEDaSX_SY_SE_SJ_EUlSX_E_NS1_11comp_targetILNS1_3genE0ELNS1_11target_archE4294967295ELNS1_3gpuE0ELNS1_3repE0EEENS1_47radix_sort_onesweep_sort_config_static_selectorELNS0_4arch9wavefront6targetE1EEEvSE_,@function
_ZN7rocprim17ROCPRIM_400000_NS6detail17trampoline_kernelINS0_14default_configENS1_35radix_sort_onesweep_config_selectorIjNS0_10empty_typeEEEZZNS1_29radix_sort_onesweep_iterationIS3_Lb1EPjS8_PS5_S9_mNS0_19identity_decomposerENS1_16block_id_wrapperIjLb0EEEEE10hipError_tT1_PNSt15iterator_traitsISE_E10value_typeET2_T3_PNSF_ISK_E10value_typeET4_T5_PSP_SQ_PNS1_23onesweep_lookback_stateEbbT6_jjT7_P12ihipStream_tbENKUlT_T0_SE_SJ_E_clIS8_S8_S9_S9_EEDaSX_SY_SE_SJ_EUlSX_E_NS1_11comp_targetILNS1_3genE0ELNS1_11target_archE4294967295ELNS1_3gpuE0ELNS1_3repE0EEENS1_47radix_sort_onesweep_sort_config_static_selectorELNS0_4arch9wavefront6targetE1EEEvSE_: ; @_ZN7rocprim17ROCPRIM_400000_NS6detail17trampoline_kernelINS0_14default_configENS1_35radix_sort_onesweep_config_selectorIjNS0_10empty_typeEEEZZNS1_29radix_sort_onesweep_iterationIS3_Lb1EPjS8_PS5_S9_mNS0_19identity_decomposerENS1_16block_id_wrapperIjLb0EEEEE10hipError_tT1_PNSt15iterator_traitsISE_E10value_typeET2_T3_PNSF_ISK_E10value_typeET4_T5_PSP_SQ_PNS1_23onesweep_lookback_stateEbbT6_jjT7_P12ihipStream_tbENKUlT_T0_SE_SJ_E_clIS8_S8_S9_S9_EEDaSX_SY_SE_SJ_EUlSX_E_NS1_11comp_targetILNS1_3genE0ELNS1_11target_archE4294967295ELNS1_3gpuE0ELNS1_3repE0EEENS1_47radix_sort_onesweep_sort_config_static_selectorELNS0_4arch9wavefront6targetE1EEEvSE_
; %bb.0:
	.section	.rodata,"a",@progbits
	.p2align	6, 0x0
	.amdhsa_kernel _ZN7rocprim17ROCPRIM_400000_NS6detail17trampoline_kernelINS0_14default_configENS1_35radix_sort_onesweep_config_selectorIjNS0_10empty_typeEEEZZNS1_29radix_sort_onesweep_iterationIS3_Lb1EPjS8_PS5_S9_mNS0_19identity_decomposerENS1_16block_id_wrapperIjLb0EEEEE10hipError_tT1_PNSt15iterator_traitsISE_E10value_typeET2_T3_PNSF_ISK_E10value_typeET4_T5_PSP_SQ_PNS1_23onesweep_lookback_stateEbbT6_jjT7_P12ihipStream_tbENKUlT_T0_SE_SJ_E_clIS8_S8_S9_S9_EEDaSX_SY_SE_SJ_EUlSX_E_NS1_11comp_targetILNS1_3genE0ELNS1_11target_archE4294967295ELNS1_3gpuE0ELNS1_3repE0EEENS1_47radix_sort_onesweep_sort_config_static_selectorELNS0_4arch9wavefront6targetE1EEEvSE_
		.amdhsa_group_segment_fixed_size 0
		.amdhsa_private_segment_fixed_size 0
		.amdhsa_kernarg_size 88
		.amdhsa_user_sgpr_count 6
		.amdhsa_user_sgpr_private_segment_buffer 1
		.amdhsa_user_sgpr_dispatch_ptr 0
		.amdhsa_user_sgpr_queue_ptr 0
		.amdhsa_user_sgpr_kernarg_segment_ptr 1
		.amdhsa_user_sgpr_dispatch_id 0
		.amdhsa_user_sgpr_flat_scratch_init 0
		.amdhsa_user_sgpr_kernarg_preload_length 0
		.amdhsa_user_sgpr_kernarg_preload_offset 0
		.amdhsa_user_sgpr_private_segment_size 0
		.amdhsa_uses_dynamic_stack 0
		.amdhsa_system_sgpr_private_segment_wavefront_offset 0
		.amdhsa_system_sgpr_workgroup_id_x 1
		.amdhsa_system_sgpr_workgroup_id_y 0
		.amdhsa_system_sgpr_workgroup_id_z 0
		.amdhsa_system_sgpr_workgroup_info 0
		.amdhsa_system_vgpr_workitem_id 0
		.amdhsa_next_free_vgpr 1
		.amdhsa_next_free_sgpr 0
		.amdhsa_accum_offset 4
		.amdhsa_reserve_vcc 0
		.amdhsa_reserve_flat_scratch 0
		.amdhsa_float_round_mode_32 0
		.amdhsa_float_round_mode_16_64 0
		.amdhsa_float_denorm_mode_32 3
		.amdhsa_float_denorm_mode_16_64 3
		.amdhsa_dx10_clamp 1
		.amdhsa_ieee_mode 1
		.amdhsa_fp16_overflow 0
		.amdhsa_tg_split 0
		.amdhsa_exception_fp_ieee_invalid_op 0
		.amdhsa_exception_fp_denorm_src 0
		.amdhsa_exception_fp_ieee_div_zero 0
		.amdhsa_exception_fp_ieee_overflow 0
		.amdhsa_exception_fp_ieee_underflow 0
		.amdhsa_exception_fp_ieee_inexact 0
		.amdhsa_exception_int_div_zero 0
	.end_amdhsa_kernel
	.section	.text._ZN7rocprim17ROCPRIM_400000_NS6detail17trampoline_kernelINS0_14default_configENS1_35radix_sort_onesweep_config_selectorIjNS0_10empty_typeEEEZZNS1_29radix_sort_onesweep_iterationIS3_Lb1EPjS8_PS5_S9_mNS0_19identity_decomposerENS1_16block_id_wrapperIjLb0EEEEE10hipError_tT1_PNSt15iterator_traitsISE_E10value_typeET2_T3_PNSF_ISK_E10value_typeET4_T5_PSP_SQ_PNS1_23onesweep_lookback_stateEbbT6_jjT7_P12ihipStream_tbENKUlT_T0_SE_SJ_E_clIS8_S8_S9_S9_EEDaSX_SY_SE_SJ_EUlSX_E_NS1_11comp_targetILNS1_3genE0ELNS1_11target_archE4294967295ELNS1_3gpuE0ELNS1_3repE0EEENS1_47radix_sort_onesweep_sort_config_static_selectorELNS0_4arch9wavefront6targetE1EEEvSE_,"axG",@progbits,_ZN7rocprim17ROCPRIM_400000_NS6detail17trampoline_kernelINS0_14default_configENS1_35radix_sort_onesweep_config_selectorIjNS0_10empty_typeEEEZZNS1_29radix_sort_onesweep_iterationIS3_Lb1EPjS8_PS5_S9_mNS0_19identity_decomposerENS1_16block_id_wrapperIjLb0EEEEE10hipError_tT1_PNSt15iterator_traitsISE_E10value_typeET2_T3_PNSF_ISK_E10value_typeET4_T5_PSP_SQ_PNS1_23onesweep_lookback_stateEbbT6_jjT7_P12ihipStream_tbENKUlT_T0_SE_SJ_E_clIS8_S8_S9_S9_EEDaSX_SY_SE_SJ_EUlSX_E_NS1_11comp_targetILNS1_3genE0ELNS1_11target_archE4294967295ELNS1_3gpuE0ELNS1_3repE0EEENS1_47radix_sort_onesweep_sort_config_static_selectorELNS0_4arch9wavefront6targetE1EEEvSE_,comdat
.Lfunc_end2114:
	.size	_ZN7rocprim17ROCPRIM_400000_NS6detail17trampoline_kernelINS0_14default_configENS1_35radix_sort_onesweep_config_selectorIjNS0_10empty_typeEEEZZNS1_29radix_sort_onesweep_iterationIS3_Lb1EPjS8_PS5_S9_mNS0_19identity_decomposerENS1_16block_id_wrapperIjLb0EEEEE10hipError_tT1_PNSt15iterator_traitsISE_E10value_typeET2_T3_PNSF_ISK_E10value_typeET4_T5_PSP_SQ_PNS1_23onesweep_lookback_stateEbbT6_jjT7_P12ihipStream_tbENKUlT_T0_SE_SJ_E_clIS8_S8_S9_S9_EEDaSX_SY_SE_SJ_EUlSX_E_NS1_11comp_targetILNS1_3genE0ELNS1_11target_archE4294967295ELNS1_3gpuE0ELNS1_3repE0EEENS1_47radix_sort_onesweep_sort_config_static_selectorELNS0_4arch9wavefront6targetE1EEEvSE_, .Lfunc_end2114-_ZN7rocprim17ROCPRIM_400000_NS6detail17trampoline_kernelINS0_14default_configENS1_35radix_sort_onesweep_config_selectorIjNS0_10empty_typeEEEZZNS1_29radix_sort_onesweep_iterationIS3_Lb1EPjS8_PS5_S9_mNS0_19identity_decomposerENS1_16block_id_wrapperIjLb0EEEEE10hipError_tT1_PNSt15iterator_traitsISE_E10value_typeET2_T3_PNSF_ISK_E10value_typeET4_T5_PSP_SQ_PNS1_23onesweep_lookback_stateEbbT6_jjT7_P12ihipStream_tbENKUlT_T0_SE_SJ_E_clIS8_S8_S9_S9_EEDaSX_SY_SE_SJ_EUlSX_E_NS1_11comp_targetILNS1_3genE0ELNS1_11target_archE4294967295ELNS1_3gpuE0ELNS1_3repE0EEENS1_47radix_sort_onesweep_sort_config_static_selectorELNS0_4arch9wavefront6targetE1EEEvSE_
                                        ; -- End function
	.section	.AMDGPU.csdata,"",@progbits
; Kernel info:
; codeLenInByte = 0
; NumSgprs: 4
; NumVgprs: 0
; NumAgprs: 0
; TotalNumVgprs: 0
; ScratchSize: 0
; MemoryBound: 0
; FloatMode: 240
; IeeeMode: 1
; LDSByteSize: 0 bytes/workgroup (compile time only)
; SGPRBlocks: 0
; VGPRBlocks: 0
; NumSGPRsForWavesPerEU: 4
; NumVGPRsForWavesPerEU: 1
; AccumOffset: 4
; Occupancy: 8
; WaveLimiterHint : 0
; COMPUTE_PGM_RSRC2:SCRATCH_EN: 0
; COMPUTE_PGM_RSRC2:USER_SGPR: 6
; COMPUTE_PGM_RSRC2:TRAP_HANDLER: 0
; COMPUTE_PGM_RSRC2:TGID_X_EN: 1
; COMPUTE_PGM_RSRC2:TGID_Y_EN: 0
; COMPUTE_PGM_RSRC2:TGID_Z_EN: 0
; COMPUTE_PGM_RSRC2:TIDIG_COMP_CNT: 0
; COMPUTE_PGM_RSRC3_GFX90A:ACCUM_OFFSET: 0
; COMPUTE_PGM_RSRC3_GFX90A:TG_SPLIT: 0
	.section	.text._ZN7rocprim17ROCPRIM_400000_NS6detail17trampoline_kernelINS0_14default_configENS1_35radix_sort_onesweep_config_selectorIjNS0_10empty_typeEEEZZNS1_29radix_sort_onesweep_iterationIS3_Lb1EPjS8_PS5_S9_mNS0_19identity_decomposerENS1_16block_id_wrapperIjLb0EEEEE10hipError_tT1_PNSt15iterator_traitsISE_E10value_typeET2_T3_PNSF_ISK_E10value_typeET4_T5_PSP_SQ_PNS1_23onesweep_lookback_stateEbbT6_jjT7_P12ihipStream_tbENKUlT_T0_SE_SJ_E_clIS8_S8_S9_S9_EEDaSX_SY_SE_SJ_EUlSX_E_NS1_11comp_targetILNS1_3genE6ELNS1_11target_archE950ELNS1_3gpuE13ELNS1_3repE0EEENS1_47radix_sort_onesweep_sort_config_static_selectorELNS0_4arch9wavefront6targetE1EEEvSE_,"axG",@progbits,_ZN7rocprim17ROCPRIM_400000_NS6detail17trampoline_kernelINS0_14default_configENS1_35radix_sort_onesweep_config_selectorIjNS0_10empty_typeEEEZZNS1_29radix_sort_onesweep_iterationIS3_Lb1EPjS8_PS5_S9_mNS0_19identity_decomposerENS1_16block_id_wrapperIjLb0EEEEE10hipError_tT1_PNSt15iterator_traitsISE_E10value_typeET2_T3_PNSF_ISK_E10value_typeET4_T5_PSP_SQ_PNS1_23onesweep_lookback_stateEbbT6_jjT7_P12ihipStream_tbENKUlT_T0_SE_SJ_E_clIS8_S8_S9_S9_EEDaSX_SY_SE_SJ_EUlSX_E_NS1_11comp_targetILNS1_3genE6ELNS1_11target_archE950ELNS1_3gpuE13ELNS1_3repE0EEENS1_47radix_sort_onesweep_sort_config_static_selectorELNS0_4arch9wavefront6targetE1EEEvSE_,comdat
	.protected	_ZN7rocprim17ROCPRIM_400000_NS6detail17trampoline_kernelINS0_14default_configENS1_35radix_sort_onesweep_config_selectorIjNS0_10empty_typeEEEZZNS1_29radix_sort_onesweep_iterationIS3_Lb1EPjS8_PS5_S9_mNS0_19identity_decomposerENS1_16block_id_wrapperIjLb0EEEEE10hipError_tT1_PNSt15iterator_traitsISE_E10value_typeET2_T3_PNSF_ISK_E10value_typeET4_T5_PSP_SQ_PNS1_23onesweep_lookback_stateEbbT6_jjT7_P12ihipStream_tbENKUlT_T0_SE_SJ_E_clIS8_S8_S9_S9_EEDaSX_SY_SE_SJ_EUlSX_E_NS1_11comp_targetILNS1_3genE6ELNS1_11target_archE950ELNS1_3gpuE13ELNS1_3repE0EEENS1_47radix_sort_onesweep_sort_config_static_selectorELNS0_4arch9wavefront6targetE1EEEvSE_ ; -- Begin function _ZN7rocprim17ROCPRIM_400000_NS6detail17trampoline_kernelINS0_14default_configENS1_35radix_sort_onesweep_config_selectorIjNS0_10empty_typeEEEZZNS1_29radix_sort_onesweep_iterationIS3_Lb1EPjS8_PS5_S9_mNS0_19identity_decomposerENS1_16block_id_wrapperIjLb0EEEEE10hipError_tT1_PNSt15iterator_traitsISE_E10value_typeET2_T3_PNSF_ISK_E10value_typeET4_T5_PSP_SQ_PNS1_23onesweep_lookback_stateEbbT6_jjT7_P12ihipStream_tbENKUlT_T0_SE_SJ_E_clIS8_S8_S9_S9_EEDaSX_SY_SE_SJ_EUlSX_E_NS1_11comp_targetILNS1_3genE6ELNS1_11target_archE950ELNS1_3gpuE13ELNS1_3repE0EEENS1_47radix_sort_onesweep_sort_config_static_selectorELNS0_4arch9wavefront6targetE1EEEvSE_
	.globl	_ZN7rocprim17ROCPRIM_400000_NS6detail17trampoline_kernelINS0_14default_configENS1_35radix_sort_onesweep_config_selectorIjNS0_10empty_typeEEEZZNS1_29radix_sort_onesweep_iterationIS3_Lb1EPjS8_PS5_S9_mNS0_19identity_decomposerENS1_16block_id_wrapperIjLb0EEEEE10hipError_tT1_PNSt15iterator_traitsISE_E10value_typeET2_T3_PNSF_ISK_E10value_typeET4_T5_PSP_SQ_PNS1_23onesweep_lookback_stateEbbT6_jjT7_P12ihipStream_tbENKUlT_T0_SE_SJ_E_clIS8_S8_S9_S9_EEDaSX_SY_SE_SJ_EUlSX_E_NS1_11comp_targetILNS1_3genE6ELNS1_11target_archE950ELNS1_3gpuE13ELNS1_3repE0EEENS1_47radix_sort_onesweep_sort_config_static_selectorELNS0_4arch9wavefront6targetE1EEEvSE_
	.p2align	8
	.type	_ZN7rocprim17ROCPRIM_400000_NS6detail17trampoline_kernelINS0_14default_configENS1_35radix_sort_onesweep_config_selectorIjNS0_10empty_typeEEEZZNS1_29radix_sort_onesweep_iterationIS3_Lb1EPjS8_PS5_S9_mNS0_19identity_decomposerENS1_16block_id_wrapperIjLb0EEEEE10hipError_tT1_PNSt15iterator_traitsISE_E10value_typeET2_T3_PNSF_ISK_E10value_typeET4_T5_PSP_SQ_PNS1_23onesweep_lookback_stateEbbT6_jjT7_P12ihipStream_tbENKUlT_T0_SE_SJ_E_clIS8_S8_S9_S9_EEDaSX_SY_SE_SJ_EUlSX_E_NS1_11comp_targetILNS1_3genE6ELNS1_11target_archE950ELNS1_3gpuE13ELNS1_3repE0EEENS1_47radix_sort_onesweep_sort_config_static_selectorELNS0_4arch9wavefront6targetE1EEEvSE_,@function
_ZN7rocprim17ROCPRIM_400000_NS6detail17trampoline_kernelINS0_14default_configENS1_35radix_sort_onesweep_config_selectorIjNS0_10empty_typeEEEZZNS1_29radix_sort_onesweep_iterationIS3_Lb1EPjS8_PS5_S9_mNS0_19identity_decomposerENS1_16block_id_wrapperIjLb0EEEEE10hipError_tT1_PNSt15iterator_traitsISE_E10value_typeET2_T3_PNSF_ISK_E10value_typeET4_T5_PSP_SQ_PNS1_23onesweep_lookback_stateEbbT6_jjT7_P12ihipStream_tbENKUlT_T0_SE_SJ_E_clIS8_S8_S9_S9_EEDaSX_SY_SE_SJ_EUlSX_E_NS1_11comp_targetILNS1_3genE6ELNS1_11target_archE950ELNS1_3gpuE13ELNS1_3repE0EEENS1_47radix_sort_onesweep_sort_config_static_selectorELNS0_4arch9wavefront6targetE1EEEvSE_: ; @_ZN7rocprim17ROCPRIM_400000_NS6detail17trampoline_kernelINS0_14default_configENS1_35radix_sort_onesweep_config_selectorIjNS0_10empty_typeEEEZZNS1_29radix_sort_onesweep_iterationIS3_Lb1EPjS8_PS5_S9_mNS0_19identity_decomposerENS1_16block_id_wrapperIjLb0EEEEE10hipError_tT1_PNSt15iterator_traitsISE_E10value_typeET2_T3_PNSF_ISK_E10value_typeET4_T5_PSP_SQ_PNS1_23onesweep_lookback_stateEbbT6_jjT7_P12ihipStream_tbENKUlT_T0_SE_SJ_E_clIS8_S8_S9_S9_EEDaSX_SY_SE_SJ_EUlSX_E_NS1_11comp_targetILNS1_3genE6ELNS1_11target_archE950ELNS1_3gpuE13ELNS1_3repE0EEENS1_47radix_sort_onesweep_sort_config_static_selectorELNS0_4arch9wavefront6targetE1EEEvSE_
; %bb.0:
	.section	.rodata,"a",@progbits
	.p2align	6, 0x0
	.amdhsa_kernel _ZN7rocprim17ROCPRIM_400000_NS6detail17trampoline_kernelINS0_14default_configENS1_35radix_sort_onesweep_config_selectorIjNS0_10empty_typeEEEZZNS1_29radix_sort_onesweep_iterationIS3_Lb1EPjS8_PS5_S9_mNS0_19identity_decomposerENS1_16block_id_wrapperIjLb0EEEEE10hipError_tT1_PNSt15iterator_traitsISE_E10value_typeET2_T3_PNSF_ISK_E10value_typeET4_T5_PSP_SQ_PNS1_23onesweep_lookback_stateEbbT6_jjT7_P12ihipStream_tbENKUlT_T0_SE_SJ_E_clIS8_S8_S9_S9_EEDaSX_SY_SE_SJ_EUlSX_E_NS1_11comp_targetILNS1_3genE6ELNS1_11target_archE950ELNS1_3gpuE13ELNS1_3repE0EEENS1_47radix_sort_onesweep_sort_config_static_selectorELNS0_4arch9wavefront6targetE1EEEvSE_
		.amdhsa_group_segment_fixed_size 0
		.amdhsa_private_segment_fixed_size 0
		.amdhsa_kernarg_size 88
		.amdhsa_user_sgpr_count 6
		.amdhsa_user_sgpr_private_segment_buffer 1
		.amdhsa_user_sgpr_dispatch_ptr 0
		.amdhsa_user_sgpr_queue_ptr 0
		.amdhsa_user_sgpr_kernarg_segment_ptr 1
		.amdhsa_user_sgpr_dispatch_id 0
		.amdhsa_user_sgpr_flat_scratch_init 0
		.amdhsa_user_sgpr_kernarg_preload_length 0
		.amdhsa_user_sgpr_kernarg_preload_offset 0
		.amdhsa_user_sgpr_private_segment_size 0
		.amdhsa_uses_dynamic_stack 0
		.amdhsa_system_sgpr_private_segment_wavefront_offset 0
		.amdhsa_system_sgpr_workgroup_id_x 1
		.amdhsa_system_sgpr_workgroup_id_y 0
		.amdhsa_system_sgpr_workgroup_id_z 0
		.amdhsa_system_sgpr_workgroup_info 0
		.amdhsa_system_vgpr_workitem_id 0
		.amdhsa_next_free_vgpr 1
		.amdhsa_next_free_sgpr 0
		.amdhsa_accum_offset 4
		.amdhsa_reserve_vcc 0
		.amdhsa_reserve_flat_scratch 0
		.amdhsa_float_round_mode_32 0
		.amdhsa_float_round_mode_16_64 0
		.amdhsa_float_denorm_mode_32 3
		.amdhsa_float_denorm_mode_16_64 3
		.amdhsa_dx10_clamp 1
		.amdhsa_ieee_mode 1
		.amdhsa_fp16_overflow 0
		.amdhsa_tg_split 0
		.amdhsa_exception_fp_ieee_invalid_op 0
		.amdhsa_exception_fp_denorm_src 0
		.amdhsa_exception_fp_ieee_div_zero 0
		.amdhsa_exception_fp_ieee_overflow 0
		.amdhsa_exception_fp_ieee_underflow 0
		.amdhsa_exception_fp_ieee_inexact 0
		.amdhsa_exception_int_div_zero 0
	.end_amdhsa_kernel
	.section	.text._ZN7rocprim17ROCPRIM_400000_NS6detail17trampoline_kernelINS0_14default_configENS1_35radix_sort_onesweep_config_selectorIjNS0_10empty_typeEEEZZNS1_29radix_sort_onesweep_iterationIS3_Lb1EPjS8_PS5_S9_mNS0_19identity_decomposerENS1_16block_id_wrapperIjLb0EEEEE10hipError_tT1_PNSt15iterator_traitsISE_E10value_typeET2_T3_PNSF_ISK_E10value_typeET4_T5_PSP_SQ_PNS1_23onesweep_lookback_stateEbbT6_jjT7_P12ihipStream_tbENKUlT_T0_SE_SJ_E_clIS8_S8_S9_S9_EEDaSX_SY_SE_SJ_EUlSX_E_NS1_11comp_targetILNS1_3genE6ELNS1_11target_archE950ELNS1_3gpuE13ELNS1_3repE0EEENS1_47radix_sort_onesweep_sort_config_static_selectorELNS0_4arch9wavefront6targetE1EEEvSE_,"axG",@progbits,_ZN7rocprim17ROCPRIM_400000_NS6detail17trampoline_kernelINS0_14default_configENS1_35radix_sort_onesweep_config_selectorIjNS0_10empty_typeEEEZZNS1_29radix_sort_onesweep_iterationIS3_Lb1EPjS8_PS5_S9_mNS0_19identity_decomposerENS1_16block_id_wrapperIjLb0EEEEE10hipError_tT1_PNSt15iterator_traitsISE_E10value_typeET2_T3_PNSF_ISK_E10value_typeET4_T5_PSP_SQ_PNS1_23onesweep_lookback_stateEbbT6_jjT7_P12ihipStream_tbENKUlT_T0_SE_SJ_E_clIS8_S8_S9_S9_EEDaSX_SY_SE_SJ_EUlSX_E_NS1_11comp_targetILNS1_3genE6ELNS1_11target_archE950ELNS1_3gpuE13ELNS1_3repE0EEENS1_47radix_sort_onesweep_sort_config_static_selectorELNS0_4arch9wavefront6targetE1EEEvSE_,comdat
.Lfunc_end2115:
	.size	_ZN7rocprim17ROCPRIM_400000_NS6detail17trampoline_kernelINS0_14default_configENS1_35radix_sort_onesweep_config_selectorIjNS0_10empty_typeEEEZZNS1_29radix_sort_onesweep_iterationIS3_Lb1EPjS8_PS5_S9_mNS0_19identity_decomposerENS1_16block_id_wrapperIjLb0EEEEE10hipError_tT1_PNSt15iterator_traitsISE_E10value_typeET2_T3_PNSF_ISK_E10value_typeET4_T5_PSP_SQ_PNS1_23onesweep_lookback_stateEbbT6_jjT7_P12ihipStream_tbENKUlT_T0_SE_SJ_E_clIS8_S8_S9_S9_EEDaSX_SY_SE_SJ_EUlSX_E_NS1_11comp_targetILNS1_3genE6ELNS1_11target_archE950ELNS1_3gpuE13ELNS1_3repE0EEENS1_47radix_sort_onesweep_sort_config_static_selectorELNS0_4arch9wavefront6targetE1EEEvSE_, .Lfunc_end2115-_ZN7rocprim17ROCPRIM_400000_NS6detail17trampoline_kernelINS0_14default_configENS1_35radix_sort_onesweep_config_selectorIjNS0_10empty_typeEEEZZNS1_29radix_sort_onesweep_iterationIS3_Lb1EPjS8_PS5_S9_mNS0_19identity_decomposerENS1_16block_id_wrapperIjLb0EEEEE10hipError_tT1_PNSt15iterator_traitsISE_E10value_typeET2_T3_PNSF_ISK_E10value_typeET4_T5_PSP_SQ_PNS1_23onesweep_lookback_stateEbbT6_jjT7_P12ihipStream_tbENKUlT_T0_SE_SJ_E_clIS8_S8_S9_S9_EEDaSX_SY_SE_SJ_EUlSX_E_NS1_11comp_targetILNS1_3genE6ELNS1_11target_archE950ELNS1_3gpuE13ELNS1_3repE0EEENS1_47radix_sort_onesweep_sort_config_static_selectorELNS0_4arch9wavefront6targetE1EEEvSE_
                                        ; -- End function
	.section	.AMDGPU.csdata,"",@progbits
; Kernel info:
; codeLenInByte = 0
; NumSgprs: 4
; NumVgprs: 0
; NumAgprs: 0
; TotalNumVgprs: 0
; ScratchSize: 0
; MemoryBound: 0
; FloatMode: 240
; IeeeMode: 1
; LDSByteSize: 0 bytes/workgroup (compile time only)
; SGPRBlocks: 0
; VGPRBlocks: 0
; NumSGPRsForWavesPerEU: 4
; NumVGPRsForWavesPerEU: 1
; AccumOffset: 4
; Occupancy: 8
; WaveLimiterHint : 0
; COMPUTE_PGM_RSRC2:SCRATCH_EN: 0
; COMPUTE_PGM_RSRC2:USER_SGPR: 6
; COMPUTE_PGM_RSRC2:TRAP_HANDLER: 0
; COMPUTE_PGM_RSRC2:TGID_X_EN: 1
; COMPUTE_PGM_RSRC2:TGID_Y_EN: 0
; COMPUTE_PGM_RSRC2:TGID_Z_EN: 0
; COMPUTE_PGM_RSRC2:TIDIG_COMP_CNT: 0
; COMPUTE_PGM_RSRC3_GFX90A:ACCUM_OFFSET: 0
; COMPUTE_PGM_RSRC3_GFX90A:TG_SPLIT: 0
	.section	.text._ZN7rocprim17ROCPRIM_400000_NS6detail17trampoline_kernelINS0_14default_configENS1_35radix_sort_onesweep_config_selectorIjNS0_10empty_typeEEEZZNS1_29radix_sort_onesweep_iterationIS3_Lb1EPjS8_PS5_S9_mNS0_19identity_decomposerENS1_16block_id_wrapperIjLb0EEEEE10hipError_tT1_PNSt15iterator_traitsISE_E10value_typeET2_T3_PNSF_ISK_E10value_typeET4_T5_PSP_SQ_PNS1_23onesweep_lookback_stateEbbT6_jjT7_P12ihipStream_tbENKUlT_T0_SE_SJ_E_clIS8_S8_S9_S9_EEDaSX_SY_SE_SJ_EUlSX_E_NS1_11comp_targetILNS1_3genE5ELNS1_11target_archE942ELNS1_3gpuE9ELNS1_3repE0EEENS1_47radix_sort_onesweep_sort_config_static_selectorELNS0_4arch9wavefront6targetE1EEEvSE_,"axG",@progbits,_ZN7rocprim17ROCPRIM_400000_NS6detail17trampoline_kernelINS0_14default_configENS1_35radix_sort_onesweep_config_selectorIjNS0_10empty_typeEEEZZNS1_29radix_sort_onesweep_iterationIS3_Lb1EPjS8_PS5_S9_mNS0_19identity_decomposerENS1_16block_id_wrapperIjLb0EEEEE10hipError_tT1_PNSt15iterator_traitsISE_E10value_typeET2_T3_PNSF_ISK_E10value_typeET4_T5_PSP_SQ_PNS1_23onesweep_lookback_stateEbbT6_jjT7_P12ihipStream_tbENKUlT_T0_SE_SJ_E_clIS8_S8_S9_S9_EEDaSX_SY_SE_SJ_EUlSX_E_NS1_11comp_targetILNS1_3genE5ELNS1_11target_archE942ELNS1_3gpuE9ELNS1_3repE0EEENS1_47radix_sort_onesweep_sort_config_static_selectorELNS0_4arch9wavefront6targetE1EEEvSE_,comdat
	.protected	_ZN7rocprim17ROCPRIM_400000_NS6detail17trampoline_kernelINS0_14default_configENS1_35radix_sort_onesweep_config_selectorIjNS0_10empty_typeEEEZZNS1_29radix_sort_onesweep_iterationIS3_Lb1EPjS8_PS5_S9_mNS0_19identity_decomposerENS1_16block_id_wrapperIjLb0EEEEE10hipError_tT1_PNSt15iterator_traitsISE_E10value_typeET2_T3_PNSF_ISK_E10value_typeET4_T5_PSP_SQ_PNS1_23onesweep_lookback_stateEbbT6_jjT7_P12ihipStream_tbENKUlT_T0_SE_SJ_E_clIS8_S8_S9_S9_EEDaSX_SY_SE_SJ_EUlSX_E_NS1_11comp_targetILNS1_3genE5ELNS1_11target_archE942ELNS1_3gpuE9ELNS1_3repE0EEENS1_47radix_sort_onesweep_sort_config_static_selectorELNS0_4arch9wavefront6targetE1EEEvSE_ ; -- Begin function _ZN7rocprim17ROCPRIM_400000_NS6detail17trampoline_kernelINS0_14default_configENS1_35radix_sort_onesweep_config_selectorIjNS0_10empty_typeEEEZZNS1_29radix_sort_onesweep_iterationIS3_Lb1EPjS8_PS5_S9_mNS0_19identity_decomposerENS1_16block_id_wrapperIjLb0EEEEE10hipError_tT1_PNSt15iterator_traitsISE_E10value_typeET2_T3_PNSF_ISK_E10value_typeET4_T5_PSP_SQ_PNS1_23onesweep_lookback_stateEbbT6_jjT7_P12ihipStream_tbENKUlT_T0_SE_SJ_E_clIS8_S8_S9_S9_EEDaSX_SY_SE_SJ_EUlSX_E_NS1_11comp_targetILNS1_3genE5ELNS1_11target_archE942ELNS1_3gpuE9ELNS1_3repE0EEENS1_47radix_sort_onesweep_sort_config_static_selectorELNS0_4arch9wavefront6targetE1EEEvSE_
	.globl	_ZN7rocprim17ROCPRIM_400000_NS6detail17trampoline_kernelINS0_14default_configENS1_35radix_sort_onesweep_config_selectorIjNS0_10empty_typeEEEZZNS1_29radix_sort_onesweep_iterationIS3_Lb1EPjS8_PS5_S9_mNS0_19identity_decomposerENS1_16block_id_wrapperIjLb0EEEEE10hipError_tT1_PNSt15iterator_traitsISE_E10value_typeET2_T3_PNSF_ISK_E10value_typeET4_T5_PSP_SQ_PNS1_23onesweep_lookback_stateEbbT6_jjT7_P12ihipStream_tbENKUlT_T0_SE_SJ_E_clIS8_S8_S9_S9_EEDaSX_SY_SE_SJ_EUlSX_E_NS1_11comp_targetILNS1_3genE5ELNS1_11target_archE942ELNS1_3gpuE9ELNS1_3repE0EEENS1_47radix_sort_onesweep_sort_config_static_selectorELNS0_4arch9wavefront6targetE1EEEvSE_
	.p2align	8
	.type	_ZN7rocprim17ROCPRIM_400000_NS6detail17trampoline_kernelINS0_14default_configENS1_35radix_sort_onesweep_config_selectorIjNS0_10empty_typeEEEZZNS1_29radix_sort_onesweep_iterationIS3_Lb1EPjS8_PS5_S9_mNS0_19identity_decomposerENS1_16block_id_wrapperIjLb0EEEEE10hipError_tT1_PNSt15iterator_traitsISE_E10value_typeET2_T3_PNSF_ISK_E10value_typeET4_T5_PSP_SQ_PNS1_23onesweep_lookback_stateEbbT6_jjT7_P12ihipStream_tbENKUlT_T0_SE_SJ_E_clIS8_S8_S9_S9_EEDaSX_SY_SE_SJ_EUlSX_E_NS1_11comp_targetILNS1_3genE5ELNS1_11target_archE942ELNS1_3gpuE9ELNS1_3repE0EEENS1_47radix_sort_onesweep_sort_config_static_selectorELNS0_4arch9wavefront6targetE1EEEvSE_,@function
_ZN7rocprim17ROCPRIM_400000_NS6detail17trampoline_kernelINS0_14default_configENS1_35radix_sort_onesweep_config_selectorIjNS0_10empty_typeEEEZZNS1_29radix_sort_onesweep_iterationIS3_Lb1EPjS8_PS5_S9_mNS0_19identity_decomposerENS1_16block_id_wrapperIjLb0EEEEE10hipError_tT1_PNSt15iterator_traitsISE_E10value_typeET2_T3_PNSF_ISK_E10value_typeET4_T5_PSP_SQ_PNS1_23onesweep_lookback_stateEbbT6_jjT7_P12ihipStream_tbENKUlT_T0_SE_SJ_E_clIS8_S8_S9_S9_EEDaSX_SY_SE_SJ_EUlSX_E_NS1_11comp_targetILNS1_3genE5ELNS1_11target_archE942ELNS1_3gpuE9ELNS1_3repE0EEENS1_47radix_sort_onesweep_sort_config_static_selectorELNS0_4arch9wavefront6targetE1EEEvSE_: ; @_ZN7rocprim17ROCPRIM_400000_NS6detail17trampoline_kernelINS0_14default_configENS1_35radix_sort_onesweep_config_selectorIjNS0_10empty_typeEEEZZNS1_29radix_sort_onesweep_iterationIS3_Lb1EPjS8_PS5_S9_mNS0_19identity_decomposerENS1_16block_id_wrapperIjLb0EEEEE10hipError_tT1_PNSt15iterator_traitsISE_E10value_typeET2_T3_PNSF_ISK_E10value_typeET4_T5_PSP_SQ_PNS1_23onesweep_lookback_stateEbbT6_jjT7_P12ihipStream_tbENKUlT_T0_SE_SJ_E_clIS8_S8_S9_S9_EEDaSX_SY_SE_SJ_EUlSX_E_NS1_11comp_targetILNS1_3genE5ELNS1_11target_archE942ELNS1_3gpuE9ELNS1_3repE0EEENS1_47radix_sort_onesweep_sort_config_static_selectorELNS0_4arch9wavefront6targetE1EEEvSE_
; %bb.0:
	.section	.rodata,"a",@progbits
	.p2align	6, 0x0
	.amdhsa_kernel _ZN7rocprim17ROCPRIM_400000_NS6detail17trampoline_kernelINS0_14default_configENS1_35radix_sort_onesweep_config_selectorIjNS0_10empty_typeEEEZZNS1_29radix_sort_onesweep_iterationIS3_Lb1EPjS8_PS5_S9_mNS0_19identity_decomposerENS1_16block_id_wrapperIjLb0EEEEE10hipError_tT1_PNSt15iterator_traitsISE_E10value_typeET2_T3_PNSF_ISK_E10value_typeET4_T5_PSP_SQ_PNS1_23onesweep_lookback_stateEbbT6_jjT7_P12ihipStream_tbENKUlT_T0_SE_SJ_E_clIS8_S8_S9_S9_EEDaSX_SY_SE_SJ_EUlSX_E_NS1_11comp_targetILNS1_3genE5ELNS1_11target_archE942ELNS1_3gpuE9ELNS1_3repE0EEENS1_47radix_sort_onesweep_sort_config_static_selectorELNS0_4arch9wavefront6targetE1EEEvSE_
		.amdhsa_group_segment_fixed_size 0
		.amdhsa_private_segment_fixed_size 0
		.amdhsa_kernarg_size 88
		.amdhsa_user_sgpr_count 6
		.amdhsa_user_sgpr_private_segment_buffer 1
		.amdhsa_user_sgpr_dispatch_ptr 0
		.amdhsa_user_sgpr_queue_ptr 0
		.amdhsa_user_sgpr_kernarg_segment_ptr 1
		.amdhsa_user_sgpr_dispatch_id 0
		.amdhsa_user_sgpr_flat_scratch_init 0
		.amdhsa_user_sgpr_kernarg_preload_length 0
		.amdhsa_user_sgpr_kernarg_preload_offset 0
		.amdhsa_user_sgpr_private_segment_size 0
		.amdhsa_uses_dynamic_stack 0
		.amdhsa_system_sgpr_private_segment_wavefront_offset 0
		.amdhsa_system_sgpr_workgroup_id_x 1
		.amdhsa_system_sgpr_workgroup_id_y 0
		.amdhsa_system_sgpr_workgroup_id_z 0
		.amdhsa_system_sgpr_workgroup_info 0
		.amdhsa_system_vgpr_workitem_id 0
		.amdhsa_next_free_vgpr 1
		.amdhsa_next_free_sgpr 0
		.amdhsa_accum_offset 4
		.amdhsa_reserve_vcc 0
		.amdhsa_reserve_flat_scratch 0
		.amdhsa_float_round_mode_32 0
		.amdhsa_float_round_mode_16_64 0
		.amdhsa_float_denorm_mode_32 3
		.amdhsa_float_denorm_mode_16_64 3
		.amdhsa_dx10_clamp 1
		.amdhsa_ieee_mode 1
		.amdhsa_fp16_overflow 0
		.amdhsa_tg_split 0
		.amdhsa_exception_fp_ieee_invalid_op 0
		.amdhsa_exception_fp_denorm_src 0
		.amdhsa_exception_fp_ieee_div_zero 0
		.amdhsa_exception_fp_ieee_overflow 0
		.amdhsa_exception_fp_ieee_underflow 0
		.amdhsa_exception_fp_ieee_inexact 0
		.amdhsa_exception_int_div_zero 0
	.end_amdhsa_kernel
	.section	.text._ZN7rocprim17ROCPRIM_400000_NS6detail17trampoline_kernelINS0_14default_configENS1_35radix_sort_onesweep_config_selectorIjNS0_10empty_typeEEEZZNS1_29radix_sort_onesweep_iterationIS3_Lb1EPjS8_PS5_S9_mNS0_19identity_decomposerENS1_16block_id_wrapperIjLb0EEEEE10hipError_tT1_PNSt15iterator_traitsISE_E10value_typeET2_T3_PNSF_ISK_E10value_typeET4_T5_PSP_SQ_PNS1_23onesweep_lookback_stateEbbT6_jjT7_P12ihipStream_tbENKUlT_T0_SE_SJ_E_clIS8_S8_S9_S9_EEDaSX_SY_SE_SJ_EUlSX_E_NS1_11comp_targetILNS1_3genE5ELNS1_11target_archE942ELNS1_3gpuE9ELNS1_3repE0EEENS1_47radix_sort_onesweep_sort_config_static_selectorELNS0_4arch9wavefront6targetE1EEEvSE_,"axG",@progbits,_ZN7rocprim17ROCPRIM_400000_NS6detail17trampoline_kernelINS0_14default_configENS1_35radix_sort_onesweep_config_selectorIjNS0_10empty_typeEEEZZNS1_29radix_sort_onesweep_iterationIS3_Lb1EPjS8_PS5_S9_mNS0_19identity_decomposerENS1_16block_id_wrapperIjLb0EEEEE10hipError_tT1_PNSt15iterator_traitsISE_E10value_typeET2_T3_PNSF_ISK_E10value_typeET4_T5_PSP_SQ_PNS1_23onesweep_lookback_stateEbbT6_jjT7_P12ihipStream_tbENKUlT_T0_SE_SJ_E_clIS8_S8_S9_S9_EEDaSX_SY_SE_SJ_EUlSX_E_NS1_11comp_targetILNS1_3genE5ELNS1_11target_archE942ELNS1_3gpuE9ELNS1_3repE0EEENS1_47radix_sort_onesweep_sort_config_static_selectorELNS0_4arch9wavefront6targetE1EEEvSE_,comdat
.Lfunc_end2116:
	.size	_ZN7rocprim17ROCPRIM_400000_NS6detail17trampoline_kernelINS0_14default_configENS1_35radix_sort_onesweep_config_selectorIjNS0_10empty_typeEEEZZNS1_29radix_sort_onesweep_iterationIS3_Lb1EPjS8_PS5_S9_mNS0_19identity_decomposerENS1_16block_id_wrapperIjLb0EEEEE10hipError_tT1_PNSt15iterator_traitsISE_E10value_typeET2_T3_PNSF_ISK_E10value_typeET4_T5_PSP_SQ_PNS1_23onesweep_lookback_stateEbbT6_jjT7_P12ihipStream_tbENKUlT_T0_SE_SJ_E_clIS8_S8_S9_S9_EEDaSX_SY_SE_SJ_EUlSX_E_NS1_11comp_targetILNS1_3genE5ELNS1_11target_archE942ELNS1_3gpuE9ELNS1_3repE0EEENS1_47radix_sort_onesweep_sort_config_static_selectorELNS0_4arch9wavefront6targetE1EEEvSE_, .Lfunc_end2116-_ZN7rocprim17ROCPRIM_400000_NS6detail17trampoline_kernelINS0_14default_configENS1_35radix_sort_onesweep_config_selectorIjNS0_10empty_typeEEEZZNS1_29radix_sort_onesweep_iterationIS3_Lb1EPjS8_PS5_S9_mNS0_19identity_decomposerENS1_16block_id_wrapperIjLb0EEEEE10hipError_tT1_PNSt15iterator_traitsISE_E10value_typeET2_T3_PNSF_ISK_E10value_typeET4_T5_PSP_SQ_PNS1_23onesweep_lookback_stateEbbT6_jjT7_P12ihipStream_tbENKUlT_T0_SE_SJ_E_clIS8_S8_S9_S9_EEDaSX_SY_SE_SJ_EUlSX_E_NS1_11comp_targetILNS1_3genE5ELNS1_11target_archE942ELNS1_3gpuE9ELNS1_3repE0EEENS1_47radix_sort_onesweep_sort_config_static_selectorELNS0_4arch9wavefront6targetE1EEEvSE_
                                        ; -- End function
	.section	.AMDGPU.csdata,"",@progbits
; Kernel info:
; codeLenInByte = 0
; NumSgprs: 4
; NumVgprs: 0
; NumAgprs: 0
; TotalNumVgprs: 0
; ScratchSize: 0
; MemoryBound: 0
; FloatMode: 240
; IeeeMode: 1
; LDSByteSize: 0 bytes/workgroup (compile time only)
; SGPRBlocks: 0
; VGPRBlocks: 0
; NumSGPRsForWavesPerEU: 4
; NumVGPRsForWavesPerEU: 1
; AccumOffset: 4
; Occupancy: 8
; WaveLimiterHint : 0
; COMPUTE_PGM_RSRC2:SCRATCH_EN: 0
; COMPUTE_PGM_RSRC2:USER_SGPR: 6
; COMPUTE_PGM_RSRC2:TRAP_HANDLER: 0
; COMPUTE_PGM_RSRC2:TGID_X_EN: 1
; COMPUTE_PGM_RSRC2:TGID_Y_EN: 0
; COMPUTE_PGM_RSRC2:TGID_Z_EN: 0
; COMPUTE_PGM_RSRC2:TIDIG_COMP_CNT: 0
; COMPUTE_PGM_RSRC3_GFX90A:ACCUM_OFFSET: 0
; COMPUTE_PGM_RSRC3_GFX90A:TG_SPLIT: 0
	.section	.text._ZN7rocprim17ROCPRIM_400000_NS6detail17trampoline_kernelINS0_14default_configENS1_35radix_sort_onesweep_config_selectorIjNS0_10empty_typeEEEZZNS1_29radix_sort_onesweep_iterationIS3_Lb1EPjS8_PS5_S9_mNS0_19identity_decomposerENS1_16block_id_wrapperIjLb0EEEEE10hipError_tT1_PNSt15iterator_traitsISE_E10value_typeET2_T3_PNSF_ISK_E10value_typeET4_T5_PSP_SQ_PNS1_23onesweep_lookback_stateEbbT6_jjT7_P12ihipStream_tbENKUlT_T0_SE_SJ_E_clIS8_S8_S9_S9_EEDaSX_SY_SE_SJ_EUlSX_E_NS1_11comp_targetILNS1_3genE2ELNS1_11target_archE906ELNS1_3gpuE6ELNS1_3repE0EEENS1_47radix_sort_onesweep_sort_config_static_selectorELNS0_4arch9wavefront6targetE1EEEvSE_,"axG",@progbits,_ZN7rocprim17ROCPRIM_400000_NS6detail17trampoline_kernelINS0_14default_configENS1_35radix_sort_onesweep_config_selectorIjNS0_10empty_typeEEEZZNS1_29radix_sort_onesweep_iterationIS3_Lb1EPjS8_PS5_S9_mNS0_19identity_decomposerENS1_16block_id_wrapperIjLb0EEEEE10hipError_tT1_PNSt15iterator_traitsISE_E10value_typeET2_T3_PNSF_ISK_E10value_typeET4_T5_PSP_SQ_PNS1_23onesweep_lookback_stateEbbT6_jjT7_P12ihipStream_tbENKUlT_T0_SE_SJ_E_clIS8_S8_S9_S9_EEDaSX_SY_SE_SJ_EUlSX_E_NS1_11comp_targetILNS1_3genE2ELNS1_11target_archE906ELNS1_3gpuE6ELNS1_3repE0EEENS1_47radix_sort_onesweep_sort_config_static_selectorELNS0_4arch9wavefront6targetE1EEEvSE_,comdat
	.protected	_ZN7rocprim17ROCPRIM_400000_NS6detail17trampoline_kernelINS0_14default_configENS1_35radix_sort_onesweep_config_selectorIjNS0_10empty_typeEEEZZNS1_29radix_sort_onesweep_iterationIS3_Lb1EPjS8_PS5_S9_mNS0_19identity_decomposerENS1_16block_id_wrapperIjLb0EEEEE10hipError_tT1_PNSt15iterator_traitsISE_E10value_typeET2_T3_PNSF_ISK_E10value_typeET4_T5_PSP_SQ_PNS1_23onesweep_lookback_stateEbbT6_jjT7_P12ihipStream_tbENKUlT_T0_SE_SJ_E_clIS8_S8_S9_S9_EEDaSX_SY_SE_SJ_EUlSX_E_NS1_11comp_targetILNS1_3genE2ELNS1_11target_archE906ELNS1_3gpuE6ELNS1_3repE0EEENS1_47radix_sort_onesweep_sort_config_static_selectorELNS0_4arch9wavefront6targetE1EEEvSE_ ; -- Begin function _ZN7rocprim17ROCPRIM_400000_NS6detail17trampoline_kernelINS0_14default_configENS1_35radix_sort_onesweep_config_selectorIjNS0_10empty_typeEEEZZNS1_29radix_sort_onesweep_iterationIS3_Lb1EPjS8_PS5_S9_mNS0_19identity_decomposerENS1_16block_id_wrapperIjLb0EEEEE10hipError_tT1_PNSt15iterator_traitsISE_E10value_typeET2_T3_PNSF_ISK_E10value_typeET4_T5_PSP_SQ_PNS1_23onesweep_lookback_stateEbbT6_jjT7_P12ihipStream_tbENKUlT_T0_SE_SJ_E_clIS8_S8_S9_S9_EEDaSX_SY_SE_SJ_EUlSX_E_NS1_11comp_targetILNS1_3genE2ELNS1_11target_archE906ELNS1_3gpuE6ELNS1_3repE0EEENS1_47radix_sort_onesweep_sort_config_static_selectorELNS0_4arch9wavefront6targetE1EEEvSE_
	.globl	_ZN7rocprim17ROCPRIM_400000_NS6detail17trampoline_kernelINS0_14default_configENS1_35radix_sort_onesweep_config_selectorIjNS0_10empty_typeEEEZZNS1_29radix_sort_onesweep_iterationIS3_Lb1EPjS8_PS5_S9_mNS0_19identity_decomposerENS1_16block_id_wrapperIjLb0EEEEE10hipError_tT1_PNSt15iterator_traitsISE_E10value_typeET2_T3_PNSF_ISK_E10value_typeET4_T5_PSP_SQ_PNS1_23onesweep_lookback_stateEbbT6_jjT7_P12ihipStream_tbENKUlT_T0_SE_SJ_E_clIS8_S8_S9_S9_EEDaSX_SY_SE_SJ_EUlSX_E_NS1_11comp_targetILNS1_3genE2ELNS1_11target_archE906ELNS1_3gpuE6ELNS1_3repE0EEENS1_47radix_sort_onesweep_sort_config_static_selectorELNS0_4arch9wavefront6targetE1EEEvSE_
	.p2align	8
	.type	_ZN7rocprim17ROCPRIM_400000_NS6detail17trampoline_kernelINS0_14default_configENS1_35radix_sort_onesweep_config_selectorIjNS0_10empty_typeEEEZZNS1_29radix_sort_onesweep_iterationIS3_Lb1EPjS8_PS5_S9_mNS0_19identity_decomposerENS1_16block_id_wrapperIjLb0EEEEE10hipError_tT1_PNSt15iterator_traitsISE_E10value_typeET2_T3_PNSF_ISK_E10value_typeET4_T5_PSP_SQ_PNS1_23onesweep_lookback_stateEbbT6_jjT7_P12ihipStream_tbENKUlT_T0_SE_SJ_E_clIS8_S8_S9_S9_EEDaSX_SY_SE_SJ_EUlSX_E_NS1_11comp_targetILNS1_3genE2ELNS1_11target_archE906ELNS1_3gpuE6ELNS1_3repE0EEENS1_47radix_sort_onesweep_sort_config_static_selectorELNS0_4arch9wavefront6targetE1EEEvSE_,@function
_ZN7rocprim17ROCPRIM_400000_NS6detail17trampoline_kernelINS0_14default_configENS1_35radix_sort_onesweep_config_selectorIjNS0_10empty_typeEEEZZNS1_29radix_sort_onesweep_iterationIS3_Lb1EPjS8_PS5_S9_mNS0_19identity_decomposerENS1_16block_id_wrapperIjLb0EEEEE10hipError_tT1_PNSt15iterator_traitsISE_E10value_typeET2_T3_PNSF_ISK_E10value_typeET4_T5_PSP_SQ_PNS1_23onesweep_lookback_stateEbbT6_jjT7_P12ihipStream_tbENKUlT_T0_SE_SJ_E_clIS8_S8_S9_S9_EEDaSX_SY_SE_SJ_EUlSX_E_NS1_11comp_targetILNS1_3genE2ELNS1_11target_archE906ELNS1_3gpuE6ELNS1_3repE0EEENS1_47radix_sort_onesweep_sort_config_static_selectorELNS0_4arch9wavefront6targetE1EEEvSE_: ; @_ZN7rocprim17ROCPRIM_400000_NS6detail17trampoline_kernelINS0_14default_configENS1_35radix_sort_onesweep_config_selectorIjNS0_10empty_typeEEEZZNS1_29radix_sort_onesweep_iterationIS3_Lb1EPjS8_PS5_S9_mNS0_19identity_decomposerENS1_16block_id_wrapperIjLb0EEEEE10hipError_tT1_PNSt15iterator_traitsISE_E10value_typeET2_T3_PNSF_ISK_E10value_typeET4_T5_PSP_SQ_PNS1_23onesweep_lookback_stateEbbT6_jjT7_P12ihipStream_tbENKUlT_T0_SE_SJ_E_clIS8_S8_S9_S9_EEDaSX_SY_SE_SJ_EUlSX_E_NS1_11comp_targetILNS1_3genE2ELNS1_11target_archE906ELNS1_3gpuE6ELNS1_3repE0EEENS1_47radix_sort_onesweep_sort_config_static_selectorELNS0_4arch9wavefront6targetE1EEEvSE_
; %bb.0:
	.section	.rodata,"a",@progbits
	.p2align	6, 0x0
	.amdhsa_kernel _ZN7rocprim17ROCPRIM_400000_NS6detail17trampoline_kernelINS0_14default_configENS1_35radix_sort_onesweep_config_selectorIjNS0_10empty_typeEEEZZNS1_29radix_sort_onesweep_iterationIS3_Lb1EPjS8_PS5_S9_mNS0_19identity_decomposerENS1_16block_id_wrapperIjLb0EEEEE10hipError_tT1_PNSt15iterator_traitsISE_E10value_typeET2_T3_PNSF_ISK_E10value_typeET4_T5_PSP_SQ_PNS1_23onesweep_lookback_stateEbbT6_jjT7_P12ihipStream_tbENKUlT_T0_SE_SJ_E_clIS8_S8_S9_S9_EEDaSX_SY_SE_SJ_EUlSX_E_NS1_11comp_targetILNS1_3genE2ELNS1_11target_archE906ELNS1_3gpuE6ELNS1_3repE0EEENS1_47radix_sort_onesweep_sort_config_static_selectorELNS0_4arch9wavefront6targetE1EEEvSE_
		.amdhsa_group_segment_fixed_size 0
		.amdhsa_private_segment_fixed_size 0
		.amdhsa_kernarg_size 88
		.amdhsa_user_sgpr_count 6
		.amdhsa_user_sgpr_private_segment_buffer 1
		.amdhsa_user_sgpr_dispatch_ptr 0
		.amdhsa_user_sgpr_queue_ptr 0
		.amdhsa_user_sgpr_kernarg_segment_ptr 1
		.amdhsa_user_sgpr_dispatch_id 0
		.amdhsa_user_sgpr_flat_scratch_init 0
		.amdhsa_user_sgpr_kernarg_preload_length 0
		.amdhsa_user_sgpr_kernarg_preload_offset 0
		.amdhsa_user_sgpr_private_segment_size 0
		.amdhsa_uses_dynamic_stack 0
		.amdhsa_system_sgpr_private_segment_wavefront_offset 0
		.amdhsa_system_sgpr_workgroup_id_x 1
		.amdhsa_system_sgpr_workgroup_id_y 0
		.amdhsa_system_sgpr_workgroup_id_z 0
		.amdhsa_system_sgpr_workgroup_info 0
		.amdhsa_system_vgpr_workitem_id 0
		.amdhsa_next_free_vgpr 1
		.amdhsa_next_free_sgpr 0
		.amdhsa_accum_offset 4
		.amdhsa_reserve_vcc 0
		.amdhsa_reserve_flat_scratch 0
		.amdhsa_float_round_mode_32 0
		.amdhsa_float_round_mode_16_64 0
		.amdhsa_float_denorm_mode_32 3
		.amdhsa_float_denorm_mode_16_64 3
		.amdhsa_dx10_clamp 1
		.amdhsa_ieee_mode 1
		.amdhsa_fp16_overflow 0
		.amdhsa_tg_split 0
		.amdhsa_exception_fp_ieee_invalid_op 0
		.amdhsa_exception_fp_denorm_src 0
		.amdhsa_exception_fp_ieee_div_zero 0
		.amdhsa_exception_fp_ieee_overflow 0
		.amdhsa_exception_fp_ieee_underflow 0
		.amdhsa_exception_fp_ieee_inexact 0
		.amdhsa_exception_int_div_zero 0
	.end_amdhsa_kernel
	.section	.text._ZN7rocprim17ROCPRIM_400000_NS6detail17trampoline_kernelINS0_14default_configENS1_35radix_sort_onesweep_config_selectorIjNS0_10empty_typeEEEZZNS1_29radix_sort_onesweep_iterationIS3_Lb1EPjS8_PS5_S9_mNS0_19identity_decomposerENS1_16block_id_wrapperIjLb0EEEEE10hipError_tT1_PNSt15iterator_traitsISE_E10value_typeET2_T3_PNSF_ISK_E10value_typeET4_T5_PSP_SQ_PNS1_23onesweep_lookback_stateEbbT6_jjT7_P12ihipStream_tbENKUlT_T0_SE_SJ_E_clIS8_S8_S9_S9_EEDaSX_SY_SE_SJ_EUlSX_E_NS1_11comp_targetILNS1_3genE2ELNS1_11target_archE906ELNS1_3gpuE6ELNS1_3repE0EEENS1_47radix_sort_onesweep_sort_config_static_selectorELNS0_4arch9wavefront6targetE1EEEvSE_,"axG",@progbits,_ZN7rocprim17ROCPRIM_400000_NS6detail17trampoline_kernelINS0_14default_configENS1_35radix_sort_onesweep_config_selectorIjNS0_10empty_typeEEEZZNS1_29radix_sort_onesweep_iterationIS3_Lb1EPjS8_PS5_S9_mNS0_19identity_decomposerENS1_16block_id_wrapperIjLb0EEEEE10hipError_tT1_PNSt15iterator_traitsISE_E10value_typeET2_T3_PNSF_ISK_E10value_typeET4_T5_PSP_SQ_PNS1_23onesweep_lookback_stateEbbT6_jjT7_P12ihipStream_tbENKUlT_T0_SE_SJ_E_clIS8_S8_S9_S9_EEDaSX_SY_SE_SJ_EUlSX_E_NS1_11comp_targetILNS1_3genE2ELNS1_11target_archE906ELNS1_3gpuE6ELNS1_3repE0EEENS1_47radix_sort_onesweep_sort_config_static_selectorELNS0_4arch9wavefront6targetE1EEEvSE_,comdat
.Lfunc_end2117:
	.size	_ZN7rocprim17ROCPRIM_400000_NS6detail17trampoline_kernelINS0_14default_configENS1_35radix_sort_onesweep_config_selectorIjNS0_10empty_typeEEEZZNS1_29radix_sort_onesweep_iterationIS3_Lb1EPjS8_PS5_S9_mNS0_19identity_decomposerENS1_16block_id_wrapperIjLb0EEEEE10hipError_tT1_PNSt15iterator_traitsISE_E10value_typeET2_T3_PNSF_ISK_E10value_typeET4_T5_PSP_SQ_PNS1_23onesweep_lookback_stateEbbT6_jjT7_P12ihipStream_tbENKUlT_T0_SE_SJ_E_clIS8_S8_S9_S9_EEDaSX_SY_SE_SJ_EUlSX_E_NS1_11comp_targetILNS1_3genE2ELNS1_11target_archE906ELNS1_3gpuE6ELNS1_3repE0EEENS1_47radix_sort_onesweep_sort_config_static_selectorELNS0_4arch9wavefront6targetE1EEEvSE_, .Lfunc_end2117-_ZN7rocprim17ROCPRIM_400000_NS6detail17trampoline_kernelINS0_14default_configENS1_35radix_sort_onesweep_config_selectorIjNS0_10empty_typeEEEZZNS1_29radix_sort_onesweep_iterationIS3_Lb1EPjS8_PS5_S9_mNS0_19identity_decomposerENS1_16block_id_wrapperIjLb0EEEEE10hipError_tT1_PNSt15iterator_traitsISE_E10value_typeET2_T3_PNSF_ISK_E10value_typeET4_T5_PSP_SQ_PNS1_23onesweep_lookback_stateEbbT6_jjT7_P12ihipStream_tbENKUlT_T0_SE_SJ_E_clIS8_S8_S9_S9_EEDaSX_SY_SE_SJ_EUlSX_E_NS1_11comp_targetILNS1_3genE2ELNS1_11target_archE906ELNS1_3gpuE6ELNS1_3repE0EEENS1_47radix_sort_onesweep_sort_config_static_selectorELNS0_4arch9wavefront6targetE1EEEvSE_
                                        ; -- End function
	.section	.AMDGPU.csdata,"",@progbits
; Kernel info:
; codeLenInByte = 0
; NumSgprs: 4
; NumVgprs: 0
; NumAgprs: 0
; TotalNumVgprs: 0
; ScratchSize: 0
; MemoryBound: 0
; FloatMode: 240
; IeeeMode: 1
; LDSByteSize: 0 bytes/workgroup (compile time only)
; SGPRBlocks: 0
; VGPRBlocks: 0
; NumSGPRsForWavesPerEU: 4
; NumVGPRsForWavesPerEU: 1
; AccumOffset: 4
; Occupancy: 8
; WaveLimiterHint : 0
; COMPUTE_PGM_RSRC2:SCRATCH_EN: 0
; COMPUTE_PGM_RSRC2:USER_SGPR: 6
; COMPUTE_PGM_RSRC2:TRAP_HANDLER: 0
; COMPUTE_PGM_RSRC2:TGID_X_EN: 1
; COMPUTE_PGM_RSRC2:TGID_Y_EN: 0
; COMPUTE_PGM_RSRC2:TGID_Z_EN: 0
; COMPUTE_PGM_RSRC2:TIDIG_COMP_CNT: 0
; COMPUTE_PGM_RSRC3_GFX90A:ACCUM_OFFSET: 0
; COMPUTE_PGM_RSRC3_GFX90A:TG_SPLIT: 0
	.section	.text._ZN7rocprim17ROCPRIM_400000_NS6detail17trampoline_kernelINS0_14default_configENS1_35radix_sort_onesweep_config_selectorIjNS0_10empty_typeEEEZZNS1_29radix_sort_onesweep_iterationIS3_Lb1EPjS8_PS5_S9_mNS0_19identity_decomposerENS1_16block_id_wrapperIjLb0EEEEE10hipError_tT1_PNSt15iterator_traitsISE_E10value_typeET2_T3_PNSF_ISK_E10value_typeET4_T5_PSP_SQ_PNS1_23onesweep_lookback_stateEbbT6_jjT7_P12ihipStream_tbENKUlT_T0_SE_SJ_E_clIS8_S8_S9_S9_EEDaSX_SY_SE_SJ_EUlSX_E_NS1_11comp_targetILNS1_3genE4ELNS1_11target_archE910ELNS1_3gpuE8ELNS1_3repE0EEENS1_47radix_sort_onesweep_sort_config_static_selectorELNS0_4arch9wavefront6targetE1EEEvSE_,"axG",@progbits,_ZN7rocprim17ROCPRIM_400000_NS6detail17trampoline_kernelINS0_14default_configENS1_35radix_sort_onesweep_config_selectorIjNS0_10empty_typeEEEZZNS1_29radix_sort_onesweep_iterationIS3_Lb1EPjS8_PS5_S9_mNS0_19identity_decomposerENS1_16block_id_wrapperIjLb0EEEEE10hipError_tT1_PNSt15iterator_traitsISE_E10value_typeET2_T3_PNSF_ISK_E10value_typeET4_T5_PSP_SQ_PNS1_23onesweep_lookback_stateEbbT6_jjT7_P12ihipStream_tbENKUlT_T0_SE_SJ_E_clIS8_S8_S9_S9_EEDaSX_SY_SE_SJ_EUlSX_E_NS1_11comp_targetILNS1_3genE4ELNS1_11target_archE910ELNS1_3gpuE8ELNS1_3repE0EEENS1_47radix_sort_onesweep_sort_config_static_selectorELNS0_4arch9wavefront6targetE1EEEvSE_,comdat
	.protected	_ZN7rocprim17ROCPRIM_400000_NS6detail17trampoline_kernelINS0_14default_configENS1_35radix_sort_onesweep_config_selectorIjNS0_10empty_typeEEEZZNS1_29radix_sort_onesweep_iterationIS3_Lb1EPjS8_PS5_S9_mNS0_19identity_decomposerENS1_16block_id_wrapperIjLb0EEEEE10hipError_tT1_PNSt15iterator_traitsISE_E10value_typeET2_T3_PNSF_ISK_E10value_typeET4_T5_PSP_SQ_PNS1_23onesweep_lookback_stateEbbT6_jjT7_P12ihipStream_tbENKUlT_T0_SE_SJ_E_clIS8_S8_S9_S9_EEDaSX_SY_SE_SJ_EUlSX_E_NS1_11comp_targetILNS1_3genE4ELNS1_11target_archE910ELNS1_3gpuE8ELNS1_3repE0EEENS1_47radix_sort_onesweep_sort_config_static_selectorELNS0_4arch9wavefront6targetE1EEEvSE_ ; -- Begin function _ZN7rocprim17ROCPRIM_400000_NS6detail17trampoline_kernelINS0_14default_configENS1_35radix_sort_onesweep_config_selectorIjNS0_10empty_typeEEEZZNS1_29radix_sort_onesweep_iterationIS3_Lb1EPjS8_PS5_S9_mNS0_19identity_decomposerENS1_16block_id_wrapperIjLb0EEEEE10hipError_tT1_PNSt15iterator_traitsISE_E10value_typeET2_T3_PNSF_ISK_E10value_typeET4_T5_PSP_SQ_PNS1_23onesweep_lookback_stateEbbT6_jjT7_P12ihipStream_tbENKUlT_T0_SE_SJ_E_clIS8_S8_S9_S9_EEDaSX_SY_SE_SJ_EUlSX_E_NS1_11comp_targetILNS1_3genE4ELNS1_11target_archE910ELNS1_3gpuE8ELNS1_3repE0EEENS1_47radix_sort_onesweep_sort_config_static_selectorELNS0_4arch9wavefront6targetE1EEEvSE_
	.globl	_ZN7rocprim17ROCPRIM_400000_NS6detail17trampoline_kernelINS0_14default_configENS1_35radix_sort_onesweep_config_selectorIjNS0_10empty_typeEEEZZNS1_29radix_sort_onesweep_iterationIS3_Lb1EPjS8_PS5_S9_mNS0_19identity_decomposerENS1_16block_id_wrapperIjLb0EEEEE10hipError_tT1_PNSt15iterator_traitsISE_E10value_typeET2_T3_PNSF_ISK_E10value_typeET4_T5_PSP_SQ_PNS1_23onesweep_lookback_stateEbbT6_jjT7_P12ihipStream_tbENKUlT_T0_SE_SJ_E_clIS8_S8_S9_S9_EEDaSX_SY_SE_SJ_EUlSX_E_NS1_11comp_targetILNS1_3genE4ELNS1_11target_archE910ELNS1_3gpuE8ELNS1_3repE0EEENS1_47radix_sort_onesweep_sort_config_static_selectorELNS0_4arch9wavefront6targetE1EEEvSE_
	.p2align	8
	.type	_ZN7rocprim17ROCPRIM_400000_NS6detail17trampoline_kernelINS0_14default_configENS1_35radix_sort_onesweep_config_selectorIjNS0_10empty_typeEEEZZNS1_29radix_sort_onesweep_iterationIS3_Lb1EPjS8_PS5_S9_mNS0_19identity_decomposerENS1_16block_id_wrapperIjLb0EEEEE10hipError_tT1_PNSt15iterator_traitsISE_E10value_typeET2_T3_PNSF_ISK_E10value_typeET4_T5_PSP_SQ_PNS1_23onesweep_lookback_stateEbbT6_jjT7_P12ihipStream_tbENKUlT_T0_SE_SJ_E_clIS8_S8_S9_S9_EEDaSX_SY_SE_SJ_EUlSX_E_NS1_11comp_targetILNS1_3genE4ELNS1_11target_archE910ELNS1_3gpuE8ELNS1_3repE0EEENS1_47radix_sort_onesweep_sort_config_static_selectorELNS0_4arch9wavefront6targetE1EEEvSE_,@function
_ZN7rocprim17ROCPRIM_400000_NS6detail17trampoline_kernelINS0_14default_configENS1_35radix_sort_onesweep_config_selectorIjNS0_10empty_typeEEEZZNS1_29radix_sort_onesweep_iterationIS3_Lb1EPjS8_PS5_S9_mNS0_19identity_decomposerENS1_16block_id_wrapperIjLb0EEEEE10hipError_tT1_PNSt15iterator_traitsISE_E10value_typeET2_T3_PNSF_ISK_E10value_typeET4_T5_PSP_SQ_PNS1_23onesweep_lookback_stateEbbT6_jjT7_P12ihipStream_tbENKUlT_T0_SE_SJ_E_clIS8_S8_S9_S9_EEDaSX_SY_SE_SJ_EUlSX_E_NS1_11comp_targetILNS1_3genE4ELNS1_11target_archE910ELNS1_3gpuE8ELNS1_3repE0EEENS1_47radix_sort_onesweep_sort_config_static_selectorELNS0_4arch9wavefront6targetE1EEEvSE_: ; @_ZN7rocprim17ROCPRIM_400000_NS6detail17trampoline_kernelINS0_14default_configENS1_35radix_sort_onesweep_config_selectorIjNS0_10empty_typeEEEZZNS1_29radix_sort_onesweep_iterationIS3_Lb1EPjS8_PS5_S9_mNS0_19identity_decomposerENS1_16block_id_wrapperIjLb0EEEEE10hipError_tT1_PNSt15iterator_traitsISE_E10value_typeET2_T3_PNSF_ISK_E10value_typeET4_T5_PSP_SQ_PNS1_23onesweep_lookback_stateEbbT6_jjT7_P12ihipStream_tbENKUlT_T0_SE_SJ_E_clIS8_S8_S9_S9_EEDaSX_SY_SE_SJ_EUlSX_E_NS1_11comp_targetILNS1_3genE4ELNS1_11target_archE910ELNS1_3gpuE8ELNS1_3repE0EEENS1_47radix_sort_onesweep_sort_config_static_selectorELNS0_4arch9wavefront6targetE1EEEvSE_
; %bb.0:
	s_load_dwordx4 s[16:19], s[4:5], 0x44
	s_load_dwordx2 s[24:25], s[4:5], 0x38
	s_load_dwordx4 s[20:23], s[4:5], 0x0
	s_load_dwordx4 s[12:15], s[4:5], 0x28
	s_mul_i32 s26, s6, 0x3000
	s_waitcnt lgkmcnt(0)
	s_cmp_ge_u32 s6, s18
	v_mbcnt_lo_u32_b32 v12, -1, 0
	s_cbranch_scc0 .LBB2118_81
; %bb.1:
	s_load_dword s7, s[4:5], 0x20
	s_mul_i32 s2, s18, 0xffffd000
	s_mov_b32 s27, 0
	v_and_b32_e32 v2, 0x3ff, v0
	s_lshl_b64 s[0:1], s[26:27], 2
	s_waitcnt lgkmcnt(0)
	s_add_i32 s7, s7, s2
	v_mbcnt_hi_u32_b32 v1, -1, v12
	s_add_u32 s0, s20, s0
	v_and_b32_e32 v3, 63, v1
	v_and_b32_e32 v4, 0x3c0, v2
	s_addc_u32 s1, s21, s1
	v_mul_u32_u24_e32 v6, 12, v4
	v_lshlrev_b32_e32 v4, 2, v3
	v_mov_b32_e32 v5, s1
	v_add_co_u32_e32 v4, vcc, s0, v4
	v_addc_co_u32_e32 v5, vcc, 0, v5, vcc
	v_lshlrev_b32_e32 v7, 2, v6
	v_add_co_u32_e32 v4, vcc, v4, v7
	v_addc_co_u32_e32 v5, vcc, 0, v5, vcc
	v_or_b32_e32 v6, v3, v6
	v_mov_b32_e32 v15, 0
	v_cmp_gt_u32_e32 vcc, s7, v6
	v_mov_b32_e32 v3, 0
	s_and_saveexec_b64 s[0:1], vcc
	s_cbranch_execz .LBB2118_3
; %bb.2:
	global_load_dword v3, v[4:5], off
.LBB2118_3:
	s_or_b64 exec, exec, s[0:1]
	v_or_b32_e32 v7, 64, v6
	v_cmp_gt_u32_e32 vcc, s7, v7
	v_mov_b32_e32 v9, 0
	s_and_saveexec_b64 s[0:1], vcc
	s_cbranch_execz .LBB2118_5
; %bb.4:
	global_load_dword v9, v[4:5], off offset:256
.LBB2118_5:
	s_or_b64 exec, exec, s[0:1]
	v_or_b32_e32 v7, 0x80, v6
	v_cmp_gt_u32_e32 vcc, s7, v7
	s_and_saveexec_b64 s[0:1], vcc
	s_cbranch_execz .LBB2118_7
; %bb.6:
	global_load_dword v15, v[4:5], off offset:512
.LBB2118_7:
	s_or_b64 exec, exec, s[0:1]
	v_or_b32_e32 v7, 0xc0, v6
	v_cmp_gt_u32_e32 vcc, s7, v7
	v_mov_b32_e32 v21, 0
	v_mov_b32_e32 v18, 0
	s_and_saveexec_b64 s[0:1], vcc
	s_cbranch_execz .LBB2118_9
; %bb.8:
	global_load_dword v18, v[4:5], off offset:768
.LBB2118_9:
	s_or_b64 exec, exec, s[0:1]
	v_add_u32_e32 v7, 0x100, v6
	v_cmp_gt_u32_e32 vcc, s7, v7
	s_and_saveexec_b64 s[0:1], vcc
	s_cbranch_execz .LBB2118_11
; %bb.10:
	global_load_dword v21, v[4:5], off offset:1024
.LBB2118_11:
	s_or_b64 exec, exec, s[0:1]
	v_add_u32_e32 v7, 0x140, v6
	v_cmp_gt_u32_e32 vcc, s7, v7
	v_mov_b32_e32 v28, 0
	v_mov_b32_e32 v24, 0
	s_and_saveexec_b64 s[0:1], vcc
	s_cbranch_execz .LBB2118_13
; %bb.12:
	global_load_dword v24, v[4:5], off offset:1280
.LBB2118_13:
	s_or_b64 exec, exec, s[0:1]
	v_add_u32_e32 v7, 0x180, v6
	v_cmp_gt_u32_e32 vcc, s7, v7
	s_and_saveexec_b64 s[0:1], vcc
	s_cbranch_execz .LBB2118_15
; %bb.14:
	global_load_dword v28, v[4:5], off offset:1536
.LBB2118_15:
	s_or_b64 exec, exec, s[0:1]
	v_add_u32_e32 v7, 0x1c0, v6
	v_cmp_gt_u32_e32 vcc, s7, v7
	v_mov_b32_e32 v35, 0
	v_mov_b32_e32 v34, 0
	s_and_saveexec_b64 s[0:1], vcc
	s_cbranch_execz .LBB2118_17
; %bb.16:
	global_load_dword v34, v[4:5], off offset:1792
.LBB2118_17:
	s_or_b64 exec, exec, s[0:1]
	v_add_u32_e32 v7, 0x200, v6
	v_cmp_gt_u32_e32 vcc, s7, v7
	s_and_saveexec_b64 s[0:1], vcc
	s_cbranch_execz .LBB2118_19
; %bb.18:
	global_load_dword v35, v[4:5], off offset:2048
.LBB2118_19:
	s_or_b64 exec, exec, s[0:1]
	v_add_u32_e32 v7, 0x240, v6
	v_cmp_gt_u32_e32 vcc, s7, v7
	v_mov_b32_e32 v11, 0
	v_mov_b32_e32 v31, 0
	s_and_saveexec_b64 s[0:1], vcc
	s_cbranch_execz .LBB2118_21
; %bb.20:
	global_load_dword v31, v[4:5], off offset:2304
.LBB2118_21:
	s_or_b64 exec, exec, s[0:1]
	v_add_u32_e32 v7, 0x280, v6
	v_cmp_gt_u32_e32 vcc, s7, v7
	s_and_saveexec_b64 s[0:1], vcc
	s_cbranch_execz .LBB2118_23
; %bb.22:
	global_load_dword v11, v[4:5], off offset:2560
.LBB2118_23:
	s_or_b64 exec, exec, s[0:1]
	v_add_u32_e32 v6, 0x2c0, v6
	v_cmp_gt_u32_e32 vcc, s7, v6
	v_mov_b32_e32 v6, 0
	v_mov_b32_e32 v10, 0
	s_and_saveexec_b64 s[0:1], vcc
	s_cbranch_execz .LBB2118_25
; %bb.24:
	global_load_dword v10, v[4:5], off offset:2816
.LBB2118_25:
	s_or_b64 exec, exec, s[0:1]
	s_load_dword s0, s[4:5], 0x64
	s_load_dword s27, s[4:5], 0x58
	s_add_u32 s1, s4, 0x58
	s_addc_u32 s2, s5, 0
	s_waitcnt vmcnt(0)
	v_not_b32_e32 v13, v3
	s_waitcnt lgkmcnt(0)
	s_lshr_b32 s3, s0, 16
	s_cmp_lt_u32 s6, s27
	s_cselect_b32 s0, 12, 18
	s_add_u32 s0, s1, s0
	s_addc_u32 s1, s2, 0
	global_load_ushort v4, v6, s[0:1]
	s_lshl_b32 s0, -1, s17
	v_lshrrev_b32_e32 v8, s16, v13
	s_not_b32 s28, s0
	v_and_b32_e32 v8, s28, v8
	v_and_b32_e32 v16, 1, v8
	v_bfe_u32 v5, v0, 10, 10
	v_bfe_u32 v7, v0, 20, 10
	v_add_co_u32_e32 v17, vcc, -1, v16
	v_mad_u32_u24 v5, v7, s3, v5
	v_lshlrev_b32_e32 v7, 30, v8
	v_addc_co_u32_e64 v19, s[0:1], 0, -1, vcc
	v_cmp_ne_u32_e32 vcc, 0, v16
	v_cmp_gt_i64_e64 s[0:1], 0, v[6:7]
	v_not_b32_e32 v16, v7
	v_lshlrev_b32_e32 v7, 29, v8
	v_xor_b32_e32 v19, vcc_hi, v19
	v_xor_b32_e32 v17, vcc_lo, v17
	v_ashrrev_i32_e32 v16, 31, v16
	v_cmp_gt_i64_e32 vcc, 0, v[6:7]
	v_not_b32_e32 v20, v7
	v_lshlrev_b32_e32 v7, 28, v8
	v_and_b32_e32 v19, exec_hi, v19
	v_and_b32_e32 v17, exec_lo, v17
	v_xor_b32_e32 v22, s1, v16
	v_xor_b32_e32 v16, s0, v16
	v_ashrrev_i32_e32 v20, 31, v20
	v_cmp_gt_i64_e64 s[0:1], 0, v[6:7]
	v_not_b32_e32 v23, v7
	v_lshlrev_b32_e32 v7, 27, v8
	v_and_b32_e32 v19, v19, v22
	v_and_b32_e32 v16, v17, v16
	v_xor_b32_e32 v17, vcc_hi, v20
	v_xor_b32_e32 v20, vcc_lo, v20
	v_ashrrev_i32_e32 v22, 31, v23
	v_cmp_gt_i64_e32 vcc, 0, v[6:7]
	v_not_b32_e32 v23, v7
	v_lshlrev_b32_e32 v7, 26, v8
	v_mul_u32_u24_e32 v3, 5, v2
	v_and_b32_e32 v17, v19, v17
	v_and_b32_e32 v16, v16, v20
	v_xor_b32_e32 v19, s1, v22
	v_xor_b32_e32 v20, s0, v22
	v_ashrrev_i32_e32 v22, 31, v23
	v_cmp_gt_i64_e64 s[0:1], 0, v[6:7]
	v_not_b32_e32 v23, v7
	v_lshlrev_b32_e32 v7, 25, v8
	v_lshlrev_b32_e32 v3, 2, v3
	v_and_b32_e32 v17, v17, v19
	v_and_b32_e32 v16, v16, v20
	v_xor_b32_e32 v19, vcc_hi, v22
	v_xor_b32_e32 v20, vcc_lo, v22
	v_ashrrev_i32_e32 v22, 31, v23
	v_cmp_gt_i64_e32 vcc, 0, v[6:7]
	v_not_b32_e32 v23, v7
	v_lshlrev_b32_e32 v7, 24, v8
	ds_write2_b32 v3, v6, v6 offset0:16 offset1:17
	ds_write2_b32 v3, v6, v6 offset0:18 offset1:19
	ds_write_b32 v3, v6 offset:80
	v_lshl_add_u32 v14, v8, 4, v8
	v_and_b32_e32 v8, v17, v19
	v_and_b32_e32 v16, v16, v20
	v_xor_b32_e32 v17, s1, v22
	v_xor_b32_e32 v19, s0, v22
	v_ashrrev_i32_e32 v20, 31, v23
	v_cmp_gt_i64_e64 s[0:1], 0, v[6:7]
	v_not_b32_e32 v6, v7
	v_and_b32_e32 v7, v8, v17
	v_and_b32_e32 v8, v16, v19
	v_xor_b32_e32 v16, vcc_hi, v20
	v_xor_b32_e32 v17, vcc_lo, v20
	v_ashrrev_i32_e32 v6, 31, v6
	v_and_b32_e32 v7, v7, v16
	v_and_b32_e32 v16, v8, v17
	s_waitcnt lgkmcnt(0)
	s_barrier
	s_waitcnt lgkmcnt(0)
	; wave barrier
	s_waitcnt vmcnt(0)
	v_mad_u64_u32 v[4:5], s[2:3], v5, v4, v[2:3]
	v_lshrrev_b32_e32 v29, 6, v4
	v_xor_b32_e32 v4, s1, v6
	v_xor_b32_e32 v6, s0, v6
	v_and_b32_e32 v5, v7, v4
	v_and_b32_e32 v4, v16, v6
	v_mbcnt_lo_u32_b32 v6, v4, 0
	v_mbcnt_hi_u32_b32 v16, v5, v6
	v_cmp_eq_u32_e32 vcc, 0, v16
	v_cmp_ne_u64_e64 s[0:1], 0, v[4:5]
	v_add_lshl_u32 v8, v29, v14, 2
	s_and_b64 s[2:3], s[0:1], vcc
	s_and_saveexec_b64 s[0:1], s[2:3]
	s_cbranch_execz .LBB2118_27
; %bb.26:
	v_bcnt_u32_b32 v4, v4, 0
	v_bcnt_u32_b32 v4, v5, v4
	ds_write_b32 v8, v4 offset:64
.LBB2118_27:
	s_or_b64 exec, exec, s[0:1]
	v_not_b32_e32 v14, v9
	v_lshrrev_b32_e32 v4, s16, v14
	v_and_b32_e32 v6, s28, v4
	v_and_b32_e32 v5, 1, v6
	v_add_co_u32_e32 v7, vcc, -1, v5
	v_addc_co_u32_e64 v19, s[0:1], 0, -1, vcc
	v_cmp_ne_u32_e32 vcc, 0, v5
	v_lshl_add_u32 v4, v6, 4, v6
	v_xor_b32_e32 v5, vcc_hi, v19
	v_add_lshl_u32 v9, v29, v4, 2
	v_mov_b32_e32 v4, 0
	v_and_b32_e32 v19, exec_hi, v5
	v_lshlrev_b32_e32 v5, 30, v6
	v_xor_b32_e32 v7, vcc_lo, v7
	v_cmp_gt_i64_e32 vcc, 0, v[4:5]
	v_not_b32_e32 v5, v5
	v_ashrrev_i32_e32 v5, 31, v5
	v_and_b32_e32 v7, exec_lo, v7
	v_xor_b32_e32 v20, vcc_hi, v5
	v_xor_b32_e32 v5, vcc_lo, v5
	v_and_b32_e32 v7, v7, v5
	v_lshlrev_b32_e32 v5, 29, v6
	v_cmp_gt_i64_e32 vcc, 0, v[4:5]
	v_not_b32_e32 v5, v5
	v_ashrrev_i32_e32 v5, 31, v5
	v_and_b32_e32 v19, v19, v20
	v_xor_b32_e32 v20, vcc_hi, v5
	v_xor_b32_e32 v5, vcc_lo, v5
	v_and_b32_e32 v7, v7, v5
	v_lshlrev_b32_e32 v5, 28, v6
	v_cmp_gt_i64_e32 vcc, 0, v[4:5]
	v_not_b32_e32 v5, v5
	v_ashrrev_i32_e32 v5, 31, v5
	v_and_b32_e32 v19, v19, v20
	;; [unrolled: 8-line block ×5, first 2 shown]
	v_xor_b32_e32 v20, vcc_hi, v5
	v_xor_b32_e32 v5, vcc_lo, v5
	v_and_b32_e32 v19, v19, v20
	v_and_b32_e32 v20, v7, v5
	v_lshlrev_b32_e32 v5, 24, v6
	v_cmp_gt_i64_e32 vcc, 0, v[4:5]
	v_not_b32_e32 v5, v5
	v_ashrrev_i32_e32 v5, 31, v5
	v_xor_b32_e32 v6, vcc_hi, v5
	v_xor_b32_e32 v5, vcc_lo, v5
	; wave barrier
	ds_read_b32 v17, v9 offset:64
	v_and_b32_e32 v7, v19, v6
	v_and_b32_e32 v6, v20, v5
	v_mbcnt_lo_u32_b32 v5, v6, 0
	v_mbcnt_hi_u32_b32 v19, v7, v5
	v_cmp_eq_u32_e32 vcc, 0, v19
	v_cmp_ne_u64_e64 s[0:1], 0, v[6:7]
	s_and_b64 s[2:3], s[0:1], vcc
	; wave barrier
	s_and_saveexec_b64 s[0:1], s[2:3]
	s_cbranch_execz .LBB2118_29
; %bb.28:
	v_bcnt_u32_b32 v5, v6, 0
	v_bcnt_u32_b32 v5, v7, v5
	s_waitcnt lgkmcnt(0)
	v_add_u32_e32 v5, v17, v5
	ds_write_b32 v9, v5 offset:64
.LBB2118_29:
	s_or_b64 exec, exec, s[0:1]
	v_not_b32_e32 v15, v15
	v_lshrrev_b32_e32 v5, s16, v15
	v_and_b32_e32 v6, s28, v5
	v_lshl_add_u32 v5, v6, 4, v6
	v_add_lshl_u32 v26, v29, v5, 2
	v_and_b32_e32 v5, 1, v6
	v_add_co_u32_e32 v7, vcc, -1, v5
	v_addc_co_u32_e64 v22, s[0:1], 0, -1, vcc
	v_cmp_ne_u32_e32 vcc, 0, v5
	v_xor_b32_e32 v5, vcc_hi, v22
	v_and_b32_e32 v22, exec_hi, v5
	v_lshlrev_b32_e32 v5, 30, v6
	v_xor_b32_e32 v7, vcc_lo, v7
	v_cmp_gt_i64_e32 vcc, 0, v[4:5]
	v_not_b32_e32 v5, v5
	v_ashrrev_i32_e32 v5, 31, v5
	v_and_b32_e32 v7, exec_lo, v7
	v_xor_b32_e32 v23, vcc_hi, v5
	v_xor_b32_e32 v5, vcc_lo, v5
	v_and_b32_e32 v7, v7, v5
	v_lshlrev_b32_e32 v5, 29, v6
	v_cmp_gt_i64_e32 vcc, 0, v[4:5]
	v_not_b32_e32 v5, v5
	v_ashrrev_i32_e32 v5, 31, v5
	v_and_b32_e32 v22, v22, v23
	v_xor_b32_e32 v23, vcc_hi, v5
	v_xor_b32_e32 v5, vcc_lo, v5
	v_and_b32_e32 v7, v7, v5
	v_lshlrev_b32_e32 v5, 28, v6
	v_cmp_gt_i64_e32 vcc, 0, v[4:5]
	v_not_b32_e32 v5, v5
	v_ashrrev_i32_e32 v5, 31, v5
	v_and_b32_e32 v22, v22, v23
	;; [unrolled: 8-line block ×5, first 2 shown]
	v_xor_b32_e32 v23, vcc_hi, v5
	v_xor_b32_e32 v5, vcc_lo, v5
	v_and_b32_e32 v7, v7, v5
	v_lshlrev_b32_e32 v5, 24, v6
	v_cmp_gt_i64_e32 vcc, 0, v[4:5]
	v_not_b32_e32 v4, v5
	v_ashrrev_i32_e32 v4, 31, v4
	v_xor_b32_e32 v5, vcc_hi, v4
	v_xor_b32_e32 v4, vcc_lo, v4
	; wave barrier
	ds_read_b32 v20, v26 offset:64
	v_and_b32_e32 v22, v22, v23
	v_and_b32_e32 v4, v7, v4
	;; [unrolled: 1-line block ×3, first 2 shown]
	v_mbcnt_lo_u32_b32 v6, v4, 0
	v_mbcnt_hi_u32_b32 v22, v5, v6
	v_cmp_eq_u32_e32 vcc, 0, v22
	v_cmp_ne_u64_e64 s[0:1], 0, v[4:5]
	s_and_b64 s[2:3], s[0:1], vcc
	; wave barrier
	s_and_saveexec_b64 s[0:1], s[2:3]
	s_cbranch_execz .LBB2118_31
; %bb.30:
	v_bcnt_u32_b32 v4, v4, 0
	v_bcnt_u32_b32 v4, v5, v4
	s_waitcnt lgkmcnt(0)
	v_add_u32_e32 v4, v20, v4
	ds_write_b32 v26, v4 offset:64
.LBB2118_31:
	s_or_b64 exec, exec, s[0:1]
	v_not_b32_e32 v18, v18
	v_lshrrev_b32_e32 v4, s16, v18
	v_and_b32_e32 v6, s28, v4
	v_and_b32_e32 v5, 1, v6
	v_add_co_u32_e32 v7, vcc, -1, v5
	v_addc_co_u32_e64 v25, s[0:1], 0, -1, vcc
	v_cmp_ne_u32_e32 vcc, 0, v5
	v_lshl_add_u32 v4, v6, 4, v6
	v_xor_b32_e32 v5, vcc_hi, v25
	v_add_lshl_u32 v32, v29, v4, 2
	v_mov_b32_e32 v4, 0
	v_and_b32_e32 v25, exec_hi, v5
	v_lshlrev_b32_e32 v5, 30, v6
	v_xor_b32_e32 v7, vcc_lo, v7
	v_cmp_gt_i64_e32 vcc, 0, v[4:5]
	v_not_b32_e32 v5, v5
	v_ashrrev_i32_e32 v5, 31, v5
	v_and_b32_e32 v7, exec_lo, v7
	v_xor_b32_e32 v27, vcc_hi, v5
	v_xor_b32_e32 v5, vcc_lo, v5
	v_and_b32_e32 v7, v7, v5
	v_lshlrev_b32_e32 v5, 29, v6
	v_cmp_gt_i64_e32 vcc, 0, v[4:5]
	v_not_b32_e32 v5, v5
	v_ashrrev_i32_e32 v5, 31, v5
	v_and_b32_e32 v25, v25, v27
	v_xor_b32_e32 v27, vcc_hi, v5
	v_xor_b32_e32 v5, vcc_lo, v5
	v_and_b32_e32 v7, v7, v5
	v_lshlrev_b32_e32 v5, 28, v6
	v_cmp_gt_i64_e32 vcc, 0, v[4:5]
	v_not_b32_e32 v5, v5
	v_ashrrev_i32_e32 v5, 31, v5
	v_and_b32_e32 v25, v25, v27
	;; [unrolled: 8-line block ×5, first 2 shown]
	v_xor_b32_e32 v27, vcc_hi, v5
	v_xor_b32_e32 v5, vcc_lo, v5
	v_and_b32_e32 v25, v25, v27
	v_and_b32_e32 v27, v7, v5
	v_lshlrev_b32_e32 v5, 24, v6
	v_cmp_gt_i64_e32 vcc, 0, v[4:5]
	v_not_b32_e32 v5, v5
	v_ashrrev_i32_e32 v5, 31, v5
	v_xor_b32_e32 v6, vcc_hi, v5
	v_xor_b32_e32 v5, vcc_lo, v5
	; wave barrier
	ds_read_b32 v23, v32 offset:64
	v_and_b32_e32 v7, v25, v6
	v_and_b32_e32 v6, v27, v5
	v_mbcnt_lo_u32_b32 v5, v6, 0
	v_mbcnt_hi_u32_b32 v25, v7, v5
	v_cmp_eq_u32_e32 vcc, 0, v25
	v_cmp_ne_u64_e64 s[0:1], 0, v[6:7]
	s_and_b64 s[2:3], s[0:1], vcc
	; wave barrier
	s_and_saveexec_b64 s[0:1], s[2:3]
	s_cbranch_execz .LBB2118_33
; %bb.32:
	v_bcnt_u32_b32 v5, v6, 0
	v_bcnt_u32_b32 v5, v7, v5
	s_waitcnt lgkmcnt(0)
	v_add_u32_e32 v5, v23, v5
	ds_write_b32 v32, v5 offset:64
.LBB2118_33:
	s_or_b64 exec, exec, s[0:1]
	v_not_b32_e32 v21, v21
	v_lshrrev_b32_e32 v5, s16, v21
	v_and_b32_e32 v6, s28, v5
	v_lshl_add_u32 v5, v6, 4, v6
	v_add_lshl_u32 v37, v29, v5, 2
	v_and_b32_e32 v5, 1, v6
	v_add_co_u32_e32 v7, vcc, -1, v5
	v_addc_co_u32_e64 v30, s[0:1], 0, -1, vcc
	v_cmp_ne_u32_e32 vcc, 0, v5
	v_xor_b32_e32 v5, vcc_hi, v30
	v_and_b32_e32 v30, exec_hi, v5
	v_lshlrev_b32_e32 v5, 30, v6
	v_xor_b32_e32 v7, vcc_lo, v7
	v_cmp_gt_i64_e32 vcc, 0, v[4:5]
	v_not_b32_e32 v5, v5
	v_ashrrev_i32_e32 v5, 31, v5
	v_and_b32_e32 v7, exec_lo, v7
	v_xor_b32_e32 v33, vcc_hi, v5
	v_xor_b32_e32 v5, vcc_lo, v5
	v_and_b32_e32 v7, v7, v5
	v_lshlrev_b32_e32 v5, 29, v6
	v_cmp_gt_i64_e32 vcc, 0, v[4:5]
	v_not_b32_e32 v5, v5
	v_ashrrev_i32_e32 v5, 31, v5
	v_and_b32_e32 v30, v30, v33
	v_xor_b32_e32 v33, vcc_hi, v5
	v_xor_b32_e32 v5, vcc_lo, v5
	v_and_b32_e32 v7, v7, v5
	v_lshlrev_b32_e32 v5, 28, v6
	v_cmp_gt_i64_e32 vcc, 0, v[4:5]
	v_not_b32_e32 v5, v5
	v_ashrrev_i32_e32 v5, 31, v5
	v_and_b32_e32 v30, v30, v33
	v_xor_b32_e32 v33, vcc_hi, v5
	v_xor_b32_e32 v5, vcc_lo, v5
	v_and_b32_e32 v7, v7, v5
	v_lshlrev_b32_e32 v5, 27, v6
	v_cmp_gt_i64_e32 vcc, 0, v[4:5]
	v_not_b32_e32 v5, v5
	v_ashrrev_i32_e32 v5, 31, v5
	v_and_b32_e32 v30, v30, v33
	v_xor_b32_e32 v33, vcc_hi, v5
	v_xor_b32_e32 v5, vcc_lo, v5
	v_and_b32_e32 v7, v7, v5
	v_lshlrev_b32_e32 v5, 26, v6
	v_cmp_gt_i64_e32 vcc, 0, v[4:5]
	v_not_b32_e32 v5, v5
	v_ashrrev_i32_e32 v5, 31, v5
	v_and_b32_e32 v30, v30, v33
	v_xor_b32_e32 v33, vcc_hi, v5
	v_xor_b32_e32 v5, vcc_lo, v5
	v_and_b32_e32 v7, v7, v5
	v_lshlrev_b32_e32 v5, 25, v6
	v_cmp_gt_i64_e32 vcc, 0, v[4:5]
	v_not_b32_e32 v5, v5
	v_ashrrev_i32_e32 v5, 31, v5
	v_and_b32_e32 v30, v30, v33
	v_xor_b32_e32 v33, vcc_hi, v5
	v_xor_b32_e32 v5, vcc_lo, v5
	v_and_b32_e32 v7, v7, v5
	v_lshlrev_b32_e32 v5, 24, v6
	v_cmp_gt_i64_e32 vcc, 0, v[4:5]
	v_not_b32_e32 v4, v5
	v_ashrrev_i32_e32 v4, 31, v4
	v_xor_b32_e32 v5, vcc_hi, v4
	v_xor_b32_e32 v4, vcc_lo, v4
	; wave barrier
	ds_read_b32 v27, v37 offset:64
	v_and_b32_e32 v30, v30, v33
	v_and_b32_e32 v4, v7, v4
	;; [unrolled: 1-line block ×3, first 2 shown]
	v_mbcnt_lo_u32_b32 v6, v4, 0
	v_mbcnt_hi_u32_b32 v30, v5, v6
	v_cmp_eq_u32_e32 vcc, 0, v30
	v_cmp_ne_u64_e64 s[0:1], 0, v[4:5]
	s_and_b64 s[2:3], s[0:1], vcc
	; wave barrier
	s_and_saveexec_b64 s[0:1], s[2:3]
	s_cbranch_execz .LBB2118_35
; %bb.34:
	v_bcnt_u32_b32 v4, v4, 0
	v_bcnt_u32_b32 v4, v5, v4
	s_waitcnt lgkmcnt(0)
	v_add_u32_e32 v4, v27, v4
	ds_write_b32 v37, v4 offset:64
.LBB2118_35:
	s_or_b64 exec, exec, s[0:1]
	v_not_b32_e32 v24, v24
	v_lshrrev_b32_e32 v4, s16, v24
	v_and_b32_e32 v6, s28, v4
	v_and_b32_e32 v5, 1, v6
	v_add_co_u32_e32 v7, vcc, -1, v5
	v_addc_co_u32_e64 v36, s[0:1], 0, -1, vcc
	v_cmp_ne_u32_e32 vcc, 0, v5
	v_lshl_add_u32 v4, v6, 4, v6
	v_xor_b32_e32 v5, vcc_hi, v36
	v_add_lshl_u32 v40, v29, v4, 2
	v_mov_b32_e32 v4, 0
	v_and_b32_e32 v36, exec_hi, v5
	v_lshlrev_b32_e32 v5, 30, v6
	v_xor_b32_e32 v7, vcc_lo, v7
	v_cmp_gt_i64_e32 vcc, 0, v[4:5]
	v_not_b32_e32 v5, v5
	v_ashrrev_i32_e32 v5, 31, v5
	v_and_b32_e32 v7, exec_lo, v7
	v_xor_b32_e32 v38, vcc_hi, v5
	v_xor_b32_e32 v5, vcc_lo, v5
	v_and_b32_e32 v7, v7, v5
	v_lshlrev_b32_e32 v5, 29, v6
	v_cmp_gt_i64_e32 vcc, 0, v[4:5]
	v_not_b32_e32 v5, v5
	v_ashrrev_i32_e32 v5, 31, v5
	v_and_b32_e32 v36, v36, v38
	v_xor_b32_e32 v38, vcc_hi, v5
	v_xor_b32_e32 v5, vcc_lo, v5
	v_and_b32_e32 v7, v7, v5
	v_lshlrev_b32_e32 v5, 28, v6
	v_cmp_gt_i64_e32 vcc, 0, v[4:5]
	v_not_b32_e32 v5, v5
	v_ashrrev_i32_e32 v5, 31, v5
	v_and_b32_e32 v36, v36, v38
	;; [unrolled: 8-line block ×5, first 2 shown]
	v_xor_b32_e32 v38, vcc_hi, v5
	v_xor_b32_e32 v5, vcc_lo, v5
	v_and_b32_e32 v36, v36, v38
	v_and_b32_e32 v38, v7, v5
	v_lshlrev_b32_e32 v5, 24, v6
	v_cmp_gt_i64_e32 vcc, 0, v[4:5]
	v_not_b32_e32 v5, v5
	v_ashrrev_i32_e32 v5, 31, v5
	v_xor_b32_e32 v6, vcc_hi, v5
	v_xor_b32_e32 v5, vcc_lo, v5
	; wave barrier
	ds_read_b32 v33, v40 offset:64
	v_and_b32_e32 v7, v36, v6
	v_and_b32_e32 v6, v38, v5
	v_mbcnt_lo_u32_b32 v5, v6, 0
	v_mbcnt_hi_u32_b32 v36, v7, v5
	v_cmp_eq_u32_e32 vcc, 0, v36
	v_cmp_ne_u64_e64 s[0:1], 0, v[6:7]
	s_and_b64 s[2:3], s[0:1], vcc
	; wave barrier
	s_and_saveexec_b64 s[0:1], s[2:3]
	s_cbranch_execz .LBB2118_37
; %bb.36:
	v_bcnt_u32_b32 v5, v6, 0
	v_bcnt_u32_b32 v5, v7, v5
	s_waitcnt lgkmcnt(0)
	v_add_u32_e32 v5, v33, v5
	ds_write_b32 v40, v5 offset:64
.LBB2118_37:
	s_or_b64 exec, exec, s[0:1]
	v_not_b32_e32 v28, v28
	v_lshrrev_b32_e32 v5, s16, v28
	v_and_b32_e32 v6, s28, v5
	v_lshl_add_u32 v5, v6, 4, v6
	v_add_lshl_u32 v43, v29, v5, 2
	v_and_b32_e32 v5, 1, v6
	v_add_co_u32_e32 v7, vcc, -1, v5
	v_addc_co_u32_e64 v39, s[0:1], 0, -1, vcc
	v_cmp_ne_u32_e32 vcc, 0, v5
	v_xor_b32_e32 v5, vcc_hi, v39
	v_and_b32_e32 v39, exec_hi, v5
	v_lshlrev_b32_e32 v5, 30, v6
	v_xor_b32_e32 v7, vcc_lo, v7
	v_cmp_gt_i64_e32 vcc, 0, v[4:5]
	v_not_b32_e32 v5, v5
	v_ashrrev_i32_e32 v5, 31, v5
	v_and_b32_e32 v7, exec_lo, v7
	v_xor_b32_e32 v41, vcc_hi, v5
	v_xor_b32_e32 v5, vcc_lo, v5
	v_and_b32_e32 v7, v7, v5
	v_lshlrev_b32_e32 v5, 29, v6
	v_cmp_gt_i64_e32 vcc, 0, v[4:5]
	v_not_b32_e32 v5, v5
	v_ashrrev_i32_e32 v5, 31, v5
	v_and_b32_e32 v39, v39, v41
	v_xor_b32_e32 v41, vcc_hi, v5
	v_xor_b32_e32 v5, vcc_lo, v5
	v_and_b32_e32 v7, v7, v5
	v_lshlrev_b32_e32 v5, 28, v6
	v_cmp_gt_i64_e32 vcc, 0, v[4:5]
	v_not_b32_e32 v5, v5
	v_ashrrev_i32_e32 v5, 31, v5
	v_and_b32_e32 v39, v39, v41
	;; [unrolled: 8-line block ×5, first 2 shown]
	v_xor_b32_e32 v41, vcc_hi, v5
	v_xor_b32_e32 v5, vcc_lo, v5
	v_and_b32_e32 v7, v7, v5
	v_lshlrev_b32_e32 v5, 24, v6
	v_cmp_gt_i64_e32 vcc, 0, v[4:5]
	v_not_b32_e32 v4, v5
	v_ashrrev_i32_e32 v4, 31, v4
	v_xor_b32_e32 v5, vcc_hi, v4
	v_xor_b32_e32 v4, vcc_lo, v4
	; wave barrier
	ds_read_b32 v38, v43 offset:64
	v_and_b32_e32 v39, v39, v41
	v_and_b32_e32 v4, v7, v4
	;; [unrolled: 1-line block ×3, first 2 shown]
	v_mbcnt_lo_u32_b32 v6, v4, 0
	v_mbcnt_hi_u32_b32 v39, v5, v6
	v_cmp_eq_u32_e32 vcc, 0, v39
	v_cmp_ne_u64_e64 s[0:1], 0, v[4:5]
	s_and_b64 s[2:3], s[0:1], vcc
	; wave barrier
	s_and_saveexec_b64 s[0:1], s[2:3]
	s_cbranch_execz .LBB2118_39
; %bb.38:
	v_bcnt_u32_b32 v4, v4, 0
	v_bcnt_u32_b32 v4, v5, v4
	s_waitcnt lgkmcnt(0)
	v_add_u32_e32 v4, v38, v4
	ds_write_b32 v43, v4 offset:64
.LBB2118_39:
	s_or_b64 exec, exec, s[0:1]
	v_not_b32_e32 v34, v34
	v_lshrrev_b32_e32 v4, s16, v34
	v_and_b32_e32 v6, s28, v4
	v_and_b32_e32 v5, 1, v6
	v_add_co_u32_e32 v7, vcc, -1, v5
	v_addc_co_u32_e64 v42, s[0:1], 0, -1, vcc
	v_cmp_ne_u32_e32 vcc, 0, v5
	v_lshl_add_u32 v4, v6, 4, v6
	v_xor_b32_e32 v5, vcc_hi, v42
	v_add_lshl_u32 v47, v29, v4, 2
	v_mov_b32_e32 v4, 0
	v_and_b32_e32 v42, exec_hi, v5
	v_lshlrev_b32_e32 v5, 30, v6
	v_xor_b32_e32 v7, vcc_lo, v7
	v_cmp_gt_i64_e32 vcc, 0, v[4:5]
	v_not_b32_e32 v5, v5
	v_ashrrev_i32_e32 v5, 31, v5
	v_and_b32_e32 v7, exec_lo, v7
	v_xor_b32_e32 v44, vcc_hi, v5
	v_xor_b32_e32 v5, vcc_lo, v5
	v_and_b32_e32 v7, v7, v5
	v_lshlrev_b32_e32 v5, 29, v6
	v_cmp_gt_i64_e32 vcc, 0, v[4:5]
	v_not_b32_e32 v5, v5
	v_ashrrev_i32_e32 v5, 31, v5
	v_and_b32_e32 v42, v42, v44
	v_xor_b32_e32 v44, vcc_hi, v5
	v_xor_b32_e32 v5, vcc_lo, v5
	v_and_b32_e32 v7, v7, v5
	v_lshlrev_b32_e32 v5, 28, v6
	v_cmp_gt_i64_e32 vcc, 0, v[4:5]
	v_not_b32_e32 v5, v5
	v_ashrrev_i32_e32 v5, 31, v5
	v_and_b32_e32 v42, v42, v44
	;; [unrolled: 8-line block ×5, first 2 shown]
	v_xor_b32_e32 v44, vcc_hi, v5
	v_xor_b32_e32 v5, vcc_lo, v5
	v_and_b32_e32 v42, v42, v44
	v_and_b32_e32 v44, v7, v5
	v_lshlrev_b32_e32 v5, 24, v6
	v_cmp_gt_i64_e32 vcc, 0, v[4:5]
	v_not_b32_e32 v5, v5
	v_ashrrev_i32_e32 v5, 31, v5
	v_xor_b32_e32 v6, vcc_hi, v5
	v_xor_b32_e32 v5, vcc_lo, v5
	; wave barrier
	ds_read_b32 v41, v47 offset:64
	v_and_b32_e32 v7, v42, v6
	v_and_b32_e32 v6, v44, v5
	v_mbcnt_lo_u32_b32 v5, v6, 0
	v_mbcnt_hi_u32_b32 v42, v7, v5
	v_cmp_eq_u32_e32 vcc, 0, v42
	v_cmp_ne_u64_e64 s[0:1], 0, v[6:7]
	s_and_b64 s[2:3], s[0:1], vcc
	; wave barrier
	s_and_saveexec_b64 s[0:1], s[2:3]
	s_cbranch_execz .LBB2118_41
; %bb.40:
	v_bcnt_u32_b32 v5, v6, 0
	v_bcnt_u32_b32 v5, v7, v5
	s_waitcnt lgkmcnt(0)
	v_add_u32_e32 v5, v41, v5
	ds_write_b32 v47, v5 offset:64
.LBB2118_41:
	s_or_b64 exec, exec, s[0:1]
	v_not_b32_e32 v35, v35
	v_lshrrev_b32_e32 v5, s16, v35
	v_and_b32_e32 v6, s28, v5
	v_lshl_add_u32 v5, v6, 4, v6
	v_add_lshl_u32 v51, v29, v5, 2
	v_and_b32_e32 v5, 1, v6
	v_add_co_u32_e32 v7, vcc, -1, v5
	v_addc_co_u32_e64 v45, s[0:1], 0, -1, vcc
	v_cmp_ne_u32_e32 vcc, 0, v5
	v_xor_b32_e32 v5, vcc_hi, v45
	v_and_b32_e32 v45, exec_hi, v5
	v_lshlrev_b32_e32 v5, 30, v6
	v_xor_b32_e32 v7, vcc_lo, v7
	v_cmp_gt_i64_e32 vcc, 0, v[4:5]
	v_not_b32_e32 v5, v5
	v_ashrrev_i32_e32 v5, 31, v5
	v_and_b32_e32 v7, exec_lo, v7
	v_xor_b32_e32 v46, vcc_hi, v5
	v_xor_b32_e32 v5, vcc_lo, v5
	v_and_b32_e32 v7, v7, v5
	v_lshlrev_b32_e32 v5, 29, v6
	v_cmp_gt_i64_e32 vcc, 0, v[4:5]
	v_not_b32_e32 v5, v5
	v_ashrrev_i32_e32 v5, 31, v5
	v_and_b32_e32 v45, v45, v46
	v_xor_b32_e32 v46, vcc_hi, v5
	v_xor_b32_e32 v5, vcc_lo, v5
	v_and_b32_e32 v7, v7, v5
	v_lshlrev_b32_e32 v5, 28, v6
	v_cmp_gt_i64_e32 vcc, 0, v[4:5]
	v_not_b32_e32 v5, v5
	v_ashrrev_i32_e32 v5, 31, v5
	v_and_b32_e32 v45, v45, v46
	;; [unrolled: 8-line block ×5, first 2 shown]
	v_xor_b32_e32 v46, vcc_hi, v5
	v_xor_b32_e32 v5, vcc_lo, v5
	v_and_b32_e32 v7, v7, v5
	v_lshlrev_b32_e32 v5, 24, v6
	v_cmp_gt_i64_e32 vcc, 0, v[4:5]
	v_not_b32_e32 v4, v5
	v_ashrrev_i32_e32 v4, 31, v4
	v_xor_b32_e32 v5, vcc_hi, v4
	v_xor_b32_e32 v4, vcc_lo, v4
	; wave barrier
	ds_read_b32 v44, v51 offset:64
	v_and_b32_e32 v45, v45, v46
	v_and_b32_e32 v4, v7, v4
	;; [unrolled: 1-line block ×3, first 2 shown]
	v_mbcnt_lo_u32_b32 v6, v4, 0
	v_mbcnt_hi_u32_b32 v46, v5, v6
	v_cmp_eq_u32_e32 vcc, 0, v46
	v_cmp_ne_u64_e64 s[0:1], 0, v[4:5]
	s_and_b64 s[2:3], s[0:1], vcc
	; wave barrier
	s_and_saveexec_b64 s[0:1], s[2:3]
	s_cbranch_execz .LBB2118_43
; %bb.42:
	v_bcnt_u32_b32 v4, v4, 0
	v_bcnt_u32_b32 v4, v5, v4
	s_waitcnt lgkmcnt(0)
	v_add_u32_e32 v4, v44, v4
	ds_write_b32 v51, v4 offset:64
.LBB2118_43:
	s_or_b64 exec, exec, s[0:1]
	v_not_b32_e32 v31, v31
	v_lshrrev_b32_e32 v4, s16, v31
	v_and_b32_e32 v6, s28, v4
	v_and_b32_e32 v5, 1, v6
	v_add_co_u32_e32 v7, vcc, -1, v5
	v_addc_co_u32_e64 v45, s[0:1], 0, -1, vcc
	v_cmp_ne_u32_e32 vcc, 0, v5
	v_lshl_add_u32 v4, v6, 4, v6
	v_xor_b32_e32 v5, vcc_hi, v45
	v_add_lshl_u32 v54, v29, v4, 2
	v_mov_b32_e32 v4, 0
	v_and_b32_e32 v45, exec_hi, v5
	v_lshlrev_b32_e32 v5, 30, v6
	v_xor_b32_e32 v7, vcc_lo, v7
	v_cmp_gt_i64_e32 vcc, 0, v[4:5]
	v_not_b32_e32 v5, v5
	v_ashrrev_i32_e32 v5, 31, v5
	v_and_b32_e32 v7, exec_lo, v7
	v_xor_b32_e32 v49, vcc_hi, v5
	v_xor_b32_e32 v5, vcc_lo, v5
	v_and_b32_e32 v7, v7, v5
	v_lshlrev_b32_e32 v5, 29, v6
	v_cmp_gt_i64_e32 vcc, 0, v[4:5]
	v_not_b32_e32 v5, v5
	v_ashrrev_i32_e32 v5, 31, v5
	v_and_b32_e32 v45, v45, v49
	v_xor_b32_e32 v49, vcc_hi, v5
	v_xor_b32_e32 v5, vcc_lo, v5
	v_and_b32_e32 v7, v7, v5
	v_lshlrev_b32_e32 v5, 28, v6
	v_cmp_gt_i64_e32 vcc, 0, v[4:5]
	v_not_b32_e32 v5, v5
	v_ashrrev_i32_e32 v5, 31, v5
	v_and_b32_e32 v45, v45, v49
	;; [unrolled: 8-line block ×5, first 2 shown]
	v_xor_b32_e32 v49, vcc_hi, v5
	v_xor_b32_e32 v5, vcc_lo, v5
	v_and_b32_e32 v45, v45, v49
	v_and_b32_e32 v49, v7, v5
	v_lshlrev_b32_e32 v5, 24, v6
	v_cmp_gt_i64_e32 vcc, 0, v[4:5]
	v_not_b32_e32 v5, v5
	v_ashrrev_i32_e32 v5, 31, v5
	v_xor_b32_e32 v6, vcc_hi, v5
	v_xor_b32_e32 v5, vcc_lo, v5
	; wave barrier
	ds_read_b32 v48, v54 offset:64
	v_and_b32_e32 v7, v45, v6
	v_and_b32_e32 v6, v49, v5
	v_mbcnt_lo_u32_b32 v5, v6, 0
	v_mbcnt_hi_u32_b32 v50, v7, v5
	v_cmp_eq_u32_e32 vcc, 0, v50
	v_cmp_ne_u64_e64 s[0:1], 0, v[6:7]
	s_and_b64 s[2:3], s[0:1], vcc
	; wave barrier
	s_and_saveexec_b64 s[0:1], s[2:3]
	s_cbranch_execz .LBB2118_45
; %bb.44:
	v_bcnt_u32_b32 v5, v6, 0
	v_bcnt_u32_b32 v5, v7, v5
	s_waitcnt lgkmcnt(0)
	v_add_u32_e32 v5, v48, v5
	ds_write_b32 v54, v5 offset:64
.LBB2118_45:
	s_or_b64 exec, exec, s[0:1]
	v_not_b32_e32 v45, v11
	v_lshrrev_b32_e32 v5, s16, v45
	v_and_b32_e32 v6, s28, v5
	v_lshl_add_u32 v5, v6, 4, v6
	v_add_lshl_u32 v11, v29, v5, 2
	v_and_b32_e32 v5, 1, v6
	v_add_co_u32_e32 v7, vcc, -1, v5
	v_addc_co_u32_e64 v49, s[0:1], 0, -1, vcc
	v_cmp_ne_u32_e32 vcc, 0, v5
	v_xor_b32_e32 v5, vcc_hi, v49
	v_and_b32_e32 v49, exec_hi, v5
	v_lshlrev_b32_e32 v5, 30, v6
	v_xor_b32_e32 v7, vcc_lo, v7
	v_cmp_gt_i64_e32 vcc, 0, v[4:5]
	v_not_b32_e32 v5, v5
	v_ashrrev_i32_e32 v5, 31, v5
	v_and_b32_e32 v7, exec_lo, v7
	v_xor_b32_e32 v53, vcc_hi, v5
	v_xor_b32_e32 v5, vcc_lo, v5
	v_and_b32_e32 v7, v7, v5
	v_lshlrev_b32_e32 v5, 29, v6
	v_cmp_gt_i64_e32 vcc, 0, v[4:5]
	v_not_b32_e32 v5, v5
	v_ashrrev_i32_e32 v5, 31, v5
	v_and_b32_e32 v49, v49, v53
	v_xor_b32_e32 v53, vcc_hi, v5
	v_xor_b32_e32 v5, vcc_lo, v5
	v_and_b32_e32 v7, v7, v5
	v_lshlrev_b32_e32 v5, 28, v6
	v_cmp_gt_i64_e32 vcc, 0, v[4:5]
	v_not_b32_e32 v5, v5
	v_ashrrev_i32_e32 v5, 31, v5
	v_and_b32_e32 v49, v49, v53
	;; [unrolled: 8-line block ×5, first 2 shown]
	v_xor_b32_e32 v53, vcc_hi, v5
	v_xor_b32_e32 v5, vcc_lo, v5
	v_and_b32_e32 v7, v7, v5
	v_lshlrev_b32_e32 v5, 24, v6
	v_cmp_gt_i64_e32 vcc, 0, v[4:5]
	v_not_b32_e32 v4, v5
	v_ashrrev_i32_e32 v4, 31, v4
	v_xor_b32_e32 v5, vcc_hi, v4
	v_xor_b32_e32 v4, vcc_lo, v4
	; wave barrier
	ds_read_b32 v52, v11 offset:64
	v_and_b32_e32 v49, v49, v53
	v_and_b32_e32 v4, v7, v4
	;; [unrolled: 1-line block ×3, first 2 shown]
	v_mbcnt_lo_u32_b32 v6, v4, 0
	v_mbcnt_hi_u32_b32 v53, v5, v6
	v_cmp_eq_u32_e32 vcc, 0, v53
	v_cmp_ne_u64_e64 s[0:1], 0, v[4:5]
	s_and_b64 s[2:3], s[0:1], vcc
	; wave barrier
	s_and_saveexec_b64 s[0:1], s[2:3]
	s_cbranch_execz .LBB2118_47
; %bb.46:
	v_bcnt_u32_b32 v4, v4, 0
	v_bcnt_u32_b32 v4, v5, v4
	s_waitcnt lgkmcnt(0)
	v_add_u32_e32 v4, v52, v4
	ds_write_b32 v11, v4 offset:64
.LBB2118_47:
	s_or_b64 exec, exec, s[0:1]
	v_not_b32_e32 v49, v10
	v_lshrrev_b32_e32 v4, s16, v49
	v_and_b32_e32 v6, s28, v4
	v_and_b32_e32 v5, 1, v6
	v_lshl_add_u32 v4, v6, 4, v6
	v_add_co_u32_e32 v7, vcc, -1, v5
	v_add_lshl_u32 v10, v29, v4, 2
	v_addc_co_u32_e64 v29, s[0:1], 0, -1, vcc
	v_cmp_ne_u32_e32 vcc, 0, v5
	v_xor_b32_e32 v5, vcc_hi, v29
	v_mov_b32_e32 v4, 0
	v_and_b32_e32 v29, exec_hi, v5
	v_lshlrev_b32_e32 v5, 30, v6
	v_xor_b32_e32 v7, vcc_lo, v7
	v_cmp_gt_i64_e32 vcc, 0, v[4:5]
	v_not_b32_e32 v5, v5
	v_ashrrev_i32_e32 v5, 31, v5
	v_and_b32_e32 v7, exec_lo, v7
	v_xor_b32_e32 v56, vcc_hi, v5
	v_xor_b32_e32 v5, vcc_lo, v5
	v_and_b32_e32 v7, v7, v5
	v_lshlrev_b32_e32 v5, 29, v6
	v_cmp_gt_i64_e32 vcc, 0, v[4:5]
	v_not_b32_e32 v5, v5
	v_ashrrev_i32_e32 v5, 31, v5
	v_and_b32_e32 v29, v29, v56
	v_xor_b32_e32 v56, vcc_hi, v5
	v_xor_b32_e32 v5, vcc_lo, v5
	v_and_b32_e32 v7, v7, v5
	v_lshlrev_b32_e32 v5, 28, v6
	v_cmp_gt_i64_e32 vcc, 0, v[4:5]
	v_not_b32_e32 v5, v5
	v_ashrrev_i32_e32 v5, 31, v5
	v_and_b32_e32 v29, v29, v56
	;; [unrolled: 8-line block ×5, first 2 shown]
	v_xor_b32_e32 v56, vcc_hi, v5
	v_xor_b32_e32 v5, vcc_lo, v5
	v_and_b32_e32 v7, v7, v5
	v_lshlrev_b32_e32 v5, 24, v6
	v_cmp_gt_i64_e32 vcc, 0, v[4:5]
	v_not_b32_e32 v4, v5
	v_ashrrev_i32_e32 v4, 31, v4
	v_xor_b32_e32 v5, vcc_hi, v4
	v_xor_b32_e32 v4, vcc_lo, v4
	; wave barrier
	ds_read_b32 v55, v10 offset:64
	v_and_b32_e32 v29, v29, v56
	v_and_b32_e32 v4, v7, v4
	;; [unrolled: 1-line block ×3, first 2 shown]
	v_mbcnt_lo_u32_b32 v6, v4, 0
	v_mbcnt_hi_u32_b32 v56, v5, v6
	v_cmp_eq_u32_e32 vcc, 0, v56
	v_cmp_ne_u64_e64 s[0:1], 0, v[4:5]
	v_add_u32_e32 v57, 64, v3
	s_and_b64 s[2:3], s[0:1], vcc
	; wave barrier
	s_and_saveexec_b64 s[0:1], s[2:3]
	s_cbranch_execz .LBB2118_49
; %bb.48:
	v_bcnt_u32_b32 v4, v4, 0
	v_bcnt_u32_b32 v4, v5, v4
	s_waitcnt lgkmcnt(0)
	v_add_u32_e32 v4, v55, v4
	ds_write_b32 v10, v4 offset:64
.LBB2118_49:
	s_or_b64 exec, exec, s[0:1]
	; wave barrier
	s_waitcnt lgkmcnt(0)
	s_barrier
	ds_read2_b32 v[6:7], v3 offset0:16 offset1:17
	ds_read2_b32 v[4:5], v57 offset0:2 offset1:3
	ds_read_b32 v29, v57 offset:16
	v_cmp_lt_u32_e64 s[10:11], 31, v1
	s_waitcnt lgkmcnt(1)
	v_add3_u32 v58, v7, v6, v4
	s_waitcnt lgkmcnt(0)
	v_add3_u32 v29, v58, v5, v29
	v_and_b32_e32 v58, 15, v1
	v_cmp_eq_u32_e32 vcc, 0, v58
	v_mov_b32_dpp v59, v29 row_shr:1 row_mask:0xf bank_mask:0xf
	v_cndmask_b32_e64 v59, v59, 0, vcc
	v_add_u32_e32 v29, v59, v29
	v_cmp_lt_u32_e64 s[0:1], 1, v58
	v_cmp_lt_u32_e64 s[2:3], 3, v58
	v_mov_b32_dpp v59, v29 row_shr:2 row_mask:0xf bank_mask:0xf
	v_cndmask_b32_e64 v59, 0, v59, s[0:1]
	v_add_u32_e32 v29, v29, v59
	v_cmp_lt_u32_e64 s[8:9], 7, v58
	s_nop 0
	v_mov_b32_dpp v59, v29 row_shr:4 row_mask:0xf bank_mask:0xf
	v_cndmask_b32_e64 v59, 0, v59, s[2:3]
	v_add_u32_e32 v29, v29, v59
	s_nop 1
	v_mov_b32_dpp v59, v29 row_shr:8 row_mask:0xf bank_mask:0xf
	v_cndmask_b32_e64 v58, 0, v59, s[8:9]
	v_add_u32_e32 v29, v29, v58
	v_bfe_i32 v59, v1, 4, 1
	s_nop 0
	v_mov_b32_dpp v58, v29 row_bcast:15 row_mask:0xf bank_mask:0xf
	v_and_b32_e32 v58, v59, v58
	v_add_u32_e32 v29, v29, v58
	v_lshrrev_b32_e32 v59, 6, v2
	s_nop 0
	v_mov_b32_dpp v58, v29 row_bcast:31 row_mask:0xf bank_mask:0xf
	v_cndmask_b32_e64 v58, 0, v58, s[10:11]
	v_add_u32_e32 v58, v29, v58
	v_and_b32_e32 v29, 63, v2
	v_cmp_eq_u32_e64 s[10:11], 63, v29
	s_and_saveexec_b64 s[18:19], s[10:11]
	s_cbranch_execz .LBB2118_51
; %bb.50:
	v_lshlrev_b32_e32 v29, 2, v59
	ds_write_b32 v29, v58
.LBB2118_51:
	s_or_b64 exec, exec, s[18:19]
	v_cmp_gt_u32_e64 s[10:11], 16, v2
	v_lshlrev_b32_e32 v29, 2, v2
	s_waitcnt lgkmcnt(0)
	s_barrier
	s_and_saveexec_b64 s[18:19], s[10:11]
	s_cbranch_execz .LBB2118_53
; %bb.52:
	ds_read_b32 v60, v29
	s_waitcnt lgkmcnt(0)
	s_nop 0
	v_mov_b32_dpp v61, v60 row_shr:1 row_mask:0xf bank_mask:0xf
	v_cndmask_b32_e64 v61, v61, 0, vcc
	v_add_u32_e32 v60, v61, v60
	s_nop 1
	v_mov_b32_dpp v61, v60 row_shr:2 row_mask:0xf bank_mask:0xf
	v_cndmask_b32_e64 v61, 0, v61, s[0:1]
	v_add_u32_e32 v60, v60, v61
	s_nop 1
	v_mov_b32_dpp v61, v60 row_shr:4 row_mask:0xf bank_mask:0xf
	v_cndmask_b32_e64 v61, 0, v61, s[2:3]
	;; [unrolled: 4-line block ×3, first 2 shown]
	v_add_u32_e32 v60, v60, v61
	ds_write_b32 v29, v60
.LBB2118_53:
	s_or_b64 exec, exec, s[18:19]
	v_cmp_lt_u32_e32 vcc, 63, v2
	v_mov_b32_e32 v60, 0
	s_waitcnt lgkmcnt(0)
	s_barrier
	s_and_saveexec_b64 s[0:1], vcc
	s_cbranch_execz .LBB2118_55
; %bb.54:
	v_lshl_add_u32 v59, v59, 2, -4
	ds_read_b32 v60, v59
.LBB2118_55:
	s_or_b64 exec, exec, s[0:1]
	v_add_u32_e32 v59, -1, v1
	v_and_b32_e32 v61, 64, v1
	v_cmp_lt_i32_e32 vcc, v59, v61
	v_cndmask_b32_e32 v59, v59, v1, vcc
	s_waitcnt lgkmcnt(0)
	v_add_u32_e32 v58, v60, v58
	v_lshlrev_b32_e32 v59, 2, v59
	ds_bpermute_b32 v58, v59, v58
	v_cmp_eq_u32_e32 vcc, 0, v1
	s_movk_i32 s2, 0xff
	s_movk_i32 s0, 0x100
	v_cmp_gt_u32_e64 s[0:1], s0, v2
	s_waitcnt lgkmcnt(0)
	v_cndmask_b32_e32 v1, v58, v60, vcc
	v_cmp_ne_u32_e32 vcc, 0, v2
	v_cndmask_b32_e32 v1, 0, v1, vcc
	v_add_u32_e32 v6, v1, v6
	v_add_u32_e32 v7, v6, v7
	;; [unrolled: 1-line block ×4, first 2 shown]
	ds_write2_b32 v3, v1, v6 offset0:16 offset1:17
	ds_write2_b32 v57, v7, v4 offset0:2 offset1:3
	ds_write_b32 v57, v5 offset:16
	s_waitcnt lgkmcnt(0)
	s_barrier
	ds_read_b32 v58, v8 offset:64
	ds_read_b32 v1, v9 offset:64
	ds_read_b32 v26, v26 offset:64
	ds_read_b32 v32, v32 offset:64
	ds_read_b32 v37, v37 offset:64
	ds_read_b32 v57, v40 offset:64
	ds_read_b32 v43, v43 offset:64
	ds_read_b32 v47, v47 offset:64
	ds_read_b32 v51, v51 offset:64
	ds_read_b32 v54, v54 offset:64
	ds_read_b32 v59, v11 offset:64
	ds_read_b32 v60, v10 offset:64
	v_cmp_lt_u32_e32 vcc, s2, v2
	v_pk_mov_b32 v[4:5], 0, 0
                                        ; implicit-def: $vgpr40
	s_and_saveexec_b64 s[8:9], s[0:1]
	s_cbranch_execz .LBB2118_59
; %bb.56:
	v_mul_u32_u24_e32 v3, 17, v2
	v_lshlrev_b32_e32 v5, 2, v3
	ds_read_b32 v4, v5 offset:64
	v_cmp_ne_u32_e64 s[2:3], s2, v2
	v_mov_b32_e32 v3, 0x3000
	s_and_saveexec_b64 s[10:11], s[2:3]
	s_cbranch_execz .LBB2118_58
; %bb.57:
	ds_read_b32 v3, v5 offset:132
.LBB2118_58:
	s_or_b64 exec, exec, s[10:11]
	s_waitcnt lgkmcnt(0)
	v_sub_u32_e32 v40, v3, v4
	v_mov_b32_e32 v5, 0
.LBB2118_59:
	s_or_b64 exec, exec, s[8:9]
	s_waitcnt lgkmcnt(0)
	s_barrier
	s_and_saveexec_b64 s[2:3], vcc
	s_xor_b64 s[2:3], exec, s[2:3]
; %bb.60:
	v_mov_b32_e32 v3, 0
; %bb.61:
	s_andn2_saveexec_b64 s[2:3], s[2:3]
	s_cbranch_execz .LBB2118_71
; %bb.62:
	v_lshl_or_b32 v6, s6, 8, v2
	v_mov_b32_e32 v7, 0
	v_lshlrev_b64 v[8:9], 2, v[6:7]
	v_mov_b32_e32 v3, s25
	v_add_co_u32_e32 v8, vcc, s24, v8
	v_addc_co_u32_e32 v9, vcc, v3, v9, vcc
	v_or_b32_e32 v6, 2.0, v40
	s_mov_b64 s[8:9], 0
	s_brev_b32 s29, 1
	s_mov_b32 s30, s6
	v_mov_b32_e32 v61, 0
	global_store_dword v[8:9], v6, off
                                        ; implicit-def: $sgpr10_sgpr11
	s_branch .LBB2118_64
.LBB2118_63:                            ;   in Loop: Header=BB2118_64 Depth=1
	s_or_b64 exec, exec, s[10:11]
	v_and_b32_e32 v10, 0x3fffffff, v62
	v_add_u32_e32 v61, v10, v61
	v_cmp_eq_u32_e64 s[10:11], s29, v6
	s_and_b64 s[18:19], exec, s[10:11]
	s_or_b64 s[8:9], s[18:19], s[8:9]
	s_andn2_b64 exec, exec, s[8:9]
	s_cbranch_execz .LBB2118_70
.LBB2118_64:                            ; =>This Loop Header: Depth=1
                                        ;     Child Loop BB2118_67 Depth 2
	s_or_b64 s[10:11], s[10:11], exec
	s_cmp_eq_u32 s30, 0
	s_cbranch_scc1 .LBB2118_69
; %bb.65:                               ;   in Loop: Header=BB2118_64 Depth=1
	s_add_i32 s30, s30, -1
	v_lshl_or_b32 v6, s30, 8, v2
	v_lshlrev_b64 v[10:11], 2, v[6:7]
	v_add_co_u32_e32 v10, vcc, s24, v10
	v_addc_co_u32_e32 v11, vcc, v3, v11, vcc
	global_load_dword v62, v[10:11], off glc
	s_waitcnt vmcnt(0)
	v_and_b32_e32 v6, -2.0, v62
	v_cmp_eq_u32_e32 vcc, 0, v6
	s_and_saveexec_b64 s[10:11], vcc
	s_cbranch_execz .LBB2118_63
; %bb.66:                               ;   in Loop: Header=BB2118_64 Depth=1
	s_mov_b64 s[18:19], 0
.LBB2118_67:                            ;   Parent Loop BB2118_64 Depth=1
                                        ; =>  This Inner Loop Header: Depth=2
	global_load_dword v62, v[10:11], off glc
	s_waitcnt vmcnt(0)
	v_and_b32_e32 v6, -2.0, v62
	v_cmp_ne_u32_e32 vcc, 0, v6
	s_or_b64 s[18:19], vcc, s[18:19]
	s_andn2_b64 exec, exec, s[18:19]
	s_cbranch_execnz .LBB2118_67
; %bb.68:                               ;   in Loop: Header=BB2118_64 Depth=1
	s_or_b64 exec, exec, s[18:19]
	s_branch .LBB2118_63
.LBB2118_69:                            ;   in Loop: Header=BB2118_64 Depth=1
                                        ; implicit-def: $sgpr30
	s_and_b64 s[18:19], exec, s[10:11]
	s_or_b64 s[8:9], s[18:19], s[8:9]
	s_andn2_b64 exec, exec, s[8:9]
	s_cbranch_execnz .LBB2118_64
.LBB2118_70:
	s_or_b64 exec, exec, s[8:9]
	v_add_u32_e32 v3, v61, v40
	v_or_b32_e32 v3, 0x80000000, v3
	global_store_dword v[8:9], v3, off
	v_lshlrev_b32_e32 v8, 3, v2
	global_load_dwordx2 v[6:7], v8, s[12:13]
	v_sub_co_u32_e32 v9, vcc, v61, v4
	v_subb_co_u32_e32 v10, vcc, 0, v5, vcc
	v_mov_b32_e32 v3, 0
	s_waitcnt vmcnt(0)
	v_add_co_u32_e32 v6, vcc, v9, v6
	v_addc_co_u32_e32 v7, vcc, v10, v7, vcc
	ds_write_b64 v8, v[6:7]
.LBB2118_71:
	s_or_b64 exec, exec, s[2:3]
	v_add3_u32 v33, v36, v57, v33
	v_add3_u32 v27, v30, v37, v27
	v_lshlrev_b64 v[36:37], 2, v[2:3]
	v_add3_u32 v17, v19, v1, v17
	v_mov_b32_e32 v1, s23
	v_add_co_u32_e32 v6, vcc, s22, v36
	v_add_u32_e32 v7, v58, v16
	v_add_u32_e32 v8, 0x800, v29
	v_add3_u32 v9, v56, v60, v55
	v_add3_u32 v10, v53, v59, v52
	;; [unrolled: 1-line block ×8, first 2 shown]
	v_addc_co_u32_e32 v1, vcc, v1, v37, vcc
	s_mov_b32 s8, 0
	s_mov_b32 s9, 0
	s_branch .LBB2118_73
.LBB2118_72:                            ;   in Loop: Header=BB2118_73 Depth=1
	s_or_b64 exec, exec, s[2:3]
	s_addk_i32 s9, 0x1000
	s_addk_i32 s8, 0xf000
	v_add_co_u32_e32 v6, vcc, 0x4000, v6
	s_cmpk_eq_i32 s8, 0xd000
	v_addc_co_u32_e32 v1, vcc, 0, v1, vcc
	s_barrier
	s_cbranch_scc1 .LBB2118_82
.LBB2118_73:                            ; =>This Inner Loop Header: Depth=1
	v_add_u32_e32 v19, s8, v7
	v_min_u32_e32 v19, 0x1000, v19
	v_lshlrev_b32_e32 v19, 2, v19
	ds_write_b32 v19, v13 offset:2048
	v_add_u32_e32 v19, s8, v17
	v_min_u32_e32 v19, 0x1000, v19
	v_lshlrev_b32_e32 v19, 2, v19
	ds_write_b32 v19, v14 offset:2048
	;; [unrolled: 4-line block ×12, first 2 shown]
	v_add_u32_e32 v19, s9, v2
	v_cmp_gt_u32_e32 vcc, s7, v19
	s_waitcnt lgkmcnt(0)
	s_barrier
	s_and_saveexec_b64 s[2:3], vcc
	s_cbranch_execz .LBB2118_75
; %bb.74:                               ;   in Loop: Header=BB2118_73 Depth=1
	ds_read_b32 v22, v29 offset:2048
	s_waitcnt lgkmcnt(0)
	v_lshrrev_b32_e32 v25, s16, v22
	v_and_b32_e32 v25, s28, v25
	v_lshlrev_b32_e32 v25, 3, v25
	ds_read_b64 v[36:37], v25
	v_not_b32_e32 v22, v22
	s_waitcnt lgkmcnt(0)
	v_lshlrev_b64 v[36:37], 2, v[36:37]
	v_add_co_u32_e32 v36, vcc, v6, v36
	v_addc_co_u32_e32 v37, vcc, v1, v37, vcc
	global_store_dword v[36:37], v22, off
.LBB2118_75:                            ;   in Loop: Header=BB2118_73 Depth=1
	s_or_b64 exec, exec, s[2:3]
	v_add_u32_e32 v22, 0x400, v19
	v_cmp_gt_u32_e32 vcc, s7, v22
	s_and_saveexec_b64 s[2:3], vcc
	s_cbranch_execz .LBB2118_77
; %bb.76:                               ;   in Loop: Header=BB2118_73 Depth=1
	ds_read_b32 v22, v8 offset:4096
	s_waitcnt lgkmcnt(0)
	v_lshrrev_b32_e32 v25, s16, v22
	v_and_b32_e32 v25, s28, v25
	v_lshlrev_b32_e32 v25, 3, v25
	ds_read_b64 v[36:37], v25
	v_not_b32_e32 v22, v22
	s_waitcnt lgkmcnt(0)
	v_lshlrev_b64 v[36:37], 2, v[36:37]
	v_add_co_u32_e32 v25, vcc, v6, v36
	v_addc_co_u32_e32 v26, vcc, v1, v37, vcc
	v_add_co_u32_e32 v36, vcc, 0x1000, v25
	v_addc_co_u32_e32 v37, vcc, 0, v26, vcc
	global_store_dword v[36:37], v22, off
.LBB2118_77:                            ;   in Loop: Header=BB2118_73 Depth=1
	s_or_b64 exec, exec, s[2:3]
	v_add_u32_e32 v22, 0x800, v19
	v_cmp_gt_u32_e32 vcc, s7, v22
	s_and_saveexec_b64 s[2:3], vcc
	s_cbranch_execz .LBB2118_79
; %bb.78:                               ;   in Loop: Header=BB2118_73 Depth=1
	ds_read_b32 v22, v8 offset:8192
	s_waitcnt lgkmcnt(0)
	v_lshrrev_b32_e32 v25, s16, v22
	v_and_b32_e32 v25, s28, v25
	v_lshlrev_b32_e32 v25, 3, v25
	ds_read_b64 v[36:37], v25
	v_not_b32_e32 v22, v22
	s_waitcnt lgkmcnt(0)
	v_lshlrev_b64 v[36:37], 2, v[36:37]
	v_add_co_u32_e32 v25, vcc, v6, v36
	v_addc_co_u32_e32 v26, vcc, v1, v37, vcc
	v_add_co_u32_e32 v36, vcc, 0x2000, v25
	v_addc_co_u32_e32 v37, vcc, 0, v26, vcc
	global_store_dword v[36:37], v22, off
.LBB2118_79:                            ;   in Loop: Header=BB2118_73 Depth=1
	s_or_b64 exec, exec, s[2:3]
	v_add_u32_e32 v19, 0xc00, v19
	v_cmp_gt_u32_e32 vcc, s7, v19
	s_and_saveexec_b64 s[2:3], vcc
	s_cbranch_execz .LBB2118_72
; %bb.80:                               ;   in Loop: Header=BB2118_73 Depth=1
	ds_read_b32 v19, v8 offset:12288
	s_waitcnt lgkmcnt(0)
	v_lshrrev_b32_e32 v22, s16, v19
	v_and_b32_e32 v22, s28, v22
	v_lshlrev_b32_e32 v22, 3, v22
	ds_read_b64 v[36:37], v22
	v_not_b32_e32 v19, v19
	s_waitcnt lgkmcnt(0)
	v_lshlrev_b64 v[36:37], 2, v[36:37]
	v_add_co_u32_e32 v22, vcc, v6, v36
	v_addc_co_u32_e32 v25, vcc, v1, v37, vcc
	v_add_co_u32_e32 v36, vcc, 0x3000, v22
	v_addc_co_u32_e32 v37, vcc, 0, v25, vcc
	global_store_dword v[36:37], v19, off
	s_branch .LBB2118_72
.LBB2118_81:
	s_mov_b64 s[0:1], 0
                                        ; implicit-def: $vgpr2
                                        ; implicit-def: $vgpr4_vgpr5
                                        ; implicit-def: $vgpr40
	s_cbranch_execnz .LBB2118_83
	s_branch .LBB2118_132
.LBB2118_82:
	s_add_i32 s27, s27, -1
	s_cmp_eq_u32 s27, s6
	s_cselect_b64 s[2:3], -1, 0
	s_and_b64 s[0:1], s[0:1], s[2:3]
	s_branch .LBB2118_132
.LBB2118_83:
	s_mov_b32 s27, 0
	v_mbcnt_hi_u32_b32 v3, -1, v12
	s_lshl_b64 s[0:1], s[26:27], 2
	v_and_b32_e32 v1, 63, v3
	s_add_u32 s0, s20, s0
	v_lshlrev_b32_e32 v1, 2, v1
	v_add_co_u32_e32 v1, vcc, s0, v1
	s_load_dword s7, s[4:5], 0x58
	s_load_dword s0, s[4:5], 0x64
	v_and_b32_e32 v2, 0x3ff, v0
	s_addc_u32 s1, s21, s1
	v_and_b32_e32 v5, 0x3c0, v2
	v_mul_u32_u24_e32 v5, 12, v5
	v_mov_b32_e32 v6, s1
	v_addc_co_u32_e32 v6, vcc, 0, v6, vcc
	v_lshlrev_b32_e32 v5, 2, v5
	s_add_u32 s1, s4, 0x58
	v_add_co_u32_e32 v10, vcc, v1, v5
	s_addc_u32 s2, s5, 0
	s_waitcnt lgkmcnt(0)
	s_lshr_b32 s3, s0, 16
	v_addc_co_u32_e32 v11, vcc, 0, v6, vcc
	s_cmp_lt_u32 s6, s7
	global_load_dword v1, v[10:11], off
	s_cselect_b32 s0, 12, 18
	s_add_u32 s0, s1, s0
	v_mov_b32_e32 v4, 0
	s_addc_u32 s1, s2, 0
	global_load_ushort v5, v4, s[0:1]
	v_mul_u32_u24_e32 v6, 5, v2
	v_lshlrev_b32_e32 v6, 2, v6
	ds_write2_b32 v6, v4, v4 offset0:16 offset1:17
	ds_write2_b32 v6, v4, v4 offset0:18 offset1:19
	ds_write_b32 v6, v4 offset:80
	global_load_dword v8, v[10:11], off offset:256
	global_load_dword v12, v[10:11], off offset:512
	;; [unrolled: 1-line block ×11, first 2 shown]
	s_lshl_b32 s0, -1, s17
	v_bfe_u32 v7, v0, 10, 10
	v_bfe_u32 v0, v0, 20, 10
	s_not_b32 s17, s0
	v_mad_u32_u24 v0, v0, s3, v7
	s_waitcnt lgkmcnt(0)
	s_barrier
	s_waitcnt lgkmcnt(0)
	; wave barrier
	s_waitcnt vmcnt(12)
	v_not_b32_e32 v10, v1
	v_lshrrev_b32_e32 v1, s16, v10
	v_and_b32_e32 v11, s17, v1
	v_and_b32_e32 v7, 1, v11
	s_waitcnt vmcnt(11)
	v_mad_u64_u32 v[0:1], s[0:1], v0, v5, v[2:3]
	v_lshrrev_b32_e32 v24, 6, v0
	v_add_co_u32_e32 v0, vcc, -1, v7
	v_lshlrev_b32_e32 v5, 30, v11
	v_addc_co_u32_e64 v14, s[0:1], 0, -1, vcc
	v_lshl_add_u32 v1, v11, 4, v11
	v_cmp_ne_u32_e32 vcc, 0, v7
	v_cmp_gt_i64_e64 s[0:1], 0, v[4:5]
	v_not_b32_e32 v15, v5
	v_lshlrev_b32_e32 v5, 29, v11
	v_add_lshl_u32 v7, v24, v1, 2
	v_xor_b32_e32 v1, vcc_hi, v14
	v_xor_b32_e32 v0, vcc_lo, v0
	v_ashrrev_i32_e32 v14, 31, v15
	v_cmp_gt_i64_e32 vcc, 0, v[4:5]
	v_not_b32_e32 v15, v5
	v_lshlrev_b32_e32 v5, 28, v11
	v_and_b32_e32 v1, exec_hi, v1
	v_and_b32_e32 v0, exec_lo, v0
	v_xor_b32_e32 v16, s1, v14
	v_xor_b32_e32 v14, s0, v14
	v_ashrrev_i32_e32 v15, 31, v15
	v_cmp_gt_i64_e64 s[0:1], 0, v[4:5]
	v_not_b32_e32 v5, v5
	v_and_b32_e32 v1, v1, v16
	v_and_b32_e32 v0, v0, v14
	v_xor_b32_e32 v14, vcc_hi, v15
	v_xor_b32_e32 v15, vcc_lo, v15
	v_ashrrev_i32_e32 v5, 31, v5
	v_and_b32_e32 v1, v1, v14
	v_and_b32_e32 v0, v0, v15
	v_xor_b32_e32 v14, s1, v5
	v_xor_b32_e32 v5, s0, v5
	v_and_b32_e32 v0, v0, v5
	v_lshlrev_b32_e32 v5, 27, v11
	v_cmp_gt_i64_e32 vcc, 0, v[4:5]
	v_not_b32_e32 v5, v5
	v_ashrrev_i32_e32 v5, 31, v5
	v_and_b32_e32 v1, v1, v14
	v_xor_b32_e32 v14, vcc_hi, v5
	v_xor_b32_e32 v5, vcc_lo, v5
	v_and_b32_e32 v0, v0, v5
	v_lshlrev_b32_e32 v5, 26, v11
	v_cmp_gt_i64_e32 vcc, 0, v[4:5]
	v_not_b32_e32 v5, v5
	v_ashrrev_i32_e32 v5, 31, v5
	v_and_b32_e32 v1, v1, v14
	v_xor_b32_e32 v14, vcc_hi, v5
	v_xor_b32_e32 v5, vcc_lo, v5
	;; [unrolled: 8-line block ×3, first 2 shown]
	v_and_b32_e32 v0, v0, v5
	v_lshlrev_b32_e32 v5, 24, v11
	v_cmp_gt_i64_e32 vcc, 0, v[4:5]
	v_not_b32_e32 v5, v5
	v_ashrrev_i32_e32 v5, 31, v5
	v_xor_b32_e32 v11, vcc_hi, v5
	v_xor_b32_e32 v5, vcc_lo, v5
	v_and_b32_e32 v1, v1, v14
	v_and_b32_e32 v0, v0, v5
	;; [unrolled: 1-line block ×3, first 2 shown]
	v_mbcnt_lo_u32_b32 v5, v0, 0
	v_mbcnt_hi_u32_b32 v14, v1, v5
	v_cmp_eq_u32_e32 vcc, 0, v14
	v_cmp_ne_u64_e64 s[0:1], 0, v[0:1]
	s_and_b64 s[2:3], s[0:1], vcc
	s_and_saveexec_b64 s[0:1], s[2:3]
	s_cbranch_execz .LBB2118_85
; %bb.84:
	v_bcnt_u32_b32 v0, v0, 0
	v_bcnt_u32_b32 v0, v1, v0
	ds_write_b32 v7, v0 offset:64
.LBB2118_85:
	s_or_b64 exec, exec, s[0:1]
	s_waitcnt vmcnt(10)
	v_not_b32_e32 v11, v8
	v_lshrrev_b32_e32 v0, s16, v11
	v_and_b32_e32 v0, s17, v0
	v_lshl_add_u32 v1, v0, 4, v0
	v_add_lshl_u32 v8, v24, v1, 2
	v_and_b32_e32 v1, 1, v0
	v_add_co_u32_e32 v5, vcc, -1, v1
	v_addc_co_u32_e64 v16, s[0:1], 0, -1, vcc
	v_cmp_ne_u32_e32 vcc, 0, v1
	v_xor_b32_e32 v5, vcc_lo, v5
	v_xor_b32_e32 v1, vcc_hi, v16
	v_and_b32_e32 v16, exec_lo, v5
	v_lshlrev_b32_e32 v5, 30, v0
	v_cmp_gt_i64_e32 vcc, 0, v[4:5]
	v_not_b32_e32 v5, v5
	v_ashrrev_i32_e32 v5, 31, v5
	v_xor_b32_e32 v18, vcc_hi, v5
	v_xor_b32_e32 v5, vcc_lo, v5
	v_and_b32_e32 v16, v16, v5
	v_lshlrev_b32_e32 v5, 29, v0
	v_cmp_gt_i64_e32 vcc, 0, v[4:5]
	v_not_b32_e32 v5, v5
	v_and_b32_e32 v1, exec_hi, v1
	v_ashrrev_i32_e32 v5, 31, v5
	v_and_b32_e32 v1, v1, v18
	v_xor_b32_e32 v18, vcc_hi, v5
	v_xor_b32_e32 v5, vcc_lo, v5
	v_and_b32_e32 v16, v16, v5
	v_lshlrev_b32_e32 v5, 28, v0
	v_cmp_gt_i64_e32 vcc, 0, v[4:5]
	v_not_b32_e32 v5, v5
	v_ashrrev_i32_e32 v5, 31, v5
	v_and_b32_e32 v1, v1, v18
	v_xor_b32_e32 v18, vcc_hi, v5
	v_xor_b32_e32 v5, vcc_lo, v5
	v_and_b32_e32 v16, v16, v5
	v_lshlrev_b32_e32 v5, 27, v0
	v_cmp_gt_i64_e32 vcc, 0, v[4:5]
	v_not_b32_e32 v5, v5
	;; [unrolled: 8-line block ×4, first 2 shown]
	v_ashrrev_i32_e32 v5, 31, v5
	v_and_b32_e32 v1, v1, v18
	v_xor_b32_e32 v18, vcc_hi, v5
	v_xor_b32_e32 v5, vcc_lo, v5
	v_and_b32_e32 v16, v16, v5
	v_lshlrev_b32_e32 v5, 24, v0
	v_not_b32_e32 v0, v5
	v_cmp_gt_i64_e32 vcc, 0, v[4:5]
	v_ashrrev_i32_e32 v0, 31, v0
	v_xor_b32_e32 v4, vcc_hi, v0
	v_xor_b32_e32 v0, vcc_lo, v0
	; wave barrier
	ds_read_b32 v15, v8 offset:64
	v_and_b32_e32 v1, v1, v18
	v_and_b32_e32 v0, v16, v0
	;; [unrolled: 1-line block ×3, first 2 shown]
	v_mbcnt_lo_u32_b32 v4, v0, 0
	v_mbcnt_hi_u32_b32 v16, v1, v4
	v_cmp_eq_u32_e32 vcc, 0, v16
	v_cmp_ne_u64_e64 s[0:1], 0, v[0:1]
	s_and_b64 s[2:3], s[0:1], vcc
	; wave barrier
	s_and_saveexec_b64 s[0:1], s[2:3]
	s_cbranch_execz .LBB2118_87
; %bb.86:
	v_bcnt_u32_b32 v0, v0, 0
	v_bcnt_u32_b32 v0, v1, v0
	s_waitcnt lgkmcnt(0)
	v_add_u32_e32 v0, v15, v0
	ds_write_b32 v8, v0 offset:64
.LBB2118_87:
	s_or_b64 exec, exec, s[0:1]
	s_waitcnt vmcnt(9)
	v_not_b32_e32 v12, v12
	v_lshrrev_b32_e32 v0, s16, v12
	v_and_b32_e32 v4, s17, v0
	v_and_b32_e32 v1, 1, v4
	v_add_co_u32_e32 v5, vcc, -1, v1
	v_addc_co_u32_e64 v19, s[0:1], 0, -1, vcc
	v_cmp_ne_u32_e32 vcc, 0, v1
	v_lshl_add_u32 v0, v4, 4, v4
	v_xor_b32_e32 v1, vcc_hi, v19
	v_add_lshl_u32 v25, v24, v0, 2
	v_mov_b32_e32 v0, 0
	v_and_b32_e32 v19, exec_hi, v1
	v_lshlrev_b32_e32 v1, 30, v4
	v_xor_b32_e32 v5, vcc_lo, v5
	v_cmp_gt_i64_e32 vcc, 0, v[0:1]
	v_not_b32_e32 v1, v1
	v_ashrrev_i32_e32 v1, 31, v1
	v_and_b32_e32 v5, exec_lo, v5
	v_xor_b32_e32 v21, vcc_hi, v1
	v_xor_b32_e32 v1, vcc_lo, v1
	v_and_b32_e32 v5, v5, v1
	v_lshlrev_b32_e32 v1, 29, v4
	v_cmp_gt_i64_e32 vcc, 0, v[0:1]
	v_not_b32_e32 v1, v1
	v_ashrrev_i32_e32 v1, 31, v1
	v_and_b32_e32 v19, v19, v21
	v_xor_b32_e32 v21, vcc_hi, v1
	v_xor_b32_e32 v1, vcc_lo, v1
	v_and_b32_e32 v5, v5, v1
	v_lshlrev_b32_e32 v1, 28, v4
	v_cmp_gt_i64_e32 vcc, 0, v[0:1]
	v_not_b32_e32 v1, v1
	v_ashrrev_i32_e32 v1, 31, v1
	v_and_b32_e32 v19, v19, v21
	;; [unrolled: 8-line block ×5, first 2 shown]
	v_xor_b32_e32 v21, vcc_hi, v1
	v_xor_b32_e32 v1, vcc_lo, v1
	v_and_b32_e32 v19, v19, v21
	v_and_b32_e32 v21, v5, v1
	v_lshlrev_b32_e32 v1, 24, v4
	v_cmp_gt_i64_e32 vcc, 0, v[0:1]
	v_not_b32_e32 v1, v1
	v_ashrrev_i32_e32 v1, 31, v1
	v_xor_b32_e32 v4, vcc_hi, v1
	v_xor_b32_e32 v1, vcc_lo, v1
	; wave barrier
	ds_read_b32 v18, v25 offset:64
	v_and_b32_e32 v5, v19, v4
	v_and_b32_e32 v4, v21, v1
	v_mbcnt_lo_u32_b32 v1, v4, 0
	v_mbcnt_hi_u32_b32 v19, v5, v1
	v_cmp_eq_u32_e32 vcc, 0, v19
	v_cmp_ne_u64_e64 s[0:1], 0, v[4:5]
	s_and_b64 s[2:3], s[0:1], vcc
	; wave barrier
	s_and_saveexec_b64 s[0:1], s[2:3]
	s_cbranch_execz .LBB2118_89
; %bb.88:
	v_bcnt_u32_b32 v1, v4, 0
	v_bcnt_u32_b32 v1, v5, v1
	s_waitcnt lgkmcnt(0)
	v_add_u32_e32 v1, v18, v1
	ds_write_b32 v25, v1 offset:64
.LBB2118_89:
	s_or_b64 exec, exec, s[0:1]
	s_waitcnt vmcnt(8)
	v_not_b32_e32 v13, v13
	v_lshrrev_b32_e32 v1, s16, v13
	v_and_b32_e32 v4, s17, v1
	v_lshl_add_u32 v1, v4, 4, v4
	v_add_lshl_u32 v30, v24, v1, 2
	v_and_b32_e32 v1, 1, v4
	v_add_co_u32_e32 v5, vcc, -1, v1
	v_addc_co_u32_e64 v22, s[0:1], 0, -1, vcc
	v_cmp_ne_u32_e32 vcc, 0, v1
	v_xor_b32_e32 v1, vcc_hi, v22
	v_and_b32_e32 v22, exec_hi, v1
	v_lshlrev_b32_e32 v1, 30, v4
	v_xor_b32_e32 v5, vcc_lo, v5
	v_cmp_gt_i64_e32 vcc, 0, v[0:1]
	v_not_b32_e32 v1, v1
	v_ashrrev_i32_e32 v1, 31, v1
	v_and_b32_e32 v5, exec_lo, v5
	v_xor_b32_e32 v26, vcc_hi, v1
	v_xor_b32_e32 v1, vcc_lo, v1
	v_and_b32_e32 v5, v5, v1
	v_lshlrev_b32_e32 v1, 29, v4
	v_cmp_gt_i64_e32 vcc, 0, v[0:1]
	v_not_b32_e32 v1, v1
	v_ashrrev_i32_e32 v1, 31, v1
	v_and_b32_e32 v22, v22, v26
	v_xor_b32_e32 v26, vcc_hi, v1
	v_xor_b32_e32 v1, vcc_lo, v1
	v_and_b32_e32 v5, v5, v1
	v_lshlrev_b32_e32 v1, 28, v4
	v_cmp_gt_i64_e32 vcc, 0, v[0:1]
	v_not_b32_e32 v1, v1
	v_ashrrev_i32_e32 v1, 31, v1
	v_and_b32_e32 v22, v22, v26
	;; [unrolled: 8-line block ×5, first 2 shown]
	v_xor_b32_e32 v26, vcc_hi, v1
	v_xor_b32_e32 v1, vcc_lo, v1
	v_and_b32_e32 v5, v5, v1
	v_lshlrev_b32_e32 v1, 24, v4
	v_cmp_gt_i64_e32 vcc, 0, v[0:1]
	v_not_b32_e32 v0, v1
	v_ashrrev_i32_e32 v0, 31, v0
	v_xor_b32_e32 v1, vcc_hi, v0
	v_xor_b32_e32 v0, vcc_lo, v0
	; wave barrier
	ds_read_b32 v21, v30 offset:64
	v_and_b32_e32 v22, v22, v26
	v_and_b32_e32 v0, v5, v0
	;; [unrolled: 1-line block ×3, first 2 shown]
	v_mbcnt_lo_u32_b32 v4, v0, 0
	v_mbcnt_hi_u32_b32 v22, v1, v4
	v_cmp_eq_u32_e32 vcc, 0, v22
	v_cmp_ne_u64_e64 s[0:1], 0, v[0:1]
	s_and_b64 s[2:3], s[0:1], vcc
	; wave barrier
	s_and_saveexec_b64 s[0:1], s[2:3]
	s_cbranch_execz .LBB2118_91
; %bb.90:
	v_bcnt_u32_b32 v0, v0, 0
	v_bcnt_u32_b32 v0, v1, v0
	s_waitcnt lgkmcnt(0)
	v_add_u32_e32 v0, v21, v0
	ds_write_b32 v30, v0 offset:64
.LBB2118_91:
	s_or_b64 exec, exec, s[0:1]
	s_waitcnt vmcnt(7)
	v_not_b32_e32 v17, v17
	v_lshrrev_b32_e32 v0, s16, v17
	v_and_b32_e32 v4, s17, v0
	v_and_b32_e32 v1, 1, v4
	v_add_co_u32_e32 v5, vcc, -1, v1
	v_addc_co_u32_e64 v28, s[0:1], 0, -1, vcc
	v_cmp_ne_u32_e32 vcc, 0, v1
	v_lshl_add_u32 v0, v4, 4, v4
	v_xor_b32_e32 v1, vcc_hi, v28
	v_add_lshl_u32 v35, v24, v0, 2
	v_mov_b32_e32 v0, 0
	v_and_b32_e32 v28, exec_hi, v1
	v_lshlrev_b32_e32 v1, 30, v4
	v_xor_b32_e32 v5, vcc_lo, v5
	v_cmp_gt_i64_e32 vcc, 0, v[0:1]
	v_not_b32_e32 v1, v1
	v_ashrrev_i32_e32 v1, 31, v1
	v_and_b32_e32 v5, exec_lo, v5
	v_xor_b32_e32 v31, vcc_hi, v1
	v_xor_b32_e32 v1, vcc_lo, v1
	v_and_b32_e32 v5, v5, v1
	v_lshlrev_b32_e32 v1, 29, v4
	v_cmp_gt_i64_e32 vcc, 0, v[0:1]
	v_not_b32_e32 v1, v1
	v_ashrrev_i32_e32 v1, 31, v1
	v_and_b32_e32 v28, v28, v31
	v_xor_b32_e32 v31, vcc_hi, v1
	v_xor_b32_e32 v1, vcc_lo, v1
	v_and_b32_e32 v5, v5, v1
	v_lshlrev_b32_e32 v1, 28, v4
	v_cmp_gt_i64_e32 vcc, 0, v[0:1]
	v_not_b32_e32 v1, v1
	v_ashrrev_i32_e32 v1, 31, v1
	v_and_b32_e32 v28, v28, v31
	;; [unrolled: 8-line block ×5, first 2 shown]
	v_xor_b32_e32 v31, vcc_hi, v1
	v_xor_b32_e32 v1, vcc_lo, v1
	v_and_b32_e32 v28, v28, v31
	v_and_b32_e32 v31, v5, v1
	v_lshlrev_b32_e32 v1, 24, v4
	v_cmp_gt_i64_e32 vcc, 0, v[0:1]
	v_not_b32_e32 v1, v1
	v_ashrrev_i32_e32 v1, 31, v1
	v_xor_b32_e32 v4, vcc_hi, v1
	v_xor_b32_e32 v1, vcc_lo, v1
	; wave barrier
	ds_read_b32 v26, v35 offset:64
	v_and_b32_e32 v5, v28, v4
	v_and_b32_e32 v4, v31, v1
	v_mbcnt_lo_u32_b32 v1, v4, 0
	v_mbcnt_hi_u32_b32 v28, v5, v1
	v_cmp_eq_u32_e32 vcc, 0, v28
	v_cmp_ne_u64_e64 s[0:1], 0, v[4:5]
	s_and_b64 s[2:3], s[0:1], vcc
	; wave barrier
	s_and_saveexec_b64 s[0:1], s[2:3]
	s_cbranch_execz .LBB2118_93
; %bb.92:
	v_bcnt_u32_b32 v1, v4, 0
	v_bcnt_u32_b32 v1, v5, v1
	s_waitcnt lgkmcnt(0)
	v_add_u32_e32 v1, v26, v1
	ds_write_b32 v35, v1 offset:64
.LBB2118_93:
	s_or_b64 exec, exec, s[0:1]
	s_waitcnt vmcnt(6)
	v_not_b32_e32 v20, v20
	v_lshrrev_b32_e32 v1, s16, v20
	v_and_b32_e32 v4, s17, v1
	v_lshl_add_u32 v1, v4, 4, v4
	v_add_lshl_u32 v38, v24, v1, 2
	v_and_b32_e32 v1, 1, v4
	v_add_co_u32_e32 v5, vcc, -1, v1
	v_addc_co_u32_e64 v33, s[0:1], 0, -1, vcc
	v_cmp_ne_u32_e32 vcc, 0, v1
	v_xor_b32_e32 v1, vcc_hi, v33
	v_and_b32_e32 v33, exec_hi, v1
	v_lshlrev_b32_e32 v1, 30, v4
	v_xor_b32_e32 v5, vcc_lo, v5
	v_cmp_gt_i64_e32 vcc, 0, v[0:1]
	v_not_b32_e32 v1, v1
	v_ashrrev_i32_e32 v1, 31, v1
	v_and_b32_e32 v5, exec_lo, v5
	v_xor_b32_e32 v36, vcc_hi, v1
	v_xor_b32_e32 v1, vcc_lo, v1
	v_and_b32_e32 v5, v5, v1
	v_lshlrev_b32_e32 v1, 29, v4
	v_cmp_gt_i64_e32 vcc, 0, v[0:1]
	v_not_b32_e32 v1, v1
	v_ashrrev_i32_e32 v1, 31, v1
	v_and_b32_e32 v33, v33, v36
	v_xor_b32_e32 v36, vcc_hi, v1
	v_xor_b32_e32 v1, vcc_lo, v1
	v_and_b32_e32 v5, v5, v1
	v_lshlrev_b32_e32 v1, 28, v4
	v_cmp_gt_i64_e32 vcc, 0, v[0:1]
	v_not_b32_e32 v1, v1
	v_ashrrev_i32_e32 v1, 31, v1
	v_and_b32_e32 v33, v33, v36
	;; [unrolled: 8-line block ×5, first 2 shown]
	v_xor_b32_e32 v36, vcc_hi, v1
	v_xor_b32_e32 v1, vcc_lo, v1
	v_and_b32_e32 v5, v5, v1
	v_lshlrev_b32_e32 v1, 24, v4
	v_cmp_gt_i64_e32 vcc, 0, v[0:1]
	v_not_b32_e32 v0, v1
	v_ashrrev_i32_e32 v0, 31, v0
	v_xor_b32_e32 v1, vcc_hi, v0
	v_xor_b32_e32 v0, vcc_lo, v0
	; wave barrier
	ds_read_b32 v31, v38 offset:64
	v_and_b32_e32 v33, v33, v36
	v_and_b32_e32 v0, v5, v0
	;; [unrolled: 1-line block ×3, first 2 shown]
	v_mbcnt_lo_u32_b32 v4, v0, 0
	v_mbcnt_hi_u32_b32 v33, v1, v4
	v_cmp_eq_u32_e32 vcc, 0, v33
	v_cmp_ne_u64_e64 s[0:1], 0, v[0:1]
	s_and_b64 s[2:3], s[0:1], vcc
	; wave barrier
	s_and_saveexec_b64 s[0:1], s[2:3]
	s_cbranch_execz .LBB2118_95
; %bb.94:
	v_bcnt_u32_b32 v0, v0, 0
	v_bcnt_u32_b32 v0, v1, v0
	s_waitcnt lgkmcnt(0)
	v_add_u32_e32 v0, v31, v0
	ds_write_b32 v38, v0 offset:64
.LBB2118_95:
	s_or_b64 exec, exec, s[0:1]
	s_waitcnt vmcnt(5)
	v_not_b32_e32 v23, v23
	v_lshrrev_b32_e32 v0, s16, v23
	v_and_b32_e32 v4, s17, v0
	v_and_b32_e32 v1, 1, v4
	v_add_co_u32_e32 v5, vcc, -1, v1
	v_addc_co_u32_e64 v37, s[0:1], 0, -1, vcc
	v_cmp_ne_u32_e32 vcc, 0, v1
	v_lshl_add_u32 v0, v4, 4, v4
	v_xor_b32_e32 v1, vcc_hi, v37
	v_add_lshl_u32 v40, v24, v0, 2
	v_mov_b32_e32 v0, 0
	v_and_b32_e32 v37, exec_hi, v1
	v_lshlrev_b32_e32 v1, 30, v4
	v_xor_b32_e32 v5, vcc_lo, v5
	v_cmp_gt_i64_e32 vcc, 0, v[0:1]
	v_not_b32_e32 v1, v1
	v_ashrrev_i32_e32 v1, 31, v1
	v_and_b32_e32 v5, exec_lo, v5
	v_xor_b32_e32 v39, vcc_hi, v1
	v_xor_b32_e32 v1, vcc_lo, v1
	v_and_b32_e32 v5, v5, v1
	v_lshlrev_b32_e32 v1, 29, v4
	v_cmp_gt_i64_e32 vcc, 0, v[0:1]
	v_not_b32_e32 v1, v1
	v_ashrrev_i32_e32 v1, 31, v1
	v_and_b32_e32 v37, v37, v39
	v_xor_b32_e32 v39, vcc_hi, v1
	v_xor_b32_e32 v1, vcc_lo, v1
	v_and_b32_e32 v5, v5, v1
	v_lshlrev_b32_e32 v1, 28, v4
	v_cmp_gt_i64_e32 vcc, 0, v[0:1]
	v_not_b32_e32 v1, v1
	v_ashrrev_i32_e32 v1, 31, v1
	v_and_b32_e32 v37, v37, v39
	;; [unrolled: 8-line block ×5, first 2 shown]
	v_xor_b32_e32 v39, vcc_hi, v1
	v_xor_b32_e32 v1, vcc_lo, v1
	v_and_b32_e32 v37, v37, v39
	v_and_b32_e32 v39, v5, v1
	v_lshlrev_b32_e32 v1, 24, v4
	v_cmp_gt_i64_e32 vcc, 0, v[0:1]
	v_not_b32_e32 v1, v1
	v_ashrrev_i32_e32 v1, 31, v1
	v_xor_b32_e32 v4, vcc_hi, v1
	v_xor_b32_e32 v1, vcc_lo, v1
	; wave barrier
	ds_read_b32 v36, v40 offset:64
	v_and_b32_e32 v5, v37, v4
	v_and_b32_e32 v4, v39, v1
	v_mbcnt_lo_u32_b32 v1, v4, 0
	v_mbcnt_hi_u32_b32 v37, v5, v1
	v_cmp_eq_u32_e32 vcc, 0, v37
	v_cmp_ne_u64_e64 s[0:1], 0, v[4:5]
	s_and_b64 s[2:3], s[0:1], vcc
	; wave barrier
	s_and_saveexec_b64 s[0:1], s[2:3]
	s_cbranch_execz .LBB2118_97
; %bb.96:
	v_bcnt_u32_b32 v1, v4, 0
	v_bcnt_u32_b32 v1, v5, v1
	s_waitcnt lgkmcnt(0)
	v_add_u32_e32 v1, v36, v1
	ds_write_b32 v40, v1 offset:64
.LBB2118_97:
	s_or_b64 exec, exec, s[0:1]
	s_waitcnt vmcnt(4)
	v_not_b32_e32 v29, v29
	v_lshrrev_b32_e32 v1, s16, v29
	v_and_b32_e32 v4, s17, v1
	v_lshl_add_u32 v1, v4, 4, v4
	v_add_lshl_u32 v45, v24, v1, 2
	v_and_b32_e32 v1, 1, v4
	v_add_co_u32_e32 v5, vcc, -1, v1
	v_addc_co_u32_e64 v41, s[0:1], 0, -1, vcc
	v_cmp_ne_u32_e32 vcc, 0, v1
	v_xor_b32_e32 v1, vcc_hi, v41
	v_and_b32_e32 v41, exec_hi, v1
	v_lshlrev_b32_e32 v1, 30, v4
	v_xor_b32_e32 v5, vcc_lo, v5
	v_cmp_gt_i64_e32 vcc, 0, v[0:1]
	v_not_b32_e32 v1, v1
	v_ashrrev_i32_e32 v1, 31, v1
	v_and_b32_e32 v5, exec_lo, v5
	v_xor_b32_e32 v42, vcc_hi, v1
	v_xor_b32_e32 v1, vcc_lo, v1
	v_and_b32_e32 v5, v5, v1
	v_lshlrev_b32_e32 v1, 29, v4
	v_cmp_gt_i64_e32 vcc, 0, v[0:1]
	v_not_b32_e32 v1, v1
	v_ashrrev_i32_e32 v1, 31, v1
	v_and_b32_e32 v41, v41, v42
	v_xor_b32_e32 v42, vcc_hi, v1
	v_xor_b32_e32 v1, vcc_lo, v1
	v_and_b32_e32 v5, v5, v1
	v_lshlrev_b32_e32 v1, 28, v4
	v_cmp_gt_i64_e32 vcc, 0, v[0:1]
	v_not_b32_e32 v1, v1
	v_ashrrev_i32_e32 v1, 31, v1
	v_and_b32_e32 v41, v41, v42
	;; [unrolled: 8-line block ×5, first 2 shown]
	v_xor_b32_e32 v42, vcc_hi, v1
	v_xor_b32_e32 v1, vcc_lo, v1
	v_and_b32_e32 v5, v5, v1
	v_lshlrev_b32_e32 v1, 24, v4
	v_cmp_gt_i64_e32 vcc, 0, v[0:1]
	v_not_b32_e32 v0, v1
	v_ashrrev_i32_e32 v0, 31, v0
	v_xor_b32_e32 v1, vcc_hi, v0
	v_xor_b32_e32 v0, vcc_lo, v0
	; wave barrier
	ds_read_b32 v39, v45 offset:64
	v_and_b32_e32 v41, v41, v42
	v_and_b32_e32 v0, v5, v0
	v_and_b32_e32 v1, v41, v1
	v_mbcnt_lo_u32_b32 v4, v0, 0
	v_mbcnt_hi_u32_b32 v41, v1, v4
	v_cmp_eq_u32_e32 vcc, 0, v41
	v_cmp_ne_u64_e64 s[0:1], 0, v[0:1]
	s_and_b64 s[2:3], s[0:1], vcc
	; wave barrier
	s_and_saveexec_b64 s[0:1], s[2:3]
	s_cbranch_execz .LBB2118_99
; %bb.98:
	v_bcnt_u32_b32 v0, v0, 0
	v_bcnt_u32_b32 v0, v1, v0
	s_waitcnt lgkmcnt(0)
	v_add_u32_e32 v0, v39, v0
	ds_write_b32 v45, v0 offset:64
.LBB2118_99:
	s_or_b64 exec, exec, s[0:1]
	s_waitcnt vmcnt(3)
	v_not_b32_e32 v34, v34
	v_lshrrev_b32_e32 v0, s16, v34
	v_and_b32_e32 v4, s17, v0
	v_and_b32_e32 v1, 1, v4
	v_add_co_u32_e32 v5, vcc, -1, v1
	v_addc_co_u32_e64 v43, s[0:1], 0, -1, vcc
	v_cmp_ne_u32_e32 vcc, 0, v1
	v_lshl_add_u32 v0, v4, 4, v4
	v_xor_b32_e32 v1, vcc_hi, v43
	v_add_lshl_u32 v48, v24, v0, 2
	v_mov_b32_e32 v0, 0
	v_and_b32_e32 v43, exec_hi, v1
	v_lshlrev_b32_e32 v1, 30, v4
	v_xor_b32_e32 v5, vcc_lo, v5
	v_cmp_gt_i64_e32 vcc, 0, v[0:1]
	v_not_b32_e32 v1, v1
	v_ashrrev_i32_e32 v1, 31, v1
	v_and_b32_e32 v5, exec_lo, v5
	v_xor_b32_e32 v44, vcc_hi, v1
	v_xor_b32_e32 v1, vcc_lo, v1
	v_and_b32_e32 v5, v5, v1
	v_lshlrev_b32_e32 v1, 29, v4
	v_cmp_gt_i64_e32 vcc, 0, v[0:1]
	v_not_b32_e32 v1, v1
	v_ashrrev_i32_e32 v1, 31, v1
	v_and_b32_e32 v43, v43, v44
	v_xor_b32_e32 v44, vcc_hi, v1
	v_xor_b32_e32 v1, vcc_lo, v1
	v_and_b32_e32 v5, v5, v1
	v_lshlrev_b32_e32 v1, 28, v4
	v_cmp_gt_i64_e32 vcc, 0, v[0:1]
	v_not_b32_e32 v1, v1
	v_ashrrev_i32_e32 v1, 31, v1
	v_and_b32_e32 v43, v43, v44
	;; [unrolled: 8-line block ×5, first 2 shown]
	v_xor_b32_e32 v44, vcc_hi, v1
	v_xor_b32_e32 v1, vcc_lo, v1
	v_and_b32_e32 v43, v43, v44
	v_and_b32_e32 v44, v5, v1
	v_lshlrev_b32_e32 v1, 24, v4
	v_cmp_gt_i64_e32 vcc, 0, v[0:1]
	v_not_b32_e32 v1, v1
	v_ashrrev_i32_e32 v1, 31, v1
	v_xor_b32_e32 v4, vcc_hi, v1
	v_xor_b32_e32 v1, vcc_lo, v1
	; wave barrier
	ds_read_b32 v42, v48 offset:64
	v_and_b32_e32 v5, v43, v4
	v_and_b32_e32 v4, v44, v1
	v_mbcnt_lo_u32_b32 v1, v4, 0
	v_mbcnt_hi_u32_b32 v43, v5, v1
	v_cmp_eq_u32_e32 vcc, 0, v43
	v_cmp_ne_u64_e64 s[0:1], 0, v[4:5]
	s_and_b64 s[2:3], s[0:1], vcc
	; wave barrier
	s_and_saveexec_b64 s[0:1], s[2:3]
	s_cbranch_execz .LBB2118_101
; %bb.100:
	v_bcnt_u32_b32 v1, v4, 0
	v_bcnt_u32_b32 v1, v5, v1
	s_waitcnt lgkmcnt(0)
	v_add_u32_e32 v1, v42, v1
	ds_write_b32 v48, v1 offset:64
.LBB2118_101:
	s_or_b64 exec, exec, s[0:1]
	s_waitcnt vmcnt(2)
	v_not_b32_e32 v32, v32
	v_lshrrev_b32_e32 v1, s16, v32
	v_and_b32_e32 v4, s17, v1
	v_lshl_add_u32 v1, v4, 4, v4
	v_add_lshl_u32 v51, v24, v1, 2
	v_and_b32_e32 v1, 1, v4
	v_add_co_u32_e32 v5, vcc, -1, v1
	v_addc_co_u32_e64 v44, s[0:1], 0, -1, vcc
	v_cmp_ne_u32_e32 vcc, 0, v1
	v_xor_b32_e32 v1, vcc_hi, v44
	v_and_b32_e32 v44, exec_hi, v1
	v_lshlrev_b32_e32 v1, 30, v4
	v_xor_b32_e32 v5, vcc_lo, v5
	v_cmp_gt_i64_e32 vcc, 0, v[0:1]
	v_not_b32_e32 v1, v1
	v_ashrrev_i32_e32 v1, 31, v1
	v_and_b32_e32 v5, exec_lo, v5
	v_xor_b32_e32 v47, vcc_hi, v1
	v_xor_b32_e32 v1, vcc_lo, v1
	v_and_b32_e32 v5, v5, v1
	v_lshlrev_b32_e32 v1, 29, v4
	v_cmp_gt_i64_e32 vcc, 0, v[0:1]
	v_not_b32_e32 v1, v1
	v_ashrrev_i32_e32 v1, 31, v1
	v_and_b32_e32 v44, v44, v47
	v_xor_b32_e32 v47, vcc_hi, v1
	v_xor_b32_e32 v1, vcc_lo, v1
	v_and_b32_e32 v5, v5, v1
	v_lshlrev_b32_e32 v1, 28, v4
	v_cmp_gt_i64_e32 vcc, 0, v[0:1]
	v_not_b32_e32 v1, v1
	v_ashrrev_i32_e32 v1, 31, v1
	v_and_b32_e32 v44, v44, v47
	v_xor_b32_e32 v47, vcc_hi, v1
	v_xor_b32_e32 v1, vcc_lo, v1
	v_and_b32_e32 v5, v5, v1
	v_lshlrev_b32_e32 v1, 27, v4
	v_cmp_gt_i64_e32 vcc, 0, v[0:1]
	v_not_b32_e32 v1, v1
	v_ashrrev_i32_e32 v1, 31, v1
	v_and_b32_e32 v44, v44, v47
	v_xor_b32_e32 v47, vcc_hi, v1
	v_xor_b32_e32 v1, vcc_lo, v1
	v_and_b32_e32 v5, v5, v1
	v_lshlrev_b32_e32 v1, 26, v4
	v_cmp_gt_i64_e32 vcc, 0, v[0:1]
	v_not_b32_e32 v1, v1
	v_ashrrev_i32_e32 v1, 31, v1
	v_and_b32_e32 v44, v44, v47
	v_xor_b32_e32 v47, vcc_hi, v1
	v_xor_b32_e32 v1, vcc_lo, v1
	v_and_b32_e32 v5, v5, v1
	v_lshlrev_b32_e32 v1, 25, v4
	v_cmp_gt_i64_e32 vcc, 0, v[0:1]
	v_not_b32_e32 v1, v1
	v_ashrrev_i32_e32 v1, 31, v1
	v_and_b32_e32 v44, v44, v47
	v_xor_b32_e32 v47, vcc_hi, v1
	v_xor_b32_e32 v1, vcc_lo, v1
	v_and_b32_e32 v5, v5, v1
	v_lshlrev_b32_e32 v1, 24, v4
	v_cmp_gt_i64_e32 vcc, 0, v[0:1]
	v_not_b32_e32 v0, v1
	v_ashrrev_i32_e32 v0, 31, v0
	v_xor_b32_e32 v1, vcc_hi, v0
	v_xor_b32_e32 v0, vcc_lo, v0
	; wave barrier
	ds_read_b32 v46, v51 offset:64
	v_and_b32_e32 v44, v44, v47
	v_and_b32_e32 v0, v5, v0
	;; [unrolled: 1-line block ×3, first 2 shown]
	v_mbcnt_lo_u32_b32 v4, v0, 0
	v_mbcnt_hi_u32_b32 v47, v1, v4
	v_cmp_eq_u32_e32 vcc, 0, v47
	v_cmp_ne_u64_e64 s[0:1], 0, v[0:1]
	s_and_b64 s[2:3], s[0:1], vcc
	; wave barrier
	s_and_saveexec_b64 s[0:1], s[2:3]
	s_cbranch_execz .LBB2118_103
; %bb.102:
	v_bcnt_u32_b32 v0, v0, 0
	v_bcnt_u32_b32 v0, v1, v0
	s_waitcnt lgkmcnt(0)
	v_add_u32_e32 v0, v46, v0
	ds_write_b32 v51, v0 offset:64
.LBB2118_103:
	s_or_b64 exec, exec, s[0:1]
	s_waitcnt vmcnt(1)
	v_not_b32_e32 v27, v27
	v_lshrrev_b32_e32 v0, s16, v27
	v_and_b32_e32 v4, s17, v0
	v_and_b32_e32 v1, 1, v4
	v_add_co_u32_e32 v5, vcc, -1, v1
	v_addc_co_u32_e64 v44, s[0:1], 0, -1, vcc
	v_cmp_ne_u32_e32 vcc, 0, v1
	v_lshl_add_u32 v0, v4, 4, v4
	v_xor_b32_e32 v1, vcc_hi, v44
	v_add_lshl_u32 v54, v24, v0, 2
	v_mov_b32_e32 v0, 0
	v_and_b32_e32 v44, exec_hi, v1
	v_lshlrev_b32_e32 v1, 30, v4
	v_xor_b32_e32 v5, vcc_lo, v5
	v_cmp_gt_i64_e32 vcc, 0, v[0:1]
	v_not_b32_e32 v1, v1
	v_ashrrev_i32_e32 v1, 31, v1
	v_and_b32_e32 v5, exec_lo, v5
	v_xor_b32_e32 v50, vcc_hi, v1
	v_xor_b32_e32 v1, vcc_lo, v1
	v_and_b32_e32 v5, v5, v1
	v_lshlrev_b32_e32 v1, 29, v4
	v_cmp_gt_i64_e32 vcc, 0, v[0:1]
	v_not_b32_e32 v1, v1
	v_ashrrev_i32_e32 v1, 31, v1
	v_and_b32_e32 v44, v44, v50
	v_xor_b32_e32 v50, vcc_hi, v1
	v_xor_b32_e32 v1, vcc_lo, v1
	v_and_b32_e32 v5, v5, v1
	v_lshlrev_b32_e32 v1, 28, v4
	v_cmp_gt_i64_e32 vcc, 0, v[0:1]
	v_not_b32_e32 v1, v1
	v_ashrrev_i32_e32 v1, 31, v1
	v_and_b32_e32 v44, v44, v50
	;; [unrolled: 8-line block ×5, first 2 shown]
	v_xor_b32_e32 v50, vcc_hi, v1
	v_xor_b32_e32 v1, vcc_lo, v1
	v_and_b32_e32 v44, v44, v50
	v_and_b32_e32 v50, v5, v1
	v_lshlrev_b32_e32 v1, 24, v4
	v_cmp_gt_i64_e32 vcc, 0, v[0:1]
	v_not_b32_e32 v1, v1
	v_ashrrev_i32_e32 v1, 31, v1
	v_xor_b32_e32 v4, vcc_hi, v1
	v_xor_b32_e32 v1, vcc_lo, v1
	; wave barrier
	ds_read_b32 v49, v54 offset:64
	v_and_b32_e32 v5, v44, v4
	v_and_b32_e32 v4, v50, v1
	v_mbcnt_lo_u32_b32 v1, v4, 0
	v_mbcnt_hi_u32_b32 v50, v5, v1
	v_cmp_eq_u32_e32 vcc, 0, v50
	v_cmp_ne_u64_e64 s[0:1], 0, v[4:5]
	s_and_b64 s[2:3], s[0:1], vcc
	; wave barrier
	s_and_saveexec_b64 s[0:1], s[2:3]
	s_cbranch_execz .LBB2118_105
; %bb.104:
	v_bcnt_u32_b32 v1, v4, 0
	v_bcnt_u32_b32 v1, v5, v1
	s_waitcnt lgkmcnt(0)
	v_add_u32_e32 v1, v49, v1
	ds_write_b32 v54, v1 offset:64
.LBB2118_105:
	s_or_b64 exec, exec, s[0:1]
	s_waitcnt vmcnt(0)
	v_not_b32_e32 v44, v9
	v_lshrrev_b32_e32 v1, s16, v44
	v_and_b32_e32 v4, s17, v1
	v_lshl_add_u32 v1, v4, 4, v4
	v_add_lshl_u32 v9, v24, v1, 2
	v_and_b32_e32 v1, 1, v4
	v_add_co_u32_e32 v5, vcc, -1, v1
	v_addc_co_u32_e64 v24, s[0:1], 0, -1, vcc
	v_cmp_ne_u32_e32 vcc, 0, v1
	v_xor_b32_e32 v1, vcc_hi, v24
	v_and_b32_e32 v24, exec_hi, v1
	v_lshlrev_b32_e32 v1, 30, v4
	v_xor_b32_e32 v5, vcc_lo, v5
	v_cmp_gt_i64_e32 vcc, 0, v[0:1]
	v_not_b32_e32 v1, v1
	v_ashrrev_i32_e32 v1, 31, v1
	v_and_b32_e32 v5, exec_lo, v5
	v_xor_b32_e32 v53, vcc_hi, v1
	v_xor_b32_e32 v1, vcc_lo, v1
	v_and_b32_e32 v5, v5, v1
	v_lshlrev_b32_e32 v1, 29, v4
	v_cmp_gt_i64_e32 vcc, 0, v[0:1]
	v_not_b32_e32 v1, v1
	v_ashrrev_i32_e32 v1, 31, v1
	v_and_b32_e32 v24, v24, v53
	v_xor_b32_e32 v53, vcc_hi, v1
	v_xor_b32_e32 v1, vcc_lo, v1
	v_and_b32_e32 v5, v5, v1
	v_lshlrev_b32_e32 v1, 28, v4
	v_cmp_gt_i64_e32 vcc, 0, v[0:1]
	v_not_b32_e32 v1, v1
	v_ashrrev_i32_e32 v1, 31, v1
	v_and_b32_e32 v24, v24, v53
	;; [unrolled: 8-line block ×5, first 2 shown]
	v_xor_b32_e32 v53, vcc_hi, v1
	v_xor_b32_e32 v1, vcc_lo, v1
	v_and_b32_e32 v5, v5, v1
	v_lshlrev_b32_e32 v1, 24, v4
	v_cmp_gt_i64_e32 vcc, 0, v[0:1]
	v_not_b32_e32 v0, v1
	v_ashrrev_i32_e32 v0, 31, v0
	v_xor_b32_e32 v1, vcc_hi, v0
	v_xor_b32_e32 v0, vcc_lo, v0
	; wave barrier
	ds_read_b32 v52, v9 offset:64
	v_and_b32_e32 v24, v24, v53
	v_and_b32_e32 v0, v5, v0
	;; [unrolled: 1-line block ×3, first 2 shown]
	v_mbcnt_lo_u32_b32 v4, v0, 0
	v_mbcnt_hi_u32_b32 v53, v1, v4
	v_cmp_eq_u32_e32 vcc, 0, v53
	v_cmp_ne_u64_e64 s[0:1], 0, v[0:1]
	v_add_u32_e32 v55, 64, v6
	s_and_b64 s[2:3], s[0:1], vcc
	; wave barrier
	s_and_saveexec_b64 s[0:1], s[2:3]
	s_cbranch_execz .LBB2118_107
; %bb.106:
	v_bcnt_u32_b32 v0, v0, 0
	v_bcnt_u32_b32 v0, v1, v0
	s_waitcnt lgkmcnt(0)
	v_add_u32_e32 v0, v52, v0
	ds_write_b32 v9, v0 offset:64
.LBB2118_107:
	s_or_b64 exec, exec, s[0:1]
	; wave barrier
	s_waitcnt lgkmcnt(0)
	s_barrier
	ds_read2_b32 v[4:5], v6 offset0:16 offset1:17
	ds_read2_b32 v[0:1], v55 offset0:2 offset1:3
	ds_read_b32 v24, v55 offset:16
	v_cmp_lt_u32_e64 s[8:9], 31, v3
	s_waitcnt lgkmcnt(1)
	v_add3_u32 v56, v5, v4, v0
	s_waitcnt lgkmcnt(0)
	v_add3_u32 v24, v56, v1, v24
	v_and_b32_e32 v56, 15, v3
	v_cmp_eq_u32_e32 vcc, 0, v56
	v_mov_b32_dpp v57, v24 row_shr:1 row_mask:0xf bank_mask:0xf
	v_cndmask_b32_e64 v57, v57, 0, vcc
	v_add_u32_e32 v24, v57, v24
	v_cmp_lt_u32_e64 s[0:1], 1, v56
	v_cmp_lt_u32_e64 s[2:3], 3, v56
	v_mov_b32_dpp v57, v24 row_shr:2 row_mask:0xf bank_mask:0xf
	v_cndmask_b32_e64 v57, 0, v57, s[0:1]
	v_add_u32_e32 v24, v24, v57
	v_cmp_lt_u32_e64 s[4:5], 7, v56
	s_nop 0
	v_mov_b32_dpp v57, v24 row_shr:4 row_mask:0xf bank_mask:0xf
	v_cndmask_b32_e64 v57, 0, v57, s[2:3]
	v_add_u32_e32 v24, v24, v57
	s_nop 1
	v_mov_b32_dpp v57, v24 row_shr:8 row_mask:0xf bank_mask:0xf
	v_cndmask_b32_e64 v56, 0, v57, s[4:5]
	v_add_u32_e32 v24, v24, v56
	v_bfe_i32 v57, v3, 4, 1
	s_nop 0
	v_mov_b32_dpp v56, v24 row_bcast:15 row_mask:0xf bank_mask:0xf
	v_and_b32_e32 v56, v57, v56
	v_add_u32_e32 v24, v24, v56
	v_lshrrev_b32_e32 v57, 6, v2
	s_nop 0
	v_mov_b32_dpp v56, v24 row_bcast:31 row_mask:0xf bank_mask:0xf
	v_cndmask_b32_e64 v56, 0, v56, s[8:9]
	v_add_u32_e32 v56, v24, v56
	v_and_b32_e32 v24, 63, v2
	v_cmp_eq_u32_e64 s[8:9], 63, v24
	s_and_saveexec_b64 s[10:11], s[8:9]
	s_cbranch_execz .LBB2118_109
; %bb.108:
	v_lshlrev_b32_e32 v24, 2, v57
	ds_write_b32 v24, v56
.LBB2118_109:
	s_or_b64 exec, exec, s[10:11]
	v_cmp_gt_u32_e64 s[8:9], 16, v2
	v_lshlrev_b32_e32 v24, 2, v2
	s_waitcnt lgkmcnt(0)
	s_barrier
	s_and_saveexec_b64 s[10:11], s[8:9]
	s_cbranch_execz .LBB2118_111
; %bb.110:
	ds_read_b32 v58, v24
	s_waitcnt lgkmcnt(0)
	s_nop 0
	v_mov_b32_dpp v59, v58 row_shr:1 row_mask:0xf bank_mask:0xf
	v_cndmask_b32_e64 v59, v59, 0, vcc
	v_add_u32_e32 v58, v59, v58
	s_nop 1
	v_mov_b32_dpp v59, v58 row_shr:2 row_mask:0xf bank_mask:0xf
	v_cndmask_b32_e64 v59, 0, v59, s[0:1]
	v_add_u32_e32 v58, v58, v59
	s_nop 1
	v_mov_b32_dpp v59, v58 row_shr:4 row_mask:0xf bank_mask:0xf
	v_cndmask_b32_e64 v59, 0, v59, s[2:3]
	;; [unrolled: 4-line block ×3, first 2 shown]
	v_add_u32_e32 v58, v58, v59
	ds_write_b32 v24, v58
.LBB2118_111:
	s_or_b64 exec, exec, s[10:11]
	v_cmp_lt_u32_e32 vcc, 63, v2
	v_mov_b32_e32 v58, 0
	s_waitcnt lgkmcnt(0)
	s_barrier
	s_and_saveexec_b64 s[0:1], vcc
	s_cbranch_execz .LBB2118_113
; %bb.112:
	v_lshl_add_u32 v57, v57, 2, -4
	ds_read_b32 v58, v57
.LBB2118_113:
	s_or_b64 exec, exec, s[0:1]
	v_add_u32_e32 v57, -1, v3
	v_and_b32_e32 v59, 64, v3
	v_cmp_lt_i32_e32 vcc, v57, v59
	v_cndmask_b32_e32 v57, v57, v3, vcc
	s_waitcnt lgkmcnt(0)
	v_add_u32_e32 v56, v58, v56
	v_lshlrev_b32_e32 v57, 2, v57
	ds_bpermute_b32 v56, v57, v56
	v_cmp_eq_u32_e32 vcc, 0, v3
	s_movk_i32 s2, 0xff
	s_movk_i32 s0, 0x100
	v_cmp_gt_u32_e64 s[0:1], s0, v2
	s_waitcnt lgkmcnt(0)
	v_cndmask_b32_e32 v3, v56, v58, vcc
	v_cmp_ne_u32_e32 vcc, 0, v2
	v_cndmask_b32_e32 v3, 0, v3, vcc
	v_add_u32_e32 v4, v3, v4
	v_add_u32_e32 v5, v4, v5
	;; [unrolled: 1-line block ×4, first 2 shown]
	ds_write2_b32 v6, v3, v4 offset0:16 offset1:17
	ds_write2_b32 v55, v5, v0 offset0:2 offset1:3
	ds_write_b32 v55, v1 offset:16
	s_waitcnt lgkmcnt(0)
	s_barrier
	ds_read_b32 v59, v7 offset:64
	ds_read_b32 v55, v8 offset:64
	;; [unrolled: 1-line block ×12, first 2 shown]
	v_cmp_lt_u32_e32 vcc, s2, v2
	v_pk_mov_b32 v[4:5], 0, 0
                                        ; implicit-def: $vgpr40
	s_and_saveexec_b64 s[4:5], s[0:1]
	s_cbranch_execz .LBB2118_117
; %bb.114:
	v_mul_u32_u24_e32 v0, 17, v2
	v_lshlrev_b32_e32 v1, 2, v0
	ds_read_b32 v4, v1 offset:64
	v_cmp_ne_u32_e64 s[2:3], s2, v2
	v_mov_b32_e32 v0, 0x3000
	s_and_saveexec_b64 s[8:9], s[2:3]
	s_cbranch_execz .LBB2118_116
; %bb.115:
	ds_read_b32 v0, v1 offset:132
.LBB2118_116:
	s_or_b64 exec, exec, s[8:9]
	s_waitcnt lgkmcnt(0)
	v_sub_u32_e32 v40, v0, v4
	v_mov_b32_e32 v5, 0
.LBB2118_117:
	s_or_b64 exec, exec, s[4:5]
	s_waitcnt lgkmcnt(0)
	s_barrier
	s_and_saveexec_b64 s[2:3], vcc
	s_xor_b64 s[2:3], exec, s[2:3]
; %bb.118:
	v_mov_b32_e32 v3, 0
; %bb.119:
	s_andn2_saveexec_b64 s[2:3], s[2:3]
	s_cbranch_execz .LBB2118_129
; %bb.120:
	v_lshl_or_b32 v0, s6, 8, v2
	v_mov_b32_e32 v1, 0
	v_lshlrev_b64 v[6:7], 2, v[0:1]
	v_mov_b32_e32 v3, s25
	v_add_co_u32_e32 v6, vcc, s24, v6
	v_addc_co_u32_e32 v7, vcc, v3, v7, vcc
	v_or_b32_e32 v0, 2.0, v40
	s_mov_b64 s[4:5], 0
	s_brev_b32 s18, 1
	s_mov_b32 s19, s6
	v_mov_b32_e32 v54, 0
	global_store_dword v[6:7], v0, off
                                        ; implicit-def: $sgpr8_sgpr9
	s_branch .LBB2118_123
.LBB2118_121:                           ;   in Loop: Header=BB2118_123 Depth=1
	s_or_b64 exec, exec, s[10:11]
.LBB2118_122:                           ;   in Loop: Header=BB2118_123 Depth=1
	s_or_b64 exec, exec, s[8:9]
	v_and_b32_e32 v8, 0x3fffffff, v60
	v_add_u32_e32 v54, v8, v54
	v_cmp_eq_u32_e64 s[8:9], s18, v0
	s_and_b64 s[10:11], exec, s[8:9]
	s_or_b64 s[4:5], s[10:11], s[4:5]
	s_andn2_b64 exec, exec, s[4:5]
	s_cbranch_execz .LBB2118_128
.LBB2118_123:                           ; =>This Loop Header: Depth=1
                                        ;     Child Loop BB2118_126 Depth 2
	s_or_b64 s[8:9], s[8:9], exec
	s_cmp_eq_u32 s19, 0
	s_cbranch_scc1 .LBB2118_127
; %bb.124:                              ;   in Loop: Header=BB2118_123 Depth=1
	s_add_i32 s19, s19, -1
	v_lshl_or_b32 v0, s19, 8, v2
	v_lshlrev_b64 v[8:9], 2, v[0:1]
	v_add_co_u32_e32 v8, vcc, s24, v8
	v_addc_co_u32_e32 v9, vcc, v3, v9, vcc
	global_load_dword v60, v[8:9], off glc
	s_waitcnt vmcnt(0)
	v_and_b32_e32 v0, -2.0, v60
	v_cmp_eq_u32_e32 vcc, 0, v0
	s_and_saveexec_b64 s[8:9], vcc
	s_cbranch_execz .LBB2118_122
; %bb.125:                              ;   in Loop: Header=BB2118_123 Depth=1
	s_mov_b64 s[10:11], 0
.LBB2118_126:                           ;   Parent Loop BB2118_123 Depth=1
                                        ; =>  This Inner Loop Header: Depth=2
	global_load_dword v60, v[8:9], off glc
	s_waitcnt vmcnt(0)
	v_and_b32_e32 v0, -2.0, v60
	v_cmp_ne_u32_e32 vcc, 0, v0
	s_or_b64 s[10:11], vcc, s[10:11]
	s_andn2_b64 exec, exec, s[10:11]
	s_cbranch_execnz .LBB2118_126
	s_branch .LBB2118_121
.LBB2118_127:                           ;   in Loop: Header=BB2118_123 Depth=1
                                        ; implicit-def: $sgpr19
	s_and_b64 s[10:11], exec, s[8:9]
	s_or_b64 s[4:5], s[10:11], s[4:5]
	s_andn2_b64 exec, exec, s[4:5]
	s_cbranch_execnz .LBB2118_123
.LBB2118_128:
	s_or_b64 exec, exec, s[4:5]
	v_add_u32_e32 v0, v54, v40
	v_or_b32_e32 v0, 0x80000000, v0
	global_store_dword v[6:7], v0, off
	v_lshlrev_b32_e32 v6, 3, v2
	global_load_dwordx2 v[0:1], v6, s[12:13]
	v_sub_co_u32_e32 v7, vcc, v54, v4
	v_subb_co_u32_e32 v8, vcc, 0, v5, vcc
	v_mov_b32_e32 v3, 0
	s_waitcnt vmcnt(0)
	v_add_co_u32_e32 v0, vcc, v7, v0
	v_addc_co_u32_e32 v1, vcc, v8, v1, vcc
	ds_write_b64 v6, v[0:1]
.LBB2118_129:
	s_or_b64 exec, exec, s[2:3]
	v_lshlrev_b64 v[0:1], 2, v[2:3]
	v_add3_u32 v15, v16, v55, v15
	v_mov_b32_e32 v16, s23
	v_add_co_u32_e32 v0, vcc, s22, v0
	v_add_u32_e32 v6, v59, v14
	v_add_u32_e32 v7, 0x800, v24
	v_add3_u32 v8, v53, v51, v52
	v_add3_u32 v9, v50, v48, v49
	;; [unrolled: 1-line block ×10, first 2 shown]
	v_addc_co_u32_e32 v1, vcc, v16, v1, vcc
	s_mov_b32 s2, 0
	s_movk_i32 s3, 0x1000
	s_movk_i32 s4, 0x2000
.LBB2118_130:                           ; =>This Inner Loop Header: Depth=1
	v_add_u32_e32 v16, s2, v6
	v_add_u32_e32 v36, s2, v31
	;; [unrolled: 1-line block ×12, first 2 shown]
	v_min_u32_e32 v16, 0x1000, v16
	v_min_u32_e32 v36, 0x1000, v36
	;; [unrolled: 1-line block ×12, first 2 shown]
	v_lshlrev_b32_e32 v16, 2, v16
	v_lshlrev_b32_e32 v36, 2, v36
	;; [unrolled: 1-line block ×12, first 2 shown]
	ds_write_b32 v16, v10 offset:2048
	ds_write_b32 v19, v11 offset:2048
	;; [unrolled: 1-line block ×12, first 2 shown]
	s_waitcnt lgkmcnt(0)
	s_barrier
	ds_read_b32 v16, v24 offset:2048
	ds_read2st64_b32 v[36:37], v7 offset0:16 offset1:32
	s_addk_i32 s2, 0xf000
	s_cmpk_lg_i32 s2, 0xd000
	s_waitcnt lgkmcnt(1)
	v_lshrrev_b32_e32 v19, s16, v16
	s_waitcnt lgkmcnt(0)
	v_lshrrev_b32_e32 v22, s16, v36
	v_lshrrev_b32_e32 v33, s16, v37
	v_and_b32_e32 v19, s17, v19
	v_and_b32_e32 v22, s17, v22
	;; [unrolled: 1-line block ×3, first 2 shown]
	v_lshlrev_b32_e32 v19, 3, v19
	v_not_b32_e32 v28, v36
	v_not_b32_e32 v41, v37
	v_lshlrev_b32_e32 v22, 3, v22
	v_lshlrev_b32_e32 v33, 3, v33
	ds_read_b64 v[36:37], v19
	ds_read_b64 v[38:39], v22
	;; [unrolled: 1-line block ×3, first 2 shown]
	ds_read_b32 v19, v7 offset:12288
	v_not_b32_e32 v16, v16
	s_waitcnt lgkmcnt(3)
	v_lshlrev_b64 v[36:37], 2, v[36:37]
	v_add_co_u32_e32 v36, vcc, v0, v36
	s_waitcnt lgkmcnt(2)
	v_lshlrev_b64 v[38:39], 2, v[38:39]
	v_addc_co_u32_e32 v37, vcc, v1, v37, vcc
	v_add_co_u32_e32 v33, vcc, v0, v38
	s_waitcnt lgkmcnt(1)
	v_lshlrev_b64 v[42:43], 2, v[42:43]
	v_addc_co_u32_e32 v38, vcc, v1, v39, vcc
	v_add_co_u32_e32 v39, vcc, v0, v42
	s_waitcnt lgkmcnt(0)
	v_lshrrev_b32_e32 v22, s16, v19
	v_addc_co_u32_e32 v42, vcc, v1, v43, vcc
	v_and_b32_e32 v22, s17, v22
	global_store_dword v[36:37], v16, off
	v_add_co_u32_e32 v36, vcc, s3, v33
	v_addc_co_u32_e32 v37, vcc, 0, v38, vcc
	v_lshlrev_b32_e32 v16, 3, v22
	global_store_dword v[36:37], v28, off
	ds_read_b64 v[36:37], v16
	v_add_co_u32_e32 v38, vcc, s4, v39
	v_addc_co_u32_e32 v39, vcc, 0, v42, vcc
	s_waitcnt lgkmcnt(0)
	v_lshlrev_b64 v[36:37], 2, v[36:37]
	v_add_co_u32_e32 v16, vcc, v0, v36
	v_addc_co_u32_e32 v22, vcc, v1, v37, vcc
	v_add_co_u32_e32 v36, vcc, 0x3000, v16
	v_addc_co_u32_e32 v37, vcc, 0, v22, vcc
	v_add_co_u32_e32 v0, vcc, 0x4000, v0
	v_not_b32_e32 v19, v19
	v_addc_co_u32_e32 v1, vcc, 0, v1, vcc
	global_store_dword v[38:39], v41, off
	global_store_dword v[36:37], v19, off
	s_barrier
	s_cbranch_scc1 .LBB2118_130
; %bb.131:
	s_add_i32 s7, s7, -1
	s_cmp_eq_u32 s7, s6
	s_cselect_b64 s[2:3], -1, 0
	s_and_b64 s[0:1], s[0:1], s[2:3]
.LBB2118_132:
	s_and_saveexec_b64 s[2:3], s[0:1]
	s_cbranch_execnz .LBB2118_134
; %bb.133:
	s_endpgm
.LBB2118_134:
	v_lshlrev_b32_e32 v6, 3, v2
	v_lshlrev_b64 v[0:1], 3, v[2:3]
	ds_read_b64 v[2:3], v6
	v_add_co_u32_e32 v4, vcc, v4, v40
	v_addc_co_u32_e32 v5, vcc, 0, v5, vcc
	v_mov_b32_e32 v7, s15
	v_add_co_u32_e32 v0, vcc, s14, v0
	v_addc_co_u32_e32 v1, vcc, v7, v1, vcc
	s_waitcnt lgkmcnt(0)
	v_add_co_u32_e32 v2, vcc, v4, v2
	v_addc_co_u32_e32 v3, vcc, v5, v3, vcc
	global_store_dwordx2 v[0:1], v[2:3], off
	s_endpgm
	.section	.rodata,"a",@progbits
	.p2align	6, 0x0
	.amdhsa_kernel _ZN7rocprim17ROCPRIM_400000_NS6detail17trampoline_kernelINS0_14default_configENS1_35radix_sort_onesweep_config_selectorIjNS0_10empty_typeEEEZZNS1_29radix_sort_onesweep_iterationIS3_Lb1EPjS8_PS5_S9_mNS0_19identity_decomposerENS1_16block_id_wrapperIjLb0EEEEE10hipError_tT1_PNSt15iterator_traitsISE_E10value_typeET2_T3_PNSF_ISK_E10value_typeET4_T5_PSP_SQ_PNS1_23onesweep_lookback_stateEbbT6_jjT7_P12ihipStream_tbENKUlT_T0_SE_SJ_E_clIS8_S8_S9_S9_EEDaSX_SY_SE_SJ_EUlSX_E_NS1_11comp_targetILNS1_3genE4ELNS1_11target_archE910ELNS1_3gpuE8ELNS1_3repE0EEENS1_47radix_sort_onesweep_sort_config_static_selectorELNS0_4arch9wavefront6targetE1EEEvSE_
		.amdhsa_group_segment_fixed_size 20552
		.amdhsa_private_segment_fixed_size 0
		.amdhsa_kernarg_size 344
		.amdhsa_user_sgpr_count 6
		.amdhsa_user_sgpr_private_segment_buffer 1
		.amdhsa_user_sgpr_dispatch_ptr 0
		.amdhsa_user_sgpr_queue_ptr 0
		.amdhsa_user_sgpr_kernarg_segment_ptr 1
		.amdhsa_user_sgpr_dispatch_id 0
		.amdhsa_user_sgpr_flat_scratch_init 0
		.amdhsa_user_sgpr_kernarg_preload_length 0
		.amdhsa_user_sgpr_kernarg_preload_offset 0
		.amdhsa_user_sgpr_private_segment_size 0
		.amdhsa_uses_dynamic_stack 0
		.amdhsa_system_sgpr_private_segment_wavefront_offset 0
		.amdhsa_system_sgpr_workgroup_id_x 1
		.amdhsa_system_sgpr_workgroup_id_y 0
		.amdhsa_system_sgpr_workgroup_id_z 0
		.amdhsa_system_sgpr_workgroup_info 0
		.amdhsa_system_vgpr_workitem_id 2
		.amdhsa_next_free_vgpr 63
		.amdhsa_next_free_sgpr 31
		.amdhsa_accum_offset 64
		.amdhsa_reserve_vcc 1
		.amdhsa_reserve_flat_scratch 0
		.amdhsa_float_round_mode_32 0
		.amdhsa_float_round_mode_16_64 0
		.amdhsa_float_denorm_mode_32 3
		.amdhsa_float_denorm_mode_16_64 3
		.amdhsa_dx10_clamp 1
		.amdhsa_ieee_mode 1
		.amdhsa_fp16_overflow 0
		.amdhsa_tg_split 0
		.amdhsa_exception_fp_ieee_invalid_op 0
		.amdhsa_exception_fp_denorm_src 0
		.amdhsa_exception_fp_ieee_div_zero 0
		.amdhsa_exception_fp_ieee_overflow 0
		.amdhsa_exception_fp_ieee_underflow 0
		.amdhsa_exception_fp_ieee_inexact 0
		.amdhsa_exception_int_div_zero 0
	.end_amdhsa_kernel
	.section	.text._ZN7rocprim17ROCPRIM_400000_NS6detail17trampoline_kernelINS0_14default_configENS1_35radix_sort_onesweep_config_selectorIjNS0_10empty_typeEEEZZNS1_29radix_sort_onesweep_iterationIS3_Lb1EPjS8_PS5_S9_mNS0_19identity_decomposerENS1_16block_id_wrapperIjLb0EEEEE10hipError_tT1_PNSt15iterator_traitsISE_E10value_typeET2_T3_PNSF_ISK_E10value_typeET4_T5_PSP_SQ_PNS1_23onesweep_lookback_stateEbbT6_jjT7_P12ihipStream_tbENKUlT_T0_SE_SJ_E_clIS8_S8_S9_S9_EEDaSX_SY_SE_SJ_EUlSX_E_NS1_11comp_targetILNS1_3genE4ELNS1_11target_archE910ELNS1_3gpuE8ELNS1_3repE0EEENS1_47radix_sort_onesweep_sort_config_static_selectorELNS0_4arch9wavefront6targetE1EEEvSE_,"axG",@progbits,_ZN7rocprim17ROCPRIM_400000_NS6detail17trampoline_kernelINS0_14default_configENS1_35radix_sort_onesweep_config_selectorIjNS0_10empty_typeEEEZZNS1_29radix_sort_onesweep_iterationIS3_Lb1EPjS8_PS5_S9_mNS0_19identity_decomposerENS1_16block_id_wrapperIjLb0EEEEE10hipError_tT1_PNSt15iterator_traitsISE_E10value_typeET2_T3_PNSF_ISK_E10value_typeET4_T5_PSP_SQ_PNS1_23onesweep_lookback_stateEbbT6_jjT7_P12ihipStream_tbENKUlT_T0_SE_SJ_E_clIS8_S8_S9_S9_EEDaSX_SY_SE_SJ_EUlSX_E_NS1_11comp_targetILNS1_3genE4ELNS1_11target_archE910ELNS1_3gpuE8ELNS1_3repE0EEENS1_47radix_sort_onesweep_sort_config_static_selectorELNS0_4arch9wavefront6targetE1EEEvSE_,comdat
.Lfunc_end2118:
	.size	_ZN7rocprim17ROCPRIM_400000_NS6detail17trampoline_kernelINS0_14default_configENS1_35radix_sort_onesweep_config_selectorIjNS0_10empty_typeEEEZZNS1_29radix_sort_onesweep_iterationIS3_Lb1EPjS8_PS5_S9_mNS0_19identity_decomposerENS1_16block_id_wrapperIjLb0EEEEE10hipError_tT1_PNSt15iterator_traitsISE_E10value_typeET2_T3_PNSF_ISK_E10value_typeET4_T5_PSP_SQ_PNS1_23onesweep_lookback_stateEbbT6_jjT7_P12ihipStream_tbENKUlT_T0_SE_SJ_E_clIS8_S8_S9_S9_EEDaSX_SY_SE_SJ_EUlSX_E_NS1_11comp_targetILNS1_3genE4ELNS1_11target_archE910ELNS1_3gpuE8ELNS1_3repE0EEENS1_47radix_sort_onesweep_sort_config_static_selectorELNS0_4arch9wavefront6targetE1EEEvSE_, .Lfunc_end2118-_ZN7rocprim17ROCPRIM_400000_NS6detail17trampoline_kernelINS0_14default_configENS1_35radix_sort_onesweep_config_selectorIjNS0_10empty_typeEEEZZNS1_29radix_sort_onesweep_iterationIS3_Lb1EPjS8_PS5_S9_mNS0_19identity_decomposerENS1_16block_id_wrapperIjLb0EEEEE10hipError_tT1_PNSt15iterator_traitsISE_E10value_typeET2_T3_PNSF_ISK_E10value_typeET4_T5_PSP_SQ_PNS1_23onesweep_lookback_stateEbbT6_jjT7_P12ihipStream_tbENKUlT_T0_SE_SJ_E_clIS8_S8_S9_S9_EEDaSX_SY_SE_SJ_EUlSX_E_NS1_11comp_targetILNS1_3genE4ELNS1_11target_archE910ELNS1_3gpuE8ELNS1_3repE0EEENS1_47radix_sort_onesweep_sort_config_static_selectorELNS0_4arch9wavefront6targetE1EEEvSE_
                                        ; -- End function
	.section	.AMDGPU.csdata,"",@progbits
; Kernel info:
; codeLenInByte = 14000
; NumSgprs: 35
; NumVgprs: 63
; NumAgprs: 0
; TotalNumVgprs: 63
; ScratchSize: 0
; MemoryBound: 0
; FloatMode: 240
; IeeeMode: 1
; LDSByteSize: 20552 bytes/workgroup (compile time only)
; SGPRBlocks: 4
; VGPRBlocks: 7
; NumSGPRsForWavesPerEU: 35
; NumVGPRsForWavesPerEU: 63
; AccumOffset: 64
; Occupancy: 8
; WaveLimiterHint : 1
; COMPUTE_PGM_RSRC2:SCRATCH_EN: 0
; COMPUTE_PGM_RSRC2:USER_SGPR: 6
; COMPUTE_PGM_RSRC2:TRAP_HANDLER: 0
; COMPUTE_PGM_RSRC2:TGID_X_EN: 1
; COMPUTE_PGM_RSRC2:TGID_Y_EN: 0
; COMPUTE_PGM_RSRC2:TGID_Z_EN: 0
; COMPUTE_PGM_RSRC2:TIDIG_COMP_CNT: 2
; COMPUTE_PGM_RSRC3_GFX90A:ACCUM_OFFSET: 15
; COMPUTE_PGM_RSRC3_GFX90A:TG_SPLIT: 0
	.section	.text._ZN7rocprim17ROCPRIM_400000_NS6detail17trampoline_kernelINS0_14default_configENS1_35radix_sort_onesweep_config_selectorIjNS0_10empty_typeEEEZZNS1_29radix_sort_onesweep_iterationIS3_Lb1EPjS8_PS5_S9_mNS0_19identity_decomposerENS1_16block_id_wrapperIjLb0EEEEE10hipError_tT1_PNSt15iterator_traitsISE_E10value_typeET2_T3_PNSF_ISK_E10value_typeET4_T5_PSP_SQ_PNS1_23onesweep_lookback_stateEbbT6_jjT7_P12ihipStream_tbENKUlT_T0_SE_SJ_E_clIS8_S8_S9_S9_EEDaSX_SY_SE_SJ_EUlSX_E_NS1_11comp_targetILNS1_3genE3ELNS1_11target_archE908ELNS1_3gpuE7ELNS1_3repE0EEENS1_47radix_sort_onesweep_sort_config_static_selectorELNS0_4arch9wavefront6targetE1EEEvSE_,"axG",@progbits,_ZN7rocprim17ROCPRIM_400000_NS6detail17trampoline_kernelINS0_14default_configENS1_35radix_sort_onesweep_config_selectorIjNS0_10empty_typeEEEZZNS1_29radix_sort_onesweep_iterationIS3_Lb1EPjS8_PS5_S9_mNS0_19identity_decomposerENS1_16block_id_wrapperIjLb0EEEEE10hipError_tT1_PNSt15iterator_traitsISE_E10value_typeET2_T3_PNSF_ISK_E10value_typeET4_T5_PSP_SQ_PNS1_23onesweep_lookback_stateEbbT6_jjT7_P12ihipStream_tbENKUlT_T0_SE_SJ_E_clIS8_S8_S9_S9_EEDaSX_SY_SE_SJ_EUlSX_E_NS1_11comp_targetILNS1_3genE3ELNS1_11target_archE908ELNS1_3gpuE7ELNS1_3repE0EEENS1_47radix_sort_onesweep_sort_config_static_selectorELNS0_4arch9wavefront6targetE1EEEvSE_,comdat
	.protected	_ZN7rocprim17ROCPRIM_400000_NS6detail17trampoline_kernelINS0_14default_configENS1_35radix_sort_onesweep_config_selectorIjNS0_10empty_typeEEEZZNS1_29radix_sort_onesweep_iterationIS3_Lb1EPjS8_PS5_S9_mNS0_19identity_decomposerENS1_16block_id_wrapperIjLb0EEEEE10hipError_tT1_PNSt15iterator_traitsISE_E10value_typeET2_T3_PNSF_ISK_E10value_typeET4_T5_PSP_SQ_PNS1_23onesweep_lookback_stateEbbT6_jjT7_P12ihipStream_tbENKUlT_T0_SE_SJ_E_clIS8_S8_S9_S9_EEDaSX_SY_SE_SJ_EUlSX_E_NS1_11comp_targetILNS1_3genE3ELNS1_11target_archE908ELNS1_3gpuE7ELNS1_3repE0EEENS1_47radix_sort_onesweep_sort_config_static_selectorELNS0_4arch9wavefront6targetE1EEEvSE_ ; -- Begin function _ZN7rocprim17ROCPRIM_400000_NS6detail17trampoline_kernelINS0_14default_configENS1_35radix_sort_onesweep_config_selectorIjNS0_10empty_typeEEEZZNS1_29radix_sort_onesweep_iterationIS3_Lb1EPjS8_PS5_S9_mNS0_19identity_decomposerENS1_16block_id_wrapperIjLb0EEEEE10hipError_tT1_PNSt15iterator_traitsISE_E10value_typeET2_T3_PNSF_ISK_E10value_typeET4_T5_PSP_SQ_PNS1_23onesweep_lookback_stateEbbT6_jjT7_P12ihipStream_tbENKUlT_T0_SE_SJ_E_clIS8_S8_S9_S9_EEDaSX_SY_SE_SJ_EUlSX_E_NS1_11comp_targetILNS1_3genE3ELNS1_11target_archE908ELNS1_3gpuE7ELNS1_3repE0EEENS1_47radix_sort_onesweep_sort_config_static_selectorELNS0_4arch9wavefront6targetE1EEEvSE_
	.globl	_ZN7rocprim17ROCPRIM_400000_NS6detail17trampoline_kernelINS0_14default_configENS1_35radix_sort_onesweep_config_selectorIjNS0_10empty_typeEEEZZNS1_29radix_sort_onesweep_iterationIS3_Lb1EPjS8_PS5_S9_mNS0_19identity_decomposerENS1_16block_id_wrapperIjLb0EEEEE10hipError_tT1_PNSt15iterator_traitsISE_E10value_typeET2_T3_PNSF_ISK_E10value_typeET4_T5_PSP_SQ_PNS1_23onesweep_lookback_stateEbbT6_jjT7_P12ihipStream_tbENKUlT_T0_SE_SJ_E_clIS8_S8_S9_S9_EEDaSX_SY_SE_SJ_EUlSX_E_NS1_11comp_targetILNS1_3genE3ELNS1_11target_archE908ELNS1_3gpuE7ELNS1_3repE0EEENS1_47radix_sort_onesweep_sort_config_static_selectorELNS0_4arch9wavefront6targetE1EEEvSE_
	.p2align	8
	.type	_ZN7rocprim17ROCPRIM_400000_NS6detail17trampoline_kernelINS0_14default_configENS1_35radix_sort_onesweep_config_selectorIjNS0_10empty_typeEEEZZNS1_29radix_sort_onesweep_iterationIS3_Lb1EPjS8_PS5_S9_mNS0_19identity_decomposerENS1_16block_id_wrapperIjLb0EEEEE10hipError_tT1_PNSt15iterator_traitsISE_E10value_typeET2_T3_PNSF_ISK_E10value_typeET4_T5_PSP_SQ_PNS1_23onesweep_lookback_stateEbbT6_jjT7_P12ihipStream_tbENKUlT_T0_SE_SJ_E_clIS8_S8_S9_S9_EEDaSX_SY_SE_SJ_EUlSX_E_NS1_11comp_targetILNS1_3genE3ELNS1_11target_archE908ELNS1_3gpuE7ELNS1_3repE0EEENS1_47radix_sort_onesweep_sort_config_static_selectorELNS0_4arch9wavefront6targetE1EEEvSE_,@function
_ZN7rocprim17ROCPRIM_400000_NS6detail17trampoline_kernelINS0_14default_configENS1_35radix_sort_onesweep_config_selectorIjNS0_10empty_typeEEEZZNS1_29radix_sort_onesweep_iterationIS3_Lb1EPjS8_PS5_S9_mNS0_19identity_decomposerENS1_16block_id_wrapperIjLb0EEEEE10hipError_tT1_PNSt15iterator_traitsISE_E10value_typeET2_T3_PNSF_ISK_E10value_typeET4_T5_PSP_SQ_PNS1_23onesweep_lookback_stateEbbT6_jjT7_P12ihipStream_tbENKUlT_T0_SE_SJ_E_clIS8_S8_S9_S9_EEDaSX_SY_SE_SJ_EUlSX_E_NS1_11comp_targetILNS1_3genE3ELNS1_11target_archE908ELNS1_3gpuE7ELNS1_3repE0EEENS1_47radix_sort_onesweep_sort_config_static_selectorELNS0_4arch9wavefront6targetE1EEEvSE_: ; @_ZN7rocprim17ROCPRIM_400000_NS6detail17trampoline_kernelINS0_14default_configENS1_35radix_sort_onesweep_config_selectorIjNS0_10empty_typeEEEZZNS1_29radix_sort_onesweep_iterationIS3_Lb1EPjS8_PS5_S9_mNS0_19identity_decomposerENS1_16block_id_wrapperIjLb0EEEEE10hipError_tT1_PNSt15iterator_traitsISE_E10value_typeET2_T3_PNSF_ISK_E10value_typeET4_T5_PSP_SQ_PNS1_23onesweep_lookback_stateEbbT6_jjT7_P12ihipStream_tbENKUlT_T0_SE_SJ_E_clIS8_S8_S9_S9_EEDaSX_SY_SE_SJ_EUlSX_E_NS1_11comp_targetILNS1_3genE3ELNS1_11target_archE908ELNS1_3gpuE7ELNS1_3repE0EEENS1_47radix_sort_onesweep_sort_config_static_selectorELNS0_4arch9wavefront6targetE1EEEvSE_
; %bb.0:
	.section	.rodata,"a",@progbits
	.p2align	6, 0x0
	.amdhsa_kernel _ZN7rocprim17ROCPRIM_400000_NS6detail17trampoline_kernelINS0_14default_configENS1_35radix_sort_onesweep_config_selectorIjNS0_10empty_typeEEEZZNS1_29radix_sort_onesweep_iterationIS3_Lb1EPjS8_PS5_S9_mNS0_19identity_decomposerENS1_16block_id_wrapperIjLb0EEEEE10hipError_tT1_PNSt15iterator_traitsISE_E10value_typeET2_T3_PNSF_ISK_E10value_typeET4_T5_PSP_SQ_PNS1_23onesweep_lookback_stateEbbT6_jjT7_P12ihipStream_tbENKUlT_T0_SE_SJ_E_clIS8_S8_S9_S9_EEDaSX_SY_SE_SJ_EUlSX_E_NS1_11comp_targetILNS1_3genE3ELNS1_11target_archE908ELNS1_3gpuE7ELNS1_3repE0EEENS1_47radix_sort_onesweep_sort_config_static_selectorELNS0_4arch9wavefront6targetE1EEEvSE_
		.amdhsa_group_segment_fixed_size 0
		.amdhsa_private_segment_fixed_size 0
		.amdhsa_kernarg_size 88
		.amdhsa_user_sgpr_count 6
		.amdhsa_user_sgpr_private_segment_buffer 1
		.amdhsa_user_sgpr_dispatch_ptr 0
		.amdhsa_user_sgpr_queue_ptr 0
		.amdhsa_user_sgpr_kernarg_segment_ptr 1
		.amdhsa_user_sgpr_dispatch_id 0
		.amdhsa_user_sgpr_flat_scratch_init 0
		.amdhsa_user_sgpr_kernarg_preload_length 0
		.amdhsa_user_sgpr_kernarg_preload_offset 0
		.amdhsa_user_sgpr_private_segment_size 0
		.amdhsa_uses_dynamic_stack 0
		.amdhsa_system_sgpr_private_segment_wavefront_offset 0
		.amdhsa_system_sgpr_workgroup_id_x 1
		.amdhsa_system_sgpr_workgroup_id_y 0
		.amdhsa_system_sgpr_workgroup_id_z 0
		.amdhsa_system_sgpr_workgroup_info 0
		.amdhsa_system_vgpr_workitem_id 0
		.amdhsa_next_free_vgpr 1
		.amdhsa_next_free_sgpr 0
		.amdhsa_accum_offset 4
		.amdhsa_reserve_vcc 0
		.amdhsa_reserve_flat_scratch 0
		.amdhsa_float_round_mode_32 0
		.amdhsa_float_round_mode_16_64 0
		.amdhsa_float_denorm_mode_32 3
		.amdhsa_float_denorm_mode_16_64 3
		.amdhsa_dx10_clamp 1
		.amdhsa_ieee_mode 1
		.amdhsa_fp16_overflow 0
		.amdhsa_tg_split 0
		.amdhsa_exception_fp_ieee_invalid_op 0
		.amdhsa_exception_fp_denorm_src 0
		.amdhsa_exception_fp_ieee_div_zero 0
		.amdhsa_exception_fp_ieee_overflow 0
		.amdhsa_exception_fp_ieee_underflow 0
		.amdhsa_exception_fp_ieee_inexact 0
		.amdhsa_exception_int_div_zero 0
	.end_amdhsa_kernel
	.section	.text._ZN7rocprim17ROCPRIM_400000_NS6detail17trampoline_kernelINS0_14default_configENS1_35radix_sort_onesweep_config_selectorIjNS0_10empty_typeEEEZZNS1_29radix_sort_onesweep_iterationIS3_Lb1EPjS8_PS5_S9_mNS0_19identity_decomposerENS1_16block_id_wrapperIjLb0EEEEE10hipError_tT1_PNSt15iterator_traitsISE_E10value_typeET2_T3_PNSF_ISK_E10value_typeET4_T5_PSP_SQ_PNS1_23onesweep_lookback_stateEbbT6_jjT7_P12ihipStream_tbENKUlT_T0_SE_SJ_E_clIS8_S8_S9_S9_EEDaSX_SY_SE_SJ_EUlSX_E_NS1_11comp_targetILNS1_3genE3ELNS1_11target_archE908ELNS1_3gpuE7ELNS1_3repE0EEENS1_47radix_sort_onesweep_sort_config_static_selectorELNS0_4arch9wavefront6targetE1EEEvSE_,"axG",@progbits,_ZN7rocprim17ROCPRIM_400000_NS6detail17trampoline_kernelINS0_14default_configENS1_35radix_sort_onesweep_config_selectorIjNS0_10empty_typeEEEZZNS1_29radix_sort_onesweep_iterationIS3_Lb1EPjS8_PS5_S9_mNS0_19identity_decomposerENS1_16block_id_wrapperIjLb0EEEEE10hipError_tT1_PNSt15iterator_traitsISE_E10value_typeET2_T3_PNSF_ISK_E10value_typeET4_T5_PSP_SQ_PNS1_23onesweep_lookback_stateEbbT6_jjT7_P12ihipStream_tbENKUlT_T0_SE_SJ_E_clIS8_S8_S9_S9_EEDaSX_SY_SE_SJ_EUlSX_E_NS1_11comp_targetILNS1_3genE3ELNS1_11target_archE908ELNS1_3gpuE7ELNS1_3repE0EEENS1_47radix_sort_onesweep_sort_config_static_selectorELNS0_4arch9wavefront6targetE1EEEvSE_,comdat
.Lfunc_end2119:
	.size	_ZN7rocprim17ROCPRIM_400000_NS6detail17trampoline_kernelINS0_14default_configENS1_35radix_sort_onesweep_config_selectorIjNS0_10empty_typeEEEZZNS1_29radix_sort_onesweep_iterationIS3_Lb1EPjS8_PS5_S9_mNS0_19identity_decomposerENS1_16block_id_wrapperIjLb0EEEEE10hipError_tT1_PNSt15iterator_traitsISE_E10value_typeET2_T3_PNSF_ISK_E10value_typeET4_T5_PSP_SQ_PNS1_23onesweep_lookback_stateEbbT6_jjT7_P12ihipStream_tbENKUlT_T0_SE_SJ_E_clIS8_S8_S9_S9_EEDaSX_SY_SE_SJ_EUlSX_E_NS1_11comp_targetILNS1_3genE3ELNS1_11target_archE908ELNS1_3gpuE7ELNS1_3repE0EEENS1_47radix_sort_onesweep_sort_config_static_selectorELNS0_4arch9wavefront6targetE1EEEvSE_, .Lfunc_end2119-_ZN7rocprim17ROCPRIM_400000_NS6detail17trampoline_kernelINS0_14default_configENS1_35radix_sort_onesweep_config_selectorIjNS0_10empty_typeEEEZZNS1_29radix_sort_onesweep_iterationIS3_Lb1EPjS8_PS5_S9_mNS0_19identity_decomposerENS1_16block_id_wrapperIjLb0EEEEE10hipError_tT1_PNSt15iterator_traitsISE_E10value_typeET2_T3_PNSF_ISK_E10value_typeET4_T5_PSP_SQ_PNS1_23onesweep_lookback_stateEbbT6_jjT7_P12ihipStream_tbENKUlT_T0_SE_SJ_E_clIS8_S8_S9_S9_EEDaSX_SY_SE_SJ_EUlSX_E_NS1_11comp_targetILNS1_3genE3ELNS1_11target_archE908ELNS1_3gpuE7ELNS1_3repE0EEENS1_47radix_sort_onesweep_sort_config_static_selectorELNS0_4arch9wavefront6targetE1EEEvSE_
                                        ; -- End function
	.section	.AMDGPU.csdata,"",@progbits
; Kernel info:
; codeLenInByte = 0
; NumSgprs: 4
; NumVgprs: 0
; NumAgprs: 0
; TotalNumVgprs: 0
; ScratchSize: 0
; MemoryBound: 0
; FloatMode: 240
; IeeeMode: 1
; LDSByteSize: 0 bytes/workgroup (compile time only)
; SGPRBlocks: 0
; VGPRBlocks: 0
; NumSGPRsForWavesPerEU: 4
; NumVGPRsForWavesPerEU: 1
; AccumOffset: 4
; Occupancy: 8
; WaveLimiterHint : 0
; COMPUTE_PGM_RSRC2:SCRATCH_EN: 0
; COMPUTE_PGM_RSRC2:USER_SGPR: 6
; COMPUTE_PGM_RSRC2:TRAP_HANDLER: 0
; COMPUTE_PGM_RSRC2:TGID_X_EN: 1
; COMPUTE_PGM_RSRC2:TGID_Y_EN: 0
; COMPUTE_PGM_RSRC2:TGID_Z_EN: 0
; COMPUTE_PGM_RSRC2:TIDIG_COMP_CNT: 0
; COMPUTE_PGM_RSRC3_GFX90A:ACCUM_OFFSET: 0
; COMPUTE_PGM_RSRC3_GFX90A:TG_SPLIT: 0
	.section	.text._ZN7rocprim17ROCPRIM_400000_NS6detail17trampoline_kernelINS0_14default_configENS1_35radix_sort_onesweep_config_selectorIjNS0_10empty_typeEEEZZNS1_29radix_sort_onesweep_iterationIS3_Lb1EPjS8_PS5_S9_mNS0_19identity_decomposerENS1_16block_id_wrapperIjLb0EEEEE10hipError_tT1_PNSt15iterator_traitsISE_E10value_typeET2_T3_PNSF_ISK_E10value_typeET4_T5_PSP_SQ_PNS1_23onesweep_lookback_stateEbbT6_jjT7_P12ihipStream_tbENKUlT_T0_SE_SJ_E_clIS8_S8_S9_S9_EEDaSX_SY_SE_SJ_EUlSX_E_NS1_11comp_targetILNS1_3genE10ELNS1_11target_archE1201ELNS1_3gpuE5ELNS1_3repE0EEENS1_47radix_sort_onesweep_sort_config_static_selectorELNS0_4arch9wavefront6targetE1EEEvSE_,"axG",@progbits,_ZN7rocprim17ROCPRIM_400000_NS6detail17trampoline_kernelINS0_14default_configENS1_35radix_sort_onesweep_config_selectorIjNS0_10empty_typeEEEZZNS1_29radix_sort_onesweep_iterationIS3_Lb1EPjS8_PS5_S9_mNS0_19identity_decomposerENS1_16block_id_wrapperIjLb0EEEEE10hipError_tT1_PNSt15iterator_traitsISE_E10value_typeET2_T3_PNSF_ISK_E10value_typeET4_T5_PSP_SQ_PNS1_23onesweep_lookback_stateEbbT6_jjT7_P12ihipStream_tbENKUlT_T0_SE_SJ_E_clIS8_S8_S9_S9_EEDaSX_SY_SE_SJ_EUlSX_E_NS1_11comp_targetILNS1_3genE10ELNS1_11target_archE1201ELNS1_3gpuE5ELNS1_3repE0EEENS1_47radix_sort_onesweep_sort_config_static_selectorELNS0_4arch9wavefront6targetE1EEEvSE_,comdat
	.protected	_ZN7rocprim17ROCPRIM_400000_NS6detail17trampoline_kernelINS0_14default_configENS1_35radix_sort_onesweep_config_selectorIjNS0_10empty_typeEEEZZNS1_29radix_sort_onesweep_iterationIS3_Lb1EPjS8_PS5_S9_mNS0_19identity_decomposerENS1_16block_id_wrapperIjLb0EEEEE10hipError_tT1_PNSt15iterator_traitsISE_E10value_typeET2_T3_PNSF_ISK_E10value_typeET4_T5_PSP_SQ_PNS1_23onesweep_lookback_stateEbbT6_jjT7_P12ihipStream_tbENKUlT_T0_SE_SJ_E_clIS8_S8_S9_S9_EEDaSX_SY_SE_SJ_EUlSX_E_NS1_11comp_targetILNS1_3genE10ELNS1_11target_archE1201ELNS1_3gpuE5ELNS1_3repE0EEENS1_47radix_sort_onesweep_sort_config_static_selectorELNS0_4arch9wavefront6targetE1EEEvSE_ ; -- Begin function _ZN7rocprim17ROCPRIM_400000_NS6detail17trampoline_kernelINS0_14default_configENS1_35radix_sort_onesweep_config_selectorIjNS0_10empty_typeEEEZZNS1_29radix_sort_onesweep_iterationIS3_Lb1EPjS8_PS5_S9_mNS0_19identity_decomposerENS1_16block_id_wrapperIjLb0EEEEE10hipError_tT1_PNSt15iterator_traitsISE_E10value_typeET2_T3_PNSF_ISK_E10value_typeET4_T5_PSP_SQ_PNS1_23onesweep_lookback_stateEbbT6_jjT7_P12ihipStream_tbENKUlT_T0_SE_SJ_E_clIS8_S8_S9_S9_EEDaSX_SY_SE_SJ_EUlSX_E_NS1_11comp_targetILNS1_3genE10ELNS1_11target_archE1201ELNS1_3gpuE5ELNS1_3repE0EEENS1_47radix_sort_onesweep_sort_config_static_selectorELNS0_4arch9wavefront6targetE1EEEvSE_
	.globl	_ZN7rocprim17ROCPRIM_400000_NS6detail17trampoline_kernelINS0_14default_configENS1_35radix_sort_onesweep_config_selectorIjNS0_10empty_typeEEEZZNS1_29radix_sort_onesweep_iterationIS3_Lb1EPjS8_PS5_S9_mNS0_19identity_decomposerENS1_16block_id_wrapperIjLb0EEEEE10hipError_tT1_PNSt15iterator_traitsISE_E10value_typeET2_T3_PNSF_ISK_E10value_typeET4_T5_PSP_SQ_PNS1_23onesweep_lookback_stateEbbT6_jjT7_P12ihipStream_tbENKUlT_T0_SE_SJ_E_clIS8_S8_S9_S9_EEDaSX_SY_SE_SJ_EUlSX_E_NS1_11comp_targetILNS1_3genE10ELNS1_11target_archE1201ELNS1_3gpuE5ELNS1_3repE0EEENS1_47radix_sort_onesweep_sort_config_static_selectorELNS0_4arch9wavefront6targetE1EEEvSE_
	.p2align	8
	.type	_ZN7rocprim17ROCPRIM_400000_NS6detail17trampoline_kernelINS0_14default_configENS1_35radix_sort_onesweep_config_selectorIjNS0_10empty_typeEEEZZNS1_29radix_sort_onesweep_iterationIS3_Lb1EPjS8_PS5_S9_mNS0_19identity_decomposerENS1_16block_id_wrapperIjLb0EEEEE10hipError_tT1_PNSt15iterator_traitsISE_E10value_typeET2_T3_PNSF_ISK_E10value_typeET4_T5_PSP_SQ_PNS1_23onesweep_lookback_stateEbbT6_jjT7_P12ihipStream_tbENKUlT_T0_SE_SJ_E_clIS8_S8_S9_S9_EEDaSX_SY_SE_SJ_EUlSX_E_NS1_11comp_targetILNS1_3genE10ELNS1_11target_archE1201ELNS1_3gpuE5ELNS1_3repE0EEENS1_47radix_sort_onesweep_sort_config_static_selectorELNS0_4arch9wavefront6targetE1EEEvSE_,@function
_ZN7rocprim17ROCPRIM_400000_NS6detail17trampoline_kernelINS0_14default_configENS1_35radix_sort_onesweep_config_selectorIjNS0_10empty_typeEEEZZNS1_29radix_sort_onesweep_iterationIS3_Lb1EPjS8_PS5_S9_mNS0_19identity_decomposerENS1_16block_id_wrapperIjLb0EEEEE10hipError_tT1_PNSt15iterator_traitsISE_E10value_typeET2_T3_PNSF_ISK_E10value_typeET4_T5_PSP_SQ_PNS1_23onesweep_lookback_stateEbbT6_jjT7_P12ihipStream_tbENKUlT_T0_SE_SJ_E_clIS8_S8_S9_S9_EEDaSX_SY_SE_SJ_EUlSX_E_NS1_11comp_targetILNS1_3genE10ELNS1_11target_archE1201ELNS1_3gpuE5ELNS1_3repE0EEENS1_47radix_sort_onesweep_sort_config_static_selectorELNS0_4arch9wavefront6targetE1EEEvSE_: ; @_ZN7rocprim17ROCPRIM_400000_NS6detail17trampoline_kernelINS0_14default_configENS1_35radix_sort_onesweep_config_selectorIjNS0_10empty_typeEEEZZNS1_29radix_sort_onesweep_iterationIS3_Lb1EPjS8_PS5_S9_mNS0_19identity_decomposerENS1_16block_id_wrapperIjLb0EEEEE10hipError_tT1_PNSt15iterator_traitsISE_E10value_typeET2_T3_PNSF_ISK_E10value_typeET4_T5_PSP_SQ_PNS1_23onesweep_lookback_stateEbbT6_jjT7_P12ihipStream_tbENKUlT_T0_SE_SJ_E_clIS8_S8_S9_S9_EEDaSX_SY_SE_SJ_EUlSX_E_NS1_11comp_targetILNS1_3genE10ELNS1_11target_archE1201ELNS1_3gpuE5ELNS1_3repE0EEENS1_47radix_sort_onesweep_sort_config_static_selectorELNS0_4arch9wavefront6targetE1EEEvSE_
; %bb.0:
	.section	.rodata,"a",@progbits
	.p2align	6, 0x0
	.amdhsa_kernel _ZN7rocprim17ROCPRIM_400000_NS6detail17trampoline_kernelINS0_14default_configENS1_35radix_sort_onesweep_config_selectorIjNS0_10empty_typeEEEZZNS1_29radix_sort_onesweep_iterationIS3_Lb1EPjS8_PS5_S9_mNS0_19identity_decomposerENS1_16block_id_wrapperIjLb0EEEEE10hipError_tT1_PNSt15iterator_traitsISE_E10value_typeET2_T3_PNSF_ISK_E10value_typeET4_T5_PSP_SQ_PNS1_23onesweep_lookback_stateEbbT6_jjT7_P12ihipStream_tbENKUlT_T0_SE_SJ_E_clIS8_S8_S9_S9_EEDaSX_SY_SE_SJ_EUlSX_E_NS1_11comp_targetILNS1_3genE10ELNS1_11target_archE1201ELNS1_3gpuE5ELNS1_3repE0EEENS1_47radix_sort_onesweep_sort_config_static_selectorELNS0_4arch9wavefront6targetE1EEEvSE_
		.amdhsa_group_segment_fixed_size 0
		.amdhsa_private_segment_fixed_size 0
		.amdhsa_kernarg_size 88
		.amdhsa_user_sgpr_count 6
		.amdhsa_user_sgpr_private_segment_buffer 1
		.amdhsa_user_sgpr_dispatch_ptr 0
		.amdhsa_user_sgpr_queue_ptr 0
		.amdhsa_user_sgpr_kernarg_segment_ptr 1
		.amdhsa_user_sgpr_dispatch_id 0
		.amdhsa_user_sgpr_flat_scratch_init 0
		.amdhsa_user_sgpr_kernarg_preload_length 0
		.amdhsa_user_sgpr_kernarg_preload_offset 0
		.amdhsa_user_sgpr_private_segment_size 0
		.amdhsa_uses_dynamic_stack 0
		.amdhsa_system_sgpr_private_segment_wavefront_offset 0
		.amdhsa_system_sgpr_workgroup_id_x 1
		.amdhsa_system_sgpr_workgroup_id_y 0
		.amdhsa_system_sgpr_workgroup_id_z 0
		.amdhsa_system_sgpr_workgroup_info 0
		.amdhsa_system_vgpr_workitem_id 0
		.amdhsa_next_free_vgpr 1
		.amdhsa_next_free_sgpr 0
		.amdhsa_accum_offset 4
		.amdhsa_reserve_vcc 0
		.amdhsa_reserve_flat_scratch 0
		.amdhsa_float_round_mode_32 0
		.amdhsa_float_round_mode_16_64 0
		.amdhsa_float_denorm_mode_32 3
		.amdhsa_float_denorm_mode_16_64 3
		.amdhsa_dx10_clamp 1
		.amdhsa_ieee_mode 1
		.amdhsa_fp16_overflow 0
		.amdhsa_tg_split 0
		.amdhsa_exception_fp_ieee_invalid_op 0
		.amdhsa_exception_fp_denorm_src 0
		.amdhsa_exception_fp_ieee_div_zero 0
		.amdhsa_exception_fp_ieee_overflow 0
		.amdhsa_exception_fp_ieee_underflow 0
		.amdhsa_exception_fp_ieee_inexact 0
		.amdhsa_exception_int_div_zero 0
	.end_amdhsa_kernel
	.section	.text._ZN7rocprim17ROCPRIM_400000_NS6detail17trampoline_kernelINS0_14default_configENS1_35radix_sort_onesweep_config_selectorIjNS0_10empty_typeEEEZZNS1_29radix_sort_onesweep_iterationIS3_Lb1EPjS8_PS5_S9_mNS0_19identity_decomposerENS1_16block_id_wrapperIjLb0EEEEE10hipError_tT1_PNSt15iterator_traitsISE_E10value_typeET2_T3_PNSF_ISK_E10value_typeET4_T5_PSP_SQ_PNS1_23onesweep_lookback_stateEbbT6_jjT7_P12ihipStream_tbENKUlT_T0_SE_SJ_E_clIS8_S8_S9_S9_EEDaSX_SY_SE_SJ_EUlSX_E_NS1_11comp_targetILNS1_3genE10ELNS1_11target_archE1201ELNS1_3gpuE5ELNS1_3repE0EEENS1_47radix_sort_onesweep_sort_config_static_selectorELNS0_4arch9wavefront6targetE1EEEvSE_,"axG",@progbits,_ZN7rocprim17ROCPRIM_400000_NS6detail17trampoline_kernelINS0_14default_configENS1_35radix_sort_onesweep_config_selectorIjNS0_10empty_typeEEEZZNS1_29radix_sort_onesweep_iterationIS3_Lb1EPjS8_PS5_S9_mNS0_19identity_decomposerENS1_16block_id_wrapperIjLb0EEEEE10hipError_tT1_PNSt15iterator_traitsISE_E10value_typeET2_T3_PNSF_ISK_E10value_typeET4_T5_PSP_SQ_PNS1_23onesweep_lookback_stateEbbT6_jjT7_P12ihipStream_tbENKUlT_T0_SE_SJ_E_clIS8_S8_S9_S9_EEDaSX_SY_SE_SJ_EUlSX_E_NS1_11comp_targetILNS1_3genE10ELNS1_11target_archE1201ELNS1_3gpuE5ELNS1_3repE0EEENS1_47radix_sort_onesweep_sort_config_static_selectorELNS0_4arch9wavefront6targetE1EEEvSE_,comdat
.Lfunc_end2120:
	.size	_ZN7rocprim17ROCPRIM_400000_NS6detail17trampoline_kernelINS0_14default_configENS1_35radix_sort_onesweep_config_selectorIjNS0_10empty_typeEEEZZNS1_29radix_sort_onesweep_iterationIS3_Lb1EPjS8_PS5_S9_mNS0_19identity_decomposerENS1_16block_id_wrapperIjLb0EEEEE10hipError_tT1_PNSt15iterator_traitsISE_E10value_typeET2_T3_PNSF_ISK_E10value_typeET4_T5_PSP_SQ_PNS1_23onesweep_lookback_stateEbbT6_jjT7_P12ihipStream_tbENKUlT_T0_SE_SJ_E_clIS8_S8_S9_S9_EEDaSX_SY_SE_SJ_EUlSX_E_NS1_11comp_targetILNS1_3genE10ELNS1_11target_archE1201ELNS1_3gpuE5ELNS1_3repE0EEENS1_47radix_sort_onesweep_sort_config_static_selectorELNS0_4arch9wavefront6targetE1EEEvSE_, .Lfunc_end2120-_ZN7rocprim17ROCPRIM_400000_NS6detail17trampoline_kernelINS0_14default_configENS1_35radix_sort_onesweep_config_selectorIjNS0_10empty_typeEEEZZNS1_29radix_sort_onesweep_iterationIS3_Lb1EPjS8_PS5_S9_mNS0_19identity_decomposerENS1_16block_id_wrapperIjLb0EEEEE10hipError_tT1_PNSt15iterator_traitsISE_E10value_typeET2_T3_PNSF_ISK_E10value_typeET4_T5_PSP_SQ_PNS1_23onesweep_lookback_stateEbbT6_jjT7_P12ihipStream_tbENKUlT_T0_SE_SJ_E_clIS8_S8_S9_S9_EEDaSX_SY_SE_SJ_EUlSX_E_NS1_11comp_targetILNS1_3genE10ELNS1_11target_archE1201ELNS1_3gpuE5ELNS1_3repE0EEENS1_47radix_sort_onesweep_sort_config_static_selectorELNS0_4arch9wavefront6targetE1EEEvSE_
                                        ; -- End function
	.section	.AMDGPU.csdata,"",@progbits
; Kernel info:
; codeLenInByte = 0
; NumSgprs: 4
; NumVgprs: 0
; NumAgprs: 0
; TotalNumVgprs: 0
; ScratchSize: 0
; MemoryBound: 0
; FloatMode: 240
; IeeeMode: 1
; LDSByteSize: 0 bytes/workgroup (compile time only)
; SGPRBlocks: 0
; VGPRBlocks: 0
; NumSGPRsForWavesPerEU: 4
; NumVGPRsForWavesPerEU: 1
; AccumOffset: 4
; Occupancy: 8
; WaveLimiterHint : 0
; COMPUTE_PGM_RSRC2:SCRATCH_EN: 0
; COMPUTE_PGM_RSRC2:USER_SGPR: 6
; COMPUTE_PGM_RSRC2:TRAP_HANDLER: 0
; COMPUTE_PGM_RSRC2:TGID_X_EN: 1
; COMPUTE_PGM_RSRC2:TGID_Y_EN: 0
; COMPUTE_PGM_RSRC2:TGID_Z_EN: 0
; COMPUTE_PGM_RSRC2:TIDIG_COMP_CNT: 0
; COMPUTE_PGM_RSRC3_GFX90A:ACCUM_OFFSET: 0
; COMPUTE_PGM_RSRC3_GFX90A:TG_SPLIT: 0
	.section	.text._ZN7rocprim17ROCPRIM_400000_NS6detail17trampoline_kernelINS0_14default_configENS1_35radix_sort_onesweep_config_selectorIjNS0_10empty_typeEEEZZNS1_29radix_sort_onesweep_iterationIS3_Lb1EPjS8_PS5_S9_mNS0_19identity_decomposerENS1_16block_id_wrapperIjLb0EEEEE10hipError_tT1_PNSt15iterator_traitsISE_E10value_typeET2_T3_PNSF_ISK_E10value_typeET4_T5_PSP_SQ_PNS1_23onesweep_lookback_stateEbbT6_jjT7_P12ihipStream_tbENKUlT_T0_SE_SJ_E_clIS8_S8_S9_S9_EEDaSX_SY_SE_SJ_EUlSX_E_NS1_11comp_targetILNS1_3genE9ELNS1_11target_archE1100ELNS1_3gpuE3ELNS1_3repE0EEENS1_47radix_sort_onesweep_sort_config_static_selectorELNS0_4arch9wavefront6targetE1EEEvSE_,"axG",@progbits,_ZN7rocprim17ROCPRIM_400000_NS6detail17trampoline_kernelINS0_14default_configENS1_35radix_sort_onesweep_config_selectorIjNS0_10empty_typeEEEZZNS1_29radix_sort_onesweep_iterationIS3_Lb1EPjS8_PS5_S9_mNS0_19identity_decomposerENS1_16block_id_wrapperIjLb0EEEEE10hipError_tT1_PNSt15iterator_traitsISE_E10value_typeET2_T3_PNSF_ISK_E10value_typeET4_T5_PSP_SQ_PNS1_23onesweep_lookback_stateEbbT6_jjT7_P12ihipStream_tbENKUlT_T0_SE_SJ_E_clIS8_S8_S9_S9_EEDaSX_SY_SE_SJ_EUlSX_E_NS1_11comp_targetILNS1_3genE9ELNS1_11target_archE1100ELNS1_3gpuE3ELNS1_3repE0EEENS1_47radix_sort_onesweep_sort_config_static_selectorELNS0_4arch9wavefront6targetE1EEEvSE_,comdat
	.protected	_ZN7rocprim17ROCPRIM_400000_NS6detail17trampoline_kernelINS0_14default_configENS1_35radix_sort_onesweep_config_selectorIjNS0_10empty_typeEEEZZNS1_29radix_sort_onesweep_iterationIS3_Lb1EPjS8_PS5_S9_mNS0_19identity_decomposerENS1_16block_id_wrapperIjLb0EEEEE10hipError_tT1_PNSt15iterator_traitsISE_E10value_typeET2_T3_PNSF_ISK_E10value_typeET4_T5_PSP_SQ_PNS1_23onesweep_lookback_stateEbbT6_jjT7_P12ihipStream_tbENKUlT_T0_SE_SJ_E_clIS8_S8_S9_S9_EEDaSX_SY_SE_SJ_EUlSX_E_NS1_11comp_targetILNS1_3genE9ELNS1_11target_archE1100ELNS1_3gpuE3ELNS1_3repE0EEENS1_47radix_sort_onesweep_sort_config_static_selectorELNS0_4arch9wavefront6targetE1EEEvSE_ ; -- Begin function _ZN7rocprim17ROCPRIM_400000_NS6detail17trampoline_kernelINS0_14default_configENS1_35radix_sort_onesweep_config_selectorIjNS0_10empty_typeEEEZZNS1_29radix_sort_onesweep_iterationIS3_Lb1EPjS8_PS5_S9_mNS0_19identity_decomposerENS1_16block_id_wrapperIjLb0EEEEE10hipError_tT1_PNSt15iterator_traitsISE_E10value_typeET2_T3_PNSF_ISK_E10value_typeET4_T5_PSP_SQ_PNS1_23onesweep_lookback_stateEbbT6_jjT7_P12ihipStream_tbENKUlT_T0_SE_SJ_E_clIS8_S8_S9_S9_EEDaSX_SY_SE_SJ_EUlSX_E_NS1_11comp_targetILNS1_3genE9ELNS1_11target_archE1100ELNS1_3gpuE3ELNS1_3repE0EEENS1_47radix_sort_onesweep_sort_config_static_selectorELNS0_4arch9wavefront6targetE1EEEvSE_
	.globl	_ZN7rocprim17ROCPRIM_400000_NS6detail17trampoline_kernelINS0_14default_configENS1_35radix_sort_onesweep_config_selectorIjNS0_10empty_typeEEEZZNS1_29radix_sort_onesweep_iterationIS3_Lb1EPjS8_PS5_S9_mNS0_19identity_decomposerENS1_16block_id_wrapperIjLb0EEEEE10hipError_tT1_PNSt15iterator_traitsISE_E10value_typeET2_T3_PNSF_ISK_E10value_typeET4_T5_PSP_SQ_PNS1_23onesweep_lookback_stateEbbT6_jjT7_P12ihipStream_tbENKUlT_T0_SE_SJ_E_clIS8_S8_S9_S9_EEDaSX_SY_SE_SJ_EUlSX_E_NS1_11comp_targetILNS1_3genE9ELNS1_11target_archE1100ELNS1_3gpuE3ELNS1_3repE0EEENS1_47radix_sort_onesweep_sort_config_static_selectorELNS0_4arch9wavefront6targetE1EEEvSE_
	.p2align	8
	.type	_ZN7rocprim17ROCPRIM_400000_NS6detail17trampoline_kernelINS0_14default_configENS1_35radix_sort_onesweep_config_selectorIjNS0_10empty_typeEEEZZNS1_29radix_sort_onesweep_iterationIS3_Lb1EPjS8_PS5_S9_mNS0_19identity_decomposerENS1_16block_id_wrapperIjLb0EEEEE10hipError_tT1_PNSt15iterator_traitsISE_E10value_typeET2_T3_PNSF_ISK_E10value_typeET4_T5_PSP_SQ_PNS1_23onesweep_lookback_stateEbbT6_jjT7_P12ihipStream_tbENKUlT_T0_SE_SJ_E_clIS8_S8_S9_S9_EEDaSX_SY_SE_SJ_EUlSX_E_NS1_11comp_targetILNS1_3genE9ELNS1_11target_archE1100ELNS1_3gpuE3ELNS1_3repE0EEENS1_47radix_sort_onesweep_sort_config_static_selectorELNS0_4arch9wavefront6targetE1EEEvSE_,@function
_ZN7rocprim17ROCPRIM_400000_NS6detail17trampoline_kernelINS0_14default_configENS1_35radix_sort_onesweep_config_selectorIjNS0_10empty_typeEEEZZNS1_29radix_sort_onesweep_iterationIS3_Lb1EPjS8_PS5_S9_mNS0_19identity_decomposerENS1_16block_id_wrapperIjLb0EEEEE10hipError_tT1_PNSt15iterator_traitsISE_E10value_typeET2_T3_PNSF_ISK_E10value_typeET4_T5_PSP_SQ_PNS1_23onesweep_lookback_stateEbbT6_jjT7_P12ihipStream_tbENKUlT_T0_SE_SJ_E_clIS8_S8_S9_S9_EEDaSX_SY_SE_SJ_EUlSX_E_NS1_11comp_targetILNS1_3genE9ELNS1_11target_archE1100ELNS1_3gpuE3ELNS1_3repE0EEENS1_47radix_sort_onesweep_sort_config_static_selectorELNS0_4arch9wavefront6targetE1EEEvSE_: ; @_ZN7rocprim17ROCPRIM_400000_NS6detail17trampoline_kernelINS0_14default_configENS1_35radix_sort_onesweep_config_selectorIjNS0_10empty_typeEEEZZNS1_29radix_sort_onesweep_iterationIS3_Lb1EPjS8_PS5_S9_mNS0_19identity_decomposerENS1_16block_id_wrapperIjLb0EEEEE10hipError_tT1_PNSt15iterator_traitsISE_E10value_typeET2_T3_PNSF_ISK_E10value_typeET4_T5_PSP_SQ_PNS1_23onesweep_lookback_stateEbbT6_jjT7_P12ihipStream_tbENKUlT_T0_SE_SJ_E_clIS8_S8_S9_S9_EEDaSX_SY_SE_SJ_EUlSX_E_NS1_11comp_targetILNS1_3genE9ELNS1_11target_archE1100ELNS1_3gpuE3ELNS1_3repE0EEENS1_47radix_sort_onesweep_sort_config_static_selectorELNS0_4arch9wavefront6targetE1EEEvSE_
; %bb.0:
	.section	.rodata,"a",@progbits
	.p2align	6, 0x0
	.amdhsa_kernel _ZN7rocprim17ROCPRIM_400000_NS6detail17trampoline_kernelINS0_14default_configENS1_35radix_sort_onesweep_config_selectorIjNS0_10empty_typeEEEZZNS1_29radix_sort_onesweep_iterationIS3_Lb1EPjS8_PS5_S9_mNS0_19identity_decomposerENS1_16block_id_wrapperIjLb0EEEEE10hipError_tT1_PNSt15iterator_traitsISE_E10value_typeET2_T3_PNSF_ISK_E10value_typeET4_T5_PSP_SQ_PNS1_23onesweep_lookback_stateEbbT6_jjT7_P12ihipStream_tbENKUlT_T0_SE_SJ_E_clIS8_S8_S9_S9_EEDaSX_SY_SE_SJ_EUlSX_E_NS1_11comp_targetILNS1_3genE9ELNS1_11target_archE1100ELNS1_3gpuE3ELNS1_3repE0EEENS1_47radix_sort_onesweep_sort_config_static_selectorELNS0_4arch9wavefront6targetE1EEEvSE_
		.amdhsa_group_segment_fixed_size 0
		.amdhsa_private_segment_fixed_size 0
		.amdhsa_kernarg_size 88
		.amdhsa_user_sgpr_count 6
		.amdhsa_user_sgpr_private_segment_buffer 1
		.amdhsa_user_sgpr_dispatch_ptr 0
		.amdhsa_user_sgpr_queue_ptr 0
		.amdhsa_user_sgpr_kernarg_segment_ptr 1
		.amdhsa_user_sgpr_dispatch_id 0
		.amdhsa_user_sgpr_flat_scratch_init 0
		.amdhsa_user_sgpr_kernarg_preload_length 0
		.amdhsa_user_sgpr_kernarg_preload_offset 0
		.amdhsa_user_sgpr_private_segment_size 0
		.amdhsa_uses_dynamic_stack 0
		.amdhsa_system_sgpr_private_segment_wavefront_offset 0
		.amdhsa_system_sgpr_workgroup_id_x 1
		.amdhsa_system_sgpr_workgroup_id_y 0
		.amdhsa_system_sgpr_workgroup_id_z 0
		.amdhsa_system_sgpr_workgroup_info 0
		.amdhsa_system_vgpr_workitem_id 0
		.amdhsa_next_free_vgpr 1
		.amdhsa_next_free_sgpr 0
		.amdhsa_accum_offset 4
		.amdhsa_reserve_vcc 0
		.amdhsa_reserve_flat_scratch 0
		.amdhsa_float_round_mode_32 0
		.amdhsa_float_round_mode_16_64 0
		.amdhsa_float_denorm_mode_32 3
		.amdhsa_float_denorm_mode_16_64 3
		.amdhsa_dx10_clamp 1
		.amdhsa_ieee_mode 1
		.amdhsa_fp16_overflow 0
		.amdhsa_tg_split 0
		.amdhsa_exception_fp_ieee_invalid_op 0
		.amdhsa_exception_fp_denorm_src 0
		.amdhsa_exception_fp_ieee_div_zero 0
		.amdhsa_exception_fp_ieee_overflow 0
		.amdhsa_exception_fp_ieee_underflow 0
		.amdhsa_exception_fp_ieee_inexact 0
		.amdhsa_exception_int_div_zero 0
	.end_amdhsa_kernel
	.section	.text._ZN7rocprim17ROCPRIM_400000_NS6detail17trampoline_kernelINS0_14default_configENS1_35radix_sort_onesweep_config_selectorIjNS0_10empty_typeEEEZZNS1_29radix_sort_onesweep_iterationIS3_Lb1EPjS8_PS5_S9_mNS0_19identity_decomposerENS1_16block_id_wrapperIjLb0EEEEE10hipError_tT1_PNSt15iterator_traitsISE_E10value_typeET2_T3_PNSF_ISK_E10value_typeET4_T5_PSP_SQ_PNS1_23onesweep_lookback_stateEbbT6_jjT7_P12ihipStream_tbENKUlT_T0_SE_SJ_E_clIS8_S8_S9_S9_EEDaSX_SY_SE_SJ_EUlSX_E_NS1_11comp_targetILNS1_3genE9ELNS1_11target_archE1100ELNS1_3gpuE3ELNS1_3repE0EEENS1_47radix_sort_onesweep_sort_config_static_selectorELNS0_4arch9wavefront6targetE1EEEvSE_,"axG",@progbits,_ZN7rocprim17ROCPRIM_400000_NS6detail17trampoline_kernelINS0_14default_configENS1_35radix_sort_onesweep_config_selectorIjNS0_10empty_typeEEEZZNS1_29radix_sort_onesweep_iterationIS3_Lb1EPjS8_PS5_S9_mNS0_19identity_decomposerENS1_16block_id_wrapperIjLb0EEEEE10hipError_tT1_PNSt15iterator_traitsISE_E10value_typeET2_T3_PNSF_ISK_E10value_typeET4_T5_PSP_SQ_PNS1_23onesweep_lookback_stateEbbT6_jjT7_P12ihipStream_tbENKUlT_T0_SE_SJ_E_clIS8_S8_S9_S9_EEDaSX_SY_SE_SJ_EUlSX_E_NS1_11comp_targetILNS1_3genE9ELNS1_11target_archE1100ELNS1_3gpuE3ELNS1_3repE0EEENS1_47radix_sort_onesweep_sort_config_static_selectorELNS0_4arch9wavefront6targetE1EEEvSE_,comdat
.Lfunc_end2121:
	.size	_ZN7rocprim17ROCPRIM_400000_NS6detail17trampoline_kernelINS0_14default_configENS1_35radix_sort_onesweep_config_selectorIjNS0_10empty_typeEEEZZNS1_29radix_sort_onesweep_iterationIS3_Lb1EPjS8_PS5_S9_mNS0_19identity_decomposerENS1_16block_id_wrapperIjLb0EEEEE10hipError_tT1_PNSt15iterator_traitsISE_E10value_typeET2_T3_PNSF_ISK_E10value_typeET4_T5_PSP_SQ_PNS1_23onesweep_lookback_stateEbbT6_jjT7_P12ihipStream_tbENKUlT_T0_SE_SJ_E_clIS8_S8_S9_S9_EEDaSX_SY_SE_SJ_EUlSX_E_NS1_11comp_targetILNS1_3genE9ELNS1_11target_archE1100ELNS1_3gpuE3ELNS1_3repE0EEENS1_47radix_sort_onesweep_sort_config_static_selectorELNS0_4arch9wavefront6targetE1EEEvSE_, .Lfunc_end2121-_ZN7rocprim17ROCPRIM_400000_NS6detail17trampoline_kernelINS0_14default_configENS1_35radix_sort_onesweep_config_selectorIjNS0_10empty_typeEEEZZNS1_29radix_sort_onesweep_iterationIS3_Lb1EPjS8_PS5_S9_mNS0_19identity_decomposerENS1_16block_id_wrapperIjLb0EEEEE10hipError_tT1_PNSt15iterator_traitsISE_E10value_typeET2_T3_PNSF_ISK_E10value_typeET4_T5_PSP_SQ_PNS1_23onesweep_lookback_stateEbbT6_jjT7_P12ihipStream_tbENKUlT_T0_SE_SJ_E_clIS8_S8_S9_S9_EEDaSX_SY_SE_SJ_EUlSX_E_NS1_11comp_targetILNS1_3genE9ELNS1_11target_archE1100ELNS1_3gpuE3ELNS1_3repE0EEENS1_47radix_sort_onesweep_sort_config_static_selectorELNS0_4arch9wavefront6targetE1EEEvSE_
                                        ; -- End function
	.section	.AMDGPU.csdata,"",@progbits
; Kernel info:
; codeLenInByte = 0
; NumSgprs: 4
; NumVgprs: 0
; NumAgprs: 0
; TotalNumVgprs: 0
; ScratchSize: 0
; MemoryBound: 0
; FloatMode: 240
; IeeeMode: 1
; LDSByteSize: 0 bytes/workgroup (compile time only)
; SGPRBlocks: 0
; VGPRBlocks: 0
; NumSGPRsForWavesPerEU: 4
; NumVGPRsForWavesPerEU: 1
; AccumOffset: 4
; Occupancy: 8
; WaveLimiterHint : 0
; COMPUTE_PGM_RSRC2:SCRATCH_EN: 0
; COMPUTE_PGM_RSRC2:USER_SGPR: 6
; COMPUTE_PGM_RSRC2:TRAP_HANDLER: 0
; COMPUTE_PGM_RSRC2:TGID_X_EN: 1
; COMPUTE_PGM_RSRC2:TGID_Y_EN: 0
; COMPUTE_PGM_RSRC2:TGID_Z_EN: 0
; COMPUTE_PGM_RSRC2:TIDIG_COMP_CNT: 0
; COMPUTE_PGM_RSRC3_GFX90A:ACCUM_OFFSET: 0
; COMPUTE_PGM_RSRC3_GFX90A:TG_SPLIT: 0
	.section	.text._ZN7rocprim17ROCPRIM_400000_NS6detail17trampoline_kernelINS0_14default_configENS1_35radix_sort_onesweep_config_selectorIjNS0_10empty_typeEEEZZNS1_29radix_sort_onesweep_iterationIS3_Lb1EPjS8_PS5_S9_mNS0_19identity_decomposerENS1_16block_id_wrapperIjLb0EEEEE10hipError_tT1_PNSt15iterator_traitsISE_E10value_typeET2_T3_PNSF_ISK_E10value_typeET4_T5_PSP_SQ_PNS1_23onesweep_lookback_stateEbbT6_jjT7_P12ihipStream_tbENKUlT_T0_SE_SJ_E_clIS8_S8_S9_S9_EEDaSX_SY_SE_SJ_EUlSX_E_NS1_11comp_targetILNS1_3genE8ELNS1_11target_archE1030ELNS1_3gpuE2ELNS1_3repE0EEENS1_47radix_sort_onesweep_sort_config_static_selectorELNS0_4arch9wavefront6targetE1EEEvSE_,"axG",@progbits,_ZN7rocprim17ROCPRIM_400000_NS6detail17trampoline_kernelINS0_14default_configENS1_35radix_sort_onesweep_config_selectorIjNS0_10empty_typeEEEZZNS1_29radix_sort_onesweep_iterationIS3_Lb1EPjS8_PS5_S9_mNS0_19identity_decomposerENS1_16block_id_wrapperIjLb0EEEEE10hipError_tT1_PNSt15iterator_traitsISE_E10value_typeET2_T3_PNSF_ISK_E10value_typeET4_T5_PSP_SQ_PNS1_23onesweep_lookback_stateEbbT6_jjT7_P12ihipStream_tbENKUlT_T0_SE_SJ_E_clIS8_S8_S9_S9_EEDaSX_SY_SE_SJ_EUlSX_E_NS1_11comp_targetILNS1_3genE8ELNS1_11target_archE1030ELNS1_3gpuE2ELNS1_3repE0EEENS1_47radix_sort_onesweep_sort_config_static_selectorELNS0_4arch9wavefront6targetE1EEEvSE_,comdat
	.protected	_ZN7rocprim17ROCPRIM_400000_NS6detail17trampoline_kernelINS0_14default_configENS1_35radix_sort_onesweep_config_selectorIjNS0_10empty_typeEEEZZNS1_29radix_sort_onesweep_iterationIS3_Lb1EPjS8_PS5_S9_mNS0_19identity_decomposerENS1_16block_id_wrapperIjLb0EEEEE10hipError_tT1_PNSt15iterator_traitsISE_E10value_typeET2_T3_PNSF_ISK_E10value_typeET4_T5_PSP_SQ_PNS1_23onesweep_lookback_stateEbbT6_jjT7_P12ihipStream_tbENKUlT_T0_SE_SJ_E_clIS8_S8_S9_S9_EEDaSX_SY_SE_SJ_EUlSX_E_NS1_11comp_targetILNS1_3genE8ELNS1_11target_archE1030ELNS1_3gpuE2ELNS1_3repE0EEENS1_47radix_sort_onesweep_sort_config_static_selectorELNS0_4arch9wavefront6targetE1EEEvSE_ ; -- Begin function _ZN7rocprim17ROCPRIM_400000_NS6detail17trampoline_kernelINS0_14default_configENS1_35radix_sort_onesweep_config_selectorIjNS0_10empty_typeEEEZZNS1_29radix_sort_onesweep_iterationIS3_Lb1EPjS8_PS5_S9_mNS0_19identity_decomposerENS1_16block_id_wrapperIjLb0EEEEE10hipError_tT1_PNSt15iterator_traitsISE_E10value_typeET2_T3_PNSF_ISK_E10value_typeET4_T5_PSP_SQ_PNS1_23onesweep_lookback_stateEbbT6_jjT7_P12ihipStream_tbENKUlT_T0_SE_SJ_E_clIS8_S8_S9_S9_EEDaSX_SY_SE_SJ_EUlSX_E_NS1_11comp_targetILNS1_3genE8ELNS1_11target_archE1030ELNS1_3gpuE2ELNS1_3repE0EEENS1_47radix_sort_onesweep_sort_config_static_selectorELNS0_4arch9wavefront6targetE1EEEvSE_
	.globl	_ZN7rocprim17ROCPRIM_400000_NS6detail17trampoline_kernelINS0_14default_configENS1_35radix_sort_onesweep_config_selectorIjNS0_10empty_typeEEEZZNS1_29radix_sort_onesweep_iterationIS3_Lb1EPjS8_PS5_S9_mNS0_19identity_decomposerENS1_16block_id_wrapperIjLb0EEEEE10hipError_tT1_PNSt15iterator_traitsISE_E10value_typeET2_T3_PNSF_ISK_E10value_typeET4_T5_PSP_SQ_PNS1_23onesweep_lookback_stateEbbT6_jjT7_P12ihipStream_tbENKUlT_T0_SE_SJ_E_clIS8_S8_S9_S9_EEDaSX_SY_SE_SJ_EUlSX_E_NS1_11comp_targetILNS1_3genE8ELNS1_11target_archE1030ELNS1_3gpuE2ELNS1_3repE0EEENS1_47radix_sort_onesweep_sort_config_static_selectorELNS0_4arch9wavefront6targetE1EEEvSE_
	.p2align	8
	.type	_ZN7rocprim17ROCPRIM_400000_NS6detail17trampoline_kernelINS0_14default_configENS1_35radix_sort_onesweep_config_selectorIjNS0_10empty_typeEEEZZNS1_29radix_sort_onesweep_iterationIS3_Lb1EPjS8_PS5_S9_mNS0_19identity_decomposerENS1_16block_id_wrapperIjLb0EEEEE10hipError_tT1_PNSt15iterator_traitsISE_E10value_typeET2_T3_PNSF_ISK_E10value_typeET4_T5_PSP_SQ_PNS1_23onesweep_lookback_stateEbbT6_jjT7_P12ihipStream_tbENKUlT_T0_SE_SJ_E_clIS8_S8_S9_S9_EEDaSX_SY_SE_SJ_EUlSX_E_NS1_11comp_targetILNS1_3genE8ELNS1_11target_archE1030ELNS1_3gpuE2ELNS1_3repE0EEENS1_47radix_sort_onesweep_sort_config_static_selectorELNS0_4arch9wavefront6targetE1EEEvSE_,@function
_ZN7rocprim17ROCPRIM_400000_NS6detail17trampoline_kernelINS0_14default_configENS1_35radix_sort_onesweep_config_selectorIjNS0_10empty_typeEEEZZNS1_29radix_sort_onesweep_iterationIS3_Lb1EPjS8_PS5_S9_mNS0_19identity_decomposerENS1_16block_id_wrapperIjLb0EEEEE10hipError_tT1_PNSt15iterator_traitsISE_E10value_typeET2_T3_PNSF_ISK_E10value_typeET4_T5_PSP_SQ_PNS1_23onesweep_lookback_stateEbbT6_jjT7_P12ihipStream_tbENKUlT_T0_SE_SJ_E_clIS8_S8_S9_S9_EEDaSX_SY_SE_SJ_EUlSX_E_NS1_11comp_targetILNS1_3genE8ELNS1_11target_archE1030ELNS1_3gpuE2ELNS1_3repE0EEENS1_47radix_sort_onesweep_sort_config_static_selectorELNS0_4arch9wavefront6targetE1EEEvSE_: ; @_ZN7rocprim17ROCPRIM_400000_NS6detail17trampoline_kernelINS0_14default_configENS1_35radix_sort_onesweep_config_selectorIjNS0_10empty_typeEEEZZNS1_29radix_sort_onesweep_iterationIS3_Lb1EPjS8_PS5_S9_mNS0_19identity_decomposerENS1_16block_id_wrapperIjLb0EEEEE10hipError_tT1_PNSt15iterator_traitsISE_E10value_typeET2_T3_PNSF_ISK_E10value_typeET4_T5_PSP_SQ_PNS1_23onesweep_lookback_stateEbbT6_jjT7_P12ihipStream_tbENKUlT_T0_SE_SJ_E_clIS8_S8_S9_S9_EEDaSX_SY_SE_SJ_EUlSX_E_NS1_11comp_targetILNS1_3genE8ELNS1_11target_archE1030ELNS1_3gpuE2ELNS1_3repE0EEENS1_47radix_sort_onesweep_sort_config_static_selectorELNS0_4arch9wavefront6targetE1EEEvSE_
; %bb.0:
	.section	.rodata,"a",@progbits
	.p2align	6, 0x0
	.amdhsa_kernel _ZN7rocprim17ROCPRIM_400000_NS6detail17trampoline_kernelINS0_14default_configENS1_35radix_sort_onesweep_config_selectorIjNS0_10empty_typeEEEZZNS1_29radix_sort_onesweep_iterationIS3_Lb1EPjS8_PS5_S9_mNS0_19identity_decomposerENS1_16block_id_wrapperIjLb0EEEEE10hipError_tT1_PNSt15iterator_traitsISE_E10value_typeET2_T3_PNSF_ISK_E10value_typeET4_T5_PSP_SQ_PNS1_23onesweep_lookback_stateEbbT6_jjT7_P12ihipStream_tbENKUlT_T0_SE_SJ_E_clIS8_S8_S9_S9_EEDaSX_SY_SE_SJ_EUlSX_E_NS1_11comp_targetILNS1_3genE8ELNS1_11target_archE1030ELNS1_3gpuE2ELNS1_3repE0EEENS1_47radix_sort_onesweep_sort_config_static_selectorELNS0_4arch9wavefront6targetE1EEEvSE_
		.amdhsa_group_segment_fixed_size 0
		.amdhsa_private_segment_fixed_size 0
		.amdhsa_kernarg_size 88
		.amdhsa_user_sgpr_count 6
		.amdhsa_user_sgpr_private_segment_buffer 1
		.amdhsa_user_sgpr_dispatch_ptr 0
		.amdhsa_user_sgpr_queue_ptr 0
		.amdhsa_user_sgpr_kernarg_segment_ptr 1
		.amdhsa_user_sgpr_dispatch_id 0
		.amdhsa_user_sgpr_flat_scratch_init 0
		.amdhsa_user_sgpr_kernarg_preload_length 0
		.amdhsa_user_sgpr_kernarg_preload_offset 0
		.amdhsa_user_sgpr_private_segment_size 0
		.amdhsa_uses_dynamic_stack 0
		.amdhsa_system_sgpr_private_segment_wavefront_offset 0
		.amdhsa_system_sgpr_workgroup_id_x 1
		.amdhsa_system_sgpr_workgroup_id_y 0
		.amdhsa_system_sgpr_workgroup_id_z 0
		.amdhsa_system_sgpr_workgroup_info 0
		.amdhsa_system_vgpr_workitem_id 0
		.amdhsa_next_free_vgpr 1
		.amdhsa_next_free_sgpr 0
		.amdhsa_accum_offset 4
		.amdhsa_reserve_vcc 0
		.amdhsa_reserve_flat_scratch 0
		.amdhsa_float_round_mode_32 0
		.amdhsa_float_round_mode_16_64 0
		.amdhsa_float_denorm_mode_32 3
		.amdhsa_float_denorm_mode_16_64 3
		.amdhsa_dx10_clamp 1
		.amdhsa_ieee_mode 1
		.amdhsa_fp16_overflow 0
		.amdhsa_tg_split 0
		.amdhsa_exception_fp_ieee_invalid_op 0
		.amdhsa_exception_fp_denorm_src 0
		.amdhsa_exception_fp_ieee_div_zero 0
		.amdhsa_exception_fp_ieee_overflow 0
		.amdhsa_exception_fp_ieee_underflow 0
		.amdhsa_exception_fp_ieee_inexact 0
		.amdhsa_exception_int_div_zero 0
	.end_amdhsa_kernel
	.section	.text._ZN7rocprim17ROCPRIM_400000_NS6detail17trampoline_kernelINS0_14default_configENS1_35radix_sort_onesweep_config_selectorIjNS0_10empty_typeEEEZZNS1_29radix_sort_onesweep_iterationIS3_Lb1EPjS8_PS5_S9_mNS0_19identity_decomposerENS1_16block_id_wrapperIjLb0EEEEE10hipError_tT1_PNSt15iterator_traitsISE_E10value_typeET2_T3_PNSF_ISK_E10value_typeET4_T5_PSP_SQ_PNS1_23onesweep_lookback_stateEbbT6_jjT7_P12ihipStream_tbENKUlT_T0_SE_SJ_E_clIS8_S8_S9_S9_EEDaSX_SY_SE_SJ_EUlSX_E_NS1_11comp_targetILNS1_3genE8ELNS1_11target_archE1030ELNS1_3gpuE2ELNS1_3repE0EEENS1_47radix_sort_onesweep_sort_config_static_selectorELNS0_4arch9wavefront6targetE1EEEvSE_,"axG",@progbits,_ZN7rocprim17ROCPRIM_400000_NS6detail17trampoline_kernelINS0_14default_configENS1_35radix_sort_onesweep_config_selectorIjNS0_10empty_typeEEEZZNS1_29radix_sort_onesweep_iterationIS3_Lb1EPjS8_PS5_S9_mNS0_19identity_decomposerENS1_16block_id_wrapperIjLb0EEEEE10hipError_tT1_PNSt15iterator_traitsISE_E10value_typeET2_T3_PNSF_ISK_E10value_typeET4_T5_PSP_SQ_PNS1_23onesweep_lookback_stateEbbT6_jjT7_P12ihipStream_tbENKUlT_T0_SE_SJ_E_clIS8_S8_S9_S9_EEDaSX_SY_SE_SJ_EUlSX_E_NS1_11comp_targetILNS1_3genE8ELNS1_11target_archE1030ELNS1_3gpuE2ELNS1_3repE0EEENS1_47radix_sort_onesweep_sort_config_static_selectorELNS0_4arch9wavefront6targetE1EEEvSE_,comdat
.Lfunc_end2122:
	.size	_ZN7rocprim17ROCPRIM_400000_NS6detail17trampoline_kernelINS0_14default_configENS1_35radix_sort_onesweep_config_selectorIjNS0_10empty_typeEEEZZNS1_29radix_sort_onesweep_iterationIS3_Lb1EPjS8_PS5_S9_mNS0_19identity_decomposerENS1_16block_id_wrapperIjLb0EEEEE10hipError_tT1_PNSt15iterator_traitsISE_E10value_typeET2_T3_PNSF_ISK_E10value_typeET4_T5_PSP_SQ_PNS1_23onesweep_lookback_stateEbbT6_jjT7_P12ihipStream_tbENKUlT_T0_SE_SJ_E_clIS8_S8_S9_S9_EEDaSX_SY_SE_SJ_EUlSX_E_NS1_11comp_targetILNS1_3genE8ELNS1_11target_archE1030ELNS1_3gpuE2ELNS1_3repE0EEENS1_47radix_sort_onesweep_sort_config_static_selectorELNS0_4arch9wavefront6targetE1EEEvSE_, .Lfunc_end2122-_ZN7rocprim17ROCPRIM_400000_NS6detail17trampoline_kernelINS0_14default_configENS1_35radix_sort_onesweep_config_selectorIjNS0_10empty_typeEEEZZNS1_29radix_sort_onesweep_iterationIS3_Lb1EPjS8_PS5_S9_mNS0_19identity_decomposerENS1_16block_id_wrapperIjLb0EEEEE10hipError_tT1_PNSt15iterator_traitsISE_E10value_typeET2_T3_PNSF_ISK_E10value_typeET4_T5_PSP_SQ_PNS1_23onesweep_lookback_stateEbbT6_jjT7_P12ihipStream_tbENKUlT_T0_SE_SJ_E_clIS8_S8_S9_S9_EEDaSX_SY_SE_SJ_EUlSX_E_NS1_11comp_targetILNS1_3genE8ELNS1_11target_archE1030ELNS1_3gpuE2ELNS1_3repE0EEENS1_47radix_sort_onesweep_sort_config_static_selectorELNS0_4arch9wavefront6targetE1EEEvSE_
                                        ; -- End function
	.section	.AMDGPU.csdata,"",@progbits
; Kernel info:
; codeLenInByte = 0
; NumSgprs: 4
; NumVgprs: 0
; NumAgprs: 0
; TotalNumVgprs: 0
; ScratchSize: 0
; MemoryBound: 0
; FloatMode: 240
; IeeeMode: 1
; LDSByteSize: 0 bytes/workgroup (compile time only)
; SGPRBlocks: 0
; VGPRBlocks: 0
; NumSGPRsForWavesPerEU: 4
; NumVGPRsForWavesPerEU: 1
; AccumOffset: 4
; Occupancy: 8
; WaveLimiterHint : 0
; COMPUTE_PGM_RSRC2:SCRATCH_EN: 0
; COMPUTE_PGM_RSRC2:USER_SGPR: 6
; COMPUTE_PGM_RSRC2:TRAP_HANDLER: 0
; COMPUTE_PGM_RSRC2:TGID_X_EN: 1
; COMPUTE_PGM_RSRC2:TGID_Y_EN: 0
; COMPUTE_PGM_RSRC2:TGID_Z_EN: 0
; COMPUTE_PGM_RSRC2:TIDIG_COMP_CNT: 0
; COMPUTE_PGM_RSRC3_GFX90A:ACCUM_OFFSET: 0
; COMPUTE_PGM_RSRC3_GFX90A:TG_SPLIT: 0
	.section	.text._ZN7rocprim17ROCPRIM_400000_NS6detail17trampoline_kernelINS0_13kernel_configILj256ELj4ELj4294967295EEENS1_37radix_sort_block_sort_config_selectorIlNS0_10empty_typeEEEZNS1_21radix_sort_block_sortIS4_Lb1EPlS9_PS6_SA_NS0_19identity_decomposerEEE10hipError_tT1_T2_T3_T4_jRjT5_jjP12ihipStream_tbEUlT_E_NS1_11comp_targetILNS1_3genE0ELNS1_11target_archE4294967295ELNS1_3gpuE0ELNS1_3repE0EEENS1_44radix_sort_block_sort_config_static_selectorELNS0_4arch9wavefront6targetE1EEEvSD_,"axG",@progbits,_ZN7rocprim17ROCPRIM_400000_NS6detail17trampoline_kernelINS0_13kernel_configILj256ELj4ELj4294967295EEENS1_37radix_sort_block_sort_config_selectorIlNS0_10empty_typeEEEZNS1_21radix_sort_block_sortIS4_Lb1EPlS9_PS6_SA_NS0_19identity_decomposerEEE10hipError_tT1_T2_T3_T4_jRjT5_jjP12ihipStream_tbEUlT_E_NS1_11comp_targetILNS1_3genE0ELNS1_11target_archE4294967295ELNS1_3gpuE0ELNS1_3repE0EEENS1_44radix_sort_block_sort_config_static_selectorELNS0_4arch9wavefront6targetE1EEEvSD_,comdat
	.protected	_ZN7rocprim17ROCPRIM_400000_NS6detail17trampoline_kernelINS0_13kernel_configILj256ELj4ELj4294967295EEENS1_37radix_sort_block_sort_config_selectorIlNS0_10empty_typeEEEZNS1_21radix_sort_block_sortIS4_Lb1EPlS9_PS6_SA_NS0_19identity_decomposerEEE10hipError_tT1_T2_T3_T4_jRjT5_jjP12ihipStream_tbEUlT_E_NS1_11comp_targetILNS1_3genE0ELNS1_11target_archE4294967295ELNS1_3gpuE0ELNS1_3repE0EEENS1_44radix_sort_block_sort_config_static_selectorELNS0_4arch9wavefront6targetE1EEEvSD_ ; -- Begin function _ZN7rocprim17ROCPRIM_400000_NS6detail17trampoline_kernelINS0_13kernel_configILj256ELj4ELj4294967295EEENS1_37radix_sort_block_sort_config_selectorIlNS0_10empty_typeEEEZNS1_21radix_sort_block_sortIS4_Lb1EPlS9_PS6_SA_NS0_19identity_decomposerEEE10hipError_tT1_T2_T3_T4_jRjT5_jjP12ihipStream_tbEUlT_E_NS1_11comp_targetILNS1_3genE0ELNS1_11target_archE4294967295ELNS1_3gpuE0ELNS1_3repE0EEENS1_44radix_sort_block_sort_config_static_selectorELNS0_4arch9wavefront6targetE1EEEvSD_
	.globl	_ZN7rocprim17ROCPRIM_400000_NS6detail17trampoline_kernelINS0_13kernel_configILj256ELj4ELj4294967295EEENS1_37radix_sort_block_sort_config_selectorIlNS0_10empty_typeEEEZNS1_21radix_sort_block_sortIS4_Lb1EPlS9_PS6_SA_NS0_19identity_decomposerEEE10hipError_tT1_T2_T3_T4_jRjT5_jjP12ihipStream_tbEUlT_E_NS1_11comp_targetILNS1_3genE0ELNS1_11target_archE4294967295ELNS1_3gpuE0ELNS1_3repE0EEENS1_44radix_sort_block_sort_config_static_selectorELNS0_4arch9wavefront6targetE1EEEvSD_
	.p2align	8
	.type	_ZN7rocprim17ROCPRIM_400000_NS6detail17trampoline_kernelINS0_13kernel_configILj256ELj4ELj4294967295EEENS1_37radix_sort_block_sort_config_selectorIlNS0_10empty_typeEEEZNS1_21radix_sort_block_sortIS4_Lb1EPlS9_PS6_SA_NS0_19identity_decomposerEEE10hipError_tT1_T2_T3_T4_jRjT5_jjP12ihipStream_tbEUlT_E_NS1_11comp_targetILNS1_3genE0ELNS1_11target_archE4294967295ELNS1_3gpuE0ELNS1_3repE0EEENS1_44radix_sort_block_sort_config_static_selectorELNS0_4arch9wavefront6targetE1EEEvSD_,@function
_ZN7rocprim17ROCPRIM_400000_NS6detail17trampoline_kernelINS0_13kernel_configILj256ELj4ELj4294967295EEENS1_37radix_sort_block_sort_config_selectorIlNS0_10empty_typeEEEZNS1_21radix_sort_block_sortIS4_Lb1EPlS9_PS6_SA_NS0_19identity_decomposerEEE10hipError_tT1_T2_T3_T4_jRjT5_jjP12ihipStream_tbEUlT_E_NS1_11comp_targetILNS1_3genE0ELNS1_11target_archE4294967295ELNS1_3gpuE0ELNS1_3repE0EEENS1_44radix_sort_block_sort_config_static_selectorELNS0_4arch9wavefront6targetE1EEEvSD_: ; @_ZN7rocprim17ROCPRIM_400000_NS6detail17trampoline_kernelINS0_13kernel_configILj256ELj4ELj4294967295EEENS1_37radix_sort_block_sort_config_selectorIlNS0_10empty_typeEEEZNS1_21radix_sort_block_sortIS4_Lb1EPlS9_PS6_SA_NS0_19identity_decomposerEEE10hipError_tT1_T2_T3_T4_jRjT5_jjP12ihipStream_tbEUlT_E_NS1_11comp_targetILNS1_3genE0ELNS1_11target_archE4294967295ELNS1_3gpuE0ELNS1_3repE0EEENS1_44radix_sort_block_sort_config_static_selectorELNS0_4arch9wavefront6targetE1EEEvSD_
; %bb.0:
	.section	.rodata,"a",@progbits
	.p2align	6, 0x0
	.amdhsa_kernel _ZN7rocprim17ROCPRIM_400000_NS6detail17trampoline_kernelINS0_13kernel_configILj256ELj4ELj4294967295EEENS1_37radix_sort_block_sort_config_selectorIlNS0_10empty_typeEEEZNS1_21radix_sort_block_sortIS4_Lb1EPlS9_PS6_SA_NS0_19identity_decomposerEEE10hipError_tT1_T2_T3_T4_jRjT5_jjP12ihipStream_tbEUlT_E_NS1_11comp_targetILNS1_3genE0ELNS1_11target_archE4294967295ELNS1_3gpuE0ELNS1_3repE0EEENS1_44radix_sort_block_sort_config_static_selectorELNS0_4arch9wavefront6targetE1EEEvSD_
		.amdhsa_group_segment_fixed_size 0
		.amdhsa_private_segment_fixed_size 0
		.amdhsa_kernarg_size 48
		.amdhsa_user_sgpr_count 6
		.amdhsa_user_sgpr_private_segment_buffer 1
		.amdhsa_user_sgpr_dispatch_ptr 0
		.amdhsa_user_sgpr_queue_ptr 0
		.amdhsa_user_sgpr_kernarg_segment_ptr 1
		.amdhsa_user_sgpr_dispatch_id 0
		.amdhsa_user_sgpr_flat_scratch_init 0
		.amdhsa_user_sgpr_kernarg_preload_length 0
		.amdhsa_user_sgpr_kernarg_preload_offset 0
		.amdhsa_user_sgpr_private_segment_size 0
		.amdhsa_uses_dynamic_stack 0
		.amdhsa_system_sgpr_private_segment_wavefront_offset 0
		.amdhsa_system_sgpr_workgroup_id_x 1
		.amdhsa_system_sgpr_workgroup_id_y 0
		.amdhsa_system_sgpr_workgroup_id_z 0
		.amdhsa_system_sgpr_workgroup_info 0
		.amdhsa_system_vgpr_workitem_id 0
		.amdhsa_next_free_vgpr 1
		.amdhsa_next_free_sgpr 0
		.amdhsa_accum_offset 4
		.amdhsa_reserve_vcc 0
		.amdhsa_reserve_flat_scratch 0
		.amdhsa_float_round_mode_32 0
		.amdhsa_float_round_mode_16_64 0
		.amdhsa_float_denorm_mode_32 3
		.amdhsa_float_denorm_mode_16_64 3
		.amdhsa_dx10_clamp 1
		.amdhsa_ieee_mode 1
		.amdhsa_fp16_overflow 0
		.amdhsa_tg_split 0
		.amdhsa_exception_fp_ieee_invalid_op 0
		.amdhsa_exception_fp_denorm_src 0
		.amdhsa_exception_fp_ieee_div_zero 0
		.amdhsa_exception_fp_ieee_overflow 0
		.amdhsa_exception_fp_ieee_underflow 0
		.amdhsa_exception_fp_ieee_inexact 0
		.amdhsa_exception_int_div_zero 0
	.end_amdhsa_kernel
	.section	.text._ZN7rocprim17ROCPRIM_400000_NS6detail17trampoline_kernelINS0_13kernel_configILj256ELj4ELj4294967295EEENS1_37radix_sort_block_sort_config_selectorIlNS0_10empty_typeEEEZNS1_21radix_sort_block_sortIS4_Lb1EPlS9_PS6_SA_NS0_19identity_decomposerEEE10hipError_tT1_T2_T3_T4_jRjT5_jjP12ihipStream_tbEUlT_E_NS1_11comp_targetILNS1_3genE0ELNS1_11target_archE4294967295ELNS1_3gpuE0ELNS1_3repE0EEENS1_44radix_sort_block_sort_config_static_selectorELNS0_4arch9wavefront6targetE1EEEvSD_,"axG",@progbits,_ZN7rocprim17ROCPRIM_400000_NS6detail17trampoline_kernelINS0_13kernel_configILj256ELj4ELj4294967295EEENS1_37radix_sort_block_sort_config_selectorIlNS0_10empty_typeEEEZNS1_21radix_sort_block_sortIS4_Lb1EPlS9_PS6_SA_NS0_19identity_decomposerEEE10hipError_tT1_T2_T3_T4_jRjT5_jjP12ihipStream_tbEUlT_E_NS1_11comp_targetILNS1_3genE0ELNS1_11target_archE4294967295ELNS1_3gpuE0ELNS1_3repE0EEENS1_44radix_sort_block_sort_config_static_selectorELNS0_4arch9wavefront6targetE1EEEvSD_,comdat
.Lfunc_end2123:
	.size	_ZN7rocprim17ROCPRIM_400000_NS6detail17trampoline_kernelINS0_13kernel_configILj256ELj4ELj4294967295EEENS1_37radix_sort_block_sort_config_selectorIlNS0_10empty_typeEEEZNS1_21radix_sort_block_sortIS4_Lb1EPlS9_PS6_SA_NS0_19identity_decomposerEEE10hipError_tT1_T2_T3_T4_jRjT5_jjP12ihipStream_tbEUlT_E_NS1_11comp_targetILNS1_3genE0ELNS1_11target_archE4294967295ELNS1_3gpuE0ELNS1_3repE0EEENS1_44radix_sort_block_sort_config_static_selectorELNS0_4arch9wavefront6targetE1EEEvSD_, .Lfunc_end2123-_ZN7rocprim17ROCPRIM_400000_NS6detail17trampoline_kernelINS0_13kernel_configILj256ELj4ELj4294967295EEENS1_37radix_sort_block_sort_config_selectorIlNS0_10empty_typeEEEZNS1_21radix_sort_block_sortIS4_Lb1EPlS9_PS6_SA_NS0_19identity_decomposerEEE10hipError_tT1_T2_T3_T4_jRjT5_jjP12ihipStream_tbEUlT_E_NS1_11comp_targetILNS1_3genE0ELNS1_11target_archE4294967295ELNS1_3gpuE0ELNS1_3repE0EEENS1_44radix_sort_block_sort_config_static_selectorELNS0_4arch9wavefront6targetE1EEEvSD_
                                        ; -- End function
	.section	.AMDGPU.csdata,"",@progbits
; Kernel info:
; codeLenInByte = 0
; NumSgprs: 4
; NumVgprs: 0
; NumAgprs: 0
; TotalNumVgprs: 0
; ScratchSize: 0
; MemoryBound: 0
; FloatMode: 240
; IeeeMode: 1
; LDSByteSize: 0 bytes/workgroup (compile time only)
; SGPRBlocks: 0
; VGPRBlocks: 0
; NumSGPRsForWavesPerEU: 4
; NumVGPRsForWavesPerEU: 1
; AccumOffset: 4
; Occupancy: 8
; WaveLimiterHint : 0
; COMPUTE_PGM_RSRC2:SCRATCH_EN: 0
; COMPUTE_PGM_RSRC2:USER_SGPR: 6
; COMPUTE_PGM_RSRC2:TRAP_HANDLER: 0
; COMPUTE_PGM_RSRC2:TGID_X_EN: 1
; COMPUTE_PGM_RSRC2:TGID_Y_EN: 0
; COMPUTE_PGM_RSRC2:TGID_Z_EN: 0
; COMPUTE_PGM_RSRC2:TIDIG_COMP_CNT: 0
; COMPUTE_PGM_RSRC3_GFX90A:ACCUM_OFFSET: 0
; COMPUTE_PGM_RSRC3_GFX90A:TG_SPLIT: 0
	.section	.text._ZN7rocprim17ROCPRIM_400000_NS6detail17trampoline_kernelINS0_13kernel_configILj256ELj4ELj4294967295EEENS1_37radix_sort_block_sort_config_selectorIlNS0_10empty_typeEEEZNS1_21radix_sort_block_sortIS4_Lb1EPlS9_PS6_SA_NS0_19identity_decomposerEEE10hipError_tT1_T2_T3_T4_jRjT5_jjP12ihipStream_tbEUlT_E_NS1_11comp_targetILNS1_3genE5ELNS1_11target_archE942ELNS1_3gpuE9ELNS1_3repE0EEENS1_44radix_sort_block_sort_config_static_selectorELNS0_4arch9wavefront6targetE1EEEvSD_,"axG",@progbits,_ZN7rocprim17ROCPRIM_400000_NS6detail17trampoline_kernelINS0_13kernel_configILj256ELj4ELj4294967295EEENS1_37radix_sort_block_sort_config_selectorIlNS0_10empty_typeEEEZNS1_21radix_sort_block_sortIS4_Lb1EPlS9_PS6_SA_NS0_19identity_decomposerEEE10hipError_tT1_T2_T3_T4_jRjT5_jjP12ihipStream_tbEUlT_E_NS1_11comp_targetILNS1_3genE5ELNS1_11target_archE942ELNS1_3gpuE9ELNS1_3repE0EEENS1_44radix_sort_block_sort_config_static_selectorELNS0_4arch9wavefront6targetE1EEEvSD_,comdat
	.protected	_ZN7rocprim17ROCPRIM_400000_NS6detail17trampoline_kernelINS0_13kernel_configILj256ELj4ELj4294967295EEENS1_37radix_sort_block_sort_config_selectorIlNS0_10empty_typeEEEZNS1_21radix_sort_block_sortIS4_Lb1EPlS9_PS6_SA_NS0_19identity_decomposerEEE10hipError_tT1_T2_T3_T4_jRjT5_jjP12ihipStream_tbEUlT_E_NS1_11comp_targetILNS1_3genE5ELNS1_11target_archE942ELNS1_3gpuE9ELNS1_3repE0EEENS1_44radix_sort_block_sort_config_static_selectorELNS0_4arch9wavefront6targetE1EEEvSD_ ; -- Begin function _ZN7rocprim17ROCPRIM_400000_NS6detail17trampoline_kernelINS0_13kernel_configILj256ELj4ELj4294967295EEENS1_37radix_sort_block_sort_config_selectorIlNS0_10empty_typeEEEZNS1_21radix_sort_block_sortIS4_Lb1EPlS9_PS6_SA_NS0_19identity_decomposerEEE10hipError_tT1_T2_T3_T4_jRjT5_jjP12ihipStream_tbEUlT_E_NS1_11comp_targetILNS1_3genE5ELNS1_11target_archE942ELNS1_3gpuE9ELNS1_3repE0EEENS1_44radix_sort_block_sort_config_static_selectorELNS0_4arch9wavefront6targetE1EEEvSD_
	.globl	_ZN7rocprim17ROCPRIM_400000_NS6detail17trampoline_kernelINS0_13kernel_configILj256ELj4ELj4294967295EEENS1_37radix_sort_block_sort_config_selectorIlNS0_10empty_typeEEEZNS1_21radix_sort_block_sortIS4_Lb1EPlS9_PS6_SA_NS0_19identity_decomposerEEE10hipError_tT1_T2_T3_T4_jRjT5_jjP12ihipStream_tbEUlT_E_NS1_11comp_targetILNS1_3genE5ELNS1_11target_archE942ELNS1_3gpuE9ELNS1_3repE0EEENS1_44radix_sort_block_sort_config_static_selectorELNS0_4arch9wavefront6targetE1EEEvSD_
	.p2align	8
	.type	_ZN7rocprim17ROCPRIM_400000_NS6detail17trampoline_kernelINS0_13kernel_configILj256ELj4ELj4294967295EEENS1_37radix_sort_block_sort_config_selectorIlNS0_10empty_typeEEEZNS1_21radix_sort_block_sortIS4_Lb1EPlS9_PS6_SA_NS0_19identity_decomposerEEE10hipError_tT1_T2_T3_T4_jRjT5_jjP12ihipStream_tbEUlT_E_NS1_11comp_targetILNS1_3genE5ELNS1_11target_archE942ELNS1_3gpuE9ELNS1_3repE0EEENS1_44radix_sort_block_sort_config_static_selectorELNS0_4arch9wavefront6targetE1EEEvSD_,@function
_ZN7rocprim17ROCPRIM_400000_NS6detail17trampoline_kernelINS0_13kernel_configILj256ELj4ELj4294967295EEENS1_37radix_sort_block_sort_config_selectorIlNS0_10empty_typeEEEZNS1_21radix_sort_block_sortIS4_Lb1EPlS9_PS6_SA_NS0_19identity_decomposerEEE10hipError_tT1_T2_T3_T4_jRjT5_jjP12ihipStream_tbEUlT_E_NS1_11comp_targetILNS1_3genE5ELNS1_11target_archE942ELNS1_3gpuE9ELNS1_3repE0EEENS1_44radix_sort_block_sort_config_static_selectorELNS0_4arch9wavefront6targetE1EEEvSD_: ; @_ZN7rocprim17ROCPRIM_400000_NS6detail17trampoline_kernelINS0_13kernel_configILj256ELj4ELj4294967295EEENS1_37radix_sort_block_sort_config_selectorIlNS0_10empty_typeEEEZNS1_21radix_sort_block_sortIS4_Lb1EPlS9_PS6_SA_NS0_19identity_decomposerEEE10hipError_tT1_T2_T3_T4_jRjT5_jjP12ihipStream_tbEUlT_E_NS1_11comp_targetILNS1_3genE5ELNS1_11target_archE942ELNS1_3gpuE9ELNS1_3repE0EEENS1_44radix_sort_block_sort_config_static_selectorELNS0_4arch9wavefront6targetE1EEEvSD_
; %bb.0:
	.section	.rodata,"a",@progbits
	.p2align	6, 0x0
	.amdhsa_kernel _ZN7rocprim17ROCPRIM_400000_NS6detail17trampoline_kernelINS0_13kernel_configILj256ELj4ELj4294967295EEENS1_37radix_sort_block_sort_config_selectorIlNS0_10empty_typeEEEZNS1_21radix_sort_block_sortIS4_Lb1EPlS9_PS6_SA_NS0_19identity_decomposerEEE10hipError_tT1_T2_T3_T4_jRjT5_jjP12ihipStream_tbEUlT_E_NS1_11comp_targetILNS1_3genE5ELNS1_11target_archE942ELNS1_3gpuE9ELNS1_3repE0EEENS1_44radix_sort_block_sort_config_static_selectorELNS0_4arch9wavefront6targetE1EEEvSD_
		.amdhsa_group_segment_fixed_size 0
		.amdhsa_private_segment_fixed_size 0
		.amdhsa_kernarg_size 48
		.amdhsa_user_sgpr_count 6
		.amdhsa_user_sgpr_private_segment_buffer 1
		.amdhsa_user_sgpr_dispatch_ptr 0
		.amdhsa_user_sgpr_queue_ptr 0
		.amdhsa_user_sgpr_kernarg_segment_ptr 1
		.amdhsa_user_sgpr_dispatch_id 0
		.amdhsa_user_sgpr_flat_scratch_init 0
		.amdhsa_user_sgpr_kernarg_preload_length 0
		.amdhsa_user_sgpr_kernarg_preload_offset 0
		.amdhsa_user_sgpr_private_segment_size 0
		.amdhsa_uses_dynamic_stack 0
		.amdhsa_system_sgpr_private_segment_wavefront_offset 0
		.amdhsa_system_sgpr_workgroup_id_x 1
		.amdhsa_system_sgpr_workgroup_id_y 0
		.amdhsa_system_sgpr_workgroup_id_z 0
		.amdhsa_system_sgpr_workgroup_info 0
		.amdhsa_system_vgpr_workitem_id 0
		.amdhsa_next_free_vgpr 1
		.amdhsa_next_free_sgpr 0
		.amdhsa_accum_offset 4
		.amdhsa_reserve_vcc 0
		.amdhsa_reserve_flat_scratch 0
		.amdhsa_float_round_mode_32 0
		.amdhsa_float_round_mode_16_64 0
		.amdhsa_float_denorm_mode_32 3
		.amdhsa_float_denorm_mode_16_64 3
		.amdhsa_dx10_clamp 1
		.amdhsa_ieee_mode 1
		.amdhsa_fp16_overflow 0
		.amdhsa_tg_split 0
		.amdhsa_exception_fp_ieee_invalid_op 0
		.amdhsa_exception_fp_denorm_src 0
		.amdhsa_exception_fp_ieee_div_zero 0
		.amdhsa_exception_fp_ieee_overflow 0
		.amdhsa_exception_fp_ieee_underflow 0
		.amdhsa_exception_fp_ieee_inexact 0
		.amdhsa_exception_int_div_zero 0
	.end_amdhsa_kernel
	.section	.text._ZN7rocprim17ROCPRIM_400000_NS6detail17trampoline_kernelINS0_13kernel_configILj256ELj4ELj4294967295EEENS1_37radix_sort_block_sort_config_selectorIlNS0_10empty_typeEEEZNS1_21radix_sort_block_sortIS4_Lb1EPlS9_PS6_SA_NS0_19identity_decomposerEEE10hipError_tT1_T2_T3_T4_jRjT5_jjP12ihipStream_tbEUlT_E_NS1_11comp_targetILNS1_3genE5ELNS1_11target_archE942ELNS1_3gpuE9ELNS1_3repE0EEENS1_44radix_sort_block_sort_config_static_selectorELNS0_4arch9wavefront6targetE1EEEvSD_,"axG",@progbits,_ZN7rocprim17ROCPRIM_400000_NS6detail17trampoline_kernelINS0_13kernel_configILj256ELj4ELj4294967295EEENS1_37radix_sort_block_sort_config_selectorIlNS0_10empty_typeEEEZNS1_21radix_sort_block_sortIS4_Lb1EPlS9_PS6_SA_NS0_19identity_decomposerEEE10hipError_tT1_T2_T3_T4_jRjT5_jjP12ihipStream_tbEUlT_E_NS1_11comp_targetILNS1_3genE5ELNS1_11target_archE942ELNS1_3gpuE9ELNS1_3repE0EEENS1_44radix_sort_block_sort_config_static_selectorELNS0_4arch9wavefront6targetE1EEEvSD_,comdat
.Lfunc_end2124:
	.size	_ZN7rocprim17ROCPRIM_400000_NS6detail17trampoline_kernelINS0_13kernel_configILj256ELj4ELj4294967295EEENS1_37radix_sort_block_sort_config_selectorIlNS0_10empty_typeEEEZNS1_21radix_sort_block_sortIS4_Lb1EPlS9_PS6_SA_NS0_19identity_decomposerEEE10hipError_tT1_T2_T3_T4_jRjT5_jjP12ihipStream_tbEUlT_E_NS1_11comp_targetILNS1_3genE5ELNS1_11target_archE942ELNS1_3gpuE9ELNS1_3repE0EEENS1_44radix_sort_block_sort_config_static_selectorELNS0_4arch9wavefront6targetE1EEEvSD_, .Lfunc_end2124-_ZN7rocprim17ROCPRIM_400000_NS6detail17trampoline_kernelINS0_13kernel_configILj256ELj4ELj4294967295EEENS1_37radix_sort_block_sort_config_selectorIlNS0_10empty_typeEEEZNS1_21radix_sort_block_sortIS4_Lb1EPlS9_PS6_SA_NS0_19identity_decomposerEEE10hipError_tT1_T2_T3_T4_jRjT5_jjP12ihipStream_tbEUlT_E_NS1_11comp_targetILNS1_3genE5ELNS1_11target_archE942ELNS1_3gpuE9ELNS1_3repE0EEENS1_44radix_sort_block_sort_config_static_selectorELNS0_4arch9wavefront6targetE1EEEvSD_
                                        ; -- End function
	.section	.AMDGPU.csdata,"",@progbits
; Kernel info:
; codeLenInByte = 0
; NumSgprs: 4
; NumVgprs: 0
; NumAgprs: 0
; TotalNumVgprs: 0
; ScratchSize: 0
; MemoryBound: 0
; FloatMode: 240
; IeeeMode: 1
; LDSByteSize: 0 bytes/workgroup (compile time only)
; SGPRBlocks: 0
; VGPRBlocks: 0
; NumSGPRsForWavesPerEU: 4
; NumVGPRsForWavesPerEU: 1
; AccumOffset: 4
; Occupancy: 8
; WaveLimiterHint : 0
; COMPUTE_PGM_RSRC2:SCRATCH_EN: 0
; COMPUTE_PGM_RSRC2:USER_SGPR: 6
; COMPUTE_PGM_RSRC2:TRAP_HANDLER: 0
; COMPUTE_PGM_RSRC2:TGID_X_EN: 1
; COMPUTE_PGM_RSRC2:TGID_Y_EN: 0
; COMPUTE_PGM_RSRC2:TGID_Z_EN: 0
; COMPUTE_PGM_RSRC2:TIDIG_COMP_CNT: 0
; COMPUTE_PGM_RSRC3_GFX90A:ACCUM_OFFSET: 0
; COMPUTE_PGM_RSRC3_GFX90A:TG_SPLIT: 0
	.section	.text._ZN7rocprim17ROCPRIM_400000_NS6detail17trampoline_kernelINS0_13kernel_configILj256ELj4ELj4294967295EEENS1_37radix_sort_block_sort_config_selectorIlNS0_10empty_typeEEEZNS1_21radix_sort_block_sortIS4_Lb1EPlS9_PS6_SA_NS0_19identity_decomposerEEE10hipError_tT1_T2_T3_T4_jRjT5_jjP12ihipStream_tbEUlT_E_NS1_11comp_targetILNS1_3genE4ELNS1_11target_archE910ELNS1_3gpuE8ELNS1_3repE0EEENS1_44radix_sort_block_sort_config_static_selectorELNS0_4arch9wavefront6targetE1EEEvSD_,"axG",@progbits,_ZN7rocprim17ROCPRIM_400000_NS6detail17trampoline_kernelINS0_13kernel_configILj256ELj4ELj4294967295EEENS1_37radix_sort_block_sort_config_selectorIlNS0_10empty_typeEEEZNS1_21radix_sort_block_sortIS4_Lb1EPlS9_PS6_SA_NS0_19identity_decomposerEEE10hipError_tT1_T2_T3_T4_jRjT5_jjP12ihipStream_tbEUlT_E_NS1_11comp_targetILNS1_3genE4ELNS1_11target_archE910ELNS1_3gpuE8ELNS1_3repE0EEENS1_44radix_sort_block_sort_config_static_selectorELNS0_4arch9wavefront6targetE1EEEvSD_,comdat
	.protected	_ZN7rocprim17ROCPRIM_400000_NS6detail17trampoline_kernelINS0_13kernel_configILj256ELj4ELj4294967295EEENS1_37radix_sort_block_sort_config_selectorIlNS0_10empty_typeEEEZNS1_21radix_sort_block_sortIS4_Lb1EPlS9_PS6_SA_NS0_19identity_decomposerEEE10hipError_tT1_T2_T3_T4_jRjT5_jjP12ihipStream_tbEUlT_E_NS1_11comp_targetILNS1_3genE4ELNS1_11target_archE910ELNS1_3gpuE8ELNS1_3repE0EEENS1_44radix_sort_block_sort_config_static_selectorELNS0_4arch9wavefront6targetE1EEEvSD_ ; -- Begin function _ZN7rocprim17ROCPRIM_400000_NS6detail17trampoline_kernelINS0_13kernel_configILj256ELj4ELj4294967295EEENS1_37radix_sort_block_sort_config_selectorIlNS0_10empty_typeEEEZNS1_21radix_sort_block_sortIS4_Lb1EPlS9_PS6_SA_NS0_19identity_decomposerEEE10hipError_tT1_T2_T3_T4_jRjT5_jjP12ihipStream_tbEUlT_E_NS1_11comp_targetILNS1_3genE4ELNS1_11target_archE910ELNS1_3gpuE8ELNS1_3repE0EEENS1_44radix_sort_block_sort_config_static_selectorELNS0_4arch9wavefront6targetE1EEEvSD_
	.globl	_ZN7rocprim17ROCPRIM_400000_NS6detail17trampoline_kernelINS0_13kernel_configILj256ELj4ELj4294967295EEENS1_37radix_sort_block_sort_config_selectorIlNS0_10empty_typeEEEZNS1_21radix_sort_block_sortIS4_Lb1EPlS9_PS6_SA_NS0_19identity_decomposerEEE10hipError_tT1_T2_T3_T4_jRjT5_jjP12ihipStream_tbEUlT_E_NS1_11comp_targetILNS1_3genE4ELNS1_11target_archE910ELNS1_3gpuE8ELNS1_3repE0EEENS1_44radix_sort_block_sort_config_static_selectorELNS0_4arch9wavefront6targetE1EEEvSD_
	.p2align	8
	.type	_ZN7rocprim17ROCPRIM_400000_NS6detail17trampoline_kernelINS0_13kernel_configILj256ELj4ELj4294967295EEENS1_37radix_sort_block_sort_config_selectorIlNS0_10empty_typeEEEZNS1_21radix_sort_block_sortIS4_Lb1EPlS9_PS6_SA_NS0_19identity_decomposerEEE10hipError_tT1_T2_T3_T4_jRjT5_jjP12ihipStream_tbEUlT_E_NS1_11comp_targetILNS1_3genE4ELNS1_11target_archE910ELNS1_3gpuE8ELNS1_3repE0EEENS1_44radix_sort_block_sort_config_static_selectorELNS0_4arch9wavefront6targetE1EEEvSD_,@function
_ZN7rocprim17ROCPRIM_400000_NS6detail17trampoline_kernelINS0_13kernel_configILj256ELj4ELj4294967295EEENS1_37radix_sort_block_sort_config_selectorIlNS0_10empty_typeEEEZNS1_21radix_sort_block_sortIS4_Lb1EPlS9_PS6_SA_NS0_19identity_decomposerEEE10hipError_tT1_T2_T3_T4_jRjT5_jjP12ihipStream_tbEUlT_E_NS1_11comp_targetILNS1_3genE4ELNS1_11target_archE910ELNS1_3gpuE8ELNS1_3repE0EEENS1_44radix_sort_block_sort_config_static_selectorELNS0_4arch9wavefront6targetE1EEEvSD_: ; @_ZN7rocprim17ROCPRIM_400000_NS6detail17trampoline_kernelINS0_13kernel_configILj256ELj4ELj4294967295EEENS1_37radix_sort_block_sort_config_selectorIlNS0_10empty_typeEEEZNS1_21radix_sort_block_sortIS4_Lb1EPlS9_PS6_SA_NS0_19identity_decomposerEEE10hipError_tT1_T2_T3_T4_jRjT5_jjP12ihipStream_tbEUlT_E_NS1_11comp_targetILNS1_3genE4ELNS1_11target_archE910ELNS1_3gpuE8ELNS1_3repE0EEENS1_44radix_sort_block_sort_config_static_selectorELNS0_4arch9wavefront6targetE1EEEvSD_
; %bb.0:
	s_load_dword s7, s[4:5], 0x20
	s_load_dwordx4 s[28:31], s[4:5], 0x0
	s_lshl_b32 s0, s6, 10
	s_mov_b32 s1, 0
	v_mbcnt_lo_u32_b32 v1, -1, 0
	s_waitcnt lgkmcnt(0)
	s_lshr_b32 s2, s7, 10
	s_cmp_lg_u32 s6, s2
	s_cselect_b64 s[34:35], -1, 0
	s_lshl_b64 s[36:37], s[0:1], 3
	v_mbcnt_hi_u32_b32 v1, -1, v1
	v_and_b32_e32 v10, 0x3ff, v0
	s_add_u32 s1, s28, s36
	v_and_b32_e32 v14, 63, v1
	s_addc_u32 s3, s29, s37
	v_lshlrev_b32_e32 v11, 2, v10
	v_lshlrev_b32_e32 v2, 3, v14
	v_and_b32_e32 v16, 0x300, v11
	v_mov_b32_e32 v3, s3
	v_add_co_u32_e32 v2, vcc, s1, v2
	v_addc_co_u32_e32 v3, vcc, 0, v3, vcc
	v_lshlrev_b32_e32 v4, 3, v16
	v_add_co_u32_e32 v12, vcc, v2, v4
	s_cmp_eq_u32 s6, s2
	v_addc_co_u32_e32 v13, vcc, 0, v3, vcc
	v_or_b32_e32 v15, v14, v16
	s_cbranch_scc1 .LBB2125_2
; %bb.1:
	global_load_dwordx2 v[2:3], v[12:13], off
	global_load_dwordx2 v[4:5], v[12:13], off offset:512
	global_load_dwordx2 v[6:7], v[12:13], off offset:1024
	;; [unrolled: 1-line block ×3, first 2 shown]
	v_or_b32_e32 v18, v14, v16
	v_or_b32_e32 v14, 64, v18
	;; [unrolled: 1-line block ×4, first 2 shown]
	s_load_dwordx2 s[28:29], s[4:5], 0x28
	s_sub_i32 s33, s7, s0
	s_cbranch_execz .LBB2125_3
	s_branch .LBB2125_12
.LBB2125_2:
                                        ; implicit-def: $vgpr2_vgpr3_vgpr4_vgpr5_vgpr6_vgpr7_vgpr8_vgpr9
                                        ; implicit-def: $vgpr18
                                        ; implicit-def: $vgpr14
                                        ; implicit-def: $vgpr16
                                        ; implicit-def: $vgpr17
	s_load_dwordx2 s[28:29], s[4:5], 0x28
	s_sub_i32 s33, s7, s0
.LBB2125_3:
	s_brev_b32 s9, 1
	s_mov_b32 s8, 0
	s_mov_b32 s10, s8
	;; [unrolled: 1-line block ×7, first 2 shown]
	s_waitcnt vmcnt(0)
	v_pk_mov_b32 v[2:3], s[8:9], s[8:9] op_sel:[0,1]
	v_cmp_gt_u32_e32 vcc, s33, v15
	v_pk_mov_b32 v[4:5], s[10:11], s[10:11] op_sel:[0,1]
	v_pk_mov_b32 v[6:7], s[12:13], s[12:13] op_sel:[0,1]
	;; [unrolled: 1-line block ×3, first 2 shown]
	s_and_saveexec_b64 s[0:1], vcc
	s_cbranch_execz .LBB2125_5
; %bb.4:
	global_load_dwordx2 v[2:3], v[12:13], off
	v_mov_b32_e32 v4, 0
	v_bfrev_b32_e32 v5, 1
	v_mov_b32_e32 v6, v4
	v_mov_b32_e32 v7, v5
	v_mov_b32_e32 v8, v4
	v_mov_b32_e32 v9, v5
.LBB2125_5:
	s_or_b64 exec, exec, s[0:1]
	v_or_b32_e32 v14, 64, v15
	v_cmp_gt_u32_e32 vcc, s33, v14
	s_and_saveexec_b64 s[0:1], vcc
	s_cbranch_execz .LBB2125_7
; %bb.6:
	global_load_dwordx2 v[4:5], v[12:13], off offset:512
.LBB2125_7:
	s_or_b64 exec, exec, s[0:1]
	v_or_b32_e32 v16, 0x80, v15
	v_cmp_gt_u32_e32 vcc, s33, v16
	s_and_saveexec_b64 s[0:1], vcc
	s_cbranch_execz .LBB2125_9
; %bb.8:
	global_load_dwordx2 v[6:7], v[12:13], off offset:1024
.LBB2125_9:
	;; [unrolled: 8-line block ×3, first 2 shown]
	s_or_b64 exec, exec, s[0:1]
	v_mov_b32_e32 v18, v15
.LBB2125_12:
	s_load_dword s2, s[4:5], 0x3c
	s_waitcnt lgkmcnt(0)
	s_add_i32 s38, s29, s28
	s_getpc_b64 s[0:1]
	s_add_u32 s0, s0, _ZN7rocprim17ROCPRIM_400000_NS16block_radix_sortIlLj256ELj4ENS0_10empty_typeELj1ELj1ELj0ELNS0_26block_radix_rank_algorithmE1ELNS0_18block_padding_hintE2ELNS0_4arch9wavefront6targetE1EE19radix_bits_per_passE@rel32@lo+4
	s_addc_u32 s1, s1, _ZN7rocprim17ROCPRIM_400000_NS16block_radix_sortIlLj256ELj4ENS0_10empty_typeELj1ELj1ELj0ELNS0_26block_radix_rank_algorithmE1ELNS0_18block_padding_hintE2ELNS0_4arch9wavefront6targetE1EE19radix_bits_per_passE@rel32@hi+12
	s_waitcnt vmcnt(0)
	v_xor_b32_e32 v20, -1, v4
	s_load_dword s39, s[0:1], 0x0
	s_lshr_b32 s0, s2, 16
	v_bfe_u32 v4, v0, 10, 10
	v_bfe_u32 v0, v0, 20, 10
	s_and_b32 s1, s2, 0xffff
	v_mad_u32_u24 v0, v0, s0, v4
	v_xor_b32_e32 v21, 0x7fffffff, v5
	v_mad_u64_u32 v[4:5], s[0:1], v0, s1, v[10:11]
	v_and_b32_e32 v0, 15, v1
	v_cmp_eq_u32_e64 s[0:1], 0, v0
	v_cmp_lt_u32_e64 s[2:3], 1, v0
	v_cmp_lt_u32_e64 s[4:5], 3, v0
	;; [unrolled: 1-line block ×3, first 2 shown]
	v_and_b32_e32 v0, 16, v1
	v_cmp_eq_u32_e64 s[8:9], 0, v0
	v_and_b32_e32 v0, 0x3c0, v10
	v_min_u32_e32 v0, 0xc0, v0
	v_or_b32_e32 v0, 63, v0
	v_lshrrev_b32_e32 v26, 6, v4
	v_cmp_eq_u32_e64 s[12:13], v0, v10
	v_add_u32_e32 v0, -1, v1
	v_and_b32_e32 v4, 64, v1
	v_cmp_lt_i32_e32 vcc, v0, v4
	v_cndmask_b32_e32 v0, v0, v1, vcc
	s_mov_b32 s26, 0
	v_lshlrev_b32_e32 v27, 2, v0
	v_lshrrev_b32_e32 v0, 4, v10
	v_lshlrev_b32_e32 v11, 2, v11
	v_cmp_lt_u32_e64 s[10:11], 31, v1
	v_cmp_eq_u32_e64 s[18:19], 0, v1
	v_and_b32_e32 v28, 60, v0
	v_mul_i32_i24_e32 v0, -12, v10
	v_and_b32_e32 v1, 3, v1
	s_mov_b32 s27, s26
	s_mov_b32 s40, s26
	;; [unrolled: 1-line block ×3, first 2 shown]
	v_xor_b32_e32 v3, 0x7fffffff, v3
	v_xor_b32_e32 v2, -1, v2
	v_xor_b32_e32 v23, 0x7fffffff, v7
	v_xor_b32_e32 v22, -1, v6
	;; [unrolled: 2-line block ×3, first 2 shown]
	v_cmp_gt_u32_e64 s[14:15], 4, v10
	v_cmp_lt_u32_e64 s[16:17], 63, v10
	v_cmp_eq_u32_e64 s[20:21], 0, v10
	v_cmp_eq_u32_e64 s[22:23], 0, v1
	v_cmp_lt_u32_e64 s[24:25], 1, v1
	v_add_u32_e32 v29, -4, v28
	v_lshlrev_b32_e32 v30, 3, v18
	v_lshlrev_b32_e32 v31, 3, v14
	;; [unrolled: 1-line block ×4, first 2 shown]
	v_pk_mov_b32 v[4:5], s[26:27], s[26:27] op_sel:[0,1]
	v_pk_mov_b32 v[6:7], s[40:41], s[40:41] op_sel:[0,1]
	v_add_u32_e32 v34, v11, v0
	v_mov_b32_e32 v8, 0
	s_branch .LBB2125_14
.LBB2125_13:                            ;   in Loop: Header=BB2125_14 Depth=1
	s_barrier
	ds_write_b64 v0, v[18:19]
	ds_write_b64 v1, v[16:17]
	;; [unrolled: 1-line block ×4, first 2 shown]
	s_waitcnt lgkmcnt(0)
	s_barrier
	ds_read_b64 v[2:3], v30
	ds_read_b64 v[20:21], v31
	;; [unrolled: 1-line block ×4, first 2 shown]
	s_add_i32 s29, s29, -8
	s_waitcnt lgkmcnt(0)
	s_barrier
	s_cbranch_execz .LBB2125_30
.LBB2125_14:                            ; =>This Inner Loop Header: Depth=1
	s_waitcnt lgkmcnt(0)
	s_min_u32 s26, s39, s29
	v_pk_mov_b32 v[18:19], v[2:3], v[2:3] op_sel:[0,1]
	s_lshl_b32 s26, -1, s26
	s_not_b32 s40, s26
	v_lshrrev_b64 v[0:1], s28, v[18:19]
	v_and_b32_e32 v0, s40, v0
	v_lshl_add_u32 v1, v0, 2, v26
	v_pk_mov_b32 v[16:17], v[20:21], v[20:21] op_sel:[0,1]
	v_lshl_add_u32 v20, v1, 2, 16
	v_and_b32_e32 v1, 1, v0
	v_add_co_u32_e32 v2, vcc, -1, v1
	v_addc_co_u32_e64 v3, s[26:27], 0, -1, vcc
	v_cmp_ne_u32_e32 vcc, 0, v1
	v_lshlrev_b32_e32 v9, 30, v0
	v_xor_b32_e32 v1, vcc_hi, v3
	v_not_b32_e32 v3, v9
	v_xor_b32_e32 v2, vcc_lo, v2
	v_cmp_gt_i64_e32 vcc, 0, v[8:9]
	v_ashrrev_i32_e32 v3, 31, v3
	v_and_b32_e32 v1, exec_hi, v1
	v_xor_b32_e32 v9, vcc_hi, v3
	v_and_b32_e32 v2, exec_lo, v2
	v_xor_b32_e32 v3, vcc_lo, v3
	v_and_b32_e32 v1, v1, v9
	v_lshlrev_b32_e32 v9, 29, v0
	v_and_b32_e32 v2, v2, v3
	v_not_b32_e32 v3, v9
	v_cmp_gt_i64_e32 vcc, 0, v[8:9]
	v_ashrrev_i32_e32 v3, 31, v3
	v_xor_b32_e32 v9, vcc_hi, v3
	v_xor_b32_e32 v3, vcc_lo, v3
	v_and_b32_e32 v1, v1, v9
	v_lshlrev_b32_e32 v9, 28, v0
	v_and_b32_e32 v2, v2, v3
	v_not_b32_e32 v3, v9
	v_cmp_gt_i64_e32 vcc, 0, v[8:9]
	v_ashrrev_i32_e32 v3, 31, v3
	v_xor_b32_e32 v9, vcc_hi, v3
	;; [unrolled: 8-line block ×5, first 2 shown]
	v_and_b32_e32 v1, v1, v9
	v_lshlrev_b32_e32 v9, 24, v0
	v_not_b32_e32 v0, v9
	v_xor_b32_e32 v3, vcc_lo, v3
	v_cmp_gt_i64_e32 vcc, 0, v[8:9]
	v_ashrrev_i32_e32 v0, 31, v0
	v_and_b32_e32 v2, v2, v3
	v_xor_b32_e32 v3, vcc_hi, v0
	v_xor_b32_e32 v0, vcc_lo, v0
	v_and_b32_e32 v0, v2, v0
	v_and_b32_e32 v1, v1, v3
	v_mbcnt_lo_u32_b32 v2, v0, 0
	v_mbcnt_hi_u32_b32 v21, v1, v2
	v_cmp_eq_u32_e32 vcc, 0, v21
	v_cmp_ne_u64_e64 s[26:27], 0, v[0:1]
	v_pk_mov_b32 v[12:13], v[24:25], v[24:25] op_sel:[0,1]
	v_pk_mov_b32 v[14:15], v[22:23], v[22:23] op_sel:[0,1]
	s_and_b64 s[42:43], s[26:27], vcc
	ds_write2_b64 v11, v[4:5], v[6:7] offset0:2 offset1:3
	s_waitcnt lgkmcnt(0)
	s_barrier
	s_waitcnt lgkmcnt(0)
	; wave barrier
	s_and_saveexec_b64 s[26:27], s[42:43]
	s_cbranch_execz .LBB2125_16
; %bb.15:                               ;   in Loop: Header=BB2125_14 Depth=1
	v_bcnt_u32_b32 v0, v0, 0
	v_bcnt_u32_b32 v0, v1, v0
	ds_write_b32 v20, v0
.LBB2125_16:                            ;   in Loop: Header=BB2125_14 Depth=1
	s_or_b64 exec, exec, s[26:27]
	v_lshrrev_b64 v[0:1], s28, v[16:17]
	v_and_b32_e32 v0, s40, v0
	v_lshlrev_b32_e32 v1, 2, v0
	v_add_lshl_u32 v1, v1, v26, 2
	; wave barrier
	v_add_u32_e32 v23, 16, v1
	ds_read_b32 v22, v1 offset:16
	v_and_b32_e32 v1, 1, v0
	v_add_co_u32_e32 v2, vcc, -1, v1
	v_addc_co_u32_e64 v3, s[26:27], 0, -1, vcc
	v_cmp_ne_u32_e32 vcc, 0, v1
	v_lshlrev_b32_e32 v9, 30, v0
	v_xor_b32_e32 v1, vcc_hi, v3
	v_not_b32_e32 v3, v9
	v_xor_b32_e32 v2, vcc_lo, v2
	v_cmp_gt_i64_e32 vcc, 0, v[8:9]
	v_ashrrev_i32_e32 v3, 31, v3
	v_and_b32_e32 v1, exec_hi, v1
	v_xor_b32_e32 v9, vcc_hi, v3
	v_and_b32_e32 v2, exec_lo, v2
	v_xor_b32_e32 v3, vcc_lo, v3
	v_and_b32_e32 v1, v1, v9
	v_lshlrev_b32_e32 v9, 29, v0
	v_and_b32_e32 v2, v2, v3
	v_not_b32_e32 v3, v9
	v_cmp_gt_i64_e32 vcc, 0, v[8:9]
	v_ashrrev_i32_e32 v3, 31, v3
	v_xor_b32_e32 v9, vcc_hi, v3
	v_xor_b32_e32 v3, vcc_lo, v3
	v_and_b32_e32 v1, v1, v9
	v_lshlrev_b32_e32 v9, 28, v0
	v_and_b32_e32 v2, v2, v3
	v_not_b32_e32 v3, v9
	v_cmp_gt_i64_e32 vcc, 0, v[8:9]
	v_ashrrev_i32_e32 v3, 31, v3
	v_xor_b32_e32 v9, vcc_hi, v3
	v_xor_b32_e32 v3, vcc_lo, v3
	v_and_b32_e32 v1, v1, v9
	v_lshlrev_b32_e32 v9, 27, v0
	v_and_b32_e32 v2, v2, v3
	v_not_b32_e32 v3, v9
	v_cmp_gt_i64_e32 vcc, 0, v[8:9]
	v_ashrrev_i32_e32 v3, 31, v3
	v_xor_b32_e32 v9, vcc_hi, v3
	v_xor_b32_e32 v3, vcc_lo, v3
	v_and_b32_e32 v1, v1, v9
	v_lshlrev_b32_e32 v9, 26, v0
	v_and_b32_e32 v2, v2, v3
	v_not_b32_e32 v3, v9
	v_cmp_gt_i64_e32 vcc, 0, v[8:9]
	v_ashrrev_i32_e32 v3, 31, v3
	v_xor_b32_e32 v9, vcc_hi, v3
	v_xor_b32_e32 v3, vcc_lo, v3
	v_and_b32_e32 v1, v1, v9
	v_lshlrev_b32_e32 v9, 25, v0
	v_and_b32_e32 v2, v2, v3
	v_not_b32_e32 v3, v9
	v_cmp_gt_i64_e32 vcc, 0, v[8:9]
	v_ashrrev_i32_e32 v3, 31, v3
	v_xor_b32_e32 v9, vcc_hi, v3
	v_and_b32_e32 v1, v1, v9
	v_lshlrev_b32_e32 v9, 24, v0
	v_not_b32_e32 v0, v9
	v_xor_b32_e32 v3, vcc_lo, v3
	v_cmp_gt_i64_e32 vcc, 0, v[8:9]
	v_ashrrev_i32_e32 v0, 31, v0
	v_and_b32_e32 v2, v2, v3
	v_xor_b32_e32 v3, vcc_hi, v0
	v_xor_b32_e32 v0, vcc_lo, v0
	v_and_b32_e32 v0, v2, v0
	v_and_b32_e32 v1, v1, v3
	v_mbcnt_lo_u32_b32 v2, v0, 0
	v_mbcnt_hi_u32_b32 v24, v1, v2
	v_cmp_eq_u32_e32 vcc, 0, v24
	v_cmp_ne_u64_e64 s[26:27], 0, v[0:1]
	s_and_b64 s[42:43], s[26:27], vcc
	; wave barrier
	s_and_saveexec_b64 s[26:27], s[42:43]
	s_cbranch_execz .LBB2125_18
; %bb.17:                               ;   in Loop: Header=BB2125_14 Depth=1
	v_bcnt_u32_b32 v0, v0, 0
	v_bcnt_u32_b32 v0, v1, v0
	s_waitcnt lgkmcnt(0)
	v_add_u32_e32 v0, v22, v0
	ds_write_b32 v23, v0
.LBB2125_18:                            ;   in Loop: Header=BB2125_14 Depth=1
	s_or_b64 exec, exec, s[26:27]
	v_lshrrev_b64 v[0:1], s28, v[14:15]
	v_and_b32_e32 v0, s40, v0
	v_lshlrev_b32_e32 v1, 2, v0
	v_add_lshl_u32 v1, v1, v26, 2
	; wave barrier
	v_add_u32_e32 v35, 16, v1
	ds_read_b32 v25, v1 offset:16
	v_and_b32_e32 v1, 1, v0
	v_add_co_u32_e32 v2, vcc, -1, v1
	v_addc_co_u32_e64 v3, s[26:27], 0, -1, vcc
	v_cmp_ne_u32_e32 vcc, 0, v1
	v_lshlrev_b32_e32 v9, 30, v0
	v_xor_b32_e32 v1, vcc_hi, v3
	v_not_b32_e32 v3, v9
	v_xor_b32_e32 v2, vcc_lo, v2
	v_cmp_gt_i64_e32 vcc, 0, v[8:9]
	v_ashrrev_i32_e32 v3, 31, v3
	v_and_b32_e32 v1, exec_hi, v1
	v_xor_b32_e32 v9, vcc_hi, v3
	v_and_b32_e32 v2, exec_lo, v2
	v_xor_b32_e32 v3, vcc_lo, v3
	v_and_b32_e32 v1, v1, v9
	v_lshlrev_b32_e32 v9, 29, v0
	v_and_b32_e32 v2, v2, v3
	v_not_b32_e32 v3, v9
	v_cmp_gt_i64_e32 vcc, 0, v[8:9]
	v_ashrrev_i32_e32 v3, 31, v3
	v_xor_b32_e32 v9, vcc_hi, v3
	v_xor_b32_e32 v3, vcc_lo, v3
	v_and_b32_e32 v1, v1, v9
	v_lshlrev_b32_e32 v9, 28, v0
	v_and_b32_e32 v2, v2, v3
	v_not_b32_e32 v3, v9
	v_cmp_gt_i64_e32 vcc, 0, v[8:9]
	v_ashrrev_i32_e32 v3, 31, v3
	v_xor_b32_e32 v9, vcc_hi, v3
	;; [unrolled: 8-line block ×5, first 2 shown]
	v_and_b32_e32 v1, v1, v9
	v_lshlrev_b32_e32 v9, 24, v0
	v_not_b32_e32 v0, v9
	v_xor_b32_e32 v3, vcc_lo, v3
	v_cmp_gt_i64_e32 vcc, 0, v[8:9]
	v_ashrrev_i32_e32 v0, 31, v0
	v_and_b32_e32 v2, v2, v3
	v_xor_b32_e32 v3, vcc_hi, v0
	v_xor_b32_e32 v0, vcc_lo, v0
	v_and_b32_e32 v0, v2, v0
	v_and_b32_e32 v1, v1, v3
	v_mbcnt_lo_u32_b32 v2, v0, 0
	v_mbcnt_hi_u32_b32 v36, v1, v2
	v_cmp_eq_u32_e32 vcc, 0, v36
	v_cmp_ne_u64_e64 s[26:27], 0, v[0:1]
	s_and_b64 s[42:43], s[26:27], vcc
	; wave barrier
	s_and_saveexec_b64 s[26:27], s[42:43]
	s_cbranch_execz .LBB2125_20
; %bb.19:                               ;   in Loop: Header=BB2125_14 Depth=1
	v_bcnt_u32_b32 v0, v0, 0
	v_bcnt_u32_b32 v0, v1, v0
	s_waitcnt lgkmcnt(0)
	v_add_u32_e32 v0, v25, v0
	ds_write_b32 v35, v0
.LBB2125_20:                            ;   in Loop: Header=BB2125_14 Depth=1
	s_or_b64 exec, exec, s[26:27]
	v_lshrrev_b64 v[0:1], s28, v[12:13]
	v_and_b32_e32 v0, s40, v0
	v_lshlrev_b32_e32 v1, 2, v0
	v_add_lshl_u32 v1, v1, v26, 2
	; wave barrier
	v_add_u32_e32 v38, 16, v1
	ds_read_b32 v37, v1 offset:16
	v_and_b32_e32 v1, 1, v0
	v_add_co_u32_e32 v2, vcc, -1, v1
	v_addc_co_u32_e64 v3, s[26:27], 0, -1, vcc
	v_cmp_ne_u32_e32 vcc, 0, v1
	v_lshlrev_b32_e32 v9, 30, v0
	v_xor_b32_e32 v1, vcc_hi, v3
	v_not_b32_e32 v3, v9
	v_xor_b32_e32 v2, vcc_lo, v2
	v_cmp_gt_i64_e32 vcc, 0, v[8:9]
	v_ashrrev_i32_e32 v3, 31, v3
	v_and_b32_e32 v1, exec_hi, v1
	v_xor_b32_e32 v9, vcc_hi, v3
	v_and_b32_e32 v2, exec_lo, v2
	v_xor_b32_e32 v3, vcc_lo, v3
	v_and_b32_e32 v1, v1, v9
	v_lshlrev_b32_e32 v9, 29, v0
	v_and_b32_e32 v2, v2, v3
	v_not_b32_e32 v3, v9
	v_cmp_gt_i64_e32 vcc, 0, v[8:9]
	v_ashrrev_i32_e32 v3, 31, v3
	v_xor_b32_e32 v9, vcc_hi, v3
	v_xor_b32_e32 v3, vcc_lo, v3
	v_and_b32_e32 v1, v1, v9
	v_lshlrev_b32_e32 v9, 28, v0
	v_and_b32_e32 v2, v2, v3
	v_not_b32_e32 v3, v9
	v_cmp_gt_i64_e32 vcc, 0, v[8:9]
	v_ashrrev_i32_e32 v3, 31, v3
	v_xor_b32_e32 v9, vcc_hi, v3
	;; [unrolled: 8-line block ×5, first 2 shown]
	v_and_b32_e32 v1, v1, v9
	v_lshlrev_b32_e32 v9, 24, v0
	v_not_b32_e32 v0, v9
	v_xor_b32_e32 v3, vcc_lo, v3
	v_cmp_gt_i64_e32 vcc, 0, v[8:9]
	v_ashrrev_i32_e32 v0, 31, v0
	v_and_b32_e32 v2, v2, v3
	v_xor_b32_e32 v3, vcc_hi, v0
	v_xor_b32_e32 v0, vcc_lo, v0
	v_and_b32_e32 v0, v2, v0
	v_and_b32_e32 v1, v1, v3
	v_mbcnt_lo_u32_b32 v2, v0, 0
	v_mbcnt_hi_u32_b32 v9, v1, v2
	v_cmp_eq_u32_e32 vcc, 0, v9
	v_cmp_ne_u64_e64 s[26:27], 0, v[0:1]
	s_and_b64 s[40:41], s[26:27], vcc
	; wave barrier
	s_and_saveexec_b64 s[26:27], s[40:41]
	s_cbranch_execz .LBB2125_22
; %bb.21:                               ;   in Loop: Header=BB2125_14 Depth=1
	v_bcnt_u32_b32 v0, v0, 0
	v_bcnt_u32_b32 v0, v1, v0
	s_waitcnt lgkmcnt(0)
	v_add_u32_e32 v0, v37, v0
	ds_write_b32 v38, v0
.LBB2125_22:                            ;   in Loop: Header=BB2125_14 Depth=1
	s_or_b64 exec, exec, s[26:27]
	; wave barrier
	s_waitcnt lgkmcnt(0)
	s_barrier
	ds_read2_b64 v[0:3], v11 offset0:2 offset1:3
	s_waitcnt lgkmcnt(0)
	v_add_u32_e32 v39, v1, v0
	v_add3_u32 v3, v39, v2, v3
	s_nop 1
	v_mov_b32_dpp v39, v3 row_shr:1 row_mask:0xf bank_mask:0xf
	v_cndmask_b32_e64 v39, v39, 0, s[0:1]
	v_add_u32_e32 v3, v39, v3
	s_nop 1
	v_mov_b32_dpp v39, v3 row_shr:2 row_mask:0xf bank_mask:0xf
	v_cndmask_b32_e64 v39, 0, v39, s[2:3]
	v_add_u32_e32 v3, v3, v39
	;; [unrolled: 4-line block ×4, first 2 shown]
	s_nop 1
	v_mov_b32_dpp v39, v3 row_bcast:15 row_mask:0xf bank_mask:0xf
	v_cndmask_b32_e64 v39, v39, 0, s[8:9]
	v_add_u32_e32 v3, v3, v39
	s_nop 1
	v_mov_b32_dpp v39, v3 row_bcast:31 row_mask:0xf bank_mask:0xf
	v_cndmask_b32_e64 v39, 0, v39, s[10:11]
	v_add_u32_e32 v3, v3, v39
	s_and_saveexec_b64 s[26:27], s[12:13]
	s_cbranch_execz .LBB2125_24
; %bb.23:                               ;   in Loop: Header=BB2125_14 Depth=1
	ds_write_b32 v28, v3
.LBB2125_24:                            ;   in Loop: Header=BB2125_14 Depth=1
	s_or_b64 exec, exec, s[26:27]
	s_waitcnt lgkmcnt(0)
	s_barrier
	s_and_saveexec_b64 s[26:27], s[14:15]
	s_cbranch_execz .LBB2125_26
; %bb.25:                               ;   in Loop: Header=BB2125_14 Depth=1
	ds_read_b32 v39, v34
	s_waitcnt lgkmcnt(0)
	s_nop 0
	v_mov_b32_dpp v40, v39 row_shr:1 row_mask:0xf bank_mask:0xf
	v_cndmask_b32_e64 v40, v40, 0, s[22:23]
	v_add_u32_e32 v39, v40, v39
	s_nop 1
	v_mov_b32_dpp v40, v39 row_shr:2 row_mask:0xf bank_mask:0xf
	v_cndmask_b32_e64 v40, 0, v40, s[24:25]
	v_add_u32_e32 v39, v39, v40
	ds_write_b32 v34, v39
.LBB2125_26:                            ;   in Loop: Header=BB2125_14 Depth=1
	s_or_b64 exec, exec, s[26:27]
	v_mov_b32_e32 v39, 0
	s_waitcnt lgkmcnt(0)
	s_barrier
	s_and_saveexec_b64 s[26:27], s[16:17]
	s_cbranch_execz .LBB2125_28
; %bb.27:                               ;   in Loop: Header=BB2125_14 Depth=1
	ds_read_b32 v39, v29
.LBB2125_28:                            ;   in Loop: Header=BB2125_14 Depth=1
	s_or_b64 exec, exec, s[26:27]
	s_waitcnt lgkmcnt(0)
	v_add_u32_e32 v3, v39, v3
	ds_bpermute_b32 v3, v27, v3
	s_add_i32 s28, s28, 8
	s_cmp_ge_u32 s28, s38
	s_waitcnt lgkmcnt(0)
	v_cndmask_b32_e64 v3, v3, v39, s[18:19]
	v_cndmask_b32_e64 v40, v3, 0, s[20:21]
	v_add_u32_e32 v41, v40, v0
	v_add_u32_e32 v0, v41, v1
	v_add_u32_e32 v1, v0, v2
	ds_write2_b64 v11, v[40:41], v[0:1] offset0:2 offset1:3
	s_waitcnt lgkmcnt(0)
	s_barrier
	ds_read_b32 v0, v20
	ds_read_b32 v1, v23
	;; [unrolled: 1-line block ×4, first 2 shown]
	v_lshlrev_b32_e32 v20, 3, v21
	s_waitcnt lgkmcnt(3)
	v_lshl_add_u32 v0, v0, 3, v20
	v_lshlrev_b32_e32 v20, 3, v24
	v_lshlrev_b32_e32 v21, 3, v22
	s_waitcnt lgkmcnt(2)
	v_lshlrev_b32_e32 v1, 3, v1
	v_add3_u32 v1, v20, v21, v1
	v_lshlrev_b32_e32 v20, 3, v36
	v_lshlrev_b32_e32 v21, 3, v25
	s_waitcnt lgkmcnt(1)
	v_lshlrev_b32_e32 v2, 3, v2
	v_add3_u32 v35, v20, v21, v2
	;; [unrolled: 5-line block ×3, first 2 shown]
	s_cbranch_scc0 .LBB2125_13
; %bb.29:
                                        ; implicit-def: $vgpr24_vgpr25
                                        ; implicit-def: $vgpr22_vgpr23
                                        ; implicit-def: $vgpr20_vgpr21
                                        ; implicit-def: $vgpr2_vgpr3
                                        ; implicit-def: $sgpr28
.LBB2125_30:
	v_lshlrev_b32_e32 v11, 3, v10
	s_barrier
	ds_write_b64 v0, v[18:19]
	ds_write_b64 v1, v[16:17]
	;; [unrolled: 1-line block ×4, first 2 shown]
	s_waitcnt lgkmcnt(0)
	s_barrier
	ds_read2st64_b64 v[4:7], v11 offset1:4
	ds_read2st64_b64 v[0:3], v11 offset0:8 offset1:12
	s_add_u32 s0, s30, s36
	s_addc_u32 s1, s31, s37
	s_andn2_b64 vcc, exec, s[34:35]
	s_waitcnt lgkmcnt(1)
	v_xor_b32_e32 v9, 0x7fffffff, v5
	v_xor_b32_e32 v8, -1, v4
	s_waitcnt lgkmcnt(0)
	v_xor_b32_e32 v5, 0x7fffffff, v1
	v_xor_b32_e32 v4, -1, v0
	v_mov_b32_e32 v1, s1
	v_add_co_u32_e64 v0, s[0:1], s0, v11
	v_xor_b32_e32 v7, 0x7fffffff, v7
	v_xor_b32_e32 v6, -1, v6
	v_addc_co_u32_e64 v1, s[0:1], 0, v1, s[0:1]
	s_cbranch_vccnz .LBB2125_32
; %bb.31:
	v_add_co_u32_e32 v12, vcc, 0x1000, v0
	v_addc_co_u32_e32 v13, vcc, 0, v1, vcc
	s_mov_b64 s[0:1], -1
	global_store_dwordx2 v[0:1], v[8:9], off
	global_store_dwordx2 v[0:1], v[6:7], off offset:2048
	global_store_dwordx2 v[12:13], v[4:5], off
	s_cbranch_execz .LBB2125_33
	s_branch .LBB2125_40
.LBB2125_32:
	s_mov_b64 s[0:1], 0
.LBB2125_33:
	v_cmp_gt_u32_e32 vcc, s33, v10
	s_and_saveexec_b64 s[0:1], vcc
	s_cbranch_execz .LBB2125_35
; %bb.34:
	global_store_dwordx2 v[0:1], v[8:9], off
.LBB2125_35:
	s_or_b64 exec, exec, s[0:1]
	v_add_u32_e32 v8, 0x100, v10
	v_cmp_gt_u32_e32 vcc, s33, v8
	s_and_saveexec_b64 s[0:1], vcc
	s_cbranch_execz .LBB2125_37
; %bb.36:
	global_store_dwordx2 v[0:1], v[6:7], off offset:2048
.LBB2125_37:
	s_or_b64 exec, exec, s[0:1]
	v_add_u32_e32 v6, 0x200, v10
	v_cmp_gt_u32_e32 vcc, s33, v6
	s_and_saveexec_b64 s[0:1], vcc
	s_cbranch_execz .LBB2125_39
; %bb.38:
	v_add_co_u32_e32 v6, vcc, 0x1000, v0
	v_addc_co_u32_e32 v7, vcc, 0, v1, vcc
	global_store_dwordx2 v[6:7], v[4:5], off
.LBB2125_39:
	s_or_b64 exec, exec, s[0:1]
	v_add_u32_e32 v4, 0x300, v10
	v_cmp_gt_u32_e64 s[0:1], s33, v4
.LBB2125_40:
	s_and_saveexec_b64 s[2:3], s[0:1]
	s_cbranch_execnz .LBB2125_42
; %bb.41:
	s_endpgm
.LBB2125_42:
	v_add_co_u32_e32 v0, vcc, 0x1000, v0
	v_xor_b32_e32 v3, 0x7fffffff, v3
	v_not_b32_e32 v2, v2
	v_addc_co_u32_e32 v1, vcc, 0, v1, vcc
	global_store_dwordx2 v[0:1], v[2:3], off offset:2048
	s_endpgm
	.section	.rodata,"a",@progbits
	.p2align	6, 0x0
	.amdhsa_kernel _ZN7rocprim17ROCPRIM_400000_NS6detail17trampoline_kernelINS0_13kernel_configILj256ELj4ELj4294967295EEENS1_37radix_sort_block_sort_config_selectorIlNS0_10empty_typeEEEZNS1_21radix_sort_block_sortIS4_Lb1EPlS9_PS6_SA_NS0_19identity_decomposerEEE10hipError_tT1_T2_T3_T4_jRjT5_jjP12ihipStream_tbEUlT_E_NS1_11comp_targetILNS1_3genE4ELNS1_11target_archE910ELNS1_3gpuE8ELNS1_3repE0EEENS1_44radix_sort_block_sort_config_static_selectorELNS0_4arch9wavefront6targetE1EEEvSD_
		.amdhsa_group_segment_fixed_size 8192
		.amdhsa_private_segment_fixed_size 0
		.amdhsa_kernarg_size 304
		.amdhsa_user_sgpr_count 6
		.amdhsa_user_sgpr_private_segment_buffer 1
		.amdhsa_user_sgpr_dispatch_ptr 0
		.amdhsa_user_sgpr_queue_ptr 0
		.amdhsa_user_sgpr_kernarg_segment_ptr 1
		.amdhsa_user_sgpr_dispatch_id 0
		.amdhsa_user_sgpr_flat_scratch_init 0
		.amdhsa_user_sgpr_kernarg_preload_length 0
		.amdhsa_user_sgpr_kernarg_preload_offset 0
		.amdhsa_user_sgpr_private_segment_size 0
		.amdhsa_uses_dynamic_stack 0
		.amdhsa_system_sgpr_private_segment_wavefront_offset 0
		.amdhsa_system_sgpr_workgroup_id_x 1
		.amdhsa_system_sgpr_workgroup_id_y 0
		.amdhsa_system_sgpr_workgroup_id_z 0
		.amdhsa_system_sgpr_workgroup_info 0
		.amdhsa_system_vgpr_workitem_id 2
		.amdhsa_next_free_vgpr 42
		.amdhsa_next_free_sgpr 44
		.amdhsa_accum_offset 44
		.amdhsa_reserve_vcc 1
		.amdhsa_reserve_flat_scratch 0
		.amdhsa_float_round_mode_32 0
		.amdhsa_float_round_mode_16_64 0
		.amdhsa_float_denorm_mode_32 3
		.amdhsa_float_denorm_mode_16_64 3
		.amdhsa_dx10_clamp 1
		.amdhsa_ieee_mode 1
		.amdhsa_fp16_overflow 0
		.amdhsa_tg_split 0
		.amdhsa_exception_fp_ieee_invalid_op 0
		.amdhsa_exception_fp_denorm_src 0
		.amdhsa_exception_fp_ieee_div_zero 0
		.amdhsa_exception_fp_ieee_overflow 0
		.amdhsa_exception_fp_ieee_underflow 0
		.amdhsa_exception_fp_ieee_inexact 0
		.amdhsa_exception_int_div_zero 0
	.end_amdhsa_kernel
	.section	.text._ZN7rocprim17ROCPRIM_400000_NS6detail17trampoline_kernelINS0_13kernel_configILj256ELj4ELj4294967295EEENS1_37radix_sort_block_sort_config_selectorIlNS0_10empty_typeEEEZNS1_21radix_sort_block_sortIS4_Lb1EPlS9_PS6_SA_NS0_19identity_decomposerEEE10hipError_tT1_T2_T3_T4_jRjT5_jjP12ihipStream_tbEUlT_E_NS1_11comp_targetILNS1_3genE4ELNS1_11target_archE910ELNS1_3gpuE8ELNS1_3repE0EEENS1_44radix_sort_block_sort_config_static_selectorELNS0_4arch9wavefront6targetE1EEEvSD_,"axG",@progbits,_ZN7rocprim17ROCPRIM_400000_NS6detail17trampoline_kernelINS0_13kernel_configILj256ELj4ELj4294967295EEENS1_37radix_sort_block_sort_config_selectorIlNS0_10empty_typeEEEZNS1_21radix_sort_block_sortIS4_Lb1EPlS9_PS6_SA_NS0_19identity_decomposerEEE10hipError_tT1_T2_T3_T4_jRjT5_jjP12ihipStream_tbEUlT_E_NS1_11comp_targetILNS1_3genE4ELNS1_11target_archE910ELNS1_3gpuE8ELNS1_3repE0EEENS1_44radix_sort_block_sort_config_static_selectorELNS0_4arch9wavefront6targetE1EEEvSD_,comdat
.Lfunc_end2125:
	.size	_ZN7rocprim17ROCPRIM_400000_NS6detail17trampoline_kernelINS0_13kernel_configILj256ELj4ELj4294967295EEENS1_37radix_sort_block_sort_config_selectorIlNS0_10empty_typeEEEZNS1_21radix_sort_block_sortIS4_Lb1EPlS9_PS6_SA_NS0_19identity_decomposerEEE10hipError_tT1_T2_T3_T4_jRjT5_jjP12ihipStream_tbEUlT_E_NS1_11comp_targetILNS1_3genE4ELNS1_11target_archE910ELNS1_3gpuE8ELNS1_3repE0EEENS1_44radix_sort_block_sort_config_static_selectorELNS0_4arch9wavefront6targetE1EEEvSD_, .Lfunc_end2125-_ZN7rocprim17ROCPRIM_400000_NS6detail17trampoline_kernelINS0_13kernel_configILj256ELj4ELj4294967295EEENS1_37radix_sort_block_sort_config_selectorIlNS0_10empty_typeEEEZNS1_21radix_sort_block_sortIS4_Lb1EPlS9_PS6_SA_NS0_19identity_decomposerEEE10hipError_tT1_T2_T3_T4_jRjT5_jjP12ihipStream_tbEUlT_E_NS1_11comp_targetILNS1_3genE4ELNS1_11target_archE910ELNS1_3gpuE8ELNS1_3repE0EEENS1_44radix_sort_block_sort_config_static_selectorELNS0_4arch9wavefront6targetE1EEEvSD_
                                        ; -- End function
	.section	.AMDGPU.csdata,"",@progbits
; Kernel info:
; codeLenInByte = 3316
; NumSgprs: 48
; NumVgprs: 42
; NumAgprs: 0
; TotalNumVgprs: 42
; ScratchSize: 0
; MemoryBound: 1
; FloatMode: 240
; IeeeMode: 1
; LDSByteSize: 8192 bytes/workgroup (compile time only)
; SGPRBlocks: 5
; VGPRBlocks: 5
; NumSGPRsForWavesPerEU: 48
; NumVGPRsForWavesPerEU: 42
; AccumOffset: 44
; Occupancy: 8
; WaveLimiterHint : 1
; COMPUTE_PGM_RSRC2:SCRATCH_EN: 0
; COMPUTE_PGM_RSRC2:USER_SGPR: 6
; COMPUTE_PGM_RSRC2:TRAP_HANDLER: 0
; COMPUTE_PGM_RSRC2:TGID_X_EN: 1
; COMPUTE_PGM_RSRC2:TGID_Y_EN: 0
; COMPUTE_PGM_RSRC2:TGID_Z_EN: 0
; COMPUTE_PGM_RSRC2:TIDIG_COMP_CNT: 2
; COMPUTE_PGM_RSRC3_GFX90A:ACCUM_OFFSET: 10
; COMPUTE_PGM_RSRC3_GFX90A:TG_SPLIT: 0
	.section	.text._ZN7rocprim17ROCPRIM_400000_NS6detail17trampoline_kernelINS0_13kernel_configILj256ELj4ELj4294967295EEENS1_37radix_sort_block_sort_config_selectorIlNS0_10empty_typeEEEZNS1_21radix_sort_block_sortIS4_Lb1EPlS9_PS6_SA_NS0_19identity_decomposerEEE10hipError_tT1_T2_T3_T4_jRjT5_jjP12ihipStream_tbEUlT_E_NS1_11comp_targetILNS1_3genE3ELNS1_11target_archE908ELNS1_3gpuE7ELNS1_3repE0EEENS1_44radix_sort_block_sort_config_static_selectorELNS0_4arch9wavefront6targetE1EEEvSD_,"axG",@progbits,_ZN7rocprim17ROCPRIM_400000_NS6detail17trampoline_kernelINS0_13kernel_configILj256ELj4ELj4294967295EEENS1_37radix_sort_block_sort_config_selectorIlNS0_10empty_typeEEEZNS1_21radix_sort_block_sortIS4_Lb1EPlS9_PS6_SA_NS0_19identity_decomposerEEE10hipError_tT1_T2_T3_T4_jRjT5_jjP12ihipStream_tbEUlT_E_NS1_11comp_targetILNS1_3genE3ELNS1_11target_archE908ELNS1_3gpuE7ELNS1_3repE0EEENS1_44radix_sort_block_sort_config_static_selectorELNS0_4arch9wavefront6targetE1EEEvSD_,comdat
	.protected	_ZN7rocprim17ROCPRIM_400000_NS6detail17trampoline_kernelINS0_13kernel_configILj256ELj4ELj4294967295EEENS1_37radix_sort_block_sort_config_selectorIlNS0_10empty_typeEEEZNS1_21radix_sort_block_sortIS4_Lb1EPlS9_PS6_SA_NS0_19identity_decomposerEEE10hipError_tT1_T2_T3_T4_jRjT5_jjP12ihipStream_tbEUlT_E_NS1_11comp_targetILNS1_3genE3ELNS1_11target_archE908ELNS1_3gpuE7ELNS1_3repE0EEENS1_44radix_sort_block_sort_config_static_selectorELNS0_4arch9wavefront6targetE1EEEvSD_ ; -- Begin function _ZN7rocprim17ROCPRIM_400000_NS6detail17trampoline_kernelINS0_13kernel_configILj256ELj4ELj4294967295EEENS1_37radix_sort_block_sort_config_selectorIlNS0_10empty_typeEEEZNS1_21radix_sort_block_sortIS4_Lb1EPlS9_PS6_SA_NS0_19identity_decomposerEEE10hipError_tT1_T2_T3_T4_jRjT5_jjP12ihipStream_tbEUlT_E_NS1_11comp_targetILNS1_3genE3ELNS1_11target_archE908ELNS1_3gpuE7ELNS1_3repE0EEENS1_44radix_sort_block_sort_config_static_selectorELNS0_4arch9wavefront6targetE1EEEvSD_
	.globl	_ZN7rocprim17ROCPRIM_400000_NS6detail17trampoline_kernelINS0_13kernel_configILj256ELj4ELj4294967295EEENS1_37radix_sort_block_sort_config_selectorIlNS0_10empty_typeEEEZNS1_21radix_sort_block_sortIS4_Lb1EPlS9_PS6_SA_NS0_19identity_decomposerEEE10hipError_tT1_T2_T3_T4_jRjT5_jjP12ihipStream_tbEUlT_E_NS1_11comp_targetILNS1_3genE3ELNS1_11target_archE908ELNS1_3gpuE7ELNS1_3repE0EEENS1_44radix_sort_block_sort_config_static_selectorELNS0_4arch9wavefront6targetE1EEEvSD_
	.p2align	8
	.type	_ZN7rocprim17ROCPRIM_400000_NS6detail17trampoline_kernelINS0_13kernel_configILj256ELj4ELj4294967295EEENS1_37radix_sort_block_sort_config_selectorIlNS0_10empty_typeEEEZNS1_21radix_sort_block_sortIS4_Lb1EPlS9_PS6_SA_NS0_19identity_decomposerEEE10hipError_tT1_T2_T3_T4_jRjT5_jjP12ihipStream_tbEUlT_E_NS1_11comp_targetILNS1_3genE3ELNS1_11target_archE908ELNS1_3gpuE7ELNS1_3repE0EEENS1_44radix_sort_block_sort_config_static_selectorELNS0_4arch9wavefront6targetE1EEEvSD_,@function
_ZN7rocprim17ROCPRIM_400000_NS6detail17trampoline_kernelINS0_13kernel_configILj256ELj4ELj4294967295EEENS1_37radix_sort_block_sort_config_selectorIlNS0_10empty_typeEEEZNS1_21radix_sort_block_sortIS4_Lb1EPlS9_PS6_SA_NS0_19identity_decomposerEEE10hipError_tT1_T2_T3_T4_jRjT5_jjP12ihipStream_tbEUlT_E_NS1_11comp_targetILNS1_3genE3ELNS1_11target_archE908ELNS1_3gpuE7ELNS1_3repE0EEENS1_44radix_sort_block_sort_config_static_selectorELNS0_4arch9wavefront6targetE1EEEvSD_: ; @_ZN7rocprim17ROCPRIM_400000_NS6detail17trampoline_kernelINS0_13kernel_configILj256ELj4ELj4294967295EEENS1_37radix_sort_block_sort_config_selectorIlNS0_10empty_typeEEEZNS1_21radix_sort_block_sortIS4_Lb1EPlS9_PS6_SA_NS0_19identity_decomposerEEE10hipError_tT1_T2_T3_T4_jRjT5_jjP12ihipStream_tbEUlT_E_NS1_11comp_targetILNS1_3genE3ELNS1_11target_archE908ELNS1_3gpuE7ELNS1_3repE0EEENS1_44radix_sort_block_sort_config_static_selectorELNS0_4arch9wavefront6targetE1EEEvSD_
; %bb.0:
	.section	.rodata,"a",@progbits
	.p2align	6, 0x0
	.amdhsa_kernel _ZN7rocprim17ROCPRIM_400000_NS6detail17trampoline_kernelINS0_13kernel_configILj256ELj4ELj4294967295EEENS1_37radix_sort_block_sort_config_selectorIlNS0_10empty_typeEEEZNS1_21radix_sort_block_sortIS4_Lb1EPlS9_PS6_SA_NS0_19identity_decomposerEEE10hipError_tT1_T2_T3_T4_jRjT5_jjP12ihipStream_tbEUlT_E_NS1_11comp_targetILNS1_3genE3ELNS1_11target_archE908ELNS1_3gpuE7ELNS1_3repE0EEENS1_44radix_sort_block_sort_config_static_selectorELNS0_4arch9wavefront6targetE1EEEvSD_
		.amdhsa_group_segment_fixed_size 0
		.amdhsa_private_segment_fixed_size 0
		.amdhsa_kernarg_size 48
		.amdhsa_user_sgpr_count 6
		.amdhsa_user_sgpr_private_segment_buffer 1
		.amdhsa_user_sgpr_dispatch_ptr 0
		.amdhsa_user_sgpr_queue_ptr 0
		.amdhsa_user_sgpr_kernarg_segment_ptr 1
		.amdhsa_user_sgpr_dispatch_id 0
		.amdhsa_user_sgpr_flat_scratch_init 0
		.amdhsa_user_sgpr_kernarg_preload_length 0
		.amdhsa_user_sgpr_kernarg_preload_offset 0
		.amdhsa_user_sgpr_private_segment_size 0
		.amdhsa_uses_dynamic_stack 0
		.amdhsa_system_sgpr_private_segment_wavefront_offset 0
		.amdhsa_system_sgpr_workgroup_id_x 1
		.amdhsa_system_sgpr_workgroup_id_y 0
		.amdhsa_system_sgpr_workgroup_id_z 0
		.amdhsa_system_sgpr_workgroup_info 0
		.amdhsa_system_vgpr_workitem_id 0
		.amdhsa_next_free_vgpr 1
		.amdhsa_next_free_sgpr 0
		.amdhsa_accum_offset 4
		.amdhsa_reserve_vcc 0
		.amdhsa_reserve_flat_scratch 0
		.amdhsa_float_round_mode_32 0
		.amdhsa_float_round_mode_16_64 0
		.amdhsa_float_denorm_mode_32 3
		.amdhsa_float_denorm_mode_16_64 3
		.amdhsa_dx10_clamp 1
		.amdhsa_ieee_mode 1
		.amdhsa_fp16_overflow 0
		.amdhsa_tg_split 0
		.amdhsa_exception_fp_ieee_invalid_op 0
		.amdhsa_exception_fp_denorm_src 0
		.amdhsa_exception_fp_ieee_div_zero 0
		.amdhsa_exception_fp_ieee_overflow 0
		.amdhsa_exception_fp_ieee_underflow 0
		.amdhsa_exception_fp_ieee_inexact 0
		.amdhsa_exception_int_div_zero 0
	.end_amdhsa_kernel
	.section	.text._ZN7rocprim17ROCPRIM_400000_NS6detail17trampoline_kernelINS0_13kernel_configILj256ELj4ELj4294967295EEENS1_37radix_sort_block_sort_config_selectorIlNS0_10empty_typeEEEZNS1_21radix_sort_block_sortIS4_Lb1EPlS9_PS6_SA_NS0_19identity_decomposerEEE10hipError_tT1_T2_T3_T4_jRjT5_jjP12ihipStream_tbEUlT_E_NS1_11comp_targetILNS1_3genE3ELNS1_11target_archE908ELNS1_3gpuE7ELNS1_3repE0EEENS1_44radix_sort_block_sort_config_static_selectorELNS0_4arch9wavefront6targetE1EEEvSD_,"axG",@progbits,_ZN7rocprim17ROCPRIM_400000_NS6detail17trampoline_kernelINS0_13kernel_configILj256ELj4ELj4294967295EEENS1_37radix_sort_block_sort_config_selectorIlNS0_10empty_typeEEEZNS1_21radix_sort_block_sortIS4_Lb1EPlS9_PS6_SA_NS0_19identity_decomposerEEE10hipError_tT1_T2_T3_T4_jRjT5_jjP12ihipStream_tbEUlT_E_NS1_11comp_targetILNS1_3genE3ELNS1_11target_archE908ELNS1_3gpuE7ELNS1_3repE0EEENS1_44radix_sort_block_sort_config_static_selectorELNS0_4arch9wavefront6targetE1EEEvSD_,comdat
.Lfunc_end2126:
	.size	_ZN7rocprim17ROCPRIM_400000_NS6detail17trampoline_kernelINS0_13kernel_configILj256ELj4ELj4294967295EEENS1_37radix_sort_block_sort_config_selectorIlNS0_10empty_typeEEEZNS1_21radix_sort_block_sortIS4_Lb1EPlS9_PS6_SA_NS0_19identity_decomposerEEE10hipError_tT1_T2_T3_T4_jRjT5_jjP12ihipStream_tbEUlT_E_NS1_11comp_targetILNS1_3genE3ELNS1_11target_archE908ELNS1_3gpuE7ELNS1_3repE0EEENS1_44radix_sort_block_sort_config_static_selectorELNS0_4arch9wavefront6targetE1EEEvSD_, .Lfunc_end2126-_ZN7rocprim17ROCPRIM_400000_NS6detail17trampoline_kernelINS0_13kernel_configILj256ELj4ELj4294967295EEENS1_37radix_sort_block_sort_config_selectorIlNS0_10empty_typeEEEZNS1_21radix_sort_block_sortIS4_Lb1EPlS9_PS6_SA_NS0_19identity_decomposerEEE10hipError_tT1_T2_T3_T4_jRjT5_jjP12ihipStream_tbEUlT_E_NS1_11comp_targetILNS1_3genE3ELNS1_11target_archE908ELNS1_3gpuE7ELNS1_3repE0EEENS1_44radix_sort_block_sort_config_static_selectorELNS0_4arch9wavefront6targetE1EEEvSD_
                                        ; -- End function
	.section	.AMDGPU.csdata,"",@progbits
; Kernel info:
; codeLenInByte = 0
; NumSgprs: 4
; NumVgprs: 0
; NumAgprs: 0
; TotalNumVgprs: 0
; ScratchSize: 0
; MemoryBound: 0
; FloatMode: 240
; IeeeMode: 1
; LDSByteSize: 0 bytes/workgroup (compile time only)
; SGPRBlocks: 0
; VGPRBlocks: 0
; NumSGPRsForWavesPerEU: 4
; NumVGPRsForWavesPerEU: 1
; AccumOffset: 4
; Occupancy: 8
; WaveLimiterHint : 0
; COMPUTE_PGM_RSRC2:SCRATCH_EN: 0
; COMPUTE_PGM_RSRC2:USER_SGPR: 6
; COMPUTE_PGM_RSRC2:TRAP_HANDLER: 0
; COMPUTE_PGM_RSRC2:TGID_X_EN: 1
; COMPUTE_PGM_RSRC2:TGID_Y_EN: 0
; COMPUTE_PGM_RSRC2:TGID_Z_EN: 0
; COMPUTE_PGM_RSRC2:TIDIG_COMP_CNT: 0
; COMPUTE_PGM_RSRC3_GFX90A:ACCUM_OFFSET: 0
; COMPUTE_PGM_RSRC3_GFX90A:TG_SPLIT: 0
	.section	.text._ZN7rocprim17ROCPRIM_400000_NS6detail17trampoline_kernelINS0_13kernel_configILj256ELj4ELj4294967295EEENS1_37radix_sort_block_sort_config_selectorIlNS0_10empty_typeEEEZNS1_21radix_sort_block_sortIS4_Lb1EPlS9_PS6_SA_NS0_19identity_decomposerEEE10hipError_tT1_T2_T3_T4_jRjT5_jjP12ihipStream_tbEUlT_E_NS1_11comp_targetILNS1_3genE2ELNS1_11target_archE906ELNS1_3gpuE6ELNS1_3repE0EEENS1_44radix_sort_block_sort_config_static_selectorELNS0_4arch9wavefront6targetE1EEEvSD_,"axG",@progbits,_ZN7rocprim17ROCPRIM_400000_NS6detail17trampoline_kernelINS0_13kernel_configILj256ELj4ELj4294967295EEENS1_37radix_sort_block_sort_config_selectorIlNS0_10empty_typeEEEZNS1_21radix_sort_block_sortIS4_Lb1EPlS9_PS6_SA_NS0_19identity_decomposerEEE10hipError_tT1_T2_T3_T4_jRjT5_jjP12ihipStream_tbEUlT_E_NS1_11comp_targetILNS1_3genE2ELNS1_11target_archE906ELNS1_3gpuE6ELNS1_3repE0EEENS1_44radix_sort_block_sort_config_static_selectorELNS0_4arch9wavefront6targetE1EEEvSD_,comdat
	.protected	_ZN7rocprim17ROCPRIM_400000_NS6detail17trampoline_kernelINS0_13kernel_configILj256ELj4ELj4294967295EEENS1_37radix_sort_block_sort_config_selectorIlNS0_10empty_typeEEEZNS1_21radix_sort_block_sortIS4_Lb1EPlS9_PS6_SA_NS0_19identity_decomposerEEE10hipError_tT1_T2_T3_T4_jRjT5_jjP12ihipStream_tbEUlT_E_NS1_11comp_targetILNS1_3genE2ELNS1_11target_archE906ELNS1_3gpuE6ELNS1_3repE0EEENS1_44radix_sort_block_sort_config_static_selectorELNS0_4arch9wavefront6targetE1EEEvSD_ ; -- Begin function _ZN7rocprim17ROCPRIM_400000_NS6detail17trampoline_kernelINS0_13kernel_configILj256ELj4ELj4294967295EEENS1_37radix_sort_block_sort_config_selectorIlNS0_10empty_typeEEEZNS1_21radix_sort_block_sortIS4_Lb1EPlS9_PS6_SA_NS0_19identity_decomposerEEE10hipError_tT1_T2_T3_T4_jRjT5_jjP12ihipStream_tbEUlT_E_NS1_11comp_targetILNS1_3genE2ELNS1_11target_archE906ELNS1_3gpuE6ELNS1_3repE0EEENS1_44radix_sort_block_sort_config_static_selectorELNS0_4arch9wavefront6targetE1EEEvSD_
	.globl	_ZN7rocprim17ROCPRIM_400000_NS6detail17trampoline_kernelINS0_13kernel_configILj256ELj4ELj4294967295EEENS1_37radix_sort_block_sort_config_selectorIlNS0_10empty_typeEEEZNS1_21radix_sort_block_sortIS4_Lb1EPlS9_PS6_SA_NS0_19identity_decomposerEEE10hipError_tT1_T2_T3_T4_jRjT5_jjP12ihipStream_tbEUlT_E_NS1_11comp_targetILNS1_3genE2ELNS1_11target_archE906ELNS1_3gpuE6ELNS1_3repE0EEENS1_44radix_sort_block_sort_config_static_selectorELNS0_4arch9wavefront6targetE1EEEvSD_
	.p2align	8
	.type	_ZN7rocprim17ROCPRIM_400000_NS6detail17trampoline_kernelINS0_13kernel_configILj256ELj4ELj4294967295EEENS1_37radix_sort_block_sort_config_selectorIlNS0_10empty_typeEEEZNS1_21radix_sort_block_sortIS4_Lb1EPlS9_PS6_SA_NS0_19identity_decomposerEEE10hipError_tT1_T2_T3_T4_jRjT5_jjP12ihipStream_tbEUlT_E_NS1_11comp_targetILNS1_3genE2ELNS1_11target_archE906ELNS1_3gpuE6ELNS1_3repE0EEENS1_44radix_sort_block_sort_config_static_selectorELNS0_4arch9wavefront6targetE1EEEvSD_,@function
_ZN7rocprim17ROCPRIM_400000_NS6detail17trampoline_kernelINS0_13kernel_configILj256ELj4ELj4294967295EEENS1_37radix_sort_block_sort_config_selectorIlNS0_10empty_typeEEEZNS1_21radix_sort_block_sortIS4_Lb1EPlS9_PS6_SA_NS0_19identity_decomposerEEE10hipError_tT1_T2_T3_T4_jRjT5_jjP12ihipStream_tbEUlT_E_NS1_11comp_targetILNS1_3genE2ELNS1_11target_archE906ELNS1_3gpuE6ELNS1_3repE0EEENS1_44radix_sort_block_sort_config_static_selectorELNS0_4arch9wavefront6targetE1EEEvSD_: ; @_ZN7rocprim17ROCPRIM_400000_NS6detail17trampoline_kernelINS0_13kernel_configILj256ELj4ELj4294967295EEENS1_37radix_sort_block_sort_config_selectorIlNS0_10empty_typeEEEZNS1_21radix_sort_block_sortIS4_Lb1EPlS9_PS6_SA_NS0_19identity_decomposerEEE10hipError_tT1_T2_T3_T4_jRjT5_jjP12ihipStream_tbEUlT_E_NS1_11comp_targetILNS1_3genE2ELNS1_11target_archE906ELNS1_3gpuE6ELNS1_3repE0EEENS1_44radix_sort_block_sort_config_static_selectorELNS0_4arch9wavefront6targetE1EEEvSD_
; %bb.0:
	.section	.rodata,"a",@progbits
	.p2align	6, 0x0
	.amdhsa_kernel _ZN7rocprim17ROCPRIM_400000_NS6detail17trampoline_kernelINS0_13kernel_configILj256ELj4ELj4294967295EEENS1_37radix_sort_block_sort_config_selectorIlNS0_10empty_typeEEEZNS1_21radix_sort_block_sortIS4_Lb1EPlS9_PS6_SA_NS0_19identity_decomposerEEE10hipError_tT1_T2_T3_T4_jRjT5_jjP12ihipStream_tbEUlT_E_NS1_11comp_targetILNS1_3genE2ELNS1_11target_archE906ELNS1_3gpuE6ELNS1_3repE0EEENS1_44radix_sort_block_sort_config_static_selectorELNS0_4arch9wavefront6targetE1EEEvSD_
		.amdhsa_group_segment_fixed_size 0
		.amdhsa_private_segment_fixed_size 0
		.amdhsa_kernarg_size 48
		.amdhsa_user_sgpr_count 6
		.amdhsa_user_sgpr_private_segment_buffer 1
		.amdhsa_user_sgpr_dispatch_ptr 0
		.amdhsa_user_sgpr_queue_ptr 0
		.amdhsa_user_sgpr_kernarg_segment_ptr 1
		.amdhsa_user_sgpr_dispatch_id 0
		.amdhsa_user_sgpr_flat_scratch_init 0
		.amdhsa_user_sgpr_kernarg_preload_length 0
		.amdhsa_user_sgpr_kernarg_preload_offset 0
		.amdhsa_user_sgpr_private_segment_size 0
		.amdhsa_uses_dynamic_stack 0
		.amdhsa_system_sgpr_private_segment_wavefront_offset 0
		.amdhsa_system_sgpr_workgroup_id_x 1
		.amdhsa_system_sgpr_workgroup_id_y 0
		.amdhsa_system_sgpr_workgroup_id_z 0
		.amdhsa_system_sgpr_workgroup_info 0
		.amdhsa_system_vgpr_workitem_id 0
		.amdhsa_next_free_vgpr 1
		.amdhsa_next_free_sgpr 0
		.amdhsa_accum_offset 4
		.amdhsa_reserve_vcc 0
		.amdhsa_reserve_flat_scratch 0
		.amdhsa_float_round_mode_32 0
		.amdhsa_float_round_mode_16_64 0
		.amdhsa_float_denorm_mode_32 3
		.amdhsa_float_denorm_mode_16_64 3
		.amdhsa_dx10_clamp 1
		.amdhsa_ieee_mode 1
		.amdhsa_fp16_overflow 0
		.amdhsa_tg_split 0
		.amdhsa_exception_fp_ieee_invalid_op 0
		.amdhsa_exception_fp_denorm_src 0
		.amdhsa_exception_fp_ieee_div_zero 0
		.amdhsa_exception_fp_ieee_overflow 0
		.amdhsa_exception_fp_ieee_underflow 0
		.amdhsa_exception_fp_ieee_inexact 0
		.amdhsa_exception_int_div_zero 0
	.end_amdhsa_kernel
	.section	.text._ZN7rocprim17ROCPRIM_400000_NS6detail17trampoline_kernelINS0_13kernel_configILj256ELj4ELj4294967295EEENS1_37radix_sort_block_sort_config_selectorIlNS0_10empty_typeEEEZNS1_21radix_sort_block_sortIS4_Lb1EPlS9_PS6_SA_NS0_19identity_decomposerEEE10hipError_tT1_T2_T3_T4_jRjT5_jjP12ihipStream_tbEUlT_E_NS1_11comp_targetILNS1_3genE2ELNS1_11target_archE906ELNS1_3gpuE6ELNS1_3repE0EEENS1_44radix_sort_block_sort_config_static_selectorELNS0_4arch9wavefront6targetE1EEEvSD_,"axG",@progbits,_ZN7rocprim17ROCPRIM_400000_NS6detail17trampoline_kernelINS0_13kernel_configILj256ELj4ELj4294967295EEENS1_37radix_sort_block_sort_config_selectorIlNS0_10empty_typeEEEZNS1_21radix_sort_block_sortIS4_Lb1EPlS9_PS6_SA_NS0_19identity_decomposerEEE10hipError_tT1_T2_T3_T4_jRjT5_jjP12ihipStream_tbEUlT_E_NS1_11comp_targetILNS1_3genE2ELNS1_11target_archE906ELNS1_3gpuE6ELNS1_3repE0EEENS1_44radix_sort_block_sort_config_static_selectorELNS0_4arch9wavefront6targetE1EEEvSD_,comdat
.Lfunc_end2127:
	.size	_ZN7rocprim17ROCPRIM_400000_NS6detail17trampoline_kernelINS0_13kernel_configILj256ELj4ELj4294967295EEENS1_37radix_sort_block_sort_config_selectorIlNS0_10empty_typeEEEZNS1_21radix_sort_block_sortIS4_Lb1EPlS9_PS6_SA_NS0_19identity_decomposerEEE10hipError_tT1_T2_T3_T4_jRjT5_jjP12ihipStream_tbEUlT_E_NS1_11comp_targetILNS1_3genE2ELNS1_11target_archE906ELNS1_3gpuE6ELNS1_3repE0EEENS1_44radix_sort_block_sort_config_static_selectorELNS0_4arch9wavefront6targetE1EEEvSD_, .Lfunc_end2127-_ZN7rocprim17ROCPRIM_400000_NS6detail17trampoline_kernelINS0_13kernel_configILj256ELj4ELj4294967295EEENS1_37radix_sort_block_sort_config_selectorIlNS0_10empty_typeEEEZNS1_21radix_sort_block_sortIS4_Lb1EPlS9_PS6_SA_NS0_19identity_decomposerEEE10hipError_tT1_T2_T3_T4_jRjT5_jjP12ihipStream_tbEUlT_E_NS1_11comp_targetILNS1_3genE2ELNS1_11target_archE906ELNS1_3gpuE6ELNS1_3repE0EEENS1_44radix_sort_block_sort_config_static_selectorELNS0_4arch9wavefront6targetE1EEEvSD_
                                        ; -- End function
	.section	.AMDGPU.csdata,"",@progbits
; Kernel info:
; codeLenInByte = 0
; NumSgprs: 4
; NumVgprs: 0
; NumAgprs: 0
; TotalNumVgprs: 0
; ScratchSize: 0
; MemoryBound: 0
; FloatMode: 240
; IeeeMode: 1
; LDSByteSize: 0 bytes/workgroup (compile time only)
; SGPRBlocks: 0
; VGPRBlocks: 0
; NumSGPRsForWavesPerEU: 4
; NumVGPRsForWavesPerEU: 1
; AccumOffset: 4
; Occupancy: 8
; WaveLimiterHint : 0
; COMPUTE_PGM_RSRC2:SCRATCH_EN: 0
; COMPUTE_PGM_RSRC2:USER_SGPR: 6
; COMPUTE_PGM_RSRC2:TRAP_HANDLER: 0
; COMPUTE_PGM_RSRC2:TGID_X_EN: 1
; COMPUTE_PGM_RSRC2:TGID_Y_EN: 0
; COMPUTE_PGM_RSRC2:TGID_Z_EN: 0
; COMPUTE_PGM_RSRC2:TIDIG_COMP_CNT: 0
; COMPUTE_PGM_RSRC3_GFX90A:ACCUM_OFFSET: 0
; COMPUTE_PGM_RSRC3_GFX90A:TG_SPLIT: 0
	.section	.text._ZN7rocprim17ROCPRIM_400000_NS6detail17trampoline_kernelINS0_13kernel_configILj256ELj4ELj4294967295EEENS1_37radix_sort_block_sort_config_selectorIlNS0_10empty_typeEEEZNS1_21radix_sort_block_sortIS4_Lb1EPlS9_PS6_SA_NS0_19identity_decomposerEEE10hipError_tT1_T2_T3_T4_jRjT5_jjP12ihipStream_tbEUlT_E_NS1_11comp_targetILNS1_3genE10ELNS1_11target_archE1201ELNS1_3gpuE5ELNS1_3repE0EEENS1_44radix_sort_block_sort_config_static_selectorELNS0_4arch9wavefront6targetE1EEEvSD_,"axG",@progbits,_ZN7rocprim17ROCPRIM_400000_NS6detail17trampoline_kernelINS0_13kernel_configILj256ELj4ELj4294967295EEENS1_37radix_sort_block_sort_config_selectorIlNS0_10empty_typeEEEZNS1_21radix_sort_block_sortIS4_Lb1EPlS9_PS6_SA_NS0_19identity_decomposerEEE10hipError_tT1_T2_T3_T4_jRjT5_jjP12ihipStream_tbEUlT_E_NS1_11comp_targetILNS1_3genE10ELNS1_11target_archE1201ELNS1_3gpuE5ELNS1_3repE0EEENS1_44radix_sort_block_sort_config_static_selectorELNS0_4arch9wavefront6targetE1EEEvSD_,comdat
	.protected	_ZN7rocprim17ROCPRIM_400000_NS6detail17trampoline_kernelINS0_13kernel_configILj256ELj4ELj4294967295EEENS1_37radix_sort_block_sort_config_selectorIlNS0_10empty_typeEEEZNS1_21radix_sort_block_sortIS4_Lb1EPlS9_PS6_SA_NS0_19identity_decomposerEEE10hipError_tT1_T2_T3_T4_jRjT5_jjP12ihipStream_tbEUlT_E_NS1_11comp_targetILNS1_3genE10ELNS1_11target_archE1201ELNS1_3gpuE5ELNS1_3repE0EEENS1_44radix_sort_block_sort_config_static_selectorELNS0_4arch9wavefront6targetE1EEEvSD_ ; -- Begin function _ZN7rocprim17ROCPRIM_400000_NS6detail17trampoline_kernelINS0_13kernel_configILj256ELj4ELj4294967295EEENS1_37radix_sort_block_sort_config_selectorIlNS0_10empty_typeEEEZNS1_21radix_sort_block_sortIS4_Lb1EPlS9_PS6_SA_NS0_19identity_decomposerEEE10hipError_tT1_T2_T3_T4_jRjT5_jjP12ihipStream_tbEUlT_E_NS1_11comp_targetILNS1_3genE10ELNS1_11target_archE1201ELNS1_3gpuE5ELNS1_3repE0EEENS1_44radix_sort_block_sort_config_static_selectorELNS0_4arch9wavefront6targetE1EEEvSD_
	.globl	_ZN7rocprim17ROCPRIM_400000_NS6detail17trampoline_kernelINS0_13kernel_configILj256ELj4ELj4294967295EEENS1_37radix_sort_block_sort_config_selectorIlNS0_10empty_typeEEEZNS1_21radix_sort_block_sortIS4_Lb1EPlS9_PS6_SA_NS0_19identity_decomposerEEE10hipError_tT1_T2_T3_T4_jRjT5_jjP12ihipStream_tbEUlT_E_NS1_11comp_targetILNS1_3genE10ELNS1_11target_archE1201ELNS1_3gpuE5ELNS1_3repE0EEENS1_44radix_sort_block_sort_config_static_selectorELNS0_4arch9wavefront6targetE1EEEvSD_
	.p2align	8
	.type	_ZN7rocprim17ROCPRIM_400000_NS6detail17trampoline_kernelINS0_13kernel_configILj256ELj4ELj4294967295EEENS1_37radix_sort_block_sort_config_selectorIlNS0_10empty_typeEEEZNS1_21radix_sort_block_sortIS4_Lb1EPlS9_PS6_SA_NS0_19identity_decomposerEEE10hipError_tT1_T2_T3_T4_jRjT5_jjP12ihipStream_tbEUlT_E_NS1_11comp_targetILNS1_3genE10ELNS1_11target_archE1201ELNS1_3gpuE5ELNS1_3repE0EEENS1_44radix_sort_block_sort_config_static_selectorELNS0_4arch9wavefront6targetE1EEEvSD_,@function
_ZN7rocprim17ROCPRIM_400000_NS6detail17trampoline_kernelINS0_13kernel_configILj256ELj4ELj4294967295EEENS1_37radix_sort_block_sort_config_selectorIlNS0_10empty_typeEEEZNS1_21radix_sort_block_sortIS4_Lb1EPlS9_PS6_SA_NS0_19identity_decomposerEEE10hipError_tT1_T2_T3_T4_jRjT5_jjP12ihipStream_tbEUlT_E_NS1_11comp_targetILNS1_3genE10ELNS1_11target_archE1201ELNS1_3gpuE5ELNS1_3repE0EEENS1_44radix_sort_block_sort_config_static_selectorELNS0_4arch9wavefront6targetE1EEEvSD_: ; @_ZN7rocprim17ROCPRIM_400000_NS6detail17trampoline_kernelINS0_13kernel_configILj256ELj4ELj4294967295EEENS1_37radix_sort_block_sort_config_selectorIlNS0_10empty_typeEEEZNS1_21radix_sort_block_sortIS4_Lb1EPlS9_PS6_SA_NS0_19identity_decomposerEEE10hipError_tT1_T2_T3_T4_jRjT5_jjP12ihipStream_tbEUlT_E_NS1_11comp_targetILNS1_3genE10ELNS1_11target_archE1201ELNS1_3gpuE5ELNS1_3repE0EEENS1_44radix_sort_block_sort_config_static_selectorELNS0_4arch9wavefront6targetE1EEEvSD_
; %bb.0:
	.section	.rodata,"a",@progbits
	.p2align	6, 0x0
	.amdhsa_kernel _ZN7rocprim17ROCPRIM_400000_NS6detail17trampoline_kernelINS0_13kernel_configILj256ELj4ELj4294967295EEENS1_37radix_sort_block_sort_config_selectorIlNS0_10empty_typeEEEZNS1_21radix_sort_block_sortIS4_Lb1EPlS9_PS6_SA_NS0_19identity_decomposerEEE10hipError_tT1_T2_T3_T4_jRjT5_jjP12ihipStream_tbEUlT_E_NS1_11comp_targetILNS1_3genE10ELNS1_11target_archE1201ELNS1_3gpuE5ELNS1_3repE0EEENS1_44radix_sort_block_sort_config_static_selectorELNS0_4arch9wavefront6targetE1EEEvSD_
		.amdhsa_group_segment_fixed_size 0
		.amdhsa_private_segment_fixed_size 0
		.amdhsa_kernarg_size 48
		.amdhsa_user_sgpr_count 6
		.amdhsa_user_sgpr_private_segment_buffer 1
		.amdhsa_user_sgpr_dispatch_ptr 0
		.amdhsa_user_sgpr_queue_ptr 0
		.amdhsa_user_sgpr_kernarg_segment_ptr 1
		.amdhsa_user_sgpr_dispatch_id 0
		.amdhsa_user_sgpr_flat_scratch_init 0
		.amdhsa_user_sgpr_kernarg_preload_length 0
		.amdhsa_user_sgpr_kernarg_preload_offset 0
		.amdhsa_user_sgpr_private_segment_size 0
		.amdhsa_uses_dynamic_stack 0
		.amdhsa_system_sgpr_private_segment_wavefront_offset 0
		.amdhsa_system_sgpr_workgroup_id_x 1
		.amdhsa_system_sgpr_workgroup_id_y 0
		.amdhsa_system_sgpr_workgroup_id_z 0
		.amdhsa_system_sgpr_workgroup_info 0
		.amdhsa_system_vgpr_workitem_id 0
		.amdhsa_next_free_vgpr 1
		.amdhsa_next_free_sgpr 0
		.amdhsa_accum_offset 4
		.amdhsa_reserve_vcc 0
		.amdhsa_reserve_flat_scratch 0
		.amdhsa_float_round_mode_32 0
		.amdhsa_float_round_mode_16_64 0
		.amdhsa_float_denorm_mode_32 3
		.amdhsa_float_denorm_mode_16_64 3
		.amdhsa_dx10_clamp 1
		.amdhsa_ieee_mode 1
		.amdhsa_fp16_overflow 0
		.amdhsa_tg_split 0
		.amdhsa_exception_fp_ieee_invalid_op 0
		.amdhsa_exception_fp_denorm_src 0
		.amdhsa_exception_fp_ieee_div_zero 0
		.amdhsa_exception_fp_ieee_overflow 0
		.amdhsa_exception_fp_ieee_underflow 0
		.amdhsa_exception_fp_ieee_inexact 0
		.amdhsa_exception_int_div_zero 0
	.end_amdhsa_kernel
	.section	.text._ZN7rocprim17ROCPRIM_400000_NS6detail17trampoline_kernelINS0_13kernel_configILj256ELj4ELj4294967295EEENS1_37radix_sort_block_sort_config_selectorIlNS0_10empty_typeEEEZNS1_21radix_sort_block_sortIS4_Lb1EPlS9_PS6_SA_NS0_19identity_decomposerEEE10hipError_tT1_T2_T3_T4_jRjT5_jjP12ihipStream_tbEUlT_E_NS1_11comp_targetILNS1_3genE10ELNS1_11target_archE1201ELNS1_3gpuE5ELNS1_3repE0EEENS1_44radix_sort_block_sort_config_static_selectorELNS0_4arch9wavefront6targetE1EEEvSD_,"axG",@progbits,_ZN7rocprim17ROCPRIM_400000_NS6detail17trampoline_kernelINS0_13kernel_configILj256ELj4ELj4294967295EEENS1_37radix_sort_block_sort_config_selectorIlNS0_10empty_typeEEEZNS1_21radix_sort_block_sortIS4_Lb1EPlS9_PS6_SA_NS0_19identity_decomposerEEE10hipError_tT1_T2_T3_T4_jRjT5_jjP12ihipStream_tbEUlT_E_NS1_11comp_targetILNS1_3genE10ELNS1_11target_archE1201ELNS1_3gpuE5ELNS1_3repE0EEENS1_44radix_sort_block_sort_config_static_selectorELNS0_4arch9wavefront6targetE1EEEvSD_,comdat
.Lfunc_end2128:
	.size	_ZN7rocprim17ROCPRIM_400000_NS6detail17trampoline_kernelINS0_13kernel_configILj256ELj4ELj4294967295EEENS1_37radix_sort_block_sort_config_selectorIlNS0_10empty_typeEEEZNS1_21radix_sort_block_sortIS4_Lb1EPlS9_PS6_SA_NS0_19identity_decomposerEEE10hipError_tT1_T2_T3_T4_jRjT5_jjP12ihipStream_tbEUlT_E_NS1_11comp_targetILNS1_3genE10ELNS1_11target_archE1201ELNS1_3gpuE5ELNS1_3repE0EEENS1_44radix_sort_block_sort_config_static_selectorELNS0_4arch9wavefront6targetE1EEEvSD_, .Lfunc_end2128-_ZN7rocprim17ROCPRIM_400000_NS6detail17trampoline_kernelINS0_13kernel_configILj256ELj4ELj4294967295EEENS1_37radix_sort_block_sort_config_selectorIlNS0_10empty_typeEEEZNS1_21radix_sort_block_sortIS4_Lb1EPlS9_PS6_SA_NS0_19identity_decomposerEEE10hipError_tT1_T2_T3_T4_jRjT5_jjP12ihipStream_tbEUlT_E_NS1_11comp_targetILNS1_3genE10ELNS1_11target_archE1201ELNS1_3gpuE5ELNS1_3repE0EEENS1_44radix_sort_block_sort_config_static_selectorELNS0_4arch9wavefront6targetE1EEEvSD_
                                        ; -- End function
	.section	.AMDGPU.csdata,"",@progbits
; Kernel info:
; codeLenInByte = 0
; NumSgprs: 4
; NumVgprs: 0
; NumAgprs: 0
; TotalNumVgprs: 0
; ScratchSize: 0
; MemoryBound: 0
; FloatMode: 240
; IeeeMode: 1
; LDSByteSize: 0 bytes/workgroup (compile time only)
; SGPRBlocks: 0
; VGPRBlocks: 0
; NumSGPRsForWavesPerEU: 4
; NumVGPRsForWavesPerEU: 1
; AccumOffset: 4
; Occupancy: 8
; WaveLimiterHint : 0
; COMPUTE_PGM_RSRC2:SCRATCH_EN: 0
; COMPUTE_PGM_RSRC2:USER_SGPR: 6
; COMPUTE_PGM_RSRC2:TRAP_HANDLER: 0
; COMPUTE_PGM_RSRC2:TGID_X_EN: 1
; COMPUTE_PGM_RSRC2:TGID_Y_EN: 0
; COMPUTE_PGM_RSRC2:TGID_Z_EN: 0
; COMPUTE_PGM_RSRC2:TIDIG_COMP_CNT: 0
; COMPUTE_PGM_RSRC3_GFX90A:ACCUM_OFFSET: 0
; COMPUTE_PGM_RSRC3_GFX90A:TG_SPLIT: 0
	.section	.text._ZN7rocprim17ROCPRIM_400000_NS6detail17trampoline_kernelINS0_13kernel_configILj256ELj4ELj4294967295EEENS1_37radix_sort_block_sort_config_selectorIlNS0_10empty_typeEEEZNS1_21radix_sort_block_sortIS4_Lb1EPlS9_PS6_SA_NS0_19identity_decomposerEEE10hipError_tT1_T2_T3_T4_jRjT5_jjP12ihipStream_tbEUlT_E_NS1_11comp_targetILNS1_3genE10ELNS1_11target_archE1200ELNS1_3gpuE4ELNS1_3repE0EEENS1_44radix_sort_block_sort_config_static_selectorELNS0_4arch9wavefront6targetE1EEEvSD_,"axG",@progbits,_ZN7rocprim17ROCPRIM_400000_NS6detail17trampoline_kernelINS0_13kernel_configILj256ELj4ELj4294967295EEENS1_37radix_sort_block_sort_config_selectorIlNS0_10empty_typeEEEZNS1_21radix_sort_block_sortIS4_Lb1EPlS9_PS6_SA_NS0_19identity_decomposerEEE10hipError_tT1_T2_T3_T4_jRjT5_jjP12ihipStream_tbEUlT_E_NS1_11comp_targetILNS1_3genE10ELNS1_11target_archE1200ELNS1_3gpuE4ELNS1_3repE0EEENS1_44radix_sort_block_sort_config_static_selectorELNS0_4arch9wavefront6targetE1EEEvSD_,comdat
	.protected	_ZN7rocprim17ROCPRIM_400000_NS6detail17trampoline_kernelINS0_13kernel_configILj256ELj4ELj4294967295EEENS1_37radix_sort_block_sort_config_selectorIlNS0_10empty_typeEEEZNS1_21radix_sort_block_sortIS4_Lb1EPlS9_PS6_SA_NS0_19identity_decomposerEEE10hipError_tT1_T2_T3_T4_jRjT5_jjP12ihipStream_tbEUlT_E_NS1_11comp_targetILNS1_3genE10ELNS1_11target_archE1200ELNS1_3gpuE4ELNS1_3repE0EEENS1_44radix_sort_block_sort_config_static_selectorELNS0_4arch9wavefront6targetE1EEEvSD_ ; -- Begin function _ZN7rocprim17ROCPRIM_400000_NS6detail17trampoline_kernelINS0_13kernel_configILj256ELj4ELj4294967295EEENS1_37radix_sort_block_sort_config_selectorIlNS0_10empty_typeEEEZNS1_21radix_sort_block_sortIS4_Lb1EPlS9_PS6_SA_NS0_19identity_decomposerEEE10hipError_tT1_T2_T3_T4_jRjT5_jjP12ihipStream_tbEUlT_E_NS1_11comp_targetILNS1_3genE10ELNS1_11target_archE1200ELNS1_3gpuE4ELNS1_3repE0EEENS1_44radix_sort_block_sort_config_static_selectorELNS0_4arch9wavefront6targetE1EEEvSD_
	.globl	_ZN7rocprim17ROCPRIM_400000_NS6detail17trampoline_kernelINS0_13kernel_configILj256ELj4ELj4294967295EEENS1_37radix_sort_block_sort_config_selectorIlNS0_10empty_typeEEEZNS1_21radix_sort_block_sortIS4_Lb1EPlS9_PS6_SA_NS0_19identity_decomposerEEE10hipError_tT1_T2_T3_T4_jRjT5_jjP12ihipStream_tbEUlT_E_NS1_11comp_targetILNS1_3genE10ELNS1_11target_archE1200ELNS1_3gpuE4ELNS1_3repE0EEENS1_44radix_sort_block_sort_config_static_selectorELNS0_4arch9wavefront6targetE1EEEvSD_
	.p2align	8
	.type	_ZN7rocprim17ROCPRIM_400000_NS6detail17trampoline_kernelINS0_13kernel_configILj256ELj4ELj4294967295EEENS1_37radix_sort_block_sort_config_selectorIlNS0_10empty_typeEEEZNS1_21radix_sort_block_sortIS4_Lb1EPlS9_PS6_SA_NS0_19identity_decomposerEEE10hipError_tT1_T2_T3_T4_jRjT5_jjP12ihipStream_tbEUlT_E_NS1_11comp_targetILNS1_3genE10ELNS1_11target_archE1200ELNS1_3gpuE4ELNS1_3repE0EEENS1_44radix_sort_block_sort_config_static_selectorELNS0_4arch9wavefront6targetE1EEEvSD_,@function
_ZN7rocprim17ROCPRIM_400000_NS6detail17trampoline_kernelINS0_13kernel_configILj256ELj4ELj4294967295EEENS1_37radix_sort_block_sort_config_selectorIlNS0_10empty_typeEEEZNS1_21radix_sort_block_sortIS4_Lb1EPlS9_PS6_SA_NS0_19identity_decomposerEEE10hipError_tT1_T2_T3_T4_jRjT5_jjP12ihipStream_tbEUlT_E_NS1_11comp_targetILNS1_3genE10ELNS1_11target_archE1200ELNS1_3gpuE4ELNS1_3repE0EEENS1_44radix_sort_block_sort_config_static_selectorELNS0_4arch9wavefront6targetE1EEEvSD_: ; @_ZN7rocprim17ROCPRIM_400000_NS6detail17trampoline_kernelINS0_13kernel_configILj256ELj4ELj4294967295EEENS1_37radix_sort_block_sort_config_selectorIlNS0_10empty_typeEEEZNS1_21radix_sort_block_sortIS4_Lb1EPlS9_PS6_SA_NS0_19identity_decomposerEEE10hipError_tT1_T2_T3_T4_jRjT5_jjP12ihipStream_tbEUlT_E_NS1_11comp_targetILNS1_3genE10ELNS1_11target_archE1200ELNS1_3gpuE4ELNS1_3repE0EEENS1_44radix_sort_block_sort_config_static_selectorELNS0_4arch9wavefront6targetE1EEEvSD_
; %bb.0:
	.section	.rodata,"a",@progbits
	.p2align	6, 0x0
	.amdhsa_kernel _ZN7rocprim17ROCPRIM_400000_NS6detail17trampoline_kernelINS0_13kernel_configILj256ELj4ELj4294967295EEENS1_37radix_sort_block_sort_config_selectorIlNS0_10empty_typeEEEZNS1_21radix_sort_block_sortIS4_Lb1EPlS9_PS6_SA_NS0_19identity_decomposerEEE10hipError_tT1_T2_T3_T4_jRjT5_jjP12ihipStream_tbEUlT_E_NS1_11comp_targetILNS1_3genE10ELNS1_11target_archE1200ELNS1_3gpuE4ELNS1_3repE0EEENS1_44radix_sort_block_sort_config_static_selectorELNS0_4arch9wavefront6targetE1EEEvSD_
		.amdhsa_group_segment_fixed_size 0
		.amdhsa_private_segment_fixed_size 0
		.amdhsa_kernarg_size 48
		.amdhsa_user_sgpr_count 6
		.amdhsa_user_sgpr_private_segment_buffer 1
		.amdhsa_user_sgpr_dispatch_ptr 0
		.amdhsa_user_sgpr_queue_ptr 0
		.amdhsa_user_sgpr_kernarg_segment_ptr 1
		.amdhsa_user_sgpr_dispatch_id 0
		.amdhsa_user_sgpr_flat_scratch_init 0
		.amdhsa_user_sgpr_kernarg_preload_length 0
		.amdhsa_user_sgpr_kernarg_preload_offset 0
		.amdhsa_user_sgpr_private_segment_size 0
		.amdhsa_uses_dynamic_stack 0
		.amdhsa_system_sgpr_private_segment_wavefront_offset 0
		.amdhsa_system_sgpr_workgroup_id_x 1
		.amdhsa_system_sgpr_workgroup_id_y 0
		.amdhsa_system_sgpr_workgroup_id_z 0
		.amdhsa_system_sgpr_workgroup_info 0
		.amdhsa_system_vgpr_workitem_id 0
		.amdhsa_next_free_vgpr 1
		.amdhsa_next_free_sgpr 0
		.amdhsa_accum_offset 4
		.amdhsa_reserve_vcc 0
		.amdhsa_reserve_flat_scratch 0
		.amdhsa_float_round_mode_32 0
		.amdhsa_float_round_mode_16_64 0
		.amdhsa_float_denorm_mode_32 3
		.amdhsa_float_denorm_mode_16_64 3
		.amdhsa_dx10_clamp 1
		.amdhsa_ieee_mode 1
		.amdhsa_fp16_overflow 0
		.amdhsa_tg_split 0
		.amdhsa_exception_fp_ieee_invalid_op 0
		.amdhsa_exception_fp_denorm_src 0
		.amdhsa_exception_fp_ieee_div_zero 0
		.amdhsa_exception_fp_ieee_overflow 0
		.amdhsa_exception_fp_ieee_underflow 0
		.amdhsa_exception_fp_ieee_inexact 0
		.amdhsa_exception_int_div_zero 0
	.end_amdhsa_kernel
	.section	.text._ZN7rocprim17ROCPRIM_400000_NS6detail17trampoline_kernelINS0_13kernel_configILj256ELj4ELj4294967295EEENS1_37radix_sort_block_sort_config_selectorIlNS0_10empty_typeEEEZNS1_21radix_sort_block_sortIS4_Lb1EPlS9_PS6_SA_NS0_19identity_decomposerEEE10hipError_tT1_T2_T3_T4_jRjT5_jjP12ihipStream_tbEUlT_E_NS1_11comp_targetILNS1_3genE10ELNS1_11target_archE1200ELNS1_3gpuE4ELNS1_3repE0EEENS1_44radix_sort_block_sort_config_static_selectorELNS0_4arch9wavefront6targetE1EEEvSD_,"axG",@progbits,_ZN7rocprim17ROCPRIM_400000_NS6detail17trampoline_kernelINS0_13kernel_configILj256ELj4ELj4294967295EEENS1_37radix_sort_block_sort_config_selectorIlNS0_10empty_typeEEEZNS1_21radix_sort_block_sortIS4_Lb1EPlS9_PS6_SA_NS0_19identity_decomposerEEE10hipError_tT1_T2_T3_T4_jRjT5_jjP12ihipStream_tbEUlT_E_NS1_11comp_targetILNS1_3genE10ELNS1_11target_archE1200ELNS1_3gpuE4ELNS1_3repE0EEENS1_44radix_sort_block_sort_config_static_selectorELNS0_4arch9wavefront6targetE1EEEvSD_,comdat
.Lfunc_end2129:
	.size	_ZN7rocprim17ROCPRIM_400000_NS6detail17trampoline_kernelINS0_13kernel_configILj256ELj4ELj4294967295EEENS1_37radix_sort_block_sort_config_selectorIlNS0_10empty_typeEEEZNS1_21radix_sort_block_sortIS4_Lb1EPlS9_PS6_SA_NS0_19identity_decomposerEEE10hipError_tT1_T2_T3_T4_jRjT5_jjP12ihipStream_tbEUlT_E_NS1_11comp_targetILNS1_3genE10ELNS1_11target_archE1200ELNS1_3gpuE4ELNS1_3repE0EEENS1_44radix_sort_block_sort_config_static_selectorELNS0_4arch9wavefront6targetE1EEEvSD_, .Lfunc_end2129-_ZN7rocprim17ROCPRIM_400000_NS6detail17trampoline_kernelINS0_13kernel_configILj256ELj4ELj4294967295EEENS1_37radix_sort_block_sort_config_selectorIlNS0_10empty_typeEEEZNS1_21radix_sort_block_sortIS4_Lb1EPlS9_PS6_SA_NS0_19identity_decomposerEEE10hipError_tT1_T2_T3_T4_jRjT5_jjP12ihipStream_tbEUlT_E_NS1_11comp_targetILNS1_3genE10ELNS1_11target_archE1200ELNS1_3gpuE4ELNS1_3repE0EEENS1_44radix_sort_block_sort_config_static_selectorELNS0_4arch9wavefront6targetE1EEEvSD_
                                        ; -- End function
	.section	.AMDGPU.csdata,"",@progbits
; Kernel info:
; codeLenInByte = 0
; NumSgprs: 4
; NumVgprs: 0
; NumAgprs: 0
; TotalNumVgprs: 0
; ScratchSize: 0
; MemoryBound: 0
; FloatMode: 240
; IeeeMode: 1
; LDSByteSize: 0 bytes/workgroup (compile time only)
; SGPRBlocks: 0
; VGPRBlocks: 0
; NumSGPRsForWavesPerEU: 4
; NumVGPRsForWavesPerEU: 1
; AccumOffset: 4
; Occupancy: 8
; WaveLimiterHint : 0
; COMPUTE_PGM_RSRC2:SCRATCH_EN: 0
; COMPUTE_PGM_RSRC2:USER_SGPR: 6
; COMPUTE_PGM_RSRC2:TRAP_HANDLER: 0
; COMPUTE_PGM_RSRC2:TGID_X_EN: 1
; COMPUTE_PGM_RSRC2:TGID_Y_EN: 0
; COMPUTE_PGM_RSRC2:TGID_Z_EN: 0
; COMPUTE_PGM_RSRC2:TIDIG_COMP_CNT: 0
; COMPUTE_PGM_RSRC3_GFX90A:ACCUM_OFFSET: 0
; COMPUTE_PGM_RSRC3_GFX90A:TG_SPLIT: 0
	.section	.text._ZN7rocprim17ROCPRIM_400000_NS6detail17trampoline_kernelINS0_13kernel_configILj256ELj4ELj4294967295EEENS1_37radix_sort_block_sort_config_selectorIlNS0_10empty_typeEEEZNS1_21radix_sort_block_sortIS4_Lb1EPlS9_PS6_SA_NS0_19identity_decomposerEEE10hipError_tT1_T2_T3_T4_jRjT5_jjP12ihipStream_tbEUlT_E_NS1_11comp_targetILNS1_3genE9ELNS1_11target_archE1100ELNS1_3gpuE3ELNS1_3repE0EEENS1_44radix_sort_block_sort_config_static_selectorELNS0_4arch9wavefront6targetE1EEEvSD_,"axG",@progbits,_ZN7rocprim17ROCPRIM_400000_NS6detail17trampoline_kernelINS0_13kernel_configILj256ELj4ELj4294967295EEENS1_37radix_sort_block_sort_config_selectorIlNS0_10empty_typeEEEZNS1_21radix_sort_block_sortIS4_Lb1EPlS9_PS6_SA_NS0_19identity_decomposerEEE10hipError_tT1_T2_T3_T4_jRjT5_jjP12ihipStream_tbEUlT_E_NS1_11comp_targetILNS1_3genE9ELNS1_11target_archE1100ELNS1_3gpuE3ELNS1_3repE0EEENS1_44radix_sort_block_sort_config_static_selectorELNS0_4arch9wavefront6targetE1EEEvSD_,comdat
	.protected	_ZN7rocprim17ROCPRIM_400000_NS6detail17trampoline_kernelINS0_13kernel_configILj256ELj4ELj4294967295EEENS1_37radix_sort_block_sort_config_selectorIlNS0_10empty_typeEEEZNS1_21radix_sort_block_sortIS4_Lb1EPlS9_PS6_SA_NS0_19identity_decomposerEEE10hipError_tT1_T2_T3_T4_jRjT5_jjP12ihipStream_tbEUlT_E_NS1_11comp_targetILNS1_3genE9ELNS1_11target_archE1100ELNS1_3gpuE3ELNS1_3repE0EEENS1_44radix_sort_block_sort_config_static_selectorELNS0_4arch9wavefront6targetE1EEEvSD_ ; -- Begin function _ZN7rocprim17ROCPRIM_400000_NS6detail17trampoline_kernelINS0_13kernel_configILj256ELj4ELj4294967295EEENS1_37radix_sort_block_sort_config_selectorIlNS0_10empty_typeEEEZNS1_21radix_sort_block_sortIS4_Lb1EPlS9_PS6_SA_NS0_19identity_decomposerEEE10hipError_tT1_T2_T3_T4_jRjT5_jjP12ihipStream_tbEUlT_E_NS1_11comp_targetILNS1_3genE9ELNS1_11target_archE1100ELNS1_3gpuE3ELNS1_3repE0EEENS1_44radix_sort_block_sort_config_static_selectorELNS0_4arch9wavefront6targetE1EEEvSD_
	.globl	_ZN7rocprim17ROCPRIM_400000_NS6detail17trampoline_kernelINS0_13kernel_configILj256ELj4ELj4294967295EEENS1_37radix_sort_block_sort_config_selectorIlNS0_10empty_typeEEEZNS1_21radix_sort_block_sortIS4_Lb1EPlS9_PS6_SA_NS0_19identity_decomposerEEE10hipError_tT1_T2_T3_T4_jRjT5_jjP12ihipStream_tbEUlT_E_NS1_11comp_targetILNS1_3genE9ELNS1_11target_archE1100ELNS1_3gpuE3ELNS1_3repE0EEENS1_44radix_sort_block_sort_config_static_selectorELNS0_4arch9wavefront6targetE1EEEvSD_
	.p2align	8
	.type	_ZN7rocprim17ROCPRIM_400000_NS6detail17trampoline_kernelINS0_13kernel_configILj256ELj4ELj4294967295EEENS1_37radix_sort_block_sort_config_selectorIlNS0_10empty_typeEEEZNS1_21radix_sort_block_sortIS4_Lb1EPlS9_PS6_SA_NS0_19identity_decomposerEEE10hipError_tT1_T2_T3_T4_jRjT5_jjP12ihipStream_tbEUlT_E_NS1_11comp_targetILNS1_3genE9ELNS1_11target_archE1100ELNS1_3gpuE3ELNS1_3repE0EEENS1_44radix_sort_block_sort_config_static_selectorELNS0_4arch9wavefront6targetE1EEEvSD_,@function
_ZN7rocprim17ROCPRIM_400000_NS6detail17trampoline_kernelINS0_13kernel_configILj256ELj4ELj4294967295EEENS1_37radix_sort_block_sort_config_selectorIlNS0_10empty_typeEEEZNS1_21radix_sort_block_sortIS4_Lb1EPlS9_PS6_SA_NS0_19identity_decomposerEEE10hipError_tT1_T2_T3_T4_jRjT5_jjP12ihipStream_tbEUlT_E_NS1_11comp_targetILNS1_3genE9ELNS1_11target_archE1100ELNS1_3gpuE3ELNS1_3repE0EEENS1_44radix_sort_block_sort_config_static_selectorELNS0_4arch9wavefront6targetE1EEEvSD_: ; @_ZN7rocprim17ROCPRIM_400000_NS6detail17trampoline_kernelINS0_13kernel_configILj256ELj4ELj4294967295EEENS1_37radix_sort_block_sort_config_selectorIlNS0_10empty_typeEEEZNS1_21radix_sort_block_sortIS4_Lb1EPlS9_PS6_SA_NS0_19identity_decomposerEEE10hipError_tT1_T2_T3_T4_jRjT5_jjP12ihipStream_tbEUlT_E_NS1_11comp_targetILNS1_3genE9ELNS1_11target_archE1100ELNS1_3gpuE3ELNS1_3repE0EEENS1_44radix_sort_block_sort_config_static_selectorELNS0_4arch9wavefront6targetE1EEEvSD_
; %bb.0:
	.section	.rodata,"a",@progbits
	.p2align	6, 0x0
	.amdhsa_kernel _ZN7rocprim17ROCPRIM_400000_NS6detail17trampoline_kernelINS0_13kernel_configILj256ELj4ELj4294967295EEENS1_37radix_sort_block_sort_config_selectorIlNS0_10empty_typeEEEZNS1_21radix_sort_block_sortIS4_Lb1EPlS9_PS6_SA_NS0_19identity_decomposerEEE10hipError_tT1_T2_T3_T4_jRjT5_jjP12ihipStream_tbEUlT_E_NS1_11comp_targetILNS1_3genE9ELNS1_11target_archE1100ELNS1_3gpuE3ELNS1_3repE0EEENS1_44radix_sort_block_sort_config_static_selectorELNS0_4arch9wavefront6targetE1EEEvSD_
		.amdhsa_group_segment_fixed_size 0
		.amdhsa_private_segment_fixed_size 0
		.amdhsa_kernarg_size 48
		.amdhsa_user_sgpr_count 6
		.amdhsa_user_sgpr_private_segment_buffer 1
		.amdhsa_user_sgpr_dispatch_ptr 0
		.amdhsa_user_sgpr_queue_ptr 0
		.amdhsa_user_sgpr_kernarg_segment_ptr 1
		.amdhsa_user_sgpr_dispatch_id 0
		.amdhsa_user_sgpr_flat_scratch_init 0
		.amdhsa_user_sgpr_kernarg_preload_length 0
		.amdhsa_user_sgpr_kernarg_preload_offset 0
		.amdhsa_user_sgpr_private_segment_size 0
		.amdhsa_uses_dynamic_stack 0
		.amdhsa_system_sgpr_private_segment_wavefront_offset 0
		.amdhsa_system_sgpr_workgroup_id_x 1
		.amdhsa_system_sgpr_workgroup_id_y 0
		.amdhsa_system_sgpr_workgroup_id_z 0
		.amdhsa_system_sgpr_workgroup_info 0
		.amdhsa_system_vgpr_workitem_id 0
		.amdhsa_next_free_vgpr 1
		.amdhsa_next_free_sgpr 0
		.amdhsa_accum_offset 4
		.amdhsa_reserve_vcc 0
		.amdhsa_reserve_flat_scratch 0
		.amdhsa_float_round_mode_32 0
		.amdhsa_float_round_mode_16_64 0
		.amdhsa_float_denorm_mode_32 3
		.amdhsa_float_denorm_mode_16_64 3
		.amdhsa_dx10_clamp 1
		.amdhsa_ieee_mode 1
		.amdhsa_fp16_overflow 0
		.amdhsa_tg_split 0
		.amdhsa_exception_fp_ieee_invalid_op 0
		.amdhsa_exception_fp_denorm_src 0
		.amdhsa_exception_fp_ieee_div_zero 0
		.amdhsa_exception_fp_ieee_overflow 0
		.amdhsa_exception_fp_ieee_underflow 0
		.amdhsa_exception_fp_ieee_inexact 0
		.amdhsa_exception_int_div_zero 0
	.end_amdhsa_kernel
	.section	.text._ZN7rocprim17ROCPRIM_400000_NS6detail17trampoline_kernelINS0_13kernel_configILj256ELj4ELj4294967295EEENS1_37radix_sort_block_sort_config_selectorIlNS0_10empty_typeEEEZNS1_21radix_sort_block_sortIS4_Lb1EPlS9_PS6_SA_NS0_19identity_decomposerEEE10hipError_tT1_T2_T3_T4_jRjT5_jjP12ihipStream_tbEUlT_E_NS1_11comp_targetILNS1_3genE9ELNS1_11target_archE1100ELNS1_3gpuE3ELNS1_3repE0EEENS1_44radix_sort_block_sort_config_static_selectorELNS0_4arch9wavefront6targetE1EEEvSD_,"axG",@progbits,_ZN7rocprim17ROCPRIM_400000_NS6detail17trampoline_kernelINS0_13kernel_configILj256ELj4ELj4294967295EEENS1_37radix_sort_block_sort_config_selectorIlNS0_10empty_typeEEEZNS1_21radix_sort_block_sortIS4_Lb1EPlS9_PS6_SA_NS0_19identity_decomposerEEE10hipError_tT1_T2_T3_T4_jRjT5_jjP12ihipStream_tbEUlT_E_NS1_11comp_targetILNS1_3genE9ELNS1_11target_archE1100ELNS1_3gpuE3ELNS1_3repE0EEENS1_44radix_sort_block_sort_config_static_selectorELNS0_4arch9wavefront6targetE1EEEvSD_,comdat
.Lfunc_end2130:
	.size	_ZN7rocprim17ROCPRIM_400000_NS6detail17trampoline_kernelINS0_13kernel_configILj256ELj4ELj4294967295EEENS1_37radix_sort_block_sort_config_selectorIlNS0_10empty_typeEEEZNS1_21radix_sort_block_sortIS4_Lb1EPlS9_PS6_SA_NS0_19identity_decomposerEEE10hipError_tT1_T2_T3_T4_jRjT5_jjP12ihipStream_tbEUlT_E_NS1_11comp_targetILNS1_3genE9ELNS1_11target_archE1100ELNS1_3gpuE3ELNS1_3repE0EEENS1_44radix_sort_block_sort_config_static_selectorELNS0_4arch9wavefront6targetE1EEEvSD_, .Lfunc_end2130-_ZN7rocprim17ROCPRIM_400000_NS6detail17trampoline_kernelINS0_13kernel_configILj256ELj4ELj4294967295EEENS1_37radix_sort_block_sort_config_selectorIlNS0_10empty_typeEEEZNS1_21radix_sort_block_sortIS4_Lb1EPlS9_PS6_SA_NS0_19identity_decomposerEEE10hipError_tT1_T2_T3_T4_jRjT5_jjP12ihipStream_tbEUlT_E_NS1_11comp_targetILNS1_3genE9ELNS1_11target_archE1100ELNS1_3gpuE3ELNS1_3repE0EEENS1_44radix_sort_block_sort_config_static_selectorELNS0_4arch9wavefront6targetE1EEEvSD_
                                        ; -- End function
	.section	.AMDGPU.csdata,"",@progbits
; Kernel info:
; codeLenInByte = 0
; NumSgprs: 4
; NumVgprs: 0
; NumAgprs: 0
; TotalNumVgprs: 0
; ScratchSize: 0
; MemoryBound: 0
; FloatMode: 240
; IeeeMode: 1
; LDSByteSize: 0 bytes/workgroup (compile time only)
; SGPRBlocks: 0
; VGPRBlocks: 0
; NumSGPRsForWavesPerEU: 4
; NumVGPRsForWavesPerEU: 1
; AccumOffset: 4
; Occupancy: 8
; WaveLimiterHint : 0
; COMPUTE_PGM_RSRC2:SCRATCH_EN: 0
; COMPUTE_PGM_RSRC2:USER_SGPR: 6
; COMPUTE_PGM_RSRC2:TRAP_HANDLER: 0
; COMPUTE_PGM_RSRC2:TGID_X_EN: 1
; COMPUTE_PGM_RSRC2:TGID_Y_EN: 0
; COMPUTE_PGM_RSRC2:TGID_Z_EN: 0
; COMPUTE_PGM_RSRC2:TIDIG_COMP_CNT: 0
; COMPUTE_PGM_RSRC3_GFX90A:ACCUM_OFFSET: 0
; COMPUTE_PGM_RSRC3_GFX90A:TG_SPLIT: 0
	.section	.text._ZN7rocprim17ROCPRIM_400000_NS6detail17trampoline_kernelINS0_13kernel_configILj256ELj4ELj4294967295EEENS1_37radix_sort_block_sort_config_selectorIlNS0_10empty_typeEEEZNS1_21radix_sort_block_sortIS4_Lb1EPlS9_PS6_SA_NS0_19identity_decomposerEEE10hipError_tT1_T2_T3_T4_jRjT5_jjP12ihipStream_tbEUlT_E_NS1_11comp_targetILNS1_3genE8ELNS1_11target_archE1030ELNS1_3gpuE2ELNS1_3repE0EEENS1_44radix_sort_block_sort_config_static_selectorELNS0_4arch9wavefront6targetE1EEEvSD_,"axG",@progbits,_ZN7rocprim17ROCPRIM_400000_NS6detail17trampoline_kernelINS0_13kernel_configILj256ELj4ELj4294967295EEENS1_37radix_sort_block_sort_config_selectorIlNS0_10empty_typeEEEZNS1_21radix_sort_block_sortIS4_Lb1EPlS9_PS6_SA_NS0_19identity_decomposerEEE10hipError_tT1_T2_T3_T4_jRjT5_jjP12ihipStream_tbEUlT_E_NS1_11comp_targetILNS1_3genE8ELNS1_11target_archE1030ELNS1_3gpuE2ELNS1_3repE0EEENS1_44radix_sort_block_sort_config_static_selectorELNS0_4arch9wavefront6targetE1EEEvSD_,comdat
	.protected	_ZN7rocprim17ROCPRIM_400000_NS6detail17trampoline_kernelINS0_13kernel_configILj256ELj4ELj4294967295EEENS1_37radix_sort_block_sort_config_selectorIlNS0_10empty_typeEEEZNS1_21radix_sort_block_sortIS4_Lb1EPlS9_PS6_SA_NS0_19identity_decomposerEEE10hipError_tT1_T2_T3_T4_jRjT5_jjP12ihipStream_tbEUlT_E_NS1_11comp_targetILNS1_3genE8ELNS1_11target_archE1030ELNS1_3gpuE2ELNS1_3repE0EEENS1_44radix_sort_block_sort_config_static_selectorELNS0_4arch9wavefront6targetE1EEEvSD_ ; -- Begin function _ZN7rocprim17ROCPRIM_400000_NS6detail17trampoline_kernelINS0_13kernel_configILj256ELj4ELj4294967295EEENS1_37radix_sort_block_sort_config_selectorIlNS0_10empty_typeEEEZNS1_21radix_sort_block_sortIS4_Lb1EPlS9_PS6_SA_NS0_19identity_decomposerEEE10hipError_tT1_T2_T3_T4_jRjT5_jjP12ihipStream_tbEUlT_E_NS1_11comp_targetILNS1_3genE8ELNS1_11target_archE1030ELNS1_3gpuE2ELNS1_3repE0EEENS1_44radix_sort_block_sort_config_static_selectorELNS0_4arch9wavefront6targetE1EEEvSD_
	.globl	_ZN7rocprim17ROCPRIM_400000_NS6detail17trampoline_kernelINS0_13kernel_configILj256ELj4ELj4294967295EEENS1_37radix_sort_block_sort_config_selectorIlNS0_10empty_typeEEEZNS1_21radix_sort_block_sortIS4_Lb1EPlS9_PS6_SA_NS0_19identity_decomposerEEE10hipError_tT1_T2_T3_T4_jRjT5_jjP12ihipStream_tbEUlT_E_NS1_11comp_targetILNS1_3genE8ELNS1_11target_archE1030ELNS1_3gpuE2ELNS1_3repE0EEENS1_44radix_sort_block_sort_config_static_selectorELNS0_4arch9wavefront6targetE1EEEvSD_
	.p2align	8
	.type	_ZN7rocprim17ROCPRIM_400000_NS6detail17trampoline_kernelINS0_13kernel_configILj256ELj4ELj4294967295EEENS1_37radix_sort_block_sort_config_selectorIlNS0_10empty_typeEEEZNS1_21radix_sort_block_sortIS4_Lb1EPlS9_PS6_SA_NS0_19identity_decomposerEEE10hipError_tT1_T2_T3_T4_jRjT5_jjP12ihipStream_tbEUlT_E_NS1_11comp_targetILNS1_3genE8ELNS1_11target_archE1030ELNS1_3gpuE2ELNS1_3repE0EEENS1_44radix_sort_block_sort_config_static_selectorELNS0_4arch9wavefront6targetE1EEEvSD_,@function
_ZN7rocprim17ROCPRIM_400000_NS6detail17trampoline_kernelINS0_13kernel_configILj256ELj4ELj4294967295EEENS1_37radix_sort_block_sort_config_selectorIlNS0_10empty_typeEEEZNS1_21radix_sort_block_sortIS4_Lb1EPlS9_PS6_SA_NS0_19identity_decomposerEEE10hipError_tT1_T2_T3_T4_jRjT5_jjP12ihipStream_tbEUlT_E_NS1_11comp_targetILNS1_3genE8ELNS1_11target_archE1030ELNS1_3gpuE2ELNS1_3repE0EEENS1_44radix_sort_block_sort_config_static_selectorELNS0_4arch9wavefront6targetE1EEEvSD_: ; @_ZN7rocprim17ROCPRIM_400000_NS6detail17trampoline_kernelINS0_13kernel_configILj256ELj4ELj4294967295EEENS1_37radix_sort_block_sort_config_selectorIlNS0_10empty_typeEEEZNS1_21radix_sort_block_sortIS4_Lb1EPlS9_PS6_SA_NS0_19identity_decomposerEEE10hipError_tT1_T2_T3_T4_jRjT5_jjP12ihipStream_tbEUlT_E_NS1_11comp_targetILNS1_3genE8ELNS1_11target_archE1030ELNS1_3gpuE2ELNS1_3repE0EEENS1_44radix_sort_block_sort_config_static_selectorELNS0_4arch9wavefront6targetE1EEEvSD_
; %bb.0:
	.section	.rodata,"a",@progbits
	.p2align	6, 0x0
	.amdhsa_kernel _ZN7rocprim17ROCPRIM_400000_NS6detail17trampoline_kernelINS0_13kernel_configILj256ELj4ELj4294967295EEENS1_37radix_sort_block_sort_config_selectorIlNS0_10empty_typeEEEZNS1_21radix_sort_block_sortIS4_Lb1EPlS9_PS6_SA_NS0_19identity_decomposerEEE10hipError_tT1_T2_T3_T4_jRjT5_jjP12ihipStream_tbEUlT_E_NS1_11comp_targetILNS1_3genE8ELNS1_11target_archE1030ELNS1_3gpuE2ELNS1_3repE0EEENS1_44radix_sort_block_sort_config_static_selectorELNS0_4arch9wavefront6targetE1EEEvSD_
		.amdhsa_group_segment_fixed_size 0
		.amdhsa_private_segment_fixed_size 0
		.amdhsa_kernarg_size 48
		.amdhsa_user_sgpr_count 6
		.amdhsa_user_sgpr_private_segment_buffer 1
		.amdhsa_user_sgpr_dispatch_ptr 0
		.amdhsa_user_sgpr_queue_ptr 0
		.amdhsa_user_sgpr_kernarg_segment_ptr 1
		.amdhsa_user_sgpr_dispatch_id 0
		.amdhsa_user_sgpr_flat_scratch_init 0
		.amdhsa_user_sgpr_kernarg_preload_length 0
		.amdhsa_user_sgpr_kernarg_preload_offset 0
		.amdhsa_user_sgpr_private_segment_size 0
		.amdhsa_uses_dynamic_stack 0
		.amdhsa_system_sgpr_private_segment_wavefront_offset 0
		.amdhsa_system_sgpr_workgroup_id_x 1
		.amdhsa_system_sgpr_workgroup_id_y 0
		.amdhsa_system_sgpr_workgroup_id_z 0
		.amdhsa_system_sgpr_workgroup_info 0
		.amdhsa_system_vgpr_workitem_id 0
		.amdhsa_next_free_vgpr 1
		.amdhsa_next_free_sgpr 0
		.amdhsa_accum_offset 4
		.amdhsa_reserve_vcc 0
		.amdhsa_reserve_flat_scratch 0
		.amdhsa_float_round_mode_32 0
		.amdhsa_float_round_mode_16_64 0
		.amdhsa_float_denorm_mode_32 3
		.amdhsa_float_denorm_mode_16_64 3
		.amdhsa_dx10_clamp 1
		.amdhsa_ieee_mode 1
		.amdhsa_fp16_overflow 0
		.amdhsa_tg_split 0
		.amdhsa_exception_fp_ieee_invalid_op 0
		.amdhsa_exception_fp_denorm_src 0
		.amdhsa_exception_fp_ieee_div_zero 0
		.amdhsa_exception_fp_ieee_overflow 0
		.amdhsa_exception_fp_ieee_underflow 0
		.amdhsa_exception_fp_ieee_inexact 0
		.amdhsa_exception_int_div_zero 0
	.end_amdhsa_kernel
	.section	.text._ZN7rocprim17ROCPRIM_400000_NS6detail17trampoline_kernelINS0_13kernel_configILj256ELj4ELj4294967295EEENS1_37radix_sort_block_sort_config_selectorIlNS0_10empty_typeEEEZNS1_21radix_sort_block_sortIS4_Lb1EPlS9_PS6_SA_NS0_19identity_decomposerEEE10hipError_tT1_T2_T3_T4_jRjT5_jjP12ihipStream_tbEUlT_E_NS1_11comp_targetILNS1_3genE8ELNS1_11target_archE1030ELNS1_3gpuE2ELNS1_3repE0EEENS1_44radix_sort_block_sort_config_static_selectorELNS0_4arch9wavefront6targetE1EEEvSD_,"axG",@progbits,_ZN7rocprim17ROCPRIM_400000_NS6detail17trampoline_kernelINS0_13kernel_configILj256ELj4ELj4294967295EEENS1_37radix_sort_block_sort_config_selectorIlNS0_10empty_typeEEEZNS1_21radix_sort_block_sortIS4_Lb1EPlS9_PS6_SA_NS0_19identity_decomposerEEE10hipError_tT1_T2_T3_T4_jRjT5_jjP12ihipStream_tbEUlT_E_NS1_11comp_targetILNS1_3genE8ELNS1_11target_archE1030ELNS1_3gpuE2ELNS1_3repE0EEENS1_44radix_sort_block_sort_config_static_selectorELNS0_4arch9wavefront6targetE1EEEvSD_,comdat
.Lfunc_end2131:
	.size	_ZN7rocprim17ROCPRIM_400000_NS6detail17trampoline_kernelINS0_13kernel_configILj256ELj4ELj4294967295EEENS1_37radix_sort_block_sort_config_selectorIlNS0_10empty_typeEEEZNS1_21radix_sort_block_sortIS4_Lb1EPlS9_PS6_SA_NS0_19identity_decomposerEEE10hipError_tT1_T2_T3_T4_jRjT5_jjP12ihipStream_tbEUlT_E_NS1_11comp_targetILNS1_3genE8ELNS1_11target_archE1030ELNS1_3gpuE2ELNS1_3repE0EEENS1_44radix_sort_block_sort_config_static_selectorELNS0_4arch9wavefront6targetE1EEEvSD_, .Lfunc_end2131-_ZN7rocprim17ROCPRIM_400000_NS6detail17trampoline_kernelINS0_13kernel_configILj256ELj4ELj4294967295EEENS1_37radix_sort_block_sort_config_selectorIlNS0_10empty_typeEEEZNS1_21radix_sort_block_sortIS4_Lb1EPlS9_PS6_SA_NS0_19identity_decomposerEEE10hipError_tT1_T2_T3_T4_jRjT5_jjP12ihipStream_tbEUlT_E_NS1_11comp_targetILNS1_3genE8ELNS1_11target_archE1030ELNS1_3gpuE2ELNS1_3repE0EEENS1_44radix_sort_block_sort_config_static_selectorELNS0_4arch9wavefront6targetE1EEEvSD_
                                        ; -- End function
	.section	.AMDGPU.csdata,"",@progbits
; Kernel info:
; codeLenInByte = 0
; NumSgprs: 4
; NumVgprs: 0
; NumAgprs: 0
; TotalNumVgprs: 0
; ScratchSize: 0
; MemoryBound: 0
; FloatMode: 240
; IeeeMode: 1
; LDSByteSize: 0 bytes/workgroup (compile time only)
; SGPRBlocks: 0
; VGPRBlocks: 0
; NumSGPRsForWavesPerEU: 4
; NumVGPRsForWavesPerEU: 1
; AccumOffset: 4
; Occupancy: 8
; WaveLimiterHint : 0
; COMPUTE_PGM_RSRC2:SCRATCH_EN: 0
; COMPUTE_PGM_RSRC2:USER_SGPR: 6
; COMPUTE_PGM_RSRC2:TRAP_HANDLER: 0
; COMPUTE_PGM_RSRC2:TGID_X_EN: 1
; COMPUTE_PGM_RSRC2:TGID_Y_EN: 0
; COMPUTE_PGM_RSRC2:TGID_Z_EN: 0
; COMPUTE_PGM_RSRC2:TIDIG_COMP_CNT: 0
; COMPUTE_PGM_RSRC3_GFX90A:ACCUM_OFFSET: 0
; COMPUTE_PGM_RSRC3_GFX90A:TG_SPLIT: 0
	.section	.text._ZN7rocprim17ROCPRIM_400000_NS6detail17trampoline_kernelINS0_14default_configENS1_38merge_sort_block_merge_config_selectorIlNS0_10empty_typeEEEZZNS1_27merge_sort_block_merge_implIS3_PlPS5_jNS1_19radix_merge_compareILb1ELb0ElNS0_19identity_decomposerEEEEE10hipError_tT0_T1_T2_jT3_P12ihipStream_tbPNSt15iterator_traitsISE_E10value_typeEPNSK_ISF_E10value_typeEPSG_NS1_7vsmem_tEENKUlT_SE_SF_SG_E_clIS8_S8_S9_S9_EESD_ST_SE_SF_SG_EUlST_E_NS1_11comp_targetILNS1_3genE0ELNS1_11target_archE4294967295ELNS1_3gpuE0ELNS1_3repE0EEENS1_48merge_mergepath_partition_config_static_selectorELNS0_4arch9wavefront6targetE1EEEvSF_,"axG",@progbits,_ZN7rocprim17ROCPRIM_400000_NS6detail17trampoline_kernelINS0_14default_configENS1_38merge_sort_block_merge_config_selectorIlNS0_10empty_typeEEEZZNS1_27merge_sort_block_merge_implIS3_PlPS5_jNS1_19radix_merge_compareILb1ELb0ElNS0_19identity_decomposerEEEEE10hipError_tT0_T1_T2_jT3_P12ihipStream_tbPNSt15iterator_traitsISE_E10value_typeEPNSK_ISF_E10value_typeEPSG_NS1_7vsmem_tEENKUlT_SE_SF_SG_E_clIS8_S8_S9_S9_EESD_ST_SE_SF_SG_EUlST_E_NS1_11comp_targetILNS1_3genE0ELNS1_11target_archE4294967295ELNS1_3gpuE0ELNS1_3repE0EEENS1_48merge_mergepath_partition_config_static_selectorELNS0_4arch9wavefront6targetE1EEEvSF_,comdat
	.protected	_ZN7rocprim17ROCPRIM_400000_NS6detail17trampoline_kernelINS0_14default_configENS1_38merge_sort_block_merge_config_selectorIlNS0_10empty_typeEEEZZNS1_27merge_sort_block_merge_implIS3_PlPS5_jNS1_19radix_merge_compareILb1ELb0ElNS0_19identity_decomposerEEEEE10hipError_tT0_T1_T2_jT3_P12ihipStream_tbPNSt15iterator_traitsISE_E10value_typeEPNSK_ISF_E10value_typeEPSG_NS1_7vsmem_tEENKUlT_SE_SF_SG_E_clIS8_S8_S9_S9_EESD_ST_SE_SF_SG_EUlST_E_NS1_11comp_targetILNS1_3genE0ELNS1_11target_archE4294967295ELNS1_3gpuE0ELNS1_3repE0EEENS1_48merge_mergepath_partition_config_static_selectorELNS0_4arch9wavefront6targetE1EEEvSF_ ; -- Begin function _ZN7rocprim17ROCPRIM_400000_NS6detail17trampoline_kernelINS0_14default_configENS1_38merge_sort_block_merge_config_selectorIlNS0_10empty_typeEEEZZNS1_27merge_sort_block_merge_implIS3_PlPS5_jNS1_19radix_merge_compareILb1ELb0ElNS0_19identity_decomposerEEEEE10hipError_tT0_T1_T2_jT3_P12ihipStream_tbPNSt15iterator_traitsISE_E10value_typeEPNSK_ISF_E10value_typeEPSG_NS1_7vsmem_tEENKUlT_SE_SF_SG_E_clIS8_S8_S9_S9_EESD_ST_SE_SF_SG_EUlST_E_NS1_11comp_targetILNS1_3genE0ELNS1_11target_archE4294967295ELNS1_3gpuE0ELNS1_3repE0EEENS1_48merge_mergepath_partition_config_static_selectorELNS0_4arch9wavefront6targetE1EEEvSF_
	.globl	_ZN7rocprim17ROCPRIM_400000_NS6detail17trampoline_kernelINS0_14default_configENS1_38merge_sort_block_merge_config_selectorIlNS0_10empty_typeEEEZZNS1_27merge_sort_block_merge_implIS3_PlPS5_jNS1_19radix_merge_compareILb1ELb0ElNS0_19identity_decomposerEEEEE10hipError_tT0_T1_T2_jT3_P12ihipStream_tbPNSt15iterator_traitsISE_E10value_typeEPNSK_ISF_E10value_typeEPSG_NS1_7vsmem_tEENKUlT_SE_SF_SG_E_clIS8_S8_S9_S9_EESD_ST_SE_SF_SG_EUlST_E_NS1_11comp_targetILNS1_3genE0ELNS1_11target_archE4294967295ELNS1_3gpuE0ELNS1_3repE0EEENS1_48merge_mergepath_partition_config_static_selectorELNS0_4arch9wavefront6targetE1EEEvSF_
	.p2align	8
	.type	_ZN7rocprim17ROCPRIM_400000_NS6detail17trampoline_kernelINS0_14default_configENS1_38merge_sort_block_merge_config_selectorIlNS0_10empty_typeEEEZZNS1_27merge_sort_block_merge_implIS3_PlPS5_jNS1_19radix_merge_compareILb1ELb0ElNS0_19identity_decomposerEEEEE10hipError_tT0_T1_T2_jT3_P12ihipStream_tbPNSt15iterator_traitsISE_E10value_typeEPNSK_ISF_E10value_typeEPSG_NS1_7vsmem_tEENKUlT_SE_SF_SG_E_clIS8_S8_S9_S9_EESD_ST_SE_SF_SG_EUlST_E_NS1_11comp_targetILNS1_3genE0ELNS1_11target_archE4294967295ELNS1_3gpuE0ELNS1_3repE0EEENS1_48merge_mergepath_partition_config_static_selectorELNS0_4arch9wavefront6targetE1EEEvSF_,@function
_ZN7rocprim17ROCPRIM_400000_NS6detail17trampoline_kernelINS0_14default_configENS1_38merge_sort_block_merge_config_selectorIlNS0_10empty_typeEEEZZNS1_27merge_sort_block_merge_implIS3_PlPS5_jNS1_19radix_merge_compareILb1ELb0ElNS0_19identity_decomposerEEEEE10hipError_tT0_T1_T2_jT3_P12ihipStream_tbPNSt15iterator_traitsISE_E10value_typeEPNSK_ISF_E10value_typeEPSG_NS1_7vsmem_tEENKUlT_SE_SF_SG_E_clIS8_S8_S9_S9_EESD_ST_SE_SF_SG_EUlST_E_NS1_11comp_targetILNS1_3genE0ELNS1_11target_archE4294967295ELNS1_3gpuE0ELNS1_3repE0EEENS1_48merge_mergepath_partition_config_static_selectorELNS0_4arch9wavefront6targetE1EEEvSF_: ; @_ZN7rocprim17ROCPRIM_400000_NS6detail17trampoline_kernelINS0_14default_configENS1_38merge_sort_block_merge_config_selectorIlNS0_10empty_typeEEEZZNS1_27merge_sort_block_merge_implIS3_PlPS5_jNS1_19radix_merge_compareILb1ELb0ElNS0_19identity_decomposerEEEEE10hipError_tT0_T1_T2_jT3_P12ihipStream_tbPNSt15iterator_traitsISE_E10value_typeEPNSK_ISF_E10value_typeEPSG_NS1_7vsmem_tEENKUlT_SE_SF_SG_E_clIS8_S8_S9_S9_EESD_ST_SE_SF_SG_EUlST_E_NS1_11comp_targetILNS1_3genE0ELNS1_11target_archE4294967295ELNS1_3gpuE0ELNS1_3repE0EEENS1_48merge_mergepath_partition_config_static_selectorELNS0_4arch9wavefront6targetE1EEEvSF_
; %bb.0:
	.section	.rodata,"a",@progbits
	.p2align	6, 0x0
	.amdhsa_kernel _ZN7rocprim17ROCPRIM_400000_NS6detail17trampoline_kernelINS0_14default_configENS1_38merge_sort_block_merge_config_selectorIlNS0_10empty_typeEEEZZNS1_27merge_sort_block_merge_implIS3_PlPS5_jNS1_19radix_merge_compareILb1ELb0ElNS0_19identity_decomposerEEEEE10hipError_tT0_T1_T2_jT3_P12ihipStream_tbPNSt15iterator_traitsISE_E10value_typeEPNSK_ISF_E10value_typeEPSG_NS1_7vsmem_tEENKUlT_SE_SF_SG_E_clIS8_S8_S9_S9_EESD_ST_SE_SF_SG_EUlST_E_NS1_11comp_targetILNS1_3genE0ELNS1_11target_archE4294967295ELNS1_3gpuE0ELNS1_3repE0EEENS1_48merge_mergepath_partition_config_static_selectorELNS0_4arch9wavefront6targetE1EEEvSF_
		.amdhsa_group_segment_fixed_size 0
		.amdhsa_private_segment_fixed_size 0
		.amdhsa_kernarg_size 40
		.amdhsa_user_sgpr_count 6
		.amdhsa_user_sgpr_private_segment_buffer 1
		.amdhsa_user_sgpr_dispatch_ptr 0
		.amdhsa_user_sgpr_queue_ptr 0
		.amdhsa_user_sgpr_kernarg_segment_ptr 1
		.amdhsa_user_sgpr_dispatch_id 0
		.amdhsa_user_sgpr_flat_scratch_init 0
		.amdhsa_user_sgpr_kernarg_preload_length 0
		.amdhsa_user_sgpr_kernarg_preload_offset 0
		.amdhsa_user_sgpr_private_segment_size 0
		.amdhsa_uses_dynamic_stack 0
		.amdhsa_system_sgpr_private_segment_wavefront_offset 0
		.amdhsa_system_sgpr_workgroup_id_x 1
		.amdhsa_system_sgpr_workgroup_id_y 0
		.amdhsa_system_sgpr_workgroup_id_z 0
		.amdhsa_system_sgpr_workgroup_info 0
		.amdhsa_system_vgpr_workitem_id 0
		.amdhsa_next_free_vgpr 1
		.amdhsa_next_free_sgpr 0
		.amdhsa_accum_offset 4
		.amdhsa_reserve_vcc 0
		.amdhsa_reserve_flat_scratch 0
		.amdhsa_float_round_mode_32 0
		.amdhsa_float_round_mode_16_64 0
		.amdhsa_float_denorm_mode_32 3
		.amdhsa_float_denorm_mode_16_64 3
		.amdhsa_dx10_clamp 1
		.amdhsa_ieee_mode 1
		.amdhsa_fp16_overflow 0
		.amdhsa_tg_split 0
		.amdhsa_exception_fp_ieee_invalid_op 0
		.amdhsa_exception_fp_denorm_src 0
		.amdhsa_exception_fp_ieee_div_zero 0
		.amdhsa_exception_fp_ieee_overflow 0
		.amdhsa_exception_fp_ieee_underflow 0
		.amdhsa_exception_fp_ieee_inexact 0
		.amdhsa_exception_int_div_zero 0
	.end_amdhsa_kernel
	.section	.text._ZN7rocprim17ROCPRIM_400000_NS6detail17trampoline_kernelINS0_14default_configENS1_38merge_sort_block_merge_config_selectorIlNS0_10empty_typeEEEZZNS1_27merge_sort_block_merge_implIS3_PlPS5_jNS1_19radix_merge_compareILb1ELb0ElNS0_19identity_decomposerEEEEE10hipError_tT0_T1_T2_jT3_P12ihipStream_tbPNSt15iterator_traitsISE_E10value_typeEPNSK_ISF_E10value_typeEPSG_NS1_7vsmem_tEENKUlT_SE_SF_SG_E_clIS8_S8_S9_S9_EESD_ST_SE_SF_SG_EUlST_E_NS1_11comp_targetILNS1_3genE0ELNS1_11target_archE4294967295ELNS1_3gpuE0ELNS1_3repE0EEENS1_48merge_mergepath_partition_config_static_selectorELNS0_4arch9wavefront6targetE1EEEvSF_,"axG",@progbits,_ZN7rocprim17ROCPRIM_400000_NS6detail17trampoline_kernelINS0_14default_configENS1_38merge_sort_block_merge_config_selectorIlNS0_10empty_typeEEEZZNS1_27merge_sort_block_merge_implIS3_PlPS5_jNS1_19radix_merge_compareILb1ELb0ElNS0_19identity_decomposerEEEEE10hipError_tT0_T1_T2_jT3_P12ihipStream_tbPNSt15iterator_traitsISE_E10value_typeEPNSK_ISF_E10value_typeEPSG_NS1_7vsmem_tEENKUlT_SE_SF_SG_E_clIS8_S8_S9_S9_EESD_ST_SE_SF_SG_EUlST_E_NS1_11comp_targetILNS1_3genE0ELNS1_11target_archE4294967295ELNS1_3gpuE0ELNS1_3repE0EEENS1_48merge_mergepath_partition_config_static_selectorELNS0_4arch9wavefront6targetE1EEEvSF_,comdat
.Lfunc_end2132:
	.size	_ZN7rocprim17ROCPRIM_400000_NS6detail17trampoline_kernelINS0_14default_configENS1_38merge_sort_block_merge_config_selectorIlNS0_10empty_typeEEEZZNS1_27merge_sort_block_merge_implIS3_PlPS5_jNS1_19radix_merge_compareILb1ELb0ElNS0_19identity_decomposerEEEEE10hipError_tT0_T1_T2_jT3_P12ihipStream_tbPNSt15iterator_traitsISE_E10value_typeEPNSK_ISF_E10value_typeEPSG_NS1_7vsmem_tEENKUlT_SE_SF_SG_E_clIS8_S8_S9_S9_EESD_ST_SE_SF_SG_EUlST_E_NS1_11comp_targetILNS1_3genE0ELNS1_11target_archE4294967295ELNS1_3gpuE0ELNS1_3repE0EEENS1_48merge_mergepath_partition_config_static_selectorELNS0_4arch9wavefront6targetE1EEEvSF_, .Lfunc_end2132-_ZN7rocprim17ROCPRIM_400000_NS6detail17trampoline_kernelINS0_14default_configENS1_38merge_sort_block_merge_config_selectorIlNS0_10empty_typeEEEZZNS1_27merge_sort_block_merge_implIS3_PlPS5_jNS1_19radix_merge_compareILb1ELb0ElNS0_19identity_decomposerEEEEE10hipError_tT0_T1_T2_jT3_P12ihipStream_tbPNSt15iterator_traitsISE_E10value_typeEPNSK_ISF_E10value_typeEPSG_NS1_7vsmem_tEENKUlT_SE_SF_SG_E_clIS8_S8_S9_S9_EESD_ST_SE_SF_SG_EUlST_E_NS1_11comp_targetILNS1_3genE0ELNS1_11target_archE4294967295ELNS1_3gpuE0ELNS1_3repE0EEENS1_48merge_mergepath_partition_config_static_selectorELNS0_4arch9wavefront6targetE1EEEvSF_
                                        ; -- End function
	.section	.AMDGPU.csdata,"",@progbits
; Kernel info:
; codeLenInByte = 0
; NumSgprs: 4
; NumVgprs: 0
; NumAgprs: 0
; TotalNumVgprs: 0
; ScratchSize: 0
; MemoryBound: 0
; FloatMode: 240
; IeeeMode: 1
; LDSByteSize: 0 bytes/workgroup (compile time only)
; SGPRBlocks: 0
; VGPRBlocks: 0
; NumSGPRsForWavesPerEU: 4
; NumVGPRsForWavesPerEU: 1
; AccumOffset: 4
; Occupancy: 8
; WaveLimiterHint : 0
; COMPUTE_PGM_RSRC2:SCRATCH_EN: 0
; COMPUTE_PGM_RSRC2:USER_SGPR: 6
; COMPUTE_PGM_RSRC2:TRAP_HANDLER: 0
; COMPUTE_PGM_RSRC2:TGID_X_EN: 1
; COMPUTE_PGM_RSRC2:TGID_Y_EN: 0
; COMPUTE_PGM_RSRC2:TGID_Z_EN: 0
; COMPUTE_PGM_RSRC2:TIDIG_COMP_CNT: 0
; COMPUTE_PGM_RSRC3_GFX90A:ACCUM_OFFSET: 0
; COMPUTE_PGM_RSRC3_GFX90A:TG_SPLIT: 0
	.section	.text._ZN7rocprim17ROCPRIM_400000_NS6detail17trampoline_kernelINS0_14default_configENS1_38merge_sort_block_merge_config_selectorIlNS0_10empty_typeEEEZZNS1_27merge_sort_block_merge_implIS3_PlPS5_jNS1_19radix_merge_compareILb1ELb0ElNS0_19identity_decomposerEEEEE10hipError_tT0_T1_T2_jT3_P12ihipStream_tbPNSt15iterator_traitsISE_E10value_typeEPNSK_ISF_E10value_typeEPSG_NS1_7vsmem_tEENKUlT_SE_SF_SG_E_clIS8_S8_S9_S9_EESD_ST_SE_SF_SG_EUlST_E_NS1_11comp_targetILNS1_3genE10ELNS1_11target_archE1201ELNS1_3gpuE5ELNS1_3repE0EEENS1_48merge_mergepath_partition_config_static_selectorELNS0_4arch9wavefront6targetE1EEEvSF_,"axG",@progbits,_ZN7rocprim17ROCPRIM_400000_NS6detail17trampoline_kernelINS0_14default_configENS1_38merge_sort_block_merge_config_selectorIlNS0_10empty_typeEEEZZNS1_27merge_sort_block_merge_implIS3_PlPS5_jNS1_19radix_merge_compareILb1ELb0ElNS0_19identity_decomposerEEEEE10hipError_tT0_T1_T2_jT3_P12ihipStream_tbPNSt15iterator_traitsISE_E10value_typeEPNSK_ISF_E10value_typeEPSG_NS1_7vsmem_tEENKUlT_SE_SF_SG_E_clIS8_S8_S9_S9_EESD_ST_SE_SF_SG_EUlST_E_NS1_11comp_targetILNS1_3genE10ELNS1_11target_archE1201ELNS1_3gpuE5ELNS1_3repE0EEENS1_48merge_mergepath_partition_config_static_selectorELNS0_4arch9wavefront6targetE1EEEvSF_,comdat
	.protected	_ZN7rocprim17ROCPRIM_400000_NS6detail17trampoline_kernelINS0_14default_configENS1_38merge_sort_block_merge_config_selectorIlNS0_10empty_typeEEEZZNS1_27merge_sort_block_merge_implIS3_PlPS5_jNS1_19radix_merge_compareILb1ELb0ElNS0_19identity_decomposerEEEEE10hipError_tT0_T1_T2_jT3_P12ihipStream_tbPNSt15iterator_traitsISE_E10value_typeEPNSK_ISF_E10value_typeEPSG_NS1_7vsmem_tEENKUlT_SE_SF_SG_E_clIS8_S8_S9_S9_EESD_ST_SE_SF_SG_EUlST_E_NS1_11comp_targetILNS1_3genE10ELNS1_11target_archE1201ELNS1_3gpuE5ELNS1_3repE0EEENS1_48merge_mergepath_partition_config_static_selectorELNS0_4arch9wavefront6targetE1EEEvSF_ ; -- Begin function _ZN7rocprim17ROCPRIM_400000_NS6detail17trampoline_kernelINS0_14default_configENS1_38merge_sort_block_merge_config_selectorIlNS0_10empty_typeEEEZZNS1_27merge_sort_block_merge_implIS3_PlPS5_jNS1_19radix_merge_compareILb1ELb0ElNS0_19identity_decomposerEEEEE10hipError_tT0_T1_T2_jT3_P12ihipStream_tbPNSt15iterator_traitsISE_E10value_typeEPNSK_ISF_E10value_typeEPSG_NS1_7vsmem_tEENKUlT_SE_SF_SG_E_clIS8_S8_S9_S9_EESD_ST_SE_SF_SG_EUlST_E_NS1_11comp_targetILNS1_3genE10ELNS1_11target_archE1201ELNS1_3gpuE5ELNS1_3repE0EEENS1_48merge_mergepath_partition_config_static_selectorELNS0_4arch9wavefront6targetE1EEEvSF_
	.globl	_ZN7rocprim17ROCPRIM_400000_NS6detail17trampoline_kernelINS0_14default_configENS1_38merge_sort_block_merge_config_selectorIlNS0_10empty_typeEEEZZNS1_27merge_sort_block_merge_implIS3_PlPS5_jNS1_19radix_merge_compareILb1ELb0ElNS0_19identity_decomposerEEEEE10hipError_tT0_T1_T2_jT3_P12ihipStream_tbPNSt15iterator_traitsISE_E10value_typeEPNSK_ISF_E10value_typeEPSG_NS1_7vsmem_tEENKUlT_SE_SF_SG_E_clIS8_S8_S9_S9_EESD_ST_SE_SF_SG_EUlST_E_NS1_11comp_targetILNS1_3genE10ELNS1_11target_archE1201ELNS1_3gpuE5ELNS1_3repE0EEENS1_48merge_mergepath_partition_config_static_selectorELNS0_4arch9wavefront6targetE1EEEvSF_
	.p2align	8
	.type	_ZN7rocprim17ROCPRIM_400000_NS6detail17trampoline_kernelINS0_14default_configENS1_38merge_sort_block_merge_config_selectorIlNS0_10empty_typeEEEZZNS1_27merge_sort_block_merge_implIS3_PlPS5_jNS1_19radix_merge_compareILb1ELb0ElNS0_19identity_decomposerEEEEE10hipError_tT0_T1_T2_jT3_P12ihipStream_tbPNSt15iterator_traitsISE_E10value_typeEPNSK_ISF_E10value_typeEPSG_NS1_7vsmem_tEENKUlT_SE_SF_SG_E_clIS8_S8_S9_S9_EESD_ST_SE_SF_SG_EUlST_E_NS1_11comp_targetILNS1_3genE10ELNS1_11target_archE1201ELNS1_3gpuE5ELNS1_3repE0EEENS1_48merge_mergepath_partition_config_static_selectorELNS0_4arch9wavefront6targetE1EEEvSF_,@function
_ZN7rocprim17ROCPRIM_400000_NS6detail17trampoline_kernelINS0_14default_configENS1_38merge_sort_block_merge_config_selectorIlNS0_10empty_typeEEEZZNS1_27merge_sort_block_merge_implIS3_PlPS5_jNS1_19radix_merge_compareILb1ELb0ElNS0_19identity_decomposerEEEEE10hipError_tT0_T1_T2_jT3_P12ihipStream_tbPNSt15iterator_traitsISE_E10value_typeEPNSK_ISF_E10value_typeEPSG_NS1_7vsmem_tEENKUlT_SE_SF_SG_E_clIS8_S8_S9_S9_EESD_ST_SE_SF_SG_EUlST_E_NS1_11comp_targetILNS1_3genE10ELNS1_11target_archE1201ELNS1_3gpuE5ELNS1_3repE0EEENS1_48merge_mergepath_partition_config_static_selectorELNS0_4arch9wavefront6targetE1EEEvSF_: ; @_ZN7rocprim17ROCPRIM_400000_NS6detail17trampoline_kernelINS0_14default_configENS1_38merge_sort_block_merge_config_selectorIlNS0_10empty_typeEEEZZNS1_27merge_sort_block_merge_implIS3_PlPS5_jNS1_19radix_merge_compareILb1ELb0ElNS0_19identity_decomposerEEEEE10hipError_tT0_T1_T2_jT3_P12ihipStream_tbPNSt15iterator_traitsISE_E10value_typeEPNSK_ISF_E10value_typeEPSG_NS1_7vsmem_tEENKUlT_SE_SF_SG_E_clIS8_S8_S9_S9_EESD_ST_SE_SF_SG_EUlST_E_NS1_11comp_targetILNS1_3genE10ELNS1_11target_archE1201ELNS1_3gpuE5ELNS1_3repE0EEENS1_48merge_mergepath_partition_config_static_selectorELNS0_4arch9wavefront6targetE1EEEvSF_
; %bb.0:
	.section	.rodata,"a",@progbits
	.p2align	6, 0x0
	.amdhsa_kernel _ZN7rocprim17ROCPRIM_400000_NS6detail17trampoline_kernelINS0_14default_configENS1_38merge_sort_block_merge_config_selectorIlNS0_10empty_typeEEEZZNS1_27merge_sort_block_merge_implIS3_PlPS5_jNS1_19radix_merge_compareILb1ELb0ElNS0_19identity_decomposerEEEEE10hipError_tT0_T1_T2_jT3_P12ihipStream_tbPNSt15iterator_traitsISE_E10value_typeEPNSK_ISF_E10value_typeEPSG_NS1_7vsmem_tEENKUlT_SE_SF_SG_E_clIS8_S8_S9_S9_EESD_ST_SE_SF_SG_EUlST_E_NS1_11comp_targetILNS1_3genE10ELNS1_11target_archE1201ELNS1_3gpuE5ELNS1_3repE0EEENS1_48merge_mergepath_partition_config_static_selectorELNS0_4arch9wavefront6targetE1EEEvSF_
		.amdhsa_group_segment_fixed_size 0
		.amdhsa_private_segment_fixed_size 0
		.amdhsa_kernarg_size 40
		.amdhsa_user_sgpr_count 6
		.amdhsa_user_sgpr_private_segment_buffer 1
		.amdhsa_user_sgpr_dispatch_ptr 0
		.amdhsa_user_sgpr_queue_ptr 0
		.amdhsa_user_sgpr_kernarg_segment_ptr 1
		.amdhsa_user_sgpr_dispatch_id 0
		.amdhsa_user_sgpr_flat_scratch_init 0
		.amdhsa_user_sgpr_kernarg_preload_length 0
		.amdhsa_user_sgpr_kernarg_preload_offset 0
		.amdhsa_user_sgpr_private_segment_size 0
		.amdhsa_uses_dynamic_stack 0
		.amdhsa_system_sgpr_private_segment_wavefront_offset 0
		.amdhsa_system_sgpr_workgroup_id_x 1
		.amdhsa_system_sgpr_workgroup_id_y 0
		.amdhsa_system_sgpr_workgroup_id_z 0
		.amdhsa_system_sgpr_workgroup_info 0
		.amdhsa_system_vgpr_workitem_id 0
		.amdhsa_next_free_vgpr 1
		.amdhsa_next_free_sgpr 0
		.amdhsa_accum_offset 4
		.amdhsa_reserve_vcc 0
		.amdhsa_reserve_flat_scratch 0
		.amdhsa_float_round_mode_32 0
		.amdhsa_float_round_mode_16_64 0
		.amdhsa_float_denorm_mode_32 3
		.amdhsa_float_denorm_mode_16_64 3
		.amdhsa_dx10_clamp 1
		.amdhsa_ieee_mode 1
		.amdhsa_fp16_overflow 0
		.amdhsa_tg_split 0
		.amdhsa_exception_fp_ieee_invalid_op 0
		.amdhsa_exception_fp_denorm_src 0
		.amdhsa_exception_fp_ieee_div_zero 0
		.amdhsa_exception_fp_ieee_overflow 0
		.amdhsa_exception_fp_ieee_underflow 0
		.amdhsa_exception_fp_ieee_inexact 0
		.amdhsa_exception_int_div_zero 0
	.end_amdhsa_kernel
	.section	.text._ZN7rocprim17ROCPRIM_400000_NS6detail17trampoline_kernelINS0_14default_configENS1_38merge_sort_block_merge_config_selectorIlNS0_10empty_typeEEEZZNS1_27merge_sort_block_merge_implIS3_PlPS5_jNS1_19radix_merge_compareILb1ELb0ElNS0_19identity_decomposerEEEEE10hipError_tT0_T1_T2_jT3_P12ihipStream_tbPNSt15iterator_traitsISE_E10value_typeEPNSK_ISF_E10value_typeEPSG_NS1_7vsmem_tEENKUlT_SE_SF_SG_E_clIS8_S8_S9_S9_EESD_ST_SE_SF_SG_EUlST_E_NS1_11comp_targetILNS1_3genE10ELNS1_11target_archE1201ELNS1_3gpuE5ELNS1_3repE0EEENS1_48merge_mergepath_partition_config_static_selectorELNS0_4arch9wavefront6targetE1EEEvSF_,"axG",@progbits,_ZN7rocprim17ROCPRIM_400000_NS6detail17trampoline_kernelINS0_14default_configENS1_38merge_sort_block_merge_config_selectorIlNS0_10empty_typeEEEZZNS1_27merge_sort_block_merge_implIS3_PlPS5_jNS1_19radix_merge_compareILb1ELb0ElNS0_19identity_decomposerEEEEE10hipError_tT0_T1_T2_jT3_P12ihipStream_tbPNSt15iterator_traitsISE_E10value_typeEPNSK_ISF_E10value_typeEPSG_NS1_7vsmem_tEENKUlT_SE_SF_SG_E_clIS8_S8_S9_S9_EESD_ST_SE_SF_SG_EUlST_E_NS1_11comp_targetILNS1_3genE10ELNS1_11target_archE1201ELNS1_3gpuE5ELNS1_3repE0EEENS1_48merge_mergepath_partition_config_static_selectorELNS0_4arch9wavefront6targetE1EEEvSF_,comdat
.Lfunc_end2133:
	.size	_ZN7rocprim17ROCPRIM_400000_NS6detail17trampoline_kernelINS0_14default_configENS1_38merge_sort_block_merge_config_selectorIlNS0_10empty_typeEEEZZNS1_27merge_sort_block_merge_implIS3_PlPS5_jNS1_19radix_merge_compareILb1ELb0ElNS0_19identity_decomposerEEEEE10hipError_tT0_T1_T2_jT3_P12ihipStream_tbPNSt15iterator_traitsISE_E10value_typeEPNSK_ISF_E10value_typeEPSG_NS1_7vsmem_tEENKUlT_SE_SF_SG_E_clIS8_S8_S9_S9_EESD_ST_SE_SF_SG_EUlST_E_NS1_11comp_targetILNS1_3genE10ELNS1_11target_archE1201ELNS1_3gpuE5ELNS1_3repE0EEENS1_48merge_mergepath_partition_config_static_selectorELNS0_4arch9wavefront6targetE1EEEvSF_, .Lfunc_end2133-_ZN7rocprim17ROCPRIM_400000_NS6detail17trampoline_kernelINS0_14default_configENS1_38merge_sort_block_merge_config_selectorIlNS0_10empty_typeEEEZZNS1_27merge_sort_block_merge_implIS3_PlPS5_jNS1_19radix_merge_compareILb1ELb0ElNS0_19identity_decomposerEEEEE10hipError_tT0_T1_T2_jT3_P12ihipStream_tbPNSt15iterator_traitsISE_E10value_typeEPNSK_ISF_E10value_typeEPSG_NS1_7vsmem_tEENKUlT_SE_SF_SG_E_clIS8_S8_S9_S9_EESD_ST_SE_SF_SG_EUlST_E_NS1_11comp_targetILNS1_3genE10ELNS1_11target_archE1201ELNS1_3gpuE5ELNS1_3repE0EEENS1_48merge_mergepath_partition_config_static_selectorELNS0_4arch9wavefront6targetE1EEEvSF_
                                        ; -- End function
	.section	.AMDGPU.csdata,"",@progbits
; Kernel info:
; codeLenInByte = 0
; NumSgprs: 4
; NumVgprs: 0
; NumAgprs: 0
; TotalNumVgprs: 0
; ScratchSize: 0
; MemoryBound: 0
; FloatMode: 240
; IeeeMode: 1
; LDSByteSize: 0 bytes/workgroup (compile time only)
; SGPRBlocks: 0
; VGPRBlocks: 0
; NumSGPRsForWavesPerEU: 4
; NumVGPRsForWavesPerEU: 1
; AccumOffset: 4
; Occupancy: 8
; WaveLimiterHint : 0
; COMPUTE_PGM_RSRC2:SCRATCH_EN: 0
; COMPUTE_PGM_RSRC2:USER_SGPR: 6
; COMPUTE_PGM_RSRC2:TRAP_HANDLER: 0
; COMPUTE_PGM_RSRC2:TGID_X_EN: 1
; COMPUTE_PGM_RSRC2:TGID_Y_EN: 0
; COMPUTE_PGM_RSRC2:TGID_Z_EN: 0
; COMPUTE_PGM_RSRC2:TIDIG_COMP_CNT: 0
; COMPUTE_PGM_RSRC3_GFX90A:ACCUM_OFFSET: 0
; COMPUTE_PGM_RSRC3_GFX90A:TG_SPLIT: 0
	.section	.text._ZN7rocprim17ROCPRIM_400000_NS6detail17trampoline_kernelINS0_14default_configENS1_38merge_sort_block_merge_config_selectorIlNS0_10empty_typeEEEZZNS1_27merge_sort_block_merge_implIS3_PlPS5_jNS1_19radix_merge_compareILb1ELb0ElNS0_19identity_decomposerEEEEE10hipError_tT0_T1_T2_jT3_P12ihipStream_tbPNSt15iterator_traitsISE_E10value_typeEPNSK_ISF_E10value_typeEPSG_NS1_7vsmem_tEENKUlT_SE_SF_SG_E_clIS8_S8_S9_S9_EESD_ST_SE_SF_SG_EUlST_E_NS1_11comp_targetILNS1_3genE5ELNS1_11target_archE942ELNS1_3gpuE9ELNS1_3repE0EEENS1_48merge_mergepath_partition_config_static_selectorELNS0_4arch9wavefront6targetE1EEEvSF_,"axG",@progbits,_ZN7rocprim17ROCPRIM_400000_NS6detail17trampoline_kernelINS0_14default_configENS1_38merge_sort_block_merge_config_selectorIlNS0_10empty_typeEEEZZNS1_27merge_sort_block_merge_implIS3_PlPS5_jNS1_19radix_merge_compareILb1ELb0ElNS0_19identity_decomposerEEEEE10hipError_tT0_T1_T2_jT3_P12ihipStream_tbPNSt15iterator_traitsISE_E10value_typeEPNSK_ISF_E10value_typeEPSG_NS1_7vsmem_tEENKUlT_SE_SF_SG_E_clIS8_S8_S9_S9_EESD_ST_SE_SF_SG_EUlST_E_NS1_11comp_targetILNS1_3genE5ELNS1_11target_archE942ELNS1_3gpuE9ELNS1_3repE0EEENS1_48merge_mergepath_partition_config_static_selectorELNS0_4arch9wavefront6targetE1EEEvSF_,comdat
	.protected	_ZN7rocprim17ROCPRIM_400000_NS6detail17trampoline_kernelINS0_14default_configENS1_38merge_sort_block_merge_config_selectorIlNS0_10empty_typeEEEZZNS1_27merge_sort_block_merge_implIS3_PlPS5_jNS1_19radix_merge_compareILb1ELb0ElNS0_19identity_decomposerEEEEE10hipError_tT0_T1_T2_jT3_P12ihipStream_tbPNSt15iterator_traitsISE_E10value_typeEPNSK_ISF_E10value_typeEPSG_NS1_7vsmem_tEENKUlT_SE_SF_SG_E_clIS8_S8_S9_S9_EESD_ST_SE_SF_SG_EUlST_E_NS1_11comp_targetILNS1_3genE5ELNS1_11target_archE942ELNS1_3gpuE9ELNS1_3repE0EEENS1_48merge_mergepath_partition_config_static_selectorELNS0_4arch9wavefront6targetE1EEEvSF_ ; -- Begin function _ZN7rocprim17ROCPRIM_400000_NS6detail17trampoline_kernelINS0_14default_configENS1_38merge_sort_block_merge_config_selectorIlNS0_10empty_typeEEEZZNS1_27merge_sort_block_merge_implIS3_PlPS5_jNS1_19radix_merge_compareILb1ELb0ElNS0_19identity_decomposerEEEEE10hipError_tT0_T1_T2_jT3_P12ihipStream_tbPNSt15iterator_traitsISE_E10value_typeEPNSK_ISF_E10value_typeEPSG_NS1_7vsmem_tEENKUlT_SE_SF_SG_E_clIS8_S8_S9_S9_EESD_ST_SE_SF_SG_EUlST_E_NS1_11comp_targetILNS1_3genE5ELNS1_11target_archE942ELNS1_3gpuE9ELNS1_3repE0EEENS1_48merge_mergepath_partition_config_static_selectorELNS0_4arch9wavefront6targetE1EEEvSF_
	.globl	_ZN7rocprim17ROCPRIM_400000_NS6detail17trampoline_kernelINS0_14default_configENS1_38merge_sort_block_merge_config_selectorIlNS0_10empty_typeEEEZZNS1_27merge_sort_block_merge_implIS3_PlPS5_jNS1_19radix_merge_compareILb1ELb0ElNS0_19identity_decomposerEEEEE10hipError_tT0_T1_T2_jT3_P12ihipStream_tbPNSt15iterator_traitsISE_E10value_typeEPNSK_ISF_E10value_typeEPSG_NS1_7vsmem_tEENKUlT_SE_SF_SG_E_clIS8_S8_S9_S9_EESD_ST_SE_SF_SG_EUlST_E_NS1_11comp_targetILNS1_3genE5ELNS1_11target_archE942ELNS1_3gpuE9ELNS1_3repE0EEENS1_48merge_mergepath_partition_config_static_selectorELNS0_4arch9wavefront6targetE1EEEvSF_
	.p2align	8
	.type	_ZN7rocprim17ROCPRIM_400000_NS6detail17trampoline_kernelINS0_14default_configENS1_38merge_sort_block_merge_config_selectorIlNS0_10empty_typeEEEZZNS1_27merge_sort_block_merge_implIS3_PlPS5_jNS1_19radix_merge_compareILb1ELb0ElNS0_19identity_decomposerEEEEE10hipError_tT0_T1_T2_jT3_P12ihipStream_tbPNSt15iterator_traitsISE_E10value_typeEPNSK_ISF_E10value_typeEPSG_NS1_7vsmem_tEENKUlT_SE_SF_SG_E_clIS8_S8_S9_S9_EESD_ST_SE_SF_SG_EUlST_E_NS1_11comp_targetILNS1_3genE5ELNS1_11target_archE942ELNS1_3gpuE9ELNS1_3repE0EEENS1_48merge_mergepath_partition_config_static_selectorELNS0_4arch9wavefront6targetE1EEEvSF_,@function
_ZN7rocprim17ROCPRIM_400000_NS6detail17trampoline_kernelINS0_14default_configENS1_38merge_sort_block_merge_config_selectorIlNS0_10empty_typeEEEZZNS1_27merge_sort_block_merge_implIS3_PlPS5_jNS1_19radix_merge_compareILb1ELb0ElNS0_19identity_decomposerEEEEE10hipError_tT0_T1_T2_jT3_P12ihipStream_tbPNSt15iterator_traitsISE_E10value_typeEPNSK_ISF_E10value_typeEPSG_NS1_7vsmem_tEENKUlT_SE_SF_SG_E_clIS8_S8_S9_S9_EESD_ST_SE_SF_SG_EUlST_E_NS1_11comp_targetILNS1_3genE5ELNS1_11target_archE942ELNS1_3gpuE9ELNS1_3repE0EEENS1_48merge_mergepath_partition_config_static_selectorELNS0_4arch9wavefront6targetE1EEEvSF_: ; @_ZN7rocprim17ROCPRIM_400000_NS6detail17trampoline_kernelINS0_14default_configENS1_38merge_sort_block_merge_config_selectorIlNS0_10empty_typeEEEZZNS1_27merge_sort_block_merge_implIS3_PlPS5_jNS1_19radix_merge_compareILb1ELb0ElNS0_19identity_decomposerEEEEE10hipError_tT0_T1_T2_jT3_P12ihipStream_tbPNSt15iterator_traitsISE_E10value_typeEPNSK_ISF_E10value_typeEPSG_NS1_7vsmem_tEENKUlT_SE_SF_SG_E_clIS8_S8_S9_S9_EESD_ST_SE_SF_SG_EUlST_E_NS1_11comp_targetILNS1_3genE5ELNS1_11target_archE942ELNS1_3gpuE9ELNS1_3repE0EEENS1_48merge_mergepath_partition_config_static_selectorELNS0_4arch9wavefront6targetE1EEEvSF_
; %bb.0:
	.section	.rodata,"a",@progbits
	.p2align	6, 0x0
	.amdhsa_kernel _ZN7rocprim17ROCPRIM_400000_NS6detail17trampoline_kernelINS0_14default_configENS1_38merge_sort_block_merge_config_selectorIlNS0_10empty_typeEEEZZNS1_27merge_sort_block_merge_implIS3_PlPS5_jNS1_19radix_merge_compareILb1ELb0ElNS0_19identity_decomposerEEEEE10hipError_tT0_T1_T2_jT3_P12ihipStream_tbPNSt15iterator_traitsISE_E10value_typeEPNSK_ISF_E10value_typeEPSG_NS1_7vsmem_tEENKUlT_SE_SF_SG_E_clIS8_S8_S9_S9_EESD_ST_SE_SF_SG_EUlST_E_NS1_11comp_targetILNS1_3genE5ELNS1_11target_archE942ELNS1_3gpuE9ELNS1_3repE0EEENS1_48merge_mergepath_partition_config_static_selectorELNS0_4arch9wavefront6targetE1EEEvSF_
		.amdhsa_group_segment_fixed_size 0
		.amdhsa_private_segment_fixed_size 0
		.amdhsa_kernarg_size 40
		.amdhsa_user_sgpr_count 6
		.amdhsa_user_sgpr_private_segment_buffer 1
		.amdhsa_user_sgpr_dispatch_ptr 0
		.amdhsa_user_sgpr_queue_ptr 0
		.amdhsa_user_sgpr_kernarg_segment_ptr 1
		.amdhsa_user_sgpr_dispatch_id 0
		.amdhsa_user_sgpr_flat_scratch_init 0
		.amdhsa_user_sgpr_kernarg_preload_length 0
		.amdhsa_user_sgpr_kernarg_preload_offset 0
		.amdhsa_user_sgpr_private_segment_size 0
		.amdhsa_uses_dynamic_stack 0
		.amdhsa_system_sgpr_private_segment_wavefront_offset 0
		.amdhsa_system_sgpr_workgroup_id_x 1
		.amdhsa_system_sgpr_workgroup_id_y 0
		.amdhsa_system_sgpr_workgroup_id_z 0
		.amdhsa_system_sgpr_workgroup_info 0
		.amdhsa_system_vgpr_workitem_id 0
		.amdhsa_next_free_vgpr 1
		.amdhsa_next_free_sgpr 0
		.amdhsa_accum_offset 4
		.amdhsa_reserve_vcc 0
		.amdhsa_reserve_flat_scratch 0
		.amdhsa_float_round_mode_32 0
		.amdhsa_float_round_mode_16_64 0
		.amdhsa_float_denorm_mode_32 3
		.amdhsa_float_denorm_mode_16_64 3
		.amdhsa_dx10_clamp 1
		.amdhsa_ieee_mode 1
		.amdhsa_fp16_overflow 0
		.amdhsa_tg_split 0
		.amdhsa_exception_fp_ieee_invalid_op 0
		.amdhsa_exception_fp_denorm_src 0
		.amdhsa_exception_fp_ieee_div_zero 0
		.amdhsa_exception_fp_ieee_overflow 0
		.amdhsa_exception_fp_ieee_underflow 0
		.amdhsa_exception_fp_ieee_inexact 0
		.amdhsa_exception_int_div_zero 0
	.end_amdhsa_kernel
	.section	.text._ZN7rocprim17ROCPRIM_400000_NS6detail17trampoline_kernelINS0_14default_configENS1_38merge_sort_block_merge_config_selectorIlNS0_10empty_typeEEEZZNS1_27merge_sort_block_merge_implIS3_PlPS5_jNS1_19radix_merge_compareILb1ELb0ElNS0_19identity_decomposerEEEEE10hipError_tT0_T1_T2_jT3_P12ihipStream_tbPNSt15iterator_traitsISE_E10value_typeEPNSK_ISF_E10value_typeEPSG_NS1_7vsmem_tEENKUlT_SE_SF_SG_E_clIS8_S8_S9_S9_EESD_ST_SE_SF_SG_EUlST_E_NS1_11comp_targetILNS1_3genE5ELNS1_11target_archE942ELNS1_3gpuE9ELNS1_3repE0EEENS1_48merge_mergepath_partition_config_static_selectorELNS0_4arch9wavefront6targetE1EEEvSF_,"axG",@progbits,_ZN7rocprim17ROCPRIM_400000_NS6detail17trampoline_kernelINS0_14default_configENS1_38merge_sort_block_merge_config_selectorIlNS0_10empty_typeEEEZZNS1_27merge_sort_block_merge_implIS3_PlPS5_jNS1_19radix_merge_compareILb1ELb0ElNS0_19identity_decomposerEEEEE10hipError_tT0_T1_T2_jT3_P12ihipStream_tbPNSt15iterator_traitsISE_E10value_typeEPNSK_ISF_E10value_typeEPSG_NS1_7vsmem_tEENKUlT_SE_SF_SG_E_clIS8_S8_S9_S9_EESD_ST_SE_SF_SG_EUlST_E_NS1_11comp_targetILNS1_3genE5ELNS1_11target_archE942ELNS1_3gpuE9ELNS1_3repE0EEENS1_48merge_mergepath_partition_config_static_selectorELNS0_4arch9wavefront6targetE1EEEvSF_,comdat
.Lfunc_end2134:
	.size	_ZN7rocprim17ROCPRIM_400000_NS6detail17trampoline_kernelINS0_14default_configENS1_38merge_sort_block_merge_config_selectorIlNS0_10empty_typeEEEZZNS1_27merge_sort_block_merge_implIS3_PlPS5_jNS1_19radix_merge_compareILb1ELb0ElNS0_19identity_decomposerEEEEE10hipError_tT0_T1_T2_jT3_P12ihipStream_tbPNSt15iterator_traitsISE_E10value_typeEPNSK_ISF_E10value_typeEPSG_NS1_7vsmem_tEENKUlT_SE_SF_SG_E_clIS8_S8_S9_S9_EESD_ST_SE_SF_SG_EUlST_E_NS1_11comp_targetILNS1_3genE5ELNS1_11target_archE942ELNS1_3gpuE9ELNS1_3repE0EEENS1_48merge_mergepath_partition_config_static_selectorELNS0_4arch9wavefront6targetE1EEEvSF_, .Lfunc_end2134-_ZN7rocprim17ROCPRIM_400000_NS6detail17trampoline_kernelINS0_14default_configENS1_38merge_sort_block_merge_config_selectorIlNS0_10empty_typeEEEZZNS1_27merge_sort_block_merge_implIS3_PlPS5_jNS1_19radix_merge_compareILb1ELb0ElNS0_19identity_decomposerEEEEE10hipError_tT0_T1_T2_jT3_P12ihipStream_tbPNSt15iterator_traitsISE_E10value_typeEPNSK_ISF_E10value_typeEPSG_NS1_7vsmem_tEENKUlT_SE_SF_SG_E_clIS8_S8_S9_S9_EESD_ST_SE_SF_SG_EUlST_E_NS1_11comp_targetILNS1_3genE5ELNS1_11target_archE942ELNS1_3gpuE9ELNS1_3repE0EEENS1_48merge_mergepath_partition_config_static_selectorELNS0_4arch9wavefront6targetE1EEEvSF_
                                        ; -- End function
	.section	.AMDGPU.csdata,"",@progbits
; Kernel info:
; codeLenInByte = 0
; NumSgprs: 4
; NumVgprs: 0
; NumAgprs: 0
; TotalNumVgprs: 0
; ScratchSize: 0
; MemoryBound: 0
; FloatMode: 240
; IeeeMode: 1
; LDSByteSize: 0 bytes/workgroup (compile time only)
; SGPRBlocks: 0
; VGPRBlocks: 0
; NumSGPRsForWavesPerEU: 4
; NumVGPRsForWavesPerEU: 1
; AccumOffset: 4
; Occupancy: 8
; WaveLimiterHint : 0
; COMPUTE_PGM_RSRC2:SCRATCH_EN: 0
; COMPUTE_PGM_RSRC2:USER_SGPR: 6
; COMPUTE_PGM_RSRC2:TRAP_HANDLER: 0
; COMPUTE_PGM_RSRC2:TGID_X_EN: 1
; COMPUTE_PGM_RSRC2:TGID_Y_EN: 0
; COMPUTE_PGM_RSRC2:TGID_Z_EN: 0
; COMPUTE_PGM_RSRC2:TIDIG_COMP_CNT: 0
; COMPUTE_PGM_RSRC3_GFX90A:ACCUM_OFFSET: 0
; COMPUTE_PGM_RSRC3_GFX90A:TG_SPLIT: 0
	.section	.text._ZN7rocprim17ROCPRIM_400000_NS6detail17trampoline_kernelINS0_14default_configENS1_38merge_sort_block_merge_config_selectorIlNS0_10empty_typeEEEZZNS1_27merge_sort_block_merge_implIS3_PlPS5_jNS1_19radix_merge_compareILb1ELb0ElNS0_19identity_decomposerEEEEE10hipError_tT0_T1_T2_jT3_P12ihipStream_tbPNSt15iterator_traitsISE_E10value_typeEPNSK_ISF_E10value_typeEPSG_NS1_7vsmem_tEENKUlT_SE_SF_SG_E_clIS8_S8_S9_S9_EESD_ST_SE_SF_SG_EUlST_E_NS1_11comp_targetILNS1_3genE4ELNS1_11target_archE910ELNS1_3gpuE8ELNS1_3repE0EEENS1_48merge_mergepath_partition_config_static_selectorELNS0_4arch9wavefront6targetE1EEEvSF_,"axG",@progbits,_ZN7rocprim17ROCPRIM_400000_NS6detail17trampoline_kernelINS0_14default_configENS1_38merge_sort_block_merge_config_selectorIlNS0_10empty_typeEEEZZNS1_27merge_sort_block_merge_implIS3_PlPS5_jNS1_19radix_merge_compareILb1ELb0ElNS0_19identity_decomposerEEEEE10hipError_tT0_T1_T2_jT3_P12ihipStream_tbPNSt15iterator_traitsISE_E10value_typeEPNSK_ISF_E10value_typeEPSG_NS1_7vsmem_tEENKUlT_SE_SF_SG_E_clIS8_S8_S9_S9_EESD_ST_SE_SF_SG_EUlST_E_NS1_11comp_targetILNS1_3genE4ELNS1_11target_archE910ELNS1_3gpuE8ELNS1_3repE0EEENS1_48merge_mergepath_partition_config_static_selectorELNS0_4arch9wavefront6targetE1EEEvSF_,comdat
	.protected	_ZN7rocprim17ROCPRIM_400000_NS6detail17trampoline_kernelINS0_14default_configENS1_38merge_sort_block_merge_config_selectorIlNS0_10empty_typeEEEZZNS1_27merge_sort_block_merge_implIS3_PlPS5_jNS1_19radix_merge_compareILb1ELb0ElNS0_19identity_decomposerEEEEE10hipError_tT0_T1_T2_jT3_P12ihipStream_tbPNSt15iterator_traitsISE_E10value_typeEPNSK_ISF_E10value_typeEPSG_NS1_7vsmem_tEENKUlT_SE_SF_SG_E_clIS8_S8_S9_S9_EESD_ST_SE_SF_SG_EUlST_E_NS1_11comp_targetILNS1_3genE4ELNS1_11target_archE910ELNS1_3gpuE8ELNS1_3repE0EEENS1_48merge_mergepath_partition_config_static_selectorELNS0_4arch9wavefront6targetE1EEEvSF_ ; -- Begin function _ZN7rocprim17ROCPRIM_400000_NS6detail17trampoline_kernelINS0_14default_configENS1_38merge_sort_block_merge_config_selectorIlNS0_10empty_typeEEEZZNS1_27merge_sort_block_merge_implIS3_PlPS5_jNS1_19radix_merge_compareILb1ELb0ElNS0_19identity_decomposerEEEEE10hipError_tT0_T1_T2_jT3_P12ihipStream_tbPNSt15iterator_traitsISE_E10value_typeEPNSK_ISF_E10value_typeEPSG_NS1_7vsmem_tEENKUlT_SE_SF_SG_E_clIS8_S8_S9_S9_EESD_ST_SE_SF_SG_EUlST_E_NS1_11comp_targetILNS1_3genE4ELNS1_11target_archE910ELNS1_3gpuE8ELNS1_3repE0EEENS1_48merge_mergepath_partition_config_static_selectorELNS0_4arch9wavefront6targetE1EEEvSF_
	.globl	_ZN7rocprim17ROCPRIM_400000_NS6detail17trampoline_kernelINS0_14default_configENS1_38merge_sort_block_merge_config_selectorIlNS0_10empty_typeEEEZZNS1_27merge_sort_block_merge_implIS3_PlPS5_jNS1_19radix_merge_compareILb1ELb0ElNS0_19identity_decomposerEEEEE10hipError_tT0_T1_T2_jT3_P12ihipStream_tbPNSt15iterator_traitsISE_E10value_typeEPNSK_ISF_E10value_typeEPSG_NS1_7vsmem_tEENKUlT_SE_SF_SG_E_clIS8_S8_S9_S9_EESD_ST_SE_SF_SG_EUlST_E_NS1_11comp_targetILNS1_3genE4ELNS1_11target_archE910ELNS1_3gpuE8ELNS1_3repE0EEENS1_48merge_mergepath_partition_config_static_selectorELNS0_4arch9wavefront6targetE1EEEvSF_
	.p2align	8
	.type	_ZN7rocprim17ROCPRIM_400000_NS6detail17trampoline_kernelINS0_14default_configENS1_38merge_sort_block_merge_config_selectorIlNS0_10empty_typeEEEZZNS1_27merge_sort_block_merge_implIS3_PlPS5_jNS1_19radix_merge_compareILb1ELb0ElNS0_19identity_decomposerEEEEE10hipError_tT0_T1_T2_jT3_P12ihipStream_tbPNSt15iterator_traitsISE_E10value_typeEPNSK_ISF_E10value_typeEPSG_NS1_7vsmem_tEENKUlT_SE_SF_SG_E_clIS8_S8_S9_S9_EESD_ST_SE_SF_SG_EUlST_E_NS1_11comp_targetILNS1_3genE4ELNS1_11target_archE910ELNS1_3gpuE8ELNS1_3repE0EEENS1_48merge_mergepath_partition_config_static_selectorELNS0_4arch9wavefront6targetE1EEEvSF_,@function
_ZN7rocprim17ROCPRIM_400000_NS6detail17trampoline_kernelINS0_14default_configENS1_38merge_sort_block_merge_config_selectorIlNS0_10empty_typeEEEZZNS1_27merge_sort_block_merge_implIS3_PlPS5_jNS1_19radix_merge_compareILb1ELb0ElNS0_19identity_decomposerEEEEE10hipError_tT0_T1_T2_jT3_P12ihipStream_tbPNSt15iterator_traitsISE_E10value_typeEPNSK_ISF_E10value_typeEPSG_NS1_7vsmem_tEENKUlT_SE_SF_SG_E_clIS8_S8_S9_S9_EESD_ST_SE_SF_SG_EUlST_E_NS1_11comp_targetILNS1_3genE4ELNS1_11target_archE910ELNS1_3gpuE8ELNS1_3repE0EEENS1_48merge_mergepath_partition_config_static_selectorELNS0_4arch9wavefront6targetE1EEEvSF_: ; @_ZN7rocprim17ROCPRIM_400000_NS6detail17trampoline_kernelINS0_14default_configENS1_38merge_sort_block_merge_config_selectorIlNS0_10empty_typeEEEZZNS1_27merge_sort_block_merge_implIS3_PlPS5_jNS1_19radix_merge_compareILb1ELb0ElNS0_19identity_decomposerEEEEE10hipError_tT0_T1_T2_jT3_P12ihipStream_tbPNSt15iterator_traitsISE_E10value_typeEPNSK_ISF_E10value_typeEPSG_NS1_7vsmem_tEENKUlT_SE_SF_SG_E_clIS8_S8_S9_S9_EESD_ST_SE_SF_SG_EUlST_E_NS1_11comp_targetILNS1_3genE4ELNS1_11target_archE910ELNS1_3gpuE8ELNS1_3repE0EEENS1_48merge_mergepath_partition_config_static_selectorELNS0_4arch9wavefront6targetE1EEEvSF_
; %bb.0:
	s_load_dword s0, s[4:5], 0x0
	v_lshl_or_b32 v0, s6, 7, v0
	s_waitcnt lgkmcnt(0)
	v_cmp_gt_u32_e32 vcc, s0, v0
	s_and_saveexec_b64 s[0:1], vcc
	s_cbranch_execz .LBB2135_6
; %bb.1:
	s_load_dwordx2 s[2:3], s[4:5], 0x4
	s_load_dwordx2 s[0:1], s[4:5], 0x20
	s_waitcnt lgkmcnt(0)
	s_lshr_b32 s6, s2, 9
	s_and_b32 s6, s6, 0x7ffffe
	s_add_i32 s7, s6, -1
	s_sub_i32 s6, 0, s6
	v_and_b32_e32 v1, s6, v0
	v_lshlrev_b32_e32 v1, 10, v1
	v_min_u32_e32 v2, s3, v1
	v_add_u32_e32 v1, s2, v1
	v_min_u32_e32 v4, s3, v1
	v_add_u32_e32 v1, s2, v4
	v_and_b32_e32 v3, s7, v0
	v_min_u32_e32 v1, s3, v1
	v_sub_u32_e32 v5, v1, v2
	v_lshlrev_b32_e32 v3, 10, v3
	v_min_u32_e32 v6, v5, v3
	v_sub_u32_e32 v3, v4, v2
	v_sub_u32_e32 v1, v1, v4
	v_sub_u32_e64 v1, v6, v1 clamp
	v_min_u32_e32 v7, v6, v3
	v_cmp_lt_u32_e32 vcc, v1, v7
	s_and_saveexec_b64 s[2:3], vcc
	s_cbranch_execz .LBB2135_5
; %bb.2:
	s_load_dwordx2 s[4:5], s[4:5], 0x10
	v_mov_b32_e32 v5, 0
	v_mov_b32_e32 v3, v5
	v_lshlrev_b64 v[8:9], 3, v[2:3]
	v_lshlrev_b64 v[10:11], 3, v[4:5]
	s_waitcnt lgkmcnt(0)
	v_mov_b32_e32 v12, s5
	v_add_co_u32_e32 v3, vcc, s4, v8
	v_addc_co_u32_e32 v8, vcc, v12, v9, vcc
	v_add_co_u32_e32 v9, vcc, s4, v10
	v_addc_co_u32_e32 v10, vcc, v12, v11, vcc
	s_mov_b64 s[4:5], 0
.LBB2135_3:                             ; =>This Inner Loop Header: Depth=1
	v_add_u32_e32 v4, v7, v1
	v_lshrrev_b32_e32 v4, 1, v4
	v_lshlrev_b64 v[14:15], 3, v[4:5]
	v_mov_b32_e32 v13, v5
	v_xad_u32 v12, v4, -1, v6
	v_add_co_u32_e32 v14, vcc, v3, v14
	v_addc_co_u32_e32 v15, vcc, v8, v15, vcc
	v_lshlrev_b64 v[12:13], 3, v[12:13]
	v_add_co_u32_e32 v12, vcc, v9, v12
	v_addc_co_u32_e32 v13, vcc, v10, v13, vcc
	global_load_dwordx2 v[16:17], v[14:15], off
	global_load_dwordx2 v[18:19], v[12:13], off
	v_add_u32_e32 v11, 1, v4
	s_waitcnt vmcnt(0)
	v_cmp_gt_i64_e32 vcc, v[18:19], v[16:17]
	v_cndmask_b32_e32 v7, v7, v4, vcc
	v_cndmask_b32_e32 v1, v11, v1, vcc
	v_cmp_ge_u32_e32 vcc, v1, v7
	s_or_b64 s[4:5], vcc, s[4:5]
	s_andn2_b64 exec, exec, s[4:5]
	s_cbranch_execnz .LBB2135_3
; %bb.4:
	s_or_b64 exec, exec, s[4:5]
.LBB2135_5:
	s_or_b64 exec, exec, s[2:3]
	v_add_u32_e32 v2, v1, v2
	v_mov_b32_e32 v1, 0
	v_lshlrev_b64 v[0:1], 2, v[0:1]
	v_mov_b32_e32 v3, s1
	v_add_co_u32_e32 v0, vcc, s0, v0
	v_addc_co_u32_e32 v1, vcc, v3, v1, vcc
	global_store_dword v[0:1], v2, off
.LBB2135_6:
	s_endpgm
	.section	.rodata,"a",@progbits
	.p2align	6, 0x0
	.amdhsa_kernel _ZN7rocprim17ROCPRIM_400000_NS6detail17trampoline_kernelINS0_14default_configENS1_38merge_sort_block_merge_config_selectorIlNS0_10empty_typeEEEZZNS1_27merge_sort_block_merge_implIS3_PlPS5_jNS1_19radix_merge_compareILb1ELb0ElNS0_19identity_decomposerEEEEE10hipError_tT0_T1_T2_jT3_P12ihipStream_tbPNSt15iterator_traitsISE_E10value_typeEPNSK_ISF_E10value_typeEPSG_NS1_7vsmem_tEENKUlT_SE_SF_SG_E_clIS8_S8_S9_S9_EESD_ST_SE_SF_SG_EUlST_E_NS1_11comp_targetILNS1_3genE4ELNS1_11target_archE910ELNS1_3gpuE8ELNS1_3repE0EEENS1_48merge_mergepath_partition_config_static_selectorELNS0_4arch9wavefront6targetE1EEEvSF_
		.amdhsa_group_segment_fixed_size 0
		.amdhsa_private_segment_fixed_size 0
		.amdhsa_kernarg_size 40
		.amdhsa_user_sgpr_count 6
		.amdhsa_user_sgpr_private_segment_buffer 1
		.amdhsa_user_sgpr_dispatch_ptr 0
		.amdhsa_user_sgpr_queue_ptr 0
		.amdhsa_user_sgpr_kernarg_segment_ptr 1
		.amdhsa_user_sgpr_dispatch_id 0
		.amdhsa_user_sgpr_flat_scratch_init 0
		.amdhsa_user_sgpr_kernarg_preload_length 0
		.amdhsa_user_sgpr_kernarg_preload_offset 0
		.amdhsa_user_sgpr_private_segment_size 0
		.amdhsa_uses_dynamic_stack 0
		.amdhsa_system_sgpr_private_segment_wavefront_offset 0
		.amdhsa_system_sgpr_workgroup_id_x 1
		.amdhsa_system_sgpr_workgroup_id_y 0
		.amdhsa_system_sgpr_workgroup_id_z 0
		.amdhsa_system_sgpr_workgroup_info 0
		.amdhsa_system_vgpr_workitem_id 0
		.amdhsa_next_free_vgpr 20
		.amdhsa_next_free_sgpr 8
		.amdhsa_accum_offset 20
		.amdhsa_reserve_vcc 1
		.amdhsa_reserve_flat_scratch 0
		.amdhsa_float_round_mode_32 0
		.amdhsa_float_round_mode_16_64 0
		.amdhsa_float_denorm_mode_32 3
		.amdhsa_float_denorm_mode_16_64 3
		.amdhsa_dx10_clamp 1
		.amdhsa_ieee_mode 1
		.amdhsa_fp16_overflow 0
		.amdhsa_tg_split 0
		.amdhsa_exception_fp_ieee_invalid_op 0
		.amdhsa_exception_fp_denorm_src 0
		.amdhsa_exception_fp_ieee_div_zero 0
		.amdhsa_exception_fp_ieee_overflow 0
		.amdhsa_exception_fp_ieee_underflow 0
		.amdhsa_exception_fp_ieee_inexact 0
		.amdhsa_exception_int_div_zero 0
	.end_amdhsa_kernel
	.section	.text._ZN7rocprim17ROCPRIM_400000_NS6detail17trampoline_kernelINS0_14default_configENS1_38merge_sort_block_merge_config_selectorIlNS0_10empty_typeEEEZZNS1_27merge_sort_block_merge_implIS3_PlPS5_jNS1_19radix_merge_compareILb1ELb0ElNS0_19identity_decomposerEEEEE10hipError_tT0_T1_T2_jT3_P12ihipStream_tbPNSt15iterator_traitsISE_E10value_typeEPNSK_ISF_E10value_typeEPSG_NS1_7vsmem_tEENKUlT_SE_SF_SG_E_clIS8_S8_S9_S9_EESD_ST_SE_SF_SG_EUlST_E_NS1_11comp_targetILNS1_3genE4ELNS1_11target_archE910ELNS1_3gpuE8ELNS1_3repE0EEENS1_48merge_mergepath_partition_config_static_selectorELNS0_4arch9wavefront6targetE1EEEvSF_,"axG",@progbits,_ZN7rocprim17ROCPRIM_400000_NS6detail17trampoline_kernelINS0_14default_configENS1_38merge_sort_block_merge_config_selectorIlNS0_10empty_typeEEEZZNS1_27merge_sort_block_merge_implIS3_PlPS5_jNS1_19radix_merge_compareILb1ELb0ElNS0_19identity_decomposerEEEEE10hipError_tT0_T1_T2_jT3_P12ihipStream_tbPNSt15iterator_traitsISE_E10value_typeEPNSK_ISF_E10value_typeEPSG_NS1_7vsmem_tEENKUlT_SE_SF_SG_E_clIS8_S8_S9_S9_EESD_ST_SE_SF_SG_EUlST_E_NS1_11comp_targetILNS1_3genE4ELNS1_11target_archE910ELNS1_3gpuE8ELNS1_3repE0EEENS1_48merge_mergepath_partition_config_static_selectorELNS0_4arch9wavefront6targetE1EEEvSF_,comdat
.Lfunc_end2135:
	.size	_ZN7rocprim17ROCPRIM_400000_NS6detail17trampoline_kernelINS0_14default_configENS1_38merge_sort_block_merge_config_selectorIlNS0_10empty_typeEEEZZNS1_27merge_sort_block_merge_implIS3_PlPS5_jNS1_19radix_merge_compareILb1ELb0ElNS0_19identity_decomposerEEEEE10hipError_tT0_T1_T2_jT3_P12ihipStream_tbPNSt15iterator_traitsISE_E10value_typeEPNSK_ISF_E10value_typeEPSG_NS1_7vsmem_tEENKUlT_SE_SF_SG_E_clIS8_S8_S9_S9_EESD_ST_SE_SF_SG_EUlST_E_NS1_11comp_targetILNS1_3genE4ELNS1_11target_archE910ELNS1_3gpuE8ELNS1_3repE0EEENS1_48merge_mergepath_partition_config_static_selectorELNS0_4arch9wavefront6targetE1EEEvSF_, .Lfunc_end2135-_ZN7rocprim17ROCPRIM_400000_NS6detail17trampoline_kernelINS0_14default_configENS1_38merge_sort_block_merge_config_selectorIlNS0_10empty_typeEEEZZNS1_27merge_sort_block_merge_implIS3_PlPS5_jNS1_19radix_merge_compareILb1ELb0ElNS0_19identity_decomposerEEEEE10hipError_tT0_T1_T2_jT3_P12ihipStream_tbPNSt15iterator_traitsISE_E10value_typeEPNSK_ISF_E10value_typeEPSG_NS1_7vsmem_tEENKUlT_SE_SF_SG_E_clIS8_S8_S9_S9_EESD_ST_SE_SF_SG_EUlST_E_NS1_11comp_targetILNS1_3genE4ELNS1_11target_archE910ELNS1_3gpuE8ELNS1_3repE0EEENS1_48merge_mergepath_partition_config_static_selectorELNS0_4arch9wavefront6targetE1EEEvSF_
                                        ; -- End function
	.section	.AMDGPU.csdata,"",@progbits
; Kernel info:
; codeLenInByte = 360
; NumSgprs: 12
; NumVgprs: 20
; NumAgprs: 0
; TotalNumVgprs: 20
; ScratchSize: 0
; MemoryBound: 0
; FloatMode: 240
; IeeeMode: 1
; LDSByteSize: 0 bytes/workgroup (compile time only)
; SGPRBlocks: 1
; VGPRBlocks: 2
; NumSGPRsForWavesPerEU: 12
; NumVGPRsForWavesPerEU: 20
; AccumOffset: 20
; Occupancy: 8
; WaveLimiterHint : 0
; COMPUTE_PGM_RSRC2:SCRATCH_EN: 0
; COMPUTE_PGM_RSRC2:USER_SGPR: 6
; COMPUTE_PGM_RSRC2:TRAP_HANDLER: 0
; COMPUTE_PGM_RSRC2:TGID_X_EN: 1
; COMPUTE_PGM_RSRC2:TGID_Y_EN: 0
; COMPUTE_PGM_RSRC2:TGID_Z_EN: 0
; COMPUTE_PGM_RSRC2:TIDIG_COMP_CNT: 0
; COMPUTE_PGM_RSRC3_GFX90A:ACCUM_OFFSET: 4
; COMPUTE_PGM_RSRC3_GFX90A:TG_SPLIT: 0
	.section	.text._ZN7rocprim17ROCPRIM_400000_NS6detail17trampoline_kernelINS0_14default_configENS1_38merge_sort_block_merge_config_selectorIlNS0_10empty_typeEEEZZNS1_27merge_sort_block_merge_implIS3_PlPS5_jNS1_19radix_merge_compareILb1ELb0ElNS0_19identity_decomposerEEEEE10hipError_tT0_T1_T2_jT3_P12ihipStream_tbPNSt15iterator_traitsISE_E10value_typeEPNSK_ISF_E10value_typeEPSG_NS1_7vsmem_tEENKUlT_SE_SF_SG_E_clIS8_S8_S9_S9_EESD_ST_SE_SF_SG_EUlST_E_NS1_11comp_targetILNS1_3genE3ELNS1_11target_archE908ELNS1_3gpuE7ELNS1_3repE0EEENS1_48merge_mergepath_partition_config_static_selectorELNS0_4arch9wavefront6targetE1EEEvSF_,"axG",@progbits,_ZN7rocprim17ROCPRIM_400000_NS6detail17trampoline_kernelINS0_14default_configENS1_38merge_sort_block_merge_config_selectorIlNS0_10empty_typeEEEZZNS1_27merge_sort_block_merge_implIS3_PlPS5_jNS1_19radix_merge_compareILb1ELb0ElNS0_19identity_decomposerEEEEE10hipError_tT0_T1_T2_jT3_P12ihipStream_tbPNSt15iterator_traitsISE_E10value_typeEPNSK_ISF_E10value_typeEPSG_NS1_7vsmem_tEENKUlT_SE_SF_SG_E_clIS8_S8_S9_S9_EESD_ST_SE_SF_SG_EUlST_E_NS1_11comp_targetILNS1_3genE3ELNS1_11target_archE908ELNS1_3gpuE7ELNS1_3repE0EEENS1_48merge_mergepath_partition_config_static_selectorELNS0_4arch9wavefront6targetE1EEEvSF_,comdat
	.protected	_ZN7rocprim17ROCPRIM_400000_NS6detail17trampoline_kernelINS0_14default_configENS1_38merge_sort_block_merge_config_selectorIlNS0_10empty_typeEEEZZNS1_27merge_sort_block_merge_implIS3_PlPS5_jNS1_19radix_merge_compareILb1ELb0ElNS0_19identity_decomposerEEEEE10hipError_tT0_T1_T2_jT3_P12ihipStream_tbPNSt15iterator_traitsISE_E10value_typeEPNSK_ISF_E10value_typeEPSG_NS1_7vsmem_tEENKUlT_SE_SF_SG_E_clIS8_S8_S9_S9_EESD_ST_SE_SF_SG_EUlST_E_NS1_11comp_targetILNS1_3genE3ELNS1_11target_archE908ELNS1_3gpuE7ELNS1_3repE0EEENS1_48merge_mergepath_partition_config_static_selectorELNS0_4arch9wavefront6targetE1EEEvSF_ ; -- Begin function _ZN7rocprim17ROCPRIM_400000_NS6detail17trampoline_kernelINS0_14default_configENS1_38merge_sort_block_merge_config_selectorIlNS0_10empty_typeEEEZZNS1_27merge_sort_block_merge_implIS3_PlPS5_jNS1_19radix_merge_compareILb1ELb0ElNS0_19identity_decomposerEEEEE10hipError_tT0_T1_T2_jT3_P12ihipStream_tbPNSt15iterator_traitsISE_E10value_typeEPNSK_ISF_E10value_typeEPSG_NS1_7vsmem_tEENKUlT_SE_SF_SG_E_clIS8_S8_S9_S9_EESD_ST_SE_SF_SG_EUlST_E_NS1_11comp_targetILNS1_3genE3ELNS1_11target_archE908ELNS1_3gpuE7ELNS1_3repE0EEENS1_48merge_mergepath_partition_config_static_selectorELNS0_4arch9wavefront6targetE1EEEvSF_
	.globl	_ZN7rocprim17ROCPRIM_400000_NS6detail17trampoline_kernelINS0_14default_configENS1_38merge_sort_block_merge_config_selectorIlNS0_10empty_typeEEEZZNS1_27merge_sort_block_merge_implIS3_PlPS5_jNS1_19radix_merge_compareILb1ELb0ElNS0_19identity_decomposerEEEEE10hipError_tT0_T1_T2_jT3_P12ihipStream_tbPNSt15iterator_traitsISE_E10value_typeEPNSK_ISF_E10value_typeEPSG_NS1_7vsmem_tEENKUlT_SE_SF_SG_E_clIS8_S8_S9_S9_EESD_ST_SE_SF_SG_EUlST_E_NS1_11comp_targetILNS1_3genE3ELNS1_11target_archE908ELNS1_3gpuE7ELNS1_3repE0EEENS1_48merge_mergepath_partition_config_static_selectorELNS0_4arch9wavefront6targetE1EEEvSF_
	.p2align	8
	.type	_ZN7rocprim17ROCPRIM_400000_NS6detail17trampoline_kernelINS0_14default_configENS1_38merge_sort_block_merge_config_selectorIlNS0_10empty_typeEEEZZNS1_27merge_sort_block_merge_implIS3_PlPS5_jNS1_19radix_merge_compareILb1ELb0ElNS0_19identity_decomposerEEEEE10hipError_tT0_T1_T2_jT3_P12ihipStream_tbPNSt15iterator_traitsISE_E10value_typeEPNSK_ISF_E10value_typeEPSG_NS1_7vsmem_tEENKUlT_SE_SF_SG_E_clIS8_S8_S9_S9_EESD_ST_SE_SF_SG_EUlST_E_NS1_11comp_targetILNS1_3genE3ELNS1_11target_archE908ELNS1_3gpuE7ELNS1_3repE0EEENS1_48merge_mergepath_partition_config_static_selectorELNS0_4arch9wavefront6targetE1EEEvSF_,@function
_ZN7rocprim17ROCPRIM_400000_NS6detail17trampoline_kernelINS0_14default_configENS1_38merge_sort_block_merge_config_selectorIlNS0_10empty_typeEEEZZNS1_27merge_sort_block_merge_implIS3_PlPS5_jNS1_19radix_merge_compareILb1ELb0ElNS0_19identity_decomposerEEEEE10hipError_tT0_T1_T2_jT3_P12ihipStream_tbPNSt15iterator_traitsISE_E10value_typeEPNSK_ISF_E10value_typeEPSG_NS1_7vsmem_tEENKUlT_SE_SF_SG_E_clIS8_S8_S9_S9_EESD_ST_SE_SF_SG_EUlST_E_NS1_11comp_targetILNS1_3genE3ELNS1_11target_archE908ELNS1_3gpuE7ELNS1_3repE0EEENS1_48merge_mergepath_partition_config_static_selectorELNS0_4arch9wavefront6targetE1EEEvSF_: ; @_ZN7rocprim17ROCPRIM_400000_NS6detail17trampoline_kernelINS0_14default_configENS1_38merge_sort_block_merge_config_selectorIlNS0_10empty_typeEEEZZNS1_27merge_sort_block_merge_implIS3_PlPS5_jNS1_19radix_merge_compareILb1ELb0ElNS0_19identity_decomposerEEEEE10hipError_tT0_T1_T2_jT3_P12ihipStream_tbPNSt15iterator_traitsISE_E10value_typeEPNSK_ISF_E10value_typeEPSG_NS1_7vsmem_tEENKUlT_SE_SF_SG_E_clIS8_S8_S9_S9_EESD_ST_SE_SF_SG_EUlST_E_NS1_11comp_targetILNS1_3genE3ELNS1_11target_archE908ELNS1_3gpuE7ELNS1_3repE0EEENS1_48merge_mergepath_partition_config_static_selectorELNS0_4arch9wavefront6targetE1EEEvSF_
; %bb.0:
	.section	.rodata,"a",@progbits
	.p2align	6, 0x0
	.amdhsa_kernel _ZN7rocprim17ROCPRIM_400000_NS6detail17trampoline_kernelINS0_14default_configENS1_38merge_sort_block_merge_config_selectorIlNS0_10empty_typeEEEZZNS1_27merge_sort_block_merge_implIS3_PlPS5_jNS1_19radix_merge_compareILb1ELb0ElNS0_19identity_decomposerEEEEE10hipError_tT0_T1_T2_jT3_P12ihipStream_tbPNSt15iterator_traitsISE_E10value_typeEPNSK_ISF_E10value_typeEPSG_NS1_7vsmem_tEENKUlT_SE_SF_SG_E_clIS8_S8_S9_S9_EESD_ST_SE_SF_SG_EUlST_E_NS1_11comp_targetILNS1_3genE3ELNS1_11target_archE908ELNS1_3gpuE7ELNS1_3repE0EEENS1_48merge_mergepath_partition_config_static_selectorELNS0_4arch9wavefront6targetE1EEEvSF_
		.amdhsa_group_segment_fixed_size 0
		.amdhsa_private_segment_fixed_size 0
		.amdhsa_kernarg_size 40
		.amdhsa_user_sgpr_count 6
		.amdhsa_user_sgpr_private_segment_buffer 1
		.amdhsa_user_sgpr_dispatch_ptr 0
		.amdhsa_user_sgpr_queue_ptr 0
		.amdhsa_user_sgpr_kernarg_segment_ptr 1
		.amdhsa_user_sgpr_dispatch_id 0
		.amdhsa_user_sgpr_flat_scratch_init 0
		.amdhsa_user_sgpr_kernarg_preload_length 0
		.amdhsa_user_sgpr_kernarg_preload_offset 0
		.amdhsa_user_sgpr_private_segment_size 0
		.amdhsa_uses_dynamic_stack 0
		.amdhsa_system_sgpr_private_segment_wavefront_offset 0
		.amdhsa_system_sgpr_workgroup_id_x 1
		.amdhsa_system_sgpr_workgroup_id_y 0
		.amdhsa_system_sgpr_workgroup_id_z 0
		.amdhsa_system_sgpr_workgroup_info 0
		.amdhsa_system_vgpr_workitem_id 0
		.amdhsa_next_free_vgpr 1
		.amdhsa_next_free_sgpr 0
		.amdhsa_accum_offset 4
		.amdhsa_reserve_vcc 0
		.amdhsa_reserve_flat_scratch 0
		.amdhsa_float_round_mode_32 0
		.amdhsa_float_round_mode_16_64 0
		.amdhsa_float_denorm_mode_32 3
		.amdhsa_float_denorm_mode_16_64 3
		.amdhsa_dx10_clamp 1
		.amdhsa_ieee_mode 1
		.amdhsa_fp16_overflow 0
		.amdhsa_tg_split 0
		.amdhsa_exception_fp_ieee_invalid_op 0
		.amdhsa_exception_fp_denorm_src 0
		.amdhsa_exception_fp_ieee_div_zero 0
		.amdhsa_exception_fp_ieee_overflow 0
		.amdhsa_exception_fp_ieee_underflow 0
		.amdhsa_exception_fp_ieee_inexact 0
		.amdhsa_exception_int_div_zero 0
	.end_amdhsa_kernel
	.section	.text._ZN7rocprim17ROCPRIM_400000_NS6detail17trampoline_kernelINS0_14default_configENS1_38merge_sort_block_merge_config_selectorIlNS0_10empty_typeEEEZZNS1_27merge_sort_block_merge_implIS3_PlPS5_jNS1_19radix_merge_compareILb1ELb0ElNS0_19identity_decomposerEEEEE10hipError_tT0_T1_T2_jT3_P12ihipStream_tbPNSt15iterator_traitsISE_E10value_typeEPNSK_ISF_E10value_typeEPSG_NS1_7vsmem_tEENKUlT_SE_SF_SG_E_clIS8_S8_S9_S9_EESD_ST_SE_SF_SG_EUlST_E_NS1_11comp_targetILNS1_3genE3ELNS1_11target_archE908ELNS1_3gpuE7ELNS1_3repE0EEENS1_48merge_mergepath_partition_config_static_selectorELNS0_4arch9wavefront6targetE1EEEvSF_,"axG",@progbits,_ZN7rocprim17ROCPRIM_400000_NS6detail17trampoline_kernelINS0_14default_configENS1_38merge_sort_block_merge_config_selectorIlNS0_10empty_typeEEEZZNS1_27merge_sort_block_merge_implIS3_PlPS5_jNS1_19radix_merge_compareILb1ELb0ElNS0_19identity_decomposerEEEEE10hipError_tT0_T1_T2_jT3_P12ihipStream_tbPNSt15iterator_traitsISE_E10value_typeEPNSK_ISF_E10value_typeEPSG_NS1_7vsmem_tEENKUlT_SE_SF_SG_E_clIS8_S8_S9_S9_EESD_ST_SE_SF_SG_EUlST_E_NS1_11comp_targetILNS1_3genE3ELNS1_11target_archE908ELNS1_3gpuE7ELNS1_3repE0EEENS1_48merge_mergepath_partition_config_static_selectorELNS0_4arch9wavefront6targetE1EEEvSF_,comdat
.Lfunc_end2136:
	.size	_ZN7rocprim17ROCPRIM_400000_NS6detail17trampoline_kernelINS0_14default_configENS1_38merge_sort_block_merge_config_selectorIlNS0_10empty_typeEEEZZNS1_27merge_sort_block_merge_implIS3_PlPS5_jNS1_19radix_merge_compareILb1ELb0ElNS0_19identity_decomposerEEEEE10hipError_tT0_T1_T2_jT3_P12ihipStream_tbPNSt15iterator_traitsISE_E10value_typeEPNSK_ISF_E10value_typeEPSG_NS1_7vsmem_tEENKUlT_SE_SF_SG_E_clIS8_S8_S9_S9_EESD_ST_SE_SF_SG_EUlST_E_NS1_11comp_targetILNS1_3genE3ELNS1_11target_archE908ELNS1_3gpuE7ELNS1_3repE0EEENS1_48merge_mergepath_partition_config_static_selectorELNS0_4arch9wavefront6targetE1EEEvSF_, .Lfunc_end2136-_ZN7rocprim17ROCPRIM_400000_NS6detail17trampoline_kernelINS0_14default_configENS1_38merge_sort_block_merge_config_selectorIlNS0_10empty_typeEEEZZNS1_27merge_sort_block_merge_implIS3_PlPS5_jNS1_19radix_merge_compareILb1ELb0ElNS0_19identity_decomposerEEEEE10hipError_tT0_T1_T2_jT3_P12ihipStream_tbPNSt15iterator_traitsISE_E10value_typeEPNSK_ISF_E10value_typeEPSG_NS1_7vsmem_tEENKUlT_SE_SF_SG_E_clIS8_S8_S9_S9_EESD_ST_SE_SF_SG_EUlST_E_NS1_11comp_targetILNS1_3genE3ELNS1_11target_archE908ELNS1_3gpuE7ELNS1_3repE0EEENS1_48merge_mergepath_partition_config_static_selectorELNS0_4arch9wavefront6targetE1EEEvSF_
                                        ; -- End function
	.section	.AMDGPU.csdata,"",@progbits
; Kernel info:
; codeLenInByte = 0
; NumSgprs: 4
; NumVgprs: 0
; NumAgprs: 0
; TotalNumVgprs: 0
; ScratchSize: 0
; MemoryBound: 0
; FloatMode: 240
; IeeeMode: 1
; LDSByteSize: 0 bytes/workgroup (compile time only)
; SGPRBlocks: 0
; VGPRBlocks: 0
; NumSGPRsForWavesPerEU: 4
; NumVGPRsForWavesPerEU: 1
; AccumOffset: 4
; Occupancy: 8
; WaveLimiterHint : 0
; COMPUTE_PGM_RSRC2:SCRATCH_EN: 0
; COMPUTE_PGM_RSRC2:USER_SGPR: 6
; COMPUTE_PGM_RSRC2:TRAP_HANDLER: 0
; COMPUTE_PGM_RSRC2:TGID_X_EN: 1
; COMPUTE_PGM_RSRC2:TGID_Y_EN: 0
; COMPUTE_PGM_RSRC2:TGID_Z_EN: 0
; COMPUTE_PGM_RSRC2:TIDIG_COMP_CNT: 0
; COMPUTE_PGM_RSRC3_GFX90A:ACCUM_OFFSET: 0
; COMPUTE_PGM_RSRC3_GFX90A:TG_SPLIT: 0
	.section	.text._ZN7rocprim17ROCPRIM_400000_NS6detail17trampoline_kernelINS0_14default_configENS1_38merge_sort_block_merge_config_selectorIlNS0_10empty_typeEEEZZNS1_27merge_sort_block_merge_implIS3_PlPS5_jNS1_19radix_merge_compareILb1ELb0ElNS0_19identity_decomposerEEEEE10hipError_tT0_T1_T2_jT3_P12ihipStream_tbPNSt15iterator_traitsISE_E10value_typeEPNSK_ISF_E10value_typeEPSG_NS1_7vsmem_tEENKUlT_SE_SF_SG_E_clIS8_S8_S9_S9_EESD_ST_SE_SF_SG_EUlST_E_NS1_11comp_targetILNS1_3genE2ELNS1_11target_archE906ELNS1_3gpuE6ELNS1_3repE0EEENS1_48merge_mergepath_partition_config_static_selectorELNS0_4arch9wavefront6targetE1EEEvSF_,"axG",@progbits,_ZN7rocprim17ROCPRIM_400000_NS6detail17trampoline_kernelINS0_14default_configENS1_38merge_sort_block_merge_config_selectorIlNS0_10empty_typeEEEZZNS1_27merge_sort_block_merge_implIS3_PlPS5_jNS1_19radix_merge_compareILb1ELb0ElNS0_19identity_decomposerEEEEE10hipError_tT0_T1_T2_jT3_P12ihipStream_tbPNSt15iterator_traitsISE_E10value_typeEPNSK_ISF_E10value_typeEPSG_NS1_7vsmem_tEENKUlT_SE_SF_SG_E_clIS8_S8_S9_S9_EESD_ST_SE_SF_SG_EUlST_E_NS1_11comp_targetILNS1_3genE2ELNS1_11target_archE906ELNS1_3gpuE6ELNS1_3repE0EEENS1_48merge_mergepath_partition_config_static_selectorELNS0_4arch9wavefront6targetE1EEEvSF_,comdat
	.protected	_ZN7rocprim17ROCPRIM_400000_NS6detail17trampoline_kernelINS0_14default_configENS1_38merge_sort_block_merge_config_selectorIlNS0_10empty_typeEEEZZNS1_27merge_sort_block_merge_implIS3_PlPS5_jNS1_19radix_merge_compareILb1ELb0ElNS0_19identity_decomposerEEEEE10hipError_tT0_T1_T2_jT3_P12ihipStream_tbPNSt15iterator_traitsISE_E10value_typeEPNSK_ISF_E10value_typeEPSG_NS1_7vsmem_tEENKUlT_SE_SF_SG_E_clIS8_S8_S9_S9_EESD_ST_SE_SF_SG_EUlST_E_NS1_11comp_targetILNS1_3genE2ELNS1_11target_archE906ELNS1_3gpuE6ELNS1_3repE0EEENS1_48merge_mergepath_partition_config_static_selectorELNS0_4arch9wavefront6targetE1EEEvSF_ ; -- Begin function _ZN7rocprim17ROCPRIM_400000_NS6detail17trampoline_kernelINS0_14default_configENS1_38merge_sort_block_merge_config_selectorIlNS0_10empty_typeEEEZZNS1_27merge_sort_block_merge_implIS3_PlPS5_jNS1_19radix_merge_compareILb1ELb0ElNS0_19identity_decomposerEEEEE10hipError_tT0_T1_T2_jT3_P12ihipStream_tbPNSt15iterator_traitsISE_E10value_typeEPNSK_ISF_E10value_typeEPSG_NS1_7vsmem_tEENKUlT_SE_SF_SG_E_clIS8_S8_S9_S9_EESD_ST_SE_SF_SG_EUlST_E_NS1_11comp_targetILNS1_3genE2ELNS1_11target_archE906ELNS1_3gpuE6ELNS1_3repE0EEENS1_48merge_mergepath_partition_config_static_selectorELNS0_4arch9wavefront6targetE1EEEvSF_
	.globl	_ZN7rocprim17ROCPRIM_400000_NS6detail17trampoline_kernelINS0_14default_configENS1_38merge_sort_block_merge_config_selectorIlNS0_10empty_typeEEEZZNS1_27merge_sort_block_merge_implIS3_PlPS5_jNS1_19radix_merge_compareILb1ELb0ElNS0_19identity_decomposerEEEEE10hipError_tT0_T1_T2_jT3_P12ihipStream_tbPNSt15iterator_traitsISE_E10value_typeEPNSK_ISF_E10value_typeEPSG_NS1_7vsmem_tEENKUlT_SE_SF_SG_E_clIS8_S8_S9_S9_EESD_ST_SE_SF_SG_EUlST_E_NS1_11comp_targetILNS1_3genE2ELNS1_11target_archE906ELNS1_3gpuE6ELNS1_3repE0EEENS1_48merge_mergepath_partition_config_static_selectorELNS0_4arch9wavefront6targetE1EEEvSF_
	.p2align	8
	.type	_ZN7rocprim17ROCPRIM_400000_NS6detail17trampoline_kernelINS0_14default_configENS1_38merge_sort_block_merge_config_selectorIlNS0_10empty_typeEEEZZNS1_27merge_sort_block_merge_implIS3_PlPS5_jNS1_19radix_merge_compareILb1ELb0ElNS0_19identity_decomposerEEEEE10hipError_tT0_T1_T2_jT3_P12ihipStream_tbPNSt15iterator_traitsISE_E10value_typeEPNSK_ISF_E10value_typeEPSG_NS1_7vsmem_tEENKUlT_SE_SF_SG_E_clIS8_S8_S9_S9_EESD_ST_SE_SF_SG_EUlST_E_NS1_11comp_targetILNS1_3genE2ELNS1_11target_archE906ELNS1_3gpuE6ELNS1_3repE0EEENS1_48merge_mergepath_partition_config_static_selectorELNS0_4arch9wavefront6targetE1EEEvSF_,@function
_ZN7rocprim17ROCPRIM_400000_NS6detail17trampoline_kernelINS0_14default_configENS1_38merge_sort_block_merge_config_selectorIlNS0_10empty_typeEEEZZNS1_27merge_sort_block_merge_implIS3_PlPS5_jNS1_19radix_merge_compareILb1ELb0ElNS0_19identity_decomposerEEEEE10hipError_tT0_T1_T2_jT3_P12ihipStream_tbPNSt15iterator_traitsISE_E10value_typeEPNSK_ISF_E10value_typeEPSG_NS1_7vsmem_tEENKUlT_SE_SF_SG_E_clIS8_S8_S9_S9_EESD_ST_SE_SF_SG_EUlST_E_NS1_11comp_targetILNS1_3genE2ELNS1_11target_archE906ELNS1_3gpuE6ELNS1_3repE0EEENS1_48merge_mergepath_partition_config_static_selectorELNS0_4arch9wavefront6targetE1EEEvSF_: ; @_ZN7rocprim17ROCPRIM_400000_NS6detail17trampoline_kernelINS0_14default_configENS1_38merge_sort_block_merge_config_selectorIlNS0_10empty_typeEEEZZNS1_27merge_sort_block_merge_implIS3_PlPS5_jNS1_19radix_merge_compareILb1ELb0ElNS0_19identity_decomposerEEEEE10hipError_tT0_T1_T2_jT3_P12ihipStream_tbPNSt15iterator_traitsISE_E10value_typeEPNSK_ISF_E10value_typeEPSG_NS1_7vsmem_tEENKUlT_SE_SF_SG_E_clIS8_S8_S9_S9_EESD_ST_SE_SF_SG_EUlST_E_NS1_11comp_targetILNS1_3genE2ELNS1_11target_archE906ELNS1_3gpuE6ELNS1_3repE0EEENS1_48merge_mergepath_partition_config_static_selectorELNS0_4arch9wavefront6targetE1EEEvSF_
; %bb.0:
	.section	.rodata,"a",@progbits
	.p2align	6, 0x0
	.amdhsa_kernel _ZN7rocprim17ROCPRIM_400000_NS6detail17trampoline_kernelINS0_14default_configENS1_38merge_sort_block_merge_config_selectorIlNS0_10empty_typeEEEZZNS1_27merge_sort_block_merge_implIS3_PlPS5_jNS1_19radix_merge_compareILb1ELb0ElNS0_19identity_decomposerEEEEE10hipError_tT0_T1_T2_jT3_P12ihipStream_tbPNSt15iterator_traitsISE_E10value_typeEPNSK_ISF_E10value_typeEPSG_NS1_7vsmem_tEENKUlT_SE_SF_SG_E_clIS8_S8_S9_S9_EESD_ST_SE_SF_SG_EUlST_E_NS1_11comp_targetILNS1_3genE2ELNS1_11target_archE906ELNS1_3gpuE6ELNS1_3repE0EEENS1_48merge_mergepath_partition_config_static_selectorELNS0_4arch9wavefront6targetE1EEEvSF_
		.amdhsa_group_segment_fixed_size 0
		.amdhsa_private_segment_fixed_size 0
		.amdhsa_kernarg_size 40
		.amdhsa_user_sgpr_count 6
		.amdhsa_user_sgpr_private_segment_buffer 1
		.amdhsa_user_sgpr_dispatch_ptr 0
		.amdhsa_user_sgpr_queue_ptr 0
		.amdhsa_user_sgpr_kernarg_segment_ptr 1
		.amdhsa_user_sgpr_dispatch_id 0
		.amdhsa_user_sgpr_flat_scratch_init 0
		.amdhsa_user_sgpr_kernarg_preload_length 0
		.amdhsa_user_sgpr_kernarg_preload_offset 0
		.amdhsa_user_sgpr_private_segment_size 0
		.amdhsa_uses_dynamic_stack 0
		.amdhsa_system_sgpr_private_segment_wavefront_offset 0
		.amdhsa_system_sgpr_workgroup_id_x 1
		.amdhsa_system_sgpr_workgroup_id_y 0
		.amdhsa_system_sgpr_workgroup_id_z 0
		.amdhsa_system_sgpr_workgroup_info 0
		.amdhsa_system_vgpr_workitem_id 0
		.amdhsa_next_free_vgpr 1
		.amdhsa_next_free_sgpr 0
		.amdhsa_accum_offset 4
		.amdhsa_reserve_vcc 0
		.amdhsa_reserve_flat_scratch 0
		.amdhsa_float_round_mode_32 0
		.amdhsa_float_round_mode_16_64 0
		.amdhsa_float_denorm_mode_32 3
		.amdhsa_float_denorm_mode_16_64 3
		.amdhsa_dx10_clamp 1
		.amdhsa_ieee_mode 1
		.amdhsa_fp16_overflow 0
		.amdhsa_tg_split 0
		.amdhsa_exception_fp_ieee_invalid_op 0
		.amdhsa_exception_fp_denorm_src 0
		.amdhsa_exception_fp_ieee_div_zero 0
		.amdhsa_exception_fp_ieee_overflow 0
		.amdhsa_exception_fp_ieee_underflow 0
		.amdhsa_exception_fp_ieee_inexact 0
		.amdhsa_exception_int_div_zero 0
	.end_amdhsa_kernel
	.section	.text._ZN7rocprim17ROCPRIM_400000_NS6detail17trampoline_kernelINS0_14default_configENS1_38merge_sort_block_merge_config_selectorIlNS0_10empty_typeEEEZZNS1_27merge_sort_block_merge_implIS3_PlPS5_jNS1_19radix_merge_compareILb1ELb0ElNS0_19identity_decomposerEEEEE10hipError_tT0_T1_T2_jT3_P12ihipStream_tbPNSt15iterator_traitsISE_E10value_typeEPNSK_ISF_E10value_typeEPSG_NS1_7vsmem_tEENKUlT_SE_SF_SG_E_clIS8_S8_S9_S9_EESD_ST_SE_SF_SG_EUlST_E_NS1_11comp_targetILNS1_3genE2ELNS1_11target_archE906ELNS1_3gpuE6ELNS1_3repE0EEENS1_48merge_mergepath_partition_config_static_selectorELNS0_4arch9wavefront6targetE1EEEvSF_,"axG",@progbits,_ZN7rocprim17ROCPRIM_400000_NS6detail17trampoline_kernelINS0_14default_configENS1_38merge_sort_block_merge_config_selectorIlNS0_10empty_typeEEEZZNS1_27merge_sort_block_merge_implIS3_PlPS5_jNS1_19radix_merge_compareILb1ELb0ElNS0_19identity_decomposerEEEEE10hipError_tT0_T1_T2_jT3_P12ihipStream_tbPNSt15iterator_traitsISE_E10value_typeEPNSK_ISF_E10value_typeEPSG_NS1_7vsmem_tEENKUlT_SE_SF_SG_E_clIS8_S8_S9_S9_EESD_ST_SE_SF_SG_EUlST_E_NS1_11comp_targetILNS1_3genE2ELNS1_11target_archE906ELNS1_3gpuE6ELNS1_3repE0EEENS1_48merge_mergepath_partition_config_static_selectorELNS0_4arch9wavefront6targetE1EEEvSF_,comdat
.Lfunc_end2137:
	.size	_ZN7rocprim17ROCPRIM_400000_NS6detail17trampoline_kernelINS0_14default_configENS1_38merge_sort_block_merge_config_selectorIlNS0_10empty_typeEEEZZNS1_27merge_sort_block_merge_implIS3_PlPS5_jNS1_19radix_merge_compareILb1ELb0ElNS0_19identity_decomposerEEEEE10hipError_tT0_T1_T2_jT3_P12ihipStream_tbPNSt15iterator_traitsISE_E10value_typeEPNSK_ISF_E10value_typeEPSG_NS1_7vsmem_tEENKUlT_SE_SF_SG_E_clIS8_S8_S9_S9_EESD_ST_SE_SF_SG_EUlST_E_NS1_11comp_targetILNS1_3genE2ELNS1_11target_archE906ELNS1_3gpuE6ELNS1_3repE0EEENS1_48merge_mergepath_partition_config_static_selectorELNS0_4arch9wavefront6targetE1EEEvSF_, .Lfunc_end2137-_ZN7rocprim17ROCPRIM_400000_NS6detail17trampoline_kernelINS0_14default_configENS1_38merge_sort_block_merge_config_selectorIlNS0_10empty_typeEEEZZNS1_27merge_sort_block_merge_implIS3_PlPS5_jNS1_19radix_merge_compareILb1ELb0ElNS0_19identity_decomposerEEEEE10hipError_tT0_T1_T2_jT3_P12ihipStream_tbPNSt15iterator_traitsISE_E10value_typeEPNSK_ISF_E10value_typeEPSG_NS1_7vsmem_tEENKUlT_SE_SF_SG_E_clIS8_S8_S9_S9_EESD_ST_SE_SF_SG_EUlST_E_NS1_11comp_targetILNS1_3genE2ELNS1_11target_archE906ELNS1_3gpuE6ELNS1_3repE0EEENS1_48merge_mergepath_partition_config_static_selectorELNS0_4arch9wavefront6targetE1EEEvSF_
                                        ; -- End function
	.section	.AMDGPU.csdata,"",@progbits
; Kernel info:
; codeLenInByte = 0
; NumSgprs: 4
; NumVgprs: 0
; NumAgprs: 0
; TotalNumVgprs: 0
; ScratchSize: 0
; MemoryBound: 0
; FloatMode: 240
; IeeeMode: 1
; LDSByteSize: 0 bytes/workgroup (compile time only)
; SGPRBlocks: 0
; VGPRBlocks: 0
; NumSGPRsForWavesPerEU: 4
; NumVGPRsForWavesPerEU: 1
; AccumOffset: 4
; Occupancy: 8
; WaveLimiterHint : 0
; COMPUTE_PGM_RSRC2:SCRATCH_EN: 0
; COMPUTE_PGM_RSRC2:USER_SGPR: 6
; COMPUTE_PGM_RSRC2:TRAP_HANDLER: 0
; COMPUTE_PGM_RSRC2:TGID_X_EN: 1
; COMPUTE_PGM_RSRC2:TGID_Y_EN: 0
; COMPUTE_PGM_RSRC2:TGID_Z_EN: 0
; COMPUTE_PGM_RSRC2:TIDIG_COMP_CNT: 0
; COMPUTE_PGM_RSRC3_GFX90A:ACCUM_OFFSET: 0
; COMPUTE_PGM_RSRC3_GFX90A:TG_SPLIT: 0
	.section	.text._ZN7rocprim17ROCPRIM_400000_NS6detail17trampoline_kernelINS0_14default_configENS1_38merge_sort_block_merge_config_selectorIlNS0_10empty_typeEEEZZNS1_27merge_sort_block_merge_implIS3_PlPS5_jNS1_19radix_merge_compareILb1ELb0ElNS0_19identity_decomposerEEEEE10hipError_tT0_T1_T2_jT3_P12ihipStream_tbPNSt15iterator_traitsISE_E10value_typeEPNSK_ISF_E10value_typeEPSG_NS1_7vsmem_tEENKUlT_SE_SF_SG_E_clIS8_S8_S9_S9_EESD_ST_SE_SF_SG_EUlST_E_NS1_11comp_targetILNS1_3genE9ELNS1_11target_archE1100ELNS1_3gpuE3ELNS1_3repE0EEENS1_48merge_mergepath_partition_config_static_selectorELNS0_4arch9wavefront6targetE1EEEvSF_,"axG",@progbits,_ZN7rocprim17ROCPRIM_400000_NS6detail17trampoline_kernelINS0_14default_configENS1_38merge_sort_block_merge_config_selectorIlNS0_10empty_typeEEEZZNS1_27merge_sort_block_merge_implIS3_PlPS5_jNS1_19radix_merge_compareILb1ELb0ElNS0_19identity_decomposerEEEEE10hipError_tT0_T1_T2_jT3_P12ihipStream_tbPNSt15iterator_traitsISE_E10value_typeEPNSK_ISF_E10value_typeEPSG_NS1_7vsmem_tEENKUlT_SE_SF_SG_E_clIS8_S8_S9_S9_EESD_ST_SE_SF_SG_EUlST_E_NS1_11comp_targetILNS1_3genE9ELNS1_11target_archE1100ELNS1_3gpuE3ELNS1_3repE0EEENS1_48merge_mergepath_partition_config_static_selectorELNS0_4arch9wavefront6targetE1EEEvSF_,comdat
	.protected	_ZN7rocprim17ROCPRIM_400000_NS6detail17trampoline_kernelINS0_14default_configENS1_38merge_sort_block_merge_config_selectorIlNS0_10empty_typeEEEZZNS1_27merge_sort_block_merge_implIS3_PlPS5_jNS1_19radix_merge_compareILb1ELb0ElNS0_19identity_decomposerEEEEE10hipError_tT0_T1_T2_jT3_P12ihipStream_tbPNSt15iterator_traitsISE_E10value_typeEPNSK_ISF_E10value_typeEPSG_NS1_7vsmem_tEENKUlT_SE_SF_SG_E_clIS8_S8_S9_S9_EESD_ST_SE_SF_SG_EUlST_E_NS1_11comp_targetILNS1_3genE9ELNS1_11target_archE1100ELNS1_3gpuE3ELNS1_3repE0EEENS1_48merge_mergepath_partition_config_static_selectorELNS0_4arch9wavefront6targetE1EEEvSF_ ; -- Begin function _ZN7rocprim17ROCPRIM_400000_NS6detail17trampoline_kernelINS0_14default_configENS1_38merge_sort_block_merge_config_selectorIlNS0_10empty_typeEEEZZNS1_27merge_sort_block_merge_implIS3_PlPS5_jNS1_19radix_merge_compareILb1ELb0ElNS0_19identity_decomposerEEEEE10hipError_tT0_T1_T2_jT3_P12ihipStream_tbPNSt15iterator_traitsISE_E10value_typeEPNSK_ISF_E10value_typeEPSG_NS1_7vsmem_tEENKUlT_SE_SF_SG_E_clIS8_S8_S9_S9_EESD_ST_SE_SF_SG_EUlST_E_NS1_11comp_targetILNS1_3genE9ELNS1_11target_archE1100ELNS1_3gpuE3ELNS1_3repE0EEENS1_48merge_mergepath_partition_config_static_selectorELNS0_4arch9wavefront6targetE1EEEvSF_
	.globl	_ZN7rocprim17ROCPRIM_400000_NS6detail17trampoline_kernelINS0_14default_configENS1_38merge_sort_block_merge_config_selectorIlNS0_10empty_typeEEEZZNS1_27merge_sort_block_merge_implIS3_PlPS5_jNS1_19radix_merge_compareILb1ELb0ElNS0_19identity_decomposerEEEEE10hipError_tT0_T1_T2_jT3_P12ihipStream_tbPNSt15iterator_traitsISE_E10value_typeEPNSK_ISF_E10value_typeEPSG_NS1_7vsmem_tEENKUlT_SE_SF_SG_E_clIS8_S8_S9_S9_EESD_ST_SE_SF_SG_EUlST_E_NS1_11comp_targetILNS1_3genE9ELNS1_11target_archE1100ELNS1_3gpuE3ELNS1_3repE0EEENS1_48merge_mergepath_partition_config_static_selectorELNS0_4arch9wavefront6targetE1EEEvSF_
	.p2align	8
	.type	_ZN7rocprim17ROCPRIM_400000_NS6detail17trampoline_kernelINS0_14default_configENS1_38merge_sort_block_merge_config_selectorIlNS0_10empty_typeEEEZZNS1_27merge_sort_block_merge_implIS3_PlPS5_jNS1_19radix_merge_compareILb1ELb0ElNS0_19identity_decomposerEEEEE10hipError_tT0_T1_T2_jT3_P12ihipStream_tbPNSt15iterator_traitsISE_E10value_typeEPNSK_ISF_E10value_typeEPSG_NS1_7vsmem_tEENKUlT_SE_SF_SG_E_clIS8_S8_S9_S9_EESD_ST_SE_SF_SG_EUlST_E_NS1_11comp_targetILNS1_3genE9ELNS1_11target_archE1100ELNS1_3gpuE3ELNS1_3repE0EEENS1_48merge_mergepath_partition_config_static_selectorELNS0_4arch9wavefront6targetE1EEEvSF_,@function
_ZN7rocprim17ROCPRIM_400000_NS6detail17trampoline_kernelINS0_14default_configENS1_38merge_sort_block_merge_config_selectorIlNS0_10empty_typeEEEZZNS1_27merge_sort_block_merge_implIS3_PlPS5_jNS1_19radix_merge_compareILb1ELb0ElNS0_19identity_decomposerEEEEE10hipError_tT0_T1_T2_jT3_P12ihipStream_tbPNSt15iterator_traitsISE_E10value_typeEPNSK_ISF_E10value_typeEPSG_NS1_7vsmem_tEENKUlT_SE_SF_SG_E_clIS8_S8_S9_S9_EESD_ST_SE_SF_SG_EUlST_E_NS1_11comp_targetILNS1_3genE9ELNS1_11target_archE1100ELNS1_3gpuE3ELNS1_3repE0EEENS1_48merge_mergepath_partition_config_static_selectorELNS0_4arch9wavefront6targetE1EEEvSF_: ; @_ZN7rocprim17ROCPRIM_400000_NS6detail17trampoline_kernelINS0_14default_configENS1_38merge_sort_block_merge_config_selectorIlNS0_10empty_typeEEEZZNS1_27merge_sort_block_merge_implIS3_PlPS5_jNS1_19radix_merge_compareILb1ELb0ElNS0_19identity_decomposerEEEEE10hipError_tT0_T1_T2_jT3_P12ihipStream_tbPNSt15iterator_traitsISE_E10value_typeEPNSK_ISF_E10value_typeEPSG_NS1_7vsmem_tEENKUlT_SE_SF_SG_E_clIS8_S8_S9_S9_EESD_ST_SE_SF_SG_EUlST_E_NS1_11comp_targetILNS1_3genE9ELNS1_11target_archE1100ELNS1_3gpuE3ELNS1_3repE0EEENS1_48merge_mergepath_partition_config_static_selectorELNS0_4arch9wavefront6targetE1EEEvSF_
; %bb.0:
	.section	.rodata,"a",@progbits
	.p2align	6, 0x0
	.amdhsa_kernel _ZN7rocprim17ROCPRIM_400000_NS6detail17trampoline_kernelINS0_14default_configENS1_38merge_sort_block_merge_config_selectorIlNS0_10empty_typeEEEZZNS1_27merge_sort_block_merge_implIS3_PlPS5_jNS1_19radix_merge_compareILb1ELb0ElNS0_19identity_decomposerEEEEE10hipError_tT0_T1_T2_jT3_P12ihipStream_tbPNSt15iterator_traitsISE_E10value_typeEPNSK_ISF_E10value_typeEPSG_NS1_7vsmem_tEENKUlT_SE_SF_SG_E_clIS8_S8_S9_S9_EESD_ST_SE_SF_SG_EUlST_E_NS1_11comp_targetILNS1_3genE9ELNS1_11target_archE1100ELNS1_3gpuE3ELNS1_3repE0EEENS1_48merge_mergepath_partition_config_static_selectorELNS0_4arch9wavefront6targetE1EEEvSF_
		.amdhsa_group_segment_fixed_size 0
		.amdhsa_private_segment_fixed_size 0
		.amdhsa_kernarg_size 40
		.amdhsa_user_sgpr_count 6
		.amdhsa_user_sgpr_private_segment_buffer 1
		.amdhsa_user_sgpr_dispatch_ptr 0
		.amdhsa_user_sgpr_queue_ptr 0
		.amdhsa_user_sgpr_kernarg_segment_ptr 1
		.amdhsa_user_sgpr_dispatch_id 0
		.amdhsa_user_sgpr_flat_scratch_init 0
		.amdhsa_user_sgpr_kernarg_preload_length 0
		.amdhsa_user_sgpr_kernarg_preload_offset 0
		.amdhsa_user_sgpr_private_segment_size 0
		.amdhsa_uses_dynamic_stack 0
		.amdhsa_system_sgpr_private_segment_wavefront_offset 0
		.amdhsa_system_sgpr_workgroup_id_x 1
		.amdhsa_system_sgpr_workgroup_id_y 0
		.amdhsa_system_sgpr_workgroup_id_z 0
		.amdhsa_system_sgpr_workgroup_info 0
		.amdhsa_system_vgpr_workitem_id 0
		.amdhsa_next_free_vgpr 1
		.amdhsa_next_free_sgpr 0
		.amdhsa_accum_offset 4
		.amdhsa_reserve_vcc 0
		.amdhsa_reserve_flat_scratch 0
		.amdhsa_float_round_mode_32 0
		.amdhsa_float_round_mode_16_64 0
		.amdhsa_float_denorm_mode_32 3
		.amdhsa_float_denorm_mode_16_64 3
		.amdhsa_dx10_clamp 1
		.amdhsa_ieee_mode 1
		.amdhsa_fp16_overflow 0
		.amdhsa_tg_split 0
		.amdhsa_exception_fp_ieee_invalid_op 0
		.amdhsa_exception_fp_denorm_src 0
		.amdhsa_exception_fp_ieee_div_zero 0
		.amdhsa_exception_fp_ieee_overflow 0
		.amdhsa_exception_fp_ieee_underflow 0
		.amdhsa_exception_fp_ieee_inexact 0
		.amdhsa_exception_int_div_zero 0
	.end_amdhsa_kernel
	.section	.text._ZN7rocprim17ROCPRIM_400000_NS6detail17trampoline_kernelINS0_14default_configENS1_38merge_sort_block_merge_config_selectorIlNS0_10empty_typeEEEZZNS1_27merge_sort_block_merge_implIS3_PlPS5_jNS1_19radix_merge_compareILb1ELb0ElNS0_19identity_decomposerEEEEE10hipError_tT0_T1_T2_jT3_P12ihipStream_tbPNSt15iterator_traitsISE_E10value_typeEPNSK_ISF_E10value_typeEPSG_NS1_7vsmem_tEENKUlT_SE_SF_SG_E_clIS8_S8_S9_S9_EESD_ST_SE_SF_SG_EUlST_E_NS1_11comp_targetILNS1_3genE9ELNS1_11target_archE1100ELNS1_3gpuE3ELNS1_3repE0EEENS1_48merge_mergepath_partition_config_static_selectorELNS0_4arch9wavefront6targetE1EEEvSF_,"axG",@progbits,_ZN7rocprim17ROCPRIM_400000_NS6detail17trampoline_kernelINS0_14default_configENS1_38merge_sort_block_merge_config_selectorIlNS0_10empty_typeEEEZZNS1_27merge_sort_block_merge_implIS3_PlPS5_jNS1_19radix_merge_compareILb1ELb0ElNS0_19identity_decomposerEEEEE10hipError_tT0_T1_T2_jT3_P12ihipStream_tbPNSt15iterator_traitsISE_E10value_typeEPNSK_ISF_E10value_typeEPSG_NS1_7vsmem_tEENKUlT_SE_SF_SG_E_clIS8_S8_S9_S9_EESD_ST_SE_SF_SG_EUlST_E_NS1_11comp_targetILNS1_3genE9ELNS1_11target_archE1100ELNS1_3gpuE3ELNS1_3repE0EEENS1_48merge_mergepath_partition_config_static_selectorELNS0_4arch9wavefront6targetE1EEEvSF_,comdat
.Lfunc_end2138:
	.size	_ZN7rocprim17ROCPRIM_400000_NS6detail17trampoline_kernelINS0_14default_configENS1_38merge_sort_block_merge_config_selectorIlNS0_10empty_typeEEEZZNS1_27merge_sort_block_merge_implIS3_PlPS5_jNS1_19radix_merge_compareILb1ELb0ElNS0_19identity_decomposerEEEEE10hipError_tT0_T1_T2_jT3_P12ihipStream_tbPNSt15iterator_traitsISE_E10value_typeEPNSK_ISF_E10value_typeEPSG_NS1_7vsmem_tEENKUlT_SE_SF_SG_E_clIS8_S8_S9_S9_EESD_ST_SE_SF_SG_EUlST_E_NS1_11comp_targetILNS1_3genE9ELNS1_11target_archE1100ELNS1_3gpuE3ELNS1_3repE0EEENS1_48merge_mergepath_partition_config_static_selectorELNS0_4arch9wavefront6targetE1EEEvSF_, .Lfunc_end2138-_ZN7rocprim17ROCPRIM_400000_NS6detail17trampoline_kernelINS0_14default_configENS1_38merge_sort_block_merge_config_selectorIlNS0_10empty_typeEEEZZNS1_27merge_sort_block_merge_implIS3_PlPS5_jNS1_19radix_merge_compareILb1ELb0ElNS0_19identity_decomposerEEEEE10hipError_tT0_T1_T2_jT3_P12ihipStream_tbPNSt15iterator_traitsISE_E10value_typeEPNSK_ISF_E10value_typeEPSG_NS1_7vsmem_tEENKUlT_SE_SF_SG_E_clIS8_S8_S9_S9_EESD_ST_SE_SF_SG_EUlST_E_NS1_11comp_targetILNS1_3genE9ELNS1_11target_archE1100ELNS1_3gpuE3ELNS1_3repE0EEENS1_48merge_mergepath_partition_config_static_selectorELNS0_4arch9wavefront6targetE1EEEvSF_
                                        ; -- End function
	.section	.AMDGPU.csdata,"",@progbits
; Kernel info:
; codeLenInByte = 0
; NumSgprs: 4
; NumVgprs: 0
; NumAgprs: 0
; TotalNumVgprs: 0
; ScratchSize: 0
; MemoryBound: 0
; FloatMode: 240
; IeeeMode: 1
; LDSByteSize: 0 bytes/workgroup (compile time only)
; SGPRBlocks: 0
; VGPRBlocks: 0
; NumSGPRsForWavesPerEU: 4
; NumVGPRsForWavesPerEU: 1
; AccumOffset: 4
; Occupancy: 8
; WaveLimiterHint : 0
; COMPUTE_PGM_RSRC2:SCRATCH_EN: 0
; COMPUTE_PGM_RSRC2:USER_SGPR: 6
; COMPUTE_PGM_RSRC2:TRAP_HANDLER: 0
; COMPUTE_PGM_RSRC2:TGID_X_EN: 1
; COMPUTE_PGM_RSRC2:TGID_Y_EN: 0
; COMPUTE_PGM_RSRC2:TGID_Z_EN: 0
; COMPUTE_PGM_RSRC2:TIDIG_COMP_CNT: 0
; COMPUTE_PGM_RSRC3_GFX90A:ACCUM_OFFSET: 0
; COMPUTE_PGM_RSRC3_GFX90A:TG_SPLIT: 0
	.section	.text._ZN7rocprim17ROCPRIM_400000_NS6detail17trampoline_kernelINS0_14default_configENS1_38merge_sort_block_merge_config_selectorIlNS0_10empty_typeEEEZZNS1_27merge_sort_block_merge_implIS3_PlPS5_jNS1_19radix_merge_compareILb1ELb0ElNS0_19identity_decomposerEEEEE10hipError_tT0_T1_T2_jT3_P12ihipStream_tbPNSt15iterator_traitsISE_E10value_typeEPNSK_ISF_E10value_typeEPSG_NS1_7vsmem_tEENKUlT_SE_SF_SG_E_clIS8_S8_S9_S9_EESD_ST_SE_SF_SG_EUlST_E_NS1_11comp_targetILNS1_3genE8ELNS1_11target_archE1030ELNS1_3gpuE2ELNS1_3repE0EEENS1_48merge_mergepath_partition_config_static_selectorELNS0_4arch9wavefront6targetE1EEEvSF_,"axG",@progbits,_ZN7rocprim17ROCPRIM_400000_NS6detail17trampoline_kernelINS0_14default_configENS1_38merge_sort_block_merge_config_selectorIlNS0_10empty_typeEEEZZNS1_27merge_sort_block_merge_implIS3_PlPS5_jNS1_19radix_merge_compareILb1ELb0ElNS0_19identity_decomposerEEEEE10hipError_tT0_T1_T2_jT3_P12ihipStream_tbPNSt15iterator_traitsISE_E10value_typeEPNSK_ISF_E10value_typeEPSG_NS1_7vsmem_tEENKUlT_SE_SF_SG_E_clIS8_S8_S9_S9_EESD_ST_SE_SF_SG_EUlST_E_NS1_11comp_targetILNS1_3genE8ELNS1_11target_archE1030ELNS1_3gpuE2ELNS1_3repE0EEENS1_48merge_mergepath_partition_config_static_selectorELNS0_4arch9wavefront6targetE1EEEvSF_,comdat
	.protected	_ZN7rocprim17ROCPRIM_400000_NS6detail17trampoline_kernelINS0_14default_configENS1_38merge_sort_block_merge_config_selectorIlNS0_10empty_typeEEEZZNS1_27merge_sort_block_merge_implIS3_PlPS5_jNS1_19radix_merge_compareILb1ELb0ElNS0_19identity_decomposerEEEEE10hipError_tT0_T1_T2_jT3_P12ihipStream_tbPNSt15iterator_traitsISE_E10value_typeEPNSK_ISF_E10value_typeEPSG_NS1_7vsmem_tEENKUlT_SE_SF_SG_E_clIS8_S8_S9_S9_EESD_ST_SE_SF_SG_EUlST_E_NS1_11comp_targetILNS1_3genE8ELNS1_11target_archE1030ELNS1_3gpuE2ELNS1_3repE0EEENS1_48merge_mergepath_partition_config_static_selectorELNS0_4arch9wavefront6targetE1EEEvSF_ ; -- Begin function _ZN7rocprim17ROCPRIM_400000_NS6detail17trampoline_kernelINS0_14default_configENS1_38merge_sort_block_merge_config_selectorIlNS0_10empty_typeEEEZZNS1_27merge_sort_block_merge_implIS3_PlPS5_jNS1_19radix_merge_compareILb1ELb0ElNS0_19identity_decomposerEEEEE10hipError_tT0_T1_T2_jT3_P12ihipStream_tbPNSt15iterator_traitsISE_E10value_typeEPNSK_ISF_E10value_typeEPSG_NS1_7vsmem_tEENKUlT_SE_SF_SG_E_clIS8_S8_S9_S9_EESD_ST_SE_SF_SG_EUlST_E_NS1_11comp_targetILNS1_3genE8ELNS1_11target_archE1030ELNS1_3gpuE2ELNS1_3repE0EEENS1_48merge_mergepath_partition_config_static_selectorELNS0_4arch9wavefront6targetE1EEEvSF_
	.globl	_ZN7rocprim17ROCPRIM_400000_NS6detail17trampoline_kernelINS0_14default_configENS1_38merge_sort_block_merge_config_selectorIlNS0_10empty_typeEEEZZNS1_27merge_sort_block_merge_implIS3_PlPS5_jNS1_19radix_merge_compareILb1ELb0ElNS0_19identity_decomposerEEEEE10hipError_tT0_T1_T2_jT3_P12ihipStream_tbPNSt15iterator_traitsISE_E10value_typeEPNSK_ISF_E10value_typeEPSG_NS1_7vsmem_tEENKUlT_SE_SF_SG_E_clIS8_S8_S9_S9_EESD_ST_SE_SF_SG_EUlST_E_NS1_11comp_targetILNS1_3genE8ELNS1_11target_archE1030ELNS1_3gpuE2ELNS1_3repE0EEENS1_48merge_mergepath_partition_config_static_selectorELNS0_4arch9wavefront6targetE1EEEvSF_
	.p2align	8
	.type	_ZN7rocprim17ROCPRIM_400000_NS6detail17trampoline_kernelINS0_14default_configENS1_38merge_sort_block_merge_config_selectorIlNS0_10empty_typeEEEZZNS1_27merge_sort_block_merge_implIS3_PlPS5_jNS1_19radix_merge_compareILb1ELb0ElNS0_19identity_decomposerEEEEE10hipError_tT0_T1_T2_jT3_P12ihipStream_tbPNSt15iterator_traitsISE_E10value_typeEPNSK_ISF_E10value_typeEPSG_NS1_7vsmem_tEENKUlT_SE_SF_SG_E_clIS8_S8_S9_S9_EESD_ST_SE_SF_SG_EUlST_E_NS1_11comp_targetILNS1_3genE8ELNS1_11target_archE1030ELNS1_3gpuE2ELNS1_3repE0EEENS1_48merge_mergepath_partition_config_static_selectorELNS0_4arch9wavefront6targetE1EEEvSF_,@function
_ZN7rocprim17ROCPRIM_400000_NS6detail17trampoline_kernelINS0_14default_configENS1_38merge_sort_block_merge_config_selectorIlNS0_10empty_typeEEEZZNS1_27merge_sort_block_merge_implIS3_PlPS5_jNS1_19radix_merge_compareILb1ELb0ElNS0_19identity_decomposerEEEEE10hipError_tT0_T1_T2_jT3_P12ihipStream_tbPNSt15iterator_traitsISE_E10value_typeEPNSK_ISF_E10value_typeEPSG_NS1_7vsmem_tEENKUlT_SE_SF_SG_E_clIS8_S8_S9_S9_EESD_ST_SE_SF_SG_EUlST_E_NS1_11comp_targetILNS1_3genE8ELNS1_11target_archE1030ELNS1_3gpuE2ELNS1_3repE0EEENS1_48merge_mergepath_partition_config_static_selectorELNS0_4arch9wavefront6targetE1EEEvSF_: ; @_ZN7rocprim17ROCPRIM_400000_NS6detail17trampoline_kernelINS0_14default_configENS1_38merge_sort_block_merge_config_selectorIlNS0_10empty_typeEEEZZNS1_27merge_sort_block_merge_implIS3_PlPS5_jNS1_19radix_merge_compareILb1ELb0ElNS0_19identity_decomposerEEEEE10hipError_tT0_T1_T2_jT3_P12ihipStream_tbPNSt15iterator_traitsISE_E10value_typeEPNSK_ISF_E10value_typeEPSG_NS1_7vsmem_tEENKUlT_SE_SF_SG_E_clIS8_S8_S9_S9_EESD_ST_SE_SF_SG_EUlST_E_NS1_11comp_targetILNS1_3genE8ELNS1_11target_archE1030ELNS1_3gpuE2ELNS1_3repE0EEENS1_48merge_mergepath_partition_config_static_selectorELNS0_4arch9wavefront6targetE1EEEvSF_
; %bb.0:
	.section	.rodata,"a",@progbits
	.p2align	6, 0x0
	.amdhsa_kernel _ZN7rocprim17ROCPRIM_400000_NS6detail17trampoline_kernelINS0_14default_configENS1_38merge_sort_block_merge_config_selectorIlNS0_10empty_typeEEEZZNS1_27merge_sort_block_merge_implIS3_PlPS5_jNS1_19radix_merge_compareILb1ELb0ElNS0_19identity_decomposerEEEEE10hipError_tT0_T1_T2_jT3_P12ihipStream_tbPNSt15iterator_traitsISE_E10value_typeEPNSK_ISF_E10value_typeEPSG_NS1_7vsmem_tEENKUlT_SE_SF_SG_E_clIS8_S8_S9_S9_EESD_ST_SE_SF_SG_EUlST_E_NS1_11comp_targetILNS1_3genE8ELNS1_11target_archE1030ELNS1_3gpuE2ELNS1_3repE0EEENS1_48merge_mergepath_partition_config_static_selectorELNS0_4arch9wavefront6targetE1EEEvSF_
		.amdhsa_group_segment_fixed_size 0
		.amdhsa_private_segment_fixed_size 0
		.amdhsa_kernarg_size 40
		.amdhsa_user_sgpr_count 6
		.amdhsa_user_sgpr_private_segment_buffer 1
		.amdhsa_user_sgpr_dispatch_ptr 0
		.amdhsa_user_sgpr_queue_ptr 0
		.amdhsa_user_sgpr_kernarg_segment_ptr 1
		.amdhsa_user_sgpr_dispatch_id 0
		.amdhsa_user_sgpr_flat_scratch_init 0
		.amdhsa_user_sgpr_kernarg_preload_length 0
		.amdhsa_user_sgpr_kernarg_preload_offset 0
		.amdhsa_user_sgpr_private_segment_size 0
		.amdhsa_uses_dynamic_stack 0
		.amdhsa_system_sgpr_private_segment_wavefront_offset 0
		.amdhsa_system_sgpr_workgroup_id_x 1
		.amdhsa_system_sgpr_workgroup_id_y 0
		.amdhsa_system_sgpr_workgroup_id_z 0
		.amdhsa_system_sgpr_workgroup_info 0
		.amdhsa_system_vgpr_workitem_id 0
		.amdhsa_next_free_vgpr 1
		.amdhsa_next_free_sgpr 0
		.amdhsa_accum_offset 4
		.amdhsa_reserve_vcc 0
		.amdhsa_reserve_flat_scratch 0
		.amdhsa_float_round_mode_32 0
		.amdhsa_float_round_mode_16_64 0
		.amdhsa_float_denorm_mode_32 3
		.amdhsa_float_denorm_mode_16_64 3
		.amdhsa_dx10_clamp 1
		.amdhsa_ieee_mode 1
		.amdhsa_fp16_overflow 0
		.amdhsa_tg_split 0
		.amdhsa_exception_fp_ieee_invalid_op 0
		.amdhsa_exception_fp_denorm_src 0
		.amdhsa_exception_fp_ieee_div_zero 0
		.amdhsa_exception_fp_ieee_overflow 0
		.amdhsa_exception_fp_ieee_underflow 0
		.amdhsa_exception_fp_ieee_inexact 0
		.amdhsa_exception_int_div_zero 0
	.end_amdhsa_kernel
	.section	.text._ZN7rocprim17ROCPRIM_400000_NS6detail17trampoline_kernelINS0_14default_configENS1_38merge_sort_block_merge_config_selectorIlNS0_10empty_typeEEEZZNS1_27merge_sort_block_merge_implIS3_PlPS5_jNS1_19radix_merge_compareILb1ELb0ElNS0_19identity_decomposerEEEEE10hipError_tT0_T1_T2_jT3_P12ihipStream_tbPNSt15iterator_traitsISE_E10value_typeEPNSK_ISF_E10value_typeEPSG_NS1_7vsmem_tEENKUlT_SE_SF_SG_E_clIS8_S8_S9_S9_EESD_ST_SE_SF_SG_EUlST_E_NS1_11comp_targetILNS1_3genE8ELNS1_11target_archE1030ELNS1_3gpuE2ELNS1_3repE0EEENS1_48merge_mergepath_partition_config_static_selectorELNS0_4arch9wavefront6targetE1EEEvSF_,"axG",@progbits,_ZN7rocprim17ROCPRIM_400000_NS6detail17trampoline_kernelINS0_14default_configENS1_38merge_sort_block_merge_config_selectorIlNS0_10empty_typeEEEZZNS1_27merge_sort_block_merge_implIS3_PlPS5_jNS1_19radix_merge_compareILb1ELb0ElNS0_19identity_decomposerEEEEE10hipError_tT0_T1_T2_jT3_P12ihipStream_tbPNSt15iterator_traitsISE_E10value_typeEPNSK_ISF_E10value_typeEPSG_NS1_7vsmem_tEENKUlT_SE_SF_SG_E_clIS8_S8_S9_S9_EESD_ST_SE_SF_SG_EUlST_E_NS1_11comp_targetILNS1_3genE8ELNS1_11target_archE1030ELNS1_3gpuE2ELNS1_3repE0EEENS1_48merge_mergepath_partition_config_static_selectorELNS0_4arch9wavefront6targetE1EEEvSF_,comdat
.Lfunc_end2139:
	.size	_ZN7rocprim17ROCPRIM_400000_NS6detail17trampoline_kernelINS0_14default_configENS1_38merge_sort_block_merge_config_selectorIlNS0_10empty_typeEEEZZNS1_27merge_sort_block_merge_implIS3_PlPS5_jNS1_19radix_merge_compareILb1ELb0ElNS0_19identity_decomposerEEEEE10hipError_tT0_T1_T2_jT3_P12ihipStream_tbPNSt15iterator_traitsISE_E10value_typeEPNSK_ISF_E10value_typeEPSG_NS1_7vsmem_tEENKUlT_SE_SF_SG_E_clIS8_S8_S9_S9_EESD_ST_SE_SF_SG_EUlST_E_NS1_11comp_targetILNS1_3genE8ELNS1_11target_archE1030ELNS1_3gpuE2ELNS1_3repE0EEENS1_48merge_mergepath_partition_config_static_selectorELNS0_4arch9wavefront6targetE1EEEvSF_, .Lfunc_end2139-_ZN7rocprim17ROCPRIM_400000_NS6detail17trampoline_kernelINS0_14default_configENS1_38merge_sort_block_merge_config_selectorIlNS0_10empty_typeEEEZZNS1_27merge_sort_block_merge_implIS3_PlPS5_jNS1_19radix_merge_compareILb1ELb0ElNS0_19identity_decomposerEEEEE10hipError_tT0_T1_T2_jT3_P12ihipStream_tbPNSt15iterator_traitsISE_E10value_typeEPNSK_ISF_E10value_typeEPSG_NS1_7vsmem_tEENKUlT_SE_SF_SG_E_clIS8_S8_S9_S9_EESD_ST_SE_SF_SG_EUlST_E_NS1_11comp_targetILNS1_3genE8ELNS1_11target_archE1030ELNS1_3gpuE2ELNS1_3repE0EEENS1_48merge_mergepath_partition_config_static_selectorELNS0_4arch9wavefront6targetE1EEEvSF_
                                        ; -- End function
	.section	.AMDGPU.csdata,"",@progbits
; Kernel info:
; codeLenInByte = 0
; NumSgprs: 4
; NumVgprs: 0
; NumAgprs: 0
; TotalNumVgprs: 0
; ScratchSize: 0
; MemoryBound: 0
; FloatMode: 240
; IeeeMode: 1
; LDSByteSize: 0 bytes/workgroup (compile time only)
; SGPRBlocks: 0
; VGPRBlocks: 0
; NumSGPRsForWavesPerEU: 4
; NumVGPRsForWavesPerEU: 1
; AccumOffset: 4
; Occupancy: 8
; WaveLimiterHint : 0
; COMPUTE_PGM_RSRC2:SCRATCH_EN: 0
; COMPUTE_PGM_RSRC2:USER_SGPR: 6
; COMPUTE_PGM_RSRC2:TRAP_HANDLER: 0
; COMPUTE_PGM_RSRC2:TGID_X_EN: 1
; COMPUTE_PGM_RSRC2:TGID_Y_EN: 0
; COMPUTE_PGM_RSRC2:TGID_Z_EN: 0
; COMPUTE_PGM_RSRC2:TIDIG_COMP_CNT: 0
; COMPUTE_PGM_RSRC3_GFX90A:ACCUM_OFFSET: 0
; COMPUTE_PGM_RSRC3_GFX90A:TG_SPLIT: 0
	.section	.text._ZN7rocprim17ROCPRIM_400000_NS6detail17trampoline_kernelINS0_14default_configENS1_38merge_sort_block_merge_config_selectorIlNS0_10empty_typeEEEZZNS1_27merge_sort_block_merge_implIS3_PlPS5_jNS1_19radix_merge_compareILb1ELb0ElNS0_19identity_decomposerEEEEE10hipError_tT0_T1_T2_jT3_P12ihipStream_tbPNSt15iterator_traitsISE_E10value_typeEPNSK_ISF_E10value_typeEPSG_NS1_7vsmem_tEENKUlT_SE_SF_SG_E_clIS8_S8_S9_S9_EESD_ST_SE_SF_SG_EUlST_E0_NS1_11comp_targetILNS1_3genE0ELNS1_11target_archE4294967295ELNS1_3gpuE0ELNS1_3repE0EEENS1_38merge_mergepath_config_static_selectorELNS0_4arch9wavefront6targetE1EEEvSF_,"axG",@progbits,_ZN7rocprim17ROCPRIM_400000_NS6detail17trampoline_kernelINS0_14default_configENS1_38merge_sort_block_merge_config_selectorIlNS0_10empty_typeEEEZZNS1_27merge_sort_block_merge_implIS3_PlPS5_jNS1_19radix_merge_compareILb1ELb0ElNS0_19identity_decomposerEEEEE10hipError_tT0_T1_T2_jT3_P12ihipStream_tbPNSt15iterator_traitsISE_E10value_typeEPNSK_ISF_E10value_typeEPSG_NS1_7vsmem_tEENKUlT_SE_SF_SG_E_clIS8_S8_S9_S9_EESD_ST_SE_SF_SG_EUlST_E0_NS1_11comp_targetILNS1_3genE0ELNS1_11target_archE4294967295ELNS1_3gpuE0ELNS1_3repE0EEENS1_38merge_mergepath_config_static_selectorELNS0_4arch9wavefront6targetE1EEEvSF_,comdat
	.protected	_ZN7rocprim17ROCPRIM_400000_NS6detail17trampoline_kernelINS0_14default_configENS1_38merge_sort_block_merge_config_selectorIlNS0_10empty_typeEEEZZNS1_27merge_sort_block_merge_implIS3_PlPS5_jNS1_19radix_merge_compareILb1ELb0ElNS0_19identity_decomposerEEEEE10hipError_tT0_T1_T2_jT3_P12ihipStream_tbPNSt15iterator_traitsISE_E10value_typeEPNSK_ISF_E10value_typeEPSG_NS1_7vsmem_tEENKUlT_SE_SF_SG_E_clIS8_S8_S9_S9_EESD_ST_SE_SF_SG_EUlST_E0_NS1_11comp_targetILNS1_3genE0ELNS1_11target_archE4294967295ELNS1_3gpuE0ELNS1_3repE0EEENS1_38merge_mergepath_config_static_selectorELNS0_4arch9wavefront6targetE1EEEvSF_ ; -- Begin function _ZN7rocprim17ROCPRIM_400000_NS6detail17trampoline_kernelINS0_14default_configENS1_38merge_sort_block_merge_config_selectorIlNS0_10empty_typeEEEZZNS1_27merge_sort_block_merge_implIS3_PlPS5_jNS1_19radix_merge_compareILb1ELb0ElNS0_19identity_decomposerEEEEE10hipError_tT0_T1_T2_jT3_P12ihipStream_tbPNSt15iterator_traitsISE_E10value_typeEPNSK_ISF_E10value_typeEPSG_NS1_7vsmem_tEENKUlT_SE_SF_SG_E_clIS8_S8_S9_S9_EESD_ST_SE_SF_SG_EUlST_E0_NS1_11comp_targetILNS1_3genE0ELNS1_11target_archE4294967295ELNS1_3gpuE0ELNS1_3repE0EEENS1_38merge_mergepath_config_static_selectorELNS0_4arch9wavefront6targetE1EEEvSF_
	.globl	_ZN7rocprim17ROCPRIM_400000_NS6detail17trampoline_kernelINS0_14default_configENS1_38merge_sort_block_merge_config_selectorIlNS0_10empty_typeEEEZZNS1_27merge_sort_block_merge_implIS3_PlPS5_jNS1_19radix_merge_compareILb1ELb0ElNS0_19identity_decomposerEEEEE10hipError_tT0_T1_T2_jT3_P12ihipStream_tbPNSt15iterator_traitsISE_E10value_typeEPNSK_ISF_E10value_typeEPSG_NS1_7vsmem_tEENKUlT_SE_SF_SG_E_clIS8_S8_S9_S9_EESD_ST_SE_SF_SG_EUlST_E0_NS1_11comp_targetILNS1_3genE0ELNS1_11target_archE4294967295ELNS1_3gpuE0ELNS1_3repE0EEENS1_38merge_mergepath_config_static_selectorELNS0_4arch9wavefront6targetE1EEEvSF_
	.p2align	8
	.type	_ZN7rocprim17ROCPRIM_400000_NS6detail17trampoline_kernelINS0_14default_configENS1_38merge_sort_block_merge_config_selectorIlNS0_10empty_typeEEEZZNS1_27merge_sort_block_merge_implIS3_PlPS5_jNS1_19radix_merge_compareILb1ELb0ElNS0_19identity_decomposerEEEEE10hipError_tT0_T1_T2_jT3_P12ihipStream_tbPNSt15iterator_traitsISE_E10value_typeEPNSK_ISF_E10value_typeEPSG_NS1_7vsmem_tEENKUlT_SE_SF_SG_E_clIS8_S8_S9_S9_EESD_ST_SE_SF_SG_EUlST_E0_NS1_11comp_targetILNS1_3genE0ELNS1_11target_archE4294967295ELNS1_3gpuE0ELNS1_3repE0EEENS1_38merge_mergepath_config_static_selectorELNS0_4arch9wavefront6targetE1EEEvSF_,@function
_ZN7rocprim17ROCPRIM_400000_NS6detail17trampoline_kernelINS0_14default_configENS1_38merge_sort_block_merge_config_selectorIlNS0_10empty_typeEEEZZNS1_27merge_sort_block_merge_implIS3_PlPS5_jNS1_19radix_merge_compareILb1ELb0ElNS0_19identity_decomposerEEEEE10hipError_tT0_T1_T2_jT3_P12ihipStream_tbPNSt15iterator_traitsISE_E10value_typeEPNSK_ISF_E10value_typeEPSG_NS1_7vsmem_tEENKUlT_SE_SF_SG_E_clIS8_S8_S9_S9_EESD_ST_SE_SF_SG_EUlST_E0_NS1_11comp_targetILNS1_3genE0ELNS1_11target_archE4294967295ELNS1_3gpuE0ELNS1_3repE0EEENS1_38merge_mergepath_config_static_selectorELNS0_4arch9wavefront6targetE1EEEvSF_: ; @_ZN7rocprim17ROCPRIM_400000_NS6detail17trampoline_kernelINS0_14default_configENS1_38merge_sort_block_merge_config_selectorIlNS0_10empty_typeEEEZZNS1_27merge_sort_block_merge_implIS3_PlPS5_jNS1_19radix_merge_compareILb1ELb0ElNS0_19identity_decomposerEEEEE10hipError_tT0_T1_T2_jT3_P12ihipStream_tbPNSt15iterator_traitsISE_E10value_typeEPNSK_ISF_E10value_typeEPSG_NS1_7vsmem_tEENKUlT_SE_SF_SG_E_clIS8_S8_S9_S9_EESD_ST_SE_SF_SG_EUlST_E0_NS1_11comp_targetILNS1_3genE0ELNS1_11target_archE4294967295ELNS1_3gpuE0ELNS1_3repE0EEENS1_38merge_mergepath_config_static_selectorELNS0_4arch9wavefront6targetE1EEEvSF_
; %bb.0:
	.section	.rodata,"a",@progbits
	.p2align	6, 0x0
	.amdhsa_kernel _ZN7rocprim17ROCPRIM_400000_NS6detail17trampoline_kernelINS0_14default_configENS1_38merge_sort_block_merge_config_selectorIlNS0_10empty_typeEEEZZNS1_27merge_sort_block_merge_implIS3_PlPS5_jNS1_19radix_merge_compareILb1ELb0ElNS0_19identity_decomposerEEEEE10hipError_tT0_T1_T2_jT3_P12ihipStream_tbPNSt15iterator_traitsISE_E10value_typeEPNSK_ISF_E10value_typeEPSG_NS1_7vsmem_tEENKUlT_SE_SF_SG_E_clIS8_S8_S9_S9_EESD_ST_SE_SF_SG_EUlST_E0_NS1_11comp_targetILNS1_3genE0ELNS1_11target_archE4294967295ELNS1_3gpuE0ELNS1_3repE0EEENS1_38merge_mergepath_config_static_selectorELNS0_4arch9wavefront6targetE1EEEvSF_
		.amdhsa_group_segment_fixed_size 0
		.amdhsa_private_segment_fixed_size 0
		.amdhsa_kernarg_size 64
		.amdhsa_user_sgpr_count 6
		.amdhsa_user_sgpr_private_segment_buffer 1
		.amdhsa_user_sgpr_dispatch_ptr 0
		.amdhsa_user_sgpr_queue_ptr 0
		.amdhsa_user_sgpr_kernarg_segment_ptr 1
		.amdhsa_user_sgpr_dispatch_id 0
		.amdhsa_user_sgpr_flat_scratch_init 0
		.amdhsa_user_sgpr_kernarg_preload_length 0
		.amdhsa_user_sgpr_kernarg_preload_offset 0
		.amdhsa_user_sgpr_private_segment_size 0
		.amdhsa_uses_dynamic_stack 0
		.amdhsa_system_sgpr_private_segment_wavefront_offset 0
		.amdhsa_system_sgpr_workgroup_id_x 1
		.amdhsa_system_sgpr_workgroup_id_y 0
		.amdhsa_system_sgpr_workgroup_id_z 0
		.amdhsa_system_sgpr_workgroup_info 0
		.amdhsa_system_vgpr_workitem_id 0
		.amdhsa_next_free_vgpr 1
		.amdhsa_next_free_sgpr 0
		.amdhsa_accum_offset 4
		.amdhsa_reserve_vcc 0
		.amdhsa_reserve_flat_scratch 0
		.amdhsa_float_round_mode_32 0
		.amdhsa_float_round_mode_16_64 0
		.amdhsa_float_denorm_mode_32 3
		.amdhsa_float_denorm_mode_16_64 3
		.amdhsa_dx10_clamp 1
		.amdhsa_ieee_mode 1
		.amdhsa_fp16_overflow 0
		.amdhsa_tg_split 0
		.amdhsa_exception_fp_ieee_invalid_op 0
		.amdhsa_exception_fp_denorm_src 0
		.amdhsa_exception_fp_ieee_div_zero 0
		.amdhsa_exception_fp_ieee_overflow 0
		.amdhsa_exception_fp_ieee_underflow 0
		.amdhsa_exception_fp_ieee_inexact 0
		.amdhsa_exception_int_div_zero 0
	.end_amdhsa_kernel
	.section	.text._ZN7rocprim17ROCPRIM_400000_NS6detail17trampoline_kernelINS0_14default_configENS1_38merge_sort_block_merge_config_selectorIlNS0_10empty_typeEEEZZNS1_27merge_sort_block_merge_implIS3_PlPS5_jNS1_19radix_merge_compareILb1ELb0ElNS0_19identity_decomposerEEEEE10hipError_tT0_T1_T2_jT3_P12ihipStream_tbPNSt15iterator_traitsISE_E10value_typeEPNSK_ISF_E10value_typeEPSG_NS1_7vsmem_tEENKUlT_SE_SF_SG_E_clIS8_S8_S9_S9_EESD_ST_SE_SF_SG_EUlST_E0_NS1_11comp_targetILNS1_3genE0ELNS1_11target_archE4294967295ELNS1_3gpuE0ELNS1_3repE0EEENS1_38merge_mergepath_config_static_selectorELNS0_4arch9wavefront6targetE1EEEvSF_,"axG",@progbits,_ZN7rocprim17ROCPRIM_400000_NS6detail17trampoline_kernelINS0_14default_configENS1_38merge_sort_block_merge_config_selectorIlNS0_10empty_typeEEEZZNS1_27merge_sort_block_merge_implIS3_PlPS5_jNS1_19radix_merge_compareILb1ELb0ElNS0_19identity_decomposerEEEEE10hipError_tT0_T1_T2_jT3_P12ihipStream_tbPNSt15iterator_traitsISE_E10value_typeEPNSK_ISF_E10value_typeEPSG_NS1_7vsmem_tEENKUlT_SE_SF_SG_E_clIS8_S8_S9_S9_EESD_ST_SE_SF_SG_EUlST_E0_NS1_11comp_targetILNS1_3genE0ELNS1_11target_archE4294967295ELNS1_3gpuE0ELNS1_3repE0EEENS1_38merge_mergepath_config_static_selectorELNS0_4arch9wavefront6targetE1EEEvSF_,comdat
.Lfunc_end2140:
	.size	_ZN7rocprim17ROCPRIM_400000_NS6detail17trampoline_kernelINS0_14default_configENS1_38merge_sort_block_merge_config_selectorIlNS0_10empty_typeEEEZZNS1_27merge_sort_block_merge_implIS3_PlPS5_jNS1_19radix_merge_compareILb1ELb0ElNS0_19identity_decomposerEEEEE10hipError_tT0_T1_T2_jT3_P12ihipStream_tbPNSt15iterator_traitsISE_E10value_typeEPNSK_ISF_E10value_typeEPSG_NS1_7vsmem_tEENKUlT_SE_SF_SG_E_clIS8_S8_S9_S9_EESD_ST_SE_SF_SG_EUlST_E0_NS1_11comp_targetILNS1_3genE0ELNS1_11target_archE4294967295ELNS1_3gpuE0ELNS1_3repE0EEENS1_38merge_mergepath_config_static_selectorELNS0_4arch9wavefront6targetE1EEEvSF_, .Lfunc_end2140-_ZN7rocprim17ROCPRIM_400000_NS6detail17trampoline_kernelINS0_14default_configENS1_38merge_sort_block_merge_config_selectorIlNS0_10empty_typeEEEZZNS1_27merge_sort_block_merge_implIS3_PlPS5_jNS1_19radix_merge_compareILb1ELb0ElNS0_19identity_decomposerEEEEE10hipError_tT0_T1_T2_jT3_P12ihipStream_tbPNSt15iterator_traitsISE_E10value_typeEPNSK_ISF_E10value_typeEPSG_NS1_7vsmem_tEENKUlT_SE_SF_SG_E_clIS8_S8_S9_S9_EESD_ST_SE_SF_SG_EUlST_E0_NS1_11comp_targetILNS1_3genE0ELNS1_11target_archE4294967295ELNS1_3gpuE0ELNS1_3repE0EEENS1_38merge_mergepath_config_static_selectorELNS0_4arch9wavefront6targetE1EEEvSF_
                                        ; -- End function
	.section	.AMDGPU.csdata,"",@progbits
; Kernel info:
; codeLenInByte = 0
; NumSgprs: 4
; NumVgprs: 0
; NumAgprs: 0
; TotalNumVgprs: 0
; ScratchSize: 0
; MemoryBound: 0
; FloatMode: 240
; IeeeMode: 1
; LDSByteSize: 0 bytes/workgroup (compile time only)
; SGPRBlocks: 0
; VGPRBlocks: 0
; NumSGPRsForWavesPerEU: 4
; NumVGPRsForWavesPerEU: 1
; AccumOffset: 4
; Occupancy: 8
; WaveLimiterHint : 0
; COMPUTE_PGM_RSRC2:SCRATCH_EN: 0
; COMPUTE_PGM_RSRC2:USER_SGPR: 6
; COMPUTE_PGM_RSRC2:TRAP_HANDLER: 0
; COMPUTE_PGM_RSRC2:TGID_X_EN: 1
; COMPUTE_PGM_RSRC2:TGID_Y_EN: 0
; COMPUTE_PGM_RSRC2:TGID_Z_EN: 0
; COMPUTE_PGM_RSRC2:TIDIG_COMP_CNT: 0
; COMPUTE_PGM_RSRC3_GFX90A:ACCUM_OFFSET: 0
; COMPUTE_PGM_RSRC3_GFX90A:TG_SPLIT: 0
	.section	.text._ZN7rocprim17ROCPRIM_400000_NS6detail17trampoline_kernelINS0_14default_configENS1_38merge_sort_block_merge_config_selectorIlNS0_10empty_typeEEEZZNS1_27merge_sort_block_merge_implIS3_PlPS5_jNS1_19radix_merge_compareILb1ELb0ElNS0_19identity_decomposerEEEEE10hipError_tT0_T1_T2_jT3_P12ihipStream_tbPNSt15iterator_traitsISE_E10value_typeEPNSK_ISF_E10value_typeEPSG_NS1_7vsmem_tEENKUlT_SE_SF_SG_E_clIS8_S8_S9_S9_EESD_ST_SE_SF_SG_EUlST_E0_NS1_11comp_targetILNS1_3genE10ELNS1_11target_archE1201ELNS1_3gpuE5ELNS1_3repE0EEENS1_38merge_mergepath_config_static_selectorELNS0_4arch9wavefront6targetE1EEEvSF_,"axG",@progbits,_ZN7rocprim17ROCPRIM_400000_NS6detail17trampoline_kernelINS0_14default_configENS1_38merge_sort_block_merge_config_selectorIlNS0_10empty_typeEEEZZNS1_27merge_sort_block_merge_implIS3_PlPS5_jNS1_19radix_merge_compareILb1ELb0ElNS0_19identity_decomposerEEEEE10hipError_tT0_T1_T2_jT3_P12ihipStream_tbPNSt15iterator_traitsISE_E10value_typeEPNSK_ISF_E10value_typeEPSG_NS1_7vsmem_tEENKUlT_SE_SF_SG_E_clIS8_S8_S9_S9_EESD_ST_SE_SF_SG_EUlST_E0_NS1_11comp_targetILNS1_3genE10ELNS1_11target_archE1201ELNS1_3gpuE5ELNS1_3repE0EEENS1_38merge_mergepath_config_static_selectorELNS0_4arch9wavefront6targetE1EEEvSF_,comdat
	.protected	_ZN7rocprim17ROCPRIM_400000_NS6detail17trampoline_kernelINS0_14default_configENS1_38merge_sort_block_merge_config_selectorIlNS0_10empty_typeEEEZZNS1_27merge_sort_block_merge_implIS3_PlPS5_jNS1_19radix_merge_compareILb1ELb0ElNS0_19identity_decomposerEEEEE10hipError_tT0_T1_T2_jT3_P12ihipStream_tbPNSt15iterator_traitsISE_E10value_typeEPNSK_ISF_E10value_typeEPSG_NS1_7vsmem_tEENKUlT_SE_SF_SG_E_clIS8_S8_S9_S9_EESD_ST_SE_SF_SG_EUlST_E0_NS1_11comp_targetILNS1_3genE10ELNS1_11target_archE1201ELNS1_3gpuE5ELNS1_3repE0EEENS1_38merge_mergepath_config_static_selectorELNS0_4arch9wavefront6targetE1EEEvSF_ ; -- Begin function _ZN7rocprim17ROCPRIM_400000_NS6detail17trampoline_kernelINS0_14default_configENS1_38merge_sort_block_merge_config_selectorIlNS0_10empty_typeEEEZZNS1_27merge_sort_block_merge_implIS3_PlPS5_jNS1_19radix_merge_compareILb1ELb0ElNS0_19identity_decomposerEEEEE10hipError_tT0_T1_T2_jT3_P12ihipStream_tbPNSt15iterator_traitsISE_E10value_typeEPNSK_ISF_E10value_typeEPSG_NS1_7vsmem_tEENKUlT_SE_SF_SG_E_clIS8_S8_S9_S9_EESD_ST_SE_SF_SG_EUlST_E0_NS1_11comp_targetILNS1_3genE10ELNS1_11target_archE1201ELNS1_3gpuE5ELNS1_3repE0EEENS1_38merge_mergepath_config_static_selectorELNS0_4arch9wavefront6targetE1EEEvSF_
	.globl	_ZN7rocprim17ROCPRIM_400000_NS6detail17trampoline_kernelINS0_14default_configENS1_38merge_sort_block_merge_config_selectorIlNS0_10empty_typeEEEZZNS1_27merge_sort_block_merge_implIS3_PlPS5_jNS1_19radix_merge_compareILb1ELb0ElNS0_19identity_decomposerEEEEE10hipError_tT0_T1_T2_jT3_P12ihipStream_tbPNSt15iterator_traitsISE_E10value_typeEPNSK_ISF_E10value_typeEPSG_NS1_7vsmem_tEENKUlT_SE_SF_SG_E_clIS8_S8_S9_S9_EESD_ST_SE_SF_SG_EUlST_E0_NS1_11comp_targetILNS1_3genE10ELNS1_11target_archE1201ELNS1_3gpuE5ELNS1_3repE0EEENS1_38merge_mergepath_config_static_selectorELNS0_4arch9wavefront6targetE1EEEvSF_
	.p2align	8
	.type	_ZN7rocprim17ROCPRIM_400000_NS6detail17trampoline_kernelINS0_14default_configENS1_38merge_sort_block_merge_config_selectorIlNS0_10empty_typeEEEZZNS1_27merge_sort_block_merge_implIS3_PlPS5_jNS1_19radix_merge_compareILb1ELb0ElNS0_19identity_decomposerEEEEE10hipError_tT0_T1_T2_jT3_P12ihipStream_tbPNSt15iterator_traitsISE_E10value_typeEPNSK_ISF_E10value_typeEPSG_NS1_7vsmem_tEENKUlT_SE_SF_SG_E_clIS8_S8_S9_S9_EESD_ST_SE_SF_SG_EUlST_E0_NS1_11comp_targetILNS1_3genE10ELNS1_11target_archE1201ELNS1_3gpuE5ELNS1_3repE0EEENS1_38merge_mergepath_config_static_selectorELNS0_4arch9wavefront6targetE1EEEvSF_,@function
_ZN7rocprim17ROCPRIM_400000_NS6detail17trampoline_kernelINS0_14default_configENS1_38merge_sort_block_merge_config_selectorIlNS0_10empty_typeEEEZZNS1_27merge_sort_block_merge_implIS3_PlPS5_jNS1_19radix_merge_compareILb1ELb0ElNS0_19identity_decomposerEEEEE10hipError_tT0_T1_T2_jT3_P12ihipStream_tbPNSt15iterator_traitsISE_E10value_typeEPNSK_ISF_E10value_typeEPSG_NS1_7vsmem_tEENKUlT_SE_SF_SG_E_clIS8_S8_S9_S9_EESD_ST_SE_SF_SG_EUlST_E0_NS1_11comp_targetILNS1_3genE10ELNS1_11target_archE1201ELNS1_3gpuE5ELNS1_3repE0EEENS1_38merge_mergepath_config_static_selectorELNS0_4arch9wavefront6targetE1EEEvSF_: ; @_ZN7rocprim17ROCPRIM_400000_NS6detail17trampoline_kernelINS0_14default_configENS1_38merge_sort_block_merge_config_selectorIlNS0_10empty_typeEEEZZNS1_27merge_sort_block_merge_implIS3_PlPS5_jNS1_19radix_merge_compareILb1ELb0ElNS0_19identity_decomposerEEEEE10hipError_tT0_T1_T2_jT3_P12ihipStream_tbPNSt15iterator_traitsISE_E10value_typeEPNSK_ISF_E10value_typeEPSG_NS1_7vsmem_tEENKUlT_SE_SF_SG_E_clIS8_S8_S9_S9_EESD_ST_SE_SF_SG_EUlST_E0_NS1_11comp_targetILNS1_3genE10ELNS1_11target_archE1201ELNS1_3gpuE5ELNS1_3repE0EEENS1_38merge_mergepath_config_static_selectorELNS0_4arch9wavefront6targetE1EEEvSF_
; %bb.0:
	.section	.rodata,"a",@progbits
	.p2align	6, 0x0
	.amdhsa_kernel _ZN7rocprim17ROCPRIM_400000_NS6detail17trampoline_kernelINS0_14default_configENS1_38merge_sort_block_merge_config_selectorIlNS0_10empty_typeEEEZZNS1_27merge_sort_block_merge_implIS3_PlPS5_jNS1_19radix_merge_compareILb1ELb0ElNS0_19identity_decomposerEEEEE10hipError_tT0_T1_T2_jT3_P12ihipStream_tbPNSt15iterator_traitsISE_E10value_typeEPNSK_ISF_E10value_typeEPSG_NS1_7vsmem_tEENKUlT_SE_SF_SG_E_clIS8_S8_S9_S9_EESD_ST_SE_SF_SG_EUlST_E0_NS1_11comp_targetILNS1_3genE10ELNS1_11target_archE1201ELNS1_3gpuE5ELNS1_3repE0EEENS1_38merge_mergepath_config_static_selectorELNS0_4arch9wavefront6targetE1EEEvSF_
		.amdhsa_group_segment_fixed_size 0
		.amdhsa_private_segment_fixed_size 0
		.amdhsa_kernarg_size 64
		.amdhsa_user_sgpr_count 6
		.amdhsa_user_sgpr_private_segment_buffer 1
		.amdhsa_user_sgpr_dispatch_ptr 0
		.amdhsa_user_sgpr_queue_ptr 0
		.amdhsa_user_sgpr_kernarg_segment_ptr 1
		.amdhsa_user_sgpr_dispatch_id 0
		.amdhsa_user_sgpr_flat_scratch_init 0
		.amdhsa_user_sgpr_kernarg_preload_length 0
		.amdhsa_user_sgpr_kernarg_preload_offset 0
		.amdhsa_user_sgpr_private_segment_size 0
		.amdhsa_uses_dynamic_stack 0
		.amdhsa_system_sgpr_private_segment_wavefront_offset 0
		.amdhsa_system_sgpr_workgroup_id_x 1
		.amdhsa_system_sgpr_workgroup_id_y 0
		.amdhsa_system_sgpr_workgroup_id_z 0
		.amdhsa_system_sgpr_workgroup_info 0
		.amdhsa_system_vgpr_workitem_id 0
		.amdhsa_next_free_vgpr 1
		.amdhsa_next_free_sgpr 0
		.amdhsa_accum_offset 4
		.amdhsa_reserve_vcc 0
		.amdhsa_reserve_flat_scratch 0
		.amdhsa_float_round_mode_32 0
		.amdhsa_float_round_mode_16_64 0
		.amdhsa_float_denorm_mode_32 3
		.amdhsa_float_denorm_mode_16_64 3
		.amdhsa_dx10_clamp 1
		.amdhsa_ieee_mode 1
		.amdhsa_fp16_overflow 0
		.amdhsa_tg_split 0
		.amdhsa_exception_fp_ieee_invalid_op 0
		.amdhsa_exception_fp_denorm_src 0
		.amdhsa_exception_fp_ieee_div_zero 0
		.amdhsa_exception_fp_ieee_overflow 0
		.amdhsa_exception_fp_ieee_underflow 0
		.amdhsa_exception_fp_ieee_inexact 0
		.amdhsa_exception_int_div_zero 0
	.end_amdhsa_kernel
	.section	.text._ZN7rocprim17ROCPRIM_400000_NS6detail17trampoline_kernelINS0_14default_configENS1_38merge_sort_block_merge_config_selectorIlNS0_10empty_typeEEEZZNS1_27merge_sort_block_merge_implIS3_PlPS5_jNS1_19radix_merge_compareILb1ELb0ElNS0_19identity_decomposerEEEEE10hipError_tT0_T1_T2_jT3_P12ihipStream_tbPNSt15iterator_traitsISE_E10value_typeEPNSK_ISF_E10value_typeEPSG_NS1_7vsmem_tEENKUlT_SE_SF_SG_E_clIS8_S8_S9_S9_EESD_ST_SE_SF_SG_EUlST_E0_NS1_11comp_targetILNS1_3genE10ELNS1_11target_archE1201ELNS1_3gpuE5ELNS1_3repE0EEENS1_38merge_mergepath_config_static_selectorELNS0_4arch9wavefront6targetE1EEEvSF_,"axG",@progbits,_ZN7rocprim17ROCPRIM_400000_NS6detail17trampoline_kernelINS0_14default_configENS1_38merge_sort_block_merge_config_selectorIlNS0_10empty_typeEEEZZNS1_27merge_sort_block_merge_implIS3_PlPS5_jNS1_19radix_merge_compareILb1ELb0ElNS0_19identity_decomposerEEEEE10hipError_tT0_T1_T2_jT3_P12ihipStream_tbPNSt15iterator_traitsISE_E10value_typeEPNSK_ISF_E10value_typeEPSG_NS1_7vsmem_tEENKUlT_SE_SF_SG_E_clIS8_S8_S9_S9_EESD_ST_SE_SF_SG_EUlST_E0_NS1_11comp_targetILNS1_3genE10ELNS1_11target_archE1201ELNS1_3gpuE5ELNS1_3repE0EEENS1_38merge_mergepath_config_static_selectorELNS0_4arch9wavefront6targetE1EEEvSF_,comdat
.Lfunc_end2141:
	.size	_ZN7rocprim17ROCPRIM_400000_NS6detail17trampoline_kernelINS0_14default_configENS1_38merge_sort_block_merge_config_selectorIlNS0_10empty_typeEEEZZNS1_27merge_sort_block_merge_implIS3_PlPS5_jNS1_19radix_merge_compareILb1ELb0ElNS0_19identity_decomposerEEEEE10hipError_tT0_T1_T2_jT3_P12ihipStream_tbPNSt15iterator_traitsISE_E10value_typeEPNSK_ISF_E10value_typeEPSG_NS1_7vsmem_tEENKUlT_SE_SF_SG_E_clIS8_S8_S9_S9_EESD_ST_SE_SF_SG_EUlST_E0_NS1_11comp_targetILNS1_3genE10ELNS1_11target_archE1201ELNS1_3gpuE5ELNS1_3repE0EEENS1_38merge_mergepath_config_static_selectorELNS0_4arch9wavefront6targetE1EEEvSF_, .Lfunc_end2141-_ZN7rocprim17ROCPRIM_400000_NS6detail17trampoline_kernelINS0_14default_configENS1_38merge_sort_block_merge_config_selectorIlNS0_10empty_typeEEEZZNS1_27merge_sort_block_merge_implIS3_PlPS5_jNS1_19radix_merge_compareILb1ELb0ElNS0_19identity_decomposerEEEEE10hipError_tT0_T1_T2_jT3_P12ihipStream_tbPNSt15iterator_traitsISE_E10value_typeEPNSK_ISF_E10value_typeEPSG_NS1_7vsmem_tEENKUlT_SE_SF_SG_E_clIS8_S8_S9_S9_EESD_ST_SE_SF_SG_EUlST_E0_NS1_11comp_targetILNS1_3genE10ELNS1_11target_archE1201ELNS1_3gpuE5ELNS1_3repE0EEENS1_38merge_mergepath_config_static_selectorELNS0_4arch9wavefront6targetE1EEEvSF_
                                        ; -- End function
	.section	.AMDGPU.csdata,"",@progbits
; Kernel info:
; codeLenInByte = 0
; NumSgprs: 4
; NumVgprs: 0
; NumAgprs: 0
; TotalNumVgprs: 0
; ScratchSize: 0
; MemoryBound: 0
; FloatMode: 240
; IeeeMode: 1
; LDSByteSize: 0 bytes/workgroup (compile time only)
; SGPRBlocks: 0
; VGPRBlocks: 0
; NumSGPRsForWavesPerEU: 4
; NumVGPRsForWavesPerEU: 1
; AccumOffset: 4
; Occupancy: 8
; WaveLimiterHint : 0
; COMPUTE_PGM_RSRC2:SCRATCH_EN: 0
; COMPUTE_PGM_RSRC2:USER_SGPR: 6
; COMPUTE_PGM_RSRC2:TRAP_HANDLER: 0
; COMPUTE_PGM_RSRC2:TGID_X_EN: 1
; COMPUTE_PGM_RSRC2:TGID_Y_EN: 0
; COMPUTE_PGM_RSRC2:TGID_Z_EN: 0
; COMPUTE_PGM_RSRC2:TIDIG_COMP_CNT: 0
; COMPUTE_PGM_RSRC3_GFX90A:ACCUM_OFFSET: 0
; COMPUTE_PGM_RSRC3_GFX90A:TG_SPLIT: 0
	.section	.text._ZN7rocprim17ROCPRIM_400000_NS6detail17trampoline_kernelINS0_14default_configENS1_38merge_sort_block_merge_config_selectorIlNS0_10empty_typeEEEZZNS1_27merge_sort_block_merge_implIS3_PlPS5_jNS1_19radix_merge_compareILb1ELb0ElNS0_19identity_decomposerEEEEE10hipError_tT0_T1_T2_jT3_P12ihipStream_tbPNSt15iterator_traitsISE_E10value_typeEPNSK_ISF_E10value_typeEPSG_NS1_7vsmem_tEENKUlT_SE_SF_SG_E_clIS8_S8_S9_S9_EESD_ST_SE_SF_SG_EUlST_E0_NS1_11comp_targetILNS1_3genE5ELNS1_11target_archE942ELNS1_3gpuE9ELNS1_3repE0EEENS1_38merge_mergepath_config_static_selectorELNS0_4arch9wavefront6targetE1EEEvSF_,"axG",@progbits,_ZN7rocprim17ROCPRIM_400000_NS6detail17trampoline_kernelINS0_14default_configENS1_38merge_sort_block_merge_config_selectorIlNS0_10empty_typeEEEZZNS1_27merge_sort_block_merge_implIS3_PlPS5_jNS1_19radix_merge_compareILb1ELb0ElNS0_19identity_decomposerEEEEE10hipError_tT0_T1_T2_jT3_P12ihipStream_tbPNSt15iterator_traitsISE_E10value_typeEPNSK_ISF_E10value_typeEPSG_NS1_7vsmem_tEENKUlT_SE_SF_SG_E_clIS8_S8_S9_S9_EESD_ST_SE_SF_SG_EUlST_E0_NS1_11comp_targetILNS1_3genE5ELNS1_11target_archE942ELNS1_3gpuE9ELNS1_3repE0EEENS1_38merge_mergepath_config_static_selectorELNS0_4arch9wavefront6targetE1EEEvSF_,comdat
	.protected	_ZN7rocprim17ROCPRIM_400000_NS6detail17trampoline_kernelINS0_14default_configENS1_38merge_sort_block_merge_config_selectorIlNS0_10empty_typeEEEZZNS1_27merge_sort_block_merge_implIS3_PlPS5_jNS1_19radix_merge_compareILb1ELb0ElNS0_19identity_decomposerEEEEE10hipError_tT0_T1_T2_jT3_P12ihipStream_tbPNSt15iterator_traitsISE_E10value_typeEPNSK_ISF_E10value_typeEPSG_NS1_7vsmem_tEENKUlT_SE_SF_SG_E_clIS8_S8_S9_S9_EESD_ST_SE_SF_SG_EUlST_E0_NS1_11comp_targetILNS1_3genE5ELNS1_11target_archE942ELNS1_3gpuE9ELNS1_3repE0EEENS1_38merge_mergepath_config_static_selectorELNS0_4arch9wavefront6targetE1EEEvSF_ ; -- Begin function _ZN7rocprim17ROCPRIM_400000_NS6detail17trampoline_kernelINS0_14default_configENS1_38merge_sort_block_merge_config_selectorIlNS0_10empty_typeEEEZZNS1_27merge_sort_block_merge_implIS3_PlPS5_jNS1_19radix_merge_compareILb1ELb0ElNS0_19identity_decomposerEEEEE10hipError_tT0_T1_T2_jT3_P12ihipStream_tbPNSt15iterator_traitsISE_E10value_typeEPNSK_ISF_E10value_typeEPSG_NS1_7vsmem_tEENKUlT_SE_SF_SG_E_clIS8_S8_S9_S9_EESD_ST_SE_SF_SG_EUlST_E0_NS1_11comp_targetILNS1_3genE5ELNS1_11target_archE942ELNS1_3gpuE9ELNS1_3repE0EEENS1_38merge_mergepath_config_static_selectorELNS0_4arch9wavefront6targetE1EEEvSF_
	.globl	_ZN7rocprim17ROCPRIM_400000_NS6detail17trampoline_kernelINS0_14default_configENS1_38merge_sort_block_merge_config_selectorIlNS0_10empty_typeEEEZZNS1_27merge_sort_block_merge_implIS3_PlPS5_jNS1_19radix_merge_compareILb1ELb0ElNS0_19identity_decomposerEEEEE10hipError_tT0_T1_T2_jT3_P12ihipStream_tbPNSt15iterator_traitsISE_E10value_typeEPNSK_ISF_E10value_typeEPSG_NS1_7vsmem_tEENKUlT_SE_SF_SG_E_clIS8_S8_S9_S9_EESD_ST_SE_SF_SG_EUlST_E0_NS1_11comp_targetILNS1_3genE5ELNS1_11target_archE942ELNS1_3gpuE9ELNS1_3repE0EEENS1_38merge_mergepath_config_static_selectorELNS0_4arch9wavefront6targetE1EEEvSF_
	.p2align	8
	.type	_ZN7rocprim17ROCPRIM_400000_NS6detail17trampoline_kernelINS0_14default_configENS1_38merge_sort_block_merge_config_selectorIlNS0_10empty_typeEEEZZNS1_27merge_sort_block_merge_implIS3_PlPS5_jNS1_19radix_merge_compareILb1ELb0ElNS0_19identity_decomposerEEEEE10hipError_tT0_T1_T2_jT3_P12ihipStream_tbPNSt15iterator_traitsISE_E10value_typeEPNSK_ISF_E10value_typeEPSG_NS1_7vsmem_tEENKUlT_SE_SF_SG_E_clIS8_S8_S9_S9_EESD_ST_SE_SF_SG_EUlST_E0_NS1_11comp_targetILNS1_3genE5ELNS1_11target_archE942ELNS1_3gpuE9ELNS1_3repE0EEENS1_38merge_mergepath_config_static_selectorELNS0_4arch9wavefront6targetE1EEEvSF_,@function
_ZN7rocprim17ROCPRIM_400000_NS6detail17trampoline_kernelINS0_14default_configENS1_38merge_sort_block_merge_config_selectorIlNS0_10empty_typeEEEZZNS1_27merge_sort_block_merge_implIS3_PlPS5_jNS1_19radix_merge_compareILb1ELb0ElNS0_19identity_decomposerEEEEE10hipError_tT0_T1_T2_jT3_P12ihipStream_tbPNSt15iterator_traitsISE_E10value_typeEPNSK_ISF_E10value_typeEPSG_NS1_7vsmem_tEENKUlT_SE_SF_SG_E_clIS8_S8_S9_S9_EESD_ST_SE_SF_SG_EUlST_E0_NS1_11comp_targetILNS1_3genE5ELNS1_11target_archE942ELNS1_3gpuE9ELNS1_3repE0EEENS1_38merge_mergepath_config_static_selectorELNS0_4arch9wavefront6targetE1EEEvSF_: ; @_ZN7rocprim17ROCPRIM_400000_NS6detail17trampoline_kernelINS0_14default_configENS1_38merge_sort_block_merge_config_selectorIlNS0_10empty_typeEEEZZNS1_27merge_sort_block_merge_implIS3_PlPS5_jNS1_19radix_merge_compareILb1ELb0ElNS0_19identity_decomposerEEEEE10hipError_tT0_T1_T2_jT3_P12ihipStream_tbPNSt15iterator_traitsISE_E10value_typeEPNSK_ISF_E10value_typeEPSG_NS1_7vsmem_tEENKUlT_SE_SF_SG_E_clIS8_S8_S9_S9_EESD_ST_SE_SF_SG_EUlST_E0_NS1_11comp_targetILNS1_3genE5ELNS1_11target_archE942ELNS1_3gpuE9ELNS1_3repE0EEENS1_38merge_mergepath_config_static_selectorELNS0_4arch9wavefront6targetE1EEEvSF_
; %bb.0:
	.section	.rodata,"a",@progbits
	.p2align	6, 0x0
	.amdhsa_kernel _ZN7rocprim17ROCPRIM_400000_NS6detail17trampoline_kernelINS0_14default_configENS1_38merge_sort_block_merge_config_selectorIlNS0_10empty_typeEEEZZNS1_27merge_sort_block_merge_implIS3_PlPS5_jNS1_19radix_merge_compareILb1ELb0ElNS0_19identity_decomposerEEEEE10hipError_tT0_T1_T2_jT3_P12ihipStream_tbPNSt15iterator_traitsISE_E10value_typeEPNSK_ISF_E10value_typeEPSG_NS1_7vsmem_tEENKUlT_SE_SF_SG_E_clIS8_S8_S9_S9_EESD_ST_SE_SF_SG_EUlST_E0_NS1_11comp_targetILNS1_3genE5ELNS1_11target_archE942ELNS1_3gpuE9ELNS1_3repE0EEENS1_38merge_mergepath_config_static_selectorELNS0_4arch9wavefront6targetE1EEEvSF_
		.amdhsa_group_segment_fixed_size 0
		.amdhsa_private_segment_fixed_size 0
		.amdhsa_kernarg_size 64
		.amdhsa_user_sgpr_count 6
		.amdhsa_user_sgpr_private_segment_buffer 1
		.amdhsa_user_sgpr_dispatch_ptr 0
		.amdhsa_user_sgpr_queue_ptr 0
		.amdhsa_user_sgpr_kernarg_segment_ptr 1
		.amdhsa_user_sgpr_dispatch_id 0
		.amdhsa_user_sgpr_flat_scratch_init 0
		.amdhsa_user_sgpr_kernarg_preload_length 0
		.amdhsa_user_sgpr_kernarg_preload_offset 0
		.amdhsa_user_sgpr_private_segment_size 0
		.amdhsa_uses_dynamic_stack 0
		.amdhsa_system_sgpr_private_segment_wavefront_offset 0
		.amdhsa_system_sgpr_workgroup_id_x 1
		.amdhsa_system_sgpr_workgroup_id_y 0
		.amdhsa_system_sgpr_workgroup_id_z 0
		.amdhsa_system_sgpr_workgroup_info 0
		.amdhsa_system_vgpr_workitem_id 0
		.amdhsa_next_free_vgpr 1
		.amdhsa_next_free_sgpr 0
		.amdhsa_accum_offset 4
		.amdhsa_reserve_vcc 0
		.amdhsa_reserve_flat_scratch 0
		.amdhsa_float_round_mode_32 0
		.amdhsa_float_round_mode_16_64 0
		.amdhsa_float_denorm_mode_32 3
		.amdhsa_float_denorm_mode_16_64 3
		.amdhsa_dx10_clamp 1
		.amdhsa_ieee_mode 1
		.amdhsa_fp16_overflow 0
		.amdhsa_tg_split 0
		.amdhsa_exception_fp_ieee_invalid_op 0
		.amdhsa_exception_fp_denorm_src 0
		.amdhsa_exception_fp_ieee_div_zero 0
		.amdhsa_exception_fp_ieee_overflow 0
		.amdhsa_exception_fp_ieee_underflow 0
		.amdhsa_exception_fp_ieee_inexact 0
		.amdhsa_exception_int_div_zero 0
	.end_amdhsa_kernel
	.section	.text._ZN7rocprim17ROCPRIM_400000_NS6detail17trampoline_kernelINS0_14default_configENS1_38merge_sort_block_merge_config_selectorIlNS0_10empty_typeEEEZZNS1_27merge_sort_block_merge_implIS3_PlPS5_jNS1_19radix_merge_compareILb1ELb0ElNS0_19identity_decomposerEEEEE10hipError_tT0_T1_T2_jT3_P12ihipStream_tbPNSt15iterator_traitsISE_E10value_typeEPNSK_ISF_E10value_typeEPSG_NS1_7vsmem_tEENKUlT_SE_SF_SG_E_clIS8_S8_S9_S9_EESD_ST_SE_SF_SG_EUlST_E0_NS1_11comp_targetILNS1_3genE5ELNS1_11target_archE942ELNS1_3gpuE9ELNS1_3repE0EEENS1_38merge_mergepath_config_static_selectorELNS0_4arch9wavefront6targetE1EEEvSF_,"axG",@progbits,_ZN7rocprim17ROCPRIM_400000_NS6detail17trampoline_kernelINS0_14default_configENS1_38merge_sort_block_merge_config_selectorIlNS0_10empty_typeEEEZZNS1_27merge_sort_block_merge_implIS3_PlPS5_jNS1_19radix_merge_compareILb1ELb0ElNS0_19identity_decomposerEEEEE10hipError_tT0_T1_T2_jT3_P12ihipStream_tbPNSt15iterator_traitsISE_E10value_typeEPNSK_ISF_E10value_typeEPSG_NS1_7vsmem_tEENKUlT_SE_SF_SG_E_clIS8_S8_S9_S9_EESD_ST_SE_SF_SG_EUlST_E0_NS1_11comp_targetILNS1_3genE5ELNS1_11target_archE942ELNS1_3gpuE9ELNS1_3repE0EEENS1_38merge_mergepath_config_static_selectorELNS0_4arch9wavefront6targetE1EEEvSF_,comdat
.Lfunc_end2142:
	.size	_ZN7rocprim17ROCPRIM_400000_NS6detail17trampoline_kernelINS0_14default_configENS1_38merge_sort_block_merge_config_selectorIlNS0_10empty_typeEEEZZNS1_27merge_sort_block_merge_implIS3_PlPS5_jNS1_19radix_merge_compareILb1ELb0ElNS0_19identity_decomposerEEEEE10hipError_tT0_T1_T2_jT3_P12ihipStream_tbPNSt15iterator_traitsISE_E10value_typeEPNSK_ISF_E10value_typeEPSG_NS1_7vsmem_tEENKUlT_SE_SF_SG_E_clIS8_S8_S9_S9_EESD_ST_SE_SF_SG_EUlST_E0_NS1_11comp_targetILNS1_3genE5ELNS1_11target_archE942ELNS1_3gpuE9ELNS1_3repE0EEENS1_38merge_mergepath_config_static_selectorELNS0_4arch9wavefront6targetE1EEEvSF_, .Lfunc_end2142-_ZN7rocprim17ROCPRIM_400000_NS6detail17trampoline_kernelINS0_14default_configENS1_38merge_sort_block_merge_config_selectorIlNS0_10empty_typeEEEZZNS1_27merge_sort_block_merge_implIS3_PlPS5_jNS1_19radix_merge_compareILb1ELb0ElNS0_19identity_decomposerEEEEE10hipError_tT0_T1_T2_jT3_P12ihipStream_tbPNSt15iterator_traitsISE_E10value_typeEPNSK_ISF_E10value_typeEPSG_NS1_7vsmem_tEENKUlT_SE_SF_SG_E_clIS8_S8_S9_S9_EESD_ST_SE_SF_SG_EUlST_E0_NS1_11comp_targetILNS1_3genE5ELNS1_11target_archE942ELNS1_3gpuE9ELNS1_3repE0EEENS1_38merge_mergepath_config_static_selectorELNS0_4arch9wavefront6targetE1EEEvSF_
                                        ; -- End function
	.section	.AMDGPU.csdata,"",@progbits
; Kernel info:
; codeLenInByte = 0
; NumSgprs: 4
; NumVgprs: 0
; NumAgprs: 0
; TotalNumVgprs: 0
; ScratchSize: 0
; MemoryBound: 0
; FloatMode: 240
; IeeeMode: 1
; LDSByteSize: 0 bytes/workgroup (compile time only)
; SGPRBlocks: 0
; VGPRBlocks: 0
; NumSGPRsForWavesPerEU: 4
; NumVGPRsForWavesPerEU: 1
; AccumOffset: 4
; Occupancy: 8
; WaveLimiterHint : 0
; COMPUTE_PGM_RSRC2:SCRATCH_EN: 0
; COMPUTE_PGM_RSRC2:USER_SGPR: 6
; COMPUTE_PGM_RSRC2:TRAP_HANDLER: 0
; COMPUTE_PGM_RSRC2:TGID_X_EN: 1
; COMPUTE_PGM_RSRC2:TGID_Y_EN: 0
; COMPUTE_PGM_RSRC2:TGID_Z_EN: 0
; COMPUTE_PGM_RSRC2:TIDIG_COMP_CNT: 0
; COMPUTE_PGM_RSRC3_GFX90A:ACCUM_OFFSET: 0
; COMPUTE_PGM_RSRC3_GFX90A:TG_SPLIT: 0
	.section	.text._ZN7rocprim17ROCPRIM_400000_NS6detail17trampoline_kernelINS0_14default_configENS1_38merge_sort_block_merge_config_selectorIlNS0_10empty_typeEEEZZNS1_27merge_sort_block_merge_implIS3_PlPS5_jNS1_19radix_merge_compareILb1ELb0ElNS0_19identity_decomposerEEEEE10hipError_tT0_T1_T2_jT3_P12ihipStream_tbPNSt15iterator_traitsISE_E10value_typeEPNSK_ISF_E10value_typeEPSG_NS1_7vsmem_tEENKUlT_SE_SF_SG_E_clIS8_S8_S9_S9_EESD_ST_SE_SF_SG_EUlST_E0_NS1_11comp_targetILNS1_3genE4ELNS1_11target_archE910ELNS1_3gpuE8ELNS1_3repE0EEENS1_38merge_mergepath_config_static_selectorELNS0_4arch9wavefront6targetE1EEEvSF_,"axG",@progbits,_ZN7rocprim17ROCPRIM_400000_NS6detail17trampoline_kernelINS0_14default_configENS1_38merge_sort_block_merge_config_selectorIlNS0_10empty_typeEEEZZNS1_27merge_sort_block_merge_implIS3_PlPS5_jNS1_19radix_merge_compareILb1ELb0ElNS0_19identity_decomposerEEEEE10hipError_tT0_T1_T2_jT3_P12ihipStream_tbPNSt15iterator_traitsISE_E10value_typeEPNSK_ISF_E10value_typeEPSG_NS1_7vsmem_tEENKUlT_SE_SF_SG_E_clIS8_S8_S9_S9_EESD_ST_SE_SF_SG_EUlST_E0_NS1_11comp_targetILNS1_3genE4ELNS1_11target_archE910ELNS1_3gpuE8ELNS1_3repE0EEENS1_38merge_mergepath_config_static_selectorELNS0_4arch9wavefront6targetE1EEEvSF_,comdat
	.protected	_ZN7rocprim17ROCPRIM_400000_NS6detail17trampoline_kernelINS0_14default_configENS1_38merge_sort_block_merge_config_selectorIlNS0_10empty_typeEEEZZNS1_27merge_sort_block_merge_implIS3_PlPS5_jNS1_19radix_merge_compareILb1ELb0ElNS0_19identity_decomposerEEEEE10hipError_tT0_T1_T2_jT3_P12ihipStream_tbPNSt15iterator_traitsISE_E10value_typeEPNSK_ISF_E10value_typeEPSG_NS1_7vsmem_tEENKUlT_SE_SF_SG_E_clIS8_S8_S9_S9_EESD_ST_SE_SF_SG_EUlST_E0_NS1_11comp_targetILNS1_3genE4ELNS1_11target_archE910ELNS1_3gpuE8ELNS1_3repE0EEENS1_38merge_mergepath_config_static_selectorELNS0_4arch9wavefront6targetE1EEEvSF_ ; -- Begin function _ZN7rocprim17ROCPRIM_400000_NS6detail17trampoline_kernelINS0_14default_configENS1_38merge_sort_block_merge_config_selectorIlNS0_10empty_typeEEEZZNS1_27merge_sort_block_merge_implIS3_PlPS5_jNS1_19radix_merge_compareILb1ELb0ElNS0_19identity_decomposerEEEEE10hipError_tT0_T1_T2_jT3_P12ihipStream_tbPNSt15iterator_traitsISE_E10value_typeEPNSK_ISF_E10value_typeEPSG_NS1_7vsmem_tEENKUlT_SE_SF_SG_E_clIS8_S8_S9_S9_EESD_ST_SE_SF_SG_EUlST_E0_NS1_11comp_targetILNS1_3genE4ELNS1_11target_archE910ELNS1_3gpuE8ELNS1_3repE0EEENS1_38merge_mergepath_config_static_selectorELNS0_4arch9wavefront6targetE1EEEvSF_
	.globl	_ZN7rocprim17ROCPRIM_400000_NS6detail17trampoline_kernelINS0_14default_configENS1_38merge_sort_block_merge_config_selectorIlNS0_10empty_typeEEEZZNS1_27merge_sort_block_merge_implIS3_PlPS5_jNS1_19radix_merge_compareILb1ELb0ElNS0_19identity_decomposerEEEEE10hipError_tT0_T1_T2_jT3_P12ihipStream_tbPNSt15iterator_traitsISE_E10value_typeEPNSK_ISF_E10value_typeEPSG_NS1_7vsmem_tEENKUlT_SE_SF_SG_E_clIS8_S8_S9_S9_EESD_ST_SE_SF_SG_EUlST_E0_NS1_11comp_targetILNS1_3genE4ELNS1_11target_archE910ELNS1_3gpuE8ELNS1_3repE0EEENS1_38merge_mergepath_config_static_selectorELNS0_4arch9wavefront6targetE1EEEvSF_
	.p2align	8
	.type	_ZN7rocprim17ROCPRIM_400000_NS6detail17trampoline_kernelINS0_14default_configENS1_38merge_sort_block_merge_config_selectorIlNS0_10empty_typeEEEZZNS1_27merge_sort_block_merge_implIS3_PlPS5_jNS1_19radix_merge_compareILb1ELb0ElNS0_19identity_decomposerEEEEE10hipError_tT0_T1_T2_jT3_P12ihipStream_tbPNSt15iterator_traitsISE_E10value_typeEPNSK_ISF_E10value_typeEPSG_NS1_7vsmem_tEENKUlT_SE_SF_SG_E_clIS8_S8_S9_S9_EESD_ST_SE_SF_SG_EUlST_E0_NS1_11comp_targetILNS1_3genE4ELNS1_11target_archE910ELNS1_3gpuE8ELNS1_3repE0EEENS1_38merge_mergepath_config_static_selectorELNS0_4arch9wavefront6targetE1EEEvSF_,@function
_ZN7rocprim17ROCPRIM_400000_NS6detail17trampoline_kernelINS0_14default_configENS1_38merge_sort_block_merge_config_selectorIlNS0_10empty_typeEEEZZNS1_27merge_sort_block_merge_implIS3_PlPS5_jNS1_19radix_merge_compareILb1ELb0ElNS0_19identity_decomposerEEEEE10hipError_tT0_T1_T2_jT3_P12ihipStream_tbPNSt15iterator_traitsISE_E10value_typeEPNSK_ISF_E10value_typeEPSG_NS1_7vsmem_tEENKUlT_SE_SF_SG_E_clIS8_S8_S9_S9_EESD_ST_SE_SF_SG_EUlST_E0_NS1_11comp_targetILNS1_3genE4ELNS1_11target_archE910ELNS1_3gpuE8ELNS1_3repE0EEENS1_38merge_mergepath_config_static_selectorELNS0_4arch9wavefront6targetE1EEEvSF_: ; @_ZN7rocprim17ROCPRIM_400000_NS6detail17trampoline_kernelINS0_14default_configENS1_38merge_sort_block_merge_config_selectorIlNS0_10empty_typeEEEZZNS1_27merge_sort_block_merge_implIS3_PlPS5_jNS1_19radix_merge_compareILb1ELb0ElNS0_19identity_decomposerEEEEE10hipError_tT0_T1_T2_jT3_P12ihipStream_tbPNSt15iterator_traitsISE_E10value_typeEPNSK_ISF_E10value_typeEPSG_NS1_7vsmem_tEENKUlT_SE_SF_SG_E_clIS8_S8_S9_S9_EESD_ST_SE_SF_SG_EUlST_E0_NS1_11comp_targetILNS1_3genE4ELNS1_11target_archE910ELNS1_3gpuE8ELNS1_3repE0EEENS1_38merge_mergepath_config_static_selectorELNS0_4arch9wavefront6targetE1EEEvSF_
; %bb.0:
	s_load_dwordx2 s[14:15], s[4:5], 0x40
	s_load_dword s3, s[4:5], 0x30
	s_add_u32 s0, s4, 64
	s_addc_u32 s1, s5, 0
	s_waitcnt lgkmcnt(0)
	s_mul_i32 s2, s15, s8
	s_add_i32 s2, s2, s7
	s_mul_i32 s2, s2, s14
	s_add_i32 s2, s2, s6
	s_cmp_ge_u32 s2, s3
	s_cbranch_scc1 .LBB2143_31
; %bb.1:
	s_load_dwordx2 s[8:9], s[4:5], 0x28
	s_load_dwordx2 s[10:11], s[4:5], 0x38
	s_load_dwordx2 s[16:17], s[4:5], 0x8
	s_mov_b32 s3, 0
	v_mov_b32_e32 v9, 0
	s_waitcnt lgkmcnt(0)
	s_lshr_b32 s7, s8, 10
	s_cmp_lg_u32 s2, s7
	s_cselect_b64 s[12:13], -1, 0
	s_lshl_b64 s[18:19], s[2:3], 2
	s_add_u32 s10, s10, s18
	s_addc_u32 s11, s11, s19
	s_load_dwordx2 s[18:19], s[10:11], 0x0
	s_lshr_b32 s10, s9, 9
	s_and_b32 s10, s10, 0x7ffffe
	s_sub_i32 s11, 0, s10
	s_and_b32 s15, s2, s11
	s_lshl_b32 s21, s15, 10
	s_lshl_b32 s10, s2, 10
	;; [unrolled: 1-line block ×3, first 2 shown]
	s_sub_i32 s20, s10, s21
	s_add_i32 s15, s15, s9
	s_add_i32 s22, s15, s20
	s_waitcnt lgkmcnt(0)
	s_sub_i32 s20, s22, s18
	s_sub_i32 s22, s22, s19
	;; [unrolled: 1-line block ×3, first 2 shown]
	s_min_u32 s20, s8, s20
	s_addk_i32 s22, 0x400
	s_or_b32 s11, s2, s11
	s_min_u32 s21, s8, s15
	s_add_i32 s15, s15, s9
	s_cmp_eq_u32 s11, -1
	s_cselect_b32 s9, s15, s22
	s_cselect_b32 s11, s21, s19
	s_min_u32 s15, s9, s8
	s_mov_b32 s19, s3
	s_sub_i32 s9, s11, s18
	s_sub_i32 s15, s15, s20
	s_lshl_b64 s[18:19], s[18:19], 3
	s_add_u32 s18, s16, s18
	s_mov_b32 s21, s3
	s_addc_u32 s19, s17, s19
	s_lshl_b64 s[20:21], s[20:21], 3
	s_add_u32 s16, s16, s20
	s_addc_u32 s17, s17, s21
	s_cmp_lt_u32 s6, s14
	s_cselect_b32 s3, 12, 18
	global_load_dword v1, v9, s[0:1] offset:14
	s_add_u32 s0, s0, s3
	s_addc_u32 s1, s1, 0
	global_load_ushort v2, v9, s[0:1]
	s_cmp_eq_u32 s2, s7
	s_waitcnt vmcnt(1)
	v_lshrrev_b32_e32 v3, 16, v1
	v_and_b32_e32 v1, 0xffff, v1
	v_mul_lo_u32 v1, v1, v3
	s_waitcnt vmcnt(0)
	v_mul_lo_u32 v14, v1, v2
	v_add_u32_e32 v12, v14, v0
	v_lshlrev_b32_e32 v1, 3, v0
	v_add_u32_e32 v10, v12, v14
	s_cbranch_scc1 .LBB2143_3
; %bb.2:
	v_mov_b32_e32 v2, s19
	v_add_co_u32_e32 v4, vcc, s18, v1
	v_subrev_u32_e32 v8, s9, v0
	v_addc_co_u32_e32 v5, vcc, 0, v2, vcc
	v_lshlrev_b64 v[2:3], 3, v[8:9]
	v_mov_b32_e32 v6, s17
	v_add_co_u32_e32 v2, vcc, s16, v2
	v_addc_co_u32_e32 v3, vcc, v6, v3, vcc
	v_cmp_gt_u32_e32 vcc, s9, v0
	v_mov_b32_e32 v13, v9
	v_cndmask_b32_e32 v3, v3, v5, vcc
	v_cndmask_b32_e32 v2, v2, v4, vcc
	v_lshlrev_b64 v[4:5], 3, v[12:13]
	v_mov_b32_e32 v6, s19
	v_add_co_u32_e32 v7, vcc, s18, v4
	v_subrev_u32_e32 v8, s9, v12
	v_addc_co_u32_e32 v6, vcc, v6, v5, vcc
	v_lshlrev_b64 v[4:5], 3, v[8:9]
	v_mov_b32_e32 v8, s17
	v_add_co_u32_e32 v4, vcc, s16, v4
	v_addc_co_u32_e32 v5, vcc, v8, v5, vcc
	v_cmp_gt_u32_e32 vcc, s9, v12
	v_mov_b32_e32 v11, v9
	v_cndmask_b32_e32 v5, v5, v6, vcc
	v_cndmask_b32_e32 v4, v4, v7, vcc
	v_lshlrev_b64 v[6:7], 3, v[10:11]
	v_mov_b32_e32 v8, s19
	v_add_co_u32_e32 v11, vcc, s18, v6
	v_addc_co_u32_e32 v13, vcc, v8, v7, vcc
	v_subrev_u32_e32 v8, s9, v10
	v_lshlrev_b64 v[6:7], 3, v[8:9]
	v_mov_b32_e32 v8, s17
	v_add_co_u32_e32 v6, vcc, s16, v6
	v_addc_co_u32_e32 v7, vcc, v8, v7, vcc
	v_add_u32_e32 v8, v10, v14
	v_cmp_gt_u32_e32 vcc, s9, v10
	v_lshlrev_b64 v[16:17], 3, v[8:9]
	v_cndmask_b32_e32 v7, v7, v13, vcc
	v_cndmask_b32_e32 v6, v6, v11, vcc
	v_mov_b32_e32 v11, s19
	v_add_co_u32_e32 v13, vcc, s18, v16
	v_addc_co_u32_e32 v11, vcc, v11, v17, vcc
	v_cmp_gt_u32_e32 vcc, s9, v8
	v_subrev_u32_e32 v8, s9, v8
	v_lshlrev_b64 v[8:9], 3, v[8:9]
	v_mov_b32_e32 v15, s17
	v_add_co_u32_e64 v8, s[0:1], s16, v8
	v_addc_co_u32_e64 v9, s[0:1], v15, v9, s[0:1]
	v_cndmask_b32_e32 v9, v9, v11, vcc
	v_cndmask_b32_e32 v8, v8, v13, vcc
	global_load_dwordx2 v[2:3], v[2:3], off
	s_add_i32 s11, s15, s9
	global_load_dwordx2 v[4:5], v[4:5], off
	s_nop 0
	global_load_dwordx2 v[6:7], v[6:7], off
	s_nop 0
	global_load_dwordx2 v[8:9], v[8:9], off
	s_load_dwordx2 s[6:7], s[4:5], 0x10
	s_cbranch_execz .LBB2143_4
	s_branch .LBB2143_11
.LBB2143_3:
                                        ; implicit-def: $vgpr2_vgpr3_vgpr4_vgpr5_vgpr6_vgpr7_vgpr8_vgpr9
                                        ; implicit-def: $sgpr11
	s_load_dwordx2 s[6:7], s[4:5], 0x10
.LBB2143_4:
	s_add_i32 s11, s15, s9
	v_cmp_gt_u32_e32 vcc, s11, v0
                                        ; implicit-def: $vgpr2_vgpr3_vgpr4_vgpr5_vgpr6_vgpr7_vgpr8_vgpr9
	s_and_saveexec_b64 s[0:1], vcc
	s_cbranch_execnz .LBB2143_32
; %bb.5:
	s_or_b64 exec, exec, s[0:1]
	v_cmp_gt_u32_e32 vcc, s11, v12
	s_and_saveexec_b64 s[2:3], vcc
	s_cbranch_execnz .LBB2143_33
.LBB2143_6:
	s_or_b64 exec, exec, s[2:3]
	v_cmp_gt_u32_e32 vcc, s11, v10
	s_and_saveexec_b64 s[0:1], vcc
	s_cbranch_execz .LBB2143_8
.LBB2143_7:
	v_mov_b32_e32 v11, 0
	s_waitcnt vmcnt(1)
	v_lshlrev_b64 v[6:7], 3, v[10:11]
	v_mov_b32_e32 v12, s19
	v_add_co_u32_e32 v13, vcc, s18, v6
	v_addc_co_u32_e32 v12, vcc, v12, v7, vcc
	v_subrev_u32_e32 v6, s9, v10
	v_mov_b32_e32 v7, v11
	v_lshlrev_b64 v[6:7], 3, v[6:7]
	v_mov_b32_e32 v11, s17
	v_add_co_u32_e32 v6, vcc, s16, v6
	v_addc_co_u32_e32 v7, vcc, v11, v7, vcc
	v_cmp_gt_u32_e32 vcc, s9, v10
	v_cndmask_b32_e32 v7, v7, v12, vcc
	v_cndmask_b32_e32 v6, v6, v13, vcc
	global_load_dwordx2 v[6:7], v[6:7], off
.LBB2143_8:
	s_or_b64 exec, exec, s[0:1]
	v_add_u32_e32 v10, v10, v14
	v_cmp_gt_u32_e32 vcc, s11, v10
	s_and_saveexec_b64 s[2:3], vcc
	s_cbranch_execz .LBB2143_10
; %bb.9:
	v_mov_b32_e32 v11, 0
	s_waitcnt vmcnt(0)
	v_lshlrev_b64 v[8:9], 3, v[10:11]
	v_mov_b32_e32 v12, s19
	v_add_co_u32_e32 v13, vcc, s18, v8
	v_addc_co_u32_e32 v12, vcc, v12, v9, vcc
	v_cmp_gt_u32_e32 vcc, s9, v10
	v_subrev_u32_e32 v10, s9, v10
	v_lshlrev_b64 v[8:9], 3, v[10:11]
	v_mov_b32_e32 v10, s17
	v_add_co_u32_e64 v8, s[0:1], s16, v8
	v_addc_co_u32_e64 v9, s[0:1], v10, v9, s[0:1]
	v_cndmask_b32_e32 v9, v9, v12, vcc
	v_cndmask_b32_e32 v8, v8, v13, vcc
	global_load_dwordx2 v[8:9], v[8:9], off
.LBB2143_10:
	s_or_b64 exec, exec, s[2:3]
.LBB2143_11:
	v_lshlrev_b32_e32 v10, 2, v0
	v_min_u32_e32 v12, s11, v10
	v_sub_u32_e64 v11, v12, s15 clamp
	v_min_u32_e32 v13, s9, v12
	v_cmp_lt_u32_e32 vcc, v11, v13
	s_waitcnt vmcnt(0)
	ds_write2st64_b64 v1, v[2:3], v[4:5] offset1:4
	ds_write2st64_b64 v1, v[6:7], v[8:9] offset0:8 offset1:12
	s_waitcnt lgkmcnt(0)
	s_barrier
	s_and_saveexec_b64 s[0:1], vcc
	s_cbranch_execz .LBB2143_15
; %bb.12:
	v_lshlrev_b32_e32 v14, 3, v12
	v_lshl_add_u32 v14, s9, 3, v14
	s_mov_b64 s[2:3], 0
.LBB2143_13:                            ; =>This Inner Loop Header: Depth=1
	v_add_u32_e32 v15, v13, v11
	v_lshrrev_b32_e32 v15, 1, v15
	v_not_b32_e32 v16, v15
	v_lshlrev_b32_e32 v17, 3, v15
	v_lshl_add_u32 v18, v16, 3, v14
	ds_read_b64 v[16:17], v17
	ds_read_b64 v[18:19], v18
	v_add_u32_e32 v20, 1, v15
	s_waitcnt lgkmcnt(0)
	v_cmp_gt_i64_e32 vcc, v[18:19], v[16:17]
	v_cndmask_b32_e32 v13, v13, v15, vcc
	v_cndmask_b32_e32 v11, v20, v11, vcc
	v_cmp_ge_u32_e32 vcc, v11, v13
	s_or_b64 s[2:3], vcc, s[2:3]
	s_andn2_b64 exec, exec, s[2:3]
	s_cbranch_execnz .LBB2143_13
; %bb.14:
	s_or_b64 exec, exec, s[2:3]
.LBB2143_15:
	s_or_b64 exec, exec, s[0:1]
	v_sub_u32_e32 v12, v12, v11
	v_add_u32_e32 v12, s9, v12
	v_cmp_ge_u32_e32 vcc, s9, v11
	v_cmp_ge_u32_e64 s[0:1], s11, v12
	s_or_b64 s[0:1], vcc, s[0:1]
	s_and_saveexec_b64 s[14:15], s[0:1]
	s_cbranch_execz .LBB2143_21
; %bb.16:
	v_cmp_gt_u32_e32 vcc, s9, v11
                                        ; implicit-def: $vgpr2_vgpr3
	s_and_saveexec_b64 s[0:1], vcc
	s_cbranch_execz .LBB2143_18
; %bb.17:
	v_lshlrev_b32_e32 v2, 3, v11
	ds_read_b64 v[2:3], v2
.LBB2143_18:
	s_or_b64 exec, exec, s[0:1]
	v_cmp_le_u32_e64 s[0:1], s11, v12
	v_cmp_gt_u32_e64 s[2:3], s11, v12
                                        ; implicit-def: $vgpr4_vgpr5
	s_and_saveexec_b64 s[4:5], s[2:3]
	s_cbranch_execz .LBB2143_20
; %bb.19:
	v_lshlrev_b32_e32 v4, 3, v12
	ds_read_b64 v[4:5], v4
.LBB2143_20:
	s_or_b64 exec, exec, s[4:5]
	s_waitcnt lgkmcnt(0)
	v_cmp_le_i64_e64 s[2:3], v[4:5], v[2:3]
	s_and_b64 s[2:3], vcc, s[2:3]
	s_or_b64 vcc, s[0:1], s[2:3]
	v_mov_b32_e32 v16, s11
	v_mov_b32_e32 v17, s9
	v_cndmask_b32_e32 v6, v12, v11, vcc
	v_cndmask_b32_e32 v7, v16, v17, vcc
	v_add_u32_e32 v13, 1, v6
	v_add_u32_e32 v6, -1, v7
	v_min_u32_e32 v6, v13, v6
	v_lshlrev_b32_e32 v6, 3, v6
	ds_read_b64 v[6:7], v6
	v_cndmask_b32_e32 v11, v11, v13, vcc
	v_cndmask_b32_e32 v18, v13, v12, vcc
	v_cmp_gt_u32_e64 s[2:3], s9, v11
	v_cmp_le_u32_e64 s[0:1], s11, v18
	s_waitcnt lgkmcnt(0)
	v_cndmask_b32_e32 v9, v7, v5, vcc
	v_cndmask_b32_e32 v8, v6, v4, vcc
	;; [unrolled: 1-line block ×4, first 2 shown]
	v_cmp_le_i64_e64 s[4:5], v[8:9], v[6:7]
	s_and_b64 s[2:3], s[2:3], s[4:5]
	s_or_b64 s[0:1], s[0:1], s[2:3]
	v_cndmask_b32_e64 v12, v18, v11, s[0:1]
	v_cndmask_b32_e64 v13, v16, v17, s[0:1]
	v_add_u32_e32 v19, 1, v12
	v_add_u32_e32 v12, -1, v13
	v_min_u32_e32 v12, v19, v12
	v_lshlrev_b32_e32 v12, 3, v12
	ds_read_b64 v[12:13], v12
	v_cndmask_b32_e64 v11, v11, v19, s[0:1]
	v_cndmask_b32_e64 v18, v19, v18, s[0:1]
	v_cmp_gt_u32_e64 s[2:3], s9, v11
	v_cndmask_b32_e32 v3, v5, v3, vcc
	s_waitcnt lgkmcnt(0)
	v_cndmask_b32_e64 v15, v13, v9, s[0:1]
	v_cndmask_b32_e64 v14, v12, v8, s[0:1]
	;; [unrolled: 1-line block ×4, first 2 shown]
	v_cmp_le_i64_e64 s[4:5], v[14:15], v[12:13]
	v_cndmask_b32_e32 v2, v4, v2, vcc
	v_cmp_le_u32_e32 vcc, s11, v18
	s_and_b64 s[2:3], s[2:3], s[4:5]
	s_or_b64 vcc, vcc, s[2:3]
	v_cndmask_b32_e32 v4, v18, v11, vcc
	v_cndmask_b32_e32 v5, v16, v17, vcc
	v_add_u32_e32 v19, 1, v4
	v_add_u32_e32 v4, -1, v5
	v_min_u32_e32 v4, v19, v4
	v_lshlrev_b32_e32 v4, 3, v4
	ds_read_b64 v[16:17], v4
	v_cndmask_b32_e64 v5, v9, v7, s[0:1]
	v_cndmask_b32_e64 v4, v8, v6, s[0:1]
	v_cndmask_b32_e32 v7, v15, v13, vcc
	v_cndmask_b32_e32 v6, v14, v12, vcc
	s_waitcnt lgkmcnt(0)
	v_cndmask_b32_e32 v9, v17, v15, vcc
	v_cndmask_b32_e32 v8, v16, v14, vcc
	;; [unrolled: 1-line block ×6, first 2 shown]
	v_cmp_gt_u32_e64 s[0:1], s9, v11
	v_cmp_le_i64_e64 s[2:3], v[8:9], v[12:13]
	v_cmp_le_u32_e32 vcc, s11, v14
	s_and_b64 s[0:1], s[0:1], s[2:3]
	s_or_b64 vcc, vcc, s[0:1]
	v_cndmask_b32_e32 v9, v9, v13, vcc
	v_cndmask_b32_e32 v8, v8, v12, vcc
.LBB2143_21:
	s_or_b64 exec, exec, s[14:15]
	v_and_b32_e32 v11, 0xf8, v0
	v_lshl_add_u32 v10, v10, 3, v11
	s_barrier
	s_barrier
	ds_write2_b64 v10, v[2:3], v[4:5] offset1:1
	ds_write2_b64 v10, v[6:7], v[8:9] offset0:2 offset1:3
	v_lshrrev_b32_e32 v2, 2, v0
	v_and_b32_e32 v2, 56, v2
	v_or_b32_e32 v12, 0x100, v0
	v_add_u32_e32 v13, v1, v2
	v_lshrrev_b32_e32 v2, 2, v12
	v_and_b32_e32 v2, 0x78, v2
	v_or_b32_e32 v11, 0x200, v0
	s_mov_b32 s11, 0
	v_add_u32_e32 v6, v1, v2
	v_lshrrev_b32_e32 v2, 2, v11
	s_lshl_b64 s[0:1], s[10:11], 3
	v_and_b32_e32 v2, 0xb8, v2
	v_or_b32_e32 v10, 0x300, v0
	s_add_u32 s0, s6, s0
	v_add_u32_e32 v7, v1, v2
	v_lshrrev_b32_e32 v2, 2, v10
	s_addc_u32 s1, s7, s1
	v_and_b32_e32 v2, 0xf8, v2
	v_add_u32_e32 v14, v1, v2
	v_mov_b32_e32 v3, s1
	v_add_co_u32_e32 v2, vcc, s0, v1
	v_addc_co_u32_e32 v3, vcc, 0, v3, vcc
	s_and_b64 vcc, exec, s[12:13]
	s_waitcnt lgkmcnt(0)
	s_cbranch_vccz .LBB2143_23
; %bb.22:
	s_barrier
	ds_read_b64 v[8:9], v13
	ds_read_b64 v[16:17], v6 offset:2048
	ds_read_b64 v[18:19], v7 offset:4096
	;; [unrolled: 1-line block ×3, first 2 shown]
	s_waitcnt lgkmcnt(3)
	global_store_dwordx2 v[2:3], v[8:9], off
	s_waitcnt lgkmcnt(2)
	global_store_dwordx2 v[2:3], v[16:17], off offset:2048
	v_add_co_u32_e32 v8, vcc, 0x1000, v2
	v_addc_co_u32_e32 v9, vcc, 0, v3, vcc
	s_waitcnt lgkmcnt(1)
	global_store_dwordx2 v[8:9], v[18:19], off
	s_mov_b64 s[0:1], -1
	s_cbranch_execz .LBB2143_24
	s_branch .LBB2143_29
.LBB2143_23:
	s_mov_b64 s[0:1], 0
                                        ; implicit-def: $vgpr4_vgpr5
.LBB2143_24:
	s_barrier
	s_waitcnt lgkmcnt(0)
	ds_read_b64 v[8:9], v6 offset:2048
	ds_read_b64 v[6:7], v7 offset:4096
	;; [unrolled: 1-line block ×3, first 2 shown]
	s_sub_i32 s2, s8, s10
	v_cmp_gt_u32_e32 vcc, s2, v0
	s_and_saveexec_b64 s[0:1], vcc
	s_cbranch_execnz .LBB2143_34
; %bb.25:
	s_or_b64 exec, exec, s[0:1]
	v_cmp_gt_u32_e32 vcc, s2, v12
	s_and_saveexec_b64 s[0:1], vcc
	s_cbranch_execnz .LBB2143_35
.LBB2143_26:
	s_or_b64 exec, exec, s[0:1]
	v_cmp_gt_u32_e32 vcc, s2, v11
	s_and_saveexec_b64 s[0:1], vcc
	s_cbranch_execz .LBB2143_28
.LBB2143_27:
	v_add_co_u32_e32 v0, vcc, 0x1000, v2
	v_addc_co_u32_e32 v1, vcc, 0, v3, vcc
	s_waitcnt lgkmcnt(1)
	global_store_dwordx2 v[0:1], v[6:7], off
.LBB2143_28:
	s_or_b64 exec, exec, s[0:1]
	v_cmp_gt_u32_e64 s[0:1], s2, v10
.LBB2143_29:
	s_and_saveexec_b64 s[2:3], s[0:1]
	s_cbranch_execz .LBB2143_31
; %bb.30:
	v_add_co_u32_e32 v0, vcc, 0x1000, v2
	v_addc_co_u32_e32 v1, vcc, 0, v3, vcc
	s_waitcnt lgkmcnt(0)
	global_store_dwordx2 v[0:1], v[4:5], off offset:2048
.LBB2143_31:
	s_endpgm
.LBB2143_32:
	s_waitcnt vmcnt(3)
	v_mov_b32_e32 v2, s19
	s_waitcnt vmcnt(2)
	v_add_co_u32_e32 v4, vcc, s18, v1
	v_mov_b32_e32 v3, 0
	v_addc_co_u32_e32 v5, vcc, 0, v2, vcc
	v_subrev_u32_e32 v2, s9, v0
	v_lshlrev_b64 v[2:3], 3, v[2:3]
	s_waitcnt vmcnt(1)
	v_mov_b32_e32 v6, s17
	v_add_co_u32_e32 v2, vcc, s16, v2
	v_addc_co_u32_e32 v3, vcc, v6, v3, vcc
	v_cmp_gt_u32_e32 vcc, s9, v0
	v_cndmask_b32_e32 v3, v3, v5, vcc
	v_cndmask_b32_e32 v2, v2, v4, vcc
	global_load_dwordx2 v[2:3], v[2:3], off
	s_or_b64 exec, exec, s[0:1]
	v_cmp_gt_u32_e32 vcc, s11, v12
	s_and_saveexec_b64 s[2:3], vcc
	s_cbranch_execz .LBB2143_6
.LBB2143_33:
	v_mov_b32_e32 v13, 0
	s_waitcnt vmcnt(2)
	v_lshlrev_b64 v[4:5], 3, v[12:13]
	v_mov_b32_e32 v11, s19
	v_add_co_u32_e32 v15, vcc, s18, v4
	v_addc_co_u32_e32 v11, vcc, v11, v5, vcc
	v_cmp_gt_u32_e32 vcc, s9, v12
	v_subrev_u32_e32 v12, s9, v12
	v_lshlrev_b64 v[4:5], 3, v[12:13]
	v_mov_b32_e32 v12, s17
	v_add_co_u32_e64 v4, s[0:1], s16, v4
	v_addc_co_u32_e64 v5, s[0:1], v12, v5, s[0:1]
	v_cndmask_b32_e32 v5, v5, v11, vcc
	v_cndmask_b32_e32 v4, v4, v15, vcc
	global_load_dwordx2 v[4:5], v[4:5], off
	s_or_b64 exec, exec, s[2:3]
	v_cmp_gt_u32_e32 vcc, s11, v10
	s_and_saveexec_b64 s[0:1], vcc
	s_cbranch_execnz .LBB2143_7
	s_branch .LBB2143_8
.LBB2143_34:
	ds_read_b64 v[0:1], v13
	s_waitcnt lgkmcnt(0)
	global_store_dwordx2 v[2:3], v[0:1], off
	s_or_b64 exec, exec, s[0:1]
	v_cmp_gt_u32_e32 vcc, s2, v12
	s_and_saveexec_b64 s[0:1], vcc
	s_cbranch_execz .LBB2143_26
.LBB2143_35:
	s_waitcnt lgkmcnt(2)
	global_store_dwordx2 v[2:3], v[8:9], off offset:2048
	s_or_b64 exec, exec, s[0:1]
	v_cmp_gt_u32_e32 vcc, s2, v11
	s_and_saveexec_b64 s[0:1], vcc
	s_cbranch_execnz .LBB2143_27
	s_branch .LBB2143_28
	.section	.rodata,"a",@progbits
	.p2align	6, 0x0
	.amdhsa_kernel _ZN7rocprim17ROCPRIM_400000_NS6detail17trampoline_kernelINS0_14default_configENS1_38merge_sort_block_merge_config_selectorIlNS0_10empty_typeEEEZZNS1_27merge_sort_block_merge_implIS3_PlPS5_jNS1_19radix_merge_compareILb1ELb0ElNS0_19identity_decomposerEEEEE10hipError_tT0_T1_T2_jT3_P12ihipStream_tbPNSt15iterator_traitsISE_E10value_typeEPNSK_ISF_E10value_typeEPSG_NS1_7vsmem_tEENKUlT_SE_SF_SG_E_clIS8_S8_S9_S9_EESD_ST_SE_SF_SG_EUlST_E0_NS1_11comp_targetILNS1_3genE4ELNS1_11target_archE910ELNS1_3gpuE8ELNS1_3repE0EEENS1_38merge_mergepath_config_static_selectorELNS0_4arch9wavefront6targetE1EEEvSF_
		.amdhsa_group_segment_fixed_size 8448
		.amdhsa_private_segment_fixed_size 0
		.amdhsa_kernarg_size 320
		.amdhsa_user_sgpr_count 6
		.amdhsa_user_sgpr_private_segment_buffer 1
		.amdhsa_user_sgpr_dispatch_ptr 0
		.amdhsa_user_sgpr_queue_ptr 0
		.amdhsa_user_sgpr_kernarg_segment_ptr 1
		.amdhsa_user_sgpr_dispatch_id 0
		.amdhsa_user_sgpr_flat_scratch_init 0
		.amdhsa_user_sgpr_kernarg_preload_length 0
		.amdhsa_user_sgpr_kernarg_preload_offset 0
		.amdhsa_user_sgpr_private_segment_size 0
		.amdhsa_uses_dynamic_stack 0
		.amdhsa_system_sgpr_private_segment_wavefront_offset 0
		.amdhsa_system_sgpr_workgroup_id_x 1
		.amdhsa_system_sgpr_workgroup_id_y 1
		.amdhsa_system_sgpr_workgroup_id_z 1
		.amdhsa_system_sgpr_workgroup_info 0
		.amdhsa_system_vgpr_workitem_id 0
		.amdhsa_next_free_vgpr 21
		.amdhsa_next_free_sgpr 23
		.amdhsa_accum_offset 24
		.amdhsa_reserve_vcc 1
		.amdhsa_reserve_flat_scratch 0
		.amdhsa_float_round_mode_32 0
		.amdhsa_float_round_mode_16_64 0
		.amdhsa_float_denorm_mode_32 3
		.amdhsa_float_denorm_mode_16_64 3
		.amdhsa_dx10_clamp 1
		.amdhsa_ieee_mode 1
		.amdhsa_fp16_overflow 0
		.amdhsa_tg_split 0
		.amdhsa_exception_fp_ieee_invalid_op 0
		.amdhsa_exception_fp_denorm_src 0
		.amdhsa_exception_fp_ieee_div_zero 0
		.amdhsa_exception_fp_ieee_overflow 0
		.amdhsa_exception_fp_ieee_underflow 0
		.amdhsa_exception_fp_ieee_inexact 0
		.amdhsa_exception_int_div_zero 0
	.end_amdhsa_kernel
	.section	.text._ZN7rocprim17ROCPRIM_400000_NS6detail17trampoline_kernelINS0_14default_configENS1_38merge_sort_block_merge_config_selectorIlNS0_10empty_typeEEEZZNS1_27merge_sort_block_merge_implIS3_PlPS5_jNS1_19radix_merge_compareILb1ELb0ElNS0_19identity_decomposerEEEEE10hipError_tT0_T1_T2_jT3_P12ihipStream_tbPNSt15iterator_traitsISE_E10value_typeEPNSK_ISF_E10value_typeEPSG_NS1_7vsmem_tEENKUlT_SE_SF_SG_E_clIS8_S8_S9_S9_EESD_ST_SE_SF_SG_EUlST_E0_NS1_11comp_targetILNS1_3genE4ELNS1_11target_archE910ELNS1_3gpuE8ELNS1_3repE0EEENS1_38merge_mergepath_config_static_selectorELNS0_4arch9wavefront6targetE1EEEvSF_,"axG",@progbits,_ZN7rocprim17ROCPRIM_400000_NS6detail17trampoline_kernelINS0_14default_configENS1_38merge_sort_block_merge_config_selectorIlNS0_10empty_typeEEEZZNS1_27merge_sort_block_merge_implIS3_PlPS5_jNS1_19radix_merge_compareILb1ELb0ElNS0_19identity_decomposerEEEEE10hipError_tT0_T1_T2_jT3_P12ihipStream_tbPNSt15iterator_traitsISE_E10value_typeEPNSK_ISF_E10value_typeEPSG_NS1_7vsmem_tEENKUlT_SE_SF_SG_E_clIS8_S8_S9_S9_EESD_ST_SE_SF_SG_EUlST_E0_NS1_11comp_targetILNS1_3genE4ELNS1_11target_archE910ELNS1_3gpuE8ELNS1_3repE0EEENS1_38merge_mergepath_config_static_selectorELNS0_4arch9wavefront6targetE1EEEvSF_,comdat
.Lfunc_end2143:
	.size	_ZN7rocprim17ROCPRIM_400000_NS6detail17trampoline_kernelINS0_14default_configENS1_38merge_sort_block_merge_config_selectorIlNS0_10empty_typeEEEZZNS1_27merge_sort_block_merge_implIS3_PlPS5_jNS1_19radix_merge_compareILb1ELb0ElNS0_19identity_decomposerEEEEE10hipError_tT0_T1_T2_jT3_P12ihipStream_tbPNSt15iterator_traitsISE_E10value_typeEPNSK_ISF_E10value_typeEPSG_NS1_7vsmem_tEENKUlT_SE_SF_SG_E_clIS8_S8_S9_S9_EESD_ST_SE_SF_SG_EUlST_E0_NS1_11comp_targetILNS1_3genE4ELNS1_11target_archE910ELNS1_3gpuE8ELNS1_3repE0EEENS1_38merge_mergepath_config_static_selectorELNS0_4arch9wavefront6targetE1EEEvSF_, .Lfunc_end2143-_ZN7rocprim17ROCPRIM_400000_NS6detail17trampoline_kernelINS0_14default_configENS1_38merge_sort_block_merge_config_selectorIlNS0_10empty_typeEEEZZNS1_27merge_sort_block_merge_implIS3_PlPS5_jNS1_19radix_merge_compareILb1ELb0ElNS0_19identity_decomposerEEEEE10hipError_tT0_T1_T2_jT3_P12ihipStream_tbPNSt15iterator_traitsISE_E10value_typeEPNSK_ISF_E10value_typeEPSG_NS1_7vsmem_tEENKUlT_SE_SF_SG_E_clIS8_S8_S9_S9_EESD_ST_SE_SF_SG_EUlST_E0_NS1_11comp_targetILNS1_3genE4ELNS1_11target_archE910ELNS1_3gpuE8ELNS1_3repE0EEENS1_38merge_mergepath_config_static_selectorELNS0_4arch9wavefront6targetE1EEEvSF_
                                        ; -- End function
	.section	.AMDGPU.csdata,"",@progbits
; Kernel info:
; codeLenInByte = 2180
; NumSgprs: 27
; NumVgprs: 21
; NumAgprs: 0
; TotalNumVgprs: 21
; ScratchSize: 0
; MemoryBound: 0
; FloatMode: 240
; IeeeMode: 1
; LDSByteSize: 8448 bytes/workgroup (compile time only)
; SGPRBlocks: 3
; VGPRBlocks: 2
; NumSGPRsForWavesPerEU: 27
; NumVGPRsForWavesPerEU: 21
; AccumOffset: 24
; Occupancy: 7
; WaveLimiterHint : 1
; COMPUTE_PGM_RSRC2:SCRATCH_EN: 0
; COMPUTE_PGM_RSRC2:USER_SGPR: 6
; COMPUTE_PGM_RSRC2:TRAP_HANDLER: 0
; COMPUTE_PGM_RSRC2:TGID_X_EN: 1
; COMPUTE_PGM_RSRC2:TGID_Y_EN: 1
; COMPUTE_PGM_RSRC2:TGID_Z_EN: 1
; COMPUTE_PGM_RSRC2:TIDIG_COMP_CNT: 0
; COMPUTE_PGM_RSRC3_GFX90A:ACCUM_OFFSET: 5
; COMPUTE_PGM_RSRC3_GFX90A:TG_SPLIT: 0
	.section	.text._ZN7rocprim17ROCPRIM_400000_NS6detail17trampoline_kernelINS0_14default_configENS1_38merge_sort_block_merge_config_selectorIlNS0_10empty_typeEEEZZNS1_27merge_sort_block_merge_implIS3_PlPS5_jNS1_19radix_merge_compareILb1ELb0ElNS0_19identity_decomposerEEEEE10hipError_tT0_T1_T2_jT3_P12ihipStream_tbPNSt15iterator_traitsISE_E10value_typeEPNSK_ISF_E10value_typeEPSG_NS1_7vsmem_tEENKUlT_SE_SF_SG_E_clIS8_S8_S9_S9_EESD_ST_SE_SF_SG_EUlST_E0_NS1_11comp_targetILNS1_3genE3ELNS1_11target_archE908ELNS1_3gpuE7ELNS1_3repE0EEENS1_38merge_mergepath_config_static_selectorELNS0_4arch9wavefront6targetE1EEEvSF_,"axG",@progbits,_ZN7rocprim17ROCPRIM_400000_NS6detail17trampoline_kernelINS0_14default_configENS1_38merge_sort_block_merge_config_selectorIlNS0_10empty_typeEEEZZNS1_27merge_sort_block_merge_implIS3_PlPS5_jNS1_19radix_merge_compareILb1ELb0ElNS0_19identity_decomposerEEEEE10hipError_tT0_T1_T2_jT3_P12ihipStream_tbPNSt15iterator_traitsISE_E10value_typeEPNSK_ISF_E10value_typeEPSG_NS1_7vsmem_tEENKUlT_SE_SF_SG_E_clIS8_S8_S9_S9_EESD_ST_SE_SF_SG_EUlST_E0_NS1_11comp_targetILNS1_3genE3ELNS1_11target_archE908ELNS1_3gpuE7ELNS1_3repE0EEENS1_38merge_mergepath_config_static_selectorELNS0_4arch9wavefront6targetE1EEEvSF_,comdat
	.protected	_ZN7rocprim17ROCPRIM_400000_NS6detail17trampoline_kernelINS0_14default_configENS1_38merge_sort_block_merge_config_selectorIlNS0_10empty_typeEEEZZNS1_27merge_sort_block_merge_implIS3_PlPS5_jNS1_19radix_merge_compareILb1ELb0ElNS0_19identity_decomposerEEEEE10hipError_tT0_T1_T2_jT3_P12ihipStream_tbPNSt15iterator_traitsISE_E10value_typeEPNSK_ISF_E10value_typeEPSG_NS1_7vsmem_tEENKUlT_SE_SF_SG_E_clIS8_S8_S9_S9_EESD_ST_SE_SF_SG_EUlST_E0_NS1_11comp_targetILNS1_3genE3ELNS1_11target_archE908ELNS1_3gpuE7ELNS1_3repE0EEENS1_38merge_mergepath_config_static_selectorELNS0_4arch9wavefront6targetE1EEEvSF_ ; -- Begin function _ZN7rocprim17ROCPRIM_400000_NS6detail17trampoline_kernelINS0_14default_configENS1_38merge_sort_block_merge_config_selectorIlNS0_10empty_typeEEEZZNS1_27merge_sort_block_merge_implIS3_PlPS5_jNS1_19radix_merge_compareILb1ELb0ElNS0_19identity_decomposerEEEEE10hipError_tT0_T1_T2_jT3_P12ihipStream_tbPNSt15iterator_traitsISE_E10value_typeEPNSK_ISF_E10value_typeEPSG_NS1_7vsmem_tEENKUlT_SE_SF_SG_E_clIS8_S8_S9_S9_EESD_ST_SE_SF_SG_EUlST_E0_NS1_11comp_targetILNS1_3genE3ELNS1_11target_archE908ELNS1_3gpuE7ELNS1_3repE0EEENS1_38merge_mergepath_config_static_selectorELNS0_4arch9wavefront6targetE1EEEvSF_
	.globl	_ZN7rocprim17ROCPRIM_400000_NS6detail17trampoline_kernelINS0_14default_configENS1_38merge_sort_block_merge_config_selectorIlNS0_10empty_typeEEEZZNS1_27merge_sort_block_merge_implIS3_PlPS5_jNS1_19radix_merge_compareILb1ELb0ElNS0_19identity_decomposerEEEEE10hipError_tT0_T1_T2_jT3_P12ihipStream_tbPNSt15iterator_traitsISE_E10value_typeEPNSK_ISF_E10value_typeEPSG_NS1_7vsmem_tEENKUlT_SE_SF_SG_E_clIS8_S8_S9_S9_EESD_ST_SE_SF_SG_EUlST_E0_NS1_11comp_targetILNS1_3genE3ELNS1_11target_archE908ELNS1_3gpuE7ELNS1_3repE0EEENS1_38merge_mergepath_config_static_selectorELNS0_4arch9wavefront6targetE1EEEvSF_
	.p2align	8
	.type	_ZN7rocprim17ROCPRIM_400000_NS6detail17trampoline_kernelINS0_14default_configENS1_38merge_sort_block_merge_config_selectorIlNS0_10empty_typeEEEZZNS1_27merge_sort_block_merge_implIS3_PlPS5_jNS1_19radix_merge_compareILb1ELb0ElNS0_19identity_decomposerEEEEE10hipError_tT0_T1_T2_jT3_P12ihipStream_tbPNSt15iterator_traitsISE_E10value_typeEPNSK_ISF_E10value_typeEPSG_NS1_7vsmem_tEENKUlT_SE_SF_SG_E_clIS8_S8_S9_S9_EESD_ST_SE_SF_SG_EUlST_E0_NS1_11comp_targetILNS1_3genE3ELNS1_11target_archE908ELNS1_3gpuE7ELNS1_3repE0EEENS1_38merge_mergepath_config_static_selectorELNS0_4arch9wavefront6targetE1EEEvSF_,@function
_ZN7rocprim17ROCPRIM_400000_NS6detail17trampoline_kernelINS0_14default_configENS1_38merge_sort_block_merge_config_selectorIlNS0_10empty_typeEEEZZNS1_27merge_sort_block_merge_implIS3_PlPS5_jNS1_19radix_merge_compareILb1ELb0ElNS0_19identity_decomposerEEEEE10hipError_tT0_T1_T2_jT3_P12ihipStream_tbPNSt15iterator_traitsISE_E10value_typeEPNSK_ISF_E10value_typeEPSG_NS1_7vsmem_tEENKUlT_SE_SF_SG_E_clIS8_S8_S9_S9_EESD_ST_SE_SF_SG_EUlST_E0_NS1_11comp_targetILNS1_3genE3ELNS1_11target_archE908ELNS1_3gpuE7ELNS1_3repE0EEENS1_38merge_mergepath_config_static_selectorELNS0_4arch9wavefront6targetE1EEEvSF_: ; @_ZN7rocprim17ROCPRIM_400000_NS6detail17trampoline_kernelINS0_14default_configENS1_38merge_sort_block_merge_config_selectorIlNS0_10empty_typeEEEZZNS1_27merge_sort_block_merge_implIS3_PlPS5_jNS1_19radix_merge_compareILb1ELb0ElNS0_19identity_decomposerEEEEE10hipError_tT0_T1_T2_jT3_P12ihipStream_tbPNSt15iterator_traitsISE_E10value_typeEPNSK_ISF_E10value_typeEPSG_NS1_7vsmem_tEENKUlT_SE_SF_SG_E_clIS8_S8_S9_S9_EESD_ST_SE_SF_SG_EUlST_E0_NS1_11comp_targetILNS1_3genE3ELNS1_11target_archE908ELNS1_3gpuE7ELNS1_3repE0EEENS1_38merge_mergepath_config_static_selectorELNS0_4arch9wavefront6targetE1EEEvSF_
; %bb.0:
	.section	.rodata,"a",@progbits
	.p2align	6, 0x0
	.amdhsa_kernel _ZN7rocprim17ROCPRIM_400000_NS6detail17trampoline_kernelINS0_14default_configENS1_38merge_sort_block_merge_config_selectorIlNS0_10empty_typeEEEZZNS1_27merge_sort_block_merge_implIS3_PlPS5_jNS1_19radix_merge_compareILb1ELb0ElNS0_19identity_decomposerEEEEE10hipError_tT0_T1_T2_jT3_P12ihipStream_tbPNSt15iterator_traitsISE_E10value_typeEPNSK_ISF_E10value_typeEPSG_NS1_7vsmem_tEENKUlT_SE_SF_SG_E_clIS8_S8_S9_S9_EESD_ST_SE_SF_SG_EUlST_E0_NS1_11comp_targetILNS1_3genE3ELNS1_11target_archE908ELNS1_3gpuE7ELNS1_3repE0EEENS1_38merge_mergepath_config_static_selectorELNS0_4arch9wavefront6targetE1EEEvSF_
		.amdhsa_group_segment_fixed_size 0
		.amdhsa_private_segment_fixed_size 0
		.amdhsa_kernarg_size 64
		.amdhsa_user_sgpr_count 6
		.amdhsa_user_sgpr_private_segment_buffer 1
		.amdhsa_user_sgpr_dispatch_ptr 0
		.amdhsa_user_sgpr_queue_ptr 0
		.amdhsa_user_sgpr_kernarg_segment_ptr 1
		.amdhsa_user_sgpr_dispatch_id 0
		.amdhsa_user_sgpr_flat_scratch_init 0
		.amdhsa_user_sgpr_kernarg_preload_length 0
		.amdhsa_user_sgpr_kernarg_preload_offset 0
		.amdhsa_user_sgpr_private_segment_size 0
		.amdhsa_uses_dynamic_stack 0
		.amdhsa_system_sgpr_private_segment_wavefront_offset 0
		.amdhsa_system_sgpr_workgroup_id_x 1
		.amdhsa_system_sgpr_workgroup_id_y 0
		.amdhsa_system_sgpr_workgroup_id_z 0
		.amdhsa_system_sgpr_workgroup_info 0
		.amdhsa_system_vgpr_workitem_id 0
		.amdhsa_next_free_vgpr 1
		.amdhsa_next_free_sgpr 0
		.amdhsa_accum_offset 4
		.amdhsa_reserve_vcc 0
		.amdhsa_reserve_flat_scratch 0
		.amdhsa_float_round_mode_32 0
		.amdhsa_float_round_mode_16_64 0
		.amdhsa_float_denorm_mode_32 3
		.amdhsa_float_denorm_mode_16_64 3
		.amdhsa_dx10_clamp 1
		.amdhsa_ieee_mode 1
		.amdhsa_fp16_overflow 0
		.amdhsa_tg_split 0
		.amdhsa_exception_fp_ieee_invalid_op 0
		.amdhsa_exception_fp_denorm_src 0
		.amdhsa_exception_fp_ieee_div_zero 0
		.amdhsa_exception_fp_ieee_overflow 0
		.amdhsa_exception_fp_ieee_underflow 0
		.amdhsa_exception_fp_ieee_inexact 0
		.amdhsa_exception_int_div_zero 0
	.end_amdhsa_kernel
	.section	.text._ZN7rocprim17ROCPRIM_400000_NS6detail17trampoline_kernelINS0_14default_configENS1_38merge_sort_block_merge_config_selectorIlNS0_10empty_typeEEEZZNS1_27merge_sort_block_merge_implIS3_PlPS5_jNS1_19radix_merge_compareILb1ELb0ElNS0_19identity_decomposerEEEEE10hipError_tT0_T1_T2_jT3_P12ihipStream_tbPNSt15iterator_traitsISE_E10value_typeEPNSK_ISF_E10value_typeEPSG_NS1_7vsmem_tEENKUlT_SE_SF_SG_E_clIS8_S8_S9_S9_EESD_ST_SE_SF_SG_EUlST_E0_NS1_11comp_targetILNS1_3genE3ELNS1_11target_archE908ELNS1_3gpuE7ELNS1_3repE0EEENS1_38merge_mergepath_config_static_selectorELNS0_4arch9wavefront6targetE1EEEvSF_,"axG",@progbits,_ZN7rocprim17ROCPRIM_400000_NS6detail17trampoline_kernelINS0_14default_configENS1_38merge_sort_block_merge_config_selectorIlNS0_10empty_typeEEEZZNS1_27merge_sort_block_merge_implIS3_PlPS5_jNS1_19radix_merge_compareILb1ELb0ElNS0_19identity_decomposerEEEEE10hipError_tT0_T1_T2_jT3_P12ihipStream_tbPNSt15iterator_traitsISE_E10value_typeEPNSK_ISF_E10value_typeEPSG_NS1_7vsmem_tEENKUlT_SE_SF_SG_E_clIS8_S8_S9_S9_EESD_ST_SE_SF_SG_EUlST_E0_NS1_11comp_targetILNS1_3genE3ELNS1_11target_archE908ELNS1_3gpuE7ELNS1_3repE0EEENS1_38merge_mergepath_config_static_selectorELNS0_4arch9wavefront6targetE1EEEvSF_,comdat
.Lfunc_end2144:
	.size	_ZN7rocprim17ROCPRIM_400000_NS6detail17trampoline_kernelINS0_14default_configENS1_38merge_sort_block_merge_config_selectorIlNS0_10empty_typeEEEZZNS1_27merge_sort_block_merge_implIS3_PlPS5_jNS1_19radix_merge_compareILb1ELb0ElNS0_19identity_decomposerEEEEE10hipError_tT0_T1_T2_jT3_P12ihipStream_tbPNSt15iterator_traitsISE_E10value_typeEPNSK_ISF_E10value_typeEPSG_NS1_7vsmem_tEENKUlT_SE_SF_SG_E_clIS8_S8_S9_S9_EESD_ST_SE_SF_SG_EUlST_E0_NS1_11comp_targetILNS1_3genE3ELNS1_11target_archE908ELNS1_3gpuE7ELNS1_3repE0EEENS1_38merge_mergepath_config_static_selectorELNS0_4arch9wavefront6targetE1EEEvSF_, .Lfunc_end2144-_ZN7rocprim17ROCPRIM_400000_NS6detail17trampoline_kernelINS0_14default_configENS1_38merge_sort_block_merge_config_selectorIlNS0_10empty_typeEEEZZNS1_27merge_sort_block_merge_implIS3_PlPS5_jNS1_19radix_merge_compareILb1ELb0ElNS0_19identity_decomposerEEEEE10hipError_tT0_T1_T2_jT3_P12ihipStream_tbPNSt15iterator_traitsISE_E10value_typeEPNSK_ISF_E10value_typeEPSG_NS1_7vsmem_tEENKUlT_SE_SF_SG_E_clIS8_S8_S9_S9_EESD_ST_SE_SF_SG_EUlST_E0_NS1_11comp_targetILNS1_3genE3ELNS1_11target_archE908ELNS1_3gpuE7ELNS1_3repE0EEENS1_38merge_mergepath_config_static_selectorELNS0_4arch9wavefront6targetE1EEEvSF_
                                        ; -- End function
	.section	.AMDGPU.csdata,"",@progbits
; Kernel info:
; codeLenInByte = 0
; NumSgprs: 4
; NumVgprs: 0
; NumAgprs: 0
; TotalNumVgprs: 0
; ScratchSize: 0
; MemoryBound: 0
; FloatMode: 240
; IeeeMode: 1
; LDSByteSize: 0 bytes/workgroup (compile time only)
; SGPRBlocks: 0
; VGPRBlocks: 0
; NumSGPRsForWavesPerEU: 4
; NumVGPRsForWavesPerEU: 1
; AccumOffset: 4
; Occupancy: 8
; WaveLimiterHint : 0
; COMPUTE_PGM_RSRC2:SCRATCH_EN: 0
; COMPUTE_PGM_RSRC2:USER_SGPR: 6
; COMPUTE_PGM_RSRC2:TRAP_HANDLER: 0
; COMPUTE_PGM_RSRC2:TGID_X_EN: 1
; COMPUTE_PGM_RSRC2:TGID_Y_EN: 0
; COMPUTE_PGM_RSRC2:TGID_Z_EN: 0
; COMPUTE_PGM_RSRC2:TIDIG_COMP_CNT: 0
; COMPUTE_PGM_RSRC3_GFX90A:ACCUM_OFFSET: 0
; COMPUTE_PGM_RSRC3_GFX90A:TG_SPLIT: 0
	.section	.text._ZN7rocprim17ROCPRIM_400000_NS6detail17trampoline_kernelINS0_14default_configENS1_38merge_sort_block_merge_config_selectorIlNS0_10empty_typeEEEZZNS1_27merge_sort_block_merge_implIS3_PlPS5_jNS1_19radix_merge_compareILb1ELb0ElNS0_19identity_decomposerEEEEE10hipError_tT0_T1_T2_jT3_P12ihipStream_tbPNSt15iterator_traitsISE_E10value_typeEPNSK_ISF_E10value_typeEPSG_NS1_7vsmem_tEENKUlT_SE_SF_SG_E_clIS8_S8_S9_S9_EESD_ST_SE_SF_SG_EUlST_E0_NS1_11comp_targetILNS1_3genE2ELNS1_11target_archE906ELNS1_3gpuE6ELNS1_3repE0EEENS1_38merge_mergepath_config_static_selectorELNS0_4arch9wavefront6targetE1EEEvSF_,"axG",@progbits,_ZN7rocprim17ROCPRIM_400000_NS6detail17trampoline_kernelINS0_14default_configENS1_38merge_sort_block_merge_config_selectorIlNS0_10empty_typeEEEZZNS1_27merge_sort_block_merge_implIS3_PlPS5_jNS1_19radix_merge_compareILb1ELb0ElNS0_19identity_decomposerEEEEE10hipError_tT0_T1_T2_jT3_P12ihipStream_tbPNSt15iterator_traitsISE_E10value_typeEPNSK_ISF_E10value_typeEPSG_NS1_7vsmem_tEENKUlT_SE_SF_SG_E_clIS8_S8_S9_S9_EESD_ST_SE_SF_SG_EUlST_E0_NS1_11comp_targetILNS1_3genE2ELNS1_11target_archE906ELNS1_3gpuE6ELNS1_3repE0EEENS1_38merge_mergepath_config_static_selectorELNS0_4arch9wavefront6targetE1EEEvSF_,comdat
	.protected	_ZN7rocprim17ROCPRIM_400000_NS6detail17trampoline_kernelINS0_14default_configENS1_38merge_sort_block_merge_config_selectorIlNS0_10empty_typeEEEZZNS1_27merge_sort_block_merge_implIS3_PlPS5_jNS1_19radix_merge_compareILb1ELb0ElNS0_19identity_decomposerEEEEE10hipError_tT0_T1_T2_jT3_P12ihipStream_tbPNSt15iterator_traitsISE_E10value_typeEPNSK_ISF_E10value_typeEPSG_NS1_7vsmem_tEENKUlT_SE_SF_SG_E_clIS8_S8_S9_S9_EESD_ST_SE_SF_SG_EUlST_E0_NS1_11comp_targetILNS1_3genE2ELNS1_11target_archE906ELNS1_3gpuE6ELNS1_3repE0EEENS1_38merge_mergepath_config_static_selectorELNS0_4arch9wavefront6targetE1EEEvSF_ ; -- Begin function _ZN7rocprim17ROCPRIM_400000_NS6detail17trampoline_kernelINS0_14default_configENS1_38merge_sort_block_merge_config_selectorIlNS0_10empty_typeEEEZZNS1_27merge_sort_block_merge_implIS3_PlPS5_jNS1_19radix_merge_compareILb1ELb0ElNS0_19identity_decomposerEEEEE10hipError_tT0_T1_T2_jT3_P12ihipStream_tbPNSt15iterator_traitsISE_E10value_typeEPNSK_ISF_E10value_typeEPSG_NS1_7vsmem_tEENKUlT_SE_SF_SG_E_clIS8_S8_S9_S9_EESD_ST_SE_SF_SG_EUlST_E0_NS1_11comp_targetILNS1_3genE2ELNS1_11target_archE906ELNS1_3gpuE6ELNS1_3repE0EEENS1_38merge_mergepath_config_static_selectorELNS0_4arch9wavefront6targetE1EEEvSF_
	.globl	_ZN7rocprim17ROCPRIM_400000_NS6detail17trampoline_kernelINS0_14default_configENS1_38merge_sort_block_merge_config_selectorIlNS0_10empty_typeEEEZZNS1_27merge_sort_block_merge_implIS3_PlPS5_jNS1_19radix_merge_compareILb1ELb0ElNS0_19identity_decomposerEEEEE10hipError_tT0_T1_T2_jT3_P12ihipStream_tbPNSt15iterator_traitsISE_E10value_typeEPNSK_ISF_E10value_typeEPSG_NS1_7vsmem_tEENKUlT_SE_SF_SG_E_clIS8_S8_S9_S9_EESD_ST_SE_SF_SG_EUlST_E0_NS1_11comp_targetILNS1_3genE2ELNS1_11target_archE906ELNS1_3gpuE6ELNS1_3repE0EEENS1_38merge_mergepath_config_static_selectorELNS0_4arch9wavefront6targetE1EEEvSF_
	.p2align	8
	.type	_ZN7rocprim17ROCPRIM_400000_NS6detail17trampoline_kernelINS0_14default_configENS1_38merge_sort_block_merge_config_selectorIlNS0_10empty_typeEEEZZNS1_27merge_sort_block_merge_implIS3_PlPS5_jNS1_19radix_merge_compareILb1ELb0ElNS0_19identity_decomposerEEEEE10hipError_tT0_T1_T2_jT3_P12ihipStream_tbPNSt15iterator_traitsISE_E10value_typeEPNSK_ISF_E10value_typeEPSG_NS1_7vsmem_tEENKUlT_SE_SF_SG_E_clIS8_S8_S9_S9_EESD_ST_SE_SF_SG_EUlST_E0_NS1_11comp_targetILNS1_3genE2ELNS1_11target_archE906ELNS1_3gpuE6ELNS1_3repE0EEENS1_38merge_mergepath_config_static_selectorELNS0_4arch9wavefront6targetE1EEEvSF_,@function
_ZN7rocprim17ROCPRIM_400000_NS6detail17trampoline_kernelINS0_14default_configENS1_38merge_sort_block_merge_config_selectorIlNS0_10empty_typeEEEZZNS1_27merge_sort_block_merge_implIS3_PlPS5_jNS1_19radix_merge_compareILb1ELb0ElNS0_19identity_decomposerEEEEE10hipError_tT0_T1_T2_jT3_P12ihipStream_tbPNSt15iterator_traitsISE_E10value_typeEPNSK_ISF_E10value_typeEPSG_NS1_7vsmem_tEENKUlT_SE_SF_SG_E_clIS8_S8_S9_S9_EESD_ST_SE_SF_SG_EUlST_E0_NS1_11comp_targetILNS1_3genE2ELNS1_11target_archE906ELNS1_3gpuE6ELNS1_3repE0EEENS1_38merge_mergepath_config_static_selectorELNS0_4arch9wavefront6targetE1EEEvSF_: ; @_ZN7rocprim17ROCPRIM_400000_NS6detail17trampoline_kernelINS0_14default_configENS1_38merge_sort_block_merge_config_selectorIlNS0_10empty_typeEEEZZNS1_27merge_sort_block_merge_implIS3_PlPS5_jNS1_19radix_merge_compareILb1ELb0ElNS0_19identity_decomposerEEEEE10hipError_tT0_T1_T2_jT3_P12ihipStream_tbPNSt15iterator_traitsISE_E10value_typeEPNSK_ISF_E10value_typeEPSG_NS1_7vsmem_tEENKUlT_SE_SF_SG_E_clIS8_S8_S9_S9_EESD_ST_SE_SF_SG_EUlST_E0_NS1_11comp_targetILNS1_3genE2ELNS1_11target_archE906ELNS1_3gpuE6ELNS1_3repE0EEENS1_38merge_mergepath_config_static_selectorELNS0_4arch9wavefront6targetE1EEEvSF_
; %bb.0:
	.section	.rodata,"a",@progbits
	.p2align	6, 0x0
	.amdhsa_kernel _ZN7rocprim17ROCPRIM_400000_NS6detail17trampoline_kernelINS0_14default_configENS1_38merge_sort_block_merge_config_selectorIlNS0_10empty_typeEEEZZNS1_27merge_sort_block_merge_implIS3_PlPS5_jNS1_19radix_merge_compareILb1ELb0ElNS0_19identity_decomposerEEEEE10hipError_tT0_T1_T2_jT3_P12ihipStream_tbPNSt15iterator_traitsISE_E10value_typeEPNSK_ISF_E10value_typeEPSG_NS1_7vsmem_tEENKUlT_SE_SF_SG_E_clIS8_S8_S9_S9_EESD_ST_SE_SF_SG_EUlST_E0_NS1_11comp_targetILNS1_3genE2ELNS1_11target_archE906ELNS1_3gpuE6ELNS1_3repE0EEENS1_38merge_mergepath_config_static_selectorELNS0_4arch9wavefront6targetE1EEEvSF_
		.amdhsa_group_segment_fixed_size 0
		.amdhsa_private_segment_fixed_size 0
		.amdhsa_kernarg_size 64
		.amdhsa_user_sgpr_count 6
		.amdhsa_user_sgpr_private_segment_buffer 1
		.amdhsa_user_sgpr_dispatch_ptr 0
		.amdhsa_user_sgpr_queue_ptr 0
		.amdhsa_user_sgpr_kernarg_segment_ptr 1
		.amdhsa_user_sgpr_dispatch_id 0
		.amdhsa_user_sgpr_flat_scratch_init 0
		.amdhsa_user_sgpr_kernarg_preload_length 0
		.amdhsa_user_sgpr_kernarg_preload_offset 0
		.amdhsa_user_sgpr_private_segment_size 0
		.amdhsa_uses_dynamic_stack 0
		.amdhsa_system_sgpr_private_segment_wavefront_offset 0
		.amdhsa_system_sgpr_workgroup_id_x 1
		.amdhsa_system_sgpr_workgroup_id_y 0
		.amdhsa_system_sgpr_workgroup_id_z 0
		.amdhsa_system_sgpr_workgroup_info 0
		.amdhsa_system_vgpr_workitem_id 0
		.amdhsa_next_free_vgpr 1
		.amdhsa_next_free_sgpr 0
		.amdhsa_accum_offset 4
		.amdhsa_reserve_vcc 0
		.amdhsa_reserve_flat_scratch 0
		.amdhsa_float_round_mode_32 0
		.amdhsa_float_round_mode_16_64 0
		.amdhsa_float_denorm_mode_32 3
		.amdhsa_float_denorm_mode_16_64 3
		.amdhsa_dx10_clamp 1
		.amdhsa_ieee_mode 1
		.amdhsa_fp16_overflow 0
		.amdhsa_tg_split 0
		.amdhsa_exception_fp_ieee_invalid_op 0
		.amdhsa_exception_fp_denorm_src 0
		.amdhsa_exception_fp_ieee_div_zero 0
		.amdhsa_exception_fp_ieee_overflow 0
		.amdhsa_exception_fp_ieee_underflow 0
		.amdhsa_exception_fp_ieee_inexact 0
		.amdhsa_exception_int_div_zero 0
	.end_amdhsa_kernel
	.section	.text._ZN7rocprim17ROCPRIM_400000_NS6detail17trampoline_kernelINS0_14default_configENS1_38merge_sort_block_merge_config_selectorIlNS0_10empty_typeEEEZZNS1_27merge_sort_block_merge_implIS3_PlPS5_jNS1_19radix_merge_compareILb1ELb0ElNS0_19identity_decomposerEEEEE10hipError_tT0_T1_T2_jT3_P12ihipStream_tbPNSt15iterator_traitsISE_E10value_typeEPNSK_ISF_E10value_typeEPSG_NS1_7vsmem_tEENKUlT_SE_SF_SG_E_clIS8_S8_S9_S9_EESD_ST_SE_SF_SG_EUlST_E0_NS1_11comp_targetILNS1_3genE2ELNS1_11target_archE906ELNS1_3gpuE6ELNS1_3repE0EEENS1_38merge_mergepath_config_static_selectorELNS0_4arch9wavefront6targetE1EEEvSF_,"axG",@progbits,_ZN7rocprim17ROCPRIM_400000_NS6detail17trampoline_kernelINS0_14default_configENS1_38merge_sort_block_merge_config_selectorIlNS0_10empty_typeEEEZZNS1_27merge_sort_block_merge_implIS3_PlPS5_jNS1_19radix_merge_compareILb1ELb0ElNS0_19identity_decomposerEEEEE10hipError_tT0_T1_T2_jT3_P12ihipStream_tbPNSt15iterator_traitsISE_E10value_typeEPNSK_ISF_E10value_typeEPSG_NS1_7vsmem_tEENKUlT_SE_SF_SG_E_clIS8_S8_S9_S9_EESD_ST_SE_SF_SG_EUlST_E0_NS1_11comp_targetILNS1_3genE2ELNS1_11target_archE906ELNS1_3gpuE6ELNS1_3repE0EEENS1_38merge_mergepath_config_static_selectorELNS0_4arch9wavefront6targetE1EEEvSF_,comdat
.Lfunc_end2145:
	.size	_ZN7rocprim17ROCPRIM_400000_NS6detail17trampoline_kernelINS0_14default_configENS1_38merge_sort_block_merge_config_selectorIlNS0_10empty_typeEEEZZNS1_27merge_sort_block_merge_implIS3_PlPS5_jNS1_19radix_merge_compareILb1ELb0ElNS0_19identity_decomposerEEEEE10hipError_tT0_T1_T2_jT3_P12ihipStream_tbPNSt15iterator_traitsISE_E10value_typeEPNSK_ISF_E10value_typeEPSG_NS1_7vsmem_tEENKUlT_SE_SF_SG_E_clIS8_S8_S9_S9_EESD_ST_SE_SF_SG_EUlST_E0_NS1_11comp_targetILNS1_3genE2ELNS1_11target_archE906ELNS1_3gpuE6ELNS1_3repE0EEENS1_38merge_mergepath_config_static_selectorELNS0_4arch9wavefront6targetE1EEEvSF_, .Lfunc_end2145-_ZN7rocprim17ROCPRIM_400000_NS6detail17trampoline_kernelINS0_14default_configENS1_38merge_sort_block_merge_config_selectorIlNS0_10empty_typeEEEZZNS1_27merge_sort_block_merge_implIS3_PlPS5_jNS1_19radix_merge_compareILb1ELb0ElNS0_19identity_decomposerEEEEE10hipError_tT0_T1_T2_jT3_P12ihipStream_tbPNSt15iterator_traitsISE_E10value_typeEPNSK_ISF_E10value_typeEPSG_NS1_7vsmem_tEENKUlT_SE_SF_SG_E_clIS8_S8_S9_S9_EESD_ST_SE_SF_SG_EUlST_E0_NS1_11comp_targetILNS1_3genE2ELNS1_11target_archE906ELNS1_3gpuE6ELNS1_3repE0EEENS1_38merge_mergepath_config_static_selectorELNS0_4arch9wavefront6targetE1EEEvSF_
                                        ; -- End function
	.section	.AMDGPU.csdata,"",@progbits
; Kernel info:
; codeLenInByte = 0
; NumSgprs: 4
; NumVgprs: 0
; NumAgprs: 0
; TotalNumVgprs: 0
; ScratchSize: 0
; MemoryBound: 0
; FloatMode: 240
; IeeeMode: 1
; LDSByteSize: 0 bytes/workgroup (compile time only)
; SGPRBlocks: 0
; VGPRBlocks: 0
; NumSGPRsForWavesPerEU: 4
; NumVGPRsForWavesPerEU: 1
; AccumOffset: 4
; Occupancy: 8
; WaveLimiterHint : 0
; COMPUTE_PGM_RSRC2:SCRATCH_EN: 0
; COMPUTE_PGM_RSRC2:USER_SGPR: 6
; COMPUTE_PGM_RSRC2:TRAP_HANDLER: 0
; COMPUTE_PGM_RSRC2:TGID_X_EN: 1
; COMPUTE_PGM_RSRC2:TGID_Y_EN: 0
; COMPUTE_PGM_RSRC2:TGID_Z_EN: 0
; COMPUTE_PGM_RSRC2:TIDIG_COMP_CNT: 0
; COMPUTE_PGM_RSRC3_GFX90A:ACCUM_OFFSET: 0
; COMPUTE_PGM_RSRC3_GFX90A:TG_SPLIT: 0
	.section	.text._ZN7rocprim17ROCPRIM_400000_NS6detail17trampoline_kernelINS0_14default_configENS1_38merge_sort_block_merge_config_selectorIlNS0_10empty_typeEEEZZNS1_27merge_sort_block_merge_implIS3_PlPS5_jNS1_19radix_merge_compareILb1ELb0ElNS0_19identity_decomposerEEEEE10hipError_tT0_T1_T2_jT3_P12ihipStream_tbPNSt15iterator_traitsISE_E10value_typeEPNSK_ISF_E10value_typeEPSG_NS1_7vsmem_tEENKUlT_SE_SF_SG_E_clIS8_S8_S9_S9_EESD_ST_SE_SF_SG_EUlST_E0_NS1_11comp_targetILNS1_3genE9ELNS1_11target_archE1100ELNS1_3gpuE3ELNS1_3repE0EEENS1_38merge_mergepath_config_static_selectorELNS0_4arch9wavefront6targetE1EEEvSF_,"axG",@progbits,_ZN7rocprim17ROCPRIM_400000_NS6detail17trampoline_kernelINS0_14default_configENS1_38merge_sort_block_merge_config_selectorIlNS0_10empty_typeEEEZZNS1_27merge_sort_block_merge_implIS3_PlPS5_jNS1_19radix_merge_compareILb1ELb0ElNS0_19identity_decomposerEEEEE10hipError_tT0_T1_T2_jT3_P12ihipStream_tbPNSt15iterator_traitsISE_E10value_typeEPNSK_ISF_E10value_typeEPSG_NS1_7vsmem_tEENKUlT_SE_SF_SG_E_clIS8_S8_S9_S9_EESD_ST_SE_SF_SG_EUlST_E0_NS1_11comp_targetILNS1_3genE9ELNS1_11target_archE1100ELNS1_3gpuE3ELNS1_3repE0EEENS1_38merge_mergepath_config_static_selectorELNS0_4arch9wavefront6targetE1EEEvSF_,comdat
	.protected	_ZN7rocprim17ROCPRIM_400000_NS6detail17trampoline_kernelINS0_14default_configENS1_38merge_sort_block_merge_config_selectorIlNS0_10empty_typeEEEZZNS1_27merge_sort_block_merge_implIS3_PlPS5_jNS1_19radix_merge_compareILb1ELb0ElNS0_19identity_decomposerEEEEE10hipError_tT0_T1_T2_jT3_P12ihipStream_tbPNSt15iterator_traitsISE_E10value_typeEPNSK_ISF_E10value_typeEPSG_NS1_7vsmem_tEENKUlT_SE_SF_SG_E_clIS8_S8_S9_S9_EESD_ST_SE_SF_SG_EUlST_E0_NS1_11comp_targetILNS1_3genE9ELNS1_11target_archE1100ELNS1_3gpuE3ELNS1_3repE0EEENS1_38merge_mergepath_config_static_selectorELNS0_4arch9wavefront6targetE1EEEvSF_ ; -- Begin function _ZN7rocprim17ROCPRIM_400000_NS6detail17trampoline_kernelINS0_14default_configENS1_38merge_sort_block_merge_config_selectorIlNS0_10empty_typeEEEZZNS1_27merge_sort_block_merge_implIS3_PlPS5_jNS1_19radix_merge_compareILb1ELb0ElNS0_19identity_decomposerEEEEE10hipError_tT0_T1_T2_jT3_P12ihipStream_tbPNSt15iterator_traitsISE_E10value_typeEPNSK_ISF_E10value_typeEPSG_NS1_7vsmem_tEENKUlT_SE_SF_SG_E_clIS8_S8_S9_S9_EESD_ST_SE_SF_SG_EUlST_E0_NS1_11comp_targetILNS1_3genE9ELNS1_11target_archE1100ELNS1_3gpuE3ELNS1_3repE0EEENS1_38merge_mergepath_config_static_selectorELNS0_4arch9wavefront6targetE1EEEvSF_
	.globl	_ZN7rocprim17ROCPRIM_400000_NS6detail17trampoline_kernelINS0_14default_configENS1_38merge_sort_block_merge_config_selectorIlNS0_10empty_typeEEEZZNS1_27merge_sort_block_merge_implIS3_PlPS5_jNS1_19radix_merge_compareILb1ELb0ElNS0_19identity_decomposerEEEEE10hipError_tT0_T1_T2_jT3_P12ihipStream_tbPNSt15iterator_traitsISE_E10value_typeEPNSK_ISF_E10value_typeEPSG_NS1_7vsmem_tEENKUlT_SE_SF_SG_E_clIS8_S8_S9_S9_EESD_ST_SE_SF_SG_EUlST_E0_NS1_11comp_targetILNS1_3genE9ELNS1_11target_archE1100ELNS1_3gpuE3ELNS1_3repE0EEENS1_38merge_mergepath_config_static_selectorELNS0_4arch9wavefront6targetE1EEEvSF_
	.p2align	8
	.type	_ZN7rocprim17ROCPRIM_400000_NS6detail17trampoline_kernelINS0_14default_configENS1_38merge_sort_block_merge_config_selectorIlNS0_10empty_typeEEEZZNS1_27merge_sort_block_merge_implIS3_PlPS5_jNS1_19radix_merge_compareILb1ELb0ElNS0_19identity_decomposerEEEEE10hipError_tT0_T1_T2_jT3_P12ihipStream_tbPNSt15iterator_traitsISE_E10value_typeEPNSK_ISF_E10value_typeEPSG_NS1_7vsmem_tEENKUlT_SE_SF_SG_E_clIS8_S8_S9_S9_EESD_ST_SE_SF_SG_EUlST_E0_NS1_11comp_targetILNS1_3genE9ELNS1_11target_archE1100ELNS1_3gpuE3ELNS1_3repE0EEENS1_38merge_mergepath_config_static_selectorELNS0_4arch9wavefront6targetE1EEEvSF_,@function
_ZN7rocprim17ROCPRIM_400000_NS6detail17trampoline_kernelINS0_14default_configENS1_38merge_sort_block_merge_config_selectorIlNS0_10empty_typeEEEZZNS1_27merge_sort_block_merge_implIS3_PlPS5_jNS1_19radix_merge_compareILb1ELb0ElNS0_19identity_decomposerEEEEE10hipError_tT0_T1_T2_jT3_P12ihipStream_tbPNSt15iterator_traitsISE_E10value_typeEPNSK_ISF_E10value_typeEPSG_NS1_7vsmem_tEENKUlT_SE_SF_SG_E_clIS8_S8_S9_S9_EESD_ST_SE_SF_SG_EUlST_E0_NS1_11comp_targetILNS1_3genE9ELNS1_11target_archE1100ELNS1_3gpuE3ELNS1_3repE0EEENS1_38merge_mergepath_config_static_selectorELNS0_4arch9wavefront6targetE1EEEvSF_: ; @_ZN7rocprim17ROCPRIM_400000_NS6detail17trampoline_kernelINS0_14default_configENS1_38merge_sort_block_merge_config_selectorIlNS0_10empty_typeEEEZZNS1_27merge_sort_block_merge_implIS3_PlPS5_jNS1_19radix_merge_compareILb1ELb0ElNS0_19identity_decomposerEEEEE10hipError_tT0_T1_T2_jT3_P12ihipStream_tbPNSt15iterator_traitsISE_E10value_typeEPNSK_ISF_E10value_typeEPSG_NS1_7vsmem_tEENKUlT_SE_SF_SG_E_clIS8_S8_S9_S9_EESD_ST_SE_SF_SG_EUlST_E0_NS1_11comp_targetILNS1_3genE9ELNS1_11target_archE1100ELNS1_3gpuE3ELNS1_3repE0EEENS1_38merge_mergepath_config_static_selectorELNS0_4arch9wavefront6targetE1EEEvSF_
; %bb.0:
	.section	.rodata,"a",@progbits
	.p2align	6, 0x0
	.amdhsa_kernel _ZN7rocprim17ROCPRIM_400000_NS6detail17trampoline_kernelINS0_14default_configENS1_38merge_sort_block_merge_config_selectorIlNS0_10empty_typeEEEZZNS1_27merge_sort_block_merge_implIS3_PlPS5_jNS1_19radix_merge_compareILb1ELb0ElNS0_19identity_decomposerEEEEE10hipError_tT0_T1_T2_jT3_P12ihipStream_tbPNSt15iterator_traitsISE_E10value_typeEPNSK_ISF_E10value_typeEPSG_NS1_7vsmem_tEENKUlT_SE_SF_SG_E_clIS8_S8_S9_S9_EESD_ST_SE_SF_SG_EUlST_E0_NS1_11comp_targetILNS1_3genE9ELNS1_11target_archE1100ELNS1_3gpuE3ELNS1_3repE0EEENS1_38merge_mergepath_config_static_selectorELNS0_4arch9wavefront6targetE1EEEvSF_
		.amdhsa_group_segment_fixed_size 0
		.amdhsa_private_segment_fixed_size 0
		.amdhsa_kernarg_size 64
		.amdhsa_user_sgpr_count 6
		.amdhsa_user_sgpr_private_segment_buffer 1
		.amdhsa_user_sgpr_dispatch_ptr 0
		.amdhsa_user_sgpr_queue_ptr 0
		.amdhsa_user_sgpr_kernarg_segment_ptr 1
		.amdhsa_user_sgpr_dispatch_id 0
		.amdhsa_user_sgpr_flat_scratch_init 0
		.amdhsa_user_sgpr_kernarg_preload_length 0
		.amdhsa_user_sgpr_kernarg_preload_offset 0
		.amdhsa_user_sgpr_private_segment_size 0
		.amdhsa_uses_dynamic_stack 0
		.amdhsa_system_sgpr_private_segment_wavefront_offset 0
		.amdhsa_system_sgpr_workgroup_id_x 1
		.amdhsa_system_sgpr_workgroup_id_y 0
		.amdhsa_system_sgpr_workgroup_id_z 0
		.amdhsa_system_sgpr_workgroup_info 0
		.amdhsa_system_vgpr_workitem_id 0
		.amdhsa_next_free_vgpr 1
		.amdhsa_next_free_sgpr 0
		.amdhsa_accum_offset 4
		.amdhsa_reserve_vcc 0
		.amdhsa_reserve_flat_scratch 0
		.amdhsa_float_round_mode_32 0
		.amdhsa_float_round_mode_16_64 0
		.amdhsa_float_denorm_mode_32 3
		.amdhsa_float_denorm_mode_16_64 3
		.amdhsa_dx10_clamp 1
		.amdhsa_ieee_mode 1
		.amdhsa_fp16_overflow 0
		.amdhsa_tg_split 0
		.amdhsa_exception_fp_ieee_invalid_op 0
		.amdhsa_exception_fp_denorm_src 0
		.amdhsa_exception_fp_ieee_div_zero 0
		.amdhsa_exception_fp_ieee_overflow 0
		.amdhsa_exception_fp_ieee_underflow 0
		.amdhsa_exception_fp_ieee_inexact 0
		.amdhsa_exception_int_div_zero 0
	.end_amdhsa_kernel
	.section	.text._ZN7rocprim17ROCPRIM_400000_NS6detail17trampoline_kernelINS0_14default_configENS1_38merge_sort_block_merge_config_selectorIlNS0_10empty_typeEEEZZNS1_27merge_sort_block_merge_implIS3_PlPS5_jNS1_19radix_merge_compareILb1ELb0ElNS0_19identity_decomposerEEEEE10hipError_tT0_T1_T2_jT3_P12ihipStream_tbPNSt15iterator_traitsISE_E10value_typeEPNSK_ISF_E10value_typeEPSG_NS1_7vsmem_tEENKUlT_SE_SF_SG_E_clIS8_S8_S9_S9_EESD_ST_SE_SF_SG_EUlST_E0_NS1_11comp_targetILNS1_3genE9ELNS1_11target_archE1100ELNS1_3gpuE3ELNS1_3repE0EEENS1_38merge_mergepath_config_static_selectorELNS0_4arch9wavefront6targetE1EEEvSF_,"axG",@progbits,_ZN7rocprim17ROCPRIM_400000_NS6detail17trampoline_kernelINS0_14default_configENS1_38merge_sort_block_merge_config_selectorIlNS0_10empty_typeEEEZZNS1_27merge_sort_block_merge_implIS3_PlPS5_jNS1_19radix_merge_compareILb1ELb0ElNS0_19identity_decomposerEEEEE10hipError_tT0_T1_T2_jT3_P12ihipStream_tbPNSt15iterator_traitsISE_E10value_typeEPNSK_ISF_E10value_typeEPSG_NS1_7vsmem_tEENKUlT_SE_SF_SG_E_clIS8_S8_S9_S9_EESD_ST_SE_SF_SG_EUlST_E0_NS1_11comp_targetILNS1_3genE9ELNS1_11target_archE1100ELNS1_3gpuE3ELNS1_3repE0EEENS1_38merge_mergepath_config_static_selectorELNS0_4arch9wavefront6targetE1EEEvSF_,comdat
.Lfunc_end2146:
	.size	_ZN7rocprim17ROCPRIM_400000_NS6detail17trampoline_kernelINS0_14default_configENS1_38merge_sort_block_merge_config_selectorIlNS0_10empty_typeEEEZZNS1_27merge_sort_block_merge_implIS3_PlPS5_jNS1_19radix_merge_compareILb1ELb0ElNS0_19identity_decomposerEEEEE10hipError_tT0_T1_T2_jT3_P12ihipStream_tbPNSt15iterator_traitsISE_E10value_typeEPNSK_ISF_E10value_typeEPSG_NS1_7vsmem_tEENKUlT_SE_SF_SG_E_clIS8_S8_S9_S9_EESD_ST_SE_SF_SG_EUlST_E0_NS1_11comp_targetILNS1_3genE9ELNS1_11target_archE1100ELNS1_3gpuE3ELNS1_3repE0EEENS1_38merge_mergepath_config_static_selectorELNS0_4arch9wavefront6targetE1EEEvSF_, .Lfunc_end2146-_ZN7rocprim17ROCPRIM_400000_NS6detail17trampoline_kernelINS0_14default_configENS1_38merge_sort_block_merge_config_selectorIlNS0_10empty_typeEEEZZNS1_27merge_sort_block_merge_implIS3_PlPS5_jNS1_19radix_merge_compareILb1ELb0ElNS0_19identity_decomposerEEEEE10hipError_tT0_T1_T2_jT3_P12ihipStream_tbPNSt15iterator_traitsISE_E10value_typeEPNSK_ISF_E10value_typeEPSG_NS1_7vsmem_tEENKUlT_SE_SF_SG_E_clIS8_S8_S9_S9_EESD_ST_SE_SF_SG_EUlST_E0_NS1_11comp_targetILNS1_3genE9ELNS1_11target_archE1100ELNS1_3gpuE3ELNS1_3repE0EEENS1_38merge_mergepath_config_static_selectorELNS0_4arch9wavefront6targetE1EEEvSF_
                                        ; -- End function
	.section	.AMDGPU.csdata,"",@progbits
; Kernel info:
; codeLenInByte = 0
; NumSgprs: 4
; NumVgprs: 0
; NumAgprs: 0
; TotalNumVgprs: 0
; ScratchSize: 0
; MemoryBound: 0
; FloatMode: 240
; IeeeMode: 1
; LDSByteSize: 0 bytes/workgroup (compile time only)
; SGPRBlocks: 0
; VGPRBlocks: 0
; NumSGPRsForWavesPerEU: 4
; NumVGPRsForWavesPerEU: 1
; AccumOffset: 4
; Occupancy: 8
; WaveLimiterHint : 0
; COMPUTE_PGM_RSRC2:SCRATCH_EN: 0
; COMPUTE_PGM_RSRC2:USER_SGPR: 6
; COMPUTE_PGM_RSRC2:TRAP_HANDLER: 0
; COMPUTE_PGM_RSRC2:TGID_X_EN: 1
; COMPUTE_PGM_RSRC2:TGID_Y_EN: 0
; COMPUTE_PGM_RSRC2:TGID_Z_EN: 0
; COMPUTE_PGM_RSRC2:TIDIG_COMP_CNT: 0
; COMPUTE_PGM_RSRC3_GFX90A:ACCUM_OFFSET: 0
; COMPUTE_PGM_RSRC3_GFX90A:TG_SPLIT: 0
	.section	.text._ZN7rocprim17ROCPRIM_400000_NS6detail17trampoline_kernelINS0_14default_configENS1_38merge_sort_block_merge_config_selectorIlNS0_10empty_typeEEEZZNS1_27merge_sort_block_merge_implIS3_PlPS5_jNS1_19radix_merge_compareILb1ELb0ElNS0_19identity_decomposerEEEEE10hipError_tT0_T1_T2_jT3_P12ihipStream_tbPNSt15iterator_traitsISE_E10value_typeEPNSK_ISF_E10value_typeEPSG_NS1_7vsmem_tEENKUlT_SE_SF_SG_E_clIS8_S8_S9_S9_EESD_ST_SE_SF_SG_EUlST_E0_NS1_11comp_targetILNS1_3genE8ELNS1_11target_archE1030ELNS1_3gpuE2ELNS1_3repE0EEENS1_38merge_mergepath_config_static_selectorELNS0_4arch9wavefront6targetE1EEEvSF_,"axG",@progbits,_ZN7rocprim17ROCPRIM_400000_NS6detail17trampoline_kernelINS0_14default_configENS1_38merge_sort_block_merge_config_selectorIlNS0_10empty_typeEEEZZNS1_27merge_sort_block_merge_implIS3_PlPS5_jNS1_19radix_merge_compareILb1ELb0ElNS0_19identity_decomposerEEEEE10hipError_tT0_T1_T2_jT3_P12ihipStream_tbPNSt15iterator_traitsISE_E10value_typeEPNSK_ISF_E10value_typeEPSG_NS1_7vsmem_tEENKUlT_SE_SF_SG_E_clIS8_S8_S9_S9_EESD_ST_SE_SF_SG_EUlST_E0_NS1_11comp_targetILNS1_3genE8ELNS1_11target_archE1030ELNS1_3gpuE2ELNS1_3repE0EEENS1_38merge_mergepath_config_static_selectorELNS0_4arch9wavefront6targetE1EEEvSF_,comdat
	.protected	_ZN7rocprim17ROCPRIM_400000_NS6detail17trampoline_kernelINS0_14default_configENS1_38merge_sort_block_merge_config_selectorIlNS0_10empty_typeEEEZZNS1_27merge_sort_block_merge_implIS3_PlPS5_jNS1_19radix_merge_compareILb1ELb0ElNS0_19identity_decomposerEEEEE10hipError_tT0_T1_T2_jT3_P12ihipStream_tbPNSt15iterator_traitsISE_E10value_typeEPNSK_ISF_E10value_typeEPSG_NS1_7vsmem_tEENKUlT_SE_SF_SG_E_clIS8_S8_S9_S9_EESD_ST_SE_SF_SG_EUlST_E0_NS1_11comp_targetILNS1_3genE8ELNS1_11target_archE1030ELNS1_3gpuE2ELNS1_3repE0EEENS1_38merge_mergepath_config_static_selectorELNS0_4arch9wavefront6targetE1EEEvSF_ ; -- Begin function _ZN7rocprim17ROCPRIM_400000_NS6detail17trampoline_kernelINS0_14default_configENS1_38merge_sort_block_merge_config_selectorIlNS0_10empty_typeEEEZZNS1_27merge_sort_block_merge_implIS3_PlPS5_jNS1_19radix_merge_compareILb1ELb0ElNS0_19identity_decomposerEEEEE10hipError_tT0_T1_T2_jT3_P12ihipStream_tbPNSt15iterator_traitsISE_E10value_typeEPNSK_ISF_E10value_typeEPSG_NS1_7vsmem_tEENKUlT_SE_SF_SG_E_clIS8_S8_S9_S9_EESD_ST_SE_SF_SG_EUlST_E0_NS1_11comp_targetILNS1_3genE8ELNS1_11target_archE1030ELNS1_3gpuE2ELNS1_3repE0EEENS1_38merge_mergepath_config_static_selectorELNS0_4arch9wavefront6targetE1EEEvSF_
	.globl	_ZN7rocprim17ROCPRIM_400000_NS6detail17trampoline_kernelINS0_14default_configENS1_38merge_sort_block_merge_config_selectorIlNS0_10empty_typeEEEZZNS1_27merge_sort_block_merge_implIS3_PlPS5_jNS1_19radix_merge_compareILb1ELb0ElNS0_19identity_decomposerEEEEE10hipError_tT0_T1_T2_jT3_P12ihipStream_tbPNSt15iterator_traitsISE_E10value_typeEPNSK_ISF_E10value_typeEPSG_NS1_7vsmem_tEENKUlT_SE_SF_SG_E_clIS8_S8_S9_S9_EESD_ST_SE_SF_SG_EUlST_E0_NS1_11comp_targetILNS1_3genE8ELNS1_11target_archE1030ELNS1_3gpuE2ELNS1_3repE0EEENS1_38merge_mergepath_config_static_selectorELNS0_4arch9wavefront6targetE1EEEvSF_
	.p2align	8
	.type	_ZN7rocprim17ROCPRIM_400000_NS6detail17trampoline_kernelINS0_14default_configENS1_38merge_sort_block_merge_config_selectorIlNS0_10empty_typeEEEZZNS1_27merge_sort_block_merge_implIS3_PlPS5_jNS1_19radix_merge_compareILb1ELb0ElNS0_19identity_decomposerEEEEE10hipError_tT0_T1_T2_jT3_P12ihipStream_tbPNSt15iterator_traitsISE_E10value_typeEPNSK_ISF_E10value_typeEPSG_NS1_7vsmem_tEENKUlT_SE_SF_SG_E_clIS8_S8_S9_S9_EESD_ST_SE_SF_SG_EUlST_E0_NS1_11comp_targetILNS1_3genE8ELNS1_11target_archE1030ELNS1_3gpuE2ELNS1_3repE0EEENS1_38merge_mergepath_config_static_selectorELNS0_4arch9wavefront6targetE1EEEvSF_,@function
_ZN7rocprim17ROCPRIM_400000_NS6detail17trampoline_kernelINS0_14default_configENS1_38merge_sort_block_merge_config_selectorIlNS0_10empty_typeEEEZZNS1_27merge_sort_block_merge_implIS3_PlPS5_jNS1_19radix_merge_compareILb1ELb0ElNS0_19identity_decomposerEEEEE10hipError_tT0_T1_T2_jT3_P12ihipStream_tbPNSt15iterator_traitsISE_E10value_typeEPNSK_ISF_E10value_typeEPSG_NS1_7vsmem_tEENKUlT_SE_SF_SG_E_clIS8_S8_S9_S9_EESD_ST_SE_SF_SG_EUlST_E0_NS1_11comp_targetILNS1_3genE8ELNS1_11target_archE1030ELNS1_3gpuE2ELNS1_3repE0EEENS1_38merge_mergepath_config_static_selectorELNS0_4arch9wavefront6targetE1EEEvSF_: ; @_ZN7rocprim17ROCPRIM_400000_NS6detail17trampoline_kernelINS0_14default_configENS1_38merge_sort_block_merge_config_selectorIlNS0_10empty_typeEEEZZNS1_27merge_sort_block_merge_implIS3_PlPS5_jNS1_19radix_merge_compareILb1ELb0ElNS0_19identity_decomposerEEEEE10hipError_tT0_T1_T2_jT3_P12ihipStream_tbPNSt15iterator_traitsISE_E10value_typeEPNSK_ISF_E10value_typeEPSG_NS1_7vsmem_tEENKUlT_SE_SF_SG_E_clIS8_S8_S9_S9_EESD_ST_SE_SF_SG_EUlST_E0_NS1_11comp_targetILNS1_3genE8ELNS1_11target_archE1030ELNS1_3gpuE2ELNS1_3repE0EEENS1_38merge_mergepath_config_static_selectorELNS0_4arch9wavefront6targetE1EEEvSF_
; %bb.0:
	.section	.rodata,"a",@progbits
	.p2align	6, 0x0
	.amdhsa_kernel _ZN7rocprim17ROCPRIM_400000_NS6detail17trampoline_kernelINS0_14default_configENS1_38merge_sort_block_merge_config_selectorIlNS0_10empty_typeEEEZZNS1_27merge_sort_block_merge_implIS3_PlPS5_jNS1_19radix_merge_compareILb1ELb0ElNS0_19identity_decomposerEEEEE10hipError_tT0_T1_T2_jT3_P12ihipStream_tbPNSt15iterator_traitsISE_E10value_typeEPNSK_ISF_E10value_typeEPSG_NS1_7vsmem_tEENKUlT_SE_SF_SG_E_clIS8_S8_S9_S9_EESD_ST_SE_SF_SG_EUlST_E0_NS1_11comp_targetILNS1_3genE8ELNS1_11target_archE1030ELNS1_3gpuE2ELNS1_3repE0EEENS1_38merge_mergepath_config_static_selectorELNS0_4arch9wavefront6targetE1EEEvSF_
		.amdhsa_group_segment_fixed_size 0
		.amdhsa_private_segment_fixed_size 0
		.amdhsa_kernarg_size 64
		.amdhsa_user_sgpr_count 6
		.amdhsa_user_sgpr_private_segment_buffer 1
		.amdhsa_user_sgpr_dispatch_ptr 0
		.amdhsa_user_sgpr_queue_ptr 0
		.amdhsa_user_sgpr_kernarg_segment_ptr 1
		.amdhsa_user_sgpr_dispatch_id 0
		.amdhsa_user_sgpr_flat_scratch_init 0
		.amdhsa_user_sgpr_kernarg_preload_length 0
		.amdhsa_user_sgpr_kernarg_preload_offset 0
		.amdhsa_user_sgpr_private_segment_size 0
		.amdhsa_uses_dynamic_stack 0
		.amdhsa_system_sgpr_private_segment_wavefront_offset 0
		.amdhsa_system_sgpr_workgroup_id_x 1
		.amdhsa_system_sgpr_workgroup_id_y 0
		.amdhsa_system_sgpr_workgroup_id_z 0
		.amdhsa_system_sgpr_workgroup_info 0
		.amdhsa_system_vgpr_workitem_id 0
		.amdhsa_next_free_vgpr 1
		.amdhsa_next_free_sgpr 0
		.amdhsa_accum_offset 4
		.amdhsa_reserve_vcc 0
		.amdhsa_reserve_flat_scratch 0
		.amdhsa_float_round_mode_32 0
		.amdhsa_float_round_mode_16_64 0
		.amdhsa_float_denorm_mode_32 3
		.amdhsa_float_denorm_mode_16_64 3
		.amdhsa_dx10_clamp 1
		.amdhsa_ieee_mode 1
		.amdhsa_fp16_overflow 0
		.amdhsa_tg_split 0
		.amdhsa_exception_fp_ieee_invalid_op 0
		.amdhsa_exception_fp_denorm_src 0
		.amdhsa_exception_fp_ieee_div_zero 0
		.amdhsa_exception_fp_ieee_overflow 0
		.amdhsa_exception_fp_ieee_underflow 0
		.amdhsa_exception_fp_ieee_inexact 0
		.amdhsa_exception_int_div_zero 0
	.end_amdhsa_kernel
	.section	.text._ZN7rocprim17ROCPRIM_400000_NS6detail17trampoline_kernelINS0_14default_configENS1_38merge_sort_block_merge_config_selectorIlNS0_10empty_typeEEEZZNS1_27merge_sort_block_merge_implIS3_PlPS5_jNS1_19radix_merge_compareILb1ELb0ElNS0_19identity_decomposerEEEEE10hipError_tT0_T1_T2_jT3_P12ihipStream_tbPNSt15iterator_traitsISE_E10value_typeEPNSK_ISF_E10value_typeEPSG_NS1_7vsmem_tEENKUlT_SE_SF_SG_E_clIS8_S8_S9_S9_EESD_ST_SE_SF_SG_EUlST_E0_NS1_11comp_targetILNS1_3genE8ELNS1_11target_archE1030ELNS1_3gpuE2ELNS1_3repE0EEENS1_38merge_mergepath_config_static_selectorELNS0_4arch9wavefront6targetE1EEEvSF_,"axG",@progbits,_ZN7rocprim17ROCPRIM_400000_NS6detail17trampoline_kernelINS0_14default_configENS1_38merge_sort_block_merge_config_selectorIlNS0_10empty_typeEEEZZNS1_27merge_sort_block_merge_implIS3_PlPS5_jNS1_19radix_merge_compareILb1ELb0ElNS0_19identity_decomposerEEEEE10hipError_tT0_T1_T2_jT3_P12ihipStream_tbPNSt15iterator_traitsISE_E10value_typeEPNSK_ISF_E10value_typeEPSG_NS1_7vsmem_tEENKUlT_SE_SF_SG_E_clIS8_S8_S9_S9_EESD_ST_SE_SF_SG_EUlST_E0_NS1_11comp_targetILNS1_3genE8ELNS1_11target_archE1030ELNS1_3gpuE2ELNS1_3repE0EEENS1_38merge_mergepath_config_static_selectorELNS0_4arch9wavefront6targetE1EEEvSF_,comdat
.Lfunc_end2147:
	.size	_ZN7rocprim17ROCPRIM_400000_NS6detail17trampoline_kernelINS0_14default_configENS1_38merge_sort_block_merge_config_selectorIlNS0_10empty_typeEEEZZNS1_27merge_sort_block_merge_implIS3_PlPS5_jNS1_19radix_merge_compareILb1ELb0ElNS0_19identity_decomposerEEEEE10hipError_tT0_T1_T2_jT3_P12ihipStream_tbPNSt15iterator_traitsISE_E10value_typeEPNSK_ISF_E10value_typeEPSG_NS1_7vsmem_tEENKUlT_SE_SF_SG_E_clIS8_S8_S9_S9_EESD_ST_SE_SF_SG_EUlST_E0_NS1_11comp_targetILNS1_3genE8ELNS1_11target_archE1030ELNS1_3gpuE2ELNS1_3repE0EEENS1_38merge_mergepath_config_static_selectorELNS0_4arch9wavefront6targetE1EEEvSF_, .Lfunc_end2147-_ZN7rocprim17ROCPRIM_400000_NS6detail17trampoline_kernelINS0_14default_configENS1_38merge_sort_block_merge_config_selectorIlNS0_10empty_typeEEEZZNS1_27merge_sort_block_merge_implIS3_PlPS5_jNS1_19radix_merge_compareILb1ELb0ElNS0_19identity_decomposerEEEEE10hipError_tT0_T1_T2_jT3_P12ihipStream_tbPNSt15iterator_traitsISE_E10value_typeEPNSK_ISF_E10value_typeEPSG_NS1_7vsmem_tEENKUlT_SE_SF_SG_E_clIS8_S8_S9_S9_EESD_ST_SE_SF_SG_EUlST_E0_NS1_11comp_targetILNS1_3genE8ELNS1_11target_archE1030ELNS1_3gpuE2ELNS1_3repE0EEENS1_38merge_mergepath_config_static_selectorELNS0_4arch9wavefront6targetE1EEEvSF_
                                        ; -- End function
	.section	.AMDGPU.csdata,"",@progbits
; Kernel info:
; codeLenInByte = 0
; NumSgprs: 4
; NumVgprs: 0
; NumAgprs: 0
; TotalNumVgprs: 0
; ScratchSize: 0
; MemoryBound: 0
; FloatMode: 240
; IeeeMode: 1
; LDSByteSize: 0 bytes/workgroup (compile time only)
; SGPRBlocks: 0
; VGPRBlocks: 0
; NumSGPRsForWavesPerEU: 4
; NumVGPRsForWavesPerEU: 1
; AccumOffset: 4
; Occupancy: 8
; WaveLimiterHint : 0
; COMPUTE_PGM_RSRC2:SCRATCH_EN: 0
; COMPUTE_PGM_RSRC2:USER_SGPR: 6
; COMPUTE_PGM_RSRC2:TRAP_HANDLER: 0
; COMPUTE_PGM_RSRC2:TGID_X_EN: 1
; COMPUTE_PGM_RSRC2:TGID_Y_EN: 0
; COMPUTE_PGM_RSRC2:TGID_Z_EN: 0
; COMPUTE_PGM_RSRC2:TIDIG_COMP_CNT: 0
; COMPUTE_PGM_RSRC3_GFX90A:ACCUM_OFFSET: 0
; COMPUTE_PGM_RSRC3_GFX90A:TG_SPLIT: 0
	.section	.text._ZN7rocprim17ROCPRIM_400000_NS6detail17trampoline_kernelINS0_14default_configENS1_38merge_sort_block_merge_config_selectorIlNS0_10empty_typeEEEZZNS1_27merge_sort_block_merge_implIS3_PlPS5_jNS1_19radix_merge_compareILb1ELb0ElNS0_19identity_decomposerEEEEE10hipError_tT0_T1_T2_jT3_P12ihipStream_tbPNSt15iterator_traitsISE_E10value_typeEPNSK_ISF_E10value_typeEPSG_NS1_7vsmem_tEENKUlT_SE_SF_SG_E_clIS8_S8_S9_S9_EESD_ST_SE_SF_SG_EUlST_E1_NS1_11comp_targetILNS1_3genE0ELNS1_11target_archE4294967295ELNS1_3gpuE0ELNS1_3repE0EEENS1_36merge_oddeven_config_static_selectorELNS0_4arch9wavefront6targetE1EEEvSF_,"axG",@progbits,_ZN7rocprim17ROCPRIM_400000_NS6detail17trampoline_kernelINS0_14default_configENS1_38merge_sort_block_merge_config_selectorIlNS0_10empty_typeEEEZZNS1_27merge_sort_block_merge_implIS3_PlPS5_jNS1_19radix_merge_compareILb1ELb0ElNS0_19identity_decomposerEEEEE10hipError_tT0_T1_T2_jT3_P12ihipStream_tbPNSt15iterator_traitsISE_E10value_typeEPNSK_ISF_E10value_typeEPSG_NS1_7vsmem_tEENKUlT_SE_SF_SG_E_clIS8_S8_S9_S9_EESD_ST_SE_SF_SG_EUlST_E1_NS1_11comp_targetILNS1_3genE0ELNS1_11target_archE4294967295ELNS1_3gpuE0ELNS1_3repE0EEENS1_36merge_oddeven_config_static_selectorELNS0_4arch9wavefront6targetE1EEEvSF_,comdat
	.protected	_ZN7rocprim17ROCPRIM_400000_NS6detail17trampoline_kernelINS0_14default_configENS1_38merge_sort_block_merge_config_selectorIlNS0_10empty_typeEEEZZNS1_27merge_sort_block_merge_implIS3_PlPS5_jNS1_19radix_merge_compareILb1ELb0ElNS0_19identity_decomposerEEEEE10hipError_tT0_T1_T2_jT3_P12ihipStream_tbPNSt15iterator_traitsISE_E10value_typeEPNSK_ISF_E10value_typeEPSG_NS1_7vsmem_tEENKUlT_SE_SF_SG_E_clIS8_S8_S9_S9_EESD_ST_SE_SF_SG_EUlST_E1_NS1_11comp_targetILNS1_3genE0ELNS1_11target_archE4294967295ELNS1_3gpuE0ELNS1_3repE0EEENS1_36merge_oddeven_config_static_selectorELNS0_4arch9wavefront6targetE1EEEvSF_ ; -- Begin function _ZN7rocprim17ROCPRIM_400000_NS6detail17trampoline_kernelINS0_14default_configENS1_38merge_sort_block_merge_config_selectorIlNS0_10empty_typeEEEZZNS1_27merge_sort_block_merge_implIS3_PlPS5_jNS1_19radix_merge_compareILb1ELb0ElNS0_19identity_decomposerEEEEE10hipError_tT0_T1_T2_jT3_P12ihipStream_tbPNSt15iterator_traitsISE_E10value_typeEPNSK_ISF_E10value_typeEPSG_NS1_7vsmem_tEENKUlT_SE_SF_SG_E_clIS8_S8_S9_S9_EESD_ST_SE_SF_SG_EUlST_E1_NS1_11comp_targetILNS1_3genE0ELNS1_11target_archE4294967295ELNS1_3gpuE0ELNS1_3repE0EEENS1_36merge_oddeven_config_static_selectorELNS0_4arch9wavefront6targetE1EEEvSF_
	.globl	_ZN7rocprim17ROCPRIM_400000_NS6detail17trampoline_kernelINS0_14default_configENS1_38merge_sort_block_merge_config_selectorIlNS0_10empty_typeEEEZZNS1_27merge_sort_block_merge_implIS3_PlPS5_jNS1_19radix_merge_compareILb1ELb0ElNS0_19identity_decomposerEEEEE10hipError_tT0_T1_T2_jT3_P12ihipStream_tbPNSt15iterator_traitsISE_E10value_typeEPNSK_ISF_E10value_typeEPSG_NS1_7vsmem_tEENKUlT_SE_SF_SG_E_clIS8_S8_S9_S9_EESD_ST_SE_SF_SG_EUlST_E1_NS1_11comp_targetILNS1_3genE0ELNS1_11target_archE4294967295ELNS1_3gpuE0ELNS1_3repE0EEENS1_36merge_oddeven_config_static_selectorELNS0_4arch9wavefront6targetE1EEEvSF_
	.p2align	8
	.type	_ZN7rocprim17ROCPRIM_400000_NS6detail17trampoline_kernelINS0_14default_configENS1_38merge_sort_block_merge_config_selectorIlNS0_10empty_typeEEEZZNS1_27merge_sort_block_merge_implIS3_PlPS5_jNS1_19radix_merge_compareILb1ELb0ElNS0_19identity_decomposerEEEEE10hipError_tT0_T1_T2_jT3_P12ihipStream_tbPNSt15iterator_traitsISE_E10value_typeEPNSK_ISF_E10value_typeEPSG_NS1_7vsmem_tEENKUlT_SE_SF_SG_E_clIS8_S8_S9_S9_EESD_ST_SE_SF_SG_EUlST_E1_NS1_11comp_targetILNS1_3genE0ELNS1_11target_archE4294967295ELNS1_3gpuE0ELNS1_3repE0EEENS1_36merge_oddeven_config_static_selectorELNS0_4arch9wavefront6targetE1EEEvSF_,@function
_ZN7rocprim17ROCPRIM_400000_NS6detail17trampoline_kernelINS0_14default_configENS1_38merge_sort_block_merge_config_selectorIlNS0_10empty_typeEEEZZNS1_27merge_sort_block_merge_implIS3_PlPS5_jNS1_19radix_merge_compareILb1ELb0ElNS0_19identity_decomposerEEEEE10hipError_tT0_T1_T2_jT3_P12ihipStream_tbPNSt15iterator_traitsISE_E10value_typeEPNSK_ISF_E10value_typeEPSG_NS1_7vsmem_tEENKUlT_SE_SF_SG_E_clIS8_S8_S9_S9_EESD_ST_SE_SF_SG_EUlST_E1_NS1_11comp_targetILNS1_3genE0ELNS1_11target_archE4294967295ELNS1_3gpuE0ELNS1_3repE0EEENS1_36merge_oddeven_config_static_selectorELNS0_4arch9wavefront6targetE1EEEvSF_: ; @_ZN7rocprim17ROCPRIM_400000_NS6detail17trampoline_kernelINS0_14default_configENS1_38merge_sort_block_merge_config_selectorIlNS0_10empty_typeEEEZZNS1_27merge_sort_block_merge_implIS3_PlPS5_jNS1_19radix_merge_compareILb1ELb0ElNS0_19identity_decomposerEEEEE10hipError_tT0_T1_T2_jT3_P12ihipStream_tbPNSt15iterator_traitsISE_E10value_typeEPNSK_ISF_E10value_typeEPSG_NS1_7vsmem_tEENKUlT_SE_SF_SG_E_clIS8_S8_S9_S9_EESD_ST_SE_SF_SG_EUlST_E1_NS1_11comp_targetILNS1_3genE0ELNS1_11target_archE4294967295ELNS1_3gpuE0ELNS1_3repE0EEENS1_36merge_oddeven_config_static_selectorELNS0_4arch9wavefront6targetE1EEEvSF_
; %bb.0:
	.section	.rodata,"a",@progbits
	.p2align	6, 0x0
	.amdhsa_kernel _ZN7rocprim17ROCPRIM_400000_NS6detail17trampoline_kernelINS0_14default_configENS1_38merge_sort_block_merge_config_selectorIlNS0_10empty_typeEEEZZNS1_27merge_sort_block_merge_implIS3_PlPS5_jNS1_19radix_merge_compareILb1ELb0ElNS0_19identity_decomposerEEEEE10hipError_tT0_T1_T2_jT3_P12ihipStream_tbPNSt15iterator_traitsISE_E10value_typeEPNSK_ISF_E10value_typeEPSG_NS1_7vsmem_tEENKUlT_SE_SF_SG_E_clIS8_S8_S9_S9_EESD_ST_SE_SF_SG_EUlST_E1_NS1_11comp_targetILNS1_3genE0ELNS1_11target_archE4294967295ELNS1_3gpuE0ELNS1_3repE0EEENS1_36merge_oddeven_config_static_selectorELNS0_4arch9wavefront6targetE1EEEvSF_
		.amdhsa_group_segment_fixed_size 0
		.amdhsa_private_segment_fixed_size 0
		.amdhsa_kernarg_size 48
		.amdhsa_user_sgpr_count 6
		.amdhsa_user_sgpr_private_segment_buffer 1
		.amdhsa_user_sgpr_dispatch_ptr 0
		.amdhsa_user_sgpr_queue_ptr 0
		.amdhsa_user_sgpr_kernarg_segment_ptr 1
		.amdhsa_user_sgpr_dispatch_id 0
		.amdhsa_user_sgpr_flat_scratch_init 0
		.amdhsa_user_sgpr_kernarg_preload_length 0
		.amdhsa_user_sgpr_kernarg_preload_offset 0
		.amdhsa_user_sgpr_private_segment_size 0
		.amdhsa_uses_dynamic_stack 0
		.amdhsa_system_sgpr_private_segment_wavefront_offset 0
		.amdhsa_system_sgpr_workgroup_id_x 1
		.amdhsa_system_sgpr_workgroup_id_y 0
		.amdhsa_system_sgpr_workgroup_id_z 0
		.amdhsa_system_sgpr_workgroup_info 0
		.amdhsa_system_vgpr_workitem_id 0
		.amdhsa_next_free_vgpr 1
		.amdhsa_next_free_sgpr 0
		.amdhsa_accum_offset 4
		.amdhsa_reserve_vcc 0
		.amdhsa_reserve_flat_scratch 0
		.amdhsa_float_round_mode_32 0
		.amdhsa_float_round_mode_16_64 0
		.amdhsa_float_denorm_mode_32 3
		.amdhsa_float_denorm_mode_16_64 3
		.amdhsa_dx10_clamp 1
		.amdhsa_ieee_mode 1
		.amdhsa_fp16_overflow 0
		.amdhsa_tg_split 0
		.amdhsa_exception_fp_ieee_invalid_op 0
		.amdhsa_exception_fp_denorm_src 0
		.amdhsa_exception_fp_ieee_div_zero 0
		.amdhsa_exception_fp_ieee_overflow 0
		.amdhsa_exception_fp_ieee_underflow 0
		.amdhsa_exception_fp_ieee_inexact 0
		.amdhsa_exception_int_div_zero 0
	.end_amdhsa_kernel
	.section	.text._ZN7rocprim17ROCPRIM_400000_NS6detail17trampoline_kernelINS0_14default_configENS1_38merge_sort_block_merge_config_selectorIlNS0_10empty_typeEEEZZNS1_27merge_sort_block_merge_implIS3_PlPS5_jNS1_19radix_merge_compareILb1ELb0ElNS0_19identity_decomposerEEEEE10hipError_tT0_T1_T2_jT3_P12ihipStream_tbPNSt15iterator_traitsISE_E10value_typeEPNSK_ISF_E10value_typeEPSG_NS1_7vsmem_tEENKUlT_SE_SF_SG_E_clIS8_S8_S9_S9_EESD_ST_SE_SF_SG_EUlST_E1_NS1_11comp_targetILNS1_3genE0ELNS1_11target_archE4294967295ELNS1_3gpuE0ELNS1_3repE0EEENS1_36merge_oddeven_config_static_selectorELNS0_4arch9wavefront6targetE1EEEvSF_,"axG",@progbits,_ZN7rocprim17ROCPRIM_400000_NS6detail17trampoline_kernelINS0_14default_configENS1_38merge_sort_block_merge_config_selectorIlNS0_10empty_typeEEEZZNS1_27merge_sort_block_merge_implIS3_PlPS5_jNS1_19radix_merge_compareILb1ELb0ElNS0_19identity_decomposerEEEEE10hipError_tT0_T1_T2_jT3_P12ihipStream_tbPNSt15iterator_traitsISE_E10value_typeEPNSK_ISF_E10value_typeEPSG_NS1_7vsmem_tEENKUlT_SE_SF_SG_E_clIS8_S8_S9_S9_EESD_ST_SE_SF_SG_EUlST_E1_NS1_11comp_targetILNS1_3genE0ELNS1_11target_archE4294967295ELNS1_3gpuE0ELNS1_3repE0EEENS1_36merge_oddeven_config_static_selectorELNS0_4arch9wavefront6targetE1EEEvSF_,comdat
.Lfunc_end2148:
	.size	_ZN7rocprim17ROCPRIM_400000_NS6detail17trampoline_kernelINS0_14default_configENS1_38merge_sort_block_merge_config_selectorIlNS0_10empty_typeEEEZZNS1_27merge_sort_block_merge_implIS3_PlPS5_jNS1_19radix_merge_compareILb1ELb0ElNS0_19identity_decomposerEEEEE10hipError_tT0_T1_T2_jT3_P12ihipStream_tbPNSt15iterator_traitsISE_E10value_typeEPNSK_ISF_E10value_typeEPSG_NS1_7vsmem_tEENKUlT_SE_SF_SG_E_clIS8_S8_S9_S9_EESD_ST_SE_SF_SG_EUlST_E1_NS1_11comp_targetILNS1_3genE0ELNS1_11target_archE4294967295ELNS1_3gpuE0ELNS1_3repE0EEENS1_36merge_oddeven_config_static_selectorELNS0_4arch9wavefront6targetE1EEEvSF_, .Lfunc_end2148-_ZN7rocprim17ROCPRIM_400000_NS6detail17trampoline_kernelINS0_14default_configENS1_38merge_sort_block_merge_config_selectorIlNS0_10empty_typeEEEZZNS1_27merge_sort_block_merge_implIS3_PlPS5_jNS1_19radix_merge_compareILb1ELb0ElNS0_19identity_decomposerEEEEE10hipError_tT0_T1_T2_jT3_P12ihipStream_tbPNSt15iterator_traitsISE_E10value_typeEPNSK_ISF_E10value_typeEPSG_NS1_7vsmem_tEENKUlT_SE_SF_SG_E_clIS8_S8_S9_S9_EESD_ST_SE_SF_SG_EUlST_E1_NS1_11comp_targetILNS1_3genE0ELNS1_11target_archE4294967295ELNS1_3gpuE0ELNS1_3repE0EEENS1_36merge_oddeven_config_static_selectorELNS0_4arch9wavefront6targetE1EEEvSF_
                                        ; -- End function
	.section	.AMDGPU.csdata,"",@progbits
; Kernel info:
; codeLenInByte = 0
; NumSgprs: 4
; NumVgprs: 0
; NumAgprs: 0
; TotalNumVgprs: 0
; ScratchSize: 0
; MemoryBound: 0
; FloatMode: 240
; IeeeMode: 1
; LDSByteSize: 0 bytes/workgroup (compile time only)
; SGPRBlocks: 0
; VGPRBlocks: 0
; NumSGPRsForWavesPerEU: 4
; NumVGPRsForWavesPerEU: 1
; AccumOffset: 4
; Occupancy: 8
; WaveLimiterHint : 0
; COMPUTE_PGM_RSRC2:SCRATCH_EN: 0
; COMPUTE_PGM_RSRC2:USER_SGPR: 6
; COMPUTE_PGM_RSRC2:TRAP_HANDLER: 0
; COMPUTE_PGM_RSRC2:TGID_X_EN: 1
; COMPUTE_PGM_RSRC2:TGID_Y_EN: 0
; COMPUTE_PGM_RSRC2:TGID_Z_EN: 0
; COMPUTE_PGM_RSRC2:TIDIG_COMP_CNT: 0
; COMPUTE_PGM_RSRC3_GFX90A:ACCUM_OFFSET: 0
; COMPUTE_PGM_RSRC3_GFX90A:TG_SPLIT: 0
	.section	.text._ZN7rocprim17ROCPRIM_400000_NS6detail17trampoline_kernelINS0_14default_configENS1_38merge_sort_block_merge_config_selectorIlNS0_10empty_typeEEEZZNS1_27merge_sort_block_merge_implIS3_PlPS5_jNS1_19radix_merge_compareILb1ELb0ElNS0_19identity_decomposerEEEEE10hipError_tT0_T1_T2_jT3_P12ihipStream_tbPNSt15iterator_traitsISE_E10value_typeEPNSK_ISF_E10value_typeEPSG_NS1_7vsmem_tEENKUlT_SE_SF_SG_E_clIS8_S8_S9_S9_EESD_ST_SE_SF_SG_EUlST_E1_NS1_11comp_targetILNS1_3genE10ELNS1_11target_archE1201ELNS1_3gpuE5ELNS1_3repE0EEENS1_36merge_oddeven_config_static_selectorELNS0_4arch9wavefront6targetE1EEEvSF_,"axG",@progbits,_ZN7rocprim17ROCPRIM_400000_NS6detail17trampoline_kernelINS0_14default_configENS1_38merge_sort_block_merge_config_selectorIlNS0_10empty_typeEEEZZNS1_27merge_sort_block_merge_implIS3_PlPS5_jNS1_19radix_merge_compareILb1ELb0ElNS0_19identity_decomposerEEEEE10hipError_tT0_T1_T2_jT3_P12ihipStream_tbPNSt15iterator_traitsISE_E10value_typeEPNSK_ISF_E10value_typeEPSG_NS1_7vsmem_tEENKUlT_SE_SF_SG_E_clIS8_S8_S9_S9_EESD_ST_SE_SF_SG_EUlST_E1_NS1_11comp_targetILNS1_3genE10ELNS1_11target_archE1201ELNS1_3gpuE5ELNS1_3repE0EEENS1_36merge_oddeven_config_static_selectorELNS0_4arch9wavefront6targetE1EEEvSF_,comdat
	.protected	_ZN7rocprim17ROCPRIM_400000_NS6detail17trampoline_kernelINS0_14default_configENS1_38merge_sort_block_merge_config_selectorIlNS0_10empty_typeEEEZZNS1_27merge_sort_block_merge_implIS3_PlPS5_jNS1_19radix_merge_compareILb1ELb0ElNS0_19identity_decomposerEEEEE10hipError_tT0_T1_T2_jT3_P12ihipStream_tbPNSt15iterator_traitsISE_E10value_typeEPNSK_ISF_E10value_typeEPSG_NS1_7vsmem_tEENKUlT_SE_SF_SG_E_clIS8_S8_S9_S9_EESD_ST_SE_SF_SG_EUlST_E1_NS1_11comp_targetILNS1_3genE10ELNS1_11target_archE1201ELNS1_3gpuE5ELNS1_3repE0EEENS1_36merge_oddeven_config_static_selectorELNS0_4arch9wavefront6targetE1EEEvSF_ ; -- Begin function _ZN7rocprim17ROCPRIM_400000_NS6detail17trampoline_kernelINS0_14default_configENS1_38merge_sort_block_merge_config_selectorIlNS0_10empty_typeEEEZZNS1_27merge_sort_block_merge_implIS3_PlPS5_jNS1_19radix_merge_compareILb1ELb0ElNS0_19identity_decomposerEEEEE10hipError_tT0_T1_T2_jT3_P12ihipStream_tbPNSt15iterator_traitsISE_E10value_typeEPNSK_ISF_E10value_typeEPSG_NS1_7vsmem_tEENKUlT_SE_SF_SG_E_clIS8_S8_S9_S9_EESD_ST_SE_SF_SG_EUlST_E1_NS1_11comp_targetILNS1_3genE10ELNS1_11target_archE1201ELNS1_3gpuE5ELNS1_3repE0EEENS1_36merge_oddeven_config_static_selectorELNS0_4arch9wavefront6targetE1EEEvSF_
	.globl	_ZN7rocprim17ROCPRIM_400000_NS6detail17trampoline_kernelINS0_14default_configENS1_38merge_sort_block_merge_config_selectorIlNS0_10empty_typeEEEZZNS1_27merge_sort_block_merge_implIS3_PlPS5_jNS1_19radix_merge_compareILb1ELb0ElNS0_19identity_decomposerEEEEE10hipError_tT0_T1_T2_jT3_P12ihipStream_tbPNSt15iterator_traitsISE_E10value_typeEPNSK_ISF_E10value_typeEPSG_NS1_7vsmem_tEENKUlT_SE_SF_SG_E_clIS8_S8_S9_S9_EESD_ST_SE_SF_SG_EUlST_E1_NS1_11comp_targetILNS1_3genE10ELNS1_11target_archE1201ELNS1_3gpuE5ELNS1_3repE0EEENS1_36merge_oddeven_config_static_selectorELNS0_4arch9wavefront6targetE1EEEvSF_
	.p2align	8
	.type	_ZN7rocprim17ROCPRIM_400000_NS6detail17trampoline_kernelINS0_14default_configENS1_38merge_sort_block_merge_config_selectorIlNS0_10empty_typeEEEZZNS1_27merge_sort_block_merge_implIS3_PlPS5_jNS1_19radix_merge_compareILb1ELb0ElNS0_19identity_decomposerEEEEE10hipError_tT0_T1_T2_jT3_P12ihipStream_tbPNSt15iterator_traitsISE_E10value_typeEPNSK_ISF_E10value_typeEPSG_NS1_7vsmem_tEENKUlT_SE_SF_SG_E_clIS8_S8_S9_S9_EESD_ST_SE_SF_SG_EUlST_E1_NS1_11comp_targetILNS1_3genE10ELNS1_11target_archE1201ELNS1_3gpuE5ELNS1_3repE0EEENS1_36merge_oddeven_config_static_selectorELNS0_4arch9wavefront6targetE1EEEvSF_,@function
_ZN7rocprim17ROCPRIM_400000_NS6detail17trampoline_kernelINS0_14default_configENS1_38merge_sort_block_merge_config_selectorIlNS0_10empty_typeEEEZZNS1_27merge_sort_block_merge_implIS3_PlPS5_jNS1_19radix_merge_compareILb1ELb0ElNS0_19identity_decomposerEEEEE10hipError_tT0_T1_T2_jT3_P12ihipStream_tbPNSt15iterator_traitsISE_E10value_typeEPNSK_ISF_E10value_typeEPSG_NS1_7vsmem_tEENKUlT_SE_SF_SG_E_clIS8_S8_S9_S9_EESD_ST_SE_SF_SG_EUlST_E1_NS1_11comp_targetILNS1_3genE10ELNS1_11target_archE1201ELNS1_3gpuE5ELNS1_3repE0EEENS1_36merge_oddeven_config_static_selectorELNS0_4arch9wavefront6targetE1EEEvSF_: ; @_ZN7rocprim17ROCPRIM_400000_NS6detail17trampoline_kernelINS0_14default_configENS1_38merge_sort_block_merge_config_selectorIlNS0_10empty_typeEEEZZNS1_27merge_sort_block_merge_implIS3_PlPS5_jNS1_19radix_merge_compareILb1ELb0ElNS0_19identity_decomposerEEEEE10hipError_tT0_T1_T2_jT3_P12ihipStream_tbPNSt15iterator_traitsISE_E10value_typeEPNSK_ISF_E10value_typeEPSG_NS1_7vsmem_tEENKUlT_SE_SF_SG_E_clIS8_S8_S9_S9_EESD_ST_SE_SF_SG_EUlST_E1_NS1_11comp_targetILNS1_3genE10ELNS1_11target_archE1201ELNS1_3gpuE5ELNS1_3repE0EEENS1_36merge_oddeven_config_static_selectorELNS0_4arch9wavefront6targetE1EEEvSF_
; %bb.0:
	.section	.rodata,"a",@progbits
	.p2align	6, 0x0
	.amdhsa_kernel _ZN7rocprim17ROCPRIM_400000_NS6detail17trampoline_kernelINS0_14default_configENS1_38merge_sort_block_merge_config_selectorIlNS0_10empty_typeEEEZZNS1_27merge_sort_block_merge_implIS3_PlPS5_jNS1_19radix_merge_compareILb1ELb0ElNS0_19identity_decomposerEEEEE10hipError_tT0_T1_T2_jT3_P12ihipStream_tbPNSt15iterator_traitsISE_E10value_typeEPNSK_ISF_E10value_typeEPSG_NS1_7vsmem_tEENKUlT_SE_SF_SG_E_clIS8_S8_S9_S9_EESD_ST_SE_SF_SG_EUlST_E1_NS1_11comp_targetILNS1_3genE10ELNS1_11target_archE1201ELNS1_3gpuE5ELNS1_3repE0EEENS1_36merge_oddeven_config_static_selectorELNS0_4arch9wavefront6targetE1EEEvSF_
		.amdhsa_group_segment_fixed_size 0
		.amdhsa_private_segment_fixed_size 0
		.amdhsa_kernarg_size 48
		.amdhsa_user_sgpr_count 6
		.amdhsa_user_sgpr_private_segment_buffer 1
		.amdhsa_user_sgpr_dispatch_ptr 0
		.amdhsa_user_sgpr_queue_ptr 0
		.amdhsa_user_sgpr_kernarg_segment_ptr 1
		.amdhsa_user_sgpr_dispatch_id 0
		.amdhsa_user_sgpr_flat_scratch_init 0
		.amdhsa_user_sgpr_kernarg_preload_length 0
		.amdhsa_user_sgpr_kernarg_preload_offset 0
		.amdhsa_user_sgpr_private_segment_size 0
		.amdhsa_uses_dynamic_stack 0
		.amdhsa_system_sgpr_private_segment_wavefront_offset 0
		.amdhsa_system_sgpr_workgroup_id_x 1
		.amdhsa_system_sgpr_workgroup_id_y 0
		.amdhsa_system_sgpr_workgroup_id_z 0
		.amdhsa_system_sgpr_workgroup_info 0
		.amdhsa_system_vgpr_workitem_id 0
		.amdhsa_next_free_vgpr 1
		.amdhsa_next_free_sgpr 0
		.amdhsa_accum_offset 4
		.amdhsa_reserve_vcc 0
		.amdhsa_reserve_flat_scratch 0
		.amdhsa_float_round_mode_32 0
		.amdhsa_float_round_mode_16_64 0
		.amdhsa_float_denorm_mode_32 3
		.amdhsa_float_denorm_mode_16_64 3
		.amdhsa_dx10_clamp 1
		.amdhsa_ieee_mode 1
		.amdhsa_fp16_overflow 0
		.amdhsa_tg_split 0
		.amdhsa_exception_fp_ieee_invalid_op 0
		.amdhsa_exception_fp_denorm_src 0
		.amdhsa_exception_fp_ieee_div_zero 0
		.amdhsa_exception_fp_ieee_overflow 0
		.amdhsa_exception_fp_ieee_underflow 0
		.amdhsa_exception_fp_ieee_inexact 0
		.amdhsa_exception_int_div_zero 0
	.end_amdhsa_kernel
	.section	.text._ZN7rocprim17ROCPRIM_400000_NS6detail17trampoline_kernelINS0_14default_configENS1_38merge_sort_block_merge_config_selectorIlNS0_10empty_typeEEEZZNS1_27merge_sort_block_merge_implIS3_PlPS5_jNS1_19radix_merge_compareILb1ELb0ElNS0_19identity_decomposerEEEEE10hipError_tT0_T1_T2_jT3_P12ihipStream_tbPNSt15iterator_traitsISE_E10value_typeEPNSK_ISF_E10value_typeEPSG_NS1_7vsmem_tEENKUlT_SE_SF_SG_E_clIS8_S8_S9_S9_EESD_ST_SE_SF_SG_EUlST_E1_NS1_11comp_targetILNS1_3genE10ELNS1_11target_archE1201ELNS1_3gpuE5ELNS1_3repE0EEENS1_36merge_oddeven_config_static_selectorELNS0_4arch9wavefront6targetE1EEEvSF_,"axG",@progbits,_ZN7rocprim17ROCPRIM_400000_NS6detail17trampoline_kernelINS0_14default_configENS1_38merge_sort_block_merge_config_selectorIlNS0_10empty_typeEEEZZNS1_27merge_sort_block_merge_implIS3_PlPS5_jNS1_19radix_merge_compareILb1ELb0ElNS0_19identity_decomposerEEEEE10hipError_tT0_T1_T2_jT3_P12ihipStream_tbPNSt15iterator_traitsISE_E10value_typeEPNSK_ISF_E10value_typeEPSG_NS1_7vsmem_tEENKUlT_SE_SF_SG_E_clIS8_S8_S9_S9_EESD_ST_SE_SF_SG_EUlST_E1_NS1_11comp_targetILNS1_3genE10ELNS1_11target_archE1201ELNS1_3gpuE5ELNS1_3repE0EEENS1_36merge_oddeven_config_static_selectorELNS0_4arch9wavefront6targetE1EEEvSF_,comdat
.Lfunc_end2149:
	.size	_ZN7rocprim17ROCPRIM_400000_NS6detail17trampoline_kernelINS0_14default_configENS1_38merge_sort_block_merge_config_selectorIlNS0_10empty_typeEEEZZNS1_27merge_sort_block_merge_implIS3_PlPS5_jNS1_19radix_merge_compareILb1ELb0ElNS0_19identity_decomposerEEEEE10hipError_tT0_T1_T2_jT3_P12ihipStream_tbPNSt15iterator_traitsISE_E10value_typeEPNSK_ISF_E10value_typeEPSG_NS1_7vsmem_tEENKUlT_SE_SF_SG_E_clIS8_S8_S9_S9_EESD_ST_SE_SF_SG_EUlST_E1_NS1_11comp_targetILNS1_3genE10ELNS1_11target_archE1201ELNS1_3gpuE5ELNS1_3repE0EEENS1_36merge_oddeven_config_static_selectorELNS0_4arch9wavefront6targetE1EEEvSF_, .Lfunc_end2149-_ZN7rocprim17ROCPRIM_400000_NS6detail17trampoline_kernelINS0_14default_configENS1_38merge_sort_block_merge_config_selectorIlNS0_10empty_typeEEEZZNS1_27merge_sort_block_merge_implIS3_PlPS5_jNS1_19radix_merge_compareILb1ELb0ElNS0_19identity_decomposerEEEEE10hipError_tT0_T1_T2_jT3_P12ihipStream_tbPNSt15iterator_traitsISE_E10value_typeEPNSK_ISF_E10value_typeEPSG_NS1_7vsmem_tEENKUlT_SE_SF_SG_E_clIS8_S8_S9_S9_EESD_ST_SE_SF_SG_EUlST_E1_NS1_11comp_targetILNS1_3genE10ELNS1_11target_archE1201ELNS1_3gpuE5ELNS1_3repE0EEENS1_36merge_oddeven_config_static_selectorELNS0_4arch9wavefront6targetE1EEEvSF_
                                        ; -- End function
	.section	.AMDGPU.csdata,"",@progbits
; Kernel info:
; codeLenInByte = 0
; NumSgprs: 4
; NumVgprs: 0
; NumAgprs: 0
; TotalNumVgprs: 0
; ScratchSize: 0
; MemoryBound: 0
; FloatMode: 240
; IeeeMode: 1
; LDSByteSize: 0 bytes/workgroup (compile time only)
; SGPRBlocks: 0
; VGPRBlocks: 0
; NumSGPRsForWavesPerEU: 4
; NumVGPRsForWavesPerEU: 1
; AccumOffset: 4
; Occupancy: 8
; WaveLimiterHint : 0
; COMPUTE_PGM_RSRC2:SCRATCH_EN: 0
; COMPUTE_PGM_RSRC2:USER_SGPR: 6
; COMPUTE_PGM_RSRC2:TRAP_HANDLER: 0
; COMPUTE_PGM_RSRC2:TGID_X_EN: 1
; COMPUTE_PGM_RSRC2:TGID_Y_EN: 0
; COMPUTE_PGM_RSRC2:TGID_Z_EN: 0
; COMPUTE_PGM_RSRC2:TIDIG_COMP_CNT: 0
; COMPUTE_PGM_RSRC3_GFX90A:ACCUM_OFFSET: 0
; COMPUTE_PGM_RSRC3_GFX90A:TG_SPLIT: 0
	.section	.text._ZN7rocprim17ROCPRIM_400000_NS6detail17trampoline_kernelINS0_14default_configENS1_38merge_sort_block_merge_config_selectorIlNS0_10empty_typeEEEZZNS1_27merge_sort_block_merge_implIS3_PlPS5_jNS1_19radix_merge_compareILb1ELb0ElNS0_19identity_decomposerEEEEE10hipError_tT0_T1_T2_jT3_P12ihipStream_tbPNSt15iterator_traitsISE_E10value_typeEPNSK_ISF_E10value_typeEPSG_NS1_7vsmem_tEENKUlT_SE_SF_SG_E_clIS8_S8_S9_S9_EESD_ST_SE_SF_SG_EUlST_E1_NS1_11comp_targetILNS1_3genE5ELNS1_11target_archE942ELNS1_3gpuE9ELNS1_3repE0EEENS1_36merge_oddeven_config_static_selectorELNS0_4arch9wavefront6targetE1EEEvSF_,"axG",@progbits,_ZN7rocprim17ROCPRIM_400000_NS6detail17trampoline_kernelINS0_14default_configENS1_38merge_sort_block_merge_config_selectorIlNS0_10empty_typeEEEZZNS1_27merge_sort_block_merge_implIS3_PlPS5_jNS1_19radix_merge_compareILb1ELb0ElNS0_19identity_decomposerEEEEE10hipError_tT0_T1_T2_jT3_P12ihipStream_tbPNSt15iterator_traitsISE_E10value_typeEPNSK_ISF_E10value_typeEPSG_NS1_7vsmem_tEENKUlT_SE_SF_SG_E_clIS8_S8_S9_S9_EESD_ST_SE_SF_SG_EUlST_E1_NS1_11comp_targetILNS1_3genE5ELNS1_11target_archE942ELNS1_3gpuE9ELNS1_3repE0EEENS1_36merge_oddeven_config_static_selectorELNS0_4arch9wavefront6targetE1EEEvSF_,comdat
	.protected	_ZN7rocprim17ROCPRIM_400000_NS6detail17trampoline_kernelINS0_14default_configENS1_38merge_sort_block_merge_config_selectorIlNS0_10empty_typeEEEZZNS1_27merge_sort_block_merge_implIS3_PlPS5_jNS1_19radix_merge_compareILb1ELb0ElNS0_19identity_decomposerEEEEE10hipError_tT0_T1_T2_jT3_P12ihipStream_tbPNSt15iterator_traitsISE_E10value_typeEPNSK_ISF_E10value_typeEPSG_NS1_7vsmem_tEENKUlT_SE_SF_SG_E_clIS8_S8_S9_S9_EESD_ST_SE_SF_SG_EUlST_E1_NS1_11comp_targetILNS1_3genE5ELNS1_11target_archE942ELNS1_3gpuE9ELNS1_3repE0EEENS1_36merge_oddeven_config_static_selectorELNS0_4arch9wavefront6targetE1EEEvSF_ ; -- Begin function _ZN7rocprim17ROCPRIM_400000_NS6detail17trampoline_kernelINS0_14default_configENS1_38merge_sort_block_merge_config_selectorIlNS0_10empty_typeEEEZZNS1_27merge_sort_block_merge_implIS3_PlPS5_jNS1_19radix_merge_compareILb1ELb0ElNS0_19identity_decomposerEEEEE10hipError_tT0_T1_T2_jT3_P12ihipStream_tbPNSt15iterator_traitsISE_E10value_typeEPNSK_ISF_E10value_typeEPSG_NS1_7vsmem_tEENKUlT_SE_SF_SG_E_clIS8_S8_S9_S9_EESD_ST_SE_SF_SG_EUlST_E1_NS1_11comp_targetILNS1_3genE5ELNS1_11target_archE942ELNS1_3gpuE9ELNS1_3repE0EEENS1_36merge_oddeven_config_static_selectorELNS0_4arch9wavefront6targetE1EEEvSF_
	.globl	_ZN7rocprim17ROCPRIM_400000_NS6detail17trampoline_kernelINS0_14default_configENS1_38merge_sort_block_merge_config_selectorIlNS0_10empty_typeEEEZZNS1_27merge_sort_block_merge_implIS3_PlPS5_jNS1_19radix_merge_compareILb1ELb0ElNS0_19identity_decomposerEEEEE10hipError_tT0_T1_T2_jT3_P12ihipStream_tbPNSt15iterator_traitsISE_E10value_typeEPNSK_ISF_E10value_typeEPSG_NS1_7vsmem_tEENKUlT_SE_SF_SG_E_clIS8_S8_S9_S9_EESD_ST_SE_SF_SG_EUlST_E1_NS1_11comp_targetILNS1_3genE5ELNS1_11target_archE942ELNS1_3gpuE9ELNS1_3repE0EEENS1_36merge_oddeven_config_static_selectorELNS0_4arch9wavefront6targetE1EEEvSF_
	.p2align	8
	.type	_ZN7rocprim17ROCPRIM_400000_NS6detail17trampoline_kernelINS0_14default_configENS1_38merge_sort_block_merge_config_selectorIlNS0_10empty_typeEEEZZNS1_27merge_sort_block_merge_implIS3_PlPS5_jNS1_19radix_merge_compareILb1ELb0ElNS0_19identity_decomposerEEEEE10hipError_tT0_T1_T2_jT3_P12ihipStream_tbPNSt15iterator_traitsISE_E10value_typeEPNSK_ISF_E10value_typeEPSG_NS1_7vsmem_tEENKUlT_SE_SF_SG_E_clIS8_S8_S9_S9_EESD_ST_SE_SF_SG_EUlST_E1_NS1_11comp_targetILNS1_3genE5ELNS1_11target_archE942ELNS1_3gpuE9ELNS1_3repE0EEENS1_36merge_oddeven_config_static_selectorELNS0_4arch9wavefront6targetE1EEEvSF_,@function
_ZN7rocprim17ROCPRIM_400000_NS6detail17trampoline_kernelINS0_14default_configENS1_38merge_sort_block_merge_config_selectorIlNS0_10empty_typeEEEZZNS1_27merge_sort_block_merge_implIS3_PlPS5_jNS1_19radix_merge_compareILb1ELb0ElNS0_19identity_decomposerEEEEE10hipError_tT0_T1_T2_jT3_P12ihipStream_tbPNSt15iterator_traitsISE_E10value_typeEPNSK_ISF_E10value_typeEPSG_NS1_7vsmem_tEENKUlT_SE_SF_SG_E_clIS8_S8_S9_S9_EESD_ST_SE_SF_SG_EUlST_E1_NS1_11comp_targetILNS1_3genE5ELNS1_11target_archE942ELNS1_3gpuE9ELNS1_3repE0EEENS1_36merge_oddeven_config_static_selectorELNS0_4arch9wavefront6targetE1EEEvSF_: ; @_ZN7rocprim17ROCPRIM_400000_NS6detail17trampoline_kernelINS0_14default_configENS1_38merge_sort_block_merge_config_selectorIlNS0_10empty_typeEEEZZNS1_27merge_sort_block_merge_implIS3_PlPS5_jNS1_19radix_merge_compareILb1ELb0ElNS0_19identity_decomposerEEEEE10hipError_tT0_T1_T2_jT3_P12ihipStream_tbPNSt15iterator_traitsISE_E10value_typeEPNSK_ISF_E10value_typeEPSG_NS1_7vsmem_tEENKUlT_SE_SF_SG_E_clIS8_S8_S9_S9_EESD_ST_SE_SF_SG_EUlST_E1_NS1_11comp_targetILNS1_3genE5ELNS1_11target_archE942ELNS1_3gpuE9ELNS1_3repE0EEENS1_36merge_oddeven_config_static_selectorELNS0_4arch9wavefront6targetE1EEEvSF_
; %bb.0:
	.section	.rodata,"a",@progbits
	.p2align	6, 0x0
	.amdhsa_kernel _ZN7rocprim17ROCPRIM_400000_NS6detail17trampoline_kernelINS0_14default_configENS1_38merge_sort_block_merge_config_selectorIlNS0_10empty_typeEEEZZNS1_27merge_sort_block_merge_implIS3_PlPS5_jNS1_19radix_merge_compareILb1ELb0ElNS0_19identity_decomposerEEEEE10hipError_tT0_T1_T2_jT3_P12ihipStream_tbPNSt15iterator_traitsISE_E10value_typeEPNSK_ISF_E10value_typeEPSG_NS1_7vsmem_tEENKUlT_SE_SF_SG_E_clIS8_S8_S9_S9_EESD_ST_SE_SF_SG_EUlST_E1_NS1_11comp_targetILNS1_3genE5ELNS1_11target_archE942ELNS1_3gpuE9ELNS1_3repE0EEENS1_36merge_oddeven_config_static_selectorELNS0_4arch9wavefront6targetE1EEEvSF_
		.amdhsa_group_segment_fixed_size 0
		.amdhsa_private_segment_fixed_size 0
		.amdhsa_kernarg_size 48
		.amdhsa_user_sgpr_count 6
		.amdhsa_user_sgpr_private_segment_buffer 1
		.amdhsa_user_sgpr_dispatch_ptr 0
		.amdhsa_user_sgpr_queue_ptr 0
		.amdhsa_user_sgpr_kernarg_segment_ptr 1
		.amdhsa_user_sgpr_dispatch_id 0
		.amdhsa_user_sgpr_flat_scratch_init 0
		.amdhsa_user_sgpr_kernarg_preload_length 0
		.amdhsa_user_sgpr_kernarg_preload_offset 0
		.amdhsa_user_sgpr_private_segment_size 0
		.amdhsa_uses_dynamic_stack 0
		.amdhsa_system_sgpr_private_segment_wavefront_offset 0
		.amdhsa_system_sgpr_workgroup_id_x 1
		.amdhsa_system_sgpr_workgroup_id_y 0
		.amdhsa_system_sgpr_workgroup_id_z 0
		.amdhsa_system_sgpr_workgroup_info 0
		.amdhsa_system_vgpr_workitem_id 0
		.amdhsa_next_free_vgpr 1
		.amdhsa_next_free_sgpr 0
		.amdhsa_accum_offset 4
		.amdhsa_reserve_vcc 0
		.amdhsa_reserve_flat_scratch 0
		.amdhsa_float_round_mode_32 0
		.amdhsa_float_round_mode_16_64 0
		.amdhsa_float_denorm_mode_32 3
		.amdhsa_float_denorm_mode_16_64 3
		.amdhsa_dx10_clamp 1
		.amdhsa_ieee_mode 1
		.amdhsa_fp16_overflow 0
		.amdhsa_tg_split 0
		.amdhsa_exception_fp_ieee_invalid_op 0
		.amdhsa_exception_fp_denorm_src 0
		.amdhsa_exception_fp_ieee_div_zero 0
		.amdhsa_exception_fp_ieee_overflow 0
		.amdhsa_exception_fp_ieee_underflow 0
		.amdhsa_exception_fp_ieee_inexact 0
		.amdhsa_exception_int_div_zero 0
	.end_amdhsa_kernel
	.section	.text._ZN7rocprim17ROCPRIM_400000_NS6detail17trampoline_kernelINS0_14default_configENS1_38merge_sort_block_merge_config_selectorIlNS0_10empty_typeEEEZZNS1_27merge_sort_block_merge_implIS3_PlPS5_jNS1_19radix_merge_compareILb1ELb0ElNS0_19identity_decomposerEEEEE10hipError_tT0_T1_T2_jT3_P12ihipStream_tbPNSt15iterator_traitsISE_E10value_typeEPNSK_ISF_E10value_typeEPSG_NS1_7vsmem_tEENKUlT_SE_SF_SG_E_clIS8_S8_S9_S9_EESD_ST_SE_SF_SG_EUlST_E1_NS1_11comp_targetILNS1_3genE5ELNS1_11target_archE942ELNS1_3gpuE9ELNS1_3repE0EEENS1_36merge_oddeven_config_static_selectorELNS0_4arch9wavefront6targetE1EEEvSF_,"axG",@progbits,_ZN7rocprim17ROCPRIM_400000_NS6detail17trampoline_kernelINS0_14default_configENS1_38merge_sort_block_merge_config_selectorIlNS0_10empty_typeEEEZZNS1_27merge_sort_block_merge_implIS3_PlPS5_jNS1_19radix_merge_compareILb1ELb0ElNS0_19identity_decomposerEEEEE10hipError_tT0_T1_T2_jT3_P12ihipStream_tbPNSt15iterator_traitsISE_E10value_typeEPNSK_ISF_E10value_typeEPSG_NS1_7vsmem_tEENKUlT_SE_SF_SG_E_clIS8_S8_S9_S9_EESD_ST_SE_SF_SG_EUlST_E1_NS1_11comp_targetILNS1_3genE5ELNS1_11target_archE942ELNS1_3gpuE9ELNS1_3repE0EEENS1_36merge_oddeven_config_static_selectorELNS0_4arch9wavefront6targetE1EEEvSF_,comdat
.Lfunc_end2150:
	.size	_ZN7rocprim17ROCPRIM_400000_NS6detail17trampoline_kernelINS0_14default_configENS1_38merge_sort_block_merge_config_selectorIlNS0_10empty_typeEEEZZNS1_27merge_sort_block_merge_implIS3_PlPS5_jNS1_19radix_merge_compareILb1ELb0ElNS0_19identity_decomposerEEEEE10hipError_tT0_T1_T2_jT3_P12ihipStream_tbPNSt15iterator_traitsISE_E10value_typeEPNSK_ISF_E10value_typeEPSG_NS1_7vsmem_tEENKUlT_SE_SF_SG_E_clIS8_S8_S9_S9_EESD_ST_SE_SF_SG_EUlST_E1_NS1_11comp_targetILNS1_3genE5ELNS1_11target_archE942ELNS1_3gpuE9ELNS1_3repE0EEENS1_36merge_oddeven_config_static_selectorELNS0_4arch9wavefront6targetE1EEEvSF_, .Lfunc_end2150-_ZN7rocprim17ROCPRIM_400000_NS6detail17trampoline_kernelINS0_14default_configENS1_38merge_sort_block_merge_config_selectorIlNS0_10empty_typeEEEZZNS1_27merge_sort_block_merge_implIS3_PlPS5_jNS1_19radix_merge_compareILb1ELb0ElNS0_19identity_decomposerEEEEE10hipError_tT0_T1_T2_jT3_P12ihipStream_tbPNSt15iterator_traitsISE_E10value_typeEPNSK_ISF_E10value_typeEPSG_NS1_7vsmem_tEENKUlT_SE_SF_SG_E_clIS8_S8_S9_S9_EESD_ST_SE_SF_SG_EUlST_E1_NS1_11comp_targetILNS1_3genE5ELNS1_11target_archE942ELNS1_3gpuE9ELNS1_3repE0EEENS1_36merge_oddeven_config_static_selectorELNS0_4arch9wavefront6targetE1EEEvSF_
                                        ; -- End function
	.section	.AMDGPU.csdata,"",@progbits
; Kernel info:
; codeLenInByte = 0
; NumSgprs: 4
; NumVgprs: 0
; NumAgprs: 0
; TotalNumVgprs: 0
; ScratchSize: 0
; MemoryBound: 0
; FloatMode: 240
; IeeeMode: 1
; LDSByteSize: 0 bytes/workgroup (compile time only)
; SGPRBlocks: 0
; VGPRBlocks: 0
; NumSGPRsForWavesPerEU: 4
; NumVGPRsForWavesPerEU: 1
; AccumOffset: 4
; Occupancy: 8
; WaveLimiterHint : 0
; COMPUTE_PGM_RSRC2:SCRATCH_EN: 0
; COMPUTE_PGM_RSRC2:USER_SGPR: 6
; COMPUTE_PGM_RSRC2:TRAP_HANDLER: 0
; COMPUTE_PGM_RSRC2:TGID_X_EN: 1
; COMPUTE_PGM_RSRC2:TGID_Y_EN: 0
; COMPUTE_PGM_RSRC2:TGID_Z_EN: 0
; COMPUTE_PGM_RSRC2:TIDIG_COMP_CNT: 0
; COMPUTE_PGM_RSRC3_GFX90A:ACCUM_OFFSET: 0
; COMPUTE_PGM_RSRC3_GFX90A:TG_SPLIT: 0
	.section	.text._ZN7rocprim17ROCPRIM_400000_NS6detail17trampoline_kernelINS0_14default_configENS1_38merge_sort_block_merge_config_selectorIlNS0_10empty_typeEEEZZNS1_27merge_sort_block_merge_implIS3_PlPS5_jNS1_19radix_merge_compareILb1ELb0ElNS0_19identity_decomposerEEEEE10hipError_tT0_T1_T2_jT3_P12ihipStream_tbPNSt15iterator_traitsISE_E10value_typeEPNSK_ISF_E10value_typeEPSG_NS1_7vsmem_tEENKUlT_SE_SF_SG_E_clIS8_S8_S9_S9_EESD_ST_SE_SF_SG_EUlST_E1_NS1_11comp_targetILNS1_3genE4ELNS1_11target_archE910ELNS1_3gpuE8ELNS1_3repE0EEENS1_36merge_oddeven_config_static_selectorELNS0_4arch9wavefront6targetE1EEEvSF_,"axG",@progbits,_ZN7rocprim17ROCPRIM_400000_NS6detail17trampoline_kernelINS0_14default_configENS1_38merge_sort_block_merge_config_selectorIlNS0_10empty_typeEEEZZNS1_27merge_sort_block_merge_implIS3_PlPS5_jNS1_19radix_merge_compareILb1ELb0ElNS0_19identity_decomposerEEEEE10hipError_tT0_T1_T2_jT3_P12ihipStream_tbPNSt15iterator_traitsISE_E10value_typeEPNSK_ISF_E10value_typeEPSG_NS1_7vsmem_tEENKUlT_SE_SF_SG_E_clIS8_S8_S9_S9_EESD_ST_SE_SF_SG_EUlST_E1_NS1_11comp_targetILNS1_3genE4ELNS1_11target_archE910ELNS1_3gpuE8ELNS1_3repE0EEENS1_36merge_oddeven_config_static_selectorELNS0_4arch9wavefront6targetE1EEEvSF_,comdat
	.protected	_ZN7rocprim17ROCPRIM_400000_NS6detail17trampoline_kernelINS0_14default_configENS1_38merge_sort_block_merge_config_selectorIlNS0_10empty_typeEEEZZNS1_27merge_sort_block_merge_implIS3_PlPS5_jNS1_19radix_merge_compareILb1ELb0ElNS0_19identity_decomposerEEEEE10hipError_tT0_T1_T2_jT3_P12ihipStream_tbPNSt15iterator_traitsISE_E10value_typeEPNSK_ISF_E10value_typeEPSG_NS1_7vsmem_tEENKUlT_SE_SF_SG_E_clIS8_S8_S9_S9_EESD_ST_SE_SF_SG_EUlST_E1_NS1_11comp_targetILNS1_3genE4ELNS1_11target_archE910ELNS1_3gpuE8ELNS1_3repE0EEENS1_36merge_oddeven_config_static_selectorELNS0_4arch9wavefront6targetE1EEEvSF_ ; -- Begin function _ZN7rocprim17ROCPRIM_400000_NS6detail17trampoline_kernelINS0_14default_configENS1_38merge_sort_block_merge_config_selectorIlNS0_10empty_typeEEEZZNS1_27merge_sort_block_merge_implIS3_PlPS5_jNS1_19radix_merge_compareILb1ELb0ElNS0_19identity_decomposerEEEEE10hipError_tT0_T1_T2_jT3_P12ihipStream_tbPNSt15iterator_traitsISE_E10value_typeEPNSK_ISF_E10value_typeEPSG_NS1_7vsmem_tEENKUlT_SE_SF_SG_E_clIS8_S8_S9_S9_EESD_ST_SE_SF_SG_EUlST_E1_NS1_11comp_targetILNS1_3genE4ELNS1_11target_archE910ELNS1_3gpuE8ELNS1_3repE0EEENS1_36merge_oddeven_config_static_selectorELNS0_4arch9wavefront6targetE1EEEvSF_
	.globl	_ZN7rocprim17ROCPRIM_400000_NS6detail17trampoline_kernelINS0_14default_configENS1_38merge_sort_block_merge_config_selectorIlNS0_10empty_typeEEEZZNS1_27merge_sort_block_merge_implIS3_PlPS5_jNS1_19radix_merge_compareILb1ELb0ElNS0_19identity_decomposerEEEEE10hipError_tT0_T1_T2_jT3_P12ihipStream_tbPNSt15iterator_traitsISE_E10value_typeEPNSK_ISF_E10value_typeEPSG_NS1_7vsmem_tEENKUlT_SE_SF_SG_E_clIS8_S8_S9_S9_EESD_ST_SE_SF_SG_EUlST_E1_NS1_11comp_targetILNS1_3genE4ELNS1_11target_archE910ELNS1_3gpuE8ELNS1_3repE0EEENS1_36merge_oddeven_config_static_selectorELNS0_4arch9wavefront6targetE1EEEvSF_
	.p2align	8
	.type	_ZN7rocprim17ROCPRIM_400000_NS6detail17trampoline_kernelINS0_14default_configENS1_38merge_sort_block_merge_config_selectorIlNS0_10empty_typeEEEZZNS1_27merge_sort_block_merge_implIS3_PlPS5_jNS1_19radix_merge_compareILb1ELb0ElNS0_19identity_decomposerEEEEE10hipError_tT0_T1_T2_jT3_P12ihipStream_tbPNSt15iterator_traitsISE_E10value_typeEPNSK_ISF_E10value_typeEPSG_NS1_7vsmem_tEENKUlT_SE_SF_SG_E_clIS8_S8_S9_S9_EESD_ST_SE_SF_SG_EUlST_E1_NS1_11comp_targetILNS1_3genE4ELNS1_11target_archE910ELNS1_3gpuE8ELNS1_3repE0EEENS1_36merge_oddeven_config_static_selectorELNS0_4arch9wavefront6targetE1EEEvSF_,@function
_ZN7rocprim17ROCPRIM_400000_NS6detail17trampoline_kernelINS0_14default_configENS1_38merge_sort_block_merge_config_selectorIlNS0_10empty_typeEEEZZNS1_27merge_sort_block_merge_implIS3_PlPS5_jNS1_19radix_merge_compareILb1ELb0ElNS0_19identity_decomposerEEEEE10hipError_tT0_T1_T2_jT3_P12ihipStream_tbPNSt15iterator_traitsISE_E10value_typeEPNSK_ISF_E10value_typeEPSG_NS1_7vsmem_tEENKUlT_SE_SF_SG_E_clIS8_S8_S9_S9_EESD_ST_SE_SF_SG_EUlST_E1_NS1_11comp_targetILNS1_3genE4ELNS1_11target_archE910ELNS1_3gpuE8ELNS1_3repE0EEENS1_36merge_oddeven_config_static_selectorELNS0_4arch9wavefront6targetE1EEEvSF_: ; @_ZN7rocprim17ROCPRIM_400000_NS6detail17trampoline_kernelINS0_14default_configENS1_38merge_sort_block_merge_config_selectorIlNS0_10empty_typeEEEZZNS1_27merge_sort_block_merge_implIS3_PlPS5_jNS1_19radix_merge_compareILb1ELb0ElNS0_19identity_decomposerEEEEE10hipError_tT0_T1_T2_jT3_P12ihipStream_tbPNSt15iterator_traitsISE_E10value_typeEPNSK_ISF_E10value_typeEPSG_NS1_7vsmem_tEENKUlT_SE_SF_SG_E_clIS8_S8_S9_S9_EESD_ST_SE_SF_SG_EUlST_E1_NS1_11comp_targetILNS1_3genE4ELNS1_11target_archE910ELNS1_3gpuE8ELNS1_3repE0EEENS1_36merge_oddeven_config_static_selectorELNS0_4arch9wavefront6targetE1EEEvSF_
; %bb.0:
	s_load_dword s18, s[4:5], 0x20
	s_waitcnt lgkmcnt(0)
	s_lshr_b32 s0, s18, 8
	s_cmp_lg_u32 s6, s0
	s_cselect_b64 s[14:15], -1, 0
	s_cmp_eq_u32 s6, s0
	s_cselect_b64 s[12:13], -1, 0
	s_lshl_b32 s16, s6, 8
	s_sub_i32 s0, s18, s16
	v_cmp_gt_u32_e64 s[2:3], s0, v0
	s_or_b64 s[0:1], s[14:15], s[2:3]
	s_and_saveexec_b64 s[8:9], s[0:1]
	s_cbranch_execz .LBB2151_20
; %bb.1:
	s_load_dwordx4 s[8:11], s[4:5], 0x0
	s_load_dword s19, s[4:5], 0x24
	s_mov_b32 s17, 0
	s_lshl_b64 s[0:1], s[16:17], 3
	v_lshlrev_b32_e32 v1, 3, v0
	s_waitcnt lgkmcnt(0)
	s_add_u32 s0, s8, s0
	s_addc_u32 s1, s9, s1
	global_load_dwordx2 v[2:3], v1, s[0:1]
	s_lshr_b32 s0, s19, 8
	s_sub_i32 s1, 0, s0
	s_and_b32 s1, s6, s1
	s_and_b32 s0, s1, s0
	s_lshl_b32 s20, s1, 8
	s_sub_i32 s6, 0, s19
	s_cmp_eq_u32 s0, 0
	s_cselect_b64 s[0:1], -1, 0
	s_and_b64 s[4:5], s[0:1], exec
	s_cselect_b32 s17, s19, s6
	s_add_i32 s17, s17, s20
	s_cmp_lt_u32 s17, s18
	v_add_u32_e32 v0, s16, v0
	s_cbranch_scc1 .LBB2151_3
; %bb.2:
	v_cmp_gt_u32_e32 vcc, s18, v0
	s_or_b64 s[4:5], vcc, s[14:15]
	s_and_b64 s[4:5], s[4:5], exec
	s_cbranch_execz .LBB2151_4
	s_branch .LBB2151_18
.LBB2151_3:
	s_mov_b64 s[4:5], 0
.LBB2151_4:
	s_min_u32 s14, s17, s18
	s_add_i32 s6, s14, s19
	s_min_u32 s15, s6, s18
	s_min_u32 s6, s20, s14
	s_add_i32 s20, s20, s14
	v_subrev_u32_e32 v0, s20, v0
	v_add_u32_e32 v4, s6, v0
	s_and_b64 vcc, exec, s[12:13]
	s_cbranch_vccz .LBB2151_12
; %bb.5:
                                        ; implicit-def: $vgpr0
	s_and_saveexec_b64 s[6:7], s[2:3]
	s_cbranch_execz .LBB2151_11
; %bb.6:
	s_cmp_ge_u32 s17, s15
	v_mov_b32_e32 v5, s14
	s_cbranch_scc1 .LBB2151_10
; %bb.7:
	s_mov_b64 s[2:3], 0
	v_mov_b32_e32 v6, s15
	v_mov_b32_e32 v5, s14
	;; [unrolled: 1-line block ×4, first 2 shown]
.LBB2151_8:                             ; =>This Inner Loop Header: Depth=1
	v_add_u32_e32 v0, v5, v6
	v_lshrrev_b32_e32 v0, 1, v0
	v_lshlrev_b64 v[8:9], 3, v[0:1]
	v_add_co_u32_e32 v8, vcc, s8, v8
	v_addc_co_u32_e32 v9, vcc, v7, v9, vcc
	global_load_dwordx2 v[8:9], v[8:9], off
	v_add_u32_e32 v10, 1, v0
	s_waitcnt vmcnt(0)
	v_cmp_gt_i64_e32 vcc, v[8:9], v[2:3]
	v_cndmask_b32_e64 v11, 0, 1, vcc
	v_cmp_le_i64_e32 vcc, v[2:3], v[8:9]
	v_cndmask_b32_e64 v8, 0, 1, vcc
	v_cndmask_b32_e64 v8, v8, v11, s[0:1]
	v_and_b32_e32 v8, 1, v8
	v_cmp_eq_u32_e32 vcc, 1, v8
	v_cndmask_b32_e32 v6, v0, v6, vcc
	v_cndmask_b32_e32 v5, v5, v10, vcc
	v_cmp_ge_u32_e32 vcc, v5, v6
	s_or_b64 s[2:3], vcc, s[2:3]
	s_andn2_b64 exec, exec, s[2:3]
	s_cbranch_execnz .LBB2151_8
; %bb.9:
	s_or_b64 exec, exec, s[2:3]
.LBB2151_10:
	v_add_u32_e32 v0, v5, v4
	s_or_b64 s[4:5], s[4:5], exec
.LBB2151_11:
	s_or_b64 exec, exec, s[6:7]
	s_branch .LBB2151_18
.LBB2151_12:
                                        ; implicit-def: $vgpr0
	s_cbranch_execz .LBB2151_18
; %bb.13:
	s_cmp_ge_u32 s17, s15
	v_mov_b32_e32 v5, s14
	s_cbranch_scc1 .LBB2151_17
; %bb.14:
	s_mov_b64 s[2:3], 0
	v_mov_b32_e32 v6, s15
	v_mov_b32_e32 v5, s14
	;; [unrolled: 1-line block ×4, first 2 shown]
.LBB2151_15:                            ; =>This Inner Loop Header: Depth=1
	v_add_u32_e32 v0, v5, v6
	v_lshrrev_b32_e32 v0, 1, v0
	v_lshlrev_b64 v[8:9], 3, v[0:1]
	v_add_co_u32_e32 v8, vcc, s8, v8
	v_addc_co_u32_e32 v9, vcc, v7, v9, vcc
	global_load_dwordx2 v[8:9], v[8:9], off
	v_add_u32_e32 v10, 1, v0
	s_waitcnt vmcnt(0)
	v_cmp_gt_i64_e32 vcc, v[8:9], v[2:3]
	v_cndmask_b32_e64 v11, 0, 1, vcc
	v_cmp_le_i64_e32 vcc, v[2:3], v[8:9]
	v_cndmask_b32_e64 v8, 0, 1, vcc
	v_cndmask_b32_e64 v8, v8, v11, s[0:1]
	v_and_b32_e32 v8, 1, v8
	v_cmp_eq_u32_e32 vcc, 1, v8
	v_cndmask_b32_e32 v6, v0, v6, vcc
	v_cndmask_b32_e32 v5, v5, v10, vcc
	v_cmp_ge_u32_e32 vcc, v5, v6
	s_or_b64 s[2:3], vcc, s[2:3]
	s_andn2_b64 exec, exec, s[2:3]
	s_cbranch_execnz .LBB2151_15
; %bb.16:
	s_or_b64 exec, exec, s[2:3]
.LBB2151_17:
	v_add_u32_e32 v0, v5, v4
	s_mov_b64 s[4:5], -1
.LBB2151_18:
	s_and_b64 exec, exec, s[4:5]
	s_cbranch_execz .LBB2151_20
; %bb.19:
	v_mov_b32_e32 v1, 0
	v_lshlrev_b64 v[0:1], 3, v[0:1]
	v_mov_b32_e32 v4, s11
	v_add_co_u32_e32 v0, vcc, s10, v0
	v_addc_co_u32_e32 v1, vcc, v4, v1, vcc
	s_waitcnt vmcnt(0)
	global_store_dwordx2 v[0:1], v[2:3], off
.LBB2151_20:
	s_endpgm
	.section	.rodata,"a",@progbits
	.p2align	6, 0x0
	.amdhsa_kernel _ZN7rocprim17ROCPRIM_400000_NS6detail17trampoline_kernelINS0_14default_configENS1_38merge_sort_block_merge_config_selectorIlNS0_10empty_typeEEEZZNS1_27merge_sort_block_merge_implIS3_PlPS5_jNS1_19radix_merge_compareILb1ELb0ElNS0_19identity_decomposerEEEEE10hipError_tT0_T1_T2_jT3_P12ihipStream_tbPNSt15iterator_traitsISE_E10value_typeEPNSK_ISF_E10value_typeEPSG_NS1_7vsmem_tEENKUlT_SE_SF_SG_E_clIS8_S8_S9_S9_EESD_ST_SE_SF_SG_EUlST_E1_NS1_11comp_targetILNS1_3genE4ELNS1_11target_archE910ELNS1_3gpuE8ELNS1_3repE0EEENS1_36merge_oddeven_config_static_selectorELNS0_4arch9wavefront6targetE1EEEvSF_
		.amdhsa_group_segment_fixed_size 0
		.amdhsa_private_segment_fixed_size 0
		.amdhsa_kernarg_size 48
		.amdhsa_user_sgpr_count 6
		.amdhsa_user_sgpr_private_segment_buffer 1
		.amdhsa_user_sgpr_dispatch_ptr 0
		.amdhsa_user_sgpr_queue_ptr 0
		.amdhsa_user_sgpr_kernarg_segment_ptr 1
		.amdhsa_user_sgpr_dispatch_id 0
		.amdhsa_user_sgpr_flat_scratch_init 0
		.amdhsa_user_sgpr_kernarg_preload_length 0
		.amdhsa_user_sgpr_kernarg_preload_offset 0
		.amdhsa_user_sgpr_private_segment_size 0
		.amdhsa_uses_dynamic_stack 0
		.amdhsa_system_sgpr_private_segment_wavefront_offset 0
		.amdhsa_system_sgpr_workgroup_id_x 1
		.amdhsa_system_sgpr_workgroup_id_y 0
		.amdhsa_system_sgpr_workgroup_id_z 0
		.amdhsa_system_sgpr_workgroup_info 0
		.amdhsa_system_vgpr_workitem_id 0
		.amdhsa_next_free_vgpr 12
		.amdhsa_next_free_sgpr 21
		.amdhsa_accum_offset 12
		.amdhsa_reserve_vcc 1
		.amdhsa_reserve_flat_scratch 0
		.amdhsa_float_round_mode_32 0
		.amdhsa_float_round_mode_16_64 0
		.amdhsa_float_denorm_mode_32 3
		.amdhsa_float_denorm_mode_16_64 3
		.amdhsa_dx10_clamp 1
		.amdhsa_ieee_mode 1
		.amdhsa_fp16_overflow 0
		.amdhsa_tg_split 0
		.amdhsa_exception_fp_ieee_invalid_op 0
		.amdhsa_exception_fp_denorm_src 0
		.amdhsa_exception_fp_ieee_div_zero 0
		.amdhsa_exception_fp_ieee_overflow 0
		.amdhsa_exception_fp_ieee_underflow 0
		.amdhsa_exception_fp_ieee_inexact 0
		.amdhsa_exception_int_div_zero 0
	.end_amdhsa_kernel
	.section	.text._ZN7rocprim17ROCPRIM_400000_NS6detail17trampoline_kernelINS0_14default_configENS1_38merge_sort_block_merge_config_selectorIlNS0_10empty_typeEEEZZNS1_27merge_sort_block_merge_implIS3_PlPS5_jNS1_19radix_merge_compareILb1ELb0ElNS0_19identity_decomposerEEEEE10hipError_tT0_T1_T2_jT3_P12ihipStream_tbPNSt15iterator_traitsISE_E10value_typeEPNSK_ISF_E10value_typeEPSG_NS1_7vsmem_tEENKUlT_SE_SF_SG_E_clIS8_S8_S9_S9_EESD_ST_SE_SF_SG_EUlST_E1_NS1_11comp_targetILNS1_3genE4ELNS1_11target_archE910ELNS1_3gpuE8ELNS1_3repE0EEENS1_36merge_oddeven_config_static_selectorELNS0_4arch9wavefront6targetE1EEEvSF_,"axG",@progbits,_ZN7rocprim17ROCPRIM_400000_NS6detail17trampoline_kernelINS0_14default_configENS1_38merge_sort_block_merge_config_selectorIlNS0_10empty_typeEEEZZNS1_27merge_sort_block_merge_implIS3_PlPS5_jNS1_19radix_merge_compareILb1ELb0ElNS0_19identity_decomposerEEEEE10hipError_tT0_T1_T2_jT3_P12ihipStream_tbPNSt15iterator_traitsISE_E10value_typeEPNSK_ISF_E10value_typeEPSG_NS1_7vsmem_tEENKUlT_SE_SF_SG_E_clIS8_S8_S9_S9_EESD_ST_SE_SF_SG_EUlST_E1_NS1_11comp_targetILNS1_3genE4ELNS1_11target_archE910ELNS1_3gpuE8ELNS1_3repE0EEENS1_36merge_oddeven_config_static_selectorELNS0_4arch9wavefront6targetE1EEEvSF_,comdat
.Lfunc_end2151:
	.size	_ZN7rocprim17ROCPRIM_400000_NS6detail17trampoline_kernelINS0_14default_configENS1_38merge_sort_block_merge_config_selectorIlNS0_10empty_typeEEEZZNS1_27merge_sort_block_merge_implIS3_PlPS5_jNS1_19radix_merge_compareILb1ELb0ElNS0_19identity_decomposerEEEEE10hipError_tT0_T1_T2_jT3_P12ihipStream_tbPNSt15iterator_traitsISE_E10value_typeEPNSK_ISF_E10value_typeEPSG_NS1_7vsmem_tEENKUlT_SE_SF_SG_E_clIS8_S8_S9_S9_EESD_ST_SE_SF_SG_EUlST_E1_NS1_11comp_targetILNS1_3genE4ELNS1_11target_archE910ELNS1_3gpuE8ELNS1_3repE0EEENS1_36merge_oddeven_config_static_selectorELNS0_4arch9wavefront6targetE1EEEvSF_, .Lfunc_end2151-_ZN7rocprim17ROCPRIM_400000_NS6detail17trampoline_kernelINS0_14default_configENS1_38merge_sort_block_merge_config_selectorIlNS0_10empty_typeEEEZZNS1_27merge_sort_block_merge_implIS3_PlPS5_jNS1_19radix_merge_compareILb1ELb0ElNS0_19identity_decomposerEEEEE10hipError_tT0_T1_T2_jT3_P12ihipStream_tbPNSt15iterator_traitsISE_E10value_typeEPNSK_ISF_E10value_typeEPSG_NS1_7vsmem_tEENKUlT_SE_SF_SG_E_clIS8_S8_S9_S9_EESD_ST_SE_SF_SG_EUlST_E1_NS1_11comp_targetILNS1_3genE4ELNS1_11target_archE910ELNS1_3gpuE8ELNS1_3repE0EEENS1_36merge_oddeven_config_static_selectorELNS0_4arch9wavefront6targetE1EEEvSF_
                                        ; -- End function
	.section	.AMDGPU.csdata,"",@progbits
; Kernel info:
; codeLenInByte = 588
; NumSgprs: 25
; NumVgprs: 12
; NumAgprs: 0
; TotalNumVgprs: 12
; ScratchSize: 0
; MemoryBound: 0
; FloatMode: 240
; IeeeMode: 1
; LDSByteSize: 0 bytes/workgroup (compile time only)
; SGPRBlocks: 3
; VGPRBlocks: 1
; NumSGPRsForWavesPerEU: 25
; NumVGPRsForWavesPerEU: 12
; AccumOffset: 12
; Occupancy: 8
; WaveLimiterHint : 0
; COMPUTE_PGM_RSRC2:SCRATCH_EN: 0
; COMPUTE_PGM_RSRC2:USER_SGPR: 6
; COMPUTE_PGM_RSRC2:TRAP_HANDLER: 0
; COMPUTE_PGM_RSRC2:TGID_X_EN: 1
; COMPUTE_PGM_RSRC2:TGID_Y_EN: 0
; COMPUTE_PGM_RSRC2:TGID_Z_EN: 0
; COMPUTE_PGM_RSRC2:TIDIG_COMP_CNT: 0
; COMPUTE_PGM_RSRC3_GFX90A:ACCUM_OFFSET: 2
; COMPUTE_PGM_RSRC3_GFX90A:TG_SPLIT: 0
	.section	.text._ZN7rocprim17ROCPRIM_400000_NS6detail17trampoline_kernelINS0_14default_configENS1_38merge_sort_block_merge_config_selectorIlNS0_10empty_typeEEEZZNS1_27merge_sort_block_merge_implIS3_PlPS5_jNS1_19radix_merge_compareILb1ELb0ElNS0_19identity_decomposerEEEEE10hipError_tT0_T1_T2_jT3_P12ihipStream_tbPNSt15iterator_traitsISE_E10value_typeEPNSK_ISF_E10value_typeEPSG_NS1_7vsmem_tEENKUlT_SE_SF_SG_E_clIS8_S8_S9_S9_EESD_ST_SE_SF_SG_EUlST_E1_NS1_11comp_targetILNS1_3genE3ELNS1_11target_archE908ELNS1_3gpuE7ELNS1_3repE0EEENS1_36merge_oddeven_config_static_selectorELNS0_4arch9wavefront6targetE1EEEvSF_,"axG",@progbits,_ZN7rocprim17ROCPRIM_400000_NS6detail17trampoline_kernelINS0_14default_configENS1_38merge_sort_block_merge_config_selectorIlNS0_10empty_typeEEEZZNS1_27merge_sort_block_merge_implIS3_PlPS5_jNS1_19radix_merge_compareILb1ELb0ElNS0_19identity_decomposerEEEEE10hipError_tT0_T1_T2_jT3_P12ihipStream_tbPNSt15iterator_traitsISE_E10value_typeEPNSK_ISF_E10value_typeEPSG_NS1_7vsmem_tEENKUlT_SE_SF_SG_E_clIS8_S8_S9_S9_EESD_ST_SE_SF_SG_EUlST_E1_NS1_11comp_targetILNS1_3genE3ELNS1_11target_archE908ELNS1_3gpuE7ELNS1_3repE0EEENS1_36merge_oddeven_config_static_selectorELNS0_4arch9wavefront6targetE1EEEvSF_,comdat
	.protected	_ZN7rocprim17ROCPRIM_400000_NS6detail17trampoline_kernelINS0_14default_configENS1_38merge_sort_block_merge_config_selectorIlNS0_10empty_typeEEEZZNS1_27merge_sort_block_merge_implIS3_PlPS5_jNS1_19radix_merge_compareILb1ELb0ElNS0_19identity_decomposerEEEEE10hipError_tT0_T1_T2_jT3_P12ihipStream_tbPNSt15iterator_traitsISE_E10value_typeEPNSK_ISF_E10value_typeEPSG_NS1_7vsmem_tEENKUlT_SE_SF_SG_E_clIS8_S8_S9_S9_EESD_ST_SE_SF_SG_EUlST_E1_NS1_11comp_targetILNS1_3genE3ELNS1_11target_archE908ELNS1_3gpuE7ELNS1_3repE0EEENS1_36merge_oddeven_config_static_selectorELNS0_4arch9wavefront6targetE1EEEvSF_ ; -- Begin function _ZN7rocprim17ROCPRIM_400000_NS6detail17trampoline_kernelINS0_14default_configENS1_38merge_sort_block_merge_config_selectorIlNS0_10empty_typeEEEZZNS1_27merge_sort_block_merge_implIS3_PlPS5_jNS1_19radix_merge_compareILb1ELb0ElNS0_19identity_decomposerEEEEE10hipError_tT0_T1_T2_jT3_P12ihipStream_tbPNSt15iterator_traitsISE_E10value_typeEPNSK_ISF_E10value_typeEPSG_NS1_7vsmem_tEENKUlT_SE_SF_SG_E_clIS8_S8_S9_S9_EESD_ST_SE_SF_SG_EUlST_E1_NS1_11comp_targetILNS1_3genE3ELNS1_11target_archE908ELNS1_3gpuE7ELNS1_3repE0EEENS1_36merge_oddeven_config_static_selectorELNS0_4arch9wavefront6targetE1EEEvSF_
	.globl	_ZN7rocprim17ROCPRIM_400000_NS6detail17trampoline_kernelINS0_14default_configENS1_38merge_sort_block_merge_config_selectorIlNS0_10empty_typeEEEZZNS1_27merge_sort_block_merge_implIS3_PlPS5_jNS1_19radix_merge_compareILb1ELb0ElNS0_19identity_decomposerEEEEE10hipError_tT0_T1_T2_jT3_P12ihipStream_tbPNSt15iterator_traitsISE_E10value_typeEPNSK_ISF_E10value_typeEPSG_NS1_7vsmem_tEENKUlT_SE_SF_SG_E_clIS8_S8_S9_S9_EESD_ST_SE_SF_SG_EUlST_E1_NS1_11comp_targetILNS1_3genE3ELNS1_11target_archE908ELNS1_3gpuE7ELNS1_3repE0EEENS1_36merge_oddeven_config_static_selectorELNS0_4arch9wavefront6targetE1EEEvSF_
	.p2align	8
	.type	_ZN7rocprim17ROCPRIM_400000_NS6detail17trampoline_kernelINS0_14default_configENS1_38merge_sort_block_merge_config_selectorIlNS0_10empty_typeEEEZZNS1_27merge_sort_block_merge_implIS3_PlPS5_jNS1_19radix_merge_compareILb1ELb0ElNS0_19identity_decomposerEEEEE10hipError_tT0_T1_T2_jT3_P12ihipStream_tbPNSt15iterator_traitsISE_E10value_typeEPNSK_ISF_E10value_typeEPSG_NS1_7vsmem_tEENKUlT_SE_SF_SG_E_clIS8_S8_S9_S9_EESD_ST_SE_SF_SG_EUlST_E1_NS1_11comp_targetILNS1_3genE3ELNS1_11target_archE908ELNS1_3gpuE7ELNS1_3repE0EEENS1_36merge_oddeven_config_static_selectorELNS0_4arch9wavefront6targetE1EEEvSF_,@function
_ZN7rocprim17ROCPRIM_400000_NS6detail17trampoline_kernelINS0_14default_configENS1_38merge_sort_block_merge_config_selectorIlNS0_10empty_typeEEEZZNS1_27merge_sort_block_merge_implIS3_PlPS5_jNS1_19radix_merge_compareILb1ELb0ElNS0_19identity_decomposerEEEEE10hipError_tT0_T1_T2_jT3_P12ihipStream_tbPNSt15iterator_traitsISE_E10value_typeEPNSK_ISF_E10value_typeEPSG_NS1_7vsmem_tEENKUlT_SE_SF_SG_E_clIS8_S8_S9_S9_EESD_ST_SE_SF_SG_EUlST_E1_NS1_11comp_targetILNS1_3genE3ELNS1_11target_archE908ELNS1_3gpuE7ELNS1_3repE0EEENS1_36merge_oddeven_config_static_selectorELNS0_4arch9wavefront6targetE1EEEvSF_: ; @_ZN7rocprim17ROCPRIM_400000_NS6detail17trampoline_kernelINS0_14default_configENS1_38merge_sort_block_merge_config_selectorIlNS0_10empty_typeEEEZZNS1_27merge_sort_block_merge_implIS3_PlPS5_jNS1_19radix_merge_compareILb1ELb0ElNS0_19identity_decomposerEEEEE10hipError_tT0_T1_T2_jT3_P12ihipStream_tbPNSt15iterator_traitsISE_E10value_typeEPNSK_ISF_E10value_typeEPSG_NS1_7vsmem_tEENKUlT_SE_SF_SG_E_clIS8_S8_S9_S9_EESD_ST_SE_SF_SG_EUlST_E1_NS1_11comp_targetILNS1_3genE3ELNS1_11target_archE908ELNS1_3gpuE7ELNS1_3repE0EEENS1_36merge_oddeven_config_static_selectorELNS0_4arch9wavefront6targetE1EEEvSF_
; %bb.0:
	.section	.rodata,"a",@progbits
	.p2align	6, 0x0
	.amdhsa_kernel _ZN7rocprim17ROCPRIM_400000_NS6detail17trampoline_kernelINS0_14default_configENS1_38merge_sort_block_merge_config_selectorIlNS0_10empty_typeEEEZZNS1_27merge_sort_block_merge_implIS3_PlPS5_jNS1_19radix_merge_compareILb1ELb0ElNS0_19identity_decomposerEEEEE10hipError_tT0_T1_T2_jT3_P12ihipStream_tbPNSt15iterator_traitsISE_E10value_typeEPNSK_ISF_E10value_typeEPSG_NS1_7vsmem_tEENKUlT_SE_SF_SG_E_clIS8_S8_S9_S9_EESD_ST_SE_SF_SG_EUlST_E1_NS1_11comp_targetILNS1_3genE3ELNS1_11target_archE908ELNS1_3gpuE7ELNS1_3repE0EEENS1_36merge_oddeven_config_static_selectorELNS0_4arch9wavefront6targetE1EEEvSF_
		.amdhsa_group_segment_fixed_size 0
		.amdhsa_private_segment_fixed_size 0
		.amdhsa_kernarg_size 48
		.amdhsa_user_sgpr_count 6
		.amdhsa_user_sgpr_private_segment_buffer 1
		.amdhsa_user_sgpr_dispatch_ptr 0
		.amdhsa_user_sgpr_queue_ptr 0
		.amdhsa_user_sgpr_kernarg_segment_ptr 1
		.amdhsa_user_sgpr_dispatch_id 0
		.amdhsa_user_sgpr_flat_scratch_init 0
		.amdhsa_user_sgpr_kernarg_preload_length 0
		.amdhsa_user_sgpr_kernarg_preload_offset 0
		.amdhsa_user_sgpr_private_segment_size 0
		.amdhsa_uses_dynamic_stack 0
		.amdhsa_system_sgpr_private_segment_wavefront_offset 0
		.amdhsa_system_sgpr_workgroup_id_x 1
		.amdhsa_system_sgpr_workgroup_id_y 0
		.amdhsa_system_sgpr_workgroup_id_z 0
		.amdhsa_system_sgpr_workgroup_info 0
		.amdhsa_system_vgpr_workitem_id 0
		.amdhsa_next_free_vgpr 1
		.amdhsa_next_free_sgpr 0
		.amdhsa_accum_offset 4
		.amdhsa_reserve_vcc 0
		.amdhsa_reserve_flat_scratch 0
		.amdhsa_float_round_mode_32 0
		.amdhsa_float_round_mode_16_64 0
		.amdhsa_float_denorm_mode_32 3
		.amdhsa_float_denorm_mode_16_64 3
		.amdhsa_dx10_clamp 1
		.amdhsa_ieee_mode 1
		.amdhsa_fp16_overflow 0
		.amdhsa_tg_split 0
		.amdhsa_exception_fp_ieee_invalid_op 0
		.amdhsa_exception_fp_denorm_src 0
		.amdhsa_exception_fp_ieee_div_zero 0
		.amdhsa_exception_fp_ieee_overflow 0
		.amdhsa_exception_fp_ieee_underflow 0
		.amdhsa_exception_fp_ieee_inexact 0
		.amdhsa_exception_int_div_zero 0
	.end_amdhsa_kernel
	.section	.text._ZN7rocprim17ROCPRIM_400000_NS6detail17trampoline_kernelINS0_14default_configENS1_38merge_sort_block_merge_config_selectorIlNS0_10empty_typeEEEZZNS1_27merge_sort_block_merge_implIS3_PlPS5_jNS1_19radix_merge_compareILb1ELb0ElNS0_19identity_decomposerEEEEE10hipError_tT0_T1_T2_jT3_P12ihipStream_tbPNSt15iterator_traitsISE_E10value_typeEPNSK_ISF_E10value_typeEPSG_NS1_7vsmem_tEENKUlT_SE_SF_SG_E_clIS8_S8_S9_S9_EESD_ST_SE_SF_SG_EUlST_E1_NS1_11comp_targetILNS1_3genE3ELNS1_11target_archE908ELNS1_3gpuE7ELNS1_3repE0EEENS1_36merge_oddeven_config_static_selectorELNS0_4arch9wavefront6targetE1EEEvSF_,"axG",@progbits,_ZN7rocprim17ROCPRIM_400000_NS6detail17trampoline_kernelINS0_14default_configENS1_38merge_sort_block_merge_config_selectorIlNS0_10empty_typeEEEZZNS1_27merge_sort_block_merge_implIS3_PlPS5_jNS1_19radix_merge_compareILb1ELb0ElNS0_19identity_decomposerEEEEE10hipError_tT0_T1_T2_jT3_P12ihipStream_tbPNSt15iterator_traitsISE_E10value_typeEPNSK_ISF_E10value_typeEPSG_NS1_7vsmem_tEENKUlT_SE_SF_SG_E_clIS8_S8_S9_S9_EESD_ST_SE_SF_SG_EUlST_E1_NS1_11comp_targetILNS1_3genE3ELNS1_11target_archE908ELNS1_3gpuE7ELNS1_3repE0EEENS1_36merge_oddeven_config_static_selectorELNS0_4arch9wavefront6targetE1EEEvSF_,comdat
.Lfunc_end2152:
	.size	_ZN7rocprim17ROCPRIM_400000_NS6detail17trampoline_kernelINS0_14default_configENS1_38merge_sort_block_merge_config_selectorIlNS0_10empty_typeEEEZZNS1_27merge_sort_block_merge_implIS3_PlPS5_jNS1_19radix_merge_compareILb1ELb0ElNS0_19identity_decomposerEEEEE10hipError_tT0_T1_T2_jT3_P12ihipStream_tbPNSt15iterator_traitsISE_E10value_typeEPNSK_ISF_E10value_typeEPSG_NS1_7vsmem_tEENKUlT_SE_SF_SG_E_clIS8_S8_S9_S9_EESD_ST_SE_SF_SG_EUlST_E1_NS1_11comp_targetILNS1_3genE3ELNS1_11target_archE908ELNS1_3gpuE7ELNS1_3repE0EEENS1_36merge_oddeven_config_static_selectorELNS0_4arch9wavefront6targetE1EEEvSF_, .Lfunc_end2152-_ZN7rocprim17ROCPRIM_400000_NS6detail17trampoline_kernelINS0_14default_configENS1_38merge_sort_block_merge_config_selectorIlNS0_10empty_typeEEEZZNS1_27merge_sort_block_merge_implIS3_PlPS5_jNS1_19radix_merge_compareILb1ELb0ElNS0_19identity_decomposerEEEEE10hipError_tT0_T1_T2_jT3_P12ihipStream_tbPNSt15iterator_traitsISE_E10value_typeEPNSK_ISF_E10value_typeEPSG_NS1_7vsmem_tEENKUlT_SE_SF_SG_E_clIS8_S8_S9_S9_EESD_ST_SE_SF_SG_EUlST_E1_NS1_11comp_targetILNS1_3genE3ELNS1_11target_archE908ELNS1_3gpuE7ELNS1_3repE0EEENS1_36merge_oddeven_config_static_selectorELNS0_4arch9wavefront6targetE1EEEvSF_
                                        ; -- End function
	.section	.AMDGPU.csdata,"",@progbits
; Kernel info:
; codeLenInByte = 0
; NumSgprs: 4
; NumVgprs: 0
; NumAgprs: 0
; TotalNumVgprs: 0
; ScratchSize: 0
; MemoryBound: 0
; FloatMode: 240
; IeeeMode: 1
; LDSByteSize: 0 bytes/workgroup (compile time only)
; SGPRBlocks: 0
; VGPRBlocks: 0
; NumSGPRsForWavesPerEU: 4
; NumVGPRsForWavesPerEU: 1
; AccumOffset: 4
; Occupancy: 8
; WaveLimiterHint : 0
; COMPUTE_PGM_RSRC2:SCRATCH_EN: 0
; COMPUTE_PGM_RSRC2:USER_SGPR: 6
; COMPUTE_PGM_RSRC2:TRAP_HANDLER: 0
; COMPUTE_PGM_RSRC2:TGID_X_EN: 1
; COMPUTE_PGM_RSRC2:TGID_Y_EN: 0
; COMPUTE_PGM_RSRC2:TGID_Z_EN: 0
; COMPUTE_PGM_RSRC2:TIDIG_COMP_CNT: 0
; COMPUTE_PGM_RSRC3_GFX90A:ACCUM_OFFSET: 0
; COMPUTE_PGM_RSRC3_GFX90A:TG_SPLIT: 0
	.section	.text._ZN7rocprim17ROCPRIM_400000_NS6detail17trampoline_kernelINS0_14default_configENS1_38merge_sort_block_merge_config_selectorIlNS0_10empty_typeEEEZZNS1_27merge_sort_block_merge_implIS3_PlPS5_jNS1_19radix_merge_compareILb1ELb0ElNS0_19identity_decomposerEEEEE10hipError_tT0_T1_T2_jT3_P12ihipStream_tbPNSt15iterator_traitsISE_E10value_typeEPNSK_ISF_E10value_typeEPSG_NS1_7vsmem_tEENKUlT_SE_SF_SG_E_clIS8_S8_S9_S9_EESD_ST_SE_SF_SG_EUlST_E1_NS1_11comp_targetILNS1_3genE2ELNS1_11target_archE906ELNS1_3gpuE6ELNS1_3repE0EEENS1_36merge_oddeven_config_static_selectorELNS0_4arch9wavefront6targetE1EEEvSF_,"axG",@progbits,_ZN7rocprim17ROCPRIM_400000_NS6detail17trampoline_kernelINS0_14default_configENS1_38merge_sort_block_merge_config_selectorIlNS0_10empty_typeEEEZZNS1_27merge_sort_block_merge_implIS3_PlPS5_jNS1_19radix_merge_compareILb1ELb0ElNS0_19identity_decomposerEEEEE10hipError_tT0_T1_T2_jT3_P12ihipStream_tbPNSt15iterator_traitsISE_E10value_typeEPNSK_ISF_E10value_typeEPSG_NS1_7vsmem_tEENKUlT_SE_SF_SG_E_clIS8_S8_S9_S9_EESD_ST_SE_SF_SG_EUlST_E1_NS1_11comp_targetILNS1_3genE2ELNS1_11target_archE906ELNS1_3gpuE6ELNS1_3repE0EEENS1_36merge_oddeven_config_static_selectorELNS0_4arch9wavefront6targetE1EEEvSF_,comdat
	.protected	_ZN7rocprim17ROCPRIM_400000_NS6detail17trampoline_kernelINS0_14default_configENS1_38merge_sort_block_merge_config_selectorIlNS0_10empty_typeEEEZZNS1_27merge_sort_block_merge_implIS3_PlPS5_jNS1_19radix_merge_compareILb1ELb0ElNS0_19identity_decomposerEEEEE10hipError_tT0_T1_T2_jT3_P12ihipStream_tbPNSt15iterator_traitsISE_E10value_typeEPNSK_ISF_E10value_typeEPSG_NS1_7vsmem_tEENKUlT_SE_SF_SG_E_clIS8_S8_S9_S9_EESD_ST_SE_SF_SG_EUlST_E1_NS1_11comp_targetILNS1_3genE2ELNS1_11target_archE906ELNS1_3gpuE6ELNS1_3repE0EEENS1_36merge_oddeven_config_static_selectorELNS0_4arch9wavefront6targetE1EEEvSF_ ; -- Begin function _ZN7rocprim17ROCPRIM_400000_NS6detail17trampoline_kernelINS0_14default_configENS1_38merge_sort_block_merge_config_selectorIlNS0_10empty_typeEEEZZNS1_27merge_sort_block_merge_implIS3_PlPS5_jNS1_19radix_merge_compareILb1ELb0ElNS0_19identity_decomposerEEEEE10hipError_tT0_T1_T2_jT3_P12ihipStream_tbPNSt15iterator_traitsISE_E10value_typeEPNSK_ISF_E10value_typeEPSG_NS1_7vsmem_tEENKUlT_SE_SF_SG_E_clIS8_S8_S9_S9_EESD_ST_SE_SF_SG_EUlST_E1_NS1_11comp_targetILNS1_3genE2ELNS1_11target_archE906ELNS1_3gpuE6ELNS1_3repE0EEENS1_36merge_oddeven_config_static_selectorELNS0_4arch9wavefront6targetE1EEEvSF_
	.globl	_ZN7rocprim17ROCPRIM_400000_NS6detail17trampoline_kernelINS0_14default_configENS1_38merge_sort_block_merge_config_selectorIlNS0_10empty_typeEEEZZNS1_27merge_sort_block_merge_implIS3_PlPS5_jNS1_19radix_merge_compareILb1ELb0ElNS0_19identity_decomposerEEEEE10hipError_tT0_T1_T2_jT3_P12ihipStream_tbPNSt15iterator_traitsISE_E10value_typeEPNSK_ISF_E10value_typeEPSG_NS1_7vsmem_tEENKUlT_SE_SF_SG_E_clIS8_S8_S9_S9_EESD_ST_SE_SF_SG_EUlST_E1_NS1_11comp_targetILNS1_3genE2ELNS1_11target_archE906ELNS1_3gpuE6ELNS1_3repE0EEENS1_36merge_oddeven_config_static_selectorELNS0_4arch9wavefront6targetE1EEEvSF_
	.p2align	8
	.type	_ZN7rocprim17ROCPRIM_400000_NS6detail17trampoline_kernelINS0_14default_configENS1_38merge_sort_block_merge_config_selectorIlNS0_10empty_typeEEEZZNS1_27merge_sort_block_merge_implIS3_PlPS5_jNS1_19radix_merge_compareILb1ELb0ElNS0_19identity_decomposerEEEEE10hipError_tT0_T1_T2_jT3_P12ihipStream_tbPNSt15iterator_traitsISE_E10value_typeEPNSK_ISF_E10value_typeEPSG_NS1_7vsmem_tEENKUlT_SE_SF_SG_E_clIS8_S8_S9_S9_EESD_ST_SE_SF_SG_EUlST_E1_NS1_11comp_targetILNS1_3genE2ELNS1_11target_archE906ELNS1_3gpuE6ELNS1_3repE0EEENS1_36merge_oddeven_config_static_selectorELNS0_4arch9wavefront6targetE1EEEvSF_,@function
_ZN7rocprim17ROCPRIM_400000_NS6detail17trampoline_kernelINS0_14default_configENS1_38merge_sort_block_merge_config_selectorIlNS0_10empty_typeEEEZZNS1_27merge_sort_block_merge_implIS3_PlPS5_jNS1_19radix_merge_compareILb1ELb0ElNS0_19identity_decomposerEEEEE10hipError_tT0_T1_T2_jT3_P12ihipStream_tbPNSt15iterator_traitsISE_E10value_typeEPNSK_ISF_E10value_typeEPSG_NS1_7vsmem_tEENKUlT_SE_SF_SG_E_clIS8_S8_S9_S9_EESD_ST_SE_SF_SG_EUlST_E1_NS1_11comp_targetILNS1_3genE2ELNS1_11target_archE906ELNS1_3gpuE6ELNS1_3repE0EEENS1_36merge_oddeven_config_static_selectorELNS0_4arch9wavefront6targetE1EEEvSF_: ; @_ZN7rocprim17ROCPRIM_400000_NS6detail17trampoline_kernelINS0_14default_configENS1_38merge_sort_block_merge_config_selectorIlNS0_10empty_typeEEEZZNS1_27merge_sort_block_merge_implIS3_PlPS5_jNS1_19radix_merge_compareILb1ELb0ElNS0_19identity_decomposerEEEEE10hipError_tT0_T1_T2_jT3_P12ihipStream_tbPNSt15iterator_traitsISE_E10value_typeEPNSK_ISF_E10value_typeEPSG_NS1_7vsmem_tEENKUlT_SE_SF_SG_E_clIS8_S8_S9_S9_EESD_ST_SE_SF_SG_EUlST_E1_NS1_11comp_targetILNS1_3genE2ELNS1_11target_archE906ELNS1_3gpuE6ELNS1_3repE0EEENS1_36merge_oddeven_config_static_selectorELNS0_4arch9wavefront6targetE1EEEvSF_
; %bb.0:
	.section	.rodata,"a",@progbits
	.p2align	6, 0x0
	.amdhsa_kernel _ZN7rocprim17ROCPRIM_400000_NS6detail17trampoline_kernelINS0_14default_configENS1_38merge_sort_block_merge_config_selectorIlNS0_10empty_typeEEEZZNS1_27merge_sort_block_merge_implIS3_PlPS5_jNS1_19radix_merge_compareILb1ELb0ElNS0_19identity_decomposerEEEEE10hipError_tT0_T1_T2_jT3_P12ihipStream_tbPNSt15iterator_traitsISE_E10value_typeEPNSK_ISF_E10value_typeEPSG_NS1_7vsmem_tEENKUlT_SE_SF_SG_E_clIS8_S8_S9_S9_EESD_ST_SE_SF_SG_EUlST_E1_NS1_11comp_targetILNS1_3genE2ELNS1_11target_archE906ELNS1_3gpuE6ELNS1_3repE0EEENS1_36merge_oddeven_config_static_selectorELNS0_4arch9wavefront6targetE1EEEvSF_
		.amdhsa_group_segment_fixed_size 0
		.amdhsa_private_segment_fixed_size 0
		.amdhsa_kernarg_size 48
		.amdhsa_user_sgpr_count 6
		.amdhsa_user_sgpr_private_segment_buffer 1
		.amdhsa_user_sgpr_dispatch_ptr 0
		.amdhsa_user_sgpr_queue_ptr 0
		.amdhsa_user_sgpr_kernarg_segment_ptr 1
		.amdhsa_user_sgpr_dispatch_id 0
		.amdhsa_user_sgpr_flat_scratch_init 0
		.amdhsa_user_sgpr_kernarg_preload_length 0
		.amdhsa_user_sgpr_kernarg_preload_offset 0
		.amdhsa_user_sgpr_private_segment_size 0
		.amdhsa_uses_dynamic_stack 0
		.amdhsa_system_sgpr_private_segment_wavefront_offset 0
		.amdhsa_system_sgpr_workgroup_id_x 1
		.amdhsa_system_sgpr_workgroup_id_y 0
		.amdhsa_system_sgpr_workgroup_id_z 0
		.amdhsa_system_sgpr_workgroup_info 0
		.amdhsa_system_vgpr_workitem_id 0
		.amdhsa_next_free_vgpr 1
		.amdhsa_next_free_sgpr 0
		.amdhsa_accum_offset 4
		.amdhsa_reserve_vcc 0
		.amdhsa_reserve_flat_scratch 0
		.amdhsa_float_round_mode_32 0
		.amdhsa_float_round_mode_16_64 0
		.amdhsa_float_denorm_mode_32 3
		.amdhsa_float_denorm_mode_16_64 3
		.amdhsa_dx10_clamp 1
		.amdhsa_ieee_mode 1
		.amdhsa_fp16_overflow 0
		.amdhsa_tg_split 0
		.amdhsa_exception_fp_ieee_invalid_op 0
		.amdhsa_exception_fp_denorm_src 0
		.amdhsa_exception_fp_ieee_div_zero 0
		.amdhsa_exception_fp_ieee_overflow 0
		.amdhsa_exception_fp_ieee_underflow 0
		.amdhsa_exception_fp_ieee_inexact 0
		.amdhsa_exception_int_div_zero 0
	.end_amdhsa_kernel
	.section	.text._ZN7rocprim17ROCPRIM_400000_NS6detail17trampoline_kernelINS0_14default_configENS1_38merge_sort_block_merge_config_selectorIlNS0_10empty_typeEEEZZNS1_27merge_sort_block_merge_implIS3_PlPS5_jNS1_19radix_merge_compareILb1ELb0ElNS0_19identity_decomposerEEEEE10hipError_tT0_T1_T2_jT3_P12ihipStream_tbPNSt15iterator_traitsISE_E10value_typeEPNSK_ISF_E10value_typeEPSG_NS1_7vsmem_tEENKUlT_SE_SF_SG_E_clIS8_S8_S9_S9_EESD_ST_SE_SF_SG_EUlST_E1_NS1_11comp_targetILNS1_3genE2ELNS1_11target_archE906ELNS1_3gpuE6ELNS1_3repE0EEENS1_36merge_oddeven_config_static_selectorELNS0_4arch9wavefront6targetE1EEEvSF_,"axG",@progbits,_ZN7rocprim17ROCPRIM_400000_NS6detail17trampoline_kernelINS0_14default_configENS1_38merge_sort_block_merge_config_selectorIlNS0_10empty_typeEEEZZNS1_27merge_sort_block_merge_implIS3_PlPS5_jNS1_19radix_merge_compareILb1ELb0ElNS0_19identity_decomposerEEEEE10hipError_tT0_T1_T2_jT3_P12ihipStream_tbPNSt15iterator_traitsISE_E10value_typeEPNSK_ISF_E10value_typeEPSG_NS1_7vsmem_tEENKUlT_SE_SF_SG_E_clIS8_S8_S9_S9_EESD_ST_SE_SF_SG_EUlST_E1_NS1_11comp_targetILNS1_3genE2ELNS1_11target_archE906ELNS1_3gpuE6ELNS1_3repE0EEENS1_36merge_oddeven_config_static_selectorELNS0_4arch9wavefront6targetE1EEEvSF_,comdat
.Lfunc_end2153:
	.size	_ZN7rocprim17ROCPRIM_400000_NS6detail17trampoline_kernelINS0_14default_configENS1_38merge_sort_block_merge_config_selectorIlNS0_10empty_typeEEEZZNS1_27merge_sort_block_merge_implIS3_PlPS5_jNS1_19radix_merge_compareILb1ELb0ElNS0_19identity_decomposerEEEEE10hipError_tT0_T1_T2_jT3_P12ihipStream_tbPNSt15iterator_traitsISE_E10value_typeEPNSK_ISF_E10value_typeEPSG_NS1_7vsmem_tEENKUlT_SE_SF_SG_E_clIS8_S8_S9_S9_EESD_ST_SE_SF_SG_EUlST_E1_NS1_11comp_targetILNS1_3genE2ELNS1_11target_archE906ELNS1_3gpuE6ELNS1_3repE0EEENS1_36merge_oddeven_config_static_selectorELNS0_4arch9wavefront6targetE1EEEvSF_, .Lfunc_end2153-_ZN7rocprim17ROCPRIM_400000_NS6detail17trampoline_kernelINS0_14default_configENS1_38merge_sort_block_merge_config_selectorIlNS0_10empty_typeEEEZZNS1_27merge_sort_block_merge_implIS3_PlPS5_jNS1_19radix_merge_compareILb1ELb0ElNS0_19identity_decomposerEEEEE10hipError_tT0_T1_T2_jT3_P12ihipStream_tbPNSt15iterator_traitsISE_E10value_typeEPNSK_ISF_E10value_typeEPSG_NS1_7vsmem_tEENKUlT_SE_SF_SG_E_clIS8_S8_S9_S9_EESD_ST_SE_SF_SG_EUlST_E1_NS1_11comp_targetILNS1_3genE2ELNS1_11target_archE906ELNS1_3gpuE6ELNS1_3repE0EEENS1_36merge_oddeven_config_static_selectorELNS0_4arch9wavefront6targetE1EEEvSF_
                                        ; -- End function
	.section	.AMDGPU.csdata,"",@progbits
; Kernel info:
; codeLenInByte = 0
; NumSgprs: 4
; NumVgprs: 0
; NumAgprs: 0
; TotalNumVgprs: 0
; ScratchSize: 0
; MemoryBound: 0
; FloatMode: 240
; IeeeMode: 1
; LDSByteSize: 0 bytes/workgroup (compile time only)
; SGPRBlocks: 0
; VGPRBlocks: 0
; NumSGPRsForWavesPerEU: 4
; NumVGPRsForWavesPerEU: 1
; AccumOffset: 4
; Occupancy: 8
; WaveLimiterHint : 0
; COMPUTE_PGM_RSRC2:SCRATCH_EN: 0
; COMPUTE_PGM_RSRC2:USER_SGPR: 6
; COMPUTE_PGM_RSRC2:TRAP_HANDLER: 0
; COMPUTE_PGM_RSRC2:TGID_X_EN: 1
; COMPUTE_PGM_RSRC2:TGID_Y_EN: 0
; COMPUTE_PGM_RSRC2:TGID_Z_EN: 0
; COMPUTE_PGM_RSRC2:TIDIG_COMP_CNT: 0
; COMPUTE_PGM_RSRC3_GFX90A:ACCUM_OFFSET: 0
; COMPUTE_PGM_RSRC3_GFX90A:TG_SPLIT: 0
	.section	.text._ZN7rocprim17ROCPRIM_400000_NS6detail17trampoline_kernelINS0_14default_configENS1_38merge_sort_block_merge_config_selectorIlNS0_10empty_typeEEEZZNS1_27merge_sort_block_merge_implIS3_PlPS5_jNS1_19radix_merge_compareILb1ELb0ElNS0_19identity_decomposerEEEEE10hipError_tT0_T1_T2_jT3_P12ihipStream_tbPNSt15iterator_traitsISE_E10value_typeEPNSK_ISF_E10value_typeEPSG_NS1_7vsmem_tEENKUlT_SE_SF_SG_E_clIS8_S8_S9_S9_EESD_ST_SE_SF_SG_EUlST_E1_NS1_11comp_targetILNS1_3genE9ELNS1_11target_archE1100ELNS1_3gpuE3ELNS1_3repE0EEENS1_36merge_oddeven_config_static_selectorELNS0_4arch9wavefront6targetE1EEEvSF_,"axG",@progbits,_ZN7rocprim17ROCPRIM_400000_NS6detail17trampoline_kernelINS0_14default_configENS1_38merge_sort_block_merge_config_selectorIlNS0_10empty_typeEEEZZNS1_27merge_sort_block_merge_implIS3_PlPS5_jNS1_19radix_merge_compareILb1ELb0ElNS0_19identity_decomposerEEEEE10hipError_tT0_T1_T2_jT3_P12ihipStream_tbPNSt15iterator_traitsISE_E10value_typeEPNSK_ISF_E10value_typeEPSG_NS1_7vsmem_tEENKUlT_SE_SF_SG_E_clIS8_S8_S9_S9_EESD_ST_SE_SF_SG_EUlST_E1_NS1_11comp_targetILNS1_3genE9ELNS1_11target_archE1100ELNS1_3gpuE3ELNS1_3repE0EEENS1_36merge_oddeven_config_static_selectorELNS0_4arch9wavefront6targetE1EEEvSF_,comdat
	.protected	_ZN7rocprim17ROCPRIM_400000_NS6detail17trampoline_kernelINS0_14default_configENS1_38merge_sort_block_merge_config_selectorIlNS0_10empty_typeEEEZZNS1_27merge_sort_block_merge_implIS3_PlPS5_jNS1_19radix_merge_compareILb1ELb0ElNS0_19identity_decomposerEEEEE10hipError_tT0_T1_T2_jT3_P12ihipStream_tbPNSt15iterator_traitsISE_E10value_typeEPNSK_ISF_E10value_typeEPSG_NS1_7vsmem_tEENKUlT_SE_SF_SG_E_clIS8_S8_S9_S9_EESD_ST_SE_SF_SG_EUlST_E1_NS1_11comp_targetILNS1_3genE9ELNS1_11target_archE1100ELNS1_3gpuE3ELNS1_3repE0EEENS1_36merge_oddeven_config_static_selectorELNS0_4arch9wavefront6targetE1EEEvSF_ ; -- Begin function _ZN7rocprim17ROCPRIM_400000_NS6detail17trampoline_kernelINS0_14default_configENS1_38merge_sort_block_merge_config_selectorIlNS0_10empty_typeEEEZZNS1_27merge_sort_block_merge_implIS3_PlPS5_jNS1_19radix_merge_compareILb1ELb0ElNS0_19identity_decomposerEEEEE10hipError_tT0_T1_T2_jT3_P12ihipStream_tbPNSt15iterator_traitsISE_E10value_typeEPNSK_ISF_E10value_typeEPSG_NS1_7vsmem_tEENKUlT_SE_SF_SG_E_clIS8_S8_S9_S9_EESD_ST_SE_SF_SG_EUlST_E1_NS1_11comp_targetILNS1_3genE9ELNS1_11target_archE1100ELNS1_3gpuE3ELNS1_3repE0EEENS1_36merge_oddeven_config_static_selectorELNS0_4arch9wavefront6targetE1EEEvSF_
	.globl	_ZN7rocprim17ROCPRIM_400000_NS6detail17trampoline_kernelINS0_14default_configENS1_38merge_sort_block_merge_config_selectorIlNS0_10empty_typeEEEZZNS1_27merge_sort_block_merge_implIS3_PlPS5_jNS1_19radix_merge_compareILb1ELb0ElNS0_19identity_decomposerEEEEE10hipError_tT0_T1_T2_jT3_P12ihipStream_tbPNSt15iterator_traitsISE_E10value_typeEPNSK_ISF_E10value_typeEPSG_NS1_7vsmem_tEENKUlT_SE_SF_SG_E_clIS8_S8_S9_S9_EESD_ST_SE_SF_SG_EUlST_E1_NS1_11comp_targetILNS1_3genE9ELNS1_11target_archE1100ELNS1_3gpuE3ELNS1_3repE0EEENS1_36merge_oddeven_config_static_selectorELNS0_4arch9wavefront6targetE1EEEvSF_
	.p2align	8
	.type	_ZN7rocprim17ROCPRIM_400000_NS6detail17trampoline_kernelINS0_14default_configENS1_38merge_sort_block_merge_config_selectorIlNS0_10empty_typeEEEZZNS1_27merge_sort_block_merge_implIS3_PlPS5_jNS1_19radix_merge_compareILb1ELb0ElNS0_19identity_decomposerEEEEE10hipError_tT0_T1_T2_jT3_P12ihipStream_tbPNSt15iterator_traitsISE_E10value_typeEPNSK_ISF_E10value_typeEPSG_NS1_7vsmem_tEENKUlT_SE_SF_SG_E_clIS8_S8_S9_S9_EESD_ST_SE_SF_SG_EUlST_E1_NS1_11comp_targetILNS1_3genE9ELNS1_11target_archE1100ELNS1_3gpuE3ELNS1_3repE0EEENS1_36merge_oddeven_config_static_selectorELNS0_4arch9wavefront6targetE1EEEvSF_,@function
_ZN7rocprim17ROCPRIM_400000_NS6detail17trampoline_kernelINS0_14default_configENS1_38merge_sort_block_merge_config_selectorIlNS0_10empty_typeEEEZZNS1_27merge_sort_block_merge_implIS3_PlPS5_jNS1_19radix_merge_compareILb1ELb0ElNS0_19identity_decomposerEEEEE10hipError_tT0_T1_T2_jT3_P12ihipStream_tbPNSt15iterator_traitsISE_E10value_typeEPNSK_ISF_E10value_typeEPSG_NS1_7vsmem_tEENKUlT_SE_SF_SG_E_clIS8_S8_S9_S9_EESD_ST_SE_SF_SG_EUlST_E1_NS1_11comp_targetILNS1_3genE9ELNS1_11target_archE1100ELNS1_3gpuE3ELNS1_3repE0EEENS1_36merge_oddeven_config_static_selectorELNS0_4arch9wavefront6targetE1EEEvSF_: ; @_ZN7rocprim17ROCPRIM_400000_NS6detail17trampoline_kernelINS0_14default_configENS1_38merge_sort_block_merge_config_selectorIlNS0_10empty_typeEEEZZNS1_27merge_sort_block_merge_implIS3_PlPS5_jNS1_19radix_merge_compareILb1ELb0ElNS0_19identity_decomposerEEEEE10hipError_tT0_T1_T2_jT3_P12ihipStream_tbPNSt15iterator_traitsISE_E10value_typeEPNSK_ISF_E10value_typeEPSG_NS1_7vsmem_tEENKUlT_SE_SF_SG_E_clIS8_S8_S9_S9_EESD_ST_SE_SF_SG_EUlST_E1_NS1_11comp_targetILNS1_3genE9ELNS1_11target_archE1100ELNS1_3gpuE3ELNS1_3repE0EEENS1_36merge_oddeven_config_static_selectorELNS0_4arch9wavefront6targetE1EEEvSF_
; %bb.0:
	.section	.rodata,"a",@progbits
	.p2align	6, 0x0
	.amdhsa_kernel _ZN7rocprim17ROCPRIM_400000_NS6detail17trampoline_kernelINS0_14default_configENS1_38merge_sort_block_merge_config_selectorIlNS0_10empty_typeEEEZZNS1_27merge_sort_block_merge_implIS3_PlPS5_jNS1_19radix_merge_compareILb1ELb0ElNS0_19identity_decomposerEEEEE10hipError_tT0_T1_T2_jT3_P12ihipStream_tbPNSt15iterator_traitsISE_E10value_typeEPNSK_ISF_E10value_typeEPSG_NS1_7vsmem_tEENKUlT_SE_SF_SG_E_clIS8_S8_S9_S9_EESD_ST_SE_SF_SG_EUlST_E1_NS1_11comp_targetILNS1_3genE9ELNS1_11target_archE1100ELNS1_3gpuE3ELNS1_3repE0EEENS1_36merge_oddeven_config_static_selectorELNS0_4arch9wavefront6targetE1EEEvSF_
		.amdhsa_group_segment_fixed_size 0
		.amdhsa_private_segment_fixed_size 0
		.amdhsa_kernarg_size 48
		.amdhsa_user_sgpr_count 6
		.amdhsa_user_sgpr_private_segment_buffer 1
		.amdhsa_user_sgpr_dispatch_ptr 0
		.amdhsa_user_sgpr_queue_ptr 0
		.amdhsa_user_sgpr_kernarg_segment_ptr 1
		.amdhsa_user_sgpr_dispatch_id 0
		.amdhsa_user_sgpr_flat_scratch_init 0
		.amdhsa_user_sgpr_kernarg_preload_length 0
		.amdhsa_user_sgpr_kernarg_preload_offset 0
		.amdhsa_user_sgpr_private_segment_size 0
		.amdhsa_uses_dynamic_stack 0
		.amdhsa_system_sgpr_private_segment_wavefront_offset 0
		.amdhsa_system_sgpr_workgroup_id_x 1
		.amdhsa_system_sgpr_workgroup_id_y 0
		.amdhsa_system_sgpr_workgroup_id_z 0
		.amdhsa_system_sgpr_workgroup_info 0
		.amdhsa_system_vgpr_workitem_id 0
		.amdhsa_next_free_vgpr 1
		.amdhsa_next_free_sgpr 0
		.amdhsa_accum_offset 4
		.amdhsa_reserve_vcc 0
		.amdhsa_reserve_flat_scratch 0
		.amdhsa_float_round_mode_32 0
		.amdhsa_float_round_mode_16_64 0
		.amdhsa_float_denorm_mode_32 3
		.amdhsa_float_denorm_mode_16_64 3
		.amdhsa_dx10_clamp 1
		.amdhsa_ieee_mode 1
		.amdhsa_fp16_overflow 0
		.amdhsa_tg_split 0
		.amdhsa_exception_fp_ieee_invalid_op 0
		.amdhsa_exception_fp_denorm_src 0
		.amdhsa_exception_fp_ieee_div_zero 0
		.amdhsa_exception_fp_ieee_overflow 0
		.amdhsa_exception_fp_ieee_underflow 0
		.amdhsa_exception_fp_ieee_inexact 0
		.amdhsa_exception_int_div_zero 0
	.end_amdhsa_kernel
	.section	.text._ZN7rocprim17ROCPRIM_400000_NS6detail17trampoline_kernelINS0_14default_configENS1_38merge_sort_block_merge_config_selectorIlNS0_10empty_typeEEEZZNS1_27merge_sort_block_merge_implIS3_PlPS5_jNS1_19radix_merge_compareILb1ELb0ElNS0_19identity_decomposerEEEEE10hipError_tT0_T1_T2_jT3_P12ihipStream_tbPNSt15iterator_traitsISE_E10value_typeEPNSK_ISF_E10value_typeEPSG_NS1_7vsmem_tEENKUlT_SE_SF_SG_E_clIS8_S8_S9_S9_EESD_ST_SE_SF_SG_EUlST_E1_NS1_11comp_targetILNS1_3genE9ELNS1_11target_archE1100ELNS1_3gpuE3ELNS1_3repE0EEENS1_36merge_oddeven_config_static_selectorELNS0_4arch9wavefront6targetE1EEEvSF_,"axG",@progbits,_ZN7rocprim17ROCPRIM_400000_NS6detail17trampoline_kernelINS0_14default_configENS1_38merge_sort_block_merge_config_selectorIlNS0_10empty_typeEEEZZNS1_27merge_sort_block_merge_implIS3_PlPS5_jNS1_19radix_merge_compareILb1ELb0ElNS0_19identity_decomposerEEEEE10hipError_tT0_T1_T2_jT3_P12ihipStream_tbPNSt15iterator_traitsISE_E10value_typeEPNSK_ISF_E10value_typeEPSG_NS1_7vsmem_tEENKUlT_SE_SF_SG_E_clIS8_S8_S9_S9_EESD_ST_SE_SF_SG_EUlST_E1_NS1_11comp_targetILNS1_3genE9ELNS1_11target_archE1100ELNS1_3gpuE3ELNS1_3repE0EEENS1_36merge_oddeven_config_static_selectorELNS0_4arch9wavefront6targetE1EEEvSF_,comdat
.Lfunc_end2154:
	.size	_ZN7rocprim17ROCPRIM_400000_NS6detail17trampoline_kernelINS0_14default_configENS1_38merge_sort_block_merge_config_selectorIlNS0_10empty_typeEEEZZNS1_27merge_sort_block_merge_implIS3_PlPS5_jNS1_19radix_merge_compareILb1ELb0ElNS0_19identity_decomposerEEEEE10hipError_tT0_T1_T2_jT3_P12ihipStream_tbPNSt15iterator_traitsISE_E10value_typeEPNSK_ISF_E10value_typeEPSG_NS1_7vsmem_tEENKUlT_SE_SF_SG_E_clIS8_S8_S9_S9_EESD_ST_SE_SF_SG_EUlST_E1_NS1_11comp_targetILNS1_3genE9ELNS1_11target_archE1100ELNS1_3gpuE3ELNS1_3repE0EEENS1_36merge_oddeven_config_static_selectorELNS0_4arch9wavefront6targetE1EEEvSF_, .Lfunc_end2154-_ZN7rocprim17ROCPRIM_400000_NS6detail17trampoline_kernelINS0_14default_configENS1_38merge_sort_block_merge_config_selectorIlNS0_10empty_typeEEEZZNS1_27merge_sort_block_merge_implIS3_PlPS5_jNS1_19radix_merge_compareILb1ELb0ElNS0_19identity_decomposerEEEEE10hipError_tT0_T1_T2_jT3_P12ihipStream_tbPNSt15iterator_traitsISE_E10value_typeEPNSK_ISF_E10value_typeEPSG_NS1_7vsmem_tEENKUlT_SE_SF_SG_E_clIS8_S8_S9_S9_EESD_ST_SE_SF_SG_EUlST_E1_NS1_11comp_targetILNS1_3genE9ELNS1_11target_archE1100ELNS1_3gpuE3ELNS1_3repE0EEENS1_36merge_oddeven_config_static_selectorELNS0_4arch9wavefront6targetE1EEEvSF_
                                        ; -- End function
	.section	.AMDGPU.csdata,"",@progbits
; Kernel info:
; codeLenInByte = 0
; NumSgprs: 4
; NumVgprs: 0
; NumAgprs: 0
; TotalNumVgprs: 0
; ScratchSize: 0
; MemoryBound: 0
; FloatMode: 240
; IeeeMode: 1
; LDSByteSize: 0 bytes/workgroup (compile time only)
; SGPRBlocks: 0
; VGPRBlocks: 0
; NumSGPRsForWavesPerEU: 4
; NumVGPRsForWavesPerEU: 1
; AccumOffset: 4
; Occupancy: 8
; WaveLimiterHint : 0
; COMPUTE_PGM_RSRC2:SCRATCH_EN: 0
; COMPUTE_PGM_RSRC2:USER_SGPR: 6
; COMPUTE_PGM_RSRC2:TRAP_HANDLER: 0
; COMPUTE_PGM_RSRC2:TGID_X_EN: 1
; COMPUTE_PGM_RSRC2:TGID_Y_EN: 0
; COMPUTE_PGM_RSRC2:TGID_Z_EN: 0
; COMPUTE_PGM_RSRC2:TIDIG_COMP_CNT: 0
; COMPUTE_PGM_RSRC3_GFX90A:ACCUM_OFFSET: 0
; COMPUTE_PGM_RSRC3_GFX90A:TG_SPLIT: 0
	.section	.text._ZN7rocprim17ROCPRIM_400000_NS6detail17trampoline_kernelINS0_14default_configENS1_38merge_sort_block_merge_config_selectorIlNS0_10empty_typeEEEZZNS1_27merge_sort_block_merge_implIS3_PlPS5_jNS1_19radix_merge_compareILb1ELb0ElNS0_19identity_decomposerEEEEE10hipError_tT0_T1_T2_jT3_P12ihipStream_tbPNSt15iterator_traitsISE_E10value_typeEPNSK_ISF_E10value_typeEPSG_NS1_7vsmem_tEENKUlT_SE_SF_SG_E_clIS8_S8_S9_S9_EESD_ST_SE_SF_SG_EUlST_E1_NS1_11comp_targetILNS1_3genE8ELNS1_11target_archE1030ELNS1_3gpuE2ELNS1_3repE0EEENS1_36merge_oddeven_config_static_selectorELNS0_4arch9wavefront6targetE1EEEvSF_,"axG",@progbits,_ZN7rocprim17ROCPRIM_400000_NS6detail17trampoline_kernelINS0_14default_configENS1_38merge_sort_block_merge_config_selectorIlNS0_10empty_typeEEEZZNS1_27merge_sort_block_merge_implIS3_PlPS5_jNS1_19radix_merge_compareILb1ELb0ElNS0_19identity_decomposerEEEEE10hipError_tT0_T1_T2_jT3_P12ihipStream_tbPNSt15iterator_traitsISE_E10value_typeEPNSK_ISF_E10value_typeEPSG_NS1_7vsmem_tEENKUlT_SE_SF_SG_E_clIS8_S8_S9_S9_EESD_ST_SE_SF_SG_EUlST_E1_NS1_11comp_targetILNS1_3genE8ELNS1_11target_archE1030ELNS1_3gpuE2ELNS1_3repE0EEENS1_36merge_oddeven_config_static_selectorELNS0_4arch9wavefront6targetE1EEEvSF_,comdat
	.protected	_ZN7rocprim17ROCPRIM_400000_NS6detail17trampoline_kernelINS0_14default_configENS1_38merge_sort_block_merge_config_selectorIlNS0_10empty_typeEEEZZNS1_27merge_sort_block_merge_implIS3_PlPS5_jNS1_19radix_merge_compareILb1ELb0ElNS0_19identity_decomposerEEEEE10hipError_tT0_T1_T2_jT3_P12ihipStream_tbPNSt15iterator_traitsISE_E10value_typeEPNSK_ISF_E10value_typeEPSG_NS1_7vsmem_tEENKUlT_SE_SF_SG_E_clIS8_S8_S9_S9_EESD_ST_SE_SF_SG_EUlST_E1_NS1_11comp_targetILNS1_3genE8ELNS1_11target_archE1030ELNS1_3gpuE2ELNS1_3repE0EEENS1_36merge_oddeven_config_static_selectorELNS0_4arch9wavefront6targetE1EEEvSF_ ; -- Begin function _ZN7rocprim17ROCPRIM_400000_NS6detail17trampoline_kernelINS0_14default_configENS1_38merge_sort_block_merge_config_selectorIlNS0_10empty_typeEEEZZNS1_27merge_sort_block_merge_implIS3_PlPS5_jNS1_19radix_merge_compareILb1ELb0ElNS0_19identity_decomposerEEEEE10hipError_tT0_T1_T2_jT3_P12ihipStream_tbPNSt15iterator_traitsISE_E10value_typeEPNSK_ISF_E10value_typeEPSG_NS1_7vsmem_tEENKUlT_SE_SF_SG_E_clIS8_S8_S9_S9_EESD_ST_SE_SF_SG_EUlST_E1_NS1_11comp_targetILNS1_3genE8ELNS1_11target_archE1030ELNS1_3gpuE2ELNS1_3repE0EEENS1_36merge_oddeven_config_static_selectorELNS0_4arch9wavefront6targetE1EEEvSF_
	.globl	_ZN7rocprim17ROCPRIM_400000_NS6detail17trampoline_kernelINS0_14default_configENS1_38merge_sort_block_merge_config_selectorIlNS0_10empty_typeEEEZZNS1_27merge_sort_block_merge_implIS3_PlPS5_jNS1_19radix_merge_compareILb1ELb0ElNS0_19identity_decomposerEEEEE10hipError_tT0_T1_T2_jT3_P12ihipStream_tbPNSt15iterator_traitsISE_E10value_typeEPNSK_ISF_E10value_typeEPSG_NS1_7vsmem_tEENKUlT_SE_SF_SG_E_clIS8_S8_S9_S9_EESD_ST_SE_SF_SG_EUlST_E1_NS1_11comp_targetILNS1_3genE8ELNS1_11target_archE1030ELNS1_3gpuE2ELNS1_3repE0EEENS1_36merge_oddeven_config_static_selectorELNS0_4arch9wavefront6targetE1EEEvSF_
	.p2align	8
	.type	_ZN7rocprim17ROCPRIM_400000_NS6detail17trampoline_kernelINS0_14default_configENS1_38merge_sort_block_merge_config_selectorIlNS0_10empty_typeEEEZZNS1_27merge_sort_block_merge_implIS3_PlPS5_jNS1_19radix_merge_compareILb1ELb0ElNS0_19identity_decomposerEEEEE10hipError_tT0_T1_T2_jT3_P12ihipStream_tbPNSt15iterator_traitsISE_E10value_typeEPNSK_ISF_E10value_typeEPSG_NS1_7vsmem_tEENKUlT_SE_SF_SG_E_clIS8_S8_S9_S9_EESD_ST_SE_SF_SG_EUlST_E1_NS1_11comp_targetILNS1_3genE8ELNS1_11target_archE1030ELNS1_3gpuE2ELNS1_3repE0EEENS1_36merge_oddeven_config_static_selectorELNS0_4arch9wavefront6targetE1EEEvSF_,@function
_ZN7rocprim17ROCPRIM_400000_NS6detail17trampoline_kernelINS0_14default_configENS1_38merge_sort_block_merge_config_selectorIlNS0_10empty_typeEEEZZNS1_27merge_sort_block_merge_implIS3_PlPS5_jNS1_19radix_merge_compareILb1ELb0ElNS0_19identity_decomposerEEEEE10hipError_tT0_T1_T2_jT3_P12ihipStream_tbPNSt15iterator_traitsISE_E10value_typeEPNSK_ISF_E10value_typeEPSG_NS1_7vsmem_tEENKUlT_SE_SF_SG_E_clIS8_S8_S9_S9_EESD_ST_SE_SF_SG_EUlST_E1_NS1_11comp_targetILNS1_3genE8ELNS1_11target_archE1030ELNS1_3gpuE2ELNS1_3repE0EEENS1_36merge_oddeven_config_static_selectorELNS0_4arch9wavefront6targetE1EEEvSF_: ; @_ZN7rocprim17ROCPRIM_400000_NS6detail17trampoline_kernelINS0_14default_configENS1_38merge_sort_block_merge_config_selectorIlNS0_10empty_typeEEEZZNS1_27merge_sort_block_merge_implIS3_PlPS5_jNS1_19radix_merge_compareILb1ELb0ElNS0_19identity_decomposerEEEEE10hipError_tT0_T1_T2_jT3_P12ihipStream_tbPNSt15iterator_traitsISE_E10value_typeEPNSK_ISF_E10value_typeEPSG_NS1_7vsmem_tEENKUlT_SE_SF_SG_E_clIS8_S8_S9_S9_EESD_ST_SE_SF_SG_EUlST_E1_NS1_11comp_targetILNS1_3genE8ELNS1_11target_archE1030ELNS1_3gpuE2ELNS1_3repE0EEENS1_36merge_oddeven_config_static_selectorELNS0_4arch9wavefront6targetE1EEEvSF_
; %bb.0:
	.section	.rodata,"a",@progbits
	.p2align	6, 0x0
	.amdhsa_kernel _ZN7rocprim17ROCPRIM_400000_NS6detail17trampoline_kernelINS0_14default_configENS1_38merge_sort_block_merge_config_selectorIlNS0_10empty_typeEEEZZNS1_27merge_sort_block_merge_implIS3_PlPS5_jNS1_19radix_merge_compareILb1ELb0ElNS0_19identity_decomposerEEEEE10hipError_tT0_T1_T2_jT3_P12ihipStream_tbPNSt15iterator_traitsISE_E10value_typeEPNSK_ISF_E10value_typeEPSG_NS1_7vsmem_tEENKUlT_SE_SF_SG_E_clIS8_S8_S9_S9_EESD_ST_SE_SF_SG_EUlST_E1_NS1_11comp_targetILNS1_3genE8ELNS1_11target_archE1030ELNS1_3gpuE2ELNS1_3repE0EEENS1_36merge_oddeven_config_static_selectorELNS0_4arch9wavefront6targetE1EEEvSF_
		.amdhsa_group_segment_fixed_size 0
		.amdhsa_private_segment_fixed_size 0
		.amdhsa_kernarg_size 48
		.amdhsa_user_sgpr_count 6
		.amdhsa_user_sgpr_private_segment_buffer 1
		.amdhsa_user_sgpr_dispatch_ptr 0
		.amdhsa_user_sgpr_queue_ptr 0
		.amdhsa_user_sgpr_kernarg_segment_ptr 1
		.amdhsa_user_sgpr_dispatch_id 0
		.amdhsa_user_sgpr_flat_scratch_init 0
		.amdhsa_user_sgpr_kernarg_preload_length 0
		.amdhsa_user_sgpr_kernarg_preload_offset 0
		.amdhsa_user_sgpr_private_segment_size 0
		.amdhsa_uses_dynamic_stack 0
		.amdhsa_system_sgpr_private_segment_wavefront_offset 0
		.amdhsa_system_sgpr_workgroup_id_x 1
		.amdhsa_system_sgpr_workgroup_id_y 0
		.amdhsa_system_sgpr_workgroup_id_z 0
		.amdhsa_system_sgpr_workgroup_info 0
		.amdhsa_system_vgpr_workitem_id 0
		.amdhsa_next_free_vgpr 1
		.amdhsa_next_free_sgpr 0
		.amdhsa_accum_offset 4
		.amdhsa_reserve_vcc 0
		.amdhsa_reserve_flat_scratch 0
		.amdhsa_float_round_mode_32 0
		.amdhsa_float_round_mode_16_64 0
		.amdhsa_float_denorm_mode_32 3
		.amdhsa_float_denorm_mode_16_64 3
		.amdhsa_dx10_clamp 1
		.amdhsa_ieee_mode 1
		.amdhsa_fp16_overflow 0
		.amdhsa_tg_split 0
		.amdhsa_exception_fp_ieee_invalid_op 0
		.amdhsa_exception_fp_denorm_src 0
		.amdhsa_exception_fp_ieee_div_zero 0
		.amdhsa_exception_fp_ieee_overflow 0
		.amdhsa_exception_fp_ieee_underflow 0
		.amdhsa_exception_fp_ieee_inexact 0
		.amdhsa_exception_int_div_zero 0
	.end_amdhsa_kernel
	.section	.text._ZN7rocprim17ROCPRIM_400000_NS6detail17trampoline_kernelINS0_14default_configENS1_38merge_sort_block_merge_config_selectorIlNS0_10empty_typeEEEZZNS1_27merge_sort_block_merge_implIS3_PlPS5_jNS1_19radix_merge_compareILb1ELb0ElNS0_19identity_decomposerEEEEE10hipError_tT0_T1_T2_jT3_P12ihipStream_tbPNSt15iterator_traitsISE_E10value_typeEPNSK_ISF_E10value_typeEPSG_NS1_7vsmem_tEENKUlT_SE_SF_SG_E_clIS8_S8_S9_S9_EESD_ST_SE_SF_SG_EUlST_E1_NS1_11comp_targetILNS1_3genE8ELNS1_11target_archE1030ELNS1_3gpuE2ELNS1_3repE0EEENS1_36merge_oddeven_config_static_selectorELNS0_4arch9wavefront6targetE1EEEvSF_,"axG",@progbits,_ZN7rocprim17ROCPRIM_400000_NS6detail17trampoline_kernelINS0_14default_configENS1_38merge_sort_block_merge_config_selectorIlNS0_10empty_typeEEEZZNS1_27merge_sort_block_merge_implIS3_PlPS5_jNS1_19radix_merge_compareILb1ELb0ElNS0_19identity_decomposerEEEEE10hipError_tT0_T1_T2_jT3_P12ihipStream_tbPNSt15iterator_traitsISE_E10value_typeEPNSK_ISF_E10value_typeEPSG_NS1_7vsmem_tEENKUlT_SE_SF_SG_E_clIS8_S8_S9_S9_EESD_ST_SE_SF_SG_EUlST_E1_NS1_11comp_targetILNS1_3genE8ELNS1_11target_archE1030ELNS1_3gpuE2ELNS1_3repE0EEENS1_36merge_oddeven_config_static_selectorELNS0_4arch9wavefront6targetE1EEEvSF_,comdat
.Lfunc_end2155:
	.size	_ZN7rocprim17ROCPRIM_400000_NS6detail17trampoline_kernelINS0_14default_configENS1_38merge_sort_block_merge_config_selectorIlNS0_10empty_typeEEEZZNS1_27merge_sort_block_merge_implIS3_PlPS5_jNS1_19radix_merge_compareILb1ELb0ElNS0_19identity_decomposerEEEEE10hipError_tT0_T1_T2_jT3_P12ihipStream_tbPNSt15iterator_traitsISE_E10value_typeEPNSK_ISF_E10value_typeEPSG_NS1_7vsmem_tEENKUlT_SE_SF_SG_E_clIS8_S8_S9_S9_EESD_ST_SE_SF_SG_EUlST_E1_NS1_11comp_targetILNS1_3genE8ELNS1_11target_archE1030ELNS1_3gpuE2ELNS1_3repE0EEENS1_36merge_oddeven_config_static_selectorELNS0_4arch9wavefront6targetE1EEEvSF_, .Lfunc_end2155-_ZN7rocprim17ROCPRIM_400000_NS6detail17trampoline_kernelINS0_14default_configENS1_38merge_sort_block_merge_config_selectorIlNS0_10empty_typeEEEZZNS1_27merge_sort_block_merge_implIS3_PlPS5_jNS1_19radix_merge_compareILb1ELb0ElNS0_19identity_decomposerEEEEE10hipError_tT0_T1_T2_jT3_P12ihipStream_tbPNSt15iterator_traitsISE_E10value_typeEPNSK_ISF_E10value_typeEPSG_NS1_7vsmem_tEENKUlT_SE_SF_SG_E_clIS8_S8_S9_S9_EESD_ST_SE_SF_SG_EUlST_E1_NS1_11comp_targetILNS1_3genE8ELNS1_11target_archE1030ELNS1_3gpuE2ELNS1_3repE0EEENS1_36merge_oddeven_config_static_selectorELNS0_4arch9wavefront6targetE1EEEvSF_
                                        ; -- End function
	.section	.AMDGPU.csdata,"",@progbits
; Kernel info:
; codeLenInByte = 0
; NumSgprs: 4
; NumVgprs: 0
; NumAgprs: 0
; TotalNumVgprs: 0
; ScratchSize: 0
; MemoryBound: 0
; FloatMode: 240
; IeeeMode: 1
; LDSByteSize: 0 bytes/workgroup (compile time only)
; SGPRBlocks: 0
; VGPRBlocks: 0
; NumSGPRsForWavesPerEU: 4
; NumVGPRsForWavesPerEU: 1
; AccumOffset: 4
; Occupancy: 8
; WaveLimiterHint : 0
; COMPUTE_PGM_RSRC2:SCRATCH_EN: 0
; COMPUTE_PGM_RSRC2:USER_SGPR: 6
; COMPUTE_PGM_RSRC2:TRAP_HANDLER: 0
; COMPUTE_PGM_RSRC2:TGID_X_EN: 1
; COMPUTE_PGM_RSRC2:TGID_Y_EN: 0
; COMPUTE_PGM_RSRC2:TGID_Z_EN: 0
; COMPUTE_PGM_RSRC2:TIDIG_COMP_CNT: 0
; COMPUTE_PGM_RSRC3_GFX90A:ACCUM_OFFSET: 0
; COMPUTE_PGM_RSRC3_GFX90A:TG_SPLIT: 0
	.section	.text._ZN7rocprim17ROCPRIM_400000_NS6detail17trampoline_kernelINS0_14default_configENS1_38merge_sort_block_merge_config_selectorIlNS0_10empty_typeEEEZZNS1_27merge_sort_block_merge_implIS3_PlPS5_jNS1_19radix_merge_compareILb1ELb1ElNS0_19identity_decomposerEEEEE10hipError_tT0_T1_T2_jT3_P12ihipStream_tbPNSt15iterator_traitsISE_E10value_typeEPNSK_ISF_E10value_typeEPSG_NS1_7vsmem_tEENKUlT_SE_SF_SG_E_clIS8_S8_S9_S9_EESD_ST_SE_SF_SG_EUlST_E_NS1_11comp_targetILNS1_3genE0ELNS1_11target_archE4294967295ELNS1_3gpuE0ELNS1_3repE0EEENS1_48merge_mergepath_partition_config_static_selectorELNS0_4arch9wavefront6targetE1EEEvSF_,"axG",@progbits,_ZN7rocprim17ROCPRIM_400000_NS6detail17trampoline_kernelINS0_14default_configENS1_38merge_sort_block_merge_config_selectorIlNS0_10empty_typeEEEZZNS1_27merge_sort_block_merge_implIS3_PlPS5_jNS1_19radix_merge_compareILb1ELb1ElNS0_19identity_decomposerEEEEE10hipError_tT0_T1_T2_jT3_P12ihipStream_tbPNSt15iterator_traitsISE_E10value_typeEPNSK_ISF_E10value_typeEPSG_NS1_7vsmem_tEENKUlT_SE_SF_SG_E_clIS8_S8_S9_S9_EESD_ST_SE_SF_SG_EUlST_E_NS1_11comp_targetILNS1_3genE0ELNS1_11target_archE4294967295ELNS1_3gpuE0ELNS1_3repE0EEENS1_48merge_mergepath_partition_config_static_selectorELNS0_4arch9wavefront6targetE1EEEvSF_,comdat
	.protected	_ZN7rocprim17ROCPRIM_400000_NS6detail17trampoline_kernelINS0_14default_configENS1_38merge_sort_block_merge_config_selectorIlNS0_10empty_typeEEEZZNS1_27merge_sort_block_merge_implIS3_PlPS5_jNS1_19radix_merge_compareILb1ELb1ElNS0_19identity_decomposerEEEEE10hipError_tT0_T1_T2_jT3_P12ihipStream_tbPNSt15iterator_traitsISE_E10value_typeEPNSK_ISF_E10value_typeEPSG_NS1_7vsmem_tEENKUlT_SE_SF_SG_E_clIS8_S8_S9_S9_EESD_ST_SE_SF_SG_EUlST_E_NS1_11comp_targetILNS1_3genE0ELNS1_11target_archE4294967295ELNS1_3gpuE0ELNS1_3repE0EEENS1_48merge_mergepath_partition_config_static_selectorELNS0_4arch9wavefront6targetE1EEEvSF_ ; -- Begin function _ZN7rocprim17ROCPRIM_400000_NS6detail17trampoline_kernelINS0_14default_configENS1_38merge_sort_block_merge_config_selectorIlNS0_10empty_typeEEEZZNS1_27merge_sort_block_merge_implIS3_PlPS5_jNS1_19radix_merge_compareILb1ELb1ElNS0_19identity_decomposerEEEEE10hipError_tT0_T1_T2_jT3_P12ihipStream_tbPNSt15iterator_traitsISE_E10value_typeEPNSK_ISF_E10value_typeEPSG_NS1_7vsmem_tEENKUlT_SE_SF_SG_E_clIS8_S8_S9_S9_EESD_ST_SE_SF_SG_EUlST_E_NS1_11comp_targetILNS1_3genE0ELNS1_11target_archE4294967295ELNS1_3gpuE0ELNS1_3repE0EEENS1_48merge_mergepath_partition_config_static_selectorELNS0_4arch9wavefront6targetE1EEEvSF_
	.globl	_ZN7rocprim17ROCPRIM_400000_NS6detail17trampoline_kernelINS0_14default_configENS1_38merge_sort_block_merge_config_selectorIlNS0_10empty_typeEEEZZNS1_27merge_sort_block_merge_implIS3_PlPS5_jNS1_19radix_merge_compareILb1ELb1ElNS0_19identity_decomposerEEEEE10hipError_tT0_T1_T2_jT3_P12ihipStream_tbPNSt15iterator_traitsISE_E10value_typeEPNSK_ISF_E10value_typeEPSG_NS1_7vsmem_tEENKUlT_SE_SF_SG_E_clIS8_S8_S9_S9_EESD_ST_SE_SF_SG_EUlST_E_NS1_11comp_targetILNS1_3genE0ELNS1_11target_archE4294967295ELNS1_3gpuE0ELNS1_3repE0EEENS1_48merge_mergepath_partition_config_static_selectorELNS0_4arch9wavefront6targetE1EEEvSF_
	.p2align	8
	.type	_ZN7rocprim17ROCPRIM_400000_NS6detail17trampoline_kernelINS0_14default_configENS1_38merge_sort_block_merge_config_selectorIlNS0_10empty_typeEEEZZNS1_27merge_sort_block_merge_implIS3_PlPS5_jNS1_19radix_merge_compareILb1ELb1ElNS0_19identity_decomposerEEEEE10hipError_tT0_T1_T2_jT3_P12ihipStream_tbPNSt15iterator_traitsISE_E10value_typeEPNSK_ISF_E10value_typeEPSG_NS1_7vsmem_tEENKUlT_SE_SF_SG_E_clIS8_S8_S9_S9_EESD_ST_SE_SF_SG_EUlST_E_NS1_11comp_targetILNS1_3genE0ELNS1_11target_archE4294967295ELNS1_3gpuE0ELNS1_3repE0EEENS1_48merge_mergepath_partition_config_static_selectorELNS0_4arch9wavefront6targetE1EEEvSF_,@function
_ZN7rocprim17ROCPRIM_400000_NS6detail17trampoline_kernelINS0_14default_configENS1_38merge_sort_block_merge_config_selectorIlNS0_10empty_typeEEEZZNS1_27merge_sort_block_merge_implIS3_PlPS5_jNS1_19radix_merge_compareILb1ELb1ElNS0_19identity_decomposerEEEEE10hipError_tT0_T1_T2_jT3_P12ihipStream_tbPNSt15iterator_traitsISE_E10value_typeEPNSK_ISF_E10value_typeEPSG_NS1_7vsmem_tEENKUlT_SE_SF_SG_E_clIS8_S8_S9_S9_EESD_ST_SE_SF_SG_EUlST_E_NS1_11comp_targetILNS1_3genE0ELNS1_11target_archE4294967295ELNS1_3gpuE0ELNS1_3repE0EEENS1_48merge_mergepath_partition_config_static_selectorELNS0_4arch9wavefront6targetE1EEEvSF_: ; @_ZN7rocprim17ROCPRIM_400000_NS6detail17trampoline_kernelINS0_14default_configENS1_38merge_sort_block_merge_config_selectorIlNS0_10empty_typeEEEZZNS1_27merge_sort_block_merge_implIS3_PlPS5_jNS1_19radix_merge_compareILb1ELb1ElNS0_19identity_decomposerEEEEE10hipError_tT0_T1_T2_jT3_P12ihipStream_tbPNSt15iterator_traitsISE_E10value_typeEPNSK_ISF_E10value_typeEPSG_NS1_7vsmem_tEENKUlT_SE_SF_SG_E_clIS8_S8_S9_S9_EESD_ST_SE_SF_SG_EUlST_E_NS1_11comp_targetILNS1_3genE0ELNS1_11target_archE4294967295ELNS1_3gpuE0ELNS1_3repE0EEENS1_48merge_mergepath_partition_config_static_selectorELNS0_4arch9wavefront6targetE1EEEvSF_
; %bb.0:
	.section	.rodata,"a",@progbits
	.p2align	6, 0x0
	.amdhsa_kernel _ZN7rocprim17ROCPRIM_400000_NS6detail17trampoline_kernelINS0_14default_configENS1_38merge_sort_block_merge_config_selectorIlNS0_10empty_typeEEEZZNS1_27merge_sort_block_merge_implIS3_PlPS5_jNS1_19radix_merge_compareILb1ELb1ElNS0_19identity_decomposerEEEEE10hipError_tT0_T1_T2_jT3_P12ihipStream_tbPNSt15iterator_traitsISE_E10value_typeEPNSK_ISF_E10value_typeEPSG_NS1_7vsmem_tEENKUlT_SE_SF_SG_E_clIS8_S8_S9_S9_EESD_ST_SE_SF_SG_EUlST_E_NS1_11comp_targetILNS1_3genE0ELNS1_11target_archE4294967295ELNS1_3gpuE0ELNS1_3repE0EEENS1_48merge_mergepath_partition_config_static_selectorELNS0_4arch9wavefront6targetE1EEEvSF_
		.amdhsa_group_segment_fixed_size 0
		.amdhsa_private_segment_fixed_size 0
		.amdhsa_kernarg_size 40
		.amdhsa_user_sgpr_count 6
		.amdhsa_user_sgpr_private_segment_buffer 1
		.amdhsa_user_sgpr_dispatch_ptr 0
		.amdhsa_user_sgpr_queue_ptr 0
		.amdhsa_user_sgpr_kernarg_segment_ptr 1
		.amdhsa_user_sgpr_dispatch_id 0
		.amdhsa_user_sgpr_flat_scratch_init 0
		.amdhsa_user_sgpr_kernarg_preload_length 0
		.amdhsa_user_sgpr_kernarg_preload_offset 0
		.amdhsa_user_sgpr_private_segment_size 0
		.amdhsa_uses_dynamic_stack 0
		.amdhsa_system_sgpr_private_segment_wavefront_offset 0
		.amdhsa_system_sgpr_workgroup_id_x 1
		.amdhsa_system_sgpr_workgroup_id_y 0
		.amdhsa_system_sgpr_workgroup_id_z 0
		.amdhsa_system_sgpr_workgroup_info 0
		.amdhsa_system_vgpr_workitem_id 0
		.amdhsa_next_free_vgpr 1
		.amdhsa_next_free_sgpr 0
		.amdhsa_accum_offset 4
		.amdhsa_reserve_vcc 0
		.amdhsa_reserve_flat_scratch 0
		.amdhsa_float_round_mode_32 0
		.amdhsa_float_round_mode_16_64 0
		.amdhsa_float_denorm_mode_32 3
		.amdhsa_float_denorm_mode_16_64 3
		.amdhsa_dx10_clamp 1
		.amdhsa_ieee_mode 1
		.amdhsa_fp16_overflow 0
		.amdhsa_tg_split 0
		.amdhsa_exception_fp_ieee_invalid_op 0
		.amdhsa_exception_fp_denorm_src 0
		.amdhsa_exception_fp_ieee_div_zero 0
		.amdhsa_exception_fp_ieee_overflow 0
		.amdhsa_exception_fp_ieee_underflow 0
		.amdhsa_exception_fp_ieee_inexact 0
		.amdhsa_exception_int_div_zero 0
	.end_amdhsa_kernel
	.section	.text._ZN7rocprim17ROCPRIM_400000_NS6detail17trampoline_kernelINS0_14default_configENS1_38merge_sort_block_merge_config_selectorIlNS0_10empty_typeEEEZZNS1_27merge_sort_block_merge_implIS3_PlPS5_jNS1_19radix_merge_compareILb1ELb1ElNS0_19identity_decomposerEEEEE10hipError_tT0_T1_T2_jT3_P12ihipStream_tbPNSt15iterator_traitsISE_E10value_typeEPNSK_ISF_E10value_typeEPSG_NS1_7vsmem_tEENKUlT_SE_SF_SG_E_clIS8_S8_S9_S9_EESD_ST_SE_SF_SG_EUlST_E_NS1_11comp_targetILNS1_3genE0ELNS1_11target_archE4294967295ELNS1_3gpuE0ELNS1_3repE0EEENS1_48merge_mergepath_partition_config_static_selectorELNS0_4arch9wavefront6targetE1EEEvSF_,"axG",@progbits,_ZN7rocprim17ROCPRIM_400000_NS6detail17trampoline_kernelINS0_14default_configENS1_38merge_sort_block_merge_config_selectorIlNS0_10empty_typeEEEZZNS1_27merge_sort_block_merge_implIS3_PlPS5_jNS1_19radix_merge_compareILb1ELb1ElNS0_19identity_decomposerEEEEE10hipError_tT0_T1_T2_jT3_P12ihipStream_tbPNSt15iterator_traitsISE_E10value_typeEPNSK_ISF_E10value_typeEPSG_NS1_7vsmem_tEENKUlT_SE_SF_SG_E_clIS8_S8_S9_S9_EESD_ST_SE_SF_SG_EUlST_E_NS1_11comp_targetILNS1_3genE0ELNS1_11target_archE4294967295ELNS1_3gpuE0ELNS1_3repE0EEENS1_48merge_mergepath_partition_config_static_selectorELNS0_4arch9wavefront6targetE1EEEvSF_,comdat
.Lfunc_end2156:
	.size	_ZN7rocprim17ROCPRIM_400000_NS6detail17trampoline_kernelINS0_14default_configENS1_38merge_sort_block_merge_config_selectorIlNS0_10empty_typeEEEZZNS1_27merge_sort_block_merge_implIS3_PlPS5_jNS1_19radix_merge_compareILb1ELb1ElNS0_19identity_decomposerEEEEE10hipError_tT0_T1_T2_jT3_P12ihipStream_tbPNSt15iterator_traitsISE_E10value_typeEPNSK_ISF_E10value_typeEPSG_NS1_7vsmem_tEENKUlT_SE_SF_SG_E_clIS8_S8_S9_S9_EESD_ST_SE_SF_SG_EUlST_E_NS1_11comp_targetILNS1_3genE0ELNS1_11target_archE4294967295ELNS1_3gpuE0ELNS1_3repE0EEENS1_48merge_mergepath_partition_config_static_selectorELNS0_4arch9wavefront6targetE1EEEvSF_, .Lfunc_end2156-_ZN7rocprim17ROCPRIM_400000_NS6detail17trampoline_kernelINS0_14default_configENS1_38merge_sort_block_merge_config_selectorIlNS0_10empty_typeEEEZZNS1_27merge_sort_block_merge_implIS3_PlPS5_jNS1_19radix_merge_compareILb1ELb1ElNS0_19identity_decomposerEEEEE10hipError_tT0_T1_T2_jT3_P12ihipStream_tbPNSt15iterator_traitsISE_E10value_typeEPNSK_ISF_E10value_typeEPSG_NS1_7vsmem_tEENKUlT_SE_SF_SG_E_clIS8_S8_S9_S9_EESD_ST_SE_SF_SG_EUlST_E_NS1_11comp_targetILNS1_3genE0ELNS1_11target_archE4294967295ELNS1_3gpuE0ELNS1_3repE0EEENS1_48merge_mergepath_partition_config_static_selectorELNS0_4arch9wavefront6targetE1EEEvSF_
                                        ; -- End function
	.section	.AMDGPU.csdata,"",@progbits
; Kernel info:
; codeLenInByte = 0
; NumSgprs: 4
; NumVgprs: 0
; NumAgprs: 0
; TotalNumVgprs: 0
; ScratchSize: 0
; MemoryBound: 0
; FloatMode: 240
; IeeeMode: 1
; LDSByteSize: 0 bytes/workgroup (compile time only)
; SGPRBlocks: 0
; VGPRBlocks: 0
; NumSGPRsForWavesPerEU: 4
; NumVGPRsForWavesPerEU: 1
; AccumOffset: 4
; Occupancy: 8
; WaveLimiterHint : 0
; COMPUTE_PGM_RSRC2:SCRATCH_EN: 0
; COMPUTE_PGM_RSRC2:USER_SGPR: 6
; COMPUTE_PGM_RSRC2:TRAP_HANDLER: 0
; COMPUTE_PGM_RSRC2:TGID_X_EN: 1
; COMPUTE_PGM_RSRC2:TGID_Y_EN: 0
; COMPUTE_PGM_RSRC2:TGID_Z_EN: 0
; COMPUTE_PGM_RSRC2:TIDIG_COMP_CNT: 0
; COMPUTE_PGM_RSRC3_GFX90A:ACCUM_OFFSET: 0
; COMPUTE_PGM_RSRC3_GFX90A:TG_SPLIT: 0
	.section	.text._ZN7rocprim17ROCPRIM_400000_NS6detail17trampoline_kernelINS0_14default_configENS1_38merge_sort_block_merge_config_selectorIlNS0_10empty_typeEEEZZNS1_27merge_sort_block_merge_implIS3_PlPS5_jNS1_19radix_merge_compareILb1ELb1ElNS0_19identity_decomposerEEEEE10hipError_tT0_T1_T2_jT3_P12ihipStream_tbPNSt15iterator_traitsISE_E10value_typeEPNSK_ISF_E10value_typeEPSG_NS1_7vsmem_tEENKUlT_SE_SF_SG_E_clIS8_S8_S9_S9_EESD_ST_SE_SF_SG_EUlST_E_NS1_11comp_targetILNS1_3genE10ELNS1_11target_archE1201ELNS1_3gpuE5ELNS1_3repE0EEENS1_48merge_mergepath_partition_config_static_selectorELNS0_4arch9wavefront6targetE1EEEvSF_,"axG",@progbits,_ZN7rocprim17ROCPRIM_400000_NS6detail17trampoline_kernelINS0_14default_configENS1_38merge_sort_block_merge_config_selectorIlNS0_10empty_typeEEEZZNS1_27merge_sort_block_merge_implIS3_PlPS5_jNS1_19radix_merge_compareILb1ELb1ElNS0_19identity_decomposerEEEEE10hipError_tT0_T1_T2_jT3_P12ihipStream_tbPNSt15iterator_traitsISE_E10value_typeEPNSK_ISF_E10value_typeEPSG_NS1_7vsmem_tEENKUlT_SE_SF_SG_E_clIS8_S8_S9_S9_EESD_ST_SE_SF_SG_EUlST_E_NS1_11comp_targetILNS1_3genE10ELNS1_11target_archE1201ELNS1_3gpuE5ELNS1_3repE0EEENS1_48merge_mergepath_partition_config_static_selectorELNS0_4arch9wavefront6targetE1EEEvSF_,comdat
	.protected	_ZN7rocprim17ROCPRIM_400000_NS6detail17trampoline_kernelINS0_14default_configENS1_38merge_sort_block_merge_config_selectorIlNS0_10empty_typeEEEZZNS1_27merge_sort_block_merge_implIS3_PlPS5_jNS1_19radix_merge_compareILb1ELb1ElNS0_19identity_decomposerEEEEE10hipError_tT0_T1_T2_jT3_P12ihipStream_tbPNSt15iterator_traitsISE_E10value_typeEPNSK_ISF_E10value_typeEPSG_NS1_7vsmem_tEENKUlT_SE_SF_SG_E_clIS8_S8_S9_S9_EESD_ST_SE_SF_SG_EUlST_E_NS1_11comp_targetILNS1_3genE10ELNS1_11target_archE1201ELNS1_3gpuE5ELNS1_3repE0EEENS1_48merge_mergepath_partition_config_static_selectorELNS0_4arch9wavefront6targetE1EEEvSF_ ; -- Begin function _ZN7rocprim17ROCPRIM_400000_NS6detail17trampoline_kernelINS0_14default_configENS1_38merge_sort_block_merge_config_selectorIlNS0_10empty_typeEEEZZNS1_27merge_sort_block_merge_implIS3_PlPS5_jNS1_19radix_merge_compareILb1ELb1ElNS0_19identity_decomposerEEEEE10hipError_tT0_T1_T2_jT3_P12ihipStream_tbPNSt15iterator_traitsISE_E10value_typeEPNSK_ISF_E10value_typeEPSG_NS1_7vsmem_tEENKUlT_SE_SF_SG_E_clIS8_S8_S9_S9_EESD_ST_SE_SF_SG_EUlST_E_NS1_11comp_targetILNS1_3genE10ELNS1_11target_archE1201ELNS1_3gpuE5ELNS1_3repE0EEENS1_48merge_mergepath_partition_config_static_selectorELNS0_4arch9wavefront6targetE1EEEvSF_
	.globl	_ZN7rocprim17ROCPRIM_400000_NS6detail17trampoline_kernelINS0_14default_configENS1_38merge_sort_block_merge_config_selectorIlNS0_10empty_typeEEEZZNS1_27merge_sort_block_merge_implIS3_PlPS5_jNS1_19radix_merge_compareILb1ELb1ElNS0_19identity_decomposerEEEEE10hipError_tT0_T1_T2_jT3_P12ihipStream_tbPNSt15iterator_traitsISE_E10value_typeEPNSK_ISF_E10value_typeEPSG_NS1_7vsmem_tEENKUlT_SE_SF_SG_E_clIS8_S8_S9_S9_EESD_ST_SE_SF_SG_EUlST_E_NS1_11comp_targetILNS1_3genE10ELNS1_11target_archE1201ELNS1_3gpuE5ELNS1_3repE0EEENS1_48merge_mergepath_partition_config_static_selectorELNS0_4arch9wavefront6targetE1EEEvSF_
	.p2align	8
	.type	_ZN7rocprim17ROCPRIM_400000_NS6detail17trampoline_kernelINS0_14default_configENS1_38merge_sort_block_merge_config_selectorIlNS0_10empty_typeEEEZZNS1_27merge_sort_block_merge_implIS3_PlPS5_jNS1_19radix_merge_compareILb1ELb1ElNS0_19identity_decomposerEEEEE10hipError_tT0_T1_T2_jT3_P12ihipStream_tbPNSt15iterator_traitsISE_E10value_typeEPNSK_ISF_E10value_typeEPSG_NS1_7vsmem_tEENKUlT_SE_SF_SG_E_clIS8_S8_S9_S9_EESD_ST_SE_SF_SG_EUlST_E_NS1_11comp_targetILNS1_3genE10ELNS1_11target_archE1201ELNS1_3gpuE5ELNS1_3repE0EEENS1_48merge_mergepath_partition_config_static_selectorELNS0_4arch9wavefront6targetE1EEEvSF_,@function
_ZN7rocprim17ROCPRIM_400000_NS6detail17trampoline_kernelINS0_14default_configENS1_38merge_sort_block_merge_config_selectorIlNS0_10empty_typeEEEZZNS1_27merge_sort_block_merge_implIS3_PlPS5_jNS1_19radix_merge_compareILb1ELb1ElNS0_19identity_decomposerEEEEE10hipError_tT0_T1_T2_jT3_P12ihipStream_tbPNSt15iterator_traitsISE_E10value_typeEPNSK_ISF_E10value_typeEPSG_NS1_7vsmem_tEENKUlT_SE_SF_SG_E_clIS8_S8_S9_S9_EESD_ST_SE_SF_SG_EUlST_E_NS1_11comp_targetILNS1_3genE10ELNS1_11target_archE1201ELNS1_3gpuE5ELNS1_3repE0EEENS1_48merge_mergepath_partition_config_static_selectorELNS0_4arch9wavefront6targetE1EEEvSF_: ; @_ZN7rocprim17ROCPRIM_400000_NS6detail17trampoline_kernelINS0_14default_configENS1_38merge_sort_block_merge_config_selectorIlNS0_10empty_typeEEEZZNS1_27merge_sort_block_merge_implIS3_PlPS5_jNS1_19radix_merge_compareILb1ELb1ElNS0_19identity_decomposerEEEEE10hipError_tT0_T1_T2_jT3_P12ihipStream_tbPNSt15iterator_traitsISE_E10value_typeEPNSK_ISF_E10value_typeEPSG_NS1_7vsmem_tEENKUlT_SE_SF_SG_E_clIS8_S8_S9_S9_EESD_ST_SE_SF_SG_EUlST_E_NS1_11comp_targetILNS1_3genE10ELNS1_11target_archE1201ELNS1_3gpuE5ELNS1_3repE0EEENS1_48merge_mergepath_partition_config_static_selectorELNS0_4arch9wavefront6targetE1EEEvSF_
; %bb.0:
	.section	.rodata,"a",@progbits
	.p2align	6, 0x0
	.amdhsa_kernel _ZN7rocprim17ROCPRIM_400000_NS6detail17trampoline_kernelINS0_14default_configENS1_38merge_sort_block_merge_config_selectorIlNS0_10empty_typeEEEZZNS1_27merge_sort_block_merge_implIS3_PlPS5_jNS1_19radix_merge_compareILb1ELb1ElNS0_19identity_decomposerEEEEE10hipError_tT0_T1_T2_jT3_P12ihipStream_tbPNSt15iterator_traitsISE_E10value_typeEPNSK_ISF_E10value_typeEPSG_NS1_7vsmem_tEENKUlT_SE_SF_SG_E_clIS8_S8_S9_S9_EESD_ST_SE_SF_SG_EUlST_E_NS1_11comp_targetILNS1_3genE10ELNS1_11target_archE1201ELNS1_3gpuE5ELNS1_3repE0EEENS1_48merge_mergepath_partition_config_static_selectorELNS0_4arch9wavefront6targetE1EEEvSF_
		.amdhsa_group_segment_fixed_size 0
		.amdhsa_private_segment_fixed_size 0
		.amdhsa_kernarg_size 40
		.amdhsa_user_sgpr_count 6
		.amdhsa_user_sgpr_private_segment_buffer 1
		.amdhsa_user_sgpr_dispatch_ptr 0
		.amdhsa_user_sgpr_queue_ptr 0
		.amdhsa_user_sgpr_kernarg_segment_ptr 1
		.amdhsa_user_sgpr_dispatch_id 0
		.amdhsa_user_sgpr_flat_scratch_init 0
		.amdhsa_user_sgpr_kernarg_preload_length 0
		.amdhsa_user_sgpr_kernarg_preload_offset 0
		.amdhsa_user_sgpr_private_segment_size 0
		.amdhsa_uses_dynamic_stack 0
		.amdhsa_system_sgpr_private_segment_wavefront_offset 0
		.amdhsa_system_sgpr_workgroup_id_x 1
		.amdhsa_system_sgpr_workgroup_id_y 0
		.amdhsa_system_sgpr_workgroup_id_z 0
		.amdhsa_system_sgpr_workgroup_info 0
		.amdhsa_system_vgpr_workitem_id 0
		.amdhsa_next_free_vgpr 1
		.amdhsa_next_free_sgpr 0
		.amdhsa_accum_offset 4
		.amdhsa_reserve_vcc 0
		.amdhsa_reserve_flat_scratch 0
		.amdhsa_float_round_mode_32 0
		.amdhsa_float_round_mode_16_64 0
		.amdhsa_float_denorm_mode_32 3
		.amdhsa_float_denorm_mode_16_64 3
		.amdhsa_dx10_clamp 1
		.amdhsa_ieee_mode 1
		.amdhsa_fp16_overflow 0
		.amdhsa_tg_split 0
		.amdhsa_exception_fp_ieee_invalid_op 0
		.amdhsa_exception_fp_denorm_src 0
		.amdhsa_exception_fp_ieee_div_zero 0
		.amdhsa_exception_fp_ieee_overflow 0
		.amdhsa_exception_fp_ieee_underflow 0
		.amdhsa_exception_fp_ieee_inexact 0
		.amdhsa_exception_int_div_zero 0
	.end_amdhsa_kernel
	.section	.text._ZN7rocprim17ROCPRIM_400000_NS6detail17trampoline_kernelINS0_14default_configENS1_38merge_sort_block_merge_config_selectorIlNS0_10empty_typeEEEZZNS1_27merge_sort_block_merge_implIS3_PlPS5_jNS1_19radix_merge_compareILb1ELb1ElNS0_19identity_decomposerEEEEE10hipError_tT0_T1_T2_jT3_P12ihipStream_tbPNSt15iterator_traitsISE_E10value_typeEPNSK_ISF_E10value_typeEPSG_NS1_7vsmem_tEENKUlT_SE_SF_SG_E_clIS8_S8_S9_S9_EESD_ST_SE_SF_SG_EUlST_E_NS1_11comp_targetILNS1_3genE10ELNS1_11target_archE1201ELNS1_3gpuE5ELNS1_3repE0EEENS1_48merge_mergepath_partition_config_static_selectorELNS0_4arch9wavefront6targetE1EEEvSF_,"axG",@progbits,_ZN7rocprim17ROCPRIM_400000_NS6detail17trampoline_kernelINS0_14default_configENS1_38merge_sort_block_merge_config_selectorIlNS0_10empty_typeEEEZZNS1_27merge_sort_block_merge_implIS3_PlPS5_jNS1_19radix_merge_compareILb1ELb1ElNS0_19identity_decomposerEEEEE10hipError_tT0_T1_T2_jT3_P12ihipStream_tbPNSt15iterator_traitsISE_E10value_typeEPNSK_ISF_E10value_typeEPSG_NS1_7vsmem_tEENKUlT_SE_SF_SG_E_clIS8_S8_S9_S9_EESD_ST_SE_SF_SG_EUlST_E_NS1_11comp_targetILNS1_3genE10ELNS1_11target_archE1201ELNS1_3gpuE5ELNS1_3repE0EEENS1_48merge_mergepath_partition_config_static_selectorELNS0_4arch9wavefront6targetE1EEEvSF_,comdat
.Lfunc_end2157:
	.size	_ZN7rocprim17ROCPRIM_400000_NS6detail17trampoline_kernelINS0_14default_configENS1_38merge_sort_block_merge_config_selectorIlNS0_10empty_typeEEEZZNS1_27merge_sort_block_merge_implIS3_PlPS5_jNS1_19radix_merge_compareILb1ELb1ElNS0_19identity_decomposerEEEEE10hipError_tT0_T1_T2_jT3_P12ihipStream_tbPNSt15iterator_traitsISE_E10value_typeEPNSK_ISF_E10value_typeEPSG_NS1_7vsmem_tEENKUlT_SE_SF_SG_E_clIS8_S8_S9_S9_EESD_ST_SE_SF_SG_EUlST_E_NS1_11comp_targetILNS1_3genE10ELNS1_11target_archE1201ELNS1_3gpuE5ELNS1_3repE0EEENS1_48merge_mergepath_partition_config_static_selectorELNS0_4arch9wavefront6targetE1EEEvSF_, .Lfunc_end2157-_ZN7rocprim17ROCPRIM_400000_NS6detail17trampoline_kernelINS0_14default_configENS1_38merge_sort_block_merge_config_selectorIlNS0_10empty_typeEEEZZNS1_27merge_sort_block_merge_implIS3_PlPS5_jNS1_19radix_merge_compareILb1ELb1ElNS0_19identity_decomposerEEEEE10hipError_tT0_T1_T2_jT3_P12ihipStream_tbPNSt15iterator_traitsISE_E10value_typeEPNSK_ISF_E10value_typeEPSG_NS1_7vsmem_tEENKUlT_SE_SF_SG_E_clIS8_S8_S9_S9_EESD_ST_SE_SF_SG_EUlST_E_NS1_11comp_targetILNS1_3genE10ELNS1_11target_archE1201ELNS1_3gpuE5ELNS1_3repE0EEENS1_48merge_mergepath_partition_config_static_selectorELNS0_4arch9wavefront6targetE1EEEvSF_
                                        ; -- End function
	.section	.AMDGPU.csdata,"",@progbits
; Kernel info:
; codeLenInByte = 0
; NumSgprs: 4
; NumVgprs: 0
; NumAgprs: 0
; TotalNumVgprs: 0
; ScratchSize: 0
; MemoryBound: 0
; FloatMode: 240
; IeeeMode: 1
; LDSByteSize: 0 bytes/workgroup (compile time only)
; SGPRBlocks: 0
; VGPRBlocks: 0
; NumSGPRsForWavesPerEU: 4
; NumVGPRsForWavesPerEU: 1
; AccumOffset: 4
; Occupancy: 8
; WaveLimiterHint : 0
; COMPUTE_PGM_RSRC2:SCRATCH_EN: 0
; COMPUTE_PGM_RSRC2:USER_SGPR: 6
; COMPUTE_PGM_RSRC2:TRAP_HANDLER: 0
; COMPUTE_PGM_RSRC2:TGID_X_EN: 1
; COMPUTE_PGM_RSRC2:TGID_Y_EN: 0
; COMPUTE_PGM_RSRC2:TGID_Z_EN: 0
; COMPUTE_PGM_RSRC2:TIDIG_COMP_CNT: 0
; COMPUTE_PGM_RSRC3_GFX90A:ACCUM_OFFSET: 0
; COMPUTE_PGM_RSRC3_GFX90A:TG_SPLIT: 0
	.section	.text._ZN7rocprim17ROCPRIM_400000_NS6detail17trampoline_kernelINS0_14default_configENS1_38merge_sort_block_merge_config_selectorIlNS0_10empty_typeEEEZZNS1_27merge_sort_block_merge_implIS3_PlPS5_jNS1_19radix_merge_compareILb1ELb1ElNS0_19identity_decomposerEEEEE10hipError_tT0_T1_T2_jT3_P12ihipStream_tbPNSt15iterator_traitsISE_E10value_typeEPNSK_ISF_E10value_typeEPSG_NS1_7vsmem_tEENKUlT_SE_SF_SG_E_clIS8_S8_S9_S9_EESD_ST_SE_SF_SG_EUlST_E_NS1_11comp_targetILNS1_3genE5ELNS1_11target_archE942ELNS1_3gpuE9ELNS1_3repE0EEENS1_48merge_mergepath_partition_config_static_selectorELNS0_4arch9wavefront6targetE1EEEvSF_,"axG",@progbits,_ZN7rocprim17ROCPRIM_400000_NS6detail17trampoline_kernelINS0_14default_configENS1_38merge_sort_block_merge_config_selectorIlNS0_10empty_typeEEEZZNS1_27merge_sort_block_merge_implIS3_PlPS5_jNS1_19radix_merge_compareILb1ELb1ElNS0_19identity_decomposerEEEEE10hipError_tT0_T1_T2_jT3_P12ihipStream_tbPNSt15iterator_traitsISE_E10value_typeEPNSK_ISF_E10value_typeEPSG_NS1_7vsmem_tEENKUlT_SE_SF_SG_E_clIS8_S8_S9_S9_EESD_ST_SE_SF_SG_EUlST_E_NS1_11comp_targetILNS1_3genE5ELNS1_11target_archE942ELNS1_3gpuE9ELNS1_3repE0EEENS1_48merge_mergepath_partition_config_static_selectorELNS0_4arch9wavefront6targetE1EEEvSF_,comdat
	.protected	_ZN7rocprim17ROCPRIM_400000_NS6detail17trampoline_kernelINS0_14default_configENS1_38merge_sort_block_merge_config_selectorIlNS0_10empty_typeEEEZZNS1_27merge_sort_block_merge_implIS3_PlPS5_jNS1_19radix_merge_compareILb1ELb1ElNS0_19identity_decomposerEEEEE10hipError_tT0_T1_T2_jT3_P12ihipStream_tbPNSt15iterator_traitsISE_E10value_typeEPNSK_ISF_E10value_typeEPSG_NS1_7vsmem_tEENKUlT_SE_SF_SG_E_clIS8_S8_S9_S9_EESD_ST_SE_SF_SG_EUlST_E_NS1_11comp_targetILNS1_3genE5ELNS1_11target_archE942ELNS1_3gpuE9ELNS1_3repE0EEENS1_48merge_mergepath_partition_config_static_selectorELNS0_4arch9wavefront6targetE1EEEvSF_ ; -- Begin function _ZN7rocprim17ROCPRIM_400000_NS6detail17trampoline_kernelINS0_14default_configENS1_38merge_sort_block_merge_config_selectorIlNS0_10empty_typeEEEZZNS1_27merge_sort_block_merge_implIS3_PlPS5_jNS1_19radix_merge_compareILb1ELb1ElNS0_19identity_decomposerEEEEE10hipError_tT0_T1_T2_jT3_P12ihipStream_tbPNSt15iterator_traitsISE_E10value_typeEPNSK_ISF_E10value_typeEPSG_NS1_7vsmem_tEENKUlT_SE_SF_SG_E_clIS8_S8_S9_S9_EESD_ST_SE_SF_SG_EUlST_E_NS1_11comp_targetILNS1_3genE5ELNS1_11target_archE942ELNS1_3gpuE9ELNS1_3repE0EEENS1_48merge_mergepath_partition_config_static_selectorELNS0_4arch9wavefront6targetE1EEEvSF_
	.globl	_ZN7rocprim17ROCPRIM_400000_NS6detail17trampoline_kernelINS0_14default_configENS1_38merge_sort_block_merge_config_selectorIlNS0_10empty_typeEEEZZNS1_27merge_sort_block_merge_implIS3_PlPS5_jNS1_19radix_merge_compareILb1ELb1ElNS0_19identity_decomposerEEEEE10hipError_tT0_T1_T2_jT3_P12ihipStream_tbPNSt15iterator_traitsISE_E10value_typeEPNSK_ISF_E10value_typeEPSG_NS1_7vsmem_tEENKUlT_SE_SF_SG_E_clIS8_S8_S9_S9_EESD_ST_SE_SF_SG_EUlST_E_NS1_11comp_targetILNS1_3genE5ELNS1_11target_archE942ELNS1_3gpuE9ELNS1_3repE0EEENS1_48merge_mergepath_partition_config_static_selectorELNS0_4arch9wavefront6targetE1EEEvSF_
	.p2align	8
	.type	_ZN7rocprim17ROCPRIM_400000_NS6detail17trampoline_kernelINS0_14default_configENS1_38merge_sort_block_merge_config_selectorIlNS0_10empty_typeEEEZZNS1_27merge_sort_block_merge_implIS3_PlPS5_jNS1_19radix_merge_compareILb1ELb1ElNS0_19identity_decomposerEEEEE10hipError_tT0_T1_T2_jT3_P12ihipStream_tbPNSt15iterator_traitsISE_E10value_typeEPNSK_ISF_E10value_typeEPSG_NS1_7vsmem_tEENKUlT_SE_SF_SG_E_clIS8_S8_S9_S9_EESD_ST_SE_SF_SG_EUlST_E_NS1_11comp_targetILNS1_3genE5ELNS1_11target_archE942ELNS1_3gpuE9ELNS1_3repE0EEENS1_48merge_mergepath_partition_config_static_selectorELNS0_4arch9wavefront6targetE1EEEvSF_,@function
_ZN7rocprim17ROCPRIM_400000_NS6detail17trampoline_kernelINS0_14default_configENS1_38merge_sort_block_merge_config_selectorIlNS0_10empty_typeEEEZZNS1_27merge_sort_block_merge_implIS3_PlPS5_jNS1_19radix_merge_compareILb1ELb1ElNS0_19identity_decomposerEEEEE10hipError_tT0_T1_T2_jT3_P12ihipStream_tbPNSt15iterator_traitsISE_E10value_typeEPNSK_ISF_E10value_typeEPSG_NS1_7vsmem_tEENKUlT_SE_SF_SG_E_clIS8_S8_S9_S9_EESD_ST_SE_SF_SG_EUlST_E_NS1_11comp_targetILNS1_3genE5ELNS1_11target_archE942ELNS1_3gpuE9ELNS1_3repE0EEENS1_48merge_mergepath_partition_config_static_selectorELNS0_4arch9wavefront6targetE1EEEvSF_: ; @_ZN7rocprim17ROCPRIM_400000_NS6detail17trampoline_kernelINS0_14default_configENS1_38merge_sort_block_merge_config_selectorIlNS0_10empty_typeEEEZZNS1_27merge_sort_block_merge_implIS3_PlPS5_jNS1_19radix_merge_compareILb1ELb1ElNS0_19identity_decomposerEEEEE10hipError_tT0_T1_T2_jT3_P12ihipStream_tbPNSt15iterator_traitsISE_E10value_typeEPNSK_ISF_E10value_typeEPSG_NS1_7vsmem_tEENKUlT_SE_SF_SG_E_clIS8_S8_S9_S9_EESD_ST_SE_SF_SG_EUlST_E_NS1_11comp_targetILNS1_3genE5ELNS1_11target_archE942ELNS1_3gpuE9ELNS1_3repE0EEENS1_48merge_mergepath_partition_config_static_selectorELNS0_4arch9wavefront6targetE1EEEvSF_
; %bb.0:
	.section	.rodata,"a",@progbits
	.p2align	6, 0x0
	.amdhsa_kernel _ZN7rocprim17ROCPRIM_400000_NS6detail17trampoline_kernelINS0_14default_configENS1_38merge_sort_block_merge_config_selectorIlNS0_10empty_typeEEEZZNS1_27merge_sort_block_merge_implIS3_PlPS5_jNS1_19radix_merge_compareILb1ELb1ElNS0_19identity_decomposerEEEEE10hipError_tT0_T1_T2_jT3_P12ihipStream_tbPNSt15iterator_traitsISE_E10value_typeEPNSK_ISF_E10value_typeEPSG_NS1_7vsmem_tEENKUlT_SE_SF_SG_E_clIS8_S8_S9_S9_EESD_ST_SE_SF_SG_EUlST_E_NS1_11comp_targetILNS1_3genE5ELNS1_11target_archE942ELNS1_3gpuE9ELNS1_3repE0EEENS1_48merge_mergepath_partition_config_static_selectorELNS0_4arch9wavefront6targetE1EEEvSF_
		.amdhsa_group_segment_fixed_size 0
		.amdhsa_private_segment_fixed_size 0
		.amdhsa_kernarg_size 40
		.amdhsa_user_sgpr_count 6
		.amdhsa_user_sgpr_private_segment_buffer 1
		.amdhsa_user_sgpr_dispatch_ptr 0
		.amdhsa_user_sgpr_queue_ptr 0
		.amdhsa_user_sgpr_kernarg_segment_ptr 1
		.amdhsa_user_sgpr_dispatch_id 0
		.amdhsa_user_sgpr_flat_scratch_init 0
		.amdhsa_user_sgpr_kernarg_preload_length 0
		.amdhsa_user_sgpr_kernarg_preload_offset 0
		.amdhsa_user_sgpr_private_segment_size 0
		.amdhsa_uses_dynamic_stack 0
		.amdhsa_system_sgpr_private_segment_wavefront_offset 0
		.amdhsa_system_sgpr_workgroup_id_x 1
		.amdhsa_system_sgpr_workgroup_id_y 0
		.amdhsa_system_sgpr_workgroup_id_z 0
		.amdhsa_system_sgpr_workgroup_info 0
		.amdhsa_system_vgpr_workitem_id 0
		.amdhsa_next_free_vgpr 1
		.amdhsa_next_free_sgpr 0
		.amdhsa_accum_offset 4
		.amdhsa_reserve_vcc 0
		.amdhsa_reserve_flat_scratch 0
		.amdhsa_float_round_mode_32 0
		.amdhsa_float_round_mode_16_64 0
		.amdhsa_float_denorm_mode_32 3
		.amdhsa_float_denorm_mode_16_64 3
		.amdhsa_dx10_clamp 1
		.amdhsa_ieee_mode 1
		.amdhsa_fp16_overflow 0
		.amdhsa_tg_split 0
		.amdhsa_exception_fp_ieee_invalid_op 0
		.amdhsa_exception_fp_denorm_src 0
		.amdhsa_exception_fp_ieee_div_zero 0
		.amdhsa_exception_fp_ieee_overflow 0
		.amdhsa_exception_fp_ieee_underflow 0
		.amdhsa_exception_fp_ieee_inexact 0
		.amdhsa_exception_int_div_zero 0
	.end_amdhsa_kernel
	.section	.text._ZN7rocprim17ROCPRIM_400000_NS6detail17trampoline_kernelINS0_14default_configENS1_38merge_sort_block_merge_config_selectorIlNS0_10empty_typeEEEZZNS1_27merge_sort_block_merge_implIS3_PlPS5_jNS1_19radix_merge_compareILb1ELb1ElNS0_19identity_decomposerEEEEE10hipError_tT0_T1_T2_jT3_P12ihipStream_tbPNSt15iterator_traitsISE_E10value_typeEPNSK_ISF_E10value_typeEPSG_NS1_7vsmem_tEENKUlT_SE_SF_SG_E_clIS8_S8_S9_S9_EESD_ST_SE_SF_SG_EUlST_E_NS1_11comp_targetILNS1_3genE5ELNS1_11target_archE942ELNS1_3gpuE9ELNS1_3repE0EEENS1_48merge_mergepath_partition_config_static_selectorELNS0_4arch9wavefront6targetE1EEEvSF_,"axG",@progbits,_ZN7rocprim17ROCPRIM_400000_NS6detail17trampoline_kernelINS0_14default_configENS1_38merge_sort_block_merge_config_selectorIlNS0_10empty_typeEEEZZNS1_27merge_sort_block_merge_implIS3_PlPS5_jNS1_19radix_merge_compareILb1ELb1ElNS0_19identity_decomposerEEEEE10hipError_tT0_T1_T2_jT3_P12ihipStream_tbPNSt15iterator_traitsISE_E10value_typeEPNSK_ISF_E10value_typeEPSG_NS1_7vsmem_tEENKUlT_SE_SF_SG_E_clIS8_S8_S9_S9_EESD_ST_SE_SF_SG_EUlST_E_NS1_11comp_targetILNS1_3genE5ELNS1_11target_archE942ELNS1_3gpuE9ELNS1_3repE0EEENS1_48merge_mergepath_partition_config_static_selectorELNS0_4arch9wavefront6targetE1EEEvSF_,comdat
.Lfunc_end2158:
	.size	_ZN7rocprim17ROCPRIM_400000_NS6detail17trampoline_kernelINS0_14default_configENS1_38merge_sort_block_merge_config_selectorIlNS0_10empty_typeEEEZZNS1_27merge_sort_block_merge_implIS3_PlPS5_jNS1_19radix_merge_compareILb1ELb1ElNS0_19identity_decomposerEEEEE10hipError_tT0_T1_T2_jT3_P12ihipStream_tbPNSt15iterator_traitsISE_E10value_typeEPNSK_ISF_E10value_typeEPSG_NS1_7vsmem_tEENKUlT_SE_SF_SG_E_clIS8_S8_S9_S9_EESD_ST_SE_SF_SG_EUlST_E_NS1_11comp_targetILNS1_3genE5ELNS1_11target_archE942ELNS1_3gpuE9ELNS1_3repE0EEENS1_48merge_mergepath_partition_config_static_selectorELNS0_4arch9wavefront6targetE1EEEvSF_, .Lfunc_end2158-_ZN7rocprim17ROCPRIM_400000_NS6detail17trampoline_kernelINS0_14default_configENS1_38merge_sort_block_merge_config_selectorIlNS0_10empty_typeEEEZZNS1_27merge_sort_block_merge_implIS3_PlPS5_jNS1_19radix_merge_compareILb1ELb1ElNS0_19identity_decomposerEEEEE10hipError_tT0_T1_T2_jT3_P12ihipStream_tbPNSt15iterator_traitsISE_E10value_typeEPNSK_ISF_E10value_typeEPSG_NS1_7vsmem_tEENKUlT_SE_SF_SG_E_clIS8_S8_S9_S9_EESD_ST_SE_SF_SG_EUlST_E_NS1_11comp_targetILNS1_3genE5ELNS1_11target_archE942ELNS1_3gpuE9ELNS1_3repE0EEENS1_48merge_mergepath_partition_config_static_selectorELNS0_4arch9wavefront6targetE1EEEvSF_
                                        ; -- End function
	.section	.AMDGPU.csdata,"",@progbits
; Kernel info:
; codeLenInByte = 0
; NumSgprs: 4
; NumVgprs: 0
; NumAgprs: 0
; TotalNumVgprs: 0
; ScratchSize: 0
; MemoryBound: 0
; FloatMode: 240
; IeeeMode: 1
; LDSByteSize: 0 bytes/workgroup (compile time only)
; SGPRBlocks: 0
; VGPRBlocks: 0
; NumSGPRsForWavesPerEU: 4
; NumVGPRsForWavesPerEU: 1
; AccumOffset: 4
; Occupancy: 8
; WaveLimiterHint : 0
; COMPUTE_PGM_RSRC2:SCRATCH_EN: 0
; COMPUTE_PGM_RSRC2:USER_SGPR: 6
; COMPUTE_PGM_RSRC2:TRAP_HANDLER: 0
; COMPUTE_PGM_RSRC2:TGID_X_EN: 1
; COMPUTE_PGM_RSRC2:TGID_Y_EN: 0
; COMPUTE_PGM_RSRC2:TGID_Z_EN: 0
; COMPUTE_PGM_RSRC2:TIDIG_COMP_CNT: 0
; COMPUTE_PGM_RSRC3_GFX90A:ACCUM_OFFSET: 0
; COMPUTE_PGM_RSRC3_GFX90A:TG_SPLIT: 0
	.section	.text._ZN7rocprim17ROCPRIM_400000_NS6detail17trampoline_kernelINS0_14default_configENS1_38merge_sort_block_merge_config_selectorIlNS0_10empty_typeEEEZZNS1_27merge_sort_block_merge_implIS3_PlPS5_jNS1_19radix_merge_compareILb1ELb1ElNS0_19identity_decomposerEEEEE10hipError_tT0_T1_T2_jT3_P12ihipStream_tbPNSt15iterator_traitsISE_E10value_typeEPNSK_ISF_E10value_typeEPSG_NS1_7vsmem_tEENKUlT_SE_SF_SG_E_clIS8_S8_S9_S9_EESD_ST_SE_SF_SG_EUlST_E_NS1_11comp_targetILNS1_3genE4ELNS1_11target_archE910ELNS1_3gpuE8ELNS1_3repE0EEENS1_48merge_mergepath_partition_config_static_selectorELNS0_4arch9wavefront6targetE1EEEvSF_,"axG",@progbits,_ZN7rocprim17ROCPRIM_400000_NS6detail17trampoline_kernelINS0_14default_configENS1_38merge_sort_block_merge_config_selectorIlNS0_10empty_typeEEEZZNS1_27merge_sort_block_merge_implIS3_PlPS5_jNS1_19radix_merge_compareILb1ELb1ElNS0_19identity_decomposerEEEEE10hipError_tT0_T1_T2_jT3_P12ihipStream_tbPNSt15iterator_traitsISE_E10value_typeEPNSK_ISF_E10value_typeEPSG_NS1_7vsmem_tEENKUlT_SE_SF_SG_E_clIS8_S8_S9_S9_EESD_ST_SE_SF_SG_EUlST_E_NS1_11comp_targetILNS1_3genE4ELNS1_11target_archE910ELNS1_3gpuE8ELNS1_3repE0EEENS1_48merge_mergepath_partition_config_static_selectorELNS0_4arch9wavefront6targetE1EEEvSF_,comdat
	.protected	_ZN7rocprim17ROCPRIM_400000_NS6detail17trampoline_kernelINS0_14default_configENS1_38merge_sort_block_merge_config_selectorIlNS0_10empty_typeEEEZZNS1_27merge_sort_block_merge_implIS3_PlPS5_jNS1_19radix_merge_compareILb1ELb1ElNS0_19identity_decomposerEEEEE10hipError_tT0_T1_T2_jT3_P12ihipStream_tbPNSt15iterator_traitsISE_E10value_typeEPNSK_ISF_E10value_typeEPSG_NS1_7vsmem_tEENKUlT_SE_SF_SG_E_clIS8_S8_S9_S9_EESD_ST_SE_SF_SG_EUlST_E_NS1_11comp_targetILNS1_3genE4ELNS1_11target_archE910ELNS1_3gpuE8ELNS1_3repE0EEENS1_48merge_mergepath_partition_config_static_selectorELNS0_4arch9wavefront6targetE1EEEvSF_ ; -- Begin function _ZN7rocprim17ROCPRIM_400000_NS6detail17trampoline_kernelINS0_14default_configENS1_38merge_sort_block_merge_config_selectorIlNS0_10empty_typeEEEZZNS1_27merge_sort_block_merge_implIS3_PlPS5_jNS1_19radix_merge_compareILb1ELb1ElNS0_19identity_decomposerEEEEE10hipError_tT0_T1_T2_jT3_P12ihipStream_tbPNSt15iterator_traitsISE_E10value_typeEPNSK_ISF_E10value_typeEPSG_NS1_7vsmem_tEENKUlT_SE_SF_SG_E_clIS8_S8_S9_S9_EESD_ST_SE_SF_SG_EUlST_E_NS1_11comp_targetILNS1_3genE4ELNS1_11target_archE910ELNS1_3gpuE8ELNS1_3repE0EEENS1_48merge_mergepath_partition_config_static_selectorELNS0_4arch9wavefront6targetE1EEEvSF_
	.globl	_ZN7rocprim17ROCPRIM_400000_NS6detail17trampoline_kernelINS0_14default_configENS1_38merge_sort_block_merge_config_selectorIlNS0_10empty_typeEEEZZNS1_27merge_sort_block_merge_implIS3_PlPS5_jNS1_19radix_merge_compareILb1ELb1ElNS0_19identity_decomposerEEEEE10hipError_tT0_T1_T2_jT3_P12ihipStream_tbPNSt15iterator_traitsISE_E10value_typeEPNSK_ISF_E10value_typeEPSG_NS1_7vsmem_tEENKUlT_SE_SF_SG_E_clIS8_S8_S9_S9_EESD_ST_SE_SF_SG_EUlST_E_NS1_11comp_targetILNS1_3genE4ELNS1_11target_archE910ELNS1_3gpuE8ELNS1_3repE0EEENS1_48merge_mergepath_partition_config_static_selectorELNS0_4arch9wavefront6targetE1EEEvSF_
	.p2align	8
	.type	_ZN7rocprim17ROCPRIM_400000_NS6detail17trampoline_kernelINS0_14default_configENS1_38merge_sort_block_merge_config_selectorIlNS0_10empty_typeEEEZZNS1_27merge_sort_block_merge_implIS3_PlPS5_jNS1_19radix_merge_compareILb1ELb1ElNS0_19identity_decomposerEEEEE10hipError_tT0_T1_T2_jT3_P12ihipStream_tbPNSt15iterator_traitsISE_E10value_typeEPNSK_ISF_E10value_typeEPSG_NS1_7vsmem_tEENKUlT_SE_SF_SG_E_clIS8_S8_S9_S9_EESD_ST_SE_SF_SG_EUlST_E_NS1_11comp_targetILNS1_3genE4ELNS1_11target_archE910ELNS1_3gpuE8ELNS1_3repE0EEENS1_48merge_mergepath_partition_config_static_selectorELNS0_4arch9wavefront6targetE1EEEvSF_,@function
_ZN7rocprim17ROCPRIM_400000_NS6detail17trampoline_kernelINS0_14default_configENS1_38merge_sort_block_merge_config_selectorIlNS0_10empty_typeEEEZZNS1_27merge_sort_block_merge_implIS3_PlPS5_jNS1_19radix_merge_compareILb1ELb1ElNS0_19identity_decomposerEEEEE10hipError_tT0_T1_T2_jT3_P12ihipStream_tbPNSt15iterator_traitsISE_E10value_typeEPNSK_ISF_E10value_typeEPSG_NS1_7vsmem_tEENKUlT_SE_SF_SG_E_clIS8_S8_S9_S9_EESD_ST_SE_SF_SG_EUlST_E_NS1_11comp_targetILNS1_3genE4ELNS1_11target_archE910ELNS1_3gpuE8ELNS1_3repE0EEENS1_48merge_mergepath_partition_config_static_selectorELNS0_4arch9wavefront6targetE1EEEvSF_: ; @_ZN7rocprim17ROCPRIM_400000_NS6detail17trampoline_kernelINS0_14default_configENS1_38merge_sort_block_merge_config_selectorIlNS0_10empty_typeEEEZZNS1_27merge_sort_block_merge_implIS3_PlPS5_jNS1_19radix_merge_compareILb1ELb1ElNS0_19identity_decomposerEEEEE10hipError_tT0_T1_T2_jT3_P12ihipStream_tbPNSt15iterator_traitsISE_E10value_typeEPNSK_ISF_E10value_typeEPSG_NS1_7vsmem_tEENKUlT_SE_SF_SG_E_clIS8_S8_S9_S9_EESD_ST_SE_SF_SG_EUlST_E_NS1_11comp_targetILNS1_3genE4ELNS1_11target_archE910ELNS1_3gpuE8ELNS1_3repE0EEENS1_48merge_mergepath_partition_config_static_selectorELNS0_4arch9wavefront6targetE1EEEvSF_
; %bb.0:
	s_load_dword s0, s[4:5], 0x0
	v_lshl_or_b32 v0, s6, 7, v0
	s_waitcnt lgkmcnt(0)
	v_cmp_gt_u32_e32 vcc, s0, v0
	s_and_saveexec_b64 s[0:1], vcc
	s_cbranch_execz .LBB2159_6
; %bb.1:
	s_load_dwordx2 s[6:7], s[4:5], 0x4
	s_load_dwordx4 s[0:3], s[4:5], 0x18
	s_waitcnt lgkmcnt(0)
	s_lshr_b32 s8, s6, 9
	s_and_b32 s8, s8, 0x7ffffe
	s_add_i32 s9, s8, -1
	s_sub_i32 s8, 0, s8
	v_and_b32_e32 v1, s8, v0
	v_lshlrev_b32_e32 v1, 10, v1
	v_min_u32_e32 v2, s7, v1
	v_add_u32_e32 v1, s6, v1
	v_min_u32_e32 v4, s7, v1
	v_add_u32_e32 v1, s6, v4
	v_and_b32_e32 v3, s9, v0
	v_min_u32_e32 v1, s7, v1
	v_sub_u32_e32 v5, v1, v2
	v_lshlrev_b32_e32 v3, 10, v3
	v_min_u32_e32 v6, v5, v3
	v_sub_u32_e32 v3, v4, v2
	v_sub_u32_e32 v1, v1, v4
	v_sub_u32_e64 v1, v6, v1 clamp
	v_min_u32_e32 v7, v6, v3
	v_cmp_lt_u32_e32 vcc, v1, v7
	s_and_saveexec_b64 s[6:7], vcc
	s_cbranch_execz .LBB2159_5
; %bb.2:
	s_load_dwordx2 s[4:5], s[4:5], 0x10
	v_mov_b32_e32 v5, 0
	v_mov_b32_e32 v3, v5
	v_lshlrev_b64 v[8:9], 3, v[2:3]
	v_lshlrev_b64 v[10:11], 3, v[4:5]
	s_waitcnt lgkmcnt(0)
	v_mov_b32_e32 v12, s5
	v_add_co_u32_e32 v3, vcc, s4, v8
	v_addc_co_u32_e32 v8, vcc, v12, v9, vcc
	v_add_co_u32_e32 v9, vcc, s4, v10
	v_addc_co_u32_e32 v10, vcc, v12, v11, vcc
	s_mov_b64 s[4:5], 0
.LBB2159_3:                             ; =>This Inner Loop Header: Depth=1
	v_add_u32_e32 v4, v7, v1
	v_lshrrev_b32_e32 v4, 1, v4
	v_lshlrev_b64 v[14:15], 3, v[4:5]
	v_mov_b32_e32 v13, v5
	v_xad_u32 v12, v4, -1, v6
	v_add_co_u32_e32 v14, vcc, v3, v14
	v_addc_co_u32_e32 v15, vcc, v8, v15, vcc
	v_lshlrev_b64 v[12:13], 3, v[12:13]
	v_add_co_u32_e32 v12, vcc, v9, v12
	v_addc_co_u32_e32 v13, vcc, v10, v13, vcc
	global_load_dwordx2 v[14:15], v[14:15], off
	v_add_u32_e32 v11, 1, v4
	global_load_dwordx2 v[12:13], v[12:13], off
	s_waitcnt vmcnt(1)
	v_and_b32_e32 v15, s1, v15
	v_and_b32_e32 v14, s0, v14
	s_waitcnt vmcnt(0)
	v_and_b32_e32 v13, s1, v13
	v_and_b32_e32 v12, s0, v12
	v_cmp_gt_i64_e32 vcc, v[12:13], v[14:15]
	v_cndmask_b32_e32 v7, v7, v4, vcc
	v_cndmask_b32_e32 v1, v11, v1, vcc
	v_cmp_ge_u32_e32 vcc, v1, v7
	s_or_b64 s[4:5], vcc, s[4:5]
	s_andn2_b64 exec, exec, s[4:5]
	s_cbranch_execnz .LBB2159_3
; %bb.4:
	s_or_b64 exec, exec, s[4:5]
.LBB2159_5:
	s_or_b64 exec, exec, s[6:7]
	v_add_u32_e32 v2, v1, v2
	v_mov_b32_e32 v1, 0
	v_lshlrev_b64 v[0:1], 2, v[0:1]
	v_mov_b32_e32 v3, s3
	v_add_co_u32_e32 v0, vcc, s2, v0
	v_addc_co_u32_e32 v1, vcc, v3, v1, vcc
	global_store_dword v[0:1], v2, off
.LBB2159_6:
	s_endpgm
	.section	.rodata,"a",@progbits
	.p2align	6, 0x0
	.amdhsa_kernel _ZN7rocprim17ROCPRIM_400000_NS6detail17trampoline_kernelINS0_14default_configENS1_38merge_sort_block_merge_config_selectorIlNS0_10empty_typeEEEZZNS1_27merge_sort_block_merge_implIS3_PlPS5_jNS1_19radix_merge_compareILb1ELb1ElNS0_19identity_decomposerEEEEE10hipError_tT0_T1_T2_jT3_P12ihipStream_tbPNSt15iterator_traitsISE_E10value_typeEPNSK_ISF_E10value_typeEPSG_NS1_7vsmem_tEENKUlT_SE_SF_SG_E_clIS8_S8_S9_S9_EESD_ST_SE_SF_SG_EUlST_E_NS1_11comp_targetILNS1_3genE4ELNS1_11target_archE910ELNS1_3gpuE8ELNS1_3repE0EEENS1_48merge_mergepath_partition_config_static_selectorELNS0_4arch9wavefront6targetE1EEEvSF_
		.amdhsa_group_segment_fixed_size 0
		.amdhsa_private_segment_fixed_size 0
		.amdhsa_kernarg_size 40
		.amdhsa_user_sgpr_count 6
		.amdhsa_user_sgpr_private_segment_buffer 1
		.amdhsa_user_sgpr_dispatch_ptr 0
		.amdhsa_user_sgpr_queue_ptr 0
		.amdhsa_user_sgpr_kernarg_segment_ptr 1
		.amdhsa_user_sgpr_dispatch_id 0
		.amdhsa_user_sgpr_flat_scratch_init 0
		.amdhsa_user_sgpr_kernarg_preload_length 0
		.amdhsa_user_sgpr_kernarg_preload_offset 0
		.amdhsa_user_sgpr_private_segment_size 0
		.amdhsa_uses_dynamic_stack 0
		.amdhsa_system_sgpr_private_segment_wavefront_offset 0
		.amdhsa_system_sgpr_workgroup_id_x 1
		.amdhsa_system_sgpr_workgroup_id_y 0
		.amdhsa_system_sgpr_workgroup_id_z 0
		.amdhsa_system_sgpr_workgroup_info 0
		.amdhsa_system_vgpr_workitem_id 0
		.amdhsa_next_free_vgpr 16
		.amdhsa_next_free_sgpr 10
		.amdhsa_accum_offset 16
		.amdhsa_reserve_vcc 1
		.amdhsa_reserve_flat_scratch 0
		.amdhsa_float_round_mode_32 0
		.amdhsa_float_round_mode_16_64 0
		.amdhsa_float_denorm_mode_32 3
		.amdhsa_float_denorm_mode_16_64 3
		.amdhsa_dx10_clamp 1
		.amdhsa_ieee_mode 1
		.amdhsa_fp16_overflow 0
		.amdhsa_tg_split 0
		.amdhsa_exception_fp_ieee_invalid_op 0
		.amdhsa_exception_fp_denorm_src 0
		.amdhsa_exception_fp_ieee_div_zero 0
		.amdhsa_exception_fp_ieee_overflow 0
		.amdhsa_exception_fp_ieee_underflow 0
		.amdhsa_exception_fp_ieee_inexact 0
		.amdhsa_exception_int_div_zero 0
	.end_amdhsa_kernel
	.section	.text._ZN7rocprim17ROCPRIM_400000_NS6detail17trampoline_kernelINS0_14default_configENS1_38merge_sort_block_merge_config_selectorIlNS0_10empty_typeEEEZZNS1_27merge_sort_block_merge_implIS3_PlPS5_jNS1_19radix_merge_compareILb1ELb1ElNS0_19identity_decomposerEEEEE10hipError_tT0_T1_T2_jT3_P12ihipStream_tbPNSt15iterator_traitsISE_E10value_typeEPNSK_ISF_E10value_typeEPSG_NS1_7vsmem_tEENKUlT_SE_SF_SG_E_clIS8_S8_S9_S9_EESD_ST_SE_SF_SG_EUlST_E_NS1_11comp_targetILNS1_3genE4ELNS1_11target_archE910ELNS1_3gpuE8ELNS1_3repE0EEENS1_48merge_mergepath_partition_config_static_selectorELNS0_4arch9wavefront6targetE1EEEvSF_,"axG",@progbits,_ZN7rocprim17ROCPRIM_400000_NS6detail17trampoline_kernelINS0_14default_configENS1_38merge_sort_block_merge_config_selectorIlNS0_10empty_typeEEEZZNS1_27merge_sort_block_merge_implIS3_PlPS5_jNS1_19radix_merge_compareILb1ELb1ElNS0_19identity_decomposerEEEEE10hipError_tT0_T1_T2_jT3_P12ihipStream_tbPNSt15iterator_traitsISE_E10value_typeEPNSK_ISF_E10value_typeEPSG_NS1_7vsmem_tEENKUlT_SE_SF_SG_E_clIS8_S8_S9_S9_EESD_ST_SE_SF_SG_EUlST_E_NS1_11comp_targetILNS1_3genE4ELNS1_11target_archE910ELNS1_3gpuE8ELNS1_3repE0EEENS1_48merge_mergepath_partition_config_static_selectorELNS0_4arch9wavefront6targetE1EEEvSF_,comdat
.Lfunc_end2159:
	.size	_ZN7rocprim17ROCPRIM_400000_NS6detail17trampoline_kernelINS0_14default_configENS1_38merge_sort_block_merge_config_selectorIlNS0_10empty_typeEEEZZNS1_27merge_sort_block_merge_implIS3_PlPS5_jNS1_19radix_merge_compareILb1ELb1ElNS0_19identity_decomposerEEEEE10hipError_tT0_T1_T2_jT3_P12ihipStream_tbPNSt15iterator_traitsISE_E10value_typeEPNSK_ISF_E10value_typeEPSG_NS1_7vsmem_tEENKUlT_SE_SF_SG_E_clIS8_S8_S9_S9_EESD_ST_SE_SF_SG_EUlST_E_NS1_11comp_targetILNS1_3genE4ELNS1_11target_archE910ELNS1_3gpuE8ELNS1_3repE0EEENS1_48merge_mergepath_partition_config_static_selectorELNS0_4arch9wavefront6targetE1EEEvSF_, .Lfunc_end2159-_ZN7rocprim17ROCPRIM_400000_NS6detail17trampoline_kernelINS0_14default_configENS1_38merge_sort_block_merge_config_selectorIlNS0_10empty_typeEEEZZNS1_27merge_sort_block_merge_implIS3_PlPS5_jNS1_19radix_merge_compareILb1ELb1ElNS0_19identity_decomposerEEEEE10hipError_tT0_T1_T2_jT3_P12ihipStream_tbPNSt15iterator_traitsISE_E10value_typeEPNSK_ISF_E10value_typeEPSG_NS1_7vsmem_tEENKUlT_SE_SF_SG_E_clIS8_S8_S9_S9_EESD_ST_SE_SF_SG_EUlST_E_NS1_11comp_targetILNS1_3genE4ELNS1_11target_archE910ELNS1_3gpuE8ELNS1_3repE0EEENS1_48merge_mergepath_partition_config_static_selectorELNS0_4arch9wavefront6targetE1EEEvSF_
                                        ; -- End function
	.section	.AMDGPU.csdata,"",@progbits
; Kernel info:
; codeLenInByte = 380
; NumSgprs: 14
; NumVgprs: 16
; NumAgprs: 0
; TotalNumVgprs: 16
; ScratchSize: 0
; MemoryBound: 0
; FloatMode: 240
; IeeeMode: 1
; LDSByteSize: 0 bytes/workgroup (compile time only)
; SGPRBlocks: 1
; VGPRBlocks: 1
; NumSGPRsForWavesPerEU: 14
; NumVGPRsForWavesPerEU: 16
; AccumOffset: 16
; Occupancy: 8
; WaveLimiterHint : 0
; COMPUTE_PGM_RSRC2:SCRATCH_EN: 0
; COMPUTE_PGM_RSRC2:USER_SGPR: 6
; COMPUTE_PGM_RSRC2:TRAP_HANDLER: 0
; COMPUTE_PGM_RSRC2:TGID_X_EN: 1
; COMPUTE_PGM_RSRC2:TGID_Y_EN: 0
; COMPUTE_PGM_RSRC2:TGID_Z_EN: 0
; COMPUTE_PGM_RSRC2:TIDIG_COMP_CNT: 0
; COMPUTE_PGM_RSRC3_GFX90A:ACCUM_OFFSET: 3
; COMPUTE_PGM_RSRC3_GFX90A:TG_SPLIT: 0
	.section	.text._ZN7rocprim17ROCPRIM_400000_NS6detail17trampoline_kernelINS0_14default_configENS1_38merge_sort_block_merge_config_selectorIlNS0_10empty_typeEEEZZNS1_27merge_sort_block_merge_implIS3_PlPS5_jNS1_19radix_merge_compareILb1ELb1ElNS0_19identity_decomposerEEEEE10hipError_tT0_T1_T2_jT3_P12ihipStream_tbPNSt15iterator_traitsISE_E10value_typeEPNSK_ISF_E10value_typeEPSG_NS1_7vsmem_tEENKUlT_SE_SF_SG_E_clIS8_S8_S9_S9_EESD_ST_SE_SF_SG_EUlST_E_NS1_11comp_targetILNS1_3genE3ELNS1_11target_archE908ELNS1_3gpuE7ELNS1_3repE0EEENS1_48merge_mergepath_partition_config_static_selectorELNS0_4arch9wavefront6targetE1EEEvSF_,"axG",@progbits,_ZN7rocprim17ROCPRIM_400000_NS6detail17trampoline_kernelINS0_14default_configENS1_38merge_sort_block_merge_config_selectorIlNS0_10empty_typeEEEZZNS1_27merge_sort_block_merge_implIS3_PlPS5_jNS1_19radix_merge_compareILb1ELb1ElNS0_19identity_decomposerEEEEE10hipError_tT0_T1_T2_jT3_P12ihipStream_tbPNSt15iterator_traitsISE_E10value_typeEPNSK_ISF_E10value_typeEPSG_NS1_7vsmem_tEENKUlT_SE_SF_SG_E_clIS8_S8_S9_S9_EESD_ST_SE_SF_SG_EUlST_E_NS1_11comp_targetILNS1_3genE3ELNS1_11target_archE908ELNS1_3gpuE7ELNS1_3repE0EEENS1_48merge_mergepath_partition_config_static_selectorELNS0_4arch9wavefront6targetE1EEEvSF_,comdat
	.protected	_ZN7rocprim17ROCPRIM_400000_NS6detail17trampoline_kernelINS0_14default_configENS1_38merge_sort_block_merge_config_selectorIlNS0_10empty_typeEEEZZNS1_27merge_sort_block_merge_implIS3_PlPS5_jNS1_19radix_merge_compareILb1ELb1ElNS0_19identity_decomposerEEEEE10hipError_tT0_T1_T2_jT3_P12ihipStream_tbPNSt15iterator_traitsISE_E10value_typeEPNSK_ISF_E10value_typeEPSG_NS1_7vsmem_tEENKUlT_SE_SF_SG_E_clIS8_S8_S9_S9_EESD_ST_SE_SF_SG_EUlST_E_NS1_11comp_targetILNS1_3genE3ELNS1_11target_archE908ELNS1_3gpuE7ELNS1_3repE0EEENS1_48merge_mergepath_partition_config_static_selectorELNS0_4arch9wavefront6targetE1EEEvSF_ ; -- Begin function _ZN7rocprim17ROCPRIM_400000_NS6detail17trampoline_kernelINS0_14default_configENS1_38merge_sort_block_merge_config_selectorIlNS0_10empty_typeEEEZZNS1_27merge_sort_block_merge_implIS3_PlPS5_jNS1_19radix_merge_compareILb1ELb1ElNS0_19identity_decomposerEEEEE10hipError_tT0_T1_T2_jT3_P12ihipStream_tbPNSt15iterator_traitsISE_E10value_typeEPNSK_ISF_E10value_typeEPSG_NS1_7vsmem_tEENKUlT_SE_SF_SG_E_clIS8_S8_S9_S9_EESD_ST_SE_SF_SG_EUlST_E_NS1_11comp_targetILNS1_3genE3ELNS1_11target_archE908ELNS1_3gpuE7ELNS1_3repE0EEENS1_48merge_mergepath_partition_config_static_selectorELNS0_4arch9wavefront6targetE1EEEvSF_
	.globl	_ZN7rocprim17ROCPRIM_400000_NS6detail17trampoline_kernelINS0_14default_configENS1_38merge_sort_block_merge_config_selectorIlNS0_10empty_typeEEEZZNS1_27merge_sort_block_merge_implIS3_PlPS5_jNS1_19radix_merge_compareILb1ELb1ElNS0_19identity_decomposerEEEEE10hipError_tT0_T1_T2_jT3_P12ihipStream_tbPNSt15iterator_traitsISE_E10value_typeEPNSK_ISF_E10value_typeEPSG_NS1_7vsmem_tEENKUlT_SE_SF_SG_E_clIS8_S8_S9_S9_EESD_ST_SE_SF_SG_EUlST_E_NS1_11comp_targetILNS1_3genE3ELNS1_11target_archE908ELNS1_3gpuE7ELNS1_3repE0EEENS1_48merge_mergepath_partition_config_static_selectorELNS0_4arch9wavefront6targetE1EEEvSF_
	.p2align	8
	.type	_ZN7rocprim17ROCPRIM_400000_NS6detail17trampoline_kernelINS0_14default_configENS1_38merge_sort_block_merge_config_selectorIlNS0_10empty_typeEEEZZNS1_27merge_sort_block_merge_implIS3_PlPS5_jNS1_19radix_merge_compareILb1ELb1ElNS0_19identity_decomposerEEEEE10hipError_tT0_T1_T2_jT3_P12ihipStream_tbPNSt15iterator_traitsISE_E10value_typeEPNSK_ISF_E10value_typeEPSG_NS1_7vsmem_tEENKUlT_SE_SF_SG_E_clIS8_S8_S9_S9_EESD_ST_SE_SF_SG_EUlST_E_NS1_11comp_targetILNS1_3genE3ELNS1_11target_archE908ELNS1_3gpuE7ELNS1_3repE0EEENS1_48merge_mergepath_partition_config_static_selectorELNS0_4arch9wavefront6targetE1EEEvSF_,@function
_ZN7rocprim17ROCPRIM_400000_NS6detail17trampoline_kernelINS0_14default_configENS1_38merge_sort_block_merge_config_selectorIlNS0_10empty_typeEEEZZNS1_27merge_sort_block_merge_implIS3_PlPS5_jNS1_19radix_merge_compareILb1ELb1ElNS0_19identity_decomposerEEEEE10hipError_tT0_T1_T2_jT3_P12ihipStream_tbPNSt15iterator_traitsISE_E10value_typeEPNSK_ISF_E10value_typeEPSG_NS1_7vsmem_tEENKUlT_SE_SF_SG_E_clIS8_S8_S9_S9_EESD_ST_SE_SF_SG_EUlST_E_NS1_11comp_targetILNS1_3genE3ELNS1_11target_archE908ELNS1_3gpuE7ELNS1_3repE0EEENS1_48merge_mergepath_partition_config_static_selectorELNS0_4arch9wavefront6targetE1EEEvSF_: ; @_ZN7rocprim17ROCPRIM_400000_NS6detail17trampoline_kernelINS0_14default_configENS1_38merge_sort_block_merge_config_selectorIlNS0_10empty_typeEEEZZNS1_27merge_sort_block_merge_implIS3_PlPS5_jNS1_19radix_merge_compareILb1ELb1ElNS0_19identity_decomposerEEEEE10hipError_tT0_T1_T2_jT3_P12ihipStream_tbPNSt15iterator_traitsISE_E10value_typeEPNSK_ISF_E10value_typeEPSG_NS1_7vsmem_tEENKUlT_SE_SF_SG_E_clIS8_S8_S9_S9_EESD_ST_SE_SF_SG_EUlST_E_NS1_11comp_targetILNS1_3genE3ELNS1_11target_archE908ELNS1_3gpuE7ELNS1_3repE0EEENS1_48merge_mergepath_partition_config_static_selectorELNS0_4arch9wavefront6targetE1EEEvSF_
; %bb.0:
	.section	.rodata,"a",@progbits
	.p2align	6, 0x0
	.amdhsa_kernel _ZN7rocprim17ROCPRIM_400000_NS6detail17trampoline_kernelINS0_14default_configENS1_38merge_sort_block_merge_config_selectorIlNS0_10empty_typeEEEZZNS1_27merge_sort_block_merge_implIS3_PlPS5_jNS1_19radix_merge_compareILb1ELb1ElNS0_19identity_decomposerEEEEE10hipError_tT0_T1_T2_jT3_P12ihipStream_tbPNSt15iterator_traitsISE_E10value_typeEPNSK_ISF_E10value_typeEPSG_NS1_7vsmem_tEENKUlT_SE_SF_SG_E_clIS8_S8_S9_S9_EESD_ST_SE_SF_SG_EUlST_E_NS1_11comp_targetILNS1_3genE3ELNS1_11target_archE908ELNS1_3gpuE7ELNS1_3repE0EEENS1_48merge_mergepath_partition_config_static_selectorELNS0_4arch9wavefront6targetE1EEEvSF_
		.amdhsa_group_segment_fixed_size 0
		.amdhsa_private_segment_fixed_size 0
		.amdhsa_kernarg_size 40
		.amdhsa_user_sgpr_count 6
		.amdhsa_user_sgpr_private_segment_buffer 1
		.amdhsa_user_sgpr_dispatch_ptr 0
		.amdhsa_user_sgpr_queue_ptr 0
		.amdhsa_user_sgpr_kernarg_segment_ptr 1
		.amdhsa_user_sgpr_dispatch_id 0
		.amdhsa_user_sgpr_flat_scratch_init 0
		.amdhsa_user_sgpr_kernarg_preload_length 0
		.amdhsa_user_sgpr_kernarg_preload_offset 0
		.amdhsa_user_sgpr_private_segment_size 0
		.amdhsa_uses_dynamic_stack 0
		.amdhsa_system_sgpr_private_segment_wavefront_offset 0
		.amdhsa_system_sgpr_workgroup_id_x 1
		.amdhsa_system_sgpr_workgroup_id_y 0
		.amdhsa_system_sgpr_workgroup_id_z 0
		.amdhsa_system_sgpr_workgroup_info 0
		.amdhsa_system_vgpr_workitem_id 0
		.amdhsa_next_free_vgpr 1
		.amdhsa_next_free_sgpr 0
		.amdhsa_accum_offset 4
		.amdhsa_reserve_vcc 0
		.amdhsa_reserve_flat_scratch 0
		.amdhsa_float_round_mode_32 0
		.amdhsa_float_round_mode_16_64 0
		.amdhsa_float_denorm_mode_32 3
		.amdhsa_float_denorm_mode_16_64 3
		.amdhsa_dx10_clamp 1
		.amdhsa_ieee_mode 1
		.amdhsa_fp16_overflow 0
		.amdhsa_tg_split 0
		.amdhsa_exception_fp_ieee_invalid_op 0
		.amdhsa_exception_fp_denorm_src 0
		.amdhsa_exception_fp_ieee_div_zero 0
		.amdhsa_exception_fp_ieee_overflow 0
		.amdhsa_exception_fp_ieee_underflow 0
		.amdhsa_exception_fp_ieee_inexact 0
		.amdhsa_exception_int_div_zero 0
	.end_amdhsa_kernel
	.section	.text._ZN7rocprim17ROCPRIM_400000_NS6detail17trampoline_kernelINS0_14default_configENS1_38merge_sort_block_merge_config_selectorIlNS0_10empty_typeEEEZZNS1_27merge_sort_block_merge_implIS3_PlPS5_jNS1_19radix_merge_compareILb1ELb1ElNS0_19identity_decomposerEEEEE10hipError_tT0_T1_T2_jT3_P12ihipStream_tbPNSt15iterator_traitsISE_E10value_typeEPNSK_ISF_E10value_typeEPSG_NS1_7vsmem_tEENKUlT_SE_SF_SG_E_clIS8_S8_S9_S9_EESD_ST_SE_SF_SG_EUlST_E_NS1_11comp_targetILNS1_3genE3ELNS1_11target_archE908ELNS1_3gpuE7ELNS1_3repE0EEENS1_48merge_mergepath_partition_config_static_selectorELNS0_4arch9wavefront6targetE1EEEvSF_,"axG",@progbits,_ZN7rocprim17ROCPRIM_400000_NS6detail17trampoline_kernelINS0_14default_configENS1_38merge_sort_block_merge_config_selectorIlNS0_10empty_typeEEEZZNS1_27merge_sort_block_merge_implIS3_PlPS5_jNS1_19radix_merge_compareILb1ELb1ElNS0_19identity_decomposerEEEEE10hipError_tT0_T1_T2_jT3_P12ihipStream_tbPNSt15iterator_traitsISE_E10value_typeEPNSK_ISF_E10value_typeEPSG_NS1_7vsmem_tEENKUlT_SE_SF_SG_E_clIS8_S8_S9_S9_EESD_ST_SE_SF_SG_EUlST_E_NS1_11comp_targetILNS1_3genE3ELNS1_11target_archE908ELNS1_3gpuE7ELNS1_3repE0EEENS1_48merge_mergepath_partition_config_static_selectorELNS0_4arch9wavefront6targetE1EEEvSF_,comdat
.Lfunc_end2160:
	.size	_ZN7rocprim17ROCPRIM_400000_NS6detail17trampoline_kernelINS0_14default_configENS1_38merge_sort_block_merge_config_selectorIlNS0_10empty_typeEEEZZNS1_27merge_sort_block_merge_implIS3_PlPS5_jNS1_19radix_merge_compareILb1ELb1ElNS0_19identity_decomposerEEEEE10hipError_tT0_T1_T2_jT3_P12ihipStream_tbPNSt15iterator_traitsISE_E10value_typeEPNSK_ISF_E10value_typeEPSG_NS1_7vsmem_tEENKUlT_SE_SF_SG_E_clIS8_S8_S9_S9_EESD_ST_SE_SF_SG_EUlST_E_NS1_11comp_targetILNS1_3genE3ELNS1_11target_archE908ELNS1_3gpuE7ELNS1_3repE0EEENS1_48merge_mergepath_partition_config_static_selectorELNS0_4arch9wavefront6targetE1EEEvSF_, .Lfunc_end2160-_ZN7rocprim17ROCPRIM_400000_NS6detail17trampoline_kernelINS0_14default_configENS1_38merge_sort_block_merge_config_selectorIlNS0_10empty_typeEEEZZNS1_27merge_sort_block_merge_implIS3_PlPS5_jNS1_19radix_merge_compareILb1ELb1ElNS0_19identity_decomposerEEEEE10hipError_tT0_T1_T2_jT3_P12ihipStream_tbPNSt15iterator_traitsISE_E10value_typeEPNSK_ISF_E10value_typeEPSG_NS1_7vsmem_tEENKUlT_SE_SF_SG_E_clIS8_S8_S9_S9_EESD_ST_SE_SF_SG_EUlST_E_NS1_11comp_targetILNS1_3genE3ELNS1_11target_archE908ELNS1_3gpuE7ELNS1_3repE0EEENS1_48merge_mergepath_partition_config_static_selectorELNS0_4arch9wavefront6targetE1EEEvSF_
                                        ; -- End function
	.section	.AMDGPU.csdata,"",@progbits
; Kernel info:
; codeLenInByte = 0
; NumSgprs: 4
; NumVgprs: 0
; NumAgprs: 0
; TotalNumVgprs: 0
; ScratchSize: 0
; MemoryBound: 0
; FloatMode: 240
; IeeeMode: 1
; LDSByteSize: 0 bytes/workgroup (compile time only)
; SGPRBlocks: 0
; VGPRBlocks: 0
; NumSGPRsForWavesPerEU: 4
; NumVGPRsForWavesPerEU: 1
; AccumOffset: 4
; Occupancy: 8
; WaveLimiterHint : 0
; COMPUTE_PGM_RSRC2:SCRATCH_EN: 0
; COMPUTE_PGM_RSRC2:USER_SGPR: 6
; COMPUTE_PGM_RSRC2:TRAP_HANDLER: 0
; COMPUTE_PGM_RSRC2:TGID_X_EN: 1
; COMPUTE_PGM_RSRC2:TGID_Y_EN: 0
; COMPUTE_PGM_RSRC2:TGID_Z_EN: 0
; COMPUTE_PGM_RSRC2:TIDIG_COMP_CNT: 0
; COMPUTE_PGM_RSRC3_GFX90A:ACCUM_OFFSET: 0
; COMPUTE_PGM_RSRC3_GFX90A:TG_SPLIT: 0
	.section	.text._ZN7rocprim17ROCPRIM_400000_NS6detail17trampoline_kernelINS0_14default_configENS1_38merge_sort_block_merge_config_selectorIlNS0_10empty_typeEEEZZNS1_27merge_sort_block_merge_implIS3_PlPS5_jNS1_19radix_merge_compareILb1ELb1ElNS0_19identity_decomposerEEEEE10hipError_tT0_T1_T2_jT3_P12ihipStream_tbPNSt15iterator_traitsISE_E10value_typeEPNSK_ISF_E10value_typeEPSG_NS1_7vsmem_tEENKUlT_SE_SF_SG_E_clIS8_S8_S9_S9_EESD_ST_SE_SF_SG_EUlST_E_NS1_11comp_targetILNS1_3genE2ELNS1_11target_archE906ELNS1_3gpuE6ELNS1_3repE0EEENS1_48merge_mergepath_partition_config_static_selectorELNS0_4arch9wavefront6targetE1EEEvSF_,"axG",@progbits,_ZN7rocprim17ROCPRIM_400000_NS6detail17trampoline_kernelINS0_14default_configENS1_38merge_sort_block_merge_config_selectorIlNS0_10empty_typeEEEZZNS1_27merge_sort_block_merge_implIS3_PlPS5_jNS1_19radix_merge_compareILb1ELb1ElNS0_19identity_decomposerEEEEE10hipError_tT0_T1_T2_jT3_P12ihipStream_tbPNSt15iterator_traitsISE_E10value_typeEPNSK_ISF_E10value_typeEPSG_NS1_7vsmem_tEENKUlT_SE_SF_SG_E_clIS8_S8_S9_S9_EESD_ST_SE_SF_SG_EUlST_E_NS1_11comp_targetILNS1_3genE2ELNS1_11target_archE906ELNS1_3gpuE6ELNS1_3repE0EEENS1_48merge_mergepath_partition_config_static_selectorELNS0_4arch9wavefront6targetE1EEEvSF_,comdat
	.protected	_ZN7rocprim17ROCPRIM_400000_NS6detail17trampoline_kernelINS0_14default_configENS1_38merge_sort_block_merge_config_selectorIlNS0_10empty_typeEEEZZNS1_27merge_sort_block_merge_implIS3_PlPS5_jNS1_19radix_merge_compareILb1ELb1ElNS0_19identity_decomposerEEEEE10hipError_tT0_T1_T2_jT3_P12ihipStream_tbPNSt15iterator_traitsISE_E10value_typeEPNSK_ISF_E10value_typeEPSG_NS1_7vsmem_tEENKUlT_SE_SF_SG_E_clIS8_S8_S9_S9_EESD_ST_SE_SF_SG_EUlST_E_NS1_11comp_targetILNS1_3genE2ELNS1_11target_archE906ELNS1_3gpuE6ELNS1_3repE0EEENS1_48merge_mergepath_partition_config_static_selectorELNS0_4arch9wavefront6targetE1EEEvSF_ ; -- Begin function _ZN7rocprim17ROCPRIM_400000_NS6detail17trampoline_kernelINS0_14default_configENS1_38merge_sort_block_merge_config_selectorIlNS0_10empty_typeEEEZZNS1_27merge_sort_block_merge_implIS3_PlPS5_jNS1_19radix_merge_compareILb1ELb1ElNS0_19identity_decomposerEEEEE10hipError_tT0_T1_T2_jT3_P12ihipStream_tbPNSt15iterator_traitsISE_E10value_typeEPNSK_ISF_E10value_typeEPSG_NS1_7vsmem_tEENKUlT_SE_SF_SG_E_clIS8_S8_S9_S9_EESD_ST_SE_SF_SG_EUlST_E_NS1_11comp_targetILNS1_3genE2ELNS1_11target_archE906ELNS1_3gpuE6ELNS1_3repE0EEENS1_48merge_mergepath_partition_config_static_selectorELNS0_4arch9wavefront6targetE1EEEvSF_
	.globl	_ZN7rocprim17ROCPRIM_400000_NS6detail17trampoline_kernelINS0_14default_configENS1_38merge_sort_block_merge_config_selectorIlNS0_10empty_typeEEEZZNS1_27merge_sort_block_merge_implIS3_PlPS5_jNS1_19radix_merge_compareILb1ELb1ElNS0_19identity_decomposerEEEEE10hipError_tT0_T1_T2_jT3_P12ihipStream_tbPNSt15iterator_traitsISE_E10value_typeEPNSK_ISF_E10value_typeEPSG_NS1_7vsmem_tEENKUlT_SE_SF_SG_E_clIS8_S8_S9_S9_EESD_ST_SE_SF_SG_EUlST_E_NS1_11comp_targetILNS1_3genE2ELNS1_11target_archE906ELNS1_3gpuE6ELNS1_3repE0EEENS1_48merge_mergepath_partition_config_static_selectorELNS0_4arch9wavefront6targetE1EEEvSF_
	.p2align	8
	.type	_ZN7rocprim17ROCPRIM_400000_NS6detail17trampoline_kernelINS0_14default_configENS1_38merge_sort_block_merge_config_selectorIlNS0_10empty_typeEEEZZNS1_27merge_sort_block_merge_implIS3_PlPS5_jNS1_19radix_merge_compareILb1ELb1ElNS0_19identity_decomposerEEEEE10hipError_tT0_T1_T2_jT3_P12ihipStream_tbPNSt15iterator_traitsISE_E10value_typeEPNSK_ISF_E10value_typeEPSG_NS1_7vsmem_tEENKUlT_SE_SF_SG_E_clIS8_S8_S9_S9_EESD_ST_SE_SF_SG_EUlST_E_NS1_11comp_targetILNS1_3genE2ELNS1_11target_archE906ELNS1_3gpuE6ELNS1_3repE0EEENS1_48merge_mergepath_partition_config_static_selectorELNS0_4arch9wavefront6targetE1EEEvSF_,@function
_ZN7rocprim17ROCPRIM_400000_NS6detail17trampoline_kernelINS0_14default_configENS1_38merge_sort_block_merge_config_selectorIlNS0_10empty_typeEEEZZNS1_27merge_sort_block_merge_implIS3_PlPS5_jNS1_19radix_merge_compareILb1ELb1ElNS0_19identity_decomposerEEEEE10hipError_tT0_T1_T2_jT3_P12ihipStream_tbPNSt15iterator_traitsISE_E10value_typeEPNSK_ISF_E10value_typeEPSG_NS1_7vsmem_tEENKUlT_SE_SF_SG_E_clIS8_S8_S9_S9_EESD_ST_SE_SF_SG_EUlST_E_NS1_11comp_targetILNS1_3genE2ELNS1_11target_archE906ELNS1_3gpuE6ELNS1_3repE0EEENS1_48merge_mergepath_partition_config_static_selectorELNS0_4arch9wavefront6targetE1EEEvSF_: ; @_ZN7rocprim17ROCPRIM_400000_NS6detail17trampoline_kernelINS0_14default_configENS1_38merge_sort_block_merge_config_selectorIlNS0_10empty_typeEEEZZNS1_27merge_sort_block_merge_implIS3_PlPS5_jNS1_19radix_merge_compareILb1ELb1ElNS0_19identity_decomposerEEEEE10hipError_tT0_T1_T2_jT3_P12ihipStream_tbPNSt15iterator_traitsISE_E10value_typeEPNSK_ISF_E10value_typeEPSG_NS1_7vsmem_tEENKUlT_SE_SF_SG_E_clIS8_S8_S9_S9_EESD_ST_SE_SF_SG_EUlST_E_NS1_11comp_targetILNS1_3genE2ELNS1_11target_archE906ELNS1_3gpuE6ELNS1_3repE0EEENS1_48merge_mergepath_partition_config_static_selectorELNS0_4arch9wavefront6targetE1EEEvSF_
; %bb.0:
	.section	.rodata,"a",@progbits
	.p2align	6, 0x0
	.amdhsa_kernel _ZN7rocprim17ROCPRIM_400000_NS6detail17trampoline_kernelINS0_14default_configENS1_38merge_sort_block_merge_config_selectorIlNS0_10empty_typeEEEZZNS1_27merge_sort_block_merge_implIS3_PlPS5_jNS1_19radix_merge_compareILb1ELb1ElNS0_19identity_decomposerEEEEE10hipError_tT0_T1_T2_jT3_P12ihipStream_tbPNSt15iterator_traitsISE_E10value_typeEPNSK_ISF_E10value_typeEPSG_NS1_7vsmem_tEENKUlT_SE_SF_SG_E_clIS8_S8_S9_S9_EESD_ST_SE_SF_SG_EUlST_E_NS1_11comp_targetILNS1_3genE2ELNS1_11target_archE906ELNS1_3gpuE6ELNS1_3repE0EEENS1_48merge_mergepath_partition_config_static_selectorELNS0_4arch9wavefront6targetE1EEEvSF_
		.amdhsa_group_segment_fixed_size 0
		.amdhsa_private_segment_fixed_size 0
		.amdhsa_kernarg_size 40
		.amdhsa_user_sgpr_count 6
		.amdhsa_user_sgpr_private_segment_buffer 1
		.amdhsa_user_sgpr_dispatch_ptr 0
		.amdhsa_user_sgpr_queue_ptr 0
		.amdhsa_user_sgpr_kernarg_segment_ptr 1
		.amdhsa_user_sgpr_dispatch_id 0
		.amdhsa_user_sgpr_flat_scratch_init 0
		.amdhsa_user_sgpr_kernarg_preload_length 0
		.amdhsa_user_sgpr_kernarg_preload_offset 0
		.amdhsa_user_sgpr_private_segment_size 0
		.amdhsa_uses_dynamic_stack 0
		.amdhsa_system_sgpr_private_segment_wavefront_offset 0
		.amdhsa_system_sgpr_workgroup_id_x 1
		.amdhsa_system_sgpr_workgroup_id_y 0
		.amdhsa_system_sgpr_workgroup_id_z 0
		.amdhsa_system_sgpr_workgroup_info 0
		.amdhsa_system_vgpr_workitem_id 0
		.amdhsa_next_free_vgpr 1
		.amdhsa_next_free_sgpr 0
		.amdhsa_accum_offset 4
		.amdhsa_reserve_vcc 0
		.amdhsa_reserve_flat_scratch 0
		.amdhsa_float_round_mode_32 0
		.amdhsa_float_round_mode_16_64 0
		.amdhsa_float_denorm_mode_32 3
		.amdhsa_float_denorm_mode_16_64 3
		.amdhsa_dx10_clamp 1
		.amdhsa_ieee_mode 1
		.amdhsa_fp16_overflow 0
		.amdhsa_tg_split 0
		.amdhsa_exception_fp_ieee_invalid_op 0
		.amdhsa_exception_fp_denorm_src 0
		.amdhsa_exception_fp_ieee_div_zero 0
		.amdhsa_exception_fp_ieee_overflow 0
		.amdhsa_exception_fp_ieee_underflow 0
		.amdhsa_exception_fp_ieee_inexact 0
		.amdhsa_exception_int_div_zero 0
	.end_amdhsa_kernel
	.section	.text._ZN7rocprim17ROCPRIM_400000_NS6detail17trampoline_kernelINS0_14default_configENS1_38merge_sort_block_merge_config_selectorIlNS0_10empty_typeEEEZZNS1_27merge_sort_block_merge_implIS3_PlPS5_jNS1_19radix_merge_compareILb1ELb1ElNS0_19identity_decomposerEEEEE10hipError_tT0_T1_T2_jT3_P12ihipStream_tbPNSt15iterator_traitsISE_E10value_typeEPNSK_ISF_E10value_typeEPSG_NS1_7vsmem_tEENKUlT_SE_SF_SG_E_clIS8_S8_S9_S9_EESD_ST_SE_SF_SG_EUlST_E_NS1_11comp_targetILNS1_3genE2ELNS1_11target_archE906ELNS1_3gpuE6ELNS1_3repE0EEENS1_48merge_mergepath_partition_config_static_selectorELNS0_4arch9wavefront6targetE1EEEvSF_,"axG",@progbits,_ZN7rocprim17ROCPRIM_400000_NS6detail17trampoline_kernelINS0_14default_configENS1_38merge_sort_block_merge_config_selectorIlNS0_10empty_typeEEEZZNS1_27merge_sort_block_merge_implIS3_PlPS5_jNS1_19radix_merge_compareILb1ELb1ElNS0_19identity_decomposerEEEEE10hipError_tT0_T1_T2_jT3_P12ihipStream_tbPNSt15iterator_traitsISE_E10value_typeEPNSK_ISF_E10value_typeEPSG_NS1_7vsmem_tEENKUlT_SE_SF_SG_E_clIS8_S8_S9_S9_EESD_ST_SE_SF_SG_EUlST_E_NS1_11comp_targetILNS1_3genE2ELNS1_11target_archE906ELNS1_3gpuE6ELNS1_3repE0EEENS1_48merge_mergepath_partition_config_static_selectorELNS0_4arch9wavefront6targetE1EEEvSF_,comdat
.Lfunc_end2161:
	.size	_ZN7rocprim17ROCPRIM_400000_NS6detail17trampoline_kernelINS0_14default_configENS1_38merge_sort_block_merge_config_selectorIlNS0_10empty_typeEEEZZNS1_27merge_sort_block_merge_implIS3_PlPS5_jNS1_19radix_merge_compareILb1ELb1ElNS0_19identity_decomposerEEEEE10hipError_tT0_T1_T2_jT3_P12ihipStream_tbPNSt15iterator_traitsISE_E10value_typeEPNSK_ISF_E10value_typeEPSG_NS1_7vsmem_tEENKUlT_SE_SF_SG_E_clIS8_S8_S9_S9_EESD_ST_SE_SF_SG_EUlST_E_NS1_11comp_targetILNS1_3genE2ELNS1_11target_archE906ELNS1_3gpuE6ELNS1_3repE0EEENS1_48merge_mergepath_partition_config_static_selectorELNS0_4arch9wavefront6targetE1EEEvSF_, .Lfunc_end2161-_ZN7rocprim17ROCPRIM_400000_NS6detail17trampoline_kernelINS0_14default_configENS1_38merge_sort_block_merge_config_selectorIlNS0_10empty_typeEEEZZNS1_27merge_sort_block_merge_implIS3_PlPS5_jNS1_19radix_merge_compareILb1ELb1ElNS0_19identity_decomposerEEEEE10hipError_tT0_T1_T2_jT3_P12ihipStream_tbPNSt15iterator_traitsISE_E10value_typeEPNSK_ISF_E10value_typeEPSG_NS1_7vsmem_tEENKUlT_SE_SF_SG_E_clIS8_S8_S9_S9_EESD_ST_SE_SF_SG_EUlST_E_NS1_11comp_targetILNS1_3genE2ELNS1_11target_archE906ELNS1_3gpuE6ELNS1_3repE0EEENS1_48merge_mergepath_partition_config_static_selectorELNS0_4arch9wavefront6targetE1EEEvSF_
                                        ; -- End function
	.section	.AMDGPU.csdata,"",@progbits
; Kernel info:
; codeLenInByte = 0
; NumSgprs: 4
; NumVgprs: 0
; NumAgprs: 0
; TotalNumVgprs: 0
; ScratchSize: 0
; MemoryBound: 0
; FloatMode: 240
; IeeeMode: 1
; LDSByteSize: 0 bytes/workgroup (compile time only)
; SGPRBlocks: 0
; VGPRBlocks: 0
; NumSGPRsForWavesPerEU: 4
; NumVGPRsForWavesPerEU: 1
; AccumOffset: 4
; Occupancy: 8
; WaveLimiterHint : 0
; COMPUTE_PGM_RSRC2:SCRATCH_EN: 0
; COMPUTE_PGM_RSRC2:USER_SGPR: 6
; COMPUTE_PGM_RSRC2:TRAP_HANDLER: 0
; COMPUTE_PGM_RSRC2:TGID_X_EN: 1
; COMPUTE_PGM_RSRC2:TGID_Y_EN: 0
; COMPUTE_PGM_RSRC2:TGID_Z_EN: 0
; COMPUTE_PGM_RSRC2:TIDIG_COMP_CNT: 0
; COMPUTE_PGM_RSRC3_GFX90A:ACCUM_OFFSET: 0
; COMPUTE_PGM_RSRC3_GFX90A:TG_SPLIT: 0
	.section	.text._ZN7rocprim17ROCPRIM_400000_NS6detail17trampoline_kernelINS0_14default_configENS1_38merge_sort_block_merge_config_selectorIlNS0_10empty_typeEEEZZNS1_27merge_sort_block_merge_implIS3_PlPS5_jNS1_19radix_merge_compareILb1ELb1ElNS0_19identity_decomposerEEEEE10hipError_tT0_T1_T2_jT3_P12ihipStream_tbPNSt15iterator_traitsISE_E10value_typeEPNSK_ISF_E10value_typeEPSG_NS1_7vsmem_tEENKUlT_SE_SF_SG_E_clIS8_S8_S9_S9_EESD_ST_SE_SF_SG_EUlST_E_NS1_11comp_targetILNS1_3genE9ELNS1_11target_archE1100ELNS1_3gpuE3ELNS1_3repE0EEENS1_48merge_mergepath_partition_config_static_selectorELNS0_4arch9wavefront6targetE1EEEvSF_,"axG",@progbits,_ZN7rocprim17ROCPRIM_400000_NS6detail17trampoline_kernelINS0_14default_configENS1_38merge_sort_block_merge_config_selectorIlNS0_10empty_typeEEEZZNS1_27merge_sort_block_merge_implIS3_PlPS5_jNS1_19radix_merge_compareILb1ELb1ElNS0_19identity_decomposerEEEEE10hipError_tT0_T1_T2_jT3_P12ihipStream_tbPNSt15iterator_traitsISE_E10value_typeEPNSK_ISF_E10value_typeEPSG_NS1_7vsmem_tEENKUlT_SE_SF_SG_E_clIS8_S8_S9_S9_EESD_ST_SE_SF_SG_EUlST_E_NS1_11comp_targetILNS1_3genE9ELNS1_11target_archE1100ELNS1_3gpuE3ELNS1_3repE0EEENS1_48merge_mergepath_partition_config_static_selectorELNS0_4arch9wavefront6targetE1EEEvSF_,comdat
	.protected	_ZN7rocprim17ROCPRIM_400000_NS6detail17trampoline_kernelINS0_14default_configENS1_38merge_sort_block_merge_config_selectorIlNS0_10empty_typeEEEZZNS1_27merge_sort_block_merge_implIS3_PlPS5_jNS1_19radix_merge_compareILb1ELb1ElNS0_19identity_decomposerEEEEE10hipError_tT0_T1_T2_jT3_P12ihipStream_tbPNSt15iterator_traitsISE_E10value_typeEPNSK_ISF_E10value_typeEPSG_NS1_7vsmem_tEENKUlT_SE_SF_SG_E_clIS8_S8_S9_S9_EESD_ST_SE_SF_SG_EUlST_E_NS1_11comp_targetILNS1_3genE9ELNS1_11target_archE1100ELNS1_3gpuE3ELNS1_3repE0EEENS1_48merge_mergepath_partition_config_static_selectorELNS0_4arch9wavefront6targetE1EEEvSF_ ; -- Begin function _ZN7rocprim17ROCPRIM_400000_NS6detail17trampoline_kernelINS0_14default_configENS1_38merge_sort_block_merge_config_selectorIlNS0_10empty_typeEEEZZNS1_27merge_sort_block_merge_implIS3_PlPS5_jNS1_19radix_merge_compareILb1ELb1ElNS0_19identity_decomposerEEEEE10hipError_tT0_T1_T2_jT3_P12ihipStream_tbPNSt15iterator_traitsISE_E10value_typeEPNSK_ISF_E10value_typeEPSG_NS1_7vsmem_tEENKUlT_SE_SF_SG_E_clIS8_S8_S9_S9_EESD_ST_SE_SF_SG_EUlST_E_NS1_11comp_targetILNS1_3genE9ELNS1_11target_archE1100ELNS1_3gpuE3ELNS1_3repE0EEENS1_48merge_mergepath_partition_config_static_selectorELNS0_4arch9wavefront6targetE1EEEvSF_
	.globl	_ZN7rocprim17ROCPRIM_400000_NS6detail17trampoline_kernelINS0_14default_configENS1_38merge_sort_block_merge_config_selectorIlNS0_10empty_typeEEEZZNS1_27merge_sort_block_merge_implIS3_PlPS5_jNS1_19radix_merge_compareILb1ELb1ElNS0_19identity_decomposerEEEEE10hipError_tT0_T1_T2_jT3_P12ihipStream_tbPNSt15iterator_traitsISE_E10value_typeEPNSK_ISF_E10value_typeEPSG_NS1_7vsmem_tEENKUlT_SE_SF_SG_E_clIS8_S8_S9_S9_EESD_ST_SE_SF_SG_EUlST_E_NS1_11comp_targetILNS1_3genE9ELNS1_11target_archE1100ELNS1_3gpuE3ELNS1_3repE0EEENS1_48merge_mergepath_partition_config_static_selectorELNS0_4arch9wavefront6targetE1EEEvSF_
	.p2align	8
	.type	_ZN7rocprim17ROCPRIM_400000_NS6detail17trampoline_kernelINS0_14default_configENS1_38merge_sort_block_merge_config_selectorIlNS0_10empty_typeEEEZZNS1_27merge_sort_block_merge_implIS3_PlPS5_jNS1_19radix_merge_compareILb1ELb1ElNS0_19identity_decomposerEEEEE10hipError_tT0_T1_T2_jT3_P12ihipStream_tbPNSt15iterator_traitsISE_E10value_typeEPNSK_ISF_E10value_typeEPSG_NS1_7vsmem_tEENKUlT_SE_SF_SG_E_clIS8_S8_S9_S9_EESD_ST_SE_SF_SG_EUlST_E_NS1_11comp_targetILNS1_3genE9ELNS1_11target_archE1100ELNS1_3gpuE3ELNS1_3repE0EEENS1_48merge_mergepath_partition_config_static_selectorELNS0_4arch9wavefront6targetE1EEEvSF_,@function
_ZN7rocprim17ROCPRIM_400000_NS6detail17trampoline_kernelINS0_14default_configENS1_38merge_sort_block_merge_config_selectorIlNS0_10empty_typeEEEZZNS1_27merge_sort_block_merge_implIS3_PlPS5_jNS1_19radix_merge_compareILb1ELb1ElNS0_19identity_decomposerEEEEE10hipError_tT0_T1_T2_jT3_P12ihipStream_tbPNSt15iterator_traitsISE_E10value_typeEPNSK_ISF_E10value_typeEPSG_NS1_7vsmem_tEENKUlT_SE_SF_SG_E_clIS8_S8_S9_S9_EESD_ST_SE_SF_SG_EUlST_E_NS1_11comp_targetILNS1_3genE9ELNS1_11target_archE1100ELNS1_3gpuE3ELNS1_3repE0EEENS1_48merge_mergepath_partition_config_static_selectorELNS0_4arch9wavefront6targetE1EEEvSF_: ; @_ZN7rocprim17ROCPRIM_400000_NS6detail17trampoline_kernelINS0_14default_configENS1_38merge_sort_block_merge_config_selectorIlNS0_10empty_typeEEEZZNS1_27merge_sort_block_merge_implIS3_PlPS5_jNS1_19radix_merge_compareILb1ELb1ElNS0_19identity_decomposerEEEEE10hipError_tT0_T1_T2_jT3_P12ihipStream_tbPNSt15iterator_traitsISE_E10value_typeEPNSK_ISF_E10value_typeEPSG_NS1_7vsmem_tEENKUlT_SE_SF_SG_E_clIS8_S8_S9_S9_EESD_ST_SE_SF_SG_EUlST_E_NS1_11comp_targetILNS1_3genE9ELNS1_11target_archE1100ELNS1_3gpuE3ELNS1_3repE0EEENS1_48merge_mergepath_partition_config_static_selectorELNS0_4arch9wavefront6targetE1EEEvSF_
; %bb.0:
	.section	.rodata,"a",@progbits
	.p2align	6, 0x0
	.amdhsa_kernel _ZN7rocprim17ROCPRIM_400000_NS6detail17trampoline_kernelINS0_14default_configENS1_38merge_sort_block_merge_config_selectorIlNS0_10empty_typeEEEZZNS1_27merge_sort_block_merge_implIS3_PlPS5_jNS1_19radix_merge_compareILb1ELb1ElNS0_19identity_decomposerEEEEE10hipError_tT0_T1_T2_jT3_P12ihipStream_tbPNSt15iterator_traitsISE_E10value_typeEPNSK_ISF_E10value_typeEPSG_NS1_7vsmem_tEENKUlT_SE_SF_SG_E_clIS8_S8_S9_S9_EESD_ST_SE_SF_SG_EUlST_E_NS1_11comp_targetILNS1_3genE9ELNS1_11target_archE1100ELNS1_3gpuE3ELNS1_3repE0EEENS1_48merge_mergepath_partition_config_static_selectorELNS0_4arch9wavefront6targetE1EEEvSF_
		.amdhsa_group_segment_fixed_size 0
		.amdhsa_private_segment_fixed_size 0
		.amdhsa_kernarg_size 40
		.amdhsa_user_sgpr_count 6
		.amdhsa_user_sgpr_private_segment_buffer 1
		.amdhsa_user_sgpr_dispatch_ptr 0
		.amdhsa_user_sgpr_queue_ptr 0
		.amdhsa_user_sgpr_kernarg_segment_ptr 1
		.amdhsa_user_sgpr_dispatch_id 0
		.amdhsa_user_sgpr_flat_scratch_init 0
		.amdhsa_user_sgpr_kernarg_preload_length 0
		.amdhsa_user_sgpr_kernarg_preload_offset 0
		.amdhsa_user_sgpr_private_segment_size 0
		.amdhsa_uses_dynamic_stack 0
		.amdhsa_system_sgpr_private_segment_wavefront_offset 0
		.amdhsa_system_sgpr_workgroup_id_x 1
		.amdhsa_system_sgpr_workgroup_id_y 0
		.amdhsa_system_sgpr_workgroup_id_z 0
		.amdhsa_system_sgpr_workgroup_info 0
		.amdhsa_system_vgpr_workitem_id 0
		.amdhsa_next_free_vgpr 1
		.amdhsa_next_free_sgpr 0
		.amdhsa_accum_offset 4
		.amdhsa_reserve_vcc 0
		.amdhsa_reserve_flat_scratch 0
		.amdhsa_float_round_mode_32 0
		.amdhsa_float_round_mode_16_64 0
		.amdhsa_float_denorm_mode_32 3
		.amdhsa_float_denorm_mode_16_64 3
		.amdhsa_dx10_clamp 1
		.amdhsa_ieee_mode 1
		.amdhsa_fp16_overflow 0
		.amdhsa_tg_split 0
		.amdhsa_exception_fp_ieee_invalid_op 0
		.amdhsa_exception_fp_denorm_src 0
		.amdhsa_exception_fp_ieee_div_zero 0
		.amdhsa_exception_fp_ieee_overflow 0
		.amdhsa_exception_fp_ieee_underflow 0
		.amdhsa_exception_fp_ieee_inexact 0
		.amdhsa_exception_int_div_zero 0
	.end_amdhsa_kernel
	.section	.text._ZN7rocprim17ROCPRIM_400000_NS6detail17trampoline_kernelINS0_14default_configENS1_38merge_sort_block_merge_config_selectorIlNS0_10empty_typeEEEZZNS1_27merge_sort_block_merge_implIS3_PlPS5_jNS1_19radix_merge_compareILb1ELb1ElNS0_19identity_decomposerEEEEE10hipError_tT0_T1_T2_jT3_P12ihipStream_tbPNSt15iterator_traitsISE_E10value_typeEPNSK_ISF_E10value_typeEPSG_NS1_7vsmem_tEENKUlT_SE_SF_SG_E_clIS8_S8_S9_S9_EESD_ST_SE_SF_SG_EUlST_E_NS1_11comp_targetILNS1_3genE9ELNS1_11target_archE1100ELNS1_3gpuE3ELNS1_3repE0EEENS1_48merge_mergepath_partition_config_static_selectorELNS0_4arch9wavefront6targetE1EEEvSF_,"axG",@progbits,_ZN7rocprim17ROCPRIM_400000_NS6detail17trampoline_kernelINS0_14default_configENS1_38merge_sort_block_merge_config_selectorIlNS0_10empty_typeEEEZZNS1_27merge_sort_block_merge_implIS3_PlPS5_jNS1_19radix_merge_compareILb1ELb1ElNS0_19identity_decomposerEEEEE10hipError_tT0_T1_T2_jT3_P12ihipStream_tbPNSt15iterator_traitsISE_E10value_typeEPNSK_ISF_E10value_typeEPSG_NS1_7vsmem_tEENKUlT_SE_SF_SG_E_clIS8_S8_S9_S9_EESD_ST_SE_SF_SG_EUlST_E_NS1_11comp_targetILNS1_3genE9ELNS1_11target_archE1100ELNS1_3gpuE3ELNS1_3repE0EEENS1_48merge_mergepath_partition_config_static_selectorELNS0_4arch9wavefront6targetE1EEEvSF_,comdat
.Lfunc_end2162:
	.size	_ZN7rocprim17ROCPRIM_400000_NS6detail17trampoline_kernelINS0_14default_configENS1_38merge_sort_block_merge_config_selectorIlNS0_10empty_typeEEEZZNS1_27merge_sort_block_merge_implIS3_PlPS5_jNS1_19radix_merge_compareILb1ELb1ElNS0_19identity_decomposerEEEEE10hipError_tT0_T1_T2_jT3_P12ihipStream_tbPNSt15iterator_traitsISE_E10value_typeEPNSK_ISF_E10value_typeEPSG_NS1_7vsmem_tEENKUlT_SE_SF_SG_E_clIS8_S8_S9_S9_EESD_ST_SE_SF_SG_EUlST_E_NS1_11comp_targetILNS1_3genE9ELNS1_11target_archE1100ELNS1_3gpuE3ELNS1_3repE0EEENS1_48merge_mergepath_partition_config_static_selectorELNS0_4arch9wavefront6targetE1EEEvSF_, .Lfunc_end2162-_ZN7rocprim17ROCPRIM_400000_NS6detail17trampoline_kernelINS0_14default_configENS1_38merge_sort_block_merge_config_selectorIlNS0_10empty_typeEEEZZNS1_27merge_sort_block_merge_implIS3_PlPS5_jNS1_19radix_merge_compareILb1ELb1ElNS0_19identity_decomposerEEEEE10hipError_tT0_T1_T2_jT3_P12ihipStream_tbPNSt15iterator_traitsISE_E10value_typeEPNSK_ISF_E10value_typeEPSG_NS1_7vsmem_tEENKUlT_SE_SF_SG_E_clIS8_S8_S9_S9_EESD_ST_SE_SF_SG_EUlST_E_NS1_11comp_targetILNS1_3genE9ELNS1_11target_archE1100ELNS1_3gpuE3ELNS1_3repE0EEENS1_48merge_mergepath_partition_config_static_selectorELNS0_4arch9wavefront6targetE1EEEvSF_
                                        ; -- End function
	.section	.AMDGPU.csdata,"",@progbits
; Kernel info:
; codeLenInByte = 0
; NumSgprs: 4
; NumVgprs: 0
; NumAgprs: 0
; TotalNumVgprs: 0
; ScratchSize: 0
; MemoryBound: 0
; FloatMode: 240
; IeeeMode: 1
; LDSByteSize: 0 bytes/workgroup (compile time only)
; SGPRBlocks: 0
; VGPRBlocks: 0
; NumSGPRsForWavesPerEU: 4
; NumVGPRsForWavesPerEU: 1
; AccumOffset: 4
; Occupancy: 8
; WaveLimiterHint : 0
; COMPUTE_PGM_RSRC2:SCRATCH_EN: 0
; COMPUTE_PGM_RSRC2:USER_SGPR: 6
; COMPUTE_PGM_RSRC2:TRAP_HANDLER: 0
; COMPUTE_PGM_RSRC2:TGID_X_EN: 1
; COMPUTE_PGM_RSRC2:TGID_Y_EN: 0
; COMPUTE_PGM_RSRC2:TGID_Z_EN: 0
; COMPUTE_PGM_RSRC2:TIDIG_COMP_CNT: 0
; COMPUTE_PGM_RSRC3_GFX90A:ACCUM_OFFSET: 0
; COMPUTE_PGM_RSRC3_GFX90A:TG_SPLIT: 0
	.section	.text._ZN7rocprim17ROCPRIM_400000_NS6detail17trampoline_kernelINS0_14default_configENS1_38merge_sort_block_merge_config_selectorIlNS0_10empty_typeEEEZZNS1_27merge_sort_block_merge_implIS3_PlPS5_jNS1_19radix_merge_compareILb1ELb1ElNS0_19identity_decomposerEEEEE10hipError_tT0_T1_T2_jT3_P12ihipStream_tbPNSt15iterator_traitsISE_E10value_typeEPNSK_ISF_E10value_typeEPSG_NS1_7vsmem_tEENKUlT_SE_SF_SG_E_clIS8_S8_S9_S9_EESD_ST_SE_SF_SG_EUlST_E_NS1_11comp_targetILNS1_3genE8ELNS1_11target_archE1030ELNS1_3gpuE2ELNS1_3repE0EEENS1_48merge_mergepath_partition_config_static_selectorELNS0_4arch9wavefront6targetE1EEEvSF_,"axG",@progbits,_ZN7rocprim17ROCPRIM_400000_NS6detail17trampoline_kernelINS0_14default_configENS1_38merge_sort_block_merge_config_selectorIlNS0_10empty_typeEEEZZNS1_27merge_sort_block_merge_implIS3_PlPS5_jNS1_19radix_merge_compareILb1ELb1ElNS0_19identity_decomposerEEEEE10hipError_tT0_T1_T2_jT3_P12ihipStream_tbPNSt15iterator_traitsISE_E10value_typeEPNSK_ISF_E10value_typeEPSG_NS1_7vsmem_tEENKUlT_SE_SF_SG_E_clIS8_S8_S9_S9_EESD_ST_SE_SF_SG_EUlST_E_NS1_11comp_targetILNS1_3genE8ELNS1_11target_archE1030ELNS1_3gpuE2ELNS1_3repE0EEENS1_48merge_mergepath_partition_config_static_selectorELNS0_4arch9wavefront6targetE1EEEvSF_,comdat
	.protected	_ZN7rocprim17ROCPRIM_400000_NS6detail17trampoline_kernelINS0_14default_configENS1_38merge_sort_block_merge_config_selectorIlNS0_10empty_typeEEEZZNS1_27merge_sort_block_merge_implIS3_PlPS5_jNS1_19radix_merge_compareILb1ELb1ElNS0_19identity_decomposerEEEEE10hipError_tT0_T1_T2_jT3_P12ihipStream_tbPNSt15iterator_traitsISE_E10value_typeEPNSK_ISF_E10value_typeEPSG_NS1_7vsmem_tEENKUlT_SE_SF_SG_E_clIS8_S8_S9_S9_EESD_ST_SE_SF_SG_EUlST_E_NS1_11comp_targetILNS1_3genE8ELNS1_11target_archE1030ELNS1_3gpuE2ELNS1_3repE0EEENS1_48merge_mergepath_partition_config_static_selectorELNS0_4arch9wavefront6targetE1EEEvSF_ ; -- Begin function _ZN7rocprim17ROCPRIM_400000_NS6detail17trampoline_kernelINS0_14default_configENS1_38merge_sort_block_merge_config_selectorIlNS0_10empty_typeEEEZZNS1_27merge_sort_block_merge_implIS3_PlPS5_jNS1_19radix_merge_compareILb1ELb1ElNS0_19identity_decomposerEEEEE10hipError_tT0_T1_T2_jT3_P12ihipStream_tbPNSt15iterator_traitsISE_E10value_typeEPNSK_ISF_E10value_typeEPSG_NS1_7vsmem_tEENKUlT_SE_SF_SG_E_clIS8_S8_S9_S9_EESD_ST_SE_SF_SG_EUlST_E_NS1_11comp_targetILNS1_3genE8ELNS1_11target_archE1030ELNS1_3gpuE2ELNS1_3repE0EEENS1_48merge_mergepath_partition_config_static_selectorELNS0_4arch9wavefront6targetE1EEEvSF_
	.globl	_ZN7rocprim17ROCPRIM_400000_NS6detail17trampoline_kernelINS0_14default_configENS1_38merge_sort_block_merge_config_selectorIlNS0_10empty_typeEEEZZNS1_27merge_sort_block_merge_implIS3_PlPS5_jNS1_19radix_merge_compareILb1ELb1ElNS0_19identity_decomposerEEEEE10hipError_tT0_T1_T2_jT3_P12ihipStream_tbPNSt15iterator_traitsISE_E10value_typeEPNSK_ISF_E10value_typeEPSG_NS1_7vsmem_tEENKUlT_SE_SF_SG_E_clIS8_S8_S9_S9_EESD_ST_SE_SF_SG_EUlST_E_NS1_11comp_targetILNS1_3genE8ELNS1_11target_archE1030ELNS1_3gpuE2ELNS1_3repE0EEENS1_48merge_mergepath_partition_config_static_selectorELNS0_4arch9wavefront6targetE1EEEvSF_
	.p2align	8
	.type	_ZN7rocprim17ROCPRIM_400000_NS6detail17trampoline_kernelINS0_14default_configENS1_38merge_sort_block_merge_config_selectorIlNS0_10empty_typeEEEZZNS1_27merge_sort_block_merge_implIS3_PlPS5_jNS1_19radix_merge_compareILb1ELb1ElNS0_19identity_decomposerEEEEE10hipError_tT0_T1_T2_jT3_P12ihipStream_tbPNSt15iterator_traitsISE_E10value_typeEPNSK_ISF_E10value_typeEPSG_NS1_7vsmem_tEENKUlT_SE_SF_SG_E_clIS8_S8_S9_S9_EESD_ST_SE_SF_SG_EUlST_E_NS1_11comp_targetILNS1_3genE8ELNS1_11target_archE1030ELNS1_3gpuE2ELNS1_3repE0EEENS1_48merge_mergepath_partition_config_static_selectorELNS0_4arch9wavefront6targetE1EEEvSF_,@function
_ZN7rocprim17ROCPRIM_400000_NS6detail17trampoline_kernelINS0_14default_configENS1_38merge_sort_block_merge_config_selectorIlNS0_10empty_typeEEEZZNS1_27merge_sort_block_merge_implIS3_PlPS5_jNS1_19radix_merge_compareILb1ELb1ElNS0_19identity_decomposerEEEEE10hipError_tT0_T1_T2_jT3_P12ihipStream_tbPNSt15iterator_traitsISE_E10value_typeEPNSK_ISF_E10value_typeEPSG_NS1_7vsmem_tEENKUlT_SE_SF_SG_E_clIS8_S8_S9_S9_EESD_ST_SE_SF_SG_EUlST_E_NS1_11comp_targetILNS1_3genE8ELNS1_11target_archE1030ELNS1_3gpuE2ELNS1_3repE0EEENS1_48merge_mergepath_partition_config_static_selectorELNS0_4arch9wavefront6targetE1EEEvSF_: ; @_ZN7rocprim17ROCPRIM_400000_NS6detail17trampoline_kernelINS0_14default_configENS1_38merge_sort_block_merge_config_selectorIlNS0_10empty_typeEEEZZNS1_27merge_sort_block_merge_implIS3_PlPS5_jNS1_19radix_merge_compareILb1ELb1ElNS0_19identity_decomposerEEEEE10hipError_tT0_T1_T2_jT3_P12ihipStream_tbPNSt15iterator_traitsISE_E10value_typeEPNSK_ISF_E10value_typeEPSG_NS1_7vsmem_tEENKUlT_SE_SF_SG_E_clIS8_S8_S9_S9_EESD_ST_SE_SF_SG_EUlST_E_NS1_11comp_targetILNS1_3genE8ELNS1_11target_archE1030ELNS1_3gpuE2ELNS1_3repE0EEENS1_48merge_mergepath_partition_config_static_selectorELNS0_4arch9wavefront6targetE1EEEvSF_
; %bb.0:
	.section	.rodata,"a",@progbits
	.p2align	6, 0x0
	.amdhsa_kernel _ZN7rocprim17ROCPRIM_400000_NS6detail17trampoline_kernelINS0_14default_configENS1_38merge_sort_block_merge_config_selectorIlNS0_10empty_typeEEEZZNS1_27merge_sort_block_merge_implIS3_PlPS5_jNS1_19radix_merge_compareILb1ELb1ElNS0_19identity_decomposerEEEEE10hipError_tT0_T1_T2_jT3_P12ihipStream_tbPNSt15iterator_traitsISE_E10value_typeEPNSK_ISF_E10value_typeEPSG_NS1_7vsmem_tEENKUlT_SE_SF_SG_E_clIS8_S8_S9_S9_EESD_ST_SE_SF_SG_EUlST_E_NS1_11comp_targetILNS1_3genE8ELNS1_11target_archE1030ELNS1_3gpuE2ELNS1_3repE0EEENS1_48merge_mergepath_partition_config_static_selectorELNS0_4arch9wavefront6targetE1EEEvSF_
		.amdhsa_group_segment_fixed_size 0
		.amdhsa_private_segment_fixed_size 0
		.amdhsa_kernarg_size 40
		.amdhsa_user_sgpr_count 6
		.amdhsa_user_sgpr_private_segment_buffer 1
		.amdhsa_user_sgpr_dispatch_ptr 0
		.amdhsa_user_sgpr_queue_ptr 0
		.amdhsa_user_sgpr_kernarg_segment_ptr 1
		.amdhsa_user_sgpr_dispatch_id 0
		.amdhsa_user_sgpr_flat_scratch_init 0
		.amdhsa_user_sgpr_kernarg_preload_length 0
		.amdhsa_user_sgpr_kernarg_preload_offset 0
		.amdhsa_user_sgpr_private_segment_size 0
		.amdhsa_uses_dynamic_stack 0
		.amdhsa_system_sgpr_private_segment_wavefront_offset 0
		.amdhsa_system_sgpr_workgroup_id_x 1
		.amdhsa_system_sgpr_workgroup_id_y 0
		.amdhsa_system_sgpr_workgroup_id_z 0
		.amdhsa_system_sgpr_workgroup_info 0
		.amdhsa_system_vgpr_workitem_id 0
		.amdhsa_next_free_vgpr 1
		.amdhsa_next_free_sgpr 0
		.amdhsa_accum_offset 4
		.amdhsa_reserve_vcc 0
		.amdhsa_reserve_flat_scratch 0
		.amdhsa_float_round_mode_32 0
		.amdhsa_float_round_mode_16_64 0
		.amdhsa_float_denorm_mode_32 3
		.amdhsa_float_denorm_mode_16_64 3
		.amdhsa_dx10_clamp 1
		.amdhsa_ieee_mode 1
		.amdhsa_fp16_overflow 0
		.amdhsa_tg_split 0
		.amdhsa_exception_fp_ieee_invalid_op 0
		.amdhsa_exception_fp_denorm_src 0
		.amdhsa_exception_fp_ieee_div_zero 0
		.amdhsa_exception_fp_ieee_overflow 0
		.amdhsa_exception_fp_ieee_underflow 0
		.amdhsa_exception_fp_ieee_inexact 0
		.amdhsa_exception_int_div_zero 0
	.end_amdhsa_kernel
	.section	.text._ZN7rocprim17ROCPRIM_400000_NS6detail17trampoline_kernelINS0_14default_configENS1_38merge_sort_block_merge_config_selectorIlNS0_10empty_typeEEEZZNS1_27merge_sort_block_merge_implIS3_PlPS5_jNS1_19radix_merge_compareILb1ELb1ElNS0_19identity_decomposerEEEEE10hipError_tT0_T1_T2_jT3_P12ihipStream_tbPNSt15iterator_traitsISE_E10value_typeEPNSK_ISF_E10value_typeEPSG_NS1_7vsmem_tEENKUlT_SE_SF_SG_E_clIS8_S8_S9_S9_EESD_ST_SE_SF_SG_EUlST_E_NS1_11comp_targetILNS1_3genE8ELNS1_11target_archE1030ELNS1_3gpuE2ELNS1_3repE0EEENS1_48merge_mergepath_partition_config_static_selectorELNS0_4arch9wavefront6targetE1EEEvSF_,"axG",@progbits,_ZN7rocprim17ROCPRIM_400000_NS6detail17trampoline_kernelINS0_14default_configENS1_38merge_sort_block_merge_config_selectorIlNS0_10empty_typeEEEZZNS1_27merge_sort_block_merge_implIS3_PlPS5_jNS1_19radix_merge_compareILb1ELb1ElNS0_19identity_decomposerEEEEE10hipError_tT0_T1_T2_jT3_P12ihipStream_tbPNSt15iterator_traitsISE_E10value_typeEPNSK_ISF_E10value_typeEPSG_NS1_7vsmem_tEENKUlT_SE_SF_SG_E_clIS8_S8_S9_S9_EESD_ST_SE_SF_SG_EUlST_E_NS1_11comp_targetILNS1_3genE8ELNS1_11target_archE1030ELNS1_3gpuE2ELNS1_3repE0EEENS1_48merge_mergepath_partition_config_static_selectorELNS0_4arch9wavefront6targetE1EEEvSF_,comdat
.Lfunc_end2163:
	.size	_ZN7rocprim17ROCPRIM_400000_NS6detail17trampoline_kernelINS0_14default_configENS1_38merge_sort_block_merge_config_selectorIlNS0_10empty_typeEEEZZNS1_27merge_sort_block_merge_implIS3_PlPS5_jNS1_19radix_merge_compareILb1ELb1ElNS0_19identity_decomposerEEEEE10hipError_tT0_T1_T2_jT3_P12ihipStream_tbPNSt15iterator_traitsISE_E10value_typeEPNSK_ISF_E10value_typeEPSG_NS1_7vsmem_tEENKUlT_SE_SF_SG_E_clIS8_S8_S9_S9_EESD_ST_SE_SF_SG_EUlST_E_NS1_11comp_targetILNS1_3genE8ELNS1_11target_archE1030ELNS1_3gpuE2ELNS1_3repE0EEENS1_48merge_mergepath_partition_config_static_selectorELNS0_4arch9wavefront6targetE1EEEvSF_, .Lfunc_end2163-_ZN7rocprim17ROCPRIM_400000_NS6detail17trampoline_kernelINS0_14default_configENS1_38merge_sort_block_merge_config_selectorIlNS0_10empty_typeEEEZZNS1_27merge_sort_block_merge_implIS3_PlPS5_jNS1_19radix_merge_compareILb1ELb1ElNS0_19identity_decomposerEEEEE10hipError_tT0_T1_T2_jT3_P12ihipStream_tbPNSt15iterator_traitsISE_E10value_typeEPNSK_ISF_E10value_typeEPSG_NS1_7vsmem_tEENKUlT_SE_SF_SG_E_clIS8_S8_S9_S9_EESD_ST_SE_SF_SG_EUlST_E_NS1_11comp_targetILNS1_3genE8ELNS1_11target_archE1030ELNS1_3gpuE2ELNS1_3repE0EEENS1_48merge_mergepath_partition_config_static_selectorELNS0_4arch9wavefront6targetE1EEEvSF_
                                        ; -- End function
	.section	.AMDGPU.csdata,"",@progbits
; Kernel info:
; codeLenInByte = 0
; NumSgprs: 4
; NumVgprs: 0
; NumAgprs: 0
; TotalNumVgprs: 0
; ScratchSize: 0
; MemoryBound: 0
; FloatMode: 240
; IeeeMode: 1
; LDSByteSize: 0 bytes/workgroup (compile time only)
; SGPRBlocks: 0
; VGPRBlocks: 0
; NumSGPRsForWavesPerEU: 4
; NumVGPRsForWavesPerEU: 1
; AccumOffset: 4
; Occupancy: 8
; WaveLimiterHint : 0
; COMPUTE_PGM_RSRC2:SCRATCH_EN: 0
; COMPUTE_PGM_RSRC2:USER_SGPR: 6
; COMPUTE_PGM_RSRC2:TRAP_HANDLER: 0
; COMPUTE_PGM_RSRC2:TGID_X_EN: 1
; COMPUTE_PGM_RSRC2:TGID_Y_EN: 0
; COMPUTE_PGM_RSRC2:TGID_Z_EN: 0
; COMPUTE_PGM_RSRC2:TIDIG_COMP_CNT: 0
; COMPUTE_PGM_RSRC3_GFX90A:ACCUM_OFFSET: 0
; COMPUTE_PGM_RSRC3_GFX90A:TG_SPLIT: 0
	.section	.text._ZN7rocprim17ROCPRIM_400000_NS6detail17trampoline_kernelINS0_14default_configENS1_38merge_sort_block_merge_config_selectorIlNS0_10empty_typeEEEZZNS1_27merge_sort_block_merge_implIS3_PlPS5_jNS1_19radix_merge_compareILb1ELb1ElNS0_19identity_decomposerEEEEE10hipError_tT0_T1_T2_jT3_P12ihipStream_tbPNSt15iterator_traitsISE_E10value_typeEPNSK_ISF_E10value_typeEPSG_NS1_7vsmem_tEENKUlT_SE_SF_SG_E_clIS8_S8_S9_S9_EESD_ST_SE_SF_SG_EUlST_E0_NS1_11comp_targetILNS1_3genE0ELNS1_11target_archE4294967295ELNS1_3gpuE0ELNS1_3repE0EEENS1_38merge_mergepath_config_static_selectorELNS0_4arch9wavefront6targetE1EEEvSF_,"axG",@progbits,_ZN7rocprim17ROCPRIM_400000_NS6detail17trampoline_kernelINS0_14default_configENS1_38merge_sort_block_merge_config_selectorIlNS0_10empty_typeEEEZZNS1_27merge_sort_block_merge_implIS3_PlPS5_jNS1_19radix_merge_compareILb1ELb1ElNS0_19identity_decomposerEEEEE10hipError_tT0_T1_T2_jT3_P12ihipStream_tbPNSt15iterator_traitsISE_E10value_typeEPNSK_ISF_E10value_typeEPSG_NS1_7vsmem_tEENKUlT_SE_SF_SG_E_clIS8_S8_S9_S9_EESD_ST_SE_SF_SG_EUlST_E0_NS1_11comp_targetILNS1_3genE0ELNS1_11target_archE4294967295ELNS1_3gpuE0ELNS1_3repE0EEENS1_38merge_mergepath_config_static_selectorELNS0_4arch9wavefront6targetE1EEEvSF_,comdat
	.protected	_ZN7rocprim17ROCPRIM_400000_NS6detail17trampoline_kernelINS0_14default_configENS1_38merge_sort_block_merge_config_selectorIlNS0_10empty_typeEEEZZNS1_27merge_sort_block_merge_implIS3_PlPS5_jNS1_19radix_merge_compareILb1ELb1ElNS0_19identity_decomposerEEEEE10hipError_tT0_T1_T2_jT3_P12ihipStream_tbPNSt15iterator_traitsISE_E10value_typeEPNSK_ISF_E10value_typeEPSG_NS1_7vsmem_tEENKUlT_SE_SF_SG_E_clIS8_S8_S9_S9_EESD_ST_SE_SF_SG_EUlST_E0_NS1_11comp_targetILNS1_3genE0ELNS1_11target_archE4294967295ELNS1_3gpuE0ELNS1_3repE0EEENS1_38merge_mergepath_config_static_selectorELNS0_4arch9wavefront6targetE1EEEvSF_ ; -- Begin function _ZN7rocprim17ROCPRIM_400000_NS6detail17trampoline_kernelINS0_14default_configENS1_38merge_sort_block_merge_config_selectorIlNS0_10empty_typeEEEZZNS1_27merge_sort_block_merge_implIS3_PlPS5_jNS1_19radix_merge_compareILb1ELb1ElNS0_19identity_decomposerEEEEE10hipError_tT0_T1_T2_jT3_P12ihipStream_tbPNSt15iterator_traitsISE_E10value_typeEPNSK_ISF_E10value_typeEPSG_NS1_7vsmem_tEENKUlT_SE_SF_SG_E_clIS8_S8_S9_S9_EESD_ST_SE_SF_SG_EUlST_E0_NS1_11comp_targetILNS1_3genE0ELNS1_11target_archE4294967295ELNS1_3gpuE0ELNS1_3repE0EEENS1_38merge_mergepath_config_static_selectorELNS0_4arch9wavefront6targetE1EEEvSF_
	.globl	_ZN7rocprim17ROCPRIM_400000_NS6detail17trampoline_kernelINS0_14default_configENS1_38merge_sort_block_merge_config_selectorIlNS0_10empty_typeEEEZZNS1_27merge_sort_block_merge_implIS3_PlPS5_jNS1_19radix_merge_compareILb1ELb1ElNS0_19identity_decomposerEEEEE10hipError_tT0_T1_T2_jT3_P12ihipStream_tbPNSt15iterator_traitsISE_E10value_typeEPNSK_ISF_E10value_typeEPSG_NS1_7vsmem_tEENKUlT_SE_SF_SG_E_clIS8_S8_S9_S9_EESD_ST_SE_SF_SG_EUlST_E0_NS1_11comp_targetILNS1_3genE0ELNS1_11target_archE4294967295ELNS1_3gpuE0ELNS1_3repE0EEENS1_38merge_mergepath_config_static_selectorELNS0_4arch9wavefront6targetE1EEEvSF_
	.p2align	8
	.type	_ZN7rocprim17ROCPRIM_400000_NS6detail17trampoline_kernelINS0_14default_configENS1_38merge_sort_block_merge_config_selectorIlNS0_10empty_typeEEEZZNS1_27merge_sort_block_merge_implIS3_PlPS5_jNS1_19radix_merge_compareILb1ELb1ElNS0_19identity_decomposerEEEEE10hipError_tT0_T1_T2_jT3_P12ihipStream_tbPNSt15iterator_traitsISE_E10value_typeEPNSK_ISF_E10value_typeEPSG_NS1_7vsmem_tEENKUlT_SE_SF_SG_E_clIS8_S8_S9_S9_EESD_ST_SE_SF_SG_EUlST_E0_NS1_11comp_targetILNS1_3genE0ELNS1_11target_archE4294967295ELNS1_3gpuE0ELNS1_3repE0EEENS1_38merge_mergepath_config_static_selectorELNS0_4arch9wavefront6targetE1EEEvSF_,@function
_ZN7rocprim17ROCPRIM_400000_NS6detail17trampoline_kernelINS0_14default_configENS1_38merge_sort_block_merge_config_selectorIlNS0_10empty_typeEEEZZNS1_27merge_sort_block_merge_implIS3_PlPS5_jNS1_19radix_merge_compareILb1ELb1ElNS0_19identity_decomposerEEEEE10hipError_tT0_T1_T2_jT3_P12ihipStream_tbPNSt15iterator_traitsISE_E10value_typeEPNSK_ISF_E10value_typeEPSG_NS1_7vsmem_tEENKUlT_SE_SF_SG_E_clIS8_S8_S9_S9_EESD_ST_SE_SF_SG_EUlST_E0_NS1_11comp_targetILNS1_3genE0ELNS1_11target_archE4294967295ELNS1_3gpuE0ELNS1_3repE0EEENS1_38merge_mergepath_config_static_selectorELNS0_4arch9wavefront6targetE1EEEvSF_: ; @_ZN7rocprim17ROCPRIM_400000_NS6detail17trampoline_kernelINS0_14default_configENS1_38merge_sort_block_merge_config_selectorIlNS0_10empty_typeEEEZZNS1_27merge_sort_block_merge_implIS3_PlPS5_jNS1_19radix_merge_compareILb1ELb1ElNS0_19identity_decomposerEEEEE10hipError_tT0_T1_T2_jT3_P12ihipStream_tbPNSt15iterator_traitsISE_E10value_typeEPNSK_ISF_E10value_typeEPSG_NS1_7vsmem_tEENKUlT_SE_SF_SG_E_clIS8_S8_S9_S9_EESD_ST_SE_SF_SG_EUlST_E0_NS1_11comp_targetILNS1_3genE0ELNS1_11target_archE4294967295ELNS1_3gpuE0ELNS1_3repE0EEENS1_38merge_mergepath_config_static_selectorELNS0_4arch9wavefront6targetE1EEEvSF_
; %bb.0:
	.section	.rodata,"a",@progbits
	.p2align	6, 0x0
	.amdhsa_kernel _ZN7rocprim17ROCPRIM_400000_NS6detail17trampoline_kernelINS0_14default_configENS1_38merge_sort_block_merge_config_selectorIlNS0_10empty_typeEEEZZNS1_27merge_sort_block_merge_implIS3_PlPS5_jNS1_19radix_merge_compareILb1ELb1ElNS0_19identity_decomposerEEEEE10hipError_tT0_T1_T2_jT3_P12ihipStream_tbPNSt15iterator_traitsISE_E10value_typeEPNSK_ISF_E10value_typeEPSG_NS1_7vsmem_tEENKUlT_SE_SF_SG_E_clIS8_S8_S9_S9_EESD_ST_SE_SF_SG_EUlST_E0_NS1_11comp_targetILNS1_3genE0ELNS1_11target_archE4294967295ELNS1_3gpuE0ELNS1_3repE0EEENS1_38merge_mergepath_config_static_selectorELNS0_4arch9wavefront6targetE1EEEvSF_
		.amdhsa_group_segment_fixed_size 0
		.amdhsa_private_segment_fixed_size 0
		.amdhsa_kernarg_size 72
		.amdhsa_user_sgpr_count 6
		.amdhsa_user_sgpr_private_segment_buffer 1
		.amdhsa_user_sgpr_dispatch_ptr 0
		.amdhsa_user_sgpr_queue_ptr 0
		.amdhsa_user_sgpr_kernarg_segment_ptr 1
		.amdhsa_user_sgpr_dispatch_id 0
		.amdhsa_user_sgpr_flat_scratch_init 0
		.amdhsa_user_sgpr_kernarg_preload_length 0
		.amdhsa_user_sgpr_kernarg_preload_offset 0
		.amdhsa_user_sgpr_private_segment_size 0
		.amdhsa_uses_dynamic_stack 0
		.amdhsa_system_sgpr_private_segment_wavefront_offset 0
		.amdhsa_system_sgpr_workgroup_id_x 1
		.amdhsa_system_sgpr_workgroup_id_y 0
		.amdhsa_system_sgpr_workgroup_id_z 0
		.amdhsa_system_sgpr_workgroup_info 0
		.amdhsa_system_vgpr_workitem_id 0
		.amdhsa_next_free_vgpr 1
		.amdhsa_next_free_sgpr 0
		.amdhsa_accum_offset 4
		.amdhsa_reserve_vcc 0
		.amdhsa_reserve_flat_scratch 0
		.amdhsa_float_round_mode_32 0
		.amdhsa_float_round_mode_16_64 0
		.amdhsa_float_denorm_mode_32 3
		.amdhsa_float_denorm_mode_16_64 3
		.amdhsa_dx10_clamp 1
		.amdhsa_ieee_mode 1
		.amdhsa_fp16_overflow 0
		.amdhsa_tg_split 0
		.amdhsa_exception_fp_ieee_invalid_op 0
		.amdhsa_exception_fp_denorm_src 0
		.amdhsa_exception_fp_ieee_div_zero 0
		.amdhsa_exception_fp_ieee_overflow 0
		.amdhsa_exception_fp_ieee_underflow 0
		.amdhsa_exception_fp_ieee_inexact 0
		.amdhsa_exception_int_div_zero 0
	.end_amdhsa_kernel
	.section	.text._ZN7rocprim17ROCPRIM_400000_NS6detail17trampoline_kernelINS0_14default_configENS1_38merge_sort_block_merge_config_selectorIlNS0_10empty_typeEEEZZNS1_27merge_sort_block_merge_implIS3_PlPS5_jNS1_19radix_merge_compareILb1ELb1ElNS0_19identity_decomposerEEEEE10hipError_tT0_T1_T2_jT3_P12ihipStream_tbPNSt15iterator_traitsISE_E10value_typeEPNSK_ISF_E10value_typeEPSG_NS1_7vsmem_tEENKUlT_SE_SF_SG_E_clIS8_S8_S9_S9_EESD_ST_SE_SF_SG_EUlST_E0_NS1_11comp_targetILNS1_3genE0ELNS1_11target_archE4294967295ELNS1_3gpuE0ELNS1_3repE0EEENS1_38merge_mergepath_config_static_selectorELNS0_4arch9wavefront6targetE1EEEvSF_,"axG",@progbits,_ZN7rocprim17ROCPRIM_400000_NS6detail17trampoline_kernelINS0_14default_configENS1_38merge_sort_block_merge_config_selectorIlNS0_10empty_typeEEEZZNS1_27merge_sort_block_merge_implIS3_PlPS5_jNS1_19radix_merge_compareILb1ELb1ElNS0_19identity_decomposerEEEEE10hipError_tT0_T1_T2_jT3_P12ihipStream_tbPNSt15iterator_traitsISE_E10value_typeEPNSK_ISF_E10value_typeEPSG_NS1_7vsmem_tEENKUlT_SE_SF_SG_E_clIS8_S8_S9_S9_EESD_ST_SE_SF_SG_EUlST_E0_NS1_11comp_targetILNS1_3genE0ELNS1_11target_archE4294967295ELNS1_3gpuE0ELNS1_3repE0EEENS1_38merge_mergepath_config_static_selectorELNS0_4arch9wavefront6targetE1EEEvSF_,comdat
.Lfunc_end2164:
	.size	_ZN7rocprim17ROCPRIM_400000_NS6detail17trampoline_kernelINS0_14default_configENS1_38merge_sort_block_merge_config_selectorIlNS0_10empty_typeEEEZZNS1_27merge_sort_block_merge_implIS3_PlPS5_jNS1_19radix_merge_compareILb1ELb1ElNS0_19identity_decomposerEEEEE10hipError_tT0_T1_T2_jT3_P12ihipStream_tbPNSt15iterator_traitsISE_E10value_typeEPNSK_ISF_E10value_typeEPSG_NS1_7vsmem_tEENKUlT_SE_SF_SG_E_clIS8_S8_S9_S9_EESD_ST_SE_SF_SG_EUlST_E0_NS1_11comp_targetILNS1_3genE0ELNS1_11target_archE4294967295ELNS1_3gpuE0ELNS1_3repE0EEENS1_38merge_mergepath_config_static_selectorELNS0_4arch9wavefront6targetE1EEEvSF_, .Lfunc_end2164-_ZN7rocprim17ROCPRIM_400000_NS6detail17trampoline_kernelINS0_14default_configENS1_38merge_sort_block_merge_config_selectorIlNS0_10empty_typeEEEZZNS1_27merge_sort_block_merge_implIS3_PlPS5_jNS1_19radix_merge_compareILb1ELb1ElNS0_19identity_decomposerEEEEE10hipError_tT0_T1_T2_jT3_P12ihipStream_tbPNSt15iterator_traitsISE_E10value_typeEPNSK_ISF_E10value_typeEPSG_NS1_7vsmem_tEENKUlT_SE_SF_SG_E_clIS8_S8_S9_S9_EESD_ST_SE_SF_SG_EUlST_E0_NS1_11comp_targetILNS1_3genE0ELNS1_11target_archE4294967295ELNS1_3gpuE0ELNS1_3repE0EEENS1_38merge_mergepath_config_static_selectorELNS0_4arch9wavefront6targetE1EEEvSF_
                                        ; -- End function
	.section	.AMDGPU.csdata,"",@progbits
; Kernel info:
; codeLenInByte = 0
; NumSgprs: 4
; NumVgprs: 0
; NumAgprs: 0
; TotalNumVgprs: 0
; ScratchSize: 0
; MemoryBound: 0
; FloatMode: 240
; IeeeMode: 1
; LDSByteSize: 0 bytes/workgroup (compile time only)
; SGPRBlocks: 0
; VGPRBlocks: 0
; NumSGPRsForWavesPerEU: 4
; NumVGPRsForWavesPerEU: 1
; AccumOffset: 4
; Occupancy: 8
; WaveLimiterHint : 0
; COMPUTE_PGM_RSRC2:SCRATCH_EN: 0
; COMPUTE_PGM_RSRC2:USER_SGPR: 6
; COMPUTE_PGM_RSRC2:TRAP_HANDLER: 0
; COMPUTE_PGM_RSRC2:TGID_X_EN: 1
; COMPUTE_PGM_RSRC2:TGID_Y_EN: 0
; COMPUTE_PGM_RSRC2:TGID_Z_EN: 0
; COMPUTE_PGM_RSRC2:TIDIG_COMP_CNT: 0
; COMPUTE_PGM_RSRC3_GFX90A:ACCUM_OFFSET: 0
; COMPUTE_PGM_RSRC3_GFX90A:TG_SPLIT: 0
	.section	.text._ZN7rocprim17ROCPRIM_400000_NS6detail17trampoline_kernelINS0_14default_configENS1_38merge_sort_block_merge_config_selectorIlNS0_10empty_typeEEEZZNS1_27merge_sort_block_merge_implIS3_PlPS5_jNS1_19radix_merge_compareILb1ELb1ElNS0_19identity_decomposerEEEEE10hipError_tT0_T1_T2_jT3_P12ihipStream_tbPNSt15iterator_traitsISE_E10value_typeEPNSK_ISF_E10value_typeEPSG_NS1_7vsmem_tEENKUlT_SE_SF_SG_E_clIS8_S8_S9_S9_EESD_ST_SE_SF_SG_EUlST_E0_NS1_11comp_targetILNS1_3genE10ELNS1_11target_archE1201ELNS1_3gpuE5ELNS1_3repE0EEENS1_38merge_mergepath_config_static_selectorELNS0_4arch9wavefront6targetE1EEEvSF_,"axG",@progbits,_ZN7rocprim17ROCPRIM_400000_NS6detail17trampoline_kernelINS0_14default_configENS1_38merge_sort_block_merge_config_selectorIlNS0_10empty_typeEEEZZNS1_27merge_sort_block_merge_implIS3_PlPS5_jNS1_19radix_merge_compareILb1ELb1ElNS0_19identity_decomposerEEEEE10hipError_tT0_T1_T2_jT3_P12ihipStream_tbPNSt15iterator_traitsISE_E10value_typeEPNSK_ISF_E10value_typeEPSG_NS1_7vsmem_tEENKUlT_SE_SF_SG_E_clIS8_S8_S9_S9_EESD_ST_SE_SF_SG_EUlST_E0_NS1_11comp_targetILNS1_3genE10ELNS1_11target_archE1201ELNS1_3gpuE5ELNS1_3repE0EEENS1_38merge_mergepath_config_static_selectorELNS0_4arch9wavefront6targetE1EEEvSF_,comdat
	.protected	_ZN7rocprim17ROCPRIM_400000_NS6detail17trampoline_kernelINS0_14default_configENS1_38merge_sort_block_merge_config_selectorIlNS0_10empty_typeEEEZZNS1_27merge_sort_block_merge_implIS3_PlPS5_jNS1_19radix_merge_compareILb1ELb1ElNS0_19identity_decomposerEEEEE10hipError_tT0_T1_T2_jT3_P12ihipStream_tbPNSt15iterator_traitsISE_E10value_typeEPNSK_ISF_E10value_typeEPSG_NS1_7vsmem_tEENKUlT_SE_SF_SG_E_clIS8_S8_S9_S9_EESD_ST_SE_SF_SG_EUlST_E0_NS1_11comp_targetILNS1_3genE10ELNS1_11target_archE1201ELNS1_3gpuE5ELNS1_3repE0EEENS1_38merge_mergepath_config_static_selectorELNS0_4arch9wavefront6targetE1EEEvSF_ ; -- Begin function _ZN7rocprim17ROCPRIM_400000_NS6detail17trampoline_kernelINS0_14default_configENS1_38merge_sort_block_merge_config_selectorIlNS0_10empty_typeEEEZZNS1_27merge_sort_block_merge_implIS3_PlPS5_jNS1_19radix_merge_compareILb1ELb1ElNS0_19identity_decomposerEEEEE10hipError_tT0_T1_T2_jT3_P12ihipStream_tbPNSt15iterator_traitsISE_E10value_typeEPNSK_ISF_E10value_typeEPSG_NS1_7vsmem_tEENKUlT_SE_SF_SG_E_clIS8_S8_S9_S9_EESD_ST_SE_SF_SG_EUlST_E0_NS1_11comp_targetILNS1_3genE10ELNS1_11target_archE1201ELNS1_3gpuE5ELNS1_3repE0EEENS1_38merge_mergepath_config_static_selectorELNS0_4arch9wavefront6targetE1EEEvSF_
	.globl	_ZN7rocprim17ROCPRIM_400000_NS6detail17trampoline_kernelINS0_14default_configENS1_38merge_sort_block_merge_config_selectorIlNS0_10empty_typeEEEZZNS1_27merge_sort_block_merge_implIS3_PlPS5_jNS1_19radix_merge_compareILb1ELb1ElNS0_19identity_decomposerEEEEE10hipError_tT0_T1_T2_jT3_P12ihipStream_tbPNSt15iterator_traitsISE_E10value_typeEPNSK_ISF_E10value_typeEPSG_NS1_7vsmem_tEENKUlT_SE_SF_SG_E_clIS8_S8_S9_S9_EESD_ST_SE_SF_SG_EUlST_E0_NS1_11comp_targetILNS1_3genE10ELNS1_11target_archE1201ELNS1_3gpuE5ELNS1_3repE0EEENS1_38merge_mergepath_config_static_selectorELNS0_4arch9wavefront6targetE1EEEvSF_
	.p2align	8
	.type	_ZN7rocprim17ROCPRIM_400000_NS6detail17trampoline_kernelINS0_14default_configENS1_38merge_sort_block_merge_config_selectorIlNS0_10empty_typeEEEZZNS1_27merge_sort_block_merge_implIS3_PlPS5_jNS1_19radix_merge_compareILb1ELb1ElNS0_19identity_decomposerEEEEE10hipError_tT0_T1_T2_jT3_P12ihipStream_tbPNSt15iterator_traitsISE_E10value_typeEPNSK_ISF_E10value_typeEPSG_NS1_7vsmem_tEENKUlT_SE_SF_SG_E_clIS8_S8_S9_S9_EESD_ST_SE_SF_SG_EUlST_E0_NS1_11comp_targetILNS1_3genE10ELNS1_11target_archE1201ELNS1_3gpuE5ELNS1_3repE0EEENS1_38merge_mergepath_config_static_selectorELNS0_4arch9wavefront6targetE1EEEvSF_,@function
_ZN7rocprim17ROCPRIM_400000_NS6detail17trampoline_kernelINS0_14default_configENS1_38merge_sort_block_merge_config_selectorIlNS0_10empty_typeEEEZZNS1_27merge_sort_block_merge_implIS3_PlPS5_jNS1_19radix_merge_compareILb1ELb1ElNS0_19identity_decomposerEEEEE10hipError_tT0_T1_T2_jT3_P12ihipStream_tbPNSt15iterator_traitsISE_E10value_typeEPNSK_ISF_E10value_typeEPSG_NS1_7vsmem_tEENKUlT_SE_SF_SG_E_clIS8_S8_S9_S9_EESD_ST_SE_SF_SG_EUlST_E0_NS1_11comp_targetILNS1_3genE10ELNS1_11target_archE1201ELNS1_3gpuE5ELNS1_3repE0EEENS1_38merge_mergepath_config_static_selectorELNS0_4arch9wavefront6targetE1EEEvSF_: ; @_ZN7rocprim17ROCPRIM_400000_NS6detail17trampoline_kernelINS0_14default_configENS1_38merge_sort_block_merge_config_selectorIlNS0_10empty_typeEEEZZNS1_27merge_sort_block_merge_implIS3_PlPS5_jNS1_19radix_merge_compareILb1ELb1ElNS0_19identity_decomposerEEEEE10hipError_tT0_T1_T2_jT3_P12ihipStream_tbPNSt15iterator_traitsISE_E10value_typeEPNSK_ISF_E10value_typeEPSG_NS1_7vsmem_tEENKUlT_SE_SF_SG_E_clIS8_S8_S9_S9_EESD_ST_SE_SF_SG_EUlST_E0_NS1_11comp_targetILNS1_3genE10ELNS1_11target_archE1201ELNS1_3gpuE5ELNS1_3repE0EEENS1_38merge_mergepath_config_static_selectorELNS0_4arch9wavefront6targetE1EEEvSF_
; %bb.0:
	.section	.rodata,"a",@progbits
	.p2align	6, 0x0
	.amdhsa_kernel _ZN7rocprim17ROCPRIM_400000_NS6detail17trampoline_kernelINS0_14default_configENS1_38merge_sort_block_merge_config_selectorIlNS0_10empty_typeEEEZZNS1_27merge_sort_block_merge_implIS3_PlPS5_jNS1_19radix_merge_compareILb1ELb1ElNS0_19identity_decomposerEEEEE10hipError_tT0_T1_T2_jT3_P12ihipStream_tbPNSt15iterator_traitsISE_E10value_typeEPNSK_ISF_E10value_typeEPSG_NS1_7vsmem_tEENKUlT_SE_SF_SG_E_clIS8_S8_S9_S9_EESD_ST_SE_SF_SG_EUlST_E0_NS1_11comp_targetILNS1_3genE10ELNS1_11target_archE1201ELNS1_3gpuE5ELNS1_3repE0EEENS1_38merge_mergepath_config_static_selectorELNS0_4arch9wavefront6targetE1EEEvSF_
		.amdhsa_group_segment_fixed_size 0
		.amdhsa_private_segment_fixed_size 0
		.amdhsa_kernarg_size 72
		.amdhsa_user_sgpr_count 6
		.amdhsa_user_sgpr_private_segment_buffer 1
		.amdhsa_user_sgpr_dispatch_ptr 0
		.amdhsa_user_sgpr_queue_ptr 0
		.amdhsa_user_sgpr_kernarg_segment_ptr 1
		.amdhsa_user_sgpr_dispatch_id 0
		.amdhsa_user_sgpr_flat_scratch_init 0
		.amdhsa_user_sgpr_kernarg_preload_length 0
		.amdhsa_user_sgpr_kernarg_preload_offset 0
		.amdhsa_user_sgpr_private_segment_size 0
		.amdhsa_uses_dynamic_stack 0
		.amdhsa_system_sgpr_private_segment_wavefront_offset 0
		.amdhsa_system_sgpr_workgroup_id_x 1
		.amdhsa_system_sgpr_workgroup_id_y 0
		.amdhsa_system_sgpr_workgroup_id_z 0
		.amdhsa_system_sgpr_workgroup_info 0
		.amdhsa_system_vgpr_workitem_id 0
		.amdhsa_next_free_vgpr 1
		.amdhsa_next_free_sgpr 0
		.amdhsa_accum_offset 4
		.amdhsa_reserve_vcc 0
		.amdhsa_reserve_flat_scratch 0
		.amdhsa_float_round_mode_32 0
		.amdhsa_float_round_mode_16_64 0
		.amdhsa_float_denorm_mode_32 3
		.amdhsa_float_denorm_mode_16_64 3
		.amdhsa_dx10_clamp 1
		.amdhsa_ieee_mode 1
		.amdhsa_fp16_overflow 0
		.amdhsa_tg_split 0
		.amdhsa_exception_fp_ieee_invalid_op 0
		.amdhsa_exception_fp_denorm_src 0
		.amdhsa_exception_fp_ieee_div_zero 0
		.amdhsa_exception_fp_ieee_overflow 0
		.amdhsa_exception_fp_ieee_underflow 0
		.amdhsa_exception_fp_ieee_inexact 0
		.amdhsa_exception_int_div_zero 0
	.end_amdhsa_kernel
	.section	.text._ZN7rocprim17ROCPRIM_400000_NS6detail17trampoline_kernelINS0_14default_configENS1_38merge_sort_block_merge_config_selectorIlNS0_10empty_typeEEEZZNS1_27merge_sort_block_merge_implIS3_PlPS5_jNS1_19radix_merge_compareILb1ELb1ElNS0_19identity_decomposerEEEEE10hipError_tT0_T1_T2_jT3_P12ihipStream_tbPNSt15iterator_traitsISE_E10value_typeEPNSK_ISF_E10value_typeEPSG_NS1_7vsmem_tEENKUlT_SE_SF_SG_E_clIS8_S8_S9_S9_EESD_ST_SE_SF_SG_EUlST_E0_NS1_11comp_targetILNS1_3genE10ELNS1_11target_archE1201ELNS1_3gpuE5ELNS1_3repE0EEENS1_38merge_mergepath_config_static_selectorELNS0_4arch9wavefront6targetE1EEEvSF_,"axG",@progbits,_ZN7rocprim17ROCPRIM_400000_NS6detail17trampoline_kernelINS0_14default_configENS1_38merge_sort_block_merge_config_selectorIlNS0_10empty_typeEEEZZNS1_27merge_sort_block_merge_implIS3_PlPS5_jNS1_19radix_merge_compareILb1ELb1ElNS0_19identity_decomposerEEEEE10hipError_tT0_T1_T2_jT3_P12ihipStream_tbPNSt15iterator_traitsISE_E10value_typeEPNSK_ISF_E10value_typeEPSG_NS1_7vsmem_tEENKUlT_SE_SF_SG_E_clIS8_S8_S9_S9_EESD_ST_SE_SF_SG_EUlST_E0_NS1_11comp_targetILNS1_3genE10ELNS1_11target_archE1201ELNS1_3gpuE5ELNS1_3repE0EEENS1_38merge_mergepath_config_static_selectorELNS0_4arch9wavefront6targetE1EEEvSF_,comdat
.Lfunc_end2165:
	.size	_ZN7rocprim17ROCPRIM_400000_NS6detail17trampoline_kernelINS0_14default_configENS1_38merge_sort_block_merge_config_selectorIlNS0_10empty_typeEEEZZNS1_27merge_sort_block_merge_implIS3_PlPS5_jNS1_19radix_merge_compareILb1ELb1ElNS0_19identity_decomposerEEEEE10hipError_tT0_T1_T2_jT3_P12ihipStream_tbPNSt15iterator_traitsISE_E10value_typeEPNSK_ISF_E10value_typeEPSG_NS1_7vsmem_tEENKUlT_SE_SF_SG_E_clIS8_S8_S9_S9_EESD_ST_SE_SF_SG_EUlST_E0_NS1_11comp_targetILNS1_3genE10ELNS1_11target_archE1201ELNS1_3gpuE5ELNS1_3repE0EEENS1_38merge_mergepath_config_static_selectorELNS0_4arch9wavefront6targetE1EEEvSF_, .Lfunc_end2165-_ZN7rocprim17ROCPRIM_400000_NS6detail17trampoline_kernelINS0_14default_configENS1_38merge_sort_block_merge_config_selectorIlNS0_10empty_typeEEEZZNS1_27merge_sort_block_merge_implIS3_PlPS5_jNS1_19radix_merge_compareILb1ELb1ElNS0_19identity_decomposerEEEEE10hipError_tT0_T1_T2_jT3_P12ihipStream_tbPNSt15iterator_traitsISE_E10value_typeEPNSK_ISF_E10value_typeEPSG_NS1_7vsmem_tEENKUlT_SE_SF_SG_E_clIS8_S8_S9_S9_EESD_ST_SE_SF_SG_EUlST_E0_NS1_11comp_targetILNS1_3genE10ELNS1_11target_archE1201ELNS1_3gpuE5ELNS1_3repE0EEENS1_38merge_mergepath_config_static_selectorELNS0_4arch9wavefront6targetE1EEEvSF_
                                        ; -- End function
	.section	.AMDGPU.csdata,"",@progbits
; Kernel info:
; codeLenInByte = 0
; NumSgprs: 4
; NumVgprs: 0
; NumAgprs: 0
; TotalNumVgprs: 0
; ScratchSize: 0
; MemoryBound: 0
; FloatMode: 240
; IeeeMode: 1
; LDSByteSize: 0 bytes/workgroup (compile time only)
; SGPRBlocks: 0
; VGPRBlocks: 0
; NumSGPRsForWavesPerEU: 4
; NumVGPRsForWavesPerEU: 1
; AccumOffset: 4
; Occupancy: 8
; WaveLimiterHint : 0
; COMPUTE_PGM_RSRC2:SCRATCH_EN: 0
; COMPUTE_PGM_RSRC2:USER_SGPR: 6
; COMPUTE_PGM_RSRC2:TRAP_HANDLER: 0
; COMPUTE_PGM_RSRC2:TGID_X_EN: 1
; COMPUTE_PGM_RSRC2:TGID_Y_EN: 0
; COMPUTE_PGM_RSRC2:TGID_Z_EN: 0
; COMPUTE_PGM_RSRC2:TIDIG_COMP_CNT: 0
; COMPUTE_PGM_RSRC3_GFX90A:ACCUM_OFFSET: 0
; COMPUTE_PGM_RSRC3_GFX90A:TG_SPLIT: 0
	.section	.text._ZN7rocprim17ROCPRIM_400000_NS6detail17trampoline_kernelINS0_14default_configENS1_38merge_sort_block_merge_config_selectorIlNS0_10empty_typeEEEZZNS1_27merge_sort_block_merge_implIS3_PlPS5_jNS1_19radix_merge_compareILb1ELb1ElNS0_19identity_decomposerEEEEE10hipError_tT0_T1_T2_jT3_P12ihipStream_tbPNSt15iterator_traitsISE_E10value_typeEPNSK_ISF_E10value_typeEPSG_NS1_7vsmem_tEENKUlT_SE_SF_SG_E_clIS8_S8_S9_S9_EESD_ST_SE_SF_SG_EUlST_E0_NS1_11comp_targetILNS1_3genE5ELNS1_11target_archE942ELNS1_3gpuE9ELNS1_3repE0EEENS1_38merge_mergepath_config_static_selectorELNS0_4arch9wavefront6targetE1EEEvSF_,"axG",@progbits,_ZN7rocprim17ROCPRIM_400000_NS6detail17trampoline_kernelINS0_14default_configENS1_38merge_sort_block_merge_config_selectorIlNS0_10empty_typeEEEZZNS1_27merge_sort_block_merge_implIS3_PlPS5_jNS1_19radix_merge_compareILb1ELb1ElNS0_19identity_decomposerEEEEE10hipError_tT0_T1_T2_jT3_P12ihipStream_tbPNSt15iterator_traitsISE_E10value_typeEPNSK_ISF_E10value_typeEPSG_NS1_7vsmem_tEENKUlT_SE_SF_SG_E_clIS8_S8_S9_S9_EESD_ST_SE_SF_SG_EUlST_E0_NS1_11comp_targetILNS1_3genE5ELNS1_11target_archE942ELNS1_3gpuE9ELNS1_3repE0EEENS1_38merge_mergepath_config_static_selectorELNS0_4arch9wavefront6targetE1EEEvSF_,comdat
	.protected	_ZN7rocprim17ROCPRIM_400000_NS6detail17trampoline_kernelINS0_14default_configENS1_38merge_sort_block_merge_config_selectorIlNS0_10empty_typeEEEZZNS1_27merge_sort_block_merge_implIS3_PlPS5_jNS1_19radix_merge_compareILb1ELb1ElNS0_19identity_decomposerEEEEE10hipError_tT0_T1_T2_jT3_P12ihipStream_tbPNSt15iterator_traitsISE_E10value_typeEPNSK_ISF_E10value_typeEPSG_NS1_7vsmem_tEENKUlT_SE_SF_SG_E_clIS8_S8_S9_S9_EESD_ST_SE_SF_SG_EUlST_E0_NS1_11comp_targetILNS1_3genE5ELNS1_11target_archE942ELNS1_3gpuE9ELNS1_3repE0EEENS1_38merge_mergepath_config_static_selectorELNS0_4arch9wavefront6targetE1EEEvSF_ ; -- Begin function _ZN7rocprim17ROCPRIM_400000_NS6detail17trampoline_kernelINS0_14default_configENS1_38merge_sort_block_merge_config_selectorIlNS0_10empty_typeEEEZZNS1_27merge_sort_block_merge_implIS3_PlPS5_jNS1_19radix_merge_compareILb1ELb1ElNS0_19identity_decomposerEEEEE10hipError_tT0_T1_T2_jT3_P12ihipStream_tbPNSt15iterator_traitsISE_E10value_typeEPNSK_ISF_E10value_typeEPSG_NS1_7vsmem_tEENKUlT_SE_SF_SG_E_clIS8_S8_S9_S9_EESD_ST_SE_SF_SG_EUlST_E0_NS1_11comp_targetILNS1_3genE5ELNS1_11target_archE942ELNS1_3gpuE9ELNS1_3repE0EEENS1_38merge_mergepath_config_static_selectorELNS0_4arch9wavefront6targetE1EEEvSF_
	.globl	_ZN7rocprim17ROCPRIM_400000_NS6detail17trampoline_kernelINS0_14default_configENS1_38merge_sort_block_merge_config_selectorIlNS0_10empty_typeEEEZZNS1_27merge_sort_block_merge_implIS3_PlPS5_jNS1_19radix_merge_compareILb1ELb1ElNS0_19identity_decomposerEEEEE10hipError_tT0_T1_T2_jT3_P12ihipStream_tbPNSt15iterator_traitsISE_E10value_typeEPNSK_ISF_E10value_typeEPSG_NS1_7vsmem_tEENKUlT_SE_SF_SG_E_clIS8_S8_S9_S9_EESD_ST_SE_SF_SG_EUlST_E0_NS1_11comp_targetILNS1_3genE5ELNS1_11target_archE942ELNS1_3gpuE9ELNS1_3repE0EEENS1_38merge_mergepath_config_static_selectorELNS0_4arch9wavefront6targetE1EEEvSF_
	.p2align	8
	.type	_ZN7rocprim17ROCPRIM_400000_NS6detail17trampoline_kernelINS0_14default_configENS1_38merge_sort_block_merge_config_selectorIlNS0_10empty_typeEEEZZNS1_27merge_sort_block_merge_implIS3_PlPS5_jNS1_19radix_merge_compareILb1ELb1ElNS0_19identity_decomposerEEEEE10hipError_tT0_T1_T2_jT3_P12ihipStream_tbPNSt15iterator_traitsISE_E10value_typeEPNSK_ISF_E10value_typeEPSG_NS1_7vsmem_tEENKUlT_SE_SF_SG_E_clIS8_S8_S9_S9_EESD_ST_SE_SF_SG_EUlST_E0_NS1_11comp_targetILNS1_3genE5ELNS1_11target_archE942ELNS1_3gpuE9ELNS1_3repE0EEENS1_38merge_mergepath_config_static_selectorELNS0_4arch9wavefront6targetE1EEEvSF_,@function
_ZN7rocprim17ROCPRIM_400000_NS6detail17trampoline_kernelINS0_14default_configENS1_38merge_sort_block_merge_config_selectorIlNS0_10empty_typeEEEZZNS1_27merge_sort_block_merge_implIS3_PlPS5_jNS1_19radix_merge_compareILb1ELb1ElNS0_19identity_decomposerEEEEE10hipError_tT0_T1_T2_jT3_P12ihipStream_tbPNSt15iterator_traitsISE_E10value_typeEPNSK_ISF_E10value_typeEPSG_NS1_7vsmem_tEENKUlT_SE_SF_SG_E_clIS8_S8_S9_S9_EESD_ST_SE_SF_SG_EUlST_E0_NS1_11comp_targetILNS1_3genE5ELNS1_11target_archE942ELNS1_3gpuE9ELNS1_3repE0EEENS1_38merge_mergepath_config_static_selectorELNS0_4arch9wavefront6targetE1EEEvSF_: ; @_ZN7rocprim17ROCPRIM_400000_NS6detail17trampoline_kernelINS0_14default_configENS1_38merge_sort_block_merge_config_selectorIlNS0_10empty_typeEEEZZNS1_27merge_sort_block_merge_implIS3_PlPS5_jNS1_19radix_merge_compareILb1ELb1ElNS0_19identity_decomposerEEEEE10hipError_tT0_T1_T2_jT3_P12ihipStream_tbPNSt15iterator_traitsISE_E10value_typeEPNSK_ISF_E10value_typeEPSG_NS1_7vsmem_tEENKUlT_SE_SF_SG_E_clIS8_S8_S9_S9_EESD_ST_SE_SF_SG_EUlST_E0_NS1_11comp_targetILNS1_3genE5ELNS1_11target_archE942ELNS1_3gpuE9ELNS1_3repE0EEENS1_38merge_mergepath_config_static_selectorELNS0_4arch9wavefront6targetE1EEEvSF_
; %bb.0:
	.section	.rodata,"a",@progbits
	.p2align	6, 0x0
	.amdhsa_kernel _ZN7rocprim17ROCPRIM_400000_NS6detail17trampoline_kernelINS0_14default_configENS1_38merge_sort_block_merge_config_selectorIlNS0_10empty_typeEEEZZNS1_27merge_sort_block_merge_implIS3_PlPS5_jNS1_19radix_merge_compareILb1ELb1ElNS0_19identity_decomposerEEEEE10hipError_tT0_T1_T2_jT3_P12ihipStream_tbPNSt15iterator_traitsISE_E10value_typeEPNSK_ISF_E10value_typeEPSG_NS1_7vsmem_tEENKUlT_SE_SF_SG_E_clIS8_S8_S9_S9_EESD_ST_SE_SF_SG_EUlST_E0_NS1_11comp_targetILNS1_3genE5ELNS1_11target_archE942ELNS1_3gpuE9ELNS1_3repE0EEENS1_38merge_mergepath_config_static_selectorELNS0_4arch9wavefront6targetE1EEEvSF_
		.amdhsa_group_segment_fixed_size 0
		.amdhsa_private_segment_fixed_size 0
		.amdhsa_kernarg_size 72
		.amdhsa_user_sgpr_count 6
		.amdhsa_user_sgpr_private_segment_buffer 1
		.amdhsa_user_sgpr_dispatch_ptr 0
		.amdhsa_user_sgpr_queue_ptr 0
		.amdhsa_user_sgpr_kernarg_segment_ptr 1
		.amdhsa_user_sgpr_dispatch_id 0
		.amdhsa_user_sgpr_flat_scratch_init 0
		.amdhsa_user_sgpr_kernarg_preload_length 0
		.amdhsa_user_sgpr_kernarg_preload_offset 0
		.amdhsa_user_sgpr_private_segment_size 0
		.amdhsa_uses_dynamic_stack 0
		.amdhsa_system_sgpr_private_segment_wavefront_offset 0
		.amdhsa_system_sgpr_workgroup_id_x 1
		.amdhsa_system_sgpr_workgroup_id_y 0
		.amdhsa_system_sgpr_workgroup_id_z 0
		.amdhsa_system_sgpr_workgroup_info 0
		.amdhsa_system_vgpr_workitem_id 0
		.amdhsa_next_free_vgpr 1
		.amdhsa_next_free_sgpr 0
		.amdhsa_accum_offset 4
		.amdhsa_reserve_vcc 0
		.amdhsa_reserve_flat_scratch 0
		.amdhsa_float_round_mode_32 0
		.amdhsa_float_round_mode_16_64 0
		.amdhsa_float_denorm_mode_32 3
		.amdhsa_float_denorm_mode_16_64 3
		.amdhsa_dx10_clamp 1
		.amdhsa_ieee_mode 1
		.amdhsa_fp16_overflow 0
		.amdhsa_tg_split 0
		.amdhsa_exception_fp_ieee_invalid_op 0
		.amdhsa_exception_fp_denorm_src 0
		.amdhsa_exception_fp_ieee_div_zero 0
		.amdhsa_exception_fp_ieee_overflow 0
		.amdhsa_exception_fp_ieee_underflow 0
		.amdhsa_exception_fp_ieee_inexact 0
		.amdhsa_exception_int_div_zero 0
	.end_amdhsa_kernel
	.section	.text._ZN7rocprim17ROCPRIM_400000_NS6detail17trampoline_kernelINS0_14default_configENS1_38merge_sort_block_merge_config_selectorIlNS0_10empty_typeEEEZZNS1_27merge_sort_block_merge_implIS3_PlPS5_jNS1_19radix_merge_compareILb1ELb1ElNS0_19identity_decomposerEEEEE10hipError_tT0_T1_T2_jT3_P12ihipStream_tbPNSt15iterator_traitsISE_E10value_typeEPNSK_ISF_E10value_typeEPSG_NS1_7vsmem_tEENKUlT_SE_SF_SG_E_clIS8_S8_S9_S9_EESD_ST_SE_SF_SG_EUlST_E0_NS1_11comp_targetILNS1_3genE5ELNS1_11target_archE942ELNS1_3gpuE9ELNS1_3repE0EEENS1_38merge_mergepath_config_static_selectorELNS0_4arch9wavefront6targetE1EEEvSF_,"axG",@progbits,_ZN7rocprim17ROCPRIM_400000_NS6detail17trampoline_kernelINS0_14default_configENS1_38merge_sort_block_merge_config_selectorIlNS0_10empty_typeEEEZZNS1_27merge_sort_block_merge_implIS3_PlPS5_jNS1_19radix_merge_compareILb1ELb1ElNS0_19identity_decomposerEEEEE10hipError_tT0_T1_T2_jT3_P12ihipStream_tbPNSt15iterator_traitsISE_E10value_typeEPNSK_ISF_E10value_typeEPSG_NS1_7vsmem_tEENKUlT_SE_SF_SG_E_clIS8_S8_S9_S9_EESD_ST_SE_SF_SG_EUlST_E0_NS1_11comp_targetILNS1_3genE5ELNS1_11target_archE942ELNS1_3gpuE9ELNS1_3repE0EEENS1_38merge_mergepath_config_static_selectorELNS0_4arch9wavefront6targetE1EEEvSF_,comdat
.Lfunc_end2166:
	.size	_ZN7rocprim17ROCPRIM_400000_NS6detail17trampoline_kernelINS0_14default_configENS1_38merge_sort_block_merge_config_selectorIlNS0_10empty_typeEEEZZNS1_27merge_sort_block_merge_implIS3_PlPS5_jNS1_19radix_merge_compareILb1ELb1ElNS0_19identity_decomposerEEEEE10hipError_tT0_T1_T2_jT3_P12ihipStream_tbPNSt15iterator_traitsISE_E10value_typeEPNSK_ISF_E10value_typeEPSG_NS1_7vsmem_tEENKUlT_SE_SF_SG_E_clIS8_S8_S9_S9_EESD_ST_SE_SF_SG_EUlST_E0_NS1_11comp_targetILNS1_3genE5ELNS1_11target_archE942ELNS1_3gpuE9ELNS1_3repE0EEENS1_38merge_mergepath_config_static_selectorELNS0_4arch9wavefront6targetE1EEEvSF_, .Lfunc_end2166-_ZN7rocprim17ROCPRIM_400000_NS6detail17trampoline_kernelINS0_14default_configENS1_38merge_sort_block_merge_config_selectorIlNS0_10empty_typeEEEZZNS1_27merge_sort_block_merge_implIS3_PlPS5_jNS1_19radix_merge_compareILb1ELb1ElNS0_19identity_decomposerEEEEE10hipError_tT0_T1_T2_jT3_P12ihipStream_tbPNSt15iterator_traitsISE_E10value_typeEPNSK_ISF_E10value_typeEPSG_NS1_7vsmem_tEENKUlT_SE_SF_SG_E_clIS8_S8_S9_S9_EESD_ST_SE_SF_SG_EUlST_E0_NS1_11comp_targetILNS1_3genE5ELNS1_11target_archE942ELNS1_3gpuE9ELNS1_3repE0EEENS1_38merge_mergepath_config_static_selectorELNS0_4arch9wavefront6targetE1EEEvSF_
                                        ; -- End function
	.section	.AMDGPU.csdata,"",@progbits
; Kernel info:
; codeLenInByte = 0
; NumSgprs: 4
; NumVgprs: 0
; NumAgprs: 0
; TotalNumVgprs: 0
; ScratchSize: 0
; MemoryBound: 0
; FloatMode: 240
; IeeeMode: 1
; LDSByteSize: 0 bytes/workgroup (compile time only)
; SGPRBlocks: 0
; VGPRBlocks: 0
; NumSGPRsForWavesPerEU: 4
; NumVGPRsForWavesPerEU: 1
; AccumOffset: 4
; Occupancy: 8
; WaveLimiterHint : 0
; COMPUTE_PGM_RSRC2:SCRATCH_EN: 0
; COMPUTE_PGM_RSRC2:USER_SGPR: 6
; COMPUTE_PGM_RSRC2:TRAP_HANDLER: 0
; COMPUTE_PGM_RSRC2:TGID_X_EN: 1
; COMPUTE_PGM_RSRC2:TGID_Y_EN: 0
; COMPUTE_PGM_RSRC2:TGID_Z_EN: 0
; COMPUTE_PGM_RSRC2:TIDIG_COMP_CNT: 0
; COMPUTE_PGM_RSRC3_GFX90A:ACCUM_OFFSET: 0
; COMPUTE_PGM_RSRC3_GFX90A:TG_SPLIT: 0
	.section	.text._ZN7rocprim17ROCPRIM_400000_NS6detail17trampoline_kernelINS0_14default_configENS1_38merge_sort_block_merge_config_selectorIlNS0_10empty_typeEEEZZNS1_27merge_sort_block_merge_implIS3_PlPS5_jNS1_19radix_merge_compareILb1ELb1ElNS0_19identity_decomposerEEEEE10hipError_tT0_T1_T2_jT3_P12ihipStream_tbPNSt15iterator_traitsISE_E10value_typeEPNSK_ISF_E10value_typeEPSG_NS1_7vsmem_tEENKUlT_SE_SF_SG_E_clIS8_S8_S9_S9_EESD_ST_SE_SF_SG_EUlST_E0_NS1_11comp_targetILNS1_3genE4ELNS1_11target_archE910ELNS1_3gpuE8ELNS1_3repE0EEENS1_38merge_mergepath_config_static_selectorELNS0_4arch9wavefront6targetE1EEEvSF_,"axG",@progbits,_ZN7rocprim17ROCPRIM_400000_NS6detail17trampoline_kernelINS0_14default_configENS1_38merge_sort_block_merge_config_selectorIlNS0_10empty_typeEEEZZNS1_27merge_sort_block_merge_implIS3_PlPS5_jNS1_19radix_merge_compareILb1ELb1ElNS0_19identity_decomposerEEEEE10hipError_tT0_T1_T2_jT3_P12ihipStream_tbPNSt15iterator_traitsISE_E10value_typeEPNSK_ISF_E10value_typeEPSG_NS1_7vsmem_tEENKUlT_SE_SF_SG_E_clIS8_S8_S9_S9_EESD_ST_SE_SF_SG_EUlST_E0_NS1_11comp_targetILNS1_3genE4ELNS1_11target_archE910ELNS1_3gpuE8ELNS1_3repE0EEENS1_38merge_mergepath_config_static_selectorELNS0_4arch9wavefront6targetE1EEEvSF_,comdat
	.protected	_ZN7rocprim17ROCPRIM_400000_NS6detail17trampoline_kernelINS0_14default_configENS1_38merge_sort_block_merge_config_selectorIlNS0_10empty_typeEEEZZNS1_27merge_sort_block_merge_implIS3_PlPS5_jNS1_19radix_merge_compareILb1ELb1ElNS0_19identity_decomposerEEEEE10hipError_tT0_T1_T2_jT3_P12ihipStream_tbPNSt15iterator_traitsISE_E10value_typeEPNSK_ISF_E10value_typeEPSG_NS1_7vsmem_tEENKUlT_SE_SF_SG_E_clIS8_S8_S9_S9_EESD_ST_SE_SF_SG_EUlST_E0_NS1_11comp_targetILNS1_3genE4ELNS1_11target_archE910ELNS1_3gpuE8ELNS1_3repE0EEENS1_38merge_mergepath_config_static_selectorELNS0_4arch9wavefront6targetE1EEEvSF_ ; -- Begin function _ZN7rocprim17ROCPRIM_400000_NS6detail17trampoline_kernelINS0_14default_configENS1_38merge_sort_block_merge_config_selectorIlNS0_10empty_typeEEEZZNS1_27merge_sort_block_merge_implIS3_PlPS5_jNS1_19radix_merge_compareILb1ELb1ElNS0_19identity_decomposerEEEEE10hipError_tT0_T1_T2_jT3_P12ihipStream_tbPNSt15iterator_traitsISE_E10value_typeEPNSK_ISF_E10value_typeEPSG_NS1_7vsmem_tEENKUlT_SE_SF_SG_E_clIS8_S8_S9_S9_EESD_ST_SE_SF_SG_EUlST_E0_NS1_11comp_targetILNS1_3genE4ELNS1_11target_archE910ELNS1_3gpuE8ELNS1_3repE0EEENS1_38merge_mergepath_config_static_selectorELNS0_4arch9wavefront6targetE1EEEvSF_
	.globl	_ZN7rocprim17ROCPRIM_400000_NS6detail17trampoline_kernelINS0_14default_configENS1_38merge_sort_block_merge_config_selectorIlNS0_10empty_typeEEEZZNS1_27merge_sort_block_merge_implIS3_PlPS5_jNS1_19radix_merge_compareILb1ELb1ElNS0_19identity_decomposerEEEEE10hipError_tT0_T1_T2_jT3_P12ihipStream_tbPNSt15iterator_traitsISE_E10value_typeEPNSK_ISF_E10value_typeEPSG_NS1_7vsmem_tEENKUlT_SE_SF_SG_E_clIS8_S8_S9_S9_EESD_ST_SE_SF_SG_EUlST_E0_NS1_11comp_targetILNS1_3genE4ELNS1_11target_archE910ELNS1_3gpuE8ELNS1_3repE0EEENS1_38merge_mergepath_config_static_selectorELNS0_4arch9wavefront6targetE1EEEvSF_
	.p2align	8
	.type	_ZN7rocprim17ROCPRIM_400000_NS6detail17trampoline_kernelINS0_14default_configENS1_38merge_sort_block_merge_config_selectorIlNS0_10empty_typeEEEZZNS1_27merge_sort_block_merge_implIS3_PlPS5_jNS1_19radix_merge_compareILb1ELb1ElNS0_19identity_decomposerEEEEE10hipError_tT0_T1_T2_jT3_P12ihipStream_tbPNSt15iterator_traitsISE_E10value_typeEPNSK_ISF_E10value_typeEPSG_NS1_7vsmem_tEENKUlT_SE_SF_SG_E_clIS8_S8_S9_S9_EESD_ST_SE_SF_SG_EUlST_E0_NS1_11comp_targetILNS1_3genE4ELNS1_11target_archE910ELNS1_3gpuE8ELNS1_3repE0EEENS1_38merge_mergepath_config_static_selectorELNS0_4arch9wavefront6targetE1EEEvSF_,@function
_ZN7rocprim17ROCPRIM_400000_NS6detail17trampoline_kernelINS0_14default_configENS1_38merge_sort_block_merge_config_selectorIlNS0_10empty_typeEEEZZNS1_27merge_sort_block_merge_implIS3_PlPS5_jNS1_19radix_merge_compareILb1ELb1ElNS0_19identity_decomposerEEEEE10hipError_tT0_T1_T2_jT3_P12ihipStream_tbPNSt15iterator_traitsISE_E10value_typeEPNSK_ISF_E10value_typeEPSG_NS1_7vsmem_tEENKUlT_SE_SF_SG_E_clIS8_S8_S9_S9_EESD_ST_SE_SF_SG_EUlST_E0_NS1_11comp_targetILNS1_3genE4ELNS1_11target_archE910ELNS1_3gpuE8ELNS1_3repE0EEENS1_38merge_mergepath_config_static_selectorELNS0_4arch9wavefront6targetE1EEEvSF_: ; @_ZN7rocprim17ROCPRIM_400000_NS6detail17trampoline_kernelINS0_14default_configENS1_38merge_sort_block_merge_config_selectorIlNS0_10empty_typeEEEZZNS1_27merge_sort_block_merge_implIS3_PlPS5_jNS1_19radix_merge_compareILb1ELb1ElNS0_19identity_decomposerEEEEE10hipError_tT0_T1_T2_jT3_P12ihipStream_tbPNSt15iterator_traitsISE_E10value_typeEPNSK_ISF_E10value_typeEPSG_NS1_7vsmem_tEENKUlT_SE_SF_SG_E_clIS8_S8_S9_S9_EESD_ST_SE_SF_SG_EUlST_E0_NS1_11comp_targetILNS1_3genE4ELNS1_11target_archE910ELNS1_3gpuE8ELNS1_3repE0EEENS1_38merge_mergepath_config_static_selectorELNS0_4arch9wavefront6targetE1EEEvSF_
; %bb.0:
	s_load_dwordx2 s[14:15], s[4:5], 0x48
	s_load_dword s3, s[4:5], 0x30
	s_add_u32 s0, s4, 0x48
	s_addc_u32 s1, s5, 0
	s_waitcnt lgkmcnt(0)
	s_mul_i32 s2, s15, s8
	s_add_i32 s2, s2, s7
	s_mul_i32 s2, s2, s14
	s_add_i32 s2, s2, s6
	s_cmp_ge_u32 s2, s3
	s_cbranch_scc1 .LBB2167_31
; %bb.1:
	s_load_dwordx2 s[8:9], s[4:5], 0x28
	s_load_dwordx2 s[10:11], s[4:5], 0x40
	;; [unrolled: 1-line block ×3, first 2 shown]
	s_mov_b32 s3, 0
	s_mov_b32 s25, s3
	s_waitcnt lgkmcnt(0)
	s_lshr_b32 s7, s8, 10
	s_cmp_lg_u32 s2, s7
	s_cselect_b64 s[12:13], -1, 0
	s_lshl_b64 s[16:17], s[2:3], 2
	s_add_u32 s10, s10, s16
	s_addc_u32 s11, s11, s17
	s_load_dwordx2 s[18:19], s[10:11], 0x0
	s_lshr_b32 s10, s9, 9
	s_and_b32 s10, s10, 0x7ffffe
	s_sub_i32 s11, 0, s10
	s_and_b32 s15, s2, s11
	s_lshl_b32 s16, s15, 10
	s_lshl_b32 s10, s2, 10
	;; [unrolled: 1-line block ×3, first 2 shown]
	s_sub_i32 s17, s10, s16
	s_add_i32 s15, s15, s9
	s_add_i32 s17, s15, s17
	s_waitcnt lgkmcnt(0)
	s_sub_i32 s20, s17, s18
	s_sub_i32 s17, s17, s19
	;; [unrolled: 1-line block ×3, first 2 shown]
	s_min_u32 s24, s8, s20
	s_addk_i32 s17, 0x400
	s_or_b32 s11, s2, s11
	s_min_u32 s16, s8, s15
	s_add_i32 s15, s15, s9
	s_cmp_eq_u32 s11, -1
	s_cselect_b32 s9, s15, s17
	s_cselect_b32 s11, s16, s19
	s_min_u32 s15, s9, s8
	s_mov_b32 s19, s3
	s_sub_i32 s9, s11, s18
	s_sub_i32 s16, s15, s24
	s_lshl_b64 s[20:21], s[18:19], 3
	s_add_u32 s19, s22, s20
	s_addc_u32 s20, s23, s21
	s_lshl_b64 s[24:25], s[24:25], 3
	s_add_u32 s17, s22, s24
	s_addc_u32 s18, s23, s25
	s_cmp_lt_u32 s6, s14
	v_mov_b32_e32 v9, 0
	s_cselect_b32 s3, 12, 18
	global_load_dword v1, v9, s[0:1] offset:14
	s_add_u32 s0, s0, s3
	s_addc_u32 s1, s1, 0
	global_load_ushort v2, v9, s[0:1]
	s_cmp_eq_u32 s2, s7
	s_waitcnt vmcnt(1)
	v_lshrrev_b32_e32 v3, 16, v1
	v_and_b32_e32 v1, 0xffff, v1
	v_mul_lo_u32 v1, v1, v3
	s_waitcnt vmcnt(0)
	v_mul_lo_u32 v14, v1, v2
	v_add_u32_e32 v12, v14, v0
	v_lshlrev_b32_e32 v1, 3, v0
	v_add_u32_e32 v10, v12, v14
	s_cbranch_scc1 .LBB2167_3
; %bb.2:
	v_mov_b32_e32 v2, s20
	v_add_co_u32_e32 v4, vcc, s19, v1
	v_subrev_u32_e32 v8, s9, v0
	v_addc_co_u32_e32 v5, vcc, 0, v2, vcc
	v_lshlrev_b64 v[2:3], 3, v[8:9]
	v_mov_b32_e32 v6, s18
	v_add_co_u32_e32 v2, vcc, s17, v2
	v_addc_co_u32_e32 v3, vcc, v6, v3, vcc
	v_cmp_gt_u32_e32 vcc, s9, v0
	v_mov_b32_e32 v13, v9
	v_cndmask_b32_e32 v3, v3, v5, vcc
	v_cndmask_b32_e32 v2, v2, v4, vcc
	v_lshlrev_b64 v[4:5], 3, v[12:13]
	v_mov_b32_e32 v6, s20
	v_add_co_u32_e32 v7, vcc, s19, v4
	v_subrev_u32_e32 v8, s9, v12
	v_addc_co_u32_e32 v6, vcc, v6, v5, vcc
	v_lshlrev_b64 v[4:5], 3, v[8:9]
	v_mov_b32_e32 v8, s18
	v_add_co_u32_e32 v4, vcc, s17, v4
	v_addc_co_u32_e32 v5, vcc, v8, v5, vcc
	v_cmp_gt_u32_e32 vcc, s9, v12
	v_mov_b32_e32 v11, v9
	v_cndmask_b32_e32 v5, v5, v6, vcc
	v_cndmask_b32_e32 v4, v4, v7, vcc
	v_lshlrev_b64 v[6:7], 3, v[10:11]
	v_mov_b32_e32 v8, s20
	v_add_co_u32_e32 v11, vcc, s19, v6
	v_addc_co_u32_e32 v13, vcc, v8, v7, vcc
	v_subrev_u32_e32 v8, s9, v10
	v_lshlrev_b64 v[6:7], 3, v[8:9]
	v_mov_b32_e32 v8, s18
	v_add_co_u32_e32 v6, vcc, s17, v6
	v_addc_co_u32_e32 v7, vcc, v8, v7, vcc
	v_add_u32_e32 v8, v10, v14
	v_cmp_gt_u32_e32 vcc, s9, v10
	v_lshlrev_b64 v[16:17], 3, v[8:9]
	v_cndmask_b32_e32 v7, v7, v13, vcc
	v_cndmask_b32_e32 v6, v6, v11, vcc
	v_mov_b32_e32 v11, s20
	v_add_co_u32_e32 v13, vcc, s19, v16
	v_addc_co_u32_e32 v11, vcc, v11, v17, vcc
	v_cmp_gt_u32_e32 vcc, s9, v8
	v_subrev_u32_e32 v8, s9, v8
	v_lshlrev_b64 v[8:9], 3, v[8:9]
	v_mov_b32_e32 v15, s18
	v_add_co_u32_e64 v8, s[0:1], s17, v8
	v_addc_co_u32_e64 v9, s[0:1], v15, v9, s[0:1]
	v_cndmask_b32_e32 v9, v9, v11, vcc
	v_cndmask_b32_e32 v8, v8, v13, vcc
	global_load_dwordx2 v[2:3], v[2:3], off
	s_add_i32 s11, s16, s9
	global_load_dwordx2 v[4:5], v[4:5], off
	s_nop 0
	global_load_dwordx2 v[6:7], v[6:7], off
	s_nop 0
	global_load_dwordx2 v[8:9], v[8:9], off
	s_load_dwordx2 s[6:7], s[4:5], 0x10
	s_load_dwordx2 s[14:15], s[4:5], 0x38
	s_cbranch_execz .LBB2167_4
	s_branch .LBB2167_11
.LBB2167_3:
                                        ; implicit-def: $vgpr2_vgpr3_vgpr4_vgpr5_vgpr6_vgpr7_vgpr8_vgpr9
                                        ; implicit-def: $sgpr11
	s_load_dwordx2 s[6:7], s[4:5], 0x10
	s_load_dwordx2 s[14:15], s[4:5], 0x38
.LBB2167_4:
	s_add_i32 s11, s16, s9
	v_cmp_gt_u32_e32 vcc, s11, v0
                                        ; implicit-def: $vgpr2_vgpr3_vgpr4_vgpr5_vgpr6_vgpr7_vgpr8_vgpr9
	s_and_saveexec_b64 s[0:1], vcc
	s_cbranch_execnz .LBB2167_32
; %bb.5:
	s_or_b64 exec, exec, s[0:1]
	v_cmp_gt_u32_e32 vcc, s11, v12
	s_and_saveexec_b64 s[2:3], vcc
	s_cbranch_execnz .LBB2167_33
.LBB2167_6:
	s_or_b64 exec, exec, s[2:3]
	v_cmp_gt_u32_e32 vcc, s11, v10
	s_and_saveexec_b64 s[0:1], vcc
	s_cbranch_execz .LBB2167_8
.LBB2167_7:
	v_mov_b32_e32 v11, 0
	s_waitcnt vmcnt(1)
	v_lshlrev_b64 v[6:7], 3, v[10:11]
	v_mov_b32_e32 v12, s20
	v_add_co_u32_e32 v13, vcc, s19, v6
	v_addc_co_u32_e32 v12, vcc, v12, v7, vcc
	v_subrev_u32_e32 v6, s9, v10
	v_mov_b32_e32 v7, v11
	v_lshlrev_b64 v[6:7], 3, v[6:7]
	v_mov_b32_e32 v11, s18
	v_add_co_u32_e32 v6, vcc, s17, v6
	v_addc_co_u32_e32 v7, vcc, v11, v7, vcc
	v_cmp_gt_u32_e32 vcc, s9, v10
	v_cndmask_b32_e32 v7, v7, v12, vcc
	v_cndmask_b32_e32 v6, v6, v13, vcc
	global_load_dwordx2 v[6:7], v[6:7], off
.LBB2167_8:
	s_or_b64 exec, exec, s[0:1]
	v_add_u32_e32 v10, v10, v14
	v_cmp_gt_u32_e32 vcc, s11, v10
	s_and_saveexec_b64 s[2:3], vcc
	s_cbranch_execz .LBB2167_10
; %bb.9:
	v_mov_b32_e32 v11, 0
	s_waitcnt vmcnt(0)
	v_lshlrev_b64 v[8:9], 3, v[10:11]
	v_mov_b32_e32 v12, s20
	v_add_co_u32_e32 v13, vcc, s19, v8
	v_addc_co_u32_e32 v12, vcc, v12, v9, vcc
	v_cmp_gt_u32_e32 vcc, s9, v10
	v_subrev_u32_e32 v10, s9, v10
	v_lshlrev_b64 v[8:9], 3, v[10:11]
	v_mov_b32_e32 v10, s18
	v_add_co_u32_e64 v8, s[0:1], s17, v8
	v_addc_co_u32_e64 v9, s[0:1], v10, v9, s[0:1]
	v_cndmask_b32_e32 v9, v9, v12, vcc
	v_cndmask_b32_e32 v8, v8, v13, vcc
	global_load_dwordx2 v[8:9], v[8:9], off
.LBB2167_10:
	s_or_b64 exec, exec, s[2:3]
.LBB2167_11:
	v_lshlrev_b32_e32 v10, 2, v0
	v_min_u32_e32 v12, s11, v10
	v_sub_u32_e64 v11, v12, s16 clamp
	v_min_u32_e32 v13, s9, v12
	v_cmp_lt_u32_e32 vcc, v11, v13
	s_waitcnt vmcnt(0)
	ds_write2st64_b64 v1, v[2:3], v[4:5] offset1:4
	ds_write2st64_b64 v1, v[6:7], v[8:9] offset0:8 offset1:12
	s_waitcnt lgkmcnt(0)
	s_barrier
	s_and_saveexec_b64 s[0:1], vcc
	s_cbranch_execz .LBB2167_15
; %bb.12:
	v_lshlrev_b32_e32 v14, 3, v12
	v_lshl_add_u32 v14, s9, 3, v14
	s_mov_b64 s[2:3], 0
.LBB2167_13:                            ; =>This Inner Loop Header: Depth=1
	v_add_u32_e32 v15, v13, v11
	v_lshrrev_b32_e32 v15, 1, v15
	v_not_b32_e32 v18, v15
	v_lshlrev_b32_e32 v16, 3, v15
	v_lshl_add_u32 v18, v18, 3, v14
	ds_read_b64 v[16:17], v16
	ds_read_b64 v[18:19], v18
	v_add_u32_e32 v20, 1, v15
	s_waitcnt lgkmcnt(1)
	v_and_b32_e32 v17, s15, v17
	v_and_b32_e32 v16, s14, v16
	s_waitcnt lgkmcnt(0)
	v_and_b32_e32 v19, s15, v19
	v_and_b32_e32 v18, s14, v18
	v_cmp_gt_i64_e32 vcc, v[18:19], v[16:17]
	v_cndmask_b32_e32 v13, v13, v15, vcc
	v_cndmask_b32_e32 v11, v20, v11, vcc
	v_cmp_ge_u32_e32 vcc, v11, v13
	s_or_b64 s[2:3], vcc, s[2:3]
	s_andn2_b64 exec, exec, s[2:3]
	s_cbranch_execnz .LBB2167_13
; %bb.14:
	s_or_b64 exec, exec, s[2:3]
.LBB2167_15:
	s_or_b64 exec, exec, s[0:1]
	v_sub_u32_e32 v12, v12, v11
	v_add_u32_e32 v12, s9, v12
	v_cmp_ge_u32_e32 vcc, s9, v11
	v_cmp_ge_u32_e64 s[0:1], s11, v12
	s_or_b64 s[0:1], vcc, s[0:1]
	s_and_saveexec_b64 s[16:17], s[0:1]
	s_cbranch_execz .LBB2167_21
; %bb.16:
	v_cmp_gt_u32_e32 vcc, s9, v11
                                        ; implicit-def: $vgpr2_vgpr3
	s_and_saveexec_b64 s[0:1], vcc
	s_cbranch_execz .LBB2167_18
; %bb.17:
	v_lshlrev_b32_e32 v2, 3, v11
	ds_read_b64 v[2:3], v2
.LBB2167_18:
	s_or_b64 exec, exec, s[0:1]
	v_cmp_le_u32_e64 s[0:1], s11, v12
	v_cmp_gt_u32_e64 s[2:3], s11, v12
                                        ; implicit-def: $vgpr4_vgpr5
	s_and_saveexec_b64 s[4:5], s[2:3]
	s_cbranch_execz .LBB2167_20
; %bb.19:
	v_lshlrev_b32_e32 v4, 3, v12
	ds_read_b64 v[4:5], v4
.LBB2167_20:
	s_or_b64 exec, exec, s[4:5]
	s_waitcnt lgkmcnt(0)
	v_and_b32_e32 v7, s15, v5
	v_and_b32_e32 v6, s14, v4
	;; [unrolled: 1-line block ×4, first 2 shown]
	v_cmp_le_i64_e64 s[2:3], v[6:7], v[8:9]
	s_and_b64 s[2:3], vcc, s[2:3]
	s_or_b64 vcc, s[0:1], s[2:3]
	v_mov_b32_e32 v13, s11
	v_mov_b32_e32 v14, s9
	v_cndmask_b32_e32 v6, v12, v11, vcc
	v_cndmask_b32_e32 v7, v13, v14, vcc
	v_add_u32_e32 v8, 1, v6
	v_add_u32_e32 v6, -1, v7
	v_min_u32_e32 v6, v8, v6
	v_lshlrev_b32_e32 v6, 3, v6
	ds_read_b64 v[6:7], v6
	v_cndmask_b32_e32 v12, v8, v12, vcc
	v_cndmask_b32_e32 v11, v11, v8, vcc
	v_cmp_gt_u32_e64 s[2:3], s9, v11
	v_cmp_le_u32_e64 s[0:1], s11, v12
	s_waitcnt lgkmcnt(0)
	v_cndmask_b32_e32 v15, v7, v5, vcc
	v_cndmask_b32_e32 v16, v6, v4, vcc
	;; [unrolled: 1-line block ×4, first 2 shown]
	v_and_b32_e32 v7, s15, v15
	v_and_b32_e32 v6, s14, v16
	;; [unrolled: 1-line block ×4, first 2 shown]
	v_cmp_le_i64_e64 s[4:5], v[6:7], v[8:9]
	s_and_b64 s[2:3], s[2:3], s[4:5]
	s_or_b64 s[0:1], s[0:1], s[2:3]
	v_cndmask_b32_e64 v6, v12, v11, s[0:1]
	v_cndmask_b32_e64 v7, v13, v14, s[0:1]
	v_add_u32_e32 v8, 1, v6
	v_add_u32_e32 v6, -1, v7
	v_min_u32_e32 v6, v8, v6
	v_lshlrev_b32_e32 v6, 3, v6
	ds_read_b64 v[6:7], v6
	v_cndmask_b32_e32 v3, v5, v3, vcc
	v_cndmask_b32_e32 v2, v4, v2, vcc
	v_cndmask_b32_e64 v11, v11, v8, s[0:1]
	v_cndmask_b32_e64 v12, v8, v12, s[0:1]
	s_waitcnt lgkmcnt(0)
	v_cndmask_b32_e64 v19, v7, v15, s[0:1]
	v_cndmask_b32_e64 v20, v6, v16, s[0:1]
	v_cndmask_b32_e64 v21, v17, v7, s[0:1]
	v_cndmask_b32_e64 v22, v18, v6, s[0:1]
	v_and_b32_e32 v5, s15, v19
	v_and_b32_e32 v4, s14, v20
	;; [unrolled: 1-line block ×4, first 2 shown]
	v_cmp_gt_u32_e64 s[2:3], s9, v11
	v_cmp_le_i64_e64 s[4:5], v[4:5], v[6:7]
	v_cmp_le_u32_e32 vcc, s11, v12
	s_and_b64 s[2:3], s[2:3], s[4:5]
	s_or_b64 vcc, vcc, s[2:3]
	v_cndmask_b32_e32 v4, v12, v11, vcc
	v_cndmask_b32_e32 v5, v13, v14, vcc
	v_add_u32_e32 v13, 1, v4
	v_add_u32_e32 v4, -1, v5
	v_min_u32_e32 v4, v13, v4
	v_lshlrev_b32_e32 v4, 3, v4
	ds_read_b64 v[8:9], v4
	v_cndmask_b32_e64 v5, v15, v17, s[0:1]
	v_cndmask_b32_e64 v4, v16, v18, s[0:1]
	v_cndmask_b32_e32 v7, v19, v21, vcc
	v_cndmask_b32_e32 v6, v20, v22, vcc
	s_waitcnt lgkmcnt(0)
	v_cndmask_b32_e32 v14, v9, v19, vcc
	v_cndmask_b32_e32 v15, v8, v20, vcc
	;; [unrolled: 1-line block ×6, first 2 shown]
	v_cmp_le_u32_e32 vcc, s11, v8
	v_cmp_gt_u32_e64 s[0:1], s9, v9
	v_and_b32_e32 v9, s15, v14
	v_and_b32_e32 v8, s14, v15
	;; [unrolled: 1-line block ×4, first 2 shown]
	v_cmp_le_i64_e64 s[2:3], v[8:9], v[12:13]
	s_and_b64 s[0:1], s[0:1], s[2:3]
	s_or_b64 vcc, vcc, s[0:1]
	v_cndmask_b32_e32 v9, v14, v16, vcc
	v_cndmask_b32_e32 v8, v15, v17, vcc
.LBB2167_21:
	s_or_b64 exec, exec, s[16:17]
	v_and_b32_e32 v11, 0xf8, v0
	v_lshl_add_u32 v10, v10, 3, v11
	s_barrier
	s_barrier
	ds_write2_b64 v10, v[2:3], v[4:5] offset1:1
	ds_write2_b64 v10, v[6:7], v[8:9] offset0:2 offset1:3
	v_lshrrev_b32_e32 v2, 2, v0
	v_and_b32_e32 v2, 56, v2
	v_or_b32_e32 v12, 0x100, v0
	v_add_u32_e32 v13, v1, v2
	v_lshrrev_b32_e32 v2, 2, v12
	v_and_b32_e32 v2, 0x78, v2
	v_or_b32_e32 v11, 0x200, v0
	s_mov_b32 s11, 0
	v_add_u32_e32 v6, v1, v2
	v_lshrrev_b32_e32 v2, 2, v11
	s_lshl_b64 s[0:1], s[10:11], 3
	v_and_b32_e32 v2, 0xb8, v2
	v_or_b32_e32 v10, 0x300, v0
	s_add_u32 s0, s6, s0
	v_add_u32_e32 v7, v1, v2
	v_lshrrev_b32_e32 v2, 2, v10
	s_addc_u32 s1, s7, s1
	v_and_b32_e32 v2, 0xf8, v2
	v_add_u32_e32 v14, v1, v2
	v_mov_b32_e32 v3, s1
	v_add_co_u32_e32 v2, vcc, s0, v1
	v_addc_co_u32_e32 v3, vcc, 0, v3, vcc
	s_and_b64 vcc, exec, s[12:13]
	s_waitcnt lgkmcnt(0)
	s_cbranch_vccz .LBB2167_23
; %bb.22:
	s_barrier
	ds_read_b64 v[8:9], v13
	ds_read_b64 v[16:17], v6 offset:2048
	ds_read_b64 v[18:19], v7 offset:4096
	;; [unrolled: 1-line block ×3, first 2 shown]
	s_waitcnt lgkmcnt(3)
	global_store_dwordx2 v[2:3], v[8:9], off
	s_waitcnt lgkmcnt(2)
	global_store_dwordx2 v[2:3], v[16:17], off offset:2048
	v_add_co_u32_e32 v8, vcc, 0x1000, v2
	v_addc_co_u32_e32 v9, vcc, 0, v3, vcc
	s_waitcnt lgkmcnt(1)
	global_store_dwordx2 v[8:9], v[18:19], off
	s_mov_b64 s[0:1], -1
	s_cbranch_execz .LBB2167_24
	s_branch .LBB2167_29
.LBB2167_23:
	s_mov_b64 s[0:1], 0
                                        ; implicit-def: $vgpr4_vgpr5
.LBB2167_24:
	s_barrier
	s_waitcnt lgkmcnt(0)
	ds_read_b64 v[8:9], v6 offset:2048
	ds_read_b64 v[6:7], v7 offset:4096
	;; [unrolled: 1-line block ×3, first 2 shown]
	s_sub_i32 s2, s8, s10
	v_cmp_gt_u32_e32 vcc, s2, v0
	s_and_saveexec_b64 s[0:1], vcc
	s_cbranch_execnz .LBB2167_34
; %bb.25:
	s_or_b64 exec, exec, s[0:1]
	v_cmp_gt_u32_e32 vcc, s2, v12
	s_and_saveexec_b64 s[0:1], vcc
	s_cbranch_execnz .LBB2167_35
.LBB2167_26:
	s_or_b64 exec, exec, s[0:1]
	v_cmp_gt_u32_e32 vcc, s2, v11
	s_and_saveexec_b64 s[0:1], vcc
	s_cbranch_execz .LBB2167_28
.LBB2167_27:
	v_add_co_u32_e32 v0, vcc, 0x1000, v2
	v_addc_co_u32_e32 v1, vcc, 0, v3, vcc
	s_waitcnt lgkmcnt(1)
	global_store_dwordx2 v[0:1], v[6:7], off
.LBB2167_28:
	s_or_b64 exec, exec, s[0:1]
	v_cmp_gt_u32_e64 s[0:1], s2, v10
.LBB2167_29:
	s_and_saveexec_b64 s[2:3], s[0:1]
	s_cbranch_execz .LBB2167_31
; %bb.30:
	v_add_co_u32_e32 v0, vcc, 0x1000, v2
	v_addc_co_u32_e32 v1, vcc, 0, v3, vcc
	s_waitcnt lgkmcnt(0)
	global_store_dwordx2 v[0:1], v[4:5], off offset:2048
.LBB2167_31:
	s_endpgm
.LBB2167_32:
	s_waitcnt vmcnt(3)
	v_mov_b32_e32 v2, s20
	s_waitcnt vmcnt(2)
	v_add_co_u32_e32 v4, vcc, s19, v1
	v_mov_b32_e32 v3, 0
	v_addc_co_u32_e32 v5, vcc, 0, v2, vcc
	v_subrev_u32_e32 v2, s9, v0
	v_lshlrev_b64 v[2:3], 3, v[2:3]
	s_waitcnt vmcnt(1)
	v_mov_b32_e32 v6, s18
	v_add_co_u32_e32 v2, vcc, s17, v2
	v_addc_co_u32_e32 v3, vcc, v6, v3, vcc
	v_cmp_gt_u32_e32 vcc, s9, v0
	v_cndmask_b32_e32 v3, v3, v5, vcc
	v_cndmask_b32_e32 v2, v2, v4, vcc
	global_load_dwordx2 v[2:3], v[2:3], off
	s_or_b64 exec, exec, s[0:1]
	v_cmp_gt_u32_e32 vcc, s11, v12
	s_and_saveexec_b64 s[2:3], vcc
	s_cbranch_execz .LBB2167_6
.LBB2167_33:
	v_mov_b32_e32 v13, 0
	s_waitcnt vmcnt(2)
	v_lshlrev_b64 v[4:5], 3, v[12:13]
	v_mov_b32_e32 v11, s20
	v_add_co_u32_e32 v15, vcc, s19, v4
	v_addc_co_u32_e32 v11, vcc, v11, v5, vcc
	v_cmp_gt_u32_e32 vcc, s9, v12
	v_subrev_u32_e32 v12, s9, v12
	v_lshlrev_b64 v[4:5], 3, v[12:13]
	v_mov_b32_e32 v12, s18
	v_add_co_u32_e64 v4, s[0:1], s17, v4
	v_addc_co_u32_e64 v5, s[0:1], v12, v5, s[0:1]
	v_cndmask_b32_e32 v5, v5, v11, vcc
	v_cndmask_b32_e32 v4, v4, v15, vcc
	global_load_dwordx2 v[4:5], v[4:5], off
	s_or_b64 exec, exec, s[2:3]
	v_cmp_gt_u32_e32 vcc, s11, v10
	s_and_saveexec_b64 s[0:1], vcc
	s_cbranch_execnz .LBB2167_7
	s_branch .LBB2167_8
.LBB2167_34:
	ds_read_b64 v[0:1], v13
	s_waitcnt lgkmcnt(0)
	global_store_dwordx2 v[2:3], v[0:1], off
	s_or_b64 exec, exec, s[0:1]
	v_cmp_gt_u32_e32 vcc, s2, v12
	s_and_saveexec_b64 s[0:1], vcc
	s_cbranch_execz .LBB2167_26
.LBB2167_35:
	s_waitcnt lgkmcnt(2)
	global_store_dwordx2 v[2:3], v[8:9], off offset:2048
	s_or_b64 exec, exec, s[0:1]
	v_cmp_gt_u32_e32 vcc, s2, v11
	s_and_saveexec_b64 s[0:1], vcc
	s_cbranch_execnz .LBB2167_27
	s_branch .LBB2167_28
	.section	.rodata,"a",@progbits
	.p2align	6, 0x0
	.amdhsa_kernel _ZN7rocprim17ROCPRIM_400000_NS6detail17trampoline_kernelINS0_14default_configENS1_38merge_sort_block_merge_config_selectorIlNS0_10empty_typeEEEZZNS1_27merge_sort_block_merge_implIS3_PlPS5_jNS1_19radix_merge_compareILb1ELb1ElNS0_19identity_decomposerEEEEE10hipError_tT0_T1_T2_jT3_P12ihipStream_tbPNSt15iterator_traitsISE_E10value_typeEPNSK_ISF_E10value_typeEPSG_NS1_7vsmem_tEENKUlT_SE_SF_SG_E_clIS8_S8_S9_S9_EESD_ST_SE_SF_SG_EUlST_E0_NS1_11comp_targetILNS1_3genE4ELNS1_11target_archE910ELNS1_3gpuE8ELNS1_3repE0EEENS1_38merge_mergepath_config_static_selectorELNS0_4arch9wavefront6targetE1EEEvSF_
		.amdhsa_group_segment_fixed_size 8448
		.amdhsa_private_segment_fixed_size 0
		.amdhsa_kernarg_size 328
		.amdhsa_user_sgpr_count 6
		.amdhsa_user_sgpr_private_segment_buffer 1
		.amdhsa_user_sgpr_dispatch_ptr 0
		.amdhsa_user_sgpr_queue_ptr 0
		.amdhsa_user_sgpr_kernarg_segment_ptr 1
		.amdhsa_user_sgpr_dispatch_id 0
		.amdhsa_user_sgpr_flat_scratch_init 0
		.amdhsa_user_sgpr_kernarg_preload_length 0
		.amdhsa_user_sgpr_kernarg_preload_offset 0
		.amdhsa_user_sgpr_private_segment_size 0
		.amdhsa_uses_dynamic_stack 0
		.amdhsa_system_sgpr_private_segment_wavefront_offset 0
		.amdhsa_system_sgpr_workgroup_id_x 1
		.amdhsa_system_sgpr_workgroup_id_y 1
		.amdhsa_system_sgpr_workgroup_id_z 1
		.amdhsa_system_sgpr_workgroup_info 0
		.amdhsa_system_vgpr_workitem_id 0
		.amdhsa_next_free_vgpr 23
		.amdhsa_next_free_sgpr 26
		.amdhsa_accum_offset 24
		.amdhsa_reserve_vcc 1
		.amdhsa_reserve_flat_scratch 0
		.amdhsa_float_round_mode_32 0
		.amdhsa_float_round_mode_16_64 0
		.amdhsa_float_denorm_mode_32 3
		.amdhsa_float_denorm_mode_16_64 3
		.amdhsa_dx10_clamp 1
		.amdhsa_ieee_mode 1
		.amdhsa_fp16_overflow 0
		.amdhsa_tg_split 0
		.amdhsa_exception_fp_ieee_invalid_op 0
		.amdhsa_exception_fp_denorm_src 0
		.amdhsa_exception_fp_ieee_div_zero 0
		.amdhsa_exception_fp_ieee_overflow 0
		.amdhsa_exception_fp_ieee_underflow 0
		.amdhsa_exception_fp_ieee_inexact 0
		.amdhsa_exception_int_div_zero 0
	.end_amdhsa_kernel
	.section	.text._ZN7rocprim17ROCPRIM_400000_NS6detail17trampoline_kernelINS0_14default_configENS1_38merge_sort_block_merge_config_selectorIlNS0_10empty_typeEEEZZNS1_27merge_sort_block_merge_implIS3_PlPS5_jNS1_19radix_merge_compareILb1ELb1ElNS0_19identity_decomposerEEEEE10hipError_tT0_T1_T2_jT3_P12ihipStream_tbPNSt15iterator_traitsISE_E10value_typeEPNSK_ISF_E10value_typeEPSG_NS1_7vsmem_tEENKUlT_SE_SF_SG_E_clIS8_S8_S9_S9_EESD_ST_SE_SF_SG_EUlST_E0_NS1_11comp_targetILNS1_3genE4ELNS1_11target_archE910ELNS1_3gpuE8ELNS1_3repE0EEENS1_38merge_mergepath_config_static_selectorELNS0_4arch9wavefront6targetE1EEEvSF_,"axG",@progbits,_ZN7rocprim17ROCPRIM_400000_NS6detail17trampoline_kernelINS0_14default_configENS1_38merge_sort_block_merge_config_selectorIlNS0_10empty_typeEEEZZNS1_27merge_sort_block_merge_implIS3_PlPS5_jNS1_19radix_merge_compareILb1ELb1ElNS0_19identity_decomposerEEEEE10hipError_tT0_T1_T2_jT3_P12ihipStream_tbPNSt15iterator_traitsISE_E10value_typeEPNSK_ISF_E10value_typeEPSG_NS1_7vsmem_tEENKUlT_SE_SF_SG_E_clIS8_S8_S9_S9_EESD_ST_SE_SF_SG_EUlST_E0_NS1_11comp_targetILNS1_3genE4ELNS1_11target_archE910ELNS1_3gpuE8ELNS1_3repE0EEENS1_38merge_mergepath_config_static_selectorELNS0_4arch9wavefront6targetE1EEEvSF_,comdat
.Lfunc_end2167:
	.size	_ZN7rocprim17ROCPRIM_400000_NS6detail17trampoline_kernelINS0_14default_configENS1_38merge_sort_block_merge_config_selectorIlNS0_10empty_typeEEEZZNS1_27merge_sort_block_merge_implIS3_PlPS5_jNS1_19radix_merge_compareILb1ELb1ElNS0_19identity_decomposerEEEEE10hipError_tT0_T1_T2_jT3_P12ihipStream_tbPNSt15iterator_traitsISE_E10value_typeEPNSK_ISF_E10value_typeEPSG_NS1_7vsmem_tEENKUlT_SE_SF_SG_E_clIS8_S8_S9_S9_EESD_ST_SE_SF_SG_EUlST_E0_NS1_11comp_targetILNS1_3genE4ELNS1_11target_archE910ELNS1_3gpuE8ELNS1_3repE0EEENS1_38merge_mergepath_config_static_selectorELNS0_4arch9wavefront6targetE1EEEvSF_, .Lfunc_end2167-_ZN7rocprim17ROCPRIM_400000_NS6detail17trampoline_kernelINS0_14default_configENS1_38merge_sort_block_merge_config_selectorIlNS0_10empty_typeEEEZZNS1_27merge_sort_block_merge_implIS3_PlPS5_jNS1_19radix_merge_compareILb1ELb1ElNS0_19identity_decomposerEEEEE10hipError_tT0_T1_T2_jT3_P12ihipStream_tbPNSt15iterator_traitsISE_E10value_typeEPNSK_ISF_E10value_typeEPSG_NS1_7vsmem_tEENKUlT_SE_SF_SG_E_clIS8_S8_S9_S9_EESD_ST_SE_SF_SG_EUlST_E0_NS1_11comp_targetILNS1_3genE4ELNS1_11target_archE910ELNS1_3gpuE8ELNS1_3repE0EEENS1_38merge_mergepath_config_static_selectorELNS0_4arch9wavefront6targetE1EEEvSF_
                                        ; -- End function
	.section	.AMDGPU.csdata,"",@progbits
; Kernel info:
; codeLenInByte = 2284
; NumSgprs: 30
; NumVgprs: 23
; NumAgprs: 0
; TotalNumVgprs: 23
; ScratchSize: 0
; MemoryBound: 0
; FloatMode: 240
; IeeeMode: 1
; LDSByteSize: 8448 bytes/workgroup (compile time only)
; SGPRBlocks: 3
; VGPRBlocks: 2
; NumSGPRsForWavesPerEU: 30
; NumVGPRsForWavesPerEU: 23
; AccumOffset: 24
; Occupancy: 7
; WaveLimiterHint : 1
; COMPUTE_PGM_RSRC2:SCRATCH_EN: 0
; COMPUTE_PGM_RSRC2:USER_SGPR: 6
; COMPUTE_PGM_RSRC2:TRAP_HANDLER: 0
; COMPUTE_PGM_RSRC2:TGID_X_EN: 1
; COMPUTE_PGM_RSRC2:TGID_Y_EN: 1
; COMPUTE_PGM_RSRC2:TGID_Z_EN: 1
; COMPUTE_PGM_RSRC2:TIDIG_COMP_CNT: 0
; COMPUTE_PGM_RSRC3_GFX90A:ACCUM_OFFSET: 5
; COMPUTE_PGM_RSRC3_GFX90A:TG_SPLIT: 0
	.section	.text._ZN7rocprim17ROCPRIM_400000_NS6detail17trampoline_kernelINS0_14default_configENS1_38merge_sort_block_merge_config_selectorIlNS0_10empty_typeEEEZZNS1_27merge_sort_block_merge_implIS3_PlPS5_jNS1_19radix_merge_compareILb1ELb1ElNS0_19identity_decomposerEEEEE10hipError_tT0_T1_T2_jT3_P12ihipStream_tbPNSt15iterator_traitsISE_E10value_typeEPNSK_ISF_E10value_typeEPSG_NS1_7vsmem_tEENKUlT_SE_SF_SG_E_clIS8_S8_S9_S9_EESD_ST_SE_SF_SG_EUlST_E0_NS1_11comp_targetILNS1_3genE3ELNS1_11target_archE908ELNS1_3gpuE7ELNS1_3repE0EEENS1_38merge_mergepath_config_static_selectorELNS0_4arch9wavefront6targetE1EEEvSF_,"axG",@progbits,_ZN7rocprim17ROCPRIM_400000_NS6detail17trampoline_kernelINS0_14default_configENS1_38merge_sort_block_merge_config_selectorIlNS0_10empty_typeEEEZZNS1_27merge_sort_block_merge_implIS3_PlPS5_jNS1_19radix_merge_compareILb1ELb1ElNS0_19identity_decomposerEEEEE10hipError_tT0_T1_T2_jT3_P12ihipStream_tbPNSt15iterator_traitsISE_E10value_typeEPNSK_ISF_E10value_typeEPSG_NS1_7vsmem_tEENKUlT_SE_SF_SG_E_clIS8_S8_S9_S9_EESD_ST_SE_SF_SG_EUlST_E0_NS1_11comp_targetILNS1_3genE3ELNS1_11target_archE908ELNS1_3gpuE7ELNS1_3repE0EEENS1_38merge_mergepath_config_static_selectorELNS0_4arch9wavefront6targetE1EEEvSF_,comdat
	.protected	_ZN7rocprim17ROCPRIM_400000_NS6detail17trampoline_kernelINS0_14default_configENS1_38merge_sort_block_merge_config_selectorIlNS0_10empty_typeEEEZZNS1_27merge_sort_block_merge_implIS3_PlPS5_jNS1_19radix_merge_compareILb1ELb1ElNS0_19identity_decomposerEEEEE10hipError_tT0_T1_T2_jT3_P12ihipStream_tbPNSt15iterator_traitsISE_E10value_typeEPNSK_ISF_E10value_typeEPSG_NS1_7vsmem_tEENKUlT_SE_SF_SG_E_clIS8_S8_S9_S9_EESD_ST_SE_SF_SG_EUlST_E0_NS1_11comp_targetILNS1_3genE3ELNS1_11target_archE908ELNS1_3gpuE7ELNS1_3repE0EEENS1_38merge_mergepath_config_static_selectorELNS0_4arch9wavefront6targetE1EEEvSF_ ; -- Begin function _ZN7rocprim17ROCPRIM_400000_NS6detail17trampoline_kernelINS0_14default_configENS1_38merge_sort_block_merge_config_selectorIlNS0_10empty_typeEEEZZNS1_27merge_sort_block_merge_implIS3_PlPS5_jNS1_19radix_merge_compareILb1ELb1ElNS0_19identity_decomposerEEEEE10hipError_tT0_T1_T2_jT3_P12ihipStream_tbPNSt15iterator_traitsISE_E10value_typeEPNSK_ISF_E10value_typeEPSG_NS1_7vsmem_tEENKUlT_SE_SF_SG_E_clIS8_S8_S9_S9_EESD_ST_SE_SF_SG_EUlST_E0_NS1_11comp_targetILNS1_3genE3ELNS1_11target_archE908ELNS1_3gpuE7ELNS1_3repE0EEENS1_38merge_mergepath_config_static_selectorELNS0_4arch9wavefront6targetE1EEEvSF_
	.globl	_ZN7rocprim17ROCPRIM_400000_NS6detail17trampoline_kernelINS0_14default_configENS1_38merge_sort_block_merge_config_selectorIlNS0_10empty_typeEEEZZNS1_27merge_sort_block_merge_implIS3_PlPS5_jNS1_19radix_merge_compareILb1ELb1ElNS0_19identity_decomposerEEEEE10hipError_tT0_T1_T2_jT3_P12ihipStream_tbPNSt15iterator_traitsISE_E10value_typeEPNSK_ISF_E10value_typeEPSG_NS1_7vsmem_tEENKUlT_SE_SF_SG_E_clIS8_S8_S9_S9_EESD_ST_SE_SF_SG_EUlST_E0_NS1_11comp_targetILNS1_3genE3ELNS1_11target_archE908ELNS1_3gpuE7ELNS1_3repE0EEENS1_38merge_mergepath_config_static_selectorELNS0_4arch9wavefront6targetE1EEEvSF_
	.p2align	8
	.type	_ZN7rocprim17ROCPRIM_400000_NS6detail17trampoline_kernelINS0_14default_configENS1_38merge_sort_block_merge_config_selectorIlNS0_10empty_typeEEEZZNS1_27merge_sort_block_merge_implIS3_PlPS5_jNS1_19radix_merge_compareILb1ELb1ElNS0_19identity_decomposerEEEEE10hipError_tT0_T1_T2_jT3_P12ihipStream_tbPNSt15iterator_traitsISE_E10value_typeEPNSK_ISF_E10value_typeEPSG_NS1_7vsmem_tEENKUlT_SE_SF_SG_E_clIS8_S8_S9_S9_EESD_ST_SE_SF_SG_EUlST_E0_NS1_11comp_targetILNS1_3genE3ELNS1_11target_archE908ELNS1_3gpuE7ELNS1_3repE0EEENS1_38merge_mergepath_config_static_selectorELNS0_4arch9wavefront6targetE1EEEvSF_,@function
_ZN7rocprim17ROCPRIM_400000_NS6detail17trampoline_kernelINS0_14default_configENS1_38merge_sort_block_merge_config_selectorIlNS0_10empty_typeEEEZZNS1_27merge_sort_block_merge_implIS3_PlPS5_jNS1_19radix_merge_compareILb1ELb1ElNS0_19identity_decomposerEEEEE10hipError_tT0_T1_T2_jT3_P12ihipStream_tbPNSt15iterator_traitsISE_E10value_typeEPNSK_ISF_E10value_typeEPSG_NS1_7vsmem_tEENKUlT_SE_SF_SG_E_clIS8_S8_S9_S9_EESD_ST_SE_SF_SG_EUlST_E0_NS1_11comp_targetILNS1_3genE3ELNS1_11target_archE908ELNS1_3gpuE7ELNS1_3repE0EEENS1_38merge_mergepath_config_static_selectorELNS0_4arch9wavefront6targetE1EEEvSF_: ; @_ZN7rocprim17ROCPRIM_400000_NS6detail17trampoline_kernelINS0_14default_configENS1_38merge_sort_block_merge_config_selectorIlNS0_10empty_typeEEEZZNS1_27merge_sort_block_merge_implIS3_PlPS5_jNS1_19radix_merge_compareILb1ELb1ElNS0_19identity_decomposerEEEEE10hipError_tT0_T1_T2_jT3_P12ihipStream_tbPNSt15iterator_traitsISE_E10value_typeEPNSK_ISF_E10value_typeEPSG_NS1_7vsmem_tEENKUlT_SE_SF_SG_E_clIS8_S8_S9_S9_EESD_ST_SE_SF_SG_EUlST_E0_NS1_11comp_targetILNS1_3genE3ELNS1_11target_archE908ELNS1_3gpuE7ELNS1_3repE0EEENS1_38merge_mergepath_config_static_selectorELNS0_4arch9wavefront6targetE1EEEvSF_
; %bb.0:
	.section	.rodata,"a",@progbits
	.p2align	6, 0x0
	.amdhsa_kernel _ZN7rocprim17ROCPRIM_400000_NS6detail17trampoline_kernelINS0_14default_configENS1_38merge_sort_block_merge_config_selectorIlNS0_10empty_typeEEEZZNS1_27merge_sort_block_merge_implIS3_PlPS5_jNS1_19radix_merge_compareILb1ELb1ElNS0_19identity_decomposerEEEEE10hipError_tT0_T1_T2_jT3_P12ihipStream_tbPNSt15iterator_traitsISE_E10value_typeEPNSK_ISF_E10value_typeEPSG_NS1_7vsmem_tEENKUlT_SE_SF_SG_E_clIS8_S8_S9_S9_EESD_ST_SE_SF_SG_EUlST_E0_NS1_11comp_targetILNS1_3genE3ELNS1_11target_archE908ELNS1_3gpuE7ELNS1_3repE0EEENS1_38merge_mergepath_config_static_selectorELNS0_4arch9wavefront6targetE1EEEvSF_
		.amdhsa_group_segment_fixed_size 0
		.amdhsa_private_segment_fixed_size 0
		.amdhsa_kernarg_size 72
		.amdhsa_user_sgpr_count 6
		.amdhsa_user_sgpr_private_segment_buffer 1
		.amdhsa_user_sgpr_dispatch_ptr 0
		.amdhsa_user_sgpr_queue_ptr 0
		.amdhsa_user_sgpr_kernarg_segment_ptr 1
		.amdhsa_user_sgpr_dispatch_id 0
		.amdhsa_user_sgpr_flat_scratch_init 0
		.amdhsa_user_sgpr_kernarg_preload_length 0
		.amdhsa_user_sgpr_kernarg_preload_offset 0
		.amdhsa_user_sgpr_private_segment_size 0
		.amdhsa_uses_dynamic_stack 0
		.amdhsa_system_sgpr_private_segment_wavefront_offset 0
		.amdhsa_system_sgpr_workgroup_id_x 1
		.amdhsa_system_sgpr_workgroup_id_y 0
		.amdhsa_system_sgpr_workgroup_id_z 0
		.amdhsa_system_sgpr_workgroup_info 0
		.amdhsa_system_vgpr_workitem_id 0
		.amdhsa_next_free_vgpr 1
		.amdhsa_next_free_sgpr 0
		.amdhsa_accum_offset 4
		.amdhsa_reserve_vcc 0
		.amdhsa_reserve_flat_scratch 0
		.amdhsa_float_round_mode_32 0
		.amdhsa_float_round_mode_16_64 0
		.amdhsa_float_denorm_mode_32 3
		.amdhsa_float_denorm_mode_16_64 3
		.amdhsa_dx10_clamp 1
		.amdhsa_ieee_mode 1
		.amdhsa_fp16_overflow 0
		.amdhsa_tg_split 0
		.amdhsa_exception_fp_ieee_invalid_op 0
		.amdhsa_exception_fp_denorm_src 0
		.amdhsa_exception_fp_ieee_div_zero 0
		.amdhsa_exception_fp_ieee_overflow 0
		.amdhsa_exception_fp_ieee_underflow 0
		.amdhsa_exception_fp_ieee_inexact 0
		.amdhsa_exception_int_div_zero 0
	.end_amdhsa_kernel
	.section	.text._ZN7rocprim17ROCPRIM_400000_NS6detail17trampoline_kernelINS0_14default_configENS1_38merge_sort_block_merge_config_selectorIlNS0_10empty_typeEEEZZNS1_27merge_sort_block_merge_implIS3_PlPS5_jNS1_19radix_merge_compareILb1ELb1ElNS0_19identity_decomposerEEEEE10hipError_tT0_T1_T2_jT3_P12ihipStream_tbPNSt15iterator_traitsISE_E10value_typeEPNSK_ISF_E10value_typeEPSG_NS1_7vsmem_tEENKUlT_SE_SF_SG_E_clIS8_S8_S9_S9_EESD_ST_SE_SF_SG_EUlST_E0_NS1_11comp_targetILNS1_3genE3ELNS1_11target_archE908ELNS1_3gpuE7ELNS1_3repE0EEENS1_38merge_mergepath_config_static_selectorELNS0_4arch9wavefront6targetE1EEEvSF_,"axG",@progbits,_ZN7rocprim17ROCPRIM_400000_NS6detail17trampoline_kernelINS0_14default_configENS1_38merge_sort_block_merge_config_selectorIlNS0_10empty_typeEEEZZNS1_27merge_sort_block_merge_implIS3_PlPS5_jNS1_19radix_merge_compareILb1ELb1ElNS0_19identity_decomposerEEEEE10hipError_tT0_T1_T2_jT3_P12ihipStream_tbPNSt15iterator_traitsISE_E10value_typeEPNSK_ISF_E10value_typeEPSG_NS1_7vsmem_tEENKUlT_SE_SF_SG_E_clIS8_S8_S9_S9_EESD_ST_SE_SF_SG_EUlST_E0_NS1_11comp_targetILNS1_3genE3ELNS1_11target_archE908ELNS1_3gpuE7ELNS1_3repE0EEENS1_38merge_mergepath_config_static_selectorELNS0_4arch9wavefront6targetE1EEEvSF_,comdat
.Lfunc_end2168:
	.size	_ZN7rocprim17ROCPRIM_400000_NS6detail17trampoline_kernelINS0_14default_configENS1_38merge_sort_block_merge_config_selectorIlNS0_10empty_typeEEEZZNS1_27merge_sort_block_merge_implIS3_PlPS5_jNS1_19radix_merge_compareILb1ELb1ElNS0_19identity_decomposerEEEEE10hipError_tT0_T1_T2_jT3_P12ihipStream_tbPNSt15iterator_traitsISE_E10value_typeEPNSK_ISF_E10value_typeEPSG_NS1_7vsmem_tEENKUlT_SE_SF_SG_E_clIS8_S8_S9_S9_EESD_ST_SE_SF_SG_EUlST_E0_NS1_11comp_targetILNS1_3genE3ELNS1_11target_archE908ELNS1_3gpuE7ELNS1_3repE0EEENS1_38merge_mergepath_config_static_selectorELNS0_4arch9wavefront6targetE1EEEvSF_, .Lfunc_end2168-_ZN7rocprim17ROCPRIM_400000_NS6detail17trampoline_kernelINS0_14default_configENS1_38merge_sort_block_merge_config_selectorIlNS0_10empty_typeEEEZZNS1_27merge_sort_block_merge_implIS3_PlPS5_jNS1_19radix_merge_compareILb1ELb1ElNS0_19identity_decomposerEEEEE10hipError_tT0_T1_T2_jT3_P12ihipStream_tbPNSt15iterator_traitsISE_E10value_typeEPNSK_ISF_E10value_typeEPSG_NS1_7vsmem_tEENKUlT_SE_SF_SG_E_clIS8_S8_S9_S9_EESD_ST_SE_SF_SG_EUlST_E0_NS1_11comp_targetILNS1_3genE3ELNS1_11target_archE908ELNS1_3gpuE7ELNS1_3repE0EEENS1_38merge_mergepath_config_static_selectorELNS0_4arch9wavefront6targetE1EEEvSF_
                                        ; -- End function
	.section	.AMDGPU.csdata,"",@progbits
; Kernel info:
; codeLenInByte = 0
; NumSgprs: 4
; NumVgprs: 0
; NumAgprs: 0
; TotalNumVgprs: 0
; ScratchSize: 0
; MemoryBound: 0
; FloatMode: 240
; IeeeMode: 1
; LDSByteSize: 0 bytes/workgroup (compile time only)
; SGPRBlocks: 0
; VGPRBlocks: 0
; NumSGPRsForWavesPerEU: 4
; NumVGPRsForWavesPerEU: 1
; AccumOffset: 4
; Occupancy: 8
; WaveLimiterHint : 0
; COMPUTE_PGM_RSRC2:SCRATCH_EN: 0
; COMPUTE_PGM_RSRC2:USER_SGPR: 6
; COMPUTE_PGM_RSRC2:TRAP_HANDLER: 0
; COMPUTE_PGM_RSRC2:TGID_X_EN: 1
; COMPUTE_PGM_RSRC2:TGID_Y_EN: 0
; COMPUTE_PGM_RSRC2:TGID_Z_EN: 0
; COMPUTE_PGM_RSRC2:TIDIG_COMP_CNT: 0
; COMPUTE_PGM_RSRC3_GFX90A:ACCUM_OFFSET: 0
; COMPUTE_PGM_RSRC3_GFX90A:TG_SPLIT: 0
	.section	.text._ZN7rocprim17ROCPRIM_400000_NS6detail17trampoline_kernelINS0_14default_configENS1_38merge_sort_block_merge_config_selectorIlNS0_10empty_typeEEEZZNS1_27merge_sort_block_merge_implIS3_PlPS5_jNS1_19radix_merge_compareILb1ELb1ElNS0_19identity_decomposerEEEEE10hipError_tT0_T1_T2_jT3_P12ihipStream_tbPNSt15iterator_traitsISE_E10value_typeEPNSK_ISF_E10value_typeEPSG_NS1_7vsmem_tEENKUlT_SE_SF_SG_E_clIS8_S8_S9_S9_EESD_ST_SE_SF_SG_EUlST_E0_NS1_11comp_targetILNS1_3genE2ELNS1_11target_archE906ELNS1_3gpuE6ELNS1_3repE0EEENS1_38merge_mergepath_config_static_selectorELNS0_4arch9wavefront6targetE1EEEvSF_,"axG",@progbits,_ZN7rocprim17ROCPRIM_400000_NS6detail17trampoline_kernelINS0_14default_configENS1_38merge_sort_block_merge_config_selectorIlNS0_10empty_typeEEEZZNS1_27merge_sort_block_merge_implIS3_PlPS5_jNS1_19radix_merge_compareILb1ELb1ElNS0_19identity_decomposerEEEEE10hipError_tT0_T1_T2_jT3_P12ihipStream_tbPNSt15iterator_traitsISE_E10value_typeEPNSK_ISF_E10value_typeEPSG_NS1_7vsmem_tEENKUlT_SE_SF_SG_E_clIS8_S8_S9_S9_EESD_ST_SE_SF_SG_EUlST_E0_NS1_11comp_targetILNS1_3genE2ELNS1_11target_archE906ELNS1_3gpuE6ELNS1_3repE0EEENS1_38merge_mergepath_config_static_selectorELNS0_4arch9wavefront6targetE1EEEvSF_,comdat
	.protected	_ZN7rocprim17ROCPRIM_400000_NS6detail17trampoline_kernelINS0_14default_configENS1_38merge_sort_block_merge_config_selectorIlNS0_10empty_typeEEEZZNS1_27merge_sort_block_merge_implIS3_PlPS5_jNS1_19radix_merge_compareILb1ELb1ElNS0_19identity_decomposerEEEEE10hipError_tT0_T1_T2_jT3_P12ihipStream_tbPNSt15iterator_traitsISE_E10value_typeEPNSK_ISF_E10value_typeEPSG_NS1_7vsmem_tEENKUlT_SE_SF_SG_E_clIS8_S8_S9_S9_EESD_ST_SE_SF_SG_EUlST_E0_NS1_11comp_targetILNS1_3genE2ELNS1_11target_archE906ELNS1_3gpuE6ELNS1_3repE0EEENS1_38merge_mergepath_config_static_selectorELNS0_4arch9wavefront6targetE1EEEvSF_ ; -- Begin function _ZN7rocprim17ROCPRIM_400000_NS6detail17trampoline_kernelINS0_14default_configENS1_38merge_sort_block_merge_config_selectorIlNS0_10empty_typeEEEZZNS1_27merge_sort_block_merge_implIS3_PlPS5_jNS1_19radix_merge_compareILb1ELb1ElNS0_19identity_decomposerEEEEE10hipError_tT0_T1_T2_jT3_P12ihipStream_tbPNSt15iterator_traitsISE_E10value_typeEPNSK_ISF_E10value_typeEPSG_NS1_7vsmem_tEENKUlT_SE_SF_SG_E_clIS8_S8_S9_S9_EESD_ST_SE_SF_SG_EUlST_E0_NS1_11comp_targetILNS1_3genE2ELNS1_11target_archE906ELNS1_3gpuE6ELNS1_3repE0EEENS1_38merge_mergepath_config_static_selectorELNS0_4arch9wavefront6targetE1EEEvSF_
	.globl	_ZN7rocprim17ROCPRIM_400000_NS6detail17trampoline_kernelINS0_14default_configENS1_38merge_sort_block_merge_config_selectorIlNS0_10empty_typeEEEZZNS1_27merge_sort_block_merge_implIS3_PlPS5_jNS1_19radix_merge_compareILb1ELb1ElNS0_19identity_decomposerEEEEE10hipError_tT0_T1_T2_jT3_P12ihipStream_tbPNSt15iterator_traitsISE_E10value_typeEPNSK_ISF_E10value_typeEPSG_NS1_7vsmem_tEENKUlT_SE_SF_SG_E_clIS8_S8_S9_S9_EESD_ST_SE_SF_SG_EUlST_E0_NS1_11comp_targetILNS1_3genE2ELNS1_11target_archE906ELNS1_3gpuE6ELNS1_3repE0EEENS1_38merge_mergepath_config_static_selectorELNS0_4arch9wavefront6targetE1EEEvSF_
	.p2align	8
	.type	_ZN7rocprim17ROCPRIM_400000_NS6detail17trampoline_kernelINS0_14default_configENS1_38merge_sort_block_merge_config_selectorIlNS0_10empty_typeEEEZZNS1_27merge_sort_block_merge_implIS3_PlPS5_jNS1_19radix_merge_compareILb1ELb1ElNS0_19identity_decomposerEEEEE10hipError_tT0_T1_T2_jT3_P12ihipStream_tbPNSt15iterator_traitsISE_E10value_typeEPNSK_ISF_E10value_typeEPSG_NS1_7vsmem_tEENKUlT_SE_SF_SG_E_clIS8_S8_S9_S9_EESD_ST_SE_SF_SG_EUlST_E0_NS1_11comp_targetILNS1_3genE2ELNS1_11target_archE906ELNS1_3gpuE6ELNS1_3repE0EEENS1_38merge_mergepath_config_static_selectorELNS0_4arch9wavefront6targetE1EEEvSF_,@function
_ZN7rocprim17ROCPRIM_400000_NS6detail17trampoline_kernelINS0_14default_configENS1_38merge_sort_block_merge_config_selectorIlNS0_10empty_typeEEEZZNS1_27merge_sort_block_merge_implIS3_PlPS5_jNS1_19radix_merge_compareILb1ELb1ElNS0_19identity_decomposerEEEEE10hipError_tT0_T1_T2_jT3_P12ihipStream_tbPNSt15iterator_traitsISE_E10value_typeEPNSK_ISF_E10value_typeEPSG_NS1_7vsmem_tEENKUlT_SE_SF_SG_E_clIS8_S8_S9_S9_EESD_ST_SE_SF_SG_EUlST_E0_NS1_11comp_targetILNS1_3genE2ELNS1_11target_archE906ELNS1_3gpuE6ELNS1_3repE0EEENS1_38merge_mergepath_config_static_selectorELNS0_4arch9wavefront6targetE1EEEvSF_: ; @_ZN7rocprim17ROCPRIM_400000_NS6detail17trampoline_kernelINS0_14default_configENS1_38merge_sort_block_merge_config_selectorIlNS0_10empty_typeEEEZZNS1_27merge_sort_block_merge_implIS3_PlPS5_jNS1_19radix_merge_compareILb1ELb1ElNS0_19identity_decomposerEEEEE10hipError_tT0_T1_T2_jT3_P12ihipStream_tbPNSt15iterator_traitsISE_E10value_typeEPNSK_ISF_E10value_typeEPSG_NS1_7vsmem_tEENKUlT_SE_SF_SG_E_clIS8_S8_S9_S9_EESD_ST_SE_SF_SG_EUlST_E0_NS1_11comp_targetILNS1_3genE2ELNS1_11target_archE906ELNS1_3gpuE6ELNS1_3repE0EEENS1_38merge_mergepath_config_static_selectorELNS0_4arch9wavefront6targetE1EEEvSF_
; %bb.0:
	.section	.rodata,"a",@progbits
	.p2align	6, 0x0
	.amdhsa_kernel _ZN7rocprim17ROCPRIM_400000_NS6detail17trampoline_kernelINS0_14default_configENS1_38merge_sort_block_merge_config_selectorIlNS0_10empty_typeEEEZZNS1_27merge_sort_block_merge_implIS3_PlPS5_jNS1_19radix_merge_compareILb1ELb1ElNS0_19identity_decomposerEEEEE10hipError_tT0_T1_T2_jT3_P12ihipStream_tbPNSt15iterator_traitsISE_E10value_typeEPNSK_ISF_E10value_typeEPSG_NS1_7vsmem_tEENKUlT_SE_SF_SG_E_clIS8_S8_S9_S9_EESD_ST_SE_SF_SG_EUlST_E0_NS1_11comp_targetILNS1_3genE2ELNS1_11target_archE906ELNS1_3gpuE6ELNS1_3repE0EEENS1_38merge_mergepath_config_static_selectorELNS0_4arch9wavefront6targetE1EEEvSF_
		.amdhsa_group_segment_fixed_size 0
		.amdhsa_private_segment_fixed_size 0
		.amdhsa_kernarg_size 72
		.amdhsa_user_sgpr_count 6
		.amdhsa_user_sgpr_private_segment_buffer 1
		.amdhsa_user_sgpr_dispatch_ptr 0
		.amdhsa_user_sgpr_queue_ptr 0
		.amdhsa_user_sgpr_kernarg_segment_ptr 1
		.amdhsa_user_sgpr_dispatch_id 0
		.amdhsa_user_sgpr_flat_scratch_init 0
		.amdhsa_user_sgpr_kernarg_preload_length 0
		.amdhsa_user_sgpr_kernarg_preload_offset 0
		.amdhsa_user_sgpr_private_segment_size 0
		.amdhsa_uses_dynamic_stack 0
		.amdhsa_system_sgpr_private_segment_wavefront_offset 0
		.amdhsa_system_sgpr_workgroup_id_x 1
		.amdhsa_system_sgpr_workgroup_id_y 0
		.amdhsa_system_sgpr_workgroup_id_z 0
		.amdhsa_system_sgpr_workgroup_info 0
		.amdhsa_system_vgpr_workitem_id 0
		.amdhsa_next_free_vgpr 1
		.amdhsa_next_free_sgpr 0
		.amdhsa_accum_offset 4
		.amdhsa_reserve_vcc 0
		.amdhsa_reserve_flat_scratch 0
		.amdhsa_float_round_mode_32 0
		.amdhsa_float_round_mode_16_64 0
		.amdhsa_float_denorm_mode_32 3
		.amdhsa_float_denorm_mode_16_64 3
		.amdhsa_dx10_clamp 1
		.amdhsa_ieee_mode 1
		.amdhsa_fp16_overflow 0
		.amdhsa_tg_split 0
		.amdhsa_exception_fp_ieee_invalid_op 0
		.amdhsa_exception_fp_denorm_src 0
		.amdhsa_exception_fp_ieee_div_zero 0
		.amdhsa_exception_fp_ieee_overflow 0
		.amdhsa_exception_fp_ieee_underflow 0
		.amdhsa_exception_fp_ieee_inexact 0
		.amdhsa_exception_int_div_zero 0
	.end_amdhsa_kernel
	.section	.text._ZN7rocprim17ROCPRIM_400000_NS6detail17trampoline_kernelINS0_14default_configENS1_38merge_sort_block_merge_config_selectorIlNS0_10empty_typeEEEZZNS1_27merge_sort_block_merge_implIS3_PlPS5_jNS1_19radix_merge_compareILb1ELb1ElNS0_19identity_decomposerEEEEE10hipError_tT0_T1_T2_jT3_P12ihipStream_tbPNSt15iterator_traitsISE_E10value_typeEPNSK_ISF_E10value_typeEPSG_NS1_7vsmem_tEENKUlT_SE_SF_SG_E_clIS8_S8_S9_S9_EESD_ST_SE_SF_SG_EUlST_E0_NS1_11comp_targetILNS1_3genE2ELNS1_11target_archE906ELNS1_3gpuE6ELNS1_3repE0EEENS1_38merge_mergepath_config_static_selectorELNS0_4arch9wavefront6targetE1EEEvSF_,"axG",@progbits,_ZN7rocprim17ROCPRIM_400000_NS6detail17trampoline_kernelINS0_14default_configENS1_38merge_sort_block_merge_config_selectorIlNS0_10empty_typeEEEZZNS1_27merge_sort_block_merge_implIS3_PlPS5_jNS1_19radix_merge_compareILb1ELb1ElNS0_19identity_decomposerEEEEE10hipError_tT0_T1_T2_jT3_P12ihipStream_tbPNSt15iterator_traitsISE_E10value_typeEPNSK_ISF_E10value_typeEPSG_NS1_7vsmem_tEENKUlT_SE_SF_SG_E_clIS8_S8_S9_S9_EESD_ST_SE_SF_SG_EUlST_E0_NS1_11comp_targetILNS1_3genE2ELNS1_11target_archE906ELNS1_3gpuE6ELNS1_3repE0EEENS1_38merge_mergepath_config_static_selectorELNS0_4arch9wavefront6targetE1EEEvSF_,comdat
.Lfunc_end2169:
	.size	_ZN7rocprim17ROCPRIM_400000_NS6detail17trampoline_kernelINS0_14default_configENS1_38merge_sort_block_merge_config_selectorIlNS0_10empty_typeEEEZZNS1_27merge_sort_block_merge_implIS3_PlPS5_jNS1_19radix_merge_compareILb1ELb1ElNS0_19identity_decomposerEEEEE10hipError_tT0_T1_T2_jT3_P12ihipStream_tbPNSt15iterator_traitsISE_E10value_typeEPNSK_ISF_E10value_typeEPSG_NS1_7vsmem_tEENKUlT_SE_SF_SG_E_clIS8_S8_S9_S9_EESD_ST_SE_SF_SG_EUlST_E0_NS1_11comp_targetILNS1_3genE2ELNS1_11target_archE906ELNS1_3gpuE6ELNS1_3repE0EEENS1_38merge_mergepath_config_static_selectorELNS0_4arch9wavefront6targetE1EEEvSF_, .Lfunc_end2169-_ZN7rocprim17ROCPRIM_400000_NS6detail17trampoline_kernelINS0_14default_configENS1_38merge_sort_block_merge_config_selectorIlNS0_10empty_typeEEEZZNS1_27merge_sort_block_merge_implIS3_PlPS5_jNS1_19radix_merge_compareILb1ELb1ElNS0_19identity_decomposerEEEEE10hipError_tT0_T1_T2_jT3_P12ihipStream_tbPNSt15iterator_traitsISE_E10value_typeEPNSK_ISF_E10value_typeEPSG_NS1_7vsmem_tEENKUlT_SE_SF_SG_E_clIS8_S8_S9_S9_EESD_ST_SE_SF_SG_EUlST_E0_NS1_11comp_targetILNS1_3genE2ELNS1_11target_archE906ELNS1_3gpuE6ELNS1_3repE0EEENS1_38merge_mergepath_config_static_selectorELNS0_4arch9wavefront6targetE1EEEvSF_
                                        ; -- End function
	.section	.AMDGPU.csdata,"",@progbits
; Kernel info:
; codeLenInByte = 0
; NumSgprs: 4
; NumVgprs: 0
; NumAgprs: 0
; TotalNumVgprs: 0
; ScratchSize: 0
; MemoryBound: 0
; FloatMode: 240
; IeeeMode: 1
; LDSByteSize: 0 bytes/workgroup (compile time only)
; SGPRBlocks: 0
; VGPRBlocks: 0
; NumSGPRsForWavesPerEU: 4
; NumVGPRsForWavesPerEU: 1
; AccumOffset: 4
; Occupancy: 8
; WaveLimiterHint : 0
; COMPUTE_PGM_RSRC2:SCRATCH_EN: 0
; COMPUTE_PGM_RSRC2:USER_SGPR: 6
; COMPUTE_PGM_RSRC2:TRAP_HANDLER: 0
; COMPUTE_PGM_RSRC2:TGID_X_EN: 1
; COMPUTE_PGM_RSRC2:TGID_Y_EN: 0
; COMPUTE_PGM_RSRC2:TGID_Z_EN: 0
; COMPUTE_PGM_RSRC2:TIDIG_COMP_CNT: 0
; COMPUTE_PGM_RSRC3_GFX90A:ACCUM_OFFSET: 0
; COMPUTE_PGM_RSRC3_GFX90A:TG_SPLIT: 0
	.section	.text._ZN7rocprim17ROCPRIM_400000_NS6detail17trampoline_kernelINS0_14default_configENS1_38merge_sort_block_merge_config_selectorIlNS0_10empty_typeEEEZZNS1_27merge_sort_block_merge_implIS3_PlPS5_jNS1_19radix_merge_compareILb1ELb1ElNS0_19identity_decomposerEEEEE10hipError_tT0_T1_T2_jT3_P12ihipStream_tbPNSt15iterator_traitsISE_E10value_typeEPNSK_ISF_E10value_typeEPSG_NS1_7vsmem_tEENKUlT_SE_SF_SG_E_clIS8_S8_S9_S9_EESD_ST_SE_SF_SG_EUlST_E0_NS1_11comp_targetILNS1_3genE9ELNS1_11target_archE1100ELNS1_3gpuE3ELNS1_3repE0EEENS1_38merge_mergepath_config_static_selectorELNS0_4arch9wavefront6targetE1EEEvSF_,"axG",@progbits,_ZN7rocprim17ROCPRIM_400000_NS6detail17trampoline_kernelINS0_14default_configENS1_38merge_sort_block_merge_config_selectorIlNS0_10empty_typeEEEZZNS1_27merge_sort_block_merge_implIS3_PlPS5_jNS1_19radix_merge_compareILb1ELb1ElNS0_19identity_decomposerEEEEE10hipError_tT0_T1_T2_jT3_P12ihipStream_tbPNSt15iterator_traitsISE_E10value_typeEPNSK_ISF_E10value_typeEPSG_NS1_7vsmem_tEENKUlT_SE_SF_SG_E_clIS8_S8_S9_S9_EESD_ST_SE_SF_SG_EUlST_E0_NS1_11comp_targetILNS1_3genE9ELNS1_11target_archE1100ELNS1_3gpuE3ELNS1_3repE0EEENS1_38merge_mergepath_config_static_selectorELNS0_4arch9wavefront6targetE1EEEvSF_,comdat
	.protected	_ZN7rocprim17ROCPRIM_400000_NS6detail17trampoline_kernelINS0_14default_configENS1_38merge_sort_block_merge_config_selectorIlNS0_10empty_typeEEEZZNS1_27merge_sort_block_merge_implIS3_PlPS5_jNS1_19radix_merge_compareILb1ELb1ElNS0_19identity_decomposerEEEEE10hipError_tT0_T1_T2_jT3_P12ihipStream_tbPNSt15iterator_traitsISE_E10value_typeEPNSK_ISF_E10value_typeEPSG_NS1_7vsmem_tEENKUlT_SE_SF_SG_E_clIS8_S8_S9_S9_EESD_ST_SE_SF_SG_EUlST_E0_NS1_11comp_targetILNS1_3genE9ELNS1_11target_archE1100ELNS1_3gpuE3ELNS1_3repE0EEENS1_38merge_mergepath_config_static_selectorELNS0_4arch9wavefront6targetE1EEEvSF_ ; -- Begin function _ZN7rocprim17ROCPRIM_400000_NS6detail17trampoline_kernelINS0_14default_configENS1_38merge_sort_block_merge_config_selectorIlNS0_10empty_typeEEEZZNS1_27merge_sort_block_merge_implIS3_PlPS5_jNS1_19radix_merge_compareILb1ELb1ElNS0_19identity_decomposerEEEEE10hipError_tT0_T1_T2_jT3_P12ihipStream_tbPNSt15iterator_traitsISE_E10value_typeEPNSK_ISF_E10value_typeEPSG_NS1_7vsmem_tEENKUlT_SE_SF_SG_E_clIS8_S8_S9_S9_EESD_ST_SE_SF_SG_EUlST_E0_NS1_11comp_targetILNS1_3genE9ELNS1_11target_archE1100ELNS1_3gpuE3ELNS1_3repE0EEENS1_38merge_mergepath_config_static_selectorELNS0_4arch9wavefront6targetE1EEEvSF_
	.globl	_ZN7rocprim17ROCPRIM_400000_NS6detail17trampoline_kernelINS0_14default_configENS1_38merge_sort_block_merge_config_selectorIlNS0_10empty_typeEEEZZNS1_27merge_sort_block_merge_implIS3_PlPS5_jNS1_19radix_merge_compareILb1ELb1ElNS0_19identity_decomposerEEEEE10hipError_tT0_T1_T2_jT3_P12ihipStream_tbPNSt15iterator_traitsISE_E10value_typeEPNSK_ISF_E10value_typeEPSG_NS1_7vsmem_tEENKUlT_SE_SF_SG_E_clIS8_S8_S9_S9_EESD_ST_SE_SF_SG_EUlST_E0_NS1_11comp_targetILNS1_3genE9ELNS1_11target_archE1100ELNS1_3gpuE3ELNS1_3repE0EEENS1_38merge_mergepath_config_static_selectorELNS0_4arch9wavefront6targetE1EEEvSF_
	.p2align	8
	.type	_ZN7rocprim17ROCPRIM_400000_NS6detail17trampoline_kernelINS0_14default_configENS1_38merge_sort_block_merge_config_selectorIlNS0_10empty_typeEEEZZNS1_27merge_sort_block_merge_implIS3_PlPS5_jNS1_19radix_merge_compareILb1ELb1ElNS0_19identity_decomposerEEEEE10hipError_tT0_T1_T2_jT3_P12ihipStream_tbPNSt15iterator_traitsISE_E10value_typeEPNSK_ISF_E10value_typeEPSG_NS1_7vsmem_tEENKUlT_SE_SF_SG_E_clIS8_S8_S9_S9_EESD_ST_SE_SF_SG_EUlST_E0_NS1_11comp_targetILNS1_3genE9ELNS1_11target_archE1100ELNS1_3gpuE3ELNS1_3repE0EEENS1_38merge_mergepath_config_static_selectorELNS0_4arch9wavefront6targetE1EEEvSF_,@function
_ZN7rocprim17ROCPRIM_400000_NS6detail17trampoline_kernelINS0_14default_configENS1_38merge_sort_block_merge_config_selectorIlNS0_10empty_typeEEEZZNS1_27merge_sort_block_merge_implIS3_PlPS5_jNS1_19radix_merge_compareILb1ELb1ElNS0_19identity_decomposerEEEEE10hipError_tT0_T1_T2_jT3_P12ihipStream_tbPNSt15iterator_traitsISE_E10value_typeEPNSK_ISF_E10value_typeEPSG_NS1_7vsmem_tEENKUlT_SE_SF_SG_E_clIS8_S8_S9_S9_EESD_ST_SE_SF_SG_EUlST_E0_NS1_11comp_targetILNS1_3genE9ELNS1_11target_archE1100ELNS1_3gpuE3ELNS1_3repE0EEENS1_38merge_mergepath_config_static_selectorELNS0_4arch9wavefront6targetE1EEEvSF_: ; @_ZN7rocprim17ROCPRIM_400000_NS6detail17trampoline_kernelINS0_14default_configENS1_38merge_sort_block_merge_config_selectorIlNS0_10empty_typeEEEZZNS1_27merge_sort_block_merge_implIS3_PlPS5_jNS1_19radix_merge_compareILb1ELb1ElNS0_19identity_decomposerEEEEE10hipError_tT0_T1_T2_jT3_P12ihipStream_tbPNSt15iterator_traitsISE_E10value_typeEPNSK_ISF_E10value_typeEPSG_NS1_7vsmem_tEENKUlT_SE_SF_SG_E_clIS8_S8_S9_S9_EESD_ST_SE_SF_SG_EUlST_E0_NS1_11comp_targetILNS1_3genE9ELNS1_11target_archE1100ELNS1_3gpuE3ELNS1_3repE0EEENS1_38merge_mergepath_config_static_selectorELNS0_4arch9wavefront6targetE1EEEvSF_
; %bb.0:
	.section	.rodata,"a",@progbits
	.p2align	6, 0x0
	.amdhsa_kernel _ZN7rocprim17ROCPRIM_400000_NS6detail17trampoline_kernelINS0_14default_configENS1_38merge_sort_block_merge_config_selectorIlNS0_10empty_typeEEEZZNS1_27merge_sort_block_merge_implIS3_PlPS5_jNS1_19radix_merge_compareILb1ELb1ElNS0_19identity_decomposerEEEEE10hipError_tT0_T1_T2_jT3_P12ihipStream_tbPNSt15iterator_traitsISE_E10value_typeEPNSK_ISF_E10value_typeEPSG_NS1_7vsmem_tEENKUlT_SE_SF_SG_E_clIS8_S8_S9_S9_EESD_ST_SE_SF_SG_EUlST_E0_NS1_11comp_targetILNS1_3genE9ELNS1_11target_archE1100ELNS1_3gpuE3ELNS1_3repE0EEENS1_38merge_mergepath_config_static_selectorELNS0_4arch9wavefront6targetE1EEEvSF_
		.amdhsa_group_segment_fixed_size 0
		.amdhsa_private_segment_fixed_size 0
		.amdhsa_kernarg_size 72
		.amdhsa_user_sgpr_count 6
		.amdhsa_user_sgpr_private_segment_buffer 1
		.amdhsa_user_sgpr_dispatch_ptr 0
		.amdhsa_user_sgpr_queue_ptr 0
		.amdhsa_user_sgpr_kernarg_segment_ptr 1
		.amdhsa_user_sgpr_dispatch_id 0
		.amdhsa_user_sgpr_flat_scratch_init 0
		.amdhsa_user_sgpr_kernarg_preload_length 0
		.amdhsa_user_sgpr_kernarg_preload_offset 0
		.amdhsa_user_sgpr_private_segment_size 0
		.amdhsa_uses_dynamic_stack 0
		.amdhsa_system_sgpr_private_segment_wavefront_offset 0
		.amdhsa_system_sgpr_workgroup_id_x 1
		.amdhsa_system_sgpr_workgroup_id_y 0
		.amdhsa_system_sgpr_workgroup_id_z 0
		.amdhsa_system_sgpr_workgroup_info 0
		.amdhsa_system_vgpr_workitem_id 0
		.amdhsa_next_free_vgpr 1
		.amdhsa_next_free_sgpr 0
		.amdhsa_accum_offset 4
		.amdhsa_reserve_vcc 0
		.amdhsa_reserve_flat_scratch 0
		.amdhsa_float_round_mode_32 0
		.amdhsa_float_round_mode_16_64 0
		.amdhsa_float_denorm_mode_32 3
		.amdhsa_float_denorm_mode_16_64 3
		.amdhsa_dx10_clamp 1
		.amdhsa_ieee_mode 1
		.amdhsa_fp16_overflow 0
		.amdhsa_tg_split 0
		.amdhsa_exception_fp_ieee_invalid_op 0
		.amdhsa_exception_fp_denorm_src 0
		.amdhsa_exception_fp_ieee_div_zero 0
		.amdhsa_exception_fp_ieee_overflow 0
		.amdhsa_exception_fp_ieee_underflow 0
		.amdhsa_exception_fp_ieee_inexact 0
		.amdhsa_exception_int_div_zero 0
	.end_amdhsa_kernel
	.section	.text._ZN7rocprim17ROCPRIM_400000_NS6detail17trampoline_kernelINS0_14default_configENS1_38merge_sort_block_merge_config_selectorIlNS0_10empty_typeEEEZZNS1_27merge_sort_block_merge_implIS3_PlPS5_jNS1_19radix_merge_compareILb1ELb1ElNS0_19identity_decomposerEEEEE10hipError_tT0_T1_T2_jT3_P12ihipStream_tbPNSt15iterator_traitsISE_E10value_typeEPNSK_ISF_E10value_typeEPSG_NS1_7vsmem_tEENKUlT_SE_SF_SG_E_clIS8_S8_S9_S9_EESD_ST_SE_SF_SG_EUlST_E0_NS1_11comp_targetILNS1_3genE9ELNS1_11target_archE1100ELNS1_3gpuE3ELNS1_3repE0EEENS1_38merge_mergepath_config_static_selectorELNS0_4arch9wavefront6targetE1EEEvSF_,"axG",@progbits,_ZN7rocprim17ROCPRIM_400000_NS6detail17trampoline_kernelINS0_14default_configENS1_38merge_sort_block_merge_config_selectorIlNS0_10empty_typeEEEZZNS1_27merge_sort_block_merge_implIS3_PlPS5_jNS1_19radix_merge_compareILb1ELb1ElNS0_19identity_decomposerEEEEE10hipError_tT0_T1_T2_jT3_P12ihipStream_tbPNSt15iterator_traitsISE_E10value_typeEPNSK_ISF_E10value_typeEPSG_NS1_7vsmem_tEENKUlT_SE_SF_SG_E_clIS8_S8_S9_S9_EESD_ST_SE_SF_SG_EUlST_E0_NS1_11comp_targetILNS1_3genE9ELNS1_11target_archE1100ELNS1_3gpuE3ELNS1_3repE0EEENS1_38merge_mergepath_config_static_selectorELNS0_4arch9wavefront6targetE1EEEvSF_,comdat
.Lfunc_end2170:
	.size	_ZN7rocprim17ROCPRIM_400000_NS6detail17trampoline_kernelINS0_14default_configENS1_38merge_sort_block_merge_config_selectorIlNS0_10empty_typeEEEZZNS1_27merge_sort_block_merge_implIS3_PlPS5_jNS1_19radix_merge_compareILb1ELb1ElNS0_19identity_decomposerEEEEE10hipError_tT0_T1_T2_jT3_P12ihipStream_tbPNSt15iterator_traitsISE_E10value_typeEPNSK_ISF_E10value_typeEPSG_NS1_7vsmem_tEENKUlT_SE_SF_SG_E_clIS8_S8_S9_S9_EESD_ST_SE_SF_SG_EUlST_E0_NS1_11comp_targetILNS1_3genE9ELNS1_11target_archE1100ELNS1_3gpuE3ELNS1_3repE0EEENS1_38merge_mergepath_config_static_selectorELNS0_4arch9wavefront6targetE1EEEvSF_, .Lfunc_end2170-_ZN7rocprim17ROCPRIM_400000_NS6detail17trampoline_kernelINS0_14default_configENS1_38merge_sort_block_merge_config_selectorIlNS0_10empty_typeEEEZZNS1_27merge_sort_block_merge_implIS3_PlPS5_jNS1_19radix_merge_compareILb1ELb1ElNS0_19identity_decomposerEEEEE10hipError_tT0_T1_T2_jT3_P12ihipStream_tbPNSt15iterator_traitsISE_E10value_typeEPNSK_ISF_E10value_typeEPSG_NS1_7vsmem_tEENKUlT_SE_SF_SG_E_clIS8_S8_S9_S9_EESD_ST_SE_SF_SG_EUlST_E0_NS1_11comp_targetILNS1_3genE9ELNS1_11target_archE1100ELNS1_3gpuE3ELNS1_3repE0EEENS1_38merge_mergepath_config_static_selectorELNS0_4arch9wavefront6targetE1EEEvSF_
                                        ; -- End function
	.section	.AMDGPU.csdata,"",@progbits
; Kernel info:
; codeLenInByte = 0
; NumSgprs: 4
; NumVgprs: 0
; NumAgprs: 0
; TotalNumVgprs: 0
; ScratchSize: 0
; MemoryBound: 0
; FloatMode: 240
; IeeeMode: 1
; LDSByteSize: 0 bytes/workgroup (compile time only)
; SGPRBlocks: 0
; VGPRBlocks: 0
; NumSGPRsForWavesPerEU: 4
; NumVGPRsForWavesPerEU: 1
; AccumOffset: 4
; Occupancy: 8
; WaveLimiterHint : 0
; COMPUTE_PGM_RSRC2:SCRATCH_EN: 0
; COMPUTE_PGM_RSRC2:USER_SGPR: 6
; COMPUTE_PGM_RSRC2:TRAP_HANDLER: 0
; COMPUTE_PGM_RSRC2:TGID_X_EN: 1
; COMPUTE_PGM_RSRC2:TGID_Y_EN: 0
; COMPUTE_PGM_RSRC2:TGID_Z_EN: 0
; COMPUTE_PGM_RSRC2:TIDIG_COMP_CNT: 0
; COMPUTE_PGM_RSRC3_GFX90A:ACCUM_OFFSET: 0
; COMPUTE_PGM_RSRC3_GFX90A:TG_SPLIT: 0
	.section	.text._ZN7rocprim17ROCPRIM_400000_NS6detail17trampoline_kernelINS0_14default_configENS1_38merge_sort_block_merge_config_selectorIlNS0_10empty_typeEEEZZNS1_27merge_sort_block_merge_implIS3_PlPS5_jNS1_19radix_merge_compareILb1ELb1ElNS0_19identity_decomposerEEEEE10hipError_tT0_T1_T2_jT3_P12ihipStream_tbPNSt15iterator_traitsISE_E10value_typeEPNSK_ISF_E10value_typeEPSG_NS1_7vsmem_tEENKUlT_SE_SF_SG_E_clIS8_S8_S9_S9_EESD_ST_SE_SF_SG_EUlST_E0_NS1_11comp_targetILNS1_3genE8ELNS1_11target_archE1030ELNS1_3gpuE2ELNS1_3repE0EEENS1_38merge_mergepath_config_static_selectorELNS0_4arch9wavefront6targetE1EEEvSF_,"axG",@progbits,_ZN7rocprim17ROCPRIM_400000_NS6detail17trampoline_kernelINS0_14default_configENS1_38merge_sort_block_merge_config_selectorIlNS0_10empty_typeEEEZZNS1_27merge_sort_block_merge_implIS3_PlPS5_jNS1_19radix_merge_compareILb1ELb1ElNS0_19identity_decomposerEEEEE10hipError_tT0_T1_T2_jT3_P12ihipStream_tbPNSt15iterator_traitsISE_E10value_typeEPNSK_ISF_E10value_typeEPSG_NS1_7vsmem_tEENKUlT_SE_SF_SG_E_clIS8_S8_S9_S9_EESD_ST_SE_SF_SG_EUlST_E0_NS1_11comp_targetILNS1_3genE8ELNS1_11target_archE1030ELNS1_3gpuE2ELNS1_3repE0EEENS1_38merge_mergepath_config_static_selectorELNS0_4arch9wavefront6targetE1EEEvSF_,comdat
	.protected	_ZN7rocprim17ROCPRIM_400000_NS6detail17trampoline_kernelINS0_14default_configENS1_38merge_sort_block_merge_config_selectorIlNS0_10empty_typeEEEZZNS1_27merge_sort_block_merge_implIS3_PlPS5_jNS1_19radix_merge_compareILb1ELb1ElNS0_19identity_decomposerEEEEE10hipError_tT0_T1_T2_jT3_P12ihipStream_tbPNSt15iterator_traitsISE_E10value_typeEPNSK_ISF_E10value_typeEPSG_NS1_7vsmem_tEENKUlT_SE_SF_SG_E_clIS8_S8_S9_S9_EESD_ST_SE_SF_SG_EUlST_E0_NS1_11comp_targetILNS1_3genE8ELNS1_11target_archE1030ELNS1_3gpuE2ELNS1_3repE0EEENS1_38merge_mergepath_config_static_selectorELNS0_4arch9wavefront6targetE1EEEvSF_ ; -- Begin function _ZN7rocprim17ROCPRIM_400000_NS6detail17trampoline_kernelINS0_14default_configENS1_38merge_sort_block_merge_config_selectorIlNS0_10empty_typeEEEZZNS1_27merge_sort_block_merge_implIS3_PlPS5_jNS1_19radix_merge_compareILb1ELb1ElNS0_19identity_decomposerEEEEE10hipError_tT0_T1_T2_jT3_P12ihipStream_tbPNSt15iterator_traitsISE_E10value_typeEPNSK_ISF_E10value_typeEPSG_NS1_7vsmem_tEENKUlT_SE_SF_SG_E_clIS8_S8_S9_S9_EESD_ST_SE_SF_SG_EUlST_E0_NS1_11comp_targetILNS1_3genE8ELNS1_11target_archE1030ELNS1_3gpuE2ELNS1_3repE0EEENS1_38merge_mergepath_config_static_selectorELNS0_4arch9wavefront6targetE1EEEvSF_
	.globl	_ZN7rocprim17ROCPRIM_400000_NS6detail17trampoline_kernelINS0_14default_configENS1_38merge_sort_block_merge_config_selectorIlNS0_10empty_typeEEEZZNS1_27merge_sort_block_merge_implIS3_PlPS5_jNS1_19radix_merge_compareILb1ELb1ElNS0_19identity_decomposerEEEEE10hipError_tT0_T1_T2_jT3_P12ihipStream_tbPNSt15iterator_traitsISE_E10value_typeEPNSK_ISF_E10value_typeEPSG_NS1_7vsmem_tEENKUlT_SE_SF_SG_E_clIS8_S8_S9_S9_EESD_ST_SE_SF_SG_EUlST_E0_NS1_11comp_targetILNS1_3genE8ELNS1_11target_archE1030ELNS1_3gpuE2ELNS1_3repE0EEENS1_38merge_mergepath_config_static_selectorELNS0_4arch9wavefront6targetE1EEEvSF_
	.p2align	8
	.type	_ZN7rocprim17ROCPRIM_400000_NS6detail17trampoline_kernelINS0_14default_configENS1_38merge_sort_block_merge_config_selectorIlNS0_10empty_typeEEEZZNS1_27merge_sort_block_merge_implIS3_PlPS5_jNS1_19radix_merge_compareILb1ELb1ElNS0_19identity_decomposerEEEEE10hipError_tT0_T1_T2_jT3_P12ihipStream_tbPNSt15iterator_traitsISE_E10value_typeEPNSK_ISF_E10value_typeEPSG_NS1_7vsmem_tEENKUlT_SE_SF_SG_E_clIS8_S8_S9_S9_EESD_ST_SE_SF_SG_EUlST_E0_NS1_11comp_targetILNS1_3genE8ELNS1_11target_archE1030ELNS1_3gpuE2ELNS1_3repE0EEENS1_38merge_mergepath_config_static_selectorELNS0_4arch9wavefront6targetE1EEEvSF_,@function
_ZN7rocprim17ROCPRIM_400000_NS6detail17trampoline_kernelINS0_14default_configENS1_38merge_sort_block_merge_config_selectorIlNS0_10empty_typeEEEZZNS1_27merge_sort_block_merge_implIS3_PlPS5_jNS1_19radix_merge_compareILb1ELb1ElNS0_19identity_decomposerEEEEE10hipError_tT0_T1_T2_jT3_P12ihipStream_tbPNSt15iterator_traitsISE_E10value_typeEPNSK_ISF_E10value_typeEPSG_NS1_7vsmem_tEENKUlT_SE_SF_SG_E_clIS8_S8_S9_S9_EESD_ST_SE_SF_SG_EUlST_E0_NS1_11comp_targetILNS1_3genE8ELNS1_11target_archE1030ELNS1_3gpuE2ELNS1_3repE0EEENS1_38merge_mergepath_config_static_selectorELNS0_4arch9wavefront6targetE1EEEvSF_: ; @_ZN7rocprim17ROCPRIM_400000_NS6detail17trampoline_kernelINS0_14default_configENS1_38merge_sort_block_merge_config_selectorIlNS0_10empty_typeEEEZZNS1_27merge_sort_block_merge_implIS3_PlPS5_jNS1_19radix_merge_compareILb1ELb1ElNS0_19identity_decomposerEEEEE10hipError_tT0_T1_T2_jT3_P12ihipStream_tbPNSt15iterator_traitsISE_E10value_typeEPNSK_ISF_E10value_typeEPSG_NS1_7vsmem_tEENKUlT_SE_SF_SG_E_clIS8_S8_S9_S9_EESD_ST_SE_SF_SG_EUlST_E0_NS1_11comp_targetILNS1_3genE8ELNS1_11target_archE1030ELNS1_3gpuE2ELNS1_3repE0EEENS1_38merge_mergepath_config_static_selectorELNS0_4arch9wavefront6targetE1EEEvSF_
; %bb.0:
	.section	.rodata,"a",@progbits
	.p2align	6, 0x0
	.amdhsa_kernel _ZN7rocprim17ROCPRIM_400000_NS6detail17trampoline_kernelINS0_14default_configENS1_38merge_sort_block_merge_config_selectorIlNS0_10empty_typeEEEZZNS1_27merge_sort_block_merge_implIS3_PlPS5_jNS1_19radix_merge_compareILb1ELb1ElNS0_19identity_decomposerEEEEE10hipError_tT0_T1_T2_jT3_P12ihipStream_tbPNSt15iterator_traitsISE_E10value_typeEPNSK_ISF_E10value_typeEPSG_NS1_7vsmem_tEENKUlT_SE_SF_SG_E_clIS8_S8_S9_S9_EESD_ST_SE_SF_SG_EUlST_E0_NS1_11comp_targetILNS1_3genE8ELNS1_11target_archE1030ELNS1_3gpuE2ELNS1_3repE0EEENS1_38merge_mergepath_config_static_selectorELNS0_4arch9wavefront6targetE1EEEvSF_
		.amdhsa_group_segment_fixed_size 0
		.amdhsa_private_segment_fixed_size 0
		.amdhsa_kernarg_size 72
		.amdhsa_user_sgpr_count 6
		.amdhsa_user_sgpr_private_segment_buffer 1
		.amdhsa_user_sgpr_dispatch_ptr 0
		.amdhsa_user_sgpr_queue_ptr 0
		.amdhsa_user_sgpr_kernarg_segment_ptr 1
		.amdhsa_user_sgpr_dispatch_id 0
		.amdhsa_user_sgpr_flat_scratch_init 0
		.amdhsa_user_sgpr_kernarg_preload_length 0
		.amdhsa_user_sgpr_kernarg_preload_offset 0
		.amdhsa_user_sgpr_private_segment_size 0
		.amdhsa_uses_dynamic_stack 0
		.amdhsa_system_sgpr_private_segment_wavefront_offset 0
		.amdhsa_system_sgpr_workgroup_id_x 1
		.amdhsa_system_sgpr_workgroup_id_y 0
		.amdhsa_system_sgpr_workgroup_id_z 0
		.amdhsa_system_sgpr_workgroup_info 0
		.amdhsa_system_vgpr_workitem_id 0
		.amdhsa_next_free_vgpr 1
		.amdhsa_next_free_sgpr 0
		.amdhsa_accum_offset 4
		.amdhsa_reserve_vcc 0
		.amdhsa_reserve_flat_scratch 0
		.amdhsa_float_round_mode_32 0
		.amdhsa_float_round_mode_16_64 0
		.amdhsa_float_denorm_mode_32 3
		.amdhsa_float_denorm_mode_16_64 3
		.amdhsa_dx10_clamp 1
		.amdhsa_ieee_mode 1
		.amdhsa_fp16_overflow 0
		.amdhsa_tg_split 0
		.amdhsa_exception_fp_ieee_invalid_op 0
		.amdhsa_exception_fp_denorm_src 0
		.amdhsa_exception_fp_ieee_div_zero 0
		.amdhsa_exception_fp_ieee_overflow 0
		.amdhsa_exception_fp_ieee_underflow 0
		.amdhsa_exception_fp_ieee_inexact 0
		.amdhsa_exception_int_div_zero 0
	.end_amdhsa_kernel
	.section	.text._ZN7rocprim17ROCPRIM_400000_NS6detail17trampoline_kernelINS0_14default_configENS1_38merge_sort_block_merge_config_selectorIlNS0_10empty_typeEEEZZNS1_27merge_sort_block_merge_implIS3_PlPS5_jNS1_19radix_merge_compareILb1ELb1ElNS0_19identity_decomposerEEEEE10hipError_tT0_T1_T2_jT3_P12ihipStream_tbPNSt15iterator_traitsISE_E10value_typeEPNSK_ISF_E10value_typeEPSG_NS1_7vsmem_tEENKUlT_SE_SF_SG_E_clIS8_S8_S9_S9_EESD_ST_SE_SF_SG_EUlST_E0_NS1_11comp_targetILNS1_3genE8ELNS1_11target_archE1030ELNS1_3gpuE2ELNS1_3repE0EEENS1_38merge_mergepath_config_static_selectorELNS0_4arch9wavefront6targetE1EEEvSF_,"axG",@progbits,_ZN7rocprim17ROCPRIM_400000_NS6detail17trampoline_kernelINS0_14default_configENS1_38merge_sort_block_merge_config_selectorIlNS0_10empty_typeEEEZZNS1_27merge_sort_block_merge_implIS3_PlPS5_jNS1_19radix_merge_compareILb1ELb1ElNS0_19identity_decomposerEEEEE10hipError_tT0_T1_T2_jT3_P12ihipStream_tbPNSt15iterator_traitsISE_E10value_typeEPNSK_ISF_E10value_typeEPSG_NS1_7vsmem_tEENKUlT_SE_SF_SG_E_clIS8_S8_S9_S9_EESD_ST_SE_SF_SG_EUlST_E0_NS1_11comp_targetILNS1_3genE8ELNS1_11target_archE1030ELNS1_3gpuE2ELNS1_3repE0EEENS1_38merge_mergepath_config_static_selectorELNS0_4arch9wavefront6targetE1EEEvSF_,comdat
.Lfunc_end2171:
	.size	_ZN7rocprim17ROCPRIM_400000_NS6detail17trampoline_kernelINS0_14default_configENS1_38merge_sort_block_merge_config_selectorIlNS0_10empty_typeEEEZZNS1_27merge_sort_block_merge_implIS3_PlPS5_jNS1_19radix_merge_compareILb1ELb1ElNS0_19identity_decomposerEEEEE10hipError_tT0_T1_T2_jT3_P12ihipStream_tbPNSt15iterator_traitsISE_E10value_typeEPNSK_ISF_E10value_typeEPSG_NS1_7vsmem_tEENKUlT_SE_SF_SG_E_clIS8_S8_S9_S9_EESD_ST_SE_SF_SG_EUlST_E0_NS1_11comp_targetILNS1_3genE8ELNS1_11target_archE1030ELNS1_3gpuE2ELNS1_3repE0EEENS1_38merge_mergepath_config_static_selectorELNS0_4arch9wavefront6targetE1EEEvSF_, .Lfunc_end2171-_ZN7rocprim17ROCPRIM_400000_NS6detail17trampoline_kernelINS0_14default_configENS1_38merge_sort_block_merge_config_selectorIlNS0_10empty_typeEEEZZNS1_27merge_sort_block_merge_implIS3_PlPS5_jNS1_19radix_merge_compareILb1ELb1ElNS0_19identity_decomposerEEEEE10hipError_tT0_T1_T2_jT3_P12ihipStream_tbPNSt15iterator_traitsISE_E10value_typeEPNSK_ISF_E10value_typeEPSG_NS1_7vsmem_tEENKUlT_SE_SF_SG_E_clIS8_S8_S9_S9_EESD_ST_SE_SF_SG_EUlST_E0_NS1_11comp_targetILNS1_3genE8ELNS1_11target_archE1030ELNS1_3gpuE2ELNS1_3repE0EEENS1_38merge_mergepath_config_static_selectorELNS0_4arch9wavefront6targetE1EEEvSF_
                                        ; -- End function
	.section	.AMDGPU.csdata,"",@progbits
; Kernel info:
; codeLenInByte = 0
; NumSgprs: 4
; NumVgprs: 0
; NumAgprs: 0
; TotalNumVgprs: 0
; ScratchSize: 0
; MemoryBound: 0
; FloatMode: 240
; IeeeMode: 1
; LDSByteSize: 0 bytes/workgroup (compile time only)
; SGPRBlocks: 0
; VGPRBlocks: 0
; NumSGPRsForWavesPerEU: 4
; NumVGPRsForWavesPerEU: 1
; AccumOffset: 4
; Occupancy: 8
; WaveLimiterHint : 0
; COMPUTE_PGM_RSRC2:SCRATCH_EN: 0
; COMPUTE_PGM_RSRC2:USER_SGPR: 6
; COMPUTE_PGM_RSRC2:TRAP_HANDLER: 0
; COMPUTE_PGM_RSRC2:TGID_X_EN: 1
; COMPUTE_PGM_RSRC2:TGID_Y_EN: 0
; COMPUTE_PGM_RSRC2:TGID_Z_EN: 0
; COMPUTE_PGM_RSRC2:TIDIG_COMP_CNT: 0
; COMPUTE_PGM_RSRC3_GFX90A:ACCUM_OFFSET: 0
; COMPUTE_PGM_RSRC3_GFX90A:TG_SPLIT: 0
	.section	.text._ZN7rocprim17ROCPRIM_400000_NS6detail17trampoline_kernelINS0_14default_configENS1_38merge_sort_block_merge_config_selectorIlNS0_10empty_typeEEEZZNS1_27merge_sort_block_merge_implIS3_PlPS5_jNS1_19radix_merge_compareILb1ELb1ElNS0_19identity_decomposerEEEEE10hipError_tT0_T1_T2_jT3_P12ihipStream_tbPNSt15iterator_traitsISE_E10value_typeEPNSK_ISF_E10value_typeEPSG_NS1_7vsmem_tEENKUlT_SE_SF_SG_E_clIS8_S8_S9_S9_EESD_ST_SE_SF_SG_EUlST_E1_NS1_11comp_targetILNS1_3genE0ELNS1_11target_archE4294967295ELNS1_3gpuE0ELNS1_3repE0EEENS1_36merge_oddeven_config_static_selectorELNS0_4arch9wavefront6targetE1EEEvSF_,"axG",@progbits,_ZN7rocprim17ROCPRIM_400000_NS6detail17trampoline_kernelINS0_14default_configENS1_38merge_sort_block_merge_config_selectorIlNS0_10empty_typeEEEZZNS1_27merge_sort_block_merge_implIS3_PlPS5_jNS1_19radix_merge_compareILb1ELb1ElNS0_19identity_decomposerEEEEE10hipError_tT0_T1_T2_jT3_P12ihipStream_tbPNSt15iterator_traitsISE_E10value_typeEPNSK_ISF_E10value_typeEPSG_NS1_7vsmem_tEENKUlT_SE_SF_SG_E_clIS8_S8_S9_S9_EESD_ST_SE_SF_SG_EUlST_E1_NS1_11comp_targetILNS1_3genE0ELNS1_11target_archE4294967295ELNS1_3gpuE0ELNS1_3repE0EEENS1_36merge_oddeven_config_static_selectorELNS0_4arch9wavefront6targetE1EEEvSF_,comdat
	.protected	_ZN7rocprim17ROCPRIM_400000_NS6detail17trampoline_kernelINS0_14default_configENS1_38merge_sort_block_merge_config_selectorIlNS0_10empty_typeEEEZZNS1_27merge_sort_block_merge_implIS3_PlPS5_jNS1_19radix_merge_compareILb1ELb1ElNS0_19identity_decomposerEEEEE10hipError_tT0_T1_T2_jT3_P12ihipStream_tbPNSt15iterator_traitsISE_E10value_typeEPNSK_ISF_E10value_typeEPSG_NS1_7vsmem_tEENKUlT_SE_SF_SG_E_clIS8_S8_S9_S9_EESD_ST_SE_SF_SG_EUlST_E1_NS1_11comp_targetILNS1_3genE0ELNS1_11target_archE4294967295ELNS1_3gpuE0ELNS1_3repE0EEENS1_36merge_oddeven_config_static_selectorELNS0_4arch9wavefront6targetE1EEEvSF_ ; -- Begin function _ZN7rocprim17ROCPRIM_400000_NS6detail17trampoline_kernelINS0_14default_configENS1_38merge_sort_block_merge_config_selectorIlNS0_10empty_typeEEEZZNS1_27merge_sort_block_merge_implIS3_PlPS5_jNS1_19radix_merge_compareILb1ELb1ElNS0_19identity_decomposerEEEEE10hipError_tT0_T1_T2_jT3_P12ihipStream_tbPNSt15iterator_traitsISE_E10value_typeEPNSK_ISF_E10value_typeEPSG_NS1_7vsmem_tEENKUlT_SE_SF_SG_E_clIS8_S8_S9_S9_EESD_ST_SE_SF_SG_EUlST_E1_NS1_11comp_targetILNS1_3genE0ELNS1_11target_archE4294967295ELNS1_3gpuE0ELNS1_3repE0EEENS1_36merge_oddeven_config_static_selectorELNS0_4arch9wavefront6targetE1EEEvSF_
	.globl	_ZN7rocprim17ROCPRIM_400000_NS6detail17trampoline_kernelINS0_14default_configENS1_38merge_sort_block_merge_config_selectorIlNS0_10empty_typeEEEZZNS1_27merge_sort_block_merge_implIS3_PlPS5_jNS1_19radix_merge_compareILb1ELb1ElNS0_19identity_decomposerEEEEE10hipError_tT0_T1_T2_jT3_P12ihipStream_tbPNSt15iterator_traitsISE_E10value_typeEPNSK_ISF_E10value_typeEPSG_NS1_7vsmem_tEENKUlT_SE_SF_SG_E_clIS8_S8_S9_S9_EESD_ST_SE_SF_SG_EUlST_E1_NS1_11comp_targetILNS1_3genE0ELNS1_11target_archE4294967295ELNS1_3gpuE0ELNS1_3repE0EEENS1_36merge_oddeven_config_static_selectorELNS0_4arch9wavefront6targetE1EEEvSF_
	.p2align	8
	.type	_ZN7rocprim17ROCPRIM_400000_NS6detail17trampoline_kernelINS0_14default_configENS1_38merge_sort_block_merge_config_selectorIlNS0_10empty_typeEEEZZNS1_27merge_sort_block_merge_implIS3_PlPS5_jNS1_19radix_merge_compareILb1ELb1ElNS0_19identity_decomposerEEEEE10hipError_tT0_T1_T2_jT3_P12ihipStream_tbPNSt15iterator_traitsISE_E10value_typeEPNSK_ISF_E10value_typeEPSG_NS1_7vsmem_tEENKUlT_SE_SF_SG_E_clIS8_S8_S9_S9_EESD_ST_SE_SF_SG_EUlST_E1_NS1_11comp_targetILNS1_3genE0ELNS1_11target_archE4294967295ELNS1_3gpuE0ELNS1_3repE0EEENS1_36merge_oddeven_config_static_selectorELNS0_4arch9wavefront6targetE1EEEvSF_,@function
_ZN7rocprim17ROCPRIM_400000_NS6detail17trampoline_kernelINS0_14default_configENS1_38merge_sort_block_merge_config_selectorIlNS0_10empty_typeEEEZZNS1_27merge_sort_block_merge_implIS3_PlPS5_jNS1_19radix_merge_compareILb1ELb1ElNS0_19identity_decomposerEEEEE10hipError_tT0_T1_T2_jT3_P12ihipStream_tbPNSt15iterator_traitsISE_E10value_typeEPNSK_ISF_E10value_typeEPSG_NS1_7vsmem_tEENKUlT_SE_SF_SG_E_clIS8_S8_S9_S9_EESD_ST_SE_SF_SG_EUlST_E1_NS1_11comp_targetILNS1_3genE0ELNS1_11target_archE4294967295ELNS1_3gpuE0ELNS1_3repE0EEENS1_36merge_oddeven_config_static_selectorELNS0_4arch9wavefront6targetE1EEEvSF_: ; @_ZN7rocprim17ROCPRIM_400000_NS6detail17trampoline_kernelINS0_14default_configENS1_38merge_sort_block_merge_config_selectorIlNS0_10empty_typeEEEZZNS1_27merge_sort_block_merge_implIS3_PlPS5_jNS1_19radix_merge_compareILb1ELb1ElNS0_19identity_decomposerEEEEE10hipError_tT0_T1_T2_jT3_P12ihipStream_tbPNSt15iterator_traitsISE_E10value_typeEPNSK_ISF_E10value_typeEPSG_NS1_7vsmem_tEENKUlT_SE_SF_SG_E_clIS8_S8_S9_S9_EESD_ST_SE_SF_SG_EUlST_E1_NS1_11comp_targetILNS1_3genE0ELNS1_11target_archE4294967295ELNS1_3gpuE0ELNS1_3repE0EEENS1_36merge_oddeven_config_static_selectorELNS0_4arch9wavefront6targetE1EEEvSF_
; %bb.0:
	.section	.rodata,"a",@progbits
	.p2align	6, 0x0
	.amdhsa_kernel _ZN7rocprim17ROCPRIM_400000_NS6detail17trampoline_kernelINS0_14default_configENS1_38merge_sort_block_merge_config_selectorIlNS0_10empty_typeEEEZZNS1_27merge_sort_block_merge_implIS3_PlPS5_jNS1_19radix_merge_compareILb1ELb1ElNS0_19identity_decomposerEEEEE10hipError_tT0_T1_T2_jT3_P12ihipStream_tbPNSt15iterator_traitsISE_E10value_typeEPNSK_ISF_E10value_typeEPSG_NS1_7vsmem_tEENKUlT_SE_SF_SG_E_clIS8_S8_S9_S9_EESD_ST_SE_SF_SG_EUlST_E1_NS1_11comp_targetILNS1_3genE0ELNS1_11target_archE4294967295ELNS1_3gpuE0ELNS1_3repE0EEENS1_36merge_oddeven_config_static_selectorELNS0_4arch9wavefront6targetE1EEEvSF_
		.amdhsa_group_segment_fixed_size 0
		.amdhsa_private_segment_fixed_size 0
		.amdhsa_kernarg_size 48
		.amdhsa_user_sgpr_count 6
		.amdhsa_user_sgpr_private_segment_buffer 1
		.amdhsa_user_sgpr_dispatch_ptr 0
		.amdhsa_user_sgpr_queue_ptr 0
		.amdhsa_user_sgpr_kernarg_segment_ptr 1
		.amdhsa_user_sgpr_dispatch_id 0
		.amdhsa_user_sgpr_flat_scratch_init 0
		.amdhsa_user_sgpr_kernarg_preload_length 0
		.amdhsa_user_sgpr_kernarg_preload_offset 0
		.amdhsa_user_sgpr_private_segment_size 0
		.amdhsa_uses_dynamic_stack 0
		.amdhsa_system_sgpr_private_segment_wavefront_offset 0
		.amdhsa_system_sgpr_workgroup_id_x 1
		.amdhsa_system_sgpr_workgroup_id_y 0
		.amdhsa_system_sgpr_workgroup_id_z 0
		.amdhsa_system_sgpr_workgroup_info 0
		.amdhsa_system_vgpr_workitem_id 0
		.amdhsa_next_free_vgpr 1
		.amdhsa_next_free_sgpr 0
		.amdhsa_accum_offset 4
		.amdhsa_reserve_vcc 0
		.amdhsa_reserve_flat_scratch 0
		.amdhsa_float_round_mode_32 0
		.amdhsa_float_round_mode_16_64 0
		.amdhsa_float_denorm_mode_32 3
		.amdhsa_float_denorm_mode_16_64 3
		.amdhsa_dx10_clamp 1
		.amdhsa_ieee_mode 1
		.amdhsa_fp16_overflow 0
		.amdhsa_tg_split 0
		.amdhsa_exception_fp_ieee_invalid_op 0
		.amdhsa_exception_fp_denorm_src 0
		.amdhsa_exception_fp_ieee_div_zero 0
		.amdhsa_exception_fp_ieee_overflow 0
		.amdhsa_exception_fp_ieee_underflow 0
		.amdhsa_exception_fp_ieee_inexact 0
		.amdhsa_exception_int_div_zero 0
	.end_amdhsa_kernel
	.section	.text._ZN7rocprim17ROCPRIM_400000_NS6detail17trampoline_kernelINS0_14default_configENS1_38merge_sort_block_merge_config_selectorIlNS0_10empty_typeEEEZZNS1_27merge_sort_block_merge_implIS3_PlPS5_jNS1_19radix_merge_compareILb1ELb1ElNS0_19identity_decomposerEEEEE10hipError_tT0_T1_T2_jT3_P12ihipStream_tbPNSt15iterator_traitsISE_E10value_typeEPNSK_ISF_E10value_typeEPSG_NS1_7vsmem_tEENKUlT_SE_SF_SG_E_clIS8_S8_S9_S9_EESD_ST_SE_SF_SG_EUlST_E1_NS1_11comp_targetILNS1_3genE0ELNS1_11target_archE4294967295ELNS1_3gpuE0ELNS1_3repE0EEENS1_36merge_oddeven_config_static_selectorELNS0_4arch9wavefront6targetE1EEEvSF_,"axG",@progbits,_ZN7rocprim17ROCPRIM_400000_NS6detail17trampoline_kernelINS0_14default_configENS1_38merge_sort_block_merge_config_selectorIlNS0_10empty_typeEEEZZNS1_27merge_sort_block_merge_implIS3_PlPS5_jNS1_19radix_merge_compareILb1ELb1ElNS0_19identity_decomposerEEEEE10hipError_tT0_T1_T2_jT3_P12ihipStream_tbPNSt15iterator_traitsISE_E10value_typeEPNSK_ISF_E10value_typeEPSG_NS1_7vsmem_tEENKUlT_SE_SF_SG_E_clIS8_S8_S9_S9_EESD_ST_SE_SF_SG_EUlST_E1_NS1_11comp_targetILNS1_3genE0ELNS1_11target_archE4294967295ELNS1_3gpuE0ELNS1_3repE0EEENS1_36merge_oddeven_config_static_selectorELNS0_4arch9wavefront6targetE1EEEvSF_,comdat
.Lfunc_end2172:
	.size	_ZN7rocprim17ROCPRIM_400000_NS6detail17trampoline_kernelINS0_14default_configENS1_38merge_sort_block_merge_config_selectorIlNS0_10empty_typeEEEZZNS1_27merge_sort_block_merge_implIS3_PlPS5_jNS1_19radix_merge_compareILb1ELb1ElNS0_19identity_decomposerEEEEE10hipError_tT0_T1_T2_jT3_P12ihipStream_tbPNSt15iterator_traitsISE_E10value_typeEPNSK_ISF_E10value_typeEPSG_NS1_7vsmem_tEENKUlT_SE_SF_SG_E_clIS8_S8_S9_S9_EESD_ST_SE_SF_SG_EUlST_E1_NS1_11comp_targetILNS1_3genE0ELNS1_11target_archE4294967295ELNS1_3gpuE0ELNS1_3repE0EEENS1_36merge_oddeven_config_static_selectorELNS0_4arch9wavefront6targetE1EEEvSF_, .Lfunc_end2172-_ZN7rocprim17ROCPRIM_400000_NS6detail17trampoline_kernelINS0_14default_configENS1_38merge_sort_block_merge_config_selectorIlNS0_10empty_typeEEEZZNS1_27merge_sort_block_merge_implIS3_PlPS5_jNS1_19radix_merge_compareILb1ELb1ElNS0_19identity_decomposerEEEEE10hipError_tT0_T1_T2_jT3_P12ihipStream_tbPNSt15iterator_traitsISE_E10value_typeEPNSK_ISF_E10value_typeEPSG_NS1_7vsmem_tEENKUlT_SE_SF_SG_E_clIS8_S8_S9_S9_EESD_ST_SE_SF_SG_EUlST_E1_NS1_11comp_targetILNS1_3genE0ELNS1_11target_archE4294967295ELNS1_3gpuE0ELNS1_3repE0EEENS1_36merge_oddeven_config_static_selectorELNS0_4arch9wavefront6targetE1EEEvSF_
                                        ; -- End function
	.section	.AMDGPU.csdata,"",@progbits
; Kernel info:
; codeLenInByte = 0
; NumSgprs: 4
; NumVgprs: 0
; NumAgprs: 0
; TotalNumVgprs: 0
; ScratchSize: 0
; MemoryBound: 0
; FloatMode: 240
; IeeeMode: 1
; LDSByteSize: 0 bytes/workgroup (compile time only)
; SGPRBlocks: 0
; VGPRBlocks: 0
; NumSGPRsForWavesPerEU: 4
; NumVGPRsForWavesPerEU: 1
; AccumOffset: 4
; Occupancy: 8
; WaveLimiterHint : 0
; COMPUTE_PGM_RSRC2:SCRATCH_EN: 0
; COMPUTE_PGM_RSRC2:USER_SGPR: 6
; COMPUTE_PGM_RSRC2:TRAP_HANDLER: 0
; COMPUTE_PGM_RSRC2:TGID_X_EN: 1
; COMPUTE_PGM_RSRC2:TGID_Y_EN: 0
; COMPUTE_PGM_RSRC2:TGID_Z_EN: 0
; COMPUTE_PGM_RSRC2:TIDIG_COMP_CNT: 0
; COMPUTE_PGM_RSRC3_GFX90A:ACCUM_OFFSET: 0
; COMPUTE_PGM_RSRC3_GFX90A:TG_SPLIT: 0
	.section	.text._ZN7rocprim17ROCPRIM_400000_NS6detail17trampoline_kernelINS0_14default_configENS1_38merge_sort_block_merge_config_selectorIlNS0_10empty_typeEEEZZNS1_27merge_sort_block_merge_implIS3_PlPS5_jNS1_19radix_merge_compareILb1ELb1ElNS0_19identity_decomposerEEEEE10hipError_tT0_T1_T2_jT3_P12ihipStream_tbPNSt15iterator_traitsISE_E10value_typeEPNSK_ISF_E10value_typeEPSG_NS1_7vsmem_tEENKUlT_SE_SF_SG_E_clIS8_S8_S9_S9_EESD_ST_SE_SF_SG_EUlST_E1_NS1_11comp_targetILNS1_3genE10ELNS1_11target_archE1201ELNS1_3gpuE5ELNS1_3repE0EEENS1_36merge_oddeven_config_static_selectorELNS0_4arch9wavefront6targetE1EEEvSF_,"axG",@progbits,_ZN7rocprim17ROCPRIM_400000_NS6detail17trampoline_kernelINS0_14default_configENS1_38merge_sort_block_merge_config_selectorIlNS0_10empty_typeEEEZZNS1_27merge_sort_block_merge_implIS3_PlPS5_jNS1_19radix_merge_compareILb1ELb1ElNS0_19identity_decomposerEEEEE10hipError_tT0_T1_T2_jT3_P12ihipStream_tbPNSt15iterator_traitsISE_E10value_typeEPNSK_ISF_E10value_typeEPSG_NS1_7vsmem_tEENKUlT_SE_SF_SG_E_clIS8_S8_S9_S9_EESD_ST_SE_SF_SG_EUlST_E1_NS1_11comp_targetILNS1_3genE10ELNS1_11target_archE1201ELNS1_3gpuE5ELNS1_3repE0EEENS1_36merge_oddeven_config_static_selectorELNS0_4arch9wavefront6targetE1EEEvSF_,comdat
	.protected	_ZN7rocprim17ROCPRIM_400000_NS6detail17trampoline_kernelINS0_14default_configENS1_38merge_sort_block_merge_config_selectorIlNS0_10empty_typeEEEZZNS1_27merge_sort_block_merge_implIS3_PlPS5_jNS1_19radix_merge_compareILb1ELb1ElNS0_19identity_decomposerEEEEE10hipError_tT0_T1_T2_jT3_P12ihipStream_tbPNSt15iterator_traitsISE_E10value_typeEPNSK_ISF_E10value_typeEPSG_NS1_7vsmem_tEENKUlT_SE_SF_SG_E_clIS8_S8_S9_S9_EESD_ST_SE_SF_SG_EUlST_E1_NS1_11comp_targetILNS1_3genE10ELNS1_11target_archE1201ELNS1_3gpuE5ELNS1_3repE0EEENS1_36merge_oddeven_config_static_selectorELNS0_4arch9wavefront6targetE1EEEvSF_ ; -- Begin function _ZN7rocprim17ROCPRIM_400000_NS6detail17trampoline_kernelINS0_14default_configENS1_38merge_sort_block_merge_config_selectorIlNS0_10empty_typeEEEZZNS1_27merge_sort_block_merge_implIS3_PlPS5_jNS1_19radix_merge_compareILb1ELb1ElNS0_19identity_decomposerEEEEE10hipError_tT0_T1_T2_jT3_P12ihipStream_tbPNSt15iterator_traitsISE_E10value_typeEPNSK_ISF_E10value_typeEPSG_NS1_7vsmem_tEENKUlT_SE_SF_SG_E_clIS8_S8_S9_S9_EESD_ST_SE_SF_SG_EUlST_E1_NS1_11comp_targetILNS1_3genE10ELNS1_11target_archE1201ELNS1_3gpuE5ELNS1_3repE0EEENS1_36merge_oddeven_config_static_selectorELNS0_4arch9wavefront6targetE1EEEvSF_
	.globl	_ZN7rocprim17ROCPRIM_400000_NS6detail17trampoline_kernelINS0_14default_configENS1_38merge_sort_block_merge_config_selectorIlNS0_10empty_typeEEEZZNS1_27merge_sort_block_merge_implIS3_PlPS5_jNS1_19radix_merge_compareILb1ELb1ElNS0_19identity_decomposerEEEEE10hipError_tT0_T1_T2_jT3_P12ihipStream_tbPNSt15iterator_traitsISE_E10value_typeEPNSK_ISF_E10value_typeEPSG_NS1_7vsmem_tEENKUlT_SE_SF_SG_E_clIS8_S8_S9_S9_EESD_ST_SE_SF_SG_EUlST_E1_NS1_11comp_targetILNS1_3genE10ELNS1_11target_archE1201ELNS1_3gpuE5ELNS1_3repE0EEENS1_36merge_oddeven_config_static_selectorELNS0_4arch9wavefront6targetE1EEEvSF_
	.p2align	8
	.type	_ZN7rocprim17ROCPRIM_400000_NS6detail17trampoline_kernelINS0_14default_configENS1_38merge_sort_block_merge_config_selectorIlNS0_10empty_typeEEEZZNS1_27merge_sort_block_merge_implIS3_PlPS5_jNS1_19radix_merge_compareILb1ELb1ElNS0_19identity_decomposerEEEEE10hipError_tT0_T1_T2_jT3_P12ihipStream_tbPNSt15iterator_traitsISE_E10value_typeEPNSK_ISF_E10value_typeEPSG_NS1_7vsmem_tEENKUlT_SE_SF_SG_E_clIS8_S8_S9_S9_EESD_ST_SE_SF_SG_EUlST_E1_NS1_11comp_targetILNS1_3genE10ELNS1_11target_archE1201ELNS1_3gpuE5ELNS1_3repE0EEENS1_36merge_oddeven_config_static_selectorELNS0_4arch9wavefront6targetE1EEEvSF_,@function
_ZN7rocprim17ROCPRIM_400000_NS6detail17trampoline_kernelINS0_14default_configENS1_38merge_sort_block_merge_config_selectorIlNS0_10empty_typeEEEZZNS1_27merge_sort_block_merge_implIS3_PlPS5_jNS1_19radix_merge_compareILb1ELb1ElNS0_19identity_decomposerEEEEE10hipError_tT0_T1_T2_jT3_P12ihipStream_tbPNSt15iterator_traitsISE_E10value_typeEPNSK_ISF_E10value_typeEPSG_NS1_7vsmem_tEENKUlT_SE_SF_SG_E_clIS8_S8_S9_S9_EESD_ST_SE_SF_SG_EUlST_E1_NS1_11comp_targetILNS1_3genE10ELNS1_11target_archE1201ELNS1_3gpuE5ELNS1_3repE0EEENS1_36merge_oddeven_config_static_selectorELNS0_4arch9wavefront6targetE1EEEvSF_: ; @_ZN7rocprim17ROCPRIM_400000_NS6detail17trampoline_kernelINS0_14default_configENS1_38merge_sort_block_merge_config_selectorIlNS0_10empty_typeEEEZZNS1_27merge_sort_block_merge_implIS3_PlPS5_jNS1_19radix_merge_compareILb1ELb1ElNS0_19identity_decomposerEEEEE10hipError_tT0_T1_T2_jT3_P12ihipStream_tbPNSt15iterator_traitsISE_E10value_typeEPNSK_ISF_E10value_typeEPSG_NS1_7vsmem_tEENKUlT_SE_SF_SG_E_clIS8_S8_S9_S9_EESD_ST_SE_SF_SG_EUlST_E1_NS1_11comp_targetILNS1_3genE10ELNS1_11target_archE1201ELNS1_3gpuE5ELNS1_3repE0EEENS1_36merge_oddeven_config_static_selectorELNS0_4arch9wavefront6targetE1EEEvSF_
; %bb.0:
	.section	.rodata,"a",@progbits
	.p2align	6, 0x0
	.amdhsa_kernel _ZN7rocprim17ROCPRIM_400000_NS6detail17trampoline_kernelINS0_14default_configENS1_38merge_sort_block_merge_config_selectorIlNS0_10empty_typeEEEZZNS1_27merge_sort_block_merge_implIS3_PlPS5_jNS1_19radix_merge_compareILb1ELb1ElNS0_19identity_decomposerEEEEE10hipError_tT0_T1_T2_jT3_P12ihipStream_tbPNSt15iterator_traitsISE_E10value_typeEPNSK_ISF_E10value_typeEPSG_NS1_7vsmem_tEENKUlT_SE_SF_SG_E_clIS8_S8_S9_S9_EESD_ST_SE_SF_SG_EUlST_E1_NS1_11comp_targetILNS1_3genE10ELNS1_11target_archE1201ELNS1_3gpuE5ELNS1_3repE0EEENS1_36merge_oddeven_config_static_selectorELNS0_4arch9wavefront6targetE1EEEvSF_
		.amdhsa_group_segment_fixed_size 0
		.amdhsa_private_segment_fixed_size 0
		.amdhsa_kernarg_size 48
		.amdhsa_user_sgpr_count 6
		.amdhsa_user_sgpr_private_segment_buffer 1
		.amdhsa_user_sgpr_dispatch_ptr 0
		.amdhsa_user_sgpr_queue_ptr 0
		.amdhsa_user_sgpr_kernarg_segment_ptr 1
		.amdhsa_user_sgpr_dispatch_id 0
		.amdhsa_user_sgpr_flat_scratch_init 0
		.amdhsa_user_sgpr_kernarg_preload_length 0
		.amdhsa_user_sgpr_kernarg_preload_offset 0
		.amdhsa_user_sgpr_private_segment_size 0
		.amdhsa_uses_dynamic_stack 0
		.amdhsa_system_sgpr_private_segment_wavefront_offset 0
		.amdhsa_system_sgpr_workgroup_id_x 1
		.amdhsa_system_sgpr_workgroup_id_y 0
		.amdhsa_system_sgpr_workgroup_id_z 0
		.amdhsa_system_sgpr_workgroup_info 0
		.amdhsa_system_vgpr_workitem_id 0
		.amdhsa_next_free_vgpr 1
		.amdhsa_next_free_sgpr 0
		.amdhsa_accum_offset 4
		.amdhsa_reserve_vcc 0
		.amdhsa_reserve_flat_scratch 0
		.amdhsa_float_round_mode_32 0
		.amdhsa_float_round_mode_16_64 0
		.amdhsa_float_denorm_mode_32 3
		.amdhsa_float_denorm_mode_16_64 3
		.amdhsa_dx10_clamp 1
		.amdhsa_ieee_mode 1
		.amdhsa_fp16_overflow 0
		.amdhsa_tg_split 0
		.amdhsa_exception_fp_ieee_invalid_op 0
		.amdhsa_exception_fp_denorm_src 0
		.amdhsa_exception_fp_ieee_div_zero 0
		.amdhsa_exception_fp_ieee_overflow 0
		.amdhsa_exception_fp_ieee_underflow 0
		.amdhsa_exception_fp_ieee_inexact 0
		.amdhsa_exception_int_div_zero 0
	.end_amdhsa_kernel
	.section	.text._ZN7rocprim17ROCPRIM_400000_NS6detail17trampoline_kernelINS0_14default_configENS1_38merge_sort_block_merge_config_selectorIlNS0_10empty_typeEEEZZNS1_27merge_sort_block_merge_implIS3_PlPS5_jNS1_19radix_merge_compareILb1ELb1ElNS0_19identity_decomposerEEEEE10hipError_tT0_T1_T2_jT3_P12ihipStream_tbPNSt15iterator_traitsISE_E10value_typeEPNSK_ISF_E10value_typeEPSG_NS1_7vsmem_tEENKUlT_SE_SF_SG_E_clIS8_S8_S9_S9_EESD_ST_SE_SF_SG_EUlST_E1_NS1_11comp_targetILNS1_3genE10ELNS1_11target_archE1201ELNS1_3gpuE5ELNS1_3repE0EEENS1_36merge_oddeven_config_static_selectorELNS0_4arch9wavefront6targetE1EEEvSF_,"axG",@progbits,_ZN7rocprim17ROCPRIM_400000_NS6detail17trampoline_kernelINS0_14default_configENS1_38merge_sort_block_merge_config_selectorIlNS0_10empty_typeEEEZZNS1_27merge_sort_block_merge_implIS3_PlPS5_jNS1_19radix_merge_compareILb1ELb1ElNS0_19identity_decomposerEEEEE10hipError_tT0_T1_T2_jT3_P12ihipStream_tbPNSt15iterator_traitsISE_E10value_typeEPNSK_ISF_E10value_typeEPSG_NS1_7vsmem_tEENKUlT_SE_SF_SG_E_clIS8_S8_S9_S9_EESD_ST_SE_SF_SG_EUlST_E1_NS1_11comp_targetILNS1_3genE10ELNS1_11target_archE1201ELNS1_3gpuE5ELNS1_3repE0EEENS1_36merge_oddeven_config_static_selectorELNS0_4arch9wavefront6targetE1EEEvSF_,comdat
.Lfunc_end2173:
	.size	_ZN7rocprim17ROCPRIM_400000_NS6detail17trampoline_kernelINS0_14default_configENS1_38merge_sort_block_merge_config_selectorIlNS0_10empty_typeEEEZZNS1_27merge_sort_block_merge_implIS3_PlPS5_jNS1_19radix_merge_compareILb1ELb1ElNS0_19identity_decomposerEEEEE10hipError_tT0_T1_T2_jT3_P12ihipStream_tbPNSt15iterator_traitsISE_E10value_typeEPNSK_ISF_E10value_typeEPSG_NS1_7vsmem_tEENKUlT_SE_SF_SG_E_clIS8_S8_S9_S9_EESD_ST_SE_SF_SG_EUlST_E1_NS1_11comp_targetILNS1_3genE10ELNS1_11target_archE1201ELNS1_3gpuE5ELNS1_3repE0EEENS1_36merge_oddeven_config_static_selectorELNS0_4arch9wavefront6targetE1EEEvSF_, .Lfunc_end2173-_ZN7rocprim17ROCPRIM_400000_NS6detail17trampoline_kernelINS0_14default_configENS1_38merge_sort_block_merge_config_selectorIlNS0_10empty_typeEEEZZNS1_27merge_sort_block_merge_implIS3_PlPS5_jNS1_19radix_merge_compareILb1ELb1ElNS0_19identity_decomposerEEEEE10hipError_tT0_T1_T2_jT3_P12ihipStream_tbPNSt15iterator_traitsISE_E10value_typeEPNSK_ISF_E10value_typeEPSG_NS1_7vsmem_tEENKUlT_SE_SF_SG_E_clIS8_S8_S9_S9_EESD_ST_SE_SF_SG_EUlST_E1_NS1_11comp_targetILNS1_3genE10ELNS1_11target_archE1201ELNS1_3gpuE5ELNS1_3repE0EEENS1_36merge_oddeven_config_static_selectorELNS0_4arch9wavefront6targetE1EEEvSF_
                                        ; -- End function
	.section	.AMDGPU.csdata,"",@progbits
; Kernel info:
; codeLenInByte = 0
; NumSgprs: 4
; NumVgprs: 0
; NumAgprs: 0
; TotalNumVgprs: 0
; ScratchSize: 0
; MemoryBound: 0
; FloatMode: 240
; IeeeMode: 1
; LDSByteSize: 0 bytes/workgroup (compile time only)
; SGPRBlocks: 0
; VGPRBlocks: 0
; NumSGPRsForWavesPerEU: 4
; NumVGPRsForWavesPerEU: 1
; AccumOffset: 4
; Occupancy: 8
; WaveLimiterHint : 0
; COMPUTE_PGM_RSRC2:SCRATCH_EN: 0
; COMPUTE_PGM_RSRC2:USER_SGPR: 6
; COMPUTE_PGM_RSRC2:TRAP_HANDLER: 0
; COMPUTE_PGM_RSRC2:TGID_X_EN: 1
; COMPUTE_PGM_RSRC2:TGID_Y_EN: 0
; COMPUTE_PGM_RSRC2:TGID_Z_EN: 0
; COMPUTE_PGM_RSRC2:TIDIG_COMP_CNT: 0
; COMPUTE_PGM_RSRC3_GFX90A:ACCUM_OFFSET: 0
; COMPUTE_PGM_RSRC3_GFX90A:TG_SPLIT: 0
	.section	.text._ZN7rocprim17ROCPRIM_400000_NS6detail17trampoline_kernelINS0_14default_configENS1_38merge_sort_block_merge_config_selectorIlNS0_10empty_typeEEEZZNS1_27merge_sort_block_merge_implIS3_PlPS5_jNS1_19radix_merge_compareILb1ELb1ElNS0_19identity_decomposerEEEEE10hipError_tT0_T1_T2_jT3_P12ihipStream_tbPNSt15iterator_traitsISE_E10value_typeEPNSK_ISF_E10value_typeEPSG_NS1_7vsmem_tEENKUlT_SE_SF_SG_E_clIS8_S8_S9_S9_EESD_ST_SE_SF_SG_EUlST_E1_NS1_11comp_targetILNS1_3genE5ELNS1_11target_archE942ELNS1_3gpuE9ELNS1_3repE0EEENS1_36merge_oddeven_config_static_selectorELNS0_4arch9wavefront6targetE1EEEvSF_,"axG",@progbits,_ZN7rocprim17ROCPRIM_400000_NS6detail17trampoline_kernelINS0_14default_configENS1_38merge_sort_block_merge_config_selectorIlNS0_10empty_typeEEEZZNS1_27merge_sort_block_merge_implIS3_PlPS5_jNS1_19radix_merge_compareILb1ELb1ElNS0_19identity_decomposerEEEEE10hipError_tT0_T1_T2_jT3_P12ihipStream_tbPNSt15iterator_traitsISE_E10value_typeEPNSK_ISF_E10value_typeEPSG_NS1_7vsmem_tEENKUlT_SE_SF_SG_E_clIS8_S8_S9_S9_EESD_ST_SE_SF_SG_EUlST_E1_NS1_11comp_targetILNS1_3genE5ELNS1_11target_archE942ELNS1_3gpuE9ELNS1_3repE0EEENS1_36merge_oddeven_config_static_selectorELNS0_4arch9wavefront6targetE1EEEvSF_,comdat
	.protected	_ZN7rocprim17ROCPRIM_400000_NS6detail17trampoline_kernelINS0_14default_configENS1_38merge_sort_block_merge_config_selectorIlNS0_10empty_typeEEEZZNS1_27merge_sort_block_merge_implIS3_PlPS5_jNS1_19radix_merge_compareILb1ELb1ElNS0_19identity_decomposerEEEEE10hipError_tT0_T1_T2_jT3_P12ihipStream_tbPNSt15iterator_traitsISE_E10value_typeEPNSK_ISF_E10value_typeEPSG_NS1_7vsmem_tEENKUlT_SE_SF_SG_E_clIS8_S8_S9_S9_EESD_ST_SE_SF_SG_EUlST_E1_NS1_11comp_targetILNS1_3genE5ELNS1_11target_archE942ELNS1_3gpuE9ELNS1_3repE0EEENS1_36merge_oddeven_config_static_selectorELNS0_4arch9wavefront6targetE1EEEvSF_ ; -- Begin function _ZN7rocprim17ROCPRIM_400000_NS6detail17trampoline_kernelINS0_14default_configENS1_38merge_sort_block_merge_config_selectorIlNS0_10empty_typeEEEZZNS1_27merge_sort_block_merge_implIS3_PlPS5_jNS1_19radix_merge_compareILb1ELb1ElNS0_19identity_decomposerEEEEE10hipError_tT0_T1_T2_jT3_P12ihipStream_tbPNSt15iterator_traitsISE_E10value_typeEPNSK_ISF_E10value_typeEPSG_NS1_7vsmem_tEENKUlT_SE_SF_SG_E_clIS8_S8_S9_S9_EESD_ST_SE_SF_SG_EUlST_E1_NS1_11comp_targetILNS1_3genE5ELNS1_11target_archE942ELNS1_3gpuE9ELNS1_3repE0EEENS1_36merge_oddeven_config_static_selectorELNS0_4arch9wavefront6targetE1EEEvSF_
	.globl	_ZN7rocprim17ROCPRIM_400000_NS6detail17trampoline_kernelINS0_14default_configENS1_38merge_sort_block_merge_config_selectorIlNS0_10empty_typeEEEZZNS1_27merge_sort_block_merge_implIS3_PlPS5_jNS1_19radix_merge_compareILb1ELb1ElNS0_19identity_decomposerEEEEE10hipError_tT0_T1_T2_jT3_P12ihipStream_tbPNSt15iterator_traitsISE_E10value_typeEPNSK_ISF_E10value_typeEPSG_NS1_7vsmem_tEENKUlT_SE_SF_SG_E_clIS8_S8_S9_S9_EESD_ST_SE_SF_SG_EUlST_E1_NS1_11comp_targetILNS1_3genE5ELNS1_11target_archE942ELNS1_3gpuE9ELNS1_3repE0EEENS1_36merge_oddeven_config_static_selectorELNS0_4arch9wavefront6targetE1EEEvSF_
	.p2align	8
	.type	_ZN7rocprim17ROCPRIM_400000_NS6detail17trampoline_kernelINS0_14default_configENS1_38merge_sort_block_merge_config_selectorIlNS0_10empty_typeEEEZZNS1_27merge_sort_block_merge_implIS3_PlPS5_jNS1_19radix_merge_compareILb1ELb1ElNS0_19identity_decomposerEEEEE10hipError_tT0_T1_T2_jT3_P12ihipStream_tbPNSt15iterator_traitsISE_E10value_typeEPNSK_ISF_E10value_typeEPSG_NS1_7vsmem_tEENKUlT_SE_SF_SG_E_clIS8_S8_S9_S9_EESD_ST_SE_SF_SG_EUlST_E1_NS1_11comp_targetILNS1_3genE5ELNS1_11target_archE942ELNS1_3gpuE9ELNS1_3repE0EEENS1_36merge_oddeven_config_static_selectorELNS0_4arch9wavefront6targetE1EEEvSF_,@function
_ZN7rocprim17ROCPRIM_400000_NS6detail17trampoline_kernelINS0_14default_configENS1_38merge_sort_block_merge_config_selectorIlNS0_10empty_typeEEEZZNS1_27merge_sort_block_merge_implIS3_PlPS5_jNS1_19radix_merge_compareILb1ELb1ElNS0_19identity_decomposerEEEEE10hipError_tT0_T1_T2_jT3_P12ihipStream_tbPNSt15iterator_traitsISE_E10value_typeEPNSK_ISF_E10value_typeEPSG_NS1_7vsmem_tEENKUlT_SE_SF_SG_E_clIS8_S8_S9_S9_EESD_ST_SE_SF_SG_EUlST_E1_NS1_11comp_targetILNS1_3genE5ELNS1_11target_archE942ELNS1_3gpuE9ELNS1_3repE0EEENS1_36merge_oddeven_config_static_selectorELNS0_4arch9wavefront6targetE1EEEvSF_: ; @_ZN7rocprim17ROCPRIM_400000_NS6detail17trampoline_kernelINS0_14default_configENS1_38merge_sort_block_merge_config_selectorIlNS0_10empty_typeEEEZZNS1_27merge_sort_block_merge_implIS3_PlPS5_jNS1_19radix_merge_compareILb1ELb1ElNS0_19identity_decomposerEEEEE10hipError_tT0_T1_T2_jT3_P12ihipStream_tbPNSt15iterator_traitsISE_E10value_typeEPNSK_ISF_E10value_typeEPSG_NS1_7vsmem_tEENKUlT_SE_SF_SG_E_clIS8_S8_S9_S9_EESD_ST_SE_SF_SG_EUlST_E1_NS1_11comp_targetILNS1_3genE5ELNS1_11target_archE942ELNS1_3gpuE9ELNS1_3repE0EEENS1_36merge_oddeven_config_static_selectorELNS0_4arch9wavefront6targetE1EEEvSF_
; %bb.0:
	.section	.rodata,"a",@progbits
	.p2align	6, 0x0
	.amdhsa_kernel _ZN7rocprim17ROCPRIM_400000_NS6detail17trampoline_kernelINS0_14default_configENS1_38merge_sort_block_merge_config_selectorIlNS0_10empty_typeEEEZZNS1_27merge_sort_block_merge_implIS3_PlPS5_jNS1_19radix_merge_compareILb1ELb1ElNS0_19identity_decomposerEEEEE10hipError_tT0_T1_T2_jT3_P12ihipStream_tbPNSt15iterator_traitsISE_E10value_typeEPNSK_ISF_E10value_typeEPSG_NS1_7vsmem_tEENKUlT_SE_SF_SG_E_clIS8_S8_S9_S9_EESD_ST_SE_SF_SG_EUlST_E1_NS1_11comp_targetILNS1_3genE5ELNS1_11target_archE942ELNS1_3gpuE9ELNS1_3repE0EEENS1_36merge_oddeven_config_static_selectorELNS0_4arch9wavefront6targetE1EEEvSF_
		.amdhsa_group_segment_fixed_size 0
		.amdhsa_private_segment_fixed_size 0
		.amdhsa_kernarg_size 48
		.amdhsa_user_sgpr_count 6
		.amdhsa_user_sgpr_private_segment_buffer 1
		.amdhsa_user_sgpr_dispatch_ptr 0
		.amdhsa_user_sgpr_queue_ptr 0
		.amdhsa_user_sgpr_kernarg_segment_ptr 1
		.amdhsa_user_sgpr_dispatch_id 0
		.amdhsa_user_sgpr_flat_scratch_init 0
		.amdhsa_user_sgpr_kernarg_preload_length 0
		.amdhsa_user_sgpr_kernarg_preload_offset 0
		.amdhsa_user_sgpr_private_segment_size 0
		.amdhsa_uses_dynamic_stack 0
		.amdhsa_system_sgpr_private_segment_wavefront_offset 0
		.amdhsa_system_sgpr_workgroup_id_x 1
		.amdhsa_system_sgpr_workgroup_id_y 0
		.amdhsa_system_sgpr_workgroup_id_z 0
		.amdhsa_system_sgpr_workgroup_info 0
		.amdhsa_system_vgpr_workitem_id 0
		.amdhsa_next_free_vgpr 1
		.amdhsa_next_free_sgpr 0
		.amdhsa_accum_offset 4
		.amdhsa_reserve_vcc 0
		.amdhsa_reserve_flat_scratch 0
		.amdhsa_float_round_mode_32 0
		.amdhsa_float_round_mode_16_64 0
		.amdhsa_float_denorm_mode_32 3
		.amdhsa_float_denorm_mode_16_64 3
		.amdhsa_dx10_clamp 1
		.amdhsa_ieee_mode 1
		.amdhsa_fp16_overflow 0
		.amdhsa_tg_split 0
		.amdhsa_exception_fp_ieee_invalid_op 0
		.amdhsa_exception_fp_denorm_src 0
		.amdhsa_exception_fp_ieee_div_zero 0
		.amdhsa_exception_fp_ieee_overflow 0
		.amdhsa_exception_fp_ieee_underflow 0
		.amdhsa_exception_fp_ieee_inexact 0
		.amdhsa_exception_int_div_zero 0
	.end_amdhsa_kernel
	.section	.text._ZN7rocprim17ROCPRIM_400000_NS6detail17trampoline_kernelINS0_14default_configENS1_38merge_sort_block_merge_config_selectorIlNS0_10empty_typeEEEZZNS1_27merge_sort_block_merge_implIS3_PlPS5_jNS1_19radix_merge_compareILb1ELb1ElNS0_19identity_decomposerEEEEE10hipError_tT0_T1_T2_jT3_P12ihipStream_tbPNSt15iterator_traitsISE_E10value_typeEPNSK_ISF_E10value_typeEPSG_NS1_7vsmem_tEENKUlT_SE_SF_SG_E_clIS8_S8_S9_S9_EESD_ST_SE_SF_SG_EUlST_E1_NS1_11comp_targetILNS1_3genE5ELNS1_11target_archE942ELNS1_3gpuE9ELNS1_3repE0EEENS1_36merge_oddeven_config_static_selectorELNS0_4arch9wavefront6targetE1EEEvSF_,"axG",@progbits,_ZN7rocprim17ROCPRIM_400000_NS6detail17trampoline_kernelINS0_14default_configENS1_38merge_sort_block_merge_config_selectorIlNS0_10empty_typeEEEZZNS1_27merge_sort_block_merge_implIS3_PlPS5_jNS1_19radix_merge_compareILb1ELb1ElNS0_19identity_decomposerEEEEE10hipError_tT0_T1_T2_jT3_P12ihipStream_tbPNSt15iterator_traitsISE_E10value_typeEPNSK_ISF_E10value_typeEPSG_NS1_7vsmem_tEENKUlT_SE_SF_SG_E_clIS8_S8_S9_S9_EESD_ST_SE_SF_SG_EUlST_E1_NS1_11comp_targetILNS1_3genE5ELNS1_11target_archE942ELNS1_3gpuE9ELNS1_3repE0EEENS1_36merge_oddeven_config_static_selectorELNS0_4arch9wavefront6targetE1EEEvSF_,comdat
.Lfunc_end2174:
	.size	_ZN7rocprim17ROCPRIM_400000_NS6detail17trampoline_kernelINS0_14default_configENS1_38merge_sort_block_merge_config_selectorIlNS0_10empty_typeEEEZZNS1_27merge_sort_block_merge_implIS3_PlPS5_jNS1_19radix_merge_compareILb1ELb1ElNS0_19identity_decomposerEEEEE10hipError_tT0_T1_T2_jT3_P12ihipStream_tbPNSt15iterator_traitsISE_E10value_typeEPNSK_ISF_E10value_typeEPSG_NS1_7vsmem_tEENKUlT_SE_SF_SG_E_clIS8_S8_S9_S9_EESD_ST_SE_SF_SG_EUlST_E1_NS1_11comp_targetILNS1_3genE5ELNS1_11target_archE942ELNS1_3gpuE9ELNS1_3repE0EEENS1_36merge_oddeven_config_static_selectorELNS0_4arch9wavefront6targetE1EEEvSF_, .Lfunc_end2174-_ZN7rocprim17ROCPRIM_400000_NS6detail17trampoline_kernelINS0_14default_configENS1_38merge_sort_block_merge_config_selectorIlNS0_10empty_typeEEEZZNS1_27merge_sort_block_merge_implIS3_PlPS5_jNS1_19radix_merge_compareILb1ELb1ElNS0_19identity_decomposerEEEEE10hipError_tT0_T1_T2_jT3_P12ihipStream_tbPNSt15iterator_traitsISE_E10value_typeEPNSK_ISF_E10value_typeEPSG_NS1_7vsmem_tEENKUlT_SE_SF_SG_E_clIS8_S8_S9_S9_EESD_ST_SE_SF_SG_EUlST_E1_NS1_11comp_targetILNS1_3genE5ELNS1_11target_archE942ELNS1_3gpuE9ELNS1_3repE0EEENS1_36merge_oddeven_config_static_selectorELNS0_4arch9wavefront6targetE1EEEvSF_
                                        ; -- End function
	.section	.AMDGPU.csdata,"",@progbits
; Kernel info:
; codeLenInByte = 0
; NumSgprs: 4
; NumVgprs: 0
; NumAgprs: 0
; TotalNumVgprs: 0
; ScratchSize: 0
; MemoryBound: 0
; FloatMode: 240
; IeeeMode: 1
; LDSByteSize: 0 bytes/workgroup (compile time only)
; SGPRBlocks: 0
; VGPRBlocks: 0
; NumSGPRsForWavesPerEU: 4
; NumVGPRsForWavesPerEU: 1
; AccumOffset: 4
; Occupancy: 8
; WaveLimiterHint : 0
; COMPUTE_PGM_RSRC2:SCRATCH_EN: 0
; COMPUTE_PGM_RSRC2:USER_SGPR: 6
; COMPUTE_PGM_RSRC2:TRAP_HANDLER: 0
; COMPUTE_PGM_RSRC2:TGID_X_EN: 1
; COMPUTE_PGM_RSRC2:TGID_Y_EN: 0
; COMPUTE_PGM_RSRC2:TGID_Z_EN: 0
; COMPUTE_PGM_RSRC2:TIDIG_COMP_CNT: 0
; COMPUTE_PGM_RSRC3_GFX90A:ACCUM_OFFSET: 0
; COMPUTE_PGM_RSRC3_GFX90A:TG_SPLIT: 0
	.section	.text._ZN7rocprim17ROCPRIM_400000_NS6detail17trampoline_kernelINS0_14default_configENS1_38merge_sort_block_merge_config_selectorIlNS0_10empty_typeEEEZZNS1_27merge_sort_block_merge_implIS3_PlPS5_jNS1_19radix_merge_compareILb1ELb1ElNS0_19identity_decomposerEEEEE10hipError_tT0_T1_T2_jT3_P12ihipStream_tbPNSt15iterator_traitsISE_E10value_typeEPNSK_ISF_E10value_typeEPSG_NS1_7vsmem_tEENKUlT_SE_SF_SG_E_clIS8_S8_S9_S9_EESD_ST_SE_SF_SG_EUlST_E1_NS1_11comp_targetILNS1_3genE4ELNS1_11target_archE910ELNS1_3gpuE8ELNS1_3repE0EEENS1_36merge_oddeven_config_static_selectorELNS0_4arch9wavefront6targetE1EEEvSF_,"axG",@progbits,_ZN7rocprim17ROCPRIM_400000_NS6detail17trampoline_kernelINS0_14default_configENS1_38merge_sort_block_merge_config_selectorIlNS0_10empty_typeEEEZZNS1_27merge_sort_block_merge_implIS3_PlPS5_jNS1_19radix_merge_compareILb1ELb1ElNS0_19identity_decomposerEEEEE10hipError_tT0_T1_T2_jT3_P12ihipStream_tbPNSt15iterator_traitsISE_E10value_typeEPNSK_ISF_E10value_typeEPSG_NS1_7vsmem_tEENKUlT_SE_SF_SG_E_clIS8_S8_S9_S9_EESD_ST_SE_SF_SG_EUlST_E1_NS1_11comp_targetILNS1_3genE4ELNS1_11target_archE910ELNS1_3gpuE8ELNS1_3repE0EEENS1_36merge_oddeven_config_static_selectorELNS0_4arch9wavefront6targetE1EEEvSF_,comdat
	.protected	_ZN7rocprim17ROCPRIM_400000_NS6detail17trampoline_kernelINS0_14default_configENS1_38merge_sort_block_merge_config_selectorIlNS0_10empty_typeEEEZZNS1_27merge_sort_block_merge_implIS3_PlPS5_jNS1_19radix_merge_compareILb1ELb1ElNS0_19identity_decomposerEEEEE10hipError_tT0_T1_T2_jT3_P12ihipStream_tbPNSt15iterator_traitsISE_E10value_typeEPNSK_ISF_E10value_typeEPSG_NS1_7vsmem_tEENKUlT_SE_SF_SG_E_clIS8_S8_S9_S9_EESD_ST_SE_SF_SG_EUlST_E1_NS1_11comp_targetILNS1_3genE4ELNS1_11target_archE910ELNS1_3gpuE8ELNS1_3repE0EEENS1_36merge_oddeven_config_static_selectorELNS0_4arch9wavefront6targetE1EEEvSF_ ; -- Begin function _ZN7rocprim17ROCPRIM_400000_NS6detail17trampoline_kernelINS0_14default_configENS1_38merge_sort_block_merge_config_selectorIlNS0_10empty_typeEEEZZNS1_27merge_sort_block_merge_implIS3_PlPS5_jNS1_19radix_merge_compareILb1ELb1ElNS0_19identity_decomposerEEEEE10hipError_tT0_T1_T2_jT3_P12ihipStream_tbPNSt15iterator_traitsISE_E10value_typeEPNSK_ISF_E10value_typeEPSG_NS1_7vsmem_tEENKUlT_SE_SF_SG_E_clIS8_S8_S9_S9_EESD_ST_SE_SF_SG_EUlST_E1_NS1_11comp_targetILNS1_3genE4ELNS1_11target_archE910ELNS1_3gpuE8ELNS1_3repE0EEENS1_36merge_oddeven_config_static_selectorELNS0_4arch9wavefront6targetE1EEEvSF_
	.globl	_ZN7rocprim17ROCPRIM_400000_NS6detail17trampoline_kernelINS0_14default_configENS1_38merge_sort_block_merge_config_selectorIlNS0_10empty_typeEEEZZNS1_27merge_sort_block_merge_implIS3_PlPS5_jNS1_19radix_merge_compareILb1ELb1ElNS0_19identity_decomposerEEEEE10hipError_tT0_T1_T2_jT3_P12ihipStream_tbPNSt15iterator_traitsISE_E10value_typeEPNSK_ISF_E10value_typeEPSG_NS1_7vsmem_tEENKUlT_SE_SF_SG_E_clIS8_S8_S9_S9_EESD_ST_SE_SF_SG_EUlST_E1_NS1_11comp_targetILNS1_3genE4ELNS1_11target_archE910ELNS1_3gpuE8ELNS1_3repE0EEENS1_36merge_oddeven_config_static_selectorELNS0_4arch9wavefront6targetE1EEEvSF_
	.p2align	8
	.type	_ZN7rocprim17ROCPRIM_400000_NS6detail17trampoline_kernelINS0_14default_configENS1_38merge_sort_block_merge_config_selectorIlNS0_10empty_typeEEEZZNS1_27merge_sort_block_merge_implIS3_PlPS5_jNS1_19radix_merge_compareILb1ELb1ElNS0_19identity_decomposerEEEEE10hipError_tT0_T1_T2_jT3_P12ihipStream_tbPNSt15iterator_traitsISE_E10value_typeEPNSK_ISF_E10value_typeEPSG_NS1_7vsmem_tEENKUlT_SE_SF_SG_E_clIS8_S8_S9_S9_EESD_ST_SE_SF_SG_EUlST_E1_NS1_11comp_targetILNS1_3genE4ELNS1_11target_archE910ELNS1_3gpuE8ELNS1_3repE0EEENS1_36merge_oddeven_config_static_selectorELNS0_4arch9wavefront6targetE1EEEvSF_,@function
_ZN7rocprim17ROCPRIM_400000_NS6detail17trampoline_kernelINS0_14default_configENS1_38merge_sort_block_merge_config_selectorIlNS0_10empty_typeEEEZZNS1_27merge_sort_block_merge_implIS3_PlPS5_jNS1_19radix_merge_compareILb1ELb1ElNS0_19identity_decomposerEEEEE10hipError_tT0_T1_T2_jT3_P12ihipStream_tbPNSt15iterator_traitsISE_E10value_typeEPNSK_ISF_E10value_typeEPSG_NS1_7vsmem_tEENKUlT_SE_SF_SG_E_clIS8_S8_S9_S9_EESD_ST_SE_SF_SG_EUlST_E1_NS1_11comp_targetILNS1_3genE4ELNS1_11target_archE910ELNS1_3gpuE8ELNS1_3repE0EEENS1_36merge_oddeven_config_static_selectorELNS0_4arch9wavefront6targetE1EEEvSF_: ; @_ZN7rocprim17ROCPRIM_400000_NS6detail17trampoline_kernelINS0_14default_configENS1_38merge_sort_block_merge_config_selectorIlNS0_10empty_typeEEEZZNS1_27merge_sort_block_merge_implIS3_PlPS5_jNS1_19radix_merge_compareILb1ELb1ElNS0_19identity_decomposerEEEEE10hipError_tT0_T1_T2_jT3_P12ihipStream_tbPNSt15iterator_traitsISE_E10value_typeEPNSK_ISF_E10value_typeEPSG_NS1_7vsmem_tEENKUlT_SE_SF_SG_E_clIS8_S8_S9_S9_EESD_ST_SE_SF_SG_EUlST_E1_NS1_11comp_targetILNS1_3genE4ELNS1_11target_archE910ELNS1_3gpuE8ELNS1_3repE0EEENS1_36merge_oddeven_config_static_selectorELNS0_4arch9wavefront6targetE1EEEvSF_
; %bb.0:
	s_load_dword s18, s[4:5], 0x20
	s_waitcnt lgkmcnt(0)
	s_lshr_b32 s0, s18, 8
	s_cmp_lg_u32 s6, s0
	s_cselect_b64 s[14:15], -1, 0
	s_cmp_eq_u32 s6, s0
	s_cselect_b64 s[12:13], -1, 0
	s_lshl_b32 s16, s6, 8
	s_sub_i32 s0, s18, s16
	v_cmp_gt_u32_e64 s[2:3], s0, v0
	s_or_b64 s[0:1], s[14:15], s[2:3]
	s_and_saveexec_b64 s[8:9], s[0:1]
	s_cbranch_execz .LBB2175_20
; %bb.1:
	s_load_dwordx4 s[8:11], s[4:5], 0x0
	s_load_dword s19, s[4:5], 0x24
	s_mov_b32 s17, 0
	s_lshl_b64 s[0:1], s[16:17], 3
	v_lshlrev_b32_e32 v1, 3, v0
	s_waitcnt lgkmcnt(0)
	s_add_u32 s0, s8, s0
	s_addc_u32 s1, s9, s1
	global_load_dwordx2 v[2:3], v1, s[0:1]
	s_lshr_b32 s0, s19, 8
	s_sub_i32 s1, 0, s0
	s_and_b32 s1, s6, s1
	s_and_b32 s0, s1, s0
	s_lshl_b32 s20, s1, 8
	s_sub_i32 s17, 0, s19
	s_cmp_eq_u32 s0, 0
	s_cselect_b64 s[0:1], -1, 0
	s_and_b64 s[6:7], s[0:1], exec
	s_cselect_b32 s17, s19, s17
	s_add_i32 s17, s17, s20
	s_cmp_lt_u32 s17, s18
	v_add_u32_e32 v0, s16, v0
	s_cbranch_scc1 .LBB2175_3
; %bb.2:
	v_cmp_gt_u32_e32 vcc, s18, v0
	s_or_b64 s[6:7], vcc, s[14:15]
	s_and_b64 s[6:7], s[6:7], exec
	s_cbranch_execz .LBB2175_4
	s_branch .LBB2175_18
.LBB2175_3:
	s_mov_b64 s[6:7], 0
.LBB2175_4:
	s_load_dwordx2 s[4:5], s[4:5], 0x28
	s_min_u32 s14, s17, s18
	s_min_u32 s16, s20, s14
	s_add_i32 s20, s20, s14
	s_add_i32 s15, s14, s19
	v_subrev_u32_e32 v0, s20, v0
	s_min_u32 s15, s15, s18
	v_add_u32_e32 v6, s16, v0
	s_and_b64 vcc, exec, s[12:13]
	s_cbranch_vccz .LBB2175_12
; %bb.5:
                                        ; implicit-def: $vgpr0
	s_and_saveexec_b64 s[12:13], s[2:3]
	s_cbranch_execz .LBB2175_11
; %bb.6:
	s_cmp_ge_u32 s17, s15
	v_mov_b32_e32 v7, s14
	s_cbranch_scc1 .LBB2175_10
; %bb.7:
	s_waitcnt vmcnt(0) lgkmcnt(0)
	v_and_b32_e32 v1, s5, v3
	v_and_b32_e32 v0, s4, v2
	s_mov_b64 s[2:3], 0
	v_mov_b32_e32 v8, s15
	v_mov_b32_e32 v7, s14
	;; [unrolled: 1-line block ×4, first 2 shown]
.LBB2175_8:                             ; =>This Inner Loop Header: Depth=1
	v_add_u32_e32 v4, v7, v8
	v_lshrrev_b32_e32 v4, 1, v4
	v_lshlrev_b64 v[10:11], 3, v[4:5]
	v_add_co_u32_e32 v10, vcc, s8, v10
	v_addc_co_u32_e32 v11, vcc, v9, v11, vcc
	global_load_dwordx2 v[10:11], v[10:11], off
	v_add_u32_e32 v12, 1, v4
	s_waitcnt vmcnt(0)
	v_and_b32_e32 v11, s5, v11
	v_and_b32_e32 v10, s4, v10
	v_cmp_gt_i64_e32 vcc, v[10:11], v[0:1]
	v_cndmask_b32_e64 v13, 0, 1, vcc
	v_cmp_le_i64_e32 vcc, v[0:1], v[10:11]
	v_cndmask_b32_e64 v10, 0, 1, vcc
	v_cndmask_b32_e64 v10, v10, v13, s[0:1]
	v_and_b32_e32 v10, 1, v10
	v_cmp_eq_u32_e32 vcc, 1, v10
	v_cndmask_b32_e32 v8, v4, v8, vcc
	v_cndmask_b32_e32 v7, v7, v12, vcc
	v_cmp_ge_u32_e32 vcc, v7, v8
	s_or_b64 s[2:3], vcc, s[2:3]
	s_andn2_b64 exec, exec, s[2:3]
	s_cbranch_execnz .LBB2175_8
; %bb.9:
	s_or_b64 exec, exec, s[2:3]
.LBB2175_10:
	v_add_u32_e32 v0, v7, v6
	s_or_b64 s[6:7], s[6:7], exec
.LBB2175_11:
	s_or_b64 exec, exec, s[12:13]
	s_branch .LBB2175_18
.LBB2175_12:
                                        ; implicit-def: $vgpr0
	s_cbranch_execz .LBB2175_18
; %bb.13:
	s_cmp_ge_u32 s17, s15
	v_mov_b32_e32 v7, s14
	s_cbranch_scc1 .LBB2175_17
; %bb.14:
	s_waitcnt vmcnt(0) lgkmcnt(0)
	v_and_b32_e32 v1, s5, v3
	v_and_b32_e32 v0, s4, v2
	s_mov_b64 s[2:3], 0
	v_mov_b32_e32 v8, s15
	v_mov_b32_e32 v7, s14
	;; [unrolled: 1-line block ×4, first 2 shown]
.LBB2175_15:                            ; =>This Inner Loop Header: Depth=1
	v_add_u32_e32 v4, v7, v8
	v_lshrrev_b32_e32 v4, 1, v4
	v_lshlrev_b64 v[10:11], 3, v[4:5]
	v_add_co_u32_e32 v10, vcc, s8, v10
	v_addc_co_u32_e32 v11, vcc, v9, v11, vcc
	global_load_dwordx2 v[10:11], v[10:11], off
	v_add_u32_e32 v12, 1, v4
	s_waitcnt vmcnt(0)
	v_and_b32_e32 v11, s5, v11
	v_and_b32_e32 v10, s4, v10
	v_cmp_gt_i64_e32 vcc, v[10:11], v[0:1]
	v_cndmask_b32_e64 v13, 0, 1, vcc
	v_cmp_le_i64_e32 vcc, v[0:1], v[10:11]
	v_cndmask_b32_e64 v10, 0, 1, vcc
	v_cndmask_b32_e64 v10, v10, v13, s[0:1]
	v_and_b32_e32 v10, 1, v10
	v_cmp_eq_u32_e32 vcc, 1, v10
	v_cndmask_b32_e32 v8, v4, v8, vcc
	v_cndmask_b32_e32 v7, v7, v12, vcc
	v_cmp_ge_u32_e32 vcc, v7, v8
	s_or_b64 s[2:3], vcc, s[2:3]
	s_andn2_b64 exec, exec, s[2:3]
	s_cbranch_execnz .LBB2175_15
; %bb.16:
	s_or_b64 exec, exec, s[2:3]
.LBB2175_17:
	v_add_u32_e32 v0, v7, v6
	s_mov_b64 s[6:7], -1
.LBB2175_18:
	s_and_b64 exec, exec, s[6:7]
	s_cbranch_execz .LBB2175_20
; %bb.19:
	v_mov_b32_e32 v1, 0
	v_lshlrev_b64 v[0:1], 3, v[0:1]
	v_mov_b32_e32 v4, s11
	v_add_co_u32_e32 v0, vcc, s10, v0
	v_addc_co_u32_e32 v1, vcc, v4, v1, vcc
	s_waitcnt vmcnt(0)
	global_store_dwordx2 v[0:1], v[2:3], off
.LBB2175_20:
	s_endpgm
	.section	.rodata,"a",@progbits
	.p2align	6, 0x0
	.amdhsa_kernel _ZN7rocprim17ROCPRIM_400000_NS6detail17trampoline_kernelINS0_14default_configENS1_38merge_sort_block_merge_config_selectorIlNS0_10empty_typeEEEZZNS1_27merge_sort_block_merge_implIS3_PlPS5_jNS1_19radix_merge_compareILb1ELb1ElNS0_19identity_decomposerEEEEE10hipError_tT0_T1_T2_jT3_P12ihipStream_tbPNSt15iterator_traitsISE_E10value_typeEPNSK_ISF_E10value_typeEPSG_NS1_7vsmem_tEENKUlT_SE_SF_SG_E_clIS8_S8_S9_S9_EESD_ST_SE_SF_SG_EUlST_E1_NS1_11comp_targetILNS1_3genE4ELNS1_11target_archE910ELNS1_3gpuE8ELNS1_3repE0EEENS1_36merge_oddeven_config_static_selectorELNS0_4arch9wavefront6targetE1EEEvSF_
		.amdhsa_group_segment_fixed_size 0
		.amdhsa_private_segment_fixed_size 0
		.amdhsa_kernarg_size 48
		.amdhsa_user_sgpr_count 6
		.amdhsa_user_sgpr_private_segment_buffer 1
		.amdhsa_user_sgpr_dispatch_ptr 0
		.amdhsa_user_sgpr_queue_ptr 0
		.amdhsa_user_sgpr_kernarg_segment_ptr 1
		.amdhsa_user_sgpr_dispatch_id 0
		.amdhsa_user_sgpr_flat_scratch_init 0
		.amdhsa_user_sgpr_kernarg_preload_length 0
		.amdhsa_user_sgpr_kernarg_preload_offset 0
		.amdhsa_user_sgpr_private_segment_size 0
		.amdhsa_uses_dynamic_stack 0
		.amdhsa_system_sgpr_private_segment_wavefront_offset 0
		.amdhsa_system_sgpr_workgroup_id_x 1
		.amdhsa_system_sgpr_workgroup_id_y 0
		.amdhsa_system_sgpr_workgroup_id_z 0
		.amdhsa_system_sgpr_workgroup_info 0
		.amdhsa_system_vgpr_workitem_id 0
		.amdhsa_next_free_vgpr 14
		.amdhsa_next_free_sgpr 21
		.amdhsa_accum_offset 16
		.amdhsa_reserve_vcc 1
		.amdhsa_reserve_flat_scratch 0
		.amdhsa_float_round_mode_32 0
		.amdhsa_float_round_mode_16_64 0
		.amdhsa_float_denorm_mode_32 3
		.amdhsa_float_denorm_mode_16_64 3
		.amdhsa_dx10_clamp 1
		.amdhsa_ieee_mode 1
		.amdhsa_fp16_overflow 0
		.amdhsa_tg_split 0
		.amdhsa_exception_fp_ieee_invalid_op 0
		.amdhsa_exception_fp_denorm_src 0
		.amdhsa_exception_fp_ieee_div_zero 0
		.amdhsa_exception_fp_ieee_overflow 0
		.amdhsa_exception_fp_ieee_underflow 0
		.amdhsa_exception_fp_ieee_inexact 0
		.amdhsa_exception_int_div_zero 0
	.end_amdhsa_kernel
	.section	.text._ZN7rocprim17ROCPRIM_400000_NS6detail17trampoline_kernelINS0_14default_configENS1_38merge_sort_block_merge_config_selectorIlNS0_10empty_typeEEEZZNS1_27merge_sort_block_merge_implIS3_PlPS5_jNS1_19radix_merge_compareILb1ELb1ElNS0_19identity_decomposerEEEEE10hipError_tT0_T1_T2_jT3_P12ihipStream_tbPNSt15iterator_traitsISE_E10value_typeEPNSK_ISF_E10value_typeEPSG_NS1_7vsmem_tEENKUlT_SE_SF_SG_E_clIS8_S8_S9_S9_EESD_ST_SE_SF_SG_EUlST_E1_NS1_11comp_targetILNS1_3genE4ELNS1_11target_archE910ELNS1_3gpuE8ELNS1_3repE0EEENS1_36merge_oddeven_config_static_selectorELNS0_4arch9wavefront6targetE1EEEvSF_,"axG",@progbits,_ZN7rocprim17ROCPRIM_400000_NS6detail17trampoline_kernelINS0_14default_configENS1_38merge_sort_block_merge_config_selectorIlNS0_10empty_typeEEEZZNS1_27merge_sort_block_merge_implIS3_PlPS5_jNS1_19radix_merge_compareILb1ELb1ElNS0_19identity_decomposerEEEEE10hipError_tT0_T1_T2_jT3_P12ihipStream_tbPNSt15iterator_traitsISE_E10value_typeEPNSK_ISF_E10value_typeEPSG_NS1_7vsmem_tEENKUlT_SE_SF_SG_E_clIS8_S8_S9_S9_EESD_ST_SE_SF_SG_EUlST_E1_NS1_11comp_targetILNS1_3genE4ELNS1_11target_archE910ELNS1_3gpuE8ELNS1_3repE0EEENS1_36merge_oddeven_config_static_selectorELNS0_4arch9wavefront6targetE1EEEvSF_,comdat
.Lfunc_end2175:
	.size	_ZN7rocprim17ROCPRIM_400000_NS6detail17trampoline_kernelINS0_14default_configENS1_38merge_sort_block_merge_config_selectorIlNS0_10empty_typeEEEZZNS1_27merge_sort_block_merge_implIS3_PlPS5_jNS1_19radix_merge_compareILb1ELb1ElNS0_19identity_decomposerEEEEE10hipError_tT0_T1_T2_jT3_P12ihipStream_tbPNSt15iterator_traitsISE_E10value_typeEPNSK_ISF_E10value_typeEPSG_NS1_7vsmem_tEENKUlT_SE_SF_SG_E_clIS8_S8_S9_S9_EESD_ST_SE_SF_SG_EUlST_E1_NS1_11comp_targetILNS1_3genE4ELNS1_11target_archE910ELNS1_3gpuE8ELNS1_3repE0EEENS1_36merge_oddeven_config_static_selectorELNS0_4arch9wavefront6targetE1EEEvSF_, .Lfunc_end2175-_ZN7rocprim17ROCPRIM_400000_NS6detail17trampoline_kernelINS0_14default_configENS1_38merge_sort_block_merge_config_selectorIlNS0_10empty_typeEEEZZNS1_27merge_sort_block_merge_implIS3_PlPS5_jNS1_19radix_merge_compareILb1ELb1ElNS0_19identity_decomposerEEEEE10hipError_tT0_T1_T2_jT3_P12ihipStream_tbPNSt15iterator_traitsISE_E10value_typeEPNSK_ISF_E10value_typeEPSG_NS1_7vsmem_tEENKUlT_SE_SF_SG_E_clIS8_S8_S9_S9_EESD_ST_SE_SF_SG_EUlST_E1_NS1_11comp_targetILNS1_3genE4ELNS1_11target_archE910ELNS1_3gpuE8ELNS1_3repE0EEENS1_36merge_oddeven_config_static_selectorELNS0_4arch9wavefront6targetE1EEEvSF_
                                        ; -- End function
	.section	.AMDGPU.csdata,"",@progbits
; Kernel info:
; codeLenInByte = 636
; NumSgprs: 25
; NumVgprs: 14
; NumAgprs: 0
; TotalNumVgprs: 14
; ScratchSize: 0
; MemoryBound: 0
; FloatMode: 240
; IeeeMode: 1
; LDSByteSize: 0 bytes/workgroup (compile time only)
; SGPRBlocks: 3
; VGPRBlocks: 1
; NumSGPRsForWavesPerEU: 25
; NumVGPRsForWavesPerEU: 14
; AccumOffset: 16
; Occupancy: 8
; WaveLimiterHint : 0
; COMPUTE_PGM_RSRC2:SCRATCH_EN: 0
; COMPUTE_PGM_RSRC2:USER_SGPR: 6
; COMPUTE_PGM_RSRC2:TRAP_HANDLER: 0
; COMPUTE_PGM_RSRC2:TGID_X_EN: 1
; COMPUTE_PGM_RSRC2:TGID_Y_EN: 0
; COMPUTE_PGM_RSRC2:TGID_Z_EN: 0
; COMPUTE_PGM_RSRC2:TIDIG_COMP_CNT: 0
; COMPUTE_PGM_RSRC3_GFX90A:ACCUM_OFFSET: 3
; COMPUTE_PGM_RSRC3_GFX90A:TG_SPLIT: 0
	.section	.text._ZN7rocprim17ROCPRIM_400000_NS6detail17trampoline_kernelINS0_14default_configENS1_38merge_sort_block_merge_config_selectorIlNS0_10empty_typeEEEZZNS1_27merge_sort_block_merge_implIS3_PlPS5_jNS1_19radix_merge_compareILb1ELb1ElNS0_19identity_decomposerEEEEE10hipError_tT0_T1_T2_jT3_P12ihipStream_tbPNSt15iterator_traitsISE_E10value_typeEPNSK_ISF_E10value_typeEPSG_NS1_7vsmem_tEENKUlT_SE_SF_SG_E_clIS8_S8_S9_S9_EESD_ST_SE_SF_SG_EUlST_E1_NS1_11comp_targetILNS1_3genE3ELNS1_11target_archE908ELNS1_3gpuE7ELNS1_3repE0EEENS1_36merge_oddeven_config_static_selectorELNS0_4arch9wavefront6targetE1EEEvSF_,"axG",@progbits,_ZN7rocprim17ROCPRIM_400000_NS6detail17trampoline_kernelINS0_14default_configENS1_38merge_sort_block_merge_config_selectorIlNS0_10empty_typeEEEZZNS1_27merge_sort_block_merge_implIS3_PlPS5_jNS1_19radix_merge_compareILb1ELb1ElNS0_19identity_decomposerEEEEE10hipError_tT0_T1_T2_jT3_P12ihipStream_tbPNSt15iterator_traitsISE_E10value_typeEPNSK_ISF_E10value_typeEPSG_NS1_7vsmem_tEENKUlT_SE_SF_SG_E_clIS8_S8_S9_S9_EESD_ST_SE_SF_SG_EUlST_E1_NS1_11comp_targetILNS1_3genE3ELNS1_11target_archE908ELNS1_3gpuE7ELNS1_3repE0EEENS1_36merge_oddeven_config_static_selectorELNS0_4arch9wavefront6targetE1EEEvSF_,comdat
	.protected	_ZN7rocprim17ROCPRIM_400000_NS6detail17trampoline_kernelINS0_14default_configENS1_38merge_sort_block_merge_config_selectorIlNS0_10empty_typeEEEZZNS1_27merge_sort_block_merge_implIS3_PlPS5_jNS1_19radix_merge_compareILb1ELb1ElNS0_19identity_decomposerEEEEE10hipError_tT0_T1_T2_jT3_P12ihipStream_tbPNSt15iterator_traitsISE_E10value_typeEPNSK_ISF_E10value_typeEPSG_NS1_7vsmem_tEENKUlT_SE_SF_SG_E_clIS8_S8_S9_S9_EESD_ST_SE_SF_SG_EUlST_E1_NS1_11comp_targetILNS1_3genE3ELNS1_11target_archE908ELNS1_3gpuE7ELNS1_3repE0EEENS1_36merge_oddeven_config_static_selectorELNS0_4arch9wavefront6targetE1EEEvSF_ ; -- Begin function _ZN7rocprim17ROCPRIM_400000_NS6detail17trampoline_kernelINS0_14default_configENS1_38merge_sort_block_merge_config_selectorIlNS0_10empty_typeEEEZZNS1_27merge_sort_block_merge_implIS3_PlPS5_jNS1_19radix_merge_compareILb1ELb1ElNS0_19identity_decomposerEEEEE10hipError_tT0_T1_T2_jT3_P12ihipStream_tbPNSt15iterator_traitsISE_E10value_typeEPNSK_ISF_E10value_typeEPSG_NS1_7vsmem_tEENKUlT_SE_SF_SG_E_clIS8_S8_S9_S9_EESD_ST_SE_SF_SG_EUlST_E1_NS1_11comp_targetILNS1_3genE3ELNS1_11target_archE908ELNS1_3gpuE7ELNS1_3repE0EEENS1_36merge_oddeven_config_static_selectorELNS0_4arch9wavefront6targetE1EEEvSF_
	.globl	_ZN7rocprim17ROCPRIM_400000_NS6detail17trampoline_kernelINS0_14default_configENS1_38merge_sort_block_merge_config_selectorIlNS0_10empty_typeEEEZZNS1_27merge_sort_block_merge_implIS3_PlPS5_jNS1_19radix_merge_compareILb1ELb1ElNS0_19identity_decomposerEEEEE10hipError_tT0_T1_T2_jT3_P12ihipStream_tbPNSt15iterator_traitsISE_E10value_typeEPNSK_ISF_E10value_typeEPSG_NS1_7vsmem_tEENKUlT_SE_SF_SG_E_clIS8_S8_S9_S9_EESD_ST_SE_SF_SG_EUlST_E1_NS1_11comp_targetILNS1_3genE3ELNS1_11target_archE908ELNS1_3gpuE7ELNS1_3repE0EEENS1_36merge_oddeven_config_static_selectorELNS0_4arch9wavefront6targetE1EEEvSF_
	.p2align	8
	.type	_ZN7rocprim17ROCPRIM_400000_NS6detail17trampoline_kernelINS0_14default_configENS1_38merge_sort_block_merge_config_selectorIlNS0_10empty_typeEEEZZNS1_27merge_sort_block_merge_implIS3_PlPS5_jNS1_19radix_merge_compareILb1ELb1ElNS0_19identity_decomposerEEEEE10hipError_tT0_T1_T2_jT3_P12ihipStream_tbPNSt15iterator_traitsISE_E10value_typeEPNSK_ISF_E10value_typeEPSG_NS1_7vsmem_tEENKUlT_SE_SF_SG_E_clIS8_S8_S9_S9_EESD_ST_SE_SF_SG_EUlST_E1_NS1_11comp_targetILNS1_3genE3ELNS1_11target_archE908ELNS1_3gpuE7ELNS1_3repE0EEENS1_36merge_oddeven_config_static_selectorELNS0_4arch9wavefront6targetE1EEEvSF_,@function
_ZN7rocprim17ROCPRIM_400000_NS6detail17trampoline_kernelINS0_14default_configENS1_38merge_sort_block_merge_config_selectorIlNS0_10empty_typeEEEZZNS1_27merge_sort_block_merge_implIS3_PlPS5_jNS1_19radix_merge_compareILb1ELb1ElNS0_19identity_decomposerEEEEE10hipError_tT0_T1_T2_jT3_P12ihipStream_tbPNSt15iterator_traitsISE_E10value_typeEPNSK_ISF_E10value_typeEPSG_NS1_7vsmem_tEENKUlT_SE_SF_SG_E_clIS8_S8_S9_S9_EESD_ST_SE_SF_SG_EUlST_E1_NS1_11comp_targetILNS1_3genE3ELNS1_11target_archE908ELNS1_3gpuE7ELNS1_3repE0EEENS1_36merge_oddeven_config_static_selectorELNS0_4arch9wavefront6targetE1EEEvSF_: ; @_ZN7rocprim17ROCPRIM_400000_NS6detail17trampoline_kernelINS0_14default_configENS1_38merge_sort_block_merge_config_selectorIlNS0_10empty_typeEEEZZNS1_27merge_sort_block_merge_implIS3_PlPS5_jNS1_19radix_merge_compareILb1ELb1ElNS0_19identity_decomposerEEEEE10hipError_tT0_T1_T2_jT3_P12ihipStream_tbPNSt15iterator_traitsISE_E10value_typeEPNSK_ISF_E10value_typeEPSG_NS1_7vsmem_tEENKUlT_SE_SF_SG_E_clIS8_S8_S9_S9_EESD_ST_SE_SF_SG_EUlST_E1_NS1_11comp_targetILNS1_3genE3ELNS1_11target_archE908ELNS1_3gpuE7ELNS1_3repE0EEENS1_36merge_oddeven_config_static_selectorELNS0_4arch9wavefront6targetE1EEEvSF_
; %bb.0:
	.section	.rodata,"a",@progbits
	.p2align	6, 0x0
	.amdhsa_kernel _ZN7rocprim17ROCPRIM_400000_NS6detail17trampoline_kernelINS0_14default_configENS1_38merge_sort_block_merge_config_selectorIlNS0_10empty_typeEEEZZNS1_27merge_sort_block_merge_implIS3_PlPS5_jNS1_19radix_merge_compareILb1ELb1ElNS0_19identity_decomposerEEEEE10hipError_tT0_T1_T2_jT3_P12ihipStream_tbPNSt15iterator_traitsISE_E10value_typeEPNSK_ISF_E10value_typeEPSG_NS1_7vsmem_tEENKUlT_SE_SF_SG_E_clIS8_S8_S9_S9_EESD_ST_SE_SF_SG_EUlST_E1_NS1_11comp_targetILNS1_3genE3ELNS1_11target_archE908ELNS1_3gpuE7ELNS1_3repE0EEENS1_36merge_oddeven_config_static_selectorELNS0_4arch9wavefront6targetE1EEEvSF_
		.amdhsa_group_segment_fixed_size 0
		.amdhsa_private_segment_fixed_size 0
		.amdhsa_kernarg_size 48
		.amdhsa_user_sgpr_count 6
		.amdhsa_user_sgpr_private_segment_buffer 1
		.amdhsa_user_sgpr_dispatch_ptr 0
		.amdhsa_user_sgpr_queue_ptr 0
		.amdhsa_user_sgpr_kernarg_segment_ptr 1
		.amdhsa_user_sgpr_dispatch_id 0
		.amdhsa_user_sgpr_flat_scratch_init 0
		.amdhsa_user_sgpr_kernarg_preload_length 0
		.amdhsa_user_sgpr_kernarg_preload_offset 0
		.amdhsa_user_sgpr_private_segment_size 0
		.amdhsa_uses_dynamic_stack 0
		.amdhsa_system_sgpr_private_segment_wavefront_offset 0
		.amdhsa_system_sgpr_workgroup_id_x 1
		.amdhsa_system_sgpr_workgroup_id_y 0
		.amdhsa_system_sgpr_workgroup_id_z 0
		.amdhsa_system_sgpr_workgroup_info 0
		.amdhsa_system_vgpr_workitem_id 0
		.amdhsa_next_free_vgpr 1
		.amdhsa_next_free_sgpr 0
		.amdhsa_accum_offset 4
		.amdhsa_reserve_vcc 0
		.amdhsa_reserve_flat_scratch 0
		.amdhsa_float_round_mode_32 0
		.amdhsa_float_round_mode_16_64 0
		.amdhsa_float_denorm_mode_32 3
		.amdhsa_float_denorm_mode_16_64 3
		.amdhsa_dx10_clamp 1
		.amdhsa_ieee_mode 1
		.amdhsa_fp16_overflow 0
		.amdhsa_tg_split 0
		.amdhsa_exception_fp_ieee_invalid_op 0
		.amdhsa_exception_fp_denorm_src 0
		.amdhsa_exception_fp_ieee_div_zero 0
		.amdhsa_exception_fp_ieee_overflow 0
		.amdhsa_exception_fp_ieee_underflow 0
		.amdhsa_exception_fp_ieee_inexact 0
		.amdhsa_exception_int_div_zero 0
	.end_amdhsa_kernel
	.section	.text._ZN7rocprim17ROCPRIM_400000_NS6detail17trampoline_kernelINS0_14default_configENS1_38merge_sort_block_merge_config_selectorIlNS0_10empty_typeEEEZZNS1_27merge_sort_block_merge_implIS3_PlPS5_jNS1_19radix_merge_compareILb1ELb1ElNS0_19identity_decomposerEEEEE10hipError_tT0_T1_T2_jT3_P12ihipStream_tbPNSt15iterator_traitsISE_E10value_typeEPNSK_ISF_E10value_typeEPSG_NS1_7vsmem_tEENKUlT_SE_SF_SG_E_clIS8_S8_S9_S9_EESD_ST_SE_SF_SG_EUlST_E1_NS1_11comp_targetILNS1_3genE3ELNS1_11target_archE908ELNS1_3gpuE7ELNS1_3repE0EEENS1_36merge_oddeven_config_static_selectorELNS0_4arch9wavefront6targetE1EEEvSF_,"axG",@progbits,_ZN7rocprim17ROCPRIM_400000_NS6detail17trampoline_kernelINS0_14default_configENS1_38merge_sort_block_merge_config_selectorIlNS0_10empty_typeEEEZZNS1_27merge_sort_block_merge_implIS3_PlPS5_jNS1_19radix_merge_compareILb1ELb1ElNS0_19identity_decomposerEEEEE10hipError_tT0_T1_T2_jT3_P12ihipStream_tbPNSt15iterator_traitsISE_E10value_typeEPNSK_ISF_E10value_typeEPSG_NS1_7vsmem_tEENKUlT_SE_SF_SG_E_clIS8_S8_S9_S9_EESD_ST_SE_SF_SG_EUlST_E1_NS1_11comp_targetILNS1_3genE3ELNS1_11target_archE908ELNS1_3gpuE7ELNS1_3repE0EEENS1_36merge_oddeven_config_static_selectorELNS0_4arch9wavefront6targetE1EEEvSF_,comdat
.Lfunc_end2176:
	.size	_ZN7rocprim17ROCPRIM_400000_NS6detail17trampoline_kernelINS0_14default_configENS1_38merge_sort_block_merge_config_selectorIlNS0_10empty_typeEEEZZNS1_27merge_sort_block_merge_implIS3_PlPS5_jNS1_19radix_merge_compareILb1ELb1ElNS0_19identity_decomposerEEEEE10hipError_tT0_T1_T2_jT3_P12ihipStream_tbPNSt15iterator_traitsISE_E10value_typeEPNSK_ISF_E10value_typeEPSG_NS1_7vsmem_tEENKUlT_SE_SF_SG_E_clIS8_S8_S9_S9_EESD_ST_SE_SF_SG_EUlST_E1_NS1_11comp_targetILNS1_3genE3ELNS1_11target_archE908ELNS1_3gpuE7ELNS1_3repE0EEENS1_36merge_oddeven_config_static_selectorELNS0_4arch9wavefront6targetE1EEEvSF_, .Lfunc_end2176-_ZN7rocprim17ROCPRIM_400000_NS6detail17trampoline_kernelINS0_14default_configENS1_38merge_sort_block_merge_config_selectorIlNS0_10empty_typeEEEZZNS1_27merge_sort_block_merge_implIS3_PlPS5_jNS1_19radix_merge_compareILb1ELb1ElNS0_19identity_decomposerEEEEE10hipError_tT0_T1_T2_jT3_P12ihipStream_tbPNSt15iterator_traitsISE_E10value_typeEPNSK_ISF_E10value_typeEPSG_NS1_7vsmem_tEENKUlT_SE_SF_SG_E_clIS8_S8_S9_S9_EESD_ST_SE_SF_SG_EUlST_E1_NS1_11comp_targetILNS1_3genE3ELNS1_11target_archE908ELNS1_3gpuE7ELNS1_3repE0EEENS1_36merge_oddeven_config_static_selectorELNS0_4arch9wavefront6targetE1EEEvSF_
                                        ; -- End function
	.section	.AMDGPU.csdata,"",@progbits
; Kernel info:
; codeLenInByte = 0
; NumSgprs: 4
; NumVgprs: 0
; NumAgprs: 0
; TotalNumVgprs: 0
; ScratchSize: 0
; MemoryBound: 0
; FloatMode: 240
; IeeeMode: 1
; LDSByteSize: 0 bytes/workgroup (compile time only)
; SGPRBlocks: 0
; VGPRBlocks: 0
; NumSGPRsForWavesPerEU: 4
; NumVGPRsForWavesPerEU: 1
; AccumOffset: 4
; Occupancy: 8
; WaveLimiterHint : 0
; COMPUTE_PGM_RSRC2:SCRATCH_EN: 0
; COMPUTE_PGM_RSRC2:USER_SGPR: 6
; COMPUTE_PGM_RSRC2:TRAP_HANDLER: 0
; COMPUTE_PGM_RSRC2:TGID_X_EN: 1
; COMPUTE_PGM_RSRC2:TGID_Y_EN: 0
; COMPUTE_PGM_RSRC2:TGID_Z_EN: 0
; COMPUTE_PGM_RSRC2:TIDIG_COMP_CNT: 0
; COMPUTE_PGM_RSRC3_GFX90A:ACCUM_OFFSET: 0
; COMPUTE_PGM_RSRC3_GFX90A:TG_SPLIT: 0
	.section	.text._ZN7rocprim17ROCPRIM_400000_NS6detail17trampoline_kernelINS0_14default_configENS1_38merge_sort_block_merge_config_selectorIlNS0_10empty_typeEEEZZNS1_27merge_sort_block_merge_implIS3_PlPS5_jNS1_19radix_merge_compareILb1ELb1ElNS0_19identity_decomposerEEEEE10hipError_tT0_T1_T2_jT3_P12ihipStream_tbPNSt15iterator_traitsISE_E10value_typeEPNSK_ISF_E10value_typeEPSG_NS1_7vsmem_tEENKUlT_SE_SF_SG_E_clIS8_S8_S9_S9_EESD_ST_SE_SF_SG_EUlST_E1_NS1_11comp_targetILNS1_3genE2ELNS1_11target_archE906ELNS1_3gpuE6ELNS1_3repE0EEENS1_36merge_oddeven_config_static_selectorELNS0_4arch9wavefront6targetE1EEEvSF_,"axG",@progbits,_ZN7rocprim17ROCPRIM_400000_NS6detail17trampoline_kernelINS0_14default_configENS1_38merge_sort_block_merge_config_selectorIlNS0_10empty_typeEEEZZNS1_27merge_sort_block_merge_implIS3_PlPS5_jNS1_19radix_merge_compareILb1ELb1ElNS0_19identity_decomposerEEEEE10hipError_tT0_T1_T2_jT3_P12ihipStream_tbPNSt15iterator_traitsISE_E10value_typeEPNSK_ISF_E10value_typeEPSG_NS1_7vsmem_tEENKUlT_SE_SF_SG_E_clIS8_S8_S9_S9_EESD_ST_SE_SF_SG_EUlST_E1_NS1_11comp_targetILNS1_3genE2ELNS1_11target_archE906ELNS1_3gpuE6ELNS1_3repE0EEENS1_36merge_oddeven_config_static_selectorELNS0_4arch9wavefront6targetE1EEEvSF_,comdat
	.protected	_ZN7rocprim17ROCPRIM_400000_NS6detail17trampoline_kernelINS0_14default_configENS1_38merge_sort_block_merge_config_selectorIlNS0_10empty_typeEEEZZNS1_27merge_sort_block_merge_implIS3_PlPS5_jNS1_19radix_merge_compareILb1ELb1ElNS0_19identity_decomposerEEEEE10hipError_tT0_T1_T2_jT3_P12ihipStream_tbPNSt15iterator_traitsISE_E10value_typeEPNSK_ISF_E10value_typeEPSG_NS1_7vsmem_tEENKUlT_SE_SF_SG_E_clIS8_S8_S9_S9_EESD_ST_SE_SF_SG_EUlST_E1_NS1_11comp_targetILNS1_3genE2ELNS1_11target_archE906ELNS1_3gpuE6ELNS1_3repE0EEENS1_36merge_oddeven_config_static_selectorELNS0_4arch9wavefront6targetE1EEEvSF_ ; -- Begin function _ZN7rocprim17ROCPRIM_400000_NS6detail17trampoline_kernelINS0_14default_configENS1_38merge_sort_block_merge_config_selectorIlNS0_10empty_typeEEEZZNS1_27merge_sort_block_merge_implIS3_PlPS5_jNS1_19radix_merge_compareILb1ELb1ElNS0_19identity_decomposerEEEEE10hipError_tT0_T1_T2_jT3_P12ihipStream_tbPNSt15iterator_traitsISE_E10value_typeEPNSK_ISF_E10value_typeEPSG_NS1_7vsmem_tEENKUlT_SE_SF_SG_E_clIS8_S8_S9_S9_EESD_ST_SE_SF_SG_EUlST_E1_NS1_11comp_targetILNS1_3genE2ELNS1_11target_archE906ELNS1_3gpuE6ELNS1_3repE0EEENS1_36merge_oddeven_config_static_selectorELNS0_4arch9wavefront6targetE1EEEvSF_
	.globl	_ZN7rocprim17ROCPRIM_400000_NS6detail17trampoline_kernelINS0_14default_configENS1_38merge_sort_block_merge_config_selectorIlNS0_10empty_typeEEEZZNS1_27merge_sort_block_merge_implIS3_PlPS5_jNS1_19radix_merge_compareILb1ELb1ElNS0_19identity_decomposerEEEEE10hipError_tT0_T1_T2_jT3_P12ihipStream_tbPNSt15iterator_traitsISE_E10value_typeEPNSK_ISF_E10value_typeEPSG_NS1_7vsmem_tEENKUlT_SE_SF_SG_E_clIS8_S8_S9_S9_EESD_ST_SE_SF_SG_EUlST_E1_NS1_11comp_targetILNS1_3genE2ELNS1_11target_archE906ELNS1_3gpuE6ELNS1_3repE0EEENS1_36merge_oddeven_config_static_selectorELNS0_4arch9wavefront6targetE1EEEvSF_
	.p2align	8
	.type	_ZN7rocprim17ROCPRIM_400000_NS6detail17trampoline_kernelINS0_14default_configENS1_38merge_sort_block_merge_config_selectorIlNS0_10empty_typeEEEZZNS1_27merge_sort_block_merge_implIS3_PlPS5_jNS1_19radix_merge_compareILb1ELb1ElNS0_19identity_decomposerEEEEE10hipError_tT0_T1_T2_jT3_P12ihipStream_tbPNSt15iterator_traitsISE_E10value_typeEPNSK_ISF_E10value_typeEPSG_NS1_7vsmem_tEENKUlT_SE_SF_SG_E_clIS8_S8_S9_S9_EESD_ST_SE_SF_SG_EUlST_E1_NS1_11comp_targetILNS1_3genE2ELNS1_11target_archE906ELNS1_3gpuE6ELNS1_3repE0EEENS1_36merge_oddeven_config_static_selectorELNS0_4arch9wavefront6targetE1EEEvSF_,@function
_ZN7rocprim17ROCPRIM_400000_NS6detail17trampoline_kernelINS0_14default_configENS1_38merge_sort_block_merge_config_selectorIlNS0_10empty_typeEEEZZNS1_27merge_sort_block_merge_implIS3_PlPS5_jNS1_19radix_merge_compareILb1ELb1ElNS0_19identity_decomposerEEEEE10hipError_tT0_T1_T2_jT3_P12ihipStream_tbPNSt15iterator_traitsISE_E10value_typeEPNSK_ISF_E10value_typeEPSG_NS1_7vsmem_tEENKUlT_SE_SF_SG_E_clIS8_S8_S9_S9_EESD_ST_SE_SF_SG_EUlST_E1_NS1_11comp_targetILNS1_3genE2ELNS1_11target_archE906ELNS1_3gpuE6ELNS1_3repE0EEENS1_36merge_oddeven_config_static_selectorELNS0_4arch9wavefront6targetE1EEEvSF_: ; @_ZN7rocprim17ROCPRIM_400000_NS6detail17trampoline_kernelINS0_14default_configENS1_38merge_sort_block_merge_config_selectorIlNS0_10empty_typeEEEZZNS1_27merge_sort_block_merge_implIS3_PlPS5_jNS1_19radix_merge_compareILb1ELb1ElNS0_19identity_decomposerEEEEE10hipError_tT0_T1_T2_jT3_P12ihipStream_tbPNSt15iterator_traitsISE_E10value_typeEPNSK_ISF_E10value_typeEPSG_NS1_7vsmem_tEENKUlT_SE_SF_SG_E_clIS8_S8_S9_S9_EESD_ST_SE_SF_SG_EUlST_E1_NS1_11comp_targetILNS1_3genE2ELNS1_11target_archE906ELNS1_3gpuE6ELNS1_3repE0EEENS1_36merge_oddeven_config_static_selectorELNS0_4arch9wavefront6targetE1EEEvSF_
; %bb.0:
	.section	.rodata,"a",@progbits
	.p2align	6, 0x0
	.amdhsa_kernel _ZN7rocprim17ROCPRIM_400000_NS6detail17trampoline_kernelINS0_14default_configENS1_38merge_sort_block_merge_config_selectorIlNS0_10empty_typeEEEZZNS1_27merge_sort_block_merge_implIS3_PlPS5_jNS1_19radix_merge_compareILb1ELb1ElNS0_19identity_decomposerEEEEE10hipError_tT0_T1_T2_jT3_P12ihipStream_tbPNSt15iterator_traitsISE_E10value_typeEPNSK_ISF_E10value_typeEPSG_NS1_7vsmem_tEENKUlT_SE_SF_SG_E_clIS8_S8_S9_S9_EESD_ST_SE_SF_SG_EUlST_E1_NS1_11comp_targetILNS1_3genE2ELNS1_11target_archE906ELNS1_3gpuE6ELNS1_3repE0EEENS1_36merge_oddeven_config_static_selectorELNS0_4arch9wavefront6targetE1EEEvSF_
		.amdhsa_group_segment_fixed_size 0
		.amdhsa_private_segment_fixed_size 0
		.amdhsa_kernarg_size 48
		.amdhsa_user_sgpr_count 6
		.amdhsa_user_sgpr_private_segment_buffer 1
		.amdhsa_user_sgpr_dispatch_ptr 0
		.amdhsa_user_sgpr_queue_ptr 0
		.amdhsa_user_sgpr_kernarg_segment_ptr 1
		.amdhsa_user_sgpr_dispatch_id 0
		.amdhsa_user_sgpr_flat_scratch_init 0
		.amdhsa_user_sgpr_kernarg_preload_length 0
		.amdhsa_user_sgpr_kernarg_preload_offset 0
		.amdhsa_user_sgpr_private_segment_size 0
		.amdhsa_uses_dynamic_stack 0
		.amdhsa_system_sgpr_private_segment_wavefront_offset 0
		.amdhsa_system_sgpr_workgroup_id_x 1
		.amdhsa_system_sgpr_workgroup_id_y 0
		.amdhsa_system_sgpr_workgroup_id_z 0
		.amdhsa_system_sgpr_workgroup_info 0
		.amdhsa_system_vgpr_workitem_id 0
		.amdhsa_next_free_vgpr 1
		.amdhsa_next_free_sgpr 0
		.amdhsa_accum_offset 4
		.amdhsa_reserve_vcc 0
		.amdhsa_reserve_flat_scratch 0
		.amdhsa_float_round_mode_32 0
		.amdhsa_float_round_mode_16_64 0
		.amdhsa_float_denorm_mode_32 3
		.amdhsa_float_denorm_mode_16_64 3
		.amdhsa_dx10_clamp 1
		.amdhsa_ieee_mode 1
		.amdhsa_fp16_overflow 0
		.amdhsa_tg_split 0
		.amdhsa_exception_fp_ieee_invalid_op 0
		.amdhsa_exception_fp_denorm_src 0
		.amdhsa_exception_fp_ieee_div_zero 0
		.amdhsa_exception_fp_ieee_overflow 0
		.amdhsa_exception_fp_ieee_underflow 0
		.amdhsa_exception_fp_ieee_inexact 0
		.amdhsa_exception_int_div_zero 0
	.end_amdhsa_kernel
	.section	.text._ZN7rocprim17ROCPRIM_400000_NS6detail17trampoline_kernelINS0_14default_configENS1_38merge_sort_block_merge_config_selectorIlNS0_10empty_typeEEEZZNS1_27merge_sort_block_merge_implIS3_PlPS5_jNS1_19radix_merge_compareILb1ELb1ElNS0_19identity_decomposerEEEEE10hipError_tT0_T1_T2_jT3_P12ihipStream_tbPNSt15iterator_traitsISE_E10value_typeEPNSK_ISF_E10value_typeEPSG_NS1_7vsmem_tEENKUlT_SE_SF_SG_E_clIS8_S8_S9_S9_EESD_ST_SE_SF_SG_EUlST_E1_NS1_11comp_targetILNS1_3genE2ELNS1_11target_archE906ELNS1_3gpuE6ELNS1_3repE0EEENS1_36merge_oddeven_config_static_selectorELNS0_4arch9wavefront6targetE1EEEvSF_,"axG",@progbits,_ZN7rocprim17ROCPRIM_400000_NS6detail17trampoline_kernelINS0_14default_configENS1_38merge_sort_block_merge_config_selectorIlNS0_10empty_typeEEEZZNS1_27merge_sort_block_merge_implIS3_PlPS5_jNS1_19radix_merge_compareILb1ELb1ElNS0_19identity_decomposerEEEEE10hipError_tT0_T1_T2_jT3_P12ihipStream_tbPNSt15iterator_traitsISE_E10value_typeEPNSK_ISF_E10value_typeEPSG_NS1_7vsmem_tEENKUlT_SE_SF_SG_E_clIS8_S8_S9_S9_EESD_ST_SE_SF_SG_EUlST_E1_NS1_11comp_targetILNS1_3genE2ELNS1_11target_archE906ELNS1_3gpuE6ELNS1_3repE0EEENS1_36merge_oddeven_config_static_selectorELNS0_4arch9wavefront6targetE1EEEvSF_,comdat
.Lfunc_end2177:
	.size	_ZN7rocprim17ROCPRIM_400000_NS6detail17trampoline_kernelINS0_14default_configENS1_38merge_sort_block_merge_config_selectorIlNS0_10empty_typeEEEZZNS1_27merge_sort_block_merge_implIS3_PlPS5_jNS1_19radix_merge_compareILb1ELb1ElNS0_19identity_decomposerEEEEE10hipError_tT0_T1_T2_jT3_P12ihipStream_tbPNSt15iterator_traitsISE_E10value_typeEPNSK_ISF_E10value_typeEPSG_NS1_7vsmem_tEENKUlT_SE_SF_SG_E_clIS8_S8_S9_S9_EESD_ST_SE_SF_SG_EUlST_E1_NS1_11comp_targetILNS1_3genE2ELNS1_11target_archE906ELNS1_3gpuE6ELNS1_3repE0EEENS1_36merge_oddeven_config_static_selectorELNS0_4arch9wavefront6targetE1EEEvSF_, .Lfunc_end2177-_ZN7rocprim17ROCPRIM_400000_NS6detail17trampoline_kernelINS0_14default_configENS1_38merge_sort_block_merge_config_selectorIlNS0_10empty_typeEEEZZNS1_27merge_sort_block_merge_implIS3_PlPS5_jNS1_19radix_merge_compareILb1ELb1ElNS0_19identity_decomposerEEEEE10hipError_tT0_T1_T2_jT3_P12ihipStream_tbPNSt15iterator_traitsISE_E10value_typeEPNSK_ISF_E10value_typeEPSG_NS1_7vsmem_tEENKUlT_SE_SF_SG_E_clIS8_S8_S9_S9_EESD_ST_SE_SF_SG_EUlST_E1_NS1_11comp_targetILNS1_3genE2ELNS1_11target_archE906ELNS1_3gpuE6ELNS1_3repE0EEENS1_36merge_oddeven_config_static_selectorELNS0_4arch9wavefront6targetE1EEEvSF_
                                        ; -- End function
	.section	.AMDGPU.csdata,"",@progbits
; Kernel info:
; codeLenInByte = 0
; NumSgprs: 4
; NumVgprs: 0
; NumAgprs: 0
; TotalNumVgprs: 0
; ScratchSize: 0
; MemoryBound: 0
; FloatMode: 240
; IeeeMode: 1
; LDSByteSize: 0 bytes/workgroup (compile time only)
; SGPRBlocks: 0
; VGPRBlocks: 0
; NumSGPRsForWavesPerEU: 4
; NumVGPRsForWavesPerEU: 1
; AccumOffset: 4
; Occupancy: 8
; WaveLimiterHint : 0
; COMPUTE_PGM_RSRC2:SCRATCH_EN: 0
; COMPUTE_PGM_RSRC2:USER_SGPR: 6
; COMPUTE_PGM_RSRC2:TRAP_HANDLER: 0
; COMPUTE_PGM_RSRC2:TGID_X_EN: 1
; COMPUTE_PGM_RSRC2:TGID_Y_EN: 0
; COMPUTE_PGM_RSRC2:TGID_Z_EN: 0
; COMPUTE_PGM_RSRC2:TIDIG_COMP_CNT: 0
; COMPUTE_PGM_RSRC3_GFX90A:ACCUM_OFFSET: 0
; COMPUTE_PGM_RSRC3_GFX90A:TG_SPLIT: 0
	.section	.text._ZN7rocprim17ROCPRIM_400000_NS6detail17trampoline_kernelINS0_14default_configENS1_38merge_sort_block_merge_config_selectorIlNS0_10empty_typeEEEZZNS1_27merge_sort_block_merge_implIS3_PlPS5_jNS1_19radix_merge_compareILb1ELb1ElNS0_19identity_decomposerEEEEE10hipError_tT0_T1_T2_jT3_P12ihipStream_tbPNSt15iterator_traitsISE_E10value_typeEPNSK_ISF_E10value_typeEPSG_NS1_7vsmem_tEENKUlT_SE_SF_SG_E_clIS8_S8_S9_S9_EESD_ST_SE_SF_SG_EUlST_E1_NS1_11comp_targetILNS1_3genE9ELNS1_11target_archE1100ELNS1_3gpuE3ELNS1_3repE0EEENS1_36merge_oddeven_config_static_selectorELNS0_4arch9wavefront6targetE1EEEvSF_,"axG",@progbits,_ZN7rocprim17ROCPRIM_400000_NS6detail17trampoline_kernelINS0_14default_configENS1_38merge_sort_block_merge_config_selectorIlNS0_10empty_typeEEEZZNS1_27merge_sort_block_merge_implIS3_PlPS5_jNS1_19radix_merge_compareILb1ELb1ElNS0_19identity_decomposerEEEEE10hipError_tT0_T1_T2_jT3_P12ihipStream_tbPNSt15iterator_traitsISE_E10value_typeEPNSK_ISF_E10value_typeEPSG_NS1_7vsmem_tEENKUlT_SE_SF_SG_E_clIS8_S8_S9_S9_EESD_ST_SE_SF_SG_EUlST_E1_NS1_11comp_targetILNS1_3genE9ELNS1_11target_archE1100ELNS1_3gpuE3ELNS1_3repE0EEENS1_36merge_oddeven_config_static_selectorELNS0_4arch9wavefront6targetE1EEEvSF_,comdat
	.protected	_ZN7rocprim17ROCPRIM_400000_NS6detail17trampoline_kernelINS0_14default_configENS1_38merge_sort_block_merge_config_selectorIlNS0_10empty_typeEEEZZNS1_27merge_sort_block_merge_implIS3_PlPS5_jNS1_19radix_merge_compareILb1ELb1ElNS0_19identity_decomposerEEEEE10hipError_tT0_T1_T2_jT3_P12ihipStream_tbPNSt15iterator_traitsISE_E10value_typeEPNSK_ISF_E10value_typeEPSG_NS1_7vsmem_tEENKUlT_SE_SF_SG_E_clIS8_S8_S9_S9_EESD_ST_SE_SF_SG_EUlST_E1_NS1_11comp_targetILNS1_3genE9ELNS1_11target_archE1100ELNS1_3gpuE3ELNS1_3repE0EEENS1_36merge_oddeven_config_static_selectorELNS0_4arch9wavefront6targetE1EEEvSF_ ; -- Begin function _ZN7rocprim17ROCPRIM_400000_NS6detail17trampoline_kernelINS0_14default_configENS1_38merge_sort_block_merge_config_selectorIlNS0_10empty_typeEEEZZNS1_27merge_sort_block_merge_implIS3_PlPS5_jNS1_19radix_merge_compareILb1ELb1ElNS0_19identity_decomposerEEEEE10hipError_tT0_T1_T2_jT3_P12ihipStream_tbPNSt15iterator_traitsISE_E10value_typeEPNSK_ISF_E10value_typeEPSG_NS1_7vsmem_tEENKUlT_SE_SF_SG_E_clIS8_S8_S9_S9_EESD_ST_SE_SF_SG_EUlST_E1_NS1_11comp_targetILNS1_3genE9ELNS1_11target_archE1100ELNS1_3gpuE3ELNS1_3repE0EEENS1_36merge_oddeven_config_static_selectorELNS0_4arch9wavefront6targetE1EEEvSF_
	.globl	_ZN7rocprim17ROCPRIM_400000_NS6detail17trampoline_kernelINS0_14default_configENS1_38merge_sort_block_merge_config_selectorIlNS0_10empty_typeEEEZZNS1_27merge_sort_block_merge_implIS3_PlPS5_jNS1_19radix_merge_compareILb1ELb1ElNS0_19identity_decomposerEEEEE10hipError_tT0_T1_T2_jT3_P12ihipStream_tbPNSt15iterator_traitsISE_E10value_typeEPNSK_ISF_E10value_typeEPSG_NS1_7vsmem_tEENKUlT_SE_SF_SG_E_clIS8_S8_S9_S9_EESD_ST_SE_SF_SG_EUlST_E1_NS1_11comp_targetILNS1_3genE9ELNS1_11target_archE1100ELNS1_3gpuE3ELNS1_3repE0EEENS1_36merge_oddeven_config_static_selectorELNS0_4arch9wavefront6targetE1EEEvSF_
	.p2align	8
	.type	_ZN7rocprim17ROCPRIM_400000_NS6detail17trampoline_kernelINS0_14default_configENS1_38merge_sort_block_merge_config_selectorIlNS0_10empty_typeEEEZZNS1_27merge_sort_block_merge_implIS3_PlPS5_jNS1_19radix_merge_compareILb1ELb1ElNS0_19identity_decomposerEEEEE10hipError_tT0_T1_T2_jT3_P12ihipStream_tbPNSt15iterator_traitsISE_E10value_typeEPNSK_ISF_E10value_typeEPSG_NS1_7vsmem_tEENKUlT_SE_SF_SG_E_clIS8_S8_S9_S9_EESD_ST_SE_SF_SG_EUlST_E1_NS1_11comp_targetILNS1_3genE9ELNS1_11target_archE1100ELNS1_3gpuE3ELNS1_3repE0EEENS1_36merge_oddeven_config_static_selectorELNS0_4arch9wavefront6targetE1EEEvSF_,@function
_ZN7rocprim17ROCPRIM_400000_NS6detail17trampoline_kernelINS0_14default_configENS1_38merge_sort_block_merge_config_selectorIlNS0_10empty_typeEEEZZNS1_27merge_sort_block_merge_implIS3_PlPS5_jNS1_19radix_merge_compareILb1ELb1ElNS0_19identity_decomposerEEEEE10hipError_tT0_T1_T2_jT3_P12ihipStream_tbPNSt15iterator_traitsISE_E10value_typeEPNSK_ISF_E10value_typeEPSG_NS1_7vsmem_tEENKUlT_SE_SF_SG_E_clIS8_S8_S9_S9_EESD_ST_SE_SF_SG_EUlST_E1_NS1_11comp_targetILNS1_3genE9ELNS1_11target_archE1100ELNS1_3gpuE3ELNS1_3repE0EEENS1_36merge_oddeven_config_static_selectorELNS0_4arch9wavefront6targetE1EEEvSF_: ; @_ZN7rocprim17ROCPRIM_400000_NS6detail17trampoline_kernelINS0_14default_configENS1_38merge_sort_block_merge_config_selectorIlNS0_10empty_typeEEEZZNS1_27merge_sort_block_merge_implIS3_PlPS5_jNS1_19radix_merge_compareILb1ELb1ElNS0_19identity_decomposerEEEEE10hipError_tT0_T1_T2_jT3_P12ihipStream_tbPNSt15iterator_traitsISE_E10value_typeEPNSK_ISF_E10value_typeEPSG_NS1_7vsmem_tEENKUlT_SE_SF_SG_E_clIS8_S8_S9_S9_EESD_ST_SE_SF_SG_EUlST_E1_NS1_11comp_targetILNS1_3genE9ELNS1_11target_archE1100ELNS1_3gpuE3ELNS1_3repE0EEENS1_36merge_oddeven_config_static_selectorELNS0_4arch9wavefront6targetE1EEEvSF_
; %bb.0:
	.section	.rodata,"a",@progbits
	.p2align	6, 0x0
	.amdhsa_kernel _ZN7rocprim17ROCPRIM_400000_NS6detail17trampoline_kernelINS0_14default_configENS1_38merge_sort_block_merge_config_selectorIlNS0_10empty_typeEEEZZNS1_27merge_sort_block_merge_implIS3_PlPS5_jNS1_19radix_merge_compareILb1ELb1ElNS0_19identity_decomposerEEEEE10hipError_tT0_T1_T2_jT3_P12ihipStream_tbPNSt15iterator_traitsISE_E10value_typeEPNSK_ISF_E10value_typeEPSG_NS1_7vsmem_tEENKUlT_SE_SF_SG_E_clIS8_S8_S9_S9_EESD_ST_SE_SF_SG_EUlST_E1_NS1_11comp_targetILNS1_3genE9ELNS1_11target_archE1100ELNS1_3gpuE3ELNS1_3repE0EEENS1_36merge_oddeven_config_static_selectorELNS0_4arch9wavefront6targetE1EEEvSF_
		.amdhsa_group_segment_fixed_size 0
		.amdhsa_private_segment_fixed_size 0
		.amdhsa_kernarg_size 48
		.amdhsa_user_sgpr_count 6
		.amdhsa_user_sgpr_private_segment_buffer 1
		.amdhsa_user_sgpr_dispatch_ptr 0
		.amdhsa_user_sgpr_queue_ptr 0
		.amdhsa_user_sgpr_kernarg_segment_ptr 1
		.amdhsa_user_sgpr_dispatch_id 0
		.amdhsa_user_sgpr_flat_scratch_init 0
		.amdhsa_user_sgpr_kernarg_preload_length 0
		.amdhsa_user_sgpr_kernarg_preload_offset 0
		.amdhsa_user_sgpr_private_segment_size 0
		.amdhsa_uses_dynamic_stack 0
		.amdhsa_system_sgpr_private_segment_wavefront_offset 0
		.amdhsa_system_sgpr_workgroup_id_x 1
		.amdhsa_system_sgpr_workgroup_id_y 0
		.amdhsa_system_sgpr_workgroup_id_z 0
		.amdhsa_system_sgpr_workgroup_info 0
		.amdhsa_system_vgpr_workitem_id 0
		.amdhsa_next_free_vgpr 1
		.amdhsa_next_free_sgpr 0
		.amdhsa_accum_offset 4
		.amdhsa_reserve_vcc 0
		.amdhsa_reserve_flat_scratch 0
		.amdhsa_float_round_mode_32 0
		.amdhsa_float_round_mode_16_64 0
		.amdhsa_float_denorm_mode_32 3
		.amdhsa_float_denorm_mode_16_64 3
		.amdhsa_dx10_clamp 1
		.amdhsa_ieee_mode 1
		.amdhsa_fp16_overflow 0
		.amdhsa_tg_split 0
		.amdhsa_exception_fp_ieee_invalid_op 0
		.amdhsa_exception_fp_denorm_src 0
		.amdhsa_exception_fp_ieee_div_zero 0
		.amdhsa_exception_fp_ieee_overflow 0
		.amdhsa_exception_fp_ieee_underflow 0
		.amdhsa_exception_fp_ieee_inexact 0
		.amdhsa_exception_int_div_zero 0
	.end_amdhsa_kernel
	.section	.text._ZN7rocprim17ROCPRIM_400000_NS6detail17trampoline_kernelINS0_14default_configENS1_38merge_sort_block_merge_config_selectorIlNS0_10empty_typeEEEZZNS1_27merge_sort_block_merge_implIS3_PlPS5_jNS1_19radix_merge_compareILb1ELb1ElNS0_19identity_decomposerEEEEE10hipError_tT0_T1_T2_jT3_P12ihipStream_tbPNSt15iterator_traitsISE_E10value_typeEPNSK_ISF_E10value_typeEPSG_NS1_7vsmem_tEENKUlT_SE_SF_SG_E_clIS8_S8_S9_S9_EESD_ST_SE_SF_SG_EUlST_E1_NS1_11comp_targetILNS1_3genE9ELNS1_11target_archE1100ELNS1_3gpuE3ELNS1_3repE0EEENS1_36merge_oddeven_config_static_selectorELNS0_4arch9wavefront6targetE1EEEvSF_,"axG",@progbits,_ZN7rocprim17ROCPRIM_400000_NS6detail17trampoline_kernelINS0_14default_configENS1_38merge_sort_block_merge_config_selectorIlNS0_10empty_typeEEEZZNS1_27merge_sort_block_merge_implIS3_PlPS5_jNS1_19radix_merge_compareILb1ELb1ElNS0_19identity_decomposerEEEEE10hipError_tT0_T1_T2_jT3_P12ihipStream_tbPNSt15iterator_traitsISE_E10value_typeEPNSK_ISF_E10value_typeEPSG_NS1_7vsmem_tEENKUlT_SE_SF_SG_E_clIS8_S8_S9_S9_EESD_ST_SE_SF_SG_EUlST_E1_NS1_11comp_targetILNS1_3genE9ELNS1_11target_archE1100ELNS1_3gpuE3ELNS1_3repE0EEENS1_36merge_oddeven_config_static_selectorELNS0_4arch9wavefront6targetE1EEEvSF_,comdat
.Lfunc_end2178:
	.size	_ZN7rocprim17ROCPRIM_400000_NS6detail17trampoline_kernelINS0_14default_configENS1_38merge_sort_block_merge_config_selectorIlNS0_10empty_typeEEEZZNS1_27merge_sort_block_merge_implIS3_PlPS5_jNS1_19radix_merge_compareILb1ELb1ElNS0_19identity_decomposerEEEEE10hipError_tT0_T1_T2_jT3_P12ihipStream_tbPNSt15iterator_traitsISE_E10value_typeEPNSK_ISF_E10value_typeEPSG_NS1_7vsmem_tEENKUlT_SE_SF_SG_E_clIS8_S8_S9_S9_EESD_ST_SE_SF_SG_EUlST_E1_NS1_11comp_targetILNS1_3genE9ELNS1_11target_archE1100ELNS1_3gpuE3ELNS1_3repE0EEENS1_36merge_oddeven_config_static_selectorELNS0_4arch9wavefront6targetE1EEEvSF_, .Lfunc_end2178-_ZN7rocprim17ROCPRIM_400000_NS6detail17trampoline_kernelINS0_14default_configENS1_38merge_sort_block_merge_config_selectorIlNS0_10empty_typeEEEZZNS1_27merge_sort_block_merge_implIS3_PlPS5_jNS1_19radix_merge_compareILb1ELb1ElNS0_19identity_decomposerEEEEE10hipError_tT0_T1_T2_jT3_P12ihipStream_tbPNSt15iterator_traitsISE_E10value_typeEPNSK_ISF_E10value_typeEPSG_NS1_7vsmem_tEENKUlT_SE_SF_SG_E_clIS8_S8_S9_S9_EESD_ST_SE_SF_SG_EUlST_E1_NS1_11comp_targetILNS1_3genE9ELNS1_11target_archE1100ELNS1_3gpuE3ELNS1_3repE0EEENS1_36merge_oddeven_config_static_selectorELNS0_4arch9wavefront6targetE1EEEvSF_
                                        ; -- End function
	.section	.AMDGPU.csdata,"",@progbits
; Kernel info:
; codeLenInByte = 0
; NumSgprs: 4
; NumVgprs: 0
; NumAgprs: 0
; TotalNumVgprs: 0
; ScratchSize: 0
; MemoryBound: 0
; FloatMode: 240
; IeeeMode: 1
; LDSByteSize: 0 bytes/workgroup (compile time only)
; SGPRBlocks: 0
; VGPRBlocks: 0
; NumSGPRsForWavesPerEU: 4
; NumVGPRsForWavesPerEU: 1
; AccumOffset: 4
; Occupancy: 8
; WaveLimiterHint : 0
; COMPUTE_PGM_RSRC2:SCRATCH_EN: 0
; COMPUTE_PGM_RSRC2:USER_SGPR: 6
; COMPUTE_PGM_RSRC2:TRAP_HANDLER: 0
; COMPUTE_PGM_RSRC2:TGID_X_EN: 1
; COMPUTE_PGM_RSRC2:TGID_Y_EN: 0
; COMPUTE_PGM_RSRC2:TGID_Z_EN: 0
; COMPUTE_PGM_RSRC2:TIDIG_COMP_CNT: 0
; COMPUTE_PGM_RSRC3_GFX90A:ACCUM_OFFSET: 0
; COMPUTE_PGM_RSRC3_GFX90A:TG_SPLIT: 0
	.section	.text._ZN7rocprim17ROCPRIM_400000_NS6detail17trampoline_kernelINS0_14default_configENS1_38merge_sort_block_merge_config_selectorIlNS0_10empty_typeEEEZZNS1_27merge_sort_block_merge_implIS3_PlPS5_jNS1_19radix_merge_compareILb1ELb1ElNS0_19identity_decomposerEEEEE10hipError_tT0_T1_T2_jT3_P12ihipStream_tbPNSt15iterator_traitsISE_E10value_typeEPNSK_ISF_E10value_typeEPSG_NS1_7vsmem_tEENKUlT_SE_SF_SG_E_clIS8_S8_S9_S9_EESD_ST_SE_SF_SG_EUlST_E1_NS1_11comp_targetILNS1_3genE8ELNS1_11target_archE1030ELNS1_3gpuE2ELNS1_3repE0EEENS1_36merge_oddeven_config_static_selectorELNS0_4arch9wavefront6targetE1EEEvSF_,"axG",@progbits,_ZN7rocprim17ROCPRIM_400000_NS6detail17trampoline_kernelINS0_14default_configENS1_38merge_sort_block_merge_config_selectorIlNS0_10empty_typeEEEZZNS1_27merge_sort_block_merge_implIS3_PlPS5_jNS1_19radix_merge_compareILb1ELb1ElNS0_19identity_decomposerEEEEE10hipError_tT0_T1_T2_jT3_P12ihipStream_tbPNSt15iterator_traitsISE_E10value_typeEPNSK_ISF_E10value_typeEPSG_NS1_7vsmem_tEENKUlT_SE_SF_SG_E_clIS8_S8_S9_S9_EESD_ST_SE_SF_SG_EUlST_E1_NS1_11comp_targetILNS1_3genE8ELNS1_11target_archE1030ELNS1_3gpuE2ELNS1_3repE0EEENS1_36merge_oddeven_config_static_selectorELNS0_4arch9wavefront6targetE1EEEvSF_,comdat
	.protected	_ZN7rocprim17ROCPRIM_400000_NS6detail17trampoline_kernelINS0_14default_configENS1_38merge_sort_block_merge_config_selectorIlNS0_10empty_typeEEEZZNS1_27merge_sort_block_merge_implIS3_PlPS5_jNS1_19radix_merge_compareILb1ELb1ElNS0_19identity_decomposerEEEEE10hipError_tT0_T1_T2_jT3_P12ihipStream_tbPNSt15iterator_traitsISE_E10value_typeEPNSK_ISF_E10value_typeEPSG_NS1_7vsmem_tEENKUlT_SE_SF_SG_E_clIS8_S8_S9_S9_EESD_ST_SE_SF_SG_EUlST_E1_NS1_11comp_targetILNS1_3genE8ELNS1_11target_archE1030ELNS1_3gpuE2ELNS1_3repE0EEENS1_36merge_oddeven_config_static_selectorELNS0_4arch9wavefront6targetE1EEEvSF_ ; -- Begin function _ZN7rocprim17ROCPRIM_400000_NS6detail17trampoline_kernelINS0_14default_configENS1_38merge_sort_block_merge_config_selectorIlNS0_10empty_typeEEEZZNS1_27merge_sort_block_merge_implIS3_PlPS5_jNS1_19radix_merge_compareILb1ELb1ElNS0_19identity_decomposerEEEEE10hipError_tT0_T1_T2_jT3_P12ihipStream_tbPNSt15iterator_traitsISE_E10value_typeEPNSK_ISF_E10value_typeEPSG_NS1_7vsmem_tEENKUlT_SE_SF_SG_E_clIS8_S8_S9_S9_EESD_ST_SE_SF_SG_EUlST_E1_NS1_11comp_targetILNS1_3genE8ELNS1_11target_archE1030ELNS1_3gpuE2ELNS1_3repE0EEENS1_36merge_oddeven_config_static_selectorELNS0_4arch9wavefront6targetE1EEEvSF_
	.globl	_ZN7rocprim17ROCPRIM_400000_NS6detail17trampoline_kernelINS0_14default_configENS1_38merge_sort_block_merge_config_selectorIlNS0_10empty_typeEEEZZNS1_27merge_sort_block_merge_implIS3_PlPS5_jNS1_19radix_merge_compareILb1ELb1ElNS0_19identity_decomposerEEEEE10hipError_tT0_T1_T2_jT3_P12ihipStream_tbPNSt15iterator_traitsISE_E10value_typeEPNSK_ISF_E10value_typeEPSG_NS1_7vsmem_tEENKUlT_SE_SF_SG_E_clIS8_S8_S9_S9_EESD_ST_SE_SF_SG_EUlST_E1_NS1_11comp_targetILNS1_3genE8ELNS1_11target_archE1030ELNS1_3gpuE2ELNS1_3repE0EEENS1_36merge_oddeven_config_static_selectorELNS0_4arch9wavefront6targetE1EEEvSF_
	.p2align	8
	.type	_ZN7rocprim17ROCPRIM_400000_NS6detail17trampoline_kernelINS0_14default_configENS1_38merge_sort_block_merge_config_selectorIlNS0_10empty_typeEEEZZNS1_27merge_sort_block_merge_implIS3_PlPS5_jNS1_19radix_merge_compareILb1ELb1ElNS0_19identity_decomposerEEEEE10hipError_tT0_T1_T2_jT3_P12ihipStream_tbPNSt15iterator_traitsISE_E10value_typeEPNSK_ISF_E10value_typeEPSG_NS1_7vsmem_tEENKUlT_SE_SF_SG_E_clIS8_S8_S9_S9_EESD_ST_SE_SF_SG_EUlST_E1_NS1_11comp_targetILNS1_3genE8ELNS1_11target_archE1030ELNS1_3gpuE2ELNS1_3repE0EEENS1_36merge_oddeven_config_static_selectorELNS0_4arch9wavefront6targetE1EEEvSF_,@function
_ZN7rocprim17ROCPRIM_400000_NS6detail17trampoline_kernelINS0_14default_configENS1_38merge_sort_block_merge_config_selectorIlNS0_10empty_typeEEEZZNS1_27merge_sort_block_merge_implIS3_PlPS5_jNS1_19radix_merge_compareILb1ELb1ElNS0_19identity_decomposerEEEEE10hipError_tT0_T1_T2_jT3_P12ihipStream_tbPNSt15iterator_traitsISE_E10value_typeEPNSK_ISF_E10value_typeEPSG_NS1_7vsmem_tEENKUlT_SE_SF_SG_E_clIS8_S8_S9_S9_EESD_ST_SE_SF_SG_EUlST_E1_NS1_11comp_targetILNS1_3genE8ELNS1_11target_archE1030ELNS1_3gpuE2ELNS1_3repE0EEENS1_36merge_oddeven_config_static_selectorELNS0_4arch9wavefront6targetE1EEEvSF_: ; @_ZN7rocprim17ROCPRIM_400000_NS6detail17trampoline_kernelINS0_14default_configENS1_38merge_sort_block_merge_config_selectorIlNS0_10empty_typeEEEZZNS1_27merge_sort_block_merge_implIS3_PlPS5_jNS1_19radix_merge_compareILb1ELb1ElNS0_19identity_decomposerEEEEE10hipError_tT0_T1_T2_jT3_P12ihipStream_tbPNSt15iterator_traitsISE_E10value_typeEPNSK_ISF_E10value_typeEPSG_NS1_7vsmem_tEENKUlT_SE_SF_SG_E_clIS8_S8_S9_S9_EESD_ST_SE_SF_SG_EUlST_E1_NS1_11comp_targetILNS1_3genE8ELNS1_11target_archE1030ELNS1_3gpuE2ELNS1_3repE0EEENS1_36merge_oddeven_config_static_selectorELNS0_4arch9wavefront6targetE1EEEvSF_
; %bb.0:
	.section	.rodata,"a",@progbits
	.p2align	6, 0x0
	.amdhsa_kernel _ZN7rocprim17ROCPRIM_400000_NS6detail17trampoline_kernelINS0_14default_configENS1_38merge_sort_block_merge_config_selectorIlNS0_10empty_typeEEEZZNS1_27merge_sort_block_merge_implIS3_PlPS5_jNS1_19radix_merge_compareILb1ELb1ElNS0_19identity_decomposerEEEEE10hipError_tT0_T1_T2_jT3_P12ihipStream_tbPNSt15iterator_traitsISE_E10value_typeEPNSK_ISF_E10value_typeEPSG_NS1_7vsmem_tEENKUlT_SE_SF_SG_E_clIS8_S8_S9_S9_EESD_ST_SE_SF_SG_EUlST_E1_NS1_11comp_targetILNS1_3genE8ELNS1_11target_archE1030ELNS1_3gpuE2ELNS1_3repE0EEENS1_36merge_oddeven_config_static_selectorELNS0_4arch9wavefront6targetE1EEEvSF_
		.amdhsa_group_segment_fixed_size 0
		.amdhsa_private_segment_fixed_size 0
		.amdhsa_kernarg_size 48
		.amdhsa_user_sgpr_count 6
		.amdhsa_user_sgpr_private_segment_buffer 1
		.amdhsa_user_sgpr_dispatch_ptr 0
		.amdhsa_user_sgpr_queue_ptr 0
		.amdhsa_user_sgpr_kernarg_segment_ptr 1
		.amdhsa_user_sgpr_dispatch_id 0
		.amdhsa_user_sgpr_flat_scratch_init 0
		.amdhsa_user_sgpr_kernarg_preload_length 0
		.amdhsa_user_sgpr_kernarg_preload_offset 0
		.amdhsa_user_sgpr_private_segment_size 0
		.amdhsa_uses_dynamic_stack 0
		.amdhsa_system_sgpr_private_segment_wavefront_offset 0
		.amdhsa_system_sgpr_workgroup_id_x 1
		.amdhsa_system_sgpr_workgroup_id_y 0
		.amdhsa_system_sgpr_workgroup_id_z 0
		.amdhsa_system_sgpr_workgroup_info 0
		.amdhsa_system_vgpr_workitem_id 0
		.amdhsa_next_free_vgpr 1
		.amdhsa_next_free_sgpr 0
		.amdhsa_accum_offset 4
		.amdhsa_reserve_vcc 0
		.amdhsa_reserve_flat_scratch 0
		.amdhsa_float_round_mode_32 0
		.amdhsa_float_round_mode_16_64 0
		.amdhsa_float_denorm_mode_32 3
		.amdhsa_float_denorm_mode_16_64 3
		.amdhsa_dx10_clamp 1
		.amdhsa_ieee_mode 1
		.amdhsa_fp16_overflow 0
		.amdhsa_tg_split 0
		.amdhsa_exception_fp_ieee_invalid_op 0
		.amdhsa_exception_fp_denorm_src 0
		.amdhsa_exception_fp_ieee_div_zero 0
		.amdhsa_exception_fp_ieee_overflow 0
		.amdhsa_exception_fp_ieee_underflow 0
		.amdhsa_exception_fp_ieee_inexact 0
		.amdhsa_exception_int_div_zero 0
	.end_amdhsa_kernel
	.section	.text._ZN7rocprim17ROCPRIM_400000_NS6detail17trampoline_kernelINS0_14default_configENS1_38merge_sort_block_merge_config_selectorIlNS0_10empty_typeEEEZZNS1_27merge_sort_block_merge_implIS3_PlPS5_jNS1_19radix_merge_compareILb1ELb1ElNS0_19identity_decomposerEEEEE10hipError_tT0_T1_T2_jT3_P12ihipStream_tbPNSt15iterator_traitsISE_E10value_typeEPNSK_ISF_E10value_typeEPSG_NS1_7vsmem_tEENKUlT_SE_SF_SG_E_clIS8_S8_S9_S9_EESD_ST_SE_SF_SG_EUlST_E1_NS1_11comp_targetILNS1_3genE8ELNS1_11target_archE1030ELNS1_3gpuE2ELNS1_3repE0EEENS1_36merge_oddeven_config_static_selectorELNS0_4arch9wavefront6targetE1EEEvSF_,"axG",@progbits,_ZN7rocprim17ROCPRIM_400000_NS6detail17trampoline_kernelINS0_14default_configENS1_38merge_sort_block_merge_config_selectorIlNS0_10empty_typeEEEZZNS1_27merge_sort_block_merge_implIS3_PlPS5_jNS1_19radix_merge_compareILb1ELb1ElNS0_19identity_decomposerEEEEE10hipError_tT0_T1_T2_jT3_P12ihipStream_tbPNSt15iterator_traitsISE_E10value_typeEPNSK_ISF_E10value_typeEPSG_NS1_7vsmem_tEENKUlT_SE_SF_SG_E_clIS8_S8_S9_S9_EESD_ST_SE_SF_SG_EUlST_E1_NS1_11comp_targetILNS1_3genE8ELNS1_11target_archE1030ELNS1_3gpuE2ELNS1_3repE0EEENS1_36merge_oddeven_config_static_selectorELNS0_4arch9wavefront6targetE1EEEvSF_,comdat
.Lfunc_end2179:
	.size	_ZN7rocprim17ROCPRIM_400000_NS6detail17trampoline_kernelINS0_14default_configENS1_38merge_sort_block_merge_config_selectorIlNS0_10empty_typeEEEZZNS1_27merge_sort_block_merge_implIS3_PlPS5_jNS1_19radix_merge_compareILb1ELb1ElNS0_19identity_decomposerEEEEE10hipError_tT0_T1_T2_jT3_P12ihipStream_tbPNSt15iterator_traitsISE_E10value_typeEPNSK_ISF_E10value_typeEPSG_NS1_7vsmem_tEENKUlT_SE_SF_SG_E_clIS8_S8_S9_S9_EESD_ST_SE_SF_SG_EUlST_E1_NS1_11comp_targetILNS1_3genE8ELNS1_11target_archE1030ELNS1_3gpuE2ELNS1_3repE0EEENS1_36merge_oddeven_config_static_selectorELNS0_4arch9wavefront6targetE1EEEvSF_, .Lfunc_end2179-_ZN7rocprim17ROCPRIM_400000_NS6detail17trampoline_kernelINS0_14default_configENS1_38merge_sort_block_merge_config_selectorIlNS0_10empty_typeEEEZZNS1_27merge_sort_block_merge_implIS3_PlPS5_jNS1_19radix_merge_compareILb1ELb1ElNS0_19identity_decomposerEEEEE10hipError_tT0_T1_T2_jT3_P12ihipStream_tbPNSt15iterator_traitsISE_E10value_typeEPNSK_ISF_E10value_typeEPSG_NS1_7vsmem_tEENKUlT_SE_SF_SG_E_clIS8_S8_S9_S9_EESD_ST_SE_SF_SG_EUlST_E1_NS1_11comp_targetILNS1_3genE8ELNS1_11target_archE1030ELNS1_3gpuE2ELNS1_3repE0EEENS1_36merge_oddeven_config_static_selectorELNS0_4arch9wavefront6targetE1EEEvSF_
                                        ; -- End function
	.section	.AMDGPU.csdata,"",@progbits
; Kernel info:
; codeLenInByte = 0
; NumSgprs: 4
; NumVgprs: 0
; NumAgprs: 0
; TotalNumVgprs: 0
; ScratchSize: 0
; MemoryBound: 0
; FloatMode: 240
; IeeeMode: 1
; LDSByteSize: 0 bytes/workgroup (compile time only)
; SGPRBlocks: 0
; VGPRBlocks: 0
; NumSGPRsForWavesPerEU: 4
; NumVGPRsForWavesPerEU: 1
; AccumOffset: 4
; Occupancy: 8
; WaveLimiterHint : 0
; COMPUTE_PGM_RSRC2:SCRATCH_EN: 0
; COMPUTE_PGM_RSRC2:USER_SGPR: 6
; COMPUTE_PGM_RSRC2:TRAP_HANDLER: 0
; COMPUTE_PGM_RSRC2:TGID_X_EN: 1
; COMPUTE_PGM_RSRC2:TGID_Y_EN: 0
; COMPUTE_PGM_RSRC2:TGID_Z_EN: 0
; COMPUTE_PGM_RSRC2:TIDIG_COMP_CNT: 0
; COMPUTE_PGM_RSRC3_GFX90A:ACCUM_OFFSET: 0
; COMPUTE_PGM_RSRC3_GFX90A:TG_SPLIT: 0
	.section	.text._ZN7rocprim17ROCPRIM_400000_NS6detail17trampoline_kernelINS0_14default_configENS1_35radix_sort_onesweep_config_selectorIlNS0_10empty_typeEEEZNS1_34radix_sort_onesweep_global_offsetsIS3_Lb1EPlPS5_mNS0_19identity_decomposerEEE10hipError_tT1_T2_PT3_SE_jT4_jjP12ihipStream_tbEUlT_E_NS1_11comp_targetILNS1_3genE0ELNS1_11target_archE4294967295ELNS1_3gpuE0ELNS1_3repE0EEENS1_52radix_sort_onesweep_histogram_config_static_selectorELNS0_4arch9wavefront6targetE1EEEvSC_,"axG",@progbits,_ZN7rocprim17ROCPRIM_400000_NS6detail17trampoline_kernelINS0_14default_configENS1_35radix_sort_onesweep_config_selectorIlNS0_10empty_typeEEEZNS1_34radix_sort_onesweep_global_offsetsIS3_Lb1EPlPS5_mNS0_19identity_decomposerEEE10hipError_tT1_T2_PT3_SE_jT4_jjP12ihipStream_tbEUlT_E_NS1_11comp_targetILNS1_3genE0ELNS1_11target_archE4294967295ELNS1_3gpuE0ELNS1_3repE0EEENS1_52radix_sort_onesweep_histogram_config_static_selectorELNS0_4arch9wavefront6targetE1EEEvSC_,comdat
	.protected	_ZN7rocprim17ROCPRIM_400000_NS6detail17trampoline_kernelINS0_14default_configENS1_35radix_sort_onesweep_config_selectorIlNS0_10empty_typeEEEZNS1_34radix_sort_onesweep_global_offsetsIS3_Lb1EPlPS5_mNS0_19identity_decomposerEEE10hipError_tT1_T2_PT3_SE_jT4_jjP12ihipStream_tbEUlT_E_NS1_11comp_targetILNS1_3genE0ELNS1_11target_archE4294967295ELNS1_3gpuE0ELNS1_3repE0EEENS1_52radix_sort_onesweep_histogram_config_static_selectorELNS0_4arch9wavefront6targetE1EEEvSC_ ; -- Begin function _ZN7rocprim17ROCPRIM_400000_NS6detail17trampoline_kernelINS0_14default_configENS1_35radix_sort_onesweep_config_selectorIlNS0_10empty_typeEEEZNS1_34radix_sort_onesweep_global_offsetsIS3_Lb1EPlPS5_mNS0_19identity_decomposerEEE10hipError_tT1_T2_PT3_SE_jT4_jjP12ihipStream_tbEUlT_E_NS1_11comp_targetILNS1_3genE0ELNS1_11target_archE4294967295ELNS1_3gpuE0ELNS1_3repE0EEENS1_52radix_sort_onesweep_histogram_config_static_selectorELNS0_4arch9wavefront6targetE1EEEvSC_
	.globl	_ZN7rocprim17ROCPRIM_400000_NS6detail17trampoline_kernelINS0_14default_configENS1_35radix_sort_onesweep_config_selectorIlNS0_10empty_typeEEEZNS1_34radix_sort_onesweep_global_offsetsIS3_Lb1EPlPS5_mNS0_19identity_decomposerEEE10hipError_tT1_T2_PT3_SE_jT4_jjP12ihipStream_tbEUlT_E_NS1_11comp_targetILNS1_3genE0ELNS1_11target_archE4294967295ELNS1_3gpuE0ELNS1_3repE0EEENS1_52radix_sort_onesweep_histogram_config_static_selectorELNS0_4arch9wavefront6targetE1EEEvSC_
	.p2align	8
	.type	_ZN7rocprim17ROCPRIM_400000_NS6detail17trampoline_kernelINS0_14default_configENS1_35radix_sort_onesweep_config_selectorIlNS0_10empty_typeEEEZNS1_34radix_sort_onesweep_global_offsetsIS3_Lb1EPlPS5_mNS0_19identity_decomposerEEE10hipError_tT1_T2_PT3_SE_jT4_jjP12ihipStream_tbEUlT_E_NS1_11comp_targetILNS1_3genE0ELNS1_11target_archE4294967295ELNS1_3gpuE0ELNS1_3repE0EEENS1_52radix_sort_onesweep_histogram_config_static_selectorELNS0_4arch9wavefront6targetE1EEEvSC_,@function
_ZN7rocprim17ROCPRIM_400000_NS6detail17trampoline_kernelINS0_14default_configENS1_35radix_sort_onesweep_config_selectorIlNS0_10empty_typeEEEZNS1_34radix_sort_onesweep_global_offsetsIS3_Lb1EPlPS5_mNS0_19identity_decomposerEEE10hipError_tT1_T2_PT3_SE_jT4_jjP12ihipStream_tbEUlT_E_NS1_11comp_targetILNS1_3genE0ELNS1_11target_archE4294967295ELNS1_3gpuE0ELNS1_3repE0EEENS1_52radix_sort_onesweep_histogram_config_static_selectorELNS0_4arch9wavefront6targetE1EEEvSC_: ; @_ZN7rocprim17ROCPRIM_400000_NS6detail17trampoline_kernelINS0_14default_configENS1_35radix_sort_onesweep_config_selectorIlNS0_10empty_typeEEEZNS1_34radix_sort_onesweep_global_offsetsIS3_Lb1EPlPS5_mNS0_19identity_decomposerEEE10hipError_tT1_T2_PT3_SE_jT4_jjP12ihipStream_tbEUlT_E_NS1_11comp_targetILNS1_3genE0ELNS1_11target_archE4294967295ELNS1_3gpuE0ELNS1_3repE0EEENS1_52radix_sort_onesweep_histogram_config_static_selectorELNS0_4arch9wavefront6targetE1EEEvSC_
; %bb.0:
	.section	.rodata,"a",@progbits
	.p2align	6, 0x0
	.amdhsa_kernel _ZN7rocprim17ROCPRIM_400000_NS6detail17trampoline_kernelINS0_14default_configENS1_35radix_sort_onesweep_config_selectorIlNS0_10empty_typeEEEZNS1_34radix_sort_onesweep_global_offsetsIS3_Lb1EPlPS5_mNS0_19identity_decomposerEEE10hipError_tT1_T2_PT3_SE_jT4_jjP12ihipStream_tbEUlT_E_NS1_11comp_targetILNS1_3genE0ELNS1_11target_archE4294967295ELNS1_3gpuE0ELNS1_3repE0EEENS1_52radix_sort_onesweep_histogram_config_static_selectorELNS0_4arch9wavefront6targetE1EEEvSC_
		.amdhsa_group_segment_fixed_size 0
		.amdhsa_private_segment_fixed_size 0
		.amdhsa_kernarg_size 48
		.amdhsa_user_sgpr_count 6
		.amdhsa_user_sgpr_private_segment_buffer 1
		.amdhsa_user_sgpr_dispatch_ptr 0
		.amdhsa_user_sgpr_queue_ptr 0
		.amdhsa_user_sgpr_kernarg_segment_ptr 1
		.amdhsa_user_sgpr_dispatch_id 0
		.amdhsa_user_sgpr_flat_scratch_init 0
		.amdhsa_user_sgpr_kernarg_preload_length 0
		.amdhsa_user_sgpr_kernarg_preload_offset 0
		.amdhsa_user_sgpr_private_segment_size 0
		.amdhsa_uses_dynamic_stack 0
		.amdhsa_system_sgpr_private_segment_wavefront_offset 0
		.amdhsa_system_sgpr_workgroup_id_x 1
		.amdhsa_system_sgpr_workgroup_id_y 0
		.amdhsa_system_sgpr_workgroup_id_z 0
		.amdhsa_system_sgpr_workgroup_info 0
		.amdhsa_system_vgpr_workitem_id 0
		.amdhsa_next_free_vgpr 1
		.amdhsa_next_free_sgpr 0
		.amdhsa_accum_offset 4
		.amdhsa_reserve_vcc 0
		.amdhsa_reserve_flat_scratch 0
		.amdhsa_float_round_mode_32 0
		.amdhsa_float_round_mode_16_64 0
		.amdhsa_float_denorm_mode_32 3
		.amdhsa_float_denorm_mode_16_64 3
		.amdhsa_dx10_clamp 1
		.amdhsa_ieee_mode 1
		.amdhsa_fp16_overflow 0
		.amdhsa_tg_split 0
		.amdhsa_exception_fp_ieee_invalid_op 0
		.amdhsa_exception_fp_denorm_src 0
		.amdhsa_exception_fp_ieee_div_zero 0
		.amdhsa_exception_fp_ieee_overflow 0
		.amdhsa_exception_fp_ieee_underflow 0
		.amdhsa_exception_fp_ieee_inexact 0
		.amdhsa_exception_int_div_zero 0
	.end_amdhsa_kernel
	.section	.text._ZN7rocprim17ROCPRIM_400000_NS6detail17trampoline_kernelINS0_14default_configENS1_35radix_sort_onesweep_config_selectorIlNS0_10empty_typeEEEZNS1_34radix_sort_onesweep_global_offsetsIS3_Lb1EPlPS5_mNS0_19identity_decomposerEEE10hipError_tT1_T2_PT3_SE_jT4_jjP12ihipStream_tbEUlT_E_NS1_11comp_targetILNS1_3genE0ELNS1_11target_archE4294967295ELNS1_3gpuE0ELNS1_3repE0EEENS1_52radix_sort_onesweep_histogram_config_static_selectorELNS0_4arch9wavefront6targetE1EEEvSC_,"axG",@progbits,_ZN7rocprim17ROCPRIM_400000_NS6detail17trampoline_kernelINS0_14default_configENS1_35radix_sort_onesweep_config_selectorIlNS0_10empty_typeEEEZNS1_34radix_sort_onesweep_global_offsetsIS3_Lb1EPlPS5_mNS0_19identity_decomposerEEE10hipError_tT1_T2_PT3_SE_jT4_jjP12ihipStream_tbEUlT_E_NS1_11comp_targetILNS1_3genE0ELNS1_11target_archE4294967295ELNS1_3gpuE0ELNS1_3repE0EEENS1_52radix_sort_onesweep_histogram_config_static_selectorELNS0_4arch9wavefront6targetE1EEEvSC_,comdat
.Lfunc_end2180:
	.size	_ZN7rocprim17ROCPRIM_400000_NS6detail17trampoline_kernelINS0_14default_configENS1_35radix_sort_onesweep_config_selectorIlNS0_10empty_typeEEEZNS1_34radix_sort_onesweep_global_offsetsIS3_Lb1EPlPS5_mNS0_19identity_decomposerEEE10hipError_tT1_T2_PT3_SE_jT4_jjP12ihipStream_tbEUlT_E_NS1_11comp_targetILNS1_3genE0ELNS1_11target_archE4294967295ELNS1_3gpuE0ELNS1_3repE0EEENS1_52radix_sort_onesweep_histogram_config_static_selectorELNS0_4arch9wavefront6targetE1EEEvSC_, .Lfunc_end2180-_ZN7rocprim17ROCPRIM_400000_NS6detail17trampoline_kernelINS0_14default_configENS1_35radix_sort_onesweep_config_selectorIlNS0_10empty_typeEEEZNS1_34radix_sort_onesweep_global_offsetsIS3_Lb1EPlPS5_mNS0_19identity_decomposerEEE10hipError_tT1_T2_PT3_SE_jT4_jjP12ihipStream_tbEUlT_E_NS1_11comp_targetILNS1_3genE0ELNS1_11target_archE4294967295ELNS1_3gpuE0ELNS1_3repE0EEENS1_52radix_sort_onesweep_histogram_config_static_selectorELNS0_4arch9wavefront6targetE1EEEvSC_
                                        ; -- End function
	.section	.AMDGPU.csdata,"",@progbits
; Kernel info:
; codeLenInByte = 0
; NumSgprs: 4
; NumVgprs: 0
; NumAgprs: 0
; TotalNumVgprs: 0
; ScratchSize: 0
; MemoryBound: 0
; FloatMode: 240
; IeeeMode: 1
; LDSByteSize: 0 bytes/workgroup (compile time only)
; SGPRBlocks: 0
; VGPRBlocks: 0
; NumSGPRsForWavesPerEU: 4
; NumVGPRsForWavesPerEU: 1
; AccumOffset: 4
; Occupancy: 8
; WaveLimiterHint : 0
; COMPUTE_PGM_RSRC2:SCRATCH_EN: 0
; COMPUTE_PGM_RSRC2:USER_SGPR: 6
; COMPUTE_PGM_RSRC2:TRAP_HANDLER: 0
; COMPUTE_PGM_RSRC2:TGID_X_EN: 1
; COMPUTE_PGM_RSRC2:TGID_Y_EN: 0
; COMPUTE_PGM_RSRC2:TGID_Z_EN: 0
; COMPUTE_PGM_RSRC2:TIDIG_COMP_CNT: 0
; COMPUTE_PGM_RSRC3_GFX90A:ACCUM_OFFSET: 0
; COMPUTE_PGM_RSRC3_GFX90A:TG_SPLIT: 0
	.section	.text._ZN7rocprim17ROCPRIM_400000_NS6detail17trampoline_kernelINS0_14default_configENS1_35radix_sort_onesweep_config_selectorIlNS0_10empty_typeEEEZNS1_34radix_sort_onesweep_global_offsetsIS3_Lb1EPlPS5_mNS0_19identity_decomposerEEE10hipError_tT1_T2_PT3_SE_jT4_jjP12ihipStream_tbEUlT_E_NS1_11comp_targetILNS1_3genE6ELNS1_11target_archE950ELNS1_3gpuE13ELNS1_3repE0EEENS1_52radix_sort_onesweep_histogram_config_static_selectorELNS0_4arch9wavefront6targetE1EEEvSC_,"axG",@progbits,_ZN7rocprim17ROCPRIM_400000_NS6detail17trampoline_kernelINS0_14default_configENS1_35radix_sort_onesweep_config_selectorIlNS0_10empty_typeEEEZNS1_34radix_sort_onesweep_global_offsetsIS3_Lb1EPlPS5_mNS0_19identity_decomposerEEE10hipError_tT1_T2_PT3_SE_jT4_jjP12ihipStream_tbEUlT_E_NS1_11comp_targetILNS1_3genE6ELNS1_11target_archE950ELNS1_3gpuE13ELNS1_3repE0EEENS1_52radix_sort_onesweep_histogram_config_static_selectorELNS0_4arch9wavefront6targetE1EEEvSC_,comdat
	.protected	_ZN7rocprim17ROCPRIM_400000_NS6detail17trampoline_kernelINS0_14default_configENS1_35radix_sort_onesweep_config_selectorIlNS0_10empty_typeEEEZNS1_34radix_sort_onesweep_global_offsetsIS3_Lb1EPlPS5_mNS0_19identity_decomposerEEE10hipError_tT1_T2_PT3_SE_jT4_jjP12ihipStream_tbEUlT_E_NS1_11comp_targetILNS1_3genE6ELNS1_11target_archE950ELNS1_3gpuE13ELNS1_3repE0EEENS1_52radix_sort_onesweep_histogram_config_static_selectorELNS0_4arch9wavefront6targetE1EEEvSC_ ; -- Begin function _ZN7rocprim17ROCPRIM_400000_NS6detail17trampoline_kernelINS0_14default_configENS1_35radix_sort_onesweep_config_selectorIlNS0_10empty_typeEEEZNS1_34radix_sort_onesweep_global_offsetsIS3_Lb1EPlPS5_mNS0_19identity_decomposerEEE10hipError_tT1_T2_PT3_SE_jT4_jjP12ihipStream_tbEUlT_E_NS1_11comp_targetILNS1_3genE6ELNS1_11target_archE950ELNS1_3gpuE13ELNS1_3repE0EEENS1_52radix_sort_onesweep_histogram_config_static_selectorELNS0_4arch9wavefront6targetE1EEEvSC_
	.globl	_ZN7rocprim17ROCPRIM_400000_NS6detail17trampoline_kernelINS0_14default_configENS1_35radix_sort_onesweep_config_selectorIlNS0_10empty_typeEEEZNS1_34radix_sort_onesweep_global_offsetsIS3_Lb1EPlPS5_mNS0_19identity_decomposerEEE10hipError_tT1_T2_PT3_SE_jT4_jjP12ihipStream_tbEUlT_E_NS1_11comp_targetILNS1_3genE6ELNS1_11target_archE950ELNS1_3gpuE13ELNS1_3repE0EEENS1_52radix_sort_onesweep_histogram_config_static_selectorELNS0_4arch9wavefront6targetE1EEEvSC_
	.p2align	8
	.type	_ZN7rocprim17ROCPRIM_400000_NS6detail17trampoline_kernelINS0_14default_configENS1_35radix_sort_onesweep_config_selectorIlNS0_10empty_typeEEEZNS1_34radix_sort_onesweep_global_offsetsIS3_Lb1EPlPS5_mNS0_19identity_decomposerEEE10hipError_tT1_T2_PT3_SE_jT4_jjP12ihipStream_tbEUlT_E_NS1_11comp_targetILNS1_3genE6ELNS1_11target_archE950ELNS1_3gpuE13ELNS1_3repE0EEENS1_52radix_sort_onesweep_histogram_config_static_selectorELNS0_4arch9wavefront6targetE1EEEvSC_,@function
_ZN7rocprim17ROCPRIM_400000_NS6detail17trampoline_kernelINS0_14default_configENS1_35radix_sort_onesweep_config_selectorIlNS0_10empty_typeEEEZNS1_34radix_sort_onesweep_global_offsetsIS3_Lb1EPlPS5_mNS0_19identity_decomposerEEE10hipError_tT1_T2_PT3_SE_jT4_jjP12ihipStream_tbEUlT_E_NS1_11comp_targetILNS1_3genE6ELNS1_11target_archE950ELNS1_3gpuE13ELNS1_3repE0EEENS1_52radix_sort_onesweep_histogram_config_static_selectorELNS0_4arch9wavefront6targetE1EEEvSC_: ; @_ZN7rocprim17ROCPRIM_400000_NS6detail17trampoline_kernelINS0_14default_configENS1_35radix_sort_onesweep_config_selectorIlNS0_10empty_typeEEEZNS1_34radix_sort_onesweep_global_offsetsIS3_Lb1EPlPS5_mNS0_19identity_decomposerEEE10hipError_tT1_T2_PT3_SE_jT4_jjP12ihipStream_tbEUlT_E_NS1_11comp_targetILNS1_3genE6ELNS1_11target_archE950ELNS1_3gpuE13ELNS1_3repE0EEENS1_52radix_sort_onesweep_histogram_config_static_selectorELNS0_4arch9wavefront6targetE1EEEvSC_
; %bb.0:
	.section	.rodata,"a",@progbits
	.p2align	6, 0x0
	.amdhsa_kernel _ZN7rocprim17ROCPRIM_400000_NS6detail17trampoline_kernelINS0_14default_configENS1_35radix_sort_onesweep_config_selectorIlNS0_10empty_typeEEEZNS1_34radix_sort_onesweep_global_offsetsIS3_Lb1EPlPS5_mNS0_19identity_decomposerEEE10hipError_tT1_T2_PT3_SE_jT4_jjP12ihipStream_tbEUlT_E_NS1_11comp_targetILNS1_3genE6ELNS1_11target_archE950ELNS1_3gpuE13ELNS1_3repE0EEENS1_52radix_sort_onesweep_histogram_config_static_selectorELNS0_4arch9wavefront6targetE1EEEvSC_
		.amdhsa_group_segment_fixed_size 0
		.amdhsa_private_segment_fixed_size 0
		.amdhsa_kernarg_size 48
		.amdhsa_user_sgpr_count 6
		.amdhsa_user_sgpr_private_segment_buffer 1
		.amdhsa_user_sgpr_dispatch_ptr 0
		.amdhsa_user_sgpr_queue_ptr 0
		.amdhsa_user_sgpr_kernarg_segment_ptr 1
		.amdhsa_user_sgpr_dispatch_id 0
		.amdhsa_user_sgpr_flat_scratch_init 0
		.amdhsa_user_sgpr_kernarg_preload_length 0
		.amdhsa_user_sgpr_kernarg_preload_offset 0
		.amdhsa_user_sgpr_private_segment_size 0
		.amdhsa_uses_dynamic_stack 0
		.amdhsa_system_sgpr_private_segment_wavefront_offset 0
		.amdhsa_system_sgpr_workgroup_id_x 1
		.amdhsa_system_sgpr_workgroup_id_y 0
		.amdhsa_system_sgpr_workgroup_id_z 0
		.amdhsa_system_sgpr_workgroup_info 0
		.amdhsa_system_vgpr_workitem_id 0
		.amdhsa_next_free_vgpr 1
		.amdhsa_next_free_sgpr 0
		.amdhsa_accum_offset 4
		.amdhsa_reserve_vcc 0
		.amdhsa_reserve_flat_scratch 0
		.amdhsa_float_round_mode_32 0
		.amdhsa_float_round_mode_16_64 0
		.amdhsa_float_denorm_mode_32 3
		.amdhsa_float_denorm_mode_16_64 3
		.amdhsa_dx10_clamp 1
		.amdhsa_ieee_mode 1
		.amdhsa_fp16_overflow 0
		.amdhsa_tg_split 0
		.amdhsa_exception_fp_ieee_invalid_op 0
		.amdhsa_exception_fp_denorm_src 0
		.amdhsa_exception_fp_ieee_div_zero 0
		.amdhsa_exception_fp_ieee_overflow 0
		.amdhsa_exception_fp_ieee_underflow 0
		.amdhsa_exception_fp_ieee_inexact 0
		.amdhsa_exception_int_div_zero 0
	.end_amdhsa_kernel
	.section	.text._ZN7rocprim17ROCPRIM_400000_NS6detail17trampoline_kernelINS0_14default_configENS1_35radix_sort_onesweep_config_selectorIlNS0_10empty_typeEEEZNS1_34radix_sort_onesweep_global_offsetsIS3_Lb1EPlPS5_mNS0_19identity_decomposerEEE10hipError_tT1_T2_PT3_SE_jT4_jjP12ihipStream_tbEUlT_E_NS1_11comp_targetILNS1_3genE6ELNS1_11target_archE950ELNS1_3gpuE13ELNS1_3repE0EEENS1_52radix_sort_onesweep_histogram_config_static_selectorELNS0_4arch9wavefront6targetE1EEEvSC_,"axG",@progbits,_ZN7rocprim17ROCPRIM_400000_NS6detail17trampoline_kernelINS0_14default_configENS1_35radix_sort_onesweep_config_selectorIlNS0_10empty_typeEEEZNS1_34radix_sort_onesweep_global_offsetsIS3_Lb1EPlPS5_mNS0_19identity_decomposerEEE10hipError_tT1_T2_PT3_SE_jT4_jjP12ihipStream_tbEUlT_E_NS1_11comp_targetILNS1_3genE6ELNS1_11target_archE950ELNS1_3gpuE13ELNS1_3repE0EEENS1_52radix_sort_onesweep_histogram_config_static_selectorELNS0_4arch9wavefront6targetE1EEEvSC_,comdat
.Lfunc_end2181:
	.size	_ZN7rocprim17ROCPRIM_400000_NS6detail17trampoline_kernelINS0_14default_configENS1_35radix_sort_onesweep_config_selectorIlNS0_10empty_typeEEEZNS1_34radix_sort_onesweep_global_offsetsIS3_Lb1EPlPS5_mNS0_19identity_decomposerEEE10hipError_tT1_T2_PT3_SE_jT4_jjP12ihipStream_tbEUlT_E_NS1_11comp_targetILNS1_3genE6ELNS1_11target_archE950ELNS1_3gpuE13ELNS1_3repE0EEENS1_52radix_sort_onesweep_histogram_config_static_selectorELNS0_4arch9wavefront6targetE1EEEvSC_, .Lfunc_end2181-_ZN7rocprim17ROCPRIM_400000_NS6detail17trampoline_kernelINS0_14default_configENS1_35radix_sort_onesweep_config_selectorIlNS0_10empty_typeEEEZNS1_34radix_sort_onesweep_global_offsetsIS3_Lb1EPlPS5_mNS0_19identity_decomposerEEE10hipError_tT1_T2_PT3_SE_jT4_jjP12ihipStream_tbEUlT_E_NS1_11comp_targetILNS1_3genE6ELNS1_11target_archE950ELNS1_3gpuE13ELNS1_3repE0EEENS1_52radix_sort_onesweep_histogram_config_static_selectorELNS0_4arch9wavefront6targetE1EEEvSC_
                                        ; -- End function
	.section	.AMDGPU.csdata,"",@progbits
; Kernel info:
; codeLenInByte = 0
; NumSgprs: 4
; NumVgprs: 0
; NumAgprs: 0
; TotalNumVgprs: 0
; ScratchSize: 0
; MemoryBound: 0
; FloatMode: 240
; IeeeMode: 1
; LDSByteSize: 0 bytes/workgroup (compile time only)
; SGPRBlocks: 0
; VGPRBlocks: 0
; NumSGPRsForWavesPerEU: 4
; NumVGPRsForWavesPerEU: 1
; AccumOffset: 4
; Occupancy: 8
; WaveLimiterHint : 0
; COMPUTE_PGM_RSRC2:SCRATCH_EN: 0
; COMPUTE_PGM_RSRC2:USER_SGPR: 6
; COMPUTE_PGM_RSRC2:TRAP_HANDLER: 0
; COMPUTE_PGM_RSRC2:TGID_X_EN: 1
; COMPUTE_PGM_RSRC2:TGID_Y_EN: 0
; COMPUTE_PGM_RSRC2:TGID_Z_EN: 0
; COMPUTE_PGM_RSRC2:TIDIG_COMP_CNT: 0
; COMPUTE_PGM_RSRC3_GFX90A:ACCUM_OFFSET: 0
; COMPUTE_PGM_RSRC3_GFX90A:TG_SPLIT: 0
	.section	.text._ZN7rocprim17ROCPRIM_400000_NS6detail17trampoline_kernelINS0_14default_configENS1_35radix_sort_onesweep_config_selectorIlNS0_10empty_typeEEEZNS1_34radix_sort_onesweep_global_offsetsIS3_Lb1EPlPS5_mNS0_19identity_decomposerEEE10hipError_tT1_T2_PT3_SE_jT4_jjP12ihipStream_tbEUlT_E_NS1_11comp_targetILNS1_3genE5ELNS1_11target_archE942ELNS1_3gpuE9ELNS1_3repE0EEENS1_52radix_sort_onesweep_histogram_config_static_selectorELNS0_4arch9wavefront6targetE1EEEvSC_,"axG",@progbits,_ZN7rocprim17ROCPRIM_400000_NS6detail17trampoline_kernelINS0_14default_configENS1_35radix_sort_onesweep_config_selectorIlNS0_10empty_typeEEEZNS1_34radix_sort_onesweep_global_offsetsIS3_Lb1EPlPS5_mNS0_19identity_decomposerEEE10hipError_tT1_T2_PT3_SE_jT4_jjP12ihipStream_tbEUlT_E_NS1_11comp_targetILNS1_3genE5ELNS1_11target_archE942ELNS1_3gpuE9ELNS1_3repE0EEENS1_52radix_sort_onesweep_histogram_config_static_selectorELNS0_4arch9wavefront6targetE1EEEvSC_,comdat
	.protected	_ZN7rocprim17ROCPRIM_400000_NS6detail17trampoline_kernelINS0_14default_configENS1_35radix_sort_onesweep_config_selectorIlNS0_10empty_typeEEEZNS1_34radix_sort_onesweep_global_offsetsIS3_Lb1EPlPS5_mNS0_19identity_decomposerEEE10hipError_tT1_T2_PT3_SE_jT4_jjP12ihipStream_tbEUlT_E_NS1_11comp_targetILNS1_3genE5ELNS1_11target_archE942ELNS1_3gpuE9ELNS1_3repE0EEENS1_52radix_sort_onesweep_histogram_config_static_selectorELNS0_4arch9wavefront6targetE1EEEvSC_ ; -- Begin function _ZN7rocprim17ROCPRIM_400000_NS6detail17trampoline_kernelINS0_14default_configENS1_35radix_sort_onesweep_config_selectorIlNS0_10empty_typeEEEZNS1_34radix_sort_onesweep_global_offsetsIS3_Lb1EPlPS5_mNS0_19identity_decomposerEEE10hipError_tT1_T2_PT3_SE_jT4_jjP12ihipStream_tbEUlT_E_NS1_11comp_targetILNS1_3genE5ELNS1_11target_archE942ELNS1_3gpuE9ELNS1_3repE0EEENS1_52radix_sort_onesweep_histogram_config_static_selectorELNS0_4arch9wavefront6targetE1EEEvSC_
	.globl	_ZN7rocprim17ROCPRIM_400000_NS6detail17trampoline_kernelINS0_14default_configENS1_35radix_sort_onesweep_config_selectorIlNS0_10empty_typeEEEZNS1_34radix_sort_onesweep_global_offsetsIS3_Lb1EPlPS5_mNS0_19identity_decomposerEEE10hipError_tT1_T2_PT3_SE_jT4_jjP12ihipStream_tbEUlT_E_NS1_11comp_targetILNS1_3genE5ELNS1_11target_archE942ELNS1_3gpuE9ELNS1_3repE0EEENS1_52radix_sort_onesweep_histogram_config_static_selectorELNS0_4arch9wavefront6targetE1EEEvSC_
	.p2align	8
	.type	_ZN7rocprim17ROCPRIM_400000_NS6detail17trampoline_kernelINS0_14default_configENS1_35radix_sort_onesweep_config_selectorIlNS0_10empty_typeEEEZNS1_34radix_sort_onesweep_global_offsetsIS3_Lb1EPlPS5_mNS0_19identity_decomposerEEE10hipError_tT1_T2_PT3_SE_jT4_jjP12ihipStream_tbEUlT_E_NS1_11comp_targetILNS1_3genE5ELNS1_11target_archE942ELNS1_3gpuE9ELNS1_3repE0EEENS1_52radix_sort_onesweep_histogram_config_static_selectorELNS0_4arch9wavefront6targetE1EEEvSC_,@function
_ZN7rocprim17ROCPRIM_400000_NS6detail17trampoline_kernelINS0_14default_configENS1_35radix_sort_onesweep_config_selectorIlNS0_10empty_typeEEEZNS1_34radix_sort_onesweep_global_offsetsIS3_Lb1EPlPS5_mNS0_19identity_decomposerEEE10hipError_tT1_T2_PT3_SE_jT4_jjP12ihipStream_tbEUlT_E_NS1_11comp_targetILNS1_3genE5ELNS1_11target_archE942ELNS1_3gpuE9ELNS1_3repE0EEENS1_52radix_sort_onesweep_histogram_config_static_selectorELNS0_4arch9wavefront6targetE1EEEvSC_: ; @_ZN7rocprim17ROCPRIM_400000_NS6detail17trampoline_kernelINS0_14default_configENS1_35radix_sort_onesweep_config_selectorIlNS0_10empty_typeEEEZNS1_34radix_sort_onesweep_global_offsetsIS3_Lb1EPlPS5_mNS0_19identity_decomposerEEE10hipError_tT1_T2_PT3_SE_jT4_jjP12ihipStream_tbEUlT_E_NS1_11comp_targetILNS1_3genE5ELNS1_11target_archE942ELNS1_3gpuE9ELNS1_3repE0EEENS1_52radix_sort_onesweep_histogram_config_static_selectorELNS0_4arch9wavefront6targetE1EEEvSC_
; %bb.0:
	.section	.rodata,"a",@progbits
	.p2align	6, 0x0
	.amdhsa_kernel _ZN7rocprim17ROCPRIM_400000_NS6detail17trampoline_kernelINS0_14default_configENS1_35radix_sort_onesweep_config_selectorIlNS0_10empty_typeEEEZNS1_34radix_sort_onesweep_global_offsetsIS3_Lb1EPlPS5_mNS0_19identity_decomposerEEE10hipError_tT1_T2_PT3_SE_jT4_jjP12ihipStream_tbEUlT_E_NS1_11comp_targetILNS1_3genE5ELNS1_11target_archE942ELNS1_3gpuE9ELNS1_3repE0EEENS1_52radix_sort_onesweep_histogram_config_static_selectorELNS0_4arch9wavefront6targetE1EEEvSC_
		.amdhsa_group_segment_fixed_size 0
		.amdhsa_private_segment_fixed_size 0
		.amdhsa_kernarg_size 48
		.amdhsa_user_sgpr_count 6
		.amdhsa_user_sgpr_private_segment_buffer 1
		.amdhsa_user_sgpr_dispatch_ptr 0
		.amdhsa_user_sgpr_queue_ptr 0
		.amdhsa_user_sgpr_kernarg_segment_ptr 1
		.amdhsa_user_sgpr_dispatch_id 0
		.amdhsa_user_sgpr_flat_scratch_init 0
		.amdhsa_user_sgpr_kernarg_preload_length 0
		.amdhsa_user_sgpr_kernarg_preload_offset 0
		.amdhsa_user_sgpr_private_segment_size 0
		.amdhsa_uses_dynamic_stack 0
		.amdhsa_system_sgpr_private_segment_wavefront_offset 0
		.amdhsa_system_sgpr_workgroup_id_x 1
		.amdhsa_system_sgpr_workgroup_id_y 0
		.amdhsa_system_sgpr_workgroup_id_z 0
		.amdhsa_system_sgpr_workgroup_info 0
		.amdhsa_system_vgpr_workitem_id 0
		.amdhsa_next_free_vgpr 1
		.amdhsa_next_free_sgpr 0
		.amdhsa_accum_offset 4
		.amdhsa_reserve_vcc 0
		.amdhsa_reserve_flat_scratch 0
		.amdhsa_float_round_mode_32 0
		.amdhsa_float_round_mode_16_64 0
		.amdhsa_float_denorm_mode_32 3
		.amdhsa_float_denorm_mode_16_64 3
		.amdhsa_dx10_clamp 1
		.amdhsa_ieee_mode 1
		.amdhsa_fp16_overflow 0
		.amdhsa_tg_split 0
		.amdhsa_exception_fp_ieee_invalid_op 0
		.amdhsa_exception_fp_denorm_src 0
		.amdhsa_exception_fp_ieee_div_zero 0
		.amdhsa_exception_fp_ieee_overflow 0
		.amdhsa_exception_fp_ieee_underflow 0
		.amdhsa_exception_fp_ieee_inexact 0
		.amdhsa_exception_int_div_zero 0
	.end_amdhsa_kernel
	.section	.text._ZN7rocprim17ROCPRIM_400000_NS6detail17trampoline_kernelINS0_14default_configENS1_35radix_sort_onesweep_config_selectorIlNS0_10empty_typeEEEZNS1_34radix_sort_onesweep_global_offsetsIS3_Lb1EPlPS5_mNS0_19identity_decomposerEEE10hipError_tT1_T2_PT3_SE_jT4_jjP12ihipStream_tbEUlT_E_NS1_11comp_targetILNS1_3genE5ELNS1_11target_archE942ELNS1_3gpuE9ELNS1_3repE0EEENS1_52radix_sort_onesweep_histogram_config_static_selectorELNS0_4arch9wavefront6targetE1EEEvSC_,"axG",@progbits,_ZN7rocprim17ROCPRIM_400000_NS6detail17trampoline_kernelINS0_14default_configENS1_35radix_sort_onesweep_config_selectorIlNS0_10empty_typeEEEZNS1_34radix_sort_onesweep_global_offsetsIS3_Lb1EPlPS5_mNS0_19identity_decomposerEEE10hipError_tT1_T2_PT3_SE_jT4_jjP12ihipStream_tbEUlT_E_NS1_11comp_targetILNS1_3genE5ELNS1_11target_archE942ELNS1_3gpuE9ELNS1_3repE0EEENS1_52radix_sort_onesweep_histogram_config_static_selectorELNS0_4arch9wavefront6targetE1EEEvSC_,comdat
.Lfunc_end2182:
	.size	_ZN7rocprim17ROCPRIM_400000_NS6detail17trampoline_kernelINS0_14default_configENS1_35radix_sort_onesweep_config_selectorIlNS0_10empty_typeEEEZNS1_34radix_sort_onesweep_global_offsetsIS3_Lb1EPlPS5_mNS0_19identity_decomposerEEE10hipError_tT1_T2_PT3_SE_jT4_jjP12ihipStream_tbEUlT_E_NS1_11comp_targetILNS1_3genE5ELNS1_11target_archE942ELNS1_3gpuE9ELNS1_3repE0EEENS1_52radix_sort_onesweep_histogram_config_static_selectorELNS0_4arch9wavefront6targetE1EEEvSC_, .Lfunc_end2182-_ZN7rocprim17ROCPRIM_400000_NS6detail17trampoline_kernelINS0_14default_configENS1_35radix_sort_onesweep_config_selectorIlNS0_10empty_typeEEEZNS1_34radix_sort_onesweep_global_offsetsIS3_Lb1EPlPS5_mNS0_19identity_decomposerEEE10hipError_tT1_T2_PT3_SE_jT4_jjP12ihipStream_tbEUlT_E_NS1_11comp_targetILNS1_3genE5ELNS1_11target_archE942ELNS1_3gpuE9ELNS1_3repE0EEENS1_52radix_sort_onesweep_histogram_config_static_selectorELNS0_4arch9wavefront6targetE1EEEvSC_
                                        ; -- End function
	.section	.AMDGPU.csdata,"",@progbits
; Kernel info:
; codeLenInByte = 0
; NumSgprs: 4
; NumVgprs: 0
; NumAgprs: 0
; TotalNumVgprs: 0
; ScratchSize: 0
; MemoryBound: 0
; FloatMode: 240
; IeeeMode: 1
; LDSByteSize: 0 bytes/workgroup (compile time only)
; SGPRBlocks: 0
; VGPRBlocks: 0
; NumSGPRsForWavesPerEU: 4
; NumVGPRsForWavesPerEU: 1
; AccumOffset: 4
; Occupancy: 8
; WaveLimiterHint : 0
; COMPUTE_PGM_RSRC2:SCRATCH_EN: 0
; COMPUTE_PGM_RSRC2:USER_SGPR: 6
; COMPUTE_PGM_RSRC2:TRAP_HANDLER: 0
; COMPUTE_PGM_RSRC2:TGID_X_EN: 1
; COMPUTE_PGM_RSRC2:TGID_Y_EN: 0
; COMPUTE_PGM_RSRC2:TGID_Z_EN: 0
; COMPUTE_PGM_RSRC2:TIDIG_COMP_CNT: 0
; COMPUTE_PGM_RSRC3_GFX90A:ACCUM_OFFSET: 0
; COMPUTE_PGM_RSRC3_GFX90A:TG_SPLIT: 0
	.section	.text._ZN7rocprim17ROCPRIM_400000_NS6detail17trampoline_kernelINS0_14default_configENS1_35radix_sort_onesweep_config_selectorIlNS0_10empty_typeEEEZNS1_34radix_sort_onesweep_global_offsetsIS3_Lb1EPlPS5_mNS0_19identity_decomposerEEE10hipError_tT1_T2_PT3_SE_jT4_jjP12ihipStream_tbEUlT_E_NS1_11comp_targetILNS1_3genE2ELNS1_11target_archE906ELNS1_3gpuE6ELNS1_3repE0EEENS1_52radix_sort_onesweep_histogram_config_static_selectorELNS0_4arch9wavefront6targetE1EEEvSC_,"axG",@progbits,_ZN7rocprim17ROCPRIM_400000_NS6detail17trampoline_kernelINS0_14default_configENS1_35radix_sort_onesweep_config_selectorIlNS0_10empty_typeEEEZNS1_34radix_sort_onesweep_global_offsetsIS3_Lb1EPlPS5_mNS0_19identity_decomposerEEE10hipError_tT1_T2_PT3_SE_jT4_jjP12ihipStream_tbEUlT_E_NS1_11comp_targetILNS1_3genE2ELNS1_11target_archE906ELNS1_3gpuE6ELNS1_3repE0EEENS1_52radix_sort_onesweep_histogram_config_static_selectorELNS0_4arch9wavefront6targetE1EEEvSC_,comdat
	.protected	_ZN7rocprim17ROCPRIM_400000_NS6detail17trampoline_kernelINS0_14default_configENS1_35radix_sort_onesweep_config_selectorIlNS0_10empty_typeEEEZNS1_34radix_sort_onesweep_global_offsetsIS3_Lb1EPlPS5_mNS0_19identity_decomposerEEE10hipError_tT1_T2_PT3_SE_jT4_jjP12ihipStream_tbEUlT_E_NS1_11comp_targetILNS1_3genE2ELNS1_11target_archE906ELNS1_3gpuE6ELNS1_3repE0EEENS1_52radix_sort_onesweep_histogram_config_static_selectorELNS0_4arch9wavefront6targetE1EEEvSC_ ; -- Begin function _ZN7rocprim17ROCPRIM_400000_NS6detail17trampoline_kernelINS0_14default_configENS1_35radix_sort_onesweep_config_selectorIlNS0_10empty_typeEEEZNS1_34radix_sort_onesweep_global_offsetsIS3_Lb1EPlPS5_mNS0_19identity_decomposerEEE10hipError_tT1_T2_PT3_SE_jT4_jjP12ihipStream_tbEUlT_E_NS1_11comp_targetILNS1_3genE2ELNS1_11target_archE906ELNS1_3gpuE6ELNS1_3repE0EEENS1_52radix_sort_onesweep_histogram_config_static_selectorELNS0_4arch9wavefront6targetE1EEEvSC_
	.globl	_ZN7rocprim17ROCPRIM_400000_NS6detail17trampoline_kernelINS0_14default_configENS1_35radix_sort_onesweep_config_selectorIlNS0_10empty_typeEEEZNS1_34radix_sort_onesweep_global_offsetsIS3_Lb1EPlPS5_mNS0_19identity_decomposerEEE10hipError_tT1_T2_PT3_SE_jT4_jjP12ihipStream_tbEUlT_E_NS1_11comp_targetILNS1_3genE2ELNS1_11target_archE906ELNS1_3gpuE6ELNS1_3repE0EEENS1_52radix_sort_onesweep_histogram_config_static_selectorELNS0_4arch9wavefront6targetE1EEEvSC_
	.p2align	8
	.type	_ZN7rocprim17ROCPRIM_400000_NS6detail17trampoline_kernelINS0_14default_configENS1_35radix_sort_onesweep_config_selectorIlNS0_10empty_typeEEEZNS1_34radix_sort_onesweep_global_offsetsIS3_Lb1EPlPS5_mNS0_19identity_decomposerEEE10hipError_tT1_T2_PT3_SE_jT4_jjP12ihipStream_tbEUlT_E_NS1_11comp_targetILNS1_3genE2ELNS1_11target_archE906ELNS1_3gpuE6ELNS1_3repE0EEENS1_52radix_sort_onesweep_histogram_config_static_selectorELNS0_4arch9wavefront6targetE1EEEvSC_,@function
_ZN7rocprim17ROCPRIM_400000_NS6detail17trampoline_kernelINS0_14default_configENS1_35radix_sort_onesweep_config_selectorIlNS0_10empty_typeEEEZNS1_34radix_sort_onesweep_global_offsetsIS3_Lb1EPlPS5_mNS0_19identity_decomposerEEE10hipError_tT1_T2_PT3_SE_jT4_jjP12ihipStream_tbEUlT_E_NS1_11comp_targetILNS1_3genE2ELNS1_11target_archE906ELNS1_3gpuE6ELNS1_3repE0EEENS1_52radix_sort_onesweep_histogram_config_static_selectorELNS0_4arch9wavefront6targetE1EEEvSC_: ; @_ZN7rocprim17ROCPRIM_400000_NS6detail17trampoline_kernelINS0_14default_configENS1_35radix_sort_onesweep_config_selectorIlNS0_10empty_typeEEEZNS1_34radix_sort_onesweep_global_offsetsIS3_Lb1EPlPS5_mNS0_19identity_decomposerEEE10hipError_tT1_T2_PT3_SE_jT4_jjP12ihipStream_tbEUlT_E_NS1_11comp_targetILNS1_3genE2ELNS1_11target_archE906ELNS1_3gpuE6ELNS1_3repE0EEENS1_52radix_sort_onesweep_histogram_config_static_selectorELNS0_4arch9wavefront6targetE1EEEvSC_
; %bb.0:
	.section	.rodata,"a",@progbits
	.p2align	6, 0x0
	.amdhsa_kernel _ZN7rocprim17ROCPRIM_400000_NS6detail17trampoline_kernelINS0_14default_configENS1_35radix_sort_onesweep_config_selectorIlNS0_10empty_typeEEEZNS1_34radix_sort_onesweep_global_offsetsIS3_Lb1EPlPS5_mNS0_19identity_decomposerEEE10hipError_tT1_T2_PT3_SE_jT4_jjP12ihipStream_tbEUlT_E_NS1_11comp_targetILNS1_3genE2ELNS1_11target_archE906ELNS1_3gpuE6ELNS1_3repE0EEENS1_52radix_sort_onesweep_histogram_config_static_selectorELNS0_4arch9wavefront6targetE1EEEvSC_
		.amdhsa_group_segment_fixed_size 0
		.amdhsa_private_segment_fixed_size 0
		.amdhsa_kernarg_size 48
		.amdhsa_user_sgpr_count 6
		.amdhsa_user_sgpr_private_segment_buffer 1
		.amdhsa_user_sgpr_dispatch_ptr 0
		.amdhsa_user_sgpr_queue_ptr 0
		.amdhsa_user_sgpr_kernarg_segment_ptr 1
		.amdhsa_user_sgpr_dispatch_id 0
		.amdhsa_user_sgpr_flat_scratch_init 0
		.amdhsa_user_sgpr_kernarg_preload_length 0
		.amdhsa_user_sgpr_kernarg_preload_offset 0
		.amdhsa_user_sgpr_private_segment_size 0
		.amdhsa_uses_dynamic_stack 0
		.amdhsa_system_sgpr_private_segment_wavefront_offset 0
		.amdhsa_system_sgpr_workgroup_id_x 1
		.amdhsa_system_sgpr_workgroup_id_y 0
		.amdhsa_system_sgpr_workgroup_id_z 0
		.amdhsa_system_sgpr_workgroup_info 0
		.amdhsa_system_vgpr_workitem_id 0
		.amdhsa_next_free_vgpr 1
		.amdhsa_next_free_sgpr 0
		.amdhsa_accum_offset 4
		.amdhsa_reserve_vcc 0
		.amdhsa_reserve_flat_scratch 0
		.amdhsa_float_round_mode_32 0
		.amdhsa_float_round_mode_16_64 0
		.amdhsa_float_denorm_mode_32 3
		.amdhsa_float_denorm_mode_16_64 3
		.amdhsa_dx10_clamp 1
		.amdhsa_ieee_mode 1
		.amdhsa_fp16_overflow 0
		.amdhsa_tg_split 0
		.amdhsa_exception_fp_ieee_invalid_op 0
		.amdhsa_exception_fp_denorm_src 0
		.amdhsa_exception_fp_ieee_div_zero 0
		.amdhsa_exception_fp_ieee_overflow 0
		.amdhsa_exception_fp_ieee_underflow 0
		.amdhsa_exception_fp_ieee_inexact 0
		.amdhsa_exception_int_div_zero 0
	.end_amdhsa_kernel
	.section	.text._ZN7rocprim17ROCPRIM_400000_NS6detail17trampoline_kernelINS0_14default_configENS1_35radix_sort_onesweep_config_selectorIlNS0_10empty_typeEEEZNS1_34radix_sort_onesweep_global_offsetsIS3_Lb1EPlPS5_mNS0_19identity_decomposerEEE10hipError_tT1_T2_PT3_SE_jT4_jjP12ihipStream_tbEUlT_E_NS1_11comp_targetILNS1_3genE2ELNS1_11target_archE906ELNS1_3gpuE6ELNS1_3repE0EEENS1_52radix_sort_onesweep_histogram_config_static_selectorELNS0_4arch9wavefront6targetE1EEEvSC_,"axG",@progbits,_ZN7rocprim17ROCPRIM_400000_NS6detail17trampoline_kernelINS0_14default_configENS1_35radix_sort_onesweep_config_selectorIlNS0_10empty_typeEEEZNS1_34radix_sort_onesweep_global_offsetsIS3_Lb1EPlPS5_mNS0_19identity_decomposerEEE10hipError_tT1_T2_PT3_SE_jT4_jjP12ihipStream_tbEUlT_E_NS1_11comp_targetILNS1_3genE2ELNS1_11target_archE906ELNS1_3gpuE6ELNS1_3repE0EEENS1_52radix_sort_onesweep_histogram_config_static_selectorELNS0_4arch9wavefront6targetE1EEEvSC_,comdat
.Lfunc_end2183:
	.size	_ZN7rocprim17ROCPRIM_400000_NS6detail17trampoline_kernelINS0_14default_configENS1_35radix_sort_onesweep_config_selectorIlNS0_10empty_typeEEEZNS1_34radix_sort_onesweep_global_offsetsIS3_Lb1EPlPS5_mNS0_19identity_decomposerEEE10hipError_tT1_T2_PT3_SE_jT4_jjP12ihipStream_tbEUlT_E_NS1_11comp_targetILNS1_3genE2ELNS1_11target_archE906ELNS1_3gpuE6ELNS1_3repE0EEENS1_52radix_sort_onesweep_histogram_config_static_selectorELNS0_4arch9wavefront6targetE1EEEvSC_, .Lfunc_end2183-_ZN7rocprim17ROCPRIM_400000_NS6detail17trampoline_kernelINS0_14default_configENS1_35radix_sort_onesweep_config_selectorIlNS0_10empty_typeEEEZNS1_34radix_sort_onesweep_global_offsetsIS3_Lb1EPlPS5_mNS0_19identity_decomposerEEE10hipError_tT1_T2_PT3_SE_jT4_jjP12ihipStream_tbEUlT_E_NS1_11comp_targetILNS1_3genE2ELNS1_11target_archE906ELNS1_3gpuE6ELNS1_3repE0EEENS1_52radix_sort_onesweep_histogram_config_static_selectorELNS0_4arch9wavefront6targetE1EEEvSC_
                                        ; -- End function
	.section	.AMDGPU.csdata,"",@progbits
; Kernel info:
; codeLenInByte = 0
; NumSgprs: 4
; NumVgprs: 0
; NumAgprs: 0
; TotalNumVgprs: 0
; ScratchSize: 0
; MemoryBound: 0
; FloatMode: 240
; IeeeMode: 1
; LDSByteSize: 0 bytes/workgroup (compile time only)
; SGPRBlocks: 0
; VGPRBlocks: 0
; NumSGPRsForWavesPerEU: 4
; NumVGPRsForWavesPerEU: 1
; AccumOffset: 4
; Occupancy: 8
; WaveLimiterHint : 0
; COMPUTE_PGM_RSRC2:SCRATCH_EN: 0
; COMPUTE_PGM_RSRC2:USER_SGPR: 6
; COMPUTE_PGM_RSRC2:TRAP_HANDLER: 0
; COMPUTE_PGM_RSRC2:TGID_X_EN: 1
; COMPUTE_PGM_RSRC2:TGID_Y_EN: 0
; COMPUTE_PGM_RSRC2:TGID_Z_EN: 0
; COMPUTE_PGM_RSRC2:TIDIG_COMP_CNT: 0
; COMPUTE_PGM_RSRC3_GFX90A:ACCUM_OFFSET: 0
; COMPUTE_PGM_RSRC3_GFX90A:TG_SPLIT: 0
	.section	.text._ZN7rocprim17ROCPRIM_400000_NS6detail17trampoline_kernelINS0_14default_configENS1_35radix_sort_onesweep_config_selectorIlNS0_10empty_typeEEEZNS1_34radix_sort_onesweep_global_offsetsIS3_Lb1EPlPS5_mNS0_19identity_decomposerEEE10hipError_tT1_T2_PT3_SE_jT4_jjP12ihipStream_tbEUlT_E_NS1_11comp_targetILNS1_3genE4ELNS1_11target_archE910ELNS1_3gpuE8ELNS1_3repE0EEENS1_52radix_sort_onesweep_histogram_config_static_selectorELNS0_4arch9wavefront6targetE1EEEvSC_,"axG",@progbits,_ZN7rocprim17ROCPRIM_400000_NS6detail17trampoline_kernelINS0_14default_configENS1_35radix_sort_onesweep_config_selectorIlNS0_10empty_typeEEEZNS1_34radix_sort_onesweep_global_offsetsIS3_Lb1EPlPS5_mNS0_19identity_decomposerEEE10hipError_tT1_T2_PT3_SE_jT4_jjP12ihipStream_tbEUlT_E_NS1_11comp_targetILNS1_3genE4ELNS1_11target_archE910ELNS1_3gpuE8ELNS1_3repE0EEENS1_52radix_sort_onesweep_histogram_config_static_selectorELNS0_4arch9wavefront6targetE1EEEvSC_,comdat
	.protected	_ZN7rocprim17ROCPRIM_400000_NS6detail17trampoline_kernelINS0_14default_configENS1_35radix_sort_onesweep_config_selectorIlNS0_10empty_typeEEEZNS1_34radix_sort_onesweep_global_offsetsIS3_Lb1EPlPS5_mNS0_19identity_decomposerEEE10hipError_tT1_T2_PT3_SE_jT4_jjP12ihipStream_tbEUlT_E_NS1_11comp_targetILNS1_3genE4ELNS1_11target_archE910ELNS1_3gpuE8ELNS1_3repE0EEENS1_52radix_sort_onesweep_histogram_config_static_selectorELNS0_4arch9wavefront6targetE1EEEvSC_ ; -- Begin function _ZN7rocprim17ROCPRIM_400000_NS6detail17trampoline_kernelINS0_14default_configENS1_35radix_sort_onesweep_config_selectorIlNS0_10empty_typeEEEZNS1_34radix_sort_onesweep_global_offsetsIS3_Lb1EPlPS5_mNS0_19identity_decomposerEEE10hipError_tT1_T2_PT3_SE_jT4_jjP12ihipStream_tbEUlT_E_NS1_11comp_targetILNS1_3genE4ELNS1_11target_archE910ELNS1_3gpuE8ELNS1_3repE0EEENS1_52radix_sort_onesweep_histogram_config_static_selectorELNS0_4arch9wavefront6targetE1EEEvSC_
	.globl	_ZN7rocprim17ROCPRIM_400000_NS6detail17trampoline_kernelINS0_14default_configENS1_35radix_sort_onesweep_config_selectorIlNS0_10empty_typeEEEZNS1_34radix_sort_onesweep_global_offsetsIS3_Lb1EPlPS5_mNS0_19identity_decomposerEEE10hipError_tT1_T2_PT3_SE_jT4_jjP12ihipStream_tbEUlT_E_NS1_11comp_targetILNS1_3genE4ELNS1_11target_archE910ELNS1_3gpuE8ELNS1_3repE0EEENS1_52radix_sort_onesweep_histogram_config_static_selectorELNS0_4arch9wavefront6targetE1EEEvSC_
	.p2align	8
	.type	_ZN7rocprim17ROCPRIM_400000_NS6detail17trampoline_kernelINS0_14default_configENS1_35radix_sort_onesweep_config_selectorIlNS0_10empty_typeEEEZNS1_34radix_sort_onesweep_global_offsetsIS3_Lb1EPlPS5_mNS0_19identity_decomposerEEE10hipError_tT1_T2_PT3_SE_jT4_jjP12ihipStream_tbEUlT_E_NS1_11comp_targetILNS1_3genE4ELNS1_11target_archE910ELNS1_3gpuE8ELNS1_3repE0EEENS1_52radix_sort_onesweep_histogram_config_static_selectorELNS0_4arch9wavefront6targetE1EEEvSC_,@function
_ZN7rocprim17ROCPRIM_400000_NS6detail17trampoline_kernelINS0_14default_configENS1_35radix_sort_onesweep_config_selectorIlNS0_10empty_typeEEEZNS1_34radix_sort_onesweep_global_offsetsIS3_Lb1EPlPS5_mNS0_19identity_decomposerEEE10hipError_tT1_T2_PT3_SE_jT4_jjP12ihipStream_tbEUlT_E_NS1_11comp_targetILNS1_3genE4ELNS1_11target_archE910ELNS1_3gpuE8ELNS1_3repE0EEENS1_52radix_sort_onesweep_histogram_config_static_selectorELNS0_4arch9wavefront6targetE1EEEvSC_: ; @_ZN7rocprim17ROCPRIM_400000_NS6detail17trampoline_kernelINS0_14default_configENS1_35radix_sort_onesweep_config_selectorIlNS0_10empty_typeEEEZNS1_34radix_sort_onesweep_global_offsetsIS3_Lb1EPlPS5_mNS0_19identity_decomposerEEE10hipError_tT1_T2_PT3_SE_jT4_jjP12ihipStream_tbEUlT_E_NS1_11comp_targetILNS1_3genE4ELNS1_11target_archE910ELNS1_3gpuE8ELNS1_3repE0EEENS1_52radix_sort_onesweep_histogram_config_static_selectorELNS0_4arch9wavefront6targetE1EEEvSC_
; %bb.0:
	s_load_dwordx2 s[10:11], s[4:5], 0x18
	s_load_dwordx4 s[0:3], s[4:5], 0x0
	s_load_dwordx2 s[8:9], s[4:5], 0x24
	s_mov_b32 s7, 0
	v_pk_mov_b32 v[2:3], s[6:7], s[6:7] op_sel:[0,1]
	s_lshl_b64 s[6:7], s[6:7], 16
	s_waitcnt lgkmcnt(0)
	v_cmp_le_u64_e32 vcc, s[10:11], v[2:3]
	s_add_u32 s6, s0, s6
	s_addc_u32 s7, s1, s7
	s_mov_b64 s[0:1], -1
	s_cbranch_vccz .LBB2184_319
; %bb.1:
	s_load_dword s0, s[4:5], 0x10
	s_lshl_b32 s1, s10, 13
                                        ; implicit-def: $vgpr16_vgpr17
	s_waitcnt lgkmcnt(0)
	s_sub_i32 s16, s0, s1
	v_cmp_gt_u32_e32 vcc, s16, v0
	s_and_saveexec_b64 s[0:1], vcc
	s_cbranch_execz .LBB2184_3
; %bb.2:
	v_lshlrev_b32_e32 v1, 3, v0
	global_load_dwordx2 v[16:17], v1, s[6:7]
.LBB2184_3:
	s_or_b64 exec, exec, s[0:1]
	v_or_b32_e32 v24, 0x400, v0
	v_cmp_gt_u32_e32 vcc, s16, v24
                                        ; implicit-def: $vgpr14_vgpr15
	s_and_saveexec_b64 s[0:1], vcc
	s_cbranch_execz .LBB2184_5
; %bb.4:
	v_lshlrev_b32_e32 v1, 3, v24
	global_load_dwordx2 v[14:15], v1, s[6:7]
.LBB2184_5:
	s_or_b64 exec, exec, s[0:1]
	v_or_b32_e32 v23, 0x800, v0
	v_cmp_gt_u32_e32 vcc, s16, v23
                                        ; implicit-def: $vgpr12_vgpr13
	s_and_saveexec_b64 s[0:1], vcc
	s_cbranch_execz .LBB2184_7
; %bb.6:
	v_lshlrev_b32_e32 v1, 3, v23
	global_load_dwordx2 v[12:13], v1, s[6:7]
.LBB2184_7:
	s_or_b64 exec, exec, s[0:1]
	v_or_b32_e32 v22, 0xc00, v0
	v_cmp_gt_u32_e32 vcc, s16, v22
                                        ; implicit-def: $vgpr10_vgpr11
	s_and_saveexec_b64 s[0:1], vcc
	s_cbranch_execz .LBB2184_9
; %bb.8:
	v_lshlrev_b32_e32 v1, 3, v22
	global_load_dwordx2 v[10:11], v1, s[6:7]
.LBB2184_9:
	s_or_b64 exec, exec, s[0:1]
	v_or_b32_e32 v21, 0x1000, v0
	v_cmp_gt_u32_e32 vcc, s16, v21
                                        ; implicit-def: $vgpr8_vgpr9
	s_and_saveexec_b64 s[0:1], vcc
	s_cbranch_execz .LBB2184_11
; %bb.10:
	v_lshlrev_b32_e32 v1, 3, v21
	global_load_dwordx2 v[8:9], v1, s[6:7]
.LBB2184_11:
	s_or_b64 exec, exec, s[0:1]
	v_or_b32_e32 v20, 0x1400, v0
	v_cmp_gt_u32_e32 vcc, s16, v20
                                        ; implicit-def: $vgpr6_vgpr7
	s_and_saveexec_b64 s[0:1], vcc
	s_cbranch_execz .LBB2184_13
; %bb.12:
	v_lshlrev_b32_e32 v1, 3, v20
	global_load_dwordx2 v[6:7], v1, s[6:7]
.LBB2184_13:
	s_or_b64 exec, exec, s[0:1]
	v_or_b32_e32 v19, 0x1800, v0
	v_cmp_gt_u32_e32 vcc, s16, v19
                                        ; implicit-def: $vgpr4_vgpr5
	s_and_saveexec_b64 s[0:1], vcc
	s_cbranch_execz .LBB2184_15
; %bb.14:
	v_lshlrev_b32_e32 v1, 3, v19
	global_load_dwordx2 v[4:5], v1, s[6:7]
.LBB2184_15:
	s_or_b64 exec, exec, s[0:1]
	v_or_b32_e32 v18, 0x1c00, v0
	v_cmp_gt_u32_e32 vcc, s16, v18
                                        ; implicit-def: $vgpr2_vgpr3
	s_and_saveexec_b64 s[0:1], vcc
	s_cbranch_execz .LBB2184_17
; %bb.16:
	v_lshlrev_b32_e32 v1, 3, v18
	global_load_dwordx2 v[2:3], v1, s[6:7]
.LBB2184_17:
	s_or_b64 exec, exec, s[0:1]
	s_cmp_le_u32 s9, s8
	s_cselect_b64 s[4:5], -1, 0
	v_cmp_le_u32_e32 vcc, s16, v0
	s_and_b64 s[0:1], s[4:5], exec
	v_lshlrev_b32_e32 v25, 2, v0
	v_mov_b32_e32 v26, 0
	s_cselect_b32 s17, 8, 10
	s_or_b64 s[0:1], s[4:5], vcc
	v_and_b32_e32 v1, 3, v0
	ds_write2st64_b32 v25, v26, v26 offset1:16
	ds_write2st64_b32 v25, v26, v26 offset0:32 offset1:48
	ds_write2st64_b32 v25, v26, v26 offset0:64 offset1:80
	;; [unrolled: 1-line block ×3, first 2 shown]
	s_waitcnt vmcnt(0)
	v_xor_b32_e32 v17, 0x7fffffff, v17
	v_not_b32_e32 v16, v16
	s_xor_b64 s[10:11], s[0:1], -1
	v_mov_b32_e32 v25, s17
	s_waitcnt lgkmcnt(0)
	s_barrier
	s_and_saveexec_b64 s[0:1], s[10:11]
	s_cbranch_execz .LBB2184_19
; %bb.18:
	s_sub_i32 s10, s9, s8
	s_min_u32 s10, s10, 8
	v_lshrrev_b64 v[26:27], s8, v[16:17]
	v_bfe_u32 v25, v26, 0, s10
	v_lshlrev_b32_e32 v26, 2, v1
	v_lshl_or_b32 v25, v25, 4, v26
	v_mov_b32_e32 v26, 1
	ds_add_u32 v25, v26
	v_mov_b32_e32 v25, 0
.LBB2184_19:
	s_or_b64 exec, exec, s[0:1]
	v_cmp_gt_i32_e64 s[0:1], 10, v25
	s_mov_b64 s[12:13], -1
	s_and_saveexec_b64 s[10:11], s[0:1]
; %bb.20:
	v_cmp_eq_u32_e64 s[0:1], 0, v25
	s_orn2_b64 s[12:13], s[0:1], exec
; %bb.21:
	s_or_b64 exec, exec, s[10:11]
	s_and_saveexec_b64 s[10:11], s[12:13]
	s_cbranch_execz .LBB2184_54
; %bb.22:
	s_add_i32 s12, s8, 8
	s_cmp_le_u32 s9, s12
	s_cselect_b64 s[0:1], -1, 0
	s_and_b64 s[14:15], s[0:1], exec
	s_cselect_b32 s13, 8, 10
	s_or_b64 s[0:1], s[0:1], vcc
	s_xor_b64 s[14:15], s[0:1], -1
	v_mov_b32_e32 v25, s13
	s_and_saveexec_b64 s[0:1], s[14:15]
	s_cbranch_execz .LBB2184_24
; %bb.23:
	s_sub_i32 s13, s9, s12
	s_min_u32 s13, s13, 8
	v_lshrrev_b64 v[26:27], s12, v[16:17]
	v_bfe_u32 v25, v26, 0, s13
	v_lshlrev_b32_e32 v26, 2, v1
	v_lshl_or_b32 v25, v25, 4, v26
	v_mov_b32_e32 v26, 1
	ds_add_u32 v25, v26 offset:4096
	v_mov_b32_e32 v25, 0
.LBB2184_24:
	s_or_b64 exec, exec, s[0:1]
	v_cmp_gt_i32_e64 s[0:1], 10, v25
	s_mov_b64 s[12:13], -1
	s_and_saveexec_b64 s[14:15], s[0:1]
; %bb.25:
	v_cmp_eq_u32_e64 s[0:1], 0, v25
	s_orn2_b64 s[12:13], s[0:1], exec
; %bb.26:
	s_or_b64 exec, exec, s[14:15]
	s_and_b64 exec, exec, s[12:13]
	s_cbranch_execz .LBB2184_54
; %bb.27:
	s_add_i32 s12, s8, 16
	s_cmp_le_u32 s9, s12
	s_cselect_b64 s[0:1], -1, 0
	s_and_b64 s[14:15], s[0:1], exec
	s_cselect_b32 s13, 8, 10
	s_or_b64 s[0:1], s[0:1], vcc
	s_xor_b64 s[14:15], s[0:1], -1
	v_mov_b32_e32 v25, s13
	s_and_saveexec_b64 s[0:1], s[14:15]
	s_cbranch_execz .LBB2184_29
; %bb.28:
	s_sub_i32 s13, s9, s12
	s_min_u32 s13, s13, 8
	v_lshrrev_b64 v[26:27], s12, v[16:17]
	v_bfe_u32 v25, v26, 0, s13
	v_lshlrev_b32_e32 v26, 2, v1
	v_lshl_or_b32 v25, v25, 4, v26
	v_mov_b32_e32 v26, 1
	ds_add_u32 v25, v26 offset:8192
	v_mov_b32_e32 v25, 0
.LBB2184_29:
	s_or_b64 exec, exec, s[0:1]
	v_cmp_gt_i32_e64 s[0:1], 10, v25
	s_mov_b64 s[12:13], -1
	s_and_saveexec_b64 s[14:15], s[0:1]
; %bb.30:
	v_cmp_eq_u32_e64 s[0:1], 0, v25
	s_orn2_b64 s[12:13], s[0:1], exec
; %bb.31:
	s_or_b64 exec, exec, s[14:15]
	s_and_b64 exec, exec, s[12:13]
	;; [unrolled: 33-line block ×6, first 2 shown]
	s_cbranch_execz .LBB2184_54
; %bb.52:
	s_add_i32 s0, s8, 56
	s_cmp_gt_u32 s9, s0
	s_cselect_b64 s[12:13], -1, 0
	s_xor_b64 s[14:15], vcc, -1
	s_and_b64 s[12:13], s[12:13], s[14:15]
	s_and_b64 exec, exec, s[12:13]
	s_cbranch_execz .LBB2184_54
; %bb.53:
	s_sub_i32 s1, s9, s0
	s_min_u32 s1, s1, 8
	v_lshrrev_b64 v[16:17], s0, v[16:17]
	v_bfe_u32 v16, v16, 0, s1
	v_lshlrev_b32_e32 v17, 2, v1
	v_lshl_or_b32 v16, v16, 4, v17
	v_mov_b32_e32 v17, 1
	ds_add_u32 v16, v17 offset:28672
.LBB2184_54:
	s_or_b64 exec, exec, s[10:11]
	v_cmp_le_u32_e32 vcc, s16, v24
	s_or_b64 s[0:1], s[4:5], vcc
	v_xor_b32_e32 v15, 0x7fffffff, v15
	v_not_b32_e32 v14, v14
	s_xor_b64 s[10:11], s[0:1], -1
	v_mov_b32_e32 v16, s17
	s_and_saveexec_b64 s[0:1], s[10:11]
	s_cbranch_execz .LBB2184_56
; %bb.55:
	s_sub_i32 s10, s9, s8
	s_min_u32 s10, s10, 8
	v_lshrrev_b64 v[16:17], s8, v[14:15]
	v_bfe_u32 v16, v16, 0, s10
	v_lshlrev_b32_e32 v17, 2, v1
	v_lshl_or_b32 v16, v16, 4, v17
	v_mov_b32_e32 v17, 1
	ds_add_u32 v16, v17
	v_mov_b32_e32 v16, 0
.LBB2184_56:
	s_or_b64 exec, exec, s[0:1]
	v_cmp_gt_i32_e64 s[0:1], 10, v16
	s_mov_b64 s[12:13], -1
	s_and_saveexec_b64 s[10:11], s[0:1]
; %bb.57:
	v_cmp_eq_u32_e64 s[0:1], 0, v16
	s_orn2_b64 s[12:13], s[0:1], exec
; %bb.58:
	s_or_b64 exec, exec, s[10:11]
	s_and_saveexec_b64 s[10:11], s[12:13]
	s_cbranch_execz .LBB2184_91
; %bb.59:
	s_add_i32 s12, s8, 8
	s_cmp_le_u32 s9, s12
	s_cselect_b64 s[0:1], -1, 0
	s_and_b64 s[14:15], s[0:1], exec
	s_cselect_b32 s13, 8, 10
	s_or_b64 s[0:1], s[0:1], vcc
	s_xor_b64 s[14:15], s[0:1], -1
	v_mov_b32_e32 v16, s13
	s_and_saveexec_b64 s[0:1], s[14:15]
	s_cbranch_execz .LBB2184_61
; %bb.60:
	s_sub_i32 s13, s9, s12
	s_min_u32 s13, s13, 8
	v_lshrrev_b64 v[16:17], s12, v[14:15]
	v_bfe_u32 v16, v16, 0, s13
	v_lshlrev_b32_e32 v17, 2, v1
	v_lshl_or_b32 v16, v16, 4, v17
	v_mov_b32_e32 v17, 1
	ds_add_u32 v16, v17 offset:4096
	v_mov_b32_e32 v16, 0
.LBB2184_61:
	s_or_b64 exec, exec, s[0:1]
	v_cmp_gt_i32_e64 s[0:1], 10, v16
	s_mov_b64 s[12:13], -1
	s_and_saveexec_b64 s[14:15], s[0:1]
; %bb.62:
	v_cmp_eq_u32_e64 s[0:1], 0, v16
	s_orn2_b64 s[12:13], s[0:1], exec
; %bb.63:
	s_or_b64 exec, exec, s[14:15]
	s_and_b64 exec, exec, s[12:13]
	s_cbranch_execz .LBB2184_91
; %bb.64:
	s_add_i32 s12, s8, 16
	s_cmp_le_u32 s9, s12
	s_cselect_b64 s[0:1], -1, 0
	s_and_b64 s[14:15], s[0:1], exec
	s_cselect_b32 s13, 8, 10
	s_or_b64 s[0:1], s[0:1], vcc
	s_xor_b64 s[14:15], s[0:1], -1
	v_mov_b32_e32 v16, s13
	s_and_saveexec_b64 s[0:1], s[14:15]
	s_cbranch_execz .LBB2184_66
; %bb.65:
	s_sub_i32 s13, s9, s12
	s_min_u32 s13, s13, 8
	v_lshrrev_b64 v[16:17], s12, v[14:15]
	v_bfe_u32 v16, v16, 0, s13
	v_lshlrev_b32_e32 v17, 2, v1
	v_lshl_or_b32 v16, v16, 4, v17
	v_mov_b32_e32 v17, 1
	ds_add_u32 v16, v17 offset:8192
	v_mov_b32_e32 v16, 0
.LBB2184_66:
	s_or_b64 exec, exec, s[0:1]
	v_cmp_gt_i32_e64 s[0:1], 10, v16
	s_mov_b64 s[12:13], -1
	s_and_saveexec_b64 s[14:15], s[0:1]
; %bb.67:
	v_cmp_eq_u32_e64 s[0:1], 0, v16
	s_orn2_b64 s[12:13], s[0:1], exec
; %bb.68:
	s_or_b64 exec, exec, s[14:15]
	s_and_b64 exec, exec, s[12:13]
	;; [unrolled: 33-line block ×6, first 2 shown]
	s_cbranch_execz .LBB2184_91
; %bb.89:
	s_add_i32 s0, s8, 56
	s_cmp_gt_u32 s9, s0
	s_cselect_b64 s[12:13], -1, 0
	s_xor_b64 s[14:15], vcc, -1
	s_and_b64 s[12:13], s[12:13], s[14:15]
	s_and_b64 exec, exec, s[12:13]
	s_cbranch_execz .LBB2184_91
; %bb.90:
	s_sub_i32 s1, s9, s0
	s_min_u32 s1, s1, 8
	v_lshrrev_b64 v[14:15], s0, v[14:15]
	v_bfe_u32 v14, v14, 0, s1
	v_lshlrev_b32_e32 v15, 2, v1
	v_lshl_or_b32 v14, v14, 4, v15
	v_mov_b32_e32 v15, 1
	ds_add_u32 v14, v15 offset:28672
.LBB2184_91:
	s_or_b64 exec, exec, s[10:11]
	v_cmp_le_u32_e32 vcc, s16, v23
	s_or_b64 s[0:1], s[4:5], vcc
	v_xor_b32_e32 v13, 0x7fffffff, v13
	v_not_b32_e32 v12, v12
	s_xor_b64 s[10:11], s[0:1], -1
	v_mov_b32_e32 v14, s17
	s_and_saveexec_b64 s[0:1], s[10:11]
	s_cbranch_execz .LBB2184_93
; %bb.92:
	s_sub_i32 s10, s9, s8
	s_min_u32 s10, s10, 8
	v_lshrrev_b64 v[14:15], s8, v[12:13]
	v_bfe_u32 v14, v14, 0, s10
	v_lshlrev_b32_e32 v15, 2, v1
	v_lshl_or_b32 v14, v14, 4, v15
	v_mov_b32_e32 v15, 1
	ds_add_u32 v14, v15
	v_mov_b32_e32 v14, 0
.LBB2184_93:
	s_or_b64 exec, exec, s[0:1]
	v_cmp_gt_i32_e64 s[0:1], 10, v14
	s_mov_b64 s[12:13], -1
	s_and_saveexec_b64 s[10:11], s[0:1]
; %bb.94:
	v_cmp_eq_u32_e64 s[0:1], 0, v14
	s_orn2_b64 s[12:13], s[0:1], exec
; %bb.95:
	s_or_b64 exec, exec, s[10:11]
	s_and_saveexec_b64 s[10:11], s[12:13]
	s_cbranch_execz .LBB2184_128
; %bb.96:
	s_add_i32 s12, s8, 8
	s_cmp_le_u32 s9, s12
	s_cselect_b64 s[0:1], -1, 0
	s_and_b64 s[14:15], s[0:1], exec
	s_cselect_b32 s13, 8, 10
	s_or_b64 s[0:1], s[0:1], vcc
	s_xor_b64 s[14:15], s[0:1], -1
	v_mov_b32_e32 v14, s13
	s_and_saveexec_b64 s[0:1], s[14:15]
	s_cbranch_execz .LBB2184_98
; %bb.97:
	s_sub_i32 s13, s9, s12
	s_min_u32 s13, s13, 8
	v_lshrrev_b64 v[14:15], s12, v[12:13]
	v_bfe_u32 v14, v14, 0, s13
	v_lshlrev_b32_e32 v15, 2, v1
	v_lshl_or_b32 v14, v14, 4, v15
	v_mov_b32_e32 v15, 1
	ds_add_u32 v14, v15 offset:4096
	v_mov_b32_e32 v14, 0
.LBB2184_98:
	s_or_b64 exec, exec, s[0:1]
	v_cmp_gt_i32_e64 s[0:1], 10, v14
	s_mov_b64 s[12:13], -1
	s_and_saveexec_b64 s[14:15], s[0:1]
; %bb.99:
	v_cmp_eq_u32_e64 s[0:1], 0, v14
	s_orn2_b64 s[12:13], s[0:1], exec
; %bb.100:
	s_or_b64 exec, exec, s[14:15]
	s_and_b64 exec, exec, s[12:13]
	s_cbranch_execz .LBB2184_128
; %bb.101:
	s_add_i32 s12, s8, 16
	s_cmp_le_u32 s9, s12
	s_cselect_b64 s[0:1], -1, 0
	s_and_b64 s[14:15], s[0:1], exec
	s_cselect_b32 s13, 8, 10
	s_or_b64 s[0:1], s[0:1], vcc
	s_xor_b64 s[14:15], s[0:1], -1
	v_mov_b32_e32 v14, s13
	s_and_saveexec_b64 s[0:1], s[14:15]
	s_cbranch_execz .LBB2184_103
; %bb.102:
	s_sub_i32 s13, s9, s12
	s_min_u32 s13, s13, 8
	v_lshrrev_b64 v[14:15], s12, v[12:13]
	v_bfe_u32 v14, v14, 0, s13
	v_lshlrev_b32_e32 v15, 2, v1
	v_lshl_or_b32 v14, v14, 4, v15
	v_mov_b32_e32 v15, 1
	ds_add_u32 v14, v15 offset:8192
	v_mov_b32_e32 v14, 0
.LBB2184_103:
	s_or_b64 exec, exec, s[0:1]
	v_cmp_gt_i32_e64 s[0:1], 10, v14
	s_mov_b64 s[12:13], -1
	s_and_saveexec_b64 s[14:15], s[0:1]
; %bb.104:
	v_cmp_eq_u32_e64 s[0:1], 0, v14
	s_orn2_b64 s[12:13], s[0:1], exec
; %bb.105:
	s_or_b64 exec, exec, s[14:15]
	s_and_b64 exec, exec, s[12:13]
	;; [unrolled: 33-line block ×6, first 2 shown]
	s_cbranch_execz .LBB2184_128
; %bb.126:
	s_add_i32 s0, s8, 56
	s_cmp_gt_u32 s9, s0
	s_cselect_b64 s[12:13], -1, 0
	s_xor_b64 s[14:15], vcc, -1
	s_and_b64 s[12:13], s[12:13], s[14:15]
	s_and_b64 exec, exec, s[12:13]
	s_cbranch_execz .LBB2184_128
; %bb.127:
	s_sub_i32 s1, s9, s0
	s_min_u32 s1, s1, 8
	v_lshrrev_b64 v[12:13], s0, v[12:13]
	v_bfe_u32 v12, v12, 0, s1
	v_lshlrev_b32_e32 v13, 2, v1
	v_lshl_or_b32 v12, v12, 4, v13
	v_mov_b32_e32 v13, 1
	ds_add_u32 v12, v13 offset:28672
.LBB2184_128:
	s_or_b64 exec, exec, s[10:11]
	v_cmp_le_u32_e32 vcc, s16, v22
	s_or_b64 s[0:1], s[4:5], vcc
	v_xor_b32_e32 v11, 0x7fffffff, v11
	v_not_b32_e32 v10, v10
	s_xor_b64 s[10:11], s[0:1], -1
	v_mov_b32_e32 v12, s17
	s_and_saveexec_b64 s[0:1], s[10:11]
	s_cbranch_execz .LBB2184_130
; %bb.129:
	s_sub_i32 s10, s9, s8
	s_min_u32 s10, s10, 8
	v_lshrrev_b64 v[12:13], s8, v[10:11]
	v_bfe_u32 v12, v12, 0, s10
	v_lshlrev_b32_e32 v13, 2, v1
	v_lshl_or_b32 v12, v12, 4, v13
	v_mov_b32_e32 v13, 1
	ds_add_u32 v12, v13
	v_mov_b32_e32 v12, 0
.LBB2184_130:
	s_or_b64 exec, exec, s[0:1]
	v_cmp_gt_i32_e64 s[0:1], 10, v12
	s_mov_b64 s[12:13], -1
	s_and_saveexec_b64 s[10:11], s[0:1]
; %bb.131:
	v_cmp_eq_u32_e64 s[0:1], 0, v12
	s_orn2_b64 s[12:13], s[0:1], exec
; %bb.132:
	s_or_b64 exec, exec, s[10:11]
	s_and_saveexec_b64 s[10:11], s[12:13]
	s_cbranch_execz .LBB2184_165
; %bb.133:
	s_add_i32 s12, s8, 8
	s_cmp_le_u32 s9, s12
	s_cselect_b64 s[0:1], -1, 0
	s_and_b64 s[14:15], s[0:1], exec
	s_cselect_b32 s13, 8, 10
	s_or_b64 s[0:1], s[0:1], vcc
	s_xor_b64 s[14:15], s[0:1], -1
	v_mov_b32_e32 v12, s13
	s_and_saveexec_b64 s[0:1], s[14:15]
	s_cbranch_execz .LBB2184_135
; %bb.134:
	s_sub_i32 s13, s9, s12
	s_min_u32 s13, s13, 8
	v_lshrrev_b64 v[12:13], s12, v[10:11]
	v_bfe_u32 v12, v12, 0, s13
	v_lshlrev_b32_e32 v13, 2, v1
	v_lshl_or_b32 v12, v12, 4, v13
	v_mov_b32_e32 v13, 1
	ds_add_u32 v12, v13 offset:4096
	v_mov_b32_e32 v12, 0
.LBB2184_135:
	s_or_b64 exec, exec, s[0:1]
	v_cmp_gt_i32_e64 s[0:1], 10, v12
	s_mov_b64 s[12:13], -1
	s_and_saveexec_b64 s[14:15], s[0:1]
; %bb.136:
	v_cmp_eq_u32_e64 s[0:1], 0, v12
	s_orn2_b64 s[12:13], s[0:1], exec
; %bb.137:
	s_or_b64 exec, exec, s[14:15]
	s_and_b64 exec, exec, s[12:13]
	s_cbranch_execz .LBB2184_165
; %bb.138:
	s_add_i32 s12, s8, 16
	s_cmp_le_u32 s9, s12
	s_cselect_b64 s[0:1], -1, 0
	s_and_b64 s[14:15], s[0:1], exec
	s_cselect_b32 s13, 8, 10
	s_or_b64 s[0:1], s[0:1], vcc
	s_xor_b64 s[14:15], s[0:1], -1
	v_mov_b32_e32 v12, s13
	s_and_saveexec_b64 s[0:1], s[14:15]
	s_cbranch_execz .LBB2184_140
; %bb.139:
	s_sub_i32 s13, s9, s12
	s_min_u32 s13, s13, 8
	v_lshrrev_b64 v[12:13], s12, v[10:11]
	v_bfe_u32 v12, v12, 0, s13
	v_lshlrev_b32_e32 v13, 2, v1
	v_lshl_or_b32 v12, v12, 4, v13
	v_mov_b32_e32 v13, 1
	ds_add_u32 v12, v13 offset:8192
	v_mov_b32_e32 v12, 0
.LBB2184_140:
	s_or_b64 exec, exec, s[0:1]
	v_cmp_gt_i32_e64 s[0:1], 10, v12
	s_mov_b64 s[12:13], -1
	s_and_saveexec_b64 s[14:15], s[0:1]
; %bb.141:
	v_cmp_eq_u32_e64 s[0:1], 0, v12
	s_orn2_b64 s[12:13], s[0:1], exec
; %bb.142:
	s_or_b64 exec, exec, s[14:15]
	s_and_b64 exec, exec, s[12:13]
	s_cbranch_execz .LBB2184_165
; %bb.143:
	s_add_i32 s12, s8, 24
	s_cmp_le_u32 s9, s12
	s_cselect_b64 s[0:1], -1, 0
	s_and_b64 s[14:15], s[0:1], exec
	s_cselect_b32 s13, 8, 10
	s_or_b64 s[0:1], s[0:1], vcc
	s_xor_b64 s[14:15], s[0:1], -1
	v_mov_b32_e32 v12, s13
	s_and_saveexec_b64 s[0:1], s[14:15]
	s_cbranch_execz .LBB2184_145
; %bb.144:
	s_sub_i32 s13, s9, s12
	s_min_u32 s13, s13, 8
	v_lshrrev_b64 v[12:13], s12, v[10:11]
	v_bfe_u32 v12, v12, 0, s13
	v_lshlrev_b32_e32 v13, 2, v1
	v_lshl_or_b32 v12, v12, 4, v13
	v_mov_b32_e32 v13, 1
	ds_add_u32 v12, v13 offset:12288
	v_mov_b32_e32 v12, 0
.LBB2184_145:
	s_or_b64 exec, exec, s[0:1]
	v_cmp_gt_i32_e64 s[0:1], 10, v12
	s_mov_b64 s[12:13], -1
	s_and_saveexec_b64 s[14:15], s[0:1]
; %bb.146:
	v_cmp_eq_u32_e64 s[0:1], 0, v12
	s_orn2_b64 s[12:13], s[0:1], exec
; %bb.147:
	s_or_b64 exec, exec, s[14:15]
	s_and_b64 exec, exec, s[12:13]
	s_cbranch_execz .LBB2184_165
; %bb.148:
	s_add_i32 s12, s8, 32
	s_cmp_le_u32 s9, s12
	s_cselect_b64 s[0:1], -1, 0
	s_and_b64 s[14:15], s[0:1], exec
	s_cselect_b32 s13, 8, 10
	s_or_b64 s[0:1], s[0:1], vcc
	s_xor_b64 s[14:15], s[0:1], -1
	v_mov_b32_e32 v12, s13
	s_and_saveexec_b64 s[0:1], s[14:15]
	s_cbranch_execz .LBB2184_150
; %bb.149:
	s_sub_i32 s13, s9, s12
	s_min_u32 s13, s13, 8
	v_lshrrev_b64 v[12:13], s12, v[10:11]
	v_bfe_u32 v12, v12, 0, s13
	v_lshlrev_b32_e32 v13, 2, v1
	v_lshl_or_b32 v12, v12, 4, v13
	v_mov_b32_e32 v13, 1
	ds_add_u32 v12, v13 offset:16384
	v_mov_b32_e32 v12, 0
.LBB2184_150:
	s_or_b64 exec, exec, s[0:1]
	v_cmp_gt_i32_e64 s[0:1], 10, v12
	s_mov_b64 s[12:13], -1
	s_and_saveexec_b64 s[14:15], s[0:1]
; %bb.151:
	v_cmp_eq_u32_e64 s[0:1], 0, v12
	s_orn2_b64 s[12:13], s[0:1], exec
; %bb.152:
	s_or_b64 exec, exec, s[14:15]
	s_and_b64 exec, exec, s[12:13]
	s_cbranch_execz .LBB2184_165
; %bb.153:
	s_add_i32 s12, s8, 40
	s_cmp_le_u32 s9, s12
	s_cselect_b64 s[0:1], -1, 0
	s_and_b64 s[14:15], s[0:1], exec
	s_cselect_b32 s13, 8, 10
	s_or_b64 s[0:1], s[0:1], vcc
	s_xor_b64 s[14:15], s[0:1], -1
	v_mov_b32_e32 v12, s13
	s_and_saveexec_b64 s[0:1], s[14:15]
	s_cbranch_execz .LBB2184_155
; %bb.154:
	s_sub_i32 s13, s9, s12
	s_min_u32 s13, s13, 8
	v_lshrrev_b64 v[12:13], s12, v[10:11]
	v_bfe_u32 v12, v12, 0, s13
	v_lshlrev_b32_e32 v13, 2, v1
	v_lshl_or_b32 v12, v12, 4, v13
	v_mov_b32_e32 v13, 1
	ds_add_u32 v12, v13 offset:20480
	v_mov_b32_e32 v12, 0
.LBB2184_155:
	s_or_b64 exec, exec, s[0:1]
	v_cmp_gt_i32_e64 s[0:1], 10, v12
	s_mov_b64 s[12:13], -1
	s_and_saveexec_b64 s[14:15], s[0:1]
; %bb.156:
	v_cmp_eq_u32_e64 s[0:1], 0, v12
	s_orn2_b64 s[12:13], s[0:1], exec
; %bb.157:
	s_or_b64 exec, exec, s[14:15]
	s_and_b64 exec, exec, s[12:13]
	s_cbranch_execz .LBB2184_165
; %bb.158:
	s_add_i32 s12, s8, 48
	s_cmp_le_u32 s9, s12
	s_cselect_b64 s[0:1], -1, 0
	s_and_b64 s[14:15], s[0:1], exec
	s_cselect_b32 s13, 8, 10
	s_or_b64 s[0:1], s[0:1], vcc
	s_xor_b64 s[14:15], s[0:1], -1
	v_mov_b32_e32 v12, s13
	s_and_saveexec_b64 s[0:1], s[14:15]
	s_cbranch_execz .LBB2184_160
; %bb.159:
	s_sub_i32 s13, s9, s12
	s_min_u32 s13, s13, 8
	v_lshrrev_b64 v[12:13], s12, v[10:11]
	v_bfe_u32 v12, v12, 0, s13
	v_lshlrev_b32_e32 v13, 2, v1
	v_lshl_or_b32 v12, v12, 4, v13
	v_mov_b32_e32 v13, 1
	ds_add_u32 v12, v13 offset:24576
	v_mov_b32_e32 v12, 0
.LBB2184_160:
	s_or_b64 exec, exec, s[0:1]
	v_cmp_gt_i32_e64 s[0:1], 10, v12
	s_mov_b64 s[12:13], -1
	s_and_saveexec_b64 s[14:15], s[0:1]
; %bb.161:
	v_cmp_eq_u32_e64 s[0:1], 0, v12
	s_orn2_b64 s[12:13], s[0:1], exec
; %bb.162:
	s_or_b64 exec, exec, s[14:15]
	s_and_b64 exec, exec, s[12:13]
	s_cbranch_execz .LBB2184_165
; %bb.163:
	s_add_i32 s0, s8, 56
	s_cmp_gt_u32 s9, s0
	s_cselect_b64 s[12:13], -1, 0
	s_xor_b64 s[14:15], vcc, -1
	s_and_b64 s[12:13], s[12:13], s[14:15]
	s_and_b64 exec, exec, s[12:13]
	s_cbranch_execz .LBB2184_165
; %bb.164:
	s_sub_i32 s1, s9, s0
	s_min_u32 s1, s1, 8
	v_lshrrev_b64 v[10:11], s0, v[10:11]
	v_bfe_u32 v10, v10, 0, s1
	v_lshlrev_b32_e32 v11, 2, v1
	v_lshl_or_b32 v10, v10, 4, v11
	v_mov_b32_e32 v11, 1
	ds_add_u32 v10, v11 offset:28672
.LBB2184_165:
	s_or_b64 exec, exec, s[10:11]
	v_cmp_le_u32_e32 vcc, s16, v21
	s_or_b64 s[0:1], s[4:5], vcc
	v_xor_b32_e32 v9, 0x7fffffff, v9
	v_not_b32_e32 v8, v8
	s_xor_b64 s[10:11], s[0:1], -1
	v_mov_b32_e32 v10, s17
	s_and_saveexec_b64 s[0:1], s[10:11]
	s_cbranch_execz .LBB2184_167
; %bb.166:
	s_sub_i32 s10, s9, s8
	s_min_u32 s10, s10, 8
	v_lshrrev_b64 v[10:11], s8, v[8:9]
	v_bfe_u32 v10, v10, 0, s10
	v_lshlrev_b32_e32 v11, 2, v1
	v_lshl_or_b32 v10, v10, 4, v11
	v_mov_b32_e32 v11, 1
	ds_add_u32 v10, v11
	v_mov_b32_e32 v10, 0
.LBB2184_167:
	s_or_b64 exec, exec, s[0:1]
	v_cmp_gt_i32_e64 s[0:1], 10, v10
	s_mov_b64 s[12:13], -1
	s_and_saveexec_b64 s[10:11], s[0:1]
; %bb.168:
	v_cmp_eq_u32_e64 s[0:1], 0, v10
	s_orn2_b64 s[12:13], s[0:1], exec
; %bb.169:
	s_or_b64 exec, exec, s[10:11]
	s_and_saveexec_b64 s[10:11], s[12:13]
	s_cbranch_execz .LBB2184_202
; %bb.170:
	s_add_i32 s12, s8, 8
	s_cmp_le_u32 s9, s12
	s_cselect_b64 s[0:1], -1, 0
	s_and_b64 s[14:15], s[0:1], exec
	s_cselect_b32 s13, 8, 10
	s_or_b64 s[0:1], s[0:1], vcc
	s_xor_b64 s[14:15], s[0:1], -1
	v_mov_b32_e32 v10, s13
	s_and_saveexec_b64 s[0:1], s[14:15]
	s_cbranch_execz .LBB2184_172
; %bb.171:
	s_sub_i32 s13, s9, s12
	s_min_u32 s13, s13, 8
	v_lshrrev_b64 v[10:11], s12, v[8:9]
	v_bfe_u32 v10, v10, 0, s13
	v_lshlrev_b32_e32 v11, 2, v1
	v_lshl_or_b32 v10, v10, 4, v11
	v_mov_b32_e32 v11, 1
	ds_add_u32 v10, v11 offset:4096
	v_mov_b32_e32 v10, 0
.LBB2184_172:
	s_or_b64 exec, exec, s[0:1]
	v_cmp_gt_i32_e64 s[0:1], 10, v10
	s_mov_b64 s[12:13], -1
	s_and_saveexec_b64 s[14:15], s[0:1]
; %bb.173:
	v_cmp_eq_u32_e64 s[0:1], 0, v10
	s_orn2_b64 s[12:13], s[0:1], exec
; %bb.174:
	s_or_b64 exec, exec, s[14:15]
	s_and_b64 exec, exec, s[12:13]
	s_cbranch_execz .LBB2184_202
; %bb.175:
	s_add_i32 s12, s8, 16
	s_cmp_le_u32 s9, s12
	s_cselect_b64 s[0:1], -1, 0
	s_and_b64 s[14:15], s[0:1], exec
	s_cselect_b32 s13, 8, 10
	s_or_b64 s[0:1], s[0:1], vcc
	s_xor_b64 s[14:15], s[0:1], -1
	v_mov_b32_e32 v10, s13
	s_and_saveexec_b64 s[0:1], s[14:15]
	s_cbranch_execz .LBB2184_177
; %bb.176:
	s_sub_i32 s13, s9, s12
	s_min_u32 s13, s13, 8
	v_lshrrev_b64 v[10:11], s12, v[8:9]
	v_bfe_u32 v10, v10, 0, s13
	v_lshlrev_b32_e32 v11, 2, v1
	v_lshl_or_b32 v10, v10, 4, v11
	v_mov_b32_e32 v11, 1
	ds_add_u32 v10, v11 offset:8192
	v_mov_b32_e32 v10, 0
.LBB2184_177:
	s_or_b64 exec, exec, s[0:1]
	v_cmp_gt_i32_e64 s[0:1], 10, v10
	s_mov_b64 s[12:13], -1
	s_and_saveexec_b64 s[14:15], s[0:1]
; %bb.178:
	v_cmp_eq_u32_e64 s[0:1], 0, v10
	s_orn2_b64 s[12:13], s[0:1], exec
; %bb.179:
	s_or_b64 exec, exec, s[14:15]
	s_and_b64 exec, exec, s[12:13]
	;; [unrolled: 33-line block ×6, first 2 shown]
	s_cbranch_execz .LBB2184_202
; %bb.200:
	s_add_i32 s0, s8, 56
	s_cmp_gt_u32 s9, s0
	s_cselect_b64 s[12:13], -1, 0
	s_xor_b64 s[14:15], vcc, -1
	s_and_b64 s[12:13], s[12:13], s[14:15]
	s_and_b64 exec, exec, s[12:13]
	s_cbranch_execz .LBB2184_202
; %bb.201:
	s_sub_i32 s1, s9, s0
	s_min_u32 s1, s1, 8
	v_lshrrev_b64 v[8:9], s0, v[8:9]
	v_bfe_u32 v8, v8, 0, s1
	v_lshlrev_b32_e32 v9, 2, v1
	v_lshl_or_b32 v8, v8, 4, v9
	v_mov_b32_e32 v9, 1
	ds_add_u32 v8, v9 offset:28672
.LBB2184_202:
	s_or_b64 exec, exec, s[10:11]
	v_cmp_le_u32_e32 vcc, s16, v20
	s_or_b64 s[0:1], s[4:5], vcc
	v_xor_b32_e32 v7, 0x7fffffff, v7
	v_not_b32_e32 v6, v6
	s_xor_b64 s[10:11], s[0:1], -1
	v_mov_b32_e32 v8, s17
	s_and_saveexec_b64 s[0:1], s[10:11]
	s_cbranch_execz .LBB2184_204
; %bb.203:
	s_sub_i32 s10, s9, s8
	s_min_u32 s10, s10, 8
	v_lshrrev_b64 v[8:9], s8, v[6:7]
	v_bfe_u32 v8, v8, 0, s10
	v_lshlrev_b32_e32 v9, 2, v1
	v_lshl_or_b32 v8, v8, 4, v9
	v_mov_b32_e32 v9, 1
	ds_add_u32 v8, v9
	v_mov_b32_e32 v8, 0
.LBB2184_204:
	s_or_b64 exec, exec, s[0:1]
	v_cmp_gt_i32_e64 s[0:1], 10, v8
	s_mov_b64 s[12:13], -1
	s_and_saveexec_b64 s[10:11], s[0:1]
; %bb.205:
	v_cmp_eq_u32_e64 s[0:1], 0, v8
	s_orn2_b64 s[12:13], s[0:1], exec
; %bb.206:
	s_or_b64 exec, exec, s[10:11]
	s_and_saveexec_b64 s[10:11], s[12:13]
	s_cbranch_execz .LBB2184_239
; %bb.207:
	s_add_i32 s12, s8, 8
	s_cmp_le_u32 s9, s12
	s_cselect_b64 s[0:1], -1, 0
	s_and_b64 s[14:15], s[0:1], exec
	s_cselect_b32 s13, 8, 10
	s_or_b64 s[0:1], s[0:1], vcc
	s_xor_b64 s[14:15], s[0:1], -1
	v_mov_b32_e32 v8, s13
	s_and_saveexec_b64 s[0:1], s[14:15]
	s_cbranch_execz .LBB2184_209
; %bb.208:
	s_sub_i32 s13, s9, s12
	s_min_u32 s13, s13, 8
	v_lshrrev_b64 v[8:9], s12, v[6:7]
	v_bfe_u32 v8, v8, 0, s13
	v_lshlrev_b32_e32 v9, 2, v1
	v_lshl_or_b32 v8, v8, 4, v9
	v_mov_b32_e32 v9, 1
	ds_add_u32 v8, v9 offset:4096
	v_mov_b32_e32 v8, 0
.LBB2184_209:
	s_or_b64 exec, exec, s[0:1]
	v_cmp_gt_i32_e64 s[0:1], 10, v8
	s_mov_b64 s[12:13], -1
	s_and_saveexec_b64 s[14:15], s[0:1]
; %bb.210:
	v_cmp_eq_u32_e64 s[0:1], 0, v8
	s_orn2_b64 s[12:13], s[0:1], exec
; %bb.211:
	s_or_b64 exec, exec, s[14:15]
	s_and_b64 exec, exec, s[12:13]
	s_cbranch_execz .LBB2184_239
; %bb.212:
	s_add_i32 s12, s8, 16
	s_cmp_le_u32 s9, s12
	s_cselect_b64 s[0:1], -1, 0
	s_and_b64 s[14:15], s[0:1], exec
	s_cselect_b32 s13, 8, 10
	s_or_b64 s[0:1], s[0:1], vcc
	s_xor_b64 s[14:15], s[0:1], -1
	v_mov_b32_e32 v8, s13
	s_and_saveexec_b64 s[0:1], s[14:15]
	s_cbranch_execz .LBB2184_214
; %bb.213:
	s_sub_i32 s13, s9, s12
	s_min_u32 s13, s13, 8
	v_lshrrev_b64 v[8:9], s12, v[6:7]
	v_bfe_u32 v8, v8, 0, s13
	v_lshlrev_b32_e32 v9, 2, v1
	v_lshl_or_b32 v8, v8, 4, v9
	v_mov_b32_e32 v9, 1
	ds_add_u32 v8, v9 offset:8192
	v_mov_b32_e32 v8, 0
.LBB2184_214:
	s_or_b64 exec, exec, s[0:1]
	v_cmp_gt_i32_e64 s[0:1], 10, v8
	s_mov_b64 s[12:13], -1
	s_and_saveexec_b64 s[14:15], s[0:1]
; %bb.215:
	v_cmp_eq_u32_e64 s[0:1], 0, v8
	s_orn2_b64 s[12:13], s[0:1], exec
; %bb.216:
	s_or_b64 exec, exec, s[14:15]
	s_and_b64 exec, exec, s[12:13]
	;; [unrolled: 33-line block ×6, first 2 shown]
	s_cbranch_execz .LBB2184_239
; %bb.237:
	s_add_i32 s0, s8, 56
	s_cmp_gt_u32 s9, s0
	s_cselect_b64 s[12:13], -1, 0
	s_xor_b64 s[14:15], vcc, -1
	s_and_b64 s[12:13], s[12:13], s[14:15]
	s_and_b64 exec, exec, s[12:13]
	s_cbranch_execz .LBB2184_239
; %bb.238:
	s_sub_i32 s1, s9, s0
	s_min_u32 s1, s1, 8
	v_lshrrev_b64 v[6:7], s0, v[6:7]
	v_bfe_u32 v6, v6, 0, s1
	v_lshlrev_b32_e32 v7, 2, v1
	v_lshl_or_b32 v6, v6, 4, v7
	v_mov_b32_e32 v7, 1
	ds_add_u32 v6, v7 offset:28672
.LBB2184_239:
	s_or_b64 exec, exec, s[10:11]
	v_cmp_le_u32_e32 vcc, s16, v19
	s_or_b64 s[0:1], s[4:5], vcc
	v_xor_b32_e32 v5, 0x7fffffff, v5
	v_not_b32_e32 v4, v4
	s_xor_b64 s[10:11], s[0:1], -1
	v_mov_b32_e32 v6, s17
	s_and_saveexec_b64 s[0:1], s[10:11]
	s_cbranch_execz .LBB2184_241
; %bb.240:
	s_sub_i32 s10, s9, s8
	s_min_u32 s10, s10, 8
	v_lshrrev_b64 v[6:7], s8, v[4:5]
	v_bfe_u32 v6, v6, 0, s10
	v_lshlrev_b32_e32 v7, 2, v1
	v_lshl_or_b32 v6, v6, 4, v7
	v_mov_b32_e32 v7, 1
	ds_add_u32 v6, v7
	v_mov_b32_e32 v6, 0
.LBB2184_241:
	s_or_b64 exec, exec, s[0:1]
	v_cmp_gt_i32_e64 s[0:1], 10, v6
	s_mov_b64 s[12:13], -1
	s_and_saveexec_b64 s[10:11], s[0:1]
; %bb.242:
	v_cmp_eq_u32_e64 s[0:1], 0, v6
	s_orn2_b64 s[12:13], s[0:1], exec
; %bb.243:
	s_or_b64 exec, exec, s[10:11]
	s_and_saveexec_b64 s[10:11], s[12:13]
	s_cbranch_execz .LBB2184_276
; %bb.244:
	s_add_i32 s12, s8, 8
	s_cmp_le_u32 s9, s12
	s_cselect_b64 s[0:1], -1, 0
	s_and_b64 s[14:15], s[0:1], exec
	s_cselect_b32 s13, 8, 10
	s_or_b64 s[0:1], s[0:1], vcc
	s_xor_b64 s[14:15], s[0:1], -1
	v_mov_b32_e32 v6, s13
	s_and_saveexec_b64 s[0:1], s[14:15]
	s_cbranch_execz .LBB2184_246
; %bb.245:
	s_sub_i32 s13, s9, s12
	s_min_u32 s13, s13, 8
	v_lshrrev_b64 v[6:7], s12, v[4:5]
	v_bfe_u32 v6, v6, 0, s13
	v_lshlrev_b32_e32 v7, 2, v1
	v_lshl_or_b32 v6, v6, 4, v7
	v_mov_b32_e32 v7, 1
	ds_add_u32 v6, v7 offset:4096
	v_mov_b32_e32 v6, 0
.LBB2184_246:
	s_or_b64 exec, exec, s[0:1]
	v_cmp_gt_i32_e64 s[0:1], 10, v6
	s_mov_b64 s[12:13], -1
	s_and_saveexec_b64 s[14:15], s[0:1]
; %bb.247:
	v_cmp_eq_u32_e64 s[0:1], 0, v6
	s_orn2_b64 s[12:13], s[0:1], exec
; %bb.248:
	s_or_b64 exec, exec, s[14:15]
	s_and_b64 exec, exec, s[12:13]
	s_cbranch_execz .LBB2184_276
; %bb.249:
	s_add_i32 s12, s8, 16
	s_cmp_le_u32 s9, s12
	s_cselect_b64 s[0:1], -1, 0
	s_and_b64 s[14:15], s[0:1], exec
	s_cselect_b32 s13, 8, 10
	s_or_b64 s[0:1], s[0:1], vcc
	s_xor_b64 s[14:15], s[0:1], -1
	v_mov_b32_e32 v6, s13
	s_and_saveexec_b64 s[0:1], s[14:15]
	s_cbranch_execz .LBB2184_251
; %bb.250:
	s_sub_i32 s13, s9, s12
	s_min_u32 s13, s13, 8
	v_lshrrev_b64 v[6:7], s12, v[4:5]
	v_bfe_u32 v6, v6, 0, s13
	v_lshlrev_b32_e32 v7, 2, v1
	v_lshl_or_b32 v6, v6, 4, v7
	v_mov_b32_e32 v7, 1
	ds_add_u32 v6, v7 offset:8192
	v_mov_b32_e32 v6, 0
.LBB2184_251:
	s_or_b64 exec, exec, s[0:1]
	v_cmp_gt_i32_e64 s[0:1], 10, v6
	s_mov_b64 s[12:13], -1
	s_and_saveexec_b64 s[14:15], s[0:1]
; %bb.252:
	v_cmp_eq_u32_e64 s[0:1], 0, v6
	s_orn2_b64 s[12:13], s[0:1], exec
; %bb.253:
	s_or_b64 exec, exec, s[14:15]
	s_and_b64 exec, exec, s[12:13]
	;; [unrolled: 33-line block ×6, first 2 shown]
	s_cbranch_execz .LBB2184_276
; %bb.274:
	s_add_i32 s0, s8, 56
	s_cmp_gt_u32 s9, s0
	s_cselect_b64 s[12:13], -1, 0
	s_xor_b64 s[14:15], vcc, -1
	s_and_b64 s[12:13], s[12:13], s[14:15]
	s_and_b64 exec, exec, s[12:13]
	s_cbranch_execz .LBB2184_276
; %bb.275:
	s_sub_i32 s1, s9, s0
	s_min_u32 s1, s1, 8
	v_lshrrev_b64 v[4:5], s0, v[4:5]
	v_bfe_u32 v4, v4, 0, s1
	v_lshlrev_b32_e32 v5, 2, v1
	v_lshl_or_b32 v4, v4, 4, v5
	v_mov_b32_e32 v5, 1
	ds_add_u32 v4, v5 offset:28672
.LBB2184_276:
	s_or_b64 exec, exec, s[10:11]
	v_cmp_le_u32_e32 vcc, s16, v18
	s_or_b64 s[0:1], s[4:5], vcc
	v_xor_b32_e32 v3, 0x7fffffff, v3
	v_not_b32_e32 v2, v2
	s_xor_b64 s[4:5], s[0:1], -1
	v_mov_b32_e32 v4, s17
	s_and_saveexec_b64 s[0:1], s[4:5]
	s_cbranch_execz .LBB2184_278
; %bb.277:
	s_sub_i32 s4, s9, s8
	s_min_u32 s4, s4, 8
	v_lshrrev_b64 v[4:5], s8, v[2:3]
	v_bfe_u32 v4, v4, 0, s4
	v_lshlrev_b32_e32 v5, 2, v1
	v_lshl_or_b32 v4, v4, 4, v5
	v_mov_b32_e32 v5, 1
	ds_add_u32 v4, v5
	v_mov_b32_e32 v4, 0
.LBB2184_278:
	s_or_b64 exec, exec, s[0:1]
	v_cmp_gt_i32_e64 s[0:1], 10, v4
	s_mov_b64 s[10:11], -1
	s_and_saveexec_b64 s[4:5], s[0:1]
; %bb.279:
	v_cmp_eq_u32_e64 s[0:1], 0, v4
	s_orn2_b64 s[10:11], s[0:1], exec
; %bb.280:
	s_or_b64 exec, exec, s[4:5]
	s_and_saveexec_b64 s[4:5], s[10:11]
	s_cbranch_execz .LBB2184_313
; %bb.281:
	s_add_i32 s10, s8, 8
	s_cmp_le_u32 s9, s10
	s_cselect_b64 s[0:1], -1, 0
	s_and_b64 s[12:13], s[0:1], exec
	s_cselect_b32 s11, 8, 10
	s_or_b64 s[0:1], s[0:1], vcc
	s_xor_b64 s[12:13], s[0:1], -1
	v_mov_b32_e32 v4, s11
	s_and_saveexec_b64 s[0:1], s[12:13]
	s_cbranch_execz .LBB2184_283
; %bb.282:
	s_sub_i32 s11, s9, s10
	s_min_u32 s11, s11, 8
	v_lshrrev_b64 v[4:5], s10, v[2:3]
	v_bfe_u32 v4, v4, 0, s11
	v_lshlrev_b32_e32 v5, 2, v1
	v_lshl_or_b32 v4, v4, 4, v5
	v_mov_b32_e32 v5, 1
	ds_add_u32 v4, v5 offset:4096
	v_mov_b32_e32 v4, 0
.LBB2184_283:
	s_or_b64 exec, exec, s[0:1]
	v_cmp_gt_i32_e64 s[0:1], 10, v4
	s_mov_b64 s[10:11], -1
	s_and_saveexec_b64 s[12:13], s[0:1]
; %bb.284:
	v_cmp_eq_u32_e64 s[0:1], 0, v4
	s_orn2_b64 s[10:11], s[0:1], exec
; %bb.285:
	s_or_b64 exec, exec, s[12:13]
	s_and_b64 exec, exec, s[10:11]
	s_cbranch_execz .LBB2184_313
; %bb.286:
	s_add_i32 s10, s8, 16
	s_cmp_le_u32 s9, s10
	s_cselect_b64 s[0:1], -1, 0
	s_and_b64 s[12:13], s[0:1], exec
	s_cselect_b32 s11, 8, 10
	s_or_b64 s[0:1], s[0:1], vcc
	s_xor_b64 s[12:13], s[0:1], -1
	v_mov_b32_e32 v4, s11
	s_and_saveexec_b64 s[0:1], s[12:13]
	s_cbranch_execz .LBB2184_288
; %bb.287:
	s_sub_i32 s11, s9, s10
	s_min_u32 s11, s11, 8
	v_lshrrev_b64 v[4:5], s10, v[2:3]
	v_bfe_u32 v4, v4, 0, s11
	v_lshlrev_b32_e32 v5, 2, v1
	v_lshl_or_b32 v4, v4, 4, v5
	v_mov_b32_e32 v5, 1
	ds_add_u32 v4, v5 offset:8192
	v_mov_b32_e32 v4, 0
.LBB2184_288:
	s_or_b64 exec, exec, s[0:1]
	v_cmp_gt_i32_e64 s[0:1], 10, v4
	s_mov_b64 s[10:11], -1
	s_and_saveexec_b64 s[12:13], s[0:1]
; %bb.289:
	v_cmp_eq_u32_e64 s[0:1], 0, v4
	s_orn2_b64 s[10:11], s[0:1], exec
; %bb.290:
	s_or_b64 exec, exec, s[12:13]
	s_and_b64 exec, exec, s[10:11]
	;; [unrolled: 33-line block ×6, first 2 shown]
	s_cbranch_execz .LBB2184_313
; %bb.311:
	s_add_i32 s0, s8, 56
	s_cmp_gt_u32 s9, s0
	s_cselect_b64 s[10:11], -1, 0
	s_xor_b64 s[12:13], vcc, -1
	s_and_b64 s[10:11], s[10:11], s[12:13]
	s_and_b64 exec, exec, s[10:11]
	s_cbranch_execz .LBB2184_313
; %bb.312:
	s_sub_i32 s1, s9, s0
	s_min_u32 s1, s1, 8
	v_lshrrev_b64 v[2:3], s0, v[2:3]
	v_bfe_u32 v2, v2, 0, s1
	v_lshlrev_b32_e32 v1, 2, v1
	v_lshl_or_b32 v1, v2, 4, v1
	v_mov_b32_e32 v2, 1
	ds_add_u32 v1, v2 offset:28672
.LBB2184_313:
	s_or_b64 exec, exec, s[4:5]
	s_cmp_gt_u32 s9, s8
	s_waitcnt lgkmcnt(0)
	s_barrier
	s_cbranch_scc0 .LBB2184_318
; %bb.314:
	s_movk_i32 s0, 0x100
	v_cmp_gt_u32_e32 vcc, s0, v0
	v_lshlrev_b32_e32 v1, 4, v0
	v_mov_b32_e32 v3, 0
	v_mov_b32_e32 v2, v0
	s_mov_b32 s10, s8
	s_branch .LBB2184_316
.LBB2184_315:                           ;   in Loop: Header=BB2184_316 Depth=1
	s_or_b64 exec, exec, s[4:5]
	s_add_i32 s10, s10, 8
	v_add_u32_e32 v2, 0x100, v2
	s_cmp_lt_u32 s10, s9
	v_add_u32_e32 v1, 0x1000, v1
	s_cbranch_scc0 .LBB2184_318
.LBB2184_316:                           ; =>This Inner Loop Header: Depth=1
	s_and_saveexec_b64 s[4:5], vcc
	s_cbranch_execz .LBB2184_315
; %bb.317:                              ;   in Loop: Header=BB2184_316 Depth=1
	ds_read2_b32 v[4:5], v1 offset1:1
	ds_read2_b32 v[6:7], v1 offset0:2 offset1:3
	v_lshlrev_b64 v[8:9], 3, v[2:3]
	v_mov_b32_e32 v10, s3
	s_waitcnt lgkmcnt(1)
	v_add_u32_e32 v4, v5, v4
	s_waitcnt lgkmcnt(0)
	v_add3_u32 v4, v4, v6, v7
	v_add_co_u32_e64 v6, s[0:1], s2, v8
	v_addc_co_u32_e64 v7, s[0:1], v10, v9, s[0:1]
	v_mov_b32_e32 v5, v3
	global_atomic_add_x2 v[6:7], v[4:5], off
	s_branch .LBB2184_315
.LBB2184_318:
	s_mov_b64 s[0:1], 0
.LBB2184_319:
	s_and_b64 vcc, exec, s[0:1]
	s_cbranch_vccz .LBB2184_411
; %bb.320:
	v_lshlrev_b32_e32 v24, 3, v0
	v_mov_b32_e32 v1, s7
	v_add_co_u32_e32 v16, vcc, s6, v24
	v_addc_co_u32_e32 v1, vcc, 0, v1, vcc
	v_add_co_u32_e32 v10, vcc, 0x2000, v16
	v_addc_co_u32_e32 v11, vcc, 0, v1, vcc
	;; [unrolled: 2-line block ×7, first 2 shown]
	v_add_co_u32_e32 v26, vcc, 0xe000, v16
	global_load_dwordx2 v[8:9], v24, s[6:7]
	global_load_dwordx2 v[4:5], v[10:11], off
	global_load_dwordx2 v[2:3], v[12:13], off
	;; [unrolled: 1-line block ×3, first 2 shown]
	v_addc_co_u32_e32 v27, vcc, 0, v1, vcc
	global_load_dwordx2 v[16:17], v[18:19], off
	global_load_dwordx2 v[12:13], v[20:21], off
	;; [unrolled: 1-line block ×4, first 2 shown]
	s_cmp_eq_u32 s8, 0
	s_cselect_b64 s[0:1], -1, 0
	s_cmp_eq_u32 s9, 64
	s_cselect_b64 s[4:5], -1, 0
	s_and_b64 s[4:5], s[0:1], s[4:5]
	s_mov_b64 s[0:1], -1
	s_and_b64 vcc, exec, s[4:5]
	v_lshlrev_b32_e32 v25, 2, v0
	s_cbranch_vccnz .LBB2184_408
; %bb.321:
	s_cmp_gt_u32 s9, s8
	s_cselect_b64 s[0:1], -1, 0
	v_mov_b32_e32 v1, 0
	s_and_b64 vcc, exec, s[0:1]
	ds_write2st64_b32 v25, v1, v1 offset1:16
	ds_write2st64_b32 v25, v1, v1 offset0:32 offset1:48
	ds_write2st64_b32 v25, v1, v1 offset0:64 offset1:80
	;; [unrolled: 1-line block ×3, first 2 shown]
	s_waitcnt lgkmcnt(0)
	s_barrier
	s_cbranch_vccz .LBB2184_402
; %bb.322:
	s_sub_i32 s4, s9, s8
	s_min_u32 s4, s4, 8
	s_waitcnt vmcnt(7)
	v_xor_b32_e32 v21, 0x7fffffff, v9
	v_xor_b32_e32 v20, -1, v8
	s_lshl_b32 s4, -1, s4
	v_and_b32_e32 v1, 3, v0
	s_not_b32 s12, s4
	v_lshrrev_b64 v[22:23], s8, v[20:21]
	v_and_b32_e32 v22, s12, v22
	v_lshlrev_b32_e32 v26, 2, v1
	v_lshl_or_b32 v22, v22, 4, v26
	v_mov_b32_e32 v23, 1
	ds_add_u32 v22, v23
	s_add_i32 s13, s8, 8
	s_cmp_le_u32 s9, s13
	s_waitcnt vmcnt(6)
	v_xor_b32_e32 v19, 0x7fffffff, v5
	v_xor_b32_e32 v18, -1, v4
	s_cselect_b64 s[4:5], -1, 0
	s_and_b64 vcc, exec, s[4:5]
	v_lshrrev_b64 v[22:23], s8, v[18:19]
	s_cbranch_vccz .LBB2184_324
; %bb.323:
	v_and_b32_e32 v23, s12, v22
	v_lshl_or_b32 v23, v23, 2, v1
	s_mov_b64 s[6:7], -1
	s_cbranch_execz .LBB2184_325
	s_branch .LBB2184_340
.LBB2184_324:
	s_mov_b64 s[6:7], 0
                                        ; implicit-def: $vgpr23
.LBB2184_325:
	s_sub_i32 s10, s9, s13
	s_min_u32 s10, s10, 8
	s_lshl_b32 s10, -1, s10
	s_not_b32 s15, s10
	v_lshrrev_b64 v[28:29], s13, v[20:21]
	v_and_b32_e32 v23, s15, v28
	v_lshl_or_b32 v27, v23, 4, v26
	v_mov_b32_e32 v23, 1
	ds_add_u32 v27, v23 offset:4096
	s_add_i32 s14, s8, 16
	s_cmp_gt_u32 s9, s14
	s_cselect_b64 s[10:11], -1, 0
	s_cmp_le_u32 s9, s14
	s_cbranch_scc1 .LBB2184_332
; %bb.326:
	s_sub_i32 s16, s9, s14
	s_min_u32 s16, s16, 8
	v_lshrrev_b64 v[28:29], s14, v[20:21]
	v_bfe_u32 v27, v28, 0, s16
	v_lshl_or_b32 v27, v27, 4, v26
	ds_add_u32 v27, v23 offset:8192
	s_add_i32 s16, s8, 24
	s_cmp_le_u32 s9, s16
	s_cbranch_scc1 .LBB2184_332
; %bb.327:
	s_sub_i32 s17, s9, s16
	s_min_u32 s17, s17, 8
	v_lshrrev_b64 v[28:29], s16, v[20:21]
	v_bfe_u32 v27, v28, 0, s17
	v_lshl_or_b32 v28, v27, 4, v26
	v_mov_b32_e32 v27, 1
	ds_add_u32 v28, v27 offset:12288
	s_add_i32 s16, s8, 32
	s_cmp_le_u32 s9, s16
	s_cbranch_scc1 .LBB2184_332
; %bb.328:
	s_sub_i32 s17, s9, s16
	s_min_u32 s17, s17, 8
	v_lshrrev_b64 v[28:29], s16, v[20:21]
	v_bfe_u32 v28, v28, 0, s17
	v_lshl_or_b32 v28, v28, 4, v26
	ds_add_u32 v28, v27 offset:16384
	s_add_i32 s16, s8, 40
	s_cmp_le_u32 s9, s16
	s_cbranch_scc1 .LBB2184_332
; %bb.329:
	s_sub_i32 s17, s9, s16
	s_min_u32 s17, s17, 8
	v_lshrrev_b64 v[28:29], s16, v[20:21]
	v_bfe_u32 v27, v28, 0, s17
	v_lshl_or_b32 v28, v27, 4, v26
	v_mov_b32_e32 v27, 1
	ds_add_u32 v28, v27 offset:20480
	s_add_i32 s16, s8, 48
	s_cmp_le_u32 s9, s16
	s_cbranch_scc1 .LBB2184_332
; %bb.330:
	s_sub_i32 s17, s9, s16
	s_min_u32 s17, s17, 8
	v_lshrrev_b64 v[28:29], s16, v[20:21]
	v_bfe_u32 v28, v28, 0, s17
	v_lshl_or_b32 v28, v28, 4, v26
	ds_add_u32 v28, v27 offset:24576
	s_add_i32 s16, s8, 56
	s_cmp_le_u32 s9, s16
	s_cbranch_scc1 .LBB2184_332
; %bb.331:
	s_sub_i32 s17, s9, s16
	s_min_u32 s17, s17, 8
	v_lshrrev_b64 v[20:21], s16, v[20:21]
	v_bfe_u32 v20, v20, 0, s17
	v_lshl_or_b32 v20, v20, 4, v26
	v_mov_b32_e32 v21, 1
	ds_add_u32 v20, v21 offset:28672
.LBB2184_332:
	v_and_b32_e32 v20, s12, v22
	v_lshl_or_b32 v20, v20, 4, v26
	ds_add_u32 v20, v23
	v_lshrrev_b64 v[20:21], s13, v[18:19]
	v_and_b32_e32 v20, s15, v20
	v_lshl_or_b32 v20, v20, 4, v26
	ds_add_u32 v20, v23 offset:4096
	s_andn2_b64 vcc, exec, s[10:11]
	s_cbranch_vccnz .LBB2184_339
; %bb.333:
	s_sub_i32 s10, s9, s14
	s_min_u32 s10, s10, 8
	v_lshrrev_b64 v[20:21], s14, v[18:19]
	v_bfe_u32 v20, v20, 0, s10
	v_lshl_or_b32 v21, v20, 4, v26
	v_mov_b32_e32 v20, 1
	ds_add_u32 v21, v20 offset:8192
	s_add_i32 s10, s8, 24
	s_cmp_gt_u32 s9, s10
	s_cbranch_scc0 .LBB2184_339
; %bb.334:
	s_sub_i32 s11, s9, s10
	s_min_u32 s11, s11, 8
	v_lshrrev_b64 v[22:23], s10, v[18:19]
	v_bfe_u32 v21, v22, 0, s11
	v_lshl_or_b32 v21, v21, 4, v26
	ds_add_u32 v21, v20 offset:12288
	s_add_i32 s10, s8, 32
	s_cmp_gt_u32 s9, s10
	s_cbranch_scc0 .LBB2184_339
; %bb.335:
	s_sub_i32 s11, s9, s10
	s_min_u32 s11, s11, 8
	v_lshrrev_b64 v[20:21], s10, v[18:19]
	v_bfe_u32 v20, v20, 0, s11
	v_lshl_or_b32 v21, v20, 4, v26
	v_mov_b32_e32 v20, 1
	ds_add_u32 v21, v20 offset:16384
	s_add_i32 s10, s8, 40
	s_cmp_gt_u32 s9, s10
	s_cbranch_scc0 .LBB2184_339
; %bb.336:
	s_sub_i32 s11, s9, s10
	s_min_u32 s11, s11, 8
	v_lshrrev_b64 v[22:23], s10, v[18:19]
	v_bfe_u32 v21, v22, 0, s11
	v_lshl_or_b32 v21, v21, 4, v26
	ds_add_u32 v21, v20 offset:20480
	s_add_i32 s10, s8, 48
	s_cmp_gt_u32 s9, s10
	s_cbranch_scc0 .LBB2184_339
; %bb.337:
	s_sub_i32 s11, s9, s10
	s_min_u32 s11, s11, 8
	v_lshrrev_b64 v[20:21], s10, v[18:19]
	v_bfe_u32 v20, v20, 0, s11
	v_lshl_or_b32 v20, v20, 4, v26
	v_mov_b32_e32 v21, 1
	ds_add_u32 v20, v21 offset:24576
	s_add_i32 s10, s8, 56
	s_cmp_gt_u32 s9, s10
	s_cbranch_scc0 .LBB2184_339
; %bb.338:
	s_sub_i32 s6, s9, s10
	s_min_u32 s6, s6, 8
	v_lshrrev_b64 v[18:19], s10, v[18:19]
	v_bfe_u32 v18, v18, 0, s6
	v_lshl_or_b32 v18, v18, 2, v1
	v_add_u32_e32 v23, 0x1c00, v18
	s_mov_b64 s[6:7], -1
	s_branch .LBB2184_340
.LBB2184_339:
                                        ; implicit-def: $vgpr23
.LBB2184_340:
	s_and_b64 vcc, exec, s[6:7]
	s_cbranch_vccz .LBB2184_342
; %bb.341:
	v_lshlrev_b32_e32 v18, 2, v23
	v_mov_b32_e32 v19, 1
	ds_add_u32 v18, v19
.LBB2184_342:
	s_waitcnt vmcnt(5)
	v_xor_b32_e32 v21, 0x7fffffff, v3
	v_xor_b32_e32 v20, -1, v2
	v_lshrrev_b64 v[22:23], s8, v[20:21]
	v_and_b32_e32 v22, s12, v22
	v_lshl_or_b32 v22, v22, 4, v26
	v_mov_b32_e32 v23, 1
	ds_add_u32 v22, v23
	s_waitcnt vmcnt(4)
	v_xor_b32_e32 v19, 0x7fffffff, v7
	v_xor_b32_e32 v18, -1, v6
	s_and_b64 vcc, exec, s[4:5]
	v_lshrrev_b64 v[22:23], s8, v[18:19]
	s_cbranch_vccz .LBB2184_344
; %bb.343:
	v_and_b32_e32 v23, s12, v22
	v_lshl_or_b32 v23, v23, 2, v1
	s_mov_b64 s[6:7], -1
	s_cbranch_execz .LBB2184_345
	s_branch .LBB2184_360
.LBB2184_344:
	s_mov_b64 s[6:7], 0
                                        ; implicit-def: $vgpr23
.LBB2184_345:
	s_sub_i32 s10, s9, s13
	s_min_u32 s10, s10, 8
	s_lshl_b32 s10, -1, s10
	s_not_b32 s15, s10
	v_lshrrev_b64 v[28:29], s13, v[20:21]
	v_and_b32_e32 v23, s15, v28
	v_lshl_or_b32 v27, v23, 4, v26
	v_mov_b32_e32 v23, 1
	ds_add_u32 v27, v23 offset:4096
	s_add_i32 s14, s8, 16
	s_cmp_gt_u32 s9, s14
	s_cselect_b64 s[10:11], -1, 0
	s_cmp_le_u32 s9, s14
	s_cbranch_scc1 .LBB2184_352
; %bb.346:
	s_sub_i32 s16, s9, s14
	s_min_u32 s16, s16, 8
	v_lshrrev_b64 v[28:29], s14, v[20:21]
	v_bfe_u32 v27, v28, 0, s16
	v_lshl_or_b32 v27, v27, 4, v26
	ds_add_u32 v27, v23 offset:8192
	s_add_i32 s16, s8, 24
	s_cmp_le_u32 s9, s16
	s_cbranch_scc1 .LBB2184_352
; %bb.347:
	s_sub_i32 s17, s9, s16
	s_min_u32 s17, s17, 8
	v_lshrrev_b64 v[28:29], s16, v[20:21]
	v_bfe_u32 v27, v28, 0, s17
	v_lshl_or_b32 v28, v27, 4, v26
	v_mov_b32_e32 v27, 1
	ds_add_u32 v28, v27 offset:12288
	s_add_i32 s16, s8, 32
	s_cmp_le_u32 s9, s16
	s_cbranch_scc1 .LBB2184_352
; %bb.348:
	s_sub_i32 s17, s9, s16
	s_min_u32 s17, s17, 8
	v_lshrrev_b64 v[28:29], s16, v[20:21]
	v_bfe_u32 v28, v28, 0, s17
	v_lshl_or_b32 v28, v28, 4, v26
	ds_add_u32 v28, v27 offset:16384
	s_add_i32 s16, s8, 40
	s_cmp_le_u32 s9, s16
	s_cbranch_scc1 .LBB2184_352
; %bb.349:
	s_sub_i32 s17, s9, s16
	s_min_u32 s17, s17, 8
	v_lshrrev_b64 v[28:29], s16, v[20:21]
	v_bfe_u32 v27, v28, 0, s17
	v_lshl_or_b32 v28, v27, 4, v26
	v_mov_b32_e32 v27, 1
	ds_add_u32 v28, v27 offset:20480
	s_add_i32 s16, s8, 48
	s_cmp_le_u32 s9, s16
	s_cbranch_scc1 .LBB2184_352
; %bb.350:
	s_sub_i32 s17, s9, s16
	s_min_u32 s17, s17, 8
	v_lshrrev_b64 v[28:29], s16, v[20:21]
	v_bfe_u32 v28, v28, 0, s17
	v_lshl_or_b32 v28, v28, 4, v26
	ds_add_u32 v28, v27 offset:24576
	s_add_i32 s16, s8, 56
	s_cmp_le_u32 s9, s16
	s_cbranch_scc1 .LBB2184_352
; %bb.351:
	s_sub_i32 s17, s9, s16
	s_min_u32 s17, s17, 8
	v_lshrrev_b64 v[20:21], s16, v[20:21]
	v_bfe_u32 v20, v20, 0, s17
	v_lshl_or_b32 v20, v20, 4, v26
	v_mov_b32_e32 v21, 1
	ds_add_u32 v20, v21 offset:28672
.LBB2184_352:
	v_and_b32_e32 v20, s12, v22
	v_lshl_or_b32 v20, v20, 4, v26
	ds_add_u32 v20, v23
	v_lshrrev_b64 v[20:21], s13, v[18:19]
	v_and_b32_e32 v20, s15, v20
	v_lshl_or_b32 v20, v20, 4, v26
	ds_add_u32 v20, v23 offset:4096
	s_andn2_b64 vcc, exec, s[10:11]
	s_cbranch_vccnz .LBB2184_359
; %bb.353:
	s_sub_i32 s10, s9, s14
	s_min_u32 s10, s10, 8
	v_lshrrev_b64 v[20:21], s14, v[18:19]
	v_bfe_u32 v20, v20, 0, s10
	v_lshl_or_b32 v21, v20, 4, v26
	v_mov_b32_e32 v20, 1
	ds_add_u32 v21, v20 offset:8192
	s_add_i32 s10, s8, 24
	s_cmp_gt_u32 s9, s10
	s_cbranch_scc0 .LBB2184_359
; %bb.354:
	s_sub_i32 s11, s9, s10
	s_min_u32 s11, s11, 8
	v_lshrrev_b64 v[22:23], s10, v[18:19]
	v_bfe_u32 v21, v22, 0, s11
	v_lshl_or_b32 v21, v21, 4, v26
	ds_add_u32 v21, v20 offset:12288
	s_add_i32 s10, s8, 32
	s_cmp_gt_u32 s9, s10
	s_cbranch_scc0 .LBB2184_359
; %bb.355:
	s_sub_i32 s11, s9, s10
	s_min_u32 s11, s11, 8
	v_lshrrev_b64 v[20:21], s10, v[18:19]
	v_bfe_u32 v20, v20, 0, s11
	v_lshl_or_b32 v21, v20, 4, v26
	v_mov_b32_e32 v20, 1
	ds_add_u32 v21, v20 offset:16384
	s_add_i32 s10, s8, 40
	s_cmp_gt_u32 s9, s10
	s_cbranch_scc0 .LBB2184_359
; %bb.356:
	s_sub_i32 s11, s9, s10
	s_min_u32 s11, s11, 8
	v_lshrrev_b64 v[22:23], s10, v[18:19]
	v_bfe_u32 v21, v22, 0, s11
	v_lshl_or_b32 v21, v21, 4, v26
	ds_add_u32 v21, v20 offset:20480
	s_add_i32 s10, s8, 48
	s_cmp_gt_u32 s9, s10
	s_cbranch_scc0 .LBB2184_359
; %bb.357:
	s_sub_i32 s11, s9, s10
	s_min_u32 s11, s11, 8
	v_lshrrev_b64 v[20:21], s10, v[18:19]
	v_bfe_u32 v20, v20, 0, s11
	v_lshl_or_b32 v20, v20, 4, v26
	v_mov_b32_e32 v21, 1
	ds_add_u32 v20, v21 offset:24576
	s_add_i32 s10, s8, 56
	s_cmp_gt_u32 s9, s10
	s_cbranch_scc0 .LBB2184_359
; %bb.358:
	s_sub_i32 s6, s9, s10
	s_min_u32 s6, s6, 8
	v_lshrrev_b64 v[18:19], s10, v[18:19]
	v_bfe_u32 v18, v18, 0, s6
	v_lshl_or_b32 v18, v18, 2, v1
	v_add_u32_e32 v23, 0x1c00, v18
	s_mov_b64 s[6:7], -1
	s_branch .LBB2184_360
.LBB2184_359:
                                        ; implicit-def: $vgpr23
.LBB2184_360:
	s_and_b64 vcc, exec, s[6:7]
	s_cbranch_vccz .LBB2184_362
; %bb.361:
	v_lshlrev_b32_e32 v18, 2, v23
	v_mov_b32_e32 v19, 1
	ds_add_u32 v18, v19
.LBB2184_362:
	s_waitcnt vmcnt(3)
	v_xor_b32_e32 v21, 0x7fffffff, v17
	v_xor_b32_e32 v20, -1, v16
	v_lshrrev_b64 v[22:23], s8, v[20:21]
	v_and_b32_e32 v22, s12, v22
	v_lshl_or_b32 v22, v22, 4, v26
	v_mov_b32_e32 v23, 1
	ds_add_u32 v22, v23
	s_waitcnt vmcnt(2)
	v_xor_b32_e32 v19, 0x7fffffff, v13
	v_xor_b32_e32 v18, -1, v12
	s_and_b64 vcc, exec, s[4:5]
	v_lshrrev_b64 v[22:23], s8, v[18:19]
	s_cbranch_vccz .LBB2184_364
; %bb.363:
	v_and_b32_e32 v23, s12, v22
	v_lshl_or_b32 v23, v23, 2, v1
	s_mov_b64 s[6:7], -1
	s_cbranch_execz .LBB2184_365
	s_branch .LBB2184_380
.LBB2184_364:
	s_mov_b64 s[6:7], 0
                                        ; implicit-def: $vgpr23
.LBB2184_365:
	s_sub_i32 s10, s9, s13
	s_min_u32 s10, s10, 8
	s_lshl_b32 s10, -1, s10
	s_not_b32 s15, s10
	v_lshrrev_b64 v[28:29], s13, v[20:21]
	v_and_b32_e32 v23, s15, v28
	v_lshl_or_b32 v27, v23, 4, v26
	v_mov_b32_e32 v23, 1
	ds_add_u32 v27, v23 offset:4096
	s_add_i32 s14, s8, 16
	s_cmp_gt_u32 s9, s14
	s_cselect_b64 s[10:11], -1, 0
	s_cmp_le_u32 s9, s14
	s_cbranch_scc1 .LBB2184_372
; %bb.366:
	s_sub_i32 s16, s9, s14
	s_min_u32 s16, s16, 8
	v_lshrrev_b64 v[28:29], s14, v[20:21]
	v_bfe_u32 v27, v28, 0, s16
	v_lshl_or_b32 v27, v27, 4, v26
	ds_add_u32 v27, v23 offset:8192
	s_add_i32 s16, s8, 24
	s_cmp_le_u32 s9, s16
	s_cbranch_scc1 .LBB2184_372
; %bb.367:
	s_sub_i32 s17, s9, s16
	s_min_u32 s17, s17, 8
	v_lshrrev_b64 v[28:29], s16, v[20:21]
	v_bfe_u32 v27, v28, 0, s17
	v_lshl_or_b32 v28, v27, 4, v26
	v_mov_b32_e32 v27, 1
	ds_add_u32 v28, v27 offset:12288
	s_add_i32 s16, s8, 32
	s_cmp_le_u32 s9, s16
	s_cbranch_scc1 .LBB2184_372
; %bb.368:
	s_sub_i32 s17, s9, s16
	s_min_u32 s17, s17, 8
	v_lshrrev_b64 v[28:29], s16, v[20:21]
	v_bfe_u32 v28, v28, 0, s17
	v_lshl_or_b32 v28, v28, 4, v26
	ds_add_u32 v28, v27 offset:16384
	s_add_i32 s16, s8, 40
	s_cmp_le_u32 s9, s16
	s_cbranch_scc1 .LBB2184_372
; %bb.369:
	s_sub_i32 s17, s9, s16
	s_min_u32 s17, s17, 8
	v_lshrrev_b64 v[28:29], s16, v[20:21]
	v_bfe_u32 v27, v28, 0, s17
	v_lshl_or_b32 v28, v27, 4, v26
	v_mov_b32_e32 v27, 1
	ds_add_u32 v28, v27 offset:20480
	s_add_i32 s16, s8, 48
	s_cmp_le_u32 s9, s16
	s_cbranch_scc1 .LBB2184_372
; %bb.370:
	s_sub_i32 s17, s9, s16
	s_min_u32 s17, s17, 8
	v_lshrrev_b64 v[28:29], s16, v[20:21]
	v_bfe_u32 v28, v28, 0, s17
	v_lshl_or_b32 v28, v28, 4, v26
	ds_add_u32 v28, v27 offset:24576
	s_add_i32 s16, s8, 56
	s_cmp_le_u32 s9, s16
	s_cbranch_scc1 .LBB2184_372
; %bb.371:
	s_sub_i32 s17, s9, s16
	s_min_u32 s17, s17, 8
	v_lshrrev_b64 v[20:21], s16, v[20:21]
	v_bfe_u32 v20, v20, 0, s17
	v_lshl_or_b32 v20, v20, 4, v26
	v_mov_b32_e32 v21, 1
	ds_add_u32 v20, v21 offset:28672
.LBB2184_372:
	v_and_b32_e32 v20, s12, v22
	v_lshl_or_b32 v20, v20, 4, v26
	ds_add_u32 v20, v23
	v_lshrrev_b64 v[20:21], s13, v[18:19]
	v_and_b32_e32 v20, s15, v20
	v_lshl_or_b32 v20, v20, 4, v26
	ds_add_u32 v20, v23 offset:4096
	s_andn2_b64 vcc, exec, s[10:11]
	s_cbranch_vccnz .LBB2184_379
; %bb.373:
	s_sub_i32 s10, s9, s14
	s_min_u32 s10, s10, 8
	v_lshrrev_b64 v[20:21], s14, v[18:19]
	v_bfe_u32 v20, v20, 0, s10
	v_lshl_or_b32 v21, v20, 4, v26
	v_mov_b32_e32 v20, 1
	ds_add_u32 v21, v20 offset:8192
	s_add_i32 s10, s8, 24
	s_cmp_gt_u32 s9, s10
	s_cbranch_scc0 .LBB2184_379
; %bb.374:
	s_sub_i32 s11, s9, s10
	s_min_u32 s11, s11, 8
	v_lshrrev_b64 v[22:23], s10, v[18:19]
	v_bfe_u32 v21, v22, 0, s11
	v_lshl_or_b32 v21, v21, 4, v26
	ds_add_u32 v21, v20 offset:12288
	s_add_i32 s10, s8, 32
	s_cmp_gt_u32 s9, s10
	s_cbranch_scc0 .LBB2184_379
; %bb.375:
	s_sub_i32 s11, s9, s10
	s_min_u32 s11, s11, 8
	v_lshrrev_b64 v[20:21], s10, v[18:19]
	v_bfe_u32 v20, v20, 0, s11
	v_lshl_or_b32 v21, v20, 4, v26
	v_mov_b32_e32 v20, 1
	ds_add_u32 v21, v20 offset:16384
	s_add_i32 s10, s8, 40
	s_cmp_gt_u32 s9, s10
	s_cbranch_scc0 .LBB2184_379
; %bb.376:
	s_sub_i32 s11, s9, s10
	s_min_u32 s11, s11, 8
	v_lshrrev_b64 v[22:23], s10, v[18:19]
	v_bfe_u32 v21, v22, 0, s11
	v_lshl_or_b32 v21, v21, 4, v26
	ds_add_u32 v21, v20 offset:20480
	s_add_i32 s10, s8, 48
	s_cmp_gt_u32 s9, s10
	s_cbranch_scc0 .LBB2184_379
; %bb.377:
	s_sub_i32 s11, s9, s10
	s_min_u32 s11, s11, 8
	v_lshrrev_b64 v[20:21], s10, v[18:19]
	v_bfe_u32 v20, v20, 0, s11
	v_lshl_or_b32 v20, v20, 4, v26
	v_mov_b32_e32 v21, 1
	ds_add_u32 v20, v21 offset:24576
	s_add_i32 s10, s8, 56
	s_cmp_gt_u32 s9, s10
	s_cbranch_scc0 .LBB2184_379
; %bb.378:
	s_sub_i32 s6, s9, s10
	s_min_u32 s6, s6, 8
	v_lshrrev_b64 v[18:19], s10, v[18:19]
	v_bfe_u32 v18, v18, 0, s6
	v_lshl_or_b32 v18, v18, 2, v1
	v_add_u32_e32 v23, 0x1c00, v18
	s_mov_b64 s[6:7], -1
	s_branch .LBB2184_380
.LBB2184_379:
                                        ; implicit-def: $vgpr23
.LBB2184_380:
	s_and_b64 vcc, exec, s[6:7]
	s_cbranch_vccz .LBB2184_382
; %bb.381:
	v_lshlrev_b32_e32 v18, 2, v23
	v_mov_b32_e32 v19, 1
	ds_add_u32 v18, v19
.LBB2184_382:
	s_waitcnt vmcnt(1)
	v_xor_b32_e32 v21, 0x7fffffff, v11
	v_xor_b32_e32 v20, -1, v10
	v_lshrrev_b64 v[22:23], s8, v[20:21]
	v_and_b32_e32 v22, s12, v22
	v_lshl_or_b32 v22, v22, 4, v26
	v_mov_b32_e32 v23, 1
	ds_add_u32 v22, v23
	s_waitcnt vmcnt(0)
	v_xor_b32_e32 v19, 0x7fffffff, v15
	v_xor_b32_e32 v18, -1, v14
	s_and_b64 vcc, exec, s[4:5]
	v_lshrrev_b64 v[22:23], s8, v[18:19]
	s_cbranch_vccz .LBB2184_384
; %bb.383:
	v_and_b32_e32 v23, s12, v22
	v_lshl_or_b32 v23, v23, 2, v1
	s_mov_b64 s[4:5], -1
	s_cbranch_execz .LBB2184_385
	s_branch .LBB2184_400
.LBB2184_384:
	s_mov_b64 s[4:5], 0
                                        ; implicit-def: $vgpr23
.LBB2184_385:
	s_sub_i32 s6, s9, s13
	s_min_u32 s6, s6, 8
	s_lshl_b32 s6, -1, s6
	s_not_b32 s11, s6
	v_lshrrev_b64 v[28:29], s13, v[20:21]
	v_and_b32_e32 v23, s11, v28
	v_lshl_or_b32 v27, v23, 4, v26
	v_mov_b32_e32 v23, 1
	ds_add_u32 v27, v23 offset:4096
	s_add_i32 s10, s8, 16
	s_cmp_gt_u32 s9, s10
	s_cselect_b64 s[6:7], -1, 0
	s_cmp_le_u32 s9, s10
	s_cbranch_scc1 .LBB2184_392
; %bb.386:
	s_sub_i32 s14, s9, s10
	s_min_u32 s14, s14, 8
	v_lshrrev_b64 v[28:29], s10, v[20:21]
	v_bfe_u32 v27, v28, 0, s14
	v_lshl_or_b32 v27, v27, 4, v26
	ds_add_u32 v27, v23 offset:8192
	s_add_i32 s14, s8, 24
	s_cmp_le_u32 s9, s14
	s_cbranch_scc1 .LBB2184_392
; %bb.387:
	s_sub_i32 s15, s9, s14
	s_min_u32 s15, s15, 8
	v_lshrrev_b64 v[28:29], s14, v[20:21]
	v_bfe_u32 v27, v28, 0, s15
	v_lshl_or_b32 v28, v27, 4, v26
	v_mov_b32_e32 v27, 1
	ds_add_u32 v28, v27 offset:12288
	s_add_i32 s14, s8, 32
	s_cmp_le_u32 s9, s14
	s_cbranch_scc1 .LBB2184_392
; %bb.388:
	s_sub_i32 s15, s9, s14
	s_min_u32 s15, s15, 8
	v_lshrrev_b64 v[28:29], s14, v[20:21]
	v_bfe_u32 v28, v28, 0, s15
	v_lshl_or_b32 v28, v28, 4, v26
	ds_add_u32 v28, v27 offset:16384
	s_add_i32 s14, s8, 40
	s_cmp_le_u32 s9, s14
	s_cbranch_scc1 .LBB2184_392
; %bb.389:
	s_sub_i32 s15, s9, s14
	s_min_u32 s15, s15, 8
	v_lshrrev_b64 v[28:29], s14, v[20:21]
	v_bfe_u32 v27, v28, 0, s15
	v_lshl_or_b32 v28, v27, 4, v26
	v_mov_b32_e32 v27, 1
	ds_add_u32 v28, v27 offset:20480
	s_add_i32 s14, s8, 48
	s_cmp_le_u32 s9, s14
	s_cbranch_scc1 .LBB2184_392
; %bb.390:
	s_sub_i32 s15, s9, s14
	s_min_u32 s15, s15, 8
	v_lshrrev_b64 v[28:29], s14, v[20:21]
	v_bfe_u32 v28, v28, 0, s15
	v_lshl_or_b32 v28, v28, 4, v26
	ds_add_u32 v28, v27 offset:24576
	s_add_i32 s14, s8, 56
	s_cmp_le_u32 s9, s14
	s_cbranch_scc1 .LBB2184_392
; %bb.391:
	s_sub_i32 s15, s9, s14
	s_min_u32 s15, s15, 8
	v_lshrrev_b64 v[20:21], s14, v[20:21]
	v_bfe_u32 v20, v20, 0, s15
	v_lshl_or_b32 v20, v20, 4, v26
	v_mov_b32_e32 v21, 1
	ds_add_u32 v20, v21 offset:28672
.LBB2184_392:
	v_and_b32_e32 v20, s12, v22
	v_lshl_or_b32 v20, v20, 4, v26
	ds_add_u32 v20, v23
	v_lshrrev_b64 v[20:21], s13, v[18:19]
	v_and_b32_e32 v20, s11, v20
	v_lshl_or_b32 v20, v20, 4, v26
	ds_add_u32 v20, v23 offset:4096
	s_andn2_b64 vcc, exec, s[6:7]
	s_cbranch_vccnz .LBB2184_399
; %bb.393:
	s_sub_i32 s6, s9, s10
	s_min_u32 s6, s6, 8
	v_lshrrev_b64 v[20:21], s10, v[18:19]
	v_bfe_u32 v20, v20, 0, s6
	v_lshl_or_b32 v21, v20, 4, v26
	v_mov_b32_e32 v20, 1
	ds_add_u32 v21, v20 offset:8192
	s_add_i32 s6, s8, 24
	s_cmp_gt_u32 s9, s6
	s_cbranch_scc0 .LBB2184_399
; %bb.394:
	s_sub_i32 s7, s9, s6
	s_min_u32 s7, s7, 8
	v_lshrrev_b64 v[22:23], s6, v[18:19]
	v_bfe_u32 v21, v22, 0, s7
	v_lshl_or_b32 v21, v21, 4, v26
	ds_add_u32 v21, v20 offset:12288
	s_add_i32 s6, s8, 32
	s_cmp_gt_u32 s9, s6
	s_cbranch_scc0 .LBB2184_399
; %bb.395:
	s_sub_i32 s7, s9, s6
	s_min_u32 s7, s7, 8
	v_lshrrev_b64 v[20:21], s6, v[18:19]
	v_bfe_u32 v20, v20, 0, s7
	v_lshl_or_b32 v21, v20, 4, v26
	v_mov_b32_e32 v20, 1
	ds_add_u32 v21, v20 offset:16384
	s_add_i32 s6, s8, 40
	s_cmp_gt_u32 s9, s6
	s_cbranch_scc0 .LBB2184_399
; %bb.396:
	s_sub_i32 s7, s9, s6
	s_min_u32 s7, s7, 8
	v_lshrrev_b64 v[22:23], s6, v[18:19]
	v_bfe_u32 v21, v22, 0, s7
	v_lshl_or_b32 v21, v21, 4, v26
	ds_add_u32 v21, v20 offset:20480
	s_add_i32 s6, s8, 48
	s_cmp_gt_u32 s9, s6
	s_cbranch_scc0 .LBB2184_399
; %bb.397:
	s_sub_i32 s7, s9, s6
	s_min_u32 s7, s7, 8
	v_lshrrev_b64 v[20:21], s6, v[18:19]
	v_bfe_u32 v20, v20, 0, s7
	v_lshl_or_b32 v20, v20, 4, v26
	v_mov_b32_e32 v21, 1
	ds_add_u32 v20, v21 offset:24576
	s_add_i32 s6, s8, 56
	s_cmp_gt_u32 s9, s6
	s_cbranch_scc0 .LBB2184_399
; %bb.398:
	s_sub_i32 s4, s9, s6
	s_min_u32 s4, s4, 8
	v_lshrrev_b64 v[18:19], s6, v[18:19]
	v_bfe_u32 v18, v18, 0, s4
	v_lshl_or_b32 v1, v18, 2, v1
	v_add_u32_e32 v23, 0x1c00, v1
	s_mov_b64 s[4:5], -1
	s_branch .LBB2184_400
.LBB2184_399:
                                        ; implicit-def: $vgpr23
.LBB2184_400:
	s_and_b64 vcc, exec, s[4:5]
	s_cbranch_vccz .LBB2184_402
; %bb.401:
	v_lshlrev_b32_e32 v1, 2, v23
	v_mov_b32_e32 v18, 1
	ds_add_u32 v1, v18
.LBB2184_402:
	s_and_b64 vcc, exec, s[0:1]
	s_waitcnt lgkmcnt(0)
	s_barrier
	s_cbranch_vccz .LBB2184_407
; %bb.403:
	s_movk_i32 s0, 0x100
	v_cmp_gt_u32_e32 vcc, s0, v0
	v_lshlrev_b32_e32 v1, 4, v0
	v_mov_b32_e32 v19, 0
	v_mov_b32_e32 v18, v0
	s_branch .LBB2184_405
.LBB2184_404:                           ;   in Loop: Header=BB2184_405 Depth=1
	s_or_b64 exec, exec, s[4:5]
	s_add_i32 s8, s8, 8
	v_add_u32_e32 v18, 0x100, v18
	s_cmp_ge_u32 s8, s9
	v_add_u32_e32 v1, 0x1000, v1
	s_cbranch_scc1 .LBB2184_407
.LBB2184_405:                           ; =>This Inner Loop Header: Depth=1
	s_and_saveexec_b64 s[4:5], vcc
	s_cbranch_execz .LBB2184_404
; %bb.406:                              ;   in Loop: Header=BB2184_405 Depth=1
	ds_read2_b32 v[20:21], v1 offset1:1
	ds_read2_b32 v[22:23], v1 offset0:2 offset1:3
	v_lshlrev_b64 v[26:27], 3, v[18:19]
	v_mov_b32_e32 v28, s3
	s_waitcnt lgkmcnt(1)
	v_add_u32_e32 v20, v21, v20
	s_waitcnt lgkmcnt(0)
	v_add3_u32 v20, v20, v22, v23
	v_add_co_u32_e64 v22, s[0:1], s2, v26
	v_addc_co_u32_e64 v23, s[0:1], v28, v27, s[0:1]
	v_mov_b32_e32 v21, v19
	global_atomic_add_x2 v[22:23], v[20:21], off
	s_branch .LBB2184_404
.LBB2184_407:
	s_mov_b64 s[0:1], 0
.LBB2184_408:
	s_and_b64 vcc, exec, s[0:1]
	s_cbranch_vccz .LBB2184_411
; %bb.409:
	s_waitcnt vmcnt(7)
	v_xor_b32_e32 v8, -1, v8
	s_waitcnt vmcnt(5)
	v_xor_b32_e32 v18, -1, v2
	s_waitcnt vmcnt(0)
	v_xor_b32_e32 v2, 0x7fffffff, v15
	v_and_b32_e32 v15, 3, v0
	v_lshlrev_b32_e32 v19, 2, v8
	s_movk_i32 s0, 0x3fc
	v_and_or_b32 v19, v19, s0, v15
	v_mov_b32_e32 v1, 0
	v_lshlrev_b32_e32 v19, 2, v19
	v_mov_b32_e32 v20, 1
	ds_write2st64_b32 v25, v1, v1 offset1:16
	ds_write2st64_b32 v25, v1, v1 offset0:32 offset1:48
	ds_write2st64_b32 v25, v1, v1 offset0:64 offset1:80
	;; [unrolled: 1-line block ×3, first 2 shown]
	s_waitcnt lgkmcnt(0)
	s_barrier
	ds_add_u32 v19, v20
	v_bfe_u32 v19, v8, 8, 8
	v_lshl_or_b32 v19, v19, 2, v15
	v_lshlrev_b32_e32 v19, 2, v19
	ds_add_u32 v19, v20 offset:4096
	v_bfe_u32 v19, v8, 16, 8
	v_lshl_or_b32 v19, v19, 2, v15
	v_lshlrev_b32_e32 v19, 2, v19
	v_xor_b32_e32 v9, 0x7fffffff, v9
	ds_add_u32 v19, v20 offset:8192
	v_lshrrev_b32_e32 v19, 24, v8
	v_lshl_or_b32 v19, v19, 2, v15
	v_alignbit_b32 v8, v9, v8, 30
	v_lshlrev_b32_e32 v19, 2, v19
	v_and_or_b32 v8, v8, s0, v15
	ds_add_u32 v19, v20 offset:12288
	v_lshlrev_b32_e32 v8, 2, v8
	ds_add_u32 v8, v20 offset:16384
	v_bfe_u32 v8, v9, 8, 8
	v_lshl_or_b32 v8, v8, 2, v15
	v_lshlrev_b32_e32 v8, 2, v8
	ds_add_u32 v8, v20 offset:20480
	v_bfe_u32 v8, v9, 16, 8
	v_lshl_or_b32 v8, v8, 2, v15
	v_lshlrev_b32_e32 v8, 2, v8
	ds_add_u32 v8, v20 offset:24576
	v_lshrrev_b32_e32 v8, 24, v9
	v_lshl_or_b32 v8, v8, 2, v15
	v_xor_b32_e32 v4, -1, v4
	v_lshlrev_b32_e32 v8, 2, v8
	ds_add_u32 v8, v20 offset:28672
	v_lshlrev_b32_e32 v8, 2, v4
	v_and_or_b32 v8, v8, s0, v15
	v_lshlrev_b32_e32 v8, 2, v8
	ds_add_u32 v8, v20
	v_bfe_u32 v8, v4, 8, 8
	v_lshl_or_b32 v8, v8, 2, v15
	v_lshlrev_b32_e32 v8, 2, v8
	ds_add_u32 v8, v20 offset:4096
	v_bfe_u32 v8, v4, 16, 8
	v_lshl_or_b32 v8, v8, 2, v15
	v_lshlrev_b32_e32 v8, 2, v8
	v_xor_b32_e32 v5, 0x7fffffff, v5
	ds_add_u32 v8, v20 offset:8192
	v_lshrrev_b32_e32 v8, 24, v4
	v_lshl_or_b32 v8, v8, 2, v15
	v_alignbit_b32 v4, v5, v4, 30
	v_lshlrev_b32_e32 v8, 2, v8
	v_and_or_b32 v4, v4, s0, v15
	ds_add_u32 v8, v20 offset:12288
	v_lshlrev_b32_e32 v4, 2, v4
	ds_add_u32 v4, v20 offset:16384
	v_bfe_u32 v4, v5, 8, 8
	v_lshl_or_b32 v4, v4, 2, v15
	v_lshlrev_b32_e32 v4, 2, v4
	ds_add_u32 v4, v20 offset:20480
	v_bfe_u32 v4, v5, 16, 8
	v_lshl_or_b32 v4, v4, 2, v15
	v_lshlrev_b32_e32 v4, 2, v4
	ds_add_u32 v4, v20 offset:24576
	v_lshrrev_b32_e32 v4, 24, v5
	v_lshl_or_b32 v4, v4, 2, v15
	v_lshlrev_b32_e32 v4, 2, v4
	ds_add_u32 v4, v20 offset:28672
	v_lshlrev_b32_e32 v4, 2, v18
	v_and_or_b32 v4, v4, s0, v15
	v_lshlrev_b32_e32 v4, 2, v4
	ds_add_u32 v4, v20
	v_bfe_u32 v4, v18, 8, 8
	v_lshl_or_b32 v4, v4, 2, v15
	v_lshlrev_b32_e32 v4, 2, v4
	ds_add_u32 v4, v20 offset:4096
	v_bfe_u32 v4, v18, 16, 8
	v_lshl_or_b32 v4, v4, 2, v15
	v_lshlrev_b32_e32 v4, 2, v4
	ds_add_u32 v4, v20 offset:8192
	v_lshrrev_b32_e32 v4, 24, v18
	v_lshl_or_b32 v4, v4, 2, v15
	v_xor_b32_e32 v3, 0x7fffffff, v3
	v_lshlrev_b32_e32 v4, 2, v4
	ds_add_u32 v4, v20 offset:12288
	v_alignbit_b32 v4, v3, v18, 30
	v_and_or_b32 v4, v4, s0, v15
	v_lshlrev_b32_e32 v4, 2, v4
	ds_add_u32 v4, v20 offset:16384
	v_bfe_u32 v4, v3, 8, 8
	v_lshl_or_b32 v4, v4, 2, v15
	v_lshlrev_b32_e32 v4, 2, v4
	ds_add_u32 v4, v20 offset:20480
	v_bfe_u32 v4, v3, 16, 8
	v_lshl_or_b32 v4, v4, 2, v15
	v_lshrrev_b32_e32 v3, 24, v3
	v_lshlrev_b32_e32 v4, 2, v4
	v_lshl_or_b32 v3, v3, 2, v15
	v_xor_b32_e32 v6, -1, v6
	ds_add_u32 v4, v20 offset:24576
	v_lshlrev_b32_e32 v3, 2, v3
	ds_add_u32 v3, v20 offset:28672
	v_lshlrev_b32_e32 v3, 2, v6
	v_and_or_b32 v3, v3, s0, v15
	v_lshlrev_b32_e32 v3, 2, v3
	ds_add_u32 v3, v20
	v_bfe_u32 v3, v6, 8, 8
	v_lshl_or_b32 v3, v3, 2, v15
	v_lshlrev_b32_e32 v3, 2, v3
	ds_add_u32 v3, v20 offset:4096
	v_bfe_u32 v3, v6, 16, 8
	v_lshl_or_b32 v3, v3, 2, v15
	v_lshlrev_b32_e32 v3, 2, v3
	ds_add_u32 v3, v20 offset:8192
	v_lshrrev_b32_e32 v3, 24, v6
	v_lshl_or_b32 v3, v3, 2, v15
	v_xor_b32_e32 v7, 0x7fffffff, v7
	v_lshlrev_b32_e32 v3, 2, v3
	ds_add_u32 v3, v20 offset:12288
	v_alignbit_b32 v3, v7, v6, 30
	v_and_or_b32 v3, v3, s0, v15
	v_lshlrev_b32_e32 v3, 2, v3
	ds_add_u32 v3, v20 offset:16384
	v_bfe_u32 v3, v7, 8, 8
	v_lshl_or_b32 v3, v3, 2, v15
	v_lshlrev_b32_e32 v3, 2, v3
	ds_add_u32 v3, v20 offset:20480
	v_bfe_u32 v3, v7, 16, 8
	v_lshl_or_b32 v3, v3, 2, v15
	v_lshlrev_b32_e32 v3, 2, v3
	ds_add_u32 v3, v20 offset:24576
	v_lshrrev_b32_e32 v3, 24, v7
	v_lshl_or_b32 v3, v3, 2, v15
	v_xor_b32_e32 v16, -1, v16
	v_lshlrev_b32_e32 v3, 2, v3
	ds_add_u32 v3, v20 offset:28672
	v_lshlrev_b32_e32 v3, 2, v16
	v_and_or_b32 v3, v3, s0, v15
	v_lshlrev_b32_e32 v3, 2, v3
	ds_add_u32 v3, v20
	v_bfe_u32 v3, v16, 8, 8
	v_lshl_or_b32 v3, v3, 2, v15
	v_lshlrev_b32_e32 v3, 2, v3
	ds_add_u32 v3, v20 offset:4096
	v_bfe_u32 v3, v16, 16, 8
	v_lshl_or_b32 v3, v3, 2, v15
	v_lshlrev_b32_e32 v3, 2, v3
	ds_add_u32 v3, v20 offset:8192
	v_lshrrev_b32_e32 v3, 24, v16
	v_lshl_or_b32 v3, v3, 2, v15
	v_xor_b32_e32 v17, 0x7fffffff, v17
	v_lshlrev_b32_e32 v3, 2, v3
	ds_add_u32 v3, v20 offset:12288
	v_alignbit_b32 v3, v17, v16, 30
	v_and_or_b32 v3, v3, s0, v15
	v_lshlrev_b32_e32 v3, 2, v3
	ds_add_u32 v3, v20 offset:16384
	v_bfe_u32 v3, v17, 8, 8
	v_lshl_or_b32 v3, v3, 2, v15
	v_lshlrev_b32_e32 v3, 2, v3
	ds_add_u32 v3, v20 offset:20480
	v_bfe_u32 v3, v17, 16, 8
	v_lshl_or_b32 v3, v3, 2, v15
	v_lshlrev_b32_e32 v3, 2, v3
	ds_add_u32 v3, v20 offset:24576
	v_lshrrev_b32_e32 v3, 24, v17
	v_lshl_or_b32 v3, v3, 2, v15
	v_xor_b32_e32 v12, -1, v12
	;; [unrolled: 34-line block ×4, first 2 shown]
	v_lshlrev_b32_e32 v3, 2, v3
	ds_add_u32 v3, v20 offset:28672
	v_lshlrev_b32_e32 v3, 2, v14
	v_and_or_b32 v3, v3, s0, v15
	v_lshlrev_b32_e32 v3, 2, v3
	ds_add_u32 v3, v20
	v_bfe_u32 v3, v14, 8, 8
	v_lshl_or_b32 v3, v3, 2, v15
	v_lshlrev_b32_e32 v3, 2, v3
	ds_add_u32 v3, v20 offset:4096
	v_bfe_u32 v3, v14, 16, 8
	v_lshl_or_b32 v3, v3, 2, v15
	v_lshlrev_b32_e32 v3, 2, v3
	ds_add_u32 v3, v20 offset:8192
	v_lshrrev_b32_e32 v3, 24, v14
	v_lshl_or_b32 v3, v3, 2, v15
	v_lshlrev_b32_e32 v3, 2, v3
	ds_add_u32 v3, v20 offset:12288
	v_alignbit_b32 v3, v2, v14, 30
	v_and_or_b32 v3, v3, s0, v15
	v_lshlrev_b32_e32 v3, 2, v3
	ds_add_u32 v3, v20 offset:16384
	v_bfe_u32 v3, v2, 8, 8
	v_lshl_or_b32 v3, v3, 2, v15
	v_lshlrev_b32_e32 v3, 2, v3
	ds_add_u32 v3, v20 offset:20480
	v_bfe_u32 v3, v2, 16, 8
	v_lshl_or_b32 v3, v3, 2, v15
	v_lshrrev_b32_e32 v2, 24, v2
	v_lshlrev_b32_e32 v3, 2, v3
	v_lshl_or_b32 v2, v2, 2, v15
	ds_add_u32 v3, v20 offset:24576
	v_lshlrev_b32_e32 v2, 2, v2
	ds_add_u32 v2, v20 offset:28672
	s_movk_i32 s0, 0x100
	v_cmp_gt_u32_e32 vcc, s0, v0
	s_waitcnt lgkmcnt(0)
	s_barrier
	s_and_saveexec_b64 s[0:1], vcc
	s_cbranch_execz .LBB2184_411
; %bb.410:
	v_lshlrev_b32_e32 v6, 4, v0
	ds_read2_b32 v[2:3], v6 offset1:1
	ds_read2_b32 v[4:5], v6 offset0:2 offset1:3
	v_add_u32_e32 v7, 0x1000, v6
	v_add_u32_e32 v8, 0x1008, v6
	;; [unrolled: 1-line block ×3, first 2 shown]
	s_waitcnt lgkmcnt(1)
	v_add_u32_e32 v0, v3, v2
	s_waitcnt lgkmcnt(0)
	v_add3_u32 v0, v0, v4, v5
	global_atomic_add_x2 v24, v[0:1], s[2:3]
	ds_read2_b32 v[2:3], v7 offset1:1
	ds_read2_b32 v[4:5], v8 offset1:1
	v_add_u32_e32 v7, 0x2000, v6
	v_add_u32_e32 v8, 0x2008, v6
	s_waitcnt lgkmcnt(1)
	v_add_u32_e32 v0, v3, v2
	s_waitcnt lgkmcnt(0)
	v_add3_u32 v0, v0, v4, v5
	global_atomic_add_x2 v24, v[0:1], s[2:3] offset:2048
	ds_read2_b32 v[2:3], v7 offset1:1
	ds_read2_b32 v[4:5], v8 offset1:1
	v_or_b32_e32 v7, 0x1000, v24
	v_add_u32_e32 v8, 0x3000, v6
	s_waitcnt lgkmcnt(1)
	v_add_u32_e32 v0, v3, v2
	s_waitcnt lgkmcnt(0)
	v_add3_u32 v0, v0, v4, v5
	global_atomic_add_x2 v7, v[0:1], s[2:3]
	ds_read2_b32 v[2:3], v8 offset1:1
	ds_read2_b32 v[4:5], v9 offset1:1
	v_or_b32_e32 v7, 0x1800, v24
	v_or_b32_e32 v8, 0x4000, v6
	;; [unrolled: 1-line block ×3, first 2 shown]
	s_waitcnt lgkmcnt(1)
	v_add_u32_e32 v0, v3, v2
	s_waitcnt lgkmcnt(0)
	v_add3_u32 v0, v0, v4, v5
	global_atomic_add_x2 v7, v[0:1], s[2:3]
	ds_read2_b32 v[2:3], v8 offset1:1
	ds_read2_b32 v[4:5], v9 offset1:1
	v_or_b32_e32 v7, 0x2000, v24
	v_add_u32_e32 v8, 0x5000, v6
	v_add_u32_e32 v9, 0x5008, v6
	s_waitcnt lgkmcnt(1)
	v_add_u32_e32 v0, v3, v2
	s_waitcnt lgkmcnt(0)
	v_add3_u32 v0, v0, v4, v5
	global_atomic_add_x2 v7, v[0:1], s[2:3]
	ds_read2_b32 v[2:3], v8 offset1:1
	ds_read2_b32 v[4:5], v9 offset1:1
	v_or_b32_e32 v7, 0x2800, v24
	v_add_u32_e32 v8, 0x6000, v6
	v_add_u32_e32 v9, 0x6008, v6
	s_waitcnt lgkmcnt(1)
	v_add_u32_e32 v0, v3, v2
	s_waitcnt lgkmcnt(0)
	v_add3_u32 v0, v0, v4, v5
	global_atomic_add_x2 v7, v[0:1], s[2:3]
	ds_read2_b32 v[2:3], v8 offset1:1
	ds_read2_b32 v[4:5], v9 offset1:1
	v_or_b32_e32 v7, 0x3000, v24
	v_add_u32_e32 v8, 0x7000, v6
	v_add_u32_e32 v6, 0x7008, v6
	s_waitcnt lgkmcnt(1)
	v_add_u32_e32 v0, v3, v2
	s_waitcnt lgkmcnt(0)
	v_add3_u32 v0, v0, v4, v5
	global_atomic_add_x2 v7, v[0:1], s[2:3]
	ds_read2_b32 v[2:3], v8 offset1:1
	ds_read2_b32 v[4:5], v6 offset1:1
	s_waitcnt lgkmcnt(1)
	v_add_u32_e32 v0, v3, v2
	s_waitcnt lgkmcnt(0)
	v_add3_u32 v0, v0, v4, v5
	v_or_b32_e32 v2, 0x3800, v24
	global_atomic_add_x2 v2, v[0:1], s[2:3]
.LBB2184_411:
	s_endpgm
	.section	.rodata,"a",@progbits
	.p2align	6, 0x0
	.amdhsa_kernel _ZN7rocprim17ROCPRIM_400000_NS6detail17trampoline_kernelINS0_14default_configENS1_35radix_sort_onesweep_config_selectorIlNS0_10empty_typeEEEZNS1_34radix_sort_onesweep_global_offsetsIS3_Lb1EPlPS5_mNS0_19identity_decomposerEEE10hipError_tT1_T2_PT3_SE_jT4_jjP12ihipStream_tbEUlT_E_NS1_11comp_targetILNS1_3genE4ELNS1_11target_archE910ELNS1_3gpuE8ELNS1_3repE0EEENS1_52radix_sort_onesweep_histogram_config_static_selectorELNS0_4arch9wavefront6targetE1EEEvSC_
		.amdhsa_group_segment_fixed_size 32768
		.amdhsa_private_segment_fixed_size 0
		.amdhsa_kernarg_size 48
		.amdhsa_user_sgpr_count 6
		.amdhsa_user_sgpr_private_segment_buffer 1
		.amdhsa_user_sgpr_dispatch_ptr 0
		.amdhsa_user_sgpr_queue_ptr 0
		.amdhsa_user_sgpr_kernarg_segment_ptr 1
		.amdhsa_user_sgpr_dispatch_id 0
		.amdhsa_user_sgpr_flat_scratch_init 0
		.amdhsa_user_sgpr_kernarg_preload_length 0
		.amdhsa_user_sgpr_kernarg_preload_offset 0
		.amdhsa_user_sgpr_private_segment_size 0
		.amdhsa_uses_dynamic_stack 0
		.amdhsa_system_sgpr_private_segment_wavefront_offset 0
		.amdhsa_system_sgpr_workgroup_id_x 1
		.amdhsa_system_sgpr_workgroup_id_y 0
		.amdhsa_system_sgpr_workgroup_id_z 0
		.amdhsa_system_sgpr_workgroup_info 0
		.amdhsa_system_vgpr_workitem_id 0
		.amdhsa_next_free_vgpr 30
		.amdhsa_next_free_sgpr 18
		.amdhsa_accum_offset 32
		.amdhsa_reserve_vcc 1
		.amdhsa_reserve_flat_scratch 0
		.amdhsa_float_round_mode_32 0
		.amdhsa_float_round_mode_16_64 0
		.amdhsa_float_denorm_mode_32 3
		.amdhsa_float_denorm_mode_16_64 3
		.amdhsa_dx10_clamp 1
		.amdhsa_ieee_mode 1
		.amdhsa_fp16_overflow 0
		.amdhsa_tg_split 0
		.amdhsa_exception_fp_ieee_invalid_op 0
		.amdhsa_exception_fp_denorm_src 0
		.amdhsa_exception_fp_ieee_div_zero 0
		.amdhsa_exception_fp_ieee_overflow 0
		.amdhsa_exception_fp_ieee_underflow 0
		.amdhsa_exception_fp_ieee_inexact 0
		.amdhsa_exception_int_div_zero 0
	.end_amdhsa_kernel
	.section	.text._ZN7rocprim17ROCPRIM_400000_NS6detail17trampoline_kernelINS0_14default_configENS1_35radix_sort_onesweep_config_selectorIlNS0_10empty_typeEEEZNS1_34radix_sort_onesweep_global_offsetsIS3_Lb1EPlPS5_mNS0_19identity_decomposerEEE10hipError_tT1_T2_PT3_SE_jT4_jjP12ihipStream_tbEUlT_E_NS1_11comp_targetILNS1_3genE4ELNS1_11target_archE910ELNS1_3gpuE8ELNS1_3repE0EEENS1_52radix_sort_onesweep_histogram_config_static_selectorELNS0_4arch9wavefront6targetE1EEEvSC_,"axG",@progbits,_ZN7rocprim17ROCPRIM_400000_NS6detail17trampoline_kernelINS0_14default_configENS1_35radix_sort_onesweep_config_selectorIlNS0_10empty_typeEEEZNS1_34radix_sort_onesweep_global_offsetsIS3_Lb1EPlPS5_mNS0_19identity_decomposerEEE10hipError_tT1_T2_PT3_SE_jT4_jjP12ihipStream_tbEUlT_E_NS1_11comp_targetILNS1_3genE4ELNS1_11target_archE910ELNS1_3gpuE8ELNS1_3repE0EEENS1_52radix_sort_onesweep_histogram_config_static_selectorELNS0_4arch9wavefront6targetE1EEEvSC_,comdat
.Lfunc_end2184:
	.size	_ZN7rocprim17ROCPRIM_400000_NS6detail17trampoline_kernelINS0_14default_configENS1_35radix_sort_onesweep_config_selectorIlNS0_10empty_typeEEEZNS1_34radix_sort_onesweep_global_offsetsIS3_Lb1EPlPS5_mNS0_19identity_decomposerEEE10hipError_tT1_T2_PT3_SE_jT4_jjP12ihipStream_tbEUlT_E_NS1_11comp_targetILNS1_3genE4ELNS1_11target_archE910ELNS1_3gpuE8ELNS1_3repE0EEENS1_52radix_sort_onesweep_histogram_config_static_selectorELNS0_4arch9wavefront6targetE1EEEvSC_, .Lfunc_end2184-_ZN7rocprim17ROCPRIM_400000_NS6detail17trampoline_kernelINS0_14default_configENS1_35radix_sort_onesweep_config_selectorIlNS0_10empty_typeEEEZNS1_34radix_sort_onesweep_global_offsetsIS3_Lb1EPlPS5_mNS0_19identity_decomposerEEE10hipError_tT1_T2_PT3_SE_jT4_jjP12ihipStream_tbEUlT_E_NS1_11comp_targetILNS1_3genE4ELNS1_11target_archE910ELNS1_3gpuE8ELNS1_3repE0EEENS1_52radix_sort_onesweep_histogram_config_static_selectorELNS0_4arch9wavefront6targetE1EEEvSC_
                                        ; -- End function
	.section	.AMDGPU.csdata,"",@progbits
; Kernel info:
; codeLenInByte = 15260
; NumSgprs: 22
; NumVgprs: 30
; NumAgprs: 0
; TotalNumVgprs: 30
; ScratchSize: 0
; MemoryBound: 0
; FloatMode: 240
; IeeeMode: 1
; LDSByteSize: 32768 bytes/workgroup (compile time only)
; SGPRBlocks: 2
; VGPRBlocks: 3
; NumSGPRsForWavesPerEU: 22
; NumVGPRsForWavesPerEU: 30
; AccumOffset: 32
; Occupancy: 8
; WaveLimiterHint : 1
; COMPUTE_PGM_RSRC2:SCRATCH_EN: 0
; COMPUTE_PGM_RSRC2:USER_SGPR: 6
; COMPUTE_PGM_RSRC2:TRAP_HANDLER: 0
; COMPUTE_PGM_RSRC2:TGID_X_EN: 1
; COMPUTE_PGM_RSRC2:TGID_Y_EN: 0
; COMPUTE_PGM_RSRC2:TGID_Z_EN: 0
; COMPUTE_PGM_RSRC2:TIDIG_COMP_CNT: 0
; COMPUTE_PGM_RSRC3_GFX90A:ACCUM_OFFSET: 7
; COMPUTE_PGM_RSRC3_GFX90A:TG_SPLIT: 0
	.section	.text._ZN7rocprim17ROCPRIM_400000_NS6detail17trampoline_kernelINS0_14default_configENS1_35radix_sort_onesweep_config_selectorIlNS0_10empty_typeEEEZNS1_34radix_sort_onesweep_global_offsetsIS3_Lb1EPlPS5_mNS0_19identity_decomposerEEE10hipError_tT1_T2_PT3_SE_jT4_jjP12ihipStream_tbEUlT_E_NS1_11comp_targetILNS1_3genE3ELNS1_11target_archE908ELNS1_3gpuE7ELNS1_3repE0EEENS1_52radix_sort_onesweep_histogram_config_static_selectorELNS0_4arch9wavefront6targetE1EEEvSC_,"axG",@progbits,_ZN7rocprim17ROCPRIM_400000_NS6detail17trampoline_kernelINS0_14default_configENS1_35radix_sort_onesweep_config_selectorIlNS0_10empty_typeEEEZNS1_34radix_sort_onesweep_global_offsetsIS3_Lb1EPlPS5_mNS0_19identity_decomposerEEE10hipError_tT1_T2_PT3_SE_jT4_jjP12ihipStream_tbEUlT_E_NS1_11comp_targetILNS1_3genE3ELNS1_11target_archE908ELNS1_3gpuE7ELNS1_3repE0EEENS1_52radix_sort_onesweep_histogram_config_static_selectorELNS0_4arch9wavefront6targetE1EEEvSC_,comdat
	.protected	_ZN7rocprim17ROCPRIM_400000_NS6detail17trampoline_kernelINS0_14default_configENS1_35radix_sort_onesweep_config_selectorIlNS0_10empty_typeEEEZNS1_34radix_sort_onesweep_global_offsetsIS3_Lb1EPlPS5_mNS0_19identity_decomposerEEE10hipError_tT1_T2_PT3_SE_jT4_jjP12ihipStream_tbEUlT_E_NS1_11comp_targetILNS1_3genE3ELNS1_11target_archE908ELNS1_3gpuE7ELNS1_3repE0EEENS1_52radix_sort_onesweep_histogram_config_static_selectorELNS0_4arch9wavefront6targetE1EEEvSC_ ; -- Begin function _ZN7rocprim17ROCPRIM_400000_NS6detail17trampoline_kernelINS0_14default_configENS1_35radix_sort_onesweep_config_selectorIlNS0_10empty_typeEEEZNS1_34radix_sort_onesweep_global_offsetsIS3_Lb1EPlPS5_mNS0_19identity_decomposerEEE10hipError_tT1_T2_PT3_SE_jT4_jjP12ihipStream_tbEUlT_E_NS1_11comp_targetILNS1_3genE3ELNS1_11target_archE908ELNS1_3gpuE7ELNS1_3repE0EEENS1_52radix_sort_onesweep_histogram_config_static_selectorELNS0_4arch9wavefront6targetE1EEEvSC_
	.globl	_ZN7rocprim17ROCPRIM_400000_NS6detail17trampoline_kernelINS0_14default_configENS1_35radix_sort_onesweep_config_selectorIlNS0_10empty_typeEEEZNS1_34radix_sort_onesweep_global_offsetsIS3_Lb1EPlPS5_mNS0_19identity_decomposerEEE10hipError_tT1_T2_PT3_SE_jT4_jjP12ihipStream_tbEUlT_E_NS1_11comp_targetILNS1_3genE3ELNS1_11target_archE908ELNS1_3gpuE7ELNS1_3repE0EEENS1_52radix_sort_onesweep_histogram_config_static_selectorELNS0_4arch9wavefront6targetE1EEEvSC_
	.p2align	8
	.type	_ZN7rocprim17ROCPRIM_400000_NS6detail17trampoline_kernelINS0_14default_configENS1_35radix_sort_onesweep_config_selectorIlNS0_10empty_typeEEEZNS1_34radix_sort_onesweep_global_offsetsIS3_Lb1EPlPS5_mNS0_19identity_decomposerEEE10hipError_tT1_T2_PT3_SE_jT4_jjP12ihipStream_tbEUlT_E_NS1_11comp_targetILNS1_3genE3ELNS1_11target_archE908ELNS1_3gpuE7ELNS1_3repE0EEENS1_52radix_sort_onesweep_histogram_config_static_selectorELNS0_4arch9wavefront6targetE1EEEvSC_,@function
_ZN7rocprim17ROCPRIM_400000_NS6detail17trampoline_kernelINS0_14default_configENS1_35radix_sort_onesweep_config_selectorIlNS0_10empty_typeEEEZNS1_34radix_sort_onesweep_global_offsetsIS3_Lb1EPlPS5_mNS0_19identity_decomposerEEE10hipError_tT1_T2_PT3_SE_jT4_jjP12ihipStream_tbEUlT_E_NS1_11comp_targetILNS1_3genE3ELNS1_11target_archE908ELNS1_3gpuE7ELNS1_3repE0EEENS1_52radix_sort_onesweep_histogram_config_static_selectorELNS0_4arch9wavefront6targetE1EEEvSC_: ; @_ZN7rocprim17ROCPRIM_400000_NS6detail17trampoline_kernelINS0_14default_configENS1_35radix_sort_onesweep_config_selectorIlNS0_10empty_typeEEEZNS1_34radix_sort_onesweep_global_offsetsIS3_Lb1EPlPS5_mNS0_19identity_decomposerEEE10hipError_tT1_T2_PT3_SE_jT4_jjP12ihipStream_tbEUlT_E_NS1_11comp_targetILNS1_3genE3ELNS1_11target_archE908ELNS1_3gpuE7ELNS1_3repE0EEENS1_52radix_sort_onesweep_histogram_config_static_selectorELNS0_4arch9wavefront6targetE1EEEvSC_
; %bb.0:
	.section	.rodata,"a",@progbits
	.p2align	6, 0x0
	.amdhsa_kernel _ZN7rocprim17ROCPRIM_400000_NS6detail17trampoline_kernelINS0_14default_configENS1_35radix_sort_onesweep_config_selectorIlNS0_10empty_typeEEEZNS1_34radix_sort_onesweep_global_offsetsIS3_Lb1EPlPS5_mNS0_19identity_decomposerEEE10hipError_tT1_T2_PT3_SE_jT4_jjP12ihipStream_tbEUlT_E_NS1_11comp_targetILNS1_3genE3ELNS1_11target_archE908ELNS1_3gpuE7ELNS1_3repE0EEENS1_52radix_sort_onesweep_histogram_config_static_selectorELNS0_4arch9wavefront6targetE1EEEvSC_
		.amdhsa_group_segment_fixed_size 0
		.amdhsa_private_segment_fixed_size 0
		.amdhsa_kernarg_size 48
		.amdhsa_user_sgpr_count 6
		.amdhsa_user_sgpr_private_segment_buffer 1
		.amdhsa_user_sgpr_dispatch_ptr 0
		.amdhsa_user_sgpr_queue_ptr 0
		.amdhsa_user_sgpr_kernarg_segment_ptr 1
		.amdhsa_user_sgpr_dispatch_id 0
		.amdhsa_user_sgpr_flat_scratch_init 0
		.amdhsa_user_sgpr_kernarg_preload_length 0
		.amdhsa_user_sgpr_kernarg_preload_offset 0
		.amdhsa_user_sgpr_private_segment_size 0
		.amdhsa_uses_dynamic_stack 0
		.amdhsa_system_sgpr_private_segment_wavefront_offset 0
		.amdhsa_system_sgpr_workgroup_id_x 1
		.amdhsa_system_sgpr_workgroup_id_y 0
		.amdhsa_system_sgpr_workgroup_id_z 0
		.amdhsa_system_sgpr_workgroup_info 0
		.amdhsa_system_vgpr_workitem_id 0
		.amdhsa_next_free_vgpr 1
		.amdhsa_next_free_sgpr 0
		.amdhsa_accum_offset 4
		.amdhsa_reserve_vcc 0
		.amdhsa_reserve_flat_scratch 0
		.amdhsa_float_round_mode_32 0
		.amdhsa_float_round_mode_16_64 0
		.amdhsa_float_denorm_mode_32 3
		.amdhsa_float_denorm_mode_16_64 3
		.amdhsa_dx10_clamp 1
		.amdhsa_ieee_mode 1
		.amdhsa_fp16_overflow 0
		.amdhsa_tg_split 0
		.amdhsa_exception_fp_ieee_invalid_op 0
		.amdhsa_exception_fp_denorm_src 0
		.amdhsa_exception_fp_ieee_div_zero 0
		.amdhsa_exception_fp_ieee_overflow 0
		.amdhsa_exception_fp_ieee_underflow 0
		.amdhsa_exception_fp_ieee_inexact 0
		.amdhsa_exception_int_div_zero 0
	.end_amdhsa_kernel
	.section	.text._ZN7rocprim17ROCPRIM_400000_NS6detail17trampoline_kernelINS0_14default_configENS1_35radix_sort_onesweep_config_selectorIlNS0_10empty_typeEEEZNS1_34radix_sort_onesweep_global_offsetsIS3_Lb1EPlPS5_mNS0_19identity_decomposerEEE10hipError_tT1_T2_PT3_SE_jT4_jjP12ihipStream_tbEUlT_E_NS1_11comp_targetILNS1_3genE3ELNS1_11target_archE908ELNS1_3gpuE7ELNS1_3repE0EEENS1_52radix_sort_onesweep_histogram_config_static_selectorELNS0_4arch9wavefront6targetE1EEEvSC_,"axG",@progbits,_ZN7rocprim17ROCPRIM_400000_NS6detail17trampoline_kernelINS0_14default_configENS1_35radix_sort_onesweep_config_selectorIlNS0_10empty_typeEEEZNS1_34radix_sort_onesweep_global_offsetsIS3_Lb1EPlPS5_mNS0_19identity_decomposerEEE10hipError_tT1_T2_PT3_SE_jT4_jjP12ihipStream_tbEUlT_E_NS1_11comp_targetILNS1_3genE3ELNS1_11target_archE908ELNS1_3gpuE7ELNS1_3repE0EEENS1_52radix_sort_onesweep_histogram_config_static_selectorELNS0_4arch9wavefront6targetE1EEEvSC_,comdat
.Lfunc_end2185:
	.size	_ZN7rocprim17ROCPRIM_400000_NS6detail17trampoline_kernelINS0_14default_configENS1_35radix_sort_onesweep_config_selectorIlNS0_10empty_typeEEEZNS1_34radix_sort_onesweep_global_offsetsIS3_Lb1EPlPS5_mNS0_19identity_decomposerEEE10hipError_tT1_T2_PT3_SE_jT4_jjP12ihipStream_tbEUlT_E_NS1_11comp_targetILNS1_3genE3ELNS1_11target_archE908ELNS1_3gpuE7ELNS1_3repE0EEENS1_52radix_sort_onesweep_histogram_config_static_selectorELNS0_4arch9wavefront6targetE1EEEvSC_, .Lfunc_end2185-_ZN7rocprim17ROCPRIM_400000_NS6detail17trampoline_kernelINS0_14default_configENS1_35radix_sort_onesweep_config_selectorIlNS0_10empty_typeEEEZNS1_34radix_sort_onesweep_global_offsetsIS3_Lb1EPlPS5_mNS0_19identity_decomposerEEE10hipError_tT1_T2_PT3_SE_jT4_jjP12ihipStream_tbEUlT_E_NS1_11comp_targetILNS1_3genE3ELNS1_11target_archE908ELNS1_3gpuE7ELNS1_3repE0EEENS1_52radix_sort_onesweep_histogram_config_static_selectorELNS0_4arch9wavefront6targetE1EEEvSC_
                                        ; -- End function
	.section	.AMDGPU.csdata,"",@progbits
; Kernel info:
; codeLenInByte = 0
; NumSgprs: 4
; NumVgprs: 0
; NumAgprs: 0
; TotalNumVgprs: 0
; ScratchSize: 0
; MemoryBound: 0
; FloatMode: 240
; IeeeMode: 1
; LDSByteSize: 0 bytes/workgroup (compile time only)
; SGPRBlocks: 0
; VGPRBlocks: 0
; NumSGPRsForWavesPerEU: 4
; NumVGPRsForWavesPerEU: 1
; AccumOffset: 4
; Occupancy: 8
; WaveLimiterHint : 0
; COMPUTE_PGM_RSRC2:SCRATCH_EN: 0
; COMPUTE_PGM_RSRC2:USER_SGPR: 6
; COMPUTE_PGM_RSRC2:TRAP_HANDLER: 0
; COMPUTE_PGM_RSRC2:TGID_X_EN: 1
; COMPUTE_PGM_RSRC2:TGID_Y_EN: 0
; COMPUTE_PGM_RSRC2:TGID_Z_EN: 0
; COMPUTE_PGM_RSRC2:TIDIG_COMP_CNT: 0
; COMPUTE_PGM_RSRC3_GFX90A:ACCUM_OFFSET: 0
; COMPUTE_PGM_RSRC3_GFX90A:TG_SPLIT: 0
	.section	.text._ZN7rocprim17ROCPRIM_400000_NS6detail17trampoline_kernelINS0_14default_configENS1_35radix_sort_onesweep_config_selectorIlNS0_10empty_typeEEEZNS1_34radix_sort_onesweep_global_offsetsIS3_Lb1EPlPS5_mNS0_19identity_decomposerEEE10hipError_tT1_T2_PT3_SE_jT4_jjP12ihipStream_tbEUlT_E_NS1_11comp_targetILNS1_3genE10ELNS1_11target_archE1201ELNS1_3gpuE5ELNS1_3repE0EEENS1_52radix_sort_onesweep_histogram_config_static_selectorELNS0_4arch9wavefront6targetE1EEEvSC_,"axG",@progbits,_ZN7rocprim17ROCPRIM_400000_NS6detail17trampoline_kernelINS0_14default_configENS1_35radix_sort_onesweep_config_selectorIlNS0_10empty_typeEEEZNS1_34radix_sort_onesweep_global_offsetsIS3_Lb1EPlPS5_mNS0_19identity_decomposerEEE10hipError_tT1_T2_PT3_SE_jT4_jjP12ihipStream_tbEUlT_E_NS1_11comp_targetILNS1_3genE10ELNS1_11target_archE1201ELNS1_3gpuE5ELNS1_3repE0EEENS1_52radix_sort_onesweep_histogram_config_static_selectorELNS0_4arch9wavefront6targetE1EEEvSC_,comdat
	.protected	_ZN7rocprim17ROCPRIM_400000_NS6detail17trampoline_kernelINS0_14default_configENS1_35radix_sort_onesweep_config_selectorIlNS0_10empty_typeEEEZNS1_34radix_sort_onesweep_global_offsetsIS3_Lb1EPlPS5_mNS0_19identity_decomposerEEE10hipError_tT1_T2_PT3_SE_jT4_jjP12ihipStream_tbEUlT_E_NS1_11comp_targetILNS1_3genE10ELNS1_11target_archE1201ELNS1_3gpuE5ELNS1_3repE0EEENS1_52radix_sort_onesweep_histogram_config_static_selectorELNS0_4arch9wavefront6targetE1EEEvSC_ ; -- Begin function _ZN7rocprim17ROCPRIM_400000_NS6detail17trampoline_kernelINS0_14default_configENS1_35radix_sort_onesweep_config_selectorIlNS0_10empty_typeEEEZNS1_34radix_sort_onesweep_global_offsetsIS3_Lb1EPlPS5_mNS0_19identity_decomposerEEE10hipError_tT1_T2_PT3_SE_jT4_jjP12ihipStream_tbEUlT_E_NS1_11comp_targetILNS1_3genE10ELNS1_11target_archE1201ELNS1_3gpuE5ELNS1_3repE0EEENS1_52radix_sort_onesweep_histogram_config_static_selectorELNS0_4arch9wavefront6targetE1EEEvSC_
	.globl	_ZN7rocprim17ROCPRIM_400000_NS6detail17trampoline_kernelINS0_14default_configENS1_35radix_sort_onesweep_config_selectorIlNS0_10empty_typeEEEZNS1_34radix_sort_onesweep_global_offsetsIS3_Lb1EPlPS5_mNS0_19identity_decomposerEEE10hipError_tT1_T2_PT3_SE_jT4_jjP12ihipStream_tbEUlT_E_NS1_11comp_targetILNS1_3genE10ELNS1_11target_archE1201ELNS1_3gpuE5ELNS1_3repE0EEENS1_52radix_sort_onesweep_histogram_config_static_selectorELNS0_4arch9wavefront6targetE1EEEvSC_
	.p2align	8
	.type	_ZN7rocprim17ROCPRIM_400000_NS6detail17trampoline_kernelINS0_14default_configENS1_35radix_sort_onesweep_config_selectorIlNS0_10empty_typeEEEZNS1_34radix_sort_onesweep_global_offsetsIS3_Lb1EPlPS5_mNS0_19identity_decomposerEEE10hipError_tT1_T2_PT3_SE_jT4_jjP12ihipStream_tbEUlT_E_NS1_11comp_targetILNS1_3genE10ELNS1_11target_archE1201ELNS1_3gpuE5ELNS1_3repE0EEENS1_52radix_sort_onesweep_histogram_config_static_selectorELNS0_4arch9wavefront6targetE1EEEvSC_,@function
_ZN7rocprim17ROCPRIM_400000_NS6detail17trampoline_kernelINS0_14default_configENS1_35radix_sort_onesweep_config_selectorIlNS0_10empty_typeEEEZNS1_34radix_sort_onesweep_global_offsetsIS3_Lb1EPlPS5_mNS0_19identity_decomposerEEE10hipError_tT1_T2_PT3_SE_jT4_jjP12ihipStream_tbEUlT_E_NS1_11comp_targetILNS1_3genE10ELNS1_11target_archE1201ELNS1_3gpuE5ELNS1_3repE0EEENS1_52radix_sort_onesweep_histogram_config_static_selectorELNS0_4arch9wavefront6targetE1EEEvSC_: ; @_ZN7rocprim17ROCPRIM_400000_NS6detail17trampoline_kernelINS0_14default_configENS1_35radix_sort_onesweep_config_selectorIlNS0_10empty_typeEEEZNS1_34radix_sort_onesweep_global_offsetsIS3_Lb1EPlPS5_mNS0_19identity_decomposerEEE10hipError_tT1_T2_PT3_SE_jT4_jjP12ihipStream_tbEUlT_E_NS1_11comp_targetILNS1_3genE10ELNS1_11target_archE1201ELNS1_3gpuE5ELNS1_3repE0EEENS1_52radix_sort_onesweep_histogram_config_static_selectorELNS0_4arch9wavefront6targetE1EEEvSC_
; %bb.0:
	.section	.rodata,"a",@progbits
	.p2align	6, 0x0
	.amdhsa_kernel _ZN7rocprim17ROCPRIM_400000_NS6detail17trampoline_kernelINS0_14default_configENS1_35radix_sort_onesweep_config_selectorIlNS0_10empty_typeEEEZNS1_34radix_sort_onesweep_global_offsetsIS3_Lb1EPlPS5_mNS0_19identity_decomposerEEE10hipError_tT1_T2_PT3_SE_jT4_jjP12ihipStream_tbEUlT_E_NS1_11comp_targetILNS1_3genE10ELNS1_11target_archE1201ELNS1_3gpuE5ELNS1_3repE0EEENS1_52radix_sort_onesweep_histogram_config_static_selectorELNS0_4arch9wavefront6targetE1EEEvSC_
		.amdhsa_group_segment_fixed_size 0
		.amdhsa_private_segment_fixed_size 0
		.amdhsa_kernarg_size 48
		.amdhsa_user_sgpr_count 6
		.amdhsa_user_sgpr_private_segment_buffer 1
		.amdhsa_user_sgpr_dispatch_ptr 0
		.amdhsa_user_sgpr_queue_ptr 0
		.amdhsa_user_sgpr_kernarg_segment_ptr 1
		.amdhsa_user_sgpr_dispatch_id 0
		.amdhsa_user_sgpr_flat_scratch_init 0
		.amdhsa_user_sgpr_kernarg_preload_length 0
		.amdhsa_user_sgpr_kernarg_preload_offset 0
		.amdhsa_user_sgpr_private_segment_size 0
		.amdhsa_uses_dynamic_stack 0
		.amdhsa_system_sgpr_private_segment_wavefront_offset 0
		.amdhsa_system_sgpr_workgroup_id_x 1
		.amdhsa_system_sgpr_workgroup_id_y 0
		.amdhsa_system_sgpr_workgroup_id_z 0
		.amdhsa_system_sgpr_workgroup_info 0
		.amdhsa_system_vgpr_workitem_id 0
		.amdhsa_next_free_vgpr 1
		.amdhsa_next_free_sgpr 0
		.amdhsa_accum_offset 4
		.amdhsa_reserve_vcc 0
		.amdhsa_reserve_flat_scratch 0
		.amdhsa_float_round_mode_32 0
		.amdhsa_float_round_mode_16_64 0
		.amdhsa_float_denorm_mode_32 3
		.amdhsa_float_denorm_mode_16_64 3
		.amdhsa_dx10_clamp 1
		.amdhsa_ieee_mode 1
		.amdhsa_fp16_overflow 0
		.amdhsa_tg_split 0
		.amdhsa_exception_fp_ieee_invalid_op 0
		.amdhsa_exception_fp_denorm_src 0
		.amdhsa_exception_fp_ieee_div_zero 0
		.amdhsa_exception_fp_ieee_overflow 0
		.amdhsa_exception_fp_ieee_underflow 0
		.amdhsa_exception_fp_ieee_inexact 0
		.amdhsa_exception_int_div_zero 0
	.end_amdhsa_kernel
	.section	.text._ZN7rocprim17ROCPRIM_400000_NS6detail17trampoline_kernelINS0_14default_configENS1_35radix_sort_onesweep_config_selectorIlNS0_10empty_typeEEEZNS1_34radix_sort_onesweep_global_offsetsIS3_Lb1EPlPS5_mNS0_19identity_decomposerEEE10hipError_tT1_T2_PT3_SE_jT4_jjP12ihipStream_tbEUlT_E_NS1_11comp_targetILNS1_3genE10ELNS1_11target_archE1201ELNS1_3gpuE5ELNS1_3repE0EEENS1_52radix_sort_onesweep_histogram_config_static_selectorELNS0_4arch9wavefront6targetE1EEEvSC_,"axG",@progbits,_ZN7rocprim17ROCPRIM_400000_NS6detail17trampoline_kernelINS0_14default_configENS1_35radix_sort_onesweep_config_selectorIlNS0_10empty_typeEEEZNS1_34radix_sort_onesweep_global_offsetsIS3_Lb1EPlPS5_mNS0_19identity_decomposerEEE10hipError_tT1_T2_PT3_SE_jT4_jjP12ihipStream_tbEUlT_E_NS1_11comp_targetILNS1_3genE10ELNS1_11target_archE1201ELNS1_3gpuE5ELNS1_3repE0EEENS1_52radix_sort_onesweep_histogram_config_static_selectorELNS0_4arch9wavefront6targetE1EEEvSC_,comdat
.Lfunc_end2186:
	.size	_ZN7rocprim17ROCPRIM_400000_NS6detail17trampoline_kernelINS0_14default_configENS1_35radix_sort_onesweep_config_selectorIlNS0_10empty_typeEEEZNS1_34radix_sort_onesweep_global_offsetsIS3_Lb1EPlPS5_mNS0_19identity_decomposerEEE10hipError_tT1_T2_PT3_SE_jT4_jjP12ihipStream_tbEUlT_E_NS1_11comp_targetILNS1_3genE10ELNS1_11target_archE1201ELNS1_3gpuE5ELNS1_3repE0EEENS1_52radix_sort_onesweep_histogram_config_static_selectorELNS0_4arch9wavefront6targetE1EEEvSC_, .Lfunc_end2186-_ZN7rocprim17ROCPRIM_400000_NS6detail17trampoline_kernelINS0_14default_configENS1_35radix_sort_onesweep_config_selectorIlNS0_10empty_typeEEEZNS1_34radix_sort_onesweep_global_offsetsIS3_Lb1EPlPS5_mNS0_19identity_decomposerEEE10hipError_tT1_T2_PT3_SE_jT4_jjP12ihipStream_tbEUlT_E_NS1_11comp_targetILNS1_3genE10ELNS1_11target_archE1201ELNS1_3gpuE5ELNS1_3repE0EEENS1_52radix_sort_onesweep_histogram_config_static_selectorELNS0_4arch9wavefront6targetE1EEEvSC_
                                        ; -- End function
	.section	.AMDGPU.csdata,"",@progbits
; Kernel info:
; codeLenInByte = 0
; NumSgprs: 4
; NumVgprs: 0
; NumAgprs: 0
; TotalNumVgprs: 0
; ScratchSize: 0
; MemoryBound: 0
; FloatMode: 240
; IeeeMode: 1
; LDSByteSize: 0 bytes/workgroup (compile time only)
; SGPRBlocks: 0
; VGPRBlocks: 0
; NumSGPRsForWavesPerEU: 4
; NumVGPRsForWavesPerEU: 1
; AccumOffset: 4
; Occupancy: 8
; WaveLimiterHint : 0
; COMPUTE_PGM_RSRC2:SCRATCH_EN: 0
; COMPUTE_PGM_RSRC2:USER_SGPR: 6
; COMPUTE_PGM_RSRC2:TRAP_HANDLER: 0
; COMPUTE_PGM_RSRC2:TGID_X_EN: 1
; COMPUTE_PGM_RSRC2:TGID_Y_EN: 0
; COMPUTE_PGM_RSRC2:TGID_Z_EN: 0
; COMPUTE_PGM_RSRC2:TIDIG_COMP_CNT: 0
; COMPUTE_PGM_RSRC3_GFX90A:ACCUM_OFFSET: 0
; COMPUTE_PGM_RSRC3_GFX90A:TG_SPLIT: 0
	.section	.text._ZN7rocprim17ROCPRIM_400000_NS6detail17trampoline_kernelINS0_14default_configENS1_35radix_sort_onesweep_config_selectorIlNS0_10empty_typeEEEZNS1_34radix_sort_onesweep_global_offsetsIS3_Lb1EPlPS5_mNS0_19identity_decomposerEEE10hipError_tT1_T2_PT3_SE_jT4_jjP12ihipStream_tbEUlT_E_NS1_11comp_targetILNS1_3genE9ELNS1_11target_archE1100ELNS1_3gpuE3ELNS1_3repE0EEENS1_52radix_sort_onesweep_histogram_config_static_selectorELNS0_4arch9wavefront6targetE1EEEvSC_,"axG",@progbits,_ZN7rocprim17ROCPRIM_400000_NS6detail17trampoline_kernelINS0_14default_configENS1_35radix_sort_onesweep_config_selectorIlNS0_10empty_typeEEEZNS1_34radix_sort_onesweep_global_offsetsIS3_Lb1EPlPS5_mNS0_19identity_decomposerEEE10hipError_tT1_T2_PT3_SE_jT4_jjP12ihipStream_tbEUlT_E_NS1_11comp_targetILNS1_3genE9ELNS1_11target_archE1100ELNS1_3gpuE3ELNS1_3repE0EEENS1_52radix_sort_onesweep_histogram_config_static_selectorELNS0_4arch9wavefront6targetE1EEEvSC_,comdat
	.protected	_ZN7rocprim17ROCPRIM_400000_NS6detail17trampoline_kernelINS0_14default_configENS1_35radix_sort_onesweep_config_selectorIlNS0_10empty_typeEEEZNS1_34radix_sort_onesweep_global_offsetsIS3_Lb1EPlPS5_mNS0_19identity_decomposerEEE10hipError_tT1_T2_PT3_SE_jT4_jjP12ihipStream_tbEUlT_E_NS1_11comp_targetILNS1_3genE9ELNS1_11target_archE1100ELNS1_3gpuE3ELNS1_3repE0EEENS1_52radix_sort_onesweep_histogram_config_static_selectorELNS0_4arch9wavefront6targetE1EEEvSC_ ; -- Begin function _ZN7rocprim17ROCPRIM_400000_NS6detail17trampoline_kernelINS0_14default_configENS1_35radix_sort_onesweep_config_selectorIlNS0_10empty_typeEEEZNS1_34radix_sort_onesweep_global_offsetsIS3_Lb1EPlPS5_mNS0_19identity_decomposerEEE10hipError_tT1_T2_PT3_SE_jT4_jjP12ihipStream_tbEUlT_E_NS1_11comp_targetILNS1_3genE9ELNS1_11target_archE1100ELNS1_3gpuE3ELNS1_3repE0EEENS1_52radix_sort_onesweep_histogram_config_static_selectorELNS0_4arch9wavefront6targetE1EEEvSC_
	.globl	_ZN7rocprim17ROCPRIM_400000_NS6detail17trampoline_kernelINS0_14default_configENS1_35radix_sort_onesweep_config_selectorIlNS0_10empty_typeEEEZNS1_34radix_sort_onesweep_global_offsetsIS3_Lb1EPlPS5_mNS0_19identity_decomposerEEE10hipError_tT1_T2_PT3_SE_jT4_jjP12ihipStream_tbEUlT_E_NS1_11comp_targetILNS1_3genE9ELNS1_11target_archE1100ELNS1_3gpuE3ELNS1_3repE0EEENS1_52radix_sort_onesweep_histogram_config_static_selectorELNS0_4arch9wavefront6targetE1EEEvSC_
	.p2align	8
	.type	_ZN7rocprim17ROCPRIM_400000_NS6detail17trampoline_kernelINS0_14default_configENS1_35radix_sort_onesweep_config_selectorIlNS0_10empty_typeEEEZNS1_34radix_sort_onesweep_global_offsetsIS3_Lb1EPlPS5_mNS0_19identity_decomposerEEE10hipError_tT1_T2_PT3_SE_jT4_jjP12ihipStream_tbEUlT_E_NS1_11comp_targetILNS1_3genE9ELNS1_11target_archE1100ELNS1_3gpuE3ELNS1_3repE0EEENS1_52radix_sort_onesweep_histogram_config_static_selectorELNS0_4arch9wavefront6targetE1EEEvSC_,@function
_ZN7rocprim17ROCPRIM_400000_NS6detail17trampoline_kernelINS0_14default_configENS1_35radix_sort_onesweep_config_selectorIlNS0_10empty_typeEEEZNS1_34radix_sort_onesweep_global_offsetsIS3_Lb1EPlPS5_mNS0_19identity_decomposerEEE10hipError_tT1_T2_PT3_SE_jT4_jjP12ihipStream_tbEUlT_E_NS1_11comp_targetILNS1_3genE9ELNS1_11target_archE1100ELNS1_3gpuE3ELNS1_3repE0EEENS1_52radix_sort_onesweep_histogram_config_static_selectorELNS0_4arch9wavefront6targetE1EEEvSC_: ; @_ZN7rocprim17ROCPRIM_400000_NS6detail17trampoline_kernelINS0_14default_configENS1_35radix_sort_onesweep_config_selectorIlNS0_10empty_typeEEEZNS1_34radix_sort_onesweep_global_offsetsIS3_Lb1EPlPS5_mNS0_19identity_decomposerEEE10hipError_tT1_T2_PT3_SE_jT4_jjP12ihipStream_tbEUlT_E_NS1_11comp_targetILNS1_3genE9ELNS1_11target_archE1100ELNS1_3gpuE3ELNS1_3repE0EEENS1_52radix_sort_onesweep_histogram_config_static_selectorELNS0_4arch9wavefront6targetE1EEEvSC_
; %bb.0:
	.section	.rodata,"a",@progbits
	.p2align	6, 0x0
	.amdhsa_kernel _ZN7rocprim17ROCPRIM_400000_NS6detail17trampoline_kernelINS0_14default_configENS1_35radix_sort_onesweep_config_selectorIlNS0_10empty_typeEEEZNS1_34radix_sort_onesweep_global_offsetsIS3_Lb1EPlPS5_mNS0_19identity_decomposerEEE10hipError_tT1_T2_PT3_SE_jT4_jjP12ihipStream_tbEUlT_E_NS1_11comp_targetILNS1_3genE9ELNS1_11target_archE1100ELNS1_3gpuE3ELNS1_3repE0EEENS1_52radix_sort_onesweep_histogram_config_static_selectorELNS0_4arch9wavefront6targetE1EEEvSC_
		.amdhsa_group_segment_fixed_size 0
		.amdhsa_private_segment_fixed_size 0
		.amdhsa_kernarg_size 48
		.amdhsa_user_sgpr_count 6
		.amdhsa_user_sgpr_private_segment_buffer 1
		.amdhsa_user_sgpr_dispatch_ptr 0
		.amdhsa_user_sgpr_queue_ptr 0
		.amdhsa_user_sgpr_kernarg_segment_ptr 1
		.amdhsa_user_sgpr_dispatch_id 0
		.amdhsa_user_sgpr_flat_scratch_init 0
		.amdhsa_user_sgpr_kernarg_preload_length 0
		.amdhsa_user_sgpr_kernarg_preload_offset 0
		.amdhsa_user_sgpr_private_segment_size 0
		.amdhsa_uses_dynamic_stack 0
		.amdhsa_system_sgpr_private_segment_wavefront_offset 0
		.amdhsa_system_sgpr_workgroup_id_x 1
		.amdhsa_system_sgpr_workgroup_id_y 0
		.amdhsa_system_sgpr_workgroup_id_z 0
		.amdhsa_system_sgpr_workgroup_info 0
		.amdhsa_system_vgpr_workitem_id 0
		.amdhsa_next_free_vgpr 1
		.amdhsa_next_free_sgpr 0
		.amdhsa_accum_offset 4
		.amdhsa_reserve_vcc 0
		.amdhsa_reserve_flat_scratch 0
		.amdhsa_float_round_mode_32 0
		.amdhsa_float_round_mode_16_64 0
		.amdhsa_float_denorm_mode_32 3
		.amdhsa_float_denorm_mode_16_64 3
		.amdhsa_dx10_clamp 1
		.amdhsa_ieee_mode 1
		.amdhsa_fp16_overflow 0
		.amdhsa_tg_split 0
		.amdhsa_exception_fp_ieee_invalid_op 0
		.amdhsa_exception_fp_denorm_src 0
		.amdhsa_exception_fp_ieee_div_zero 0
		.amdhsa_exception_fp_ieee_overflow 0
		.amdhsa_exception_fp_ieee_underflow 0
		.amdhsa_exception_fp_ieee_inexact 0
		.amdhsa_exception_int_div_zero 0
	.end_amdhsa_kernel
	.section	.text._ZN7rocprim17ROCPRIM_400000_NS6detail17trampoline_kernelINS0_14default_configENS1_35radix_sort_onesweep_config_selectorIlNS0_10empty_typeEEEZNS1_34radix_sort_onesweep_global_offsetsIS3_Lb1EPlPS5_mNS0_19identity_decomposerEEE10hipError_tT1_T2_PT3_SE_jT4_jjP12ihipStream_tbEUlT_E_NS1_11comp_targetILNS1_3genE9ELNS1_11target_archE1100ELNS1_3gpuE3ELNS1_3repE0EEENS1_52radix_sort_onesweep_histogram_config_static_selectorELNS0_4arch9wavefront6targetE1EEEvSC_,"axG",@progbits,_ZN7rocprim17ROCPRIM_400000_NS6detail17trampoline_kernelINS0_14default_configENS1_35radix_sort_onesweep_config_selectorIlNS0_10empty_typeEEEZNS1_34radix_sort_onesweep_global_offsetsIS3_Lb1EPlPS5_mNS0_19identity_decomposerEEE10hipError_tT1_T2_PT3_SE_jT4_jjP12ihipStream_tbEUlT_E_NS1_11comp_targetILNS1_3genE9ELNS1_11target_archE1100ELNS1_3gpuE3ELNS1_3repE0EEENS1_52radix_sort_onesweep_histogram_config_static_selectorELNS0_4arch9wavefront6targetE1EEEvSC_,comdat
.Lfunc_end2187:
	.size	_ZN7rocprim17ROCPRIM_400000_NS6detail17trampoline_kernelINS0_14default_configENS1_35radix_sort_onesweep_config_selectorIlNS0_10empty_typeEEEZNS1_34radix_sort_onesweep_global_offsetsIS3_Lb1EPlPS5_mNS0_19identity_decomposerEEE10hipError_tT1_T2_PT3_SE_jT4_jjP12ihipStream_tbEUlT_E_NS1_11comp_targetILNS1_3genE9ELNS1_11target_archE1100ELNS1_3gpuE3ELNS1_3repE0EEENS1_52radix_sort_onesweep_histogram_config_static_selectorELNS0_4arch9wavefront6targetE1EEEvSC_, .Lfunc_end2187-_ZN7rocprim17ROCPRIM_400000_NS6detail17trampoline_kernelINS0_14default_configENS1_35radix_sort_onesweep_config_selectorIlNS0_10empty_typeEEEZNS1_34radix_sort_onesweep_global_offsetsIS3_Lb1EPlPS5_mNS0_19identity_decomposerEEE10hipError_tT1_T2_PT3_SE_jT4_jjP12ihipStream_tbEUlT_E_NS1_11comp_targetILNS1_3genE9ELNS1_11target_archE1100ELNS1_3gpuE3ELNS1_3repE0EEENS1_52radix_sort_onesweep_histogram_config_static_selectorELNS0_4arch9wavefront6targetE1EEEvSC_
                                        ; -- End function
	.section	.AMDGPU.csdata,"",@progbits
; Kernel info:
; codeLenInByte = 0
; NumSgprs: 4
; NumVgprs: 0
; NumAgprs: 0
; TotalNumVgprs: 0
; ScratchSize: 0
; MemoryBound: 0
; FloatMode: 240
; IeeeMode: 1
; LDSByteSize: 0 bytes/workgroup (compile time only)
; SGPRBlocks: 0
; VGPRBlocks: 0
; NumSGPRsForWavesPerEU: 4
; NumVGPRsForWavesPerEU: 1
; AccumOffset: 4
; Occupancy: 8
; WaveLimiterHint : 0
; COMPUTE_PGM_RSRC2:SCRATCH_EN: 0
; COMPUTE_PGM_RSRC2:USER_SGPR: 6
; COMPUTE_PGM_RSRC2:TRAP_HANDLER: 0
; COMPUTE_PGM_RSRC2:TGID_X_EN: 1
; COMPUTE_PGM_RSRC2:TGID_Y_EN: 0
; COMPUTE_PGM_RSRC2:TGID_Z_EN: 0
; COMPUTE_PGM_RSRC2:TIDIG_COMP_CNT: 0
; COMPUTE_PGM_RSRC3_GFX90A:ACCUM_OFFSET: 0
; COMPUTE_PGM_RSRC3_GFX90A:TG_SPLIT: 0
	.section	.text._ZN7rocprim17ROCPRIM_400000_NS6detail17trampoline_kernelINS0_14default_configENS1_35radix_sort_onesweep_config_selectorIlNS0_10empty_typeEEEZNS1_34radix_sort_onesweep_global_offsetsIS3_Lb1EPlPS5_mNS0_19identity_decomposerEEE10hipError_tT1_T2_PT3_SE_jT4_jjP12ihipStream_tbEUlT_E_NS1_11comp_targetILNS1_3genE8ELNS1_11target_archE1030ELNS1_3gpuE2ELNS1_3repE0EEENS1_52radix_sort_onesweep_histogram_config_static_selectorELNS0_4arch9wavefront6targetE1EEEvSC_,"axG",@progbits,_ZN7rocprim17ROCPRIM_400000_NS6detail17trampoline_kernelINS0_14default_configENS1_35radix_sort_onesweep_config_selectorIlNS0_10empty_typeEEEZNS1_34radix_sort_onesweep_global_offsetsIS3_Lb1EPlPS5_mNS0_19identity_decomposerEEE10hipError_tT1_T2_PT3_SE_jT4_jjP12ihipStream_tbEUlT_E_NS1_11comp_targetILNS1_3genE8ELNS1_11target_archE1030ELNS1_3gpuE2ELNS1_3repE0EEENS1_52radix_sort_onesweep_histogram_config_static_selectorELNS0_4arch9wavefront6targetE1EEEvSC_,comdat
	.protected	_ZN7rocprim17ROCPRIM_400000_NS6detail17trampoline_kernelINS0_14default_configENS1_35radix_sort_onesweep_config_selectorIlNS0_10empty_typeEEEZNS1_34radix_sort_onesweep_global_offsetsIS3_Lb1EPlPS5_mNS0_19identity_decomposerEEE10hipError_tT1_T2_PT3_SE_jT4_jjP12ihipStream_tbEUlT_E_NS1_11comp_targetILNS1_3genE8ELNS1_11target_archE1030ELNS1_3gpuE2ELNS1_3repE0EEENS1_52radix_sort_onesweep_histogram_config_static_selectorELNS0_4arch9wavefront6targetE1EEEvSC_ ; -- Begin function _ZN7rocprim17ROCPRIM_400000_NS6detail17trampoline_kernelINS0_14default_configENS1_35radix_sort_onesweep_config_selectorIlNS0_10empty_typeEEEZNS1_34radix_sort_onesweep_global_offsetsIS3_Lb1EPlPS5_mNS0_19identity_decomposerEEE10hipError_tT1_T2_PT3_SE_jT4_jjP12ihipStream_tbEUlT_E_NS1_11comp_targetILNS1_3genE8ELNS1_11target_archE1030ELNS1_3gpuE2ELNS1_3repE0EEENS1_52radix_sort_onesweep_histogram_config_static_selectorELNS0_4arch9wavefront6targetE1EEEvSC_
	.globl	_ZN7rocprim17ROCPRIM_400000_NS6detail17trampoline_kernelINS0_14default_configENS1_35radix_sort_onesweep_config_selectorIlNS0_10empty_typeEEEZNS1_34radix_sort_onesweep_global_offsetsIS3_Lb1EPlPS5_mNS0_19identity_decomposerEEE10hipError_tT1_T2_PT3_SE_jT4_jjP12ihipStream_tbEUlT_E_NS1_11comp_targetILNS1_3genE8ELNS1_11target_archE1030ELNS1_3gpuE2ELNS1_3repE0EEENS1_52radix_sort_onesweep_histogram_config_static_selectorELNS0_4arch9wavefront6targetE1EEEvSC_
	.p2align	8
	.type	_ZN7rocprim17ROCPRIM_400000_NS6detail17trampoline_kernelINS0_14default_configENS1_35radix_sort_onesweep_config_selectorIlNS0_10empty_typeEEEZNS1_34radix_sort_onesweep_global_offsetsIS3_Lb1EPlPS5_mNS0_19identity_decomposerEEE10hipError_tT1_T2_PT3_SE_jT4_jjP12ihipStream_tbEUlT_E_NS1_11comp_targetILNS1_3genE8ELNS1_11target_archE1030ELNS1_3gpuE2ELNS1_3repE0EEENS1_52radix_sort_onesweep_histogram_config_static_selectorELNS0_4arch9wavefront6targetE1EEEvSC_,@function
_ZN7rocprim17ROCPRIM_400000_NS6detail17trampoline_kernelINS0_14default_configENS1_35radix_sort_onesweep_config_selectorIlNS0_10empty_typeEEEZNS1_34radix_sort_onesweep_global_offsetsIS3_Lb1EPlPS5_mNS0_19identity_decomposerEEE10hipError_tT1_T2_PT3_SE_jT4_jjP12ihipStream_tbEUlT_E_NS1_11comp_targetILNS1_3genE8ELNS1_11target_archE1030ELNS1_3gpuE2ELNS1_3repE0EEENS1_52radix_sort_onesweep_histogram_config_static_selectorELNS0_4arch9wavefront6targetE1EEEvSC_: ; @_ZN7rocprim17ROCPRIM_400000_NS6detail17trampoline_kernelINS0_14default_configENS1_35radix_sort_onesweep_config_selectorIlNS0_10empty_typeEEEZNS1_34radix_sort_onesweep_global_offsetsIS3_Lb1EPlPS5_mNS0_19identity_decomposerEEE10hipError_tT1_T2_PT3_SE_jT4_jjP12ihipStream_tbEUlT_E_NS1_11comp_targetILNS1_3genE8ELNS1_11target_archE1030ELNS1_3gpuE2ELNS1_3repE0EEENS1_52radix_sort_onesweep_histogram_config_static_selectorELNS0_4arch9wavefront6targetE1EEEvSC_
; %bb.0:
	.section	.rodata,"a",@progbits
	.p2align	6, 0x0
	.amdhsa_kernel _ZN7rocprim17ROCPRIM_400000_NS6detail17trampoline_kernelINS0_14default_configENS1_35radix_sort_onesweep_config_selectorIlNS0_10empty_typeEEEZNS1_34radix_sort_onesweep_global_offsetsIS3_Lb1EPlPS5_mNS0_19identity_decomposerEEE10hipError_tT1_T2_PT3_SE_jT4_jjP12ihipStream_tbEUlT_E_NS1_11comp_targetILNS1_3genE8ELNS1_11target_archE1030ELNS1_3gpuE2ELNS1_3repE0EEENS1_52radix_sort_onesweep_histogram_config_static_selectorELNS0_4arch9wavefront6targetE1EEEvSC_
		.amdhsa_group_segment_fixed_size 0
		.amdhsa_private_segment_fixed_size 0
		.amdhsa_kernarg_size 48
		.amdhsa_user_sgpr_count 6
		.amdhsa_user_sgpr_private_segment_buffer 1
		.amdhsa_user_sgpr_dispatch_ptr 0
		.amdhsa_user_sgpr_queue_ptr 0
		.amdhsa_user_sgpr_kernarg_segment_ptr 1
		.amdhsa_user_sgpr_dispatch_id 0
		.amdhsa_user_sgpr_flat_scratch_init 0
		.amdhsa_user_sgpr_kernarg_preload_length 0
		.amdhsa_user_sgpr_kernarg_preload_offset 0
		.amdhsa_user_sgpr_private_segment_size 0
		.amdhsa_uses_dynamic_stack 0
		.amdhsa_system_sgpr_private_segment_wavefront_offset 0
		.amdhsa_system_sgpr_workgroup_id_x 1
		.amdhsa_system_sgpr_workgroup_id_y 0
		.amdhsa_system_sgpr_workgroup_id_z 0
		.amdhsa_system_sgpr_workgroup_info 0
		.amdhsa_system_vgpr_workitem_id 0
		.amdhsa_next_free_vgpr 1
		.amdhsa_next_free_sgpr 0
		.amdhsa_accum_offset 4
		.amdhsa_reserve_vcc 0
		.amdhsa_reserve_flat_scratch 0
		.amdhsa_float_round_mode_32 0
		.amdhsa_float_round_mode_16_64 0
		.amdhsa_float_denorm_mode_32 3
		.amdhsa_float_denorm_mode_16_64 3
		.amdhsa_dx10_clamp 1
		.amdhsa_ieee_mode 1
		.amdhsa_fp16_overflow 0
		.amdhsa_tg_split 0
		.amdhsa_exception_fp_ieee_invalid_op 0
		.amdhsa_exception_fp_denorm_src 0
		.amdhsa_exception_fp_ieee_div_zero 0
		.amdhsa_exception_fp_ieee_overflow 0
		.amdhsa_exception_fp_ieee_underflow 0
		.amdhsa_exception_fp_ieee_inexact 0
		.amdhsa_exception_int_div_zero 0
	.end_amdhsa_kernel
	.section	.text._ZN7rocprim17ROCPRIM_400000_NS6detail17trampoline_kernelINS0_14default_configENS1_35radix_sort_onesweep_config_selectorIlNS0_10empty_typeEEEZNS1_34radix_sort_onesweep_global_offsetsIS3_Lb1EPlPS5_mNS0_19identity_decomposerEEE10hipError_tT1_T2_PT3_SE_jT4_jjP12ihipStream_tbEUlT_E_NS1_11comp_targetILNS1_3genE8ELNS1_11target_archE1030ELNS1_3gpuE2ELNS1_3repE0EEENS1_52radix_sort_onesweep_histogram_config_static_selectorELNS0_4arch9wavefront6targetE1EEEvSC_,"axG",@progbits,_ZN7rocprim17ROCPRIM_400000_NS6detail17trampoline_kernelINS0_14default_configENS1_35radix_sort_onesweep_config_selectorIlNS0_10empty_typeEEEZNS1_34radix_sort_onesweep_global_offsetsIS3_Lb1EPlPS5_mNS0_19identity_decomposerEEE10hipError_tT1_T2_PT3_SE_jT4_jjP12ihipStream_tbEUlT_E_NS1_11comp_targetILNS1_3genE8ELNS1_11target_archE1030ELNS1_3gpuE2ELNS1_3repE0EEENS1_52radix_sort_onesweep_histogram_config_static_selectorELNS0_4arch9wavefront6targetE1EEEvSC_,comdat
.Lfunc_end2188:
	.size	_ZN7rocprim17ROCPRIM_400000_NS6detail17trampoline_kernelINS0_14default_configENS1_35radix_sort_onesweep_config_selectorIlNS0_10empty_typeEEEZNS1_34radix_sort_onesweep_global_offsetsIS3_Lb1EPlPS5_mNS0_19identity_decomposerEEE10hipError_tT1_T2_PT3_SE_jT4_jjP12ihipStream_tbEUlT_E_NS1_11comp_targetILNS1_3genE8ELNS1_11target_archE1030ELNS1_3gpuE2ELNS1_3repE0EEENS1_52radix_sort_onesweep_histogram_config_static_selectorELNS0_4arch9wavefront6targetE1EEEvSC_, .Lfunc_end2188-_ZN7rocprim17ROCPRIM_400000_NS6detail17trampoline_kernelINS0_14default_configENS1_35radix_sort_onesweep_config_selectorIlNS0_10empty_typeEEEZNS1_34radix_sort_onesweep_global_offsetsIS3_Lb1EPlPS5_mNS0_19identity_decomposerEEE10hipError_tT1_T2_PT3_SE_jT4_jjP12ihipStream_tbEUlT_E_NS1_11comp_targetILNS1_3genE8ELNS1_11target_archE1030ELNS1_3gpuE2ELNS1_3repE0EEENS1_52radix_sort_onesweep_histogram_config_static_selectorELNS0_4arch9wavefront6targetE1EEEvSC_
                                        ; -- End function
	.section	.AMDGPU.csdata,"",@progbits
; Kernel info:
; codeLenInByte = 0
; NumSgprs: 4
; NumVgprs: 0
; NumAgprs: 0
; TotalNumVgprs: 0
; ScratchSize: 0
; MemoryBound: 0
; FloatMode: 240
; IeeeMode: 1
; LDSByteSize: 0 bytes/workgroup (compile time only)
; SGPRBlocks: 0
; VGPRBlocks: 0
; NumSGPRsForWavesPerEU: 4
; NumVGPRsForWavesPerEU: 1
; AccumOffset: 4
; Occupancy: 8
; WaveLimiterHint : 0
; COMPUTE_PGM_RSRC2:SCRATCH_EN: 0
; COMPUTE_PGM_RSRC2:USER_SGPR: 6
; COMPUTE_PGM_RSRC2:TRAP_HANDLER: 0
; COMPUTE_PGM_RSRC2:TGID_X_EN: 1
; COMPUTE_PGM_RSRC2:TGID_Y_EN: 0
; COMPUTE_PGM_RSRC2:TGID_Z_EN: 0
; COMPUTE_PGM_RSRC2:TIDIG_COMP_CNT: 0
; COMPUTE_PGM_RSRC3_GFX90A:ACCUM_OFFSET: 0
; COMPUTE_PGM_RSRC3_GFX90A:TG_SPLIT: 0
	.section	.text._ZN7rocprim17ROCPRIM_400000_NS6detail17trampoline_kernelINS0_14default_configENS1_35radix_sort_onesweep_config_selectorIlNS0_10empty_typeEEEZNS1_34radix_sort_onesweep_global_offsetsIS3_Lb1EPlPS5_mNS0_19identity_decomposerEEE10hipError_tT1_T2_PT3_SE_jT4_jjP12ihipStream_tbEUlT_E0_NS1_11comp_targetILNS1_3genE0ELNS1_11target_archE4294967295ELNS1_3gpuE0ELNS1_3repE0EEENS1_52radix_sort_onesweep_histogram_config_static_selectorELNS0_4arch9wavefront6targetE1EEEvSC_,"axG",@progbits,_ZN7rocprim17ROCPRIM_400000_NS6detail17trampoline_kernelINS0_14default_configENS1_35radix_sort_onesweep_config_selectorIlNS0_10empty_typeEEEZNS1_34radix_sort_onesweep_global_offsetsIS3_Lb1EPlPS5_mNS0_19identity_decomposerEEE10hipError_tT1_T2_PT3_SE_jT4_jjP12ihipStream_tbEUlT_E0_NS1_11comp_targetILNS1_3genE0ELNS1_11target_archE4294967295ELNS1_3gpuE0ELNS1_3repE0EEENS1_52radix_sort_onesweep_histogram_config_static_selectorELNS0_4arch9wavefront6targetE1EEEvSC_,comdat
	.protected	_ZN7rocprim17ROCPRIM_400000_NS6detail17trampoline_kernelINS0_14default_configENS1_35radix_sort_onesweep_config_selectorIlNS0_10empty_typeEEEZNS1_34radix_sort_onesweep_global_offsetsIS3_Lb1EPlPS5_mNS0_19identity_decomposerEEE10hipError_tT1_T2_PT3_SE_jT4_jjP12ihipStream_tbEUlT_E0_NS1_11comp_targetILNS1_3genE0ELNS1_11target_archE4294967295ELNS1_3gpuE0ELNS1_3repE0EEENS1_52radix_sort_onesweep_histogram_config_static_selectorELNS0_4arch9wavefront6targetE1EEEvSC_ ; -- Begin function _ZN7rocprim17ROCPRIM_400000_NS6detail17trampoline_kernelINS0_14default_configENS1_35radix_sort_onesweep_config_selectorIlNS0_10empty_typeEEEZNS1_34radix_sort_onesweep_global_offsetsIS3_Lb1EPlPS5_mNS0_19identity_decomposerEEE10hipError_tT1_T2_PT3_SE_jT4_jjP12ihipStream_tbEUlT_E0_NS1_11comp_targetILNS1_3genE0ELNS1_11target_archE4294967295ELNS1_3gpuE0ELNS1_3repE0EEENS1_52radix_sort_onesweep_histogram_config_static_selectorELNS0_4arch9wavefront6targetE1EEEvSC_
	.globl	_ZN7rocprim17ROCPRIM_400000_NS6detail17trampoline_kernelINS0_14default_configENS1_35radix_sort_onesweep_config_selectorIlNS0_10empty_typeEEEZNS1_34radix_sort_onesweep_global_offsetsIS3_Lb1EPlPS5_mNS0_19identity_decomposerEEE10hipError_tT1_T2_PT3_SE_jT4_jjP12ihipStream_tbEUlT_E0_NS1_11comp_targetILNS1_3genE0ELNS1_11target_archE4294967295ELNS1_3gpuE0ELNS1_3repE0EEENS1_52radix_sort_onesweep_histogram_config_static_selectorELNS0_4arch9wavefront6targetE1EEEvSC_
	.p2align	8
	.type	_ZN7rocprim17ROCPRIM_400000_NS6detail17trampoline_kernelINS0_14default_configENS1_35radix_sort_onesweep_config_selectorIlNS0_10empty_typeEEEZNS1_34radix_sort_onesweep_global_offsetsIS3_Lb1EPlPS5_mNS0_19identity_decomposerEEE10hipError_tT1_T2_PT3_SE_jT4_jjP12ihipStream_tbEUlT_E0_NS1_11comp_targetILNS1_3genE0ELNS1_11target_archE4294967295ELNS1_3gpuE0ELNS1_3repE0EEENS1_52radix_sort_onesweep_histogram_config_static_selectorELNS0_4arch9wavefront6targetE1EEEvSC_,@function
_ZN7rocprim17ROCPRIM_400000_NS6detail17trampoline_kernelINS0_14default_configENS1_35radix_sort_onesweep_config_selectorIlNS0_10empty_typeEEEZNS1_34radix_sort_onesweep_global_offsetsIS3_Lb1EPlPS5_mNS0_19identity_decomposerEEE10hipError_tT1_T2_PT3_SE_jT4_jjP12ihipStream_tbEUlT_E0_NS1_11comp_targetILNS1_3genE0ELNS1_11target_archE4294967295ELNS1_3gpuE0ELNS1_3repE0EEENS1_52radix_sort_onesweep_histogram_config_static_selectorELNS0_4arch9wavefront6targetE1EEEvSC_: ; @_ZN7rocprim17ROCPRIM_400000_NS6detail17trampoline_kernelINS0_14default_configENS1_35radix_sort_onesweep_config_selectorIlNS0_10empty_typeEEEZNS1_34radix_sort_onesweep_global_offsetsIS3_Lb1EPlPS5_mNS0_19identity_decomposerEEE10hipError_tT1_T2_PT3_SE_jT4_jjP12ihipStream_tbEUlT_E0_NS1_11comp_targetILNS1_3genE0ELNS1_11target_archE4294967295ELNS1_3gpuE0ELNS1_3repE0EEENS1_52radix_sort_onesweep_histogram_config_static_selectorELNS0_4arch9wavefront6targetE1EEEvSC_
; %bb.0:
	.section	.rodata,"a",@progbits
	.p2align	6, 0x0
	.amdhsa_kernel _ZN7rocprim17ROCPRIM_400000_NS6detail17trampoline_kernelINS0_14default_configENS1_35radix_sort_onesweep_config_selectorIlNS0_10empty_typeEEEZNS1_34radix_sort_onesweep_global_offsetsIS3_Lb1EPlPS5_mNS0_19identity_decomposerEEE10hipError_tT1_T2_PT3_SE_jT4_jjP12ihipStream_tbEUlT_E0_NS1_11comp_targetILNS1_3genE0ELNS1_11target_archE4294967295ELNS1_3gpuE0ELNS1_3repE0EEENS1_52radix_sort_onesweep_histogram_config_static_selectorELNS0_4arch9wavefront6targetE1EEEvSC_
		.amdhsa_group_segment_fixed_size 0
		.amdhsa_private_segment_fixed_size 0
		.amdhsa_kernarg_size 8
		.amdhsa_user_sgpr_count 6
		.amdhsa_user_sgpr_private_segment_buffer 1
		.amdhsa_user_sgpr_dispatch_ptr 0
		.amdhsa_user_sgpr_queue_ptr 0
		.amdhsa_user_sgpr_kernarg_segment_ptr 1
		.amdhsa_user_sgpr_dispatch_id 0
		.amdhsa_user_sgpr_flat_scratch_init 0
		.amdhsa_user_sgpr_kernarg_preload_length 0
		.amdhsa_user_sgpr_kernarg_preload_offset 0
		.amdhsa_user_sgpr_private_segment_size 0
		.amdhsa_uses_dynamic_stack 0
		.amdhsa_system_sgpr_private_segment_wavefront_offset 0
		.amdhsa_system_sgpr_workgroup_id_x 1
		.amdhsa_system_sgpr_workgroup_id_y 0
		.amdhsa_system_sgpr_workgroup_id_z 0
		.amdhsa_system_sgpr_workgroup_info 0
		.amdhsa_system_vgpr_workitem_id 0
		.amdhsa_next_free_vgpr 1
		.amdhsa_next_free_sgpr 0
		.amdhsa_accum_offset 4
		.amdhsa_reserve_vcc 0
		.amdhsa_reserve_flat_scratch 0
		.amdhsa_float_round_mode_32 0
		.amdhsa_float_round_mode_16_64 0
		.amdhsa_float_denorm_mode_32 3
		.amdhsa_float_denorm_mode_16_64 3
		.amdhsa_dx10_clamp 1
		.amdhsa_ieee_mode 1
		.amdhsa_fp16_overflow 0
		.amdhsa_tg_split 0
		.amdhsa_exception_fp_ieee_invalid_op 0
		.amdhsa_exception_fp_denorm_src 0
		.amdhsa_exception_fp_ieee_div_zero 0
		.amdhsa_exception_fp_ieee_overflow 0
		.amdhsa_exception_fp_ieee_underflow 0
		.amdhsa_exception_fp_ieee_inexact 0
		.amdhsa_exception_int_div_zero 0
	.end_amdhsa_kernel
	.section	.text._ZN7rocprim17ROCPRIM_400000_NS6detail17trampoline_kernelINS0_14default_configENS1_35radix_sort_onesweep_config_selectorIlNS0_10empty_typeEEEZNS1_34radix_sort_onesweep_global_offsetsIS3_Lb1EPlPS5_mNS0_19identity_decomposerEEE10hipError_tT1_T2_PT3_SE_jT4_jjP12ihipStream_tbEUlT_E0_NS1_11comp_targetILNS1_3genE0ELNS1_11target_archE4294967295ELNS1_3gpuE0ELNS1_3repE0EEENS1_52radix_sort_onesweep_histogram_config_static_selectorELNS0_4arch9wavefront6targetE1EEEvSC_,"axG",@progbits,_ZN7rocprim17ROCPRIM_400000_NS6detail17trampoline_kernelINS0_14default_configENS1_35radix_sort_onesweep_config_selectorIlNS0_10empty_typeEEEZNS1_34radix_sort_onesweep_global_offsetsIS3_Lb1EPlPS5_mNS0_19identity_decomposerEEE10hipError_tT1_T2_PT3_SE_jT4_jjP12ihipStream_tbEUlT_E0_NS1_11comp_targetILNS1_3genE0ELNS1_11target_archE4294967295ELNS1_3gpuE0ELNS1_3repE0EEENS1_52radix_sort_onesweep_histogram_config_static_selectorELNS0_4arch9wavefront6targetE1EEEvSC_,comdat
.Lfunc_end2189:
	.size	_ZN7rocprim17ROCPRIM_400000_NS6detail17trampoline_kernelINS0_14default_configENS1_35radix_sort_onesweep_config_selectorIlNS0_10empty_typeEEEZNS1_34radix_sort_onesweep_global_offsetsIS3_Lb1EPlPS5_mNS0_19identity_decomposerEEE10hipError_tT1_T2_PT3_SE_jT4_jjP12ihipStream_tbEUlT_E0_NS1_11comp_targetILNS1_3genE0ELNS1_11target_archE4294967295ELNS1_3gpuE0ELNS1_3repE0EEENS1_52radix_sort_onesweep_histogram_config_static_selectorELNS0_4arch9wavefront6targetE1EEEvSC_, .Lfunc_end2189-_ZN7rocprim17ROCPRIM_400000_NS6detail17trampoline_kernelINS0_14default_configENS1_35radix_sort_onesweep_config_selectorIlNS0_10empty_typeEEEZNS1_34radix_sort_onesweep_global_offsetsIS3_Lb1EPlPS5_mNS0_19identity_decomposerEEE10hipError_tT1_T2_PT3_SE_jT4_jjP12ihipStream_tbEUlT_E0_NS1_11comp_targetILNS1_3genE0ELNS1_11target_archE4294967295ELNS1_3gpuE0ELNS1_3repE0EEENS1_52radix_sort_onesweep_histogram_config_static_selectorELNS0_4arch9wavefront6targetE1EEEvSC_
                                        ; -- End function
	.section	.AMDGPU.csdata,"",@progbits
; Kernel info:
; codeLenInByte = 0
; NumSgprs: 4
; NumVgprs: 0
; NumAgprs: 0
; TotalNumVgprs: 0
; ScratchSize: 0
; MemoryBound: 0
; FloatMode: 240
; IeeeMode: 1
; LDSByteSize: 0 bytes/workgroup (compile time only)
; SGPRBlocks: 0
; VGPRBlocks: 0
; NumSGPRsForWavesPerEU: 4
; NumVGPRsForWavesPerEU: 1
; AccumOffset: 4
; Occupancy: 8
; WaveLimiterHint : 0
; COMPUTE_PGM_RSRC2:SCRATCH_EN: 0
; COMPUTE_PGM_RSRC2:USER_SGPR: 6
; COMPUTE_PGM_RSRC2:TRAP_HANDLER: 0
; COMPUTE_PGM_RSRC2:TGID_X_EN: 1
; COMPUTE_PGM_RSRC2:TGID_Y_EN: 0
; COMPUTE_PGM_RSRC2:TGID_Z_EN: 0
; COMPUTE_PGM_RSRC2:TIDIG_COMP_CNT: 0
; COMPUTE_PGM_RSRC3_GFX90A:ACCUM_OFFSET: 0
; COMPUTE_PGM_RSRC3_GFX90A:TG_SPLIT: 0
	.section	.text._ZN7rocprim17ROCPRIM_400000_NS6detail17trampoline_kernelINS0_14default_configENS1_35radix_sort_onesweep_config_selectorIlNS0_10empty_typeEEEZNS1_34radix_sort_onesweep_global_offsetsIS3_Lb1EPlPS5_mNS0_19identity_decomposerEEE10hipError_tT1_T2_PT3_SE_jT4_jjP12ihipStream_tbEUlT_E0_NS1_11comp_targetILNS1_3genE6ELNS1_11target_archE950ELNS1_3gpuE13ELNS1_3repE0EEENS1_52radix_sort_onesweep_histogram_config_static_selectorELNS0_4arch9wavefront6targetE1EEEvSC_,"axG",@progbits,_ZN7rocprim17ROCPRIM_400000_NS6detail17trampoline_kernelINS0_14default_configENS1_35radix_sort_onesweep_config_selectorIlNS0_10empty_typeEEEZNS1_34radix_sort_onesweep_global_offsetsIS3_Lb1EPlPS5_mNS0_19identity_decomposerEEE10hipError_tT1_T2_PT3_SE_jT4_jjP12ihipStream_tbEUlT_E0_NS1_11comp_targetILNS1_3genE6ELNS1_11target_archE950ELNS1_3gpuE13ELNS1_3repE0EEENS1_52radix_sort_onesweep_histogram_config_static_selectorELNS0_4arch9wavefront6targetE1EEEvSC_,comdat
	.protected	_ZN7rocprim17ROCPRIM_400000_NS6detail17trampoline_kernelINS0_14default_configENS1_35radix_sort_onesweep_config_selectorIlNS0_10empty_typeEEEZNS1_34radix_sort_onesweep_global_offsetsIS3_Lb1EPlPS5_mNS0_19identity_decomposerEEE10hipError_tT1_T2_PT3_SE_jT4_jjP12ihipStream_tbEUlT_E0_NS1_11comp_targetILNS1_3genE6ELNS1_11target_archE950ELNS1_3gpuE13ELNS1_3repE0EEENS1_52radix_sort_onesweep_histogram_config_static_selectorELNS0_4arch9wavefront6targetE1EEEvSC_ ; -- Begin function _ZN7rocprim17ROCPRIM_400000_NS6detail17trampoline_kernelINS0_14default_configENS1_35radix_sort_onesweep_config_selectorIlNS0_10empty_typeEEEZNS1_34radix_sort_onesweep_global_offsetsIS3_Lb1EPlPS5_mNS0_19identity_decomposerEEE10hipError_tT1_T2_PT3_SE_jT4_jjP12ihipStream_tbEUlT_E0_NS1_11comp_targetILNS1_3genE6ELNS1_11target_archE950ELNS1_3gpuE13ELNS1_3repE0EEENS1_52radix_sort_onesweep_histogram_config_static_selectorELNS0_4arch9wavefront6targetE1EEEvSC_
	.globl	_ZN7rocprim17ROCPRIM_400000_NS6detail17trampoline_kernelINS0_14default_configENS1_35radix_sort_onesweep_config_selectorIlNS0_10empty_typeEEEZNS1_34radix_sort_onesweep_global_offsetsIS3_Lb1EPlPS5_mNS0_19identity_decomposerEEE10hipError_tT1_T2_PT3_SE_jT4_jjP12ihipStream_tbEUlT_E0_NS1_11comp_targetILNS1_3genE6ELNS1_11target_archE950ELNS1_3gpuE13ELNS1_3repE0EEENS1_52radix_sort_onesweep_histogram_config_static_selectorELNS0_4arch9wavefront6targetE1EEEvSC_
	.p2align	8
	.type	_ZN7rocprim17ROCPRIM_400000_NS6detail17trampoline_kernelINS0_14default_configENS1_35radix_sort_onesweep_config_selectorIlNS0_10empty_typeEEEZNS1_34radix_sort_onesweep_global_offsetsIS3_Lb1EPlPS5_mNS0_19identity_decomposerEEE10hipError_tT1_T2_PT3_SE_jT4_jjP12ihipStream_tbEUlT_E0_NS1_11comp_targetILNS1_3genE6ELNS1_11target_archE950ELNS1_3gpuE13ELNS1_3repE0EEENS1_52radix_sort_onesweep_histogram_config_static_selectorELNS0_4arch9wavefront6targetE1EEEvSC_,@function
_ZN7rocprim17ROCPRIM_400000_NS6detail17trampoline_kernelINS0_14default_configENS1_35radix_sort_onesweep_config_selectorIlNS0_10empty_typeEEEZNS1_34radix_sort_onesweep_global_offsetsIS3_Lb1EPlPS5_mNS0_19identity_decomposerEEE10hipError_tT1_T2_PT3_SE_jT4_jjP12ihipStream_tbEUlT_E0_NS1_11comp_targetILNS1_3genE6ELNS1_11target_archE950ELNS1_3gpuE13ELNS1_3repE0EEENS1_52radix_sort_onesweep_histogram_config_static_selectorELNS0_4arch9wavefront6targetE1EEEvSC_: ; @_ZN7rocprim17ROCPRIM_400000_NS6detail17trampoline_kernelINS0_14default_configENS1_35radix_sort_onesweep_config_selectorIlNS0_10empty_typeEEEZNS1_34radix_sort_onesweep_global_offsetsIS3_Lb1EPlPS5_mNS0_19identity_decomposerEEE10hipError_tT1_T2_PT3_SE_jT4_jjP12ihipStream_tbEUlT_E0_NS1_11comp_targetILNS1_3genE6ELNS1_11target_archE950ELNS1_3gpuE13ELNS1_3repE0EEENS1_52radix_sort_onesweep_histogram_config_static_selectorELNS0_4arch9wavefront6targetE1EEEvSC_
; %bb.0:
	.section	.rodata,"a",@progbits
	.p2align	6, 0x0
	.amdhsa_kernel _ZN7rocprim17ROCPRIM_400000_NS6detail17trampoline_kernelINS0_14default_configENS1_35radix_sort_onesweep_config_selectorIlNS0_10empty_typeEEEZNS1_34radix_sort_onesweep_global_offsetsIS3_Lb1EPlPS5_mNS0_19identity_decomposerEEE10hipError_tT1_T2_PT3_SE_jT4_jjP12ihipStream_tbEUlT_E0_NS1_11comp_targetILNS1_3genE6ELNS1_11target_archE950ELNS1_3gpuE13ELNS1_3repE0EEENS1_52radix_sort_onesweep_histogram_config_static_selectorELNS0_4arch9wavefront6targetE1EEEvSC_
		.amdhsa_group_segment_fixed_size 0
		.amdhsa_private_segment_fixed_size 0
		.amdhsa_kernarg_size 8
		.amdhsa_user_sgpr_count 6
		.amdhsa_user_sgpr_private_segment_buffer 1
		.amdhsa_user_sgpr_dispatch_ptr 0
		.amdhsa_user_sgpr_queue_ptr 0
		.amdhsa_user_sgpr_kernarg_segment_ptr 1
		.amdhsa_user_sgpr_dispatch_id 0
		.amdhsa_user_sgpr_flat_scratch_init 0
		.amdhsa_user_sgpr_kernarg_preload_length 0
		.amdhsa_user_sgpr_kernarg_preload_offset 0
		.amdhsa_user_sgpr_private_segment_size 0
		.amdhsa_uses_dynamic_stack 0
		.amdhsa_system_sgpr_private_segment_wavefront_offset 0
		.amdhsa_system_sgpr_workgroup_id_x 1
		.amdhsa_system_sgpr_workgroup_id_y 0
		.amdhsa_system_sgpr_workgroup_id_z 0
		.amdhsa_system_sgpr_workgroup_info 0
		.amdhsa_system_vgpr_workitem_id 0
		.amdhsa_next_free_vgpr 1
		.amdhsa_next_free_sgpr 0
		.amdhsa_accum_offset 4
		.amdhsa_reserve_vcc 0
		.amdhsa_reserve_flat_scratch 0
		.amdhsa_float_round_mode_32 0
		.amdhsa_float_round_mode_16_64 0
		.amdhsa_float_denorm_mode_32 3
		.amdhsa_float_denorm_mode_16_64 3
		.amdhsa_dx10_clamp 1
		.amdhsa_ieee_mode 1
		.amdhsa_fp16_overflow 0
		.amdhsa_tg_split 0
		.amdhsa_exception_fp_ieee_invalid_op 0
		.amdhsa_exception_fp_denorm_src 0
		.amdhsa_exception_fp_ieee_div_zero 0
		.amdhsa_exception_fp_ieee_overflow 0
		.amdhsa_exception_fp_ieee_underflow 0
		.amdhsa_exception_fp_ieee_inexact 0
		.amdhsa_exception_int_div_zero 0
	.end_amdhsa_kernel
	.section	.text._ZN7rocprim17ROCPRIM_400000_NS6detail17trampoline_kernelINS0_14default_configENS1_35radix_sort_onesweep_config_selectorIlNS0_10empty_typeEEEZNS1_34radix_sort_onesweep_global_offsetsIS3_Lb1EPlPS5_mNS0_19identity_decomposerEEE10hipError_tT1_T2_PT3_SE_jT4_jjP12ihipStream_tbEUlT_E0_NS1_11comp_targetILNS1_3genE6ELNS1_11target_archE950ELNS1_3gpuE13ELNS1_3repE0EEENS1_52radix_sort_onesweep_histogram_config_static_selectorELNS0_4arch9wavefront6targetE1EEEvSC_,"axG",@progbits,_ZN7rocprim17ROCPRIM_400000_NS6detail17trampoline_kernelINS0_14default_configENS1_35radix_sort_onesweep_config_selectorIlNS0_10empty_typeEEEZNS1_34radix_sort_onesweep_global_offsetsIS3_Lb1EPlPS5_mNS0_19identity_decomposerEEE10hipError_tT1_T2_PT3_SE_jT4_jjP12ihipStream_tbEUlT_E0_NS1_11comp_targetILNS1_3genE6ELNS1_11target_archE950ELNS1_3gpuE13ELNS1_3repE0EEENS1_52radix_sort_onesweep_histogram_config_static_selectorELNS0_4arch9wavefront6targetE1EEEvSC_,comdat
.Lfunc_end2190:
	.size	_ZN7rocprim17ROCPRIM_400000_NS6detail17trampoline_kernelINS0_14default_configENS1_35radix_sort_onesweep_config_selectorIlNS0_10empty_typeEEEZNS1_34radix_sort_onesweep_global_offsetsIS3_Lb1EPlPS5_mNS0_19identity_decomposerEEE10hipError_tT1_T2_PT3_SE_jT4_jjP12ihipStream_tbEUlT_E0_NS1_11comp_targetILNS1_3genE6ELNS1_11target_archE950ELNS1_3gpuE13ELNS1_3repE0EEENS1_52radix_sort_onesweep_histogram_config_static_selectorELNS0_4arch9wavefront6targetE1EEEvSC_, .Lfunc_end2190-_ZN7rocprim17ROCPRIM_400000_NS6detail17trampoline_kernelINS0_14default_configENS1_35radix_sort_onesweep_config_selectorIlNS0_10empty_typeEEEZNS1_34radix_sort_onesweep_global_offsetsIS3_Lb1EPlPS5_mNS0_19identity_decomposerEEE10hipError_tT1_T2_PT3_SE_jT4_jjP12ihipStream_tbEUlT_E0_NS1_11comp_targetILNS1_3genE6ELNS1_11target_archE950ELNS1_3gpuE13ELNS1_3repE0EEENS1_52radix_sort_onesweep_histogram_config_static_selectorELNS0_4arch9wavefront6targetE1EEEvSC_
                                        ; -- End function
	.section	.AMDGPU.csdata,"",@progbits
; Kernel info:
; codeLenInByte = 0
; NumSgprs: 4
; NumVgprs: 0
; NumAgprs: 0
; TotalNumVgprs: 0
; ScratchSize: 0
; MemoryBound: 0
; FloatMode: 240
; IeeeMode: 1
; LDSByteSize: 0 bytes/workgroup (compile time only)
; SGPRBlocks: 0
; VGPRBlocks: 0
; NumSGPRsForWavesPerEU: 4
; NumVGPRsForWavesPerEU: 1
; AccumOffset: 4
; Occupancy: 8
; WaveLimiterHint : 0
; COMPUTE_PGM_RSRC2:SCRATCH_EN: 0
; COMPUTE_PGM_RSRC2:USER_SGPR: 6
; COMPUTE_PGM_RSRC2:TRAP_HANDLER: 0
; COMPUTE_PGM_RSRC2:TGID_X_EN: 1
; COMPUTE_PGM_RSRC2:TGID_Y_EN: 0
; COMPUTE_PGM_RSRC2:TGID_Z_EN: 0
; COMPUTE_PGM_RSRC2:TIDIG_COMP_CNT: 0
; COMPUTE_PGM_RSRC3_GFX90A:ACCUM_OFFSET: 0
; COMPUTE_PGM_RSRC3_GFX90A:TG_SPLIT: 0
	.section	.text._ZN7rocprim17ROCPRIM_400000_NS6detail17trampoline_kernelINS0_14default_configENS1_35radix_sort_onesweep_config_selectorIlNS0_10empty_typeEEEZNS1_34radix_sort_onesweep_global_offsetsIS3_Lb1EPlPS5_mNS0_19identity_decomposerEEE10hipError_tT1_T2_PT3_SE_jT4_jjP12ihipStream_tbEUlT_E0_NS1_11comp_targetILNS1_3genE5ELNS1_11target_archE942ELNS1_3gpuE9ELNS1_3repE0EEENS1_52radix_sort_onesweep_histogram_config_static_selectorELNS0_4arch9wavefront6targetE1EEEvSC_,"axG",@progbits,_ZN7rocprim17ROCPRIM_400000_NS6detail17trampoline_kernelINS0_14default_configENS1_35radix_sort_onesweep_config_selectorIlNS0_10empty_typeEEEZNS1_34radix_sort_onesweep_global_offsetsIS3_Lb1EPlPS5_mNS0_19identity_decomposerEEE10hipError_tT1_T2_PT3_SE_jT4_jjP12ihipStream_tbEUlT_E0_NS1_11comp_targetILNS1_3genE5ELNS1_11target_archE942ELNS1_3gpuE9ELNS1_3repE0EEENS1_52radix_sort_onesweep_histogram_config_static_selectorELNS0_4arch9wavefront6targetE1EEEvSC_,comdat
	.protected	_ZN7rocprim17ROCPRIM_400000_NS6detail17trampoline_kernelINS0_14default_configENS1_35radix_sort_onesweep_config_selectorIlNS0_10empty_typeEEEZNS1_34radix_sort_onesweep_global_offsetsIS3_Lb1EPlPS5_mNS0_19identity_decomposerEEE10hipError_tT1_T2_PT3_SE_jT4_jjP12ihipStream_tbEUlT_E0_NS1_11comp_targetILNS1_3genE5ELNS1_11target_archE942ELNS1_3gpuE9ELNS1_3repE0EEENS1_52radix_sort_onesweep_histogram_config_static_selectorELNS0_4arch9wavefront6targetE1EEEvSC_ ; -- Begin function _ZN7rocprim17ROCPRIM_400000_NS6detail17trampoline_kernelINS0_14default_configENS1_35radix_sort_onesweep_config_selectorIlNS0_10empty_typeEEEZNS1_34radix_sort_onesweep_global_offsetsIS3_Lb1EPlPS5_mNS0_19identity_decomposerEEE10hipError_tT1_T2_PT3_SE_jT4_jjP12ihipStream_tbEUlT_E0_NS1_11comp_targetILNS1_3genE5ELNS1_11target_archE942ELNS1_3gpuE9ELNS1_3repE0EEENS1_52radix_sort_onesweep_histogram_config_static_selectorELNS0_4arch9wavefront6targetE1EEEvSC_
	.globl	_ZN7rocprim17ROCPRIM_400000_NS6detail17trampoline_kernelINS0_14default_configENS1_35radix_sort_onesweep_config_selectorIlNS0_10empty_typeEEEZNS1_34radix_sort_onesweep_global_offsetsIS3_Lb1EPlPS5_mNS0_19identity_decomposerEEE10hipError_tT1_T2_PT3_SE_jT4_jjP12ihipStream_tbEUlT_E0_NS1_11comp_targetILNS1_3genE5ELNS1_11target_archE942ELNS1_3gpuE9ELNS1_3repE0EEENS1_52radix_sort_onesweep_histogram_config_static_selectorELNS0_4arch9wavefront6targetE1EEEvSC_
	.p2align	8
	.type	_ZN7rocprim17ROCPRIM_400000_NS6detail17trampoline_kernelINS0_14default_configENS1_35radix_sort_onesweep_config_selectorIlNS0_10empty_typeEEEZNS1_34radix_sort_onesweep_global_offsetsIS3_Lb1EPlPS5_mNS0_19identity_decomposerEEE10hipError_tT1_T2_PT3_SE_jT4_jjP12ihipStream_tbEUlT_E0_NS1_11comp_targetILNS1_3genE5ELNS1_11target_archE942ELNS1_3gpuE9ELNS1_3repE0EEENS1_52radix_sort_onesweep_histogram_config_static_selectorELNS0_4arch9wavefront6targetE1EEEvSC_,@function
_ZN7rocprim17ROCPRIM_400000_NS6detail17trampoline_kernelINS0_14default_configENS1_35radix_sort_onesweep_config_selectorIlNS0_10empty_typeEEEZNS1_34radix_sort_onesweep_global_offsetsIS3_Lb1EPlPS5_mNS0_19identity_decomposerEEE10hipError_tT1_T2_PT3_SE_jT4_jjP12ihipStream_tbEUlT_E0_NS1_11comp_targetILNS1_3genE5ELNS1_11target_archE942ELNS1_3gpuE9ELNS1_3repE0EEENS1_52radix_sort_onesweep_histogram_config_static_selectorELNS0_4arch9wavefront6targetE1EEEvSC_: ; @_ZN7rocprim17ROCPRIM_400000_NS6detail17trampoline_kernelINS0_14default_configENS1_35radix_sort_onesweep_config_selectorIlNS0_10empty_typeEEEZNS1_34radix_sort_onesweep_global_offsetsIS3_Lb1EPlPS5_mNS0_19identity_decomposerEEE10hipError_tT1_T2_PT3_SE_jT4_jjP12ihipStream_tbEUlT_E0_NS1_11comp_targetILNS1_3genE5ELNS1_11target_archE942ELNS1_3gpuE9ELNS1_3repE0EEENS1_52radix_sort_onesweep_histogram_config_static_selectorELNS0_4arch9wavefront6targetE1EEEvSC_
; %bb.0:
	.section	.rodata,"a",@progbits
	.p2align	6, 0x0
	.amdhsa_kernel _ZN7rocprim17ROCPRIM_400000_NS6detail17trampoline_kernelINS0_14default_configENS1_35radix_sort_onesweep_config_selectorIlNS0_10empty_typeEEEZNS1_34radix_sort_onesweep_global_offsetsIS3_Lb1EPlPS5_mNS0_19identity_decomposerEEE10hipError_tT1_T2_PT3_SE_jT4_jjP12ihipStream_tbEUlT_E0_NS1_11comp_targetILNS1_3genE5ELNS1_11target_archE942ELNS1_3gpuE9ELNS1_3repE0EEENS1_52radix_sort_onesweep_histogram_config_static_selectorELNS0_4arch9wavefront6targetE1EEEvSC_
		.amdhsa_group_segment_fixed_size 0
		.amdhsa_private_segment_fixed_size 0
		.amdhsa_kernarg_size 8
		.amdhsa_user_sgpr_count 6
		.amdhsa_user_sgpr_private_segment_buffer 1
		.amdhsa_user_sgpr_dispatch_ptr 0
		.amdhsa_user_sgpr_queue_ptr 0
		.amdhsa_user_sgpr_kernarg_segment_ptr 1
		.amdhsa_user_sgpr_dispatch_id 0
		.amdhsa_user_sgpr_flat_scratch_init 0
		.amdhsa_user_sgpr_kernarg_preload_length 0
		.amdhsa_user_sgpr_kernarg_preload_offset 0
		.amdhsa_user_sgpr_private_segment_size 0
		.amdhsa_uses_dynamic_stack 0
		.amdhsa_system_sgpr_private_segment_wavefront_offset 0
		.amdhsa_system_sgpr_workgroup_id_x 1
		.amdhsa_system_sgpr_workgroup_id_y 0
		.amdhsa_system_sgpr_workgroup_id_z 0
		.amdhsa_system_sgpr_workgroup_info 0
		.amdhsa_system_vgpr_workitem_id 0
		.amdhsa_next_free_vgpr 1
		.amdhsa_next_free_sgpr 0
		.amdhsa_accum_offset 4
		.amdhsa_reserve_vcc 0
		.amdhsa_reserve_flat_scratch 0
		.amdhsa_float_round_mode_32 0
		.amdhsa_float_round_mode_16_64 0
		.amdhsa_float_denorm_mode_32 3
		.amdhsa_float_denorm_mode_16_64 3
		.amdhsa_dx10_clamp 1
		.amdhsa_ieee_mode 1
		.amdhsa_fp16_overflow 0
		.amdhsa_tg_split 0
		.amdhsa_exception_fp_ieee_invalid_op 0
		.amdhsa_exception_fp_denorm_src 0
		.amdhsa_exception_fp_ieee_div_zero 0
		.amdhsa_exception_fp_ieee_overflow 0
		.amdhsa_exception_fp_ieee_underflow 0
		.amdhsa_exception_fp_ieee_inexact 0
		.amdhsa_exception_int_div_zero 0
	.end_amdhsa_kernel
	.section	.text._ZN7rocprim17ROCPRIM_400000_NS6detail17trampoline_kernelINS0_14default_configENS1_35radix_sort_onesweep_config_selectorIlNS0_10empty_typeEEEZNS1_34radix_sort_onesweep_global_offsetsIS3_Lb1EPlPS5_mNS0_19identity_decomposerEEE10hipError_tT1_T2_PT3_SE_jT4_jjP12ihipStream_tbEUlT_E0_NS1_11comp_targetILNS1_3genE5ELNS1_11target_archE942ELNS1_3gpuE9ELNS1_3repE0EEENS1_52radix_sort_onesweep_histogram_config_static_selectorELNS0_4arch9wavefront6targetE1EEEvSC_,"axG",@progbits,_ZN7rocprim17ROCPRIM_400000_NS6detail17trampoline_kernelINS0_14default_configENS1_35radix_sort_onesweep_config_selectorIlNS0_10empty_typeEEEZNS1_34radix_sort_onesweep_global_offsetsIS3_Lb1EPlPS5_mNS0_19identity_decomposerEEE10hipError_tT1_T2_PT3_SE_jT4_jjP12ihipStream_tbEUlT_E0_NS1_11comp_targetILNS1_3genE5ELNS1_11target_archE942ELNS1_3gpuE9ELNS1_3repE0EEENS1_52radix_sort_onesweep_histogram_config_static_selectorELNS0_4arch9wavefront6targetE1EEEvSC_,comdat
.Lfunc_end2191:
	.size	_ZN7rocprim17ROCPRIM_400000_NS6detail17trampoline_kernelINS0_14default_configENS1_35radix_sort_onesweep_config_selectorIlNS0_10empty_typeEEEZNS1_34radix_sort_onesweep_global_offsetsIS3_Lb1EPlPS5_mNS0_19identity_decomposerEEE10hipError_tT1_T2_PT3_SE_jT4_jjP12ihipStream_tbEUlT_E0_NS1_11comp_targetILNS1_3genE5ELNS1_11target_archE942ELNS1_3gpuE9ELNS1_3repE0EEENS1_52radix_sort_onesweep_histogram_config_static_selectorELNS0_4arch9wavefront6targetE1EEEvSC_, .Lfunc_end2191-_ZN7rocprim17ROCPRIM_400000_NS6detail17trampoline_kernelINS0_14default_configENS1_35radix_sort_onesweep_config_selectorIlNS0_10empty_typeEEEZNS1_34radix_sort_onesweep_global_offsetsIS3_Lb1EPlPS5_mNS0_19identity_decomposerEEE10hipError_tT1_T2_PT3_SE_jT4_jjP12ihipStream_tbEUlT_E0_NS1_11comp_targetILNS1_3genE5ELNS1_11target_archE942ELNS1_3gpuE9ELNS1_3repE0EEENS1_52radix_sort_onesweep_histogram_config_static_selectorELNS0_4arch9wavefront6targetE1EEEvSC_
                                        ; -- End function
	.section	.AMDGPU.csdata,"",@progbits
; Kernel info:
; codeLenInByte = 0
; NumSgprs: 4
; NumVgprs: 0
; NumAgprs: 0
; TotalNumVgprs: 0
; ScratchSize: 0
; MemoryBound: 0
; FloatMode: 240
; IeeeMode: 1
; LDSByteSize: 0 bytes/workgroup (compile time only)
; SGPRBlocks: 0
; VGPRBlocks: 0
; NumSGPRsForWavesPerEU: 4
; NumVGPRsForWavesPerEU: 1
; AccumOffset: 4
; Occupancy: 8
; WaveLimiterHint : 0
; COMPUTE_PGM_RSRC2:SCRATCH_EN: 0
; COMPUTE_PGM_RSRC2:USER_SGPR: 6
; COMPUTE_PGM_RSRC2:TRAP_HANDLER: 0
; COMPUTE_PGM_RSRC2:TGID_X_EN: 1
; COMPUTE_PGM_RSRC2:TGID_Y_EN: 0
; COMPUTE_PGM_RSRC2:TGID_Z_EN: 0
; COMPUTE_PGM_RSRC2:TIDIG_COMP_CNT: 0
; COMPUTE_PGM_RSRC3_GFX90A:ACCUM_OFFSET: 0
; COMPUTE_PGM_RSRC3_GFX90A:TG_SPLIT: 0
	.section	.text._ZN7rocprim17ROCPRIM_400000_NS6detail17trampoline_kernelINS0_14default_configENS1_35radix_sort_onesweep_config_selectorIlNS0_10empty_typeEEEZNS1_34radix_sort_onesweep_global_offsetsIS3_Lb1EPlPS5_mNS0_19identity_decomposerEEE10hipError_tT1_T2_PT3_SE_jT4_jjP12ihipStream_tbEUlT_E0_NS1_11comp_targetILNS1_3genE2ELNS1_11target_archE906ELNS1_3gpuE6ELNS1_3repE0EEENS1_52radix_sort_onesweep_histogram_config_static_selectorELNS0_4arch9wavefront6targetE1EEEvSC_,"axG",@progbits,_ZN7rocprim17ROCPRIM_400000_NS6detail17trampoline_kernelINS0_14default_configENS1_35radix_sort_onesweep_config_selectorIlNS0_10empty_typeEEEZNS1_34radix_sort_onesweep_global_offsetsIS3_Lb1EPlPS5_mNS0_19identity_decomposerEEE10hipError_tT1_T2_PT3_SE_jT4_jjP12ihipStream_tbEUlT_E0_NS1_11comp_targetILNS1_3genE2ELNS1_11target_archE906ELNS1_3gpuE6ELNS1_3repE0EEENS1_52radix_sort_onesweep_histogram_config_static_selectorELNS0_4arch9wavefront6targetE1EEEvSC_,comdat
	.protected	_ZN7rocprim17ROCPRIM_400000_NS6detail17trampoline_kernelINS0_14default_configENS1_35radix_sort_onesweep_config_selectorIlNS0_10empty_typeEEEZNS1_34radix_sort_onesweep_global_offsetsIS3_Lb1EPlPS5_mNS0_19identity_decomposerEEE10hipError_tT1_T2_PT3_SE_jT4_jjP12ihipStream_tbEUlT_E0_NS1_11comp_targetILNS1_3genE2ELNS1_11target_archE906ELNS1_3gpuE6ELNS1_3repE0EEENS1_52radix_sort_onesweep_histogram_config_static_selectorELNS0_4arch9wavefront6targetE1EEEvSC_ ; -- Begin function _ZN7rocprim17ROCPRIM_400000_NS6detail17trampoline_kernelINS0_14default_configENS1_35radix_sort_onesweep_config_selectorIlNS0_10empty_typeEEEZNS1_34radix_sort_onesweep_global_offsetsIS3_Lb1EPlPS5_mNS0_19identity_decomposerEEE10hipError_tT1_T2_PT3_SE_jT4_jjP12ihipStream_tbEUlT_E0_NS1_11comp_targetILNS1_3genE2ELNS1_11target_archE906ELNS1_3gpuE6ELNS1_3repE0EEENS1_52radix_sort_onesweep_histogram_config_static_selectorELNS0_4arch9wavefront6targetE1EEEvSC_
	.globl	_ZN7rocprim17ROCPRIM_400000_NS6detail17trampoline_kernelINS0_14default_configENS1_35radix_sort_onesweep_config_selectorIlNS0_10empty_typeEEEZNS1_34radix_sort_onesweep_global_offsetsIS3_Lb1EPlPS5_mNS0_19identity_decomposerEEE10hipError_tT1_T2_PT3_SE_jT4_jjP12ihipStream_tbEUlT_E0_NS1_11comp_targetILNS1_3genE2ELNS1_11target_archE906ELNS1_3gpuE6ELNS1_3repE0EEENS1_52radix_sort_onesweep_histogram_config_static_selectorELNS0_4arch9wavefront6targetE1EEEvSC_
	.p2align	8
	.type	_ZN7rocprim17ROCPRIM_400000_NS6detail17trampoline_kernelINS0_14default_configENS1_35radix_sort_onesweep_config_selectorIlNS0_10empty_typeEEEZNS1_34radix_sort_onesweep_global_offsetsIS3_Lb1EPlPS5_mNS0_19identity_decomposerEEE10hipError_tT1_T2_PT3_SE_jT4_jjP12ihipStream_tbEUlT_E0_NS1_11comp_targetILNS1_3genE2ELNS1_11target_archE906ELNS1_3gpuE6ELNS1_3repE0EEENS1_52radix_sort_onesweep_histogram_config_static_selectorELNS0_4arch9wavefront6targetE1EEEvSC_,@function
_ZN7rocprim17ROCPRIM_400000_NS6detail17trampoline_kernelINS0_14default_configENS1_35radix_sort_onesweep_config_selectorIlNS0_10empty_typeEEEZNS1_34radix_sort_onesweep_global_offsetsIS3_Lb1EPlPS5_mNS0_19identity_decomposerEEE10hipError_tT1_T2_PT3_SE_jT4_jjP12ihipStream_tbEUlT_E0_NS1_11comp_targetILNS1_3genE2ELNS1_11target_archE906ELNS1_3gpuE6ELNS1_3repE0EEENS1_52radix_sort_onesweep_histogram_config_static_selectorELNS0_4arch9wavefront6targetE1EEEvSC_: ; @_ZN7rocprim17ROCPRIM_400000_NS6detail17trampoline_kernelINS0_14default_configENS1_35radix_sort_onesweep_config_selectorIlNS0_10empty_typeEEEZNS1_34radix_sort_onesweep_global_offsetsIS3_Lb1EPlPS5_mNS0_19identity_decomposerEEE10hipError_tT1_T2_PT3_SE_jT4_jjP12ihipStream_tbEUlT_E0_NS1_11comp_targetILNS1_3genE2ELNS1_11target_archE906ELNS1_3gpuE6ELNS1_3repE0EEENS1_52radix_sort_onesweep_histogram_config_static_selectorELNS0_4arch9wavefront6targetE1EEEvSC_
; %bb.0:
	.section	.rodata,"a",@progbits
	.p2align	6, 0x0
	.amdhsa_kernel _ZN7rocprim17ROCPRIM_400000_NS6detail17trampoline_kernelINS0_14default_configENS1_35radix_sort_onesweep_config_selectorIlNS0_10empty_typeEEEZNS1_34radix_sort_onesweep_global_offsetsIS3_Lb1EPlPS5_mNS0_19identity_decomposerEEE10hipError_tT1_T2_PT3_SE_jT4_jjP12ihipStream_tbEUlT_E0_NS1_11comp_targetILNS1_3genE2ELNS1_11target_archE906ELNS1_3gpuE6ELNS1_3repE0EEENS1_52radix_sort_onesweep_histogram_config_static_selectorELNS0_4arch9wavefront6targetE1EEEvSC_
		.amdhsa_group_segment_fixed_size 0
		.amdhsa_private_segment_fixed_size 0
		.amdhsa_kernarg_size 8
		.amdhsa_user_sgpr_count 6
		.amdhsa_user_sgpr_private_segment_buffer 1
		.amdhsa_user_sgpr_dispatch_ptr 0
		.amdhsa_user_sgpr_queue_ptr 0
		.amdhsa_user_sgpr_kernarg_segment_ptr 1
		.amdhsa_user_sgpr_dispatch_id 0
		.amdhsa_user_sgpr_flat_scratch_init 0
		.amdhsa_user_sgpr_kernarg_preload_length 0
		.amdhsa_user_sgpr_kernarg_preload_offset 0
		.amdhsa_user_sgpr_private_segment_size 0
		.amdhsa_uses_dynamic_stack 0
		.amdhsa_system_sgpr_private_segment_wavefront_offset 0
		.amdhsa_system_sgpr_workgroup_id_x 1
		.amdhsa_system_sgpr_workgroup_id_y 0
		.amdhsa_system_sgpr_workgroup_id_z 0
		.amdhsa_system_sgpr_workgroup_info 0
		.amdhsa_system_vgpr_workitem_id 0
		.amdhsa_next_free_vgpr 1
		.amdhsa_next_free_sgpr 0
		.amdhsa_accum_offset 4
		.amdhsa_reserve_vcc 0
		.amdhsa_reserve_flat_scratch 0
		.amdhsa_float_round_mode_32 0
		.amdhsa_float_round_mode_16_64 0
		.amdhsa_float_denorm_mode_32 3
		.amdhsa_float_denorm_mode_16_64 3
		.amdhsa_dx10_clamp 1
		.amdhsa_ieee_mode 1
		.amdhsa_fp16_overflow 0
		.amdhsa_tg_split 0
		.amdhsa_exception_fp_ieee_invalid_op 0
		.amdhsa_exception_fp_denorm_src 0
		.amdhsa_exception_fp_ieee_div_zero 0
		.amdhsa_exception_fp_ieee_overflow 0
		.amdhsa_exception_fp_ieee_underflow 0
		.amdhsa_exception_fp_ieee_inexact 0
		.amdhsa_exception_int_div_zero 0
	.end_amdhsa_kernel
	.section	.text._ZN7rocprim17ROCPRIM_400000_NS6detail17trampoline_kernelINS0_14default_configENS1_35radix_sort_onesweep_config_selectorIlNS0_10empty_typeEEEZNS1_34radix_sort_onesweep_global_offsetsIS3_Lb1EPlPS5_mNS0_19identity_decomposerEEE10hipError_tT1_T2_PT3_SE_jT4_jjP12ihipStream_tbEUlT_E0_NS1_11comp_targetILNS1_3genE2ELNS1_11target_archE906ELNS1_3gpuE6ELNS1_3repE0EEENS1_52radix_sort_onesweep_histogram_config_static_selectorELNS0_4arch9wavefront6targetE1EEEvSC_,"axG",@progbits,_ZN7rocprim17ROCPRIM_400000_NS6detail17trampoline_kernelINS0_14default_configENS1_35radix_sort_onesweep_config_selectorIlNS0_10empty_typeEEEZNS1_34radix_sort_onesweep_global_offsetsIS3_Lb1EPlPS5_mNS0_19identity_decomposerEEE10hipError_tT1_T2_PT3_SE_jT4_jjP12ihipStream_tbEUlT_E0_NS1_11comp_targetILNS1_3genE2ELNS1_11target_archE906ELNS1_3gpuE6ELNS1_3repE0EEENS1_52radix_sort_onesweep_histogram_config_static_selectorELNS0_4arch9wavefront6targetE1EEEvSC_,comdat
.Lfunc_end2192:
	.size	_ZN7rocprim17ROCPRIM_400000_NS6detail17trampoline_kernelINS0_14default_configENS1_35radix_sort_onesweep_config_selectorIlNS0_10empty_typeEEEZNS1_34radix_sort_onesweep_global_offsetsIS3_Lb1EPlPS5_mNS0_19identity_decomposerEEE10hipError_tT1_T2_PT3_SE_jT4_jjP12ihipStream_tbEUlT_E0_NS1_11comp_targetILNS1_3genE2ELNS1_11target_archE906ELNS1_3gpuE6ELNS1_3repE0EEENS1_52radix_sort_onesweep_histogram_config_static_selectorELNS0_4arch9wavefront6targetE1EEEvSC_, .Lfunc_end2192-_ZN7rocprim17ROCPRIM_400000_NS6detail17trampoline_kernelINS0_14default_configENS1_35radix_sort_onesweep_config_selectorIlNS0_10empty_typeEEEZNS1_34radix_sort_onesweep_global_offsetsIS3_Lb1EPlPS5_mNS0_19identity_decomposerEEE10hipError_tT1_T2_PT3_SE_jT4_jjP12ihipStream_tbEUlT_E0_NS1_11comp_targetILNS1_3genE2ELNS1_11target_archE906ELNS1_3gpuE6ELNS1_3repE0EEENS1_52radix_sort_onesweep_histogram_config_static_selectorELNS0_4arch9wavefront6targetE1EEEvSC_
                                        ; -- End function
	.section	.AMDGPU.csdata,"",@progbits
; Kernel info:
; codeLenInByte = 0
; NumSgprs: 4
; NumVgprs: 0
; NumAgprs: 0
; TotalNumVgprs: 0
; ScratchSize: 0
; MemoryBound: 0
; FloatMode: 240
; IeeeMode: 1
; LDSByteSize: 0 bytes/workgroup (compile time only)
; SGPRBlocks: 0
; VGPRBlocks: 0
; NumSGPRsForWavesPerEU: 4
; NumVGPRsForWavesPerEU: 1
; AccumOffset: 4
; Occupancy: 8
; WaveLimiterHint : 0
; COMPUTE_PGM_RSRC2:SCRATCH_EN: 0
; COMPUTE_PGM_RSRC2:USER_SGPR: 6
; COMPUTE_PGM_RSRC2:TRAP_HANDLER: 0
; COMPUTE_PGM_RSRC2:TGID_X_EN: 1
; COMPUTE_PGM_RSRC2:TGID_Y_EN: 0
; COMPUTE_PGM_RSRC2:TGID_Z_EN: 0
; COMPUTE_PGM_RSRC2:TIDIG_COMP_CNT: 0
; COMPUTE_PGM_RSRC3_GFX90A:ACCUM_OFFSET: 0
; COMPUTE_PGM_RSRC3_GFX90A:TG_SPLIT: 0
	.section	.text._ZN7rocprim17ROCPRIM_400000_NS6detail17trampoline_kernelINS0_14default_configENS1_35radix_sort_onesweep_config_selectorIlNS0_10empty_typeEEEZNS1_34radix_sort_onesweep_global_offsetsIS3_Lb1EPlPS5_mNS0_19identity_decomposerEEE10hipError_tT1_T2_PT3_SE_jT4_jjP12ihipStream_tbEUlT_E0_NS1_11comp_targetILNS1_3genE4ELNS1_11target_archE910ELNS1_3gpuE8ELNS1_3repE0EEENS1_52radix_sort_onesweep_histogram_config_static_selectorELNS0_4arch9wavefront6targetE1EEEvSC_,"axG",@progbits,_ZN7rocprim17ROCPRIM_400000_NS6detail17trampoline_kernelINS0_14default_configENS1_35radix_sort_onesweep_config_selectorIlNS0_10empty_typeEEEZNS1_34radix_sort_onesweep_global_offsetsIS3_Lb1EPlPS5_mNS0_19identity_decomposerEEE10hipError_tT1_T2_PT3_SE_jT4_jjP12ihipStream_tbEUlT_E0_NS1_11comp_targetILNS1_3genE4ELNS1_11target_archE910ELNS1_3gpuE8ELNS1_3repE0EEENS1_52radix_sort_onesweep_histogram_config_static_selectorELNS0_4arch9wavefront6targetE1EEEvSC_,comdat
	.protected	_ZN7rocprim17ROCPRIM_400000_NS6detail17trampoline_kernelINS0_14default_configENS1_35radix_sort_onesweep_config_selectorIlNS0_10empty_typeEEEZNS1_34radix_sort_onesweep_global_offsetsIS3_Lb1EPlPS5_mNS0_19identity_decomposerEEE10hipError_tT1_T2_PT3_SE_jT4_jjP12ihipStream_tbEUlT_E0_NS1_11comp_targetILNS1_3genE4ELNS1_11target_archE910ELNS1_3gpuE8ELNS1_3repE0EEENS1_52radix_sort_onesweep_histogram_config_static_selectorELNS0_4arch9wavefront6targetE1EEEvSC_ ; -- Begin function _ZN7rocprim17ROCPRIM_400000_NS6detail17trampoline_kernelINS0_14default_configENS1_35radix_sort_onesweep_config_selectorIlNS0_10empty_typeEEEZNS1_34radix_sort_onesweep_global_offsetsIS3_Lb1EPlPS5_mNS0_19identity_decomposerEEE10hipError_tT1_T2_PT3_SE_jT4_jjP12ihipStream_tbEUlT_E0_NS1_11comp_targetILNS1_3genE4ELNS1_11target_archE910ELNS1_3gpuE8ELNS1_3repE0EEENS1_52radix_sort_onesweep_histogram_config_static_selectorELNS0_4arch9wavefront6targetE1EEEvSC_
	.globl	_ZN7rocprim17ROCPRIM_400000_NS6detail17trampoline_kernelINS0_14default_configENS1_35radix_sort_onesweep_config_selectorIlNS0_10empty_typeEEEZNS1_34radix_sort_onesweep_global_offsetsIS3_Lb1EPlPS5_mNS0_19identity_decomposerEEE10hipError_tT1_T2_PT3_SE_jT4_jjP12ihipStream_tbEUlT_E0_NS1_11comp_targetILNS1_3genE4ELNS1_11target_archE910ELNS1_3gpuE8ELNS1_3repE0EEENS1_52radix_sort_onesweep_histogram_config_static_selectorELNS0_4arch9wavefront6targetE1EEEvSC_
	.p2align	8
	.type	_ZN7rocprim17ROCPRIM_400000_NS6detail17trampoline_kernelINS0_14default_configENS1_35radix_sort_onesweep_config_selectorIlNS0_10empty_typeEEEZNS1_34radix_sort_onesweep_global_offsetsIS3_Lb1EPlPS5_mNS0_19identity_decomposerEEE10hipError_tT1_T2_PT3_SE_jT4_jjP12ihipStream_tbEUlT_E0_NS1_11comp_targetILNS1_3genE4ELNS1_11target_archE910ELNS1_3gpuE8ELNS1_3repE0EEENS1_52radix_sort_onesweep_histogram_config_static_selectorELNS0_4arch9wavefront6targetE1EEEvSC_,@function
_ZN7rocprim17ROCPRIM_400000_NS6detail17trampoline_kernelINS0_14default_configENS1_35radix_sort_onesweep_config_selectorIlNS0_10empty_typeEEEZNS1_34radix_sort_onesweep_global_offsetsIS3_Lb1EPlPS5_mNS0_19identity_decomposerEEE10hipError_tT1_T2_PT3_SE_jT4_jjP12ihipStream_tbEUlT_E0_NS1_11comp_targetILNS1_3genE4ELNS1_11target_archE910ELNS1_3gpuE8ELNS1_3repE0EEENS1_52radix_sort_onesweep_histogram_config_static_selectorELNS0_4arch9wavefront6targetE1EEEvSC_: ; @_ZN7rocprim17ROCPRIM_400000_NS6detail17trampoline_kernelINS0_14default_configENS1_35radix_sort_onesweep_config_selectorIlNS0_10empty_typeEEEZNS1_34radix_sort_onesweep_global_offsetsIS3_Lb1EPlPS5_mNS0_19identity_decomposerEEE10hipError_tT1_T2_PT3_SE_jT4_jjP12ihipStream_tbEUlT_E0_NS1_11comp_targetILNS1_3genE4ELNS1_11target_archE910ELNS1_3gpuE8ELNS1_3repE0EEENS1_52radix_sort_onesweep_histogram_config_static_selectorELNS0_4arch9wavefront6targetE1EEEvSC_
; %bb.0:
	s_load_dwordx2 s[0:1], s[4:5], 0x0
	s_lshl_b32 s2, s6, 8
	s_mov_b32 s3, 0
	s_lshl_b64 s[2:3], s[2:3], 3
	v_lshlrev_b32_e32 v5, 3, v0
	s_waitcnt lgkmcnt(0)
	s_add_u32 s14, s0, s2
	s_movk_i32 s0, 0x100
	s_addc_u32 s15, s1, s3
	v_cmp_gt_u32_e32 vcc, s0, v0
                                        ; implicit-def: $vgpr2_vgpr3
	s_and_saveexec_b64 s[0:1], vcc
	s_cbranch_execz .LBB2193_2
; %bb.1:
	global_load_dwordx2 v[2:3], v5, s[14:15]
.LBB2193_2:
	s_or_b64 exec, exec, s[0:1]
	s_waitcnt vmcnt(0)
	v_mov_b32_dpp v4, v2 row_shr:1 row_mask:0xf bank_mask:0xf
	v_add_co_u32_e64 v4, s[0:1], v2, v4
	v_mbcnt_lo_u32_b32 v1, -1, 0
	v_addc_co_u32_e64 v8, s[0:1], 0, v3, s[0:1]
	v_mbcnt_hi_u32_b32 v6, -1, v1
	v_mov_b32_dpp v7, v3 row_shr:1 row_mask:0xf bank_mask:0xf
	v_add_co_u32_e64 v9, s[0:1], 0, v4
	v_and_b32_e32 v1, 15, v6
	v_addc_co_u32_e64 v7, s[0:1], v7, v8, s[0:1]
	v_cmp_eq_u32_e64 s[0:1], 0, v1
	v_cndmask_b32_e64 v4, v4, v2, s[0:1]
	v_cndmask_b32_e64 v7, v7, v3, s[0:1]
	v_cndmask_b32_e64 v8, v9, v2, s[0:1]
	v_mov_b32_dpp v9, v4 row_shr:2 row_mask:0xf bank_mask:0xf
	v_mov_b32_dpp v10, v7 row_shr:2 row_mask:0xf bank_mask:0xf
	v_add_co_u32_e64 v9, s[2:3], v9, v8
	v_cmp_lt_u32_e64 s[4:5], 1, v1
	v_addc_co_u32_e64 v10, s[2:3], v10, v7, s[2:3]
	v_cndmask_b32_e64 v4, v4, v9, s[4:5]
	v_cndmask_b32_e64 v7, v7, v10, s[4:5]
	v_cndmask_b32_e64 v8, v8, v9, s[4:5]
	v_mov_b32_dpp v9, v4 row_shr:4 row_mask:0xf bank_mask:0xf
	v_mov_b32_dpp v10, v7 row_shr:4 row_mask:0xf bank_mask:0xf
	v_add_co_u32_e64 v9, s[2:3], v9, v8
	v_cmp_lt_u32_e64 s[6:7], 3, v1
	v_addc_co_u32_e64 v10, s[2:3], v10, v7, s[2:3]
	;; [unrolled: 8-line block ×3, first 2 shown]
	v_cndmask_b32_e64 v11, v4, v9, s[8:9]
	v_cndmask_b32_e64 v1, v7, v10, s[8:9]
	;; [unrolled: 1-line block ×3, first 2 shown]
	v_mov_b32_dpp v7, v11 row_bcast:15 row_mask:0xf bank_mask:0xf
	v_mov_b32_dpp v8, v1 row_bcast:15 row_mask:0xf bank_mask:0xf
	v_and_b32_e32 v10, 16, v6
	v_add_co_u32_e64 v7, s[2:3], v7, v4
	v_addc_co_u32_e64 v9, s[2:3], v8, v1, s[2:3]
	v_cmp_eq_u32_e64 s[10:11], 0, v10
	v_cndmask_b32_e64 v10, v9, v1, s[10:11]
	v_cndmask_b32_e64 v8, v7, v11, s[10:11]
	v_cmp_eq_u32_e64 s[2:3], 0, v6
	v_mov_b32_dpp v10, v10 row_bcast:31 row_mask:0xf bank_mask:0xf
	v_mov_b32_dpp v8, v8 row_bcast:31 row_mask:0xf bank_mask:0xf
	v_cmp_ne_u32_e64 s[12:13], 0, v6
	s_and_saveexec_b64 s[16:17], s[12:13]
; %bb.3:
	v_cndmask_b32_e64 v1, v9, v1, s[10:11]
	v_cndmask_b32_e64 v2, v7, v4, s[10:11]
	v_cmp_lt_u32_e64 s[10:11], 31, v6
	v_cndmask_b32_e64 v4, 0, v8, s[10:11]
	v_cndmask_b32_e64 v3, 0, v10, s[10:11]
	v_add_co_u32_e64 v2, s[10:11], v4, v2
	v_addc_co_u32_e64 v3, s[10:11], v3, v1, s[10:11]
; %bb.4:
	s_or_b64 exec, exec, s[16:17]
	v_and_b32_e32 v1, 63, v0
	v_lshrrev_b32_e32 v4, 6, v0
	v_cmp_eq_u32_e64 s[10:11], 63, v1
	s_and_saveexec_b64 s[12:13], s[10:11]
	s_cbranch_execz .LBB2193_6
; %bb.5:
	v_lshlrev_b32_e32 v1, 3, v4
	ds_write_b64 v1, v[2:3]
.LBB2193_6:
	s_or_b64 exec, exec, s[12:13]
	v_cmp_gt_u32_e64 s[10:11], 16, v0
	s_waitcnt lgkmcnt(0)
	s_barrier
	s_and_saveexec_b64 s[12:13], s[10:11]
	s_cbranch_execz .LBB2193_8
; %bb.7:
	ds_read_b64 v[8:9], v5
	s_waitcnt lgkmcnt(0)
	s_nop 0
	v_mov_b32_dpp v1, v8 row_shr:1 row_mask:0xf bank_mask:0xf
	v_add_co_u32_e64 v1, s[10:11], v8, v1
	v_addc_co_u32_e64 v10, s[10:11], 0, v9, s[10:11]
	v_mov_b32_dpp v7, v9 row_shr:1 row_mask:0xf bank_mask:0xf
	v_add_co_u32_e64 v11, s[10:11], 0, v1
	v_addc_co_u32_e64 v7, s[10:11], v7, v10, s[10:11]
	v_cndmask_b32_e64 v1, v1, v8, s[0:1]
	v_cndmask_b32_e64 v7, v7, v9, s[0:1]
	v_cndmask_b32_e64 v10, v11, v8, s[0:1]
	v_mov_b32_dpp v11, v1 row_shr:2 row_mask:0xf bank_mask:0xf
	v_mov_b32_dpp v12, v7 row_shr:2 row_mask:0xf bank_mask:0xf
	v_add_co_u32_e64 v11, s[10:11], v11, v10
	v_addc_co_u32_e64 v12, s[10:11], v12, v7, s[10:11]
	v_cndmask_b32_e64 v1, v1, v11, s[4:5]
	v_cndmask_b32_e64 v7, v7, v12, s[4:5]
	v_cndmask_b32_e64 v10, v10, v11, s[4:5]
	v_mov_b32_dpp v11, v1 row_shr:4 row_mask:0xf bank_mask:0xf
	;; [unrolled: 7-line block ×3, first 2 shown]
	v_mov_b32_dpp v12, v7 row_shr:8 row_mask:0xf bank_mask:0xf
	v_cndmask_b32_e64 v1, 0, v1, s[8:9]
	v_cndmask_b32_e64 v11, 0, v12, s[8:9]
	v_add_co_u32_e64 v1, s[4:5], v1, v10
	v_addc_co_u32_e64 v7, s[4:5], v11, v7, s[4:5]
	v_cndmask_b32_e64 v9, v7, v9, s[0:1]
	v_cndmask_b32_e64 v8, v1, v8, s[0:1]
	ds_write_b64 v5, v[8:9]
.LBB2193_8:
	s_or_b64 exec, exec, s[12:13]
	v_cmp_lt_u32_e64 s[0:1], 63, v0
	v_pk_mov_b32 v[0:1], 0, 0
	s_waitcnt lgkmcnt(0)
	s_barrier
	s_and_saveexec_b64 s[4:5], s[0:1]
	s_cbranch_execz .LBB2193_10
; %bb.9:
	v_lshl_add_u32 v0, v4, 3, -8
	ds_read_b64 v[0:1], v0
.LBB2193_10:
	s_or_b64 exec, exec, s[4:5]
	s_waitcnt lgkmcnt(0)
	v_add_co_u32_e64 v2, s[0:1], v0, v2
	v_addc_co_u32_e64 v3, s[0:1], v1, v3, s[0:1]
	v_add_u32_e32 v4, -1, v6
	v_and_b32_e32 v7, 64, v6
	v_cmp_lt_i32_e64 s[0:1], v4, v7
	v_cndmask_b32_e64 v4, v4, v6, s[0:1]
	v_lshlrev_b32_e32 v4, 2, v4
	ds_bpermute_b32 v2, v4, v2
	ds_bpermute_b32 v3, v4, v3
	s_and_saveexec_b64 s[0:1], vcc
	s_cbranch_execz .LBB2193_12
; %bb.11:
	s_waitcnt lgkmcnt(0)
	v_cndmask_b32_e64 v1, v3, v1, s[2:3]
	v_cndmask_b32_e64 v0, v2, v0, s[2:3]
	global_store_dwordx2 v5, v[0:1], s[14:15]
.LBB2193_12:
	s_endpgm
	.section	.rodata,"a",@progbits
	.p2align	6, 0x0
	.amdhsa_kernel _ZN7rocprim17ROCPRIM_400000_NS6detail17trampoline_kernelINS0_14default_configENS1_35radix_sort_onesweep_config_selectorIlNS0_10empty_typeEEEZNS1_34radix_sort_onesweep_global_offsetsIS3_Lb1EPlPS5_mNS0_19identity_decomposerEEE10hipError_tT1_T2_PT3_SE_jT4_jjP12ihipStream_tbEUlT_E0_NS1_11comp_targetILNS1_3genE4ELNS1_11target_archE910ELNS1_3gpuE8ELNS1_3repE0EEENS1_52radix_sort_onesweep_histogram_config_static_selectorELNS0_4arch9wavefront6targetE1EEEvSC_
		.amdhsa_group_segment_fixed_size 128
		.amdhsa_private_segment_fixed_size 0
		.amdhsa_kernarg_size 8
		.amdhsa_user_sgpr_count 6
		.amdhsa_user_sgpr_private_segment_buffer 1
		.amdhsa_user_sgpr_dispatch_ptr 0
		.amdhsa_user_sgpr_queue_ptr 0
		.amdhsa_user_sgpr_kernarg_segment_ptr 1
		.amdhsa_user_sgpr_dispatch_id 0
		.amdhsa_user_sgpr_flat_scratch_init 0
		.amdhsa_user_sgpr_kernarg_preload_length 0
		.amdhsa_user_sgpr_kernarg_preload_offset 0
		.amdhsa_user_sgpr_private_segment_size 0
		.amdhsa_uses_dynamic_stack 0
		.amdhsa_system_sgpr_private_segment_wavefront_offset 0
		.amdhsa_system_sgpr_workgroup_id_x 1
		.amdhsa_system_sgpr_workgroup_id_y 0
		.amdhsa_system_sgpr_workgroup_id_z 0
		.amdhsa_system_sgpr_workgroup_info 0
		.amdhsa_system_vgpr_workitem_id 0
		.amdhsa_next_free_vgpr 13
		.amdhsa_next_free_sgpr 18
		.amdhsa_accum_offset 16
		.amdhsa_reserve_vcc 1
		.amdhsa_reserve_flat_scratch 0
		.amdhsa_float_round_mode_32 0
		.amdhsa_float_round_mode_16_64 0
		.amdhsa_float_denorm_mode_32 3
		.amdhsa_float_denorm_mode_16_64 3
		.amdhsa_dx10_clamp 1
		.amdhsa_ieee_mode 1
		.amdhsa_fp16_overflow 0
		.amdhsa_tg_split 0
		.amdhsa_exception_fp_ieee_invalid_op 0
		.amdhsa_exception_fp_denorm_src 0
		.amdhsa_exception_fp_ieee_div_zero 0
		.amdhsa_exception_fp_ieee_overflow 0
		.amdhsa_exception_fp_ieee_underflow 0
		.amdhsa_exception_fp_ieee_inexact 0
		.amdhsa_exception_int_div_zero 0
	.end_amdhsa_kernel
	.section	.text._ZN7rocprim17ROCPRIM_400000_NS6detail17trampoline_kernelINS0_14default_configENS1_35radix_sort_onesweep_config_selectorIlNS0_10empty_typeEEEZNS1_34radix_sort_onesweep_global_offsetsIS3_Lb1EPlPS5_mNS0_19identity_decomposerEEE10hipError_tT1_T2_PT3_SE_jT4_jjP12ihipStream_tbEUlT_E0_NS1_11comp_targetILNS1_3genE4ELNS1_11target_archE910ELNS1_3gpuE8ELNS1_3repE0EEENS1_52radix_sort_onesweep_histogram_config_static_selectorELNS0_4arch9wavefront6targetE1EEEvSC_,"axG",@progbits,_ZN7rocprim17ROCPRIM_400000_NS6detail17trampoline_kernelINS0_14default_configENS1_35radix_sort_onesweep_config_selectorIlNS0_10empty_typeEEEZNS1_34radix_sort_onesweep_global_offsetsIS3_Lb1EPlPS5_mNS0_19identity_decomposerEEE10hipError_tT1_T2_PT3_SE_jT4_jjP12ihipStream_tbEUlT_E0_NS1_11comp_targetILNS1_3genE4ELNS1_11target_archE910ELNS1_3gpuE8ELNS1_3repE0EEENS1_52radix_sort_onesweep_histogram_config_static_selectorELNS0_4arch9wavefront6targetE1EEEvSC_,comdat
.Lfunc_end2193:
	.size	_ZN7rocprim17ROCPRIM_400000_NS6detail17trampoline_kernelINS0_14default_configENS1_35radix_sort_onesweep_config_selectorIlNS0_10empty_typeEEEZNS1_34radix_sort_onesweep_global_offsetsIS3_Lb1EPlPS5_mNS0_19identity_decomposerEEE10hipError_tT1_T2_PT3_SE_jT4_jjP12ihipStream_tbEUlT_E0_NS1_11comp_targetILNS1_3genE4ELNS1_11target_archE910ELNS1_3gpuE8ELNS1_3repE0EEENS1_52radix_sort_onesweep_histogram_config_static_selectorELNS0_4arch9wavefront6targetE1EEEvSC_, .Lfunc_end2193-_ZN7rocprim17ROCPRIM_400000_NS6detail17trampoline_kernelINS0_14default_configENS1_35radix_sort_onesweep_config_selectorIlNS0_10empty_typeEEEZNS1_34radix_sort_onesweep_global_offsetsIS3_Lb1EPlPS5_mNS0_19identity_decomposerEEE10hipError_tT1_T2_PT3_SE_jT4_jjP12ihipStream_tbEUlT_E0_NS1_11comp_targetILNS1_3genE4ELNS1_11target_archE910ELNS1_3gpuE8ELNS1_3repE0EEENS1_52radix_sort_onesweep_histogram_config_static_selectorELNS0_4arch9wavefront6targetE1EEEvSC_
                                        ; -- End function
	.section	.AMDGPU.csdata,"",@progbits
; Kernel info:
; codeLenInByte = 1012
; NumSgprs: 22
; NumVgprs: 13
; NumAgprs: 0
; TotalNumVgprs: 13
; ScratchSize: 0
; MemoryBound: 0
; FloatMode: 240
; IeeeMode: 1
; LDSByteSize: 128 bytes/workgroup (compile time only)
; SGPRBlocks: 2
; VGPRBlocks: 1
; NumSGPRsForWavesPerEU: 22
; NumVGPRsForWavesPerEU: 13
; AccumOffset: 16
; Occupancy: 8
; WaveLimiterHint : 0
; COMPUTE_PGM_RSRC2:SCRATCH_EN: 0
; COMPUTE_PGM_RSRC2:USER_SGPR: 6
; COMPUTE_PGM_RSRC2:TRAP_HANDLER: 0
; COMPUTE_PGM_RSRC2:TGID_X_EN: 1
; COMPUTE_PGM_RSRC2:TGID_Y_EN: 0
; COMPUTE_PGM_RSRC2:TGID_Z_EN: 0
; COMPUTE_PGM_RSRC2:TIDIG_COMP_CNT: 0
; COMPUTE_PGM_RSRC3_GFX90A:ACCUM_OFFSET: 3
; COMPUTE_PGM_RSRC3_GFX90A:TG_SPLIT: 0
	.section	.text._ZN7rocprim17ROCPRIM_400000_NS6detail17trampoline_kernelINS0_14default_configENS1_35radix_sort_onesweep_config_selectorIlNS0_10empty_typeEEEZNS1_34radix_sort_onesweep_global_offsetsIS3_Lb1EPlPS5_mNS0_19identity_decomposerEEE10hipError_tT1_T2_PT3_SE_jT4_jjP12ihipStream_tbEUlT_E0_NS1_11comp_targetILNS1_3genE3ELNS1_11target_archE908ELNS1_3gpuE7ELNS1_3repE0EEENS1_52radix_sort_onesweep_histogram_config_static_selectorELNS0_4arch9wavefront6targetE1EEEvSC_,"axG",@progbits,_ZN7rocprim17ROCPRIM_400000_NS6detail17trampoline_kernelINS0_14default_configENS1_35radix_sort_onesweep_config_selectorIlNS0_10empty_typeEEEZNS1_34radix_sort_onesweep_global_offsetsIS3_Lb1EPlPS5_mNS0_19identity_decomposerEEE10hipError_tT1_T2_PT3_SE_jT4_jjP12ihipStream_tbEUlT_E0_NS1_11comp_targetILNS1_3genE3ELNS1_11target_archE908ELNS1_3gpuE7ELNS1_3repE0EEENS1_52radix_sort_onesweep_histogram_config_static_selectorELNS0_4arch9wavefront6targetE1EEEvSC_,comdat
	.protected	_ZN7rocprim17ROCPRIM_400000_NS6detail17trampoline_kernelINS0_14default_configENS1_35radix_sort_onesweep_config_selectorIlNS0_10empty_typeEEEZNS1_34radix_sort_onesweep_global_offsetsIS3_Lb1EPlPS5_mNS0_19identity_decomposerEEE10hipError_tT1_T2_PT3_SE_jT4_jjP12ihipStream_tbEUlT_E0_NS1_11comp_targetILNS1_3genE3ELNS1_11target_archE908ELNS1_3gpuE7ELNS1_3repE0EEENS1_52radix_sort_onesweep_histogram_config_static_selectorELNS0_4arch9wavefront6targetE1EEEvSC_ ; -- Begin function _ZN7rocprim17ROCPRIM_400000_NS6detail17trampoline_kernelINS0_14default_configENS1_35radix_sort_onesweep_config_selectorIlNS0_10empty_typeEEEZNS1_34radix_sort_onesweep_global_offsetsIS3_Lb1EPlPS5_mNS0_19identity_decomposerEEE10hipError_tT1_T2_PT3_SE_jT4_jjP12ihipStream_tbEUlT_E0_NS1_11comp_targetILNS1_3genE3ELNS1_11target_archE908ELNS1_3gpuE7ELNS1_3repE0EEENS1_52radix_sort_onesweep_histogram_config_static_selectorELNS0_4arch9wavefront6targetE1EEEvSC_
	.globl	_ZN7rocprim17ROCPRIM_400000_NS6detail17trampoline_kernelINS0_14default_configENS1_35radix_sort_onesweep_config_selectorIlNS0_10empty_typeEEEZNS1_34radix_sort_onesweep_global_offsetsIS3_Lb1EPlPS5_mNS0_19identity_decomposerEEE10hipError_tT1_T2_PT3_SE_jT4_jjP12ihipStream_tbEUlT_E0_NS1_11comp_targetILNS1_3genE3ELNS1_11target_archE908ELNS1_3gpuE7ELNS1_3repE0EEENS1_52radix_sort_onesweep_histogram_config_static_selectorELNS0_4arch9wavefront6targetE1EEEvSC_
	.p2align	8
	.type	_ZN7rocprim17ROCPRIM_400000_NS6detail17trampoline_kernelINS0_14default_configENS1_35radix_sort_onesweep_config_selectorIlNS0_10empty_typeEEEZNS1_34radix_sort_onesweep_global_offsetsIS3_Lb1EPlPS5_mNS0_19identity_decomposerEEE10hipError_tT1_T2_PT3_SE_jT4_jjP12ihipStream_tbEUlT_E0_NS1_11comp_targetILNS1_3genE3ELNS1_11target_archE908ELNS1_3gpuE7ELNS1_3repE0EEENS1_52radix_sort_onesweep_histogram_config_static_selectorELNS0_4arch9wavefront6targetE1EEEvSC_,@function
_ZN7rocprim17ROCPRIM_400000_NS6detail17trampoline_kernelINS0_14default_configENS1_35radix_sort_onesweep_config_selectorIlNS0_10empty_typeEEEZNS1_34radix_sort_onesweep_global_offsetsIS3_Lb1EPlPS5_mNS0_19identity_decomposerEEE10hipError_tT1_T2_PT3_SE_jT4_jjP12ihipStream_tbEUlT_E0_NS1_11comp_targetILNS1_3genE3ELNS1_11target_archE908ELNS1_3gpuE7ELNS1_3repE0EEENS1_52radix_sort_onesweep_histogram_config_static_selectorELNS0_4arch9wavefront6targetE1EEEvSC_: ; @_ZN7rocprim17ROCPRIM_400000_NS6detail17trampoline_kernelINS0_14default_configENS1_35radix_sort_onesweep_config_selectorIlNS0_10empty_typeEEEZNS1_34radix_sort_onesweep_global_offsetsIS3_Lb1EPlPS5_mNS0_19identity_decomposerEEE10hipError_tT1_T2_PT3_SE_jT4_jjP12ihipStream_tbEUlT_E0_NS1_11comp_targetILNS1_3genE3ELNS1_11target_archE908ELNS1_3gpuE7ELNS1_3repE0EEENS1_52radix_sort_onesweep_histogram_config_static_selectorELNS0_4arch9wavefront6targetE1EEEvSC_
; %bb.0:
	.section	.rodata,"a",@progbits
	.p2align	6, 0x0
	.amdhsa_kernel _ZN7rocprim17ROCPRIM_400000_NS6detail17trampoline_kernelINS0_14default_configENS1_35radix_sort_onesweep_config_selectorIlNS0_10empty_typeEEEZNS1_34radix_sort_onesweep_global_offsetsIS3_Lb1EPlPS5_mNS0_19identity_decomposerEEE10hipError_tT1_T2_PT3_SE_jT4_jjP12ihipStream_tbEUlT_E0_NS1_11comp_targetILNS1_3genE3ELNS1_11target_archE908ELNS1_3gpuE7ELNS1_3repE0EEENS1_52radix_sort_onesweep_histogram_config_static_selectorELNS0_4arch9wavefront6targetE1EEEvSC_
		.amdhsa_group_segment_fixed_size 0
		.amdhsa_private_segment_fixed_size 0
		.amdhsa_kernarg_size 8
		.amdhsa_user_sgpr_count 6
		.amdhsa_user_sgpr_private_segment_buffer 1
		.amdhsa_user_sgpr_dispatch_ptr 0
		.amdhsa_user_sgpr_queue_ptr 0
		.amdhsa_user_sgpr_kernarg_segment_ptr 1
		.amdhsa_user_sgpr_dispatch_id 0
		.amdhsa_user_sgpr_flat_scratch_init 0
		.amdhsa_user_sgpr_kernarg_preload_length 0
		.amdhsa_user_sgpr_kernarg_preload_offset 0
		.amdhsa_user_sgpr_private_segment_size 0
		.amdhsa_uses_dynamic_stack 0
		.amdhsa_system_sgpr_private_segment_wavefront_offset 0
		.amdhsa_system_sgpr_workgroup_id_x 1
		.amdhsa_system_sgpr_workgroup_id_y 0
		.amdhsa_system_sgpr_workgroup_id_z 0
		.amdhsa_system_sgpr_workgroup_info 0
		.amdhsa_system_vgpr_workitem_id 0
		.amdhsa_next_free_vgpr 1
		.amdhsa_next_free_sgpr 0
		.amdhsa_accum_offset 4
		.amdhsa_reserve_vcc 0
		.amdhsa_reserve_flat_scratch 0
		.amdhsa_float_round_mode_32 0
		.amdhsa_float_round_mode_16_64 0
		.amdhsa_float_denorm_mode_32 3
		.amdhsa_float_denorm_mode_16_64 3
		.amdhsa_dx10_clamp 1
		.amdhsa_ieee_mode 1
		.amdhsa_fp16_overflow 0
		.amdhsa_tg_split 0
		.amdhsa_exception_fp_ieee_invalid_op 0
		.amdhsa_exception_fp_denorm_src 0
		.amdhsa_exception_fp_ieee_div_zero 0
		.amdhsa_exception_fp_ieee_overflow 0
		.amdhsa_exception_fp_ieee_underflow 0
		.amdhsa_exception_fp_ieee_inexact 0
		.amdhsa_exception_int_div_zero 0
	.end_amdhsa_kernel
	.section	.text._ZN7rocprim17ROCPRIM_400000_NS6detail17trampoline_kernelINS0_14default_configENS1_35radix_sort_onesweep_config_selectorIlNS0_10empty_typeEEEZNS1_34radix_sort_onesweep_global_offsetsIS3_Lb1EPlPS5_mNS0_19identity_decomposerEEE10hipError_tT1_T2_PT3_SE_jT4_jjP12ihipStream_tbEUlT_E0_NS1_11comp_targetILNS1_3genE3ELNS1_11target_archE908ELNS1_3gpuE7ELNS1_3repE0EEENS1_52radix_sort_onesweep_histogram_config_static_selectorELNS0_4arch9wavefront6targetE1EEEvSC_,"axG",@progbits,_ZN7rocprim17ROCPRIM_400000_NS6detail17trampoline_kernelINS0_14default_configENS1_35radix_sort_onesweep_config_selectorIlNS0_10empty_typeEEEZNS1_34radix_sort_onesweep_global_offsetsIS3_Lb1EPlPS5_mNS0_19identity_decomposerEEE10hipError_tT1_T2_PT3_SE_jT4_jjP12ihipStream_tbEUlT_E0_NS1_11comp_targetILNS1_3genE3ELNS1_11target_archE908ELNS1_3gpuE7ELNS1_3repE0EEENS1_52radix_sort_onesweep_histogram_config_static_selectorELNS0_4arch9wavefront6targetE1EEEvSC_,comdat
.Lfunc_end2194:
	.size	_ZN7rocprim17ROCPRIM_400000_NS6detail17trampoline_kernelINS0_14default_configENS1_35radix_sort_onesweep_config_selectorIlNS0_10empty_typeEEEZNS1_34radix_sort_onesweep_global_offsetsIS3_Lb1EPlPS5_mNS0_19identity_decomposerEEE10hipError_tT1_T2_PT3_SE_jT4_jjP12ihipStream_tbEUlT_E0_NS1_11comp_targetILNS1_3genE3ELNS1_11target_archE908ELNS1_3gpuE7ELNS1_3repE0EEENS1_52radix_sort_onesweep_histogram_config_static_selectorELNS0_4arch9wavefront6targetE1EEEvSC_, .Lfunc_end2194-_ZN7rocprim17ROCPRIM_400000_NS6detail17trampoline_kernelINS0_14default_configENS1_35radix_sort_onesweep_config_selectorIlNS0_10empty_typeEEEZNS1_34radix_sort_onesweep_global_offsetsIS3_Lb1EPlPS5_mNS0_19identity_decomposerEEE10hipError_tT1_T2_PT3_SE_jT4_jjP12ihipStream_tbEUlT_E0_NS1_11comp_targetILNS1_3genE3ELNS1_11target_archE908ELNS1_3gpuE7ELNS1_3repE0EEENS1_52radix_sort_onesweep_histogram_config_static_selectorELNS0_4arch9wavefront6targetE1EEEvSC_
                                        ; -- End function
	.section	.AMDGPU.csdata,"",@progbits
; Kernel info:
; codeLenInByte = 0
; NumSgprs: 4
; NumVgprs: 0
; NumAgprs: 0
; TotalNumVgprs: 0
; ScratchSize: 0
; MemoryBound: 0
; FloatMode: 240
; IeeeMode: 1
; LDSByteSize: 0 bytes/workgroup (compile time only)
; SGPRBlocks: 0
; VGPRBlocks: 0
; NumSGPRsForWavesPerEU: 4
; NumVGPRsForWavesPerEU: 1
; AccumOffset: 4
; Occupancy: 8
; WaveLimiterHint : 0
; COMPUTE_PGM_RSRC2:SCRATCH_EN: 0
; COMPUTE_PGM_RSRC2:USER_SGPR: 6
; COMPUTE_PGM_RSRC2:TRAP_HANDLER: 0
; COMPUTE_PGM_RSRC2:TGID_X_EN: 1
; COMPUTE_PGM_RSRC2:TGID_Y_EN: 0
; COMPUTE_PGM_RSRC2:TGID_Z_EN: 0
; COMPUTE_PGM_RSRC2:TIDIG_COMP_CNT: 0
; COMPUTE_PGM_RSRC3_GFX90A:ACCUM_OFFSET: 0
; COMPUTE_PGM_RSRC3_GFX90A:TG_SPLIT: 0
	.section	.text._ZN7rocprim17ROCPRIM_400000_NS6detail17trampoline_kernelINS0_14default_configENS1_35radix_sort_onesweep_config_selectorIlNS0_10empty_typeEEEZNS1_34radix_sort_onesweep_global_offsetsIS3_Lb1EPlPS5_mNS0_19identity_decomposerEEE10hipError_tT1_T2_PT3_SE_jT4_jjP12ihipStream_tbEUlT_E0_NS1_11comp_targetILNS1_3genE10ELNS1_11target_archE1201ELNS1_3gpuE5ELNS1_3repE0EEENS1_52radix_sort_onesweep_histogram_config_static_selectorELNS0_4arch9wavefront6targetE1EEEvSC_,"axG",@progbits,_ZN7rocprim17ROCPRIM_400000_NS6detail17trampoline_kernelINS0_14default_configENS1_35radix_sort_onesweep_config_selectorIlNS0_10empty_typeEEEZNS1_34radix_sort_onesweep_global_offsetsIS3_Lb1EPlPS5_mNS0_19identity_decomposerEEE10hipError_tT1_T2_PT3_SE_jT4_jjP12ihipStream_tbEUlT_E0_NS1_11comp_targetILNS1_3genE10ELNS1_11target_archE1201ELNS1_3gpuE5ELNS1_3repE0EEENS1_52radix_sort_onesweep_histogram_config_static_selectorELNS0_4arch9wavefront6targetE1EEEvSC_,comdat
	.protected	_ZN7rocprim17ROCPRIM_400000_NS6detail17trampoline_kernelINS0_14default_configENS1_35radix_sort_onesweep_config_selectorIlNS0_10empty_typeEEEZNS1_34radix_sort_onesweep_global_offsetsIS3_Lb1EPlPS5_mNS0_19identity_decomposerEEE10hipError_tT1_T2_PT3_SE_jT4_jjP12ihipStream_tbEUlT_E0_NS1_11comp_targetILNS1_3genE10ELNS1_11target_archE1201ELNS1_3gpuE5ELNS1_3repE0EEENS1_52radix_sort_onesweep_histogram_config_static_selectorELNS0_4arch9wavefront6targetE1EEEvSC_ ; -- Begin function _ZN7rocprim17ROCPRIM_400000_NS6detail17trampoline_kernelINS0_14default_configENS1_35radix_sort_onesweep_config_selectorIlNS0_10empty_typeEEEZNS1_34radix_sort_onesweep_global_offsetsIS3_Lb1EPlPS5_mNS0_19identity_decomposerEEE10hipError_tT1_T2_PT3_SE_jT4_jjP12ihipStream_tbEUlT_E0_NS1_11comp_targetILNS1_3genE10ELNS1_11target_archE1201ELNS1_3gpuE5ELNS1_3repE0EEENS1_52radix_sort_onesweep_histogram_config_static_selectorELNS0_4arch9wavefront6targetE1EEEvSC_
	.globl	_ZN7rocprim17ROCPRIM_400000_NS6detail17trampoline_kernelINS0_14default_configENS1_35radix_sort_onesweep_config_selectorIlNS0_10empty_typeEEEZNS1_34radix_sort_onesweep_global_offsetsIS3_Lb1EPlPS5_mNS0_19identity_decomposerEEE10hipError_tT1_T2_PT3_SE_jT4_jjP12ihipStream_tbEUlT_E0_NS1_11comp_targetILNS1_3genE10ELNS1_11target_archE1201ELNS1_3gpuE5ELNS1_3repE0EEENS1_52radix_sort_onesweep_histogram_config_static_selectorELNS0_4arch9wavefront6targetE1EEEvSC_
	.p2align	8
	.type	_ZN7rocprim17ROCPRIM_400000_NS6detail17trampoline_kernelINS0_14default_configENS1_35radix_sort_onesweep_config_selectorIlNS0_10empty_typeEEEZNS1_34radix_sort_onesweep_global_offsetsIS3_Lb1EPlPS5_mNS0_19identity_decomposerEEE10hipError_tT1_T2_PT3_SE_jT4_jjP12ihipStream_tbEUlT_E0_NS1_11comp_targetILNS1_3genE10ELNS1_11target_archE1201ELNS1_3gpuE5ELNS1_3repE0EEENS1_52radix_sort_onesweep_histogram_config_static_selectorELNS0_4arch9wavefront6targetE1EEEvSC_,@function
_ZN7rocprim17ROCPRIM_400000_NS6detail17trampoline_kernelINS0_14default_configENS1_35radix_sort_onesweep_config_selectorIlNS0_10empty_typeEEEZNS1_34radix_sort_onesweep_global_offsetsIS3_Lb1EPlPS5_mNS0_19identity_decomposerEEE10hipError_tT1_T2_PT3_SE_jT4_jjP12ihipStream_tbEUlT_E0_NS1_11comp_targetILNS1_3genE10ELNS1_11target_archE1201ELNS1_3gpuE5ELNS1_3repE0EEENS1_52radix_sort_onesweep_histogram_config_static_selectorELNS0_4arch9wavefront6targetE1EEEvSC_: ; @_ZN7rocprim17ROCPRIM_400000_NS6detail17trampoline_kernelINS0_14default_configENS1_35radix_sort_onesweep_config_selectorIlNS0_10empty_typeEEEZNS1_34radix_sort_onesweep_global_offsetsIS3_Lb1EPlPS5_mNS0_19identity_decomposerEEE10hipError_tT1_T2_PT3_SE_jT4_jjP12ihipStream_tbEUlT_E0_NS1_11comp_targetILNS1_3genE10ELNS1_11target_archE1201ELNS1_3gpuE5ELNS1_3repE0EEENS1_52radix_sort_onesweep_histogram_config_static_selectorELNS0_4arch9wavefront6targetE1EEEvSC_
; %bb.0:
	.section	.rodata,"a",@progbits
	.p2align	6, 0x0
	.amdhsa_kernel _ZN7rocprim17ROCPRIM_400000_NS6detail17trampoline_kernelINS0_14default_configENS1_35radix_sort_onesweep_config_selectorIlNS0_10empty_typeEEEZNS1_34radix_sort_onesweep_global_offsetsIS3_Lb1EPlPS5_mNS0_19identity_decomposerEEE10hipError_tT1_T2_PT3_SE_jT4_jjP12ihipStream_tbEUlT_E0_NS1_11comp_targetILNS1_3genE10ELNS1_11target_archE1201ELNS1_3gpuE5ELNS1_3repE0EEENS1_52radix_sort_onesweep_histogram_config_static_selectorELNS0_4arch9wavefront6targetE1EEEvSC_
		.amdhsa_group_segment_fixed_size 0
		.amdhsa_private_segment_fixed_size 0
		.amdhsa_kernarg_size 8
		.amdhsa_user_sgpr_count 6
		.amdhsa_user_sgpr_private_segment_buffer 1
		.amdhsa_user_sgpr_dispatch_ptr 0
		.amdhsa_user_sgpr_queue_ptr 0
		.amdhsa_user_sgpr_kernarg_segment_ptr 1
		.amdhsa_user_sgpr_dispatch_id 0
		.amdhsa_user_sgpr_flat_scratch_init 0
		.amdhsa_user_sgpr_kernarg_preload_length 0
		.amdhsa_user_sgpr_kernarg_preload_offset 0
		.amdhsa_user_sgpr_private_segment_size 0
		.amdhsa_uses_dynamic_stack 0
		.amdhsa_system_sgpr_private_segment_wavefront_offset 0
		.amdhsa_system_sgpr_workgroup_id_x 1
		.amdhsa_system_sgpr_workgroup_id_y 0
		.amdhsa_system_sgpr_workgroup_id_z 0
		.amdhsa_system_sgpr_workgroup_info 0
		.amdhsa_system_vgpr_workitem_id 0
		.amdhsa_next_free_vgpr 1
		.amdhsa_next_free_sgpr 0
		.amdhsa_accum_offset 4
		.amdhsa_reserve_vcc 0
		.amdhsa_reserve_flat_scratch 0
		.amdhsa_float_round_mode_32 0
		.amdhsa_float_round_mode_16_64 0
		.amdhsa_float_denorm_mode_32 3
		.amdhsa_float_denorm_mode_16_64 3
		.amdhsa_dx10_clamp 1
		.amdhsa_ieee_mode 1
		.amdhsa_fp16_overflow 0
		.amdhsa_tg_split 0
		.amdhsa_exception_fp_ieee_invalid_op 0
		.amdhsa_exception_fp_denorm_src 0
		.amdhsa_exception_fp_ieee_div_zero 0
		.amdhsa_exception_fp_ieee_overflow 0
		.amdhsa_exception_fp_ieee_underflow 0
		.amdhsa_exception_fp_ieee_inexact 0
		.amdhsa_exception_int_div_zero 0
	.end_amdhsa_kernel
	.section	.text._ZN7rocprim17ROCPRIM_400000_NS6detail17trampoline_kernelINS0_14default_configENS1_35radix_sort_onesweep_config_selectorIlNS0_10empty_typeEEEZNS1_34radix_sort_onesweep_global_offsetsIS3_Lb1EPlPS5_mNS0_19identity_decomposerEEE10hipError_tT1_T2_PT3_SE_jT4_jjP12ihipStream_tbEUlT_E0_NS1_11comp_targetILNS1_3genE10ELNS1_11target_archE1201ELNS1_3gpuE5ELNS1_3repE0EEENS1_52radix_sort_onesweep_histogram_config_static_selectorELNS0_4arch9wavefront6targetE1EEEvSC_,"axG",@progbits,_ZN7rocprim17ROCPRIM_400000_NS6detail17trampoline_kernelINS0_14default_configENS1_35radix_sort_onesweep_config_selectorIlNS0_10empty_typeEEEZNS1_34radix_sort_onesweep_global_offsetsIS3_Lb1EPlPS5_mNS0_19identity_decomposerEEE10hipError_tT1_T2_PT3_SE_jT4_jjP12ihipStream_tbEUlT_E0_NS1_11comp_targetILNS1_3genE10ELNS1_11target_archE1201ELNS1_3gpuE5ELNS1_3repE0EEENS1_52radix_sort_onesweep_histogram_config_static_selectorELNS0_4arch9wavefront6targetE1EEEvSC_,comdat
.Lfunc_end2195:
	.size	_ZN7rocprim17ROCPRIM_400000_NS6detail17trampoline_kernelINS0_14default_configENS1_35radix_sort_onesweep_config_selectorIlNS0_10empty_typeEEEZNS1_34radix_sort_onesweep_global_offsetsIS3_Lb1EPlPS5_mNS0_19identity_decomposerEEE10hipError_tT1_T2_PT3_SE_jT4_jjP12ihipStream_tbEUlT_E0_NS1_11comp_targetILNS1_3genE10ELNS1_11target_archE1201ELNS1_3gpuE5ELNS1_3repE0EEENS1_52radix_sort_onesweep_histogram_config_static_selectorELNS0_4arch9wavefront6targetE1EEEvSC_, .Lfunc_end2195-_ZN7rocprim17ROCPRIM_400000_NS6detail17trampoline_kernelINS0_14default_configENS1_35radix_sort_onesweep_config_selectorIlNS0_10empty_typeEEEZNS1_34radix_sort_onesweep_global_offsetsIS3_Lb1EPlPS5_mNS0_19identity_decomposerEEE10hipError_tT1_T2_PT3_SE_jT4_jjP12ihipStream_tbEUlT_E0_NS1_11comp_targetILNS1_3genE10ELNS1_11target_archE1201ELNS1_3gpuE5ELNS1_3repE0EEENS1_52radix_sort_onesweep_histogram_config_static_selectorELNS0_4arch9wavefront6targetE1EEEvSC_
                                        ; -- End function
	.section	.AMDGPU.csdata,"",@progbits
; Kernel info:
; codeLenInByte = 0
; NumSgprs: 4
; NumVgprs: 0
; NumAgprs: 0
; TotalNumVgprs: 0
; ScratchSize: 0
; MemoryBound: 0
; FloatMode: 240
; IeeeMode: 1
; LDSByteSize: 0 bytes/workgroup (compile time only)
; SGPRBlocks: 0
; VGPRBlocks: 0
; NumSGPRsForWavesPerEU: 4
; NumVGPRsForWavesPerEU: 1
; AccumOffset: 4
; Occupancy: 8
; WaveLimiterHint : 0
; COMPUTE_PGM_RSRC2:SCRATCH_EN: 0
; COMPUTE_PGM_RSRC2:USER_SGPR: 6
; COMPUTE_PGM_RSRC2:TRAP_HANDLER: 0
; COMPUTE_PGM_RSRC2:TGID_X_EN: 1
; COMPUTE_PGM_RSRC2:TGID_Y_EN: 0
; COMPUTE_PGM_RSRC2:TGID_Z_EN: 0
; COMPUTE_PGM_RSRC2:TIDIG_COMP_CNT: 0
; COMPUTE_PGM_RSRC3_GFX90A:ACCUM_OFFSET: 0
; COMPUTE_PGM_RSRC3_GFX90A:TG_SPLIT: 0
	.section	.text._ZN7rocprim17ROCPRIM_400000_NS6detail17trampoline_kernelINS0_14default_configENS1_35radix_sort_onesweep_config_selectorIlNS0_10empty_typeEEEZNS1_34radix_sort_onesweep_global_offsetsIS3_Lb1EPlPS5_mNS0_19identity_decomposerEEE10hipError_tT1_T2_PT3_SE_jT4_jjP12ihipStream_tbEUlT_E0_NS1_11comp_targetILNS1_3genE9ELNS1_11target_archE1100ELNS1_3gpuE3ELNS1_3repE0EEENS1_52radix_sort_onesweep_histogram_config_static_selectorELNS0_4arch9wavefront6targetE1EEEvSC_,"axG",@progbits,_ZN7rocprim17ROCPRIM_400000_NS6detail17trampoline_kernelINS0_14default_configENS1_35radix_sort_onesweep_config_selectorIlNS0_10empty_typeEEEZNS1_34radix_sort_onesweep_global_offsetsIS3_Lb1EPlPS5_mNS0_19identity_decomposerEEE10hipError_tT1_T2_PT3_SE_jT4_jjP12ihipStream_tbEUlT_E0_NS1_11comp_targetILNS1_3genE9ELNS1_11target_archE1100ELNS1_3gpuE3ELNS1_3repE0EEENS1_52radix_sort_onesweep_histogram_config_static_selectorELNS0_4arch9wavefront6targetE1EEEvSC_,comdat
	.protected	_ZN7rocprim17ROCPRIM_400000_NS6detail17trampoline_kernelINS0_14default_configENS1_35radix_sort_onesweep_config_selectorIlNS0_10empty_typeEEEZNS1_34radix_sort_onesweep_global_offsetsIS3_Lb1EPlPS5_mNS0_19identity_decomposerEEE10hipError_tT1_T2_PT3_SE_jT4_jjP12ihipStream_tbEUlT_E0_NS1_11comp_targetILNS1_3genE9ELNS1_11target_archE1100ELNS1_3gpuE3ELNS1_3repE0EEENS1_52radix_sort_onesweep_histogram_config_static_selectorELNS0_4arch9wavefront6targetE1EEEvSC_ ; -- Begin function _ZN7rocprim17ROCPRIM_400000_NS6detail17trampoline_kernelINS0_14default_configENS1_35radix_sort_onesweep_config_selectorIlNS0_10empty_typeEEEZNS1_34radix_sort_onesweep_global_offsetsIS3_Lb1EPlPS5_mNS0_19identity_decomposerEEE10hipError_tT1_T2_PT3_SE_jT4_jjP12ihipStream_tbEUlT_E0_NS1_11comp_targetILNS1_3genE9ELNS1_11target_archE1100ELNS1_3gpuE3ELNS1_3repE0EEENS1_52radix_sort_onesweep_histogram_config_static_selectorELNS0_4arch9wavefront6targetE1EEEvSC_
	.globl	_ZN7rocprim17ROCPRIM_400000_NS6detail17trampoline_kernelINS0_14default_configENS1_35radix_sort_onesweep_config_selectorIlNS0_10empty_typeEEEZNS1_34radix_sort_onesweep_global_offsetsIS3_Lb1EPlPS5_mNS0_19identity_decomposerEEE10hipError_tT1_T2_PT3_SE_jT4_jjP12ihipStream_tbEUlT_E0_NS1_11comp_targetILNS1_3genE9ELNS1_11target_archE1100ELNS1_3gpuE3ELNS1_3repE0EEENS1_52radix_sort_onesweep_histogram_config_static_selectorELNS0_4arch9wavefront6targetE1EEEvSC_
	.p2align	8
	.type	_ZN7rocprim17ROCPRIM_400000_NS6detail17trampoline_kernelINS0_14default_configENS1_35radix_sort_onesweep_config_selectorIlNS0_10empty_typeEEEZNS1_34radix_sort_onesweep_global_offsetsIS3_Lb1EPlPS5_mNS0_19identity_decomposerEEE10hipError_tT1_T2_PT3_SE_jT4_jjP12ihipStream_tbEUlT_E0_NS1_11comp_targetILNS1_3genE9ELNS1_11target_archE1100ELNS1_3gpuE3ELNS1_3repE0EEENS1_52radix_sort_onesweep_histogram_config_static_selectorELNS0_4arch9wavefront6targetE1EEEvSC_,@function
_ZN7rocprim17ROCPRIM_400000_NS6detail17trampoline_kernelINS0_14default_configENS1_35radix_sort_onesweep_config_selectorIlNS0_10empty_typeEEEZNS1_34radix_sort_onesweep_global_offsetsIS3_Lb1EPlPS5_mNS0_19identity_decomposerEEE10hipError_tT1_T2_PT3_SE_jT4_jjP12ihipStream_tbEUlT_E0_NS1_11comp_targetILNS1_3genE9ELNS1_11target_archE1100ELNS1_3gpuE3ELNS1_3repE0EEENS1_52radix_sort_onesweep_histogram_config_static_selectorELNS0_4arch9wavefront6targetE1EEEvSC_: ; @_ZN7rocprim17ROCPRIM_400000_NS6detail17trampoline_kernelINS0_14default_configENS1_35radix_sort_onesweep_config_selectorIlNS0_10empty_typeEEEZNS1_34radix_sort_onesweep_global_offsetsIS3_Lb1EPlPS5_mNS0_19identity_decomposerEEE10hipError_tT1_T2_PT3_SE_jT4_jjP12ihipStream_tbEUlT_E0_NS1_11comp_targetILNS1_3genE9ELNS1_11target_archE1100ELNS1_3gpuE3ELNS1_3repE0EEENS1_52radix_sort_onesweep_histogram_config_static_selectorELNS0_4arch9wavefront6targetE1EEEvSC_
; %bb.0:
	.section	.rodata,"a",@progbits
	.p2align	6, 0x0
	.amdhsa_kernel _ZN7rocprim17ROCPRIM_400000_NS6detail17trampoline_kernelINS0_14default_configENS1_35radix_sort_onesweep_config_selectorIlNS0_10empty_typeEEEZNS1_34radix_sort_onesweep_global_offsetsIS3_Lb1EPlPS5_mNS0_19identity_decomposerEEE10hipError_tT1_T2_PT3_SE_jT4_jjP12ihipStream_tbEUlT_E0_NS1_11comp_targetILNS1_3genE9ELNS1_11target_archE1100ELNS1_3gpuE3ELNS1_3repE0EEENS1_52radix_sort_onesweep_histogram_config_static_selectorELNS0_4arch9wavefront6targetE1EEEvSC_
		.amdhsa_group_segment_fixed_size 0
		.amdhsa_private_segment_fixed_size 0
		.amdhsa_kernarg_size 8
		.amdhsa_user_sgpr_count 6
		.amdhsa_user_sgpr_private_segment_buffer 1
		.amdhsa_user_sgpr_dispatch_ptr 0
		.amdhsa_user_sgpr_queue_ptr 0
		.amdhsa_user_sgpr_kernarg_segment_ptr 1
		.amdhsa_user_sgpr_dispatch_id 0
		.amdhsa_user_sgpr_flat_scratch_init 0
		.amdhsa_user_sgpr_kernarg_preload_length 0
		.amdhsa_user_sgpr_kernarg_preload_offset 0
		.amdhsa_user_sgpr_private_segment_size 0
		.amdhsa_uses_dynamic_stack 0
		.amdhsa_system_sgpr_private_segment_wavefront_offset 0
		.amdhsa_system_sgpr_workgroup_id_x 1
		.amdhsa_system_sgpr_workgroup_id_y 0
		.amdhsa_system_sgpr_workgroup_id_z 0
		.amdhsa_system_sgpr_workgroup_info 0
		.amdhsa_system_vgpr_workitem_id 0
		.amdhsa_next_free_vgpr 1
		.amdhsa_next_free_sgpr 0
		.amdhsa_accum_offset 4
		.amdhsa_reserve_vcc 0
		.amdhsa_reserve_flat_scratch 0
		.amdhsa_float_round_mode_32 0
		.amdhsa_float_round_mode_16_64 0
		.amdhsa_float_denorm_mode_32 3
		.amdhsa_float_denorm_mode_16_64 3
		.amdhsa_dx10_clamp 1
		.amdhsa_ieee_mode 1
		.amdhsa_fp16_overflow 0
		.amdhsa_tg_split 0
		.amdhsa_exception_fp_ieee_invalid_op 0
		.amdhsa_exception_fp_denorm_src 0
		.amdhsa_exception_fp_ieee_div_zero 0
		.amdhsa_exception_fp_ieee_overflow 0
		.amdhsa_exception_fp_ieee_underflow 0
		.amdhsa_exception_fp_ieee_inexact 0
		.amdhsa_exception_int_div_zero 0
	.end_amdhsa_kernel
	.section	.text._ZN7rocprim17ROCPRIM_400000_NS6detail17trampoline_kernelINS0_14default_configENS1_35radix_sort_onesweep_config_selectorIlNS0_10empty_typeEEEZNS1_34radix_sort_onesweep_global_offsetsIS3_Lb1EPlPS5_mNS0_19identity_decomposerEEE10hipError_tT1_T2_PT3_SE_jT4_jjP12ihipStream_tbEUlT_E0_NS1_11comp_targetILNS1_3genE9ELNS1_11target_archE1100ELNS1_3gpuE3ELNS1_3repE0EEENS1_52radix_sort_onesweep_histogram_config_static_selectorELNS0_4arch9wavefront6targetE1EEEvSC_,"axG",@progbits,_ZN7rocprim17ROCPRIM_400000_NS6detail17trampoline_kernelINS0_14default_configENS1_35radix_sort_onesweep_config_selectorIlNS0_10empty_typeEEEZNS1_34radix_sort_onesweep_global_offsetsIS3_Lb1EPlPS5_mNS0_19identity_decomposerEEE10hipError_tT1_T2_PT3_SE_jT4_jjP12ihipStream_tbEUlT_E0_NS1_11comp_targetILNS1_3genE9ELNS1_11target_archE1100ELNS1_3gpuE3ELNS1_3repE0EEENS1_52radix_sort_onesweep_histogram_config_static_selectorELNS0_4arch9wavefront6targetE1EEEvSC_,comdat
.Lfunc_end2196:
	.size	_ZN7rocprim17ROCPRIM_400000_NS6detail17trampoline_kernelINS0_14default_configENS1_35radix_sort_onesweep_config_selectorIlNS0_10empty_typeEEEZNS1_34radix_sort_onesweep_global_offsetsIS3_Lb1EPlPS5_mNS0_19identity_decomposerEEE10hipError_tT1_T2_PT3_SE_jT4_jjP12ihipStream_tbEUlT_E0_NS1_11comp_targetILNS1_3genE9ELNS1_11target_archE1100ELNS1_3gpuE3ELNS1_3repE0EEENS1_52radix_sort_onesweep_histogram_config_static_selectorELNS0_4arch9wavefront6targetE1EEEvSC_, .Lfunc_end2196-_ZN7rocprim17ROCPRIM_400000_NS6detail17trampoline_kernelINS0_14default_configENS1_35radix_sort_onesweep_config_selectorIlNS0_10empty_typeEEEZNS1_34radix_sort_onesweep_global_offsetsIS3_Lb1EPlPS5_mNS0_19identity_decomposerEEE10hipError_tT1_T2_PT3_SE_jT4_jjP12ihipStream_tbEUlT_E0_NS1_11comp_targetILNS1_3genE9ELNS1_11target_archE1100ELNS1_3gpuE3ELNS1_3repE0EEENS1_52radix_sort_onesweep_histogram_config_static_selectorELNS0_4arch9wavefront6targetE1EEEvSC_
                                        ; -- End function
	.section	.AMDGPU.csdata,"",@progbits
; Kernel info:
; codeLenInByte = 0
; NumSgprs: 4
; NumVgprs: 0
; NumAgprs: 0
; TotalNumVgprs: 0
; ScratchSize: 0
; MemoryBound: 0
; FloatMode: 240
; IeeeMode: 1
; LDSByteSize: 0 bytes/workgroup (compile time only)
; SGPRBlocks: 0
; VGPRBlocks: 0
; NumSGPRsForWavesPerEU: 4
; NumVGPRsForWavesPerEU: 1
; AccumOffset: 4
; Occupancy: 8
; WaveLimiterHint : 0
; COMPUTE_PGM_RSRC2:SCRATCH_EN: 0
; COMPUTE_PGM_RSRC2:USER_SGPR: 6
; COMPUTE_PGM_RSRC2:TRAP_HANDLER: 0
; COMPUTE_PGM_RSRC2:TGID_X_EN: 1
; COMPUTE_PGM_RSRC2:TGID_Y_EN: 0
; COMPUTE_PGM_RSRC2:TGID_Z_EN: 0
; COMPUTE_PGM_RSRC2:TIDIG_COMP_CNT: 0
; COMPUTE_PGM_RSRC3_GFX90A:ACCUM_OFFSET: 0
; COMPUTE_PGM_RSRC3_GFX90A:TG_SPLIT: 0
	.section	.text._ZN7rocprim17ROCPRIM_400000_NS6detail17trampoline_kernelINS0_14default_configENS1_35radix_sort_onesweep_config_selectorIlNS0_10empty_typeEEEZNS1_34radix_sort_onesweep_global_offsetsIS3_Lb1EPlPS5_mNS0_19identity_decomposerEEE10hipError_tT1_T2_PT3_SE_jT4_jjP12ihipStream_tbEUlT_E0_NS1_11comp_targetILNS1_3genE8ELNS1_11target_archE1030ELNS1_3gpuE2ELNS1_3repE0EEENS1_52radix_sort_onesweep_histogram_config_static_selectorELNS0_4arch9wavefront6targetE1EEEvSC_,"axG",@progbits,_ZN7rocprim17ROCPRIM_400000_NS6detail17trampoline_kernelINS0_14default_configENS1_35radix_sort_onesweep_config_selectorIlNS0_10empty_typeEEEZNS1_34radix_sort_onesweep_global_offsetsIS3_Lb1EPlPS5_mNS0_19identity_decomposerEEE10hipError_tT1_T2_PT3_SE_jT4_jjP12ihipStream_tbEUlT_E0_NS1_11comp_targetILNS1_3genE8ELNS1_11target_archE1030ELNS1_3gpuE2ELNS1_3repE0EEENS1_52radix_sort_onesweep_histogram_config_static_selectorELNS0_4arch9wavefront6targetE1EEEvSC_,comdat
	.protected	_ZN7rocprim17ROCPRIM_400000_NS6detail17trampoline_kernelINS0_14default_configENS1_35radix_sort_onesweep_config_selectorIlNS0_10empty_typeEEEZNS1_34radix_sort_onesweep_global_offsetsIS3_Lb1EPlPS5_mNS0_19identity_decomposerEEE10hipError_tT1_T2_PT3_SE_jT4_jjP12ihipStream_tbEUlT_E0_NS1_11comp_targetILNS1_3genE8ELNS1_11target_archE1030ELNS1_3gpuE2ELNS1_3repE0EEENS1_52radix_sort_onesweep_histogram_config_static_selectorELNS0_4arch9wavefront6targetE1EEEvSC_ ; -- Begin function _ZN7rocprim17ROCPRIM_400000_NS6detail17trampoline_kernelINS0_14default_configENS1_35radix_sort_onesweep_config_selectorIlNS0_10empty_typeEEEZNS1_34radix_sort_onesweep_global_offsetsIS3_Lb1EPlPS5_mNS0_19identity_decomposerEEE10hipError_tT1_T2_PT3_SE_jT4_jjP12ihipStream_tbEUlT_E0_NS1_11comp_targetILNS1_3genE8ELNS1_11target_archE1030ELNS1_3gpuE2ELNS1_3repE0EEENS1_52radix_sort_onesweep_histogram_config_static_selectorELNS0_4arch9wavefront6targetE1EEEvSC_
	.globl	_ZN7rocprim17ROCPRIM_400000_NS6detail17trampoline_kernelINS0_14default_configENS1_35radix_sort_onesweep_config_selectorIlNS0_10empty_typeEEEZNS1_34radix_sort_onesweep_global_offsetsIS3_Lb1EPlPS5_mNS0_19identity_decomposerEEE10hipError_tT1_T2_PT3_SE_jT4_jjP12ihipStream_tbEUlT_E0_NS1_11comp_targetILNS1_3genE8ELNS1_11target_archE1030ELNS1_3gpuE2ELNS1_3repE0EEENS1_52radix_sort_onesweep_histogram_config_static_selectorELNS0_4arch9wavefront6targetE1EEEvSC_
	.p2align	8
	.type	_ZN7rocprim17ROCPRIM_400000_NS6detail17trampoline_kernelINS0_14default_configENS1_35radix_sort_onesweep_config_selectorIlNS0_10empty_typeEEEZNS1_34radix_sort_onesweep_global_offsetsIS3_Lb1EPlPS5_mNS0_19identity_decomposerEEE10hipError_tT1_T2_PT3_SE_jT4_jjP12ihipStream_tbEUlT_E0_NS1_11comp_targetILNS1_3genE8ELNS1_11target_archE1030ELNS1_3gpuE2ELNS1_3repE0EEENS1_52radix_sort_onesweep_histogram_config_static_selectorELNS0_4arch9wavefront6targetE1EEEvSC_,@function
_ZN7rocprim17ROCPRIM_400000_NS6detail17trampoline_kernelINS0_14default_configENS1_35radix_sort_onesweep_config_selectorIlNS0_10empty_typeEEEZNS1_34radix_sort_onesweep_global_offsetsIS3_Lb1EPlPS5_mNS0_19identity_decomposerEEE10hipError_tT1_T2_PT3_SE_jT4_jjP12ihipStream_tbEUlT_E0_NS1_11comp_targetILNS1_3genE8ELNS1_11target_archE1030ELNS1_3gpuE2ELNS1_3repE0EEENS1_52radix_sort_onesweep_histogram_config_static_selectorELNS0_4arch9wavefront6targetE1EEEvSC_: ; @_ZN7rocprim17ROCPRIM_400000_NS6detail17trampoline_kernelINS0_14default_configENS1_35radix_sort_onesweep_config_selectorIlNS0_10empty_typeEEEZNS1_34radix_sort_onesweep_global_offsetsIS3_Lb1EPlPS5_mNS0_19identity_decomposerEEE10hipError_tT1_T2_PT3_SE_jT4_jjP12ihipStream_tbEUlT_E0_NS1_11comp_targetILNS1_3genE8ELNS1_11target_archE1030ELNS1_3gpuE2ELNS1_3repE0EEENS1_52radix_sort_onesweep_histogram_config_static_selectorELNS0_4arch9wavefront6targetE1EEEvSC_
; %bb.0:
	.section	.rodata,"a",@progbits
	.p2align	6, 0x0
	.amdhsa_kernel _ZN7rocprim17ROCPRIM_400000_NS6detail17trampoline_kernelINS0_14default_configENS1_35radix_sort_onesweep_config_selectorIlNS0_10empty_typeEEEZNS1_34radix_sort_onesweep_global_offsetsIS3_Lb1EPlPS5_mNS0_19identity_decomposerEEE10hipError_tT1_T2_PT3_SE_jT4_jjP12ihipStream_tbEUlT_E0_NS1_11comp_targetILNS1_3genE8ELNS1_11target_archE1030ELNS1_3gpuE2ELNS1_3repE0EEENS1_52radix_sort_onesweep_histogram_config_static_selectorELNS0_4arch9wavefront6targetE1EEEvSC_
		.amdhsa_group_segment_fixed_size 0
		.amdhsa_private_segment_fixed_size 0
		.amdhsa_kernarg_size 8
		.amdhsa_user_sgpr_count 6
		.amdhsa_user_sgpr_private_segment_buffer 1
		.amdhsa_user_sgpr_dispatch_ptr 0
		.amdhsa_user_sgpr_queue_ptr 0
		.amdhsa_user_sgpr_kernarg_segment_ptr 1
		.amdhsa_user_sgpr_dispatch_id 0
		.amdhsa_user_sgpr_flat_scratch_init 0
		.amdhsa_user_sgpr_kernarg_preload_length 0
		.amdhsa_user_sgpr_kernarg_preload_offset 0
		.amdhsa_user_sgpr_private_segment_size 0
		.amdhsa_uses_dynamic_stack 0
		.amdhsa_system_sgpr_private_segment_wavefront_offset 0
		.amdhsa_system_sgpr_workgroup_id_x 1
		.amdhsa_system_sgpr_workgroup_id_y 0
		.amdhsa_system_sgpr_workgroup_id_z 0
		.amdhsa_system_sgpr_workgroup_info 0
		.amdhsa_system_vgpr_workitem_id 0
		.amdhsa_next_free_vgpr 1
		.amdhsa_next_free_sgpr 0
		.amdhsa_accum_offset 4
		.amdhsa_reserve_vcc 0
		.amdhsa_reserve_flat_scratch 0
		.amdhsa_float_round_mode_32 0
		.amdhsa_float_round_mode_16_64 0
		.amdhsa_float_denorm_mode_32 3
		.amdhsa_float_denorm_mode_16_64 3
		.amdhsa_dx10_clamp 1
		.amdhsa_ieee_mode 1
		.amdhsa_fp16_overflow 0
		.amdhsa_tg_split 0
		.amdhsa_exception_fp_ieee_invalid_op 0
		.amdhsa_exception_fp_denorm_src 0
		.amdhsa_exception_fp_ieee_div_zero 0
		.amdhsa_exception_fp_ieee_overflow 0
		.amdhsa_exception_fp_ieee_underflow 0
		.amdhsa_exception_fp_ieee_inexact 0
		.amdhsa_exception_int_div_zero 0
	.end_amdhsa_kernel
	.section	.text._ZN7rocprim17ROCPRIM_400000_NS6detail17trampoline_kernelINS0_14default_configENS1_35radix_sort_onesweep_config_selectorIlNS0_10empty_typeEEEZNS1_34radix_sort_onesweep_global_offsetsIS3_Lb1EPlPS5_mNS0_19identity_decomposerEEE10hipError_tT1_T2_PT3_SE_jT4_jjP12ihipStream_tbEUlT_E0_NS1_11comp_targetILNS1_3genE8ELNS1_11target_archE1030ELNS1_3gpuE2ELNS1_3repE0EEENS1_52radix_sort_onesweep_histogram_config_static_selectorELNS0_4arch9wavefront6targetE1EEEvSC_,"axG",@progbits,_ZN7rocprim17ROCPRIM_400000_NS6detail17trampoline_kernelINS0_14default_configENS1_35radix_sort_onesweep_config_selectorIlNS0_10empty_typeEEEZNS1_34radix_sort_onesweep_global_offsetsIS3_Lb1EPlPS5_mNS0_19identity_decomposerEEE10hipError_tT1_T2_PT3_SE_jT4_jjP12ihipStream_tbEUlT_E0_NS1_11comp_targetILNS1_3genE8ELNS1_11target_archE1030ELNS1_3gpuE2ELNS1_3repE0EEENS1_52radix_sort_onesweep_histogram_config_static_selectorELNS0_4arch9wavefront6targetE1EEEvSC_,comdat
.Lfunc_end2197:
	.size	_ZN7rocprim17ROCPRIM_400000_NS6detail17trampoline_kernelINS0_14default_configENS1_35radix_sort_onesweep_config_selectorIlNS0_10empty_typeEEEZNS1_34radix_sort_onesweep_global_offsetsIS3_Lb1EPlPS5_mNS0_19identity_decomposerEEE10hipError_tT1_T2_PT3_SE_jT4_jjP12ihipStream_tbEUlT_E0_NS1_11comp_targetILNS1_3genE8ELNS1_11target_archE1030ELNS1_3gpuE2ELNS1_3repE0EEENS1_52radix_sort_onesweep_histogram_config_static_selectorELNS0_4arch9wavefront6targetE1EEEvSC_, .Lfunc_end2197-_ZN7rocprim17ROCPRIM_400000_NS6detail17trampoline_kernelINS0_14default_configENS1_35radix_sort_onesweep_config_selectorIlNS0_10empty_typeEEEZNS1_34radix_sort_onesweep_global_offsetsIS3_Lb1EPlPS5_mNS0_19identity_decomposerEEE10hipError_tT1_T2_PT3_SE_jT4_jjP12ihipStream_tbEUlT_E0_NS1_11comp_targetILNS1_3genE8ELNS1_11target_archE1030ELNS1_3gpuE2ELNS1_3repE0EEENS1_52radix_sort_onesweep_histogram_config_static_selectorELNS0_4arch9wavefront6targetE1EEEvSC_
                                        ; -- End function
	.section	.AMDGPU.csdata,"",@progbits
; Kernel info:
; codeLenInByte = 0
; NumSgprs: 4
; NumVgprs: 0
; NumAgprs: 0
; TotalNumVgprs: 0
; ScratchSize: 0
; MemoryBound: 0
; FloatMode: 240
; IeeeMode: 1
; LDSByteSize: 0 bytes/workgroup (compile time only)
; SGPRBlocks: 0
; VGPRBlocks: 0
; NumSGPRsForWavesPerEU: 4
; NumVGPRsForWavesPerEU: 1
; AccumOffset: 4
; Occupancy: 8
; WaveLimiterHint : 0
; COMPUTE_PGM_RSRC2:SCRATCH_EN: 0
; COMPUTE_PGM_RSRC2:USER_SGPR: 6
; COMPUTE_PGM_RSRC2:TRAP_HANDLER: 0
; COMPUTE_PGM_RSRC2:TGID_X_EN: 1
; COMPUTE_PGM_RSRC2:TGID_Y_EN: 0
; COMPUTE_PGM_RSRC2:TGID_Z_EN: 0
; COMPUTE_PGM_RSRC2:TIDIG_COMP_CNT: 0
; COMPUTE_PGM_RSRC3_GFX90A:ACCUM_OFFSET: 0
; COMPUTE_PGM_RSRC3_GFX90A:TG_SPLIT: 0
	.section	.text._ZN7rocprim17ROCPRIM_400000_NS6detail17trampoline_kernelINS0_14default_configENS1_35radix_sort_onesweep_config_selectorIlNS0_10empty_typeEEEZZNS1_29radix_sort_onesweep_iterationIS3_Lb1EPlS8_PS5_S9_mNS0_19identity_decomposerENS1_16block_id_wrapperIjLb1EEEEE10hipError_tT1_PNSt15iterator_traitsISE_E10value_typeET2_T3_PNSF_ISK_E10value_typeET4_T5_PSP_SQ_PNS1_23onesweep_lookback_stateEbbT6_jjT7_P12ihipStream_tbENKUlT_T0_SE_SJ_E_clIS8_S8_S9_S9_EEDaSX_SY_SE_SJ_EUlSX_E_NS1_11comp_targetILNS1_3genE0ELNS1_11target_archE4294967295ELNS1_3gpuE0ELNS1_3repE0EEENS1_47radix_sort_onesweep_sort_config_static_selectorELNS0_4arch9wavefront6targetE1EEEvSE_,"axG",@progbits,_ZN7rocprim17ROCPRIM_400000_NS6detail17trampoline_kernelINS0_14default_configENS1_35radix_sort_onesweep_config_selectorIlNS0_10empty_typeEEEZZNS1_29radix_sort_onesweep_iterationIS3_Lb1EPlS8_PS5_S9_mNS0_19identity_decomposerENS1_16block_id_wrapperIjLb1EEEEE10hipError_tT1_PNSt15iterator_traitsISE_E10value_typeET2_T3_PNSF_ISK_E10value_typeET4_T5_PSP_SQ_PNS1_23onesweep_lookback_stateEbbT6_jjT7_P12ihipStream_tbENKUlT_T0_SE_SJ_E_clIS8_S8_S9_S9_EEDaSX_SY_SE_SJ_EUlSX_E_NS1_11comp_targetILNS1_3genE0ELNS1_11target_archE4294967295ELNS1_3gpuE0ELNS1_3repE0EEENS1_47radix_sort_onesweep_sort_config_static_selectorELNS0_4arch9wavefront6targetE1EEEvSE_,comdat
	.protected	_ZN7rocprim17ROCPRIM_400000_NS6detail17trampoline_kernelINS0_14default_configENS1_35radix_sort_onesweep_config_selectorIlNS0_10empty_typeEEEZZNS1_29radix_sort_onesweep_iterationIS3_Lb1EPlS8_PS5_S9_mNS0_19identity_decomposerENS1_16block_id_wrapperIjLb1EEEEE10hipError_tT1_PNSt15iterator_traitsISE_E10value_typeET2_T3_PNSF_ISK_E10value_typeET4_T5_PSP_SQ_PNS1_23onesweep_lookback_stateEbbT6_jjT7_P12ihipStream_tbENKUlT_T0_SE_SJ_E_clIS8_S8_S9_S9_EEDaSX_SY_SE_SJ_EUlSX_E_NS1_11comp_targetILNS1_3genE0ELNS1_11target_archE4294967295ELNS1_3gpuE0ELNS1_3repE0EEENS1_47radix_sort_onesweep_sort_config_static_selectorELNS0_4arch9wavefront6targetE1EEEvSE_ ; -- Begin function _ZN7rocprim17ROCPRIM_400000_NS6detail17trampoline_kernelINS0_14default_configENS1_35radix_sort_onesweep_config_selectorIlNS0_10empty_typeEEEZZNS1_29radix_sort_onesweep_iterationIS3_Lb1EPlS8_PS5_S9_mNS0_19identity_decomposerENS1_16block_id_wrapperIjLb1EEEEE10hipError_tT1_PNSt15iterator_traitsISE_E10value_typeET2_T3_PNSF_ISK_E10value_typeET4_T5_PSP_SQ_PNS1_23onesweep_lookback_stateEbbT6_jjT7_P12ihipStream_tbENKUlT_T0_SE_SJ_E_clIS8_S8_S9_S9_EEDaSX_SY_SE_SJ_EUlSX_E_NS1_11comp_targetILNS1_3genE0ELNS1_11target_archE4294967295ELNS1_3gpuE0ELNS1_3repE0EEENS1_47radix_sort_onesweep_sort_config_static_selectorELNS0_4arch9wavefront6targetE1EEEvSE_
	.globl	_ZN7rocprim17ROCPRIM_400000_NS6detail17trampoline_kernelINS0_14default_configENS1_35radix_sort_onesweep_config_selectorIlNS0_10empty_typeEEEZZNS1_29radix_sort_onesweep_iterationIS3_Lb1EPlS8_PS5_S9_mNS0_19identity_decomposerENS1_16block_id_wrapperIjLb1EEEEE10hipError_tT1_PNSt15iterator_traitsISE_E10value_typeET2_T3_PNSF_ISK_E10value_typeET4_T5_PSP_SQ_PNS1_23onesweep_lookback_stateEbbT6_jjT7_P12ihipStream_tbENKUlT_T0_SE_SJ_E_clIS8_S8_S9_S9_EEDaSX_SY_SE_SJ_EUlSX_E_NS1_11comp_targetILNS1_3genE0ELNS1_11target_archE4294967295ELNS1_3gpuE0ELNS1_3repE0EEENS1_47radix_sort_onesweep_sort_config_static_selectorELNS0_4arch9wavefront6targetE1EEEvSE_
	.p2align	8
	.type	_ZN7rocprim17ROCPRIM_400000_NS6detail17trampoline_kernelINS0_14default_configENS1_35radix_sort_onesweep_config_selectorIlNS0_10empty_typeEEEZZNS1_29radix_sort_onesweep_iterationIS3_Lb1EPlS8_PS5_S9_mNS0_19identity_decomposerENS1_16block_id_wrapperIjLb1EEEEE10hipError_tT1_PNSt15iterator_traitsISE_E10value_typeET2_T3_PNSF_ISK_E10value_typeET4_T5_PSP_SQ_PNS1_23onesweep_lookback_stateEbbT6_jjT7_P12ihipStream_tbENKUlT_T0_SE_SJ_E_clIS8_S8_S9_S9_EEDaSX_SY_SE_SJ_EUlSX_E_NS1_11comp_targetILNS1_3genE0ELNS1_11target_archE4294967295ELNS1_3gpuE0ELNS1_3repE0EEENS1_47radix_sort_onesweep_sort_config_static_selectorELNS0_4arch9wavefront6targetE1EEEvSE_,@function
_ZN7rocprim17ROCPRIM_400000_NS6detail17trampoline_kernelINS0_14default_configENS1_35radix_sort_onesweep_config_selectorIlNS0_10empty_typeEEEZZNS1_29radix_sort_onesweep_iterationIS3_Lb1EPlS8_PS5_S9_mNS0_19identity_decomposerENS1_16block_id_wrapperIjLb1EEEEE10hipError_tT1_PNSt15iterator_traitsISE_E10value_typeET2_T3_PNSF_ISK_E10value_typeET4_T5_PSP_SQ_PNS1_23onesweep_lookback_stateEbbT6_jjT7_P12ihipStream_tbENKUlT_T0_SE_SJ_E_clIS8_S8_S9_S9_EEDaSX_SY_SE_SJ_EUlSX_E_NS1_11comp_targetILNS1_3genE0ELNS1_11target_archE4294967295ELNS1_3gpuE0ELNS1_3repE0EEENS1_47radix_sort_onesweep_sort_config_static_selectorELNS0_4arch9wavefront6targetE1EEEvSE_: ; @_ZN7rocprim17ROCPRIM_400000_NS6detail17trampoline_kernelINS0_14default_configENS1_35radix_sort_onesweep_config_selectorIlNS0_10empty_typeEEEZZNS1_29radix_sort_onesweep_iterationIS3_Lb1EPlS8_PS5_S9_mNS0_19identity_decomposerENS1_16block_id_wrapperIjLb1EEEEE10hipError_tT1_PNSt15iterator_traitsISE_E10value_typeET2_T3_PNSF_ISK_E10value_typeET4_T5_PSP_SQ_PNS1_23onesweep_lookback_stateEbbT6_jjT7_P12ihipStream_tbENKUlT_T0_SE_SJ_E_clIS8_S8_S9_S9_EEDaSX_SY_SE_SJ_EUlSX_E_NS1_11comp_targetILNS1_3genE0ELNS1_11target_archE4294967295ELNS1_3gpuE0ELNS1_3repE0EEENS1_47radix_sort_onesweep_sort_config_static_selectorELNS0_4arch9wavefront6targetE1EEEvSE_
; %bb.0:
	.section	.rodata,"a",@progbits
	.p2align	6, 0x0
	.amdhsa_kernel _ZN7rocprim17ROCPRIM_400000_NS6detail17trampoline_kernelINS0_14default_configENS1_35radix_sort_onesweep_config_selectorIlNS0_10empty_typeEEEZZNS1_29radix_sort_onesweep_iterationIS3_Lb1EPlS8_PS5_S9_mNS0_19identity_decomposerENS1_16block_id_wrapperIjLb1EEEEE10hipError_tT1_PNSt15iterator_traitsISE_E10value_typeET2_T3_PNSF_ISK_E10value_typeET4_T5_PSP_SQ_PNS1_23onesweep_lookback_stateEbbT6_jjT7_P12ihipStream_tbENKUlT_T0_SE_SJ_E_clIS8_S8_S9_S9_EEDaSX_SY_SE_SJ_EUlSX_E_NS1_11comp_targetILNS1_3genE0ELNS1_11target_archE4294967295ELNS1_3gpuE0ELNS1_3repE0EEENS1_47radix_sort_onesweep_sort_config_static_selectorELNS0_4arch9wavefront6targetE1EEEvSE_
		.amdhsa_group_segment_fixed_size 0
		.amdhsa_private_segment_fixed_size 0
		.amdhsa_kernarg_size 88
		.amdhsa_user_sgpr_count 6
		.amdhsa_user_sgpr_private_segment_buffer 1
		.amdhsa_user_sgpr_dispatch_ptr 0
		.amdhsa_user_sgpr_queue_ptr 0
		.amdhsa_user_sgpr_kernarg_segment_ptr 1
		.amdhsa_user_sgpr_dispatch_id 0
		.amdhsa_user_sgpr_flat_scratch_init 0
		.amdhsa_user_sgpr_kernarg_preload_length 0
		.amdhsa_user_sgpr_kernarg_preload_offset 0
		.amdhsa_user_sgpr_private_segment_size 0
		.amdhsa_uses_dynamic_stack 0
		.amdhsa_system_sgpr_private_segment_wavefront_offset 0
		.amdhsa_system_sgpr_workgroup_id_x 1
		.amdhsa_system_sgpr_workgroup_id_y 0
		.amdhsa_system_sgpr_workgroup_id_z 0
		.amdhsa_system_sgpr_workgroup_info 0
		.amdhsa_system_vgpr_workitem_id 0
		.amdhsa_next_free_vgpr 1
		.amdhsa_next_free_sgpr 0
		.amdhsa_accum_offset 4
		.amdhsa_reserve_vcc 0
		.amdhsa_reserve_flat_scratch 0
		.amdhsa_float_round_mode_32 0
		.amdhsa_float_round_mode_16_64 0
		.amdhsa_float_denorm_mode_32 3
		.amdhsa_float_denorm_mode_16_64 3
		.amdhsa_dx10_clamp 1
		.amdhsa_ieee_mode 1
		.amdhsa_fp16_overflow 0
		.amdhsa_tg_split 0
		.amdhsa_exception_fp_ieee_invalid_op 0
		.amdhsa_exception_fp_denorm_src 0
		.amdhsa_exception_fp_ieee_div_zero 0
		.amdhsa_exception_fp_ieee_overflow 0
		.amdhsa_exception_fp_ieee_underflow 0
		.amdhsa_exception_fp_ieee_inexact 0
		.amdhsa_exception_int_div_zero 0
	.end_amdhsa_kernel
	.section	.text._ZN7rocprim17ROCPRIM_400000_NS6detail17trampoline_kernelINS0_14default_configENS1_35radix_sort_onesweep_config_selectorIlNS0_10empty_typeEEEZZNS1_29radix_sort_onesweep_iterationIS3_Lb1EPlS8_PS5_S9_mNS0_19identity_decomposerENS1_16block_id_wrapperIjLb1EEEEE10hipError_tT1_PNSt15iterator_traitsISE_E10value_typeET2_T3_PNSF_ISK_E10value_typeET4_T5_PSP_SQ_PNS1_23onesweep_lookback_stateEbbT6_jjT7_P12ihipStream_tbENKUlT_T0_SE_SJ_E_clIS8_S8_S9_S9_EEDaSX_SY_SE_SJ_EUlSX_E_NS1_11comp_targetILNS1_3genE0ELNS1_11target_archE4294967295ELNS1_3gpuE0ELNS1_3repE0EEENS1_47radix_sort_onesweep_sort_config_static_selectorELNS0_4arch9wavefront6targetE1EEEvSE_,"axG",@progbits,_ZN7rocprim17ROCPRIM_400000_NS6detail17trampoline_kernelINS0_14default_configENS1_35radix_sort_onesweep_config_selectorIlNS0_10empty_typeEEEZZNS1_29radix_sort_onesweep_iterationIS3_Lb1EPlS8_PS5_S9_mNS0_19identity_decomposerENS1_16block_id_wrapperIjLb1EEEEE10hipError_tT1_PNSt15iterator_traitsISE_E10value_typeET2_T3_PNSF_ISK_E10value_typeET4_T5_PSP_SQ_PNS1_23onesweep_lookback_stateEbbT6_jjT7_P12ihipStream_tbENKUlT_T0_SE_SJ_E_clIS8_S8_S9_S9_EEDaSX_SY_SE_SJ_EUlSX_E_NS1_11comp_targetILNS1_3genE0ELNS1_11target_archE4294967295ELNS1_3gpuE0ELNS1_3repE0EEENS1_47radix_sort_onesweep_sort_config_static_selectorELNS0_4arch9wavefront6targetE1EEEvSE_,comdat
.Lfunc_end2198:
	.size	_ZN7rocprim17ROCPRIM_400000_NS6detail17trampoline_kernelINS0_14default_configENS1_35radix_sort_onesweep_config_selectorIlNS0_10empty_typeEEEZZNS1_29radix_sort_onesweep_iterationIS3_Lb1EPlS8_PS5_S9_mNS0_19identity_decomposerENS1_16block_id_wrapperIjLb1EEEEE10hipError_tT1_PNSt15iterator_traitsISE_E10value_typeET2_T3_PNSF_ISK_E10value_typeET4_T5_PSP_SQ_PNS1_23onesweep_lookback_stateEbbT6_jjT7_P12ihipStream_tbENKUlT_T0_SE_SJ_E_clIS8_S8_S9_S9_EEDaSX_SY_SE_SJ_EUlSX_E_NS1_11comp_targetILNS1_3genE0ELNS1_11target_archE4294967295ELNS1_3gpuE0ELNS1_3repE0EEENS1_47radix_sort_onesweep_sort_config_static_selectorELNS0_4arch9wavefront6targetE1EEEvSE_, .Lfunc_end2198-_ZN7rocprim17ROCPRIM_400000_NS6detail17trampoline_kernelINS0_14default_configENS1_35radix_sort_onesweep_config_selectorIlNS0_10empty_typeEEEZZNS1_29radix_sort_onesweep_iterationIS3_Lb1EPlS8_PS5_S9_mNS0_19identity_decomposerENS1_16block_id_wrapperIjLb1EEEEE10hipError_tT1_PNSt15iterator_traitsISE_E10value_typeET2_T3_PNSF_ISK_E10value_typeET4_T5_PSP_SQ_PNS1_23onesweep_lookback_stateEbbT6_jjT7_P12ihipStream_tbENKUlT_T0_SE_SJ_E_clIS8_S8_S9_S9_EEDaSX_SY_SE_SJ_EUlSX_E_NS1_11comp_targetILNS1_3genE0ELNS1_11target_archE4294967295ELNS1_3gpuE0ELNS1_3repE0EEENS1_47radix_sort_onesweep_sort_config_static_selectorELNS0_4arch9wavefront6targetE1EEEvSE_
                                        ; -- End function
	.section	.AMDGPU.csdata,"",@progbits
; Kernel info:
; codeLenInByte = 0
; NumSgprs: 4
; NumVgprs: 0
; NumAgprs: 0
; TotalNumVgprs: 0
; ScratchSize: 0
; MemoryBound: 0
; FloatMode: 240
; IeeeMode: 1
; LDSByteSize: 0 bytes/workgroup (compile time only)
; SGPRBlocks: 0
; VGPRBlocks: 0
; NumSGPRsForWavesPerEU: 4
; NumVGPRsForWavesPerEU: 1
; AccumOffset: 4
; Occupancy: 8
; WaveLimiterHint : 0
; COMPUTE_PGM_RSRC2:SCRATCH_EN: 0
; COMPUTE_PGM_RSRC2:USER_SGPR: 6
; COMPUTE_PGM_RSRC2:TRAP_HANDLER: 0
; COMPUTE_PGM_RSRC2:TGID_X_EN: 1
; COMPUTE_PGM_RSRC2:TGID_Y_EN: 0
; COMPUTE_PGM_RSRC2:TGID_Z_EN: 0
; COMPUTE_PGM_RSRC2:TIDIG_COMP_CNT: 0
; COMPUTE_PGM_RSRC3_GFX90A:ACCUM_OFFSET: 0
; COMPUTE_PGM_RSRC3_GFX90A:TG_SPLIT: 0
	.section	.text._ZN7rocprim17ROCPRIM_400000_NS6detail17trampoline_kernelINS0_14default_configENS1_35radix_sort_onesweep_config_selectorIlNS0_10empty_typeEEEZZNS1_29radix_sort_onesweep_iterationIS3_Lb1EPlS8_PS5_S9_mNS0_19identity_decomposerENS1_16block_id_wrapperIjLb1EEEEE10hipError_tT1_PNSt15iterator_traitsISE_E10value_typeET2_T3_PNSF_ISK_E10value_typeET4_T5_PSP_SQ_PNS1_23onesweep_lookback_stateEbbT6_jjT7_P12ihipStream_tbENKUlT_T0_SE_SJ_E_clIS8_S8_S9_S9_EEDaSX_SY_SE_SJ_EUlSX_E_NS1_11comp_targetILNS1_3genE6ELNS1_11target_archE950ELNS1_3gpuE13ELNS1_3repE0EEENS1_47radix_sort_onesweep_sort_config_static_selectorELNS0_4arch9wavefront6targetE1EEEvSE_,"axG",@progbits,_ZN7rocprim17ROCPRIM_400000_NS6detail17trampoline_kernelINS0_14default_configENS1_35radix_sort_onesweep_config_selectorIlNS0_10empty_typeEEEZZNS1_29radix_sort_onesweep_iterationIS3_Lb1EPlS8_PS5_S9_mNS0_19identity_decomposerENS1_16block_id_wrapperIjLb1EEEEE10hipError_tT1_PNSt15iterator_traitsISE_E10value_typeET2_T3_PNSF_ISK_E10value_typeET4_T5_PSP_SQ_PNS1_23onesweep_lookback_stateEbbT6_jjT7_P12ihipStream_tbENKUlT_T0_SE_SJ_E_clIS8_S8_S9_S9_EEDaSX_SY_SE_SJ_EUlSX_E_NS1_11comp_targetILNS1_3genE6ELNS1_11target_archE950ELNS1_3gpuE13ELNS1_3repE0EEENS1_47radix_sort_onesweep_sort_config_static_selectorELNS0_4arch9wavefront6targetE1EEEvSE_,comdat
	.protected	_ZN7rocprim17ROCPRIM_400000_NS6detail17trampoline_kernelINS0_14default_configENS1_35radix_sort_onesweep_config_selectorIlNS0_10empty_typeEEEZZNS1_29radix_sort_onesweep_iterationIS3_Lb1EPlS8_PS5_S9_mNS0_19identity_decomposerENS1_16block_id_wrapperIjLb1EEEEE10hipError_tT1_PNSt15iterator_traitsISE_E10value_typeET2_T3_PNSF_ISK_E10value_typeET4_T5_PSP_SQ_PNS1_23onesweep_lookback_stateEbbT6_jjT7_P12ihipStream_tbENKUlT_T0_SE_SJ_E_clIS8_S8_S9_S9_EEDaSX_SY_SE_SJ_EUlSX_E_NS1_11comp_targetILNS1_3genE6ELNS1_11target_archE950ELNS1_3gpuE13ELNS1_3repE0EEENS1_47radix_sort_onesweep_sort_config_static_selectorELNS0_4arch9wavefront6targetE1EEEvSE_ ; -- Begin function _ZN7rocprim17ROCPRIM_400000_NS6detail17trampoline_kernelINS0_14default_configENS1_35radix_sort_onesweep_config_selectorIlNS0_10empty_typeEEEZZNS1_29radix_sort_onesweep_iterationIS3_Lb1EPlS8_PS5_S9_mNS0_19identity_decomposerENS1_16block_id_wrapperIjLb1EEEEE10hipError_tT1_PNSt15iterator_traitsISE_E10value_typeET2_T3_PNSF_ISK_E10value_typeET4_T5_PSP_SQ_PNS1_23onesweep_lookback_stateEbbT6_jjT7_P12ihipStream_tbENKUlT_T0_SE_SJ_E_clIS8_S8_S9_S9_EEDaSX_SY_SE_SJ_EUlSX_E_NS1_11comp_targetILNS1_3genE6ELNS1_11target_archE950ELNS1_3gpuE13ELNS1_3repE0EEENS1_47radix_sort_onesweep_sort_config_static_selectorELNS0_4arch9wavefront6targetE1EEEvSE_
	.globl	_ZN7rocprim17ROCPRIM_400000_NS6detail17trampoline_kernelINS0_14default_configENS1_35radix_sort_onesweep_config_selectorIlNS0_10empty_typeEEEZZNS1_29radix_sort_onesweep_iterationIS3_Lb1EPlS8_PS5_S9_mNS0_19identity_decomposerENS1_16block_id_wrapperIjLb1EEEEE10hipError_tT1_PNSt15iterator_traitsISE_E10value_typeET2_T3_PNSF_ISK_E10value_typeET4_T5_PSP_SQ_PNS1_23onesweep_lookback_stateEbbT6_jjT7_P12ihipStream_tbENKUlT_T0_SE_SJ_E_clIS8_S8_S9_S9_EEDaSX_SY_SE_SJ_EUlSX_E_NS1_11comp_targetILNS1_3genE6ELNS1_11target_archE950ELNS1_3gpuE13ELNS1_3repE0EEENS1_47radix_sort_onesweep_sort_config_static_selectorELNS0_4arch9wavefront6targetE1EEEvSE_
	.p2align	8
	.type	_ZN7rocprim17ROCPRIM_400000_NS6detail17trampoline_kernelINS0_14default_configENS1_35radix_sort_onesweep_config_selectorIlNS0_10empty_typeEEEZZNS1_29radix_sort_onesweep_iterationIS3_Lb1EPlS8_PS5_S9_mNS0_19identity_decomposerENS1_16block_id_wrapperIjLb1EEEEE10hipError_tT1_PNSt15iterator_traitsISE_E10value_typeET2_T3_PNSF_ISK_E10value_typeET4_T5_PSP_SQ_PNS1_23onesweep_lookback_stateEbbT6_jjT7_P12ihipStream_tbENKUlT_T0_SE_SJ_E_clIS8_S8_S9_S9_EEDaSX_SY_SE_SJ_EUlSX_E_NS1_11comp_targetILNS1_3genE6ELNS1_11target_archE950ELNS1_3gpuE13ELNS1_3repE0EEENS1_47radix_sort_onesweep_sort_config_static_selectorELNS0_4arch9wavefront6targetE1EEEvSE_,@function
_ZN7rocprim17ROCPRIM_400000_NS6detail17trampoline_kernelINS0_14default_configENS1_35radix_sort_onesweep_config_selectorIlNS0_10empty_typeEEEZZNS1_29radix_sort_onesweep_iterationIS3_Lb1EPlS8_PS5_S9_mNS0_19identity_decomposerENS1_16block_id_wrapperIjLb1EEEEE10hipError_tT1_PNSt15iterator_traitsISE_E10value_typeET2_T3_PNSF_ISK_E10value_typeET4_T5_PSP_SQ_PNS1_23onesweep_lookback_stateEbbT6_jjT7_P12ihipStream_tbENKUlT_T0_SE_SJ_E_clIS8_S8_S9_S9_EEDaSX_SY_SE_SJ_EUlSX_E_NS1_11comp_targetILNS1_3genE6ELNS1_11target_archE950ELNS1_3gpuE13ELNS1_3repE0EEENS1_47radix_sort_onesweep_sort_config_static_selectorELNS0_4arch9wavefront6targetE1EEEvSE_: ; @_ZN7rocprim17ROCPRIM_400000_NS6detail17trampoline_kernelINS0_14default_configENS1_35radix_sort_onesweep_config_selectorIlNS0_10empty_typeEEEZZNS1_29radix_sort_onesweep_iterationIS3_Lb1EPlS8_PS5_S9_mNS0_19identity_decomposerENS1_16block_id_wrapperIjLb1EEEEE10hipError_tT1_PNSt15iterator_traitsISE_E10value_typeET2_T3_PNSF_ISK_E10value_typeET4_T5_PSP_SQ_PNS1_23onesweep_lookback_stateEbbT6_jjT7_P12ihipStream_tbENKUlT_T0_SE_SJ_E_clIS8_S8_S9_S9_EEDaSX_SY_SE_SJ_EUlSX_E_NS1_11comp_targetILNS1_3genE6ELNS1_11target_archE950ELNS1_3gpuE13ELNS1_3repE0EEENS1_47radix_sort_onesweep_sort_config_static_selectorELNS0_4arch9wavefront6targetE1EEEvSE_
; %bb.0:
	.section	.rodata,"a",@progbits
	.p2align	6, 0x0
	.amdhsa_kernel _ZN7rocprim17ROCPRIM_400000_NS6detail17trampoline_kernelINS0_14default_configENS1_35radix_sort_onesweep_config_selectorIlNS0_10empty_typeEEEZZNS1_29radix_sort_onesweep_iterationIS3_Lb1EPlS8_PS5_S9_mNS0_19identity_decomposerENS1_16block_id_wrapperIjLb1EEEEE10hipError_tT1_PNSt15iterator_traitsISE_E10value_typeET2_T3_PNSF_ISK_E10value_typeET4_T5_PSP_SQ_PNS1_23onesweep_lookback_stateEbbT6_jjT7_P12ihipStream_tbENKUlT_T0_SE_SJ_E_clIS8_S8_S9_S9_EEDaSX_SY_SE_SJ_EUlSX_E_NS1_11comp_targetILNS1_3genE6ELNS1_11target_archE950ELNS1_3gpuE13ELNS1_3repE0EEENS1_47radix_sort_onesweep_sort_config_static_selectorELNS0_4arch9wavefront6targetE1EEEvSE_
		.amdhsa_group_segment_fixed_size 0
		.amdhsa_private_segment_fixed_size 0
		.amdhsa_kernarg_size 88
		.amdhsa_user_sgpr_count 6
		.amdhsa_user_sgpr_private_segment_buffer 1
		.amdhsa_user_sgpr_dispatch_ptr 0
		.amdhsa_user_sgpr_queue_ptr 0
		.amdhsa_user_sgpr_kernarg_segment_ptr 1
		.amdhsa_user_sgpr_dispatch_id 0
		.amdhsa_user_sgpr_flat_scratch_init 0
		.amdhsa_user_sgpr_kernarg_preload_length 0
		.amdhsa_user_sgpr_kernarg_preload_offset 0
		.amdhsa_user_sgpr_private_segment_size 0
		.amdhsa_uses_dynamic_stack 0
		.amdhsa_system_sgpr_private_segment_wavefront_offset 0
		.amdhsa_system_sgpr_workgroup_id_x 1
		.amdhsa_system_sgpr_workgroup_id_y 0
		.amdhsa_system_sgpr_workgroup_id_z 0
		.amdhsa_system_sgpr_workgroup_info 0
		.amdhsa_system_vgpr_workitem_id 0
		.amdhsa_next_free_vgpr 1
		.amdhsa_next_free_sgpr 0
		.amdhsa_accum_offset 4
		.amdhsa_reserve_vcc 0
		.amdhsa_reserve_flat_scratch 0
		.amdhsa_float_round_mode_32 0
		.amdhsa_float_round_mode_16_64 0
		.amdhsa_float_denorm_mode_32 3
		.amdhsa_float_denorm_mode_16_64 3
		.amdhsa_dx10_clamp 1
		.amdhsa_ieee_mode 1
		.amdhsa_fp16_overflow 0
		.amdhsa_tg_split 0
		.amdhsa_exception_fp_ieee_invalid_op 0
		.amdhsa_exception_fp_denorm_src 0
		.amdhsa_exception_fp_ieee_div_zero 0
		.amdhsa_exception_fp_ieee_overflow 0
		.amdhsa_exception_fp_ieee_underflow 0
		.amdhsa_exception_fp_ieee_inexact 0
		.amdhsa_exception_int_div_zero 0
	.end_amdhsa_kernel
	.section	.text._ZN7rocprim17ROCPRIM_400000_NS6detail17trampoline_kernelINS0_14default_configENS1_35radix_sort_onesweep_config_selectorIlNS0_10empty_typeEEEZZNS1_29radix_sort_onesweep_iterationIS3_Lb1EPlS8_PS5_S9_mNS0_19identity_decomposerENS1_16block_id_wrapperIjLb1EEEEE10hipError_tT1_PNSt15iterator_traitsISE_E10value_typeET2_T3_PNSF_ISK_E10value_typeET4_T5_PSP_SQ_PNS1_23onesweep_lookback_stateEbbT6_jjT7_P12ihipStream_tbENKUlT_T0_SE_SJ_E_clIS8_S8_S9_S9_EEDaSX_SY_SE_SJ_EUlSX_E_NS1_11comp_targetILNS1_3genE6ELNS1_11target_archE950ELNS1_3gpuE13ELNS1_3repE0EEENS1_47radix_sort_onesweep_sort_config_static_selectorELNS0_4arch9wavefront6targetE1EEEvSE_,"axG",@progbits,_ZN7rocprim17ROCPRIM_400000_NS6detail17trampoline_kernelINS0_14default_configENS1_35radix_sort_onesweep_config_selectorIlNS0_10empty_typeEEEZZNS1_29radix_sort_onesweep_iterationIS3_Lb1EPlS8_PS5_S9_mNS0_19identity_decomposerENS1_16block_id_wrapperIjLb1EEEEE10hipError_tT1_PNSt15iterator_traitsISE_E10value_typeET2_T3_PNSF_ISK_E10value_typeET4_T5_PSP_SQ_PNS1_23onesweep_lookback_stateEbbT6_jjT7_P12ihipStream_tbENKUlT_T0_SE_SJ_E_clIS8_S8_S9_S9_EEDaSX_SY_SE_SJ_EUlSX_E_NS1_11comp_targetILNS1_3genE6ELNS1_11target_archE950ELNS1_3gpuE13ELNS1_3repE0EEENS1_47radix_sort_onesweep_sort_config_static_selectorELNS0_4arch9wavefront6targetE1EEEvSE_,comdat
.Lfunc_end2199:
	.size	_ZN7rocprim17ROCPRIM_400000_NS6detail17trampoline_kernelINS0_14default_configENS1_35radix_sort_onesweep_config_selectorIlNS0_10empty_typeEEEZZNS1_29radix_sort_onesweep_iterationIS3_Lb1EPlS8_PS5_S9_mNS0_19identity_decomposerENS1_16block_id_wrapperIjLb1EEEEE10hipError_tT1_PNSt15iterator_traitsISE_E10value_typeET2_T3_PNSF_ISK_E10value_typeET4_T5_PSP_SQ_PNS1_23onesweep_lookback_stateEbbT6_jjT7_P12ihipStream_tbENKUlT_T0_SE_SJ_E_clIS8_S8_S9_S9_EEDaSX_SY_SE_SJ_EUlSX_E_NS1_11comp_targetILNS1_3genE6ELNS1_11target_archE950ELNS1_3gpuE13ELNS1_3repE0EEENS1_47radix_sort_onesweep_sort_config_static_selectorELNS0_4arch9wavefront6targetE1EEEvSE_, .Lfunc_end2199-_ZN7rocprim17ROCPRIM_400000_NS6detail17trampoline_kernelINS0_14default_configENS1_35radix_sort_onesweep_config_selectorIlNS0_10empty_typeEEEZZNS1_29radix_sort_onesweep_iterationIS3_Lb1EPlS8_PS5_S9_mNS0_19identity_decomposerENS1_16block_id_wrapperIjLb1EEEEE10hipError_tT1_PNSt15iterator_traitsISE_E10value_typeET2_T3_PNSF_ISK_E10value_typeET4_T5_PSP_SQ_PNS1_23onesweep_lookback_stateEbbT6_jjT7_P12ihipStream_tbENKUlT_T0_SE_SJ_E_clIS8_S8_S9_S9_EEDaSX_SY_SE_SJ_EUlSX_E_NS1_11comp_targetILNS1_3genE6ELNS1_11target_archE950ELNS1_3gpuE13ELNS1_3repE0EEENS1_47radix_sort_onesweep_sort_config_static_selectorELNS0_4arch9wavefront6targetE1EEEvSE_
                                        ; -- End function
	.section	.AMDGPU.csdata,"",@progbits
; Kernel info:
; codeLenInByte = 0
; NumSgprs: 4
; NumVgprs: 0
; NumAgprs: 0
; TotalNumVgprs: 0
; ScratchSize: 0
; MemoryBound: 0
; FloatMode: 240
; IeeeMode: 1
; LDSByteSize: 0 bytes/workgroup (compile time only)
; SGPRBlocks: 0
; VGPRBlocks: 0
; NumSGPRsForWavesPerEU: 4
; NumVGPRsForWavesPerEU: 1
; AccumOffset: 4
; Occupancy: 8
; WaveLimiterHint : 0
; COMPUTE_PGM_RSRC2:SCRATCH_EN: 0
; COMPUTE_PGM_RSRC2:USER_SGPR: 6
; COMPUTE_PGM_RSRC2:TRAP_HANDLER: 0
; COMPUTE_PGM_RSRC2:TGID_X_EN: 1
; COMPUTE_PGM_RSRC2:TGID_Y_EN: 0
; COMPUTE_PGM_RSRC2:TGID_Z_EN: 0
; COMPUTE_PGM_RSRC2:TIDIG_COMP_CNT: 0
; COMPUTE_PGM_RSRC3_GFX90A:ACCUM_OFFSET: 0
; COMPUTE_PGM_RSRC3_GFX90A:TG_SPLIT: 0
	.section	.text._ZN7rocprim17ROCPRIM_400000_NS6detail17trampoline_kernelINS0_14default_configENS1_35radix_sort_onesweep_config_selectorIlNS0_10empty_typeEEEZZNS1_29radix_sort_onesweep_iterationIS3_Lb1EPlS8_PS5_S9_mNS0_19identity_decomposerENS1_16block_id_wrapperIjLb1EEEEE10hipError_tT1_PNSt15iterator_traitsISE_E10value_typeET2_T3_PNSF_ISK_E10value_typeET4_T5_PSP_SQ_PNS1_23onesweep_lookback_stateEbbT6_jjT7_P12ihipStream_tbENKUlT_T0_SE_SJ_E_clIS8_S8_S9_S9_EEDaSX_SY_SE_SJ_EUlSX_E_NS1_11comp_targetILNS1_3genE5ELNS1_11target_archE942ELNS1_3gpuE9ELNS1_3repE0EEENS1_47radix_sort_onesweep_sort_config_static_selectorELNS0_4arch9wavefront6targetE1EEEvSE_,"axG",@progbits,_ZN7rocprim17ROCPRIM_400000_NS6detail17trampoline_kernelINS0_14default_configENS1_35radix_sort_onesweep_config_selectorIlNS0_10empty_typeEEEZZNS1_29radix_sort_onesweep_iterationIS3_Lb1EPlS8_PS5_S9_mNS0_19identity_decomposerENS1_16block_id_wrapperIjLb1EEEEE10hipError_tT1_PNSt15iterator_traitsISE_E10value_typeET2_T3_PNSF_ISK_E10value_typeET4_T5_PSP_SQ_PNS1_23onesweep_lookback_stateEbbT6_jjT7_P12ihipStream_tbENKUlT_T0_SE_SJ_E_clIS8_S8_S9_S9_EEDaSX_SY_SE_SJ_EUlSX_E_NS1_11comp_targetILNS1_3genE5ELNS1_11target_archE942ELNS1_3gpuE9ELNS1_3repE0EEENS1_47radix_sort_onesweep_sort_config_static_selectorELNS0_4arch9wavefront6targetE1EEEvSE_,comdat
	.protected	_ZN7rocprim17ROCPRIM_400000_NS6detail17trampoline_kernelINS0_14default_configENS1_35radix_sort_onesweep_config_selectorIlNS0_10empty_typeEEEZZNS1_29radix_sort_onesweep_iterationIS3_Lb1EPlS8_PS5_S9_mNS0_19identity_decomposerENS1_16block_id_wrapperIjLb1EEEEE10hipError_tT1_PNSt15iterator_traitsISE_E10value_typeET2_T3_PNSF_ISK_E10value_typeET4_T5_PSP_SQ_PNS1_23onesweep_lookback_stateEbbT6_jjT7_P12ihipStream_tbENKUlT_T0_SE_SJ_E_clIS8_S8_S9_S9_EEDaSX_SY_SE_SJ_EUlSX_E_NS1_11comp_targetILNS1_3genE5ELNS1_11target_archE942ELNS1_3gpuE9ELNS1_3repE0EEENS1_47radix_sort_onesweep_sort_config_static_selectorELNS0_4arch9wavefront6targetE1EEEvSE_ ; -- Begin function _ZN7rocprim17ROCPRIM_400000_NS6detail17trampoline_kernelINS0_14default_configENS1_35radix_sort_onesweep_config_selectorIlNS0_10empty_typeEEEZZNS1_29radix_sort_onesweep_iterationIS3_Lb1EPlS8_PS5_S9_mNS0_19identity_decomposerENS1_16block_id_wrapperIjLb1EEEEE10hipError_tT1_PNSt15iterator_traitsISE_E10value_typeET2_T3_PNSF_ISK_E10value_typeET4_T5_PSP_SQ_PNS1_23onesweep_lookback_stateEbbT6_jjT7_P12ihipStream_tbENKUlT_T0_SE_SJ_E_clIS8_S8_S9_S9_EEDaSX_SY_SE_SJ_EUlSX_E_NS1_11comp_targetILNS1_3genE5ELNS1_11target_archE942ELNS1_3gpuE9ELNS1_3repE0EEENS1_47radix_sort_onesweep_sort_config_static_selectorELNS0_4arch9wavefront6targetE1EEEvSE_
	.globl	_ZN7rocprim17ROCPRIM_400000_NS6detail17trampoline_kernelINS0_14default_configENS1_35radix_sort_onesweep_config_selectorIlNS0_10empty_typeEEEZZNS1_29radix_sort_onesweep_iterationIS3_Lb1EPlS8_PS5_S9_mNS0_19identity_decomposerENS1_16block_id_wrapperIjLb1EEEEE10hipError_tT1_PNSt15iterator_traitsISE_E10value_typeET2_T3_PNSF_ISK_E10value_typeET4_T5_PSP_SQ_PNS1_23onesweep_lookback_stateEbbT6_jjT7_P12ihipStream_tbENKUlT_T0_SE_SJ_E_clIS8_S8_S9_S9_EEDaSX_SY_SE_SJ_EUlSX_E_NS1_11comp_targetILNS1_3genE5ELNS1_11target_archE942ELNS1_3gpuE9ELNS1_3repE0EEENS1_47radix_sort_onesweep_sort_config_static_selectorELNS0_4arch9wavefront6targetE1EEEvSE_
	.p2align	8
	.type	_ZN7rocprim17ROCPRIM_400000_NS6detail17trampoline_kernelINS0_14default_configENS1_35radix_sort_onesweep_config_selectorIlNS0_10empty_typeEEEZZNS1_29radix_sort_onesweep_iterationIS3_Lb1EPlS8_PS5_S9_mNS0_19identity_decomposerENS1_16block_id_wrapperIjLb1EEEEE10hipError_tT1_PNSt15iterator_traitsISE_E10value_typeET2_T3_PNSF_ISK_E10value_typeET4_T5_PSP_SQ_PNS1_23onesweep_lookback_stateEbbT6_jjT7_P12ihipStream_tbENKUlT_T0_SE_SJ_E_clIS8_S8_S9_S9_EEDaSX_SY_SE_SJ_EUlSX_E_NS1_11comp_targetILNS1_3genE5ELNS1_11target_archE942ELNS1_3gpuE9ELNS1_3repE0EEENS1_47radix_sort_onesweep_sort_config_static_selectorELNS0_4arch9wavefront6targetE1EEEvSE_,@function
_ZN7rocprim17ROCPRIM_400000_NS6detail17trampoline_kernelINS0_14default_configENS1_35radix_sort_onesweep_config_selectorIlNS0_10empty_typeEEEZZNS1_29radix_sort_onesweep_iterationIS3_Lb1EPlS8_PS5_S9_mNS0_19identity_decomposerENS1_16block_id_wrapperIjLb1EEEEE10hipError_tT1_PNSt15iterator_traitsISE_E10value_typeET2_T3_PNSF_ISK_E10value_typeET4_T5_PSP_SQ_PNS1_23onesweep_lookback_stateEbbT6_jjT7_P12ihipStream_tbENKUlT_T0_SE_SJ_E_clIS8_S8_S9_S9_EEDaSX_SY_SE_SJ_EUlSX_E_NS1_11comp_targetILNS1_3genE5ELNS1_11target_archE942ELNS1_3gpuE9ELNS1_3repE0EEENS1_47radix_sort_onesweep_sort_config_static_selectorELNS0_4arch9wavefront6targetE1EEEvSE_: ; @_ZN7rocprim17ROCPRIM_400000_NS6detail17trampoline_kernelINS0_14default_configENS1_35radix_sort_onesweep_config_selectorIlNS0_10empty_typeEEEZZNS1_29radix_sort_onesweep_iterationIS3_Lb1EPlS8_PS5_S9_mNS0_19identity_decomposerENS1_16block_id_wrapperIjLb1EEEEE10hipError_tT1_PNSt15iterator_traitsISE_E10value_typeET2_T3_PNSF_ISK_E10value_typeET4_T5_PSP_SQ_PNS1_23onesweep_lookback_stateEbbT6_jjT7_P12ihipStream_tbENKUlT_T0_SE_SJ_E_clIS8_S8_S9_S9_EEDaSX_SY_SE_SJ_EUlSX_E_NS1_11comp_targetILNS1_3genE5ELNS1_11target_archE942ELNS1_3gpuE9ELNS1_3repE0EEENS1_47radix_sort_onesweep_sort_config_static_selectorELNS0_4arch9wavefront6targetE1EEEvSE_
; %bb.0:
	.section	.rodata,"a",@progbits
	.p2align	6, 0x0
	.amdhsa_kernel _ZN7rocprim17ROCPRIM_400000_NS6detail17trampoline_kernelINS0_14default_configENS1_35radix_sort_onesweep_config_selectorIlNS0_10empty_typeEEEZZNS1_29radix_sort_onesweep_iterationIS3_Lb1EPlS8_PS5_S9_mNS0_19identity_decomposerENS1_16block_id_wrapperIjLb1EEEEE10hipError_tT1_PNSt15iterator_traitsISE_E10value_typeET2_T3_PNSF_ISK_E10value_typeET4_T5_PSP_SQ_PNS1_23onesweep_lookback_stateEbbT6_jjT7_P12ihipStream_tbENKUlT_T0_SE_SJ_E_clIS8_S8_S9_S9_EEDaSX_SY_SE_SJ_EUlSX_E_NS1_11comp_targetILNS1_3genE5ELNS1_11target_archE942ELNS1_3gpuE9ELNS1_3repE0EEENS1_47radix_sort_onesweep_sort_config_static_selectorELNS0_4arch9wavefront6targetE1EEEvSE_
		.amdhsa_group_segment_fixed_size 0
		.amdhsa_private_segment_fixed_size 0
		.amdhsa_kernarg_size 88
		.amdhsa_user_sgpr_count 6
		.amdhsa_user_sgpr_private_segment_buffer 1
		.amdhsa_user_sgpr_dispatch_ptr 0
		.amdhsa_user_sgpr_queue_ptr 0
		.amdhsa_user_sgpr_kernarg_segment_ptr 1
		.amdhsa_user_sgpr_dispatch_id 0
		.amdhsa_user_sgpr_flat_scratch_init 0
		.amdhsa_user_sgpr_kernarg_preload_length 0
		.amdhsa_user_sgpr_kernarg_preload_offset 0
		.amdhsa_user_sgpr_private_segment_size 0
		.amdhsa_uses_dynamic_stack 0
		.amdhsa_system_sgpr_private_segment_wavefront_offset 0
		.amdhsa_system_sgpr_workgroup_id_x 1
		.amdhsa_system_sgpr_workgroup_id_y 0
		.amdhsa_system_sgpr_workgroup_id_z 0
		.amdhsa_system_sgpr_workgroup_info 0
		.amdhsa_system_vgpr_workitem_id 0
		.amdhsa_next_free_vgpr 1
		.amdhsa_next_free_sgpr 0
		.amdhsa_accum_offset 4
		.amdhsa_reserve_vcc 0
		.amdhsa_reserve_flat_scratch 0
		.amdhsa_float_round_mode_32 0
		.amdhsa_float_round_mode_16_64 0
		.amdhsa_float_denorm_mode_32 3
		.amdhsa_float_denorm_mode_16_64 3
		.amdhsa_dx10_clamp 1
		.amdhsa_ieee_mode 1
		.amdhsa_fp16_overflow 0
		.amdhsa_tg_split 0
		.amdhsa_exception_fp_ieee_invalid_op 0
		.amdhsa_exception_fp_denorm_src 0
		.amdhsa_exception_fp_ieee_div_zero 0
		.amdhsa_exception_fp_ieee_overflow 0
		.amdhsa_exception_fp_ieee_underflow 0
		.amdhsa_exception_fp_ieee_inexact 0
		.amdhsa_exception_int_div_zero 0
	.end_amdhsa_kernel
	.section	.text._ZN7rocprim17ROCPRIM_400000_NS6detail17trampoline_kernelINS0_14default_configENS1_35radix_sort_onesweep_config_selectorIlNS0_10empty_typeEEEZZNS1_29radix_sort_onesweep_iterationIS3_Lb1EPlS8_PS5_S9_mNS0_19identity_decomposerENS1_16block_id_wrapperIjLb1EEEEE10hipError_tT1_PNSt15iterator_traitsISE_E10value_typeET2_T3_PNSF_ISK_E10value_typeET4_T5_PSP_SQ_PNS1_23onesweep_lookback_stateEbbT6_jjT7_P12ihipStream_tbENKUlT_T0_SE_SJ_E_clIS8_S8_S9_S9_EEDaSX_SY_SE_SJ_EUlSX_E_NS1_11comp_targetILNS1_3genE5ELNS1_11target_archE942ELNS1_3gpuE9ELNS1_3repE0EEENS1_47radix_sort_onesweep_sort_config_static_selectorELNS0_4arch9wavefront6targetE1EEEvSE_,"axG",@progbits,_ZN7rocprim17ROCPRIM_400000_NS6detail17trampoline_kernelINS0_14default_configENS1_35radix_sort_onesweep_config_selectorIlNS0_10empty_typeEEEZZNS1_29radix_sort_onesweep_iterationIS3_Lb1EPlS8_PS5_S9_mNS0_19identity_decomposerENS1_16block_id_wrapperIjLb1EEEEE10hipError_tT1_PNSt15iterator_traitsISE_E10value_typeET2_T3_PNSF_ISK_E10value_typeET4_T5_PSP_SQ_PNS1_23onesweep_lookback_stateEbbT6_jjT7_P12ihipStream_tbENKUlT_T0_SE_SJ_E_clIS8_S8_S9_S9_EEDaSX_SY_SE_SJ_EUlSX_E_NS1_11comp_targetILNS1_3genE5ELNS1_11target_archE942ELNS1_3gpuE9ELNS1_3repE0EEENS1_47radix_sort_onesweep_sort_config_static_selectorELNS0_4arch9wavefront6targetE1EEEvSE_,comdat
.Lfunc_end2200:
	.size	_ZN7rocprim17ROCPRIM_400000_NS6detail17trampoline_kernelINS0_14default_configENS1_35radix_sort_onesweep_config_selectorIlNS0_10empty_typeEEEZZNS1_29radix_sort_onesweep_iterationIS3_Lb1EPlS8_PS5_S9_mNS0_19identity_decomposerENS1_16block_id_wrapperIjLb1EEEEE10hipError_tT1_PNSt15iterator_traitsISE_E10value_typeET2_T3_PNSF_ISK_E10value_typeET4_T5_PSP_SQ_PNS1_23onesweep_lookback_stateEbbT6_jjT7_P12ihipStream_tbENKUlT_T0_SE_SJ_E_clIS8_S8_S9_S9_EEDaSX_SY_SE_SJ_EUlSX_E_NS1_11comp_targetILNS1_3genE5ELNS1_11target_archE942ELNS1_3gpuE9ELNS1_3repE0EEENS1_47radix_sort_onesweep_sort_config_static_selectorELNS0_4arch9wavefront6targetE1EEEvSE_, .Lfunc_end2200-_ZN7rocprim17ROCPRIM_400000_NS6detail17trampoline_kernelINS0_14default_configENS1_35radix_sort_onesweep_config_selectorIlNS0_10empty_typeEEEZZNS1_29radix_sort_onesweep_iterationIS3_Lb1EPlS8_PS5_S9_mNS0_19identity_decomposerENS1_16block_id_wrapperIjLb1EEEEE10hipError_tT1_PNSt15iterator_traitsISE_E10value_typeET2_T3_PNSF_ISK_E10value_typeET4_T5_PSP_SQ_PNS1_23onesweep_lookback_stateEbbT6_jjT7_P12ihipStream_tbENKUlT_T0_SE_SJ_E_clIS8_S8_S9_S9_EEDaSX_SY_SE_SJ_EUlSX_E_NS1_11comp_targetILNS1_3genE5ELNS1_11target_archE942ELNS1_3gpuE9ELNS1_3repE0EEENS1_47radix_sort_onesweep_sort_config_static_selectorELNS0_4arch9wavefront6targetE1EEEvSE_
                                        ; -- End function
	.section	.AMDGPU.csdata,"",@progbits
; Kernel info:
; codeLenInByte = 0
; NumSgprs: 4
; NumVgprs: 0
; NumAgprs: 0
; TotalNumVgprs: 0
; ScratchSize: 0
; MemoryBound: 0
; FloatMode: 240
; IeeeMode: 1
; LDSByteSize: 0 bytes/workgroup (compile time only)
; SGPRBlocks: 0
; VGPRBlocks: 0
; NumSGPRsForWavesPerEU: 4
; NumVGPRsForWavesPerEU: 1
; AccumOffset: 4
; Occupancy: 8
; WaveLimiterHint : 0
; COMPUTE_PGM_RSRC2:SCRATCH_EN: 0
; COMPUTE_PGM_RSRC2:USER_SGPR: 6
; COMPUTE_PGM_RSRC2:TRAP_HANDLER: 0
; COMPUTE_PGM_RSRC2:TGID_X_EN: 1
; COMPUTE_PGM_RSRC2:TGID_Y_EN: 0
; COMPUTE_PGM_RSRC2:TGID_Z_EN: 0
; COMPUTE_PGM_RSRC2:TIDIG_COMP_CNT: 0
; COMPUTE_PGM_RSRC3_GFX90A:ACCUM_OFFSET: 0
; COMPUTE_PGM_RSRC3_GFX90A:TG_SPLIT: 0
	.section	.text._ZN7rocprim17ROCPRIM_400000_NS6detail17trampoline_kernelINS0_14default_configENS1_35radix_sort_onesweep_config_selectorIlNS0_10empty_typeEEEZZNS1_29radix_sort_onesweep_iterationIS3_Lb1EPlS8_PS5_S9_mNS0_19identity_decomposerENS1_16block_id_wrapperIjLb1EEEEE10hipError_tT1_PNSt15iterator_traitsISE_E10value_typeET2_T3_PNSF_ISK_E10value_typeET4_T5_PSP_SQ_PNS1_23onesweep_lookback_stateEbbT6_jjT7_P12ihipStream_tbENKUlT_T0_SE_SJ_E_clIS8_S8_S9_S9_EEDaSX_SY_SE_SJ_EUlSX_E_NS1_11comp_targetILNS1_3genE2ELNS1_11target_archE906ELNS1_3gpuE6ELNS1_3repE0EEENS1_47radix_sort_onesweep_sort_config_static_selectorELNS0_4arch9wavefront6targetE1EEEvSE_,"axG",@progbits,_ZN7rocprim17ROCPRIM_400000_NS6detail17trampoline_kernelINS0_14default_configENS1_35radix_sort_onesweep_config_selectorIlNS0_10empty_typeEEEZZNS1_29radix_sort_onesweep_iterationIS3_Lb1EPlS8_PS5_S9_mNS0_19identity_decomposerENS1_16block_id_wrapperIjLb1EEEEE10hipError_tT1_PNSt15iterator_traitsISE_E10value_typeET2_T3_PNSF_ISK_E10value_typeET4_T5_PSP_SQ_PNS1_23onesweep_lookback_stateEbbT6_jjT7_P12ihipStream_tbENKUlT_T0_SE_SJ_E_clIS8_S8_S9_S9_EEDaSX_SY_SE_SJ_EUlSX_E_NS1_11comp_targetILNS1_3genE2ELNS1_11target_archE906ELNS1_3gpuE6ELNS1_3repE0EEENS1_47radix_sort_onesweep_sort_config_static_selectorELNS0_4arch9wavefront6targetE1EEEvSE_,comdat
	.protected	_ZN7rocprim17ROCPRIM_400000_NS6detail17trampoline_kernelINS0_14default_configENS1_35radix_sort_onesweep_config_selectorIlNS0_10empty_typeEEEZZNS1_29radix_sort_onesweep_iterationIS3_Lb1EPlS8_PS5_S9_mNS0_19identity_decomposerENS1_16block_id_wrapperIjLb1EEEEE10hipError_tT1_PNSt15iterator_traitsISE_E10value_typeET2_T3_PNSF_ISK_E10value_typeET4_T5_PSP_SQ_PNS1_23onesweep_lookback_stateEbbT6_jjT7_P12ihipStream_tbENKUlT_T0_SE_SJ_E_clIS8_S8_S9_S9_EEDaSX_SY_SE_SJ_EUlSX_E_NS1_11comp_targetILNS1_3genE2ELNS1_11target_archE906ELNS1_3gpuE6ELNS1_3repE0EEENS1_47radix_sort_onesweep_sort_config_static_selectorELNS0_4arch9wavefront6targetE1EEEvSE_ ; -- Begin function _ZN7rocprim17ROCPRIM_400000_NS6detail17trampoline_kernelINS0_14default_configENS1_35radix_sort_onesweep_config_selectorIlNS0_10empty_typeEEEZZNS1_29radix_sort_onesweep_iterationIS3_Lb1EPlS8_PS5_S9_mNS0_19identity_decomposerENS1_16block_id_wrapperIjLb1EEEEE10hipError_tT1_PNSt15iterator_traitsISE_E10value_typeET2_T3_PNSF_ISK_E10value_typeET4_T5_PSP_SQ_PNS1_23onesweep_lookback_stateEbbT6_jjT7_P12ihipStream_tbENKUlT_T0_SE_SJ_E_clIS8_S8_S9_S9_EEDaSX_SY_SE_SJ_EUlSX_E_NS1_11comp_targetILNS1_3genE2ELNS1_11target_archE906ELNS1_3gpuE6ELNS1_3repE0EEENS1_47radix_sort_onesweep_sort_config_static_selectorELNS0_4arch9wavefront6targetE1EEEvSE_
	.globl	_ZN7rocprim17ROCPRIM_400000_NS6detail17trampoline_kernelINS0_14default_configENS1_35radix_sort_onesweep_config_selectorIlNS0_10empty_typeEEEZZNS1_29radix_sort_onesweep_iterationIS3_Lb1EPlS8_PS5_S9_mNS0_19identity_decomposerENS1_16block_id_wrapperIjLb1EEEEE10hipError_tT1_PNSt15iterator_traitsISE_E10value_typeET2_T3_PNSF_ISK_E10value_typeET4_T5_PSP_SQ_PNS1_23onesweep_lookback_stateEbbT6_jjT7_P12ihipStream_tbENKUlT_T0_SE_SJ_E_clIS8_S8_S9_S9_EEDaSX_SY_SE_SJ_EUlSX_E_NS1_11comp_targetILNS1_3genE2ELNS1_11target_archE906ELNS1_3gpuE6ELNS1_3repE0EEENS1_47radix_sort_onesweep_sort_config_static_selectorELNS0_4arch9wavefront6targetE1EEEvSE_
	.p2align	8
	.type	_ZN7rocprim17ROCPRIM_400000_NS6detail17trampoline_kernelINS0_14default_configENS1_35radix_sort_onesweep_config_selectorIlNS0_10empty_typeEEEZZNS1_29radix_sort_onesweep_iterationIS3_Lb1EPlS8_PS5_S9_mNS0_19identity_decomposerENS1_16block_id_wrapperIjLb1EEEEE10hipError_tT1_PNSt15iterator_traitsISE_E10value_typeET2_T3_PNSF_ISK_E10value_typeET4_T5_PSP_SQ_PNS1_23onesweep_lookback_stateEbbT6_jjT7_P12ihipStream_tbENKUlT_T0_SE_SJ_E_clIS8_S8_S9_S9_EEDaSX_SY_SE_SJ_EUlSX_E_NS1_11comp_targetILNS1_3genE2ELNS1_11target_archE906ELNS1_3gpuE6ELNS1_3repE0EEENS1_47radix_sort_onesweep_sort_config_static_selectorELNS0_4arch9wavefront6targetE1EEEvSE_,@function
_ZN7rocprim17ROCPRIM_400000_NS6detail17trampoline_kernelINS0_14default_configENS1_35radix_sort_onesweep_config_selectorIlNS0_10empty_typeEEEZZNS1_29radix_sort_onesweep_iterationIS3_Lb1EPlS8_PS5_S9_mNS0_19identity_decomposerENS1_16block_id_wrapperIjLb1EEEEE10hipError_tT1_PNSt15iterator_traitsISE_E10value_typeET2_T3_PNSF_ISK_E10value_typeET4_T5_PSP_SQ_PNS1_23onesweep_lookback_stateEbbT6_jjT7_P12ihipStream_tbENKUlT_T0_SE_SJ_E_clIS8_S8_S9_S9_EEDaSX_SY_SE_SJ_EUlSX_E_NS1_11comp_targetILNS1_3genE2ELNS1_11target_archE906ELNS1_3gpuE6ELNS1_3repE0EEENS1_47radix_sort_onesweep_sort_config_static_selectorELNS0_4arch9wavefront6targetE1EEEvSE_: ; @_ZN7rocprim17ROCPRIM_400000_NS6detail17trampoline_kernelINS0_14default_configENS1_35radix_sort_onesweep_config_selectorIlNS0_10empty_typeEEEZZNS1_29radix_sort_onesweep_iterationIS3_Lb1EPlS8_PS5_S9_mNS0_19identity_decomposerENS1_16block_id_wrapperIjLb1EEEEE10hipError_tT1_PNSt15iterator_traitsISE_E10value_typeET2_T3_PNSF_ISK_E10value_typeET4_T5_PSP_SQ_PNS1_23onesweep_lookback_stateEbbT6_jjT7_P12ihipStream_tbENKUlT_T0_SE_SJ_E_clIS8_S8_S9_S9_EEDaSX_SY_SE_SJ_EUlSX_E_NS1_11comp_targetILNS1_3genE2ELNS1_11target_archE906ELNS1_3gpuE6ELNS1_3repE0EEENS1_47radix_sort_onesweep_sort_config_static_selectorELNS0_4arch9wavefront6targetE1EEEvSE_
; %bb.0:
	.section	.rodata,"a",@progbits
	.p2align	6, 0x0
	.amdhsa_kernel _ZN7rocprim17ROCPRIM_400000_NS6detail17trampoline_kernelINS0_14default_configENS1_35radix_sort_onesweep_config_selectorIlNS0_10empty_typeEEEZZNS1_29radix_sort_onesweep_iterationIS3_Lb1EPlS8_PS5_S9_mNS0_19identity_decomposerENS1_16block_id_wrapperIjLb1EEEEE10hipError_tT1_PNSt15iterator_traitsISE_E10value_typeET2_T3_PNSF_ISK_E10value_typeET4_T5_PSP_SQ_PNS1_23onesweep_lookback_stateEbbT6_jjT7_P12ihipStream_tbENKUlT_T0_SE_SJ_E_clIS8_S8_S9_S9_EEDaSX_SY_SE_SJ_EUlSX_E_NS1_11comp_targetILNS1_3genE2ELNS1_11target_archE906ELNS1_3gpuE6ELNS1_3repE0EEENS1_47radix_sort_onesweep_sort_config_static_selectorELNS0_4arch9wavefront6targetE1EEEvSE_
		.amdhsa_group_segment_fixed_size 0
		.amdhsa_private_segment_fixed_size 0
		.amdhsa_kernarg_size 88
		.amdhsa_user_sgpr_count 6
		.amdhsa_user_sgpr_private_segment_buffer 1
		.amdhsa_user_sgpr_dispatch_ptr 0
		.amdhsa_user_sgpr_queue_ptr 0
		.amdhsa_user_sgpr_kernarg_segment_ptr 1
		.amdhsa_user_sgpr_dispatch_id 0
		.amdhsa_user_sgpr_flat_scratch_init 0
		.amdhsa_user_sgpr_kernarg_preload_length 0
		.amdhsa_user_sgpr_kernarg_preload_offset 0
		.amdhsa_user_sgpr_private_segment_size 0
		.amdhsa_uses_dynamic_stack 0
		.amdhsa_system_sgpr_private_segment_wavefront_offset 0
		.amdhsa_system_sgpr_workgroup_id_x 1
		.amdhsa_system_sgpr_workgroup_id_y 0
		.amdhsa_system_sgpr_workgroup_id_z 0
		.amdhsa_system_sgpr_workgroup_info 0
		.amdhsa_system_vgpr_workitem_id 0
		.amdhsa_next_free_vgpr 1
		.amdhsa_next_free_sgpr 0
		.amdhsa_accum_offset 4
		.amdhsa_reserve_vcc 0
		.amdhsa_reserve_flat_scratch 0
		.amdhsa_float_round_mode_32 0
		.amdhsa_float_round_mode_16_64 0
		.amdhsa_float_denorm_mode_32 3
		.amdhsa_float_denorm_mode_16_64 3
		.amdhsa_dx10_clamp 1
		.amdhsa_ieee_mode 1
		.amdhsa_fp16_overflow 0
		.amdhsa_tg_split 0
		.amdhsa_exception_fp_ieee_invalid_op 0
		.amdhsa_exception_fp_denorm_src 0
		.amdhsa_exception_fp_ieee_div_zero 0
		.amdhsa_exception_fp_ieee_overflow 0
		.amdhsa_exception_fp_ieee_underflow 0
		.amdhsa_exception_fp_ieee_inexact 0
		.amdhsa_exception_int_div_zero 0
	.end_amdhsa_kernel
	.section	.text._ZN7rocprim17ROCPRIM_400000_NS6detail17trampoline_kernelINS0_14default_configENS1_35radix_sort_onesweep_config_selectorIlNS0_10empty_typeEEEZZNS1_29radix_sort_onesweep_iterationIS3_Lb1EPlS8_PS5_S9_mNS0_19identity_decomposerENS1_16block_id_wrapperIjLb1EEEEE10hipError_tT1_PNSt15iterator_traitsISE_E10value_typeET2_T3_PNSF_ISK_E10value_typeET4_T5_PSP_SQ_PNS1_23onesweep_lookback_stateEbbT6_jjT7_P12ihipStream_tbENKUlT_T0_SE_SJ_E_clIS8_S8_S9_S9_EEDaSX_SY_SE_SJ_EUlSX_E_NS1_11comp_targetILNS1_3genE2ELNS1_11target_archE906ELNS1_3gpuE6ELNS1_3repE0EEENS1_47radix_sort_onesweep_sort_config_static_selectorELNS0_4arch9wavefront6targetE1EEEvSE_,"axG",@progbits,_ZN7rocprim17ROCPRIM_400000_NS6detail17trampoline_kernelINS0_14default_configENS1_35radix_sort_onesweep_config_selectorIlNS0_10empty_typeEEEZZNS1_29radix_sort_onesweep_iterationIS3_Lb1EPlS8_PS5_S9_mNS0_19identity_decomposerENS1_16block_id_wrapperIjLb1EEEEE10hipError_tT1_PNSt15iterator_traitsISE_E10value_typeET2_T3_PNSF_ISK_E10value_typeET4_T5_PSP_SQ_PNS1_23onesweep_lookback_stateEbbT6_jjT7_P12ihipStream_tbENKUlT_T0_SE_SJ_E_clIS8_S8_S9_S9_EEDaSX_SY_SE_SJ_EUlSX_E_NS1_11comp_targetILNS1_3genE2ELNS1_11target_archE906ELNS1_3gpuE6ELNS1_3repE0EEENS1_47radix_sort_onesweep_sort_config_static_selectorELNS0_4arch9wavefront6targetE1EEEvSE_,comdat
.Lfunc_end2201:
	.size	_ZN7rocprim17ROCPRIM_400000_NS6detail17trampoline_kernelINS0_14default_configENS1_35radix_sort_onesweep_config_selectorIlNS0_10empty_typeEEEZZNS1_29radix_sort_onesweep_iterationIS3_Lb1EPlS8_PS5_S9_mNS0_19identity_decomposerENS1_16block_id_wrapperIjLb1EEEEE10hipError_tT1_PNSt15iterator_traitsISE_E10value_typeET2_T3_PNSF_ISK_E10value_typeET4_T5_PSP_SQ_PNS1_23onesweep_lookback_stateEbbT6_jjT7_P12ihipStream_tbENKUlT_T0_SE_SJ_E_clIS8_S8_S9_S9_EEDaSX_SY_SE_SJ_EUlSX_E_NS1_11comp_targetILNS1_3genE2ELNS1_11target_archE906ELNS1_3gpuE6ELNS1_3repE0EEENS1_47radix_sort_onesweep_sort_config_static_selectorELNS0_4arch9wavefront6targetE1EEEvSE_, .Lfunc_end2201-_ZN7rocprim17ROCPRIM_400000_NS6detail17trampoline_kernelINS0_14default_configENS1_35radix_sort_onesweep_config_selectorIlNS0_10empty_typeEEEZZNS1_29radix_sort_onesweep_iterationIS3_Lb1EPlS8_PS5_S9_mNS0_19identity_decomposerENS1_16block_id_wrapperIjLb1EEEEE10hipError_tT1_PNSt15iterator_traitsISE_E10value_typeET2_T3_PNSF_ISK_E10value_typeET4_T5_PSP_SQ_PNS1_23onesweep_lookback_stateEbbT6_jjT7_P12ihipStream_tbENKUlT_T0_SE_SJ_E_clIS8_S8_S9_S9_EEDaSX_SY_SE_SJ_EUlSX_E_NS1_11comp_targetILNS1_3genE2ELNS1_11target_archE906ELNS1_3gpuE6ELNS1_3repE0EEENS1_47radix_sort_onesweep_sort_config_static_selectorELNS0_4arch9wavefront6targetE1EEEvSE_
                                        ; -- End function
	.section	.AMDGPU.csdata,"",@progbits
; Kernel info:
; codeLenInByte = 0
; NumSgprs: 4
; NumVgprs: 0
; NumAgprs: 0
; TotalNumVgprs: 0
; ScratchSize: 0
; MemoryBound: 0
; FloatMode: 240
; IeeeMode: 1
; LDSByteSize: 0 bytes/workgroup (compile time only)
; SGPRBlocks: 0
; VGPRBlocks: 0
; NumSGPRsForWavesPerEU: 4
; NumVGPRsForWavesPerEU: 1
; AccumOffset: 4
; Occupancy: 8
; WaveLimiterHint : 0
; COMPUTE_PGM_RSRC2:SCRATCH_EN: 0
; COMPUTE_PGM_RSRC2:USER_SGPR: 6
; COMPUTE_PGM_RSRC2:TRAP_HANDLER: 0
; COMPUTE_PGM_RSRC2:TGID_X_EN: 1
; COMPUTE_PGM_RSRC2:TGID_Y_EN: 0
; COMPUTE_PGM_RSRC2:TGID_Z_EN: 0
; COMPUTE_PGM_RSRC2:TIDIG_COMP_CNT: 0
; COMPUTE_PGM_RSRC3_GFX90A:ACCUM_OFFSET: 0
; COMPUTE_PGM_RSRC3_GFX90A:TG_SPLIT: 0
	.section	.text._ZN7rocprim17ROCPRIM_400000_NS6detail17trampoline_kernelINS0_14default_configENS1_35radix_sort_onesweep_config_selectorIlNS0_10empty_typeEEEZZNS1_29radix_sort_onesweep_iterationIS3_Lb1EPlS8_PS5_S9_mNS0_19identity_decomposerENS1_16block_id_wrapperIjLb1EEEEE10hipError_tT1_PNSt15iterator_traitsISE_E10value_typeET2_T3_PNSF_ISK_E10value_typeET4_T5_PSP_SQ_PNS1_23onesweep_lookback_stateEbbT6_jjT7_P12ihipStream_tbENKUlT_T0_SE_SJ_E_clIS8_S8_S9_S9_EEDaSX_SY_SE_SJ_EUlSX_E_NS1_11comp_targetILNS1_3genE4ELNS1_11target_archE910ELNS1_3gpuE8ELNS1_3repE0EEENS1_47radix_sort_onesweep_sort_config_static_selectorELNS0_4arch9wavefront6targetE1EEEvSE_,"axG",@progbits,_ZN7rocprim17ROCPRIM_400000_NS6detail17trampoline_kernelINS0_14default_configENS1_35radix_sort_onesweep_config_selectorIlNS0_10empty_typeEEEZZNS1_29radix_sort_onesweep_iterationIS3_Lb1EPlS8_PS5_S9_mNS0_19identity_decomposerENS1_16block_id_wrapperIjLb1EEEEE10hipError_tT1_PNSt15iterator_traitsISE_E10value_typeET2_T3_PNSF_ISK_E10value_typeET4_T5_PSP_SQ_PNS1_23onesweep_lookback_stateEbbT6_jjT7_P12ihipStream_tbENKUlT_T0_SE_SJ_E_clIS8_S8_S9_S9_EEDaSX_SY_SE_SJ_EUlSX_E_NS1_11comp_targetILNS1_3genE4ELNS1_11target_archE910ELNS1_3gpuE8ELNS1_3repE0EEENS1_47radix_sort_onesweep_sort_config_static_selectorELNS0_4arch9wavefront6targetE1EEEvSE_,comdat
	.protected	_ZN7rocprim17ROCPRIM_400000_NS6detail17trampoline_kernelINS0_14default_configENS1_35radix_sort_onesweep_config_selectorIlNS0_10empty_typeEEEZZNS1_29radix_sort_onesweep_iterationIS3_Lb1EPlS8_PS5_S9_mNS0_19identity_decomposerENS1_16block_id_wrapperIjLb1EEEEE10hipError_tT1_PNSt15iterator_traitsISE_E10value_typeET2_T3_PNSF_ISK_E10value_typeET4_T5_PSP_SQ_PNS1_23onesweep_lookback_stateEbbT6_jjT7_P12ihipStream_tbENKUlT_T0_SE_SJ_E_clIS8_S8_S9_S9_EEDaSX_SY_SE_SJ_EUlSX_E_NS1_11comp_targetILNS1_3genE4ELNS1_11target_archE910ELNS1_3gpuE8ELNS1_3repE0EEENS1_47radix_sort_onesweep_sort_config_static_selectorELNS0_4arch9wavefront6targetE1EEEvSE_ ; -- Begin function _ZN7rocprim17ROCPRIM_400000_NS6detail17trampoline_kernelINS0_14default_configENS1_35radix_sort_onesweep_config_selectorIlNS0_10empty_typeEEEZZNS1_29radix_sort_onesweep_iterationIS3_Lb1EPlS8_PS5_S9_mNS0_19identity_decomposerENS1_16block_id_wrapperIjLb1EEEEE10hipError_tT1_PNSt15iterator_traitsISE_E10value_typeET2_T3_PNSF_ISK_E10value_typeET4_T5_PSP_SQ_PNS1_23onesweep_lookback_stateEbbT6_jjT7_P12ihipStream_tbENKUlT_T0_SE_SJ_E_clIS8_S8_S9_S9_EEDaSX_SY_SE_SJ_EUlSX_E_NS1_11comp_targetILNS1_3genE4ELNS1_11target_archE910ELNS1_3gpuE8ELNS1_3repE0EEENS1_47radix_sort_onesweep_sort_config_static_selectorELNS0_4arch9wavefront6targetE1EEEvSE_
	.globl	_ZN7rocprim17ROCPRIM_400000_NS6detail17trampoline_kernelINS0_14default_configENS1_35radix_sort_onesweep_config_selectorIlNS0_10empty_typeEEEZZNS1_29radix_sort_onesweep_iterationIS3_Lb1EPlS8_PS5_S9_mNS0_19identity_decomposerENS1_16block_id_wrapperIjLb1EEEEE10hipError_tT1_PNSt15iterator_traitsISE_E10value_typeET2_T3_PNSF_ISK_E10value_typeET4_T5_PSP_SQ_PNS1_23onesweep_lookback_stateEbbT6_jjT7_P12ihipStream_tbENKUlT_T0_SE_SJ_E_clIS8_S8_S9_S9_EEDaSX_SY_SE_SJ_EUlSX_E_NS1_11comp_targetILNS1_3genE4ELNS1_11target_archE910ELNS1_3gpuE8ELNS1_3repE0EEENS1_47radix_sort_onesweep_sort_config_static_selectorELNS0_4arch9wavefront6targetE1EEEvSE_
	.p2align	8
	.type	_ZN7rocprim17ROCPRIM_400000_NS6detail17trampoline_kernelINS0_14default_configENS1_35radix_sort_onesweep_config_selectorIlNS0_10empty_typeEEEZZNS1_29radix_sort_onesweep_iterationIS3_Lb1EPlS8_PS5_S9_mNS0_19identity_decomposerENS1_16block_id_wrapperIjLb1EEEEE10hipError_tT1_PNSt15iterator_traitsISE_E10value_typeET2_T3_PNSF_ISK_E10value_typeET4_T5_PSP_SQ_PNS1_23onesweep_lookback_stateEbbT6_jjT7_P12ihipStream_tbENKUlT_T0_SE_SJ_E_clIS8_S8_S9_S9_EEDaSX_SY_SE_SJ_EUlSX_E_NS1_11comp_targetILNS1_3genE4ELNS1_11target_archE910ELNS1_3gpuE8ELNS1_3repE0EEENS1_47radix_sort_onesweep_sort_config_static_selectorELNS0_4arch9wavefront6targetE1EEEvSE_,@function
_ZN7rocprim17ROCPRIM_400000_NS6detail17trampoline_kernelINS0_14default_configENS1_35radix_sort_onesweep_config_selectorIlNS0_10empty_typeEEEZZNS1_29radix_sort_onesweep_iterationIS3_Lb1EPlS8_PS5_S9_mNS0_19identity_decomposerENS1_16block_id_wrapperIjLb1EEEEE10hipError_tT1_PNSt15iterator_traitsISE_E10value_typeET2_T3_PNSF_ISK_E10value_typeET4_T5_PSP_SQ_PNS1_23onesweep_lookback_stateEbbT6_jjT7_P12ihipStream_tbENKUlT_T0_SE_SJ_E_clIS8_S8_S9_S9_EEDaSX_SY_SE_SJ_EUlSX_E_NS1_11comp_targetILNS1_3genE4ELNS1_11target_archE910ELNS1_3gpuE8ELNS1_3repE0EEENS1_47radix_sort_onesweep_sort_config_static_selectorELNS0_4arch9wavefront6targetE1EEEvSE_: ; @_ZN7rocprim17ROCPRIM_400000_NS6detail17trampoline_kernelINS0_14default_configENS1_35radix_sort_onesweep_config_selectorIlNS0_10empty_typeEEEZZNS1_29radix_sort_onesweep_iterationIS3_Lb1EPlS8_PS5_S9_mNS0_19identity_decomposerENS1_16block_id_wrapperIjLb1EEEEE10hipError_tT1_PNSt15iterator_traitsISE_E10value_typeET2_T3_PNSF_ISK_E10value_typeET4_T5_PSP_SQ_PNS1_23onesweep_lookback_stateEbbT6_jjT7_P12ihipStream_tbENKUlT_T0_SE_SJ_E_clIS8_S8_S9_S9_EEDaSX_SY_SE_SJ_EUlSX_E_NS1_11comp_targetILNS1_3genE4ELNS1_11target_archE910ELNS1_3gpuE8ELNS1_3repE0EEENS1_47radix_sort_onesweep_sort_config_static_selectorELNS0_4arch9wavefront6targetE1EEEvSE_
; %bb.0:
	s_load_dwordx4 s[16:19], s[4:5], 0x28
	s_load_dwordx2 s[14:15], s[4:5], 0x38
	s_load_dwordx4 s[20:23], s[4:5], 0x44
	v_and_b32_e32 v2, 0x3ff, v0
	v_cmp_eq_u32_e64 s[0:1], 0, v2
	s_and_saveexec_b64 s[2:3], s[0:1]
	s_cbranch_execz .LBB2202_4
; %bb.1:
	s_mov_b64 s[10:11], exec
	v_mbcnt_lo_u32_b32 v1, s10, 0
	v_mbcnt_hi_u32_b32 v1, s11, v1
	v_cmp_eq_u32_e32 vcc, 0, v1
                                        ; implicit-def: $vgpr3
	s_and_saveexec_b64 s[8:9], vcc
	s_cbranch_execz .LBB2202_3
; %bb.2:
	s_load_dwordx2 s[12:13], s[4:5], 0x50
	s_bcnt1_i32_b64 s7, s[10:11]
	v_mov_b32_e32 v3, 0
	v_mov_b32_e32 v4, s7
	s_waitcnt lgkmcnt(0)
	global_atomic_add v3, v3, v4, s[12:13] glc
.LBB2202_3:
	s_or_b64 exec, exec, s[8:9]
	s_waitcnt vmcnt(0)
	v_readfirstlane_b32 s7, v3
	v_add_u32_e32 v1, s7, v1
	v_mov_b32_e32 v3, 0
	ds_write_b32 v3, v1 offset:20544
.LBB2202_4:
	s_or_b64 exec, exec, s[2:3]
	v_mov_b32_e32 v1, 0
	s_load_dwordx4 s[24:27], s[4:5], 0x0
	s_load_dword s2, s[4:5], 0x20
	s_waitcnt lgkmcnt(0)
	s_barrier
	ds_read_b32 v1, v1 offset:20544
	v_mbcnt_lo_u32_b32 v29, -1, 0
	v_lshlrev_b32_e32 v28, 3, v2
	s_waitcnt lgkmcnt(0)
	s_barrier
	v_cmp_le_u32_e32 vcc, s22, v1
	v_readfirstlane_b32 s28, v1
	s_cbranch_vccz .LBB2202_65
; %bb.5:
	s_lshl_b32 s3, s22, 13
	s_lshl_b32 s8, s28, 13
	s_mov_b32 s9, 0
	s_sub_i32 s7, s2, s3
	s_lshl_b64 s[2:3], s[8:9], 3
	v_mbcnt_hi_u32_b32 v1, -1, v29
	s_add_u32 s2, s24, s2
	v_and_b32_e32 v3, 63, v1
	s_addc_u32 s3, s25, s3
	v_lshlrev_b32_e32 v5, 3, v3
	v_and_b32_e32 v4, 0x1e00, v28
	v_mov_b32_e32 v6, s3
	v_add_co_u32_e32 v5, vcc, s2, v5
	v_addc_co_u32_e32 v6, vcc, 0, v6, vcc
	v_lshlrev_b32_e32 v7, 3, v4
	v_add_co_u32_e32 v20, vcc, v5, v7
	v_addc_co_u32_e32 v21, vcc, 0, v6, vcc
	v_or_b32_e32 v3, v3, v4
	s_brev_b32 s3, 1
	s_mov_b32 s2, s9
	v_cmp_gt_u32_e32 vcc, s7, v3
	v_pk_mov_b32 v[4:5], s[2:3], s[2:3] op_sel:[0,1]
	s_and_saveexec_b64 s[8:9], vcc
	s_cbranch_execz .LBB2202_7
; %bb.6:
	global_load_dwordx2 v[4:5], v[20:21], off
.LBB2202_7:
	s_or_b64 exec, exec, s[8:9]
	v_or_b32_e32 v6, 64, v3
	v_cmp_gt_u32_e32 vcc, s7, v6
	v_pk_mov_b32 v[6:7], s[2:3], s[2:3] op_sel:[0,1]
	s_and_saveexec_b64 s[2:3], vcc
	s_cbranch_execz .LBB2202_9
; %bb.8:
	global_load_dwordx2 v[6:7], v[20:21], off offset:512
.LBB2202_9:
	s_or_b64 exec, exec, s[2:3]
	s_mov_b32 s2, 0
	v_or_b32_e32 v8, 0x80, v3
	s_brev_b32 s3, 1
	v_cmp_gt_u32_e32 vcc, s7, v8
	v_pk_mov_b32 v[8:9], s[2:3], s[2:3] op_sel:[0,1]
	s_and_saveexec_b64 s[8:9], vcc
	s_cbranch_execz .LBB2202_11
; %bb.10:
	global_load_dwordx2 v[8:9], v[20:21], off offset:1024
.LBB2202_11:
	s_or_b64 exec, exec, s[8:9]
	v_or_b32_e32 v10, 0xc0, v3
	v_cmp_gt_u32_e32 vcc, s7, v10
	v_pk_mov_b32 v[10:11], s[2:3], s[2:3] op_sel:[0,1]
	s_and_saveexec_b64 s[2:3], vcc
	s_cbranch_execz .LBB2202_13
; %bb.12:
	global_load_dwordx2 v[10:11], v[20:21], off offset:1536
.LBB2202_13:
	s_or_b64 exec, exec, s[2:3]
	s_mov_b32 s2, 0
	v_or_b32_e32 v12, 0x100, v3
	s_brev_b32 s3, 1
	v_cmp_gt_u32_e32 vcc, s7, v12
	v_pk_mov_b32 v[12:13], s[2:3], s[2:3] op_sel:[0,1]
	s_and_saveexec_b64 s[8:9], vcc
	s_cbranch_execz .LBB2202_15
; %bb.14:
	global_load_dwordx2 v[12:13], v[20:21], off offset:2048
.LBB2202_15:
	;; [unrolled: 20-line block ×3, first 2 shown]
	s_or_b64 exec, exec, s[8:9]
	v_or_b32_e32 v3, 0x1c0, v3
	v_cmp_gt_u32_e32 vcc, s7, v3
	v_pk_mov_b32 v[14:15], s[2:3], s[2:3] op_sel:[0,1]
	s_and_saveexec_b64 s[2:3], vcc
	s_cbranch_execz .LBB2202_21
; %bb.20:
	global_load_dwordx2 v[14:15], v[20:21], off offset:3584
.LBB2202_21:
	s_or_b64 exec, exec, s[2:3]
	s_load_dword s2, s[4:5], 0x64
	s_load_dword s29, s[4:5], 0x58
	s_add_u32 s3, s4, 0x58
	s_addc_u32 s8, s5, 0
	v_mov_b32_e32 v20, 0
	s_waitcnt lgkmcnt(0)
	s_lshr_b32 s9, s2, 16
	s_cmp_lt_u32 s6, s29
	s_cselect_b32 s2, 12, 18
	s_add_u32 s2, s3, s2
	s_addc_u32 s3, s8, 0
	global_load_ushort v24, v20, s[2:3]
	s_waitcnt vmcnt(1)
	v_xor_b32_e32 v5, 0x7fffffff, v5
	v_not_b32_e32 v4, v4
	s_lshl_b32 s2, -1, s21
	v_lshrrev_b64 v[22:23], s20, v[4:5]
	s_not_b32 s30, s2
	v_and_b32_e32 v22, s30, v22
	v_and_b32_e32 v26, 1, v22
	v_bfe_u32 v21, v0, 10, 10
	v_bfe_u32 v25, v0, 20, 10
	v_add_co_u32_e32 v27, vcc, -1, v26
	v_mad_u32_u24 v23, v25, s9, v21
	v_lshlrev_b32_e32 v21, 30, v22
	v_addc_co_u32_e64 v30, s[2:3], 0, -1, vcc
	v_cmp_ne_u32_e32 vcc, 0, v26
	v_cmp_gt_i64_e64 s[2:3], 0, v[20:21]
	v_not_b32_e32 v26, v21
	v_lshlrev_b32_e32 v21, 29, v22
	v_xor_b32_e32 v30, vcc_hi, v30
	v_xor_b32_e32 v27, vcc_lo, v27
	v_ashrrev_i32_e32 v26, 31, v26
	v_cmp_gt_i64_e32 vcc, 0, v[20:21]
	v_not_b32_e32 v31, v21
	v_lshlrev_b32_e32 v21, 28, v22
	v_and_b32_e32 v30, exec_hi, v30
	v_and_b32_e32 v27, exec_lo, v27
	v_xor_b32_e32 v32, s3, v26
	v_xor_b32_e32 v26, s2, v26
	v_ashrrev_i32_e32 v31, 31, v31
	v_cmp_gt_i64_e64 s[2:3], 0, v[20:21]
	v_not_b32_e32 v33, v21
	v_lshlrev_b32_e32 v21, 27, v22
	v_and_b32_e32 v30, v30, v32
	v_and_b32_e32 v26, v27, v26
	v_xor_b32_e32 v27, vcc_hi, v31
	v_xor_b32_e32 v31, vcc_lo, v31
	v_ashrrev_i32_e32 v32, 31, v33
	v_cmp_gt_i64_e32 vcc, 0, v[20:21]
	v_not_b32_e32 v33, v21
	v_lshlrev_b32_e32 v21, 26, v22
	v_and_b32_e32 v27, v30, v27
	v_and_b32_e32 v26, v26, v31
	v_xor_b32_e32 v30, s3, v32
	v_xor_b32_e32 v31, s2, v32
	v_ashrrev_i32_e32 v32, 31, v33
	v_cmp_gt_i64_e64 s[2:3], 0, v[20:21]
	v_not_b32_e32 v33, v21
	v_lshlrev_b32_e32 v21, 25, v22
	v_and_b32_e32 v27, v27, v30
	v_and_b32_e32 v26, v26, v31
	v_xor_b32_e32 v30, vcc_hi, v32
	v_xor_b32_e32 v31, vcc_lo, v32
	v_ashrrev_i32_e32 v32, 31, v33
	v_not_b32_e32 v33, v21
	v_mul_u32_u24_e32 v3, 5, v2
	v_lshl_add_u32 v25, v22, 4, v22
	v_cmp_gt_i64_e32 vcc, 0, v[20:21]
	v_lshlrev_b32_e32 v21, 24, v22
	v_and_b32_e32 v22, v27, v30
	v_and_b32_e32 v26, v26, v31
	v_xor_b32_e32 v27, s3, v32
	v_ashrrev_i32_e32 v31, 31, v33
	v_lshlrev_b32_e32 v3, 2, v3
	v_xor_b32_e32 v30, s2, v32
	v_cmp_gt_i64_e64 s[2:3], 0, v[20:21]
	v_and_b32_e32 v22, v22, v27
	v_xor_b32_e32 v27, vcc_hi, v31
	v_not_b32_e32 v21, v21
	v_and_b32_e32 v26, v26, v30
	v_xor_b32_e32 v30, vcc_lo, v31
	v_and_b32_e32 v31, v22, v27
	v_ashrrev_i32_e32 v21, 31, v21
	v_and_b32_e32 v26, v26, v30
	ds_write2_b32 v3, v20, v20 offset0:16 offset1:17
	ds_write2_b32 v3, v20, v20 offset0:18 offset1:19
	ds_write_b32 v3, v20 offset:80
	s_waitcnt lgkmcnt(0)
	s_barrier
	s_waitcnt vmcnt(0)
	v_mad_u64_u32 v[22:23], s[8:9], v23, v24, v[2:3]
	v_lshrrev_b32_e32 v27, 6, v22
	v_xor_b32_e32 v22, s3, v21
	v_xor_b32_e32 v21, s2, v21
	v_and_b32_e32 v23, v31, v22
	v_and_b32_e32 v22, v26, v21
	v_mbcnt_lo_u32_b32 v21, v22, 0
	v_mbcnt_hi_u32_b32 v30, v23, v21
	v_cmp_eq_u32_e32 vcc, 0, v30
	v_cmp_ne_u64_e64 s[2:3], 0, v[22:23]
	v_add_lshl_u32 v24, v27, v25, 2
	s_and_b64 s[8:9], s[2:3], vcc
	; wave barrier
	s_and_saveexec_b64 s[2:3], s[8:9]
	s_cbranch_execz .LBB2202_23
; %bb.22:
	v_bcnt_u32_b32 v21, v22, 0
	v_bcnt_u32_b32 v21, v23, v21
	ds_write_b32 v24, v21 offset:64
.LBB2202_23:
	s_or_b64 exec, exec, s[2:3]
	v_xor_b32_e32 v7, 0x7fffffff, v7
	v_not_b32_e32 v6, v6
	v_lshrrev_b64 v[22:23], s20, v[6:7]
	v_and_b32_e32 v22, s30, v22
	v_lshl_add_u32 v21, v22, 4, v22
	v_add_lshl_u32 v25, v27, v21, 2
	v_and_b32_e32 v21, 1, v22
	v_add_co_u32_e32 v23, vcc, -1, v21
	v_addc_co_u32_e64 v26, s[2:3], 0, -1, vcc
	v_cmp_ne_u32_e32 vcc, 0, v21
	v_xor_b32_e32 v21, vcc_hi, v26
	v_and_b32_e32 v26, exec_hi, v21
	v_lshlrev_b32_e32 v21, 30, v22
	v_xor_b32_e32 v23, vcc_lo, v23
	v_cmp_gt_i64_e32 vcc, 0, v[20:21]
	v_not_b32_e32 v21, v21
	v_ashrrev_i32_e32 v21, 31, v21
	v_and_b32_e32 v23, exec_lo, v23
	v_xor_b32_e32 v32, vcc_hi, v21
	v_xor_b32_e32 v21, vcc_lo, v21
	v_and_b32_e32 v23, v23, v21
	v_lshlrev_b32_e32 v21, 29, v22
	v_cmp_gt_i64_e32 vcc, 0, v[20:21]
	v_not_b32_e32 v21, v21
	v_ashrrev_i32_e32 v21, 31, v21
	v_and_b32_e32 v26, v26, v32
	v_xor_b32_e32 v32, vcc_hi, v21
	v_xor_b32_e32 v21, vcc_lo, v21
	v_and_b32_e32 v23, v23, v21
	v_lshlrev_b32_e32 v21, 28, v22
	v_cmp_gt_i64_e32 vcc, 0, v[20:21]
	v_not_b32_e32 v21, v21
	v_ashrrev_i32_e32 v21, 31, v21
	v_and_b32_e32 v26, v26, v32
	;; [unrolled: 8-line block ×5, first 2 shown]
	v_xor_b32_e32 v32, vcc_hi, v21
	v_xor_b32_e32 v21, vcc_lo, v21
	v_and_b32_e32 v23, v23, v21
	v_lshlrev_b32_e32 v21, 24, v22
	v_cmp_gt_i64_e32 vcc, 0, v[20:21]
	v_not_b32_e32 v20, v21
	v_ashrrev_i32_e32 v20, 31, v20
	v_xor_b32_e32 v21, vcc_hi, v20
	v_xor_b32_e32 v20, vcc_lo, v20
	; wave barrier
	ds_read_b32 v31, v25 offset:64
	v_and_b32_e32 v26, v26, v32
	v_and_b32_e32 v20, v23, v20
	;; [unrolled: 1-line block ×3, first 2 shown]
	v_mbcnt_lo_u32_b32 v22, v20, 0
	v_mbcnt_hi_u32_b32 v32, v21, v22
	v_cmp_eq_u32_e32 vcc, 0, v32
	v_cmp_ne_u64_e64 s[2:3], 0, v[20:21]
	s_and_b64 s[8:9], s[2:3], vcc
	; wave barrier
	s_and_saveexec_b64 s[2:3], s[8:9]
	s_cbranch_execz .LBB2202_25
; %bb.24:
	v_bcnt_u32_b32 v20, v20, 0
	v_bcnt_u32_b32 v20, v21, v20
	s_waitcnt lgkmcnt(0)
	v_add_u32_e32 v20, v31, v20
	ds_write_b32 v25, v20 offset:64
.LBB2202_25:
	s_or_b64 exec, exec, s[2:3]
	v_xor_b32_e32 v9, 0x7fffffff, v9
	v_not_b32_e32 v8, v8
	v_lshrrev_b64 v[20:21], s20, v[8:9]
	v_and_b32_e32 v22, s30, v20
	v_and_b32_e32 v21, 1, v22
	v_add_co_u32_e32 v23, vcc, -1, v21
	v_addc_co_u32_e64 v34, s[2:3], 0, -1, vcc
	v_cmp_ne_u32_e32 vcc, 0, v21
	v_lshl_add_u32 v20, v22, 4, v22
	v_xor_b32_e32 v21, vcc_hi, v34
	v_add_lshl_u32 v26, v27, v20, 2
	v_mov_b32_e32 v20, 0
	v_and_b32_e32 v34, exec_hi, v21
	v_lshlrev_b32_e32 v21, 30, v22
	v_xor_b32_e32 v23, vcc_lo, v23
	v_cmp_gt_i64_e32 vcc, 0, v[20:21]
	v_not_b32_e32 v21, v21
	v_ashrrev_i32_e32 v21, 31, v21
	v_and_b32_e32 v23, exec_lo, v23
	v_xor_b32_e32 v35, vcc_hi, v21
	v_xor_b32_e32 v21, vcc_lo, v21
	v_and_b32_e32 v23, v23, v21
	v_lshlrev_b32_e32 v21, 29, v22
	v_cmp_gt_i64_e32 vcc, 0, v[20:21]
	v_not_b32_e32 v21, v21
	v_ashrrev_i32_e32 v21, 31, v21
	v_and_b32_e32 v34, v34, v35
	v_xor_b32_e32 v35, vcc_hi, v21
	v_xor_b32_e32 v21, vcc_lo, v21
	v_and_b32_e32 v23, v23, v21
	v_lshlrev_b32_e32 v21, 28, v22
	v_cmp_gt_i64_e32 vcc, 0, v[20:21]
	v_not_b32_e32 v21, v21
	v_ashrrev_i32_e32 v21, 31, v21
	v_and_b32_e32 v34, v34, v35
	;; [unrolled: 8-line block ×5, first 2 shown]
	v_xor_b32_e32 v35, vcc_hi, v21
	v_xor_b32_e32 v21, vcc_lo, v21
	v_and_b32_e32 v34, v34, v35
	v_and_b32_e32 v35, v23, v21
	v_lshlrev_b32_e32 v21, 24, v22
	v_cmp_gt_i64_e32 vcc, 0, v[20:21]
	v_not_b32_e32 v21, v21
	v_ashrrev_i32_e32 v21, 31, v21
	v_xor_b32_e32 v22, vcc_hi, v21
	v_xor_b32_e32 v21, vcc_lo, v21
	; wave barrier
	ds_read_b32 v33, v26 offset:64
	v_and_b32_e32 v23, v34, v22
	v_and_b32_e32 v22, v35, v21
	v_mbcnt_lo_u32_b32 v21, v22, 0
	v_mbcnt_hi_u32_b32 v34, v23, v21
	v_cmp_eq_u32_e32 vcc, 0, v34
	v_cmp_ne_u64_e64 s[2:3], 0, v[22:23]
	s_and_b64 s[8:9], s[2:3], vcc
	; wave barrier
	s_and_saveexec_b64 s[2:3], s[8:9]
	s_cbranch_execz .LBB2202_27
; %bb.26:
	v_bcnt_u32_b32 v21, v22, 0
	v_bcnt_u32_b32 v21, v23, v21
	s_waitcnt lgkmcnt(0)
	v_add_u32_e32 v21, v33, v21
	ds_write_b32 v26, v21 offset:64
.LBB2202_27:
	s_or_b64 exec, exec, s[2:3]
	v_xor_b32_e32 v11, 0x7fffffff, v11
	v_not_b32_e32 v10, v10
	v_lshrrev_b64 v[22:23], s20, v[10:11]
	v_and_b32_e32 v22, s30, v22
	v_lshl_add_u32 v21, v22, 4, v22
	v_add_lshl_u32 v38, v27, v21, 2
	v_and_b32_e32 v21, 1, v22
	v_add_co_u32_e32 v23, vcc, -1, v21
	v_addc_co_u32_e64 v36, s[2:3], 0, -1, vcc
	v_cmp_ne_u32_e32 vcc, 0, v21
	v_xor_b32_e32 v21, vcc_hi, v36
	v_and_b32_e32 v36, exec_hi, v21
	v_lshlrev_b32_e32 v21, 30, v22
	v_xor_b32_e32 v23, vcc_lo, v23
	v_cmp_gt_i64_e32 vcc, 0, v[20:21]
	v_not_b32_e32 v21, v21
	v_ashrrev_i32_e32 v21, 31, v21
	v_and_b32_e32 v23, exec_lo, v23
	v_xor_b32_e32 v37, vcc_hi, v21
	v_xor_b32_e32 v21, vcc_lo, v21
	v_and_b32_e32 v23, v23, v21
	v_lshlrev_b32_e32 v21, 29, v22
	v_cmp_gt_i64_e32 vcc, 0, v[20:21]
	v_not_b32_e32 v21, v21
	v_ashrrev_i32_e32 v21, 31, v21
	v_and_b32_e32 v36, v36, v37
	v_xor_b32_e32 v37, vcc_hi, v21
	v_xor_b32_e32 v21, vcc_lo, v21
	v_and_b32_e32 v23, v23, v21
	v_lshlrev_b32_e32 v21, 28, v22
	v_cmp_gt_i64_e32 vcc, 0, v[20:21]
	v_not_b32_e32 v21, v21
	v_ashrrev_i32_e32 v21, 31, v21
	v_and_b32_e32 v36, v36, v37
	;; [unrolled: 8-line block ×5, first 2 shown]
	v_xor_b32_e32 v37, vcc_hi, v21
	v_xor_b32_e32 v21, vcc_lo, v21
	v_and_b32_e32 v23, v23, v21
	v_lshlrev_b32_e32 v21, 24, v22
	v_cmp_gt_i64_e32 vcc, 0, v[20:21]
	v_not_b32_e32 v20, v21
	v_ashrrev_i32_e32 v20, 31, v20
	v_xor_b32_e32 v21, vcc_hi, v20
	v_xor_b32_e32 v20, vcc_lo, v20
	; wave barrier
	ds_read_b32 v35, v38 offset:64
	v_and_b32_e32 v36, v36, v37
	v_and_b32_e32 v20, v23, v20
	v_and_b32_e32 v21, v36, v21
	v_mbcnt_lo_u32_b32 v22, v20, 0
	v_mbcnt_hi_u32_b32 v36, v21, v22
	v_cmp_eq_u32_e32 vcc, 0, v36
	v_cmp_ne_u64_e64 s[2:3], 0, v[20:21]
	s_and_b64 s[8:9], s[2:3], vcc
	; wave barrier
	s_and_saveexec_b64 s[2:3], s[8:9]
	s_cbranch_execz .LBB2202_29
; %bb.28:
	v_bcnt_u32_b32 v20, v20, 0
	v_bcnt_u32_b32 v20, v21, v20
	s_waitcnt lgkmcnt(0)
	v_add_u32_e32 v20, v35, v20
	ds_write_b32 v38, v20 offset:64
.LBB2202_29:
	s_or_b64 exec, exec, s[2:3]
	v_xor_b32_e32 v13, 0x7fffffff, v13
	v_not_b32_e32 v12, v12
	v_lshrrev_b64 v[20:21], s20, v[12:13]
	v_and_b32_e32 v22, s30, v20
	v_and_b32_e32 v21, 1, v22
	v_add_co_u32_e32 v23, vcc, -1, v21
	v_addc_co_u32_e64 v39, s[2:3], 0, -1, vcc
	v_cmp_ne_u32_e32 vcc, 0, v21
	v_lshl_add_u32 v20, v22, 4, v22
	v_xor_b32_e32 v21, vcc_hi, v39
	v_add_lshl_u32 v42, v27, v20, 2
	v_mov_b32_e32 v20, 0
	v_and_b32_e32 v39, exec_hi, v21
	v_lshlrev_b32_e32 v21, 30, v22
	v_xor_b32_e32 v23, vcc_lo, v23
	v_cmp_gt_i64_e32 vcc, 0, v[20:21]
	v_not_b32_e32 v21, v21
	v_ashrrev_i32_e32 v21, 31, v21
	v_and_b32_e32 v23, exec_lo, v23
	v_xor_b32_e32 v40, vcc_hi, v21
	v_xor_b32_e32 v21, vcc_lo, v21
	v_and_b32_e32 v23, v23, v21
	v_lshlrev_b32_e32 v21, 29, v22
	v_cmp_gt_i64_e32 vcc, 0, v[20:21]
	v_not_b32_e32 v21, v21
	v_ashrrev_i32_e32 v21, 31, v21
	v_and_b32_e32 v39, v39, v40
	v_xor_b32_e32 v40, vcc_hi, v21
	v_xor_b32_e32 v21, vcc_lo, v21
	v_and_b32_e32 v23, v23, v21
	v_lshlrev_b32_e32 v21, 28, v22
	v_cmp_gt_i64_e32 vcc, 0, v[20:21]
	v_not_b32_e32 v21, v21
	v_ashrrev_i32_e32 v21, 31, v21
	v_and_b32_e32 v39, v39, v40
	;; [unrolled: 8-line block ×5, first 2 shown]
	v_xor_b32_e32 v40, vcc_hi, v21
	v_xor_b32_e32 v21, vcc_lo, v21
	v_and_b32_e32 v39, v39, v40
	v_and_b32_e32 v40, v23, v21
	v_lshlrev_b32_e32 v21, 24, v22
	v_cmp_gt_i64_e32 vcc, 0, v[20:21]
	v_not_b32_e32 v21, v21
	v_ashrrev_i32_e32 v21, 31, v21
	v_xor_b32_e32 v22, vcc_hi, v21
	v_xor_b32_e32 v21, vcc_lo, v21
	; wave barrier
	ds_read_b32 v37, v42 offset:64
	v_and_b32_e32 v23, v39, v22
	v_and_b32_e32 v22, v40, v21
	v_mbcnt_lo_u32_b32 v21, v22, 0
	v_mbcnt_hi_u32_b32 v39, v23, v21
	v_cmp_eq_u32_e32 vcc, 0, v39
	v_cmp_ne_u64_e64 s[2:3], 0, v[22:23]
	s_and_b64 s[8:9], s[2:3], vcc
	; wave barrier
	s_and_saveexec_b64 s[2:3], s[8:9]
	s_cbranch_execz .LBB2202_31
; %bb.30:
	v_bcnt_u32_b32 v21, v22, 0
	v_bcnt_u32_b32 v21, v23, v21
	s_waitcnt lgkmcnt(0)
	v_add_u32_e32 v21, v37, v21
	ds_write_b32 v42, v21 offset:64
.LBB2202_31:
	s_or_b64 exec, exec, s[2:3]
	v_xor_b32_e32 v17, 0x7fffffff, v17
	v_not_b32_e32 v16, v16
	v_lshrrev_b64 v[22:23], s20, v[16:17]
	v_and_b32_e32 v22, s30, v22
	v_lshl_add_u32 v21, v22, 4, v22
	v_add_lshl_u32 v45, v27, v21, 2
	v_and_b32_e32 v21, 1, v22
	v_add_co_u32_e32 v23, vcc, -1, v21
	v_addc_co_u32_e64 v41, s[2:3], 0, -1, vcc
	v_cmp_ne_u32_e32 vcc, 0, v21
	v_xor_b32_e32 v21, vcc_hi, v41
	v_and_b32_e32 v41, exec_hi, v21
	v_lshlrev_b32_e32 v21, 30, v22
	v_xor_b32_e32 v23, vcc_lo, v23
	v_cmp_gt_i64_e32 vcc, 0, v[20:21]
	v_not_b32_e32 v21, v21
	v_ashrrev_i32_e32 v21, 31, v21
	v_and_b32_e32 v23, exec_lo, v23
	v_xor_b32_e32 v43, vcc_hi, v21
	v_xor_b32_e32 v21, vcc_lo, v21
	v_and_b32_e32 v23, v23, v21
	v_lshlrev_b32_e32 v21, 29, v22
	v_cmp_gt_i64_e32 vcc, 0, v[20:21]
	v_not_b32_e32 v21, v21
	v_ashrrev_i32_e32 v21, 31, v21
	v_and_b32_e32 v41, v41, v43
	v_xor_b32_e32 v43, vcc_hi, v21
	v_xor_b32_e32 v21, vcc_lo, v21
	v_and_b32_e32 v23, v23, v21
	v_lshlrev_b32_e32 v21, 28, v22
	v_cmp_gt_i64_e32 vcc, 0, v[20:21]
	v_not_b32_e32 v21, v21
	v_ashrrev_i32_e32 v21, 31, v21
	v_and_b32_e32 v41, v41, v43
	;; [unrolled: 8-line block ×5, first 2 shown]
	v_xor_b32_e32 v43, vcc_hi, v21
	v_xor_b32_e32 v21, vcc_lo, v21
	v_and_b32_e32 v23, v23, v21
	v_lshlrev_b32_e32 v21, 24, v22
	v_cmp_gt_i64_e32 vcc, 0, v[20:21]
	v_not_b32_e32 v20, v21
	v_ashrrev_i32_e32 v20, 31, v20
	v_xor_b32_e32 v21, vcc_hi, v20
	v_xor_b32_e32 v20, vcc_lo, v20
	; wave barrier
	ds_read_b32 v40, v45 offset:64
	v_and_b32_e32 v41, v41, v43
	v_and_b32_e32 v20, v23, v20
	;; [unrolled: 1-line block ×3, first 2 shown]
	v_mbcnt_lo_u32_b32 v22, v20, 0
	v_mbcnt_hi_u32_b32 v41, v21, v22
	v_cmp_eq_u32_e32 vcc, 0, v41
	v_cmp_ne_u64_e64 s[2:3], 0, v[20:21]
	s_and_b64 s[8:9], s[2:3], vcc
	; wave barrier
	s_and_saveexec_b64 s[2:3], s[8:9]
	s_cbranch_execz .LBB2202_33
; %bb.32:
	v_bcnt_u32_b32 v20, v20, 0
	v_bcnt_u32_b32 v20, v21, v20
	s_waitcnt lgkmcnt(0)
	v_add_u32_e32 v20, v40, v20
	ds_write_b32 v45, v20 offset:64
.LBB2202_33:
	s_or_b64 exec, exec, s[2:3]
	v_xor_b32_e32 v21, 0x7fffffff, v19
	v_not_b32_e32 v20, v18
	v_lshrrev_b64 v[18:19], s20, v[20:21]
	v_and_b32_e32 v22, s30, v18
	v_and_b32_e32 v19, 1, v22
	v_add_co_u32_e32 v23, vcc, -1, v19
	v_addc_co_u32_e64 v44, s[2:3], 0, -1, vcc
	v_cmp_ne_u32_e32 vcc, 0, v19
	v_lshl_add_u32 v18, v22, 4, v22
	v_xor_b32_e32 v19, vcc_hi, v44
	v_add_lshl_u32 v47, v27, v18, 2
	v_mov_b32_e32 v18, 0
	v_and_b32_e32 v44, exec_hi, v19
	v_lshlrev_b32_e32 v19, 30, v22
	v_xor_b32_e32 v23, vcc_lo, v23
	v_cmp_gt_i64_e32 vcc, 0, v[18:19]
	v_not_b32_e32 v19, v19
	v_ashrrev_i32_e32 v19, 31, v19
	v_and_b32_e32 v23, exec_lo, v23
	v_xor_b32_e32 v46, vcc_hi, v19
	v_xor_b32_e32 v19, vcc_lo, v19
	v_and_b32_e32 v23, v23, v19
	v_lshlrev_b32_e32 v19, 29, v22
	v_cmp_gt_i64_e32 vcc, 0, v[18:19]
	v_not_b32_e32 v19, v19
	v_ashrrev_i32_e32 v19, 31, v19
	v_and_b32_e32 v44, v44, v46
	v_xor_b32_e32 v46, vcc_hi, v19
	v_xor_b32_e32 v19, vcc_lo, v19
	v_and_b32_e32 v23, v23, v19
	v_lshlrev_b32_e32 v19, 28, v22
	v_cmp_gt_i64_e32 vcc, 0, v[18:19]
	v_not_b32_e32 v19, v19
	v_ashrrev_i32_e32 v19, 31, v19
	v_and_b32_e32 v44, v44, v46
	;; [unrolled: 8-line block ×5, first 2 shown]
	v_xor_b32_e32 v46, vcc_hi, v19
	v_xor_b32_e32 v19, vcc_lo, v19
	v_and_b32_e32 v44, v44, v46
	v_and_b32_e32 v46, v23, v19
	v_lshlrev_b32_e32 v19, 24, v22
	v_cmp_gt_i64_e32 vcc, 0, v[18:19]
	v_not_b32_e32 v19, v19
	v_ashrrev_i32_e32 v19, 31, v19
	v_xor_b32_e32 v22, vcc_hi, v19
	v_xor_b32_e32 v19, vcc_lo, v19
	; wave barrier
	ds_read_b32 v43, v47 offset:64
	v_and_b32_e32 v23, v44, v22
	v_and_b32_e32 v22, v46, v19
	v_mbcnt_lo_u32_b32 v19, v22, 0
	v_mbcnt_hi_u32_b32 v44, v23, v19
	v_cmp_eq_u32_e32 vcc, 0, v44
	v_cmp_ne_u64_e64 s[2:3], 0, v[22:23]
	s_and_b64 s[8:9], s[2:3], vcc
	; wave barrier
	s_and_saveexec_b64 s[2:3], s[8:9]
	s_cbranch_execz .LBB2202_35
; %bb.34:
	v_bcnt_u32_b32 v19, v22, 0
	v_bcnt_u32_b32 v19, v23, v19
	s_waitcnt lgkmcnt(0)
	v_add_u32_e32 v19, v43, v19
	ds_write_b32 v47, v19 offset:64
.LBB2202_35:
	s_or_b64 exec, exec, s[2:3]
	v_xor_b32_e32 v15, 0x7fffffff, v15
	v_not_b32_e32 v14, v14
	v_lshrrev_b64 v[22:23], s20, v[14:15]
	v_and_b32_e32 v22, s30, v22
	v_lshl_add_u32 v19, v22, 4, v22
	v_add_lshl_u32 v27, v27, v19, 2
	v_and_b32_e32 v19, 1, v22
	v_add_co_u32_e32 v23, vcc, -1, v19
	v_addc_co_u32_e64 v48, s[2:3], 0, -1, vcc
	v_cmp_ne_u32_e32 vcc, 0, v19
	v_xor_b32_e32 v19, vcc_hi, v48
	v_and_b32_e32 v48, exec_hi, v19
	v_lshlrev_b32_e32 v19, 30, v22
	v_xor_b32_e32 v23, vcc_lo, v23
	v_cmp_gt_i64_e32 vcc, 0, v[18:19]
	v_not_b32_e32 v19, v19
	v_ashrrev_i32_e32 v19, 31, v19
	v_and_b32_e32 v23, exec_lo, v23
	v_xor_b32_e32 v50, vcc_hi, v19
	v_xor_b32_e32 v19, vcc_lo, v19
	v_and_b32_e32 v23, v23, v19
	v_lshlrev_b32_e32 v19, 29, v22
	v_cmp_gt_i64_e32 vcc, 0, v[18:19]
	v_not_b32_e32 v19, v19
	v_ashrrev_i32_e32 v19, 31, v19
	v_and_b32_e32 v48, v48, v50
	v_xor_b32_e32 v50, vcc_hi, v19
	v_xor_b32_e32 v19, vcc_lo, v19
	v_and_b32_e32 v23, v23, v19
	v_lshlrev_b32_e32 v19, 28, v22
	v_cmp_gt_i64_e32 vcc, 0, v[18:19]
	v_not_b32_e32 v19, v19
	v_ashrrev_i32_e32 v19, 31, v19
	v_and_b32_e32 v48, v48, v50
	;; [unrolled: 8-line block ×5, first 2 shown]
	v_xor_b32_e32 v50, vcc_hi, v19
	v_xor_b32_e32 v19, vcc_lo, v19
	v_and_b32_e32 v23, v23, v19
	v_lshlrev_b32_e32 v19, 24, v22
	v_cmp_gt_i64_e32 vcc, 0, v[18:19]
	v_not_b32_e32 v18, v19
	v_ashrrev_i32_e32 v18, 31, v18
	v_xor_b32_e32 v19, vcc_hi, v18
	v_xor_b32_e32 v18, vcc_lo, v18
	; wave barrier
	ds_read_b32 v46, v27 offset:64
	v_and_b32_e32 v48, v48, v50
	v_and_b32_e32 v18, v23, v18
	;; [unrolled: 1-line block ×3, first 2 shown]
	v_mbcnt_lo_u32_b32 v22, v18, 0
	v_mbcnt_hi_u32_b32 v48, v19, v22
	v_cmp_eq_u32_e32 vcc, 0, v48
	v_cmp_ne_u64_e64 s[2:3], 0, v[18:19]
	v_add_u32_e32 v49, 64, v3
	s_and_b64 s[8:9], s[2:3], vcc
	; wave barrier
	s_and_saveexec_b64 s[2:3], s[8:9]
	s_cbranch_execz .LBB2202_37
; %bb.36:
	v_bcnt_u32_b32 v18, v18, 0
	v_bcnt_u32_b32 v18, v19, v18
	s_waitcnt lgkmcnt(0)
	v_add_u32_e32 v18, v46, v18
	ds_write_b32 v27, v18 offset:64
.LBB2202_37:
	s_or_b64 exec, exec, s[2:3]
	; wave barrier
	s_waitcnt lgkmcnt(0)
	s_barrier
	ds_read2_b32 v[22:23], v3 offset0:16 offset1:17
	ds_read2_b32 v[18:19], v49 offset0:2 offset1:3
	ds_read_b32 v50, v49 offset:16
	v_cmp_lt_u32_e64 s[12:13], 31, v1
	s_waitcnt lgkmcnt(1)
	v_add3_u32 v51, v23, v22, v18
	s_waitcnt lgkmcnt(0)
	v_add3_u32 v50, v51, v19, v50
	v_and_b32_e32 v51, 15, v1
	v_cmp_eq_u32_e32 vcc, 0, v51
	v_mov_b32_dpp v52, v50 row_shr:1 row_mask:0xf bank_mask:0xf
	v_cndmask_b32_e64 v52, v52, 0, vcc
	v_add_u32_e32 v50, v52, v50
	v_cmp_lt_u32_e64 s[2:3], 1, v51
	v_cmp_lt_u32_e64 s[10:11], 3, v51
	v_mov_b32_dpp v52, v50 row_shr:2 row_mask:0xf bank_mask:0xf
	v_cndmask_b32_e64 v52, 0, v52, s[2:3]
	v_add_u32_e32 v50, v50, v52
	v_cmp_lt_u32_e64 s[8:9], 7, v51
	s_nop 0
	v_mov_b32_dpp v52, v50 row_shr:4 row_mask:0xf bank_mask:0xf
	v_cndmask_b32_e64 v52, 0, v52, s[10:11]
	v_add_u32_e32 v50, v50, v52
	s_nop 1
	v_mov_b32_dpp v52, v50 row_shr:8 row_mask:0xf bank_mask:0xf
	v_cndmask_b32_e64 v51, 0, v52, s[8:9]
	v_add_u32_e32 v50, v50, v51
	v_bfe_i32 v52, v1, 4, 1
	s_nop 0
	v_mov_b32_dpp v51, v50 row_bcast:15 row_mask:0xf bank_mask:0xf
	v_and_b32_e32 v51, v52, v51
	v_add_u32_e32 v50, v50, v51
	v_and_b32_e32 v52, 63, v2
	s_nop 0
	v_mov_b32_dpp v51, v50 row_bcast:31 row_mask:0xf bank_mask:0xf
	v_cndmask_b32_e64 v51, 0, v51, s[12:13]
	v_add_u32_e32 v50, v50, v51
	v_lshrrev_b32_e32 v51, 6, v2
	v_cmp_eq_u32_e64 s[12:13], 63, v52
	s_and_saveexec_b64 s[22:23], s[12:13]
	s_cbranch_execz .LBB2202_39
; %bb.38:
	v_lshlrev_b32_e32 v52, 2, v51
	ds_write_b32 v52, v50
.LBB2202_39:
	s_or_b64 exec, exec, s[22:23]
	v_cmp_gt_u32_e64 s[12:13], 16, v2
	s_waitcnt lgkmcnt(0)
	s_barrier
	s_and_saveexec_b64 s[22:23], s[12:13]
	s_cbranch_execz .LBB2202_41
; %bb.40:
	v_lshlrev_b32_e32 v52, 2, v2
	ds_read_b32 v53, v52
	s_waitcnt lgkmcnt(0)
	s_nop 0
	v_mov_b32_dpp v54, v53 row_shr:1 row_mask:0xf bank_mask:0xf
	v_cndmask_b32_e64 v54, v54, 0, vcc
	v_add_u32_e32 v53, v54, v53
	s_nop 1
	v_mov_b32_dpp v54, v53 row_shr:2 row_mask:0xf bank_mask:0xf
	v_cndmask_b32_e64 v54, 0, v54, s[2:3]
	v_add_u32_e32 v53, v53, v54
	s_nop 1
	v_mov_b32_dpp v54, v53 row_shr:4 row_mask:0xf bank_mask:0xf
	v_cndmask_b32_e64 v54, 0, v54, s[10:11]
	;; [unrolled: 4-line block ×3, first 2 shown]
	v_add_u32_e32 v53, v53, v54
	ds_write_b32 v52, v53
.LBB2202_41:
	s_or_b64 exec, exec, s[22:23]
	v_cmp_lt_u32_e32 vcc, 63, v2
	v_mov_b32_e32 v52, 0
	s_waitcnt lgkmcnt(0)
	s_barrier
	s_and_saveexec_b64 s[2:3], vcc
	s_cbranch_execz .LBB2202_43
; %bb.42:
	v_lshl_add_u32 v51, v51, 2, -4
	ds_read_b32 v52, v51
.LBB2202_43:
	s_or_b64 exec, exec, s[2:3]
	v_add_u32_e32 v51, -1, v1
	v_and_b32_e32 v53, 64, v1
	v_cmp_lt_i32_e32 vcc, v51, v53
	v_cndmask_b32_e32 v51, v51, v1, vcc
	s_waitcnt lgkmcnt(0)
	v_add_u32_e32 v50, v52, v50
	v_lshlrev_b32_e32 v51, 2, v51
	ds_bpermute_b32 v50, v51, v50
	v_cmp_eq_u32_e32 vcc, 0, v1
	s_movk_i32 s8, 0xff
	s_movk_i32 s2, 0x100
	v_cmp_gt_u32_e64 s[2:3], s2, v2
	s_waitcnt lgkmcnt(0)
	v_cndmask_b32_e32 v1, v50, v52, vcc
	v_cndmask_b32_e64 v1, v1, 0, s[0:1]
	v_add_u32_e32 v22, v1, v22
	v_add_u32_e32 v23, v22, v23
	;; [unrolled: 1-line block ×4, first 2 shown]
	ds_write2_b32 v3, v1, v22 offset0:16 offset1:17
	ds_write2_b32 v49, v23, v18 offset0:2 offset1:3
	ds_write_b32 v49, v19 offset:16
	s_waitcnt lgkmcnt(0)
	s_barrier
	ds_read_b32 v51, v24 offset:64
	ds_read_b32 v1, v25 offset:64
	;; [unrolled: 1-line block ×8, first 2 shown]
	v_cmp_lt_u32_e32 vcc, s8, v2
	v_pk_mov_b32 v[18:19], 0, 0
                                        ; implicit-def: $vgpr38
	s_and_saveexec_b64 s[10:11], s[2:3]
	s_cbranch_execz .LBB2202_47
; %bb.44:
	v_mul_u32_u24_e32 v3, 17, v2
	v_lshlrev_b32_e32 v19, 2, v3
	ds_read_b32 v18, v19 offset:64
	v_cmp_ne_u32_e64 s[8:9], s8, v2
	v_mov_b32_e32 v3, 0x2000
	s_and_saveexec_b64 s[12:13], s[8:9]
	s_cbranch_execz .LBB2202_46
; %bb.45:
	ds_read_b32 v3, v19 offset:132
.LBB2202_46:
	s_or_b64 exec, exec, s[12:13]
	s_waitcnt lgkmcnt(0)
	v_sub_u32_e32 v38, v3, v18
	v_mov_b32_e32 v19, 0
.LBB2202_47:
	s_or_b64 exec, exec, s[10:11]
	s_waitcnt lgkmcnt(0)
	s_barrier
	s_and_saveexec_b64 s[8:9], vcc
	s_xor_b64 s[8:9], exec, s[8:9]
; %bb.48:
	v_mov_b32_e32 v3, 0
; %bb.49:
	s_andn2_saveexec_b64 s[8:9], s[8:9]
	s_cbranch_execz .LBB2202_59
; %bb.50:
	v_lshl_or_b32 v22, s28, 8, v2
	v_mov_b32_e32 v23, 0
	v_lshlrev_b64 v[24:25], 2, v[22:23]
	v_mov_b32_e32 v3, s15
	v_add_co_u32_e32 v24, vcc, s14, v24
	v_addc_co_u32_e32 v25, vcc, v3, v25, vcc
	v_or_b32_e32 v22, 2.0, v38
	s_mov_b64 s[10:11], 0
	s_brev_b32 s31, 1
	s_mov_b32 s33, s28
	v_mov_b32_e32 v53, 0
	global_store_dword v[24:25], v22, off
                                        ; implicit-def: $sgpr12_sgpr13
	s_branch .LBB2202_52
.LBB2202_51:                            ;   in Loop: Header=BB2202_52 Depth=1
	s_or_b64 exec, exec, s[12:13]
	v_and_b32_e32 v26, 0x3fffffff, v54
	v_add_u32_e32 v53, v26, v53
	v_cmp_eq_u32_e64 s[12:13], s31, v22
	s_and_b64 s[22:23], exec, s[12:13]
	s_or_b64 s[10:11], s[22:23], s[10:11]
	s_andn2_b64 exec, exec, s[10:11]
	s_cbranch_execz .LBB2202_58
.LBB2202_52:                            ; =>This Loop Header: Depth=1
                                        ;     Child Loop BB2202_55 Depth 2
	s_or_b64 s[12:13], s[12:13], exec
	s_cmp_eq_u32 s33, 0
	s_cbranch_scc1 .LBB2202_57
; %bb.53:                               ;   in Loop: Header=BB2202_52 Depth=1
	s_add_i32 s33, s33, -1
	v_lshl_or_b32 v22, s33, 8, v2
	v_lshlrev_b64 v[26:27], 2, v[22:23]
	v_add_co_u32_e32 v26, vcc, s14, v26
	v_addc_co_u32_e32 v27, vcc, v3, v27, vcc
	global_load_dword v54, v[26:27], off glc
	s_waitcnt vmcnt(0)
	v_and_b32_e32 v22, -2.0, v54
	v_cmp_eq_u32_e32 vcc, 0, v22
	s_and_saveexec_b64 s[12:13], vcc
	s_cbranch_execz .LBB2202_51
; %bb.54:                               ;   in Loop: Header=BB2202_52 Depth=1
	s_mov_b64 s[22:23], 0
.LBB2202_55:                            ;   Parent Loop BB2202_52 Depth=1
                                        ; =>  This Inner Loop Header: Depth=2
	global_load_dword v54, v[26:27], off glc
	s_waitcnt vmcnt(0)
	v_and_b32_e32 v22, -2.0, v54
	v_cmp_ne_u32_e32 vcc, 0, v22
	s_or_b64 s[22:23], vcc, s[22:23]
	s_andn2_b64 exec, exec, s[22:23]
	s_cbranch_execnz .LBB2202_55
; %bb.56:                               ;   in Loop: Header=BB2202_52 Depth=1
	s_or_b64 exec, exec, s[22:23]
	s_branch .LBB2202_51
.LBB2202_57:                            ;   in Loop: Header=BB2202_52 Depth=1
                                        ; implicit-def: $sgpr33
	s_and_b64 s[22:23], exec, s[12:13]
	s_or_b64 s[10:11], s[22:23], s[10:11]
	s_andn2_b64 exec, exec, s[10:11]
	s_cbranch_execnz .LBB2202_52
.LBB2202_58:
	s_or_b64 exec, exec, s[10:11]
	v_add_u32_e32 v3, v53, v38
	v_or_b32_e32 v3, 0x80000000, v3
	global_store_dword v[24:25], v3, off
	global_load_dwordx2 v[22:23], v28, s[16:17]
	v_sub_co_u32_e32 v24, vcc, v53, v18
	v_subb_co_u32_e32 v25, vcc, 0, v19, vcc
	v_mov_b32_e32 v3, 0
	s_waitcnt vmcnt(0)
	v_add_co_u32_e32 v22, vcc, v24, v22
	v_addc_co_u32_e32 v23, vcc, v25, v23, vcc
	ds_write_b64 v28, v[22:23]
.LBB2202_59:
	s_or_b64 exec, exec, s[8:9]
	v_add_u32_e32 v23, v51, v30
	v_add3_u32 v30, v39, v42, v37
	v_add3_u32 v35, v36, v50, v35
	v_lshlrev_b64 v[36:37], 3, v[2:3]
	v_add3_u32 v31, v32, v1, v31
	v_mov_b32_e32 v1, s27
	v_add_co_u32_e32 v22, vcc, s26, v36
	v_add_u32_e32 v24, 0x800, v28
	v_add3_u32 v25, v48, v52, v46
	v_add3_u32 v26, v44, v47, v43
	;; [unrolled: 1-line block ×4, first 2 shown]
	v_addc_co_u32_e32 v1, vcc, v1, v37, vcc
	s_mov_b32 s10, 0
	v_mov_b32_e32 v32, v2
	s_branch .LBB2202_61
.LBB2202_60:                            ;   in Loop: Header=BB2202_61 Depth=1
	s_or_b64 exec, exec, s[8:9]
	s_addk_i32 s10, 0xf800
	v_add_co_u32_e32 v22, vcc, 0x4000, v22
	v_addc_co_u32_e32 v1, vcc, 0, v1, vcc
	s_cmpk_eq_i32 s10, 0xe000
	v_add_u32_e32 v32, 0x800, v32
	s_barrier
	s_cbranch_scc1 .LBB2202_66
.LBB2202_61:                            ; =>This Inner Loop Header: Depth=1
	v_add_u32_e32 v34, s10, v23
	v_min_u32_e32 v34, 0x800, v34
	v_lshlrev_b32_e32 v34, 3, v34
	ds_write_b64 v34, v[4:5] offset:2048
	v_add_u32_e32 v34, s10, v31
	v_min_u32_e32 v34, 0x800, v34
	v_lshlrev_b32_e32 v34, 3, v34
	ds_write_b64 v34, v[6:7] offset:2048
	;; [unrolled: 4-line block ×7, first 2 shown]
	v_add_u32_e32 v34, s10, v25
	v_min_u32_e32 v34, 0x800, v34
	v_lshlrev_b32_e32 v34, 3, v34
	v_cmp_gt_u32_e32 vcc, s7, v32
	ds_write_b64 v34, v[14:15] offset:2048
	s_waitcnt lgkmcnt(0)
	s_barrier
	s_and_saveexec_b64 s[8:9], vcc
	s_cbranch_execz .LBB2202_63
; %bb.62:                               ;   in Loop: Header=BB2202_61 Depth=1
	ds_read_b64 v[36:37], v28 offset:2048
	s_waitcnt lgkmcnt(0)
	v_lshrrev_b64 v[40:41], s20, v[36:37]
	v_and_b32_e32 v34, s30, v40
	v_lshlrev_b32_e32 v34, 3, v34
	ds_read_b64 v[40:41], v34
	v_xor_b32_e32 v37, 0x7fffffff, v37
	v_not_b32_e32 v36, v36
	s_waitcnt lgkmcnt(0)
	v_lshlrev_b64 v[40:41], 3, v[40:41]
	v_add_co_u32_e32 v40, vcc, v22, v40
	v_addc_co_u32_e32 v41, vcc, v1, v41, vcc
	global_store_dwordx2 v[40:41], v[36:37], off
.LBB2202_63:                            ;   in Loop: Header=BB2202_61 Depth=1
	s_or_b64 exec, exec, s[8:9]
	v_add_u32_e32 v34, 0x400, v32
	v_cmp_gt_u32_e32 vcc, s7, v34
	s_and_saveexec_b64 s[8:9], vcc
	s_cbranch_execz .LBB2202_60
; %bb.64:                               ;   in Loop: Header=BB2202_61 Depth=1
	ds_read_b64 v[36:37], v24 offset:8192
	s_waitcnt lgkmcnt(0)
	v_lshrrev_b64 v[40:41], s20, v[36:37]
	v_and_b32_e32 v34, s30, v40
	v_lshlrev_b32_e32 v34, 3, v34
	ds_read_b64 v[40:41], v34
	v_xor_b32_e32 v37, 0x7fffffff, v37
	v_not_b32_e32 v36, v36
	s_waitcnt lgkmcnt(0)
	v_lshlrev_b64 v[40:41], 3, v[40:41]
	v_add_co_u32_e32 v34, vcc, v22, v40
	v_addc_co_u32_e32 v39, vcc, v1, v41, vcc
	v_add_co_u32_e32 v40, vcc, 0x2000, v34
	v_addc_co_u32_e32 v41, vcc, 0, v39, vcc
	global_store_dwordx2 v[40:41], v[36:37], off
	s_branch .LBB2202_60
.LBB2202_65:
	s_mov_b64 s[2:3], 0
                                        ; implicit-def: $vgpr18_vgpr19
                                        ; implicit-def: $vgpr38
	s_cbranch_execnz .LBB2202_67
	s_branch .LBB2202_108
.LBB2202_66:
	s_add_i32 s29, s29, -1
	s_cmp_eq_u32 s29, s28
	s_cselect_b64 s[8:9], -1, 0
	s_and_b64 s[2:3], s[2:3], s[8:9]
	s_branch .LBB2202_108
.LBB2202_67:
	s_lshl_b32 s2, s28, 13
	s_mov_b32 s3, 0
	v_mbcnt_hi_u32_b32 v3, -1, v29
	s_lshl_b64 s[2:3], s[2:3], 3
	v_and_b32_e32 v1, 63, v3
	s_add_u32 s2, s24, s2
	v_lshlrev_b32_e32 v1, 3, v1
	v_add_co_u32_e32 v1, vcc, s2, v1
	s_load_dword s12, s[4:5], 0x58
	s_load_dword s2, s[4:5], 0x64
	s_addc_u32 s3, s25, s3
	v_mov_b32_e32 v4, s3
	v_lshlrev_b32_e32 v5, 6, v2
	v_addc_co_u32_e32 v4, vcc, 0, v4, vcc
	v_and_b32_e32 v5, 0xf000, v5
	s_add_u32 s3, s4, 0x58
	v_add_co_u32_e32 v20, vcc, v1, v5
	s_addc_u32 s4, s5, 0
	s_waitcnt lgkmcnt(0)
	s_lshr_b32 s5, s2, 16
	v_addc_co_u32_e32 v21, vcc, 0, v4, vcc
	s_cmp_lt_u32 s6, s12
	global_load_dwordx2 v[24:25], v[20:21], off
	s_cselect_b32 s2, 12, 18
	s_add_u32 s2, s3, s2
	v_mov_b32_e32 v6, 0
	s_addc_u32 s3, s4, 0
	global_load_ushort v7, v6, s[2:3]
	v_mul_u32_u24_e32 v4, 5, v2
	v_lshlrev_b32_e32 v22, 2, v4
	ds_write2_b32 v22, v6, v6 offset0:16 offset1:17
	ds_write2_b32 v22, v6, v6 offset0:18 offset1:19
	ds_write_b32 v22, v6 offset:80
	global_load_dwordx2 v[4:5], v[20:21], off offset:512
	global_load_dwordx2 v[18:19], v[20:21], off offset:1024
	;; [unrolled: 1-line block ×7, first 2 shown]
	v_bfe_u32 v1, v0, 10, 10
	v_bfe_u32 v0, v0, 20, 10
	v_mad_u32_u24 v23, v0, s5, v1
	s_lshl_b32 s2, -1, s21
	s_not_b32 s13, s2
	s_waitcnt lgkmcnt(0)
	s_barrier
	s_waitcnt lgkmcnt(0)
	; wave barrier
	s_waitcnt vmcnt(8)
	v_xor_b32_e32 v1, 0x7fffffff, v25
	v_not_b32_e32 v0, v24
	v_lshrrev_b64 v[20:21], s20, v[0:1]
	v_and_b32_e32 v24, s13, v20
	s_waitcnt vmcnt(7)
	v_mad_u64_u32 v[20:21], s[2:3], v23, v7, v[2:3]
	v_and_b32_e32 v23, 1, v24
	v_lshrrev_b32_e32 v25, 6, v20
	v_add_co_u32_e32 v20, vcc, -1, v23
	v_lshlrev_b32_e32 v7, 30, v24
	v_addc_co_u32_e64 v26, s[2:3], 0, -1, vcc
	v_lshl_add_u32 v21, v24, 4, v24
	v_cmp_ne_u32_e32 vcc, 0, v23
	v_cmp_gt_i64_e64 s[2:3], 0, v[6:7]
	v_not_b32_e32 v27, v7
	v_lshlrev_b32_e32 v7, 29, v24
	v_add_lshl_u32 v23, v25, v21, 2
	v_xor_b32_e32 v21, vcc_hi, v26
	v_xor_b32_e32 v20, vcc_lo, v20
	v_ashrrev_i32_e32 v26, 31, v27
	v_cmp_gt_i64_e32 vcc, 0, v[6:7]
	v_not_b32_e32 v27, v7
	v_lshlrev_b32_e32 v7, 28, v24
	v_and_b32_e32 v21, exec_hi, v21
	v_and_b32_e32 v20, exec_lo, v20
	v_xor_b32_e32 v29, s3, v26
	v_xor_b32_e32 v26, s2, v26
	v_ashrrev_i32_e32 v27, 31, v27
	v_cmp_gt_i64_e64 s[2:3], 0, v[6:7]
	v_not_b32_e32 v30, v7
	v_lshlrev_b32_e32 v7, 27, v24
	v_and_b32_e32 v21, v21, v29
	v_and_b32_e32 v20, v20, v26
	v_xor_b32_e32 v26, vcc_hi, v27
	v_xor_b32_e32 v27, vcc_lo, v27
	v_ashrrev_i32_e32 v29, 31, v30
	v_cmp_gt_i64_e32 vcc, 0, v[6:7]
	v_not_b32_e32 v7, v7
	v_and_b32_e32 v21, v21, v26
	v_and_b32_e32 v20, v20, v27
	v_xor_b32_e32 v26, s3, v29
	v_xor_b32_e32 v27, s2, v29
	v_ashrrev_i32_e32 v7, 31, v7
	v_and_b32_e32 v21, v21, v26
	v_and_b32_e32 v20, v20, v27
	v_xor_b32_e32 v26, vcc_hi, v7
	v_xor_b32_e32 v7, vcc_lo, v7
	v_and_b32_e32 v20, v20, v7
	v_lshlrev_b32_e32 v7, 26, v24
	v_cmp_gt_i64_e32 vcc, 0, v[6:7]
	v_not_b32_e32 v7, v7
	v_ashrrev_i32_e32 v7, 31, v7
	v_and_b32_e32 v21, v21, v26
	v_xor_b32_e32 v26, vcc_hi, v7
	v_xor_b32_e32 v7, vcc_lo, v7
	v_and_b32_e32 v20, v20, v7
	v_lshlrev_b32_e32 v7, 25, v24
	v_cmp_gt_i64_e32 vcc, 0, v[6:7]
	v_not_b32_e32 v7, v7
	v_ashrrev_i32_e32 v7, 31, v7
	v_and_b32_e32 v21, v21, v26
	v_xor_b32_e32 v26, vcc_hi, v7
	v_xor_b32_e32 v7, vcc_lo, v7
	v_and_b32_e32 v20, v20, v7
	v_lshlrev_b32_e32 v7, 24, v24
	v_cmp_gt_i64_e32 vcc, 0, v[6:7]
	v_not_b32_e32 v7, v7
	v_ashrrev_i32_e32 v7, 31, v7
	v_xor_b32_e32 v24, vcc_hi, v7
	v_xor_b32_e32 v7, vcc_lo, v7
	v_and_b32_e32 v21, v21, v26
	v_and_b32_e32 v20, v20, v7
	;; [unrolled: 1-line block ×3, first 2 shown]
	v_mbcnt_lo_u32_b32 v7, v20, 0
	v_mbcnt_hi_u32_b32 v26, v21, v7
	v_cmp_eq_u32_e32 vcc, 0, v26
	v_cmp_ne_u64_e64 s[2:3], 0, v[20:21]
	s_and_b64 s[4:5], s[2:3], vcc
	s_and_saveexec_b64 s[2:3], s[4:5]
	s_cbranch_execz .LBB2202_69
; %bb.68:
	v_bcnt_u32_b32 v7, v20, 0
	v_bcnt_u32_b32 v7, v21, v7
	ds_write_b32 v23, v7 offset:64
.LBB2202_69:
	s_or_b64 exec, exec, s[2:3]
	s_waitcnt vmcnt(6)
	v_xor_b32_e32 v5, 0x7fffffff, v5
	v_not_b32_e32 v4, v4
	v_lshrrev_b64 v[20:21], s20, v[4:5]
	v_and_b32_e32 v20, s13, v20
	v_lshl_add_u32 v7, v20, 4, v20
	v_add_lshl_u32 v24, v25, v7, 2
	v_and_b32_e32 v7, 1, v20
	v_add_co_u32_e32 v21, vcc, -1, v7
	v_addc_co_u32_e64 v29, s[2:3], 0, -1, vcc
	v_cmp_ne_u32_e32 vcc, 0, v7
	v_xor_b32_e32 v7, vcc_hi, v29
	v_and_b32_e32 v29, exec_hi, v7
	v_lshlrev_b32_e32 v7, 30, v20
	v_xor_b32_e32 v21, vcc_lo, v21
	v_cmp_gt_i64_e32 vcc, 0, v[6:7]
	v_not_b32_e32 v7, v7
	v_ashrrev_i32_e32 v7, 31, v7
	v_and_b32_e32 v21, exec_lo, v21
	v_xor_b32_e32 v30, vcc_hi, v7
	v_xor_b32_e32 v7, vcc_lo, v7
	v_and_b32_e32 v21, v21, v7
	v_lshlrev_b32_e32 v7, 29, v20
	v_cmp_gt_i64_e32 vcc, 0, v[6:7]
	v_not_b32_e32 v7, v7
	v_ashrrev_i32_e32 v7, 31, v7
	v_and_b32_e32 v29, v29, v30
	v_xor_b32_e32 v30, vcc_hi, v7
	v_xor_b32_e32 v7, vcc_lo, v7
	v_and_b32_e32 v21, v21, v7
	v_lshlrev_b32_e32 v7, 28, v20
	v_cmp_gt_i64_e32 vcc, 0, v[6:7]
	v_not_b32_e32 v7, v7
	v_ashrrev_i32_e32 v7, 31, v7
	v_and_b32_e32 v29, v29, v30
	;; [unrolled: 8-line block ×5, first 2 shown]
	v_xor_b32_e32 v30, vcc_hi, v7
	v_xor_b32_e32 v7, vcc_lo, v7
	v_and_b32_e32 v21, v21, v7
	v_lshlrev_b32_e32 v7, 24, v20
	v_cmp_gt_i64_e32 vcc, 0, v[6:7]
	v_not_b32_e32 v6, v7
	v_ashrrev_i32_e32 v6, 31, v6
	v_xor_b32_e32 v7, vcc_hi, v6
	v_xor_b32_e32 v6, vcc_lo, v6
	; wave barrier
	ds_read_b32 v27, v24 offset:64
	v_and_b32_e32 v29, v29, v30
	v_and_b32_e32 v6, v21, v6
	;; [unrolled: 1-line block ×3, first 2 shown]
	v_mbcnt_lo_u32_b32 v20, v6, 0
	v_mbcnt_hi_u32_b32 v29, v7, v20
	v_cmp_eq_u32_e32 vcc, 0, v29
	v_cmp_ne_u64_e64 s[2:3], 0, v[6:7]
	s_and_b64 s[4:5], s[2:3], vcc
	; wave barrier
	s_and_saveexec_b64 s[2:3], s[4:5]
	s_cbranch_execz .LBB2202_71
; %bb.70:
	v_bcnt_u32_b32 v6, v6, 0
	v_bcnt_u32_b32 v6, v7, v6
	s_waitcnt lgkmcnt(0)
	v_add_u32_e32 v6, v27, v6
	ds_write_b32 v24, v6 offset:64
.LBB2202_71:
	s_or_b64 exec, exec, s[2:3]
	s_waitcnt vmcnt(5)
	v_xor_b32_e32 v7, 0x7fffffff, v19
	v_not_b32_e32 v6, v18
	v_lshrrev_b64 v[18:19], s20, v[6:7]
	v_and_b32_e32 v20, s13, v18
	v_and_b32_e32 v19, 1, v20
	v_add_co_u32_e32 v21, vcc, -1, v19
	v_addc_co_u32_e64 v31, s[2:3], 0, -1, vcc
	v_cmp_ne_u32_e32 vcc, 0, v19
	v_lshl_add_u32 v18, v20, 4, v20
	v_xor_b32_e32 v19, vcc_hi, v31
	v_add_lshl_u32 v34, v25, v18, 2
	v_mov_b32_e32 v18, 0
	v_and_b32_e32 v31, exec_hi, v19
	v_lshlrev_b32_e32 v19, 30, v20
	v_xor_b32_e32 v21, vcc_lo, v21
	v_cmp_gt_i64_e32 vcc, 0, v[18:19]
	v_not_b32_e32 v19, v19
	v_ashrrev_i32_e32 v19, 31, v19
	v_and_b32_e32 v21, exec_lo, v21
	v_xor_b32_e32 v32, vcc_hi, v19
	v_xor_b32_e32 v19, vcc_lo, v19
	v_and_b32_e32 v21, v21, v19
	v_lshlrev_b32_e32 v19, 29, v20
	v_cmp_gt_i64_e32 vcc, 0, v[18:19]
	v_not_b32_e32 v19, v19
	v_ashrrev_i32_e32 v19, 31, v19
	v_and_b32_e32 v31, v31, v32
	v_xor_b32_e32 v32, vcc_hi, v19
	v_xor_b32_e32 v19, vcc_lo, v19
	v_and_b32_e32 v21, v21, v19
	v_lshlrev_b32_e32 v19, 28, v20
	v_cmp_gt_i64_e32 vcc, 0, v[18:19]
	v_not_b32_e32 v19, v19
	v_ashrrev_i32_e32 v19, 31, v19
	v_and_b32_e32 v31, v31, v32
	;; [unrolled: 8-line block ×5, first 2 shown]
	v_xor_b32_e32 v32, vcc_hi, v19
	v_xor_b32_e32 v19, vcc_lo, v19
	v_and_b32_e32 v31, v31, v32
	v_and_b32_e32 v32, v21, v19
	v_lshlrev_b32_e32 v19, 24, v20
	v_cmp_gt_i64_e32 vcc, 0, v[18:19]
	v_not_b32_e32 v19, v19
	v_ashrrev_i32_e32 v19, 31, v19
	v_xor_b32_e32 v20, vcc_hi, v19
	v_xor_b32_e32 v19, vcc_lo, v19
	; wave barrier
	ds_read_b32 v30, v34 offset:64
	v_and_b32_e32 v21, v31, v20
	v_and_b32_e32 v20, v32, v19
	v_mbcnt_lo_u32_b32 v19, v20, 0
	v_mbcnt_hi_u32_b32 v31, v21, v19
	v_cmp_eq_u32_e32 vcc, 0, v31
	v_cmp_ne_u64_e64 s[2:3], 0, v[20:21]
	s_and_b64 s[4:5], s[2:3], vcc
	; wave barrier
	s_and_saveexec_b64 s[2:3], s[4:5]
	s_cbranch_execz .LBB2202_73
; %bb.72:
	v_bcnt_u32_b32 v19, v20, 0
	v_bcnt_u32_b32 v19, v21, v19
	s_waitcnt lgkmcnt(0)
	v_add_u32_e32 v19, v30, v19
	ds_write_b32 v34, v19 offset:64
.LBB2202_73:
	s_or_b64 exec, exec, s[2:3]
	s_waitcnt vmcnt(4)
	v_xor_b32_e32 v9, 0x7fffffff, v9
	v_not_b32_e32 v8, v8
	v_lshrrev_b64 v[20:21], s20, v[8:9]
	v_and_b32_e32 v20, s13, v20
	v_lshl_add_u32 v19, v20, 4, v20
	v_add_lshl_u32 v37, v25, v19, 2
	v_and_b32_e32 v19, 1, v20
	v_add_co_u32_e32 v21, vcc, -1, v19
	v_addc_co_u32_e64 v33, s[2:3], 0, -1, vcc
	v_cmp_ne_u32_e32 vcc, 0, v19
	v_xor_b32_e32 v19, vcc_hi, v33
	v_and_b32_e32 v33, exec_hi, v19
	v_lshlrev_b32_e32 v19, 30, v20
	v_xor_b32_e32 v21, vcc_lo, v21
	v_cmp_gt_i64_e32 vcc, 0, v[18:19]
	v_not_b32_e32 v19, v19
	v_ashrrev_i32_e32 v19, 31, v19
	v_and_b32_e32 v21, exec_lo, v21
	v_xor_b32_e32 v35, vcc_hi, v19
	v_xor_b32_e32 v19, vcc_lo, v19
	v_and_b32_e32 v21, v21, v19
	v_lshlrev_b32_e32 v19, 29, v20
	v_cmp_gt_i64_e32 vcc, 0, v[18:19]
	v_not_b32_e32 v19, v19
	v_ashrrev_i32_e32 v19, 31, v19
	v_and_b32_e32 v33, v33, v35
	v_xor_b32_e32 v35, vcc_hi, v19
	v_xor_b32_e32 v19, vcc_lo, v19
	v_and_b32_e32 v21, v21, v19
	v_lshlrev_b32_e32 v19, 28, v20
	v_cmp_gt_i64_e32 vcc, 0, v[18:19]
	v_not_b32_e32 v19, v19
	v_ashrrev_i32_e32 v19, 31, v19
	v_and_b32_e32 v33, v33, v35
	;; [unrolled: 8-line block ×5, first 2 shown]
	v_xor_b32_e32 v35, vcc_hi, v19
	v_xor_b32_e32 v19, vcc_lo, v19
	v_and_b32_e32 v21, v21, v19
	v_lshlrev_b32_e32 v19, 24, v20
	v_cmp_gt_i64_e32 vcc, 0, v[18:19]
	v_not_b32_e32 v18, v19
	v_ashrrev_i32_e32 v18, 31, v18
	v_xor_b32_e32 v19, vcc_hi, v18
	v_xor_b32_e32 v18, vcc_lo, v18
	; wave barrier
	ds_read_b32 v32, v37 offset:64
	v_and_b32_e32 v33, v33, v35
	v_and_b32_e32 v18, v21, v18
	;; [unrolled: 1-line block ×3, first 2 shown]
	v_mbcnt_lo_u32_b32 v20, v18, 0
	v_mbcnt_hi_u32_b32 v33, v19, v20
	v_cmp_eq_u32_e32 vcc, 0, v33
	v_cmp_ne_u64_e64 s[2:3], 0, v[18:19]
	s_and_b64 s[4:5], s[2:3], vcc
	; wave barrier
	s_and_saveexec_b64 s[2:3], s[4:5]
	s_cbranch_execz .LBB2202_75
; %bb.74:
	v_bcnt_u32_b32 v18, v18, 0
	v_bcnt_u32_b32 v18, v19, v18
	s_waitcnt lgkmcnt(0)
	v_add_u32_e32 v18, v32, v18
	ds_write_b32 v37, v18 offset:64
.LBB2202_75:
	s_or_b64 exec, exec, s[2:3]
	s_waitcnt vmcnt(3)
	v_xor_b32_e32 v11, 0x7fffffff, v11
	v_not_b32_e32 v10, v10
	v_lshrrev_b64 v[18:19], s20, v[10:11]
	v_and_b32_e32 v20, s13, v18
	v_and_b32_e32 v19, 1, v20
	v_add_co_u32_e32 v21, vcc, -1, v19
	v_addc_co_u32_e64 v36, s[2:3], 0, -1, vcc
	v_cmp_ne_u32_e32 vcc, 0, v19
	v_lshl_add_u32 v18, v20, 4, v20
	v_xor_b32_e32 v19, vcc_hi, v36
	v_add_lshl_u32 v38, v25, v18, 2
	v_mov_b32_e32 v18, 0
	v_and_b32_e32 v36, exec_hi, v19
	v_lshlrev_b32_e32 v19, 30, v20
	v_xor_b32_e32 v21, vcc_lo, v21
	v_cmp_gt_i64_e32 vcc, 0, v[18:19]
	v_not_b32_e32 v19, v19
	v_ashrrev_i32_e32 v19, 31, v19
	v_and_b32_e32 v21, exec_lo, v21
	v_xor_b32_e32 v39, vcc_hi, v19
	v_xor_b32_e32 v19, vcc_lo, v19
	v_and_b32_e32 v21, v21, v19
	v_lshlrev_b32_e32 v19, 29, v20
	v_cmp_gt_i64_e32 vcc, 0, v[18:19]
	v_not_b32_e32 v19, v19
	v_ashrrev_i32_e32 v19, 31, v19
	v_and_b32_e32 v36, v36, v39
	v_xor_b32_e32 v39, vcc_hi, v19
	v_xor_b32_e32 v19, vcc_lo, v19
	v_and_b32_e32 v21, v21, v19
	v_lshlrev_b32_e32 v19, 28, v20
	v_cmp_gt_i64_e32 vcc, 0, v[18:19]
	v_not_b32_e32 v19, v19
	v_ashrrev_i32_e32 v19, 31, v19
	v_and_b32_e32 v36, v36, v39
	;; [unrolled: 8-line block ×5, first 2 shown]
	v_xor_b32_e32 v39, vcc_hi, v19
	v_xor_b32_e32 v19, vcc_lo, v19
	v_and_b32_e32 v36, v36, v39
	v_and_b32_e32 v39, v21, v19
	v_lshlrev_b32_e32 v19, 24, v20
	v_cmp_gt_i64_e32 vcc, 0, v[18:19]
	v_not_b32_e32 v19, v19
	v_ashrrev_i32_e32 v19, 31, v19
	v_xor_b32_e32 v20, vcc_hi, v19
	v_xor_b32_e32 v19, vcc_lo, v19
	; wave barrier
	ds_read_b32 v35, v38 offset:64
	v_and_b32_e32 v21, v36, v20
	v_and_b32_e32 v20, v39, v19
	v_mbcnt_lo_u32_b32 v19, v20, 0
	v_mbcnt_hi_u32_b32 v36, v21, v19
	v_cmp_eq_u32_e32 vcc, 0, v36
	v_cmp_ne_u64_e64 s[2:3], 0, v[20:21]
	s_and_b64 s[4:5], s[2:3], vcc
	; wave barrier
	s_and_saveexec_b64 s[2:3], s[4:5]
	s_cbranch_execz .LBB2202_77
; %bb.76:
	v_bcnt_u32_b32 v19, v20, 0
	v_bcnt_u32_b32 v19, v21, v19
	s_waitcnt lgkmcnt(0)
	v_add_u32_e32 v19, v35, v19
	ds_write_b32 v38, v19 offset:64
.LBB2202_77:
	s_or_b64 exec, exec, s[2:3]
	s_waitcnt vmcnt(2)
	v_xor_b32_e32 v15, 0x7fffffff, v15
	v_not_b32_e32 v14, v14
	v_lshrrev_b64 v[20:21], s20, v[14:15]
	v_and_b32_e32 v20, s13, v20
	v_lshl_add_u32 v19, v20, 4, v20
	v_add_lshl_u32 v43, v25, v19, 2
	v_and_b32_e32 v19, 1, v20
	v_add_co_u32_e32 v21, vcc, -1, v19
	v_addc_co_u32_e64 v40, s[2:3], 0, -1, vcc
	v_cmp_ne_u32_e32 vcc, 0, v19
	v_xor_b32_e32 v19, vcc_hi, v40
	v_and_b32_e32 v40, exec_hi, v19
	v_lshlrev_b32_e32 v19, 30, v20
	v_xor_b32_e32 v21, vcc_lo, v21
	v_cmp_gt_i64_e32 vcc, 0, v[18:19]
	v_not_b32_e32 v19, v19
	v_ashrrev_i32_e32 v19, 31, v19
	v_and_b32_e32 v21, exec_lo, v21
	v_xor_b32_e32 v41, vcc_hi, v19
	v_xor_b32_e32 v19, vcc_lo, v19
	v_and_b32_e32 v21, v21, v19
	v_lshlrev_b32_e32 v19, 29, v20
	v_cmp_gt_i64_e32 vcc, 0, v[18:19]
	v_not_b32_e32 v19, v19
	v_ashrrev_i32_e32 v19, 31, v19
	v_and_b32_e32 v40, v40, v41
	v_xor_b32_e32 v41, vcc_hi, v19
	v_xor_b32_e32 v19, vcc_lo, v19
	v_and_b32_e32 v21, v21, v19
	v_lshlrev_b32_e32 v19, 28, v20
	v_cmp_gt_i64_e32 vcc, 0, v[18:19]
	v_not_b32_e32 v19, v19
	v_ashrrev_i32_e32 v19, 31, v19
	v_and_b32_e32 v40, v40, v41
	;; [unrolled: 8-line block ×5, first 2 shown]
	v_xor_b32_e32 v41, vcc_hi, v19
	v_xor_b32_e32 v19, vcc_lo, v19
	v_and_b32_e32 v21, v21, v19
	v_lshlrev_b32_e32 v19, 24, v20
	v_cmp_gt_i64_e32 vcc, 0, v[18:19]
	v_not_b32_e32 v18, v19
	v_ashrrev_i32_e32 v18, 31, v18
	v_xor_b32_e32 v19, vcc_hi, v18
	v_xor_b32_e32 v18, vcc_lo, v18
	; wave barrier
	ds_read_b32 v39, v43 offset:64
	v_and_b32_e32 v40, v40, v41
	v_and_b32_e32 v18, v21, v18
	;; [unrolled: 1-line block ×3, first 2 shown]
	v_mbcnt_lo_u32_b32 v20, v18, 0
	v_mbcnt_hi_u32_b32 v40, v19, v20
	v_cmp_eq_u32_e32 vcc, 0, v40
	v_cmp_ne_u64_e64 s[2:3], 0, v[18:19]
	s_and_b64 s[4:5], s[2:3], vcc
	; wave barrier
	s_and_saveexec_b64 s[2:3], s[4:5]
	s_cbranch_execz .LBB2202_79
; %bb.78:
	v_bcnt_u32_b32 v18, v18, 0
	v_bcnt_u32_b32 v18, v19, v18
	s_waitcnt lgkmcnt(0)
	v_add_u32_e32 v18, v39, v18
	ds_write_b32 v43, v18 offset:64
.LBB2202_79:
	s_or_b64 exec, exec, s[2:3]
	s_waitcnt vmcnt(1)
	v_xor_b32_e32 v17, 0x7fffffff, v17
	v_not_b32_e32 v16, v16
	v_lshrrev_b64 v[18:19], s20, v[16:17]
	v_and_b32_e32 v20, s13, v18
	v_and_b32_e32 v19, 1, v20
	v_add_co_u32_e32 v21, vcc, -1, v19
	v_addc_co_u32_e64 v42, s[2:3], 0, -1, vcc
	v_cmp_ne_u32_e32 vcc, 0, v19
	v_lshl_add_u32 v18, v20, 4, v20
	v_xor_b32_e32 v19, vcc_hi, v42
	v_add_lshl_u32 v46, v25, v18, 2
	v_mov_b32_e32 v18, 0
	v_and_b32_e32 v42, exec_hi, v19
	v_lshlrev_b32_e32 v19, 30, v20
	v_xor_b32_e32 v21, vcc_lo, v21
	v_cmp_gt_i64_e32 vcc, 0, v[18:19]
	v_not_b32_e32 v19, v19
	v_ashrrev_i32_e32 v19, 31, v19
	v_and_b32_e32 v21, exec_lo, v21
	v_xor_b32_e32 v44, vcc_hi, v19
	v_xor_b32_e32 v19, vcc_lo, v19
	v_and_b32_e32 v21, v21, v19
	v_lshlrev_b32_e32 v19, 29, v20
	v_cmp_gt_i64_e32 vcc, 0, v[18:19]
	v_not_b32_e32 v19, v19
	v_ashrrev_i32_e32 v19, 31, v19
	v_and_b32_e32 v42, v42, v44
	v_xor_b32_e32 v44, vcc_hi, v19
	v_xor_b32_e32 v19, vcc_lo, v19
	v_and_b32_e32 v21, v21, v19
	v_lshlrev_b32_e32 v19, 28, v20
	v_cmp_gt_i64_e32 vcc, 0, v[18:19]
	v_not_b32_e32 v19, v19
	v_ashrrev_i32_e32 v19, 31, v19
	v_and_b32_e32 v42, v42, v44
	;; [unrolled: 8-line block ×5, first 2 shown]
	v_xor_b32_e32 v44, vcc_hi, v19
	v_xor_b32_e32 v19, vcc_lo, v19
	v_and_b32_e32 v42, v42, v44
	v_and_b32_e32 v44, v21, v19
	v_lshlrev_b32_e32 v19, 24, v20
	v_cmp_gt_i64_e32 vcc, 0, v[18:19]
	v_not_b32_e32 v19, v19
	v_ashrrev_i32_e32 v19, 31, v19
	v_xor_b32_e32 v20, vcc_hi, v19
	v_xor_b32_e32 v19, vcc_lo, v19
	; wave barrier
	ds_read_b32 v41, v46 offset:64
	v_and_b32_e32 v21, v42, v20
	v_and_b32_e32 v20, v44, v19
	v_mbcnt_lo_u32_b32 v19, v20, 0
	v_mbcnt_hi_u32_b32 v42, v21, v19
	v_cmp_eq_u32_e32 vcc, 0, v42
	v_cmp_ne_u64_e64 s[2:3], 0, v[20:21]
	s_and_b64 s[4:5], s[2:3], vcc
	; wave barrier
	s_and_saveexec_b64 s[2:3], s[4:5]
	s_cbranch_execz .LBB2202_81
; %bb.80:
	v_bcnt_u32_b32 v19, v20, 0
	v_bcnt_u32_b32 v19, v21, v19
	s_waitcnt lgkmcnt(0)
	v_add_u32_e32 v19, v41, v19
	ds_write_b32 v46, v19 offset:64
.LBB2202_81:
	s_or_b64 exec, exec, s[2:3]
	s_waitcnt vmcnt(0)
	v_xor_b32_e32 v13, 0x7fffffff, v13
	v_not_b32_e32 v12, v12
	v_lshrrev_b64 v[20:21], s20, v[12:13]
	v_and_b32_e32 v20, s13, v20
	v_lshl_add_u32 v19, v20, 4, v20
	v_add_lshl_u32 v25, v25, v19, 2
	v_and_b32_e32 v19, 1, v20
	v_add_co_u32_e32 v21, vcc, -1, v19
	v_addc_co_u32_e64 v45, s[2:3], 0, -1, vcc
	v_cmp_ne_u32_e32 vcc, 0, v19
	v_xor_b32_e32 v19, vcc_hi, v45
	v_and_b32_e32 v45, exec_hi, v19
	v_lshlrev_b32_e32 v19, 30, v20
	v_xor_b32_e32 v21, vcc_lo, v21
	v_cmp_gt_i64_e32 vcc, 0, v[18:19]
	v_not_b32_e32 v19, v19
	v_ashrrev_i32_e32 v19, 31, v19
	v_and_b32_e32 v21, exec_lo, v21
	v_xor_b32_e32 v48, vcc_hi, v19
	v_xor_b32_e32 v19, vcc_lo, v19
	v_and_b32_e32 v21, v21, v19
	v_lshlrev_b32_e32 v19, 29, v20
	v_cmp_gt_i64_e32 vcc, 0, v[18:19]
	v_not_b32_e32 v19, v19
	v_ashrrev_i32_e32 v19, 31, v19
	v_and_b32_e32 v45, v45, v48
	v_xor_b32_e32 v48, vcc_hi, v19
	v_xor_b32_e32 v19, vcc_lo, v19
	v_and_b32_e32 v21, v21, v19
	v_lshlrev_b32_e32 v19, 28, v20
	v_cmp_gt_i64_e32 vcc, 0, v[18:19]
	v_not_b32_e32 v19, v19
	v_ashrrev_i32_e32 v19, 31, v19
	v_and_b32_e32 v45, v45, v48
	;; [unrolled: 8-line block ×5, first 2 shown]
	v_xor_b32_e32 v48, vcc_hi, v19
	v_xor_b32_e32 v19, vcc_lo, v19
	v_and_b32_e32 v21, v21, v19
	v_lshlrev_b32_e32 v19, 24, v20
	v_cmp_gt_i64_e32 vcc, 0, v[18:19]
	v_not_b32_e32 v18, v19
	v_ashrrev_i32_e32 v18, 31, v18
	v_xor_b32_e32 v19, vcc_hi, v18
	v_xor_b32_e32 v18, vcc_lo, v18
	; wave barrier
	ds_read_b32 v44, v25 offset:64
	v_and_b32_e32 v45, v45, v48
	v_and_b32_e32 v18, v21, v18
	;; [unrolled: 1-line block ×3, first 2 shown]
	v_mbcnt_lo_u32_b32 v20, v18, 0
	v_mbcnt_hi_u32_b32 v45, v19, v20
	v_cmp_eq_u32_e32 vcc, 0, v45
	v_cmp_ne_u64_e64 s[2:3], 0, v[18:19]
	v_add_u32_e32 v47, 64, v22
	s_and_b64 s[4:5], s[2:3], vcc
	; wave barrier
	s_and_saveexec_b64 s[2:3], s[4:5]
	s_cbranch_execz .LBB2202_83
; %bb.82:
	v_bcnt_u32_b32 v18, v18, 0
	v_bcnt_u32_b32 v18, v19, v18
	s_waitcnt lgkmcnt(0)
	v_add_u32_e32 v18, v44, v18
	ds_write_b32 v25, v18 offset:64
.LBB2202_83:
	s_or_b64 exec, exec, s[2:3]
	; wave barrier
	s_waitcnt lgkmcnt(0)
	s_barrier
	ds_read2_b32 v[20:21], v22 offset0:16 offset1:17
	ds_read2_b32 v[18:19], v47 offset0:2 offset1:3
	ds_read_b32 v48, v47 offset:16
	v_cmp_lt_u32_e64 s[8:9], 31, v3
	s_waitcnt lgkmcnt(1)
	v_add3_u32 v49, v21, v20, v18
	s_waitcnt lgkmcnt(0)
	v_add3_u32 v48, v49, v19, v48
	v_and_b32_e32 v49, 15, v3
	v_cmp_eq_u32_e32 vcc, 0, v49
	v_mov_b32_dpp v50, v48 row_shr:1 row_mask:0xf bank_mask:0xf
	v_cndmask_b32_e64 v50, v50, 0, vcc
	v_add_u32_e32 v48, v50, v48
	v_cmp_lt_u32_e64 s[2:3], 1, v49
	v_cmp_lt_u32_e64 s[4:5], 3, v49
	v_mov_b32_dpp v50, v48 row_shr:2 row_mask:0xf bank_mask:0xf
	v_cndmask_b32_e64 v50, 0, v50, s[2:3]
	v_add_u32_e32 v48, v48, v50
	v_cmp_lt_u32_e64 s[6:7], 7, v49
	s_nop 0
	v_mov_b32_dpp v50, v48 row_shr:4 row_mask:0xf bank_mask:0xf
	v_cndmask_b32_e64 v50, 0, v50, s[4:5]
	v_add_u32_e32 v48, v48, v50
	s_nop 1
	v_mov_b32_dpp v50, v48 row_shr:8 row_mask:0xf bank_mask:0xf
	v_cndmask_b32_e64 v49, 0, v50, s[6:7]
	v_add_u32_e32 v48, v48, v49
	v_bfe_i32 v50, v3, 4, 1
	s_nop 0
	v_mov_b32_dpp v49, v48 row_bcast:15 row_mask:0xf bank_mask:0xf
	v_and_b32_e32 v49, v50, v49
	v_add_u32_e32 v48, v48, v49
	v_and_b32_e32 v50, 63, v2
	s_nop 0
	v_mov_b32_dpp v49, v48 row_bcast:31 row_mask:0xf bank_mask:0xf
	v_cndmask_b32_e64 v49, 0, v49, s[8:9]
	v_add_u32_e32 v48, v48, v49
	v_lshrrev_b32_e32 v49, 6, v2
	v_cmp_eq_u32_e64 s[8:9], 63, v50
	s_and_saveexec_b64 s[10:11], s[8:9]
	s_cbranch_execz .LBB2202_85
; %bb.84:
	v_lshlrev_b32_e32 v50, 2, v49
	ds_write_b32 v50, v48
.LBB2202_85:
	s_or_b64 exec, exec, s[10:11]
	v_cmp_gt_u32_e64 s[8:9], 16, v2
	s_waitcnt lgkmcnt(0)
	s_barrier
	s_and_saveexec_b64 s[10:11], s[8:9]
	s_cbranch_execz .LBB2202_87
; %bb.86:
	v_lshlrev_b32_e32 v50, 2, v2
	ds_read_b32 v51, v50
	s_waitcnt lgkmcnt(0)
	s_nop 0
	v_mov_b32_dpp v52, v51 row_shr:1 row_mask:0xf bank_mask:0xf
	v_cndmask_b32_e64 v52, v52, 0, vcc
	v_add_u32_e32 v51, v52, v51
	s_nop 1
	v_mov_b32_dpp v52, v51 row_shr:2 row_mask:0xf bank_mask:0xf
	v_cndmask_b32_e64 v52, 0, v52, s[2:3]
	v_add_u32_e32 v51, v51, v52
	s_nop 1
	v_mov_b32_dpp v52, v51 row_shr:4 row_mask:0xf bank_mask:0xf
	v_cndmask_b32_e64 v52, 0, v52, s[4:5]
	;; [unrolled: 4-line block ×3, first 2 shown]
	v_add_u32_e32 v51, v51, v52
	ds_write_b32 v50, v51
.LBB2202_87:
	s_or_b64 exec, exec, s[10:11]
	v_cmp_lt_u32_e32 vcc, 63, v2
	v_mov_b32_e32 v50, 0
	s_waitcnt lgkmcnt(0)
	s_barrier
	s_and_saveexec_b64 s[2:3], vcc
	s_cbranch_execz .LBB2202_89
; %bb.88:
	v_lshl_add_u32 v49, v49, 2, -4
	ds_read_b32 v50, v49
.LBB2202_89:
	s_or_b64 exec, exec, s[2:3]
	v_add_u32_e32 v49, -1, v3
	v_and_b32_e32 v51, 64, v3
	v_cmp_lt_i32_e32 vcc, v49, v51
	v_cndmask_b32_e32 v49, v49, v3, vcc
	s_waitcnt lgkmcnt(0)
	v_add_u32_e32 v48, v50, v48
	v_lshlrev_b32_e32 v49, 2, v49
	ds_bpermute_b32 v48, v49, v48
	v_cmp_eq_u32_e32 vcc, 0, v3
	s_movk_i32 s2, 0xff
	s_waitcnt lgkmcnt(0)
	v_cndmask_b32_e32 v3, v48, v50, vcc
	v_cndmask_b32_e64 v3, v3, 0, s[0:1]
	v_add_u32_e32 v20, v3, v20
	v_add_u32_e32 v21, v20, v21
	;; [unrolled: 1-line block ×4, first 2 shown]
	ds_write2_b32 v22, v3, v20 offset0:16 offset1:17
	ds_write2_b32 v47, v21, v18 offset0:2 offset1:3
	ds_write_b32 v47, v19 offset:16
	s_waitcnt lgkmcnt(0)
	s_barrier
	ds_read_b32 v49, v23 offset:64
	ds_read_b32 v47, v24 offset:64
	;; [unrolled: 1-line block ×8, first 2 shown]
	s_movk_i32 s0, 0x100
	v_cmp_lt_u32_e32 vcc, s2, v2
	v_cmp_gt_u32_e64 s[0:1], s0, v2
	v_pk_mov_b32 v[18:19], 0, 0
                                        ; implicit-def: $vgpr38
	s_and_saveexec_b64 s[4:5], s[0:1]
	s_cbranch_execz .LBB2202_93
; %bb.90:
	v_mul_u32_u24_e32 v3, 17, v2
	v_lshlrev_b32_e32 v19, 2, v3
	ds_read_b32 v18, v19 offset:64
	v_cmp_ne_u32_e64 s[2:3], s2, v2
	v_mov_b32_e32 v3, 0x2000
	s_and_saveexec_b64 s[6:7], s[2:3]
	s_cbranch_execz .LBB2202_92
; %bb.91:
	ds_read_b32 v3, v19 offset:132
.LBB2202_92:
	s_or_b64 exec, exec, s[6:7]
	s_waitcnt lgkmcnt(0)
	v_sub_u32_e32 v38, v3, v18
	v_mov_b32_e32 v19, 0
.LBB2202_93:
	s_or_b64 exec, exec, s[4:5]
	s_waitcnt lgkmcnt(0)
	s_barrier
	s_and_saveexec_b64 s[2:3], vcc
	s_xor_b64 s[2:3], exec, s[2:3]
; %bb.94:
	v_mov_b32_e32 v3, 0
; %bb.95:
	s_andn2_saveexec_b64 s[2:3], s[2:3]
	s_cbranch_execz .LBB2202_105
; %bb.96:
	v_lshl_or_b32 v20, s28, 8, v2
	v_mov_b32_e32 v21, 0
	v_lshlrev_b64 v[22:23], 2, v[20:21]
	v_mov_b32_e32 v3, s15
	v_add_co_u32_e32 v22, vcc, s14, v22
	v_addc_co_u32_e32 v23, vcc, v3, v23, vcc
	v_or_b32_e32 v20, 2.0, v38
	s_mov_b64 s[4:5], 0
	s_brev_b32 s10, 1
	s_mov_b32 s11, s28
	v_mov_b32_e32 v51, 0
	global_store_dword v[22:23], v20, off
                                        ; implicit-def: $sgpr6_sgpr7
	s_branch .LBB2202_99
.LBB2202_97:                            ;   in Loop: Header=BB2202_99 Depth=1
	s_or_b64 exec, exec, s[8:9]
.LBB2202_98:                            ;   in Loop: Header=BB2202_99 Depth=1
	s_or_b64 exec, exec, s[6:7]
	v_and_b32_e32 v24, 0x3fffffff, v52
	v_add_u32_e32 v51, v24, v51
	v_cmp_eq_u32_e64 s[6:7], s10, v20
	s_and_b64 s[8:9], exec, s[6:7]
	s_or_b64 s[4:5], s[8:9], s[4:5]
	s_andn2_b64 exec, exec, s[4:5]
	s_cbranch_execz .LBB2202_104
.LBB2202_99:                            ; =>This Loop Header: Depth=1
                                        ;     Child Loop BB2202_102 Depth 2
	s_or_b64 s[6:7], s[6:7], exec
	s_cmp_eq_u32 s11, 0
	s_cbranch_scc1 .LBB2202_103
; %bb.100:                              ;   in Loop: Header=BB2202_99 Depth=1
	s_add_i32 s11, s11, -1
	v_lshl_or_b32 v20, s11, 8, v2
	v_lshlrev_b64 v[24:25], 2, v[20:21]
	v_add_co_u32_e32 v24, vcc, s14, v24
	v_addc_co_u32_e32 v25, vcc, v3, v25, vcc
	global_load_dword v52, v[24:25], off glc
	s_waitcnt vmcnt(0)
	v_and_b32_e32 v20, -2.0, v52
	v_cmp_eq_u32_e32 vcc, 0, v20
	s_and_saveexec_b64 s[6:7], vcc
	s_cbranch_execz .LBB2202_98
; %bb.101:                              ;   in Loop: Header=BB2202_99 Depth=1
	s_mov_b64 s[8:9], 0
.LBB2202_102:                           ;   Parent Loop BB2202_99 Depth=1
                                        ; =>  This Inner Loop Header: Depth=2
	global_load_dword v52, v[24:25], off glc
	s_waitcnt vmcnt(0)
	v_and_b32_e32 v20, -2.0, v52
	v_cmp_ne_u32_e32 vcc, 0, v20
	s_or_b64 s[8:9], vcc, s[8:9]
	s_andn2_b64 exec, exec, s[8:9]
	s_cbranch_execnz .LBB2202_102
	s_branch .LBB2202_97
.LBB2202_103:                           ;   in Loop: Header=BB2202_99 Depth=1
                                        ; implicit-def: $sgpr11
	s_and_b64 s[8:9], exec, s[6:7]
	s_or_b64 s[4:5], s[8:9], s[4:5]
	s_andn2_b64 exec, exec, s[4:5]
	s_cbranch_execnz .LBB2202_99
.LBB2202_104:
	s_or_b64 exec, exec, s[4:5]
	v_add_u32_e32 v3, v51, v38
	v_or_b32_e32 v3, 0x80000000, v3
	global_store_dword v[22:23], v3, off
	global_load_dwordx2 v[20:21], v28, s[16:17]
	v_sub_co_u32_e32 v22, vcc, v51, v18
	v_subb_co_u32_e32 v23, vcc, 0, v19, vcc
	v_mov_b32_e32 v3, 0
	s_waitcnt vmcnt(0)
	v_add_co_u32_e32 v20, vcc, v22, v20
	v_addc_co_u32_e32 v21, vcc, v23, v21, vcc
	ds_write_b64 v28, v[20:21]
.LBB2202_105:
	s_or_b64 exec, exec, s[2:3]
	v_lshlrev_b64 v[20:21], 3, v[2:3]
	v_add3_u32 v27, v29, v47, v27
	v_mov_b32_e32 v29, s27
	v_add_co_u32_e32 v20, vcc, s26, v20
	v_add_u32_e32 v22, v49, v26
	v_add_u32_e32 v23, 0x800, v28
	v_add3_u32 v24, v45, v50, v44
	v_add3_u32 v25, v42, v46, v41
	v_add3_u32 v26, v40, v43, v39
	v_add3_u32 v35, v36, v48, v35
	v_add3_u32 v32, v33, v37, v32
	v_add3_u32 v30, v31, v34, v30
	v_addc_co_u32_e32 v21, vcc, v29, v21, vcc
	s_mov_b32 s2, 0
.LBB2202_106:                           ; =>This Inner Loop Header: Depth=1
	v_add_u32_e32 v29, s2, v22
	v_add_u32_e32 v36, s2, v35
	;; [unrolled: 1-line block ×8, first 2 shown]
	v_min_u32_e32 v29, 0x800, v29
	v_min_u32_e32 v36, 0x800, v36
	;; [unrolled: 1-line block ×8, first 2 shown]
	v_lshlrev_b32_e32 v29, 3, v29
	v_lshlrev_b32_e32 v36, 3, v36
	;; [unrolled: 1-line block ×8, first 2 shown]
	ds_write_b64 v29, v[0:1] offset:2048
	ds_write_b64 v31, v[4:5] offset:2048
	;; [unrolled: 1-line block ×8, first 2 shown]
	s_waitcnt lgkmcnt(0)
	s_barrier
	ds_read_b64 v[36:37], v28 offset:2048
	s_addk_i32 s2, 0xf800
	s_cmpk_lg_i32 s2, 0xe000
	s_waitcnt lgkmcnt(0)
	v_lshrrev_b64 v[40:41], s20, v[36:37]
	v_and_b32_e32 v29, s13, v40
	v_lshlrev_b32_e32 v29, 3, v29
	ds_read_b64 v[40:41], v29
	ds_read_b64 v[42:43], v23 offset:8192
	v_xor_b32_e32 v37, 0x7fffffff, v37
	v_xor_b32_e32 v36, -1, v36
	s_waitcnt lgkmcnt(1)
	v_lshlrev_b64 v[40:41], 3, v[40:41]
	s_waitcnt lgkmcnt(0)
	v_lshrrev_b64 v[44:45], s20, v[42:43]
	v_add_co_u32_e32 v40, vcc, v20, v40
	v_and_b32_e32 v29, s13, v44
	v_addc_co_u32_e32 v41, vcc, v21, v41, vcc
	v_lshlrev_b32_e32 v29, 3, v29
	global_store_dwordx2 v[40:41], v[36:37], off
	ds_read_b64 v[36:37], v29
	v_xor_b32_e32 v43, 0x7fffffff, v43
	v_xor_b32_e32 v42, -1, v42
	s_waitcnt lgkmcnt(0)
	v_lshlrev_b64 v[36:37], 3, v[36:37]
	v_add_co_u32_e32 v29, vcc, v20, v36
	v_addc_co_u32_e32 v31, vcc, v21, v37, vcc
	v_add_co_u32_e32 v36, vcc, 0x2000, v29
	v_addc_co_u32_e32 v37, vcc, 0, v31, vcc
	;; [unrolled: 2-line block ×3, first 2 shown]
	global_store_dwordx2 v[36:37], v[42:43], off
	s_barrier
	s_cbranch_scc1 .LBB2202_106
; %bb.107:
	s_add_i32 s12, s12, -1
	s_cmp_eq_u32 s12, s28
	s_cselect_b64 s[2:3], -1, 0
	s_and_b64 s[2:3], s[0:1], s[2:3]
.LBB2202_108:
	s_and_saveexec_b64 s[0:1], s[2:3]
	s_cbranch_execnz .LBB2202_110
; %bb.109:
	s_endpgm
.LBB2202_110:
	v_lshlrev_b64 v[0:1], 3, v[2:3]
	ds_read_b64 v[2:3], v28
	v_add_co_u32_e32 v4, vcc, v18, v38
	v_addc_co_u32_e32 v5, vcc, 0, v19, vcc
	v_mov_b32_e32 v6, s19
	v_add_co_u32_e32 v0, vcc, s18, v0
	v_addc_co_u32_e32 v1, vcc, v6, v1, vcc
	s_waitcnt lgkmcnt(0)
	v_add_co_u32_e32 v2, vcc, v4, v2
	v_addc_co_u32_e32 v3, vcc, v5, v3, vcc
	global_store_dwordx2 v[0:1], v[2:3], off
	s_endpgm
	.section	.rodata,"a",@progbits
	.p2align	6, 0x0
	.amdhsa_kernel _ZN7rocprim17ROCPRIM_400000_NS6detail17trampoline_kernelINS0_14default_configENS1_35radix_sort_onesweep_config_selectorIlNS0_10empty_typeEEEZZNS1_29radix_sort_onesweep_iterationIS3_Lb1EPlS8_PS5_S9_mNS0_19identity_decomposerENS1_16block_id_wrapperIjLb1EEEEE10hipError_tT1_PNSt15iterator_traitsISE_E10value_typeET2_T3_PNSF_ISK_E10value_typeET4_T5_PSP_SQ_PNS1_23onesweep_lookback_stateEbbT6_jjT7_P12ihipStream_tbENKUlT_T0_SE_SJ_E_clIS8_S8_S9_S9_EEDaSX_SY_SE_SJ_EUlSX_E_NS1_11comp_targetILNS1_3genE4ELNS1_11target_archE910ELNS1_3gpuE8ELNS1_3repE0EEENS1_47radix_sort_onesweep_sort_config_static_selectorELNS0_4arch9wavefront6targetE1EEEvSE_
		.amdhsa_group_segment_fixed_size 20552
		.amdhsa_private_segment_fixed_size 0
		.amdhsa_kernarg_size 344
		.amdhsa_user_sgpr_count 6
		.amdhsa_user_sgpr_private_segment_buffer 1
		.amdhsa_user_sgpr_dispatch_ptr 0
		.amdhsa_user_sgpr_queue_ptr 0
		.amdhsa_user_sgpr_kernarg_segment_ptr 1
		.amdhsa_user_sgpr_dispatch_id 0
		.amdhsa_user_sgpr_flat_scratch_init 0
		.amdhsa_user_sgpr_kernarg_preload_length 0
		.amdhsa_user_sgpr_kernarg_preload_offset 0
		.amdhsa_user_sgpr_private_segment_size 0
		.amdhsa_uses_dynamic_stack 0
		.amdhsa_system_sgpr_private_segment_wavefront_offset 0
		.amdhsa_system_sgpr_workgroup_id_x 1
		.amdhsa_system_sgpr_workgroup_id_y 0
		.amdhsa_system_sgpr_workgroup_id_z 0
		.amdhsa_system_sgpr_workgroup_info 0
		.amdhsa_system_vgpr_workitem_id 2
		.amdhsa_next_free_vgpr 55
		.amdhsa_next_free_sgpr 34
		.amdhsa_accum_offset 56
		.amdhsa_reserve_vcc 1
		.amdhsa_reserve_flat_scratch 0
		.amdhsa_float_round_mode_32 0
		.amdhsa_float_round_mode_16_64 0
		.amdhsa_float_denorm_mode_32 3
		.amdhsa_float_denorm_mode_16_64 3
		.amdhsa_dx10_clamp 1
		.amdhsa_ieee_mode 1
		.amdhsa_fp16_overflow 0
		.amdhsa_tg_split 0
		.amdhsa_exception_fp_ieee_invalid_op 0
		.amdhsa_exception_fp_denorm_src 0
		.amdhsa_exception_fp_ieee_div_zero 0
		.amdhsa_exception_fp_ieee_overflow 0
		.amdhsa_exception_fp_ieee_underflow 0
		.amdhsa_exception_fp_ieee_inexact 0
		.amdhsa_exception_int_div_zero 0
	.end_amdhsa_kernel
	.section	.text._ZN7rocprim17ROCPRIM_400000_NS6detail17trampoline_kernelINS0_14default_configENS1_35radix_sort_onesweep_config_selectorIlNS0_10empty_typeEEEZZNS1_29radix_sort_onesweep_iterationIS3_Lb1EPlS8_PS5_S9_mNS0_19identity_decomposerENS1_16block_id_wrapperIjLb1EEEEE10hipError_tT1_PNSt15iterator_traitsISE_E10value_typeET2_T3_PNSF_ISK_E10value_typeET4_T5_PSP_SQ_PNS1_23onesweep_lookback_stateEbbT6_jjT7_P12ihipStream_tbENKUlT_T0_SE_SJ_E_clIS8_S8_S9_S9_EEDaSX_SY_SE_SJ_EUlSX_E_NS1_11comp_targetILNS1_3genE4ELNS1_11target_archE910ELNS1_3gpuE8ELNS1_3repE0EEENS1_47radix_sort_onesweep_sort_config_static_selectorELNS0_4arch9wavefront6targetE1EEEvSE_,"axG",@progbits,_ZN7rocprim17ROCPRIM_400000_NS6detail17trampoline_kernelINS0_14default_configENS1_35radix_sort_onesweep_config_selectorIlNS0_10empty_typeEEEZZNS1_29radix_sort_onesweep_iterationIS3_Lb1EPlS8_PS5_S9_mNS0_19identity_decomposerENS1_16block_id_wrapperIjLb1EEEEE10hipError_tT1_PNSt15iterator_traitsISE_E10value_typeET2_T3_PNSF_ISK_E10value_typeET4_T5_PSP_SQ_PNS1_23onesweep_lookback_stateEbbT6_jjT7_P12ihipStream_tbENKUlT_T0_SE_SJ_E_clIS8_S8_S9_S9_EEDaSX_SY_SE_SJ_EUlSX_E_NS1_11comp_targetILNS1_3genE4ELNS1_11target_archE910ELNS1_3gpuE8ELNS1_3repE0EEENS1_47radix_sort_onesweep_sort_config_static_selectorELNS0_4arch9wavefront6targetE1EEEvSE_,comdat
.Lfunc_end2202:
	.size	_ZN7rocprim17ROCPRIM_400000_NS6detail17trampoline_kernelINS0_14default_configENS1_35radix_sort_onesweep_config_selectorIlNS0_10empty_typeEEEZZNS1_29radix_sort_onesweep_iterationIS3_Lb1EPlS8_PS5_S9_mNS0_19identity_decomposerENS1_16block_id_wrapperIjLb1EEEEE10hipError_tT1_PNSt15iterator_traitsISE_E10value_typeET2_T3_PNSF_ISK_E10value_typeET4_T5_PSP_SQ_PNS1_23onesweep_lookback_stateEbbT6_jjT7_P12ihipStream_tbENKUlT_T0_SE_SJ_E_clIS8_S8_S9_S9_EEDaSX_SY_SE_SJ_EUlSX_E_NS1_11comp_targetILNS1_3genE4ELNS1_11target_archE910ELNS1_3gpuE8ELNS1_3repE0EEENS1_47radix_sort_onesweep_sort_config_static_selectorELNS0_4arch9wavefront6targetE1EEEvSE_, .Lfunc_end2202-_ZN7rocprim17ROCPRIM_400000_NS6detail17trampoline_kernelINS0_14default_configENS1_35radix_sort_onesweep_config_selectorIlNS0_10empty_typeEEEZZNS1_29radix_sort_onesweep_iterationIS3_Lb1EPlS8_PS5_S9_mNS0_19identity_decomposerENS1_16block_id_wrapperIjLb1EEEEE10hipError_tT1_PNSt15iterator_traitsISE_E10value_typeET2_T3_PNSF_ISK_E10value_typeET4_T5_PSP_SQ_PNS1_23onesweep_lookback_stateEbbT6_jjT7_P12ihipStream_tbENKUlT_T0_SE_SJ_E_clIS8_S8_S9_S9_EEDaSX_SY_SE_SJ_EUlSX_E_NS1_11comp_targetILNS1_3genE4ELNS1_11target_archE910ELNS1_3gpuE8ELNS1_3repE0EEENS1_47radix_sort_onesweep_sort_config_static_selectorELNS0_4arch9wavefront6targetE1EEEvSE_
                                        ; -- End function
	.section	.AMDGPU.csdata,"",@progbits
; Kernel info:
; codeLenInByte = 10560
; NumSgprs: 38
; NumVgprs: 55
; NumAgprs: 0
; TotalNumVgprs: 55
; ScratchSize: 0
; MemoryBound: 0
; FloatMode: 240
; IeeeMode: 1
; LDSByteSize: 20552 bytes/workgroup (compile time only)
; SGPRBlocks: 4
; VGPRBlocks: 6
; NumSGPRsForWavesPerEU: 38
; NumVGPRsForWavesPerEU: 55
; AccumOffset: 56
; Occupancy: 8
; WaveLimiterHint : 1
; COMPUTE_PGM_RSRC2:SCRATCH_EN: 0
; COMPUTE_PGM_RSRC2:USER_SGPR: 6
; COMPUTE_PGM_RSRC2:TRAP_HANDLER: 0
; COMPUTE_PGM_RSRC2:TGID_X_EN: 1
; COMPUTE_PGM_RSRC2:TGID_Y_EN: 0
; COMPUTE_PGM_RSRC2:TGID_Z_EN: 0
; COMPUTE_PGM_RSRC2:TIDIG_COMP_CNT: 2
; COMPUTE_PGM_RSRC3_GFX90A:ACCUM_OFFSET: 13
; COMPUTE_PGM_RSRC3_GFX90A:TG_SPLIT: 0
	.section	.text._ZN7rocprim17ROCPRIM_400000_NS6detail17trampoline_kernelINS0_14default_configENS1_35radix_sort_onesweep_config_selectorIlNS0_10empty_typeEEEZZNS1_29radix_sort_onesweep_iterationIS3_Lb1EPlS8_PS5_S9_mNS0_19identity_decomposerENS1_16block_id_wrapperIjLb1EEEEE10hipError_tT1_PNSt15iterator_traitsISE_E10value_typeET2_T3_PNSF_ISK_E10value_typeET4_T5_PSP_SQ_PNS1_23onesweep_lookback_stateEbbT6_jjT7_P12ihipStream_tbENKUlT_T0_SE_SJ_E_clIS8_S8_S9_S9_EEDaSX_SY_SE_SJ_EUlSX_E_NS1_11comp_targetILNS1_3genE3ELNS1_11target_archE908ELNS1_3gpuE7ELNS1_3repE0EEENS1_47radix_sort_onesweep_sort_config_static_selectorELNS0_4arch9wavefront6targetE1EEEvSE_,"axG",@progbits,_ZN7rocprim17ROCPRIM_400000_NS6detail17trampoline_kernelINS0_14default_configENS1_35radix_sort_onesweep_config_selectorIlNS0_10empty_typeEEEZZNS1_29radix_sort_onesweep_iterationIS3_Lb1EPlS8_PS5_S9_mNS0_19identity_decomposerENS1_16block_id_wrapperIjLb1EEEEE10hipError_tT1_PNSt15iterator_traitsISE_E10value_typeET2_T3_PNSF_ISK_E10value_typeET4_T5_PSP_SQ_PNS1_23onesweep_lookback_stateEbbT6_jjT7_P12ihipStream_tbENKUlT_T0_SE_SJ_E_clIS8_S8_S9_S9_EEDaSX_SY_SE_SJ_EUlSX_E_NS1_11comp_targetILNS1_3genE3ELNS1_11target_archE908ELNS1_3gpuE7ELNS1_3repE0EEENS1_47radix_sort_onesweep_sort_config_static_selectorELNS0_4arch9wavefront6targetE1EEEvSE_,comdat
	.protected	_ZN7rocprim17ROCPRIM_400000_NS6detail17trampoline_kernelINS0_14default_configENS1_35radix_sort_onesweep_config_selectorIlNS0_10empty_typeEEEZZNS1_29radix_sort_onesweep_iterationIS3_Lb1EPlS8_PS5_S9_mNS0_19identity_decomposerENS1_16block_id_wrapperIjLb1EEEEE10hipError_tT1_PNSt15iterator_traitsISE_E10value_typeET2_T3_PNSF_ISK_E10value_typeET4_T5_PSP_SQ_PNS1_23onesweep_lookback_stateEbbT6_jjT7_P12ihipStream_tbENKUlT_T0_SE_SJ_E_clIS8_S8_S9_S9_EEDaSX_SY_SE_SJ_EUlSX_E_NS1_11comp_targetILNS1_3genE3ELNS1_11target_archE908ELNS1_3gpuE7ELNS1_3repE0EEENS1_47radix_sort_onesweep_sort_config_static_selectorELNS0_4arch9wavefront6targetE1EEEvSE_ ; -- Begin function _ZN7rocprim17ROCPRIM_400000_NS6detail17trampoline_kernelINS0_14default_configENS1_35radix_sort_onesweep_config_selectorIlNS0_10empty_typeEEEZZNS1_29radix_sort_onesweep_iterationIS3_Lb1EPlS8_PS5_S9_mNS0_19identity_decomposerENS1_16block_id_wrapperIjLb1EEEEE10hipError_tT1_PNSt15iterator_traitsISE_E10value_typeET2_T3_PNSF_ISK_E10value_typeET4_T5_PSP_SQ_PNS1_23onesweep_lookback_stateEbbT6_jjT7_P12ihipStream_tbENKUlT_T0_SE_SJ_E_clIS8_S8_S9_S9_EEDaSX_SY_SE_SJ_EUlSX_E_NS1_11comp_targetILNS1_3genE3ELNS1_11target_archE908ELNS1_3gpuE7ELNS1_3repE0EEENS1_47radix_sort_onesweep_sort_config_static_selectorELNS0_4arch9wavefront6targetE1EEEvSE_
	.globl	_ZN7rocprim17ROCPRIM_400000_NS6detail17trampoline_kernelINS0_14default_configENS1_35radix_sort_onesweep_config_selectorIlNS0_10empty_typeEEEZZNS1_29radix_sort_onesweep_iterationIS3_Lb1EPlS8_PS5_S9_mNS0_19identity_decomposerENS1_16block_id_wrapperIjLb1EEEEE10hipError_tT1_PNSt15iterator_traitsISE_E10value_typeET2_T3_PNSF_ISK_E10value_typeET4_T5_PSP_SQ_PNS1_23onesweep_lookback_stateEbbT6_jjT7_P12ihipStream_tbENKUlT_T0_SE_SJ_E_clIS8_S8_S9_S9_EEDaSX_SY_SE_SJ_EUlSX_E_NS1_11comp_targetILNS1_3genE3ELNS1_11target_archE908ELNS1_3gpuE7ELNS1_3repE0EEENS1_47radix_sort_onesweep_sort_config_static_selectorELNS0_4arch9wavefront6targetE1EEEvSE_
	.p2align	8
	.type	_ZN7rocprim17ROCPRIM_400000_NS6detail17trampoline_kernelINS0_14default_configENS1_35radix_sort_onesweep_config_selectorIlNS0_10empty_typeEEEZZNS1_29radix_sort_onesweep_iterationIS3_Lb1EPlS8_PS5_S9_mNS0_19identity_decomposerENS1_16block_id_wrapperIjLb1EEEEE10hipError_tT1_PNSt15iterator_traitsISE_E10value_typeET2_T3_PNSF_ISK_E10value_typeET4_T5_PSP_SQ_PNS1_23onesweep_lookback_stateEbbT6_jjT7_P12ihipStream_tbENKUlT_T0_SE_SJ_E_clIS8_S8_S9_S9_EEDaSX_SY_SE_SJ_EUlSX_E_NS1_11comp_targetILNS1_3genE3ELNS1_11target_archE908ELNS1_3gpuE7ELNS1_3repE0EEENS1_47radix_sort_onesweep_sort_config_static_selectorELNS0_4arch9wavefront6targetE1EEEvSE_,@function
_ZN7rocprim17ROCPRIM_400000_NS6detail17trampoline_kernelINS0_14default_configENS1_35radix_sort_onesweep_config_selectorIlNS0_10empty_typeEEEZZNS1_29radix_sort_onesweep_iterationIS3_Lb1EPlS8_PS5_S9_mNS0_19identity_decomposerENS1_16block_id_wrapperIjLb1EEEEE10hipError_tT1_PNSt15iterator_traitsISE_E10value_typeET2_T3_PNSF_ISK_E10value_typeET4_T5_PSP_SQ_PNS1_23onesweep_lookback_stateEbbT6_jjT7_P12ihipStream_tbENKUlT_T0_SE_SJ_E_clIS8_S8_S9_S9_EEDaSX_SY_SE_SJ_EUlSX_E_NS1_11comp_targetILNS1_3genE3ELNS1_11target_archE908ELNS1_3gpuE7ELNS1_3repE0EEENS1_47radix_sort_onesweep_sort_config_static_selectorELNS0_4arch9wavefront6targetE1EEEvSE_: ; @_ZN7rocprim17ROCPRIM_400000_NS6detail17trampoline_kernelINS0_14default_configENS1_35radix_sort_onesweep_config_selectorIlNS0_10empty_typeEEEZZNS1_29radix_sort_onesweep_iterationIS3_Lb1EPlS8_PS5_S9_mNS0_19identity_decomposerENS1_16block_id_wrapperIjLb1EEEEE10hipError_tT1_PNSt15iterator_traitsISE_E10value_typeET2_T3_PNSF_ISK_E10value_typeET4_T5_PSP_SQ_PNS1_23onesweep_lookback_stateEbbT6_jjT7_P12ihipStream_tbENKUlT_T0_SE_SJ_E_clIS8_S8_S9_S9_EEDaSX_SY_SE_SJ_EUlSX_E_NS1_11comp_targetILNS1_3genE3ELNS1_11target_archE908ELNS1_3gpuE7ELNS1_3repE0EEENS1_47radix_sort_onesweep_sort_config_static_selectorELNS0_4arch9wavefront6targetE1EEEvSE_
; %bb.0:
	.section	.rodata,"a",@progbits
	.p2align	6, 0x0
	.amdhsa_kernel _ZN7rocprim17ROCPRIM_400000_NS6detail17trampoline_kernelINS0_14default_configENS1_35radix_sort_onesweep_config_selectorIlNS0_10empty_typeEEEZZNS1_29radix_sort_onesweep_iterationIS3_Lb1EPlS8_PS5_S9_mNS0_19identity_decomposerENS1_16block_id_wrapperIjLb1EEEEE10hipError_tT1_PNSt15iterator_traitsISE_E10value_typeET2_T3_PNSF_ISK_E10value_typeET4_T5_PSP_SQ_PNS1_23onesweep_lookback_stateEbbT6_jjT7_P12ihipStream_tbENKUlT_T0_SE_SJ_E_clIS8_S8_S9_S9_EEDaSX_SY_SE_SJ_EUlSX_E_NS1_11comp_targetILNS1_3genE3ELNS1_11target_archE908ELNS1_3gpuE7ELNS1_3repE0EEENS1_47radix_sort_onesweep_sort_config_static_selectorELNS0_4arch9wavefront6targetE1EEEvSE_
		.amdhsa_group_segment_fixed_size 0
		.amdhsa_private_segment_fixed_size 0
		.amdhsa_kernarg_size 88
		.amdhsa_user_sgpr_count 6
		.amdhsa_user_sgpr_private_segment_buffer 1
		.amdhsa_user_sgpr_dispatch_ptr 0
		.amdhsa_user_sgpr_queue_ptr 0
		.amdhsa_user_sgpr_kernarg_segment_ptr 1
		.amdhsa_user_sgpr_dispatch_id 0
		.amdhsa_user_sgpr_flat_scratch_init 0
		.amdhsa_user_sgpr_kernarg_preload_length 0
		.amdhsa_user_sgpr_kernarg_preload_offset 0
		.amdhsa_user_sgpr_private_segment_size 0
		.amdhsa_uses_dynamic_stack 0
		.amdhsa_system_sgpr_private_segment_wavefront_offset 0
		.amdhsa_system_sgpr_workgroup_id_x 1
		.amdhsa_system_sgpr_workgroup_id_y 0
		.amdhsa_system_sgpr_workgroup_id_z 0
		.amdhsa_system_sgpr_workgroup_info 0
		.amdhsa_system_vgpr_workitem_id 0
		.amdhsa_next_free_vgpr 1
		.amdhsa_next_free_sgpr 0
		.amdhsa_accum_offset 4
		.amdhsa_reserve_vcc 0
		.amdhsa_reserve_flat_scratch 0
		.amdhsa_float_round_mode_32 0
		.amdhsa_float_round_mode_16_64 0
		.amdhsa_float_denorm_mode_32 3
		.amdhsa_float_denorm_mode_16_64 3
		.amdhsa_dx10_clamp 1
		.amdhsa_ieee_mode 1
		.amdhsa_fp16_overflow 0
		.amdhsa_tg_split 0
		.amdhsa_exception_fp_ieee_invalid_op 0
		.amdhsa_exception_fp_denorm_src 0
		.amdhsa_exception_fp_ieee_div_zero 0
		.amdhsa_exception_fp_ieee_overflow 0
		.amdhsa_exception_fp_ieee_underflow 0
		.amdhsa_exception_fp_ieee_inexact 0
		.amdhsa_exception_int_div_zero 0
	.end_amdhsa_kernel
	.section	.text._ZN7rocprim17ROCPRIM_400000_NS6detail17trampoline_kernelINS0_14default_configENS1_35radix_sort_onesweep_config_selectorIlNS0_10empty_typeEEEZZNS1_29radix_sort_onesweep_iterationIS3_Lb1EPlS8_PS5_S9_mNS0_19identity_decomposerENS1_16block_id_wrapperIjLb1EEEEE10hipError_tT1_PNSt15iterator_traitsISE_E10value_typeET2_T3_PNSF_ISK_E10value_typeET4_T5_PSP_SQ_PNS1_23onesweep_lookback_stateEbbT6_jjT7_P12ihipStream_tbENKUlT_T0_SE_SJ_E_clIS8_S8_S9_S9_EEDaSX_SY_SE_SJ_EUlSX_E_NS1_11comp_targetILNS1_3genE3ELNS1_11target_archE908ELNS1_3gpuE7ELNS1_3repE0EEENS1_47radix_sort_onesweep_sort_config_static_selectorELNS0_4arch9wavefront6targetE1EEEvSE_,"axG",@progbits,_ZN7rocprim17ROCPRIM_400000_NS6detail17trampoline_kernelINS0_14default_configENS1_35radix_sort_onesweep_config_selectorIlNS0_10empty_typeEEEZZNS1_29radix_sort_onesweep_iterationIS3_Lb1EPlS8_PS5_S9_mNS0_19identity_decomposerENS1_16block_id_wrapperIjLb1EEEEE10hipError_tT1_PNSt15iterator_traitsISE_E10value_typeET2_T3_PNSF_ISK_E10value_typeET4_T5_PSP_SQ_PNS1_23onesweep_lookback_stateEbbT6_jjT7_P12ihipStream_tbENKUlT_T0_SE_SJ_E_clIS8_S8_S9_S9_EEDaSX_SY_SE_SJ_EUlSX_E_NS1_11comp_targetILNS1_3genE3ELNS1_11target_archE908ELNS1_3gpuE7ELNS1_3repE0EEENS1_47radix_sort_onesweep_sort_config_static_selectorELNS0_4arch9wavefront6targetE1EEEvSE_,comdat
.Lfunc_end2203:
	.size	_ZN7rocprim17ROCPRIM_400000_NS6detail17trampoline_kernelINS0_14default_configENS1_35radix_sort_onesweep_config_selectorIlNS0_10empty_typeEEEZZNS1_29radix_sort_onesweep_iterationIS3_Lb1EPlS8_PS5_S9_mNS0_19identity_decomposerENS1_16block_id_wrapperIjLb1EEEEE10hipError_tT1_PNSt15iterator_traitsISE_E10value_typeET2_T3_PNSF_ISK_E10value_typeET4_T5_PSP_SQ_PNS1_23onesweep_lookback_stateEbbT6_jjT7_P12ihipStream_tbENKUlT_T0_SE_SJ_E_clIS8_S8_S9_S9_EEDaSX_SY_SE_SJ_EUlSX_E_NS1_11comp_targetILNS1_3genE3ELNS1_11target_archE908ELNS1_3gpuE7ELNS1_3repE0EEENS1_47radix_sort_onesweep_sort_config_static_selectorELNS0_4arch9wavefront6targetE1EEEvSE_, .Lfunc_end2203-_ZN7rocprim17ROCPRIM_400000_NS6detail17trampoline_kernelINS0_14default_configENS1_35radix_sort_onesweep_config_selectorIlNS0_10empty_typeEEEZZNS1_29radix_sort_onesweep_iterationIS3_Lb1EPlS8_PS5_S9_mNS0_19identity_decomposerENS1_16block_id_wrapperIjLb1EEEEE10hipError_tT1_PNSt15iterator_traitsISE_E10value_typeET2_T3_PNSF_ISK_E10value_typeET4_T5_PSP_SQ_PNS1_23onesweep_lookback_stateEbbT6_jjT7_P12ihipStream_tbENKUlT_T0_SE_SJ_E_clIS8_S8_S9_S9_EEDaSX_SY_SE_SJ_EUlSX_E_NS1_11comp_targetILNS1_3genE3ELNS1_11target_archE908ELNS1_3gpuE7ELNS1_3repE0EEENS1_47radix_sort_onesweep_sort_config_static_selectorELNS0_4arch9wavefront6targetE1EEEvSE_
                                        ; -- End function
	.section	.AMDGPU.csdata,"",@progbits
; Kernel info:
; codeLenInByte = 0
; NumSgprs: 4
; NumVgprs: 0
; NumAgprs: 0
; TotalNumVgprs: 0
; ScratchSize: 0
; MemoryBound: 0
; FloatMode: 240
; IeeeMode: 1
; LDSByteSize: 0 bytes/workgroup (compile time only)
; SGPRBlocks: 0
; VGPRBlocks: 0
; NumSGPRsForWavesPerEU: 4
; NumVGPRsForWavesPerEU: 1
; AccumOffset: 4
; Occupancy: 8
; WaveLimiterHint : 0
; COMPUTE_PGM_RSRC2:SCRATCH_EN: 0
; COMPUTE_PGM_RSRC2:USER_SGPR: 6
; COMPUTE_PGM_RSRC2:TRAP_HANDLER: 0
; COMPUTE_PGM_RSRC2:TGID_X_EN: 1
; COMPUTE_PGM_RSRC2:TGID_Y_EN: 0
; COMPUTE_PGM_RSRC2:TGID_Z_EN: 0
; COMPUTE_PGM_RSRC2:TIDIG_COMP_CNT: 0
; COMPUTE_PGM_RSRC3_GFX90A:ACCUM_OFFSET: 0
; COMPUTE_PGM_RSRC3_GFX90A:TG_SPLIT: 0
	.section	.text._ZN7rocprim17ROCPRIM_400000_NS6detail17trampoline_kernelINS0_14default_configENS1_35radix_sort_onesweep_config_selectorIlNS0_10empty_typeEEEZZNS1_29radix_sort_onesweep_iterationIS3_Lb1EPlS8_PS5_S9_mNS0_19identity_decomposerENS1_16block_id_wrapperIjLb1EEEEE10hipError_tT1_PNSt15iterator_traitsISE_E10value_typeET2_T3_PNSF_ISK_E10value_typeET4_T5_PSP_SQ_PNS1_23onesweep_lookback_stateEbbT6_jjT7_P12ihipStream_tbENKUlT_T0_SE_SJ_E_clIS8_S8_S9_S9_EEDaSX_SY_SE_SJ_EUlSX_E_NS1_11comp_targetILNS1_3genE10ELNS1_11target_archE1201ELNS1_3gpuE5ELNS1_3repE0EEENS1_47radix_sort_onesweep_sort_config_static_selectorELNS0_4arch9wavefront6targetE1EEEvSE_,"axG",@progbits,_ZN7rocprim17ROCPRIM_400000_NS6detail17trampoline_kernelINS0_14default_configENS1_35radix_sort_onesweep_config_selectorIlNS0_10empty_typeEEEZZNS1_29radix_sort_onesweep_iterationIS3_Lb1EPlS8_PS5_S9_mNS0_19identity_decomposerENS1_16block_id_wrapperIjLb1EEEEE10hipError_tT1_PNSt15iterator_traitsISE_E10value_typeET2_T3_PNSF_ISK_E10value_typeET4_T5_PSP_SQ_PNS1_23onesweep_lookback_stateEbbT6_jjT7_P12ihipStream_tbENKUlT_T0_SE_SJ_E_clIS8_S8_S9_S9_EEDaSX_SY_SE_SJ_EUlSX_E_NS1_11comp_targetILNS1_3genE10ELNS1_11target_archE1201ELNS1_3gpuE5ELNS1_3repE0EEENS1_47radix_sort_onesweep_sort_config_static_selectorELNS0_4arch9wavefront6targetE1EEEvSE_,comdat
	.protected	_ZN7rocprim17ROCPRIM_400000_NS6detail17trampoline_kernelINS0_14default_configENS1_35radix_sort_onesweep_config_selectorIlNS0_10empty_typeEEEZZNS1_29radix_sort_onesweep_iterationIS3_Lb1EPlS8_PS5_S9_mNS0_19identity_decomposerENS1_16block_id_wrapperIjLb1EEEEE10hipError_tT1_PNSt15iterator_traitsISE_E10value_typeET2_T3_PNSF_ISK_E10value_typeET4_T5_PSP_SQ_PNS1_23onesweep_lookback_stateEbbT6_jjT7_P12ihipStream_tbENKUlT_T0_SE_SJ_E_clIS8_S8_S9_S9_EEDaSX_SY_SE_SJ_EUlSX_E_NS1_11comp_targetILNS1_3genE10ELNS1_11target_archE1201ELNS1_3gpuE5ELNS1_3repE0EEENS1_47radix_sort_onesweep_sort_config_static_selectorELNS0_4arch9wavefront6targetE1EEEvSE_ ; -- Begin function _ZN7rocprim17ROCPRIM_400000_NS6detail17trampoline_kernelINS0_14default_configENS1_35radix_sort_onesweep_config_selectorIlNS0_10empty_typeEEEZZNS1_29radix_sort_onesweep_iterationIS3_Lb1EPlS8_PS5_S9_mNS0_19identity_decomposerENS1_16block_id_wrapperIjLb1EEEEE10hipError_tT1_PNSt15iterator_traitsISE_E10value_typeET2_T3_PNSF_ISK_E10value_typeET4_T5_PSP_SQ_PNS1_23onesweep_lookback_stateEbbT6_jjT7_P12ihipStream_tbENKUlT_T0_SE_SJ_E_clIS8_S8_S9_S9_EEDaSX_SY_SE_SJ_EUlSX_E_NS1_11comp_targetILNS1_3genE10ELNS1_11target_archE1201ELNS1_3gpuE5ELNS1_3repE0EEENS1_47radix_sort_onesweep_sort_config_static_selectorELNS0_4arch9wavefront6targetE1EEEvSE_
	.globl	_ZN7rocprim17ROCPRIM_400000_NS6detail17trampoline_kernelINS0_14default_configENS1_35radix_sort_onesweep_config_selectorIlNS0_10empty_typeEEEZZNS1_29radix_sort_onesweep_iterationIS3_Lb1EPlS8_PS5_S9_mNS0_19identity_decomposerENS1_16block_id_wrapperIjLb1EEEEE10hipError_tT1_PNSt15iterator_traitsISE_E10value_typeET2_T3_PNSF_ISK_E10value_typeET4_T5_PSP_SQ_PNS1_23onesweep_lookback_stateEbbT6_jjT7_P12ihipStream_tbENKUlT_T0_SE_SJ_E_clIS8_S8_S9_S9_EEDaSX_SY_SE_SJ_EUlSX_E_NS1_11comp_targetILNS1_3genE10ELNS1_11target_archE1201ELNS1_3gpuE5ELNS1_3repE0EEENS1_47radix_sort_onesweep_sort_config_static_selectorELNS0_4arch9wavefront6targetE1EEEvSE_
	.p2align	8
	.type	_ZN7rocprim17ROCPRIM_400000_NS6detail17trampoline_kernelINS0_14default_configENS1_35radix_sort_onesweep_config_selectorIlNS0_10empty_typeEEEZZNS1_29radix_sort_onesweep_iterationIS3_Lb1EPlS8_PS5_S9_mNS0_19identity_decomposerENS1_16block_id_wrapperIjLb1EEEEE10hipError_tT1_PNSt15iterator_traitsISE_E10value_typeET2_T3_PNSF_ISK_E10value_typeET4_T5_PSP_SQ_PNS1_23onesweep_lookback_stateEbbT6_jjT7_P12ihipStream_tbENKUlT_T0_SE_SJ_E_clIS8_S8_S9_S9_EEDaSX_SY_SE_SJ_EUlSX_E_NS1_11comp_targetILNS1_3genE10ELNS1_11target_archE1201ELNS1_3gpuE5ELNS1_3repE0EEENS1_47radix_sort_onesweep_sort_config_static_selectorELNS0_4arch9wavefront6targetE1EEEvSE_,@function
_ZN7rocprim17ROCPRIM_400000_NS6detail17trampoline_kernelINS0_14default_configENS1_35radix_sort_onesweep_config_selectorIlNS0_10empty_typeEEEZZNS1_29radix_sort_onesweep_iterationIS3_Lb1EPlS8_PS5_S9_mNS0_19identity_decomposerENS1_16block_id_wrapperIjLb1EEEEE10hipError_tT1_PNSt15iterator_traitsISE_E10value_typeET2_T3_PNSF_ISK_E10value_typeET4_T5_PSP_SQ_PNS1_23onesweep_lookback_stateEbbT6_jjT7_P12ihipStream_tbENKUlT_T0_SE_SJ_E_clIS8_S8_S9_S9_EEDaSX_SY_SE_SJ_EUlSX_E_NS1_11comp_targetILNS1_3genE10ELNS1_11target_archE1201ELNS1_3gpuE5ELNS1_3repE0EEENS1_47radix_sort_onesweep_sort_config_static_selectorELNS0_4arch9wavefront6targetE1EEEvSE_: ; @_ZN7rocprim17ROCPRIM_400000_NS6detail17trampoline_kernelINS0_14default_configENS1_35radix_sort_onesweep_config_selectorIlNS0_10empty_typeEEEZZNS1_29radix_sort_onesweep_iterationIS3_Lb1EPlS8_PS5_S9_mNS0_19identity_decomposerENS1_16block_id_wrapperIjLb1EEEEE10hipError_tT1_PNSt15iterator_traitsISE_E10value_typeET2_T3_PNSF_ISK_E10value_typeET4_T5_PSP_SQ_PNS1_23onesweep_lookback_stateEbbT6_jjT7_P12ihipStream_tbENKUlT_T0_SE_SJ_E_clIS8_S8_S9_S9_EEDaSX_SY_SE_SJ_EUlSX_E_NS1_11comp_targetILNS1_3genE10ELNS1_11target_archE1201ELNS1_3gpuE5ELNS1_3repE0EEENS1_47radix_sort_onesweep_sort_config_static_selectorELNS0_4arch9wavefront6targetE1EEEvSE_
; %bb.0:
	.section	.rodata,"a",@progbits
	.p2align	6, 0x0
	.amdhsa_kernel _ZN7rocprim17ROCPRIM_400000_NS6detail17trampoline_kernelINS0_14default_configENS1_35radix_sort_onesweep_config_selectorIlNS0_10empty_typeEEEZZNS1_29radix_sort_onesweep_iterationIS3_Lb1EPlS8_PS5_S9_mNS0_19identity_decomposerENS1_16block_id_wrapperIjLb1EEEEE10hipError_tT1_PNSt15iterator_traitsISE_E10value_typeET2_T3_PNSF_ISK_E10value_typeET4_T5_PSP_SQ_PNS1_23onesweep_lookback_stateEbbT6_jjT7_P12ihipStream_tbENKUlT_T0_SE_SJ_E_clIS8_S8_S9_S9_EEDaSX_SY_SE_SJ_EUlSX_E_NS1_11comp_targetILNS1_3genE10ELNS1_11target_archE1201ELNS1_3gpuE5ELNS1_3repE0EEENS1_47radix_sort_onesweep_sort_config_static_selectorELNS0_4arch9wavefront6targetE1EEEvSE_
		.amdhsa_group_segment_fixed_size 0
		.amdhsa_private_segment_fixed_size 0
		.amdhsa_kernarg_size 88
		.amdhsa_user_sgpr_count 6
		.amdhsa_user_sgpr_private_segment_buffer 1
		.amdhsa_user_sgpr_dispatch_ptr 0
		.amdhsa_user_sgpr_queue_ptr 0
		.amdhsa_user_sgpr_kernarg_segment_ptr 1
		.amdhsa_user_sgpr_dispatch_id 0
		.amdhsa_user_sgpr_flat_scratch_init 0
		.amdhsa_user_sgpr_kernarg_preload_length 0
		.amdhsa_user_sgpr_kernarg_preload_offset 0
		.amdhsa_user_sgpr_private_segment_size 0
		.amdhsa_uses_dynamic_stack 0
		.amdhsa_system_sgpr_private_segment_wavefront_offset 0
		.amdhsa_system_sgpr_workgroup_id_x 1
		.amdhsa_system_sgpr_workgroup_id_y 0
		.amdhsa_system_sgpr_workgroup_id_z 0
		.amdhsa_system_sgpr_workgroup_info 0
		.amdhsa_system_vgpr_workitem_id 0
		.amdhsa_next_free_vgpr 1
		.amdhsa_next_free_sgpr 0
		.amdhsa_accum_offset 4
		.amdhsa_reserve_vcc 0
		.amdhsa_reserve_flat_scratch 0
		.amdhsa_float_round_mode_32 0
		.amdhsa_float_round_mode_16_64 0
		.amdhsa_float_denorm_mode_32 3
		.amdhsa_float_denorm_mode_16_64 3
		.amdhsa_dx10_clamp 1
		.amdhsa_ieee_mode 1
		.amdhsa_fp16_overflow 0
		.amdhsa_tg_split 0
		.amdhsa_exception_fp_ieee_invalid_op 0
		.amdhsa_exception_fp_denorm_src 0
		.amdhsa_exception_fp_ieee_div_zero 0
		.amdhsa_exception_fp_ieee_overflow 0
		.amdhsa_exception_fp_ieee_underflow 0
		.amdhsa_exception_fp_ieee_inexact 0
		.amdhsa_exception_int_div_zero 0
	.end_amdhsa_kernel
	.section	.text._ZN7rocprim17ROCPRIM_400000_NS6detail17trampoline_kernelINS0_14default_configENS1_35radix_sort_onesweep_config_selectorIlNS0_10empty_typeEEEZZNS1_29radix_sort_onesweep_iterationIS3_Lb1EPlS8_PS5_S9_mNS0_19identity_decomposerENS1_16block_id_wrapperIjLb1EEEEE10hipError_tT1_PNSt15iterator_traitsISE_E10value_typeET2_T3_PNSF_ISK_E10value_typeET4_T5_PSP_SQ_PNS1_23onesweep_lookback_stateEbbT6_jjT7_P12ihipStream_tbENKUlT_T0_SE_SJ_E_clIS8_S8_S9_S9_EEDaSX_SY_SE_SJ_EUlSX_E_NS1_11comp_targetILNS1_3genE10ELNS1_11target_archE1201ELNS1_3gpuE5ELNS1_3repE0EEENS1_47radix_sort_onesweep_sort_config_static_selectorELNS0_4arch9wavefront6targetE1EEEvSE_,"axG",@progbits,_ZN7rocprim17ROCPRIM_400000_NS6detail17trampoline_kernelINS0_14default_configENS1_35radix_sort_onesweep_config_selectorIlNS0_10empty_typeEEEZZNS1_29radix_sort_onesweep_iterationIS3_Lb1EPlS8_PS5_S9_mNS0_19identity_decomposerENS1_16block_id_wrapperIjLb1EEEEE10hipError_tT1_PNSt15iterator_traitsISE_E10value_typeET2_T3_PNSF_ISK_E10value_typeET4_T5_PSP_SQ_PNS1_23onesweep_lookback_stateEbbT6_jjT7_P12ihipStream_tbENKUlT_T0_SE_SJ_E_clIS8_S8_S9_S9_EEDaSX_SY_SE_SJ_EUlSX_E_NS1_11comp_targetILNS1_3genE10ELNS1_11target_archE1201ELNS1_3gpuE5ELNS1_3repE0EEENS1_47radix_sort_onesweep_sort_config_static_selectorELNS0_4arch9wavefront6targetE1EEEvSE_,comdat
.Lfunc_end2204:
	.size	_ZN7rocprim17ROCPRIM_400000_NS6detail17trampoline_kernelINS0_14default_configENS1_35radix_sort_onesweep_config_selectorIlNS0_10empty_typeEEEZZNS1_29radix_sort_onesweep_iterationIS3_Lb1EPlS8_PS5_S9_mNS0_19identity_decomposerENS1_16block_id_wrapperIjLb1EEEEE10hipError_tT1_PNSt15iterator_traitsISE_E10value_typeET2_T3_PNSF_ISK_E10value_typeET4_T5_PSP_SQ_PNS1_23onesweep_lookback_stateEbbT6_jjT7_P12ihipStream_tbENKUlT_T0_SE_SJ_E_clIS8_S8_S9_S9_EEDaSX_SY_SE_SJ_EUlSX_E_NS1_11comp_targetILNS1_3genE10ELNS1_11target_archE1201ELNS1_3gpuE5ELNS1_3repE0EEENS1_47radix_sort_onesweep_sort_config_static_selectorELNS0_4arch9wavefront6targetE1EEEvSE_, .Lfunc_end2204-_ZN7rocprim17ROCPRIM_400000_NS6detail17trampoline_kernelINS0_14default_configENS1_35radix_sort_onesweep_config_selectorIlNS0_10empty_typeEEEZZNS1_29radix_sort_onesweep_iterationIS3_Lb1EPlS8_PS5_S9_mNS0_19identity_decomposerENS1_16block_id_wrapperIjLb1EEEEE10hipError_tT1_PNSt15iterator_traitsISE_E10value_typeET2_T3_PNSF_ISK_E10value_typeET4_T5_PSP_SQ_PNS1_23onesweep_lookback_stateEbbT6_jjT7_P12ihipStream_tbENKUlT_T0_SE_SJ_E_clIS8_S8_S9_S9_EEDaSX_SY_SE_SJ_EUlSX_E_NS1_11comp_targetILNS1_3genE10ELNS1_11target_archE1201ELNS1_3gpuE5ELNS1_3repE0EEENS1_47radix_sort_onesweep_sort_config_static_selectorELNS0_4arch9wavefront6targetE1EEEvSE_
                                        ; -- End function
	.section	.AMDGPU.csdata,"",@progbits
; Kernel info:
; codeLenInByte = 0
; NumSgprs: 4
; NumVgprs: 0
; NumAgprs: 0
; TotalNumVgprs: 0
; ScratchSize: 0
; MemoryBound: 0
; FloatMode: 240
; IeeeMode: 1
; LDSByteSize: 0 bytes/workgroup (compile time only)
; SGPRBlocks: 0
; VGPRBlocks: 0
; NumSGPRsForWavesPerEU: 4
; NumVGPRsForWavesPerEU: 1
; AccumOffset: 4
; Occupancy: 8
; WaveLimiterHint : 0
; COMPUTE_PGM_RSRC2:SCRATCH_EN: 0
; COMPUTE_PGM_RSRC2:USER_SGPR: 6
; COMPUTE_PGM_RSRC2:TRAP_HANDLER: 0
; COMPUTE_PGM_RSRC2:TGID_X_EN: 1
; COMPUTE_PGM_RSRC2:TGID_Y_EN: 0
; COMPUTE_PGM_RSRC2:TGID_Z_EN: 0
; COMPUTE_PGM_RSRC2:TIDIG_COMP_CNT: 0
; COMPUTE_PGM_RSRC3_GFX90A:ACCUM_OFFSET: 0
; COMPUTE_PGM_RSRC3_GFX90A:TG_SPLIT: 0
	.section	.text._ZN7rocprim17ROCPRIM_400000_NS6detail17trampoline_kernelINS0_14default_configENS1_35radix_sort_onesweep_config_selectorIlNS0_10empty_typeEEEZZNS1_29radix_sort_onesweep_iterationIS3_Lb1EPlS8_PS5_S9_mNS0_19identity_decomposerENS1_16block_id_wrapperIjLb1EEEEE10hipError_tT1_PNSt15iterator_traitsISE_E10value_typeET2_T3_PNSF_ISK_E10value_typeET4_T5_PSP_SQ_PNS1_23onesweep_lookback_stateEbbT6_jjT7_P12ihipStream_tbENKUlT_T0_SE_SJ_E_clIS8_S8_S9_S9_EEDaSX_SY_SE_SJ_EUlSX_E_NS1_11comp_targetILNS1_3genE9ELNS1_11target_archE1100ELNS1_3gpuE3ELNS1_3repE0EEENS1_47radix_sort_onesweep_sort_config_static_selectorELNS0_4arch9wavefront6targetE1EEEvSE_,"axG",@progbits,_ZN7rocprim17ROCPRIM_400000_NS6detail17trampoline_kernelINS0_14default_configENS1_35radix_sort_onesweep_config_selectorIlNS0_10empty_typeEEEZZNS1_29radix_sort_onesweep_iterationIS3_Lb1EPlS8_PS5_S9_mNS0_19identity_decomposerENS1_16block_id_wrapperIjLb1EEEEE10hipError_tT1_PNSt15iterator_traitsISE_E10value_typeET2_T3_PNSF_ISK_E10value_typeET4_T5_PSP_SQ_PNS1_23onesweep_lookback_stateEbbT6_jjT7_P12ihipStream_tbENKUlT_T0_SE_SJ_E_clIS8_S8_S9_S9_EEDaSX_SY_SE_SJ_EUlSX_E_NS1_11comp_targetILNS1_3genE9ELNS1_11target_archE1100ELNS1_3gpuE3ELNS1_3repE0EEENS1_47radix_sort_onesweep_sort_config_static_selectorELNS0_4arch9wavefront6targetE1EEEvSE_,comdat
	.protected	_ZN7rocprim17ROCPRIM_400000_NS6detail17trampoline_kernelINS0_14default_configENS1_35radix_sort_onesweep_config_selectorIlNS0_10empty_typeEEEZZNS1_29radix_sort_onesweep_iterationIS3_Lb1EPlS8_PS5_S9_mNS0_19identity_decomposerENS1_16block_id_wrapperIjLb1EEEEE10hipError_tT1_PNSt15iterator_traitsISE_E10value_typeET2_T3_PNSF_ISK_E10value_typeET4_T5_PSP_SQ_PNS1_23onesweep_lookback_stateEbbT6_jjT7_P12ihipStream_tbENKUlT_T0_SE_SJ_E_clIS8_S8_S9_S9_EEDaSX_SY_SE_SJ_EUlSX_E_NS1_11comp_targetILNS1_3genE9ELNS1_11target_archE1100ELNS1_3gpuE3ELNS1_3repE0EEENS1_47radix_sort_onesweep_sort_config_static_selectorELNS0_4arch9wavefront6targetE1EEEvSE_ ; -- Begin function _ZN7rocprim17ROCPRIM_400000_NS6detail17trampoline_kernelINS0_14default_configENS1_35radix_sort_onesweep_config_selectorIlNS0_10empty_typeEEEZZNS1_29radix_sort_onesweep_iterationIS3_Lb1EPlS8_PS5_S9_mNS0_19identity_decomposerENS1_16block_id_wrapperIjLb1EEEEE10hipError_tT1_PNSt15iterator_traitsISE_E10value_typeET2_T3_PNSF_ISK_E10value_typeET4_T5_PSP_SQ_PNS1_23onesweep_lookback_stateEbbT6_jjT7_P12ihipStream_tbENKUlT_T0_SE_SJ_E_clIS8_S8_S9_S9_EEDaSX_SY_SE_SJ_EUlSX_E_NS1_11comp_targetILNS1_3genE9ELNS1_11target_archE1100ELNS1_3gpuE3ELNS1_3repE0EEENS1_47radix_sort_onesweep_sort_config_static_selectorELNS0_4arch9wavefront6targetE1EEEvSE_
	.globl	_ZN7rocprim17ROCPRIM_400000_NS6detail17trampoline_kernelINS0_14default_configENS1_35radix_sort_onesweep_config_selectorIlNS0_10empty_typeEEEZZNS1_29radix_sort_onesweep_iterationIS3_Lb1EPlS8_PS5_S9_mNS0_19identity_decomposerENS1_16block_id_wrapperIjLb1EEEEE10hipError_tT1_PNSt15iterator_traitsISE_E10value_typeET2_T3_PNSF_ISK_E10value_typeET4_T5_PSP_SQ_PNS1_23onesweep_lookback_stateEbbT6_jjT7_P12ihipStream_tbENKUlT_T0_SE_SJ_E_clIS8_S8_S9_S9_EEDaSX_SY_SE_SJ_EUlSX_E_NS1_11comp_targetILNS1_3genE9ELNS1_11target_archE1100ELNS1_3gpuE3ELNS1_3repE0EEENS1_47radix_sort_onesweep_sort_config_static_selectorELNS0_4arch9wavefront6targetE1EEEvSE_
	.p2align	8
	.type	_ZN7rocprim17ROCPRIM_400000_NS6detail17trampoline_kernelINS0_14default_configENS1_35radix_sort_onesweep_config_selectorIlNS0_10empty_typeEEEZZNS1_29radix_sort_onesweep_iterationIS3_Lb1EPlS8_PS5_S9_mNS0_19identity_decomposerENS1_16block_id_wrapperIjLb1EEEEE10hipError_tT1_PNSt15iterator_traitsISE_E10value_typeET2_T3_PNSF_ISK_E10value_typeET4_T5_PSP_SQ_PNS1_23onesweep_lookback_stateEbbT6_jjT7_P12ihipStream_tbENKUlT_T0_SE_SJ_E_clIS8_S8_S9_S9_EEDaSX_SY_SE_SJ_EUlSX_E_NS1_11comp_targetILNS1_3genE9ELNS1_11target_archE1100ELNS1_3gpuE3ELNS1_3repE0EEENS1_47radix_sort_onesweep_sort_config_static_selectorELNS0_4arch9wavefront6targetE1EEEvSE_,@function
_ZN7rocprim17ROCPRIM_400000_NS6detail17trampoline_kernelINS0_14default_configENS1_35radix_sort_onesweep_config_selectorIlNS0_10empty_typeEEEZZNS1_29radix_sort_onesweep_iterationIS3_Lb1EPlS8_PS5_S9_mNS0_19identity_decomposerENS1_16block_id_wrapperIjLb1EEEEE10hipError_tT1_PNSt15iterator_traitsISE_E10value_typeET2_T3_PNSF_ISK_E10value_typeET4_T5_PSP_SQ_PNS1_23onesweep_lookback_stateEbbT6_jjT7_P12ihipStream_tbENKUlT_T0_SE_SJ_E_clIS8_S8_S9_S9_EEDaSX_SY_SE_SJ_EUlSX_E_NS1_11comp_targetILNS1_3genE9ELNS1_11target_archE1100ELNS1_3gpuE3ELNS1_3repE0EEENS1_47radix_sort_onesweep_sort_config_static_selectorELNS0_4arch9wavefront6targetE1EEEvSE_: ; @_ZN7rocprim17ROCPRIM_400000_NS6detail17trampoline_kernelINS0_14default_configENS1_35radix_sort_onesweep_config_selectorIlNS0_10empty_typeEEEZZNS1_29radix_sort_onesweep_iterationIS3_Lb1EPlS8_PS5_S9_mNS0_19identity_decomposerENS1_16block_id_wrapperIjLb1EEEEE10hipError_tT1_PNSt15iterator_traitsISE_E10value_typeET2_T3_PNSF_ISK_E10value_typeET4_T5_PSP_SQ_PNS1_23onesweep_lookback_stateEbbT6_jjT7_P12ihipStream_tbENKUlT_T0_SE_SJ_E_clIS8_S8_S9_S9_EEDaSX_SY_SE_SJ_EUlSX_E_NS1_11comp_targetILNS1_3genE9ELNS1_11target_archE1100ELNS1_3gpuE3ELNS1_3repE0EEENS1_47radix_sort_onesweep_sort_config_static_selectorELNS0_4arch9wavefront6targetE1EEEvSE_
; %bb.0:
	.section	.rodata,"a",@progbits
	.p2align	6, 0x0
	.amdhsa_kernel _ZN7rocprim17ROCPRIM_400000_NS6detail17trampoline_kernelINS0_14default_configENS1_35radix_sort_onesweep_config_selectorIlNS0_10empty_typeEEEZZNS1_29radix_sort_onesweep_iterationIS3_Lb1EPlS8_PS5_S9_mNS0_19identity_decomposerENS1_16block_id_wrapperIjLb1EEEEE10hipError_tT1_PNSt15iterator_traitsISE_E10value_typeET2_T3_PNSF_ISK_E10value_typeET4_T5_PSP_SQ_PNS1_23onesweep_lookback_stateEbbT6_jjT7_P12ihipStream_tbENKUlT_T0_SE_SJ_E_clIS8_S8_S9_S9_EEDaSX_SY_SE_SJ_EUlSX_E_NS1_11comp_targetILNS1_3genE9ELNS1_11target_archE1100ELNS1_3gpuE3ELNS1_3repE0EEENS1_47radix_sort_onesweep_sort_config_static_selectorELNS0_4arch9wavefront6targetE1EEEvSE_
		.amdhsa_group_segment_fixed_size 0
		.amdhsa_private_segment_fixed_size 0
		.amdhsa_kernarg_size 88
		.amdhsa_user_sgpr_count 6
		.amdhsa_user_sgpr_private_segment_buffer 1
		.amdhsa_user_sgpr_dispatch_ptr 0
		.amdhsa_user_sgpr_queue_ptr 0
		.amdhsa_user_sgpr_kernarg_segment_ptr 1
		.amdhsa_user_sgpr_dispatch_id 0
		.amdhsa_user_sgpr_flat_scratch_init 0
		.amdhsa_user_sgpr_kernarg_preload_length 0
		.amdhsa_user_sgpr_kernarg_preload_offset 0
		.amdhsa_user_sgpr_private_segment_size 0
		.amdhsa_uses_dynamic_stack 0
		.amdhsa_system_sgpr_private_segment_wavefront_offset 0
		.amdhsa_system_sgpr_workgroup_id_x 1
		.amdhsa_system_sgpr_workgroup_id_y 0
		.amdhsa_system_sgpr_workgroup_id_z 0
		.amdhsa_system_sgpr_workgroup_info 0
		.amdhsa_system_vgpr_workitem_id 0
		.amdhsa_next_free_vgpr 1
		.amdhsa_next_free_sgpr 0
		.amdhsa_accum_offset 4
		.amdhsa_reserve_vcc 0
		.amdhsa_reserve_flat_scratch 0
		.amdhsa_float_round_mode_32 0
		.amdhsa_float_round_mode_16_64 0
		.amdhsa_float_denorm_mode_32 3
		.amdhsa_float_denorm_mode_16_64 3
		.amdhsa_dx10_clamp 1
		.amdhsa_ieee_mode 1
		.amdhsa_fp16_overflow 0
		.amdhsa_tg_split 0
		.amdhsa_exception_fp_ieee_invalid_op 0
		.amdhsa_exception_fp_denorm_src 0
		.amdhsa_exception_fp_ieee_div_zero 0
		.amdhsa_exception_fp_ieee_overflow 0
		.amdhsa_exception_fp_ieee_underflow 0
		.amdhsa_exception_fp_ieee_inexact 0
		.amdhsa_exception_int_div_zero 0
	.end_amdhsa_kernel
	.section	.text._ZN7rocprim17ROCPRIM_400000_NS6detail17trampoline_kernelINS0_14default_configENS1_35radix_sort_onesweep_config_selectorIlNS0_10empty_typeEEEZZNS1_29radix_sort_onesweep_iterationIS3_Lb1EPlS8_PS5_S9_mNS0_19identity_decomposerENS1_16block_id_wrapperIjLb1EEEEE10hipError_tT1_PNSt15iterator_traitsISE_E10value_typeET2_T3_PNSF_ISK_E10value_typeET4_T5_PSP_SQ_PNS1_23onesweep_lookback_stateEbbT6_jjT7_P12ihipStream_tbENKUlT_T0_SE_SJ_E_clIS8_S8_S9_S9_EEDaSX_SY_SE_SJ_EUlSX_E_NS1_11comp_targetILNS1_3genE9ELNS1_11target_archE1100ELNS1_3gpuE3ELNS1_3repE0EEENS1_47radix_sort_onesweep_sort_config_static_selectorELNS0_4arch9wavefront6targetE1EEEvSE_,"axG",@progbits,_ZN7rocprim17ROCPRIM_400000_NS6detail17trampoline_kernelINS0_14default_configENS1_35radix_sort_onesweep_config_selectorIlNS0_10empty_typeEEEZZNS1_29radix_sort_onesweep_iterationIS3_Lb1EPlS8_PS5_S9_mNS0_19identity_decomposerENS1_16block_id_wrapperIjLb1EEEEE10hipError_tT1_PNSt15iterator_traitsISE_E10value_typeET2_T3_PNSF_ISK_E10value_typeET4_T5_PSP_SQ_PNS1_23onesweep_lookback_stateEbbT6_jjT7_P12ihipStream_tbENKUlT_T0_SE_SJ_E_clIS8_S8_S9_S9_EEDaSX_SY_SE_SJ_EUlSX_E_NS1_11comp_targetILNS1_3genE9ELNS1_11target_archE1100ELNS1_3gpuE3ELNS1_3repE0EEENS1_47radix_sort_onesweep_sort_config_static_selectorELNS0_4arch9wavefront6targetE1EEEvSE_,comdat
.Lfunc_end2205:
	.size	_ZN7rocprim17ROCPRIM_400000_NS6detail17trampoline_kernelINS0_14default_configENS1_35radix_sort_onesweep_config_selectorIlNS0_10empty_typeEEEZZNS1_29radix_sort_onesweep_iterationIS3_Lb1EPlS8_PS5_S9_mNS0_19identity_decomposerENS1_16block_id_wrapperIjLb1EEEEE10hipError_tT1_PNSt15iterator_traitsISE_E10value_typeET2_T3_PNSF_ISK_E10value_typeET4_T5_PSP_SQ_PNS1_23onesweep_lookback_stateEbbT6_jjT7_P12ihipStream_tbENKUlT_T0_SE_SJ_E_clIS8_S8_S9_S9_EEDaSX_SY_SE_SJ_EUlSX_E_NS1_11comp_targetILNS1_3genE9ELNS1_11target_archE1100ELNS1_3gpuE3ELNS1_3repE0EEENS1_47radix_sort_onesweep_sort_config_static_selectorELNS0_4arch9wavefront6targetE1EEEvSE_, .Lfunc_end2205-_ZN7rocprim17ROCPRIM_400000_NS6detail17trampoline_kernelINS0_14default_configENS1_35radix_sort_onesweep_config_selectorIlNS0_10empty_typeEEEZZNS1_29radix_sort_onesweep_iterationIS3_Lb1EPlS8_PS5_S9_mNS0_19identity_decomposerENS1_16block_id_wrapperIjLb1EEEEE10hipError_tT1_PNSt15iterator_traitsISE_E10value_typeET2_T3_PNSF_ISK_E10value_typeET4_T5_PSP_SQ_PNS1_23onesweep_lookback_stateEbbT6_jjT7_P12ihipStream_tbENKUlT_T0_SE_SJ_E_clIS8_S8_S9_S9_EEDaSX_SY_SE_SJ_EUlSX_E_NS1_11comp_targetILNS1_3genE9ELNS1_11target_archE1100ELNS1_3gpuE3ELNS1_3repE0EEENS1_47radix_sort_onesweep_sort_config_static_selectorELNS0_4arch9wavefront6targetE1EEEvSE_
                                        ; -- End function
	.section	.AMDGPU.csdata,"",@progbits
; Kernel info:
; codeLenInByte = 0
; NumSgprs: 4
; NumVgprs: 0
; NumAgprs: 0
; TotalNumVgprs: 0
; ScratchSize: 0
; MemoryBound: 0
; FloatMode: 240
; IeeeMode: 1
; LDSByteSize: 0 bytes/workgroup (compile time only)
; SGPRBlocks: 0
; VGPRBlocks: 0
; NumSGPRsForWavesPerEU: 4
; NumVGPRsForWavesPerEU: 1
; AccumOffset: 4
; Occupancy: 8
; WaveLimiterHint : 0
; COMPUTE_PGM_RSRC2:SCRATCH_EN: 0
; COMPUTE_PGM_RSRC2:USER_SGPR: 6
; COMPUTE_PGM_RSRC2:TRAP_HANDLER: 0
; COMPUTE_PGM_RSRC2:TGID_X_EN: 1
; COMPUTE_PGM_RSRC2:TGID_Y_EN: 0
; COMPUTE_PGM_RSRC2:TGID_Z_EN: 0
; COMPUTE_PGM_RSRC2:TIDIG_COMP_CNT: 0
; COMPUTE_PGM_RSRC3_GFX90A:ACCUM_OFFSET: 0
; COMPUTE_PGM_RSRC3_GFX90A:TG_SPLIT: 0
	.section	.text._ZN7rocprim17ROCPRIM_400000_NS6detail17trampoline_kernelINS0_14default_configENS1_35radix_sort_onesweep_config_selectorIlNS0_10empty_typeEEEZZNS1_29radix_sort_onesweep_iterationIS3_Lb1EPlS8_PS5_S9_mNS0_19identity_decomposerENS1_16block_id_wrapperIjLb1EEEEE10hipError_tT1_PNSt15iterator_traitsISE_E10value_typeET2_T3_PNSF_ISK_E10value_typeET4_T5_PSP_SQ_PNS1_23onesweep_lookback_stateEbbT6_jjT7_P12ihipStream_tbENKUlT_T0_SE_SJ_E_clIS8_S8_S9_S9_EEDaSX_SY_SE_SJ_EUlSX_E_NS1_11comp_targetILNS1_3genE8ELNS1_11target_archE1030ELNS1_3gpuE2ELNS1_3repE0EEENS1_47radix_sort_onesweep_sort_config_static_selectorELNS0_4arch9wavefront6targetE1EEEvSE_,"axG",@progbits,_ZN7rocprim17ROCPRIM_400000_NS6detail17trampoline_kernelINS0_14default_configENS1_35radix_sort_onesweep_config_selectorIlNS0_10empty_typeEEEZZNS1_29radix_sort_onesweep_iterationIS3_Lb1EPlS8_PS5_S9_mNS0_19identity_decomposerENS1_16block_id_wrapperIjLb1EEEEE10hipError_tT1_PNSt15iterator_traitsISE_E10value_typeET2_T3_PNSF_ISK_E10value_typeET4_T5_PSP_SQ_PNS1_23onesweep_lookback_stateEbbT6_jjT7_P12ihipStream_tbENKUlT_T0_SE_SJ_E_clIS8_S8_S9_S9_EEDaSX_SY_SE_SJ_EUlSX_E_NS1_11comp_targetILNS1_3genE8ELNS1_11target_archE1030ELNS1_3gpuE2ELNS1_3repE0EEENS1_47radix_sort_onesweep_sort_config_static_selectorELNS0_4arch9wavefront6targetE1EEEvSE_,comdat
	.protected	_ZN7rocprim17ROCPRIM_400000_NS6detail17trampoline_kernelINS0_14default_configENS1_35radix_sort_onesweep_config_selectorIlNS0_10empty_typeEEEZZNS1_29radix_sort_onesweep_iterationIS3_Lb1EPlS8_PS5_S9_mNS0_19identity_decomposerENS1_16block_id_wrapperIjLb1EEEEE10hipError_tT1_PNSt15iterator_traitsISE_E10value_typeET2_T3_PNSF_ISK_E10value_typeET4_T5_PSP_SQ_PNS1_23onesweep_lookback_stateEbbT6_jjT7_P12ihipStream_tbENKUlT_T0_SE_SJ_E_clIS8_S8_S9_S9_EEDaSX_SY_SE_SJ_EUlSX_E_NS1_11comp_targetILNS1_3genE8ELNS1_11target_archE1030ELNS1_3gpuE2ELNS1_3repE0EEENS1_47radix_sort_onesweep_sort_config_static_selectorELNS0_4arch9wavefront6targetE1EEEvSE_ ; -- Begin function _ZN7rocprim17ROCPRIM_400000_NS6detail17trampoline_kernelINS0_14default_configENS1_35radix_sort_onesweep_config_selectorIlNS0_10empty_typeEEEZZNS1_29radix_sort_onesweep_iterationIS3_Lb1EPlS8_PS5_S9_mNS0_19identity_decomposerENS1_16block_id_wrapperIjLb1EEEEE10hipError_tT1_PNSt15iterator_traitsISE_E10value_typeET2_T3_PNSF_ISK_E10value_typeET4_T5_PSP_SQ_PNS1_23onesweep_lookback_stateEbbT6_jjT7_P12ihipStream_tbENKUlT_T0_SE_SJ_E_clIS8_S8_S9_S9_EEDaSX_SY_SE_SJ_EUlSX_E_NS1_11comp_targetILNS1_3genE8ELNS1_11target_archE1030ELNS1_3gpuE2ELNS1_3repE0EEENS1_47radix_sort_onesweep_sort_config_static_selectorELNS0_4arch9wavefront6targetE1EEEvSE_
	.globl	_ZN7rocprim17ROCPRIM_400000_NS6detail17trampoline_kernelINS0_14default_configENS1_35radix_sort_onesweep_config_selectorIlNS0_10empty_typeEEEZZNS1_29radix_sort_onesweep_iterationIS3_Lb1EPlS8_PS5_S9_mNS0_19identity_decomposerENS1_16block_id_wrapperIjLb1EEEEE10hipError_tT1_PNSt15iterator_traitsISE_E10value_typeET2_T3_PNSF_ISK_E10value_typeET4_T5_PSP_SQ_PNS1_23onesweep_lookback_stateEbbT6_jjT7_P12ihipStream_tbENKUlT_T0_SE_SJ_E_clIS8_S8_S9_S9_EEDaSX_SY_SE_SJ_EUlSX_E_NS1_11comp_targetILNS1_3genE8ELNS1_11target_archE1030ELNS1_3gpuE2ELNS1_3repE0EEENS1_47radix_sort_onesweep_sort_config_static_selectorELNS0_4arch9wavefront6targetE1EEEvSE_
	.p2align	8
	.type	_ZN7rocprim17ROCPRIM_400000_NS6detail17trampoline_kernelINS0_14default_configENS1_35radix_sort_onesweep_config_selectorIlNS0_10empty_typeEEEZZNS1_29radix_sort_onesweep_iterationIS3_Lb1EPlS8_PS5_S9_mNS0_19identity_decomposerENS1_16block_id_wrapperIjLb1EEEEE10hipError_tT1_PNSt15iterator_traitsISE_E10value_typeET2_T3_PNSF_ISK_E10value_typeET4_T5_PSP_SQ_PNS1_23onesweep_lookback_stateEbbT6_jjT7_P12ihipStream_tbENKUlT_T0_SE_SJ_E_clIS8_S8_S9_S9_EEDaSX_SY_SE_SJ_EUlSX_E_NS1_11comp_targetILNS1_3genE8ELNS1_11target_archE1030ELNS1_3gpuE2ELNS1_3repE0EEENS1_47radix_sort_onesweep_sort_config_static_selectorELNS0_4arch9wavefront6targetE1EEEvSE_,@function
_ZN7rocprim17ROCPRIM_400000_NS6detail17trampoline_kernelINS0_14default_configENS1_35radix_sort_onesweep_config_selectorIlNS0_10empty_typeEEEZZNS1_29radix_sort_onesweep_iterationIS3_Lb1EPlS8_PS5_S9_mNS0_19identity_decomposerENS1_16block_id_wrapperIjLb1EEEEE10hipError_tT1_PNSt15iterator_traitsISE_E10value_typeET2_T3_PNSF_ISK_E10value_typeET4_T5_PSP_SQ_PNS1_23onesweep_lookback_stateEbbT6_jjT7_P12ihipStream_tbENKUlT_T0_SE_SJ_E_clIS8_S8_S9_S9_EEDaSX_SY_SE_SJ_EUlSX_E_NS1_11comp_targetILNS1_3genE8ELNS1_11target_archE1030ELNS1_3gpuE2ELNS1_3repE0EEENS1_47radix_sort_onesweep_sort_config_static_selectorELNS0_4arch9wavefront6targetE1EEEvSE_: ; @_ZN7rocprim17ROCPRIM_400000_NS6detail17trampoline_kernelINS0_14default_configENS1_35radix_sort_onesweep_config_selectorIlNS0_10empty_typeEEEZZNS1_29radix_sort_onesweep_iterationIS3_Lb1EPlS8_PS5_S9_mNS0_19identity_decomposerENS1_16block_id_wrapperIjLb1EEEEE10hipError_tT1_PNSt15iterator_traitsISE_E10value_typeET2_T3_PNSF_ISK_E10value_typeET4_T5_PSP_SQ_PNS1_23onesweep_lookback_stateEbbT6_jjT7_P12ihipStream_tbENKUlT_T0_SE_SJ_E_clIS8_S8_S9_S9_EEDaSX_SY_SE_SJ_EUlSX_E_NS1_11comp_targetILNS1_3genE8ELNS1_11target_archE1030ELNS1_3gpuE2ELNS1_3repE0EEENS1_47radix_sort_onesweep_sort_config_static_selectorELNS0_4arch9wavefront6targetE1EEEvSE_
; %bb.0:
	.section	.rodata,"a",@progbits
	.p2align	6, 0x0
	.amdhsa_kernel _ZN7rocprim17ROCPRIM_400000_NS6detail17trampoline_kernelINS0_14default_configENS1_35radix_sort_onesweep_config_selectorIlNS0_10empty_typeEEEZZNS1_29radix_sort_onesweep_iterationIS3_Lb1EPlS8_PS5_S9_mNS0_19identity_decomposerENS1_16block_id_wrapperIjLb1EEEEE10hipError_tT1_PNSt15iterator_traitsISE_E10value_typeET2_T3_PNSF_ISK_E10value_typeET4_T5_PSP_SQ_PNS1_23onesweep_lookback_stateEbbT6_jjT7_P12ihipStream_tbENKUlT_T0_SE_SJ_E_clIS8_S8_S9_S9_EEDaSX_SY_SE_SJ_EUlSX_E_NS1_11comp_targetILNS1_3genE8ELNS1_11target_archE1030ELNS1_3gpuE2ELNS1_3repE0EEENS1_47radix_sort_onesweep_sort_config_static_selectorELNS0_4arch9wavefront6targetE1EEEvSE_
		.amdhsa_group_segment_fixed_size 0
		.amdhsa_private_segment_fixed_size 0
		.amdhsa_kernarg_size 88
		.amdhsa_user_sgpr_count 6
		.amdhsa_user_sgpr_private_segment_buffer 1
		.amdhsa_user_sgpr_dispatch_ptr 0
		.amdhsa_user_sgpr_queue_ptr 0
		.amdhsa_user_sgpr_kernarg_segment_ptr 1
		.amdhsa_user_sgpr_dispatch_id 0
		.amdhsa_user_sgpr_flat_scratch_init 0
		.amdhsa_user_sgpr_kernarg_preload_length 0
		.amdhsa_user_sgpr_kernarg_preload_offset 0
		.amdhsa_user_sgpr_private_segment_size 0
		.amdhsa_uses_dynamic_stack 0
		.amdhsa_system_sgpr_private_segment_wavefront_offset 0
		.amdhsa_system_sgpr_workgroup_id_x 1
		.amdhsa_system_sgpr_workgroup_id_y 0
		.amdhsa_system_sgpr_workgroup_id_z 0
		.amdhsa_system_sgpr_workgroup_info 0
		.amdhsa_system_vgpr_workitem_id 0
		.amdhsa_next_free_vgpr 1
		.amdhsa_next_free_sgpr 0
		.amdhsa_accum_offset 4
		.amdhsa_reserve_vcc 0
		.amdhsa_reserve_flat_scratch 0
		.amdhsa_float_round_mode_32 0
		.amdhsa_float_round_mode_16_64 0
		.amdhsa_float_denorm_mode_32 3
		.amdhsa_float_denorm_mode_16_64 3
		.amdhsa_dx10_clamp 1
		.amdhsa_ieee_mode 1
		.amdhsa_fp16_overflow 0
		.amdhsa_tg_split 0
		.amdhsa_exception_fp_ieee_invalid_op 0
		.amdhsa_exception_fp_denorm_src 0
		.amdhsa_exception_fp_ieee_div_zero 0
		.amdhsa_exception_fp_ieee_overflow 0
		.amdhsa_exception_fp_ieee_underflow 0
		.amdhsa_exception_fp_ieee_inexact 0
		.amdhsa_exception_int_div_zero 0
	.end_amdhsa_kernel
	.section	.text._ZN7rocprim17ROCPRIM_400000_NS6detail17trampoline_kernelINS0_14default_configENS1_35radix_sort_onesweep_config_selectorIlNS0_10empty_typeEEEZZNS1_29radix_sort_onesweep_iterationIS3_Lb1EPlS8_PS5_S9_mNS0_19identity_decomposerENS1_16block_id_wrapperIjLb1EEEEE10hipError_tT1_PNSt15iterator_traitsISE_E10value_typeET2_T3_PNSF_ISK_E10value_typeET4_T5_PSP_SQ_PNS1_23onesweep_lookback_stateEbbT6_jjT7_P12ihipStream_tbENKUlT_T0_SE_SJ_E_clIS8_S8_S9_S9_EEDaSX_SY_SE_SJ_EUlSX_E_NS1_11comp_targetILNS1_3genE8ELNS1_11target_archE1030ELNS1_3gpuE2ELNS1_3repE0EEENS1_47radix_sort_onesweep_sort_config_static_selectorELNS0_4arch9wavefront6targetE1EEEvSE_,"axG",@progbits,_ZN7rocprim17ROCPRIM_400000_NS6detail17trampoline_kernelINS0_14default_configENS1_35radix_sort_onesweep_config_selectorIlNS0_10empty_typeEEEZZNS1_29radix_sort_onesweep_iterationIS3_Lb1EPlS8_PS5_S9_mNS0_19identity_decomposerENS1_16block_id_wrapperIjLb1EEEEE10hipError_tT1_PNSt15iterator_traitsISE_E10value_typeET2_T3_PNSF_ISK_E10value_typeET4_T5_PSP_SQ_PNS1_23onesweep_lookback_stateEbbT6_jjT7_P12ihipStream_tbENKUlT_T0_SE_SJ_E_clIS8_S8_S9_S9_EEDaSX_SY_SE_SJ_EUlSX_E_NS1_11comp_targetILNS1_3genE8ELNS1_11target_archE1030ELNS1_3gpuE2ELNS1_3repE0EEENS1_47radix_sort_onesweep_sort_config_static_selectorELNS0_4arch9wavefront6targetE1EEEvSE_,comdat
.Lfunc_end2206:
	.size	_ZN7rocprim17ROCPRIM_400000_NS6detail17trampoline_kernelINS0_14default_configENS1_35radix_sort_onesweep_config_selectorIlNS0_10empty_typeEEEZZNS1_29radix_sort_onesweep_iterationIS3_Lb1EPlS8_PS5_S9_mNS0_19identity_decomposerENS1_16block_id_wrapperIjLb1EEEEE10hipError_tT1_PNSt15iterator_traitsISE_E10value_typeET2_T3_PNSF_ISK_E10value_typeET4_T5_PSP_SQ_PNS1_23onesweep_lookback_stateEbbT6_jjT7_P12ihipStream_tbENKUlT_T0_SE_SJ_E_clIS8_S8_S9_S9_EEDaSX_SY_SE_SJ_EUlSX_E_NS1_11comp_targetILNS1_3genE8ELNS1_11target_archE1030ELNS1_3gpuE2ELNS1_3repE0EEENS1_47radix_sort_onesweep_sort_config_static_selectorELNS0_4arch9wavefront6targetE1EEEvSE_, .Lfunc_end2206-_ZN7rocprim17ROCPRIM_400000_NS6detail17trampoline_kernelINS0_14default_configENS1_35radix_sort_onesweep_config_selectorIlNS0_10empty_typeEEEZZNS1_29radix_sort_onesweep_iterationIS3_Lb1EPlS8_PS5_S9_mNS0_19identity_decomposerENS1_16block_id_wrapperIjLb1EEEEE10hipError_tT1_PNSt15iterator_traitsISE_E10value_typeET2_T3_PNSF_ISK_E10value_typeET4_T5_PSP_SQ_PNS1_23onesweep_lookback_stateEbbT6_jjT7_P12ihipStream_tbENKUlT_T0_SE_SJ_E_clIS8_S8_S9_S9_EEDaSX_SY_SE_SJ_EUlSX_E_NS1_11comp_targetILNS1_3genE8ELNS1_11target_archE1030ELNS1_3gpuE2ELNS1_3repE0EEENS1_47radix_sort_onesweep_sort_config_static_selectorELNS0_4arch9wavefront6targetE1EEEvSE_
                                        ; -- End function
	.section	.AMDGPU.csdata,"",@progbits
; Kernel info:
; codeLenInByte = 0
; NumSgprs: 4
; NumVgprs: 0
; NumAgprs: 0
; TotalNumVgprs: 0
; ScratchSize: 0
; MemoryBound: 0
; FloatMode: 240
; IeeeMode: 1
; LDSByteSize: 0 bytes/workgroup (compile time only)
; SGPRBlocks: 0
; VGPRBlocks: 0
; NumSGPRsForWavesPerEU: 4
; NumVGPRsForWavesPerEU: 1
; AccumOffset: 4
; Occupancy: 8
; WaveLimiterHint : 0
; COMPUTE_PGM_RSRC2:SCRATCH_EN: 0
; COMPUTE_PGM_RSRC2:USER_SGPR: 6
; COMPUTE_PGM_RSRC2:TRAP_HANDLER: 0
; COMPUTE_PGM_RSRC2:TGID_X_EN: 1
; COMPUTE_PGM_RSRC2:TGID_Y_EN: 0
; COMPUTE_PGM_RSRC2:TGID_Z_EN: 0
; COMPUTE_PGM_RSRC2:TIDIG_COMP_CNT: 0
; COMPUTE_PGM_RSRC3_GFX90A:ACCUM_OFFSET: 0
; COMPUTE_PGM_RSRC3_GFX90A:TG_SPLIT: 0
	.section	.text._ZN7rocprim17ROCPRIM_400000_NS6detail17trampoline_kernelINS0_14default_configENS1_35radix_sort_onesweep_config_selectorIlNS0_10empty_typeEEEZZNS1_29radix_sort_onesweep_iterationIS3_Lb1EPlS8_PS5_S9_mNS0_19identity_decomposerENS1_16block_id_wrapperIjLb0EEEEE10hipError_tT1_PNSt15iterator_traitsISE_E10value_typeET2_T3_PNSF_ISK_E10value_typeET4_T5_PSP_SQ_PNS1_23onesweep_lookback_stateEbbT6_jjT7_P12ihipStream_tbENKUlT_T0_SE_SJ_E_clIS8_S8_S9_S9_EEDaSX_SY_SE_SJ_EUlSX_E_NS1_11comp_targetILNS1_3genE0ELNS1_11target_archE4294967295ELNS1_3gpuE0ELNS1_3repE0EEENS1_47radix_sort_onesweep_sort_config_static_selectorELNS0_4arch9wavefront6targetE1EEEvSE_,"axG",@progbits,_ZN7rocprim17ROCPRIM_400000_NS6detail17trampoline_kernelINS0_14default_configENS1_35radix_sort_onesweep_config_selectorIlNS0_10empty_typeEEEZZNS1_29radix_sort_onesweep_iterationIS3_Lb1EPlS8_PS5_S9_mNS0_19identity_decomposerENS1_16block_id_wrapperIjLb0EEEEE10hipError_tT1_PNSt15iterator_traitsISE_E10value_typeET2_T3_PNSF_ISK_E10value_typeET4_T5_PSP_SQ_PNS1_23onesweep_lookback_stateEbbT6_jjT7_P12ihipStream_tbENKUlT_T0_SE_SJ_E_clIS8_S8_S9_S9_EEDaSX_SY_SE_SJ_EUlSX_E_NS1_11comp_targetILNS1_3genE0ELNS1_11target_archE4294967295ELNS1_3gpuE0ELNS1_3repE0EEENS1_47radix_sort_onesweep_sort_config_static_selectorELNS0_4arch9wavefront6targetE1EEEvSE_,comdat
	.protected	_ZN7rocprim17ROCPRIM_400000_NS6detail17trampoline_kernelINS0_14default_configENS1_35radix_sort_onesweep_config_selectorIlNS0_10empty_typeEEEZZNS1_29radix_sort_onesweep_iterationIS3_Lb1EPlS8_PS5_S9_mNS0_19identity_decomposerENS1_16block_id_wrapperIjLb0EEEEE10hipError_tT1_PNSt15iterator_traitsISE_E10value_typeET2_T3_PNSF_ISK_E10value_typeET4_T5_PSP_SQ_PNS1_23onesweep_lookback_stateEbbT6_jjT7_P12ihipStream_tbENKUlT_T0_SE_SJ_E_clIS8_S8_S9_S9_EEDaSX_SY_SE_SJ_EUlSX_E_NS1_11comp_targetILNS1_3genE0ELNS1_11target_archE4294967295ELNS1_3gpuE0ELNS1_3repE0EEENS1_47radix_sort_onesweep_sort_config_static_selectorELNS0_4arch9wavefront6targetE1EEEvSE_ ; -- Begin function _ZN7rocprim17ROCPRIM_400000_NS6detail17trampoline_kernelINS0_14default_configENS1_35radix_sort_onesweep_config_selectorIlNS0_10empty_typeEEEZZNS1_29radix_sort_onesweep_iterationIS3_Lb1EPlS8_PS5_S9_mNS0_19identity_decomposerENS1_16block_id_wrapperIjLb0EEEEE10hipError_tT1_PNSt15iterator_traitsISE_E10value_typeET2_T3_PNSF_ISK_E10value_typeET4_T5_PSP_SQ_PNS1_23onesweep_lookback_stateEbbT6_jjT7_P12ihipStream_tbENKUlT_T0_SE_SJ_E_clIS8_S8_S9_S9_EEDaSX_SY_SE_SJ_EUlSX_E_NS1_11comp_targetILNS1_3genE0ELNS1_11target_archE4294967295ELNS1_3gpuE0ELNS1_3repE0EEENS1_47radix_sort_onesweep_sort_config_static_selectorELNS0_4arch9wavefront6targetE1EEEvSE_
	.globl	_ZN7rocprim17ROCPRIM_400000_NS6detail17trampoline_kernelINS0_14default_configENS1_35radix_sort_onesweep_config_selectorIlNS0_10empty_typeEEEZZNS1_29radix_sort_onesweep_iterationIS3_Lb1EPlS8_PS5_S9_mNS0_19identity_decomposerENS1_16block_id_wrapperIjLb0EEEEE10hipError_tT1_PNSt15iterator_traitsISE_E10value_typeET2_T3_PNSF_ISK_E10value_typeET4_T5_PSP_SQ_PNS1_23onesweep_lookback_stateEbbT6_jjT7_P12ihipStream_tbENKUlT_T0_SE_SJ_E_clIS8_S8_S9_S9_EEDaSX_SY_SE_SJ_EUlSX_E_NS1_11comp_targetILNS1_3genE0ELNS1_11target_archE4294967295ELNS1_3gpuE0ELNS1_3repE0EEENS1_47radix_sort_onesweep_sort_config_static_selectorELNS0_4arch9wavefront6targetE1EEEvSE_
	.p2align	8
	.type	_ZN7rocprim17ROCPRIM_400000_NS6detail17trampoline_kernelINS0_14default_configENS1_35radix_sort_onesweep_config_selectorIlNS0_10empty_typeEEEZZNS1_29radix_sort_onesweep_iterationIS3_Lb1EPlS8_PS5_S9_mNS0_19identity_decomposerENS1_16block_id_wrapperIjLb0EEEEE10hipError_tT1_PNSt15iterator_traitsISE_E10value_typeET2_T3_PNSF_ISK_E10value_typeET4_T5_PSP_SQ_PNS1_23onesweep_lookback_stateEbbT6_jjT7_P12ihipStream_tbENKUlT_T0_SE_SJ_E_clIS8_S8_S9_S9_EEDaSX_SY_SE_SJ_EUlSX_E_NS1_11comp_targetILNS1_3genE0ELNS1_11target_archE4294967295ELNS1_3gpuE0ELNS1_3repE0EEENS1_47radix_sort_onesweep_sort_config_static_selectorELNS0_4arch9wavefront6targetE1EEEvSE_,@function
_ZN7rocprim17ROCPRIM_400000_NS6detail17trampoline_kernelINS0_14default_configENS1_35radix_sort_onesweep_config_selectorIlNS0_10empty_typeEEEZZNS1_29radix_sort_onesweep_iterationIS3_Lb1EPlS8_PS5_S9_mNS0_19identity_decomposerENS1_16block_id_wrapperIjLb0EEEEE10hipError_tT1_PNSt15iterator_traitsISE_E10value_typeET2_T3_PNSF_ISK_E10value_typeET4_T5_PSP_SQ_PNS1_23onesweep_lookback_stateEbbT6_jjT7_P12ihipStream_tbENKUlT_T0_SE_SJ_E_clIS8_S8_S9_S9_EEDaSX_SY_SE_SJ_EUlSX_E_NS1_11comp_targetILNS1_3genE0ELNS1_11target_archE4294967295ELNS1_3gpuE0ELNS1_3repE0EEENS1_47radix_sort_onesweep_sort_config_static_selectorELNS0_4arch9wavefront6targetE1EEEvSE_: ; @_ZN7rocprim17ROCPRIM_400000_NS6detail17trampoline_kernelINS0_14default_configENS1_35radix_sort_onesweep_config_selectorIlNS0_10empty_typeEEEZZNS1_29radix_sort_onesweep_iterationIS3_Lb1EPlS8_PS5_S9_mNS0_19identity_decomposerENS1_16block_id_wrapperIjLb0EEEEE10hipError_tT1_PNSt15iterator_traitsISE_E10value_typeET2_T3_PNSF_ISK_E10value_typeET4_T5_PSP_SQ_PNS1_23onesweep_lookback_stateEbbT6_jjT7_P12ihipStream_tbENKUlT_T0_SE_SJ_E_clIS8_S8_S9_S9_EEDaSX_SY_SE_SJ_EUlSX_E_NS1_11comp_targetILNS1_3genE0ELNS1_11target_archE4294967295ELNS1_3gpuE0ELNS1_3repE0EEENS1_47radix_sort_onesweep_sort_config_static_selectorELNS0_4arch9wavefront6targetE1EEEvSE_
; %bb.0:
	.section	.rodata,"a",@progbits
	.p2align	6, 0x0
	.amdhsa_kernel _ZN7rocprim17ROCPRIM_400000_NS6detail17trampoline_kernelINS0_14default_configENS1_35radix_sort_onesweep_config_selectorIlNS0_10empty_typeEEEZZNS1_29radix_sort_onesweep_iterationIS3_Lb1EPlS8_PS5_S9_mNS0_19identity_decomposerENS1_16block_id_wrapperIjLb0EEEEE10hipError_tT1_PNSt15iterator_traitsISE_E10value_typeET2_T3_PNSF_ISK_E10value_typeET4_T5_PSP_SQ_PNS1_23onesweep_lookback_stateEbbT6_jjT7_P12ihipStream_tbENKUlT_T0_SE_SJ_E_clIS8_S8_S9_S9_EEDaSX_SY_SE_SJ_EUlSX_E_NS1_11comp_targetILNS1_3genE0ELNS1_11target_archE4294967295ELNS1_3gpuE0ELNS1_3repE0EEENS1_47radix_sort_onesweep_sort_config_static_selectorELNS0_4arch9wavefront6targetE1EEEvSE_
		.amdhsa_group_segment_fixed_size 0
		.amdhsa_private_segment_fixed_size 0
		.amdhsa_kernarg_size 88
		.amdhsa_user_sgpr_count 6
		.amdhsa_user_sgpr_private_segment_buffer 1
		.amdhsa_user_sgpr_dispatch_ptr 0
		.amdhsa_user_sgpr_queue_ptr 0
		.amdhsa_user_sgpr_kernarg_segment_ptr 1
		.amdhsa_user_sgpr_dispatch_id 0
		.amdhsa_user_sgpr_flat_scratch_init 0
		.amdhsa_user_sgpr_kernarg_preload_length 0
		.amdhsa_user_sgpr_kernarg_preload_offset 0
		.amdhsa_user_sgpr_private_segment_size 0
		.amdhsa_uses_dynamic_stack 0
		.amdhsa_system_sgpr_private_segment_wavefront_offset 0
		.amdhsa_system_sgpr_workgroup_id_x 1
		.amdhsa_system_sgpr_workgroup_id_y 0
		.amdhsa_system_sgpr_workgroup_id_z 0
		.amdhsa_system_sgpr_workgroup_info 0
		.amdhsa_system_vgpr_workitem_id 0
		.amdhsa_next_free_vgpr 1
		.amdhsa_next_free_sgpr 0
		.amdhsa_accum_offset 4
		.amdhsa_reserve_vcc 0
		.amdhsa_reserve_flat_scratch 0
		.amdhsa_float_round_mode_32 0
		.amdhsa_float_round_mode_16_64 0
		.amdhsa_float_denorm_mode_32 3
		.amdhsa_float_denorm_mode_16_64 3
		.amdhsa_dx10_clamp 1
		.amdhsa_ieee_mode 1
		.amdhsa_fp16_overflow 0
		.amdhsa_tg_split 0
		.amdhsa_exception_fp_ieee_invalid_op 0
		.amdhsa_exception_fp_denorm_src 0
		.amdhsa_exception_fp_ieee_div_zero 0
		.amdhsa_exception_fp_ieee_overflow 0
		.amdhsa_exception_fp_ieee_underflow 0
		.amdhsa_exception_fp_ieee_inexact 0
		.amdhsa_exception_int_div_zero 0
	.end_amdhsa_kernel
	.section	.text._ZN7rocprim17ROCPRIM_400000_NS6detail17trampoline_kernelINS0_14default_configENS1_35radix_sort_onesweep_config_selectorIlNS0_10empty_typeEEEZZNS1_29radix_sort_onesweep_iterationIS3_Lb1EPlS8_PS5_S9_mNS0_19identity_decomposerENS1_16block_id_wrapperIjLb0EEEEE10hipError_tT1_PNSt15iterator_traitsISE_E10value_typeET2_T3_PNSF_ISK_E10value_typeET4_T5_PSP_SQ_PNS1_23onesweep_lookback_stateEbbT6_jjT7_P12ihipStream_tbENKUlT_T0_SE_SJ_E_clIS8_S8_S9_S9_EEDaSX_SY_SE_SJ_EUlSX_E_NS1_11comp_targetILNS1_3genE0ELNS1_11target_archE4294967295ELNS1_3gpuE0ELNS1_3repE0EEENS1_47radix_sort_onesweep_sort_config_static_selectorELNS0_4arch9wavefront6targetE1EEEvSE_,"axG",@progbits,_ZN7rocprim17ROCPRIM_400000_NS6detail17trampoline_kernelINS0_14default_configENS1_35radix_sort_onesweep_config_selectorIlNS0_10empty_typeEEEZZNS1_29radix_sort_onesweep_iterationIS3_Lb1EPlS8_PS5_S9_mNS0_19identity_decomposerENS1_16block_id_wrapperIjLb0EEEEE10hipError_tT1_PNSt15iterator_traitsISE_E10value_typeET2_T3_PNSF_ISK_E10value_typeET4_T5_PSP_SQ_PNS1_23onesweep_lookback_stateEbbT6_jjT7_P12ihipStream_tbENKUlT_T0_SE_SJ_E_clIS8_S8_S9_S9_EEDaSX_SY_SE_SJ_EUlSX_E_NS1_11comp_targetILNS1_3genE0ELNS1_11target_archE4294967295ELNS1_3gpuE0ELNS1_3repE0EEENS1_47radix_sort_onesweep_sort_config_static_selectorELNS0_4arch9wavefront6targetE1EEEvSE_,comdat
.Lfunc_end2207:
	.size	_ZN7rocprim17ROCPRIM_400000_NS6detail17trampoline_kernelINS0_14default_configENS1_35radix_sort_onesweep_config_selectorIlNS0_10empty_typeEEEZZNS1_29radix_sort_onesweep_iterationIS3_Lb1EPlS8_PS5_S9_mNS0_19identity_decomposerENS1_16block_id_wrapperIjLb0EEEEE10hipError_tT1_PNSt15iterator_traitsISE_E10value_typeET2_T3_PNSF_ISK_E10value_typeET4_T5_PSP_SQ_PNS1_23onesweep_lookback_stateEbbT6_jjT7_P12ihipStream_tbENKUlT_T0_SE_SJ_E_clIS8_S8_S9_S9_EEDaSX_SY_SE_SJ_EUlSX_E_NS1_11comp_targetILNS1_3genE0ELNS1_11target_archE4294967295ELNS1_3gpuE0ELNS1_3repE0EEENS1_47radix_sort_onesweep_sort_config_static_selectorELNS0_4arch9wavefront6targetE1EEEvSE_, .Lfunc_end2207-_ZN7rocprim17ROCPRIM_400000_NS6detail17trampoline_kernelINS0_14default_configENS1_35radix_sort_onesweep_config_selectorIlNS0_10empty_typeEEEZZNS1_29radix_sort_onesweep_iterationIS3_Lb1EPlS8_PS5_S9_mNS0_19identity_decomposerENS1_16block_id_wrapperIjLb0EEEEE10hipError_tT1_PNSt15iterator_traitsISE_E10value_typeET2_T3_PNSF_ISK_E10value_typeET4_T5_PSP_SQ_PNS1_23onesweep_lookback_stateEbbT6_jjT7_P12ihipStream_tbENKUlT_T0_SE_SJ_E_clIS8_S8_S9_S9_EEDaSX_SY_SE_SJ_EUlSX_E_NS1_11comp_targetILNS1_3genE0ELNS1_11target_archE4294967295ELNS1_3gpuE0ELNS1_3repE0EEENS1_47radix_sort_onesweep_sort_config_static_selectorELNS0_4arch9wavefront6targetE1EEEvSE_
                                        ; -- End function
	.section	.AMDGPU.csdata,"",@progbits
; Kernel info:
; codeLenInByte = 0
; NumSgprs: 4
; NumVgprs: 0
; NumAgprs: 0
; TotalNumVgprs: 0
; ScratchSize: 0
; MemoryBound: 0
; FloatMode: 240
; IeeeMode: 1
; LDSByteSize: 0 bytes/workgroup (compile time only)
; SGPRBlocks: 0
; VGPRBlocks: 0
; NumSGPRsForWavesPerEU: 4
; NumVGPRsForWavesPerEU: 1
; AccumOffset: 4
; Occupancy: 8
; WaveLimiterHint : 0
; COMPUTE_PGM_RSRC2:SCRATCH_EN: 0
; COMPUTE_PGM_RSRC2:USER_SGPR: 6
; COMPUTE_PGM_RSRC2:TRAP_HANDLER: 0
; COMPUTE_PGM_RSRC2:TGID_X_EN: 1
; COMPUTE_PGM_RSRC2:TGID_Y_EN: 0
; COMPUTE_PGM_RSRC2:TGID_Z_EN: 0
; COMPUTE_PGM_RSRC2:TIDIG_COMP_CNT: 0
; COMPUTE_PGM_RSRC3_GFX90A:ACCUM_OFFSET: 0
; COMPUTE_PGM_RSRC3_GFX90A:TG_SPLIT: 0
	.section	.text._ZN7rocprim17ROCPRIM_400000_NS6detail17trampoline_kernelINS0_14default_configENS1_35radix_sort_onesweep_config_selectorIlNS0_10empty_typeEEEZZNS1_29radix_sort_onesweep_iterationIS3_Lb1EPlS8_PS5_S9_mNS0_19identity_decomposerENS1_16block_id_wrapperIjLb0EEEEE10hipError_tT1_PNSt15iterator_traitsISE_E10value_typeET2_T3_PNSF_ISK_E10value_typeET4_T5_PSP_SQ_PNS1_23onesweep_lookback_stateEbbT6_jjT7_P12ihipStream_tbENKUlT_T0_SE_SJ_E_clIS8_S8_S9_S9_EEDaSX_SY_SE_SJ_EUlSX_E_NS1_11comp_targetILNS1_3genE6ELNS1_11target_archE950ELNS1_3gpuE13ELNS1_3repE0EEENS1_47radix_sort_onesweep_sort_config_static_selectorELNS0_4arch9wavefront6targetE1EEEvSE_,"axG",@progbits,_ZN7rocprim17ROCPRIM_400000_NS6detail17trampoline_kernelINS0_14default_configENS1_35radix_sort_onesweep_config_selectorIlNS0_10empty_typeEEEZZNS1_29radix_sort_onesweep_iterationIS3_Lb1EPlS8_PS5_S9_mNS0_19identity_decomposerENS1_16block_id_wrapperIjLb0EEEEE10hipError_tT1_PNSt15iterator_traitsISE_E10value_typeET2_T3_PNSF_ISK_E10value_typeET4_T5_PSP_SQ_PNS1_23onesweep_lookback_stateEbbT6_jjT7_P12ihipStream_tbENKUlT_T0_SE_SJ_E_clIS8_S8_S9_S9_EEDaSX_SY_SE_SJ_EUlSX_E_NS1_11comp_targetILNS1_3genE6ELNS1_11target_archE950ELNS1_3gpuE13ELNS1_3repE0EEENS1_47radix_sort_onesweep_sort_config_static_selectorELNS0_4arch9wavefront6targetE1EEEvSE_,comdat
	.protected	_ZN7rocprim17ROCPRIM_400000_NS6detail17trampoline_kernelINS0_14default_configENS1_35radix_sort_onesweep_config_selectorIlNS0_10empty_typeEEEZZNS1_29radix_sort_onesweep_iterationIS3_Lb1EPlS8_PS5_S9_mNS0_19identity_decomposerENS1_16block_id_wrapperIjLb0EEEEE10hipError_tT1_PNSt15iterator_traitsISE_E10value_typeET2_T3_PNSF_ISK_E10value_typeET4_T5_PSP_SQ_PNS1_23onesweep_lookback_stateEbbT6_jjT7_P12ihipStream_tbENKUlT_T0_SE_SJ_E_clIS8_S8_S9_S9_EEDaSX_SY_SE_SJ_EUlSX_E_NS1_11comp_targetILNS1_3genE6ELNS1_11target_archE950ELNS1_3gpuE13ELNS1_3repE0EEENS1_47radix_sort_onesweep_sort_config_static_selectorELNS0_4arch9wavefront6targetE1EEEvSE_ ; -- Begin function _ZN7rocprim17ROCPRIM_400000_NS6detail17trampoline_kernelINS0_14default_configENS1_35radix_sort_onesweep_config_selectorIlNS0_10empty_typeEEEZZNS1_29radix_sort_onesweep_iterationIS3_Lb1EPlS8_PS5_S9_mNS0_19identity_decomposerENS1_16block_id_wrapperIjLb0EEEEE10hipError_tT1_PNSt15iterator_traitsISE_E10value_typeET2_T3_PNSF_ISK_E10value_typeET4_T5_PSP_SQ_PNS1_23onesweep_lookback_stateEbbT6_jjT7_P12ihipStream_tbENKUlT_T0_SE_SJ_E_clIS8_S8_S9_S9_EEDaSX_SY_SE_SJ_EUlSX_E_NS1_11comp_targetILNS1_3genE6ELNS1_11target_archE950ELNS1_3gpuE13ELNS1_3repE0EEENS1_47radix_sort_onesweep_sort_config_static_selectorELNS0_4arch9wavefront6targetE1EEEvSE_
	.globl	_ZN7rocprim17ROCPRIM_400000_NS6detail17trampoline_kernelINS0_14default_configENS1_35radix_sort_onesweep_config_selectorIlNS0_10empty_typeEEEZZNS1_29radix_sort_onesweep_iterationIS3_Lb1EPlS8_PS5_S9_mNS0_19identity_decomposerENS1_16block_id_wrapperIjLb0EEEEE10hipError_tT1_PNSt15iterator_traitsISE_E10value_typeET2_T3_PNSF_ISK_E10value_typeET4_T5_PSP_SQ_PNS1_23onesweep_lookback_stateEbbT6_jjT7_P12ihipStream_tbENKUlT_T0_SE_SJ_E_clIS8_S8_S9_S9_EEDaSX_SY_SE_SJ_EUlSX_E_NS1_11comp_targetILNS1_3genE6ELNS1_11target_archE950ELNS1_3gpuE13ELNS1_3repE0EEENS1_47radix_sort_onesweep_sort_config_static_selectorELNS0_4arch9wavefront6targetE1EEEvSE_
	.p2align	8
	.type	_ZN7rocprim17ROCPRIM_400000_NS6detail17trampoline_kernelINS0_14default_configENS1_35radix_sort_onesweep_config_selectorIlNS0_10empty_typeEEEZZNS1_29radix_sort_onesweep_iterationIS3_Lb1EPlS8_PS5_S9_mNS0_19identity_decomposerENS1_16block_id_wrapperIjLb0EEEEE10hipError_tT1_PNSt15iterator_traitsISE_E10value_typeET2_T3_PNSF_ISK_E10value_typeET4_T5_PSP_SQ_PNS1_23onesweep_lookback_stateEbbT6_jjT7_P12ihipStream_tbENKUlT_T0_SE_SJ_E_clIS8_S8_S9_S9_EEDaSX_SY_SE_SJ_EUlSX_E_NS1_11comp_targetILNS1_3genE6ELNS1_11target_archE950ELNS1_3gpuE13ELNS1_3repE0EEENS1_47radix_sort_onesweep_sort_config_static_selectorELNS0_4arch9wavefront6targetE1EEEvSE_,@function
_ZN7rocprim17ROCPRIM_400000_NS6detail17trampoline_kernelINS0_14default_configENS1_35radix_sort_onesweep_config_selectorIlNS0_10empty_typeEEEZZNS1_29radix_sort_onesweep_iterationIS3_Lb1EPlS8_PS5_S9_mNS0_19identity_decomposerENS1_16block_id_wrapperIjLb0EEEEE10hipError_tT1_PNSt15iterator_traitsISE_E10value_typeET2_T3_PNSF_ISK_E10value_typeET4_T5_PSP_SQ_PNS1_23onesweep_lookback_stateEbbT6_jjT7_P12ihipStream_tbENKUlT_T0_SE_SJ_E_clIS8_S8_S9_S9_EEDaSX_SY_SE_SJ_EUlSX_E_NS1_11comp_targetILNS1_3genE6ELNS1_11target_archE950ELNS1_3gpuE13ELNS1_3repE0EEENS1_47radix_sort_onesweep_sort_config_static_selectorELNS0_4arch9wavefront6targetE1EEEvSE_: ; @_ZN7rocprim17ROCPRIM_400000_NS6detail17trampoline_kernelINS0_14default_configENS1_35radix_sort_onesweep_config_selectorIlNS0_10empty_typeEEEZZNS1_29radix_sort_onesweep_iterationIS3_Lb1EPlS8_PS5_S9_mNS0_19identity_decomposerENS1_16block_id_wrapperIjLb0EEEEE10hipError_tT1_PNSt15iterator_traitsISE_E10value_typeET2_T3_PNSF_ISK_E10value_typeET4_T5_PSP_SQ_PNS1_23onesweep_lookback_stateEbbT6_jjT7_P12ihipStream_tbENKUlT_T0_SE_SJ_E_clIS8_S8_S9_S9_EEDaSX_SY_SE_SJ_EUlSX_E_NS1_11comp_targetILNS1_3genE6ELNS1_11target_archE950ELNS1_3gpuE13ELNS1_3repE0EEENS1_47radix_sort_onesweep_sort_config_static_selectorELNS0_4arch9wavefront6targetE1EEEvSE_
; %bb.0:
	.section	.rodata,"a",@progbits
	.p2align	6, 0x0
	.amdhsa_kernel _ZN7rocprim17ROCPRIM_400000_NS6detail17trampoline_kernelINS0_14default_configENS1_35radix_sort_onesweep_config_selectorIlNS0_10empty_typeEEEZZNS1_29radix_sort_onesweep_iterationIS3_Lb1EPlS8_PS5_S9_mNS0_19identity_decomposerENS1_16block_id_wrapperIjLb0EEEEE10hipError_tT1_PNSt15iterator_traitsISE_E10value_typeET2_T3_PNSF_ISK_E10value_typeET4_T5_PSP_SQ_PNS1_23onesweep_lookback_stateEbbT6_jjT7_P12ihipStream_tbENKUlT_T0_SE_SJ_E_clIS8_S8_S9_S9_EEDaSX_SY_SE_SJ_EUlSX_E_NS1_11comp_targetILNS1_3genE6ELNS1_11target_archE950ELNS1_3gpuE13ELNS1_3repE0EEENS1_47radix_sort_onesweep_sort_config_static_selectorELNS0_4arch9wavefront6targetE1EEEvSE_
		.amdhsa_group_segment_fixed_size 0
		.amdhsa_private_segment_fixed_size 0
		.amdhsa_kernarg_size 88
		.amdhsa_user_sgpr_count 6
		.amdhsa_user_sgpr_private_segment_buffer 1
		.amdhsa_user_sgpr_dispatch_ptr 0
		.amdhsa_user_sgpr_queue_ptr 0
		.amdhsa_user_sgpr_kernarg_segment_ptr 1
		.amdhsa_user_sgpr_dispatch_id 0
		.amdhsa_user_sgpr_flat_scratch_init 0
		.amdhsa_user_sgpr_kernarg_preload_length 0
		.amdhsa_user_sgpr_kernarg_preload_offset 0
		.amdhsa_user_sgpr_private_segment_size 0
		.amdhsa_uses_dynamic_stack 0
		.amdhsa_system_sgpr_private_segment_wavefront_offset 0
		.amdhsa_system_sgpr_workgroup_id_x 1
		.amdhsa_system_sgpr_workgroup_id_y 0
		.amdhsa_system_sgpr_workgroup_id_z 0
		.amdhsa_system_sgpr_workgroup_info 0
		.amdhsa_system_vgpr_workitem_id 0
		.amdhsa_next_free_vgpr 1
		.amdhsa_next_free_sgpr 0
		.amdhsa_accum_offset 4
		.amdhsa_reserve_vcc 0
		.amdhsa_reserve_flat_scratch 0
		.amdhsa_float_round_mode_32 0
		.amdhsa_float_round_mode_16_64 0
		.amdhsa_float_denorm_mode_32 3
		.amdhsa_float_denorm_mode_16_64 3
		.amdhsa_dx10_clamp 1
		.amdhsa_ieee_mode 1
		.amdhsa_fp16_overflow 0
		.amdhsa_tg_split 0
		.amdhsa_exception_fp_ieee_invalid_op 0
		.amdhsa_exception_fp_denorm_src 0
		.amdhsa_exception_fp_ieee_div_zero 0
		.amdhsa_exception_fp_ieee_overflow 0
		.amdhsa_exception_fp_ieee_underflow 0
		.amdhsa_exception_fp_ieee_inexact 0
		.amdhsa_exception_int_div_zero 0
	.end_amdhsa_kernel
	.section	.text._ZN7rocprim17ROCPRIM_400000_NS6detail17trampoline_kernelINS0_14default_configENS1_35radix_sort_onesweep_config_selectorIlNS0_10empty_typeEEEZZNS1_29radix_sort_onesweep_iterationIS3_Lb1EPlS8_PS5_S9_mNS0_19identity_decomposerENS1_16block_id_wrapperIjLb0EEEEE10hipError_tT1_PNSt15iterator_traitsISE_E10value_typeET2_T3_PNSF_ISK_E10value_typeET4_T5_PSP_SQ_PNS1_23onesweep_lookback_stateEbbT6_jjT7_P12ihipStream_tbENKUlT_T0_SE_SJ_E_clIS8_S8_S9_S9_EEDaSX_SY_SE_SJ_EUlSX_E_NS1_11comp_targetILNS1_3genE6ELNS1_11target_archE950ELNS1_3gpuE13ELNS1_3repE0EEENS1_47radix_sort_onesweep_sort_config_static_selectorELNS0_4arch9wavefront6targetE1EEEvSE_,"axG",@progbits,_ZN7rocprim17ROCPRIM_400000_NS6detail17trampoline_kernelINS0_14default_configENS1_35radix_sort_onesweep_config_selectorIlNS0_10empty_typeEEEZZNS1_29radix_sort_onesweep_iterationIS3_Lb1EPlS8_PS5_S9_mNS0_19identity_decomposerENS1_16block_id_wrapperIjLb0EEEEE10hipError_tT1_PNSt15iterator_traitsISE_E10value_typeET2_T3_PNSF_ISK_E10value_typeET4_T5_PSP_SQ_PNS1_23onesweep_lookback_stateEbbT6_jjT7_P12ihipStream_tbENKUlT_T0_SE_SJ_E_clIS8_S8_S9_S9_EEDaSX_SY_SE_SJ_EUlSX_E_NS1_11comp_targetILNS1_3genE6ELNS1_11target_archE950ELNS1_3gpuE13ELNS1_3repE0EEENS1_47radix_sort_onesweep_sort_config_static_selectorELNS0_4arch9wavefront6targetE1EEEvSE_,comdat
.Lfunc_end2208:
	.size	_ZN7rocprim17ROCPRIM_400000_NS6detail17trampoline_kernelINS0_14default_configENS1_35radix_sort_onesweep_config_selectorIlNS0_10empty_typeEEEZZNS1_29radix_sort_onesweep_iterationIS3_Lb1EPlS8_PS5_S9_mNS0_19identity_decomposerENS1_16block_id_wrapperIjLb0EEEEE10hipError_tT1_PNSt15iterator_traitsISE_E10value_typeET2_T3_PNSF_ISK_E10value_typeET4_T5_PSP_SQ_PNS1_23onesweep_lookback_stateEbbT6_jjT7_P12ihipStream_tbENKUlT_T0_SE_SJ_E_clIS8_S8_S9_S9_EEDaSX_SY_SE_SJ_EUlSX_E_NS1_11comp_targetILNS1_3genE6ELNS1_11target_archE950ELNS1_3gpuE13ELNS1_3repE0EEENS1_47radix_sort_onesweep_sort_config_static_selectorELNS0_4arch9wavefront6targetE1EEEvSE_, .Lfunc_end2208-_ZN7rocprim17ROCPRIM_400000_NS6detail17trampoline_kernelINS0_14default_configENS1_35radix_sort_onesweep_config_selectorIlNS0_10empty_typeEEEZZNS1_29radix_sort_onesweep_iterationIS3_Lb1EPlS8_PS5_S9_mNS0_19identity_decomposerENS1_16block_id_wrapperIjLb0EEEEE10hipError_tT1_PNSt15iterator_traitsISE_E10value_typeET2_T3_PNSF_ISK_E10value_typeET4_T5_PSP_SQ_PNS1_23onesweep_lookback_stateEbbT6_jjT7_P12ihipStream_tbENKUlT_T0_SE_SJ_E_clIS8_S8_S9_S9_EEDaSX_SY_SE_SJ_EUlSX_E_NS1_11comp_targetILNS1_3genE6ELNS1_11target_archE950ELNS1_3gpuE13ELNS1_3repE0EEENS1_47radix_sort_onesweep_sort_config_static_selectorELNS0_4arch9wavefront6targetE1EEEvSE_
                                        ; -- End function
	.section	.AMDGPU.csdata,"",@progbits
; Kernel info:
; codeLenInByte = 0
; NumSgprs: 4
; NumVgprs: 0
; NumAgprs: 0
; TotalNumVgprs: 0
; ScratchSize: 0
; MemoryBound: 0
; FloatMode: 240
; IeeeMode: 1
; LDSByteSize: 0 bytes/workgroup (compile time only)
; SGPRBlocks: 0
; VGPRBlocks: 0
; NumSGPRsForWavesPerEU: 4
; NumVGPRsForWavesPerEU: 1
; AccumOffset: 4
; Occupancy: 8
; WaveLimiterHint : 0
; COMPUTE_PGM_RSRC2:SCRATCH_EN: 0
; COMPUTE_PGM_RSRC2:USER_SGPR: 6
; COMPUTE_PGM_RSRC2:TRAP_HANDLER: 0
; COMPUTE_PGM_RSRC2:TGID_X_EN: 1
; COMPUTE_PGM_RSRC2:TGID_Y_EN: 0
; COMPUTE_PGM_RSRC2:TGID_Z_EN: 0
; COMPUTE_PGM_RSRC2:TIDIG_COMP_CNT: 0
; COMPUTE_PGM_RSRC3_GFX90A:ACCUM_OFFSET: 0
; COMPUTE_PGM_RSRC3_GFX90A:TG_SPLIT: 0
	.section	.text._ZN7rocprim17ROCPRIM_400000_NS6detail17trampoline_kernelINS0_14default_configENS1_35radix_sort_onesweep_config_selectorIlNS0_10empty_typeEEEZZNS1_29radix_sort_onesweep_iterationIS3_Lb1EPlS8_PS5_S9_mNS0_19identity_decomposerENS1_16block_id_wrapperIjLb0EEEEE10hipError_tT1_PNSt15iterator_traitsISE_E10value_typeET2_T3_PNSF_ISK_E10value_typeET4_T5_PSP_SQ_PNS1_23onesweep_lookback_stateEbbT6_jjT7_P12ihipStream_tbENKUlT_T0_SE_SJ_E_clIS8_S8_S9_S9_EEDaSX_SY_SE_SJ_EUlSX_E_NS1_11comp_targetILNS1_3genE5ELNS1_11target_archE942ELNS1_3gpuE9ELNS1_3repE0EEENS1_47radix_sort_onesweep_sort_config_static_selectorELNS0_4arch9wavefront6targetE1EEEvSE_,"axG",@progbits,_ZN7rocprim17ROCPRIM_400000_NS6detail17trampoline_kernelINS0_14default_configENS1_35radix_sort_onesweep_config_selectorIlNS0_10empty_typeEEEZZNS1_29radix_sort_onesweep_iterationIS3_Lb1EPlS8_PS5_S9_mNS0_19identity_decomposerENS1_16block_id_wrapperIjLb0EEEEE10hipError_tT1_PNSt15iterator_traitsISE_E10value_typeET2_T3_PNSF_ISK_E10value_typeET4_T5_PSP_SQ_PNS1_23onesweep_lookback_stateEbbT6_jjT7_P12ihipStream_tbENKUlT_T0_SE_SJ_E_clIS8_S8_S9_S9_EEDaSX_SY_SE_SJ_EUlSX_E_NS1_11comp_targetILNS1_3genE5ELNS1_11target_archE942ELNS1_3gpuE9ELNS1_3repE0EEENS1_47radix_sort_onesweep_sort_config_static_selectorELNS0_4arch9wavefront6targetE1EEEvSE_,comdat
	.protected	_ZN7rocprim17ROCPRIM_400000_NS6detail17trampoline_kernelINS0_14default_configENS1_35radix_sort_onesweep_config_selectorIlNS0_10empty_typeEEEZZNS1_29radix_sort_onesweep_iterationIS3_Lb1EPlS8_PS5_S9_mNS0_19identity_decomposerENS1_16block_id_wrapperIjLb0EEEEE10hipError_tT1_PNSt15iterator_traitsISE_E10value_typeET2_T3_PNSF_ISK_E10value_typeET4_T5_PSP_SQ_PNS1_23onesweep_lookback_stateEbbT6_jjT7_P12ihipStream_tbENKUlT_T0_SE_SJ_E_clIS8_S8_S9_S9_EEDaSX_SY_SE_SJ_EUlSX_E_NS1_11comp_targetILNS1_3genE5ELNS1_11target_archE942ELNS1_3gpuE9ELNS1_3repE0EEENS1_47radix_sort_onesweep_sort_config_static_selectorELNS0_4arch9wavefront6targetE1EEEvSE_ ; -- Begin function _ZN7rocprim17ROCPRIM_400000_NS6detail17trampoline_kernelINS0_14default_configENS1_35radix_sort_onesweep_config_selectorIlNS0_10empty_typeEEEZZNS1_29radix_sort_onesweep_iterationIS3_Lb1EPlS8_PS5_S9_mNS0_19identity_decomposerENS1_16block_id_wrapperIjLb0EEEEE10hipError_tT1_PNSt15iterator_traitsISE_E10value_typeET2_T3_PNSF_ISK_E10value_typeET4_T5_PSP_SQ_PNS1_23onesweep_lookback_stateEbbT6_jjT7_P12ihipStream_tbENKUlT_T0_SE_SJ_E_clIS8_S8_S9_S9_EEDaSX_SY_SE_SJ_EUlSX_E_NS1_11comp_targetILNS1_3genE5ELNS1_11target_archE942ELNS1_3gpuE9ELNS1_3repE0EEENS1_47radix_sort_onesweep_sort_config_static_selectorELNS0_4arch9wavefront6targetE1EEEvSE_
	.globl	_ZN7rocprim17ROCPRIM_400000_NS6detail17trampoline_kernelINS0_14default_configENS1_35radix_sort_onesweep_config_selectorIlNS0_10empty_typeEEEZZNS1_29radix_sort_onesweep_iterationIS3_Lb1EPlS8_PS5_S9_mNS0_19identity_decomposerENS1_16block_id_wrapperIjLb0EEEEE10hipError_tT1_PNSt15iterator_traitsISE_E10value_typeET2_T3_PNSF_ISK_E10value_typeET4_T5_PSP_SQ_PNS1_23onesweep_lookback_stateEbbT6_jjT7_P12ihipStream_tbENKUlT_T0_SE_SJ_E_clIS8_S8_S9_S9_EEDaSX_SY_SE_SJ_EUlSX_E_NS1_11comp_targetILNS1_3genE5ELNS1_11target_archE942ELNS1_3gpuE9ELNS1_3repE0EEENS1_47radix_sort_onesweep_sort_config_static_selectorELNS0_4arch9wavefront6targetE1EEEvSE_
	.p2align	8
	.type	_ZN7rocprim17ROCPRIM_400000_NS6detail17trampoline_kernelINS0_14default_configENS1_35radix_sort_onesweep_config_selectorIlNS0_10empty_typeEEEZZNS1_29radix_sort_onesweep_iterationIS3_Lb1EPlS8_PS5_S9_mNS0_19identity_decomposerENS1_16block_id_wrapperIjLb0EEEEE10hipError_tT1_PNSt15iterator_traitsISE_E10value_typeET2_T3_PNSF_ISK_E10value_typeET4_T5_PSP_SQ_PNS1_23onesweep_lookback_stateEbbT6_jjT7_P12ihipStream_tbENKUlT_T0_SE_SJ_E_clIS8_S8_S9_S9_EEDaSX_SY_SE_SJ_EUlSX_E_NS1_11comp_targetILNS1_3genE5ELNS1_11target_archE942ELNS1_3gpuE9ELNS1_3repE0EEENS1_47radix_sort_onesweep_sort_config_static_selectorELNS0_4arch9wavefront6targetE1EEEvSE_,@function
_ZN7rocprim17ROCPRIM_400000_NS6detail17trampoline_kernelINS0_14default_configENS1_35radix_sort_onesweep_config_selectorIlNS0_10empty_typeEEEZZNS1_29radix_sort_onesweep_iterationIS3_Lb1EPlS8_PS5_S9_mNS0_19identity_decomposerENS1_16block_id_wrapperIjLb0EEEEE10hipError_tT1_PNSt15iterator_traitsISE_E10value_typeET2_T3_PNSF_ISK_E10value_typeET4_T5_PSP_SQ_PNS1_23onesweep_lookback_stateEbbT6_jjT7_P12ihipStream_tbENKUlT_T0_SE_SJ_E_clIS8_S8_S9_S9_EEDaSX_SY_SE_SJ_EUlSX_E_NS1_11comp_targetILNS1_3genE5ELNS1_11target_archE942ELNS1_3gpuE9ELNS1_3repE0EEENS1_47radix_sort_onesweep_sort_config_static_selectorELNS0_4arch9wavefront6targetE1EEEvSE_: ; @_ZN7rocprim17ROCPRIM_400000_NS6detail17trampoline_kernelINS0_14default_configENS1_35radix_sort_onesweep_config_selectorIlNS0_10empty_typeEEEZZNS1_29radix_sort_onesweep_iterationIS3_Lb1EPlS8_PS5_S9_mNS0_19identity_decomposerENS1_16block_id_wrapperIjLb0EEEEE10hipError_tT1_PNSt15iterator_traitsISE_E10value_typeET2_T3_PNSF_ISK_E10value_typeET4_T5_PSP_SQ_PNS1_23onesweep_lookback_stateEbbT6_jjT7_P12ihipStream_tbENKUlT_T0_SE_SJ_E_clIS8_S8_S9_S9_EEDaSX_SY_SE_SJ_EUlSX_E_NS1_11comp_targetILNS1_3genE5ELNS1_11target_archE942ELNS1_3gpuE9ELNS1_3repE0EEENS1_47radix_sort_onesweep_sort_config_static_selectorELNS0_4arch9wavefront6targetE1EEEvSE_
; %bb.0:
	.section	.rodata,"a",@progbits
	.p2align	6, 0x0
	.amdhsa_kernel _ZN7rocprim17ROCPRIM_400000_NS6detail17trampoline_kernelINS0_14default_configENS1_35radix_sort_onesweep_config_selectorIlNS0_10empty_typeEEEZZNS1_29radix_sort_onesweep_iterationIS3_Lb1EPlS8_PS5_S9_mNS0_19identity_decomposerENS1_16block_id_wrapperIjLb0EEEEE10hipError_tT1_PNSt15iterator_traitsISE_E10value_typeET2_T3_PNSF_ISK_E10value_typeET4_T5_PSP_SQ_PNS1_23onesweep_lookback_stateEbbT6_jjT7_P12ihipStream_tbENKUlT_T0_SE_SJ_E_clIS8_S8_S9_S9_EEDaSX_SY_SE_SJ_EUlSX_E_NS1_11comp_targetILNS1_3genE5ELNS1_11target_archE942ELNS1_3gpuE9ELNS1_3repE0EEENS1_47radix_sort_onesweep_sort_config_static_selectorELNS0_4arch9wavefront6targetE1EEEvSE_
		.amdhsa_group_segment_fixed_size 0
		.amdhsa_private_segment_fixed_size 0
		.amdhsa_kernarg_size 88
		.amdhsa_user_sgpr_count 6
		.amdhsa_user_sgpr_private_segment_buffer 1
		.amdhsa_user_sgpr_dispatch_ptr 0
		.amdhsa_user_sgpr_queue_ptr 0
		.amdhsa_user_sgpr_kernarg_segment_ptr 1
		.amdhsa_user_sgpr_dispatch_id 0
		.amdhsa_user_sgpr_flat_scratch_init 0
		.amdhsa_user_sgpr_kernarg_preload_length 0
		.amdhsa_user_sgpr_kernarg_preload_offset 0
		.amdhsa_user_sgpr_private_segment_size 0
		.amdhsa_uses_dynamic_stack 0
		.amdhsa_system_sgpr_private_segment_wavefront_offset 0
		.amdhsa_system_sgpr_workgroup_id_x 1
		.amdhsa_system_sgpr_workgroup_id_y 0
		.amdhsa_system_sgpr_workgroup_id_z 0
		.amdhsa_system_sgpr_workgroup_info 0
		.amdhsa_system_vgpr_workitem_id 0
		.amdhsa_next_free_vgpr 1
		.amdhsa_next_free_sgpr 0
		.amdhsa_accum_offset 4
		.amdhsa_reserve_vcc 0
		.amdhsa_reserve_flat_scratch 0
		.amdhsa_float_round_mode_32 0
		.amdhsa_float_round_mode_16_64 0
		.amdhsa_float_denorm_mode_32 3
		.amdhsa_float_denorm_mode_16_64 3
		.amdhsa_dx10_clamp 1
		.amdhsa_ieee_mode 1
		.amdhsa_fp16_overflow 0
		.amdhsa_tg_split 0
		.amdhsa_exception_fp_ieee_invalid_op 0
		.amdhsa_exception_fp_denorm_src 0
		.amdhsa_exception_fp_ieee_div_zero 0
		.amdhsa_exception_fp_ieee_overflow 0
		.amdhsa_exception_fp_ieee_underflow 0
		.amdhsa_exception_fp_ieee_inexact 0
		.amdhsa_exception_int_div_zero 0
	.end_amdhsa_kernel
	.section	.text._ZN7rocprim17ROCPRIM_400000_NS6detail17trampoline_kernelINS0_14default_configENS1_35radix_sort_onesweep_config_selectorIlNS0_10empty_typeEEEZZNS1_29radix_sort_onesweep_iterationIS3_Lb1EPlS8_PS5_S9_mNS0_19identity_decomposerENS1_16block_id_wrapperIjLb0EEEEE10hipError_tT1_PNSt15iterator_traitsISE_E10value_typeET2_T3_PNSF_ISK_E10value_typeET4_T5_PSP_SQ_PNS1_23onesweep_lookback_stateEbbT6_jjT7_P12ihipStream_tbENKUlT_T0_SE_SJ_E_clIS8_S8_S9_S9_EEDaSX_SY_SE_SJ_EUlSX_E_NS1_11comp_targetILNS1_3genE5ELNS1_11target_archE942ELNS1_3gpuE9ELNS1_3repE0EEENS1_47radix_sort_onesweep_sort_config_static_selectorELNS0_4arch9wavefront6targetE1EEEvSE_,"axG",@progbits,_ZN7rocprim17ROCPRIM_400000_NS6detail17trampoline_kernelINS0_14default_configENS1_35radix_sort_onesweep_config_selectorIlNS0_10empty_typeEEEZZNS1_29radix_sort_onesweep_iterationIS3_Lb1EPlS8_PS5_S9_mNS0_19identity_decomposerENS1_16block_id_wrapperIjLb0EEEEE10hipError_tT1_PNSt15iterator_traitsISE_E10value_typeET2_T3_PNSF_ISK_E10value_typeET4_T5_PSP_SQ_PNS1_23onesweep_lookback_stateEbbT6_jjT7_P12ihipStream_tbENKUlT_T0_SE_SJ_E_clIS8_S8_S9_S9_EEDaSX_SY_SE_SJ_EUlSX_E_NS1_11comp_targetILNS1_3genE5ELNS1_11target_archE942ELNS1_3gpuE9ELNS1_3repE0EEENS1_47radix_sort_onesweep_sort_config_static_selectorELNS0_4arch9wavefront6targetE1EEEvSE_,comdat
.Lfunc_end2209:
	.size	_ZN7rocprim17ROCPRIM_400000_NS6detail17trampoline_kernelINS0_14default_configENS1_35radix_sort_onesweep_config_selectorIlNS0_10empty_typeEEEZZNS1_29radix_sort_onesweep_iterationIS3_Lb1EPlS8_PS5_S9_mNS0_19identity_decomposerENS1_16block_id_wrapperIjLb0EEEEE10hipError_tT1_PNSt15iterator_traitsISE_E10value_typeET2_T3_PNSF_ISK_E10value_typeET4_T5_PSP_SQ_PNS1_23onesweep_lookback_stateEbbT6_jjT7_P12ihipStream_tbENKUlT_T0_SE_SJ_E_clIS8_S8_S9_S9_EEDaSX_SY_SE_SJ_EUlSX_E_NS1_11comp_targetILNS1_3genE5ELNS1_11target_archE942ELNS1_3gpuE9ELNS1_3repE0EEENS1_47radix_sort_onesweep_sort_config_static_selectorELNS0_4arch9wavefront6targetE1EEEvSE_, .Lfunc_end2209-_ZN7rocprim17ROCPRIM_400000_NS6detail17trampoline_kernelINS0_14default_configENS1_35radix_sort_onesweep_config_selectorIlNS0_10empty_typeEEEZZNS1_29radix_sort_onesweep_iterationIS3_Lb1EPlS8_PS5_S9_mNS0_19identity_decomposerENS1_16block_id_wrapperIjLb0EEEEE10hipError_tT1_PNSt15iterator_traitsISE_E10value_typeET2_T3_PNSF_ISK_E10value_typeET4_T5_PSP_SQ_PNS1_23onesweep_lookback_stateEbbT6_jjT7_P12ihipStream_tbENKUlT_T0_SE_SJ_E_clIS8_S8_S9_S9_EEDaSX_SY_SE_SJ_EUlSX_E_NS1_11comp_targetILNS1_3genE5ELNS1_11target_archE942ELNS1_3gpuE9ELNS1_3repE0EEENS1_47radix_sort_onesweep_sort_config_static_selectorELNS0_4arch9wavefront6targetE1EEEvSE_
                                        ; -- End function
	.section	.AMDGPU.csdata,"",@progbits
; Kernel info:
; codeLenInByte = 0
; NumSgprs: 4
; NumVgprs: 0
; NumAgprs: 0
; TotalNumVgprs: 0
; ScratchSize: 0
; MemoryBound: 0
; FloatMode: 240
; IeeeMode: 1
; LDSByteSize: 0 bytes/workgroup (compile time only)
; SGPRBlocks: 0
; VGPRBlocks: 0
; NumSGPRsForWavesPerEU: 4
; NumVGPRsForWavesPerEU: 1
; AccumOffset: 4
; Occupancy: 8
; WaveLimiterHint : 0
; COMPUTE_PGM_RSRC2:SCRATCH_EN: 0
; COMPUTE_PGM_RSRC2:USER_SGPR: 6
; COMPUTE_PGM_RSRC2:TRAP_HANDLER: 0
; COMPUTE_PGM_RSRC2:TGID_X_EN: 1
; COMPUTE_PGM_RSRC2:TGID_Y_EN: 0
; COMPUTE_PGM_RSRC2:TGID_Z_EN: 0
; COMPUTE_PGM_RSRC2:TIDIG_COMP_CNT: 0
; COMPUTE_PGM_RSRC3_GFX90A:ACCUM_OFFSET: 0
; COMPUTE_PGM_RSRC3_GFX90A:TG_SPLIT: 0
	.section	.text._ZN7rocprim17ROCPRIM_400000_NS6detail17trampoline_kernelINS0_14default_configENS1_35radix_sort_onesweep_config_selectorIlNS0_10empty_typeEEEZZNS1_29radix_sort_onesweep_iterationIS3_Lb1EPlS8_PS5_S9_mNS0_19identity_decomposerENS1_16block_id_wrapperIjLb0EEEEE10hipError_tT1_PNSt15iterator_traitsISE_E10value_typeET2_T3_PNSF_ISK_E10value_typeET4_T5_PSP_SQ_PNS1_23onesweep_lookback_stateEbbT6_jjT7_P12ihipStream_tbENKUlT_T0_SE_SJ_E_clIS8_S8_S9_S9_EEDaSX_SY_SE_SJ_EUlSX_E_NS1_11comp_targetILNS1_3genE2ELNS1_11target_archE906ELNS1_3gpuE6ELNS1_3repE0EEENS1_47radix_sort_onesweep_sort_config_static_selectorELNS0_4arch9wavefront6targetE1EEEvSE_,"axG",@progbits,_ZN7rocprim17ROCPRIM_400000_NS6detail17trampoline_kernelINS0_14default_configENS1_35radix_sort_onesweep_config_selectorIlNS0_10empty_typeEEEZZNS1_29radix_sort_onesweep_iterationIS3_Lb1EPlS8_PS5_S9_mNS0_19identity_decomposerENS1_16block_id_wrapperIjLb0EEEEE10hipError_tT1_PNSt15iterator_traitsISE_E10value_typeET2_T3_PNSF_ISK_E10value_typeET4_T5_PSP_SQ_PNS1_23onesweep_lookback_stateEbbT6_jjT7_P12ihipStream_tbENKUlT_T0_SE_SJ_E_clIS8_S8_S9_S9_EEDaSX_SY_SE_SJ_EUlSX_E_NS1_11comp_targetILNS1_3genE2ELNS1_11target_archE906ELNS1_3gpuE6ELNS1_3repE0EEENS1_47radix_sort_onesweep_sort_config_static_selectorELNS0_4arch9wavefront6targetE1EEEvSE_,comdat
	.protected	_ZN7rocprim17ROCPRIM_400000_NS6detail17trampoline_kernelINS0_14default_configENS1_35radix_sort_onesweep_config_selectorIlNS0_10empty_typeEEEZZNS1_29radix_sort_onesweep_iterationIS3_Lb1EPlS8_PS5_S9_mNS0_19identity_decomposerENS1_16block_id_wrapperIjLb0EEEEE10hipError_tT1_PNSt15iterator_traitsISE_E10value_typeET2_T3_PNSF_ISK_E10value_typeET4_T5_PSP_SQ_PNS1_23onesweep_lookback_stateEbbT6_jjT7_P12ihipStream_tbENKUlT_T0_SE_SJ_E_clIS8_S8_S9_S9_EEDaSX_SY_SE_SJ_EUlSX_E_NS1_11comp_targetILNS1_3genE2ELNS1_11target_archE906ELNS1_3gpuE6ELNS1_3repE0EEENS1_47radix_sort_onesweep_sort_config_static_selectorELNS0_4arch9wavefront6targetE1EEEvSE_ ; -- Begin function _ZN7rocprim17ROCPRIM_400000_NS6detail17trampoline_kernelINS0_14default_configENS1_35radix_sort_onesweep_config_selectorIlNS0_10empty_typeEEEZZNS1_29radix_sort_onesweep_iterationIS3_Lb1EPlS8_PS5_S9_mNS0_19identity_decomposerENS1_16block_id_wrapperIjLb0EEEEE10hipError_tT1_PNSt15iterator_traitsISE_E10value_typeET2_T3_PNSF_ISK_E10value_typeET4_T5_PSP_SQ_PNS1_23onesweep_lookback_stateEbbT6_jjT7_P12ihipStream_tbENKUlT_T0_SE_SJ_E_clIS8_S8_S9_S9_EEDaSX_SY_SE_SJ_EUlSX_E_NS1_11comp_targetILNS1_3genE2ELNS1_11target_archE906ELNS1_3gpuE6ELNS1_3repE0EEENS1_47radix_sort_onesweep_sort_config_static_selectorELNS0_4arch9wavefront6targetE1EEEvSE_
	.globl	_ZN7rocprim17ROCPRIM_400000_NS6detail17trampoline_kernelINS0_14default_configENS1_35radix_sort_onesweep_config_selectorIlNS0_10empty_typeEEEZZNS1_29radix_sort_onesweep_iterationIS3_Lb1EPlS8_PS5_S9_mNS0_19identity_decomposerENS1_16block_id_wrapperIjLb0EEEEE10hipError_tT1_PNSt15iterator_traitsISE_E10value_typeET2_T3_PNSF_ISK_E10value_typeET4_T5_PSP_SQ_PNS1_23onesweep_lookback_stateEbbT6_jjT7_P12ihipStream_tbENKUlT_T0_SE_SJ_E_clIS8_S8_S9_S9_EEDaSX_SY_SE_SJ_EUlSX_E_NS1_11comp_targetILNS1_3genE2ELNS1_11target_archE906ELNS1_3gpuE6ELNS1_3repE0EEENS1_47radix_sort_onesweep_sort_config_static_selectorELNS0_4arch9wavefront6targetE1EEEvSE_
	.p2align	8
	.type	_ZN7rocprim17ROCPRIM_400000_NS6detail17trampoline_kernelINS0_14default_configENS1_35radix_sort_onesweep_config_selectorIlNS0_10empty_typeEEEZZNS1_29radix_sort_onesweep_iterationIS3_Lb1EPlS8_PS5_S9_mNS0_19identity_decomposerENS1_16block_id_wrapperIjLb0EEEEE10hipError_tT1_PNSt15iterator_traitsISE_E10value_typeET2_T3_PNSF_ISK_E10value_typeET4_T5_PSP_SQ_PNS1_23onesweep_lookback_stateEbbT6_jjT7_P12ihipStream_tbENKUlT_T0_SE_SJ_E_clIS8_S8_S9_S9_EEDaSX_SY_SE_SJ_EUlSX_E_NS1_11comp_targetILNS1_3genE2ELNS1_11target_archE906ELNS1_3gpuE6ELNS1_3repE0EEENS1_47radix_sort_onesweep_sort_config_static_selectorELNS0_4arch9wavefront6targetE1EEEvSE_,@function
_ZN7rocprim17ROCPRIM_400000_NS6detail17trampoline_kernelINS0_14default_configENS1_35radix_sort_onesweep_config_selectorIlNS0_10empty_typeEEEZZNS1_29radix_sort_onesweep_iterationIS3_Lb1EPlS8_PS5_S9_mNS0_19identity_decomposerENS1_16block_id_wrapperIjLb0EEEEE10hipError_tT1_PNSt15iterator_traitsISE_E10value_typeET2_T3_PNSF_ISK_E10value_typeET4_T5_PSP_SQ_PNS1_23onesweep_lookback_stateEbbT6_jjT7_P12ihipStream_tbENKUlT_T0_SE_SJ_E_clIS8_S8_S9_S9_EEDaSX_SY_SE_SJ_EUlSX_E_NS1_11comp_targetILNS1_3genE2ELNS1_11target_archE906ELNS1_3gpuE6ELNS1_3repE0EEENS1_47radix_sort_onesweep_sort_config_static_selectorELNS0_4arch9wavefront6targetE1EEEvSE_: ; @_ZN7rocprim17ROCPRIM_400000_NS6detail17trampoline_kernelINS0_14default_configENS1_35radix_sort_onesweep_config_selectorIlNS0_10empty_typeEEEZZNS1_29radix_sort_onesweep_iterationIS3_Lb1EPlS8_PS5_S9_mNS0_19identity_decomposerENS1_16block_id_wrapperIjLb0EEEEE10hipError_tT1_PNSt15iterator_traitsISE_E10value_typeET2_T3_PNSF_ISK_E10value_typeET4_T5_PSP_SQ_PNS1_23onesweep_lookback_stateEbbT6_jjT7_P12ihipStream_tbENKUlT_T0_SE_SJ_E_clIS8_S8_S9_S9_EEDaSX_SY_SE_SJ_EUlSX_E_NS1_11comp_targetILNS1_3genE2ELNS1_11target_archE906ELNS1_3gpuE6ELNS1_3repE0EEENS1_47radix_sort_onesweep_sort_config_static_selectorELNS0_4arch9wavefront6targetE1EEEvSE_
; %bb.0:
	.section	.rodata,"a",@progbits
	.p2align	6, 0x0
	.amdhsa_kernel _ZN7rocprim17ROCPRIM_400000_NS6detail17trampoline_kernelINS0_14default_configENS1_35radix_sort_onesweep_config_selectorIlNS0_10empty_typeEEEZZNS1_29radix_sort_onesweep_iterationIS3_Lb1EPlS8_PS5_S9_mNS0_19identity_decomposerENS1_16block_id_wrapperIjLb0EEEEE10hipError_tT1_PNSt15iterator_traitsISE_E10value_typeET2_T3_PNSF_ISK_E10value_typeET4_T5_PSP_SQ_PNS1_23onesweep_lookback_stateEbbT6_jjT7_P12ihipStream_tbENKUlT_T0_SE_SJ_E_clIS8_S8_S9_S9_EEDaSX_SY_SE_SJ_EUlSX_E_NS1_11comp_targetILNS1_3genE2ELNS1_11target_archE906ELNS1_3gpuE6ELNS1_3repE0EEENS1_47radix_sort_onesweep_sort_config_static_selectorELNS0_4arch9wavefront6targetE1EEEvSE_
		.amdhsa_group_segment_fixed_size 0
		.amdhsa_private_segment_fixed_size 0
		.amdhsa_kernarg_size 88
		.amdhsa_user_sgpr_count 6
		.amdhsa_user_sgpr_private_segment_buffer 1
		.amdhsa_user_sgpr_dispatch_ptr 0
		.amdhsa_user_sgpr_queue_ptr 0
		.amdhsa_user_sgpr_kernarg_segment_ptr 1
		.amdhsa_user_sgpr_dispatch_id 0
		.amdhsa_user_sgpr_flat_scratch_init 0
		.amdhsa_user_sgpr_kernarg_preload_length 0
		.amdhsa_user_sgpr_kernarg_preload_offset 0
		.amdhsa_user_sgpr_private_segment_size 0
		.amdhsa_uses_dynamic_stack 0
		.amdhsa_system_sgpr_private_segment_wavefront_offset 0
		.amdhsa_system_sgpr_workgroup_id_x 1
		.amdhsa_system_sgpr_workgroup_id_y 0
		.amdhsa_system_sgpr_workgroup_id_z 0
		.amdhsa_system_sgpr_workgroup_info 0
		.amdhsa_system_vgpr_workitem_id 0
		.amdhsa_next_free_vgpr 1
		.amdhsa_next_free_sgpr 0
		.amdhsa_accum_offset 4
		.amdhsa_reserve_vcc 0
		.amdhsa_reserve_flat_scratch 0
		.amdhsa_float_round_mode_32 0
		.amdhsa_float_round_mode_16_64 0
		.amdhsa_float_denorm_mode_32 3
		.amdhsa_float_denorm_mode_16_64 3
		.amdhsa_dx10_clamp 1
		.amdhsa_ieee_mode 1
		.amdhsa_fp16_overflow 0
		.amdhsa_tg_split 0
		.amdhsa_exception_fp_ieee_invalid_op 0
		.amdhsa_exception_fp_denorm_src 0
		.amdhsa_exception_fp_ieee_div_zero 0
		.amdhsa_exception_fp_ieee_overflow 0
		.amdhsa_exception_fp_ieee_underflow 0
		.amdhsa_exception_fp_ieee_inexact 0
		.amdhsa_exception_int_div_zero 0
	.end_amdhsa_kernel
	.section	.text._ZN7rocprim17ROCPRIM_400000_NS6detail17trampoline_kernelINS0_14default_configENS1_35radix_sort_onesweep_config_selectorIlNS0_10empty_typeEEEZZNS1_29radix_sort_onesweep_iterationIS3_Lb1EPlS8_PS5_S9_mNS0_19identity_decomposerENS1_16block_id_wrapperIjLb0EEEEE10hipError_tT1_PNSt15iterator_traitsISE_E10value_typeET2_T3_PNSF_ISK_E10value_typeET4_T5_PSP_SQ_PNS1_23onesweep_lookback_stateEbbT6_jjT7_P12ihipStream_tbENKUlT_T0_SE_SJ_E_clIS8_S8_S9_S9_EEDaSX_SY_SE_SJ_EUlSX_E_NS1_11comp_targetILNS1_3genE2ELNS1_11target_archE906ELNS1_3gpuE6ELNS1_3repE0EEENS1_47radix_sort_onesweep_sort_config_static_selectorELNS0_4arch9wavefront6targetE1EEEvSE_,"axG",@progbits,_ZN7rocprim17ROCPRIM_400000_NS6detail17trampoline_kernelINS0_14default_configENS1_35radix_sort_onesweep_config_selectorIlNS0_10empty_typeEEEZZNS1_29radix_sort_onesweep_iterationIS3_Lb1EPlS8_PS5_S9_mNS0_19identity_decomposerENS1_16block_id_wrapperIjLb0EEEEE10hipError_tT1_PNSt15iterator_traitsISE_E10value_typeET2_T3_PNSF_ISK_E10value_typeET4_T5_PSP_SQ_PNS1_23onesweep_lookback_stateEbbT6_jjT7_P12ihipStream_tbENKUlT_T0_SE_SJ_E_clIS8_S8_S9_S9_EEDaSX_SY_SE_SJ_EUlSX_E_NS1_11comp_targetILNS1_3genE2ELNS1_11target_archE906ELNS1_3gpuE6ELNS1_3repE0EEENS1_47radix_sort_onesweep_sort_config_static_selectorELNS0_4arch9wavefront6targetE1EEEvSE_,comdat
.Lfunc_end2210:
	.size	_ZN7rocprim17ROCPRIM_400000_NS6detail17trampoline_kernelINS0_14default_configENS1_35radix_sort_onesweep_config_selectorIlNS0_10empty_typeEEEZZNS1_29radix_sort_onesweep_iterationIS3_Lb1EPlS8_PS5_S9_mNS0_19identity_decomposerENS1_16block_id_wrapperIjLb0EEEEE10hipError_tT1_PNSt15iterator_traitsISE_E10value_typeET2_T3_PNSF_ISK_E10value_typeET4_T5_PSP_SQ_PNS1_23onesweep_lookback_stateEbbT6_jjT7_P12ihipStream_tbENKUlT_T0_SE_SJ_E_clIS8_S8_S9_S9_EEDaSX_SY_SE_SJ_EUlSX_E_NS1_11comp_targetILNS1_3genE2ELNS1_11target_archE906ELNS1_3gpuE6ELNS1_3repE0EEENS1_47radix_sort_onesweep_sort_config_static_selectorELNS0_4arch9wavefront6targetE1EEEvSE_, .Lfunc_end2210-_ZN7rocprim17ROCPRIM_400000_NS6detail17trampoline_kernelINS0_14default_configENS1_35radix_sort_onesweep_config_selectorIlNS0_10empty_typeEEEZZNS1_29radix_sort_onesweep_iterationIS3_Lb1EPlS8_PS5_S9_mNS0_19identity_decomposerENS1_16block_id_wrapperIjLb0EEEEE10hipError_tT1_PNSt15iterator_traitsISE_E10value_typeET2_T3_PNSF_ISK_E10value_typeET4_T5_PSP_SQ_PNS1_23onesweep_lookback_stateEbbT6_jjT7_P12ihipStream_tbENKUlT_T0_SE_SJ_E_clIS8_S8_S9_S9_EEDaSX_SY_SE_SJ_EUlSX_E_NS1_11comp_targetILNS1_3genE2ELNS1_11target_archE906ELNS1_3gpuE6ELNS1_3repE0EEENS1_47radix_sort_onesweep_sort_config_static_selectorELNS0_4arch9wavefront6targetE1EEEvSE_
                                        ; -- End function
	.section	.AMDGPU.csdata,"",@progbits
; Kernel info:
; codeLenInByte = 0
; NumSgprs: 4
; NumVgprs: 0
; NumAgprs: 0
; TotalNumVgprs: 0
; ScratchSize: 0
; MemoryBound: 0
; FloatMode: 240
; IeeeMode: 1
; LDSByteSize: 0 bytes/workgroup (compile time only)
; SGPRBlocks: 0
; VGPRBlocks: 0
; NumSGPRsForWavesPerEU: 4
; NumVGPRsForWavesPerEU: 1
; AccumOffset: 4
; Occupancy: 8
; WaveLimiterHint : 0
; COMPUTE_PGM_RSRC2:SCRATCH_EN: 0
; COMPUTE_PGM_RSRC2:USER_SGPR: 6
; COMPUTE_PGM_RSRC2:TRAP_HANDLER: 0
; COMPUTE_PGM_RSRC2:TGID_X_EN: 1
; COMPUTE_PGM_RSRC2:TGID_Y_EN: 0
; COMPUTE_PGM_RSRC2:TGID_Z_EN: 0
; COMPUTE_PGM_RSRC2:TIDIG_COMP_CNT: 0
; COMPUTE_PGM_RSRC3_GFX90A:ACCUM_OFFSET: 0
; COMPUTE_PGM_RSRC3_GFX90A:TG_SPLIT: 0
	.section	.text._ZN7rocprim17ROCPRIM_400000_NS6detail17trampoline_kernelINS0_14default_configENS1_35radix_sort_onesweep_config_selectorIlNS0_10empty_typeEEEZZNS1_29radix_sort_onesweep_iterationIS3_Lb1EPlS8_PS5_S9_mNS0_19identity_decomposerENS1_16block_id_wrapperIjLb0EEEEE10hipError_tT1_PNSt15iterator_traitsISE_E10value_typeET2_T3_PNSF_ISK_E10value_typeET4_T5_PSP_SQ_PNS1_23onesweep_lookback_stateEbbT6_jjT7_P12ihipStream_tbENKUlT_T0_SE_SJ_E_clIS8_S8_S9_S9_EEDaSX_SY_SE_SJ_EUlSX_E_NS1_11comp_targetILNS1_3genE4ELNS1_11target_archE910ELNS1_3gpuE8ELNS1_3repE0EEENS1_47radix_sort_onesweep_sort_config_static_selectorELNS0_4arch9wavefront6targetE1EEEvSE_,"axG",@progbits,_ZN7rocprim17ROCPRIM_400000_NS6detail17trampoline_kernelINS0_14default_configENS1_35radix_sort_onesweep_config_selectorIlNS0_10empty_typeEEEZZNS1_29radix_sort_onesweep_iterationIS3_Lb1EPlS8_PS5_S9_mNS0_19identity_decomposerENS1_16block_id_wrapperIjLb0EEEEE10hipError_tT1_PNSt15iterator_traitsISE_E10value_typeET2_T3_PNSF_ISK_E10value_typeET4_T5_PSP_SQ_PNS1_23onesweep_lookback_stateEbbT6_jjT7_P12ihipStream_tbENKUlT_T0_SE_SJ_E_clIS8_S8_S9_S9_EEDaSX_SY_SE_SJ_EUlSX_E_NS1_11comp_targetILNS1_3genE4ELNS1_11target_archE910ELNS1_3gpuE8ELNS1_3repE0EEENS1_47radix_sort_onesweep_sort_config_static_selectorELNS0_4arch9wavefront6targetE1EEEvSE_,comdat
	.protected	_ZN7rocprim17ROCPRIM_400000_NS6detail17trampoline_kernelINS0_14default_configENS1_35radix_sort_onesweep_config_selectorIlNS0_10empty_typeEEEZZNS1_29radix_sort_onesweep_iterationIS3_Lb1EPlS8_PS5_S9_mNS0_19identity_decomposerENS1_16block_id_wrapperIjLb0EEEEE10hipError_tT1_PNSt15iterator_traitsISE_E10value_typeET2_T3_PNSF_ISK_E10value_typeET4_T5_PSP_SQ_PNS1_23onesweep_lookback_stateEbbT6_jjT7_P12ihipStream_tbENKUlT_T0_SE_SJ_E_clIS8_S8_S9_S9_EEDaSX_SY_SE_SJ_EUlSX_E_NS1_11comp_targetILNS1_3genE4ELNS1_11target_archE910ELNS1_3gpuE8ELNS1_3repE0EEENS1_47radix_sort_onesweep_sort_config_static_selectorELNS0_4arch9wavefront6targetE1EEEvSE_ ; -- Begin function _ZN7rocprim17ROCPRIM_400000_NS6detail17trampoline_kernelINS0_14default_configENS1_35radix_sort_onesweep_config_selectorIlNS0_10empty_typeEEEZZNS1_29radix_sort_onesweep_iterationIS3_Lb1EPlS8_PS5_S9_mNS0_19identity_decomposerENS1_16block_id_wrapperIjLb0EEEEE10hipError_tT1_PNSt15iterator_traitsISE_E10value_typeET2_T3_PNSF_ISK_E10value_typeET4_T5_PSP_SQ_PNS1_23onesweep_lookback_stateEbbT6_jjT7_P12ihipStream_tbENKUlT_T0_SE_SJ_E_clIS8_S8_S9_S9_EEDaSX_SY_SE_SJ_EUlSX_E_NS1_11comp_targetILNS1_3genE4ELNS1_11target_archE910ELNS1_3gpuE8ELNS1_3repE0EEENS1_47radix_sort_onesweep_sort_config_static_selectorELNS0_4arch9wavefront6targetE1EEEvSE_
	.globl	_ZN7rocprim17ROCPRIM_400000_NS6detail17trampoline_kernelINS0_14default_configENS1_35radix_sort_onesweep_config_selectorIlNS0_10empty_typeEEEZZNS1_29radix_sort_onesweep_iterationIS3_Lb1EPlS8_PS5_S9_mNS0_19identity_decomposerENS1_16block_id_wrapperIjLb0EEEEE10hipError_tT1_PNSt15iterator_traitsISE_E10value_typeET2_T3_PNSF_ISK_E10value_typeET4_T5_PSP_SQ_PNS1_23onesweep_lookback_stateEbbT6_jjT7_P12ihipStream_tbENKUlT_T0_SE_SJ_E_clIS8_S8_S9_S9_EEDaSX_SY_SE_SJ_EUlSX_E_NS1_11comp_targetILNS1_3genE4ELNS1_11target_archE910ELNS1_3gpuE8ELNS1_3repE0EEENS1_47radix_sort_onesweep_sort_config_static_selectorELNS0_4arch9wavefront6targetE1EEEvSE_
	.p2align	8
	.type	_ZN7rocprim17ROCPRIM_400000_NS6detail17trampoline_kernelINS0_14default_configENS1_35radix_sort_onesweep_config_selectorIlNS0_10empty_typeEEEZZNS1_29radix_sort_onesweep_iterationIS3_Lb1EPlS8_PS5_S9_mNS0_19identity_decomposerENS1_16block_id_wrapperIjLb0EEEEE10hipError_tT1_PNSt15iterator_traitsISE_E10value_typeET2_T3_PNSF_ISK_E10value_typeET4_T5_PSP_SQ_PNS1_23onesweep_lookback_stateEbbT6_jjT7_P12ihipStream_tbENKUlT_T0_SE_SJ_E_clIS8_S8_S9_S9_EEDaSX_SY_SE_SJ_EUlSX_E_NS1_11comp_targetILNS1_3genE4ELNS1_11target_archE910ELNS1_3gpuE8ELNS1_3repE0EEENS1_47radix_sort_onesweep_sort_config_static_selectorELNS0_4arch9wavefront6targetE1EEEvSE_,@function
_ZN7rocprim17ROCPRIM_400000_NS6detail17trampoline_kernelINS0_14default_configENS1_35radix_sort_onesweep_config_selectorIlNS0_10empty_typeEEEZZNS1_29radix_sort_onesweep_iterationIS3_Lb1EPlS8_PS5_S9_mNS0_19identity_decomposerENS1_16block_id_wrapperIjLb0EEEEE10hipError_tT1_PNSt15iterator_traitsISE_E10value_typeET2_T3_PNSF_ISK_E10value_typeET4_T5_PSP_SQ_PNS1_23onesweep_lookback_stateEbbT6_jjT7_P12ihipStream_tbENKUlT_T0_SE_SJ_E_clIS8_S8_S9_S9_EEDaSX_SY_SE_SJ_EUlSX_E_NS1_11comp_targetILNS1_3genE4ELNS1_11target_archE910ELNS1_3gpuE8ELNS1_3repE0EEENS1_47radix_sort_onesweep_sort_config_static_selectorELNS0_4arch9wavefront6targetE1EEEvSE_: ; @_ZN7rocprim17ROCPRIM_400000_NS6detail17trampoline_kernelINS0_14default_configENS1_35radix_sort_onesweep_config_selectorIlNS0_10empty_typeEEEZZNS1_29radix_sort_onesweep_iterationIS3_Lb1EPlS8_PS5_S9_mNS0_19identity_decomposerENS1_16block_id_wrapperIjLb0EEEEE10hipError_tT1_PNSt15iterator_traitsISE_E10value_typeET2_T3_PNSF_ISK_E10value_typeET4_T5_PSP_SQ_PNS1_23onesweep_lookback_stateEbbT6_jjT7_P12ihipStream_tbENKUlT_T0_SE_SJ_E_clIS8_S8_S9_S9_EEDaSX_SY_SE_SJ_EUlSX_E_NS1_11comp_targetILNS1_3genE4ELNS1_11target_archE910ELNS1_3gpuE8ELNS1_3repE0EEENS1_47radix_sort_onesweep_sort_config_static_selectorELNS0_4arch9wavefront6targetE1EEEvSE_
; %bb.0:
	s_load_dwordx2 s[24:25], s[4:5], 0x38
	s_load_dwordx4 s[16:19], s[4:5], 0x44
	s_load_dwordx4 s[20:23], s[4:5], 0x0
	;; [unrolled: 1-line block ×3, first 2 shown]
	v_mbcnt_lo_u32_b32 v28, -1, 0
	s_waitcnt lgkmcnt(0)
	s_cmp_ge_u32 s6, s18
	s_cbranch_scc0 .LBB2211_61
; %bb.1:
	s_load_dword s0, s[4:5], 0x20
	s_lshl_b32 s1, s18, 13
	s_lshl_b32 s2, s6, 13
	s_mov_b32 s3, 0
	v_mbcnt_hi_u32_b32 v1, -1, v28
	s_waitcnt lgkmcnt(0)
	s_sub_i32 s7, s0, s1
	s_lshl_b64 s[0:1], s[2:3], 3
	v_and_b32_e32 v2, 0x3ff, v0
	s_add_u32 s0, s20, s0
	v_and_b32_e32 v3, 63, v1
	s_addc_u32 s1, s21, s1
	v_lshlrev_b32_e32 v29, 3, v2
	v_lshlrev_b32_e32 v5, 3, v3
	v_and_b32_e32 v4, 0x1e00, v29
	v_mov_b32_e32 v6, s1
	v_add_co_u32_e32 v5, vcc, s0, v5
	v_addc_co_u32_e32 v6, vcc, 0, v6, vcc
	v_lshlrev_b32_e32 v7, 3, v4
	v_add_co_u32_e32 v20, vcc, v5, v7
	v_addc_co_u32_e32 v21, vcc, 0, v6, vcc
	v_or_b32_e32 v3, v3, v4
	s_brev_b32 s1, 1
	s_mov_b32 s0, s3
	v_cmp_gt_u32_e32 vcc, s7, v3
	v_pk_mov_b32 v[4:5], s[0:1], s[0:1] op_sel:[0,1]
	s_and_saveexec_b64 s[2:3], vcc
	s_cbranch_execz .LBB2211_3
; %bb.2:
	global_load_dwordx2 v[4:5], v[20:21], off
.LBB2211_3:
	s_or_b64 exec, exec, s[2:3]
	v_or_b32_e32 v6, 64, v3
	v_cmp_gt_u32_e32 vcc, s7, v6
	v_pk_mov_b32 v[6:7], s[0:1], s[0:1] op_sel:[0,1]
	s_and_saveexec_b64 s[0:1], vcc
	s_cbranch_execz .LBB2211_5
; %bb.4:
	global_load_dwordx2 v[6:7], v[20:21], off offset:512
.LBB2211_5:
	s_or_b64 exec, exec, s[0:1]
	s_mov_b32 s0, 0
	v_or_b32_e32 v8, 0x80, v3
	s_brev_b32 s1, 1
	v_cmp_gt_u32_e32 vcc, s7, v8
	v_pk_mov_b32 v[8:9], s[0:1], s[0:1] op_sel:[0,1]
	s_and_saveexec_b64 s[2:3], vcc
	s_cbranch_execz .LBB2211_7
; %bb.6:
	global_load_dwordx2 v[8:9], v[20:21], off offset:1024
.LBB2211_7:
	s_or_b64 exec, exec, s[2:3]
	v_or_b32_e32 v10, 0xc0, v3
	v_cmp_gt_u32_e32 vcc, s7, v10
	v_pk_mov_b32 v[10:11], s[0:1], s[0:1] op_sel:[0,1]
	s_and_saveexec_b64 s[0:1], vcc
	s_cbranch_execz .LBB2211_9
; %bb.8:
	global_load_dwordx2 v[10:11], v[20:21], off offset:1536
.LBB2211_9:
	s_or_b64 exec, exec, s[0:1]
	s_mov_b32 s0, 0
	v_or_b32_e32 v12, 0x100, v3
	s_brev_b32 s1, 1
	v_cmp_gt_u32_e32 vcc, s7, v12
	v_pk_mov_b32 v[12:13], s[0:1], s[0:1] op_sel:[0,1]
	s_and_saveexec_b64 s[2:3], vcc
	s_cbranch_execz .LBB2211_11
; %bb.10:
	global_load_dwordx2 v[12:13], v[20:21], off offset:2048
.LBB2211_11:
	;; [unrolled: 20-line block ×3, first 2 shown]
	s_or_b64 exec, exec, s[2:3]
	v_or_b32_e32 v3, 0x1c0, v3
	v_cmp_gt_u32_e32 vcc, s7, v3
	v_pk_mov_b32 v[14:15], s[0:1], s[0:1] op_sel:[0,1]
	s_and_saveexec_b64 s[0:1], vcc
	s_cbranch_execz .LBB2211_17
; %bb.16:
	global_load_dwordx2 v[14:15], v[20:21], off offset:3584
.LBB2211_17:
	s_or_b64 exec, exec, s[0:1]
	s_load_dword s0, s[4:5], 0x64
	s_load_dword s26, s[4:5], 0x58
	s_add_u32 s1, s4, 0x58
	s_addc_u32 s2, s5, 0
	v_mov_b32_e32 v20, 0
	s_waitcnt lgkmcnt(0)
	s_lshr_b32 s3, s0, 16
	s_cmp_lt_u32 s6, s26
	s_cselect_b32 s0, 12, 18
	s_add_u32 s0, s1, s0
	s_addc_u32 s1, s2, 0
	global_load_ushort v24, v20, s[0:1]
	s_waitcnt vmcnt(1)
	v_xor_b32_e32 v5, 0x7fffffff, v5
	v_not_b32_e32 v4, v4
	s_lshl_b32 s0, -1, s17
	v_lshrrev_b64 v[22:23], s16, v[4:5]
	s_not_b32 s27, s0
	v_and_b32_e32 v22, s27, v22
	v_and_b32_e32 v26, 1, v22
	v_bfe_u32 v21, v0, 10, 10
	v_bfe_u32 v25, v0, 20, 10
	v_add_co_u32_e32 v27, vcc, -1, v26
	v_mad_u32_u24 v23, v25, s3, v21
	v_lshlrev_b32_e32 v21, 30, v22
	v_addc_co_u32_e64 v30, s[0:1], 0, -1, vcc
	v_cmp_ne_u32_e32 vcc, 0, v26
	v_cmp_gt_i64_e64 s[0:1], 0, v[20:21]
	v_not_b32_e32 v26, v21
	v_lshlrev_b32_e32 v21, 29, v22
	v_xor_b32_e32 v30, vcc_hi, v30
	v_xor_b32_e32 v27, vcc_lo, v27
	v_ashrrev_i32_e32 v26, 31, v26
	v_cmp_gt_i64_e32 vcc, 0, v[20:21]
	v_not_b32_e32 v31, v21
	v_lshlrev_b32_e32 v21, 28, v22
	v_and_b32_e32 v30, exec_hi, v30
	v_and_b32_e32 v27, exec_lo, v27
	v_xor_b32_e32 v32, s1, v26
	v_xor_b32_e32 v26, s0, v26
	v_ashrrev_i32_e32 v31, 31, v31
	v_cmp_gt_i64_e64 s[0:1], 0, v[20:21]
	v_not_b32_e32 v33, v21
	v_lshlrev_b32_e32 v21, 27, v22
	v_and_b32_e32 v30, v30, v32
	v_and_b32_e32 v26, v27, v26
	v_xor_b32_e32 v27, vcc_hi, v31
	v_xor_b32_e32 v31, vcc_lo, v31
	v_ashrrev_i32_e32 v32, 31, v33
	v_cmp_gt_i64_e32 vcc, 0, v[20:21]
	v_not_b32_e32 v33, v21
	v_lshlrev_b32_e32 v21, 26, v22
	v_and_b32_e32 v27, v30, v27
	v_and_b32_e32 v26, v26, v31
	v_xor_b32_e32 v30, s1, v32
	v_xor_b32_e32 v31, s0, v32
	v_ashrrev_i32_e32 v32, 31, v33
	v_cmp_gt_i64_e64 s[0:1], 0, v[20:21]
	v_not_b32_e32 v33, v21
	v_lshlrev_b32_e32 v21, 25, v22
	v_and_b32_e32 v27, v27, v30
	v_and_b32_e32 v26, v26, v31
	v_xor_b32_e32 v30, vcc_hi, v32
	v_xor_b32_e32 v31, vcc_lo, v32
	v_ashrrev_i32_e32 v32, 31, v33
	v_not_b32_e32 v33, v21
	v_mul_u32_u24_e32 v3, 5, v2
	v_lshl_add_u32 v25, v22, 4, v22
	v_cmp_gt_i64_e32 vcc, 0, v[20:21]
	v_lshlrev_b32_e32 v21, 24, v22
	v_and_b32_e32 v22, v27, v30
	v_and_b32_e32 v26, v26, v31
	v_xor_b32_e32 v27, s1, v32
	v_ashrrev_i32_e32 v31, 31, v33
	v_lshlrev_b32_e32 v3, 2, v3
	v_xor_b32_e32 v30, s0, v32
	v_cmp_gt_i64_e64 s[0:1], 0, v[20:21]
	v_and_b32_e32 v22, v22, v27
	v_xor_b32_e32 v27, vcc_hi, v31
	v_not_b32_e32 v21, v21
	v_and_b32_e32 v26, v26, v30
	v_xor_b32_e32 v30, vcc_lo, v31
	v_and_b32_e32 v31, v22, v27
	v_ashrrev_i32_e32 v21, 31, v21
	v_and_b32_e32 v26, v26, v30
	ds_write2_b32 v3, v20, v20 offset0:16 offset1:17
	ds_write2_b32 v3, v20, v20 offset0:18 offset1:19
	ds_write_b32 v3, v20 offset:80
	s_waitcnt lgkmcnt(0)
	s_barrier
	s_waitcnt vmcnt(0)
	v_mad_u64_u32 v[22:23], s[2:3], v23, v24, v[2:3]
	v_lshrrev_b32_e32 v27, 6, v22
	v_xor_b32_e32 v22, s1, v21
	v_xor_b32_e32 v21, s0, v21
	v_and_b32_e32 v23, v31, v22
	v_and_b32_e32 v22, v26, v21
	v_mbcnt_lo_u32_b32 v21, v22, 0
	v_mbcnt_hi_u32_b32 v30, v23, v21
	v_cmp_eq_u32_e32 vcc, 0, v30
	v_cmp_ne_u64_e64 s[0:1], 0, v[22:23]
	v_add_lshl_u32 v24, v27, v25, 2
	s_and_b64 s[2:3], s[0:1], vcc
	; wave barrier
	s_and_saveexec_b64 s[0:1], s[2:3]
	s_cbranch_execz .LBB2211_19
; %bb.18:
	v_bcnt_u32_b32 v21, v22, 0
	v_bcnt_u32_b32 v21, v23, v21
	ds_write_b32 v24, v21 offset:64
.LBB2211_19:
	s_or_b64 exec, exec, s[0:1]
	v_xor_b32_e32 v7, 0x7fffffff, v7
	v_not_b32_e32 v6, v6
	v_lshrrev_b64 v[22:23], s16, v[6:7]
	v_and_b32_e32 v22, s27, v22
	v_lshl_add_u32 v21, v22, 4, v22
	v_add_lshl_u32 v25, v27, v21, 2
	v_and_b32_e32 v21, 1, v22
	v_add_co_u32_e32 v23, vcc, -1, v21
	v_addc_co_u32_e64 v26, s[0:1], 0, -1, vcc
	v_cmp_ne_u32_e32 vcc, 0, v21
	v_xor_b32_e32 v21, vcc_hi, v26
	v_and_b32_e32 v26, exec_hi, v21
	v_lshlrev_b32_e32 v21, 30, v22
	v_xor_b32_e32 v23, vcc_lo, v23
	v_cmp_gt_i64_e32 vcc, 0, v[20:21]
	v_not_b32_e32 v21, v21
	v_ashrrev_i32_e32 v21, 31, v21
	v_and_b32_e32 v23, exec_lo, v23
	v_xor_b32_e32 v32, vcc_hi, v21
	v_xor_b32_e32 v21, vcc_lo, v21
	v_and_b32_e32 v23, v23, v21
	v_lshlrev_b32_e32 v21, 29, v22
	v_cmp_gt_i64_e32 vcc, 0, v[20:21]
	v_not_b32_e32 v21, v21
	v_ashrrev_i32_e32 v21, 31, v21
	v_and_b32_e32 v26, v26, v32
	v_xor_b32_e32 v32, vcc_hi, v21
	v_xor_b32_e32 v21, vcc_lo, v21
	v_and_b32_e32 v23, v23, v21
	v_lshlrev_b32_e32 v21, 28, v22
	v_cmp_gt_i64_e32 vcc, 0, v[20:21]
	v_not_b32_e32 v21, v21
	v_ashrrev_i32_e32 v21, 31, v21
	v_and_b32_e32 v26, v26, v32
	;; [unrolled: 8-line block ×5, first 2 shown]
	v_xor_b32_e32 v32, vcc_hi, v21
	v_xor_b32_e32 v21, vcc_lo, v21
	v_and_b32_e32 v23, v23, v21
	v_lshlrev_b32_e32 v21, 24, v22
	v_cmp_gt_i64_e32 vcc, 0, v[20:21]
	v_not_b32_e32 v20, v21
	v_ashrrev_i32_e32 v20, 31, v20
	v_xor_b32_e32 v21, vcc_hi, v20
	v_xor_b32_e32 v20, vcc_lo, v20
	; wave barrier
	ds_read_b32 v31, v25 offset:64
	v_and_b32_e32 v26, v26, v32
	v_and_b32_e32 v20, v23, v20
	v_and_b32_e32 v21, v26, v21
	v_mbcnt_lo_u32_b32 v22, v20, 0
	v_mbcnt_hi_u32_b32 v32, v21, v22
	v_cmp_eq_u32_e32 vcc, 0, v32
	v_cmp_ne_u64_e64 s[0:1], 0, v[20:21]
	s_and_b64 s[2:3], s[0:1], vcc
	; wave barrier
	s_and_saveexec_b64 s[0:1], s[2:3]
	s_cbranch_execz .LBB2211_21
; %bb.20:
	v_bcnt_u32_b32 v20, v20, 0
	v_bcnt_u32_b32 v20, v21, v20
	s_waitcnt lgkmcnt(0)
	v_add_u32_e32 v20, v31, v20
	ds_write_b32 v25, v20 offset:64
.LBB2211_21:
	s_or_b64 exec, exec, s[0:1]
	v_xor_b32_e32 v9, 0x7fffffff, v9
	v_not_b32_e32 v8, v8
	v_lshrrev_b64 v[20:21], s16, v[8:9]
	v_and_b32_e32 v22, s27, v20
	v_and_b32_e32 v21, 1, v22
	v_add_co_u32_e32 v23, vcc, -1, v21
	v_addc_co_u32_e64 v34, s[0:1], 0, -1, vcc
	v_cmp_ne_u32_e32 vcc, 0, v21
	v_lshl_add_u32 v20, v22, 4, v22
	v_xor_b32_e32 v21, vcc_hi, v34
	v_add_lshl_u32 v26, v27, v20, 2
	v_mov_b32_e32 v20, 0
	v_and_b32_e32 v34, exec_hi, v21
	v_lshlrev_b32_e32 v21, 30, v22
	v_xor_b32_e32 v23, vcc_lo, v23
	v_cmp_gt_i64_e32 vcc, 0, v[20:21]
	v_not_b32_e32 v21, v21
	v_ashrrev_i32_e32 v21, 31, v21
	v_and_b32_e32 v23, exec_lo, v23
	v_xor_b32_e32 v35, vcc_hi, v21
	v_xor_b32_e32 v21, vcc_lo, v21
	v_and_b32_e32 v23, v23, v21
	v_lshlrev_b32_e32 v21, 29, v22
	v_cmp_gt_i64_e32 vcc, 0, v[20:21]
	v_not_b32_e32 v21, v21
	v_ashrrev_i32_e32 v21, 31, v21
	v_and_b32_e32 v34, v34, v35
	v_xor_b32_e32 v35, vcc_hi, v21
	v_xor_b32_e32 v21, vcc_lo, v21
	v_and_b32_e32 v23, v23, v21
	v_lshlrev_b32_e32 v21, 28, v22
	v_cmp_gt_i64_e32 vcc, 0, v[20:21]
	v_not_b32_e32 v21, v21
	v_ashrrev_i32_e32 v21, 31, v21
	v_and_b32_e32 v34, v34, v35
	;; [unrolled: 8-line block ×5, first 2 shown]
	v_xor_b32_e32 v35, vcc_hi, v21
	v_xor_b32_e32 v21, vcc_lo, v21
	v_and_b32_e32 v34, v34, v35
	v_and_b32_e32 v35, v23, v21
	v_lshlrev_b32_e32 v21, 24, v22
	v_cmp_gt_i64_e32 vcc, 0, v[20:21]
	v_not_b32_e32 v21, v21
	v_ashrrev_i32_e32 v21, 31, v21
	v_xor_b32_e32 v22, vcc_hi, v21
	v_xor_b32_e32 v21, vcc_lo, v21
	; wave barrier
	ds_read_b32 v33, v26 offset:64
	v_and_b32_e32 v23, v34, v22
	v_and_b32_e32 v22, v35, v21
	v_mbcnt_lo_u32_b32 v21, v22, 0
	v_mbcnt_hi_u32_b32 v34, v23, v21
	v_cmp_eq_u32_e32 vcc, 0, v34
	v_cmp_ne_u64_e64 s[0:1], 0, v[22:23]
	s_and_b64 s[2:3], s[0:1], vcc
	; wave barrier
	s_and_saveexec_b64 s[0:1], s[2:3]
	s_cbranch_execz .LBB2211_23
; %bb.22:
	v_bcnt_u32_b32 v21, v22, 0
	v_bcnt_u32_b32 v21, v23, v21
	s_waitcnt lgkmcnt(0)
	v_add_u32_e32 v21, v33, v21
	ds_write_b32 v26, v21 offset:64
.LBB2211_23:
	s_or_b64 exec, exec, s[0:1]
	v_xor_b32_e32 v11, 0x7fffffff, v11
	v_not_b32_e32 v10, v10
	v_lshrrev_b64 v[22:23], s16, v[10:11]
	v_and_b32_e32 v22, s27, v22
	v_lshl_add_u32 v21, v22, 4, v22
	v_add_lshl_u32 v38, v27, v21, 2
	v_and_b32_e32 v21, 1, v22
	v_add_co_u32_e32 v23, vcc, -1, v21
	v_addc_co_u32_e64 v36, s[0:1], 0, -1, vcc
	v_cmp_ne_u32_e32 vcc, 0, v21
	v_xor_b32_e32 v21, vcc_hi, v36
	v_and_b32_e32 v36, exec_hi, v21
	v_lshlrev_b32_e32 v21, 30, v22
	v_xor_b32_e32 v23, vcc_lo, v23
	v_cmp_gt_i64_e32 vcc, 0, v[20:21]
	v_not_b32_e32 v21, v21
	v_ashrrev_i32_e32 v21, 31, v21
	v_and_b32_e32 v23, exec_lo, v23
	v_xor_b32_e32 v37, vcc_hi, v21
	v_xor_b32_e32 v21, vcc_lo, v21
	v_and_b32_e32 v23, v23, v21
	v_lshlrev_b32_e32 v21, 29, v22
	v_cmp_gt_i64_e32 vcc, 0, v[20:21]
	v_not_b32_e32 v21, v21
	v_ashrrev_i32_e32 v21, 31, v21
	v_and_b32_e32 v36, v36, v37
	v_xor_b32_e32 v37, vcc_hi, v21
	v_xor_b32_e32 v21, vcc_lo, v21
	v_and_b32_e32 v23, v23, v21
	v_lshlrev_b32_e32 v21, 28, v22
	v_cmp_gt_i64_e32 vcc, 0, v[20:21]
	v_not_b32_e32 v21, v21
	v_ashrrev_i32_e32 v21, 31, v21
	v_and_b32_e32 v36, v36, v37
	;; [unrolled: 8-line block ×5, first 2 shown]
	v_xor_b32_e32 v37, vcc_hi, v21
	v_xor_b32_e32 v21, vcc_lo, v21
	v_and_b32_e32 v23, v23, v21
	v_lshlrev_b32_e32 v21, 24, v22
	v_cmp_gt_i64_e32 vcc, 0, v[20:21]
	v_not_b32_e32 v20, v21
	v_ashrrev_i32_e32 v20, 31, v20
	v_xor_b32_e32 v21, vcc_hi, v20
	v_xor_b32_e32 v20, vcc_lo, v20
	; wave barrier
	ds_read_b32 v35, v38 offset:64
	v_and_b32_e32 v36, v36, v37
	v_and_b32_e32 v20, v23, v20
	;; [unrolled: 1-line block ×3, first 2 shown]
	v_mbcnt_lo_u32_b32 v22, v20, 0
	v_mbcnt_hi_u32_b32 v36, v21, v22
	v_cmp_eq_u32_e32 vcc, 0, v36
	v_cmp_ne_u64_e64 s[0:1], 0, v[20:21]
	s_and_b64 s[2:3], s[0:1], vcc
	; wave barrier
	s_and_saveexec_b64 s[0:1], s[2:3]
	s_cbranch_execz .LBB2211_25
; %bb.24:
	v_bcnt_u32_b32 v20, v20, 0
	v_bcnt_u32_b32 v20, v21, v20
	s_waitcnt lgkmcnt(0)
	v_add_u32_e32 v20, v35, v20
	ds_write_b32 v38, v20 offset:64
.LBB2211_25:
	s_or_b64 exec, exec, s[0:1]
	v_xor_b32_e32 v13, 0x7fffffff, v13
	v_not_b32_e32 v12, v12
	v_lshrrev_b64 v[20:21], s16, v[12:13]
	v_and_b32_e32 v22, s27, v20
	v_and_b32_e32 v21, 1, v22
	v_add_co_u32_e32 v23, vcc, -1, v21
	v_addc_co_u32_e64 v39, s[0:1], 0, -1, vcc
	v_cmp_ne_u32_e32 vcc, 0, v21
	v_lshl_add_u32 v20, v22, 4, v22
	v_xor_b32_e32 v21, vcc_hi, v39
	v_add_lshl_u32 v42, v27, v20, 2
	v_mov_b32_e32 v20, 0
	v_and_b32_e32 v39, exec_hi, v21
	v_lshlrev_b32_e32 v21, 30, v22
	v_xor_b32_e32 v23, vcc_lo, v23
	v_cmp_gt_i64_e32 vcc, 0, v[20:21]
	v_not_b32_e32 v21, v21
	v_ashrrev_i32_e32 v21, 31, v21
	v_and_b32_e32 v23, exec_lo, v23
	v_xor_b32_e32 v40, vcc_hi, v21
	v_xor_b32_e32 v21, vcc_lo, v21
	v_and_b32_e32 v23, v23, v21
	v_lshlrev_b32_e32 v21, 29, v22
	v_cmp_gt_i64_e32 vcc, 0, v[20:21]
	v_not_b32_e32 v21, v21
	v_ashrrev_i32_e32 v21, 31, v21
	v_and_b32_e32 v39, v39, v40
	v_xor_b32_e32 v40, vcc_hi, v21
	v_xor_b32_e32 v21, vcc_lo, v21
	v_and_b32_e32 v23, v23, v21
	v_lshlrev_b32_e32 v21, 28, v22
	v_cmp_gt_i64_e32 vcc, 0, v[20:21]
	v_not_b32_e32 v21, v21
	v_ashrrev_i32_e32 v21, 31, v21
	v_and_b32_e32 v39, v39, v40
	;; [unrolled: 8-line block ×5, first 2 shown]
	v_xor_b32_e32 v40, vcc_hi, v21
	v_xor_b32_e32 v21, vcc_lo, v21
	v_and_b32_e32 v39, v39, v40
	v_and_b32_e32 v40, v23, v21
	v_lshlrev_b32_e32 v21, 24, v22
	v_cmp_gt_i64_e32 vcc, 0, v[20:21]
	v_not_b32_e32 v21, v21
	v_ashrrev_i32_e32 v21, 31, v21
	v_xor_b32_e32 v22, vcc_hi, v21
	v_xor_b32_e32 v21, vcc_lo, v21
	; wave barrier
	ds_read_b32 v37, v42 offset:64
	v_and_b32_e32 v23, v39, v22
	v_and_b32_e32 v22, v40, v21
	v_mbcnt_lo_u32_b32 v21, v22, 0
	v_mbcnt_hi_u32_b32 v39, v23, v21
	v_cmp_eq_u32_e32 vcc, 0, v39
	v_cmp_ne_u64_e64 s[0:1], 0, v[22:23]
	s_and_b64 s[2:3], s[0:1], vcc
	; wave barrier
	s_and_saveexec_b64 s[0:1], s[2:3]
	s_cbranch_execz .LBB2211_27
; %bb.26:
	v_bcnt_u32_b32 v21, v22, 0
	v_bcnt_u32_b32 v21, v23, v21
	s_waitcnt lgkmcnt(0)
	v_add_u32_e32 v21, v37, v21
	ds_write_b32 v42, v21 offset:64
.LBB2211_27:
	s_or_b64 exec, exec, s[0:1]
	v_xor_b32_e32 v17, 0x7fffffff, v17
	v_not_b32_e32 v16, v16
	v_lshrrev_b64 v[22:23], s16, v[16:17]
	v_and_b32_e32 v22, s27, v22
	v_lshl_add_u32 v21, v22, 4, v22
	v_add_lshl_u32 v45, v27, v21, 2
	v_and_b32_e32 v21, 1, v22
	v_add_co_u32_e32 v23, vcc, -1, v21
	v_addc_co_u32_e64 v41, s[0:1], 0, -1, vcc
	v_cmp_ne_u32_e32 vcc, 0, v21
	v_xor_b32_e32 v21, vcc_hi, v41
	v_and_b32_e32 v41, exec_hi, v21
	v_lshlrev_b32_e32 v21, 30, v22
	v_xor_b32_e32 v23, vcc_lo, v23
	v_cmp_gt_i64_e32 vcc, 0, v[20:21]
	v_not_b32_e32 v21, v21
	v_ashrrev_i32_e32 v21, 31, v21
	v_and_b32_e32 v23, exec_lo, v23
	v_xor_b32_e32 v43, vcc_hi, v21
	v_xor_b32_e32 v21, vcc_lo, v21
	v_and_b32_e32 v23, v23, v21
	v_lshlrev_b32_e32 v21, 29, v22
	v_cmp_gt_i64_e32 vcc, 0, v[20:21]
	v_not_b32_e32 v21, v21
	v_ashrrev_i32_e32 v21, 31, v21
	v_and_b32_e32 v41, v41, v43
	v_xor_b32_e32 v43, vcc_hi, v21
	v_xor_b32_e32 v21, vcc_lo, v21
	v_and_b32_e32 v23, v23, v21
	v_lshlrev_b32_e32 v21, 28, v22
	v_cmp_gt_i64_e32 vcc, 0, v[20:21]
	v_not_b32_e32 v21, v21
	v_ashrrev_i32_e32 v21, 31, v21
	v_and_b32_e32 v41, v41, v43
	;; [unrolled: 8-line block ×5, first 2 shown]
	v_xor_b32_e32 v43, vcc_hi, v21
	v_xor_b32_e32 v21, vcc_lo, v21
	v_and_b32_e32 v23, v23, v21
	v_lshlrev_b32_e32 v21, 24, v22
	v_cmp_gt_i64_e32 vcc, 0, v[20:21]
	v_not_b32_e32 v20, v21
	v_ashrrev_i32_e32 v20, 31, v20
	v_xor_b32_e32 v21, vcc_hi, v20
	v_xor_b32_e32 v20, vcc_lo, v20
	; wave barrier
	ds_read_b32 v40, v45 offset:64
	v_and_b32_e32 v41, v41, v43
	v_and_b32_e32 v20, v23, v20
	;; [unrolled: 1-line block ×3, first 2 shown]
	v_mbcnt_lo_u32_b32 v22, v20, 0
	v_mbcnt_hi_u32_b32 v41, v21, v22
	v_cmp_eq_u32_e32 vcc, 0, v41
	v_cmp_ne_u64_e64 s[0:1], 0, v[20:21]
	s_and_b64 s[2:3], s[0:1], vcc
	; wave barrier
	s_and_saveexec_b64 s[0:1], s[2:3]
	s_cbranch_execz .LBB2211_29
; %bb.28:
	v_bcnt_u32_b32 v20, v20, 0
	v_bcnt_u32_b32 v20, v21, v20
	s_waitcnt lgkmcnt(0)
	v_add_u32_e32 v20, v40, v20
	ds_write_b32 v45, v20 offset:64
.LBB2211_29:
	s_or_b64 exec, exec, s[0:1]
	v_xor_b32_e32 v21, 0x7fffffff, v19
	v_not_b32_e32 v20, v18
	v_lshrrev_b64 v[18:19], s16, v[20:21]
	v_and_b32_e32 v22, s27, v18
	v_and_b32_e32 v19, 1, v22
	v_add_co_u32_e32 v23, vcc, -1, v19
	v_addc_co_u32_e64 v44, s[0:1], 0, -1, vcc
	v_cmp_ne_u32_e32 vcc, 0, v19
	v_lshl_add_u32 v18, v22, 4, v22
	v_xor_b32_e32 v19, vcc_hi, v44
	v_add_lshl_u32 v47, v27, v18, 2
	v_mov_b32_e32 v18, 0
	v_and_b32_e32 v44, exec_hi, v19
	v_lshlrev_b32_e32 v19, 30, v22
	v_xor_b32_e32 v23, vcc_lo, v23
	v_cmp_gt_i64_e32 vcc, 0, v[18:19]
	v_not_b32_e32 v19, v19
	v_ashrrev_i32_e32 v19, 31, v19
	v_and_b32_e32 v23, exec_lo, v23
	v_xor_b32_e32 v46, vcc_hi, v19
	v_xor_b32_e32 v19, vcc_lo, v19
	v_and_b32_e32 v23, v23, v19
	v_lshlrev_b32_e32 v19, 29, v22
	v_cmp_gt_i64_e32 vcc, 0, v[18:19]
	v_not_b32_e32 v19, v19
	v_ashrrev_i32_e32 v19, 31, v19
	v_and_b32_e32 v44, v44, v46
	v_xor_b32_e32 v46, vcc_hi, v19
	v_xor_b32_e32 v19, vcc_lo, v19
	v_and_b32_e32 v23, v23, v19
	v_lshlrev_b32_e32 v19, 28, v22
	v_cmp_gt_i64_e32 vcc, 0, v[18:19]
	v_not_b32_e32 v19, v19
	v_ashrrev_i32_e32 v19, 31, v19
	v_and_b32_e32 v44, v44, v46
	;; [unrolled: 8-line block ×5, first 2 shown]
	v_xor_b32_e32 v46, vcc_hi, v19
	v_xor_b32_e32 v19, vcc_lo, v19
	v_and_b32_e32 v44, v44, v46
	v_and_b32_e32 v46, v23, v19
	v_lshlrev_b32_e32 v19, 24, v22
	v_cmp_gt_i64_e32 vcc, 0, v[18:19]
	v_not_b32_e32 v19, v19
	v_ashrrev_i32_e32 v19, 31, v19
	v_xor_b32_e32 v22, vcc_hi, v19
	v_xor_b32_e32 v19, vcc_lo, v19
	; wave barrier
	ds_read_b32 v43, v47 offset:64
	v_and_b32_e32 v23, v44, v22
	v_and_b32_e32 v22, v46, v19
	v_mbcnt_lo_u32_b32 v19, v22, 0
	v_mbcnt_hi_u32_b32 v44, v23, v19
	v_cmp_eq_u32_e32 vcc, 0, v44
	v_cmp_ne_u64_e64 s[0:1], 0, v[22:23]
	s_and_b64 s[2:3], s[0:1], vcc
	; wave barrier
	s_and_saveexec_b64 s[0:1], s[2:3]
	s_cbranch_execz .LBB2211_31
; %bb.30:
	v_bcnt_u32_b32 v19, v22, 0
	v_bcnt_u32_b32 v19, v23, v19
	s_waitcnt lgkmcnt(0)
	v_add_u32_e32 v19, v43, v19
	ds_write_b32 v47, v19 offset:64
.LBB2211_31:
	s_or_b64 exec, exec, s[0:1]
	v_xor_b32_e32 v15, 0x7fffffff, v15
	v_not_b32_e32 v14, v14
	v_lshrrev_b64 v[22:23], s16, v[14:15]
	v_and_b32_e32 v22, s27, v22
	v_lshl_add_u32 v19, v22, 4, v22
	v_add_lshl_u32 v27, v27, v19, 2
	v_and_b32_e32 v19, 1, v22
	v_add_co_u32_e32 v23, vcc, -1, v19
	v_addc_co_u32_e64 v48, s[0:1], 0, -1, vcc
	v_cmp_ne_u32_e32 vcc, 0, v19
	v_xor_b32_e32 v19, vcc_hi, v48
	v_and_b32_e32 v48, exec_hi, v19
	v_lshlrev_b32_e32 v19, 30, v22
	v_xor_b32_e32 v23, vcc_lo, v23
	v_cmp_gt_i64_e32 vcc, 0, v[18:19]
	v_not_b32_e32 v19, v19
	v_ashrrev_i32_e32 v19, 31, v19
	v_and_b32_e32 v23, exec_lo, v23
	v_xor_b32_e32 v50, vcc_hi, v19
	v_xor_b32_e32 v19, vcc_lo, v19
	v_and_b32_e32 v23, v23, v19
	v_lshlrev_b32_e32 v19, 29, v22
	v_cmp_gt_i64_e32 vcc, 0, v[18:19]
	v_not_b32_e32 v19, v19
	v_ashrrev_i32_e32 v19, 31, v19
	v_and_b32_e32 v48, v48, v50
	v_xor_b32_e32 v50, vcc_hi, v19
	v_xor_b32_e32 v19, vcc_lo, v19
	v_and_b32_e32 v23, v23, v19
	v_lshlrev_b32_e32 v19, 28, v22
	v_cmp_gt_i64_e32 vcc, 0, v[18:19]
	v_not_b32_e32 v19, v19
	v_ashrrev_i32_e32 v19, 31, v19
	v_and_b32_e32 v48, v48, v50
	;; [unrolled: 8-line block ×5, first 2 shown]
	v_xor_b32_e32 v50, vcc_hi, v19
	v_xor_b32_e32 v19, vcc_lo, v19
	v_and_b32_e32 v23, v23, v19
	v_lshlrev_b32_e32 v19, 24, v22
	v_cmp_gt_i64_e32 vcc, 0, v[18:19]
	v_not_b32_e32 v18, v19
	v_ashrrev_i32_e32 v18, 31, v18
	v_xor_b32_e32 v19, vcc_hi, v18
	v_xor_b32_e32 v18, vcc_lo, v18
	; wave barrier
	ds_read_b32 v46, v27 offset:64
	v_and_b32_e32 v48, v48, v50
	v_and_b32_e32 v18, v23, v18
	;; [unrolled: 1-line block ×3, first 2 shown]
	v_mbcnt_lo_u32_b32 v22, v18, 0
	v_mbcnt_hi_u32_b32 v48, v19, v22
	v_cmp_eq_u32_e32 vcc, 0, v48
	v_cmp_ne_u64_e64 s[0:1], 0, v[18:19]
	v_add_u32_e32 v49, 64, v3
	s_and_b64 s[2:3], s[0:1], vcc
	; wave barrier
	s_and_saveexec_b64 s[0:1], s[2:3]
	s_cbranch_execz .LBB2211_33
; %bb.32:
	v_bcnt_u32_b32 v18, v18, 0
	v_bcnt_u32_b32 v18, v19, v18
	s_waitcnt lgkmcnt(0)
	v_add_u32_e32 v18, v46, v18
	ds_write_b32 v27, v18 offset:64
.LBB2211_33:
	s_or_b64 exec, exec, s[0:1]
	; wave barrier
	s_waitcnt lgkmcnt(0)
	s_barrier
	ds_read2_b32 v[22:23], v3 offset0:16 offset1:17
	ds_read2_b32 v[18:19], v49 offset0:2 offset1:3
	ds_read_b32 v50, v49 offset:16
	v_cmp_lt_u32_e64 s[10:11], 31, v1
	s_waitcnt lgkmcnt(1)
	v_add3_u32 v51, v23, v22, v18
	s_waitcnt lgkmcnt(0)
	v_add3_u32 v50, v51, v19, v50
	v_and_b32_e32 v51, 15, v1
	v_cmp_eq_u32_e32 vcc, 0, v51
	v_mov_b32_dpp v52, v50 row_shr:1 row_mask:0xf bank_mask:0xf
	v_cndmask_b32_e64 v52, v52, 0, vcc
	v_add_u32_e32 v50, v52, v50
	v_cmp_lt_u32_e64 s[0:1], 1, v51
	v_cmp_lt_u32_e64 s[2:3], 3, v51
	v_mov_b32_dpp v52, v50 row_shr:2 row_mask:0xf bank_mask:0xf
	v_cndmask_b32_e64 v52, 0, v52, s[0:1]
	v_add_u32_e32 v50, v50, v52
	v_cmp_lt_u32_e64 s[8:9], 7, v51
	s_nop 0
	v_mov_b32_dpp v52, v50 row_shr:4 row_mask:0xf bank_mask:0xf
	v_cndmask_b32_e64 v52, 0, v52, s[2:3]
	v_add_u32_e32 v50, v50, v52
	s_nop 1
	v_mov_b32_dpp v52, v50 row_shr:8 row_mask:0xf bank_mask:0xf
	v_cndmask_b32_e64 v51, 0, v52, s[8:9]
	v_add_u32_e32 v50, v50, v51
	v_bfe_i32 v52, v1, 4, 1
	s_nop 0
	v_mov_b32_dpp v51, v50 row_bcast:15 row_mask:0xf bank_mask:0xf
	v_and_b32_e32 v51, v52, v51
	v_add_u32_e32 v50, v50, v51
	v_and_b32_e32 v52, 63, v2
	s_nop 0
	v_mov_b32_dpp v51, v50 row_bcast:31 row_mask:0xf bank_mask:0xf
	v_cndmask_b32_e64 v51, 0, v51, s[10:11]
	v_add_u32_e32 v50, v50, v51
	v_lshrrev_b32_e32 v51, 6, v2
	v_cmp_eq_u32_e64 s[10:11], 63, v52
	s_and_saveexec_b64 s[18:19], s[10:11]
	s_cbranch_execz .LBB2211_35
; %bb.34:
	v_lshlrev_b32_e32 v52, 2, v51
	ds_write_b32 v52, v50
.LBB2211_35:
	s_or_b64 exec, exec, s[18:19]
	v_cmp_gt_u32_e64 s[10:11], 16, v2
	s_waitcnt lgkmcnt(0)
	s_barrier
	s_and_saveexec_b64 s[18:19], s[10:11]
	s_cbranch_execz .LBB2211_37
; %bb.36:
	v_lshlrev_b32_e32 v52, 2, v2
	ds_read_b32 v53, v52
	s_waitcnt lgkmcnt(0)
	s_nop 0
	v_mov_b32_dpp v54, v53 row_shr:1 row_mask:0xf bank_mask:0xf
	v_cndmask_b32_e64 v54, v54, 0, vcc
	v_add_u32_e32 v53, v54, v53
	s_nop 1
	v_mov_b32_dpp v54, v53 row_shr:2 row_mask:0xf bank_mask:0xf
	v_cndmask_b32_e64 v54, 0, v54, s[0:1]
	v_add_u32_e32 v53, v53, v54
	s_nop 1
	v_mov_b32_dpp v54, v53 row_shr:4 row_mask:0xf bank_mask:0xf
	v_cndmask_b32_e64 v54, 0, v54, s[2:3]
	;; [unrolled: 4-line block ×3, first 2 shown]
	v_add_u32_e32 v53, v53, v54
	ds_write_b32 v52, v53
.LBB2211_37:
	s_or_b64 exec, exec, s[18:19]
	v_cmp_lt_u32_e32 vcc, 63, v2
	v_mov_b32_e32 v52, 0
	s_waitcnt lgkmcnt(0)
	s_barrier
	s_and_saveexec_b64 s[0:1], vcc
	s_cbranch_execz .LBB2211_39
; %bb.38:
	v_lshl_add_u32 v51, v51, 2, -4
	ds_read_b32 v52, v51
.LBB2211_39:
	s_or_b64 exec, exec, s[0:1]
	v_add_u32_e32 v51, -1, v1
	v_and_b32_e32 v53, 64, v1
	v_cmp_lt_i32_e32 vcc, v51, v53
	v_cndmask_b32_e32 v51, v51, v1, vcc
	s_waitcnt lgkmcnt(0)
	v_add_u32_e32 v50, v52, v50
	v_lshlrev_b32_e32 v51, 2, v51
	ds_bpermute_b32 v50, v51, v50
	v_cmp_eq_u32_e32 vcc, 0, v1
	s_movk_i32 s2, 0xff
	s_movk_i32 s0, 0x100
	v_cmp_gt_u32_e64 s[0:1], s0, v2
	s_waitcnt lgkmcnt(0)
	v_cndmask_b32_e32 v1, v50, v52, vcc
	v_cmp_ne_u32_e32 vcc, 0, v2
	v_cndmask_b32_e32 v1, 0, v1, vcc
	v_add_u32_e32 v22, v1, v22
	v_add_u32_e32 v23, v22, v23
	;; [unrolled: 1-line block ×4, first 2 shown]
	ds_write2_b32 v3, v1, v22 offset0:16 offset1:17
	ds_write2_b32 v49, v23, v18 offset0:2 offset1:3
	ds_write_b32 v49, v19 offset:16
	s_waitcnt lgkmcnt(0)
	s_barrier
	ds_read_b32 v51, v24 offset:64
	ds_read_b32 v1, v25 offset:64
	;; [unrolled: 1-line block ×8, first 2 shown]
	v_cmp_lt_u32_e32 vcc, s2, v2
	v_pk_mov_b32 v[18:19], 0, 0
                                        ; implicit-def: $vgpr38
	s_and_saveexec_b64 s[8:9], s[0:1]
	s_cbranch_execz .LBB2211_43
; %bb.40:
	v_mul_u32_u24_e32 v3, 17, v2
	v_lshlrev_b32_e32 v19, 2, v3
	ds_read_b32 v18, v19 offset:64
	v_cmp_ne_u32_e64 s[2:3], s2, v2
	v_mov_b32_e32 v3, 0x2000
	s_and_saveexec_b64 s[10:11], s[2:3]
	s_cbranch_execz .LBB2211_42
; %bb.41:
	ds_read_b32 v3, v19 offset:132
.LBB2211_42:
	s_or_b64 exec, exec, s[10:11]
	s_waitcnt lgkmcnt(0)
	v_sub_u32_e32 v38, v3, v18
	v_mov_b32_e32 v19, 0
.LBB2211_43:
	s_or_b64 exec, exec, s[8:9]
	s_waitcnt lgkmcnt(0)
	s_barrier
	s_and_saveexec_b64 s[2:3], vcc
	s_xor_b64 s[2:3], exec, s[2:3]
; %bb.44:
	v_mov_b32_e32 v3, 0
; %bb.45:
	s_andn2_saveexec_b64 s[2:3], s[2:3]
	s_cbranch_execz .LBB2211_55
; %bb.46:
	v_lshl_or_b32 v22, s6, 8, v2
	v_mov_b32_e32 v23, 0
	v_lshlrev_b64 v[24:25], 2, v[22:23]
	v_mov_b32_e32 v3, s25
	v_add_co_u32_e32 v24, vcc, s24, v24
	v_addc_co_u32_e32 v25, vcc, v3, v25, vcc
	v_or_b32_e32 v22, 2.0, v38
	s_mov_b64 s[8:9], 0
	s_brev_b32 s28, 1
	s_mov_b32 s29, s6
	v_mov_b32_e32 v53, 0
	global_store_dword v[24:25], v22, off
                                        ; implicit-def: $sgpr10_sgpr11
	s_branch .LBB2211_48
.LBB2211_47:                            ;   in Loop: Header=BB2211_48 Depth=1
	s_or_b64 exec, exec, s[10:11]
	v_and_b32_e32 v26, 0x3fffffff, v54
	v_add_u32_e32 v53, v26, v53
	v_cmp_eq_u32_e64 s[10:11], s28, v22
	s_and_b64 s[18:19], exec, s[10:11]
	s_or_b64 s[8:9], s[18:19], s[8:9]
	s_andn2_b64 exec, exec, s[8:9]
	s_cbranch_execz .LBB2211_54
.LBB2211_48:                            ; =>This Loop Header: Depth=1
                                        ;     Child Loop BB2211_51 Depth 2
	s_or_b64 s[10:11], s[10:11], exec
	s_cmp_eq_u32 s29, 0
	s_cbranch_scc1 .LBB2211_53
; %bb.49:                               ;   in Loop: Header=BB2211_48 Depth=1
	s_add_i32 s29, s29, -1
	v_lshl_or_b32 v22, s29, 8, v2
	v_lshlrev_b64 v[26:27], 2, v[22:23]
	v_add_co_u32_e32 v26, vcc, s24, v26
	v_addc_co_u32_e32 v27, vcc, v3, v27, vcc
	global_load_dword v54, v[26:27], off glc
	s_waitcnt vmcnt(0)
	v_and_b32_e32 v22, -2.0, v54
	v_cmp_eq_u32_e32 vcc, 0, v22
	s_and_saveexec_b64 s[10:11], vcc
	s_cbranch_execz .LBB2211_47
; %bb.50:                               ;   in Loop: Header=BB2211_48 Depth=1
	s_mov_b64 s[18:19], 0
.LBB2211_51:                            ;   Parent Loop BB2211_48 Depth=1
                                        ; =>  This Inner Loop Header: Depth=2
	global_load_dword v54, v[26:27], off glc
	s_waitcnt vmcnt(0)
	v_and_b32_e32 v22, -2.0, v54
	v_cmp_ne_u32_e32 vcc, 0, v22
	s_or_b64 s[18:19], vcc, s[18:19]
	s_andn2_b64 exec, exec, s[18:19]
	s_cbranch_execnz .LBB2211_51
; %bb.52:                               ;   in Loop: Header=BB2211_48 Depth=1
	s_or_b64 exec, exec, s[18:19]
	s_branch .LBB2211_47
.LBB2211_53:                            ;   in Loop: Header=BB2211_48 Depth=1
                                        ; implicit-def: $sgpr29
	s_and_b64 s[18:19], exec, s[10:11]
	s_or_b64 s[8:9], s[18:19], s[8:9]
	s_andn2_b64 exec, exec, s[8:9]
	s_cbranch_execnz .LBB2211_48
.LBB2211_54:
	s_or_b64 exec, exec, s[8:9]
	v_add_u32_e32 v3, v53, v38
	v_or_b32_e32 v3, 0x80000000, v3
	global_store_dword v[24:25], v3, off
	global_load_dwordx2 v[22:23], v29, s[12:13]
	v_sub_co_u32_e32 v24, vcc, v53, v18
	v_subb_co_u32_e32 v25, vcc, 0, v19, vcc
	v_mov_b32_e32 v3, 0
	s_waitcnt vmcnt(0)
	v_add_co_u32_e32 v22, vcc, v24, v22
	v_addc_co_u32_e32 v23, vcc, v25, v23, vcc
	ds_write_b64 v29, v[22:23]
.LBB2211_55:
	s_or_b64 exec, exec, s[2:3]
	v_add_u32_e32 v23, v51, v30
	v_add3_u32 v30, v39, v42, v37
	v_add3_u32 v35, v36, v50, v35
	v_lshlrev_b64 v[36:37], 3, v[2:3]
	v_add3_u32 v31, v32, v1, v31
	v_mov_b32_e32 v1, s23
	v_add_co_u32_e32 v22, vcc, s22, v36
	v_add_u32_e32 v24, 0x800, v29
	v_add3_u32 v25, v48, v52, v46
	v_add3_u32 v26, v44, v47, v43
	;; [unrolled: 1-line block ×4, first 2 shown]
	v_addc_co_u32_e32 v1, vcc, v1, v37, vcc
	s_mov_b32 s8, 0
	v_mov_b32_e32 v32, v2
	s_branch .LBB2211_57
.LBB2211_56:                            ;   in Loop: Header=BB2211_57 Depth=1
	s_or_b64 exec, exec, s[2:3]
	s_addk_i32 s8, 0xf800
	v_add_co_u32_e32 v22, vcc, 0x4000, v22
	v_addc_co_u32_e32 v1, vcc, 0, v1, vcc
	s_cmpk_eq_i32 s8, 0xe000
	v_add_u32_e32 v32, 0x800, v32
	s_barrier
	s_cbranch_scc1 .LBB2211_62
.LBB2211_57:                            ; =>This Inner Loop Header: Depth=1
	v_add_u32_e32 v34, s8, v23
	v_min_u32_e32 v34, 0x800, v34
	v_lshlrev_b32_e32 v34, 3, v34
	ds_write_b64 v34, v[4:5] offset:2048
	v_add_u32_e32 v34, s8, v31
	v_min_u32_e32 v34, 0x800, v34
	v_lshlrev_b32_e32 v34, 3, v34
	ds_write_b64 v34, v[6:7] offset:2048
	;; [unrolled: 4-line block ×7, first 2 shown]
	v_add_u32_e32 v34, s8, v25
	v_min_u32_e32 v34, 0x800, v34
	v_lshlrev_b32_e32 v34, 3, v34
	v_cmp_gt_u32_e32 vcc, s7, v32
	ds_write_b64 v34, v[14:15] offset:2048
	s_waitcnt lgkmcnt(0)
	s_barrier
	s_and_saveexec_b64 s[2:3], vcc
	s_cbranch_execz .LBB2211_59
; %bb.58:                               ;   in Loop: Header=BB2211_57 Depth=1
	ds_read_b64 v[36:37], v29 offset:2048
	s_waitcnt lgkmcnt(0)
	v_lshrrev_b64 v[40:41], s16, v[36:37]
	v_and_b32_e32 v34, s27, v40
	v_lshlrev_b32_e32 v34, 3, v34
	ds_read_b64 v[40:41], v34
	v_xor_b32_e32 v37, 0x7fffffff, v37
	v_not_b32_e32 v36, v36
	s_waitcnt lgkmcnt(0)
	v_lshlrev_b64 v[40:41], 3, v[40:41]
	v_add_co_u32_e32 v40, vcc, v22, v40
	v_addc_co_u32_e32 v41, vcc, v1, v41, vcc
	global_store_dwordx2 v[40:41], v[36:37], off
.LBB2211_59:                            ;   in Loop: Header=BB2211_57 Depth=1
	s_or_b64 exec, exec, s[2:3]
	v_add_u32_e32 v34, 0x400, v32
	v_cmp_gt_u32_e32 vcc, s7, v34
	s_and_saveexec_b64 s[2:3], vcc
	s_cbranch_execz .LBB2211_56
; %bb.60:                               ;   in Loop: Header=BB2211_57 Depth=1
	ds_read_b64 v[36:37], v24 offset:8192
	s_waitcnt lgkmcnt(0)
	v_lshrrev_b64 v[40:41], s16, v[36:37]
	v_and_b32_e32 v34, s27, v40
	v_lshlrev_b32_e32 v34, 3, v34
	ds_read_b64 v[40:41], v34
	v_xor_b32_e32 v37, 0x7fffffff, v37
	v_not_b32_e32 v36, v36
	s_waitcnt lgkmcnt(0)
	v_lshlrev_b64 v[40:41], 3, v[40:41]
	v_add_co_u32_e32 v34, vcc, v22, v40
	v_addc_co_u32_e32 v39, vcc, v1, v41, vcc
	v_add_co_u32_e32 v40, vcc, 0x2000, v34
	v_addc_co_u32_e32 v41, vcc, 0, v39, vcc
	global_store_dwordx2 v[40:41], v[36:37], off
	s_branch .LBB2211_56
.LBB2211_61:
	s_mov_b64 s[0:1], 0
                                        ; implicit-def: $vgpr2
                                        ; implicit-def: $vgpr18_vgpr19
                                        ; implicit-def: $vgpr38
	s_cbranch_execnz .LBB2211_63
	s_branch .LBB2211_104
.LBB2211_62:
	s_add_i32 s26, s26, -1
	s_cmp_eq_u32 s26, s6
	s_cselect_b64 s[2:3], -1, 0
	s_and_b64 s[0:1], s[0:1], s[2:3]
	s_branch .LBB2211_104
.LBB2211_63:
	s_lshl_b32 s0, s6, 13
	s_mov_b32 s1, 0
	v_mbcnt_hi_u32_b32 v3, -1, v28
	s_lshl_b64 s[0:1], s[0:1], 3
	v_and_b32_e32 v1, 63, v3
	s_add_u32 s0, s20, s0
	v_lshlrev_b32_e32 v1, 3, v1
	v_add_co_u32_e32 v1, vcc, s0, v1
	s_load_dword s7, s[4:5], 0x58
	s_load_dword s0, s[4:5], 0x64
	v_and_b32_e32 v2, 0x3ff, v0
	s_addc_u32 s1, s21, s1
	v_mov_b32_e32 v4, s1
	v_lshlrev_b32_e32 v5, 6, v2
	v_addc_co_u32_e32 v4, vcc, 0, v4, vcc
	v_and_b32_e32 v5, 0xf000, v5
	s_add_u32 s1, s4, 0x58
	v_add_co_u32_e32 v20, vcc, v1, v5
	s_addc_u32 s2, s5, 0
	s_waitcnt lgkmcnt(0)
	s_lshr_b32 s3, s0, 16
	v_addc_co_u32_e32 v21, vcc, 0, v4, vcc
	s_cmp_lt_u32 s6, s7
	global_load_dwordx2 v[24:25], v[20:21], off
	s_cselect_b32 s0, 12, 18
	s_add_u32 s0, s1, s0
	v_mov_b32_e32 v6, 0
	s_addc_u32 s1, s2, 0
	global_load_ushort v7, v6, s[0:1]
	v_mul_u32_u24_e32 v4, 5, v2
	v_lshlrev_b32_e32 v22, 2, v4
	ds_write2_b32 v22, v6, v6 offset0:16 offset1:17
	ds_write2_b32 v22, v6, v6 offset0:18 offset1:19
	ds_write_b32 v22, v6 offset:80
	global_load_dwordx2 v[4:5], v[20:21], off offset:512
	global_load_dwordx2 v[18:19], v[20:21], off offset:1024
	;; [unrolled: 1-line block ×7, first 2 shown]
	v_bfe_u32 v1, v0, 10, 10
	v_bfe_u32 v0, v0, 20, 10
	v_mad_u32_u24 v23, v0, s3, v1
	s_lshl_b32 s0, -1, s17
	s_not_b32 s17, s0
	s_waitcnt lgkmcnt(0)
	s_barrier
	s_waitcnt lgkmcnt(0)
	; wave barrier
	s_waitcnt vmcnt(8)
	v_xor_b32_e32 v1, 0x7fffffff, v25
	v_not_b32_e32 v0, v24
	v_lshrrev_b64 v[20:21], s16, v[0:1]
	v_and_b32_e32 v24, s17, v20
	s_waitcnt vmcnt(7)
	v_mad_u64_u32 v[20:21], s[0:1], v23, v7, v[2:3]
	v_and_b32_e32 v23, 1, v24
	v_lshrrev_b32_e32 v25, 6, v20
	v_add_co_u32_e32 v20, vcc, -1, v23
	v_lshlrev_b32_e32 v7, 30, v24
	v_addc_co_u32_e64 v26, s[0:1], 0, -1, vcc
	v_lshl_add_u32 v21, v24, 4, v24
	v_cmp_ne_u32_e32 vcc, 0, v23
	v_cmp_gt_i64_e64 s[0:1], 0, v[6:7]
	v_not_b32_e32 v27, v7
	v_lshlrev_b32_e32 v7, 29, v24
	v_add_lshl_u32 v23, v25, v21, 2
	v_xor_b32_e32 v21, vcc_hi, v26
	v_xor_b32_e32 v20, vcc_lo, v20
	v_ashrrev_i32_e32 v26, 31, v27
	v_cmp_gt_i64_e32 vcc, 0, v[6:7]
	v_not_b32_e32 v27, v7
	v_lshlrev_b32_e32 v7, 28, v24
	v_and_b32_e32 v21, exec_hi, v21
	v_and_b32_e32 v20, exec_lo, v20
	v_xor_b32_e32 v28, s1, v26
	v_xor_b32_e32 v26, s0, v26
	v_ashrrev_i32_e32 v27, 31, v27
	v_cmp_gt_i64_e64 s[0:1], 0, v[6:7]
	v_not_b32_e32 v29, v7
	v_lshlrev_b32_e32 v7, 27, v24
	v_and_b32_e32 v21, v21, v28
	v_and_b32_e32 v20, v20, v26
	v_xor_b32_e32 v26, vcc_hi, v27
	v_xor_b32_e32 v27, vcc_lo, v27
	v_ashrrev_i32_e32 v28, 31, v29
	v_cmp_gt_i64_e32 vcc, 0, v[6:7]
	v_not_b32_e32 v7, v7
	v_and_b32_e32 v21, v21, v26
	v_and_b32_e32 v20, v20, v27
	v_xor_b32_e32 v26, s1, v28
	v_xor_b32_e32 v27, s0, v28
	v_ashrrev_i32_e32 v7, 31, v7
	v_and_b32_e32 v21, v21, v26
	v_and_b32_e32 v20, v20, v27
	v_xor_b32_e32 v26, vcc_hi, v7
	v_xor_b32_e32 v7, vcc_lo, v7
	v_and_b32_e32 v20, v20, v7
	v_lshlrev_b32_e32 v7, 26, v24
	v_cmp_gt_i64_e32 vcc, 0, v[6:7]
	v_not_b32_e32 v7, v7
	v_ashrrev_i32_e32 v7, 31, v7
	v_and_b32_e32 v21, v21, v26
	v_xor_b32_e32 v26, vcc_hi, v7
	v_xor_b32_e32 v7, vcc_lo, v7
	v_and_b32_e32 v20, v20, v7
	v_lshlrev_b32_e32 v7, 25, v24
	v_cmp_gt_i64_e32 vcc, 0, v[6:7]
	v_not_b32_e32 v7, v7
	v_ashrrev_i32_e32 v7, 31, v7
	;; [unrolled: 8-line block ×3, first 2 shown]
	v_xor_b32_e32 v24, vcc_hi, v7
	v_xor_b32_e32 v7, vcc_lo, v7
	v_and_b32_e32 v21, v21, v26
	v_and_b32_e32 v20, v20, v7
	;; [unrolled: 1-line block ×3, first 2 shown]
	v_mbcnt_lo_u32_b32 v7, v20, 0
	v_mbcnt_hi_u32_b32 v26, v21, v7
	v_cmp_eq_u32_e32 vcc, 0, v26
	v_cmp_ne_u64_e64 s[0:1], 0, v[20:21]
	s_and_b64 s[2:3], s[0:1], vcc
	s_and_saveexec_b64 s[0:1], s[2:3]
	s_cbranch_execz .LBB2211_65
; %bb.64:
	v_bcnt_u32_b32 v7, v20, 0
	v_bcnt_u32_b32 v7, v21, v7
	ds_write_b32 v23, v7 offset:64
.LBB2211_65:
	s_or_b64 exec, exec, s[0:1]
	s_waitcnt vmcnt(6)
	v_xor_b32_e32 v5, 0x7fffffff, v5
	v_not_b32_e32 v4, v4
	v_lshrrev_b64 v[20:21], s16, v[4:5]
	v_and_b32_e32 v20, s17, v20
	v_lshl_add_u32 v7, v20, 4, v20
	v_add_lshl_u32 v24, v25, v7, 2
	v_and_b32_e32 v7, 1, v20
	v_add_co_u32_e32 v21, vcc, -1, v7
	v_addc_co_u32_e64 v28, s[0:1], 0, -1, vcc
	v_cmp_ne_u32_e32 vcc, 0, v7
	v_xor_b32_e32 v7, vcc_hi, v28
	v_and_b32_e32 v28, exec_hi, v7
	v_lshlrev_b32_e32 v7, 30, v20
	v_xor_b32_e32 v21, vcc_lo, v21
	v_cmp_gt_i64_e32 vcc, 0, v[6:7]
	v_not_b32_e32 v7, v7
	v_ashrrev_i32_e32 v7, 31, v7
	v_and_b32_e32 v21, exec_lo, v21
	v_xor_b32_e32 v29, vcc_hi, v7
	v_xor_b32_e32 v7, vcc_lo, v7
	v_and_b32_e32 v21, v21, v7
	v_lshlrev_b32_e32 v7, 29, v20
	v_cmp_gt_i64_e32 vcc, 0, v[6:7]
	v_not_b32_e32 v7, v7
	v_ashrrev_i32_e32 v7, 31, v7
	v_and_b32_e32 v28, v28, v29
	v_xor_b32_e32 v29, vcc_hi, v7
	v_xor_b32_e32 v7, vcc_lo, v7
	v_and_b32_e32 v21, v21, v7
	v_lshlrev_b32_e32 v7, 28, v20
	v_cmp_gt_i64_e32 vcc, 0, v[6:7]
	v_not_b32_e32 v7, v7
	v_ashrrev_i32_e32 v7, 31, v7
	v_and_b32_e32 v28, v28, v29
	;; [unrolled: 8-line block ×5, first 2 shown]
	v_xor_b32_e32 v29, vcc_hi, v7
	v_xor_b32_e32 v7, vcc_lo, v7
	v_and_b32_e32 v21, v21, v7
	v_lshlrev_b32_e32 v7, 24, v20
	v_cmp_gt_i64_e32 vcc, 0, v[6:7]
	v_not_b32_e32 v6, v7
	v_ashrrev_i32_e32 v6, 31, v6
	v_xor_b32_e32 v7, vcc_hi, v6
	v_xor_b32_e32 v6, vcc_lo, v6
	; wave barrier
	ds_read_b32 v27, v24 offset:64
	v_and_b32_e32 v28, v28, v29
	v_and_b32_e32 v6, v21, v6
	;; [unrolled: 1-line block ×3, first 2 shown]
	v_mbcnt_lo_u32_b32 v20, v6, 0
	v_mbcnt_hi_u32_b32 v28, v7, v20
	v_cmp_eq_u32_e32 vcc, 0, v28
	v_cmp_ne_u64_e64 s[0:1], 0, v[6:7]
	s_and_b64 s[2:3], s[0:1], vcc
	; wave barrier
	s_and_saveexec_b64 s[0:1], s[2:3]
	s_cbranch_execz .LBB2211_67
; %bb.66:
	v_bcnt_u32_b32 v6, v6, 0
	v_bcnt_u32_b32 v6, v7, v6
	s_waitcnt lgkmcnt(0)
	v_add_u32_e32 v6, v27, v6
	ds_write_b32 v24, v6 offset:64
.LBB2211_67:
	s_or_b64 exec, exec, s[0:1]
	s_waitcnt vmcnt(5)
	v_xor_b32_e32 v7, 0x7fffffff, v19
	v_not_b32_e32 v6, v18
	v_lshrrev_b64 v[18:19], s16, v[6:7]
	v_and_b32_e32 v20, s17, v18
	v_and_b32_e32 v19, 1, v20
	v_add_co_u32_e32 v21, vcc, -1, v19
	v_addc_co_u32_e64 v30, s[0:1], 0, -1, vcc
	v_cmp_ne_u32_e32 vcc, 0, v19
	v_lshl_add_u32 v18, v20, 4, v20
	v_xor_b32_e32 v19, vcc_hi, v30
	v_add_lshl_u32 v33, v25, v18, 2
	v_mov_b32_e32 v18, 0
	v_and_b32_e32 v30, exec_hi, v19
	v_lshlrev_b32_e32 v19, 30, v20
	v_xor_b32_e32 v21, vcc_lo, v21
	v_cmp_gt_i64_e32 vcc, 0, v[18:19]
	v_not_b32_e32 v19, v19
	v_ashrrev_i32_e32 v19, 31, v19
	v_and_b32_e32 v21, exec_lo, v21
	v_xor_b32_e32 v31, vcc_hi, v19
	v_xor_b32_e32 v19, vcc_lo, v19
	v_and_b32_e32 v21, v21, v19
	v_lshlrev_b32_e32 v19, 29, v20
	v_cmp_gt_i64_e32 vcc, 0, v[18:19]
	v_not_b32_e32 v19, v19
	v_ashrrev_i32_e32 v19, 31, v19
	v_and_b32_e32 v30, v30, v31
	v_xor_b32_e32 v31, vcc_hi, v19
	v_xor_b32_e32 v19, vcc_lo, v19
	v_and_b32_e32 v21, v21, v19
	v_lshlrev_b32_e32 v19, 28, v20
	v_cmp_gt_i64_e32 vcc, 0, v[18:19]
	v_not_b32_e32 v19, v19
	v_ashrrev_i32_e32 v19, 31, v19
	v_and_b32_e32 v30, v30, v31
	;; [unrolled: 8-line block ×5, first 2 shown]
	v_xor_b32_e32 v31, vcc_hi, v19
	v_xor_b32_e32 v19, vcc_lo, v19
	v_and_b32_e32 v30, v30, v31
	v_and_b32_e32 v31, v21, v19
	v_lshlrev_b32_e32 v19, 24, v20
	v_cmp_gt_i64_e32 vcc, 0, v[18:19]
	v_not_b32_e32 v19, v19
	v_ashrrev_i32_e32 v19, 31, v19
	v_xor_b32_e32 v20, vcc_hi, v19
	v_xor_b32_e32 v19, vcc_lo, v19
	; wave barrier
	ds_read_b32 v29, v33 offset:64
	v_and_b32_e32 v21, v30, v20
	v_and_b32_e32 v20, v31, v19
	v_mbcnt_lo_u32_b32 v19, v20, 0
	v_mbcnt_hi_u32_b32 v30, v21, v19
	v_cmp_eq_u32_e32 vcc, 0, v30
	v_cmp_ne_u64_e64 s[0:1], 0, v[20:21]
	s_and_b64 s[2:3], s[0:1], vcc
	; wave barrier
	s_and_saveexec_b64 s[0:1], s[2:3]
	s_cbranch_execz .LBB2211_69
; %bb.68:
	v_bcnt_u32_b32 v19, v20, 0
	v_bcnt_u32_b32 v19, v21, v19
	s_waitcnt lgkmcnt(0)
	v_add_u32_e32 v19, v29, v19
	ds_write_b32 v33, v19 offset:64
.LBB2211_69:
	s_or_b64 exec, exec, s[0:1]
	s_waitcnt vmcnt(4)
	v_xor_b32_e32 v9, 0x7fffffff, v9
	v_not_b32_e32 v8, v8
	v_lshrrev_b64 v[20:21], s16, v[8:9]
	v_and_b32_e32 v20, s17, v20
	v_lshl_add_u32 v19, v20, 4, v20
	v_add_lshl_u32 v36, v25, v19, 2
	v_and_b32_e32 v19, 1, v20
	v_add_co_u32_e32 v21, vcc, -1, v19
	v_addc_co_u32_e64 v32, s[0:1], 0, -1, vcc
	v_cmp_ne_u32_e32 vcc, 0, v19
	v_xor_b32_e32 v19, vcc_hi, v32
	v_and_b32_e32 v32, exec_hi, v19
	v_lshlrev_b32_e32 v19, 30, v20
	v_xor_b32_e32 v21, vcc_lo, v21
	v_cmp_gt_i64_e32 vcc, 0, v[18:19]
	v_not_b32_e32 v19, v19
	v_ashrrev_i32_e32 v19, 31, v19
	v_and_b32_e32 v21, exec_lo, v21
	v_xor_b32_e32 v34, vcc_hi, v19
	v_xor_b32_e32 v19, vcc_lo, v19
	v_and_b32_e32 v21, v21, v19
	v_lshlrev_b32_e32 v19, 29, v20
	v_cmp_gt_i64_e32 vcc, 0, v[18:19]
	v_not_b32_e32 v19, v19
	v_ashrrev_i32_e32 v19, 31, v19
	v_and_b32_e32 v32, v32, v34
	v_xor_b32_e32 v34, vcc_hi, v19
	v_xor_b32_e32 v19, vcc_lo, v19
	v_and_b32_e32 v21, v21, v19
	v_lshlrev_b32_e32 v19, 28, v20
	v_cmp_gt_i64_e32 vcc, 0, v[18:19]
	v_not_b32_e32 v19, v19
	v_ashrrev_i32_e32 v19, 31, v19
	v_and_b32_e32 v32, v32, v34
	;; [unrolled: 8-line block ×5, first 2 shown]
	v_xor_b32_e32 v34, vcc_hi, v19
	v_xor_b32_e32 v19, vcc_lo, v19
	v_and_b32_e32 v21, v21, v19
	v_lshlrev_b32_e32 v19, 24, v20
	v_cmp_gt_i64_e32 vcc, 0, v[18:19]
	v_not_b32_e32 v18, v19
	v_ashrrev_i32_e32 v18, 31, v18
	v_xor_b32_e32 v19, vcc_hi, v18
	v_xor_b32_e32 v18, vcc_lo, v18
	; wave barrier
	ds_read_b32 v31, v36 offset:64
	v_and_b32_e32 v32, v32, v34
	v_and_b32_e32 v18, v21, v18
	;; [unrolled: 1-line block ×3, first 2 shown]
	v_mbcnt_lo_u32_b32 v20, v18, 0
	v_mbcnt_hi_u32_b32 v32, v19, v20
	v_cmp_eq_u32_e32 vcc, 0, v32
	v_cmp_ne_u64_e64 s[0:1], 0, v[18:19]
	s_and_b64 s[2:3], s[0:1], vcc
	; wave barrier
	s_and_saveexec_b64 s[0:1], s[2:3]
	s_cbranch_execz .LBB2211_71
; %bb.70:
	v_bcnt_u32_b32 v18, v18, 0
	v_bcnt_u32_b32 v18, v19, v18
	s_waitcnt lgkmcnt(0)
	v_add_u32_e32 v18, v31, v18
	ds_write_b32 v36, v18 offset:64
.LBB2211_71:
	s_or_b64 exec, exec, s[0:1]
	s_waitcnt vmcnt(3)
	v_xor_b32_e32 v11, 0x7fffffff, v11
	v_not_b32_e32 v10, v10
	v_lshrrev_b64 v[18:19], s16, v[10:11]
	v_and_b32_e32 v20, s17, v18
	v_and_b32_e32 v19, 1, v20
	v_add_co_u32_e32 v21, vcc, -1, v19
	v_addc_co_u32_e64 v35, s[0:1], 0, -1, vcc
	v_cmp_ne_u32_e32 vcc, 0, v19
	v_lshl_add_u32 v18, v20, 4, v20
	v_xor_b32_e32 v19, vcc_hi, v35
	v_add_lshl_u32 v38, v25, v18, 2
	v_mov_b32_e32 v18, 0
	v_and_b32_e32 v35, exec_hi, v19
	v_lshlrev_b32_e32 v19, 30, v20
	v_xor_b32_e32 v21, vcc_lo, v21
	v_cmp_gt_i64_e32 vcc, 0, v[18:19]
	v_not_b32_e32 v19, v19
	v_ashrrev_i32_e32 v19, 31, v19
	v_and_b32_e32 v21, exec_lo, v21
	v_xor_b32_e32 v37, vcc_hi, v19
	v_xor_b32_e32 v19, vcc_lo, v19
	v_and_b32_e32 v21, v21, v19
	v_lshlrev_b32_e32 v19, 29, v20
	v_cmp_gt_i64_e32 vcc, 0, v[18:19]
	v_not_b32_e32 v19, v19
	v_ashrrev_i32_e32 v19, 31, v19
	v_and_b32_e32 v35, v35, v37
	v_xor_b32_e32 v37, vcc_hi, v19
	v_xor_b32_e32 v19, vcc_lo, v19
	v_and_b32_e32 v21, v21, v19
	v_lshlrev_b32_e32 v19, 28, v20
	v_cmp_gt_i64_e32 vcc, 0, v[18:19]
	v_not_b32_e32 v19, v19
	v_ashrrev_i32_e32 v19, 31, v19
	v_and_b32_e32 v35, v35, v37
	v_xor_b32_e32 v37, vcc_hi, v19
	v_xor_b32_e32 v19, vcc_lo, v19
	v_and_b32_e32 v21, v21, v19
	v_lshlrev_b32_e32 v19, 27, v20
	v_cmp_gt_i64_e32 vcc, 0, v[18:19]
	v_not_b32_e32 v19, v19
	v_ashrrev_i32_e32 v19, 31, v19
	v_and_b32_e32 v35, v35, v37
	v_xor_b32_e32 v37, vcc_hi, v19
	v_xor_b32_e32 v19, vcc_lo, v19
	v_and_b32_e32 v21, v21, v19
	v_lshlrev_b32_e32 v19, 26, v20
	v_cmp_gt_i64_e32 vcc, 0, v[18:19]
	v_not_b32_e32 v19, v19
	v_ashrrev_i32_e32 v19, 31, v19
	v_and_b32_e32 v35, v35, v37
	v_xor_b32_e32 v37, vcc_hi, v19
	v_xor_b32_e32 v19, vcc_lo, v19
	v_and_b32_e32 v21, v21, v19
	v_lshlrev_b32_e32 v19, 25, v20
	v_cmp_gt_i64_e32 vcc, 0, v[18:19]
	v_not_b32_e32 v19, v19
	v_ashrrev_i32_e32 v19, 31, v19
	v_and_b32_e32 v35, v35, v37
	v_xor_b32_e32 v37, vcc_hi, v19
	v_xor_b32_e32 v19, vcc_lo, v19
	v_and_b32_e32 v35, v35, v37
	v_and_b32_e32 v37, v21, v19
	v_lshlrev_b32_e32 v19, 24, v20
	v_cmp_gt_i64_e32 vcc, 0, v[18:19]
	v_not_b32_e32 v19, v19
	v_ashrrev_i32_e32 v19, 31, v19
	v_xor_b32_e32 v20, vcc_hi, v19
	v_xor_b32_e32 v19, vcc_lo, v19
	; wave barrier
	ds_read_b32 v34, v38 offset:64
	v_and_b32_e32 v21, v35, v20
	v_and_b32_e32 v20, v37, v19
	v_mbcnt_lo_u32_b32 v19, v20, 0
	v_mbcnt_hi_u32_b32 v35, v21, v19
	v_cmp_eq_u32_e32 vcc, 0, v35
	v_cmp_ne_u64_e64 s[0:1], 0, v[20:21]
	s_and_b64 s[2:3], s[0:1], vcc
	; wave barrier
	s_and_saveexec_b64 s[0:1], s[2:3]
	s_cbranch_execz .LBB2211_73
; %bb.72:
	v_bcnt_u32_b32 v19, v20, 0
	v_bcnt_u32_b32 v19, v21, v19
	s_waitcnt lgkmcnt(0)
	v_add_u32_e32 v19, v34, v19
	ds_write_b32 v38, v19 offset:64
.LBB2211_73:
	s_or_b64 exec, exec, s[0:1]
	s_waitcnt vmcnt(2)
	v_xor_b32_e32 v15, 0x7fffffff, v15
	v_not_b32_e32 v14, v14
	v_lshrrev_b64 v[20:21], s16, v[14:15]
	v_and_b32_e32 v20, s17, v20
	v_lshl_add_u32 v19, v20, 4, v20
	v_add_lshl_u32 v42, v25, v19, 2
	v_and_b32_e32 v19, 1, v20
	v_add_co_u32_e32 v21, vcc, -1, v19
	v_addc_co_u32_e64 v39, s[0:1], 0, -1, vcc
	v_cmp_ne_u32_e32 vcc, 0, v19
	v_xor_b32_e32 v19, vcc_hi, v39
	v_and_b32_e32 v39, exec_hi, v19
	v_lshlrev_b32_e32 v19, 30, v20
	v_xor_b32_e32 v21, vcc_lo, v21
	v_cmp_gt_i64_e32 vcc, 0, v[18:19]
	v_not_b32_e32 v19, v19
	v_ashrrev_i32_e32 v19, 31, v19
	v_and_b32_e32 v21, exec_lo, v21
	v_xor_b32_e32 v40, vcc_hi, v19
	v_xor_b32_e32 v19, vcc_lo, v19
	v_and_b32_e32 v21, v21, v19
	v_lshlrev_b32_e32 v19, 29, v20
	v_cmp_gt_i64_e32 vcc, 0, v[18:19]
	v_not_b32_e32 v19, v19
	v_ashrrev_i32_e32 v19, 31, v19
	v_and_b32_e32 v39, v39, v40
	v_xor_b32_e32 v40, vcc_hi, v19
	v_xor_b32_e32 v19, vcc_lo, v19
	v_and_b32_e32 v21, v21, v19
	v_lshlrev_b32_e32 v19, 28, v20
	v_cmp_gt_i64_e32 vcc, 0, v[18:19]
	v_not_b32_e32 v19, v19
	v_ashrrev_i32_e32 v19, 31, v19
	v_and_b32_e32 v39, v39, v40
	v_xor_b32_e32 v40, vcc_hi, v19
	v_xor_b32_e32 v19, vcc_lo, v19
	v_and_b32_e32 v21, v21, v19
	v_lshlrev_b32_e32 v19, 27, v20
	v_cmp_gt_i64_e32 vcc, 0, v[18:19]
	v_not_b32_e32 v19, v19
	v_ashrrev_i32_e32 v19, 31, v19
	v_and_b32_e32 v39, v39, v40
	v_xor_b32_e32 v40, vcc_hi, v19
	v_xor_b32_e32 v19, vcc_lo, v19
	v_and_b32_e32 v21, v21, v19
	v_lshlrev_b32_e32 v19, 26, v20
	v_cmp_gt_i64_e32 vcc, 0, v[18:19]
	v_not_b32_e32 v19, v19
	v_ashrrev_i32_e32 v19, 31, v19
	v_and_b32_e32 v39, v39, v40
	v_xor_b32_e32 v40, vcc_hi, v19
	v_xor_b32_e32 v19, vcc_lo, v19
	v_and_b32_e32 v21, v21, v19
	v_lshlrev_b32_e32 v19, 25, v20
	v_cmp_gt_i64_e32 vcc, 0, v[18:19]
	v_not_b32_e32 v19, v19
	v_ashrrev_i32_e32 v19, 31, v19
	v_and_b32_e32 v39, v39, v40
	v_xor_b32_e32 v40, vcc_hi, v19
	v_xor_b32_e32 v19, vcc_lo, v19
	v_and_b32_e32 v21, v21, v19
	v_lshlrev_b32_e32 v19, 24, v20
	v_cmp_gt_i64_e32 vcc, 0, v[18:19]
	v_not_b32_e32 v18, v19
	v_ashrrev_i32_e32 v18, 31, v18
	v_xor_b32_e32 v19, vcc_hi, v18
	v_xor_b32_e32 v18, vcc_lo, v18
	; wave barrier
	ds_read_b32 v37, v42 offset:64
	v_and_b32_e32 v39, v39, v40
	v_and_b32_e32 v18, v21, v18
	v_and_b32_e32 v19, v39, v19
	v_mbcnt_lo_u32_b32 v20, v18, 0
	v_mbcnt_hi_u32_b32 v39, v19, v20
	v_cmp_eq_u32_e32 vcc, 0, v39
	v_cmp_ne_u64_e64 s[0:1], 0, v[18:19]
	s_and_b64 s[2:3], s[0:1], vcc
	; wave barrier
	s_and_saveexec_b64 s[0:1], s[2:3]
	s_cbranch_execz .LBB2211_75
; %bb.74:
	v_bcnt_u32_b32 v18, v18, 0
	v_bcnt_u32_b32 v18, v19, v18
	s_waitcnt lgkmcnt(0)
	v_add_u32_e32 v18, v37, v18
	ds_write_b32 v42, v18 offset:64
.LBB2211_75:
	s_or_b64 exec, exec, s[0:1]
	s_waitcnt vmcnt(1)
	v_xor_b32_e32 v17, 0x7fffffff, v17
	v_not_b32_e32 v16, v16
	v_lshrrev_b64 v[18:19], s16, v[16:17]
	v_and_b32_e32 v20, s17, v18
	v_and_b32_e32 v19, 1, v20
	v_add_co_u32_e32 v21, vcc, -1, v19
	v_addc_co_u32_e64 v41, s[0:1], 0, -1, vcc
	v_cmp_ne_u32_e32 vcc, 0, v19
	v_lshl_add_u32 v18, v20, 4, v20
	v_xor_b32_e32 v19, vcc_hi, v41
	v_add_lshl_u32 v44, v25, v18, 2
	v_mov_b32_e32 v18, 0
	v_and_b32_e32 v41, exec_hi, v19
	v_lshlrev_b32_e32 v19, 30, v20
	v_xor_b32_e32 v21, vcc_lo, v21
	v_cmp_gt_i64_e32 vcc, 0, v[18:19]
	v_not_b32_e32 v19, v19
	v_ashrrev_i32_e32 v19, 31, v19
	v_and_b32_e32 v21, exec_lo, v21
	v_xor_b32_e32 v43, vcc_hi, v19
	v_xor_b32_e32 v19, vcc_lo, v19
	v_and_b32_e32 v21, v21, v19
	v_lshlrev_b32_e32 v19, 29, v20
	v_cmp_gt_i64_e32 vcc, 0, v[18:19]
	v_not_b32_e32 v19, v19
	v_ashrrev_i32_e32 v19, 31, v19
	v_and_b32_e32 v41, v41, v43
	v_xor_b32_e32 v43, vcc_hi, v19
	v_xor_b32_e32 v19, vcc_lo, v19
	v_and_b32_e32 v21, v21, v19
	v_lshlrev_b32_e32 v19, 28, v20
	v_cmp_gt_i64_e32 vcc, 0, v[18:19]
	v_not_b32_e32 v19, v19
	v_ashrrev_i32_e32 v19, 31, v19
	v_and_b32_e32 v41, v41, v43
	v_xor_b32_e32 v43, vcc_hi, v19
	v_xor_b32_e32 v19, vcc_lo, v19
	v_and_b32_e32 v21, v21, v19
	v_lshlrev_b32_e32 v19, 27, v20
	v_cmp_gt_i64_e32 vcc, 0, v[18:19]
	v_not_b32_e32 v19, v19
	v_ashrrev_i32_e32 v19, 31, v19
	v_and_b32_e32 v41, v41, v43
	v_xor_b32_e32 v43, vcc_hi, v19
	v_xor_b32_e32 v19, vcc_lo, v19
	v_and_b32_e32 v21, v21, v19
	v_lshlrev_b32_e32 v19, 26, v20
	v_cmp_gt_i64_e32 vcc, 0, v[18:19]
	v_not_b32_e32 v19, v19
	v_ashrrev_i32_e32 v19, 31, v19
	v_and_b32_e32 v41, v41, v43
	v_xor_b32_e32 v43, vcc_hi, v19
	v_xor_b32_e32 v19, vcc_lo, v19
	v_and_b32_e32 v21, v21, v19
	v_lshlrev_b32_e32 v19, 25, v20
	v_cmp_gt_i64_e32 vcc, 0, v[18:19]
	v_not_b32_e32 v19, v19
	v_ashrrev_i32_e32 v19, 31, v19
	v_and_b32_e32 v41, v41, v43
	v_xor_b32_e32 v43, vcc_hi, v19
	v_xor_b32_e32 v19, vcc_lo, v19
	v_and_b32_e32 v41, v41, v43
	v_and_b32_e32 v43, v21, v19
	v_lshlrev_b32_e32 v19, 24, v20
	v_cmp_gt_i64_e32 vcc, 0, v[18:19]
	v_not_b32_e32 v19, v19
	v_ashrrev_i32_e32 v19, 31, v19
	v_xor_b32_e32 v20, vcc_hi, v19
	v_xor_b32_e32 v19, vcc_lo, v19
	; wave barrier
	ds_read_b32 v40, v44 offset:64
	v_and_b32_e32 v21, v41, v20
	v_and_b32_e32 v20, v43, v19
	v_mbcnt_lo_u32_b32 v19, v20, 0
	v_mbcnt_hi_u32_b32 v41, v21, v19
	v_cmp_eq_u32_e32 vcc, 0, v41
	v_cmp_ne_u64_e64 s[0:1], 0, v[20:21]
	s_and_b64 s[2:3], s[0:1], vcc
	; wave barrier
	s_and_saveexec_b64 s[0:1], s[2:3]
	s_cbranch_execz .LBB2211_77
; %bb.76:
	v_bcnt_u32_b32 v19, v20, 0
	v_bcnt_u32_b32 v19, v21, v19
	s_waitcnt lgkmcnt(0)
	v_add_u32_e32 v19, v40, v19
	ds_write_b32 v44, v19 offset:64
.LBB2211_77:
	s_or_b64 exec, exec, s[0:1]
	s_waitcnt vmcnt(0)
	v_xor_b32_e32 v13, 0x7fffffff, v13
	v_not_b32_e32 v12, v12
	v_lshrrev_b64 v[20:21], s16, v[12:13]
	v_and_b32_e32 v20, s17, v20
	v_lshl_add_u32 v19, v20, 4, v20
	v_add_lshl_u32 v25, v25, v19, 2
	v_and_b32_e32 v19, 1, v20
	v_add_co_u32_e32 v21, vcc, -1, v19
	v_addc_co_u32_e64 v45, s[0:1], 0, -1, vcc
	v_cmp_ne_u32_e32 vcc, 0, v19
	v_xor_b32_e32 v19, vcc_hi, v45
	v_and_b32_e32 v45, exec_hi, v19
	v_lshlrev_b32_e32 v19, 30, v20
	v_xor_b32_e32 v21, vcc_lo, v21
	v_cmp_gt_i64_e32 vcc, 0, v[18:19]
	v_not_b32_e32 v19, v19
	v_ashrrev_i32_e32 v19, 31, v19
	v_and_b32_e32 v21, exec_lo, v21
	v_xor_b32_e32 v47, vcc_hi, v19
	v_xor_b32_e32 v19, vcc_lo, v19
	v_and_b32_e32 v21, v21, v19
	v_lshlrev_b32_e32 v19, 29, v20
	v_cmp_gt_i64_e32 vcc, 0, v[18:19]
	v_not_b32_e32 v19, v19
	v_ashrrev_i32_e32 v19, 31, v19
	v_and_b32_e32 v45, v45, v47
	v_xor_b32_e32 v47, vcc_hi, v19
	v_xor_b32_e32 v19, vcc_lo, v19
	v_and_b32_e32 v21, v21, v19
	v_lshlrev_b32_e32 v19, 28, v20
	v_cmp_gt_i64_e32 vcc, 0, v[18:19]
	v_not_b32_e32 v19, v19
	v_ashrrev_i32_e32 v19, 31, v19
	v_and_b32_e32 v45, v45, v47
	;; [unrolled: 8-line block ×5, first 2 shown]
	v_xor_b32_e32 v47, vcc_hi, v19
	v_xor_b32_e32 v19, vcc_lo, v19
	v_and_b32_e32 v21, v21, v19
	v_lshlrev_b32_e32 v19, 24, v20
	v_cmp_gt_i64_e32 vcc, 0, v[18:19]
	v_not_b32_e32 v18, v19
	v_ashrrev_i32_e32 v18, 31, v18
	v_xor_b32_e32 v19, vcc_hi, v18
	v_xor_b32_e32 v18, vcc_lo, v18
	; wave barrier
	ds_read_b32 v43, v25 offset:64
	v_and_b32_e32 v45, v45, v47
	v_and_b32_e32 v18, v21, v18
	;; [unrolled: 1-line block ×3, first 2 shown]
	v_mbcnt_lo_u32_b32 v20, v18, 0
	v_mbcnt_hi_u32_b32 v45, v19, v20
	v_cmp_eq_u32_e32 vcc, 0, v45
	v_cmp_ne_u64_e64 s[0:1], 0, v[18:19]
	v_add_u32_e32 v46, 64, v22
	s_and_b64 s[2:3], s[0:1], vcc
	; wave barrier
	s_and_saveexec_b64 s[0:1], s[2:3]
	s_cbranch_execz .LBB2211_79
; %bb.78:
	v_bcnt_u32_b32 v18, v18, 0
	v_bcnt_u32_b32 v18, v19, v18
	s_waitcnt lgkmcnt(0)
	v_add_u32_e32 v18, v43, v18
	ds_write_b32 v25, v18 offset:64
.LBB2211_79:
	s_or_b64 exec, exec, s[0:1]
	; wave barrier
	s_waitcnt lgkmcnt(0)
	s_barrier
	ds_read2_b32 v[20:21], v22 offset0:16 offset1:17
	ds_read2_b32 v[18:19], v46 offset0:2 offset1:3
	ds_read_b32 v47, v46 offset:16
	v_cmp_lt_u32_e64 s[8:9], 31, v3
	s_waitcnt lgkmcnt(1)
	v_add3_u32 v48, v21, v20, v18
	s_waitcnt lgkmcnt(0)
	v_add3_u32 v47, v48, v19, v47
	v_and_b32_e32 v48, 15, v3
	v_cmp_eq_u32_e32 vcc, 0, v48
	v_mov_b32_dpp v49, v47 row_shr:1 row_mask:0xf bank_mask:0xf
	v_cndmask_b32_e64 v49, v49, 0, vcc
	v_add_u32_e32 v47, v49, v47
	v_cmp_lt_u32_e64 s[0:1], 1, v48
	v_cmp_lt_u32_e64 s[2:3], 3, v48
	v_mov_b32_dpp v49, v47 row_shr:2 row_mask:0xf bank_mask:0xf
	v_cndmask_b32_e64 v49, 0, v49, s[0:1]
	v_add_u32_e32 v47, v47, v49
	v_cmp_lt_u32_e64 s[4:5], 7, v48
	s_nop 0
	v_mov_b32_dpp v49, v47 row_shr:4 row_mask:0xf bank_mask:0xf
	v_cndmask_b32_e64 v49, 0, v49, s[2:3]
	v_add_u32_e32 v47, v47, v49
	s_nop 1
	v_mov_b32_dpp v49, v47 row_shr:8 row_mask:0xf bank_mask:0xf
	v_cndmask_b32_e64 v48, 0, v49, s[4:5]
	v_add_u32_e32 v47, v47, v48
	v_bfe_i32 v49, v3, 4, 1
	s_nop 0
	v_mov_b32_dpp v48, v47 row_bcast:15 row_mask:0xf bank_mask:0xf
	v_and_b32_e32 v48, v49, v48
	v_add_u32_e32 v47, v47, v48
	v_and_b32_e32 v49, 63, v2
	s_nop 0
	v_mov_b32_dpp v48, v47 row_bcast:31 row_mask:0xf bank_mask:0xf
	v_cndmask_b32_e64 v48, 0, v48, s[8:9]
	v_add_u32_e32 v47, v47, v48
	v_lshrrev_b32_e32 v48, 6, v2
	v_cmp_eq_u32_e64 s[8:9], 63, v49
	s_and_saveexec_b64 s[10:11], s[8:9]
	s_cbranch_execz .LBB2211_81
; %bb.80:
	v_lshlrev_b32_e32 v49, 2, v48
	ds_write_b32 v49, v47
.LBB2211_81:
	s_or_b64 exec, exec, s[10:11]
	v_cmp_gt_u32_e64 s[8:9], 16, v2
	s_waitcnt lgkmcnt(0)
	s_barrier
	s_and_saveexec_b64 s[10:11], s[8:9]
	s_cbranch_execz .LBB2211_83
; %bb.82:
	v_lshlrev_b32_e32 v49, 2, v2
	ds_read_b32 v50, v49
	s_waitcnt lgkmcnt(0)
	s_nop 0
	v_mov_b32_dpp v51, v50 row_shr:1 row_mask:0xf bank_mask:0xf
	v_cndmask_b32_e64 v51, v51, 0, vcc
	v_add_u32_e32 v50, v51, v50
	s_nop 1
	v_mov_b32_dpp v51, v50 row_shr:2 row_mask:0xf bank_mask:0xf
	v_cndmask_b32_e64 v51, 0, v51, s[0:1]
	v_add_u32_e32 v50, v50, v51
	s_nop 1
	v_mov_b32_dpp v51, v50 row_shr:4 row_mask:0xf bank_mask:0xf
	v_cndmask_b32_e64 v51, 0, v51, s[2:3]
	;; [unrolled: 4-line block ×3, first 2 shown]
	v_add_u32_e32 v50, v50, v51
	ds_write_b32 v49, v50
.LBB2211_83:
	s_or_b64 exec, exec, s[10:11]
	v_cmp_lt_u32_e32 vcc, 63, v2
	v_mov_b32_e32 v49, 0
	s_waitcnt lgkmcnt(0)
	s_barrier
	s_and_saveexec_b64 s[0:1], vcc
	s_cbranch_execz .LBB2211_85
; %bb.84:
	v_lshl_add_u32 v48, v48, 2, -4
	ds_read_b32 v49, v48
.LBB2211_85:
	s_or_b64 exec, exec, s[0:1]
	v_add_u32_e32 v48, -1, v3
	v_and_b32_e32 v50, 64, v3
	v_cmp_lt_i32_e32 vcc, v48, v50
	v_cndmask_b32_e32 v48, v48, v3, vcc
	s_waitcnt lgkmcnt(0)
	v_add_u32_e32 v47, v49, v47
	v_lshlrev_b32_e32 v48, 2, v48
	ds_bpermute_b32 v47, v48, v47
	v_cmp_eq_u32_e32 vcc, 0, v3
	s_movk_i32 s2, 0xff
	s_movk_i32 s0, 0x100
	v_cmp_gt_u32_e64 s[0:1], s0, v2
	s_waitcnt lgkmcnt(0)
	v_cndmask_b32_e32 v3, v47, v49, vcc
	v_cmp_ne_u32_e32 vcc, 0, v2
	v_cndmask_b32_e32 v3, 0, v3, vcc
	v_add_u32_e32 v20, v3, v20
	v_add_u32_e32 v21, v20, v21
	;; [unrolled: 1-line block ×4, first 2 shown]
	ds_write2_b32 v22, v3, v20 offset0:16 offset1:17
	ds_write2_b32 v46, v21, v18 offset0:2 offset1:3
	ds_write_b32 v46, v19 offset:16
	s_waitcnt lgkmcnt(0)
	s_barrier
	ds_read_b32 v48, v23 offset:64
	ds_read_b32 v46, v24 offset:64
	;; [unrolled: 1-line block ×8, first 2 shown]
	v_cmp_lt_u32_e32 vcc, s2, v2
	v_pk_mov_b32 v[18:19], 0, 0
                                        ; implicit-def: $vgpr38
	s_and_saveexec_b64 s[4:5], s[0:1]
	s_cbranch_execz .LBB2211_89
; %bb.86:
	v_mul_u32_u24_e32 v3, 17, v2
	v_lshlrev_b32_e32 v19, 2, v3
	ds_read_b32 v18, v19 offset:64
	v_cmp_ne_u32_e64 s[2:3], s2, v2
	v_mov_b32_e32 v3, 0x2000
	s_and_saveexec_b64 s[8:9], s[2:3]
	s_cbranch_execz .LBB2211_88
; %bb.87:
	ds_read_b32 v3, v19 offset:132
.LBB2211_88:
	s_or_b64 exec, exec, s[8:9]
	s_waitcnt lgkmcnt(0)
	v_sub_u32_e32 v38, v3, v18
	v_mov_b32_e32 v19, 0
.LBB2211_89:
	s_or_b64 exec, exec, s[4:5]
	s_waitcnt lgkmcnt(0)
	s_barrier
	s_and_saveexec_b64 s[2:3], vcc
	s_xor_b64 s[2:3], exec, s[2:3]
; %bb.90:
	v_mov_b32_e32 v3, 0
; %bb.91:
	s_andn2_saveexec_b64 s[2:3], s[2:3]
	s_cbranch_execz .LBB2211_101
; %bb.92:
	v_lshl_or_b32 v20, s6, 8, v2
	v_mov_b32_e32 v21, 0
	v_lshlrev_b64 v[22:23], 2, v[20:21]
	v_mov_b32_e32 v3, s25
	v_add_co_u32_e32 v22, vcc, s24, v22
	v_addc_co_u32_e32 v23, vcc, v3, v23, vcc
	v_or_b32_e32 v20, 2.0, v38
	s_mov_b64 s[4:5], 0
	s_brev_b32 s18, 1
	s_mov_b32 s19, s6
	v_mov_b32_e32 v50, 0
	global_store_dword v[22:23], v20, off
                                        ; implicit-def: $sgpr8_sgpr9
	s_branch .LBB2211_95
.LBB2211_93:                            ;   in Loop: Header=BB2211_95 Depth=1
	s_or_b64 exec, exec, s[10:11]
.LBB2211_94:                            ;   in Loop: Header=BB2211_95 Depth=1
	s_or_b64 exec, exec, s[8:9]
	v_and_b32_e32 v24, 0x3fffffff, v51
	v_add_u32_e32 v50, v24, v50
	v_cmp_eq_u32_e64 s[8:9], s18, v20
	s_and_b64 s[10:11], exec, s[8:9]
	s_or_b64 s[4:5], s[10:11], s[4:5]
	s_andn2_b64 exec, exec, s[4:5]
	s_cbranch_execz .LBB2211_100
.LBB2211_95:                            ; =>This Loop Header: Depth=1
                                        ;     Child Loop BB2211_98 Depth 2
	s_or_b64 s[8:9], s[8:9], exec
	s_cmp_eq_u32 s19, 0
	s_cbranch_scc1 .LBB2211_99
; %bb.96:                               ;   in Loop: Header=BB2211_95 Depth=1
	s_add_i32 s19, s19, -1
	v_lshl_or_b32 v20, s19, 8, v2
	v_lshlrev_b64 v[24:25], 2, v[20:21]
	v_add_co_u32_e32 v24, vcc, s24, v24
	v_addc_co_u32_e32 v25, vcc, v3, v25, vcc
	global_load_dword v51, v[24:25], off glc
	s_waitcnt vmcnt(0)
	v_and_b32_e32 v20, -2.0, v51
	v_cmp_eq_u32_e32 vcc, 0, v20
	s_and_saveexec_b64 s[8:9], vcc
	s_cbranch_execz .LBB2211_94
; %bb.97:                               ;   in Loop: Header=BB2211_95 Depth=1
	s_mov_b64 s[10:11], 0
.LBB2211_98:                            ;   Parent Loop BB2211_95 Depth=1
                                        ; =>  This Inner Loop Header: Depth=2
	global_load_dword v51, v[24:25], off glc
	s_waitcnt vmcnt(0)
	v_and_b32_e32 v20, -2.0, v51
	v_cmp_ne_u32_e32 vcc, 0, v20
	s_or_b64 s[10:11], vcc, s[10:11]
	s_andn2_b64 exec, exec, s[10:11]
	s_cbranch_execnz .LBB2211_98
	s_branch .LBB2211_93
.LBB2211_99:                            ;   in Loop: Header=BB2211_95 Depth=1
                                        ; implicit-def: $sgpr19
	s_and_b64 s[10:11], exec, s[8:9]
	s_or_b64 s[4:5], s[10:11], s[4:5]
	s_andn2_b64 exec, exec, s[4:5]
	s_cbranch_execnz .LBB2211_95
.LBB2211_100:
	s_or_b64 exec, exec, s[4:5]
	v_add_u32_e32 v3, v50, v38
	v_or_b32_e32 v3, 0x80000000, v3
	global_store_dword v[22:23], v3, off
	v_lshlrev_b32_e32 v22, 3, v2
	global_load_dwordx2 v[20:21], v22, s[12:13]
	v_sub_co_u32_e32 v23, vcc, v50, v18
	v_subb_co_u32_e32 v24, vcc, 0, v19, vcc
	v_mov_b32_e32 v3, 0
	s_waitcnt vmcnt(0)
	v_add_co_u32_e32 v20, vcc, v23, v20
	v_addc_co_u32_e32 v21, vcc, v24, v21, vcc
	ds_write_b64 v22, v[20:21]
.LBB2211_101:
	s_or_b64 exec, exec, s[2:3]
	v_lshlrev_b64 v[20:21], 3, v[2:3]
	v_lshlrev_b32_e32 v23, 3, v2
	v_add3_u32 v27, v28, v46, v27
	v_mov_b32_e32 v28, s23
	v_add_co_u32_e32 v20, vcc, s22, v20
	v_add_u32_e32 v22, v48, v26
	v_add_u32_e32 v24, 0x800, v23
	v_add3_u32 v25, v45, v49, v43
	v_add3_u32 v26, v41, v44, v40
	;; [unrolled: 1-line block ×6, first 2 shown]
	v_addc_co_u32_e32 v21, vcc, v28, v21, vcc
	s_mov_b32 s2, 0
.LBB2211_102:                           ; =>This Inner Loop Header: Depth=1
	v_add_u32_e32 v28, s2, v22
	v_add_u32_e32 v32, s2, v29
	;; [unrolled: 1-line block ×8, first 2 shown]
	v_min_u32_e32 v28, 0x800, v28
	v_min_u32_e32 v32, 0x800, v32
	;; [unrolled: 1-line block ×8, first 2 shown]
	v_lshlrev_b32_e32 v28, 3, v28
	v_lshlrev_b32_e32 v32, 3, v32
	;; [unrolled: 1-line block ×8, first 2 shown]
	ds_write_b64 v28, v[0:1] offset:2048
	ds_write_b64 v30, v[4:5] offset:2048
	;; [unrolled: 1-line block ×8, first 2 shown]
	s_waitcnt lgkmcnt(0)
	s_barrier
	ds_read_b64 v[32:33], v23 offset:2048
	ds_read_b64 v[40:41], v24 offset:8192
	s_addk_i32 s2, 0xf800
	s_cmpk_lg_i32 s2, 0xe000
	s_waitcnt lgkmcnt(1)
	v_lshrrev_b64 v[42:43], s16, v[32:33]
	s_waitcnt lgkmcnt(0)
	v_lshrrev_b64 v[44:45], s16, v[40:41]
	v_and_b32_e32 v28, s17, v42
	v_and_b32_e32 v30, s17, v44
	v_lshlrev_b32_e32 v28, 3, v28
	v_lshlrev_b32_e32 v30, 3, v30
	ds_read_b64 v[42:43], v28
	ds_read_b64 v[44:45], v30
	v_xor_b32_e32 v33, 0x7fffffff, v33
	v_xor_b32_e32 v32, -1, v32
	v_xor_b32_e32 v41, 0x7fffffff, v41
	s_waitcnt lgkmcnt(1)
	v_lshlrev_b64 v[42:43], 3, v[42:43]
	v_add_co_u32_e32 v42, vcc, v20, v42
	s_waitcnt lgkmcnt(0)
	v_lshlrev_b64 v[44:45], 3, v[44:45]
	v_addc_co_u32_e32 v43, vcc, v21, v43, vcc
	v_add_co_u32_e32 v28, vcc, v20, v44
	v_addc_co_u32_e32 v30, vcc, v21, v45, vcc
	global_store_dwordx2 v[42:43], v[32:33], off
	v_add_co_u32_e32 v32, vcc, 0x2000, v28
	v_addc_co_u32_e32 v33, vcc, 0, v30, vcc
	v_add_co_u32_e32 v20, vcc, 0x4000, v20
	v_xor_b32_e32 v40, -1, v40
	v_addc_co_u32_e32 v21, vcc, 0, v21, vcc
	global_store_dwordx2 v[32:33], v[40:41], off
	s_barrier
	s_cbranch_scc1 .LBB2211_102
; %bb.103:
	s_add_i32 s7, s7, -1
	s_cmp_eq_u32 s7, s6
	s_cselect_b64 s[2:3], -1, 0
	s_and_b64 s[0:1], s[0:1], s[2:3]
.LBB2211_104:
	s_and_saveexec_b64 s[2:3], s[0:1]
	s_cbranch_execnz .LBB2211_106
; %bb.105:
	s_endpgm
.LBB2211_106:
	v_lshlrev_b32_e32 v6, 3, v2
	v_lshlrev_b64 v[0:1], 3, v[2:3]
	ds_read_b64 v[2:3], v6
	v_add_co_u32_e32 v4, vcc, v18, v38
	v_addc_co_u32_e32 v5, vcc, 0, v19, vcc
	v_mov_b32_e32 v7, s15
	v_add_co_u32_e32 v0, vcc, s14, v0
	v_addc_co_u32_e32 v1, vcc, v7, v1, vcc
	s_waitcnt lgkmcnt(0)
	v_add_co_u32_e32 v2, vcc, v4, v2
	v_addc_co_u32_e32 v3, vcc, v5, v3, vcc
	global_store_dwordx2 v[0:1], v[2:3], off
	s_endpgm
	.section	.rodata,"a",@progbits
	.p2align	6, 0x0
	.amdhsa_kernel _ZN7rocprim17ROCPRIM_400000_NS6detail17trampoline_kernelINS0_14default_configENS1_35radix_sort_onesweep_config_selectorIlNS0_10empty_typeEEEZZNS1_29radix_sort_onesweep_iterationIS3_Lb1EPlS8_PS5_S9_mNS0_19identity_decomposerENS1_16block_id_wrapperIjLb0EEEEE10hipError_tT1_PNSt15iterator_traitsISE_E10value_typeET2_T3_PNSF_ISK_E10value_typeET4_T5_PSP_SQ_PNS1_23onesweep_lookback_stateEbbT6_jjT7_P12ihipStream_tbENKUlT_T0_SE_SJ_E_clIS8_S8_S9_S9_EEDaSX_SY_SE_SJ_EUlSX_E_NS1_11comp_targetILNS1_3genE4ELNS1_11target_archE910ELNS1_3gpuE8ELNS1_3repE0EEENS1_47radix_sort_onesweep_sort_config_static_selectorELNS0_4arch9wavefront6targetE1EEEvSE_
		.amdhsa_group_segment_fixed_size 20552
		.amdhsa_private_segment_fixed_size 0
		.amdhsa_kernarg_size 344
		.amdhsa_user_sgpr_count 6
		.amdhsa_user_sgpr_private_segment_buffer 1
		.amdhsa_user_sgpr_dispatch_ptr 0
		.amdhsa_user_sgpr_queue_ptr 0
		.amdhsa_user_sgpr_kernarg_segment_ptr 1
		.amdhsa_user_sgpr_dispatch_id 0
		.amdhsa_user_sgpr_flat_scratch_init 0
		.amdhsa_user_sgpr_kernarg_preload_length 0
		.amdhsa_user_sgpr_kernarg_preload_offset 0
		.amdhsa_user_sgpr_private_segment_size 0
		.amdhsa_uses_dynamic_stack 0
		.amdhsa_system_sgpr_private_segment_wavefront_offset 0
		.amdhsa_system_sgpr_workgroup_id_x 1
		.amdhsa_system_sgpr_workgroup_id_y 0
		.amdhsa_system_sgpr_workgroup_id_z 0
		.amdhsa_system_sgpr_workgroup_info 0
		.amdhsa_system_vgpr_workitem_id 2
		.amdhsa_next_free_vgpr 55
		.amdhsa_next_free_sgpr 30
		.amdhsa_accum_offset 56
		.amdhsa_reserve_vcc 1
		.amdhsa_reserve_flat_scratch 0
		.amdhsa_float_round_mode_32 0
		.amdhsa_float_round_mode_16_64 0
		.amdhsa_float_denorm_mode_32 3
		.amdhsa_float_denorm_mode_16_64 3
		.amdhsa_dx10_clamp 1
		.amdhsa_ieee_mode 1
		.amdhsa_fp16_overflow 0
		.amdhsa_tg_split 0
		.amdhsa_exception_fp_ieee_invalid_op 0
		.amdhsa_exception_fp_denorm_src 0
		.amdhsa_exception_fp_ieee_div_zero 0
		.amdhsa_exception_fp_ieee_overflow 0
		.amdhsa_exception_fp_ieee_underflow 0
		.amdhsa_exception_fp_ieee_inexact 0
		.amdhsa_exception_int_div_zero 0
	.end_amdhsa_kernel
	.section	.text._ZN7rocprim17ROCPRIM_400000_NS6detail17trampoline_kernelINS0_14default_configENS1_35radix_sort_onesweep_config_selectorIlNS0_10empty_typeEEEZZNS1_29radix_sort_onesweep_iterationIS3_Lb1EPlS8_PS5_S9_mNS0_19identity_decomposerENS1_16block_id_wrapperIjLb0EEEEE10hipError_tT1_PNSt15iterator_traitsISE_E10value_typeET2_T3_PNSF_ISK_E10value_typeET4_T5_PSP_SQ_PNS1_23onesweep_lookback_stateEbbT6_jjT7_P12ihipStream_tbENKUlT_T0_SE_SJ_E_clIS8_S8_S9_S9_EEDaSX_SY_SE_SJ_EUlSX_E_NS1_11comp_targetILNS1_3genE4ELNS1_11target_archE910ELNS1_3gpuE8ELNS1_3repE0EEENS1_47radix_sort_onesweep_sort_config_static_selectorELNS0_4arch9wavefront6targetE1EEEvSE_,"axG",@progbits,_ZN7rocprim17ROCPRIM_400000_NS6detail17trampoline_kernelINS0_14default_configENS1_35radix_sort_onesweep_config_selectorIlNS0_10empty_typeEEEZZNS1_29radix_sort_onesweep_iterationIS3_Lb1EPlS8_PS5_S9_mNS0_19identity_decomposerENS1_16block_id_wrapperIjLb0EEEEE10hipError_tT1_PNSt15iterator_traitsISE_E10value_typeET2_T3_PNSF_ISK_E10value_typeET4_T5_PSP_SQ_PNS1_23onesweep_lookback_stateEbbT6_jjT7_P12ihipStream_tbENKUlT_T0_SE_SJ_E_clIS8_S8_S9_S9_EEDaSX_SY_SE_SJ_EUlSX_E_NS1_11comp_targetILNS1_3genE4ELNS1_11target_archE910ELNS1_3gpuE8ELNS1_3repE0EEENS1_47radix_sort_onesweep_sort_config_static_selectorELNS0_4arch9wavefront6targetE1EEEvSE_,comdat
.Lfunc_end2211:
	.size	_ZN7rocprim17ROCPRIM_400000_NS6detail17trampoline_kernelINS0_14default_configENS1_35radix_sort_onesweep_config_selectorIlNS0_10empty_typeEEEZZNS1_29radix_sort_onesweep_iterationIS3_Lb1EPlS8_PS5_S9_mNS0_19identity_decomposerENS1_16block_id_wrapperIjLb0EEEEE10hipError_tT1_PNSt15iterator_traitsISE_E10value_typeET2_T3_PNSF_ISK_E10value_typeET4_T5_PSP_SQ_PNS1_23onesweep_lookback_stateEbbT6_jjT7_P12ihipStream_tbENKUlT_T0_SE_SJ_E_clIS8_S8_S9_S9_EEDaSX_SY_SE_SJ_EUlSX_E_NS1_11comp_targetILNS1_3genE4ELNS1_11target_archE910ELNS1_3gpuE8ELNS1_3repE0EEENS1_47radix_sort_onesweep_sort_config_static_selectorELNS0_4arch9wavefront6targetE1EEEvSE_, .Lfunc_end2211-_ZN7rocprim17ROCPRIM_400000_NS6detail17trampoline_kernelINS0_14default_configENS1_35radix_sort_onesweep_config_selectorIlNS0_10empty_typeEEEZZNS1_29radix_sort_onesweep_iterationIS3_Lb1EPlS8_PS5_S9_mNS0_19identity_decomposerENS1_16block_id_wrapperIjLb0EEEEE10hipError_tT1_PNSt15iterator_traitsISE_E10value_typeET2_T3_PNSF_ISK_E10value_typeET4_T5_PSP_SQ_PNS1_23onesweep_lookback_stateEbbT6_jjT7_P12ihipStream_tbENKUlT_T0_SE_SJ_E_clIS8_S8_S9_S9_EEDaSX_SY_SE_SJ_EUlSX_E_NS1_11comp_targetILNS1_3genE4ELNS1_11target_archE910ELNS1_3gpuE8ELNS1_3repE0EEENS1_47radix_sort_onesweep_sort_config_static_selectorELNS0_4arch9wavefront6targetE1EEEvSE_
                                        ; -- End function
	.section	.AMDGPU.csdata,"",@progbits
; Kernel info:
; codeLenInByte = 10444
; NumSgprs: 34
; NumVgprs: 55
; NumAgprs: 0
; TotalNumVgprs: 55
; ScratchSize: 0
; MemoryBound: 0
; FloatMode: 240
; IeeeMode: 1
; LDSByteSize: 20552 bytes/workgroup (compile time only)
; SGPRBlocks: 4
; VGPRBlocks: 6
; NumSGPRsForWavesPerEU: 34
; NumVGPRsForWavesPerEU: 55
; AccumOffset: 56
; Occupancy: 8
; WaveLimiterHint : 1
; COMPUTE_PGM_RSRC2:SCRATCH_EN: 0
; COMPUTE_PGM_RSRC2:USER_SGPR: 6
; COMPUTE_PGM_RSRC2:TRAP_HANDLER: 0
; COMPUTE_PGM_RSRC2:TGID_X_EN: 1
; COMPUTE_PGM_RSRC2:TGID_Y_EN: 0
; COMPUTE_PGM_RSRC2:TGID_Z_EN: 0
; COMPUTE_PGM_RSRC2:TIDIG_COMP_CNT: 2
; COMPUTE_PGM_RSRC3_GFX90A:ACCUM_OFFSET: 13
; COMPUTE_PGM_RSRC3_GFX90A:TG_SPLIT: 0
	.section	.text._ZN7rocprim17ROCPRIM_400000_NS6detail17trampoline_kernelINS0_14default_configENS1_35radix_sort_onesweep_config_selectorIlNS0_10empty_typeEEEZZNS1_29radix_sort_onesweep_iterationIS3_Lb1EPlS8_PS5_S9_mNS0_19identity_decomposerENS1_16block_id_wrapperIjLb0EEEEE10hipError_tT1_PNSt15iterator_traitsISE_E10value_typeET2_T3_PNSF_ISK_E10value_typeET4_T5_PSP_SQ_PNS1_23onesweep_lookback_stateEbbT6_jjT7_P12ihipStream_tbENKUlT_T0_SE_SJ_E_clIS8_S8_S9_S9_EEDaSX_SY_SE_SJ_EUlSX_E_NS1_11comp_targetILNS1_3genE3ELNS1_11target_archE908ELNS1_3gpuE7ELNS1_3repE0EEENS1_47radix_sort_onesweep_sort_config_static_selectorELNS0_4arch9wavefront6targetE1EEEvSE_,"axG",@progbits,_ZN7rocprim17ROCPRIM_400000_NS6detail17trampoline_kernelINS0_14default_configENS1_35radix_sort_onesweep_config_selectorIlNS0_10empty_typeEEEZZNS1_29radix_sort_onesweep_iterationIS3_Lb1EPlS8_PS5_S9_mNS0_19identity_decomposerENS1_16block_id_wrapperIjLb0EEEEE10hipError_tT1_PNSt15iterator_traitsISE_E10value_typeET2_T3_PNSF_ISK_E10value_typeET4_T5_PSP_SQ_PNS1_23onesweep_lookback_stateEbbT6_jjT7_P12ihipStream_tbENKUlT_T0_SE_SJ_E_clIS8_S8_S9_S9_EEDaSX_SY_SE_SJ_EUlSX_E_NS1_11comp_targetILNS1_3genE3ELNS1_11target_archE908ELNS1_3gpuE7ELNS1_3repE0EEENS1_47radix_sort_onesweep_sort_config_static_selectorELNS0_4arch9wavefront6targetE1EEEvSE_,comdat
	.protected	_ZN7rocprim17ROCPRIM_400000_NS6detail17trampoline_kernelINS0_14default_configENS1_35radix_sort_onesweep_config_selectorIlNS0_10empty_typeEEEZZNS1_29radix_sort_onesweep_iterationIS3_Lb1EPlS8_PS5_S9_mNS0_19identity_decomposerENS1_16block_id_wrapperIjLb0EEEEE10hipError_tT1_PNSt15iterator_traitsISE_E10value_typeET2_T3_PNSF_ISK_E10value_typeET4_T5_PSP_SQ_PNS1_23onesweep_lookback_stateEbbT6_jjT7_P12ihipStream_tbENKUlT_T0_SE_SJ_E_clIS8_S8_S9_S9_EEDaSX_SY_SE_SJ_EUlSX_E_NS1_11comp_targetILNS1_3genE3ELNS1_11target_archE908ELNS1_3gpuE7ELNS1_3repE0EEENS1_47radix_sort_onesweep_sort_config_static_selectorELNS0_4arch9wavefront6targetE1EEEvSE_ ; -- Begin function _ZN7rocprim17ROCPRIM_400000_NS6detail17trampoline_kernelINS0_14default_configENS1_35radix_sort_onesweep_config_selectorIlNS0_10empty_typeEEEZZNS1_29radix_sort_onesweep_iterationIS3_Lb1EPlS8_PS5_S9_mNS0_19identity_decomposerENS1_16block_id_wrapperIjLb0EEEEE10hipError_tT1_PNSt15iterator_traitsISE_E10value_typeET2_T3_PNSF_ISK_E10value_typeET4_T5_PSP_SQ_PNS1_23onesweep_lookback_stateEbbT6_jjT7_P12ihipStream_tbENKUlT_T0_SE_SJ_E_clIS8_S8_S9_S9_EEDaSX_SY_SE_SJ_EUlSX_E_NS1_11comp_targetILNS1_3genE3ELNS1_11target_archE908ELNS1_3gpuE7ELNS1_3repE0EEENS1_47radix_sort_onesweep_sort_config_static_selectorELNS0_4arch9wavefront6targetE1EEEvSE_
	.globl	_ZN7rocprim17ROCPRIM_400000_NS6detail17trampoline_kernelINS0_14default_configENS1_35radix_sort_onesweep_config_selectorIlNS0_10empty_typeEEEZZNS1_29radix_sort_onesweep_iterationIS3_Lb1EPlS8_PS5_S9_mNS0_19identity_decomposerENS1_16block_id_wrapperIjLb0EEEEE10hipError_tT1_PNSt15iterator_traitsISE_E10value_typeET2_T3_PNSF_ISK_E10value_typeET4_T5_PSP_SQ_PNS1_23onesweep_lookback_stateEbbT6_jjT7_P12ihipStream_tbENKUlT_T0_SE_SJ_E_clIS8_S8_S9_S9_EEDaSX_SY_SE_SJ_EUlSX_E_NS1_11comp_targetILNS1_3genE3ELNS1_11target_archE908ELNS1_3gpuE7ELNS1_3repE0EEENS1_47radix_sort_onesweep_sort_config_static_selectorELNS0_4arch9wavefront6targetE1EEEvSE_
	.p2align	8
	.type	_ZN7rocprim17ROCPRIM_400000_NS6detail17trampoline_kernelINS0_14default_configENS1_35radix_sort_onesweep_config_selectorIlNS0_10empty_typeEEEZZNS1_29radix_sort_onesweep_iterationIS3_Lb1EPlS8_PS5_S9_mNS0_19identity_decomposerENS1_16block_id_wrapperIjLb0EEEEE10hipError_tT1_PNSt15iterator_traitsISE_E10value_typeET2_T3_PNSF_ISK_E10value_typeET4_T5_PSP_SQ_PNS1_23onesweep_lookback_stateEbbT6_jjT7_P12ihipStream_tbENKUlT_T0_SE_SJ_E_clIS8_S8_S9_S9_EEDaSX_SY_SE_SJ_EUlSX_E_NS1_11comp_targetILNS1_3genE3ELNS1_11target_archE908ELNS1_3gpuE7ELNS1_3repE0EEENS1_47radix_sort_onesweep_sort_config_static_selectorELNS0_4arch9wavefront6targetE1EEEvSE_,@function
_ZN7rocprim17ROCPRIM_400000_NS6detail17trampoline_kernelINS0_14default_configENS1_35radix_sort_onesweep_config_selectorIlNS0_10empty_typeEEEZZNS1_29radix_sort_onesweep_iterationIS3_Lb1EPlS8_PS5_S9_mNS0_19identity_decomposerENS1_16block_id_wrapperIjLb0EEEEE10hipError_tT1_PNSt15iterator_traitsISE_E10value_typeET2_T3_PNSF_ISK_E10value_typeET4_T5_PSP_SQ_PNS1_23onesweep_lookback_stateEbbT6_jjT7_P12ihipStream_tbENKUlT_T0_SE_SJ_E_clIS8_S8_S9_S9_EEDaSX_SY_SE_SJ_EUlSX_E_NS1_11comp_targetILNS1_3genE3ELNS1_11target_archE908ELNS1_3gpuE7ELNS1_3repE0EEENS1_47radix_sort_onesweep_sort_config_static_selectorELNS0_4arch9wavefront6targetE1EEEvSE_: ; @_ZN7rocprim17ROCPRIM_400000_NS6detail17trampoline_kernelINS0_14default_configENS1_35radix_sort_onesweep_config_selectorIlNS0_10empty_typeEEEZZNS1_29radix_sort_onesweep_iterationIS3_Lb1EPlS8_PS5_S9_mNS0_19identity_decomposerENS1_16block_id_wrapperIjLb0EEEEE10hipError_tT1_PNSt15iterator_traitsISE_E10value_typeET2_T3_PNSF_ISK_E10value_typeET4_T5_PSP_SQ_PNS1_23onesweep_lookback_stateEbbT6_jjT7_P12ihipStream_tbENKUlT_T0_SE_SJ_E_clIS8_S8_S9_S9_EEDaSX_SY_SE_SJ_EUlSX_E_NS1_11comp_targetILNS1_3genE3ELNS1_11target_archE908ELNS1_3gpuE7ELNS1_3repE0EEENS1_47radix_sort_onesweep_sort_config_static_selectorELNS0_4arch9wavefront6targetE1EEEvSE_
; %bb.0:
	.section	.rodata,"a",@progbits
	.p2align	6, 0x0
	.amdhsa_kernel _ZN7rocprim17ROCPRIM_400000_NS6detail17trampoline_kernelINS0_14default_configENS1_35radix_sort_onesweep_config_selectorIlNS0_10empty_typeEEEZZNS1_29radix_sort_onesweep_iterationIS3_Lb1EPlS8_PS5_S9_mNS0_19identity_decomposerENS1_16block_id_wrapperIjLb0EEEEE10hipError_tT1_PNSt15iterator_traitsISE_E10value_typeET2_T3_PNSF_ISK_E10value_typeET4_T5_PSP_SQ_PNS1_23onesweep_lookback_stateEbbT6_jjT7_P12ihipStream_tbENKUlT_T0_SE_SJ_E_clIS8_S8_S9_S9_EEDaSX_SY_SE_SJ_EUlSX_E_NS1_11comp_targetILNS1_3genE3ELNS1_11target_archE908ELNS1_3gpuE7ELNS1_3repE0EEENS1_47radix_sort_onesweep_sort_config_static_selectorELNS0_4arch9wavefront6targetE1EEEvSE_
		.amdhsa_group_segment_fixed_size 0
		.amdhsa_private_segment_fixed_size 0
		.amdhsa_kernarg_size 88
		.amdhsa_user_sgpr_count 6
		.amdhsa_user_sgpr_private_segment_buffer 1
		.amdhsa_user_sgpr_dispatch_ptr 0
		.amdhsa_user_sgpr_queue_ptr 0
		.amdhsa_user_sgpr_kernarg_segment_ptr 1
		.amdhsa_user_sgpr_dispatch_id 0
		.amdhsa_user_sgpr_flat_scratch_init 0
		.amdhsa_user_sgpr_kernarg_preload_length 0
		.amdhsa_user_sgpr_kernarg_preload_offset 0
		.amdhsa_user_sgpr_private_segment_size 0
		.amdhsa_uses_dynamic_stack 0
		.amdhsa_system_sgpr_private_segment_wavefront_offset 0
		.amdhsa_system_sgpr_workgroup_id_x 1
		.amdhsa_system_sgpr_workgroup_id_y 0
		.amdhsa_system_sgpr_workgroup_id_z 0
		.amdhsa_system_sgpr_workgroup_info 0
		.amdhsa_system_vgpr_workitem_id 0
		.amdhsa_next_free_vgpr 1
		.amdhsa_next_free_sgpr 0
		.amdhsa_accum_offset 4
		.amdhsa_reserve_vcc 0
		.amdhsa_reserve_flat_scratch 0
		.amdhsa_float_round_mode_32 0
		.amdhsa_float_round_mode_16_64 0
		.amdhsa_float_denorm_mode_32 3
		.amdhsa_float_denorm_mode_16_64 3
		.amdhsa_dx10_clamp 1
		.amdhsa_ieee_mode 1
		.amdhsa_fp16_overflow 0
		.amdhsa_tg_split 0
		.amdhsa_exception_fp_ieee_invalid_op 0
		.amdhsa_exception_fp_denorm_src 0
		.amdhsa_exception_fp_ieee_div_zero 0
		.amdhsa_exception_fp_ieee_overflow 0
		.amdhsa_exception_fp_ieee_underflow 0
		.amdhsa_exception_fp_ieee_inexact 0
		.amdhsa_exception_int_div_zero 0
	.end_amdhsa_kernel
	.section	.text._ZN7rocprim17ROCPRIM_400000_NS6detail17trampoline_kernelINS0_14default_configENS1_35radix_sort_onesweep_config_selectorIlNS0_10empty_typeEEEZZNS1_29radix_sort_onesweep_iterationIS3_Lb1EPlS8_PS5_S9_mNS0_19identity_decomposerENS1_16block_id_wrapperIjLb0EEEEE10hipError_tT1_PNSt15iterator_traitsISE_E10value_typeET2_T3_PNSF_ISK_E10value_typeET4_T5_PSP_SQ_PNS1_23onesweep_lookback_stateEbbT6_jjT7_P12ihipStream_tbENKUlT_T0_SE_SJ_E_clIS8_S8_S9_S9_EEDaSX_SY_SE_SJ_EUlSX_E_NS1_11comp_targetILNS1_3genE3ELNS1_11target_archE908ELNS1_3gpuE7ELNS1_3repE0EEENS1_47radix_sort_onesweep_sort_config_static_selectorELNS0_4arch9wavefront6targetE1EEEvSE_,"axG",@progbits,_ZN7rocprim17ROCPRIM_400000_NS6detail17trampoline_kernelINS0_14default_configENS1_35radix_sort_onesweep_config_selectorIlNS0_10empty_typeEEEZZNS1_29radix_sort_onesweep_iterationIS3_Lb1EPlS8_PS5_S9_mNS0_19identity_decomposerENS1_16block_id_wrapperIjLb0EEEEE10hipError_tT1_PNSt15iterator_traitsISE_E10value_typeET2_T3_PNSF_ISK_E10value_typeET4_T5_PSP_SQ_PNS1_23onesweep_lookback_stateEbbT6_jjT7_P12ihipStream_tbENKUlT_T0_SE_SJ_E_clIS8_S8_S9_S9_EEDaSX_SY_SE_SJ_EUlSX_E_NS1_11comp_targetILNS1_3genE3ELNS1_11target_archE908ELNS1_3gpuE7ELNS1_3repE0EEENS1_47radix_sort_onesweep_sort_config_static_selectorELNS0_4arch9wavefront6targetE1EEEvSE_,comdat
.Lfunc_end2212:
	.size	_ZN7rocprim17ROCPRIM_400000_NS6detail17trampoline_kernelINS0_14default_configENS1_35radix_sort_onesweep_config_selectorIlNS0_10empty_typeEEEZZNS1_29radix_sort_onesweep_iterationIS3_Lb1EPlS8_PS5_S9_mNS0_19identity_decomposerENS1_16block_id_wrapperIjLb0EEEEE10hipError_tT1_PNSt15iterator_traitsISE_E10value_typeET2_T3_PNSF_ISK_E10value_typeET4_T5_PSP_SQ_PNS1_23onesweep_lookback_stateEbbT6_jjT7_P12ihipStream_tbENKUlT_T0_SE_SJ_E_clIS8_S8_S9_S9_EEDaSX_SY_SE_SJ_EUlSX_E_NS1_11comp_targetILNS1_3genE3ELNS1_11target_archE908ELNS1_3gpuE7ELNS1_3repE0EEENS1_47radix_sort_onesweep_sort_config_static_selectorELNS0_4arch9wavefront6targetE1EEEvSE_, .Lfunc_end2212-_ZN7rocprim17ROCPRIM_400000_NS6detail17trampoline_kernelINS0_14default_configENS1_35radix_sort_onesweep_config_selectorIlNS0_10empty_typeEEEZZNS1_29radix_sort_onesweep_iterationIS3_Lb1EPlS8_PS5_S9_mNS0_19identity_decomposerENS1_16block_id_wrapperIjLb0EEEEE10hipError_tT1_PNSt15iterator_traitsISE_E10value_typeET2_T3_PNSF_ISK_E10value_typeET4_T5_PSP_SQ_PNS1_23onesweep_lookback_stateEbbT6_jjT7_P12ihipStream_tbENKUlT_T0_SE_SJ_E_clIS8_S8_S9_S9_EEDaSX_SY_SE_SJ_EUlSX_E_NS1_11comp_targetILNS1_3genE3ELNS1_11target_archE908ELNS1_3gpuE7ELNS1_3repE0EEENS1_47radix_sort_onesweep_sort_config_static_selectorELNS0_4arch9wavefront6targetE1EEEvSE_
                                        ; -- End function
	.section	.AMDGPU.csdata,"",@progbits
; Kernel info:
; codeLenInByte = 0
; NumSgprs: 4
; NumVgprs: 0
; NumAgprs: 0
; TotalNumVgprs: 0
; ScratchSize: 0
; MemoryBound: 0
; FloatMode: 240
; IeeeMode: 1
; LDSByteSize: 0 bytes/workgroup (compile time only)
; SGPRBlocks: 0
; VGPRBlocks: 0
; NumSGPRsForWavesPerEU: 4
; NumVGPRsForWavesPerEU: 1
; AccumOffset: 4
; Occupancy: 8
; WaveLimiterHint : 0
; COMPUTE_PGM_RSRC2:SCRATCH_EN: 0
; COMPUTE_PGM_RSRC2:USER_SGPR: 6
; COMPUTE_PGM_RSRC2:TRAP_HANDLER: 0
; COMPUTE_PGM_RSRC2:TGID_X_EN: 1
; COMPUTE_PGM_RSRC2:TGID_Y_EN: 0
; COMPUTE_PGM_RSRC2:TGID_Z_EN: 0
; COMPUTE_PGM_RSRC2:TIDIG_COMP_CNT: 0
; COMPUTE_PGM_RSRC3_GFX90A:ACCUM_OFFSET: 0
; COMPUTE_PGM_RSRC3_GFX90A:TG_SPLIT: 0
	.section	.text._ZN7rocprim17ROCPRIM_400000_NS6detail17trampoline_kernelINS0_14default_configENS1_35radix_sort_onesweep_config_selectorIlNS0_10empty_typeEEEZZNS1_29radix_sort_onesweep_iterationIS3_Lb1EPlS8_PS5_S9_mNS0_19identity_decomposerENS1_16block_id_wrapperIjLb0EEEEE10hipError_tT1_PNSt15iterator_traitsISE_E10value_typeET2_T3_PNSF_ISK_E10value_typeET4_T5_PSP_SQ_PNS1_23onesweep_lookback_stateEbbT6_jjT7_P12ihipStream_tbENKUlT_T0_SE_SJ_E_clIS8_S8_S9_S9_EEDaSX_SY_SE_SJ_EUlSX_E_NS1_11comp_targetILNS1_3genE10ELNS1_11target_archE1201ELNS1_3gpuE5ELNS1_3repE0EEENS1_47radix_sort_onesweep_sort_config_static_selectorELNS0_4arch9wavefront6targetE1EEEvSE_,"axG",@progbits,_ZN7rocprim17ROCPRIM_400000_NS6detail17trampoline_kernelINS0_14default_configENS1_35radix_sort_onesweep_config_selectorIlNS0_10empty_typeEEEZZNS1_29radix_sort_onesweep_iterationIS3_Lb1EPlS8_PS5_S9_mNS0_19identity_decomposerENS1_16block_id_wrapperIjLb0EEEEE10hipError_tT1_PNSt15iterator_traitsISE_E10value_typeET2_T3_PNSF_ISK_E10value_typeET4_T5_PSP_SQ_PNS1_23onesweep_lookback_stateEbbT6_jjT7_P12ihipStream_tbENKUlT_T0_SE_SJ_E_clIS8_S8_S9_S9_EEDaSX_SY_SE_SJ_EUlSX_E_NS1_11comp_targetILNS1_3genE10ELNS1_11target_archE1201ELNS1_3gpuE5ELNS1_3repE0EEENS1_47radix_sort_onesweep_sort_config_static_selectorELNS0_4arch9wavefront6targetE1EEEvSE_,comdat
	.protected	_ZN7rocprim17ROCPRIM_400000_NS6detail17trampoline_kernelINS0_14default_configENS1_35radix_sort_onesweep_config_selectorIlNS0_10empty_typeEEEZZNS1_29radix_sort_onesweep_iterationIS3_Lb1EPlS8_PS5_S9_mNS0_19identity_decomposerENS1_16block_id_wrapperIjLb0EEEEE10hipError_tT1_PNSt15iterator_traitsISE_E10value_typeET2_T3_PNSF_ISK_E10value_typeET4_T5_PSP_SQ_PNS1_23onesweep_lookback_stateEbbT6_jjT7_P12ihipStream_tbENKUlT_T0_SE_SJ_E_clIS8_S8_S9_S9_EEDaSX_SY_SE_SJ_EUlSX_E_NS1_11comp_targetILNS1_3genE10ELNS1_11target_archE1201ELNS1_3gpuE5ELNS1_3repE0EEENS1_47radix_sort_onesweep_sort_config_static_selectorELNS0_4arch9wavefront6targetE1EEEvSE_ ; -- Begin function _ZN7rocprim17ROCPRIM_400000_NS6detail17trampoline_kernelINS0_14default_configENS1_35radix_sort_onesweep_config_selectorIlNS0_10empty_typeEEEZZNS1_29radix_sort_onesweep_iterationIS3_Lb1EPlS8_PS5_S9_mNS0_19identity_decomposerENS1_16block_id_wrapperIjLb0EEEEE10hipError_tT1_PNSt15iterator_traitsISE_E10value_typeET2_T3_PNSF_ISK_E10value_typeET4_T5_PSP_SQ_PNS1_23onesweep_lookback_stateEbbT6_jjT7_P12ihipStream_tbENKUlT_T0_SE_SJ_E_clIS8_S8_S9_S9_EEDaSX_SY_SE_SJ_EUlSX_E_NS1_11comp_targetILNS1_3genE10ELNS1_11target_archE1201ELNS1_3gpuE5ELNS1_3repE0EEENS1_47radix_sort_onesweep_sort_config_static_selectorELNS0_4arch9wavefront6targetE1EEEvSE_
	.globl	_ZN7rocprim17ROCPRIM_400000_NS6detail17trampoline_kernelINS0_14default_configENS1_35radix_sort_onesweep_config_selectorIlNS0_10empty_typeEEEZZNS1_29radix_sort_onesweep_iterationIS3_Lb1EPlS8_PS5_S9_mNS0_19identity_decomposerENS1_16block_id_wrapperIjLb0EEEEE10hipError_tT1_PNSt15iterator_traitsISE_E10value_typeET2_T3_PNSF_ISK_E10value_typeET4_T5_PSP_SQ_PNS1_23onesweep_lookback_stateEbbT6_jjT7_P12ihipStream_tbENKUlT_T0_SE_SJ_E_clIS8_S8_S9_S9_EEDaSX_SY_SE_SJ_EUlSX_E_NS1_11comp_targetILNS1_3genE10ELNS1_11target_archE1201ELNS1_3gpuE5ELNS1_3repE0EEENS1_47radix_sort_onesweep_sort_config_static_selectorELNS0_4arch9wavefront6targetE1EEEvSE_
	.p2align	8
	.type	_ZN7rocprim17ROCPRIM_400000_NS6detail17trampoline_kernelINS0_14default_configENS1_35radix_sort_onesweep_config_selectorIlNS0_10empty_typeEEEZZNS1_29radix_sort_onesweep_iterationIS3_Lb1EPlS8_PS5_S9_mNS0_19identity_decomposerENS1_16block_id_wrapperIjLb0EEEEE10hipError_tT1_PNSt15iterator_traitsISE_E10value_typeET2_T3_PNSF_ISK_E10value_typeET4_T5_PSP_SQ_PNS1_23onesweep_lookback_stateEbbT6_jjT7_P12ihipStream_tbENKUlT_T0_SE_SJ_E_clIS8_S8_S9_S9_EEDaSX_SY_SE_SJ_EUlSX_E_NS1_11comp_targetILNS1_3genE10ELNS1_11target_archE1201ELNS1_3gpuE5ELNS1_3repE0EEENS1_47radix_sort_onesweep_sort_config_static_selectorELNS0_4arch9wavefront6targetE1EEEvSE_,@function
_ZN7rocprim17ROCPRIM_400000_NS6detail17trampoline_kernelINS0_14default_configENS1_35radix_sort_onesweep_config_selectorIlNS0_10empty_typeEEEZZNS1_29radix_sort_onesweep_iterationIS3_Lb1EPlS8_PS5_S9_mNS0_19identity_decomposerENS1_16block_id_wrapperIjLb0EEEEE10hipError_tT1_PNSt15iterator_traitsISE_E10value_typeET2_T3_PNSF_ISK_E10value_typeET4_T5_PSP_SQ_PNS1_23onesweep_lookback_stateEbbT6_jjT7_P12ihipStream_tbENKUlT_T0_SE_SJ_E_clIS8_S8_S9_S9_EEDaSX_SY_SE_SJ_EUlSX_E_NS1_11comp_targetILNS1_3genE10ELNS1_11target_archE1201ELNS1_3gpuE5ELNS1_3repE0EEENS1_47radix_sort_onesweep_sort_config_static_selectorELNS0_4arch9wavefront6targetE1EEEvSE_: ; @_ZN7rocprim17ROCPRIM_400000_NS6detail17trampoline_kernelINS0_14default_configENS1_35radix_sort_onesweep_config_selectorIlNS0_10empty_typeEEEZZNS1_29radix_sort_onesweep_iterationIS3_Lb1EPlS8_PS5_S9_mNS0_19identity_decomposerENS1_16block_id_wrapperIjLb0EEEEE10hipError_tT1_PNSt15iterator_traitsISE_E10value_typeET2_T3_PNSF_ISK_E10value_typeET4_T5_PSP_SQ_PNS1_23onesweep_lookback_stateEbbT6_jjT7_P12ihipStream_tbENKUlT_T0_SE_SJ_E_clIS8_S8_S9_S9_EEDaSX_SY_SE_SJ_EUlSX_E_NS1_11comp_targetILNS1_3genE10ELNS1_11target_archE1201ELNS1_3gpuE5ELNS1_3repE0EEENS1_47radix_sort_onesweep_sort_config_static_selectorELNS0_4arch9wavefront6targetE1EEEvSE_
; %bb.0:
	.section	.rodata,"a",@progbits
	.p2align	6, 0x0
	.amdhsa_kernel _ZN7rocprim17ROCPRIM_400000_NS6detail17trampoline_kernelINS0_14default_configENS1_35radix_sort_onesweep_config_selectorIlNS0_10empty_typeEEEZZNS1_29radix_sort_onesweep_iterationIS3_Lb1EPlS8_PS5_S9_mNS0_19identity_decomposerENS1_16block_id_wrapperIjLb0EEEEE10hipError_tT1_PNSt15iterator_traitsISE_E10value_typeET2_T3_PNSF_ISK_E10value_typeET4_T5_PSP_SQ_PNS1_23onesweep_lookback_stateEbbT6_jjT7_P12ihipStream_tbENKUlT_T0_SE_SJ_E_clIS8_S8_S9_S9_EEDaSX_SY_SE_SJ_EUlSX_E_NS1_11comp_targetILNS1_3genE10ELNS1_11target_archE1201ELNS1_3gpuE5ELNS1_3repE0EEENS1_47radix_sort_onesweep_sort_config_static_selectorELNS0_4arch9wavefront6targetE1EEEvSE_
		.amdhsa_group_segment_fixed_size 0
		.amdhsa_private_segment_fixed_size 0
		.amdhsa_kernarg_size 88
		.amdhsa_user_sgpr_count 6
		.amdhsa_user_sgpr_private_segment_buffer 1
		.amdhsa_user_sgpr_dispatch_ptr 0
		.amdhsa_user_sgpr_queue_ptr 0
		.amdhsa_user_sgpr_kernarg_segment_ptr 1
		.amdhsa_user_sgpr_dispatch_id 0
		.amdhsa_user_sgpr_flat_scratch_init 0
		.amdhsa_user_sgpr_kernarg_preload_length 0
		.amdhsa_user_sgpr_kernarg_preload_offset 0
		.amdhsa_user_sgpr_private_segment_size 0
		.amdhsa_uses_dynamic_stack 0
		.amdhsa_system_sgpr_private_segment_wavefront_offset 0
		.amdhsa_system_sgpr_workgroup_id_x 1
		.amdhsa_system_sgpr_workgroup_id_y 0
		.amdhsa_system_sgpr_workgroup_id_z 0
		.amdhsa_system_sgpr_workgroup_info 0
		.amdhsa_system_vgpr_workitem_id 0
		.amdhsa_next_free_vgpr 1
		.amdhsa_next_free_sgpr 0
		.amdhsa_accum_offset 4
		.amdhsa_reserve_vcc 0
		.amdhsa_reserve_flat_scratch 0
		.amdhsa_float_round_mode_32 0
		.amdhsa_float_round_mode_16_64 0
		.amdhsa_float_denorm_mode_32 3
		.amdhsa_float_denorm_mode_16_64 3
		.amdhsa_dx10_clamp 1
		.amdhsa_ieee_mode 1
		.amdhsa_fp16_overflow 0
		.amdhsa_tg_split 0
		.amdhsa_exception_fp_ieee_invalid_op 0
		.amdhsa_exception_fp_denorm_src 0
		.amdhsa_exception_fp_ieee_div_zero 0
		.amdhsa_exception_fp_ieee_overflow 0
		.amdhsa_exception_fp_ieee_underflow 0
		.amdhsa_exception_fp_ieee_inexact 0
		.amdhsa_exception_int_div_zero 0
	.end_amdhsa_kernel
	.section	.text._ZN7rocprim17ROCPRIM_400000_NS6detail17trampoline_kernelINS0_14default_configENS1_35radix_sort_onesweep_config_selectorIlNS0_10empty_typeEEEZZNS1_29radix_sort_onesweep_iterationIS3_Lb1EPlS8_PS5_S9_mNS0_19identity_decomposerENS1_16block_id_wrapperIjLb0EEEEE10hipError_tT1_PNSt15iterator_traitsISE_E10value_typeET2_T3_PNSF_ISK_E10value_typeET4_T5_PSP_SQ_PNS1_23onesweep_lookback_stateEbbT6_jjT7_P12ihipStream_tbENKUlT_T0_SE_SJ_E_clIS8_S8_S9_S9_EEDaSX_SY_SE_SJ_EUlSX_E_NS1_11comp_targetILNS1_3genE10ELNS1_11target_archE1201ELNS1_3gpuE5ELNS1_3repE0EEENS1_47radix_sort_onesweep_sort_config_static_selectorELNS0_4arch9wavefront6targetE1EEEvSE_,"axG",@progbits,_ZN7rocprim17ROCPRIM_400000_NS6detail17trampoline_kernelINS0_14default_configENS1_35radix_sort_onesweep_config_selectorIlNS0_10empty_typeEEEZZNS1_29radix_sort_onesweep_iterationIS3_Lb1EPlS8_PS5_S9_mNS0_19identity_decomposerENS1_16block_id_wrapperIjLb0EEEEE10hipError_tT1_PNSt15iterator_traitsISE_E10value_typeET2_T3_PNSF_ISK_E10value_typeET4_T5_PSP_SQ_PNS1_23onesweep_lookback_stateEbbT6_jjT7_P12ihipStream_tbENKUlT_T0_SE_SJ_E_clIS8_S8_S9_S9_EEDaSX_SY_SE_SJ_EUlSX_E_NS1_11comp_targetILNS1_3genE10ELNS1_11target_archE1201ELNS1_3gpuE5ELNS1_3repE0EEENS1_47radix_sort_onesweep_sort_config_static_selectorELNS0_4arch9wavefront6targetE1EEEvSE_,comdat
.Lfunc_end2213:
	.size	_ZN7rocprim17ROCPRIM_400000_NS6detail17trampoline_kernelINS0_14default_configENS1_35radix_sort_onesweep_config_selectorIlNS0_10empty_typeEEEZZNS1_29radix_sort_onesweep_iterationIS3_Lb1EPlS8_PS5_S9_mNS0_19identity_decomposerENS1_16block_id_wrapperIjLb0EEEEE10hipError_tT1_PNSt15iterator_traitsISE_E10value_typeET2_T3_PNSF_ISK_E10value_typeET4_T5_PSP_SQ_PNS1_23onesweep_lookback_stateEbbT6_jjT7_P12ihipStream_tbENKUlT_T0_SE_SJ_E_clIS8_S8_S9_S9_EEDaSX_SY_SE_SJ_EUlSX_E_NS1_11comp_targetILNS1_3genE10ELNS1_11target_archE1201ELNS1_3gpuE5ELNS1_3repE0EEENS1_47radix_sort_onesweep_sort_config_static_selectorELNS0_4arch9wavefront6targetE1EEEvSE_, .Lfunc_end2213-_ZN7rocprim17ROCPRIM_400000_NS6detail17trampoline_kernelINS0_14default_configENS1_35radix_sort_onesweep_config_selectorIlNS0_10empty_typeEEEZZNS1_29radix_sort_onesweep_iterationIS3_Lb1EPlS8_PS5_S9_mNS0_19identity_decomposerENS1_16block_id_wrapperIjLb0EEEEE10hipError_tT1_PNSt15iterator_traitsISE_E10value_typeET2_T3_PNSF_ISK_E10value_typeET4_T5_PSP_SQ_PNS1_23onesweep_lookback_stateEbbT6_jjT7_P12ihipStream_tbENKUlT_T0_SE_SJ_E_clIS8_S8_S9_S9_EEDaSX_SY_SE_SJ_EUlSX_E_NS1_11comp_targetILNS1_3genE10ELNS1_11target_archE1201ELNS1_3gpuE5ELNS1_3repE0EEENS1_47radix_sort_onesweep_sort_config_static_selectorELNS0_4arch9wavefront6targetE1EEEvSE_
                                        ; -- End function
	.section	.AMDGPU.csdata,"",@progbits
; Kernel info:
; codeLenInByte = 0
; NumSgprs: 4
; NumVgprs: 0
; NumAgprs: 0
; TotalNumVgprs: 0
; ScratchSize: 0
; MemoryBound: 0
; FloatMode: 240
; IeeeMode: 1
; LDSByteSize: 0 bytes/workgroup (compile time only)
; SGPRBlocks: 0
; VGPRBlocks: 0
; NumSGPRsForWavesPerEU: 4
; NumVGPRsForWavesPerEU: 1
; AccumOffset: 4
; Occupancy: 8
; WaveLimiterHint : 0
; COMPUTE_PGM_RSRC2:SCRATCH_EN: 0
; COMPUTE_PGM_RSRC2:USER_SGPR: 6
; COMPUTE_PGM_RSRC2:TRAP_HANDLER: 0
; COMPUTE_PGM_RSRC2:TGID_X_EN: 1
; COMPUTE_PGM_RSRC2:TGID_Y_EN: 0
; COMPUTE_PGM_RSRC2:TGID_Z_EN: 0
; COMPUTE_PGM_RSRC2:TIDIG_COMP_CNT: 0
; COMPUTE_PGM_RSRC3_GFX90A:ACCUM_OFFSET: 0
; COMPUTE_PGM_RSRC3_GFX90A:TG_SPLIT: 0
	.section	.text._ZN7rocprim17ROCPRIM_400000_NS6detail17trampoline_kernelINS0_14default_configENS1_35radix_sort_onesweep_config_selectorIlNS0_10empty_typeEEEZZNS1_29radix_sort_onesweep_iterationIS3_Lb1EPlS8_PS5_S9_mNS0_19identity_decomposerENS1_16block_id_wrapperIjLb0EEEEE10hipError_tT1_PNSt15iterator_traitsISE_E10value_typeET2_T3_PNSF_ISK_E10value_typeET4_T5_PSP_SQ_PNS1_23onesweep_lookback_stateEbbT6_jjT7_P12ihipStream_tbENKUlT_T0_SE_SJ_E_clIS8_S8_S9_S9_EEDaSX_SY_SE_SJ_EUlSX_E_NS1_11comp_targetILNS1_3genE9ELNS1_11target_archE1100ELNS1_3gpuE3ELNS1_3repE0EEENS1_47radix_sort_onesweep_sort_config_static_selectorELNS0_4arch9wavefront6targetE1EEEvSE_,"axG",@progbits,_ZN7rocprim17ROCPRIM_400000_NS6detail17trampoline_kernelINS0_14default_configENS1_35radix_sort_onesweep_config_selectorIlNS0_10empty_typeEEEZZNS1_29radix_sort_onesweep_iterationIS3_Lb1EPlS8_PS5_S9_mNS0_19identity_decomposerENS1_16block_id_wrapperIjLb0EEEEE10hipError_tT1_PNSt15iterator_traitsISE_E10value_typeET2_T3_PNSF_ISK_E10value_typeET4_T5_PSP_SQ_PNS1_23onesweep_lookback_stateEbbT6_jjT7_P12ihipStream_tbENKUlT_T0_SE_SJ_E_clIS8_S8_S9_S9_EEDaSX_SY_SE_SJ_EUlSX_E_NS1_11comp_targetILNS1_3genE9ELNS1_11target_archE1100ELNS1_3gpuE3ELNS1_3repE0EEENS1_47radix_sort_onesweep_sort_config_static_selectorELNS0_4arch9wavefront6targetE1EEEvSE_,comdat
	.protected	_ZN7rocprim17ROCPRIM_400000_NS6detail17trampoline_kernelINS0_14default_configENS1_35radix_sort_onesweep_config_selectorIlNS0_10empty_typeEEEZZNS1_29radix_sort_onesweep_iterationIS3_Lb1EPlS8_PS5_S9_mNS0_19identity_decomposerENS1_16block_id_wrapperIjLb0EEEEE10hipError_tT1_PNSt15iterator_traitsISE_E10value_typeET2_T3_PNSF_ISK_E10value_typeET4_T5_PSP_SQ_PNS1_23onesweep_lookback_stateEbbT6_jjT7_P12ihipStream_tbENKUlT_T0_SE_SJ_E_clIS8_S8_S9_S9_EEDaSX_SY_SE_SJ_EUlSX_E_NS1_11comp_targetILNS1_3genE9ELNS1_11target_archE1100ELNS1_3gpuE3ELNS1_3repE0EEENS1_47radix_sort_onesweep_sort_config_static_selectorELNS0_4arch9wavefront6targetE1EEEvSE_ ; -- Begin function _ZN7rocprim17ROCPRIM_400000_NS6detail17trampoline_kernelINS0_14default_configENS1_35radix_sort_onesweep_config_selectorIlNS0_10empty_typeEEEZZNS1_29radix_sort_onesweep_iterationIS3_Lb1EPlS8_PS5_S9_mNS0_19identity_decomposerENS1_16block_id_wrapperIjLb0EEEEE10hipError_tT1_PNSt15iterator_traitsISE_E10value_typeET2_T3_PNSF_ISK_E10value_typeET4_T5_PSP_SQ_PNS1_23onesweep_lookback_stateEbbT6_jjT7_P12ihipStream_tbENKUlT_T0_SE_SJ_E_clIS8_S8_S9_S9_EEDaSX_SY_SE_SJ_EUlSX_E_NS1_11comp_targetILNS1_3genE9ELNS1_11target_archE1100ELNS1_3gpuE3ELNS1_3repE0EEENS1_47radix_sort_onesweep_sort_config_static_selectorELNS0_4arch9wavefront6targetE1EEEvSE_
	.globl	_ZN7rocprim17ROCPRIM_400000_NS6detail17trampoline_kernelINS0_14default_configENS1_35radix_sort_onesweep_config_selectorIlNS0_10empty_typeEEEZZNS1_29radix_sort_onesweep_iterationIS3_Lb1EPlS8_PS5_S9_mNS0_19identity_decomposerENS1_16block_id_wrapperIjLb0EEEEE10hipError_tT1_PNSt15iterator_traitsISE_E10value_typeET2_T3_PNSF_ISK_E10value_typeET4_T5_PSP_SQ_PNS1_23onesweep_lookback_stateEbbT6_jjT7_P12ihipStream_tbENKUlT_T0_SE_SJ_E_clIS8_S8_S9_S9_EEDaSX_SY_SE_SJ_EUlSX_E_NS1_11comp_targetILNS1_3genE9ELNS1_11target_archE1100ELNS1_3gpuE3ELNS1_3repE0EEENS1_47radix_sort_onesweep_sort_config_static_selectorELNS0_4arch9wavefront6targetE1EEEvSE_
	.p2align	8
	.type	_ZN7rocprim17ROCPRIM_400000_NS6detail17trampoline_kernelINS0_14default_configENS1_35radix_sort_onesweep_config_selectorIlNS0_10empty_typeEEEZZNS1_29radix_sort_onesweep_iterationIS3_Lb1EPlS8_PS5_S9_mNS0_19identity_decomposerENS1_16block_id_wrapperIjLb0EEEEE10hipError_tT1_PNSt15iterator_traitsISE_E10value_typeET2_T3_PNSF_ISK_E10value_typeET4_T5_PSP_SQ_PNS1_23onesweep_lookback_stateEbbT6_jjT7_P12ihipStream_tbENKUlT_T0_SE_SJ_E_clIS8_S8_S9_S9_EEDaSX_SY_SE_SJ_EUlSX_E_NS1_11comp_targetILNS1_3genE9ELNS1_11target_archE1100ELNS1_3gpuE3ELNS1_3repE0EEENS1_47radix_sort_onesweep_sort_config_static_selectorELNS0_4arch9wavefront6targetE1EEEvSE_,@function
_ZN7rocprim17ROCPRIM_400000_NS6detail17trampoline_kernelINS0_14default_configENS1_35radix_sort_onesweep_config_selectorIlNS0_10empty_typeEEEZZNS1_29radix_sort_onesweep_iterationIS3_Lb1EPlS8_PS5_S9_mNS0_19identity_decomposerENS1_16block_id_wrapperIjLb0EEEEE10hipError_tT1_PNSt15iterator_traitsISE_E10value_typeET2_T3_PNSF_ISK_E10value_typeET4_T5_PSP_SQ_PNS1_23onesweep_lookback_stateEbbT6_jjT7_P12ihipStream_tbENKUlT_T0_SE_SJ_E_clIS8_S8_S9_S9_EEDaSX_SY_SE_SJ_EUlSX_E_NS1_11comp_targetILNS1_3genE9ELNS1_11target_archE1100ELNS1_3gpuE3ELNS1_3repE0EEENS1_47radix_sort_onesweep_sort_config_static_selectorELNS0_4arch9wavefront6targetE1EEEvSE_: ; @_ZN7rocprim17ROCPRIM_400000_NS6detail17trampoline_kernelINS0_14default_configENS1_35radix_sort_onesweep_config_selectorIlNS0_10empty_typeEEEZZNS1_29radix_sort_onesweep_iterationIS3_Lb1EPlS8_PS5_S9_mNS0_19identity_decomposerENS1_16block_id_wrapperIjLb0EEEEE10hipError_tT1_PNSt15iterator_traitsISE_E10value_typeET2_T3_PNSF_ISK_E10value_typeET4_T5_PSP_SQ_PNS1_23onesweep_lookback_stateEbbT6_jjT7_P12ihipStream_tbENKUlT_T0_SE_SJ_E_clIS8_S8_S9_S9_EEDaSX_SY_SE_SJ_EUlSX_E_NS1_11comp_targetILNS1_3genE9ELNS1_11target_archE1100ELNS1_3gpuE3ELNS1_3repE0EEENS1_47radix_sort_onesweep_sort_config_static_selectorELNS0_4arch9wavefront6targetE1EEEvSE_
; %bb.0:
	.section	.rodata,"a",@progbits
	.p2align	6, 0x0
	.amdhsa_kernel _ZN7rocprim17ROCPRIM_400000_NS6detail17trampoline_kernelINS0_14default_configENS1_35radix_sort_onesweep_config_selectorIlNS0_10empty_typeEEEZZNS1_29radix_sort_onesweep_iterationIS3_Lb1EPlS8_PS5_S9_mNS0_19identity_decomposerENS1_16block_id_wrapperIjLb0EEEEE10hipError_tT1_PNSt15iterator_traitsISE_E10value_typeET2_T3_PNSF_ISK_E10value_typeET4_T5_PSP_SQ_PNS1_23onesweep_lookback_stateEbbT6_jjT7_P12ihipStream_tbENKUlT_T0_SE_SJ_E_clIS8_S8_S9_S9_EEDaSX_SY_SE_SJ_EUlSX_E_NS1_11comp_targetILNS1_3genE9ELNS1_11target_archE1100ELNS1_3gpuE3ELNS1_3repE0EEENS1_47radix_sort_onesweep_sort_config_static_selectorELNS0_4arch9wavefront6targetE1EEEvSE_
		.amdhsa_group_segment_fixed_size 0
		.amdhsa_private_segment_fixed_size 0
		.amdhsa_kernarg_size 88
		.amdhsa_user_sgpr_count 6
		.amdhsa_user_sgpr_private_segment_buffer 1
		.amdhsa_user_sgpr_dispatch_ptr 0
		.amdhsa_user_sgpr_queue_ptr 0
		.amdhsa_user_sgpr_kernarg_segment_ptr 1
		.amdhsa_user_sgpr_dispatch_id 0
		.amdhsa_user_sgpr_flat_scratch_init 0
		.amdhsa_user_sgpr_kernarg_preload_length 0
		.amdhsa_user_sgpr_kernarg_preload_offset 0
		.amdhsa_user_sgpr_private_segment_size 0
		.amdhsa_uses_dynamic_stack 0
		.amdhsa_system_sgpr_private_segment_wavefront_offset 0
		.amdhsa_system_sgpr_workgroup_id_x 1
		.amdhsa_system_sgpr_workgroup_id_y 0
		.amdhsa_system_sgpr_workgroup_id_z 0
		.amdhsa_system_sgpr_workgroup_info 0
		.amdhsa_system_vgpr_workitem_id 0
		.amdhsa_next_free_vgpr 1
		.amdhsa_next_free_sgpr 0
		.amdhsa_accum_offset 4
		.amdhsa_reserve_vcc 0
		.amdhsa_reserve_flat_scratch 0
		.amdhsa_float_round_mode_32 0
		.amdhsa_float_round_mode_16_64 0
		.amdhsa_float_denorm_mode_32 3
		.amdhsa_float_denorm_mode_16_64 3
		.amdhsa_dx10_clamp 1
		.amdhsa_ieee_mode 1
		.amdhsa_fp16_overflow 0
		.amdhsa_tg_split 0
		.amdhsa_exception_fp_ieee_invalid_op 0
		.amdhsa_exception_fp_denorm_src 0
		.amdhsa_exception_fp_ieee_div_zero 0
		.amdhsa_exception_fp_ieee_overflow 0
		.amdhsa_exception_fp_ieee_underflow 0
		.amdhsa_exception_fp_ieee_inexact 0
		.amdhsa_exception_int_div_zero 0
	.end_amdhsa_kernel
	.section	.text._ZN7rocprim17ROCPRIM_400000_NS6detail17trampoline_kernelINS0_14default_configENS1_35radix_sort_onesweep_config_selectorIlNS0_10empty_typeEEEZZNS1_29radix_sort_onesweep_iterationIS3_Lb1EPlS8_PS5_S9_mNS0_19identity_decomposerENS1_16block_id_wrapperIjLb0EEEEE10hipError_tT1_PNSt15iterator_traitsISE_E10value_typeET2_T3_PNSF_ISK_E10value_typeET4_T5_PSP_SQ_PNS1_23onesweep_lookback_stateEbbT6_jjT7_P12ihipStream_tbENKUlT_T0_SE_SJ_E_clIS8_S8_S9_S9_EEDaSX_SY_SE_SJ_EUlSX_E_NS1_11comp_targetILNS1_3genE9ELNS1_11target_archE1100ELNS1_3gpuE3ELNS1_3repE0EEENS1_47radix_sort_onesweep_sort_config_static_selectorELNS0_4arch9wavefront6targetE1EEEvSE_,"axG",@progbits,_ZN7rocprim17ROCPRIM_400000_NS6detail17trampoline_kernelINS0_14default_configENS1_35radix_sort_onesweep_config_selectorIlNS0_10empty_typeEEEZZNS1_29radix_sort_onesweep_iterationIS3_Lb1EPlS8_PS5_S9_mNS0_19identity_decomposerENS1_16block_id_wrapperIjLb0EEEEE10hipError_tT1_PNSt15iterator_traitsISE_E10value_typeET2_T3_PNSF_ISK_E10value_typeET4_T5_PSP_SQ_PNS1_23onesweep_lookback_stateEbbT6_jjT7_P12ihipStream_tbENKUlT_T0_SE_SJ_E_clIS8_S8_S9_S9_EEDaSX_SY_SE_SJ_EUlSX_E_NS1_11comp_targetILNS1_3genE9ELNS1_11target_archE1100ELNS1_3gpuE3ELNS1_3repE0EEENS1_47radix_sort_onesweep_sort_config_static_selectorELNS0_4arch9wavefront6targetE1EEEvSE_,comdat
.Lfunc_end2214:
	.size	_ZN7rocprim17ROCPRIM_400000_NS6detail17trampoline_kernelINS0_14default_configENS1_35radix_sort_onesweep_config_selectorIlNS0_10empty_typeEEEZZNS1_29radix_sort_onesweep_iterationIS3_Lb1EPlS8_PS5_S9_mNS0_19identity_decomposerENS1_16block_id_wrapperIjLb0EEEEE10hipError_tT1_PNSt15iterator_traitsISE_E10value_typeET2_T3_PNSF_ISK_E10value_typeET4_T5_PSP_SQ_PNS1_23onesweep_lookback_stateEbbT6_jjT7_P12ihipStream_tbENKUlT_T0_SE_SJ_E_clIS8_S8_S9_S9_EEDaSX_SY_SE_SJ_EUlSX_E_NS1_11comp_targetILNS1_3genE9ELNS1_11target_archE1100ELNS1_3gpuE3ELNS1_3repE0EEENS1_47radix_sort_onesweep_sort_config_static_selectorELNS0_4arch9wavefront6targetE1EEEvSE_, .Lfunc_end2214-_ZN7rocprim17ROCPRIM_400000_NS6detail17trampoline_kernelINS0_14default_configENS1_35radix_sort_onesweep_config_selectorIlNS0_10empty_typeEEEZZNS1_29radix_sort_onesweep_iterationIS3_Lb1EPlS8_PS5_S9_mNS0_19identity_decomposerENS1_16block_id_wrapperIjLb0EEEEE10hipError_tT1_PNSt15iterator_traitsISE_E10value_typeET2_T3_PNSF_ISK_E10value_typeET4_T5_PSP_SQ_PNS1_23onesweep_lookback_stateEbbT6_jjT7_P12ihipStream_tbENKUlT_T0_SE_SJ_E_clIS8_S8_S9_S9_EEDaSX_SY_SE_SJ_EUlSX_E_NS1_11comp_targetILNS1_3genE9ELNS1_11target_archE1100ELNS1_3gpuE3ELNS1_3repE0EEENS1_47radix_sort_onesweep_sort_config_static_selectorELNS0_4arch9wavefront6targetE1EEEvSE_
                                        ; -- End function
	.section	.AMDGPU.csdata,"",@progbits
; Kernel info:
; codeLenInByte = 0
; NumSgprs: 4
; NumVgprs: 0
; NumAgprs: 0
; TotalNumVgprs: 0
; ScratchSize: 0
; MemoryBound: 0
; FloatMode: 240
; IeeeMode: 1
; LDSByteSize: 0 bytes/workgroup (compile time only)
; SGPRBlocks: 0
; VGPRBlocks: 0
; NumSGPRsForWavesPerEU: 4
; NumVGPRsForWavesPerEU: 1
; AccumOffset: 4
; Occupancy: 8
; WaveLimiterHint : 0
; COMPUTE_PGM_RSRC2:SCRATCH_EN: 0
; COMPUTE_PGM_RSRC2:USER_SGPR: 6
; COMPUTE_PGM_RSRC2:TRAP_HANDLER: 0
; COMPUTE_PGM_RSRC2:TGID_X_EN: 1
; COMPUTE_PGM_RSRC2:TGID_Y_EN: 0
; COMPUTE_PGM_RSRC2:TGID_Z_EN: 0
; COMPUTE_PGM_RSRC2:TIDIG_COMP_CNT: 0
; COMPUTE_PGM_RSRC3_GFX90A:ACCUM_OFFSET: 0
; COMPUTE_PGM_RSRC3_GFX90A:TG_SPLIT: 0
	.section	.text._ZN7rocprim17ROCPRIM_400000_NS6detail17trampoline_kernelINS0_14default_configENS1_35radix_sort_onesweep_config_selectorIlNS0_10empty_typeEEEZZNS1_29radix_sort_onesweep_iterationIS3_Lb1EPlS8_PS5_S9_mNS0_19identity_decomposerENS1_16block_id_wrapperIjLb0EEEEE10hipError_tT1_PNSt15iterator_traitsISE_E10value_typeET2_T3_PNSF_ISK_E10value_typeET4_T5_PSP_SQ_PNS1_23onesweep_lookback_stateEbbT6_jjT7_P12ihipStream_tbENKUlT_T0_SE_SJ_E_clIS8_S8_S9_S9_EEDaSX_SY_SE_SJ_EUlSX_E_NS1_11comp_targetILNS1_3genE8ELNS1_11target_archE1030ELNS1_3gpuE2ELNS1_3repE0EEENS1_47radix_sort_onesweep_sort_config_static_selectorELNS0_4arch9wavefront6targetE1EEEvSE_,"axG",@progbits,_ZN7rocprim17ROCPRIM_400000_NS6detail17trampoline_kernelINS0_14default_configENS1_35radix_sort_onesweep_config_selectorIlNS0_10empty_typeEEEZZNS1_29radix_sort_onesweep_iterationIS3_Lb1EPlS8_PS5_S9_mNS0_19identity_decomposerENS1_16block_id_wrapperIjLb0EEEEE10hipError_tT1_PNSt15iterator_traitsISE_E10value_typeET2_T3_PNSF_ISK_E10value_typeET4_T5_PSP_SQ_PNS1_23onesweep_lookback_stateEbbT6_jjT7_P12ihipStream_tbENKUlT_T0_SE_SJ_E_clIS8_S8_S9_S9_EEDaSX_SY_SE_SJ_EUlSX_E_NS1_11comp_targetILNS1_3genE8ELNS1_11target_archE1030ELNS1_3gpuE2ELNS1_3repE0EEENS1_47radix_sort_onesweep_sort_config_static_selectorELNS0_4arch9wavefront6targetE1EEEvSE_,comdat
	.protected	_ZN7rocprim17ROCPRIM_400000_NS6detail17trampoline_kernelINS0_14default_configENS1_35radix_sort_onesweep_config_selectorIlNS0_10empty_typeEEEZZNS1_29radix_sort_onesweep_iterationIS3_Lb1EPlS8_PS5_S9_mNS0_19identity_decomposerENS1_16block_id_wrapperIjLb0EEEEE10hipError_tT1_PNSt15iterator_traitsISE_E10value_typeET2_T3_PNSF_ISK_E10value_typeET4_T5_PSP_SQ_PNS1_23onesweep_lookback_stateEbbT6_jjT7_P12ihipStream_tbENKUlT_T0_SE_SJ_E_clIS8_S8_S9_S9_EEDaSX_SY_SE_SJ_EUlSX_E_NS1_11comp_targetILNS1_3genE8ELNS1_11target_archE1030ELNS1_3gpuE2ELNS1_3repE0EEENS1_47radix_sort_onesweep_sort_config_static_selectorELNS0_4arch9wavefront6targetE1EEEvSE_ ; -- Begin function _ZN7rocprim17ROCPRIM_400000_NS6detail17trampoline_kernelINS0_14default_configENS1_35radix_sort_onesweep_config_selectorIlNS0_10empty_typeEEEZZNS1_29radix_sort_onesweep_iterationIS3_Lb1EPlS8_PS5_S9_mNS0_19identity_decomposerENS1_16block_id_wrapperIjLb0EEEEE10hipError_tT1_PNSt15iterator_traitsISE_E10value_typeET2_T3_PNSF_ISK_E10value_typeET4_T5_PSP_SQ_PNS1_23onesweep_lookback_stateEbbT6_jjT7_P12ihipStream_tbENKUlT_T0_SE_SJ_E_clIS8_S8_S9_S9_EEDaSX_SY_SE_SJ_EUlSX_E_NS1_11comp_targetILNS1_3genE8ELNS1_11target_archE1030ELNS1_3gpuE2ELNS1_3repE0EEENS1_47radix_sort_onesweep_sort_config_static_selectorELNS0_4arch9wavefront6targetE1EEEvSE_
	.globl	_ZN7rocprim17ROCPRIM_400000_NS6detail17trampoline_kernelINS0_14default_configENS1_35radix_sort_onesweep_config_selectorIlNS0_10empty_typeEEEZZNS1_29radix_sort_onesweep_iterationIS3_Lb1EPlS8_PS5_S9_mNS0_19identity_decomposerENS1_16block_id_wrapperIjLb0EEEEE10hipError_tT1_PNSt15iterator_traitsISE_E10value_typeET2_T3_PNSF_ISK_E10value_typeET4_T5_PSP_SQ_PNS1_23onesweep_lookback_stateEbbT6_jjT7_P12ihipStream_tbENKUlT_T0_SE_SJ_E_clIS8_S8_S9_S9_EEDaSX_SY_SE_SJ_EUlSX_E_NS1_11comp_targetILNS1_3genE8ELNS1_11target_archE1030ELNS1_3gpuE2ELNS1_3repE0EEENS1_47radix_sort_onesweep_sort_config_static_selectorELNS0_4arch9wavefront6targetE1EEEvSE_
	.p2align	8
	.type	_ZN7rocprim17ROCPRIM_400000_NS6detail17trampoline_kernelINS0_14default_configENS1_35radix_sort_onesweep_config_selectorIlNS0_10empty_typeEEEZZNS1_29radix_sort_onesweep_iterationIS3_Lb1EPlS8_PS5_S9_mNS0_19identity_decomposerENS1_16block_id_wrapperIjLb0EEEEE10hipError_tT1_PNSt15iterator_traitsISE_E10value_typeET2_T3_PNSF_ISK_E10value_typeET4_T5_PSP_SQ_PNS1_23onesweep_lookback_stateEbbT6_jjT7_P12ihipStream_tbENKUlT_T0_SE_SJ_E_clIS8_S8_S9_S9_EEDaSX_SY_SE_SJ_EUlSX_E_NS1_11comp_targetILNS1_3genE8ELNS1_11target_archE1030ELNS1_3gpuE2ELNS1_3repE0EEENS1_47radix_sort_onesweep_sort_config_static_selectorELNS0_4arch9wavefront6targetE1EEEvSE_,@function
_ZN7rocprim17ROCPRIM_400000_NS6detail17trampoline_kernelINS0_14default_configENS1_35radix_sort_onesweep_config_selectorIlNS0_10empty_typeEEEZZNS1_29radix_sort_onesweep_iterationIS3_Lb1EPlS8_PS5_S9_mNS0_19identity_decomposerENS1_16block_id_wrapperIjLb0EEEEE10hipError_tT1_PNSt15iterator_traitsISE_E10value_typeET2_T3_PNSF_ISK_E10value_typeET4_T5_PSP_SQ_PNS1_23onesweep_lookback_stateEbbT6_jjT7_P12ihipStream_tbENKUlT_T0_SE_SJ_E_clIS8_S8_S9_S9_EEDaSX_SY_SE_SJ_EUlSX_E_NS1_11comp_targetILNS1_3genE8ELNS1_11target_archE1030ELNS1_3gpuE2ELNS1_3repE0EEENS1_47radix_sort_onesweep_sort_config_static_selectorELNS0_4arch9wavefront6targetE1EEEvSE_: ; @_ZN7rocprim17ROCPRIM_400000_NS6detail17trampoline_kernelINS0_14default_configENS1_35radix_sort_onesweep_config_selectorIlNS0_10empty_typeEEEZZNS1_29radix_sort_onesweep_iterationIS3_Lb1EPlS8_PS5_S9_mNS0_19identity_decomposerENS1_16block_id_wrapperIjLb0EEEEE10hipError_tT1_PNSt15iterator_traitsISE_E10value_typeET2_T3_PNSF_ISK_E10value_typeET4_T5_PSP_SQ_PNS1_23onesweep_lookback_stateEbbT6_jjT7_P12ihipStream_tbENKUlT_T0_SE_SJ_E_clIS8_S8_S9_S9_EEDaSX_SY_SE_SJ_EUlSX_E_NS1_11comp_targetILNS1_3genE8ELNS1_11target_archE1030ELNS1_3gpuE2ELNS1_3repE0EEENS1_47radix_sort_onesweep_sort_config_static_selectorELNS0_4arch9wavefront6targetE1EEEvSE_
; %bb.0:
	.section	.rodata,"a",@progbits
	.p2align	6, 0x0
	.amdhsa_kernel _ZN7rocprim17ROCPRIM_400000_NS6detail17trampoline_kernelINS0_14default_configENS1_35radix_sort_onesweep_config_selectorIlNS0_10empty_typeEEEZZNS1_29radix_sort_onesweep_iterationIS3_Lb1EPlS8_PS5_S9_mNS0_19identity_decomposerENS1_16block_id_wrapperIjLb0EEEEE10hipError_tT1_PNSt15iterator_traitsISE_E10value_typeET2_T3_PNSF_ISK_E10value_typeET4_T5_PSP_SQ_PNS1_23onesweep_lookback_stateEbbT6_jjT7_P12ihipStream_tbENKUlT_T0_SE_SJ_E_clIS8_S8_S9_S9_EEDaSX_SY_SE_SJ_EUlSX_E_NS1_11comp_targetILNS1_3genE8ELNS1_11target_archE1030ELNS1_3gpuE2ELNS1_3repE0EEENS1_47radix_sort_onesweep_sort_config_static_selectorELNS0_4arch9wavefront6targetE1EEEvSE_
		.amdhsa_group_segment_fixed_size 0
		.amdhsa_private_segment_fixed_size 0
		.amdhsa_kernarg_size 88
		.amdhsa_user_sgpr_count 6
		.amdhsa_user_sgpr_private_segment_buffer 1
		.amdhsa_user_sgpr_dispatch_ptr 0
		.amdhsa_user_sgpr_queue_ptr 0
		.amdhsa_user_sgpr_kernarg_segment_ptr 1
		.amdhsa_user_sgpr_dispatch_id 0
		.amdhsa_user_sgpr_flat_scratch_init 0
		.amdhsa_user_sgpr_kernarg_preload_length 0
		.amdhsa_user_sgpr_kernarg_preload_offset 0
		.amdhsa_user_sgpr_private_segment_size 0
		.amdhsa_uses_dynamic_stack 0
		.amdhsa_system_sgpr_private_segment_wavefront_offset 0
		.amdhsa_system_sgpr_workgroup_id_x 1
		.amdhsa_system_sgpr_workgroup_id_y 0
		.amdhsa_system_sgpr_workgroup_id_z 0
		.amdhsa_system_sgpr_workgroup_info 0
		.amdhsa_system_vgpr_workitem_id 0
		.amdhsa_next_free_vgpr 1
		.amdhsa_next_free_sgpr 0
		.amdhsa_accum_offset 4
		.amdhsa_reserve_vcc 0
		.amdhsa_reserve_flat_scratch 0
		.amdhsa_float_round_mode_32 0
		.amdhsa_float_round_mode_16_64 0
		.amdhsa_float_denorm_mode_32 3
		.amdhsa_float_denorm_mode_16_64 3
		.amdhsa_dx10_clamp 1
		.amdhsa_ieee_mode 1
		.amdhsa_fp16_overflow 0
		.amdhsa_tg_split 0
		.amdhsa_exception_fp_ieee_invalid_op 0
		.amdhsa_exception_fp_denorm_src 0
		.amdhsa_exception_fp_ieee_div_zero 0
		.amdhsa_exception_fp_ieee_overflow 0
		.amdhsa_exception_fp_ieee_underflow 0
		.amdhsa_exception_fp_ieee_inexact 0
		.amdhsa_exception_int_div_zero 0
	.end_amdhsa_kernel
	.section	.text._ZN7rocprim17ROCPRIM_400000_NS6detail17trampoline_kernelINS0_14default_configENS1_35radix_sort_onesweep_config_selectorIlNS0_10empty_typeEEEZZNS1_29radix_sort_onesweep_iterationIS3_Lb1EPlS8_PS5_S9_mNS0_19identity_decomposerENS1_16block_id_wrapperIjLb0EEEEE10hipError_tT1_PNSt15iterator_traitsISE_E10value_typeET2_T3_PNSF_ISK_E10value_typeET4_T5_PSP_SQ_PNS1_23onesweep_lookback_stateEbbT6_jjT7_P12ihipStream_tbENKUlT_T0_SE_SJ_E_clIS8_S8_S9_S9_EEDaSX_SY_SE_SJ_EUlSX_E_NS1_11comp_targetILNS1_3genE8ELNS1_11target_archE1030ELNS1_3gpuE2ELNS1_3repE0EEENS1_47radix_sort_onesweep_sort_config_static_selectorELNS0_4arch9wavefront6targetE1EEEvSE_,"axG",@progbits,_ZN7rocprim17ROCPRIM_400000_NS6detail17trampoline_kernelINS0_14default_configENS1_35radix_sort_onesweep_config_selectorIlNS0_10empty_typeEEEZZNS1_29radix_sort_onesweep_iterationIS3_Lb1EPlS8_PS5_S9_mNS0_19identity_decomposerENS1_16block_id_wrapperIjLb0EEEEE10hipError_tT1_PNSt15iterator_traitsISE_E10value_typeET2_T3_PNSF_ISK_E10value_typeET4_T5_PSP_SQ_PNS1_23onesweep_lookback_stateEbbT6_jjT7_P12ihipStream_tbENKUlT_T0_SE_SJ_E_clIS8_S8_S9_S9_EEDaSX_SY_SE_SJ_EUlSX_E_NS1_11comp_targetILNS1_3genE8ELNS1_11target_archE1030ELNS1_3gpuE2ELNS1_3repE0EEENS1_47radix_sort_onesweep_sort_config_static_selectorELNS0_4arch9wavefront6targetE1EEEvSE_,comdat
.Lfunc_end2215:
	.size	_ZN7rocprim17ROCPRIM_400000_NS6detail17trampoline_kernelINS0_14default_configENS1_35radix_sort_onesweep_config_selectorIlNS0_10empty_typeEEEZZNS1_29radix_sort_onesweep_iterationIS3_Lb1EPlS8_PS5_S9_mNS0_19identity_decomposerENS1_16block_id_wrapperIjLb0EEEEE10hipError_tT1_PNSt15iterator_traitsISE_E10value_typeET2_T3_PNSF_ISK_E10value_typeET4_T5_PSP_SQ_PNS1_23onesweep_lookback_stateEbbT6_jjT7_P12ihipStream_tbENKUlT_T0_SE_SJ_E_clIS8_S8_S9_S9_EEDaSX_SY_SE_SJ_EUlSX_E_NS1_11comp_targetILNS1_3genE8ELNS1_11target_archE1030ELNS1_3gpuE2ELNS1_3repE0EEENS1_47radix_sort_onesweep_sort_config_static_selectorELNS0_4arch9wavefront6targetE1EEEvSE_, .Lfunc_end2215-_ZN7rocprim17ROCPRIM_400000_NS6detail17trampoline_kernelINS0_14default_configENS1_35radix_sort_onesweep_config_selectorIlNS0_10empty_typeEEEZZNS1_29radix_sort_onesweep_iterationIS3_Lb1EPlS8_PS5_S9_mNS0_19identity_decomposerENS1_16block_id_wrapperIjLb0EEEEE10hipError_tT1_PNSt15iterator_traitsISE_E10value_typeET2_T3_PNSF_ISK_E10value_typeET4_T5_PSP_SQ_PNS1_23onesweep_lookback_stateEbbT6_jjT7_P12ihipStream_tbENKUlT_T0_SE_SJ_E_clIS8_S8_S9_S9_EEDaSX_SY_SE_SJ_EUlSX_E_NS1_11comp_targetILNS1_3genE8ELNS1_11target_archE1030ELNS1_3gpuE2ELNS1_3repE0EEENS1_47radix_sort_onesweep_sort_config_static_selectorELNS0_4arch9wavefront6targetE1EEEvSE_
                                        ; -- End function
	.section	.AMDGPU.csdata,"",@progbits
; Kernel info:
; codeLenInByte = 0
; NumSgprs: 4
; NumVgprs: 0
; NumAgprs: 0
; TotalNumVgprs: 0
; ScratchSize: 0
; MemoryBound: 0
; FloatMode: 240
; IeeeMode: 1
; LDSByteSize: 0 bytes/workgroup (compile time only)
; SGPRBlocks: 0
; VGPRBlocks: 0
; NumSGPRsForWavesPerEU: 4
; NumVGPRsForWavesPerEU: 1
; AccumOffset: 4
; Occupancy: 8
; WaveLimiterHint : 0
; COMPUTE_PGM_RSRC2:SCRATCH_EN: 0
; COMPUTE_PGM_RSRC2:USER_SGPR: 6
; COMPUTE_PGM_RSRC2:TRAP_HANDLER: 0
; COMPUTE_PGM_RSRC2:TGID_X_EN: 1
; COMPUTE_PGM_RSRC2:TGID_Y_EN: 0
; COMPUTE_PGM_RSRC2:TGID_Z_EN: 0
; COMPUTE_PGM_RSRC2:TIDIG_COMP_CNT: 0
; COMPUTE_PGM_RSRC3_GFX90A:ACCUM_OFFSET: 0
; COMPUTE_PGM_RSRC3_GFX90A:TG_SPLIT: 0
	.section	.text._ZN7rocprim17ROCPRIM_400000_NS6detail17trampoline_kernelINS0_13kernel_configILj256ELj4ELj4294967295EEENS1_37radix_sort_block_sort_config_selectorImNS0_10empty_typeEEEZNS1_21radix_sort_block_sortIS4_Lb1EPmS9_PS6_SA_NS0_19identity_decomposerEEE10hipError_tT1_T2_T3_T4_jRjT5_jjP12ihipStream_tbEUlT_E_NS1_11comp_targetILNS1_3genE0ELNS1_11target_archE4294967295ELNS1_3gpuE0ELNS1_3repE0EEENS1_44radix_sort_block_sort_config_static_selectorELNS0_4arch9wavefront6targetE1EEEvSD_,"axG",@progbits,_ZN7rocprim17ROCPRIM_400000_NS6detail17trampoline_kernelINS0_13kernel_configILj256ELj4ELj4294967295EEENS1_37radix_sort_block_sort_config_selectorImNS0_10empty_typeEEEZNS1_21radix_sort_block_sortIS4_Lb1EPmS9_PS6_SA_NS0_19identity_decomposerEEE10hipError_tT1_T2_T3_T4_jRjT5_jjP12ihipStream_tbEUlT_E_NS1_11comp_targetILNS1_3genE0ELNS1_11target_archE4294967295ELNS1_3gpuE0ELNS1_3repE0EEENS1_44radix_sort_block_sort_config_static_selectorELNS0_4arch9wavefront6targetE1EEEvSD_,comdat
	.protected	_ZN7rocprim17ROCPRIM_400000_NS6detail17trampoline_kernelINS0_13kernel_configILj256ELj4ELj4294967295EEENS1_37radix_sort_block_sort_config_selectorImNS0_10empty_typeEEEZNS1_21radix_sort_block_sortIS4_Lb1EPmS9_PS6_SA_NS0_19identity_decomposerEEE10hipError_tT1_T2_T3_T4_jRjT5_jjP12ihipStream_tbEUlT_E_NS1_11comp_targetILNS1_3genE0ELNS1_11target_archE4294967295ELNS1_3gpuE0ELNS1_3repE0EEENS1_44radix_sort_block_sort_config_static_selectorELNS0_4arch9wavefront6targetE1EEEvSD_ ; -- Begin function _ZN7rocprim17ROCPRIM_400000_NS6detail17trampoline_kernelINS0_13kernel_configILj256ELj4ELj4294967295EEENS1_37radix_sort_block_sort_config_selectorImNS0_10empty_typeEEEZNS1_21radix_sort_block_sortIS4_Lb1EPmS9_PS6_SA_NS0_19identity_decomposerEEE10hipError_tT1_T2_T3_T4_jRjT5_jjP12ihipStream_tbEUlT_E_NS1_11comp_targetILNS1_3genE0ELNS1_11target_archE4294967295ELNS1_3gpuE0ELNS1_3repE0EEENS1_44radix_sort_block_sort_config_static_selectorELNS0_4arch9wavefront6targetE1EEEvSD_
	.globl	_ZN7rocprim17ROCPRIM_400000_NS6detail17trampoline_kernelINS0_13kernel_configILj256ELj4ELj4294967295EEENS1_37radix_sort_block_sort_config_selectorImNS0_10empty_typeEEEZNS1_21radix_sort_block_sortIS4_Lb1EPmS9_PS6_SA_NS0_19identity_decomposerEEE10hipError_tT1_T2_T3_T4_jRjT5_jjP12ihipStream_tbEUlT_E_NS1_11comp_targetILNS1_3genE0ELNS1_11target_archE4294967295ELNS1_3gpuE0ELNS1_3repE0EEENS1_44radix_sort_block_sort_config_static_selectorELNS0_4arch9wavefront6targetE1EEEvSD_
	.p2align	8
	.type	_ZN7rocprim17ROCPRIM_400000_NS6detail17trampoline_kernelINS0_13kernel_configILj256ELj4ELj4294967295EEENS1_37radix_sort_block_sort_config_selectorImNS0_10empty_typeEEEZNS1_21radix_sort_block_sortIS4_Lb1EPmS9_PS6_SA_NS0_19identity_decomposerEEE10hipError_tT1_T2_T3_T4_jRjT5_jjP12ihipStream_tbEUlT_E_NS1_11comp_targetILNS1_3genE0ELNS1_11target_archE4294967295ELNS1_3gpuE0ELNS1_3repE0EEENS1_44radix_sort_block_sort_config_static_selectorELNS0_4arch9wavefront6targetE1EEEvSD_,@function
_ZN7rocprim17ROCPRIM_400000_NS6detail17trampoline_kernelINS0_13kernel_configILj256ELj4ELj4294967295EEENS1_37radix_sort_block_sort_config_selectorImNS0_10empty_typeEEEZNS1_21radix_sort_block_sortIS4_Lb1EPmS9_PS6_SA_NS0_19identity_decomposerEEE10hipError_tT1_T2_T3_T4_jRjT5_jjP12ihipStream_tbEUlT_E_NS1_11comp_targetILNS1_3genE0ELNS1_11target_archE4294967295ELNS1_3gpuE0ELNS1_3repE0EEENS1_44radix_sort_block_sort_config_static_selectorELNS0_4arch9wavefront6targetE1EEEvSD_: ; @_ZN7rocprim17ROCPRIM_400000_NS6detail17trampoline_kernelINS0_13kernel_configILj256ELj4ELj4294967295EEENS1_37radix_sort_block_sort_config_selectorImNS0_10empty_typeEEEZNS1_21radix_sort_block_sortIS4_Lb1EPmS9_PS6_SA_NS0_19identity_decomposerEEE10hipError_tT1_T2_T3_T4_jRjT5_jjP12ihipStream_tbEUlT_E_NS1_11comp_targetILNS1_3genE0ELNS1_11target_archE4294967295ELNS1_3gpuE0ELNS1_3repE0EEENS1_44radix_sort_block_sort_config_static_selectorELNS0_4arch9wavefront6targetE1EEEvSD_
; %bb.0:
	.section	.rodata,"a",@progbits
	.p2align	6, 0x0
	.amdhsa_kernel _ZN7rocprim17ROCPRIM_400000_NS6detail17trampoline_kernelINS0_13kernel_configILj256ELj4ELj4294967295EEENS1_37radix_sort_block_sort_config_selectorImNS0_10empty_typeEEEZNS1_21radix_sort_block_sortIS4_Lb1EPmS9_PS6_SA_NS0_19identity_decomposerEEE10hipError_tT1_T2_T3_T4_jRjT5_jjP12ihipStream_tbEUlT_E_NS1_11comp_targetILNS1_3genE0ELNS1_11target_archE4294967295ELNS1_3gpuE0ELNS1_3repE0EEENS1_44radix_sort_block_sort_config_static_selectorELNS0_4arch9wavefront6targetE1EEEvSD_
		.amdhsa_group_segment_fixed_size 0
		.amdhsa_private_segment_fixed_size 0
		.amdhsa_kernarg_size 48
		.amdhsa_user_sgpr_count 6
		.amdhsa_user_sgpr_private_segment_buffer 1
		.amdhsa_user_sgpr_dispatch_ptr 0
		.amdhsa_user_sgpr_queue_ptr 0
		.amdhsa_user_sgpr_kernarg_segment_ptr 1
		.amdhsa_user_sgpr_dispatch_id 0
		.amdhsa_user_sgpr_flat_scratch_init 0
		.amdhsa_user_sgpr_kernarg_preload_length 0
		.amdhsa_user_sgpr_kernarg_preload_offset 0
		.amdhsa_user_sgpr_private_segment_size 0
		.amdhsa_uses_dynamic_stack 0
		.amdhsa_system_sgpr_private_segment_wavefront_offset 0
		.amdhsa_system_sgpr_workgroup_id_x 1
		.amdhsa_system_sgpr_workgroup_id_y 0
		.amdhsa_system_sgpr_workgroup_id_z 0
		.amdhsa_system_sgpr_workgroup_info 0
		.amdhsa_system_vgpr_workitem_id 0
		.amdhsa_next_free_vgpr 1
		.amdhsa_next_free_sgpr 0
		.amdhsa_accum_offset 4
		.amdhsa_reserve_vcc 0
		.amdhsa_reserve_flat_scratch 0
		.amdhsa_float_round_mode_32 0
		.amdhsa_float_round_mode_16_64 0
		.amdhsa_float_denorm_mode_32 3
		.amdhsa_float_denorm_mode_16_64 3
		.amdhsa_dx10_clamp 1
		.amdhsa_ieee_mode 1
		.amdhsa_fp16_overflow 0
		.amdhsa_tg_split 0
		.amdhsa_exception_fp_ieee_invalid_op 0
		.amdhsa_exception_fp_denorm_src 0
		.amdhsa_exception_fp_ieee_div_zero 0
		.amdhsa_exception_fp_ieee_overflow 0
		.amdhsa_exception_fp_ieee_underflow 0
		.amdhsa_exception_fp_ieee_inexact 0
		.amdhsa_exception_int_div_zero 0
	.end_amdhsa_kernel
	.section	.text._ZN7rocprim17ROCPRIM_400000_NS6detail17trampoline_kernelINS0_13kernel_configILj256ELj4ELj4294967295EEENS1_37radix_sort_block_sort_config_selectorImNS0_10empty_typeEEEZNS1_21radix_sort_block_sortIS4_Lb1EPmS9_PS6_SA_NS0_19identity_decomposerEEE10hipError_tT1_T2_T3_T4_jRjT5_jjP12ihipStream_tbEUlT_E_NS1_11comp_targetILNS1_3genE0ELNS1_11target_archE4294967295ELNS1_3gpuE0ELNS1_3repE0EEENS1_44radix_sort_block_sort_config_static_selectorELNS0_4arch9wavefront6targetE1EEEvSD_,"axG",@progbits,_ZN7rocprim17ROCPRIM_400000_NS6detail17trampoline_kernelINS0_13kernel_configILj256ELj4ELj4294967295EEENS1_37radix_sort_block_sort_config_selectorImNS0_10empty_typeEEEZNS1_21radix_sort_block_sortIS4_Lb1EPmS9_PS6_SA_NS0_19identity_decomposerEEE10hipError_tT1_T2_T3_T4_jRjT5_jjP12ihipStream_tbEUlT_E_NS1_11comp_targetILNS1_3genE0ELNS1_11target_archE4294967295ELNS1_3gpuE0ELNS1_3repE0EEENS1_44radix_sort_block_sort_config_static_selectorELNS0_4arch9wavefront6targetE1EEEvSD_,comdat
.Lfunc_end2216:
	.size	_ZN7rocprim17ROCPRIM_400000_NS6detail17trampoline_kernelINS0_13kernel_configILj256ELj4ELj4294967295EEENS1_37radix_sort_block_sort_config_selectorImNS0_10empty_typeEEEZNS1_21radix_sort_block_sortIS4_Lb1EPmS9_PS6_SA_NS0_19identity_decomposerEEE10hipError_tT1_T2_T3_T4_jRjT5_jjP12ihipStream_tbEUlT_E_NS1_11comp_targetILNS1_3genE0ELNS1_11target_archE4294967295ELNS1_3gpuE0ELNS1_3repE0EEENS1_44radix_sort_block_sort_config_static_selectorELNS0_4arch9wavefront6targetE1EEEvSD_, .Lfunc_end2216-_ZN7rocprim17ROCPRIM_400000_NS6detail17trampoline_kernelINS0_13kernel_configILj256ELj4ELj4294967295EEENS1_37radix_sort_block_sort_config_selectorImNS0_10empty_typeEEEZNS1_21radix_sort_block_sortIS4_Lb1EPmS9_PS6_SA_NS0_19identity_decomposerEEE10hipError_tT1_T2_T3_T4_jRjT5_jjP12ihipStream_tbEUlT_E_NS1_11comp_targetILNS1_3genE0ELNS1_11target_archE4294967295ELNS1_3gpuE0ELNS1_3repE0EEENS1_44radix_sort_block_sort_config_static_selectorELNS0_4arch9wavefront6targetE1EEEvSD_
                                        ; -- End function
	.section	.AMDGPU.csdata,"",@progbits
; Kernel info:
; codeLenInByte = 0
; NumSgprs: 4
; NumVgprs: 0
; NumAgprs: 0
; TotalNumVgprs: 0
; ScratchSize: 0
; MemoryBound: 0
; FloatMode: 240
; IeeeMode: 1
; LDSByteSize: 0 bytes/workgroup (compile time only)
; SGPRBlocks: 0
; VGPRBlocks: 0
; NumSGPRsForWavesPerEU: 4
; NumVGPRsForWavesPerEU: 1
; AccumOffset: 4
; Occupancy: 8
; WaveLimiterHint : 0
; COMPUTE_PGM_RSRC2:SCRATCH_EN: 0
; COMPUTE_PGM_RSRC2:USER_SGPR: 6
; COMPUTE_PGM_RSRC2:TRAP_HANDLER: 0
; COMPUTE_PGM_RSRC2:TGID_X_EN: 1
; COMPUTE_PGM_RSRC2:TGID_Y_EN: 0
; COMPUTE_PGM_RSRC2:TGID_Z_EN: 0
; COMPUTE_PGM_RSRC2:TIDIG_COMP_CNT: 0
; COMPUTE_PGM_RSRC3_GFX90A:ACCUM_OFFSET: 0
; COMPUTE_PGM_RSRC3_GFX90A:TG_SPLIT: 0
	.section	.text._ZN7rocprim17ROCPRIM_400000_NS6detail17trampoline_kernelINS0_13kernel_configILj256ELj4ELj4294967295EEENS1_37radix_sort_block_sort_config_selectorImNS0_10empty_typeEEEZNS1_21radix_sort_block_sortIS4_Lb1EPmS9_PS6_SA_NS0_19identity_decomposerEEE10hipError_tT1_T2_T3_T4_jRjT5_jjP12ihipStream_tbEUlT_E_NS1_11comp_targetILNS1_3genE5ELNS1_11target_archE942ELNS1_3gpuE9ELNS1_3repE0EEENS1_44radix_sort_block_sort_config_static_selectorELNS0_4arch9wavefront6targetE1EEEvSD_,"axG",@progbits,_ZN7rocprim17ROCPRIM_400000_NS6detail17trampoline_kernelINS0_13kernel_configILj256ELj4ELj4294967295EEENS1_37radix_sort_block_sort_config_selectorImNS0_10empty_typeEEEZNS1_21radix_sort_block_sortIS4_Lb1EPmS9_PS6_SA_NS0_19identity_decomposerEEE10hipError_tT1_T2_T3_T4_jRjT5_jjP12ihipStream_tbEUlT_E_NS1_11comp_targetILNS1_3genE5ELNS1_11target_archE942ELNS1_3gpuE9ELNS1_3repE0EEENS1_44radix_sort_block_sort_config_static_selectorELNS0_4arch9wavefront6targetE1EEEvSD_,comdat
	.protected	_ZN7rocprim17ROCPRIM_400000_NS6detail17trampoline_kernelINS0_13kernel_configILj256ELj4ELj4294967295EEENS1_37radix_sort_block_sort_config_selectorImNS0_10empty_typeEEEZNS1_21radix_sort_block_sortIS4_Lb1EPmS9_PS6_SA_NS0_19identity_decomposerEEE10hipError_tT1_T2_T3_T4_jRjT5_jjP12ihipStream_tbEUlT_E_NS1_11comp_targetILNS1_3genE5ELNS1_11target_archE942ELNS1_3gpuE9ELNS1_3repE0EEENS1_44radix_sort_block_sort_config_static_selectorELNS0_4arch9wavefront6targetE1EEEvSD_ ; -- Begin function _ZN7rocprim17ROCPRIM_400000_NS6detail17trampoline_kernelINS0_13kernel_configILj256ELj4ELj4294967295EEENS1_37radix_sort_block_sort_config_selectorImNS0_10empty_typeEEEZNS1_21radix_sort_block_sortIS4_Lb1EPmS9_PS6_SA_NS0_19identity_decomposerEEE10hipError_tT1_T2_T3_T4_jRjT5_jjP12ihipStream_tbEUlT_E_NS1_11comp_targetILNS1_3genE5ELNS1_11target_archE942ELNS1_3gpuE9ELNS1_3repE0EEENS1_44radix_sort_block_sort_config_static_selectorELNS0_4arch9wavefront6targetE1EEEvSD_
	.globl	_ZN7rocprim17ROCPRIM_400000_NS6detail17trampoline_kernelINS0_13kernel_configILj256ELj4ELj4294967295EEENS1_37radix_sort_block_sort_config_selectorImNS0_10empty_typeEEEZNS1_21radix_sort_block_sortIS4_Lb1EPmS9_PS6_SA_NS0_19identity_decomposerEEE10hipError_tT1_T2_T3_T4_jRjT5_jjP12ihipStream_tbEUlT_E_NS1_11comp_targetILNS1_3genE5ELNS1_11target_archE942ELNS1_3gpuE9ELNS1_3repE0EEENS1_44radix_sort_block_sort_config_static_selectorELNS0_4arch9wavefront6targetE1EEEvSD_
	.p2align	8
	.type	_ZN7rocprim17ROCPRIM_400000_NS6detail17trampoline_kernelINS0_13kernel_configILj256ELj4ELj4294967295EEENS1_37radix_sort_block_sort_config_selectorImNS0_10empty_typeEEEZNS1_21radix_sort_block_sortIS4_Lb1EPmS9_PS6_SA_NS0_19identity_decomposerEEE10hipError_tT1_T2_T3_T4_jRjT5_jjP12ihipStream_tbEUlT_E_NS1_11comp_targetILNS1_3genE5ELNS1_11target_archE942ELNS1_3gpuE9ELNS1_3repE0EEENS1_44radix_sort_block_sort_config_static_selectorELNS0_4arch9wavefront6targetE1EEEvSD_,@function
_ZN7rocprim17ROCPRIM_400000_NS6detail17trampoline_kernelINS0_13kernel_configILj256ELj4ELj4294967295EEENS1_37radix_sort_block_sort_config_selectorImNS0_10empty_typeEEEZNS1_21radix_sort_block_sortIS4_Lb1EPmS9_PS6_SA_NS0_19identity_decomposerEEE10hipError_tT1_T2_T3_T4_jRjT5_jjP12ihipStream_tbEUlT_E_NS1_11comp_targetILNS1_3genE5ELNS1_11target_archE942ELNS1_3gpuE9ELNS1_3repE0EEENS1_44radix_sort_block_sort_config_static_selectorELNS0_4arch9wavefront6targetE1EEEvSD_: ; @_ZN7rocprim17ROCPRIM_400000_NS6detail17trampoline_kernelINS0_13kernel_configILj256ELj4ELj4294967295EEENS1_37radix_sort_block_sort_config_selectorImNS0_10empty_typeEEEZNS1_21radix_sort_block_sortIS4_Lb1EPmS9_PS6_SA_NS0_19identity_decomposerEEE10hipError_tT1_T2_T3_T4_jRjT5_jjP12ihipStream_tbEUlT_E_NS1_11comp_targetILNS1_3genE5ELNS1_11target_archE942ELNS1_3gpuE9ELNS1_3repE0EEENS1_44radix_sort_block_sort_config_static_selectorELNS0_4arch9wavefront6targetE1EEEvSD_
; %bb.0:
	.section	.rodata,"a",@progbits
	.p2align	6, 0x0
	.amdhsa_kernel _ZN7rocprim17ROCPRIM_400000_NS6detail17trampoline_kernelINS0_13kernel_configILj256ELj4ELj4294967295EEENS1_37radix_sort_block_sort_config_selectorImNS0_10empty_typeEEEZNS1_21radix_sort_block_sortIS4_Lb1EPmS9_PS6_SA_NS0_19identity_decomposerEEE10hipError_tT1_T2_T3_T4_jRjT5_jjP12ihipStream_tbEUlT_E_NS1_11comp_targetILNS1_3genE5ELNS1_11target_archE942ELNS1_3gpuE9ELNS1_3repE0EEENS1_44radix_sort_block_sort_config_static_selectorELNS0_4arch9wavefront6targetE1EEEvSD_
		.amdhsa_group_segment_fixed_size 0
		.amdhsa_private_segment_fixed_size 0
		.amdhsa_kernarg_size 48
		.amdhsa_user_sgpr_count 6
		.amdhsa_user_sgpr_private_segment_buffer 1
		.amdhsa_user_sgpr_dispatch_ptr 0
		.amdhsa_user_sgpr_queue_ptr 0
		.amdhsa_user_sgpr_kernarg_segment_ptr 1
		.amdhsa_user_sgpr_dispatch_id 0
		.amdhsa_user_sgpr_flat_scratch_init 0
		.amdhsa_user_sgpr_kernarg_preload_length 0
		.amdhsa_user_sgpr_kernarg_preload_offset 0
		.amdhsa_user_sgpr_private_segment_size 0
		.amdhsa_uses_dynamic_stack 0
		.amdhsa_system_sgpr_private_segment_wavefront_offset 0
		.amdhsa_system_sgpr_workgroup_id_x 1
		.amdhsa_system_sgpr_workgroup_id_y 0
		.amdhsa_system_sgpr_workgroup_id_z 0
		.amdhsa_system_sgpr_workgroup_info 0
		.amdhsa_system_vgpr_workitem_id 0
		.amdhsa_next_free_vgpr 1
		.amdhsa_next_free_sgpr 0
		.amdhsa_accum_offset 4
		.amdhsa_reserve_vcc 0
		.amdhsa_reserve_flat_scratch 0
		.amdhsa_float_round_mode_32 0
		.amdhsa_float_round_mode_16_64 0
		.amdhsa_float_denorm_mode_32 3
		.amdhsa_float_denorm_mode_16_64 3
		.amdhsa_dx10_clamp 1
		.amdhsa_ieee_mode 1
		.amdhsa_fp16_overflow 0
		.amdhsa_tg_split 0
		.amdhsa_exception_fp_ieee_invalid_op 0
		.amdhsa_exception_fp_denorm_src 0
		.amdhsa_exception_fp_ieee_div_zero 0
		.amdhsa_exception_fp_ieee_overflow 0
		.amdhsa_exception_fp_ieee_underflow 0
		.amdhsa_exception_fp_ieee_inexact 0
		.amdhsa_exception_int_div_zero 0
	.end_amdhsa_kernel
	.section	.text._ZN7rocprim17ROCPRIM_400000_NS6detail17trampoline_kernelINS0_13kernel_configILj256ELj4ELj4294967295EEENS1_37radix_sort_block_sort_config_selectorImNS0_10empty_typeEEEZNS1_21radix_sort_block_sortIS4_Lb1EPmS9_PS6_SA_NS0_19identity_decomposerEEE10hipError_tT1_T2_T3_T4_jRjT5_jjP12ihipStream_tbEUlT_E_NS1_11comp_targetILNS1_3genE5ELNS1_11target_archE942ELNS1_3gpuE9ELNS1_3repE0EEENS1_44radix_sort_block_sort_config_static_selectorELNS0_4arch9wavefront6targetE1EEEvSD_,"axG",@progbits,_ZN7rocprim17ROCPRIM_400000_NS6detail17trampoline_kernelINS0_13kernel_configILj256ELj4ELj4294967295EEENS1_37radix_sort_block_sort_config_selectorImNS0_10empty_typeEEEZNS1_21radix_sort_block_sortIS4_Lb1EPmS9_PS6_SA_NS0_19identity_decomposerEEE10hipError_tT1_T2_T3_T4_jRjT5_jjP12ihipStream_tbEUlT_E_NS1_11comp_targetILNS1_3genE5ELNS1_11target_archE942ELNS1_3gpuE9ELNS1_3repE0EEENS1_44radix_sort_block_sort_config_static_selectorELNS0_4arch9wavefront6targetE1EEEvSD_,comdat
.Lfunc_end2217:
	.size	_ZN7rocprim17ROCPRIM_400000_NS6detail17trampoline_kernelINS0_13kernel_configILj256ELj4ELj4294967295EEENS1_37radix_sort_block_sort_config_selectorImNS0_10empty_typeEEEZNS1_21radix_sort_block_sortIS4_Lb1EPmS9_PS6_SA_NS0_19identity_decomposerEEE10hipError_tT1_T2_T3_T4_jRjT5_jjP12ihipStream_tbEUlT_E_NS1_11comp_targetILNS1_3genE5ELNS1_11target_archE942ELNS1_3gpuE9ELNS1_3repE0EEENS1_44radix_sort_block_sort_config_static_selectorELNS0_4arch9wavefront6targetE1EEEvSD_, .Lfunc_end2217-_ZN7rocprim17ROCPRIM_400000_NS6detail17trampoline_kernelINS0_13kernel_configILj256ELj4ELj4294967295EEENS1_37radix_sort_block_sort_config_selectorImNS0_10empty_typeEEEZNS1_21radix_sort_block_sortIS4_Lb1EPmS9_PS6_SA_NS0_19identity_decomposerEEE10hipError_tT1_T2_T3_T4_jRjT5_jjP12ihipStream_tbEUlT_E_NS1_11comp_targetILNS1_3genE5ELNS1_11target_archE942ELNS1_3gpuE9ELNS1_3repE0EEENS1_44radix_sort_block_sort_config_static_selectorELNS0_4arch9wavefront6targetE1EEEvSD_
                                        ; -- End function
	.section	.AMDGPU.csdata,"",@progbits
; Kernel info:
; codeLenInByte = 0
; NumSgprs: 4
; NumVgprs: 0
; NumAgprs: 0
; TotalNumVgprs: 0
; ScratchSize: 0
; MemoryBound: 0
; FloatMode: 240
; IeeeMode: 1
; LDSByteSize: 0 bytes/workgroup (compile time only)
; SGPRBlocks: 0
; VGPRBlocks: 0
; NumSGPRsForWavesPerEU: 4
; NumVGPRsForWavesPerEU: 1
; AccumOffset: 4
; Occupancy: 8
; WaveLimiterHint : 0
; COMPUTE_PGM_RSRC2:SCRATCH_EN: 0
; COMPUTE_PGM_RSRC2:USER_SGPR: 6
; COMPUTE_PGM_RSRC2:TRAP_HANDLER: 0
; COMPUTE_PGM_RSRC2:TGID_X_EN: 1
; COMPUTE_PGM_RSRC2:TGID_Y_EN: 0
; COMPUTE_PGM_RSRC2:TGID_Z_EN: 0
; COMPUTE_PGM_RSRC2:TIDIG_COMP_CNT: 0
; COMPUTE_PGM_RSRC3_GFX90A:ACCUM_OFFSET: 0
; COMPUTE_PGM_RSRC3_GFX90A:TG_SPLIT: 0
	.section	.text._ZN7rocprim17ROCPRIM_400000_NS6detail17trampoline_kernelINS0_13kernel_configILj256ELj4ELj4294967295EEENS1_37radix_sort_block_sort_config_selectorImNS0_10empty_typeEEEZNS1_21radix_sort_block_sortIS4_Lb1EPmS9_PS6_SA_NS0_19identity_decomposerEEE10hipError_tT1_T2_T3_T4_jRjT5_jjP12ihipStream_tbEUlT_E_NS1_11comp_targetILNS1_3genE4ELNS1_11target_archE910ELNS1_3gpuE8ELNS1_3repE0EEENS1_44radix_sort_block_sort_config_static_selectorELNS0_4arch9wavefront6targetE1EEEvSD_,"axG",@progbits,_ZN7rocprim17ROCPRIM_400000_NS6detail17trampoline_kernelINS0_13kernel_configILj256ELj4ELj4294967295EEENS1_37radix_sort_block_sort_config_selectorImNS0_10empty_typeEEEZNS1_21radix_sort_block_sortIS4_Lb1EPmS9_PS6_SA_NS0_19identity_decomposerEEE10hipError_tT1_T2_T3_T4_jRjT5_jjP12ihipStream_tbEUlT_E_NS1_11comp_targetILNS1_3genE4ELNS1_11target_archE910ELNS1_3gpuE8ELNS1_3repE0EEENS1_44radix_sort_block_sort_config_static_selectorELNS0_4arch9wavefront6targetE1EEEvSD_,comdat
	.protected	_ZN7rocprim17ROCPRIM_400000_NS6detail17trampoline_kernelINS0_13kernel_configILj256ELj4ELj4294967295EEENS1_37radix_sort_block_sort_config_selectorImNS0_10empty_typeEEEZNS1_21radix_sort_block_sortIS4_Lb1EPmS9_PS6_SA_NS0_19identity_decomposerEEE10hipError_tT1_T2_T3_T4_jRjT5_jjP12ihipStream_tbEUlT_E_NS1_11comp_targetILNS1_3genE4ELNS1_11target_archE910ELNS1_3gpuE8ELNS1_3repE0EEENS1_44radix_sort_block_sort_config_static_selectorELNS0_4arch9wavefront6targetE1EEEvSD_ ; -- Begin function _ZN7rocprim17ROCPRIM_400000_NS6detail17trampoline_kernelINS0_13kernel_configILj256ELj4ELj4294967295EEENS1_37radix_sort_block_sort_config_selectorImNS0_10empty_typeEEEZNS1_21radix_sort_block_sortIS4_Lb1EPmS9_PS6_SA_NS0_19identity_decomposerEEE10hipError_tT1_T2_T3_T4_jRjT5_jjP12ihipStream_tbEUlT_E_NS1_11comp_targetILNS1_3genE4ELNS1_11target_archE910ELNS1_3gpuE8ELNS1_3repE0EEENS1_44radix_sort_block_sort_config_static_selectorELNS0_4arch9wavefront6targetE1EEEvSD_
	.globl	_ZN7rocprim17ROCPRIM_400000_NS6detail17trampoline_kernelINS0_13kernel_configILj256ELj4ELj4294967295EEENS1_37radix_sort_block_sort_config_selectorImNS0_10empty_typeEEEZNS1_21radix_sort_block_sortIS4_Lb1EPmS9_PS6_SA_NS0_19identity_decomposerEEE10hipError_tT1_T2_T3_T4_jRjT5_jjP12ihipStream_tbEUlT_E_NS1_11comp_targetILNS1_3genE4ELNS1_11target_archE910ELNS1_3gpuE8ELNS1_3repE0EEENS1_44radix_sort_block_sort_config_static_selectorELNS0_4arch9wavefront6targetE1EEEvSD_
	.p2align	8
	.type	_ZN7rocprim17ROCPRIM_400000_NS6detail17trampoline_kernelINS0_13kernel_configILj256ELj4ELj4294967295EEENS1_37radix_sort_block_sort_config_selectorImNS0_10empty_typeEEEZNS1_21radix_sort_block_sortIS4_Lb1EPmS9_PS6_SA_NS0_19identity_decomposerEEE10hipError_tT1_T2_T3_T4_jRjT5_jjP12ihipStream_tbEUlT_E_NS1_11comp_targetILNS1_3genE4ELNS1_11target_archE910ELNS1_3gpuE8ELNS1_3repE0EEENS1_44radix_sort_block_sort_config_static_selectorELNS0_4arch9wavefront6targetE1EEEvSD_,@function
_ZN7rocprim17ROCPRIM_400000_NS6detail17trampoline_kernelINS0_13kernel_configILj256ELj4ELj4294967295EEENS1_37radix_sort_block_sort_config_selectorImNS0_10empty_typeEEEZNS1_21radix_sort_block_sortIS4_Lb1EPmS9_PS6_SA_NS0_19identity_decomposerEEE10hipError_tT1_T2_T3_T4_jRjT5_jjP12ihipStream_tbEUlT_E_NS1_11comp_targetILNS1_3genE4ELNS1_11target_archE910ELNS1_3gpuE8ELNS1_3repE0EEENS1_44radix_sort_block_sort_config_static_selectorELNS0_4arch9wavefront6targetE1EEEvSD_: ; @_ZN7rocprim17ROCPRIM_400000_NS6detail17trampoline_kernelINS0_13kernel_configILj256ELj4ELj4294967295EEENS1_37radix_sort_block_sort_config_selectorImNS0_10empty_typeEEEZNS1_21radix_sort_block_sortIS4_Lb1EPmS9_PS6_SA_NS0_19identity_decomposerEEE10hipError_tT1_T2_T3_T4_jRjT5_jjP12ihipStream_tbEUlT_E_NS1_11comp_targetILNS1_3genE4ELNS1_11target_archE910ELNS1_3gpuE8ELNS1_3repE0EEENS1_44radix_sort_block_sort_config_static_selectorELNS0_4arch9wavefront6targetE1EEEvSD_
; %bb.0:
	s_load_dword s7, s[4:5], 0x20
	s_load_dwordx4 s[28:31], s[4:5], 0x0
	s_lshl_b32 s0, s6, 10
	s_mov_b32 s1, 0
	v_mbcnt_lo_u32_b32 v1, -1, 0
	s_waitcnt lgkmcnt(0)
	s_lshr_b32 s2, s7, 10
	s_cmp_lg_u32 s6, s2
	s_cselect_b64 s[34:35], -1, 0
	s_lshl_b64 s[36:37], s[0:1], 3
	v_mbcnt_hi_u32_b32 v1, -1, v1
	v_and_b32_e32 v10, 0x3ff, v0
	s_add_u32 s1, s28, s36
	v_and_b32_e32 v14, 63, v1
	s_addc_u32 s3, s29, s37
	v_lshlrev_b32_e32 v11, 2, v10
	v_lshlrev_b32_e32 v2, 3, v14
	v_and_b32_e32 v16, 0x300, v11
	v_mov_b32_e32 v3, s3
	v_add_co_u32_e32 v2, vcc, s1, v2
	v_addc_co_u32_e32 v3, vcc, 0, v3, vcc
	v_lshlrev_b32_e32 v4, 3, v16
	v_add_co_u32_e32 v12, vcc, v2, v4
	s_cmp_eq_u32 s6, s2
	v_addc_co_u32_e32 v13, vcc, 0, v3, vcc
	v_or_b32_e32 v15, v14, v16
	s_cbranch_scc1 .LBB2218_2
; %bb.1:
	global_load_dwordx2 v[2:3], v[12:13], off
	global_load_dwordx2 v[4:5], v[12:13], off offset:512
	global_load_dwordx2 v[6:7], v[12:13], off offset:1024
	;; [unrolled: 1-line block ×3, first 2 shown]
	v_or_b32_e32 v18, v14, v16
	v_or_b32_e32 v14, 64, v18
	;; [unrolled: 1-line block ×4, first 2 shown]
	s_load_dwordx2 s[28:29], s[4:5], 0x28
	s_sub_i32 s33, s7, s0
	s_cbranch_execz .LBB2218_3
	s_branch .LBB2218_12
.LBB2218_2:
                                        ; implicit-def: $vgpr2_vgpr3_vgpr4_vgpr5_vgpr6_vgpr7_vgpr8_vgpr9
                                        ; implicit-def: $vgpr18
                                        ; implicit-def: $vgpr14
                                        ; implicit-def: $vgpr16
                                        ; implicit-def: $vgpr17
	s_load_dwordx2 s[28:29], s[4:5], 0x28
	s_sub_i32 s33, s7, s0
.LBB2218_3:
	s_mov_b32 s8, 0
	s_mov_b32 s9, s8
	;; [unrolled: 1-line block ×8, first 2 shown]
	s_waitcnt vmcnt(0)
	v_pk_mov_b32 v[2:3], s[8:9], s[8:9] op_sel:[0,1]
	v_cmp_gt_u32_e32 vcc, s33, v15
	v_pk_mov_b32 v[4:5], s[10:11], s[10:11] op_sel:[0,1]
	v_pk_mov_b32 v[6:7], s[12:13], s[12:13] op_sel:[0,1]
	;; [unrolled: 1-line block ×3, first 2 shown]
	s_and_saveexec_b64 s[0:1], vcc
	s_cbranch_execz .LBB2218_5
; %bb.4:
	global_load_dwordx2 v[2:3], v[12:13], off
	v_mov_b32_e32 v4, 0
	v_mov_b32_e32 v5, v4
	;; [unrolled: 1-line block ×6, first 2 shown]
.LBB2218_5:
	s_or_b64 exec, exec, s[0:1]
	v_or_b32_e32 v14, 64, v15
	v_cmp_gt_u32_e32 vcc, s33, v14
	s_and_saveexec_b64 s[0:1], vcc
	s_cbranch_execz .LBB2218_7
; %bb.6:
	global_load_dwordx2 v[4:5], v[12:13], off offset:512
.LBB2218_7:
	s_or_b64 exec, exec, s[0:1]
	v_or_b32_e32 v16, 0x80, v15
	v_cmp_gt_u32_e32 vcc, s33, v16
	s_and_saveexec_b64 s[0:1], vcc
	s_cbranch_execz .LBB2218_9
; %bb.8:
	global_load_dwordx2 v[6:7], v[12:13], off offset:1024
.LBB2218_9:
	;; [unrolled: 8-line block ×3, first 2 shown]
	s_or_b64 exec, exec, s[0:1]
	v_mov_b32_e32 v18, v15
.LBB2218_12:
	s_load_dword s2, s[4:5], 0x3c
	s_waitcnt lgkmcnt(0)
	s_add_i32 s38, s29, s28
	s_getpc_b64 s[0:1]
	s_add_u32 s0, s0, _ZN7rocprim17ROCPRIM_400000_NS16block_radix_sortImLj256ELj4ENS0_10empty_typeELj1ELj1ELj0ELNS0_26block_radix_rank_algorithmE1ELNS0_18block_padding_hintE2ELNS0_4arch9wavefront6targetE1EE19radix_bits_per_passE@rel32@lo+4
	s_addc_u32 s1, s1, _ZN7rocprim17ROCPRIM_400000_NS16block_radix_sortImLj256ELj4ENS0_10empty_typeELj1ELj1ELj0ELNS0_26block_radix_rank_algorithmE1ELNS0_18block_padding_hintE2ELNS0_4arch9wavefront6targetE1EE19radix_bits_per_passE@rel32@hi+12
	s_waitcnt vmcnt(0)
	v_not_b32_e32 v20, v4
	s_load_dword s39, s[0:1], 0x0
	s_lshr_b32 s0, s2, 16
	v_bfe_u32 v4, v0, 10, 10
	v_bfe_u32 v0, v0, 20, 10
	s_and_b32 s1, s2, 0xffff
	v_mad_u32_u24 v0, v0, s0, v4
	v_not_b32_e32 v21, v5
	v_mad_u64_u32 v[4:5], s[0:1], v0, s1, v[10:11]
	v_and_b32_e32 v0, 15, v1
	v_cmp_eq_u32_e64 s[0:1], 0, v0
	v_cmp_lt_u32_e64 s[2:3], 1, v0
	v_cmp_lt_u32_e64 s[4:5], 3, v0
	;; [unrolled: 1-line block ×3, first 2 shown]
	v_and_b32_e32 v0, 16, v1
	v_cmp_eq_u32_e64 s[8:9], 0, v0
	v_and_b32_e32 v0, 0x3c0, v10
	v_min_u32_e32 v0, 0xc0, v0
	v_or_b32_e32 v0, 63, v0
	v_lshrrev_b32_e32 v26, 6, v4
	v_cmp_eq_u32_e64 s[12:13], v0, v10
	v_add_u32_e32 v0, -1, v1
	v_and_b32_e32 v4, 64, v1
	v_cmp_lt_i32_e32 vcc, v0, v4
	v_cndmask_b32_e32 v0, v0, v1, vcc
	s_mov_b32 s26, 0
	v_lshlrev_b32_e32 v27, 2, v0
	v_lshrrev_b32_e32 v0, 4, v10
	v_lshlrev_b32_e32 v11, 2, v11
	v_cmp_lt_u32_e64 s[10:11], 31, v1
	v_cmp_eq_u32_e64 s[18:19], 0, v1
	v_and_b32_e32 v28, 60, v0
	v_mul_i32_i24_e32 v0, -12, v10
	v_and_b32_e32 v1, 3, v1
	s_mov_b32 s27, s26
	s_mov_b32 s40, s26
	;; [unrolled: 1-line block ×3, first 2 shown]
	v_not_b32_e32 v3, v3
	v_not_b32_e32 v2, v2
	v_not_b32_e32 v23, v7
	v_not_b32_e32 v22, v6
	v_not_b32_e32 v25, v9
	v_not_b32_e32 v24, v8
	v_cmp_gt_u32_e64 s[14:15], 4, v10
	v_cmp_lt_u32_e64 s[16:17], 63, v10
	v_cmp_eq_u32_e64 s[20:21], 0, v10
	v_cmp_eq_u32_e64 s[22:23], 0, v1
	v_cmp_lt_u32_e64 s[24:25], 1, v1
	v_add_u32_e32 v29, -4, v28
	v_lshlrev_b32_e32 v30, 3, v18
	v_lshlrev_b32_e32 v31, 3, v14
	;; [unrolled: 1-line block ×4, first 2 shown]
	v_pk_mov_b32 v[4:5], s[26:27], s[26:27] op_sel:[0,1]
	v_pk_mov_b32 v[6:7], s[40:41], s[40:41] op_sel:[0,1]
	v_add_u32_e32 v34, v11, v0
	v_mov_b32_e32 v8, 0
	s_branch .LBB2218_14
.LBB2218_13:                            ;   in Loop: Header=BB2218_14 Depth=1
	s_barrier
	ds_write_b64 v0, v[18:19]
	ds_write_b64 v1, v[16:17]
	;; [unrolled: 1-line block ×4, first 2 shown]
	s_waitcnt lgkmcnt(0)
	s_barrier
	ds_read_b64 v[2:3], v30
	ds_read_b64 v[20:21], v31
	;; [unrolled: 1-line block ×4, first 2 shown]
	s_add_i32 s29, s29, -8
	s_waitcnt lgkmcnt(0)
	s_barrier
	s_cbranch_execz .LBB2218_30
.LBB2218_14:                            ; =>This Inner Loop Header: Depth=1
	s_waitcnt lgkmcnt(0)
	s_min_u32 s26, s39, s29
	v_pk_mov_b32 v[18:19], v[2:3], v[2:3] op_sel:[0,1]
	s_lshl_b32 s26, -1, s26
	s_not_b32 s40, s26
	v_lshrrev_b64 v[0:1], s28, v[18:19]
	v_and_b32_e32 v0, s40, v0
	v_lshl_add_u32 v1, v0, 2, v26
	v_pk_mov_b32 v[16:17], v[20:21], v[20:21] op_sel:[0,1]
	v_lshl_add_u32 v20, v1, 2, 16
	v_and_b32_e32 v1, 1, v0
	v_add_co_u32_e32 v2, vcc, -1, v1
	v_addc_co_u32_e64 v3, s[26:27], 0, -1, vcc
	v_cmp_ne_u32_e32 vcc, 0, v1
	v_lshlrev_b32_e32 v9, 30, v0
	v_xor_b32_e32 v1, vcc_hi, v3
	v_not_b32_e32 v3, v9
	v_xor_b32_e32 v2, vcc_lo, v2
	v_cmp_gt_i64_e32 vcc, 0, v[8:9]
	v_ashrrev_i32_e32 v3, 31, v3
	v_and_b32_e32 v1, exec_hi, v1
	v_xor_b32_e32 v9, vcc_hi, v3
	v_and_b32_e32 v2, exec_lo, v2
	v_xor_b32_e32 v3, vcc_lo, v3
	v_and_b32_e32 v1, v1, v9
	v_lshlrev_b32_e32 v9, 29, v0
	v_and_b32_e32 v2, v2, v3
	v_not_b32_e32 v3, v9
	v_cmp_gt_i64_e32 vcc, 0, v[8:9]
	v_ashrrev_i32_e32 v3, 31, v3
	v_xor_b32_e32 v9, vcc_hi, v3
	v_xor_b32_e32 v3, vcc_lo, v3
	v_and_b32_e32 v1, v1, v9
	v_lshlrev_b32_e32 v9, 28, v0
	v_and_b32_e32 v2, v2, v3
	v_not_b32_e32 v3, v9
	v_cmp_gt_i64_e32 vcc, 0, v[8:9]
	v_ashrrev_i32_e32 v3, 31, v3
	v_xor_b32_e32 v9, vcc_hi, v3
	v_xor_b32_e32 v3, vcc_lo, v3
	v_and_b32_e32 v1, v1, v9
	v_lshlrev_b32_e32 v9, 27, v0
	v_and_b32_e32 v2, v2, v3
	v_not_b32_e32 v3, v9
	v_cmp_gt_i64_e32 vcc, 0, v[8:9]
	v_ashrrev_i32_e32 v3, 31, v3
	v_xor_b32_e32 v9, vcc_hi, v3
	v_xor_b32_e32 v3, vcc_lo, v3
	v_and_b32_e32 v1, v1, v9
	v_lshlrev_b32_e32 v9, 26, v0
	v_and_b32_e32 v2, v2, v3
	v_not_b32_e32 v3, v9
	v_cmp_gt_i64_e32 vcc, 0, v[8:9]
	v_ashrrev_i32_e32 v3, 31, v3
	v_xor_b32_e32 v9, vcc_hi, v3
	v_xor_b32_e32 v3, vcc_lo, v3
	v_and_b32_e32 v1, v1, v9
	v_lshlrev_b32_e32 v9, 25, v0
	v_and_b32_e32 v2, v2, v3
	v_not_b32_e32 v3, v9
	v_cmp_gt_i64_e32 vcc, 0, v[8:9]
	v_ashrrev_i32_e32 v3, 31, v3
	v_xor_b32_e32 v9, vcc_hi, v3
	v_and_b32_e32 v1, v1, v9
	v_lshlrev_b32_e32 v9, 24, v0
	v_not_b32_e32 v0, v9
	v_xor_b32_e32 v3, vcc_lo, v3
	v_cmp_gt_i64_e32 vcc, 0, v[8:9]
	v_ashrrev_i32_e32 v0, 31, v0
	v_and_b32_e32 v2, v2, v3
	v_xor_b32_e32 v3, vcc_hi, v0
	v_xor_b32_e32 v0, vcc_lo, v0
	v_and_b32_e32 v0, v2, v0
	v_and_b32_e32 v1, v1, v3
	v_mbcnt_lo_u32_b32 v2, v0, 0
	v_mbcnt_hi_u32_b32 v21, v1, v2
	v_cmp_eq_u32_e32 vcc, 0, v21
	v_cmp_ne_u64_e64 s[26:27], 0, v[0:1]
	v_pk_mov_b32 v[12:13], v[24:25], v[24:25] op_sel:[0,1]
	v_pk_mov_b32 v[14:15], v[22:23], v[22:23] op_sel:[0,1]
	s_and_b64 s[42:43], s[26:27], vcc
	ds_write2_b64 v11, v[4:5], v[6:7] offset0:2 offset1:3
	s_waitcnt lgkmcnt(0)
	s_barrier
	s_waitcnt lgkmcnt(0)
	; wave barrier
	s_and_saveexec_b64 s[26:27], s[42:43]
	s_cbranch_execz .LBB2218_16
; %bb.15:                               ;   in Loop: Header=BB2218_14 Depth=1
	v_bcnt_u32_b32 v0, v0, 0
	v_bcnt_u32_b32 v0, v1, v0
	ds_write_b32 v20, v0
.LBB2218_16:                            ;   in Loop: Header=BB2218_14 Depth=1
	s_or_b64 exec, exec, s[26:27]
	v_lshrrev_b64 v[0:1], s28, v[16:17]
	v_and_b32_e32 v0, s40, v0
	v_lshlrev_b32_e32 v1, 2, v0
	v_add_lshl_u32 v1, v1, v26, 2
	; wave barrier
	v_add_u32_e32 v23, 16, v1
	ds_read_b32 v22, v1 offset:16
	v_and_b32_e32 v1, 1, v0
	v_add_co_u32_e32 v2, vcc, -1, v1
	v_addc_co_u32_e64 v3, s[26:27], 0, -1, vcc
	v_cmp_ne_u32_e32 vcc, 0, v1
	v_lshlrev_b32_e32 v9, 30, v0
	v_xor_b32_e32 v1, vcc_hi, v3
	v_not_b32_e32 v3, v9
	v_xor_b32_e32 v2, vcc_lo, v2
	v_cmp_gt_i64_e32 vcc, 0, v[8:9]
	v_ashrrev_i32_e32 v3, 31, v3
	v_and_b32_e32 v1, exec_hi, v1
	v_xor_b32_e32 v9, vcc_hi, v3
	v_and_b32_e32 v2, exec_lo, v2
	v_xor_b32_e32 v3, vcc_lo, v3
	v_and_b32_e32 v1, v1, v9
	v_lshlrev_b32_e32 v9, 29, v0
	v_and_b32_e32 v2, v2, v3
	v_not_b32_e32 v3, v9
	v_cmp_gt_i64_e32 vcc, 0, v[8:9]
	v_ashrrev_i32_e32 v3, 31, v3
	v_xor_b32_e32 v9, vcc_hi, v3
	v_xor_b32_e32 v3, vcc_lo, v3
	v_and_b32_e32 v1, v1, v9
	v_lshlrev_b32_e32 v9, 28, v0
	v_and_b32_e32 v2, v2, v3
	v_not_b32_e32 v3, v9
	v_cmp_gt_i64_e32 vcc, 0, v[8:9]
	v_ashrrev_i32_e32 v3, 31, v3
	v_xor_b32_e32 v9, vcc_hi, v3
	;; [unrolled: 8-line block ×5, first 2 shown]
	v_and_b32_e32 v1, v1, v9
	v_lshlrev_b32_e32 v9, 24, v0
	v_not_b32_e32 v0, v9
	v_xor_b32_e32 v3, vcc_lo, v3
	v_cmp_gt_i64_e32 vcc, 0, v[8:9]
	v_ashrrev_i32_e32 v0, 31, v0
	v_and_b32_e32 v2, v2, v3
	v_xor_b32_e32 v3, vcc_hi, v0
	v_xor_b32_e32 v0, vcc_lo, v0
	v_and_b32_e32 v0, v2, v0
	v_and_b32_e32 v1, v1, v3
	v_mbcnt_lo_u32_b32 v2, v0, 0
	v_mbcnt_hi_u32_b32 v24, v1, v2
	v_cmp_eq_u32_e32 vcc, 0, v24
	v_cmp_ne_u64_e64 s[26:27], 0, v[0:1]
	s_and_b64 s[42:43], s[26:27], vcc
	; wave barrier
	s_and_saveexec_b64 s[26:27], s[42:43]
	s_cbranch_execz .LBB2218_18
; %bb.17:                               ;   in Loop: Header=BB2218_14 Depth=1
	v_bcnt_u32_b32 v0, v0, 0
	v_bcnt_u32_b32 v0, v1, v0
	s_waitcnt lgkmcnt(0)
	v_add_u32_e32 v0, v22, v0
	ds_write_b32 v23, v0
.LBB2218_18:                            ;   in Loop: Header=BB2218_14 Depth=1
	s_or_b64 exec, exec, s[26:27]
	v_lshrrev_b64 v[0:1], s28, v[14:15]
	v_and_b32_e32 v0, s40, v0
	v_lshlrev_b32_e32 v1, 2, v0
	v_add_lshl_u32 v1, v1, v26, 2
	; wave barrier
	v_add_u32_e32 v35, 16, v1
	ds_read_b32 v25, v1 offset:16
	v_and_b32_e32 v1, 1, v0
	v_add_co_u32_e32 v2, vcc, -1, v1
	v_addc_co_u32_e64 v3, s[26:27], 0, -1, vcc
	v_cmp_ne_u32_e32 vcc, 0, v1
	v_lshlrev_b32_e32 v9, 30, v0
	v_xor_b32_e32 v1, vcc_hi, v3
	v_not_b32_e32 v3, v9
	v_xor_b32_e32 v2, vcc_lo, v2
	v_cmp_gt_i64_e32 vcc, 0, v[8:9]
	v_ashrrev_i32_e32 v3, 31, v3
	v_and_b32_e32 v1, exec_hi, v1
	v_xor_b32_e32 v9, vcc_hi, v3
	v_and_b32_e32 v2, exec_lo, v2
	v_xor_b32_e32 v3, vcc_lo, v3
	v_and_b32_e32 v1, v1, v9
	v_lshlrev_b32_e32 v9, 29, v0
	v_and_b32_e32 v2, v2, v3
	v_not_b32_e32 v3, v9
	v_cmp_gt_i64_e32 vcc, 0, v[8:9]
	v_ashrrev_i32_e32 v3, 31, v3
	v_xor_b32_e32 v9, vcc_hi, v3
	v_xor_b32_e32 v3, vcc_lo, v3
	v_and_b32_e32 v1, v1, v9
	v_lshlrev_b32_e32 v9, 28, v0
	v_and_b32_e32 v2, v2, v3
	v_not_b32_e32 v3, v9
	v_cmp_gt_i64_e32 vcc, 0, v[8:9]
	v_ashrrev_i32_e32 v3, 31, v3
	v_xor_b32_e32 v9, vcc_hi, v3
	;; [unrolled: 8-line block ×5, first 2 shown]
	v_and_b32_e32 v1, v1, v9
	v_lshlrev_b32_e32 v9, 24, v0
	v_not_b32_e32 v0, v9
	v_xor_b32_e32 v3, vcc_lo, v3
	v_cmp_gt_i64_e32 vcc, 0, v[8:9]
	v_ashrrev_i32_e32 v0, 31, v0
	v_and_b32_e32 v2, v2, v3
	v_xor_b32_e32 v3, vcc_hi, v0
	v_xor_b32_e32 v0, vcc_lo, v0
	v_and_b32_e32 v0, v2, v0
	v_and_b32_e32 v1, v1, v3
	v_mbcnt_lo_u32_b32 v2, v0, 0
	v_mbcnt_hi_u32_b32 v36, v1, v2
	v_cmp_eq_u32_e32 vcc, 0, v36
	v_cmp_ne_u64_e64 s[26:27], 0, v[0:1]
	s_and_b64 s[42:43], s[26:27], vcc
	; wave barrier
	s_and_saveexec_b64 s[26:27], s[42:43]
	s_cbranch_execz .LBB2218_20
; %bb.19:                               ;   in Loop: Header=BB2218_14 Depth=1
	v_bcnt_u32_b32 v0, v0, 0
	v_bcnt_u32_b32 v0, v1, v0
	s_waitcnt lgkmcnt(0)
	v_add_u32_e32 v0, v25, v0
	ds_write_b32 v35, v0
.LBB2218_20:                            ;   in Loop: Header=BB2218_14 Depth=1
	s_or_b64 exec, exec, s[26:27]
	v_lshrrev_b64 v[0:1], s28, v[12:13]
	v_and_b32_e32 v0, s40, v0
	v_lshlrev_b32_e32 v1, 2, v0
	v_add_lshl_u32 v1, v1, v26, 2
	; wave barrier
	v_add_u32_e32 v38, 16, v1
	ds_read_b32 v37, v1 offset:16
	v_and_b32_e32 v1, 1, v0
	v_add_co_u32_e32 v2, vcc, -1, v1
	v_addc_co_u32_e64 v3, s[26:27], 0, -1, vcc
	v_cmp_ne_u32_e32 vcc, 0, v1
	v_lshlrev_b32_e32 v9, 30, v0
	v_xor_b32_e32 v1, vcc_hi, v3
	v_not_b32_e32 v3, v9
	v_xor_b32_e32 v2, vcc_lo, v2
	v_cmp_gt_i64_e32 vcc, 0, v[8:9]
	v_ashrrev_i32_e32 v3, 31, v3
	v_and_b32_e32 v1, exec_hi, v1
	v_xor_b32_e32 v9, vcc_hi, v3
	v_and_b32_e32 v2, exec_lo, v2
	v_xor_b32_e32 v3, vcc_lo, v3
	v_and_b32_e32 v1, v1, v9
	v_lshlrev_b32_e32 v9, 29, v0
	v_and_b32_e32 v2, v2, v3
	v_not_b32_e32 v3, v9
	v_cmp_gt_i64_e32 vcc, 0, v[8:9]
	v_ashrrev_i32_e32 v3, 31, v3
	v_xor_b32_e32 v9, vcc_hi, v3
	v_xor_b32_e32 v3, vcc_lo, v3
	v_and_b32_e32 v1, v1, v9
	v_lshlrev_b32_e32 v9, 28, v0
	v_and_b32_e32 v2, v2, v3
	v_not_b32_e32 v3, v9
	v_cmp_gt_i64_e32 vcc, 0, v[8:9]
	v_ashrrev_i32_e32 v3, 31, v3
	v_xor_b32_e32 v9, vcc_hi, v3
	v_xor_b32_e32 v3, vcc_lo, v3
	v_and_b32_e32 v1, v1, v9
	v_lshlrev_b32_e32 v9, 27, v0
	v_and_b32_e32 v2, v2, v3
	v_not_b32_e32 v3, v9
	v_cmp_gt_i64_e32 vcc, 0, v[8:9]
	v_ashrrev_i32_e32 v3, 31, v3
	v_xor_b32_e32 v9, vcc_hi, v3
	v_xor_b32_e32 v3, vcc_lo, v3
	v_and_b32_e32 v1, v1, v9
	v_lshlrev_b32_e32 v9, 26, v0
	v_and_b32_e32 v2, v2, v3
	v_not_b32_e32 v3, v9
	v_cmp_gt_i64_e32 vcc, 0, v[8:9]
	v_ashrrev_i32_e32 v3, 31, v3
	v_xor_b32_e32 v9, vcc_hi, v3
	v_xor_b32_e32 v3, vcc_lo, v3
	v_and_b32_e32 v1, v1, v9
	v_lshlrev_b32_e32 v9, 25, v0
	v_and_b32_e32 v2, v2, v3
	v_not_b32_e32 v3, v9
	v_cmp_gt_i64_e32 vcc, 0, v[8:9]
	v_ashrrev_i32_e32 v3, 31, v3
	v_xor_b32_e32 v9, vcc_hi, v3
	v_and_b32_e32 v1, v1, v9
	v_lshlrev_b32_e32 v9, 24, v0
	v_not_b32_e32 v0, v9
	v_xor_b32_e32 v3, vcc_lo, v3
	v_cmp_gt_i64_e32 vcc, 0, v[8:9]
	v_ashrrev_i32_e32 v0, 31, v0
	v_and_b32_e32 v2, v2, v3
	v_xor_b32_e32 v3, vcc_hi, v0
	v_xor_b32_e32 v0, vcc_lo, v0
	v_and_b32_e32 v0, v2, v0
	v_and_b32_e32 v1, v1, v3
	v_mbcnt_lo_u32_b32 v2, v0, 0
	v_mbcnt_hi_u32_b32 v9, v1, v2
	v_cmp_eq_u32_e32 vcc, 0, v9
	v_cmp_ne_u64_e64 s[26:27], 0, v[0:1]
	s_and_b64 s[40:41], s[26:27], vcc
	; wave barrier
	s_and_saveexec_b64 s[26:27], s[40:41]
	s_cbranch_execz .LBB2218_22
; %bb.21:                               ;   in Loop: Header=BB2218_14 Depth=1
	v_bcnt_u32_b32 v0, v0, 0
	v_bcnt_u32_b32 v0, v1, v0
	s_waitcnt lgkmcnt(0)
	v_add_u32_e32 v0, v37, v0
	ds_write_b32 v38, v0
.LBB2218_22:                            ;   in Loop: Header=BB2218_14 Depth=1
	s_or_b64 exec, exec, s[26:27]
	; wave barrier
	s_waitcnt lgkmcnt(0)
	s_barrier
	ds_read2_b64 v[0:3], v11 offset0:2 offset1:3
	s_waitcnt lgkmcnt(0)
	v_add_u32_e32 v39, v1, v0
	v_add3_u32 v3, v39, v2, v3
	s_nop 1
	v_mov_b32_dpp v39, v3 row_shr:1 row_mask:0xf bank_mask:0xf
	v_cndmask_b32_e64 v39, v39, 0, s[0:1]
	v_add_u32_e32 v3, v39, v3
	s_nop 1
	v_mov_b32_dpp v39, v3 row_shr:2 row_mask:0xf bank_mask:0xf
	v_cndmask_b32_e64 v39, 0, v39, s[2:3]
	v_add_u32_e32 v3, v3, v39
	;; [unrolled: 4-line block ×4, first 2 shown]
	s_nop 1
	v_mov_b32_dpp v39, v3 row_bcast:15 row_mask:0xf bank_mask:0xf
	v_cndmask_b32_e64 v39, v39, 0, s[8:9]
	v_add_u32_e32 v3, v3, v39
	s_nop 1
	v_mov_b32_dpp v39, v3 row_bcast:31 row_mask:0xf bank_mask:0xf
	v_cndmask_b32_e64 v39, 0, v39, s[10:11]
	v_add_u32_e32 v3, v3, v39
	s_and_saveexec_b64 s[26:27], s[12:13]
	s_cbranch_execz .LBB2218_24
; %bb.23:                               ;   in Loop: Header=BB2218_14 Depth=1
	ds_write_b32 v28, v3
.LBB2218_24:                            ;   in Loop: Header=BB2218_14 Depth=1
	s_or_b64 exec, exec, s[26:27]
	s_waitcnt lgkmcnt(0)
	s_barrier
	s_and_saveexec_b64 s[26:27], s[14:15]
	s_cbranch_execz .LBB2218_26
; %bb.25:                               ;   in Loop: Header=BB2218_14 Depth=1
	ds_read_b32 v39, v34
	s_waitcnt lgkmcnt(0)
	s_nop 0
	v_mov_b32_dpp v40, v39 row_shr:1 row_mask:0xf bank_mask:0xf
	v_cndmask_b32_e64 v40, v40, 0, s[22:23]
	v_add_u32_e32 v39, v40, v39
	s_nop 1
	v_mov_b32_dpp v40, v39 row_shr:2 row_mask:0xf bank_mask:0xf
	v_cndmask_b32_e64 v40, 0, v40, s[24:25]
	v_add_u32_e32 v39, v39, v40
	ds_write_b32 v34, v39
.LBB2218_26:                            ;   in Loop: Header=BB2218_14 Depth=1
	s_or_b64 exec, exec, s[26:27]
	v_mov_b32_e32 v39, 0
	s_waitcnt lgkmcnt(0)
	s_barrier
	s_and_saveexec_b64 s[26:27], s[16:17]
	s_cbranch_execz .LBB2218_28
; %bb.27:                               ;   in Loop: Header=BB2218_14 Depth=1
	ds_read_b32 v39, v29
.LBB2218_28:                            ;   in Loop: Header=BB2218_14 Depth=1
	s_or_b64 exec, exec, s[26:27]
	s_waitcnt lgkmcnt(0)
	v_add_u32_e32 v3, v39, v3
	ds_bpermute_b32 v3, v27, v3
	s_add_i32 s28, s28, 8
	s_cmp_ge_u32 s28, s38
	s_waitcnt lgkmcnt(0)
	v_cndmask_b32_e64 v3, v3, v39, s[18:19]
	v_cndmask_b32_e64 v40, v3, 0, s[20:21]
	v_add_u32_e32 v41, v40, v0
	v_add_u32_e32 v0, v41, v1
	;; [unrolled: 1-line block ×3, first 2 shown]
	ds_write2_b64 v11, v[40:41], v[0:1] offset0:2 offset1:3
	s_waitcnt lgkmcnt(0)
	s_barrier
	ds_read_b32 v0, v20
	ds_read_b32 v1, v23
	;; [unrolled: 1-line block ×4, first 2 shown]
	v_lshlrev_b32_e32 v20, 3, v21
	s_waitcnt lgkmcnt(3)
	v_lshl_add_u32 v0, v0, 3, v20
	v_lshlrev_b32_e32 v20, 3, v24
	v_lshlrev_b32_e32 v21, 3, v22
	s_waitcnt lgkmcnt(2)
	v_lshlrev_b32_e32 v1, 3, v1
	v_add3_u32 v1, v20, v21, v1
	v_lshlrev_b32_e32 v20, 3, v36
	v_lshlrev_b32_e32 v21, 3, v25
	s_waitcnt lgkmcnt(1)
	v_lshlrev_b32_e32 v2, 3, v2
	v_add3_u32 v35, v20, v21, v2
	;; [unrolled: 5-line block ×3, first 2 shown]
	s_cbranch_scc0 .LBB2218_13
; %bb.29:
                                        ; implicit-def: $vgpr24_vgpr25
                                        ; implicit-def: $vgpr22_vgpr23
                                        ; implicit-def: $vgpr20_vgpr21
                                        ; implicit-def: $vgpr2_vgpr3
                                        ; implicit-def: $sgpr28
.LBB2218_30:
	v_lshlrev_b32_e32 v11, 3, v10
	s_barrier
	ds_write_b64 v0, v[18:19]
	ds_write_b64 v1, v[16:17]
	ds_write_b64 v35, v[14:15]
	ds_write_b64 v9, v[12:13]
	s_waitcnt lgkmcnt(0)
	s_barrier
	ds_read2st64_b64 v[4:7], v11 offset1:4
	ds_read2st64_b64 v[0:3], v11 offset0:8 offset1:12
	s_add_u32 s0, s30, s36
	s_addc_u32 s1, s31, s37
	s_andn2_b64 vcc, exec, s[34:35]
	s_waitcnt lgkmcnt(1)
	v_not_b32_e32 v9, v5
	v_not_b32_e32 v8, v4
	s_waitcnt lgkmcnt(0)
	v_not_b32_e32 v5, v1
	v_not_b32_e32 v4, v0
	v_mov_b32_e32 v1, s1
	v_add_co_u32_e64 v0, s[0:1], s0, v11
	v_not_b32_e32 v7, v7
	v_not_b32_e32 v6, v6
	v_addc_co_u32_e64 v1, s[0:1], 0, v1, s[0:1]
	s_cbranch_vccnz .LBB2218_32
; %bb.31:
	v_add_co_u32_e32 v12, vcc, 0x1000, v0
	v_addc_co_u32_e32 v13, vcc, 0, v1, vcc
	s_mov_b64 s[0:1], -1
	global_store_dwordx2 v[0:1], v[8:9], off
	global_store_dwordx2 v[0:1], v[6:7], off offset:2048
	global_store_dwordx2 v[12:13], v[4:5], off
	s_cbranch_execz .LBB2218_33
	s_branch .LBB2218_40
.LBB2218_32:
	s_mov_b64 s[0:1], 0
.LBB2218_33:
	v_cmp_gt_u32_e32 vcc, s33, v10
	s_and_saveexec_b64 s[0:1], vcc
	s_cbranch_execz .LBB2218_35
; %bb.34:
	global_store_dwordx2 v[0:1], v[8:9], off
.LBB2218_35:
	s_or_b64 exec, exec, s[0:1]
	v_add_u32_e32 v8, 0x100, v10
	v_cmp_gt_u32_e32 vcc, s33, v8
	s_and_saveexec_b64 s[0:1], vcc
	s_cbranch_execz .LBB2218_37
; %bb.36:
	global_store_dwordx2 v[0:1], v[6:7], off offset:2048
.LBB2218_37:
	s_or_b64 exec, exec, s[0:1]
	v_add_u32_e32 v6, 0x200, v10
	v_cmp_gt_u32_e32 vcc, s33, v6
	s_and_saveexec_b64 s[0:1], vcc
	s_cbranch_execz .LBB2218_39
; %bb.38:
	v_add_co_u32_e32 v6, vcc, 0x1000, v0
	v_addc_co_u32_e32 v7, vcc, 0, v1, vcc
	global_store_dwordx2 v[6:7], v[4:5], off
.LBB2218_39:
	s_or_b64 exec, exec, s[0:1]
	v_add_u32_e32 v4, 0x300, v10
	v_cmp_gt_u32_e64 s[0:1], s33, v4
.LBB2218_40:
	s_and_saveexec_b64 s[2:3], s[0:1]
	s_cbranch_execnz .LBB2218_42
; %bb.41:
	s_endpgm
.LBB2218_42:
	v_add_co_u32_e32 v0, vcc, 0x1000, v0
	v_not_b32_e32 v3, v3
	v_not_b32_e32 v2, v2
	v_addc_co_u32_e32 v1, vcc, 0, v1, vcc
	global_store_dwordx2 v[0:1], v[2:3], off offset:2048
	s_endpgm
	.section	.rodata,"a",@progbits
	.p2align	6, 0x0
	.amdhsa_kernel _ZN7rocprim17ROCPRIM_400000_NS6detail17trampoline_kernelINS0_13kernel_configILj256ELj4ELj4294967295EEENS1_37radix_sort_block_sort_config_selectorImNS0_10empty_typeEEEZNS1_21radix_sort_block_sortIS4_Lb1EPmS9_PS6_SA_NS0_19identity_decomposerEEE10hipError_tT1_T2_T3_T4_jRjT5_jjP12ihipStream_tbEUlT_E_NS1_11comp_targetILNS1_3genE4ELNS1_11target_archE910ELNS1_3gpuE8ELNS1_3repE0EEENS1_44radix_sort_block_sort_config_static_selectorELNS0_4arch9wavefront6targetE1EEEvSD_
		.amdhsa_group_segment_fixed_size 8192
		.amdhsa_private_segment_fixed_size 0
		.amdhsa_kernarg_size 304
		.amdhsa_user_sgpr_count 6
		.amdhsa_user_sgpr_private_segment_buffer 1
		.amdhsa_user_sgpr_dispatch_ptr 0
		.amdhsa_user_sgpr_queue_ptr 0
		.amdhsa_user_sgpr_kernarg_segment_ptr 1
		.amdhsa_user_sgpr_dispatch_id 0
		.amdhsa_user_sgpr_flat_scratch_init 0
		.amdhsa_user_sgpr_kernarg_preload_length 0
		.amdhsa_user_sgpr_kernarg_preload_offset 0
		.amdhsa_user_sgpr_private_segment_size 0
		.amdhsa_uses_dynamic_stack 0
		.amdhsa_system_sgpr_private_segment_wavefront_offset 0
		.amdhsa_system_sgpr_workgroup_id_x 1
		.amdhsa_system_sgpr_workgroup_id_y 0
		.amdhsa_system_sgpr_workgroup_id_z 0
		.amdhsa_system_sgpr_workgroup_info 0
		.amdhsa_system_vgpr_workitem_id 2
		.amdhsa_next_free_vgpr 42
		.amdhsa_next_free_sgpr 44
		.amdhsa_accum_offset 44
		.amdhsa_reserve_vcc 1
		.amdhsa_reserve_flat_scratch 0
		.amdhsa_float_round_mode_32 0
		.amdhsa_float_round_mode_16_64 0
		.amdhsa_float_denorm_mode_32 3
		.amdhsa_float_denorm_mode_16_64 3
		.amdhsa_dx10_clamp 1
		.amdhsa_ieee_mode 1
		.amdhsa_fp16_overflow 0
		.amdhsa_tg_split 0
		.amdhsa_exception_fp_ieee_invalid_op 0
		.amdhsa_exception_fp_denorm_src 0
		.amdhsa_exception_fp_ieee_div_zero 0
		.amdhsa_exception_fp_ieee_overflow 0
		.amdhsa_exception_fp_ieee_underflow 0
		.amdhsa_exception_fp_ieee_inexact 0
		.amdhsa_exception_int_div_zero 0
	.end_amdhsa_kernel
	.section	.text._ZN7rocprim17ROCPRIM_400000_NS6detail17trampoline_kernelINS0_13kernel_configILj256ELj4ELj4294967295EEENS1_37radix_sort_block_sort_config_selectorImNS0_10empty_typeEEEZNS1_21radix_sort_block_sortIS4_Lb1EPmS9_PS6_SA_NS0_19identity_decomposerEEE10hipError_tT1_T2_T3_T4_jRjT5_jjP12ihipStream_tbEUlT_E_NS1_11comp_targetILNS1_3genE4ELNS1_11target_archE910ELNS1_3gpuE8ELNS1_3repE0EEENS1_44radix_sort_block_sort_config_static_selectorELNS0_4arch9wavefront6targetE1EEEvSD_,"axG",@progbits,_ZN7rocprim17ROCPRIM_400000_NS6detail17trampoline_kernelINS0_13kernel_configILj256ELj4ELj4294967295EEENS1_37radix_sort_block_sort_config_selectorImNS0_10empty_typeEEEZNS1_21radix_sort_block_sortIS4_Lb1EPmS9_PS6_SA_NS0_19identity_decomposerEEE10hipError_tT1_T2_T3_T4_jRjT5_jjP12ihipStream_tbEUlT_E_NS1_11comp_targetILNS1_3genE4ELNS1_11target_archE910ELNS1_3gpuE8ELNS1_3repE0EEENS1_44radix_sort_block_sort_config_static_selectorELNS0_4arch9wavefront6targetE1EEEvSD_,comdat
.Lfunc_end2218:
	.size	_ZN7rocprim17ROCPRIM_400000_NS6detail17trampoline_kernelINS0_13kernel_configILj256ELj4ELj4294967295EEENS1_37radix_sort_block_sort_config_selectorImNS0_10empty_typeEEEZNS1_21radix_sort_block_sortIS4_Lb1EPmS9_PS6_SA_NS0_19identity_decomposerEEE10hipError_tT1_T2_T3_T4_jRjT5_jjP12ihipStream_tbEUlT_E_NS1_11comp_targetILNS1_3genE4ELNS1_11target_archE910ELNS1_3gpuE8ELNS1_3repE0EEENS1_44radix_sort_block_sort_config_static_selectorELNS0_4arch9wavefront6targetE1EEEvSD_, .Lfunc_end2218-_ZN7rocprim17ROCPRIM_400000_NS6detail17trampoline_kernelINS0_13kernel_configILj256ELj4ELj4294967295EEENS1_37radix_sort_block_sort_config_selectorImNS0_10empty_typeEEEZNS1_21radix_sort_block_sortIS4_Lb1EPmS9_PS6_SA_NS0_19identity_decomposerEEE10hipError_tT1_T2_T3_T4_jRjT5_jjP12ihipStream_tbEUlT_E_NS1_11comp_targetILNS1_3genE4ELNS1_11target_archE910ELNS1_3gpuE8ELNS1_3repE0EEENS1_44radix_sort_block_sort_config_static_selectorELNS0_4arch9wavefront6targetE1EEEvSD_
                                        ; -- End function
	.section	.AMDGPU.csdata,"",@progbits
; Kernel info:
; codeLenInByte = 3284
; NumSgprs: 48
; NumVgprs: 42
; NumAgprs: 0
; TotalNumVgprs: 42
; ScratchSize: 0
; MemoryBound: 1
; FloatMode: 240
; IeeeMode: 1
; LDSByteSize: 8192 bytes/workgroup (compile time only)
; SGPRBlocks: 5
; VGPRBlocks: 5
; NumSGPRsForWavesPerEU: 48
; NumVGPRsForWavesPerEU: 42
; AccumOffset: 44
; Occupancy: 8
; WaveLimiterHint : 1
; COMPUTE_PGM_RSRC2:SCRATCH_EN: 0
; COMPUTE_PGM_RSRC2:USER_SGPR: 6
; COMPUTE_PGM_RSRC2:TRAP_HANDLER: 0
; COMPUTE_PGM_RSRC2:TGID_X_EN: 1
; COMPUTE_PGM_RSRC2:TGID_Y_EN: 0
; COMPUTE_PGM_RSRC2:TGID_Z_EN: 0
; COMPUTE_PGM_RSRC2:TIDIG_COMP_CNT: 2
; COMPUTE_PGM_RSRC3_GFX90A:ACCUM_OFFSET: 10
; COMPUTE_PGM_RSRC3_GFX90A:TG_SPLIT: 0
	.section	.text._ZN7rocprim17ROCPRIM_400000_NS6detail17trampoline_kernelINS0_13kernel_configILj256ELj4ELj4294967295EEENS1_37radix_sort_block_sort_config_selectorImNS0_10empty_typeEEEZNS1_21radix_sort_block_sortIS4_Lb1EPmS9_PS6_SA_NS0_19identity_decomposerEEE10hipError_tT1_T2_T3_T4_jRjT5_jjP12ihipStream_tbEUlT_E_NS1_11comp_targetILNS1_3genE3ELNS1_11target_archE908ELNS1_3gpuE7ELNS1_3repE0EEENS1_44radix_sort_block_sort_config_static_selectorELNS0_4arch9wavefront6targetE1EEEvSD_,"axG",@progbits,_ZN7rocprim17ROCPRIM_400000_NS6detail17trampoline_kernelINS0_13kernel_configILj256ELj4ELj4294967295EEENS1_37radix_sort_block_sort_config_selectorImNS0_10empty_typeEEEZNS1_21radix_sort_block_sortIS4_Lb1EPmS9_PS6_SA_NS0_19identity_decomposerEEE10hipError_tT1_T2_T3_T4_jRjT5_jjP12ihipStream_tbEUlT_E_NS1_11comp_targetILNS1_3genE3ELNS1_11target_archE908ELNS1_3gpuE7ELNS1_3repE0EEENS1_44radix_sort_block_sort_config_static_selectorELNS0_4arch9wavefront6targetE1EEEvSD_,comdat
	.protected	_ZN7rocprim17ROCPRIM_400000_NS6detail17trampoline_kernelINS0_13kernel_configILj256ELj4ELj4294967295EEENS1_37radix_sort_block_sort_config_selectorImNS0_10empty_typeEEEZNS1_21radix_sort_block_sortIS4_Lb1EPmS9_PS6_SA_NS0_19identity_decomposerEEE10hipError_tT1_T2_T3_T4_jRjT5_jjP12ihipStream_tbEUlT_E_NS1_11comp_targetILNS1_3genE3ELNS1_11target_archE908ELNS1_3gpuE7ELNS1_3repE0EEENS1_44radix_sort_block_sort_config_static_selectorELNS0_4arch9wavefront6targetE1EEEvSD_ ; -- Begin function _ZN7rocprim17ROCPRIM_400000_NS6detail17trampoline_kernelINS0_13kernel_configILj256ELj4ELj4294967295EEENS1_37radix_sort_block_sort_config_selectorImNS0_10empty_typeEEEZNS1_21radix_sort_block_sortIS4_Lb1EPmS9_PS6_SA_NS0_19identity_decomposerEEE10hipError_tT1_T2_T3_T4_jRjT5_jjP12ihipStream_tbEUlT_E_NS1_11comp_targetILNS1_3genE3ELNS1_11target_archE908ELNS1_3gpuE7ELNS1_3repE0EEENS1_44radix_sort_block_sort_config_static_selectorELNS0_4arch9wavefront6targetE1EEEvSD_
	.globl	_ZN7rocprim17ROCPRIM_400000_NS6detail17trampoline_kernelINS0_13kernel_configILj256ELj4ELj4294967295EEENS1_37radix_sort_block_sort_config_selectorImNS0_10empty_typeEEEZNS1_21radix_sort_block_sortIS4_Lb1EPmS9_PS6_SA_NS0_19identity_decomposerEEE10hipError_tT1_T2_T3_T4_jRjT5_jjP12ihipStream_tbEUlT_E_NS1_11comp_targetILNS1_3genE3ELNS1_11target_archE908ELNS1_3gpuE7ELNS1_3repE0EEENS1_44radix_sort_block_sort_config_static_selectorELNS0_4arch9wavefront6targetE1EEEvSD_
	.p2align	8
	.type	_ZN7rocprim17ROCPRIM_400000_NS6detail17trampoline_kernelINS0_13kernel_configILj256ELj4ELj4294967295EEENS1_37radix_sort_block_sort_config_selectorImNS0_10empty_typeEEEZNS1_21radix_sort_block_sortIS4_Lb1EPmS9_PS6_SA_NS0_19identity_decomposerEEE10hipError_tT1_T2_T3_T4_jRjT5_jjP12ihipStream_tbEUlT_E_NS1_11comp_targetILNS1_3genE3ELNS1_11target_archE908ELNS1_3gpuE7ELNS1_3repE0EEENS1_44radix_sort_block_sort_config_static_selectorELNS0_4arch9wavefront6targetE1EEEvSD_,@function
_ZN7rocprim17ROCPRIM_400000_NS6detail17trampoline_kernelINS0_13kernel_configILj256ELj4ELj4294967295EEENS1_37radix_sort_block_sort_config_selectorImNS0_10empty_typeEEEZNS1_21radix_sort_block_sortIS4_Lb1EPmS9_PS6_SA_NS0_19identity_decomposerEEE10hipError_tT1_T2_T3_T4_jRjT5_jjP12ihipStream_tbEUlT_E_NS1_11comp_targetILNS1_3genE3ELNS1_11target_archE908ELNS1_3gpuE7ELNS1_3repE0EEENS1_44radix_sort_block_sort_config_static_selectorELNS0_4arch9wavefront6targetE1EEEvSD_: ; @_ZN7rocprim17ROCPRIM_400000_NS6detail17trampoline_kernelINS0_13kernel_configILj256ELj4ELj4294967295EEENS1_37radix_sort_block_sort_config_selectorImNS0_10empty_typeEEEZNS1_21radix_sort_block_sortIS4_Lb1EPmS9_PS6_SA_NS0_19identity_decomposerEEE10hipError_tT1_T2_T3_T4_jRjT5_jjP12ihipStream_tbEUlT_E_NS1_11comp_targetILNS1_3genE3ELNS1_11target_archE908ELNS1_3gpuE7ELNS1_3repE0EEENS1_44radix_sort_block_sort_config_static_selectorELNS0_4arch9wavefront6targetE1EEEvSD_
; %bb.0:
	.section	.rodata,"a",@progbits
	.p2align	6, 0x0
	.amdhsa_kernel _ZN7rocprim17ROCPRIM_400000_NS6detail17trampoline_kernelINS0_13kernel_configILj256ELj4ELj4294967295EEENS1_37radix_sort_block_sort_config_selectorImNS0_10empty_typeEEEZNS1_21radix_sort_block_sortIS4_Lb1EPmS9_PS6_SA_NS0_19identity_decomposerEEE10hipError_tT1_T2_T3_T4_jRjT5_jjP12ihipStream_tbEUlT_E_NS1_11comp_targetILNS1_3genE3ELNS1_11target_archE908ELNS1_3gpuE7ELNS1_3repE0EEENS1_44radix_sort_block_sort_config_static_selectorELNS0_4arch9wavefront6targetE1EEEvSD_
		.amdhsa_group_segment_fixed_size 0
		.amdhsa_private_segment_fixed_size 0
		.amdhsa_kernarg_size 48
		.amdhsa_user_sgpr_count 6
		.amdhsa_user_sgpr_private_segment_buffer 1
		.amdhsa_user_sgpr_dispatch_ptr 0
		.amdhsa_user_sgpr_queue_ptr 0
		.amdhsa_user_sgpr_kernarg_segment_ptr 1
		.amdhsa_user_sgpr_dispatch_id 0
		.amdhsa_user_sgpr_flat_scratch_init 0
		.amdhsa_user_sgpr_kernarg_preload_length 0
		.amdhsa_user_sgpr_kernarg_preload_offset 0
		.amdhsa_user_sgpr_private_segment_size 0
		.amdhsa_uses_dynamic_stack 0
		.amdhsa_system_sgpr_private_segment_wavefront_offset 0
		.amdhsa_system_sgpr_workgroup_id_x 1
		.amdhsa_system_sgpr_workgroup_id_y 0
		.amdhsa_system_sgpr_workgroup_id_z 0
		.amdhsa_system_sgpr_workgroup_info 0
		.amdhsa_system_vgpr_workitem_id 0
		.amdhsa_next_free_vgpr 1
		.amdhsa_next_free_sgpr 0
		.amdhsa_accum_offset 4
		.amdhsa_reserve_vcc 0
		.amdhsa_reserve_flat_scratch 0
		.amdhsa_float_round_mode_32 0
		.amdhsa_float_round_mode_16_64 0
		.amdhsa_float_denorm_mode_32 3
		.amdhsa_float_denorm_mode_16_64 3
		.amdhsa_dx10_clamp 1
		.amdhsa_ieee_mode 1
		.amdhsa_fp16_overflow 0
		.amdhsa_tg_split 0
		.amdhsa_exception_fp_ieee_invalid_op 0
		.amdhsa_exception_fp_denorm_src 0
		.amdhsa_exception_fp_ieee_div_zero 0
		.amdhsa_exception_fp_ieee_overflow 0
		.amdhsa_exception_fp_ieee_underflow 0
		.amdhsa_exception_fp_ieee_inexact 0
		.amdhsa_exception_int_div_zero 0
	.end_amdhsa_kernel
	.section	.text._ZN7rocprim17ROCPRIM_400000_NS6detail17trampoline_kernelINS0_13kernel_configILj256ELj4ELj4294967295EEENS1_37radix_sort_block_sort_config_selectorImNS0_10empty_typeEEEZNS1_21radix_sort_block_sortIS4_Lb1EPmS9_PS6_SA_NS0_19identity_decomposerEEE10hipError_tT1_T2_T3_T4_jRjT5_jjP12ihipStream_tbEUlT_E_NS1_11comp_targetILNS1_3genE3ELNS1_11target_archE908ELNS1_3gpuE7ELNS1_3repE0EEENS1_44radix_sort_block_sort_config_static_selectorELNS0_4arch9wavefront6targetE1EEEvSD_,"axG",@progbits,_ZN7rocprim17ROCPRIM_400000_NS6detail17trampoline_kernelINS0_13kernel_configILj256ELj4ELj4294967295EEENS1_37radix_sort_block_sort_config_selectorImNS0_10empty_typeEEEZNS1_21radix_sort_block_sortIS4_Lb1EPmS9_PS6_SA_NS0_19identity_decomposerEEE10hipError_tT1_T2_T3_T4_jRjT5_jjP12ihipStream_tbEUlT_E_NS1_11comp_targetILNS1_3genE3ELNS1_11target_archE908ELNS1_3gpuE7ELNS1_3repE0EEENS1_44radix_sort_block_sort_config_static_selectorELNS0_4arch9wavefront6targetE1EEEvSD_,comdat
.Lfunc_end2219:
	.size	_ZN7rocprim17ROCPRIM_400000_NS6detail17trampoline_kernelINS0_13kernel_configILj256ELj4ELj4294967295EEENS1_37radix_sort_block_sort_config_selectorImNS0_10empty_typeEEEZNS1_21radix_sort_block_sortIS4_Lb1EPmS9_PS6_SA_NS0_19identity_decomposerEEE10hipError_tT1_T2_T3_T4_jRjT5_jjP12ihipStream_tbEUlT_E_NS1_11comp_targetILNS1_3genE3ELNS1_11target_archE908ELNS1_3gpuE7ELNS1_3repE0EEENS1_44radix_sort_block_sort_config_static_selectorELNS0_4arch9wavefront6targetE1EEEvSD_, .Lfunc_end2219-_ZN7rocprim17ROCPRIM_400000_NS6detail17trampoline_kernelINS0_13kernel_configILj256ELj4ELj4294967295EEENS1_37radix_sort_block_sort_config_selectorImNS0_10empty_typeEEEZNS1_21radix_sort_block_sortIS4_Lb1EPmS9_PS6_SA_NS0_19identity_decomposerEEE10hipError_tT1_T2_T3_T4_jRjT5_jjP12ihipStream_tbEUlT_E_NS1_11comp_targetILNS1_3genE3ELNS1_11target_archE908ELNS1_3gpuE7ELNS1_3repE0EEENS1_44radix_sort_block_sort_config_static_selectorELNS0_4arch9wavefront6targetE1EEEvSD_
                                        ; -- End function
	.section	.AMDGPU.csdata,"",@progbits
; Kernel info:
; codeLenInByte = 0
; NumSgprs: 4
; NumVgprs: 0
; NumAgprs: 0
; TotalNumVgprs: 0
; ScratchSize: 0
; MemoryBound: 0
; FloatMode: 240
; IeeeMode: 1
; LDSByteSize: 0 bytes/workgroup (compile time only)
; SGPRBlocks: 0
; VGPRBlocks: 0
; NumSGPRsForWavesPerEU: 4
; NumVGPRsForWavesPerEU: 1
; AccumOffset: 4
; Occupancy: 8
; WaveLimiterHint : 0
; COMPUTE_PGM_RSRC2:SCRATCH_EN: 0
; COMPUTE_PGM_RSRC2:USER_SGPR: 6
; COMPUTE_PGM_RSRC2:TRAP_HANDLER: 0
; COMPUTE_PGM_RSRC2:TGID_X_EN: 1
; COMPUTE_PGM_RSRC2:TGID_Y_EN: 0
; COMPUTE_PGM_RSRC2:TGID_Z_EN: 0
; COMPUTE_PGM_RSRC2:TIDIG_COMP_CNT: 0
; COMPUTE_PGM_RSRC3_GFX90A:ACCUM_OFFSET: 0
; COMPUTE_PGM_RSRC3_GFX90A:TG_SPLIT: 0
	.section	.text._ZN7rocprim17ROCPRIM_400000_NS6detail17trampoline_kernelINS0_13kernel_configILj256ELj4ELj4294967295EEENS1_37radix_sort_block_sort_config_selectorImNS0_10empty_typeEEEZNS1_21radix_sort_block_sortIS4_Lb1EPmS9_PS6_SA_NS0_19identity_decomposerEEE10hipError_tT1_T2_T3_T4_jRjT5_jjP12ihipStream_tbEUlT_E_NS1_11comp_targetILNS1_3genE2ELNS1_11target_archE906ELNS1_3gpuE6ELNS1_3repE0EEENS1_44radix_sort_block_sort_config_static_selectorELNS0_4arch9wavefront6targetE1EEEvSD_,"axG",@progbits,_ZN7rocprim17ROCPRIM_400000_NS6detail17trampoline_kernelINS0_13kernel_configILj256ELj4ELj4294967295EEENS1_37radix_sort_block_sort_config_selectorImNS0_10empty_typeEEEZNS1_21radix_sort_block_sortIS4_Lb1EPmS9_PS6_SA_NS0_19identity_decomposerEEE10hipError_tT1_T2_T3_T4_jRjT5_jjP12ihipStream_tbEUlT_E_NS1_11comp_targetILNS1_3genE2ELNS1_11target_archE906ELNS1_3gpuE6ELNS1_3repE0EEENS1_44radix_sort_block_sort_config_static_selectorELNS0_4arch9wavefront6targetE1EEEvSD_,comdat
	.protected	_ZN7rocprim17ROCPRIM_400000_NS6detail17trampoline_kernelINS0_13kernel_configILj256ELj4ELj4294967295EEENS1_37radix_sort_block_sort_config_selectorImNS0_10empty_typeEEEZNS1_21radix_sort_block_sortIS4_Lb1EPmS9_PS6_SA_NS0_19identity_decomposerEEE10hipError_tT1_T2_T3_T4_jRjT5_jjP12ihipStream_tbEUlT_E_NS1_11comp_targetILNS1_3genE2ELNS1_11target_archE906ELNS1_3gpuE6ELNS1_3repE0EEENS1_44radix_sort_block_sort_config_static_selectorELNS0_4arch9wavefront6targetE1EEEvSD_ ; -- Begin function _ZN7rocprim17ROCPRIM_400000_NS6detail17trampoline_kernelINS0_13kernel_configILj256ELj4ELj4294967295EEENS1_37radix_sort_block_sort_config_selectorImNS0_10empty_typeEEEZNS1_21radix_sort_block_sortIS4_Lb1EPmS9_PS6_SA_NS0_19identity_decomposerEEE10hipError_tT1_T2_T3_T4_jRjT5_jjP12ihipStream_tbEUlT_E_NS1_11comp_targetILNS1_3genE2ELNS1_11target_archE906ELNS1_3gpuE6ELNS1_3repE0EEENS1_44radix_sort_block_sort_config_static_selectorELNS0_4arch9wavefront6targetE1EEEvSD_
	.globl	_ZN7rocprim17ROCPRIM_400000_NS6detail17trampoline_kernelINS0_13kernel_configILj256ELj4ELj4294967295EEENS1_37radix_sort_block_sort_config_selectorImNS0_10empty_typeEEEZNS1_21radix_sort_block_sortIS4_Lb1EPmS9_PS6_SA_NS0_19identity_decomposerEEE10hipError_tT1_T2_T3_T4_jRjT5_jjP12ihipStream_tbEUlT_E_NS1_11comp_targetILNS1_3genE2ELNS1_11target_archE906ELNS1_3gpuE6ELNS1_3repE0EEENS1_44radix_sort_block_sort_config_static_selectorELNS0_4arch9wavefront6targetE1EEEvSD_
	.p2align	8
	.type	_ZN7rocprim17ROCPRIM_400000_NS6detail17trampoline_kernelINS0_13kernel_configILj256ELj4ELj4294967295EEENS1_37radix_sort_block_sort_config_selectorImNS0_10empty_typeEEEZNS1_21radix_sort_block_sortIS4_Lb1EPmS9_PS6_SA_NS0_19identity_decomposerEEE10hipError_tT1_T2_T3_T4_jRjT5_jjP12ihipStream_tbEUlT_E_NS1_11comp_targetILNS1_3genE2ELNS1_11target_archE906ELNS1_3gpuE6ELNS1_3repE0EEENS1_44radix_sort_block_sort_config_static_selectorELNS0_4arch9wavefront6targetE1EEEvSD_,@function
_ZN7rocprim17ROCPRIM_400000_NS6detail17trampoline_kernelINS0_13kernel_configILj256ELj4ELj4294967295EEENS1_37radix_sort_block_sort_config_selectorImNS0_10empty_typeEEEZNS1_21radix_sort_block_sortIS4_Lb1EPmS9_PS6_SA_NS0_19identity_decomposerEEE10hipError_tT1_T2_T3_T4_jRjT5_jjP12ihipStream_tbEUlT_E_NS1_11comp_targetILNS1_3genE2ELNS1_11target_archE906ELNS1_3gpuE6ELNS1_3repE0EEENS1_44radix_sort_block_sort_config_static_selectorELNS0_4arch9wavefront6targetE1EEEvSD_: ; @_ZN7rocprim17ROCPRIM_400000_NS6detail17trampoline_kernelINS0_13kernel_configILj256ELj4ELj4294967295EEENS1_37radix_sort_block_sort_config_selectorImNS0_10empty_typeEEEZNS1_21radix_sort_block_sortIS4_Lb1EPmS9_PS6_SA_NS0_19identity_decomposerEEE10hipError_tT1_T2_T3_T4_jRjT5_jjP12ihipStream_tbEUlT_E_NS1_11comp_targetILNS1_3genE2ELNS1_11target_archE906ELNS1_3gpuE6ELNS1_3repE0EEENS1_44radix_sort_block_sort_config_static_selectorELNS0_4arch9wavefront6targetE1EEEvSD_
; %bb.0:
	.section	.rodata,"a",@progbits
	.p2align	6, 0x0
	.amdhsa_kernel _ZN7rocprim17ROCPRIM_400000_NS6detail17trampoline_kernelINS0_13kernel_configILj256ELj4ELj4294967295EEENS1_37radix_sort_block_sort_config_selectorImNS0_10empty_typeEEEZNS1_21radix_sort_block_sortIS4_Lb1EPmS9_PS6_SA_NS0_19identity_decomposerEEE10hipError_tT1_T2_T3_T4_jRjT5_jjP12ihipStream_tbEUlT_E_NS1_11comp_targetILNS1_3genE2ELNS1_11target_archE906ELNS1_3gpuE6ELNS1_3repE0EEENS1_44radix_sort_block_sort_config_static_selectorELNS0_4arch9wavefront6targetE1EEEvSD_
		.amdhsa_group_segment_fixed_size 0
		.amdhsa_private_segment_fixed_size 0
		.amdhsa_kernarg_size 48
		.amdhsa_user_sgpr_count 6
		.amdhsa_user_sgpr_private_segment_buffer 1
		.amdhsa_user_sgpr_dispatch_ptr 0
		.amdhsa_user_sgpr_queue_ptr 0
		.amdhsa_user_sgpr_kernarg_segment_ptr 1
		.amdhsa_user_sgpr_dispatch_id 0
		.amdhsa_user_sgpr_flat_scratch_init 0
		.amdhsa_user_sgpr_kernarg_preload_length 0
		.amdhsa_user_sgpr_kernarg_preload_offset 0
		.amdhsa_user_sgpr_private_segment_size 0
		.amdhsa_uses_dynamic_stack 0
		.amdhsa_system_sgpr_private_segment_wavefront_offset 0
		.amdhsa_system_sgpr_workgroup_id_x 1
		.amdhsa_system_sgpr_workgroup_id_y 0
		.amdhsa_system_sgpr_workgroup_id_z 0
		.amdhsa_system_sgpr_workgroup_info 0
		.amdhsa_system_vgpr_workitem_id 0
		.amdhsa_next_free_vgpr 1
		.amdhsa_next_free_sgpr 0
		.amdhsa_accum_offset 4
		.amdhsa_reserve_vcc 0
		.amdhsa_reserve_flat_scratch 0
		.amdhsa_float_round_mode_32 0
		.amdhsa_float_round_mode_16_64 0
		.amdhsa_float_denorm_mode_32 3
		.amdhsa_float_denorm_mode_16_64 3
		.amdhsa_dx10_clamp 1
		.amdhsa_ieee_mode 1
		.amdhsa_fp16_overflow 0
		.amdhsa_tg_split 0
		.amdhsa_exception_fp_ieee_invalid_op 0
		.amdhsa_exception_fp_denorm_src 0
		.amdhsa_exception_fp_ieee_div_zero 0
		.amdhsa_exception_fp_ieee_overflow 0
		.amdhsa_exception_fp_ieee_underflow 0
		.amdhsa_exception_fp_ieee_inexact 0
		.amdhsa_exception_int_div_zero 0
	.end_amdhsa_kernel
	.section	.text._ZN7rocprim17ROCPRIM_400000_NS6detail17trampoline_kernelINS0_13kernel_configILj256ELj4ELj4294967295EEENS1_37radix_sort_block_sort_config_selectorImNS0_10empty_typeEEEZNS1_21radix_sort_block_sortIS4_Lb1EPmS9_PS6_SA_NS0_19identity_decomposerEEE10hipError_tT1_T2_T3_T4_jRjT5_jjP12ihipStream_tbEUlT_E_NS1_11comp_targetILNS1_3genE2ELNS1_11target_archE906ELNS1_3gpuE6ELNS1_3repE0EEENS1_44radix_sort_block_sort_config_static_selectorELNS0_4arch9wavefront6targetE1EEEvSD_,"axG",@progbits,_ZN7rocprim17ROCPRIM_400000_NS6detail17trampoline_kernelINS0_13kernel_configILj256ELj4ELj4294967295EEENS1_37radix_sort_block_sort_config_selectorImNS0_10empty_typeEEEZNS1_21radix_sort_block_sortIS4_Lb1EPmS9_PS6_SA_NS0_19identity_decomposerEEE10hipError_tT1_T2_T3_T4_jRjT5_jjP12ihipStream_tbEUlT_E_NS1_11comp_targetILNS1_3genE2ELNS1_11target_archE906ELNS1_3gpuE6ELNS1_3repE0EEENS1_44radix_sort_block_sort_config_static_selectorELNS0_4arch9wavefront6targetE1EEEvSD_,comdat
.Lfunc_end2220:
	.size	_ZN7rocprim17ROCPRIM_400000_NS6detail17trampoline_kernelINS0_13kernel_configILj256ELj4ELj4294967295EEENS1_37radix_sort_block_sort_config_selectorImNS0_10empty_typeEEEZNS1_21radix_sort_block_sortIS4_Lb1EPmS9_PS6_SA_NS0_19identity_decomposerEEE10hipError_tT1_T2_T3_T4_jRjT5_jjP12ihipStream_tbEUlT_E_NS1_11comp_targetILNS1_3genE2ELNS1_11target_archE906ELNS1_3gpuE6ELNS1_3repE0EEENS1_44radix_sort_block_sort_config_static_selectorELNS0_4arch9wavefront6targetE1EEEvSD_, .Lfunc_end2220-_ZN7rocprim17ROCPRIM_400000_NS6detail17trampoline_kernelINS0_13kernel_configILj256ELj4ELj4294967295EEENS1_37radix_sort_block_sort_config_selectorImNS0_10empty_typeEEEZNS1_21radix_sort_block_sortIS4_Lb1EPmS9_PS6_SA_NS0_19identity_decomposerEEE10hipError_tT1_T2_T3_T4_jRjT5_jjP12ihipStream_tbEUlT_E_NS1_11comp_targetILNS1_3genE2ELNS1_11target_archE906ELNS1_3gpuE6ELNS1_3repE0EEENS1_44radix_sort_block_sort_config_static_selectorELNS0_4arch9wavefront6targetE1EEEvSD_
                                        ; -- End function
	.section	.AMDGPU.csdata,"",@progbits
; Kernel info:
; codeLenInByte = 0
; NumSgprs: 4
; NumVgprs: 0
; NumAgprs: 0
; TotalNumVgprs: 0
; ScratchSize: 0
; MemoryBound: 0
; FloatMode: 240
; IeeeMode: 1
; LDSByteSize: 0 bytes/workgroup (compile time only)
; SGPRBlocks: 0
; VGPRBlocks: 0
; NumSGPRsForWavesPerEU: 4
; NumVGPRsForWavesPerEU: 1
; AccumOffset: 4
; Occupancy: 8
; WaveLimiterHint : 0
; COMPUTE_PGM_RSRC2:SCRATCH_EN: 0
; COMPUTE_PGM_RSRC2:USER_SGPR: 6
; COMPUTE_PGM_RSRC2:TRAP_HANDLER: 0
; COMPUTE_PGM_RSRC2:TGID_X_EN: 1
; COMPUTE_PGM_RSRC2:TGID_Y_EN: 0
; COMPUTE_PGM_RSRC2:TGID_Z_EN: 0
; COMPUTE_PGM_RSRC2:TIDIG_COMP_CNT: 0
; COMPUTE_PGM_RSRC3_GFX90A:ACCUM_OFFSET: 0
; COMPUTE_PGM_RSRC3_GFX90A:TG_SPLIT: 0
	.section	.text._ZN7rocprim17ROCPRIM_400000_NS6detail17trampoline_kernelINS0_13kernel_configILj256ELj4ELj4294967295EEENS1_37radix_sort_block_sort_config_selectorImNS0_10empty_typeEEEZNS1_21radix_sort_block_sortIS4_Lb1EPmS9_PS6_SA_NS0_19identity_decomposerEEE10hipError_tT1_T2_T3_T4_jRjT5_jjP12ihipStream_tbEUlT_E_NS1_11comp_targetILNS1_3genE10ELNS1_11target_archE1201ELNS1_3gpuE5ELNS1_3repE0EEENS1_44radix_sort_block_sort_config_static_selectorELNS0_4arch9wavefront6targetE1EEEvSD_,"axG",@progbits,_ZN7rocprim17ROCPRIM_400000_NS6detail17trampoline_kernelINS0_13kernel_configILj256ELj4ELj4294967295EEENS1_37radix_sort_block_sort_config_selectorImNS0_10empty_typeEEEZNS1_21radix_sort_block_sortIS4_Lb1EPmS9_PS6_SA_NS0_19identity_decomposerEEE10hipError_tT1_T2_T3_T4_jRjT5_jjP12ihipStream_tbEUlT_E_NS1_11comp_targetILNS1_3genE10ELNS1_11target_archE1201ELNS1_3gpuE5ELNS1_3repE0EEENS1_44radix_sort_block_sort_config_static_selectorELNS0_4arch9wavefront6targetE1EEEvSD_,comdat
	.protected	_ZN7rocprim17ROCPRIM_400000_NS6detail17trampoline_kernelINS0_13kernel_configILj256ELj4ELj4294967295EEENS1_37radix_sort_block_sort_config_selectorImNS0_10empty_typeEEEZNS1_21radix_sort_block_sortIS4_Lb1EPmS9_PS6_SA_NS0_19identity_decomposerEEE10hipError_tT1_T2_T3_T4_jRjT5_jjP12ihipStream_tbEUlT_E_NS1_11comp_targetILNS1_3genE10ELNS1_11target_archE1201ELNS1_3gpuE5ELNS1_3repE0EEENS1_44radix_sort_block_sort_config_static_selectorELNS0_4arch9wavefront6targetE1EEEvSD_ ; -- Begin function _ZN7rocprim17ROCPRIM_400000_NS6detail17trampoline_kernelINS0_13kernel_configILj256ELj4ELj4294967295EEENS1_37radix_sort_block_sort_config_selectorImNS0_10empty_typeEEEZNS1_21radix_sort_block_sortIS4_Lb1EPmS9_PS6_SA_NS0_19identity_decomposerEEE10hipError_tT1_T2_T3_T4_jRjT5_jjP12ihipStream_tbEUlT_E_NS1_11comp_targetILNS1_3genE10ELNS1_11target_archE1201ELNS1_3gpuE5ELNS1_3repE0EEENS1_44radix_sort_block_sort_config_static_selectorELNS0_4arch9wavefront6targetE1EEEvSD_
	.globl	_ZN7rocprim17ROCPRIM_400000_NS6detail17trampoline_kernelINS0_13kernel_configILj256ELj4ELj4294967295EEENS1_37radix_sort_block_sort_config_selectorImNS0_10empty_typeEEEZNS1_21radix_sort_block_sortIS4_Lb1EPmS9_PS6_SA_NS0_19identity_decomposerEEE10hipError_tT1_T2_T3_T4_jRjT5_jjP12ihipStream_tbEUlT_E_NS1_11comp_targetILNS1_3genE10ELNS1_11target_archE1201ELNS1_3gpuE5ELNS1_3repE0EEENS1_44radix_sort_block_sort_config_static_selectorELNS0_4arch9wavefront6targetE1EEEvSD_
	.p2align	8
	.type	_ZN7rocprim17ROCPRIM_400000_NS6detail17trampoline_kernelINS0_13kernel_configILj256ELj4ELj4294967295EEENS1_37radix_sort_block_sort_config_selectorImNS0_10empty_typeEEEZNS1_21radix_sort_block_sortIS4_Lb1EPmS9_PS6_SA_NS0_19identity_decomposerEEE10hipError_tT1_T2_T3_T4_jRjT5_jjP12ihipStream_tbEUlT_E_NS1_11comp_targetILNS1_3genE10ELNS1_11target_archE1201ELNS1_3gpuE5ELNS1_3repE0EEENS1_44radix_sort_block_sort_config_static_selectorELNS0_4arch9wavefront6targetE1EEEvSD_,@function
_ZN7rocprim17ROCPRIM_400000_NS6detail17trampoline_kernelINS0_13kernel_configILj256ELj4ELj4294967295EEENS1_37radix_sort_block_sort_config_selectorImNS0_10empty_typeEEEZNS1_21radix_sort_block_sortIS4_Lb1EPmS9_PS6_SA_NS0_19identity_decomposerEEE10hipError_tT1_T2_T3_T4_jRjT5_jjP12ihipStream_tbEUlT_E_NS1_11comp_targetILNS1_3genE10ELNS1_11target_archE1201ELNS1_3gpuE5ELNS1_3repE0EEENS1_44radix_sort_block_sort_config_static_selectorELNS0_4arch9wavefront6targetE1EEEvSD_: ; @_ZN7rocprim17ROCPRIM_400000_NS6detail17trampoline_kernelINS0_13kernel_configILj256ELj4ELj4294967295EEENS1_37radix_sort_block_sort_config_selectorImNS0_10empty_typeEEEZNS1_21radix_sort_block_sortIS4_Lb1EPmS9_PS6_SA_NS0_19identity_decomposerEEE10hipError_tT1_T2_T3_T4_jRjT5_jjP12ihipStream_tbEUlT_E_NS1_11comp_targetILNS1_3genE10ELNS1_11target_archE1201ELNS1_3gpuE5ELNS1_3repE0EEENS1_44radix_sort_block_sort_config_static_selectorELNS0_4arch9wavefront6targetE1EEEvSD_
; %bb.0:
	.section	.rodata,"a",@progbits
	.p2align	6, 0x0
	.amdhsa_kernel _ZN7rocprim17ROCPRIM_400000_NS6detail17trampoline_kernelINS0_13kernel_configILj256ELj4ELj4294967295EEENS1_37radix_sort_block_sort_config_selectorImNS0_10empty_typeEEEZNS1_21radix_sort_block_sortIS4_Lb1EPmS9_PS6_SA_NS0_19identity_decomposerEEE10hipError_tT1_T2_T3_T4_jRjT5_jjP12ihipStream_tbEUlT_E_NS1_11comp_targetILNS1_3genE10ELNS1_11target_archE1201ELNS1_3gpuE5ELNS1_3repE0EEENS1_44radix_sort_block_sort_config_static_selectorELNS0_4arch9wavefront6targetE1EEEvSD_
		.amdhsa_group_segment_fixed_size 0
		.amdhsa_private_segment_fixed_size 0
		.amdhsa_kernarg_size 48
		.amdhsa_user_sgpr_count 6
		.amdhsa_user_sgpr_private_segment_buffer 1
		.amdhsa_user_sgpr_dispatch_ptr 0
		.amdhsa_user_sgpr_queue_ptr 0
		.amdhsa_user_sgpr_kernarg_segment_ptr 1
		.amdhsa_user_sgpr_dispatch_id 0
		.amdhsa_user_sgpr_flat_scratch_init 0
		.amdhsa_user_sgpr_kernarg_preload_length 0
		.amdhsa_user_sgpr_kernarg_preload_offset 0
		.amdhsa_user_sgpr_private_segment_size 0
		.amdhsa_uses_dynamic_stack 0
		.amdhsa_system_sgpr_private_segment_wavefront_offset 0
		.amdhsa_system_sgpr_workgroup_id_x 1
		.amdhsa_system_sgpr_workgroup_id_y 0
		.amdhsa_system_sgpr_workgroup_id_z 0
		.amdhsa_system_sgpr_workgroup_info 0
		.amdhsa_system_vgpr_workitem_id 0
		.amdhsa_next_free_vgpr 1
		.amdhsa_next_free_sgpr 0
		.amdhsa_accum_offset 4
		.amdhsa_reserve_vcc 0
		.amdhsa_reserve_flat_scratch 0
		.amdhsa_float_round_mode_32 0
		.amdhsa_float_round_mode_16_64 0
		.amdhsa_float_denorm_mode_32 3
		.amdhsa_float_denorm_mode_16_64 3
		.amdhsa_dx10_clamp 1
		.amdhsa_ieee_mode 1
		.amdhsa_fp16_overflow 0
		.amdhsa_tg_split 0
		.amdhsa_exception_fp_ieee_invalid_op 0
		.amdhsa_exception_fp_denorm_src 0
		.amdhsa_exception_fp_ieee_div_zero 0
		.amdhsa_exception_fp_ieee_overflow 0
		.amdhsa_exception_fp_ieee_underflow 0
		.amdhsa_exception_fp_ieee_inexact 0
		.amdhsa_exception_int_div_zero 0
	.end_amdhsa_kernel
	.section	.text._ZN7rocprim17ROCPRIM_400000_NS6detail17trampoline_kernelINS0_13kernel_configILj256ELj4ELj4294967295EEENS1_37radix_sort_block_sort_config_selectorImNS0_10empty_typeEEEZNS1_21radix_sort_block_sortIS4_Lb1EPmS9_PS6_SA_NS0_19identity_decomposerEEE10hipError_tT1_T2_T3_T4_jRjT5_jjP12ihipStream_tbEUlT_E_NS1_11comp_targetILNS1_3genE10ELNS1_11target_archE1201ELNS1_3gpuE5ELNS1_3repE0EEENS1_44radix_sort_block_sort_config_static_selectorELNS0_4arch9wavefront6targetE1EEEvSD_,"axG",@progbits,_ZN7rocprim17ROCPRIM_400000_NS6detail17trampoline_kernelINS0_13kernel_configILj256ELj4ELj4294967295EEENS1_37radix_sort_block_sort_config_selectorImNS0_10empty_typeEEEZNS1_21radix_sort_block_sortIS4_Lb1EPmS9_PS6_SA_NS0_19identity_decomposerEEE10hipError_tT1_T2_T3_T4_jRjT5_jjP12ihipStream_tbEUlT_E_NS1_11comp_targetILNS1_3genE10ELNS1_11target_archE1201ELNS1_3gpuE5ELNS1_3repE0EEENS1_44radix_sort_block_sort_config_static_selectorELNS0_4arch9wavefront6targetE1EEEvSD_,comdat
.Lfunc_end2221:
	.size	_ZN7rocprim17ROCPRIM_400000_NS6detail17trampoline_kernelINS0_13kernel_configILj256ELj4ELj4294967295EEENS1_37radix_sort_block_sort_config_selectorImNS0_10empty_typeEEEZNS1_21radix_sort_block_sortIS4_Lb1EPmS9_PS6_SA_NS0_19identity_decomposerEEE10hipError_tT1_T2_T3_T4_jRjT5_jjP12ihipStream_tbEUlT_E_NS1_11comp_targetILNS1_3genE10ELNS1_11target_archE1201ELNS1_3gpuE5ELNS1_3repE0EEENS1_44radix_sort_block_sort_config_static_selectorELNS0_4arch9wavefront6targetE1EEEvSD_, .Lfunc_end2221-_ZN7rocprim17ROCPRIM_400000_NS6detail17trampoline_kernelINS0_13kernel_configILj256ELj4ELj4294967295EEENS1_37radix_sort_block_sort_config_selectorImNS0_10empty_typeEEEZNS1_21radix_sort_block_sortIS4_Lb1EPmS9_PS6_SA_NS0_19identity_decomposerEEE10hipError_tT1_T2_T3_T4_jRjT5_jjP12ihipStream_tbEUlT_E_NS1_11comp_targetILNS1_3genE10ELNS1_11target_archE1201ELNS1_3gpuE5ELNS1_3repE0EEENS1_44radix_sort_block_sort_config_static_selectorELNS0_4arch9wavefront6targetE1EEEvSD_
                                        ; -- End function
	.section	.AMDGPU.csdata,"",@progbits
; Kernel info:
; codeLenInByte = 0
; NumSgprs: 4
; NumVgprs: 0
; NumAgprs: 0
; TotalNumVgprs: 0
; ScratchSize: 0
; MemoryBound: 0
; FloatMode: 240
; IeeeMode: 1
; LDSByteSize: 0 bytes/workgroup (compile time only)
; SGPRBlocks: 0
; VGPRBlocks: 0
; NumSGPRsForWavesPerEU: 4
; NumVGPRsForWavesPerEU: 1
; AccumOffset: 4
; Occupancy: 8
; WaveLimiterHint : 0
; COMPUTE_PGM_RSRC2:SCRATCH_EN: 0
; COMPUTE_PGM_RSRC2:USER_SGPR: 6
; COMPUTE_PGM_RSRC2:TRAP_HANDLER: 0
; COMPUTE_PGM_RSRC2:TGID_X_EN: 1
; COMPUTE_PGM_RSRC2:TGID_Y_EN: 0
; COMPUTE_PGM_RSRC2:TGID_Z_EN: 0
; COMPUTE_PGM_RSRC2:TIDIG_COMP_CNT: 0
; COMPUTE_PGM_RSRC3_GFX90A:ACCUM_OFFSET: 0
; COMPUTE_PGM_RSRC3_GFX90A:TG_SPLIT: 0
	.section	.text._ZN7rocprim17ROCPRIM_400000_NS6detail17trampoline_kernelINS0_13kernel_configILj256ELj4ELj4294967295EEENS1_37radix_sort_block_sort_config_selectorImNS0_10empty_typeEEEZNS1_21radix_sort_block_sortIS4_Lb1EPmS9_PS6_SA_NS0_19identity_decomposerEEE10hipError_tT1_T2_T3_T4_jRjT5_jjP12ihipStream_tbEUlT_E_NS1_11comp_targetILNS1_3genE10ELNS1_11target_archE1200ELNS1_3gpuE4ELNS1_3repE0EEENS1_44radix_sort_block_sort_config_static_selectorELNS0_4arch9wavefront6targetE1EEEvSD_,"axG",@progbits,_ZN7rocprim17ROCPRIM_400000_NS6detail17trampoline_kernelINS0_13kernel_configILj256ELj4ELj4294967295EEENS1_37radix_sort_block_sort_config_selectorImNS0_10empty_typeEEEZNS1_21radix_sort_block_sortIS4_Lb1EPmS9_PS6_SA_NS0_19identity_decomposerEEE10hipError_tT1_T2_T3_T4_jRjT5_jjP12ihipStream_tbEUlT_E_NS1_11comp_targetILNS1_3genE10ELNS1_11target_archE1200ELNS1_3gpuE4ELNS1_3repE0EEENS1_44radix_sort_block_sort_config_static_selectorELNS0_4arch9wavefront6targetE1EEEvSD_,comdat
	.protected	_ZN7rocprim17ROCPRIM_400000_NS6detail17trampoline_kernelINS0_13kernel_configILj256ELj4ELj4294967295EEENS1_37radix_sort_block_sort_config_selectorImNS0_10empty_typeEEEZNS1_21radix_sort_block_sortIS4_Lb1EPmS9_PS6_SA_NS0_19identity_decomposerEEE10hipError_tT1_T2_T3_T4_jRjT5_jjP12ihipStream_tbEUlT_E_NS1_11comp_targetILNS1_3genE10ELNS1_11target_archE1200ELNS1_3gpuE4ELNS1_3repE0EEENS1_44radix_sort_block_sort_config_static_selectorELNS0_4arch9wavefront6targetE1EEEvSD_ ; -- Begin function _ZN7rocprim17ROCPRIM_400000_NS6detail17trampoline_kernelINS0_13kernel_configILj256ELj4ELj4294967295EEENS1_37radix_sort_block_sort_config_selectorImNS0_10empty_typeEEEZNS1_21radix_sort_block_sortIS4_Lb1EPmS9_PS6_SA_NS0_19identity_decomposerEEE10hipError_tT1_T2_T3_T4_jRjT5_jjP12ihipStream_tbEUlT_E_NS1_11comp_targetILNS1_3genE10ELNS1_11target_archE1200ELNS1_3gpuE4ELNS1_3repE0EEENS1_44radix_sort_block_sort_config_static_selectorELNS0_4arch9wavefront6targetE1EEEvSD_
	.globl	_ZN7rocprim17ROCPRIM_400000_NS6detail17trampoline_kernelINS0_13kernel_configILj256ELj4ELj4294967295EEENS1_37radix_sort_block_sort_config_selectorImNS0_10empty_typeEEEZNS1_21radix_sort_block_sortIS4_Lb1EPmS9_PS6_SA_NS0_19identity_decomposerEEE10hipError_tT1_T2_T3_T4_jRjT5_jjP12ihipStream_tbEUlT_E_NS1_11comp_targetILNS1_3genE10ELNS1_11target_archE1200ELNS1_3gpuE4ELNS1_3repE0EEENS1_44radix_sort_block_sort_config_static_selectorELNS0_4arch9wavefront6targetE1EEEvSD_
	.p2align	8
	.type	_ZN7rocprim17ROCPRIM_400000_NS6detail17trampoline_kernelINS0_13kernel_configILj256ELj4ELj4294967295EEENS1_37radix_sort_block_sort_config_selectorImNS0_10empty_typeEEEZNS1_21radix_sort_block_sortIS4_Lb1EPmS9_PS6_SA_NS0_19identity_decomposerEEE10hipError_tT1_T2_T3_T4_jRjT5_jjP12ihipStream_tbEUlT_E_NS1_11comp_targetILNS1_3genE10ELNS1_11target_archE1200ELNS1_3gpuE4ELNS1_3repE0EEENS1_44radix_sort_block_sort_config_static_selectorELNS0_4arch9wavefront6targetE1EEEvSD_,@function
_ZN7rocprim17ROCPRIM_400000_NS6detail17trampoline_kernelINS0_13kernel_configILj256ELj4ELj4294967295EEENS1_37radix_sort_block_sort_config_selectorImNS0_10empty_typeEEEZNS1_21radix_sort_block_sortIS4_Lb1EPmS9_PS6_SA_NS0_19identity_decomposerEEE10hipError_tT1_T2_T3_T4_jRjT5_jjP12ihipStream_tbEUlT_E_NS1_11comp_targetILNS1_3genE10ELNS1_11target_archE1200ELNS1_3gpuE4ELNS1_3repE0EEENS1_44radix_sort_block_sort_config_static_selectorELNS0_4arch9wavefront6targetE1EEEvSD_: ; @_ZN7rocprim17ROCPRIM_400000_NS6detail17trampoline_kernelINS0_13kernel_configILj256ELj4ELj4294967295EEENS1_37radix_sort_block_sort_config_selectorImNS0_10empty_typeEEEZNS1_21radix_sort_block_sortIS4_Lb1EPmS9_PS6_SA_NS0_19identity_decomposerEEE10hipError_tT1_T2_T3_T4_jRjT5_jjP12ihipStream_tbEUlT_E_NS1_11comp_targetILNS1_3genE10ELNS1_11target_archE1200ELNS1_3gpuE4ELNS1_3repE0EEENS1_44radix_sort_block_sort_config_static_selectorELNS0_4arch9wavefront6targetE1EEEvSD_
; %bb.0:
	.section	.rodata,"a",@progbits
	.p2align	6, 0x0
	.amdhsa_kernel _ZN7rocprim17ROCPRIM_400000_NS6detail17trampoline_kernelINS0_13kernel_configILj256ELj4ELj4294967295EEENS1_37radix_sort_block_sort_config_selectorImNS0_10empty_typeEEEZNS1_21radix_sort_block_sortIS4_Lb1EPmS9_PS6_SA_NS0_19identity_decomposerEEE10hipError_tT1_T2_T3_T4_jRjT5_jjP12ihipStream_tbEUlT_E_NS1_11comp_targetILNS1_3genE10ELNS1_11target_archE1200ELNS1_3gpuE4ELNS1_3repE0EEENS1_44radix_sort_block_sort_config_static_selectorELNS0_4arch9wavefront6targetE1EEEvSD_
		.amdhsa_group_segment_fixed_size 0
		.amdhsa_private_segment_fixed_size 0
		.amdhsa_kernarg_size 48
		.amdhsa_user_sgpr_count 6
		.amdhsa_user_sgpr_private_segment_buffer 1
		.amdhsa_user_sgpr_dispatch_ptr 0
		.amdhsa_user_sgpr_queue_ptr 0
		.amdhsa_user_sgpr_kernarg_segment_ptr 1
		.amdhsa_user_sgpr_dispatch_id 0
		.amdhsa_user_sgpr_flat_scratch_init 0
		.amdhsa_user_sgpr_kernarg_preload_length 0
		.amdhsa_user_sgpr_kernarg_preload_offset 0
		.amdhsa_user_sgpr_private_segment_size 0
		.amdhsa_uses_dynamic_stack 0
		.amdhsa_system_sgpr_private_segment_wavefront_offset 0
		.amdhsa_system_sgpr_workgroup_id_x 1
		.amdhsa_system_sgpr_workgroup_id_y 0
		.amdhsa_system_sgpr_workgroup_id_z 0
		.amdhsa_system_sgpr_workgroup_info 0
		.amdhsa_system_vgpr_workitem_id 0
		.amdhsa_next_free_vgpr 1
		.amdhsa_next_free_sgpr 0
		.amdhsa_accum_offset 4
		.amdhsa_reserve_vcc 0
		.amdhsa_reserve_flat_scratch 0
		.amdhsa_float_round_mode_32 0
		.amdhsa_float_round_mode_16_64 0
		.amdhsa_float_denorm_mode_32 3
		.amdhsa_float_denorm_mode_16_64 3
		.amdhsa_dx10_clamp 1
		.amdhsa_ieee_mode 1
		.amdhsa_fp16_overflow 0
		.amdhsa_tg_split 0
		.amdhsa_exception_fp_ieee_invalid_op 0
		.amdhsa_exception_fp_denorm_src 0
		.amdhsa_exception_fp_ieee_div_zero 0
		.amdhsa_exception_fp_ieee_overflow 0
		.amdhsa_exception_fp_ieee_underflow 0
		.amdhsa_exception_fp_ieee_inexact 0
		.amdhsa_exception_int_div_zero 0
	.end_amdhsa_kernel
	.section	.text._ZN7rocprim17ROCPRIM_400000_NS6detail17trampoline_kernelINS0_13kernel_configILj256ELj4ELj4294967295EEENS1_37radix_sort_block_sort_config_selectorImNS0_10empty_typeEEEZNS1_21radix_sort_block_sortIS4_Lb1EPmS9_PS6_SA_NS0_19identity_decomposerEEE10hipError_tT1_T2_T3_T4_jRjT5_jjP12ihipStream_tbEUlT_E_NS1_11comp_targetILNS1_3genE10ELNS1_11target_archE1200ELNS1_3gpuE4ELNS1_3repE0EEENS1_44radix_sort_block_sort_config_static_selectorELNS0_4arch9wavefront6targetE1EEEvSD_,"axG",@progbits,_ZN7rocprim17ROCPRIM_400000_NS6detail17trampoline_kernelINS0_13kernel_configILj256ELj4ELj4294967295EEENS1_37radix_sort_block_sort_config_selectorImNS0_10empty_typeEEEZNS1_21radix_sort_block_sortIS4_Lb1EPmS9_PS6_SA_NS0_19identity_decomposerEEE10hipError_tT1_T2_T3_T4_jRjT5_jjP12ihipStream_tbEUlT_E_NS1_11comp_targetILNS1_3genE10ELNS1_11target_archE1200ELNS1_3gpuE4ELNS1_3repE0EEENS1_44radix_sort_block_sort_config_static_selectorELNS0_4arch9wavefront6targetE1EEEvSD_,comdat
.Lfunc_end2222:
	.size	_ZN7rocprim17ROCPRIM_400000_NS6detail17trampoline_kernelINS0_13kernel_configILj256ELj4ELj4294967295EEENS1_37radix_sort_block_sort_config_selectorImNS0_10empty_typeEEEZNS1_21radix_sort_block_sortIS4_Lb1EPmS9_PS6_SA_NS0_19identity_decomposerEEE10hipError_tT1_T2_T3_T4_jRjT5_jjP12ihipStream_tbEUlT_E_NS1_11comp_targetILNS1_3genE10ELNS1_11target_archE1200ELNS1_3gpuE4ELNS1_3repE0EEENS1_44radix_sort_block_sort_config_static_selectorELNS0_4arch9wavefront6targetE1EEEvSD_, .Lfunc_end2222-_ZN7rocprim17ROCPRIM_400000_NS6detail17trampoline_kernelINS0_13kernel_configILj256ELj4ELj4294967295EEENS1_37radix_sort_block_sort_config_selectorImNS0_10empty_typeEEEZNS1_21radix_sort_block_sortIS4_Lb1EPmS9_PS6_SA_NS0_19identity_decomposerEEE10hipError_tT1_T2_T3_T4_jRjT5_jjP12ihipStream_tbEUlT_E_NS1_11comp_targetILNS1_3genE10ELNS1_11target_archE1200ELNS1_3gpuE4ELNS1_3repE0EEENS1_44radix_sort_block_sort_config_static_selectorELNS0_4arch9wavefront6targetE1EEEvSD_
                                        ; -- End function
	.section	.AMDGPU.csdata,"",@progbits
; Kernel info:
; codeLenInByte = 0
; NumSgprs: 4
; NumVgprs: 0
; NumAgprs: 0
; TotalNumVgprs: 0
; ScratchSize: 0
; MemoryBound: 0
; FloatMode: 240
; IeeeMode: 1
; LDSByteSize: 0 bytes/workgroup (compile time only)
; SGPRBlocks: 0
; VGPRBlocks: 0
; NumSGPRsForWavesPerEU: 4
; NumVGPRsForWavesPerEU: 1
; AccumOffset: 4
; Occupancy: 8
; WaveLimiterHint : 0
; COMPUTE_PGM_RSRC2:SCRATCH_EN: 0
; COMPUTE_PGM_RSRC2:USER_SGPR: 6
; COMPUTE_PGM_RSRC2:TRAP_HANDLER: 0
; COMPUTE_PGM_RSRC2:TGID_X_EN: 1
; COMPUTE_PGM_RSRC2:TGID_Y_EN: 0
; COMPUTE_PGM_RSRC2:TGID_Z_EN: 0
; COMPUTE_PGM_RSRC2:TIDIG_COMP_CNT: 0
; COMPUTE_PGM_RSRC3_GFX90A:ACCUM_OFFSET: 0
; COMPUTE_PGM_RSRC3_GFX90A:TG_SPLIT: 0
	.section	.text._ZN7rocprim17ROCPRIM_400000_NS6detail17trampoline_kernelINS0_13kernel_configILj256ELj4ELj4294967295EEENS1_37radix_sort_block_sort_config_selectorImNS0_10empty_typeEEEZNS1_21radix_sort_block_sortIS4_Lb1EPmS9_PS6_SA_NS0_19identity_decomposerEEE10hipError_tT1_T2_T3_T4_jRjT5_jjP12ihipStream_tbEUlT_E_NS1_11comp_targetILNS1_3genE9ELNS1_11target_archE1100ELNS1_3gpuE3ELNS1_3repE0EEENS1_44radix_sort_block_sort_config_static_selectorELNS0_4arch9wavefront6targetE1EEEvSD_,"axG",@progbits,_ZN7rocprim17ROCPRIM_400000_NS6detail17trampoline_kernelINS0_13kernel_configILj256ELj4ELj4294967295EEENS1_37radix_sort_block_sort_config_selectorImNS0_10empty_typeEEEZNS1_21radix_sort_block_sortIS4_Lb1EPmS9_PS6_SA_NS0_19identity_decomposerEEE10hipError_tT1_T2_T3_T4_jRjT5_jjP12ihipStream_tbEUlT_E_NS1_11comp_targetILNS1_3genE9ELNS1_11target_archE1100ELNS1_3gpuE3ELNS1_3repE0EEENS1_44radix_sort_block_sort_config_static_selectorELNS0_4arch9wavefront6targetE1EEEvSD_,comdat
	.protected	_ZN7rocprim17ROCPRIM_400000_NS6detail17trampoline_kernelINS0_13kernel_configILj256ELj4ELj4294967295EEENS1_37radix_sort_block_sort_config_selectorImNS0_10empty_typeEEEZNS1_21radix_sort_block_sortIS4_Lb1EPmS9_PS6_SA_NS0_19identity_decomposerEEE10hipError_tT1_T2_T3_T4_jRjT5_jjP12ihipStream_tbEUlT_E_NS1_11comp_targetILNS1_3genE9ELNS1_11target_archE1100ELNS1_3gpuE3ELNS1_3repE0EEENS1_44radix_sort_block_sort_config_static_selectorELNS0_4arch9wavefront6targetE1EEEvSD_ ; -- Begin function _ZN7rocprim17ROCPRIM_400000_NS6detail17trampoline_kernelINS0_13kernel_configILj256ELj4ELj4294967295EEENS1_37radix_sort_block_sort_config_selectorImNS0_10empty_typeEEEZNS1_21radix_sort_block_sortIS4_Lb1EPmS9_PS6_SA_NS0_19identity_decomposerEEE10hipError_tT1_T2_T3_T4_jRjT5_jjP12ihipStream_tbEUlT_E_NS1_11comp_targetILNS1_3genE9ELNS1_11target_archE1100ELNS1_3gpuE3ELNS1_3repE0EEENS1_44radix_sort_block_sort_config_static_selectorELNS0_4arch9wavefront6targetE1EEEvSD_
	.globl	_ZN7rocprim17ROCPRIM_400000_NS6detail17trampoline_kernelINS0_13kernel_configILj256ELj4ELj4294967295EEENS1_37radix_sort_block_sort_config_selectorImNS0_10empty_typeEEEZNS1_21radix_sort_block_sortIS4_Lb1EPmS9_PS6_SA_NS0_19identity_decomposerEEE10hipError_tT1_T2_T3_T4_jRjT5_jjP12ihipStream_tbEUlT_E_NS1_11comp_targetILNS1_3genE9ELNS1_11target_archE1100ELNS1_3gpuE3ELNS1_3repE0EEENS1_44radix_sort_block_sort_config_static_selectorELNS0_4arch9wavefront6targetE1EEEvSD_
	.p2align	8
	.type	_ZN7rocprim17ROCPRIM_400000_NS6detail17trampoline_kernelINS0_13kernel_configILj256ELj4ELj4294967295EEENS1_37radix_sort_block_sort_config_selectorImNS0_10empty_typeEEEZNS1_21radix_sort_block_sortIS4_Lb1EPmS9_PS6_SA_NS0_19identity_decomposerEEE10hipError_tT1_T2_T3_T4_jRjT5_jjP12ihipStream_tbEUlT_E_NS1_11comp_targetILNS1_3genE9ELNS1_11target_archE1100ELNS1_3gpuE3ELNS1_3repE0EEENS1_44radix_sort_block_sort_config_static_selectorELNS0_4arch9wavefront6targetE1EEEvSD_,@function
_ZN7rocprim17ROCPRIM_400000_NS6detail17trampoline_kernelINS0_13kernel_configILj256ELj4ELj4294967295EEENS1_37radix_sort_block_sort_config_selectorImNS0_10empty_typeEEEZNS1_21radix_sort_block_sortIS4_Lb1EPmS9_PS6_SA_NS0_19identity_decomposerEEE10hipError_tT1_T2_T3_T4_jRjT5_jjP12ihipStream_tbEUlT_E_NS1_11comp_targetILNS1_3genE9ELNS1_11target_archE1100ELNS1_3gpuE3ELNS1_3repE0EEENS1_44radix_sort_block_sort_config_static_selectorELNS0_4arch9wavefront6targetE1EEEvSD_: ; @_ZN7rocprim17ROCPRIM_400000_NS6detail17trampoline_kernelINS0_13kernel_configILj256ELj4ELj4294967295EEENS1_37radix_sort_block_sort_config_selectorImNS0_10empty_typeEEEZNS1_21radix_sort_block_sortIS4_Lb1EPmS9_PS6_SA_NS0_19identity_decomposerEEE10hipError_tT1_T2_T3_T4_jRjT5_jjP12ihipStream_tbEUlT_E_NS1_11comp_targetILNS1_3genE9ELNS1_11target_archE1100ELNS1_3gpuE3ELNS1_3repE0EEENS1_44radix_sort_block_sort_config_static_selectorELNS0_4arch9wavefront6targetE1EEEvSD_
; %bb.0:
	.section	.rodata,"a",@progbits
	.p2align	6, 0x0
	.amdhsa_kernel _ZN7rocprim17ROCPRIM_400000_NS6detail17trampoline_kernelINS0_13kernel_configILj256ELj4ELj4294967295EEENS1_37radix_sort_block_sort_config_selectorImNS0_10empty_typeEEEZNS1_21radix_sort_block_sortIS4_Lb1EPmS9_PS6_SA_NS0_19identity_decomposerEEE10hipError_tT1_T2_T3_T4_jRjT5_jjP12ihipStream_tbEUlT_E_NS1_11comp_targetILNS1_3genE9ELNS1_11target_archE1100ELNS1_3gpuE3ELNS1_3repE0EEENS1_44radix_sort_block_sort_config_static_selectorELNS0_4arch9wavefront6targetE1EEEvSD_
		.amdhsa_group_segment_fixed_size 0
		.amdhsa_private_segment_fixed_size 0
		.amdhsa_kernarg_size 48
		.amdhsa_user_sgpr_count 6
		.amdhsa_user_sgpr_private_segment_buffer 1
		.amdhsa_user_sgpr_dispatch_ptr 0
		.amdhsa_user_sgpr_queue_ptr 0
		.amdhsa_user_sgpr_kernarg_segment_ptr 1
		.amdhsa_user_sgpr_dispatch_id 0
		.amdhsa_user_sgpr_flat_scratch_init 0
		.amdhsa_user_sgpr_kernarg_preload_length 0
		.amdhsa_user_sgpr_kernarg_preload_offset 0
		.amdhsa_user_sgpr_private_segment_size 0
		.amdhsa_uses_dynamic_stack 0
		.amdhsa_system_sgpr_private_segment_wavefront_offset 0
		.amdhsa_system_sgpr_workgroup_id_x 1
		.amdhsa_system_sgpr_workgroup_id_y 0
		.amdhsa_system_sgpr_workgroup_id_z 0
		.amdhsa_system_sgpr_workgroup_info 0
		.amdhsa_system_vgpr_workitem_id 0
		.amdhsa_next_free_vgpr 1
		.amdhsa_next_free_sgpr 0
		.amdhsa_accum_offset 4
		.amdhsa_reserve_vcc 0
		.amdhsa_reserve_flat_scratch 0
		.amdhsa_float_round_mode_32 0
		.amdhsa_float_round_mode_16_64 0
		.amdhsa_float_denorm_mode_32 3
		.amdhsa_float_denorm_mode_16_64 3
		.amdhsa_dx10_clamp 1
		.amdhsa_ieee_mode 1
		.amdhsa_fp16_overflow 0
		.amdhsa_tg_split 0
		.amdhsa_exception_fp_ieee_invalid_op 0
		.amdhsa_exception_fp_denorm_src 0
		.amdhsa_exception_fp_ieee_div_zero 0
		.amdhsa_exception_fp_ieee_overflow 0
		.amdhsa_exception_fp_ieee_underflow 0
		.amdhsa_exception_fp_ieee_inexact 0
		.amdhsa_exception_int_div_zero 0
	.end_amdhsa_kernel
	.section	.text._ZN7rocprim17ROCPRIM_400000_NS6detail17trampoline_kernelINS0_13kernel_configILj256ELj4ELj4294967295EEENS1_37radix_sort_block_sort_config_selectorImNS0_10empty_typeEEEZNS1_21radix_sort_block_sortIS4_Lb1EPmS9_PS6_SA_NS0_19identity_decomposerEEE10hipError_tT1_T2_T3_T4_jRjT5_jjP12ihipStream_tbEUlT_E_NS1_11comp_targetILNS1_3genE9ELNS1_11target_archE1100ELNS1_3gpuE3ELNS1_3repE0EEENS1_44radix_sort_block_sort_config_static_selectorELNS0_4arch9wavefront6targetE1EEEvSD_,"axG",@progbits,_ZN7rocprim17ROCPRIM_400000_NS6detail17trampoline_kernelINS0_13kernel_configILj256ELj4ELj4294967295EEENS1_37radix_sort_block_sort_config_selectorImNS0_10empty_typeEEEZNS1_21radix_sort_block_sortIS4_Lb1EPmS9_PS6_SA_NS0_19identity_decomposerEEE10hipError_tT1_T2_T3_T4_jRjT5_jjP12ihipStream_tbEUlT_E_NS1_11comp_targetILNS1_3genE9ELNS1_11target_archE1100ELNS1_3gpuE3ELNS1_3repE0EEENS1_44radix_sort_block_sort_config_static_selectorELNS0_4arch9wavefront6targetE1EEEvSD_,comdat
.Lfunc_end2223:
	.size	_ZN7rocprim17ROCPRIM_400000_NS6detail17trampoline_kernelINS0_13kernel_configILj256ELj4ELj4294967295EEENS1_37radix_sort_block_sort_config_selectorImNS0_10empty_typeEEEZNS1_21radix_sort_block_sortIS4_Lb1EPmS9_PS6_SA_NS0_19identity_decomposerEEE10hipError_tT1_T2_T3_T4_jRjT5_jjP12ihipStream_tbEUlT_E_NS1_11comp_targetILNS1_3genE9ELNS1_11target_archE1100ELNS1_3gpuE3ELNS1_3repE0EEENS1_44radix_sort_block_sort_config_static_selectorELNS0_4arch9wavefront6targetE1EEEvSD_, .Lfunc_end2223-_ZN7rocprim17ROCPRIM_400000_NS6detail17trampoline_kernelINS0_13kernel_configILj256ELj4ELj4294967295EEENS1_37radix_sort_block_sort_config_selectorImNS0_10empty_typeEEEZNS1_21radix_sort_block_sortIS4_Lb1EPmS9_PS6_SA_NS0_19identity_decomposerEEE10hipError_tT1_T2_T3_T4_jRjT5_jjP12ihipStream_tbEUlT_E_NS1_11comp_targetILNS1_3genE9ELNS1_11target_archE1100ELNS1_3gpuE3ELNS1_3repE0EEENS1_44radix_sort_block_sort_config_static_selectorELNS0_4arch9wavefront6targetE1EEEvSD_
                                        ; -- End function
	.section	.AMDGPU.csdata,"",@progbits
; Kernel info:
; codeLenInByte = 0
; NumSgprs: 4
; NumVgprs: 0
; NumAgprs: 0
; TotalNumVgprs: 0
; ScratchSize: 0
; MemoryBound: 0
; FloatMode: 240
; IeeeMode: 1
; LDSByteSize: 0 bytes/workgroup (compile time only)
; SGPRBlocks: 0
; VGPRBlocks: 0
; NumSGPRsForWavesPerEU: 4
; NumVGPRsForWavesPerEU: 1
; AccumOffset: 4
; Occupancy: 8
; WaveLimiterHint : 0
; COMPUTE_PGM_RSRC2:SCRATCH_EN: 0
; COMPUTE_PGM_RSRC2:USER_SGPR: 6
; COMPUTE_PGM_RSRC2:TRAP_HANDLER: 0
; COMPUTE_PGM_RSRC2:TGID_X_EN: 1
; COMPUTE_PGM_RSRC2:TGID_Y_EN: 0
; COMPUTE_PGM_RSRC2:TGID_Z_EN: 0
; COMPUTE_PGM_RSRC2:TIDIG_COMP_CNT: 0
; COMPUTE_PGM_RSRC3_GFX90A:ACCUM_OFFSET: 0
; COMPUTE_PGM_RSRC3_GFX90A:TG_SPLIT: 0
	.section	.text._ZN7rocprim17ROCPRIM_400000_NS6detail17trampoline_kernelINS0_13kernel_configILj256ELj4ELj4294967295EEENS1_37radix_sort_block_sort_config_selectorImNS0_10empty_typeEEEZNS1_21radix_sort_block_sortIS4_Lb1EPmS9_PS6_SA_NS0_19identity_decomposerEEE10hipError_tT1_T2_T3_T4_jRjT5_jjP12ihipStream_tbEUlT_E_NS1_11comp_targetILNS1_3genE8ELNS1_11target_archE1030ELNS1_3gpuE2ELNS1_3repE0EEENS1_44radix_sort_block_sort_config_static_selectorELNS0_4arch9wavefront6targetE1EEEvSD_,"axG",@progbits,_ZN7rocprim17ROCPRIM_400000_NS6detail17trampoline_kernelINS0_13kernel_configILj256ELj4ELj4294967295EEENS1_37radix_sort_block_sort_config_selectorImNS0_10empty_typeEEEZNS1_21radix_sort_block_sortIS4_Lb1EPmS9_PS6_SA_NS0_19identity_decomposerEEE10hipError_tT1_T2_T3_T4_jRjT5_jjP12ihipStream_tbEUlT_E_NS1_11comp_targetILNS1_3genE8ELNS1_11target_archE1030ELNS1_3gpuE2ELNS1_3repE0EEENS1_44radix_sort_block_sort_config_static_selectorELNS0_4arch9wavefront6targetE1EEEvSD_,comdat
	.protected	_ZN7rocprim17ROCPRIM_400000_NS6detail17trampoline_kernelINS0_13kernel_configILj256ELj4ELj4294967295EEENS1_37radix_sort_block_sort_config_selectorImNS0_10empty_typeEEEZNS1_21radix_sort_block_sortIS4_Lb1EPmS9_PS6_SA_NS0_19identity_decomposerEEE10hipError_tT1_T2_T3_T4_jRjT5_jjP12ihipStream_tbEUlT_E_NS1_11comp_targetILNS1_3genE8ELNS1_11target_archE1030ELNS1_3gpuE2ELNS1_3repE0EEENS1_44radix_sort_block_sort_config_static_selectorELNS0_4arch9wavefront6targetE1EEEvSD_ ; -- Begin function _ZN7rocprim17ROCPRIM_400000_NS6detail17trampoline_kernelINS0_13kernel_configILj256ELj4ELj4294967295EEENS1_37radix_sort_block_sort_config_selectorImNS0_10empty_typeEEEZNS1_21radix_sort_block_sortIS4_Lb1EPmS9_PS6_SA_NS0_19identity_decomposerEEE10hipError_tT1_T2_T3_T4_jRjT5_jjP12ihipStream_tbEUlT_E_NS1_11comp_targetILNS1_3genE8ELNS1_11target_archE1030ELNS1_3gpuE2ELNS1_3repE0EEENS1_44radix_sort_block_sort_config_static_selectorELNS0_4arch9wavefront6targetE1EEEvSD_
	.globl	_ZN7rocprim17ROCPRIM_400000_NS6detail17trampoline_kernelINS0_13kernel_configILj256ELj4ELj4294967295EEENS1_37radix_sort_block_sort_config_selectorImNS0_10empty_typeEEEZNS1_21radix_sort_block_sortIS4_Lb1EPmS9_PS6_SA_NS0_19identity_decomposerEEE10hipError_tT1_T2_T3_T4_jRjT5_jjP12ihipStream_tbEUlT_E_NS1_11comp_targetILNS1_3genE8ELNS1_11target_archE1030ELNS1_3gpuE2ELNS1_3repE0EEENS1_44radix_sort_block_sort_config_static_selectorELNS0_4arch9wavefront6targetE1EEEvSD_
	.p2align	8
	.type	_ZN7rocprim17ROCPRIM_400000_NS6detail17trampoline_kernelINS0_13kernel_configILj256ELj4ELj4294967295EEENS1_37radix_sort_block_sort_config_selectorImNS0_10empty_typeEEEZNS1_21radix_sort_block_sortIS4_Lb1EPmS9_PS6_SA_NS0_19identity_decomposerEEE10hipError_tT1_T2_T3_T4_jRjT5_jjP12ihipStream_tbEUlT_E_NS1_11comp_targetILNS1_3genE8ELNS1_11target_archE1030ELNS1_3gpuE2ELNS1_3repE0EEENS1_44radix_sort_block_sort_config_static_selectorELNS0_4arch9wavefront6targetE1EEEvSD_,@function
_ZN7rocprim17ROCPRIM_400000_NS6detail17trampoline_kernelINS0_13kernel_configILj256ELj4ELj4294967295EEENS1_37radix_sort_block_sort_config_selectorImNS0_10empty_typeEEEZNS1_21radix_sort_block_sortIS4_Lb1EPmS9_PS6_SA_NS0_19identity_decomposerEEE10hipError_tT1_T2_T3_T4_jRjT5_jjP12ihipStream_tbEUlT_E_NS1_11comp_targetILNS1_3genE8ELNS1_11target_archE1030ELNS1_3gpuE2ELNS1_3repE0EEENS1_44radix_sort_block_sort_config_static_selectorELNS0_4arch9wavefront6targetE1EEEvSD_: ; @_ZN7rocprim17ROCPRIM_400000_NS6detail17trampoline_kernelINS0_13kernel_configILj256ELj4ELj4294967295EEENS1_37radix_sort_block_sort_config_selectorImNS0_10empty_typeEEEZNS1_21radix_sort_block_sortIS4_Lb1EPmS9_PS6_SA_NS0_19identity_decomposerEEE10hipError_tT1_T2_T3_T4_jRjT5_jjP12ihipStream_tbEUlT_E_NS1_11comp_targetILNS1_3genE8ELNS1_11target_archE1030ELNS1_3gpuE2ELNS1_3repE0EEENS1_44radix_sort_block_sort_config_static_selectorELNS0_4arch9wavefront6targetE1EEEvSD_
; %bb.0:
	.section	.rodata,"a",@progbits
	.p2align	6, 0x0
	.amdhsa_kernel _ZN7rocprim17ROCPRIM_400000_NS6detail17trampoline_kernelINS0_13kernel_configILj256ELj4ELj4294967295EEENS1_37radix_sort_block_sort_config_selectorImNS0_10empty_typeEEEZNS1_21radix_sort_block_sortIS4_Lb1EPmS9_PS6_SA_NS0_19identity_decomposerEEE10hipError_tT1_T2_T3_T4_jRjT5_jjP12ihipStream_tbEUlT_E_NS1_11comp_targetILNS1_3genE8ELNS1_11target_archE1030ELNS1_3gpuE2ELNS1_3repE0EEENS1_44radix_sort_block_sort_config_static_selectorELNS0_4arch9wavefront6targetE1EEEvSD_
		.amdhsa_group_segment_fixed_size 0
		.amdhsa_private_segment_fixed_size 0
		.amdhsa_kernarg_size 48
		.amdhsa_user_sgpr_count 6
		.amdhsa_user_sgpr_private_segment_buffer 1
		.amdhsa_user_sgpr_dispatch_ptr 0
		.amdhsa_user_sgpr_queue_ptr 0
		.amdhsa_user_sgpr_kernarg_segment_ptr 1
		.amdhsa_user_sgpr_dispatch_id 0
		.amdhsa_user_sgpr_flat_scratch_init 0
		.amdhsa_user_sgpr_kernarg_preload_length 0
		.amdhsa_user_sgpr_kernarg_preload_offset 0
		.amdhsa_user_sgpr_private_segment_size 0
		.amdhsa_uses_dynamic_stack 0
		.amdhsa_system_sgpr_private_segment_wavefront_offset 0
		.amdhsa_system_sgpr_workgroup_id_x 1
		.amdhsa_system_sgpr_workgroup_id_y 0
		.amdhsa_system_sgpr_workgroup_id_z 0
		.amdhsa_system_sgpr_workgroup_info 0
		.amdhsa_system_vgpr_workitem_id 0
		.amdhsa_next_free_vgpr 1
		.amdhsa_next_free_sgpr 0
		.amdhsa_accum_offset 4
		.amdhsa_reserve_vcc 0
		.amdhsa_reserve_flat_scratch 0
		.amdhsa_float_round_mode_32 0
		.amdhsa_float_round_mode_16_64 0
		.amdhsa_float_denorm_mode_32 3
		.amdhsa_float_denorm_mode_16_64 3
		.amdhsa_dx10_clamp 1
		.amdhsa_ieee_mode 1
		.amdhsa_fp16_overflow 0
		.amdhsa_tg_split 0
		.amdhsa_exception_fp_ieee_invalid_op 0
		.amdhsa_exception_fp_denorm_src 0
		.amdhsa_exception_fp_ieee_div_zero 0
		.amdhsa_exception_fp_ieee_overflow 0
		.amdhsa_exception_fp_ieee_underflow 0
		.amdhsa_exception_fp_ieee_inexact 0
		.amdhsa_exception_int_div_zero 0
	.end_amdhsa_kernel
	.section	.text._ZN7rocprim17ROCPRIM_400000_NS6detail17trampoline_kernelINS0_13kernel_configILj256ELj4ELj4294967295EEENS1_37radix_sort_block_sort_config_selectorImNS0_10empty_typeEEEZNS1_21radix_sort_block_sortIS4_Lb1EPmS9_PS6_SA_NS0_19identity_decomposerEEE10hipError_tT1_T2_T3_T4_jRjT5_jjP12ihipStream_tbEUlT_E_NS1_11comp_targetILNS1_3genE8ELNS1_11target_archE1030ELNS1_3gpuE2ELNS1_3repE0EEENS1_44radix_sort_block_sort_config_static_selectorELNS0_4arch9wavefront6targetE1EEEvSD_,"axG",@progbits,_ZN7rocprim17ROCPRIM_400000_NS6detail17trampoline_kernelINS0_13kernel_configILj256ELj4ELj4294967295EEENS1_37radix_sort_block_sort_config_selectorImNS0_10empty_typeEEEZNS1_21radix_sort_block_sortIS4_Lb1EPmS9_PS6_SA_NS0_19identity_decomposerEEE10hipError_tT1_T2_T3_T4_jRjT5_jjP12ihipStream_tbEUlT_E_NS1_11comp_targetILNS1_3genE8ELNS1_11target_archE1030ELNS1_3gpuE2ELNS1_3repE0EEENS1_44radix_sort_block_sort_config_static_selectorELNS0_4arch9wavefront6targetE1EEEvSD_,comdat
.Lfunc_end2224:
	.size	_ZN7rocprim17ROCPRIM_400000_NS6detail17trampoline_kernelINS0_13kernel_configILj256ELj4ELj4294967295EEENS1_37radix_sort_block_sort_config_selectorImNS0_10empty_typeEEEZNS1_21radix_sort_block_sortIS4_Lb1EPmS9_PS6_SA_NS0_19identity_decomposerEEE10hipError_tT1_T2_T3_T4_jRjT5_jjP12ihipStream_tbEUlT_E_NS1_11comp_targetILNS1_3genE8ELNS1_11target_archE1030ELNS1_3gpuE2ELNS1_3repE0EEENS1_44radix_sort_block_sort_config_static_selectorELNS0_4arch9wavefront6targetE1EEEvSD_, .Lfunc_end2224-_ZN7rocprim17ROCPRIM_400000_NS6detail17trampoline_kernelINS0_13kernel_configILj256ELj4ELj4294967295EEENS1_37radix_sort_block_sort_config_selectorImNS0_10empty_typeEEEZNS1_21radix_sort_block_sortIS4_Lb1EPmS9_PS6_SA_NS0_19identity_decomposerEEE10hipError_tT1_T2_T3_T4_jRjT5_jjP12ihipStream_tbEUlT_E_NS1_11comp_targetILNS1_3genE8ELNS1_11target_archE1030ELNS1_3gpuE2ELNS1_3repE0EEENS1_44radix_sort_block_sort_config_static_selectorELNS0_4arch9wavefront6targetE1EEEvSD_
                                        ; -- End function
	.section	.AMDGPU.csdata,"",@progbits
; Kernel info:
; codeLenInByte = 0
; NumSgprs: 4
; NumVgprs: 0
; NumAgprs: 0
; TotalNumVgprs: 0
; ScratchSize: 0
; MemoryBound: 0
; FloatMode: 240
; IeeeMode: 1
; LDSByteSize: 0 bytes/workgroup (compile time only)
; SGPRBlocks: 0
; VGPRBlocks: 0
; NumSGPRsForWavesPerEU: 4
; NumVGPRsForWavesPerEU: 1
; AccumOffset: 4
; Occupancy: 8
; WaveLimiterHint : 0
; COMPUTE_PGM_RSRC2:SCRATCH_EN: 0
; COMPUTE_PGM_RSRC2:USER_SGPR: 6
; COMPUTE_PGM_RSRC2:TRAP_HANDLER: 0
; COMPUTE_PGM_RSRC2:TGID_X_EN: 1
; COMPUTE_PGM_RSRC2:TGID_Y_EN: 0
; COMPUTE_PGM_RSRC2:TGID_Z_EN: 0
; COMPUTE_PGM_RSRC2:TIDIG_COMP_CNT: 0
; COMPUTE_PGM_RSRC3_GFX90A:ACCUM_OFFSET: 0
; COMPUTE_PGM_RSRC3_GFX90A:TG_SPLIT: 0
	.section	.text._ZN7rocprim17ROCPRIM_400000_NS6detail17trampoline_kernelINS0_14default_configENS1_38merge_sort_block_merge_config_selectorImNS0_10empty_typeEEEZZNS1_27merge_sort_block_merge_implIS3_PmPS5_jNS1_19radix_merge_compareILb1ELb0EmNS0_19identity_decomposerEEEEE10hipError_tT0_T1_T2_jT3_P12ihipStream_tbPNSt15iterator_traitsISE_E10value_typeEPNSK_ISF_E10value_typeEPSG_NS1_7vsmem_tEENKUlT_SE_SF_SG_E_clIS8_S8_S9_S9_EESD_ST_SE_SF_SG_EUlST_E_NS1_11comp_targetILNS1_3genE0ELNS1_11target_archE4294967295ELNS1_3gpuE0ELNS1_3repE0EEENS1_48merge_mergepath_partition_config_static_selectorELNS0_4arch9wavefront6targetE1EEEvSF_,"axG",@progbits,_ZN7rocprim17ROCPRIM_400000_NS6detail17trampoline_kernelINS0_14default_configENS1_38merge_sort_block_merge_config_selectorImNS0_10empty_typeEEEZZNS1_27merge_sort_block_merge_implIS3_PmPS5_jNS1_19radix_merge_compareILb1ELb0EmNS0_19identity_decomposerEEEEE10hipError_tT0_T1_T2_jT3_P12ihipStream_tbPNSt15iterator_traitsISE_E10value_typeEPNSK_ISF_E10value_typeEPSG_NS1_7vsmem_tEENKUlT_SE_SF_SG_E_clIS8_S8_S9_S9_EESD_ST_SE_SF_SG_EUlST_E_NS1_11comp_targetILNS1_3genE0ELNS1_11target_archE4294967295ELNS1_3gpuE0ELNS1_3repE0EEENS1_48merge_mergepath_partition_config_static_selectorELNS0_4arch9wavefront6targetE1EEEvSF_,comdat
	.protected	_ZN7rocprim17ROCPRIM_400000_NS6detail17trampoline_kernelINS0_14default_configENS1_38merge_sort_block_merge_config_selectorImNS0_10empty_typeEEEZZNS1_27merge_sort_block_merge_implIS3_PmPS5_jNS1_19radix_merge_compareILb1ELb0EmNS0_19identity_decomposerEEEEE10hipError_tT0_T1_T2_jT3_P12ihipStream_tbPNSt15iterator_traitsISE_E10value_typeEPNSK_ISF_E10value_typeEPSG_NS1_7vsmem_tEENKUlT_SE_SF_SG_E_clIS8_S8_S9_S9_EESD_ST_SE_SF_SG_EUlST_E_NS1_11comp_targetILNS1_3genE0ELNS1_11target_archE4294967295ELNS1_3gpuE0ELNS1_3repE0EEENS1_48merge_mergepath_partition_config_static_selectorELNS0_4arch9wavefront6targetE1EEEvSF_ ; -- Begin function _ZN7rocprim17ROCPRIM_400000_NS6detail17trampoline_kernelINS0_14default_configENS1_38merge_sort_block_merge_config_selectorImNS0_10empty_typeEEEZZNS1_27merge_sort_block_merge_implIS3_PmPS5_jNS1_19radix_merge_compareILb1ELb0EmNS0_19identity_decomposerEEEEE10hipError_tT0_T1_T2_jT3_P12ihipStream_tbPNSt15iterator_traitsISE_E10value_typeEPNSK_ISF_E10value_typeEPSG_NS1_7vsmem_tEENKUlT_SE_SF_SG_E_clIS8_S8_S9_S9_EESD_ST_SE_SF_SG_EUlST_E_NS1_11comp_targetILNS1_3genE0ELNS1_11target_archE4294967295ELNS1_3gpuE0ELNS1_3repE0EEENS1_48merge_mergepath_partition_config_static_selectorELNS0_4arch9wavefront6targetE1EEEvSF_
	.globl	_ZN7rocprim17ROCPRIM_400000_NS6detail17trampoline_kernelINS0_14default_configENS1_38merge_sort_block_merge_config_selectorImNS0_10empty_typeEEEZZNS1_27merge_sort_block_merge_implIS3_PmPS5_jNS1_19radix_merge_compareILb1ELb0EmNS0_19identity_decomposerEEEEE10hipError_tT0_T1_T2_jT3_P12ihipStream_tbPNSt15iterator_traitsISE_E10value_typeEPNSK_ISF_E10value_typeEPSG_NS1_7vsmem_tEENKUlT_SE_SF_SG_E_clIS8_S8_S9_S9_EESD_ST_SE_SF_SG_EUlST_E_NS1_11comp_targetILNS1_3genE0ELNS1_11target_archE4294967295ELNS1_3gpuE0ELNS1_3repE0EEENS1_48merge_mergepath_partition_config_static_selectorELNS0_4arch9wavefront6targetE1EEEvSF_
	.p2align	8
	.type	_ZN7rocprim17ROCPRIM_400000_NS6detail17trampoline_kernelINS0_14default_configENS1_38merge_sort_block_merge_config_selectorImNS0_10empty_typeEEEZZNS1_27merge_sort_block_merge_implIS3_PmPS5_jNS1_19radix_merge_compareILb1ELb0EmNS0_19identity_decomposerEEEEE10hipError_tT0_T1_T2_jT3_P12ihipStream_tbPNSt15iterator_traitsISE_E10value_typeEPNSK_ISF_E10value_typeEPSG_NS1_7vsmem_tEENKUlT_SE_SF_SG_E_clIS8_S8_S9_S9_EESD_ST_SE_SF_SG_EUlST_E_NS1_11comp_targetILNS1_3genE0ELNS1_11target_archE4294967295ELNS1_3gpuE0ELNS1_3repE0EEENS1_48merge_mergepath_partition_config_static_selectorELNS0_4arch9wavefront6targetE1EEEvSF_,@function
_ZN7rocprim17ROCPRIM_400000_NS6detail17trampoline_kernelINS0_14default_configENS1_38merge_sort_block_merge_config_selectorImNS0_10empty_typeEEEZZNS1_27merge_sort_block_merge_implIS3_PmPS5_jNS1_19radix_merge_compareILb1ELb0EmNS0_19identity_decomposerEEEEE10hipError_tT0_T1_T2_jT3_P12ihipStream_tbPNSt15iterator_traitsISE_E10value_typeEPNSK_ISF_E10value_typeEPSG_NS1_7vsmem_tEENKUlT_SE_SF_SG_E_clIS8_S8_S9_S9_EESD_ST_SE_SF_SG_EUlST_E_NS1_11comp_targetILNS1_3genE0ELNS1_11target_archE4294967295ELNS1_3gpuE0ELNS1_3repE0EEENS1_48merge_mergepath_partition_config_static_selectorELNS0_4arch9wavefront6targetE1EEEvSF_: ; @_ZN7rocprim17ROCPRIM_400000_NS6detail17trampoline_kernelINS0_14default_configENS1_38merge_sort_block_merge_config_selectorImNS0_10empty_typeEEEZZNS1_27merge_sort_block_merge_implIS3_PmPS5_jNS1_19radix_merge_compareILb1ELb0EmNS0_19identity_decomposerEEEEE10hipError_tT0_T1_T2_jT3_P12ihipStream_tbPNSt15iterator_traitsISE_E10value_typeEPNSK_ISF_E10value_typeEPSG_NS1_7vsmem_tEENKUlT_SE_SF_SG_E_clIS8_S8_S9_S9_EESD_ST_SE_SF_SG_EUlST_E_NS1_11comp_targetILNS1_3genE0ELNS1_11target_archE4294967295ELNS1_3gpuE0ELNS1_3repE0EEENS1_48merge_mergepath_partition_config_static_selectorELNS0_4arch9wavefront6targetE1EEEvSF_
; %bb.0:
	.section	.rodata,"a",@progbits
	.p2align	6, 0x0
	.amdhsa_kernel _ZN7rocprim17ROCPRIM_400000_NS6detail17trampoline_kernelINS0_14default_configENS1_38merge_sort_block_merge_config_selectorImNS0_10empty_typeEEEZZNS1_27merge_sort_block_merge_implIS3_PmPS5_jNS1_19radix_merge_compareILb1ELb0EmNS0_19identity_decomposerEEEEE10hipError_tT0_T1_T2_jT3_P12ihipStream_tbPNSt15iterator_traitsISE_E10value_typeEPNSK_ISF_E10value_typeEPSG_NS1_7vsmem_tEENKUlT_SE_SF_SG_E_clIS8_S8_S9_S9_EESD_ST_SE_SF_SG_EUlST_E_NS1_11comp_targetILNS1_3genE0ELNS1_11target_archE4294967295ELNS1_3gpuE0ELNS1_3repE0EEENS1_48merge_mergepath_partition_config_static_selectorELNS0_4arch9wavefront6targetE1EEEvSF_
		.amdhsa_group_segment_fixed_size 0
		.amdhsa_private_segment_fixed_size 0
		.amdhsa_kernarg_size 40
		.amdhsa_user_sgpr_count 6
		.amdhsa_user_sgpr_private_segment_buffer 1
		.amdhsa_user_sgpr_dispatch_ptr 0
		.amdhsa_user_sgpr_queue_ptr 0
		.amdhsa_user_sgpr_kernarg_segment_ptr 1
		.amdhsa_user_sgpr_dispatch_id 0
		.amdhsa_user_sgpr_flat_scratch_init 0
		.amdhsa_user_sgpr_kernarg_preload_length 0
		.amdhsa_user_sgpr_kernarg_preload_offset 0
		.amdhsa_user_sgpr_private_segment_size 0
		.amdhsa_uses_dynamic_stack 0
		.amdhsa_system_sgpr_private_segment_wavefront_offset 0
		.amdhsa_system_sgpr_workgroup_id_x 1
		.amdhsa_system_sgpr_workgroup_id_y 0
		.amdhsa_system_sgpr_workgroup_id_z 0
		.amdhsa_system_sgpr_workgroup_info 0
		.amdhsa_system_vgpr_workitem_id 0
		.amdhsa_next_free_vgpr 1
		.amdhsa_next_free_sgpr 0
		.amdhsa_accum_offset 4
		.amdhsa_reserve_vcc 0
		.amdhsa_reserve_flat_scratch 0
		.amdhsa_float_round_mode_32 0
		.amdhsa_float_round_mode_16_64 0
		.amdhsa_float_denorm_mode_32 3
		.amdhsa_float_denorm_mode_16_64 3
		.amdhsa_dx10_clamp 1
		.amdhsa_ieee_mode 1
		.amdhsa_fp16_overflow 0
		.amdhsa_tg_split 0
		.amdhsa_exception_fp_ieee_invalid_op 0
		.amdhsa_exception_fp_denorm_src 0
		.amdhsa_exception_fp_ieee_div_zero 0
		.amdhsa_exception_fp_ieee_overflow 0
		.amdhsa_exception_fp_ieee_underflow 0
		.amdhsa_exception_fp_ieee_inexact 0
		.amdhsa_exception_int_div_zero 0
	.end_amdhsa_kernel
	.section	.text._ZN7rocprim17ROCPRIM_400000_NS6detail17trampoline_kernelINS0_14default_configENS1_38merge_sort_block_merge_config_selectorImNS0_10empty_typeEEEZZNS1_27merge_sort_block_merge_implIS3_PmPS5_jNS1_19radix_merge_compareILb1ELb0EmNS0_19identity_decomposerEEEEE10hipError_tT0_T1_T2_jT3_P12ihipStream_tbPNSt15iterator_traitsISE_E10value_typeEPNSK_ISF_E10value_typeEPSG_NS1_7vsmem_tEENKUlT_SE_SF_SG_E_clIS8_S8_S9_S9_EESD_ST_SE_SF_SG_EUlST_E_NS1_11comp_targetILNS1_3genE0ELNS1_11target_archE4294967295ELNS1_3gpuE0ELNS1_3repE0EEENS1_48merge_mergepath_partition_config_static_selectorELNS0_4arch9wavefront6targetE1EEEvSF_,"axG",@progbits,_ZN7rocprim17ROCPRIM_400000_NS6detail17trampoline_kernelINS0_14default_configENS1_38merge_sort_block_merge_config_selectorImNS0_10empty_typeEEEZZNS1_27merge_sort_block_merge_implIS3_PmPS5_jNS1_19radix_merge_compareILb1ELb0EmNS0_19identity_decomposerEEEEE10hipError_tT0_T1_T2_jT3_P12ihipStream_tbPNSt15iterator_traitsISE_E10value_typeEPNSK_ISF_E10value_typeEPSG_NS1_7vsmem_tEENKUlT_SE_SF_SG_E_clIS8_S8_S9_S9_EESD_ST_SE_SF_SG_EUlST_E_NS1_11comp_targetILNS1_3genE0ELNS1_11target_archE4294967295ELNS1_3gpuE0ELNS1_3repE0EEENS1_48merge_mergepath_partition_config_static_selectorELNS0_4arch9wavefront6targetE1EEEvSF_,comdat
.Lfunc_end2225:
	.size	_ZN7rocprim17ROCPRIM_400000_NS6detail17trampoline_kernelINS0_14default_configENS1_38merge_sort_block_merge_config_selectorImNS0_10empty_typeEEEZZNS1_27merge_sort_block_merge_implIS3_PmPS5_jNS1_19radix_merge_compareILb1ELb0EmNS0_19identity_decomposerEEEEE10hipError_tT0_T1_T2_jT3_P12ihipStream_tbPNSt15iterator_traitsISE_E10value_typeEPNSK_ISF_E10value_typeEPSG_NS1_7vsmem_tEENKUlT_SE_SF_SG_E_clIS8_S8_S9_S9_EESD_ST_SE_SF_SG_EUlST_E_NS1_11comp_targetILNS1_3genE0ELNS1_11target_archE4294967295ELNS1_3gpuE0ELNS1_3repE0EEENS1_48merge_mergepath_partition_config_static_selectorELNS0_4arch9wavefront6targetE1EEEvSF_, .Lfunc_end2225-_ZN7rocprim17ROCPRIM_400000_NS6detail17trampoline_kernelINS0_14default_configENS1_38merge_sort_block_merge_config_selectorImNS0_10empty_typeEEEZZNS1_27merge_sort_block_merge_implIS3_PmPS5_jNS1_19radix_merge_compareILb1ELb0EmNS0_19identity_decomposerEEEEE10hipError_tT0_T1_T2_jT3_P12ihipStream_tbPNSt15iterator_traitsISE_E10value_typeEPNSK_ISF_E10value_typeEPSG_NS1_7vsmem_tEENKUlT_SE_SF_SG_E_clIS8_S8_S9_S9_EESD_ST_SE_SF_SG_EUlST_E_NS1_11comp_targetILNS1_3genE0ELNS1_11target_archE4294967295ELNS1_3gpuE0ELNS1_3repE0EEENS1_48merge_mergepath_partition_config_static_selectorELNS0_4arch9wavefront6targetE1EEEvSF_
                                        ; -- End function
	.section	.AMDGPU.csdata,"",@progbits
; Kernel info:
; codeLenInByte = 0
; NumSgprs: 4
; NumVgprs: 0
; NumAgprs: 0
; TotalNumVgprs: 0
; ScratchSize: 0
; MemoryBound: 0
; FloatMode: 240
; IeeeMode: 1
; LDSByteSize: 0 bytes/workgroup (compile time only)
; SGPRBlocks: 0
; VGPRBlocks: 0
; NumSGPRsForWavesPerEU: 4
; NumVGPRsForWavesPerEU: 1
; AccumOffset: 4
; Occupancy: 8
; WaveLimiterHint : 0
; COMPUTE_PGM_RSRC2:SCRATCH_EN: 0
; COMPUTE_PGM_RSRC2:USER_SGPR: 6
; COMPUTE_PGM_RSRC2:TRAP_HANDLER: 0
; COMPUTE_PGM_RSRC2:TGID_X_EN: 1
; COMPUTE_PGM_RSRC2:TGID_Y_EN: 0
; COMPUTE_PGM_RSRC2:TGID_Z_EN: 0
; COMPUTE_PGM_RSRC2:TIDIG_COMP_CNT: 0
; COMPUTE_PGM_RSRC3_GFX90A:ACCUM_OFFSET: 0
; COMPUTE_PGM_RSRC3_GFX90A:TG_SPLIT: 0
	.section	.text._ZN7rocprim17ROCPRIM_400000_NS6detail17trampoline_kernelINS0_14default_configENS1_38merge_sort_block_merge_config_selectorImNS0_10empty_typeEEEZZNS1_27merge_sort_block_merge_implIS3_PmPS5_jNS1_19radix_merge_compareILb1ELb0EmNS0_19identity_decomposerEEEEE10hipError_tT0_T1_T2_jT3_P12ihipStream_tbPNSt15iterator_traitsISE_E10value_typeEPNSK_ISF_E10value_typeEPSG_NS1_7vsmem_tEENKUlT_SE_SF_SG_E_clIS8_S8_S9_S9_EESD_ST_SE_SF_SG_EUlST_E_NS1_11comp_targetILNS1_3genE10ELNS1_11target_archE1201ELNS1_3gpuE5ELNS1_3repE0EEENS1_48merge_mergepath_partition_config_static_selectorELNS0_4arch9wavefront6targetE1EEEvSF_,"axG",@progbits,_ZN7rocprim17ROCPRIM_400000_NS6detail17trampoline_kernelINS0_14default_configENS1_38merge_sort_block_merge_config_selectorImNS0_10empty_typeEEEZZNS1_27merge_sort_block_merge_implIS3_PmPS5_jNS1_19radix_merge_compareILb1ELb0EmNS0_19identity_decomposerEEEEE10hipError_tT0_T1_T2_jT3_P12ihipStream_tbPNSt15iterator_traitsISE_E10value_typeEPNSK_ISF_E10value_typeEPSG_NS1_7vsmem_tEENKUlT_SE_SF_SG_E_clIS8_S8_S9_S9_EESD_ST_SE_SF_SG_EUlST_E_NS1_11comp_targetILNS1_3genE10ELNS1_11target_archE1201ELNS1_3gpuE5ELNS1_3repE0EEENS1_48merge_mergepath_partition_config_static_selectorELNS0_4arch9wavefront6targetE1EEEvSF_,comdat
	.protected	_ZN7rocprim17ROCPRIM_400000_NS6detail17trampoline_kernelINS0_14default_configENS1_38merge_sort_block_merge_config_selectorImNS0_10empty_typeEEEZZNS1_27merge_sort_block_merge_implIS3_PmPS5_jNS1_19radix_merge_compareILb1ELb0EmNS0_19identity_decomposerEEEEE10hipError_tT0_T1_T2_jT3_P12ihipStream_tbPNSt15iterator_traitsISE_E10value_typeEPNSK_ISF_E10value_typeEPSG_NS1_7vsmem_tEENKUlT_SE_SF_SG_E_clIS8_S8_S9_S9_EESD_ST_SE_SF_SG_EUlST_E_NS1_11comp_targetILNS1_3genE10ELNS1_11target_archE1201ELNS1_3gpuE5ELNS1_3repE0EEENS1_48merge_mergepath_partition_config_static_selectorELNS0_4arch9wavefront6targetE1EEEvSF_ ; -- Begin function _ZN7rocprim17ROCPRIM_400000_NS6detail17trampoline_kernelINS0_14default_configENS1_38merge_sort_block_merge_config_selectorImNS0_10empty_typeEEEZZNS1_27merge_sort_block_merge_implIS3_PmPS5_jNS1_19radix_merge_compareILb1ELb0EmNS0_19identity_decomposerEEEEE10hipError_tT0_T1_T2_jT3_P12ihipStream_tbPNSt15iterator_traitsISE_E10value_typeEPNSK_ISF_E10value_typeEPSG_NS1_7vsmem_tEENKUlT_SE_SF_SG_E_clIS8_S8_S9_S9_EESD_ST_SE_SF_SG_EUlST_E_NS1_11comp_targetILNS1_3genE10ELNS1_11target_archE1201ELNS1_3gpuE5ELNS1_3repE0EEENS1_48merge_mergepath_partition_config_static_selectorELNS0_4arch9wavefront6targetE1EEEvSF_
	.globl	_ZN7rocprim17ROCPRIM_400000_NS6detail17trampoline_kernelINS0_14default_configENS1_38merge_sort_block_merge_config_selectorImNS0_10empty_typeEEEZZNS1_27merge_sort_block_merge_implIS3_PmPS5_jNS1_19radix_merge_compareILb1ELb0EmNS0_19identity_decomposerEEEEE10hipError_tT0_T1_T2_jT3_P12ihipStream_tbPNSt15iterator_traitsISE_E10value_typeEPNSK_ISF_E10value_typeEPSG_NS1_7vsmem_tEENKUlT_SE_SF_SG_E_clIS8_S8_S9_S9_EESD_ST_SE_SF_SG_EUlST_E_NS1_11comp_targetILNS1_3genE10ELNS1_11target_archE1201ELNS1_3gpuE5ELNS1_3repE0EEENS1_48merge_mergepath_partition_config_static_selectorELNS0_4arch9wavefront6targetE1EEEvSF_
	.p2align	8
	.type	_ZN7rocprim17ROCPRIM_400000_NS6detail17trampoline_kernelINS0_14default_configENS1_38merge_sort_block_merge_config_selectorImNS0_10empty_typeEEEZZNS1_27merge_sort_block_merge_implIS3_PmPS5_jNS1_19radix_merge_compareILb1ELb0EmNS0_19identity_decomposerEEEEE10hipError_tT0_T1_T2_jT3_P12ihipStream_tbPNSt15iterator_traitsISE_E10value_typeEPNSK_ISF_E10value_typeEPSG_NS1_7vsmem_tEENKUlT_SE_SF_SG_E_clIS8_S8_S9_S9_EESD_ST_SE_SF_SG_EUlST_E_NS1_11comp_targetILNS1_3genE10ELNS1_11target_archE1201ELNS1_3gpuE5ELNS1_3repE0EEENS1_48merge_mergepath_partition_config_static_selectorELNS0_4arch9wavefront6targetE1EEEvSF_,@function
_ZN7rocprim17ROCPRIM_400000_NS6detail17trampoline_kernelINS0_14default_configENS1_38merge_sort_block_merge_config_selectorImNS0_10empty_typeEEEZZNS1_27merge_sort_block_merge_implIS3_PmPS5_jNS1_19radix_merge_compareILb1ELb0EmNS0_19identity_decomposerEEEEE10hipError_tT0_T1_T2_jT3_P12ihipStream_tbPNSt15iterator_traitsISE_E10value_typeEPNSK_ISF_E10value_typeEPSG_NS1_7vsmem_tEENKUlT_SE_SF_SG_E_clIS8_S8_S9_S9_EESD_ST_SE_SF_SG_EUlST_E_NS1_11comp_targetILNS1_3genE10ELNS1_11target_archE1201ELNS1_3gpuE5ELNS1_3repE0EEENS1_48merge_mergepath_partition_config_static_selectorELNS0_4arch9wavefront6targetE1EEEvSF_: ; @_ZN7rocprim17ROCPRIM_400000_NS6detail17trampoline_kernelINS0_14default_configENS1_38merge_sort_block_merge_config_selectorImNS0_10empty_typeEEEZZNS1_27merge_sort_block_merge_implIS3_PmPS5_jNS1_19radix_merge_compareILb1ELb0EmNS0_19identity_decomposerEEEEE10hipError_tT0_T1_T2_jT3_P12ihipStream_tbPNSt15iterator_traitsISE_E10value_typeEPNSK_ISF_E10value_typeEPSG_NS1_7vsmem_tEENKUlT_SE_SF_SG_E_clIS8_S8_S9_S9_EESD_ST_SE_SF_SG_EUlST_E_NS1_11comp_targetILNS1_3genE10ELNS1_11target_archE1201ELNS1_3gpuE5ELNS1_3repE0EEENS1_48merge_mergepath_partition_config_static_selectorELNS0_4arch9wavefront6targetE1EEEvSF_
; %bb.0:
	.section	.rodata,"a",@progbits
	.p2align	6, 0x0
	.amdhsa_kernel _ZN7rocprim17ROCPRIM_400000_NS6detail17trampoline_kernelINS0_14default_configENS1_38merge_sort_block_merge_config_selectorImNS0_10empty_typeEEEZZNS1_27merge_sort_block_merge_implIS3_PmPS5_jNS1_19radix_merge_compareILb1ELb0EmNS0_19identity_decomposerEEEEE10hipError_tT0_T1_T2_jT3_P12ihipStream_tbPNSt15iterator_traitsISE_E10value_typeEPNSK_ISF_E10value_typeEPSG_NS1_7vsmem_tEENKUlT_SE_SF_SG_E_clIS8_S8_S9_S9_EESD_ST_SE_SF_SG_EUlST_E_NS1_11comp_targetILNS1_3genE10ELNS1_11target_archE1201ELNS1_3gpuE5ELNS1_3repE0EEENS1_48merge_mergepath_partition_config_static_selectorELNS0_4arch9wavefront6targetE1EEEvSF_
		.amdhsa_group_segment_fixed_size 0
		.amdhsa_private_segment_fixed_size 0
		.amdhsa_kernarg_size 40
		.amdhsa_user_sgpr_count 6
		.amdhsa_user_sgpr_private_segment_buffer 1
		.amdhsa_user_sgpr_dispatch_ptr 0
		.amdhsa_user_sgpr_queue_ptr 0
		.amdhsa_user_sgpr_kernarg_segment_ptr 1
		.amdhsa_user_sgpr_dispatch_id 0
		.amdhsa_user_sgpr_flat_scratch_init 0
		.amdhsa_user_sgpr_kernarg_preload_length 0
		.amdhsa_user_sgpr_kernarg_preload_offset 0
		.amdhsa_user_sgpr_private_segment_size 0
		.amdhsa_uses_dynamic_stack 0
		.amdhsa_system_sgpr_private_segment_wavefront_offset 0
		.amdhsa_system_sgpr_workgroup_id_x 1
		.amdhsa_system_sgpr_workgroup_id_y 0
		.amdhsa_system_sgpr_workgroup_id_z 0
		.amdhsa_system_sgpr_workgroup_info 0
		.amdhsa_system_vgpr_workitem_id 0
		.amdhsa_next_free_vgpr 1
		.amdhsa_next_free_sgpr 0
		.amdhsa_accum_offset 4
		.amdhsa_reserve_vcc 0
		.amdhsa_reserve_flat_scratch 0
		.amdhsa_float_round_mode_32 0
		.amdhsa_float_round_mode_16_64 0
		.amdhsa_float_denorm_mode_32 3
		.amdhsa_float_denorm_mode_16_64 3
		.amdhsa_dx10_clamp 1
		.amdhsa_ieee_mode 1
		.amdhsa_fp16_overflow 0
		.amdhsa_tg_split 0
		.amdhsa_exception_fp_ieee_invalid_op 0
		.amdhsa_exception_fp_denorm_src 0
		.amdhsa_exception_fp_ieee_div_zero 0
		.amdhsa_exception_fp_ieee_overflow 0
		.amdhsa_exception_fp_ieee_underflow 0
		.amdhsa_exception_fp_ieee_inexact 0
		.amdhsa_exception_int_div_zero 0
	.end_amdhsa_kernel
	.section	.text._ZN7rocprim17ROCPRIM_400000_NS6detail17trampoline_kernelINS0_14default_configENS1_38merge_sort_block_merge_config_selectorImNS0_10empty_typeEEEZZNS1_27merge_sort_block_merge_implIS3_PmPS5_jNS1_19radix_merge_compareILb1ELb0EmNS0_19identity_decomposerEEEEE10hipError_tT0_T1_T2_jT3_P12ihipStream_tbPNSt15iterator_traitsISE_E10value_typeEPNSK_ISF_E10value_typeEPSG_NS1_7vsmem_tEENKUlT_SE_SF_SG_E_clIS8_S8_S9_S9_EESD_ST_SE_SF_SG_EUlST_E_NS1_11comp_targetILNS1_3genE10ELNS1_11target_archE1201ELNS1_3gpuE5ELNS1_3repE0EEENS1_48merge_mergepath_partition_config_static_selectorELNS0_4arch9wavefront6targetE1EEEvSF_,"axG",@progbits,_ZN7rocprim17ROCPRIM_400000_NS6detail17trampoline_kernelINS0_14default_configENS1_38merge_sort_block_merge_config_selectorImNS0_10empty_typeEEEZZNS1_27merge_sort_block_merge_implIS3_PmPS5_jNS1_19radix_merge_compareILb1ELb0EmNS0_19identity_decomposerEEEEE10hipError_tT0_T1_T2_jT3_P12ihipStream_tbPNSt15iterator_traitsISE_E10value_typeEPNSK_ISF_E10value_typeEPSG_NS1_7vsmem_tEENKUlT_SE_SF_SG_E_clIS8_S8_S9_S9_EESD_ST_SE_SF_SG_EUlST_E_NS1_11comp_targetILNS1_3genE10ELNS1_11target_archE1201ELNS1_3gpuE5ELNS1_3repE0EEENS1_48merge_mergepath_partition_config_static_selectorELNS0_4arch9wavefront6targetE1EEEvSF_,comdat
.Lfunc_end2226:
	.size	_ZN7rocprim17ROCPRIM_400000_NS6detail17trampoline_kernelINS0_14default_configENS1_38merge_sort_block_merge_config_selectorImNS0_10empty_typeEEEZZNS1_27merge_sort_block_merge_implIS3_PmPS5_jNS1_19radix_merge_compareILb1ELb0EmNS0_19identity_decomposerEEEEE10hipError_tT0_T1_T2_jT3_P12ihipStream_tbPNSt15iterator_traitsISE_E10value_typeEPNSK_ISF_E10value_typeEPSG_NS1_7vsmem_tEENKUlT_SE_SF_SG_E_clIS8_S8_S9_S9_EESD_ST_SE_SF_SG_EUlST_E_NS1_11comp_targetILNS1_3genE10ELNS1_11target_archE1201ELNS1_3gpuE5ELNS1_3repE0EEENS1_48merge_mergepath_partition_config_static_selectorELNS0_4arch9wavefront6targetE1EEEvSF_, .Lfunc_end2226-_ZN7rocprim17ROCPRIM_400000_NS6detail17trampoline_kernelINS0_14default_configENS1_38merge_sort_block_merge_config_selectorImNS0_10empty_typeEEEZZNS1_27merge_sort_block_merge_implIS3_PmPS5_jNS1_19radix_merge_compareILb1ELb0EmNS0_19identity_decomposerEEEEE10hipError_tT0_T1_T2_jT3_P12ihipStream_tbPNSt15iterator_traitsISE_E10value_typeEPNSK_ISF_E10value_typeEPSG_NS1_7vsmem_tEENKUlT_SE_SF_SG_E_clIS8_S8_S9_S9_EESD_ST_SE_SF_SG_EUlST_E_NS1_11comp_targetILNS1_3genE10ELNS1_11target_archE1201ELNS1_3gpuE5ELNS1_3repE0EEENS1_48merge_mergepath_partition_config_static_selectorELNS0_4arch9wavefront6targetE1EEEvSF_
                                        ; -- End function
	.section	.AMDGPU.csdata,"",@progbits
; Kernel info:
; codeLenInByte = 0
; NumSgprs: 4
; NumVgprs: 0
; NumAgprs: 0
; TotalNumVgprs: 0
; ScratchSize: 0
; MemoryBound: 0
; FloatMode: 240
; IeeeMode: 1
; LDSByteSize: 0 bytes/workgroup (compile time only)
; SGPRBlocks: 0
; VGPRBlocks: 0
; NumSGPRsForWavesPerEU: 4
; NumVGPRsForWavesPerEU: 1
; AccumOffset: 4
; Occupancy: 8
; WaveLimiterHint : 0
; COMPUTE_PGM_RSRC2:SCRATCH_EN: 0
; COMPUTE_PGM_RSRC2:USER_SGPR: 6
; COMPUTE_PGM_RSRC2:TRAP_HANDLER: 0
; COMPUTE_PGM_RSRC2:TGID_X_EN: 1
; COMPUTE_PGM_RSRC2:TGID_Y_EN: 0
; COMPUTE_PGM_RSRC2:TGID_Z_EN: 0
; COMPUTE_PGM_RSRC2:TIDIG_COMP_CNT: 0
; COMPUTE_PGM_RSRC3_GFX90A:ACCUM_OFFSET: 0
; COMPUTE_PGM_RSRC3_GFX90A:TG_SPLIT: 0
	.section	.text._ZN7rocprim17ROCPRIM_400000_NS6detail17trampoline_kernelINS0_14default_configENS1_38merge_sort_block_merge_config_selectorImNS0_10empty_typeEEEZZNS1_27merge_sort_block_merge_implIS3_PmPS5_jNS1_19radix_merge_compareILb1ELb0EmNS0_19identity_decomposerEEEEE10hipError_tT0_T1_T2_jT3_P12ihipStream_tbPNSt15iterator_traitsISE_E10value_typeEPNSK_ISF_E10value_typeEPSG_NS1_7vsmem_tEENKUlT_SE_SF_SG_E_clIS8_S8_S9_S9_EESD_ST_SE_SF_SG_EUlST_E_NS1_11comp_targetILNS1_3genE5ELNS1_11target_archE942ELNS1_3gpuE9ELNS1_3repE0EEENS1_48merge_mergepath_partition_config_static_selectorELNS0_4arch9wavefront6targetE1EEEvSF_,"axG",@progbits,_ZN7rocprim17ROCPRIM_400000_NS6detail17trampoline_kernelINS0_14default_configENS1_38merge_sort_block_merge_config_selectorImNS0_10empty_typeEEEZZNS1_27merge_sort_block_merge_implIS3_PmPS5_jNS1_19radix_merge_compareILb1ELb0EmNS0_19identity_decomposerEEEEE10hipError_tT0_T1_T2_jT3_P12ihipStream_tbPNSt15iterator_traitsISE_E10value_typeEPNSK_ISF_E10value_typeEPSG_NS1_7vsmem_tEENKUlT_SE_SF_SG_E_clIS8_S8_S9_S9_EESD_ST_SE_SF_SG_EUlST_E_NS1_11comp_targetILNS1_3genE5ELNS1_11target_archE942ELNS1_3gpuE9ELNS1_3repE0EEENS1_48merge_mergepath_partition_config_static_selectorELNS0_4arch9wavefront6targetE1EEEvSF_,comdat
	.protected	_ZN7rocprim17ROCPRIM_400000_NS6detail17trampoline_kernelINS0_14default_configENS1_38merge_sort_block_merge_config_selectorImNS0_10empty_typeEEEZZNS1_27merge_sort_block_merge_implIS3_PmPS5_jNS1_19radix_merge_compareILb1ELb0EmNS0_19identity_decomposerEEEEE10hipError_tT0_T1_T2_jT3_P12ihipStream_tbPNSt15iterator_traitsISE_E10value_typeEPNSK_ISF_E10value_typeEPSG_NS1_7vsmem_tEENKUlT_SE_SF_SG_E_clIS8_S8_S9_S9_EESD_ST_SE_SF_SG_EUlST_E_NS1_11comp_targetILNS1_3genE5ELNS1_11target_archE942ELNS1_3gpuE9ELNS1_3repE0EEENS1_48merge_mergepath_partition_config_static_selectorELNS0_4arch9wavefront6targetE1EEEvSF_ ; -- Begin function _ZN7rocprim17ROCPRIM_400000_NS6detail17trampoline_kernelINS0_14default_configENS1_38merge_sort_block_merge_config_selectorImNS0_10empty_typeEEEZZNS1_27merge_sort_block_merge_implIS3_PmPS5_jNS1_19radix_merge_compareILb1ELb0EmNS0_19identity_decomposerEEEEE10hipError_tT0_T1_T2_jT3_P12ihipStream_tbPNSt15iterator_traitsISE_E10value_typeEPNSK_ISF_E10value_typeEPSG_NS1_7vsmem_tEENKUlT_SE_SF_SG_E_clIS8_S8_S9_S9_EESD_ST_SE_SF_SG_EUlST_E_NS1_11comp_targetILNS1_3genE5ELNS1_11target_archE942ELNS1_3gpuE9ELNS1_3repE0EEENS1_48merge_mergepath_partition_config_static_selectorELNS0_4arch9wavefront6targetE1EEEvSF_
	.globl	_ZN7rocprim17ROCPRIM_400000_NS6detail17trampoline_kernelINS0_14default_configENS1_38merge_sort_block_merge_config_selectorImNS0_10empty_typeEEEZZNS1_27merge_sort_block_merge_implIS3_PmPS5_jNS1_19radix_merge_compareILb1ELb0EmNS0_19identity_decomposerEEEEE10hipError_tT0_T1_T2_jT3_P12ihipStream_tbPNSt15iterator_traitsISE_E10value_typeEPNSK_ISF_E10value_typeEPSG_NS1_7vsmem_tEENKUlT_SE_SF_SG_E_clIS8_S8_S9_S9_EESD_ST_SE_SF_SG_EUlST_E_NS1_11comp_targetILNS1_3genE5ELNS1_11target_archE942ELNS1_3gpuE9ELNS1_3repE0EEENS1_48merge_mergepath_partition_config_static_selectorELNS0_4arch9wavefront6targetE1EEEvSF_
	.p2align	8
	.type	_ZN7rocprim17ROCPRIM_400000_NS6detail17trampoline_kernelINS0_14default_configENS1_38merge_sort_block_merge_config_selectorImNS0_10empty_typeEEEZZNS1_27merge_sort_block_merge_implIS3_PmPS5_jNS1_19radix_merge_compareILb1ELb0EmNS0_19identity_decomposerEEEEE10hipError_tT0_T1_T2_jT3_P12ihipStream_tbPNSt15iterator_traitsISE_E10value_typeEPNSK_ISF_E10value_typeEPSG_NS1_7vsmem_tEENKUlT_SE_SF_SG_E_clIS8_S8_S9_S9_EESD_ST_SE_SF_SG_EUlST_E_NS1_11comp_targetILNS1_3genE5ELNS1_11target_archE942ELNS1_3gpuE9ELNS1_3repE0EEENS1_48merge_mergepath_partition_config_static_selectorELNS0_4arch9wavefront6targetE1EEEvSF_,@function
_ZN7rocprim17ROCPRIM_400000_NS6detail17trampoline_kernelINS0_14default_configENS1_38merge_sort_block_merge_config_selectorImNS0_10empty_typeEEEZZNS1_27merge_sort_block_merge_implIS3_PmPS5_jNS1_19radix_merge_compareILb1ELb0EmNS0_19identity_decomposerEEEEE10hipError_tT0_T1_T2_jT3_P12ihipStream_tbPNSt15iterator_traitsISE_E10value_typeEPNSK_ISF_E10value_typeEPSG_NS1_7vsmem_tEENKUlT_SE_SF_SG_E_clIS8_S8_S9_S9_EESD_ST_SE_SF_SG_EUlST_E_NS1_11comp_targetILNS1_3genE5ELNS1_11target_archE942ELNS1_3gpuE9ELNS1_3repE0EEENS1_48merge_mergepath_partition_config_static_selectorELNS0_4arch9wavefront6targetE1EEEvSF_: ; @_ZN7rocprim17ROCPRIM_400000_NS6detail17trampoline_kernelINS0_14default_configENS1_38merge_sort_block_merge_config_selectorImNS0_10empty_typeEEEZZNS1_27merge_sort_block_merge_implIS3_PmPS5_jNS1_19radix_merge_compareILb1ELb0EmNS0_19identity_decomposerEEEEE10hipError_tT0_T1_T2_jT3_P12ihipStream_tbPNSt15iterator_traitsISE_E10value_typeEPNSK_ISF_E10value_typeEPSG_NS1_7vsmem_tEENKUlT_SE_SF_SG_E_clIS8_S8_S9_S9_EESD_ST_SE_SF_SG_EUlST_E_NS1_11comp_targetILNS1_3genE5ELNS1_11target_archE942ELNS1_3gpuE9ELNS1_3repE0EEENS1_48merge_mergepath_partition_config_static_selectorELNS0_4arch9wavefront6targetE1EEEvSF_
; %bb.0:
	.section	.rodata,"a",@progbits
	.p2align	6, 0x0
	.amdhsa_kernel _ZN7rocprim17ROCPRIM_400000_NS6detail17trampoline_kernelINS0_14default_configENS1_38merge_sort_block_merge_config_selectorImNS0_10empty_typeEEEZZNS1_27merge_sort_block_merge_implIS3_PmPS5_jNS1_19radix_merge_compareILb1ELb0EmNS0_19identity_decomposerEEEEE10hipError_tT0_T1_T2_jT3_P12ihipStream_tbPNSt15iterator_traitsISE_E10value_typeEPNSK_ISF_E10value_typeEPSG_NS1_7vsmem_tEENKUlT_SE_SF_SG_E_clIS8_S8_S9_S9_EESD_ST_SE_SF_SG_EUlST_E_NS1_11comp_targetILNS1_3genE5ELNS1_11target_archE942ELNS1_3gpuE9ELNS1_3repE0EEENS1_48merge_mergepath_partition_config_static_selectorELNS0_4arch9wavefront6targetE1EEEvSF_
		.amdhsa_group_segment_fixed_size 0
		.amdhsa_private_segment_fixed_size 0
		.amdhsa_kernarg_size 40
		.amdhsa_user_sgpr_count 6
		.amdhsa_user_sgpr_private_segment_buffer 1
		.amdhsa_user_sgpr_dispatch_ptr 0
		.amdhsa_user_sgpr_queue_ptr 0
		.amdhsa_user_sgpr_kernarg_segment_ptr 1
		.amdhsa_user_sgpr_dispatch_id 0
		.amdhsa_user_sgpr_flat_scratch_init 0
		.amdhsa_user_sgpr_kernarg_preload_length 0
		.amdhsa_user_sgpr_kernarg_preload_offset 0
		.amdhsa_user_sgpr_private_segment_size 0
		.amdhsa_uses_dynamic_stack 0
		.amdhsa_system_sgpr_private_segment_wavefront_offset 0
		.amdhsa_system_sgpr_workgroup_id_x 1
		.amdhsa_system_sgpr_workgroup_id_y 0
		.amdhsa_system_sgpr_workgroup_id_z 0
		.amdhsa_system_sgpr_workgroup_info 0
		.amdhsa_system_vgpr_workitem_id 0
		.amdhsa_next_free_vgpr 1
		.amdhsa_next_free_sgpr 0
		.amdhsa_accum_offset 4
		.amdhsa_reserve_vcc 0
		.amdhsa_reserve_flat_scratch 0
		.amdhsa_float_round_mode_32 0
		.amdhsa_float_round_mode_16_64 0
		.amdhsa_float_denorm_mode_32 3
		.amdhsa_float_denorm_mode_16_64 3
		.amdhsa_dx10_clamp 1
		.amdhsa_ieee_mode 1
		.amdhsa_fp16_overflow 0
		.amdhsa_tg_split 0
		.amdhsa_exception_fp_ieee_invalid_op 0
		.amdhsa_exception_fp_denorm_src 0
		.amdhsa_exception_fp_ieee_div_zero 0
		.amdhsa_exception_fp_ieee_overflow 0
		.amdhsa_exception_fp_ieee_underflow 0
		.amdhsa_exception_fp_ieee_inexact 0
		.amdhsa_exception_int_div_zero 0
	.end_amdhsa_kernel
	.section	.text._ZN7rocprim17ROCPRIM_400000_NS6detail17trampoline_kernelINS0_14default_configENS1_38merge_sort_block_merge_config_selectorImNS0_10empty_typeEEEZZNS1_27merge_sort_block_merge_implIS3_PmPS5_jNS1_19radix_merge_compareILb1ELb0EmNS0_19identity_decomposerEEEEE10hipError_tT0_T1_T2_jT3_P12ihipStream_tbPNSt15iterator_traitsISE_E10value_typeEPNSK_ISF_E10value_typeEPSG_NS1_7vsmem_tEENKUlT_SE_SF_SG_E_clIS8_S8_S9_S9_EESD_ST_SE_SF_SG_EUlST_E_NS1_11comp_targetILNS1_3genE5ELNS1_11target_archE942ELNS1_3gpuE9ELNS1_3repE0EEENS1_48merge_mergepath_partition_config_static_selectorELNS0_4arch9wavefront6targetE1EEEvSF_,"axG",@progbits,_ZN7rocprim17ROCPRIM_400000_NS6detail17trampoline_kernelINS0_14default_configENS1_38merge_sort_block_merge_config_selectorImNS0_10empty_typeEEEZZNS1_27merge_sort_block_merge_implIS3_PmPS5_jNS1_19radix_merge_compareILb1ELb0EmNS0_19identity_decomposerEEEEE10hipError_tT0_T1_T2_jT3_P12ihipStream_tbPNSt15iterator_traitsISE_E10value_typeEPNSK_ISF_E10value_typeEPSG_NS1_7vsmem_tEENKUlT_SE_SF_SG_E_clIS8_S8_S9_S9_EESD_ST_SE_SF_SG_EUlST_E_NS1_11comp_targetILNS1_3genE5ELNS1_11target_archE942ELNS1_3gpuE9ELNS1_3repE0EEENS1_48merge_mergepath_partition_config_static_selectorELNS0_4arch9wavefront6targetE1EEEvSF_,comdat
.Lfunc_end2227:
	.size	_ZN7rocprim17ROCPRIM_400000_NS6detail17trampoline_kernelINS0_14default_configENS1_38merge_sort_block_merge_config_selectorImNS0_10empty_typeEEEZZNS1_27merge_sort_block_merge_implIS3_PmPS5_jNS1_19radix_merge_compareILb1ELb0EmNS0_19identity_decomposerEEEEE10hipError_tT0_T1_T2_jT3_P12ihipStream_tbPNSt15iterator_traitsISE_E10value_typeEPNSK_ISF_E10value_typeEPSG_NS1_7vsmem_tEENKUlT_SE_SF_SG_E_clIS8_S8_S9_S9_EESD_ST_SE_SF_SG_EUlST_E_NS1_11comp_targetILNS1_3genE5ELNS1_11target_archE942ELNS1_3gpuE9ELNS1_3repE0EEENS1_48merge_mergepath_partition_config_static_selectorELNS0_4arch9wavefront6targetE1EEEvSF_, .Lfunc_end2227-_ZN7rocprim17ROCPRIM_400000_NS6detail17trampoline_kernelINS0_14default_configENS1_38merge_sort_block_merge_config_selectorImNS0_10empty_typeEEEZZNS1_27merge_sort_block_merge_implIS3_PmPS5_jNS1_19radix_merge_compareILb1ELb0EmNS0_19identity_decomposerEEEEE10hipError_tT0_T1_T2_jT3_P12ihipStream_tbPNSt15iterator_traitsISE_E10value_typeEPNSK_ISF_E10value_typeEPSG_NS1_7vsmem_tEENKUlT_SE_SF_SG_E_clIS8_S8_S9_S9_EESD_ST_SE_SF_SG_EUlST_E_NS1_11comp_targetILNS1_3genE5ELNS1_11target_archE942ELNS1_3gpuE9ELNS1_3repE0EEENS1_48merge_mergepath_partition_config_static_selectorELNS0_4arch9wavefront6targetE1EEEvSF_
                                        ; -- End function
	.section	.AMDGPU.csdata,"",@progbits
; Kernel info:
; codeLenInByte = 0
; NumSgprs: 4
; NumVgprs: 0
; NumAgprs: 0
; TotalNumVgprs: 0
; ScratchSize: 0
; MemoryBound: 0
; FloatMode: 240
; IeeeMode: 1
; LDSByteSize: 0 bytes/workgroup (compile time only)
; SGPRBlocks: 0
; VGPRBlocks: 0
; NumSGPRsForWavesPerEU: 4
; NumVGPRsForWavesPerEU: 1
; AccumOffset: 4
; Occupancy: 8
; WaveLimiterHint : 0
; COMPUTE_PGM_RSRC2:SCRATCH_EN: 0
; COMPUTE_PGM_RSRC2:USER_SGPR: 6
; COMPUTE_PGM_RSRC2:TRAP_HANDLER: 0
; COMPUTE_PGM_RSRC2:TGID_X_EN: 1
; COMPUTE_PGM_RSRC2:TGID_Y_EN: 0
; COMPUTE_PGM_RSRC2:TGID_Z_EN: 0
; COMPUTE_PGM_RSRC2:TIDIG_COMP_CNT: 0
; COMPUTE_PGM_RSRC3_GFX90A:ACCUM_OFFSET: 0
; COMPUTE_PGM_RSRC3_GFX90A:TG_SPLIT: 0
	.section	.text._ZN7rocprim17ROCPRIM_400000_NS6detail17trampoline_kernelINS0_14default_configENS1_38merge_sort_block_merge_config_selectorImNS0_10empty_typeEEEZZNS1_27merge_sort_block_merge_implIS3_PmPS5_jNS1_19radix_merge_compareILb1ELb0EmNS0_19identity_decomposerEEEEE10hipError_tT0_T1_T2_jT3_P12ihipStream_tbPNSt15iterator_traitsISE_E10value_typeEPNSK_ISF_E10value_typeEPSG_NS1_7vsmem_tEENKUlT_SE_SF_SG_E_clIS8_S8_S9_S9_EESD_ST_SE_SF_SG_EUlST_E_NS1_11comp_targetILNS1_3genE4ELNS1_11target_archE910ELNS1_3gpuE8ELNS1_3repE0EEENS1_48merge_mergepath_partition_config_static_selectorELNS0_4arch9wavefront6targetE1EEEvSF_,"axG",@progbits,_ZN7rocprim17ROCPRIM_400000_NS6detail17trampoline_kernelINS0_14default_configENS1_38merge_sort_block_merge_config_selectorImNS0_10empty_typeEEEZZNS1_27merge_sort_block_merge_implIS3_PmPS5_jNS1_19radix_merge_compareILb1ELb0EmNS0_19identity_decomposerEEEEE10hipError_tT0_T1_T2_jT3_P12ihipStream_tbPNSt15iterator_traitsISE_E10value_typeEPNSK_ISF_E10value_typeEPSG_NS1_7vsmem_tEENKUlT_SE_SF_SG_E_clIS8_S8_S9_S9_EESD_ST_SE_SF_SG_EUlST_E_NS1_11comp_targetILNS1_3genE4ELNS1_11target_archE910ELNS1_3gpuE8ELNS1_3repE0EEENS1_48merge_mergepath_partition_config_static_selectorELNS0_4arch9wavefront6targetE1EEEvSF_,comdat
	.protected	_ZN7rocprim17ROCPRIM_400000_NS6detail17trampoline_kernelINS0_14default_configENS1_38merge_sort_block_merge_config_selectorImNS0_10empty_typeEEEZZNS1_27merge_sort_block_merge_implIS3_PmPS5_jNS1_19radix_merge_compareILb1ELb0EmNS0_19identity_decomposerEEEEE10hipError_tT0_T1_T2_jT3_P12ihipStream_tbPNSt15iterator_traitsISE_E10value_typeEPNSK_ISF_E10value_typeEPSG_NS1_7vsmem_tEENKUlT_SE_SF_SG_E_clIS8_S8_S9_S9_EESD_ST_SE_SF_SG_EUlST_E_NS1_11comp_targetILNS1_3genE4ELNS1_11target_archE910ELNS1_3gpuE8ELNS1_3repE0EEENS1_48merge_mergepath_partition_config_static_selectorELNS0_4arch9wavefront6targetE1EEEvSF_ ; -- Begin function _ZN7rocprim17ROCPRIM_400000_NS6detail17trampoline_kernelINS0_14default_configENS1_38merge_sort_block_merge_config_selectorImNS0_10empty_typeEEEZZNS1_27merge_sort_block_merge_implIS3_PmPS5_jNS1_19radix_merge_compareILb1ELb0EmNS0_19identity_decomposerEEEEE10hipError_tT0_T1_T2_jT3_P12ihipStream_tbPNSt15iterator_traitsISE_E10value_typeEPNSK_ISF_E10value_typeEPSG_NS1_7vsmem_tEENKUlT_SE_SF_SG_E_clIS8_S8_S9_S9_EESD_ST_SE_SF_SG_EUlST_E_NS1_11comp_targetILNS1_3genE4ELNS1_11target_archE910ELNS1_3gpuE8ELNS1_3repE0EEENS1_48merge_mergepath_partition_config_static_selectorELNS0_4arch9wavefront6targetE1EEEvSF_
	.globl	_ZN7rocprim17ROCPRIM_400000_NS6detail17trampoline_kernelINS0_14default_configENS1_38merge_sort_block_merge_config_selectorImNS0_10empty_typeEEEZZNS1_27merge_sort_block_merge_implIS3_PmPS5_jNS1_19radix_merge_compareILb1ELb0EmNS0_19identity_decomposerEEEEE10hipError_tT0_T1_T2_jT3_P12ihipStream_tbPNSt15iterator_traitsISE_E10value_typeEPNSK_ISF_E10value_typeEPSG_NS1_7vsmem_tEENKUlT_SE_SF_SG_E_clIS8_S8_S9_S9_EESD_ST_SE_SF_SG_EUlST_E_NS1_11comp_targetILNS1_3genE4ELNS1_11target_archE910ELNS1_3gpuE8ELNS1_3repE0EEENS1_48merge_mergepath_partition_config_static_selectorELNS0_4arch9wavefront6targetE1EEEvSF_
	.p2align	8
	.type	_ZN7rocprim17ROCPRIM_400000_NS6detail17trampoline_kernelINS0_14default_configENS1_38merge_sort_block_merge_config_selectorImNS0_10empty_typeEEEZZNS1_27merge_sort_block_merge_implIS3_PmPS5_jNS1_19radix_merge_compareILb1ELb0EmNS0_19identity_decomposerEEEEE10hipError_tT0_T1_T2_jT3_P12ihipStream_tbPNSt15iterator_traitsISE_E10value_typeEPNSK_ISF_E10value_typeEPSG_NS1_7vsmem_tEENKUlT_SE_SF_SG_E_clIS8_S8_S9_S9_EESD_ST_SE_SF_SG_EUlST_E_NS1_11comp_targetILNS1_3genE4ELNS1_11target_archE910ELNS1_3gpuE8ELNS1_3repE0EEENS1_48merge_mergepath_partition_config_static_selectorELNS0_4arch9wavefront6targetE1EEEvSF_,@function
_ZN7rocprim17ROCPRIM_400000_NS6detail17trampoline_kernelINS0_14default_configENS1_38merge_sort_block_merge_config_selectorImNS0_10empty_typeEEEZZNS1_27merge_sort_block_merge_implIS3_PmPS5_jNS1_19radix_merge_compareILb1ELb0EmNS0_19identity_decomposerEEEEE10hipError_tT0_T1_T2_jT3_P12ihipStream_tbPNSt15iterator_traitsISE_E10value_typeEPNSK_ISF_E10value_typeEPSG_NS1_7vsmem_tEENKUlT_SE_SF_SG_E_clIS8_S8_S9_S9_EESD_ST_SE_SF_SG_EUlST_E_NS1_11comp_targetILNS1_3genE4ELNS1_11target_archE910ELNS1_3gpuE8ELNS1_3repE0EEENS1_48merge_mergepath_partition_config_static_selectorELNS0_4arch9wavefront6targetE1EEEvSF_: ; @_ZN7rocprim17ROCPRIM_400000_NS6detail17trampoline_kernelINS0_14default_configENS1_38merge_sort_block_merge_config_selectorImNS0_10empty_typeEEEZZNS1_27merge_sort_block_merge_implIS3_PmPS5_jNS1_19radix_merge_compareILb1ELb0EmNS0_19identity_decomposerEEEEE10hipError_tT0_T1_T2_jT3_P12ihipStream_tbPNSt15iterator_traitsISE_E10value_typeEPNSK_ISF_E10value_typeEPSG_NS1_7vsmem_tEENKUlT_SE_SF_SG_E_clIS8_S8_S9_S9_EESD_ST_SE_SF_SG_EUlST_E_NS1_11comp_targetILNS1_3genE4ELNS1_11target_archE910ELNS1_3gpuE8ELNS1_3repE0EEENS1_48merge_mergepath_partition_config_static_selectorELNS0_4arch9wavefront6targetE1EEEvSF_
; %bb.0:
	s_load_dword s0, s[4:5], 0x0
	v_lshl_or_b32 v0, s6, 7, v0
	s_waitcnt lgkmcnt(0)
	v_cmp_gt_u32_e32 vcc, s0, v0
	s_and_saveexec_b64 s[0:1], vcc
	s_cbranch_execz .LBB2228_6
; %bb.1:
	s_load_dwordx2 s[2:3], s[4:5], 0x4
	s_load_dwordx2 s[0:1], s[4:5], 0x20
	s_waitcnt lgkmcnt(0)
	s_lshr_b32 s6, s2, 9
	s_and_b32 s6, s6, 0x7ffffe
	s_add_i32 s7, s6, -1
	s_sub_i32 s6, 0, s6
	v_and_b32_e32 v1, s6, v0
	v_lshlrev_b32_e32 v1, 10, v1
	v_min_u32_e32 v2, s3, v1
	v_add_u32_e32 v1, s2, v1
	v_min_u32_e32 v4, s3, v1
	v_add_u32_e32 v1, s2, v4
	v_and_b32_e32 v3, s7, v0
	v_min_u32_e32 v1, s3, v1
	v_sub_u32_e32 v5, v1, v2
	v_lshlrev_b32_e32 v3, 10, v3
	v_min_u32_e32 v6, v5, v3
	v_sub_u32_e32 v3, v4, v2
	v_sub_u32_e32 v1, v1, v4
	v_sub_u32_e64 v1, v6, v1 clamp
	v_min_u32_e32 v7, v6, v3
	v_cmp_lt_u32_e32 vcc, v1, v7
	s_and_saveexec_b64 s[2:3], vcc
	s_cbranch_execz .LBB2228_5
; %bb.2:
	s_load_dwordx2 s[4:5], s[4:5], 0x10
	v_mov_b32_e32 v5, 0
	v_mov_b32_e32 v3, v5
	v_lshlrev_b64 v[8:9], 3, v[2:3]
	v_lshlrev_b64 v[10:11], 3, v[4:5]
	s_waitcnt lgkmcnt(0)
	v_mov_b32_e32 v12, s5
	v_add_co_u32_e32 v3, vcc, s4, v8
	v_addc_co_u32_e32 v8, vcc, v12, v9, vcc
	v_add_co_u32_e32 v9, vcc, s4, v10
	v_addc_co_u32_e32 v10, vcc, v12, v11, vcc
	s_mov_b64 s[4:5], 0
.LBB2228_3:                             ; =>This Inner Loop Header: Depth=1
	v_add_u32_e32 v4, v7, v1
	v_lshrrev_b32_e32 v4, 1, v4
	v_lshlrev_b64 v[14:15], 3, v[4:5]
	v_mov_b32_e32 v13, v5
	v_xad_u32 v12, v4, -1, v6
	v_add_co_u32_e32 v14, vcc, v3, v14
	v_addc_co_u32_e32 v15, vcc, v8, v15, vcc
	v_lshlrev_b64 v[12:13], 3, v[12:13]
	v_add_co_u32_e32 v12, vcc, v9, v12
	v_addc_co_u32_e32 v13, vcc, v10, v13, vcc
	global_load_dwordx2 v[16:17], v[14:15], off
	global_load_dwordx2 v[18:19], v[12:13], off
	v_add_u32_e32 v11, 1, v4
	s_waitcnt vmcnt(0)
	v_cmp_gt_u64_e32 vcc, v[18:19], v[16:17]
	v_cndmask_b32_e32 v7, v7, v4, vcc
	v_cndmask_b32_e32 v1, v11, v1, vcc
	v_cmp_ge_u32_e32 vcc, v1, v7
	s_or_b64 s[4:5], vcc, s[4:5]
	s_andn2_b64 exec, exec, s[4:5]
	s_cbranch_execnz .LBB2228_3
; %bb.4:
	s_or_b64 exec, exec, s[4:5]
.LBB2228_5:
	s_or_b64 exec, exec, s[2:3]
	v_add_u32_e32 v2, v1, v2
	v_mov_b32_e32 v1, 0
	v_lshlrev_b64 v[0:1], 2, v[0:1]
	v_mov_b32_e32 v3, s1
	v_add_co_u32_e32 v0, vcc, s0, v0
	v_addc_co_u32_e32 v1, vcc, v3, v1, vcc
	global_store_dword v[0:1], v2, off
.LBB2228_6:
	s_endpgm
	.section	.rodata,"a",@progbits
	.p2align	6, 0x0
	.amdhsa_kernel _ZN7rocprim17ROCPRIM_400000_NS6detail17trampoline_kernelINS0_14default_configENS1_38merge_sort_block_merge_config_selectorImNS0_10empty_typeEEEZZNS1_27merge_sort_block_merge_implIS3_PmPS5_jNS1_19radix_merge_compareILb1ELb0EmNS0_19identity_decomposerEEEEE10hipError_tT0_T1_T2_jT3_P12ihipStream_tbPNSt15iterator_traitsISE_E10value_typeEPNSK_ISF_E10value_typeEPSG_NS1_7vsmem_tEENKUlT_SE_SF_SG_E_clIS8_S8_S9_S9_EESD_ST_SE_SF_SG_EUlST_E_NS1_11comp_targetILNS1_3genE4ELNS1_11target_archE910ELNS1_3gpuE8ELNS1_3repE0EEENS1_48merge_mergepath_partition_config_static_selectorELNS0_4arch9wavefront6targetE1EEEvSF_
		.amdhsa_group_segment_fixed_size 0
		.amdhsa_private_segment_fixed_size 0
		.amdhsa_kernarg_size 40
		.amdhsa_user_sgpr_count 6
		.amdhsa_user_sgpr_private_segment_buffer 1
		.amdhsa_user_sgpr_dispatch_ptr 0
		.amdhsa_user_sgpr_queue_ptr 0
		.amdhsa_user_sgpr_kernarg_segment_ptr 1
		.amdhsa_user_sgpr_dispatch_id 0
		.amdhsa_user_sgpr_flat_scratch_init 0
		.amdhsa_user_sgpr_kernarg_preload_length 0
		.amdhsa_user_sgpr_kernarg_preload_offset 0
		.amdhsa_user_sgpr_private_segment_size 0
		.amdhsa_uses_dynamic_stack 0
		.amdhsa_system_sgpr_private_segment_wavefront_offset 0
		.amdhsa_system_sgpr_workgroup_id_x 1
		.amdhsa_system_sgpr_workgroup_id_y 0
		.amdhsa_system_sgpr_workgroup_id_z 0
		.amdhsa_system_sgpr_workgroup_info 0
		.amdhsa_system_vgpr_workitem_id 0
		.amdhsa_next_free_vgpr 20
		.amdhsa_next_free_sgpr 8
		.amdhsa_accum_offset 20
		.amdhsa_reserve_vcc 1
		.amdhsa_reserve_flat_scratch 0
		.amdhsa_float_round_mode_32 0
		.amdhsa_float_round_mode_16_64 0
		.amdhsa_float_denorm_mode_32 3
		.amdhsa_float_denorm_mode_16_64 3
		.amdhsa_dx10_clamp 1
		.amdhsa_ieee_mode 1
		.amdhsa_fp16_overflow 0
		.amdhsa_tg_split 0
		.amdhsa_exception_fp_ieee_invalid_op 0
		.amdhsa_exception_fp_denorm_src 0
		.amdhsa_exception_fp_ieee_div_zero 0
		.amdhsa_exception_fp_ieee_overflow 0
		.amdhsa_exception_fp_ieee_underflow 0
		.amdhsa_exception_fp_ieee_inexact 0
		.amdhsa_exception_int_div_zero 0
	.end_amdhsa_kernel
	.section	.text._ZN7rocprim17ROCPRIM_400000_NS6detail17trampoline_kernelINS0_14default_configENS1_38merge_sort_block_merge_config_selectorImNS0_10empty_typeEEEZZNS1_27merge_sort_block_merge_implIS3_PmPS5_jNS1_19radix_merge_compareILb1ELb0EmNS0_19identity_decomposerEEEEE10hipError_tT0_T1_T2_jT3_P12ihipStream_tbPNSt15iterator_traitsISE_E10value_typeEPNSK_ISF_E10value_typeEPSG_NS1_7vsmem_tEENKUlT_SE_SF_SG_E_clIS8_S8_S9_S9_EESD_ST_SE_SF_SG_EUlST_E_NS1_11comp_targetILNS1_3genE4ELNS1_11target_archE910ELNS1_3gpuE8ELNS1_3repE0EEENS1_48merge_mergepath_partition_config_static_selectorELNS0_4arch9wavefront6targetE1EEEvSF_,"axG",@progbits,_ZN7rocprim17ROCPRIM_400000_NS6detail17trampoline_kernelINS0_14default_configENS1_38merge_sort_block_merge_config_selectorImNS0_10empty_typeEEEZZNS1_27merge_sort_block_merge_implIS3_PmPS5_jNS1_19radix_merge_compareILb1ELb0EmNS0_19identity_decomposerEEEEE10hipError_tT0_T1_T2_jT3_P12ihipStream_tbPNSt15iterator_traitsISE_E10value_typeEPNSK_ISF_E10value_typeEPSG_NS1_7vsmem_tEENKUlT_SE_SF_SG_E_clIS8_S8_S9_S9_EESD_ST_SE_SF_SG_EUlST_E_NS1_11comp_targetILNS1_3genE4ELNS1_11target_archE910ELNS1_3gpuE8ELNS1_3repE0EEENS1_48merge_mergepath_partition_config_static_selectorELNS0_4arch9wavefront6targetE1EEEvSF_,comdat
.Lfunc_end2228:
	.size	_ZN7rocprim17ROCPRIM_400000_NS6detail17trampoline_kernelINS0_14default_configENS1_38merge_sort_block_merge_config_selectorImNS0_10empty_typeEEEZZNS1_27merge_sort_block_merge_implIS3_PmPS5_jNS1_19radix_merge_compareILb1ELb0EmNS0_19identity_decomposerEEEEE10hipError_tT0_T1_T2_jT3_P12ihipStream_tbPNSt15iterator_traitsISE_E10value_typeEPNSK_ISF_E10value_typeEPSG_NS1_7vsmem_tEENKUlT_SE_SF_SG_E_clIS8_S8_S9_S9_EESD_ST_SE_SF_SG_EUlST_E_NS1_11comp_targetILNS1_3genE4ELNS1_11target_archE910ELNS1_3gpuE8ELNS1_3repE0EEENS1_48merge_mergepath_partition_config_static_selectorELNS0_4arch9wavefront6targetE1EEEvSF_, .Lfunc_end2228-_ZN7rocprim17ROCPRIM_400000_NS6detail17trampoline_kernelINS0_14default_configENS1_38merge_sort_block_merge_config_selectorImNS0_10empty_typeEEEZZNS1_27merge_sort_block_merge_implIS3_PmPS5_jNS1_19radix_merge_compareILb1ELb0EmNS0_19identity_decomposerEEEEE10hipError_tT0_T1_T2_jT3_P12ihipStream_tbPNSt15iterator_traitsISE_E10value_typeEPNSK_ISF_E10value_typeEPSG_NS1_7vsmem_tEENKUlT_SE_SF_SG_E_clIS8_S8_S9_S9_EESD_ST_SE_SF_SG_EUlST_E_NS1_11comp_targetILNS1_3genE4ELNS1_11target_archE910ELNS1_3gpuE8ELNS1_3repE0EEENS1_48merge_mergepath_partition_config_static_selectorELNS0_4arch9wavefront6targetE1EEEvSF_
                                        ; -- End function
	.section	.AMDGPU.csdata,"",@progbits
; Kernel info:
; codeLenInByte = 360
; NumSgprs: 12
; NumVgprs: 20
; NumAgprs: 0
; TotalNumVgprs: 20
; ScratchSize: 0
; MemoryBound: 0
; FloatMode: 240
; IeeeMode: 1
; LDSByteSize: 0 bytes/workgroup (compile time only)
; SGPRBlocks: 1
; VGPRBlocks: 2
; NumSGPRsForWavesPerEU: 12
; NumVGPRsForWavesPerEU: 20
; AccumOffset: 20
; Occupancy: 8
; WaveLimiterHint : 0
; COMPUTE_PGM_RSRC2:SCRATCH_EN: 0
; COMPUTE_PGM_RSRC2:USER_SGPR: 6
; COMPUTE_PGM_RSRC2:TRAP_HANDLER: 0
; COMPUTE_PGM_RSRC2:TGID_X_EN: 1
; COMPUTE_PGM_RSRC2:TGID_Y_EN: 0
; COMPUTE_PGM_RSRC2:TGID_Z_EN: 0
; COMPUTE_PGM_RSRC2:TIDIG_COMP_CNT: 0
; COMPUTE_PGM_RSRC3_GFX90A:ACCUM_OFFSET: 4
; COMPUTE_PGM_RSRC3_GFX90A:TG_SPLIT: 0
	.section	.text._ZN7rocprim17ROCPRIM_400000_NS6detail17trampoline_kernelINS0_14default_configENS1_38merge_sort_block_merge_config_selectorImNS0_10empty_typeEEEZZNS1_27merge_sort_block_merge_implIS3_PmPS5_jNS1_19radix_merge_compareILb1ELb0EmNS0_19identity_decomposerEEEEE10hipError_tT0_T1_T2_jT3_P12ihipStream_tbPNSt15iterator_traitsISE_E10value_typeEPNSK_ISF_E10value_typeEPSG_NS1_7vsmem_tEENKUlT_SE_SF_SG_E_clIS8_S8_S9_S9_EESD_ST_SE_SF_SG_EUlST_E_NS1_11comp_targetILNS1_3genE3ELNS1_11target_archE908ELNS1_3gpuE7ELNS1_3repE0EEENS1_48merge_mergepath_partition_config_static_selectorELNS0_4arch9wavefront6targetE1EEEvSF_,"axG",@progbits,_ZN7rocprim17ROCPRIM_400000_NS6detail17trampoline_kernelINS0_14default_configENS1_38merge_sort_block_merge_config_selectorImNS0_10empty_typeEEEZZNS1_27merge_sort_block_merge_implIS3_PmPS5_jNS1_19radix_merge_compareILb1ELb0EmNS0_19identity_decomposerEEEEE10hipError_tT0_T1_T2_jT3_P12ihipStream_tbPNSt15iterator_traitsISE_E10value_typeEPNSK_ISF_E10value_typeEPSG_NS1_7vsmem_tEENKUlT_SE_SF_SG_E_clIS8_S8_S9_S9_EESD_ST_SE_SF_SG_EUlST_E_NS1_11comp_targetILNS1_3genE3ELNS1_11target_archE908ELNS1_3gpuE7ELNS1_3repE0EEENS1_48merge_mergepath_partition_config_static_selectorELNS0_4arch9wavefront6targetE1EEEvSF_,comdat
	.protected	_ZN7rocprim17ROCPRIM_400000_NS6detail17trampoline_kernelINS0_14default_configENS1_38merge_sort_block_merge_config_selectorImNS0_10empty_typeEEEZZNS1_27merge_sort_block_merge_implIS3_PmPS5_jNS1_19radix_merge_compareILb1ELb0EmNS0_19identity_decomposerEEEEE10hipError_tT0_T1_T2_jT3_P12ihipStream_tbPNSt15iterator_traitsISE_E10value_typeEPNSK_ISF_E10value_typeEPSG_NS1_7vsmem_tEENKUlT_SE_SF_SG_E_clIS8_S8_S9_S9_EESD_ST_SE_SF_SG_EUlST_E_NS1_11comp_targetILNS1_3genE3ELNS1_11target_archE908ELNS1_3gpuE7ELNS1_3repE0EEENS1_48merge_mergepath_partition_config_static_selectorELNS0_4arch9wavefront6targetE1EEEvSF_ ; -- Begin function _ZN7rocprim17ROCPRIM_400000_NS6detail17trampoline_kernelINS0_14default_configENS1_38merge_sort_block_merge_config_selectorImNS0_10empty_typeEEEZZNS1_27merge_sort_block_merge_implIS3_PmPS5_jNS1_19radix_merge_compareILb1ELb0EmNS0_19identity_decomposerEEEEE10hipError_tT0_T1_T2_jT3_P12ihipStream_tbPNSt15iterator_traitsISE_E10value_typeEPNSK_ISF_E10value_typeEPSG_NS1_7vsmem_tEENKUlT_SE_SF_SG_E_clIS8_S8_S9_S9_EESD_ST_SE_SF_SG_EUlST_E_NS1_11comp_targetILNS1_3genE3ELNS1_11target_archE908ELNS1_3gpuE7ELNS1_3repE0EEENS1_48merge_mergepath_partition_config_static_selectorELNS0_4arch9wavefront6targetE1EEEvSF_
	.globl	_ZN7rocprim17ROCPRIM_400000_NS6detail17trampoline_kernelINS0_14default_configENS1_38merge_sort_block_merge_config_selectorImNS0_10empty_typeEEEZZNS1_27merge_sort_block_merge_implIS3_PmPS5_jNS1_19radix_merge_compareILb1ELb0EmNS0_19identity_decomposerEEEEE10hipError_tT0_T1_T2_jT3_P12ihipStream_tbPNSt15iterator_traitsISE_E10value_typeEPNSK_ISF_E10value_typeEPSG_NS1_7vsmem_tEENKUlT_SE_SF_SG_E_clIS8_S8_S9_S9_EESD_ST_SE_SF_SG_EUlST_E_NS1_11comp_targetILNS1_3genE3ELNS1_11target_archE908ELNS1_3gpuE7ELNS1_3repE0EEENS1_48merge_mergepath_partition_config_static_selectorELNS0_4arch9wavefront6targetE1EEEvSF_
	.p2align	8
	.type	_ZN7rocprim17ROCPRIM_400000_NS6detail17trampoline_kernelINS0_14default_configENS1_38merge_sort_block_merge_config_selectorImNS0_10empty_typeEEEZZNS1_27merge_sort_block_merge_implIS3_PmPS5_jNS1_19radix_merge_compareILb1ELb0EmNS0_19identity_decomposerEEEEE10hipError_tT0_T1_T2_jT3_P12ihipStream_tbPNSt15iterator_traitsISE_E10value_typeEPNSK_ISF_E10value_typeEPSG_NS1_7vsmem_tEENKUlT_SE_SF_SG_E_clIS8_S8_S9_S9_EESD_ST_SE_SF_SG_EUlST_E_NS1_11comp_targetILNS1_3genE3ELNS1_11target_archE908ELNS1_3gpuE7ELNS1_3repE0EEENS1_48merge_mergepath_partition_config_static_selectorELNS0_4arch9wavefront6targetE1EEEvSF_,@function
_ZN7rocprim17ROCPRIM_400000_NS6detail17trampoline_kernelINS0_14default_configENS1_38merge_sort_block_merge_config_selectorImNS0_10empty_typeEEEZZNS1_27merge_sort_block_merge_implIS3_PmPS5_jNS1_19radix_merge_compareILb1ELb0EmNS0_19identity_decomposerEEEEE10hipError_tT0_T1_T2_jT3_P12ihipStream_tbPNSt15iterator_traitsISE_E10value_typeEPNSK_ISF_E10value_typeEPSG_NS1_7vsmem_tEENKUlT_SE_SF_SG_E_clIS8_S8_S9_S9_EESD_ST_SE_SF_SG_EUlST_E_NS1_11comp_targetILNS1_3genE3ELNS1_11target_archE908ELNS1_3gpuE7ELNS1_3repE0EEENS1_48merge_mergepath_partition_config_static_selectorELNS0_4arch9wavefront6targetE1EEEvSF_: ; @_ZN7rocprim17ROCPRIM_400000_NS6detail17trampoline_kernelINS0_14default_configENS1_38merge_sort_block_merge_config_selectorImNS0_10empty_typeEEEZZNS1_27merge_sort_block_merge_implIS3_PmPS5_jNS1_19radix_merge_compareILb1ELb0EmNS0_19identity_decomposerEEEEE10hipError_tT0_T1_T2_jT3_P12ihipStream_tbPNSt15iterator_traitsISE_E10value_typeEPNSK_ISF_E10value_typeEPSG_NS1_7vsmem_tEENKUlT_SE_SF_SG_E_clIS8_S8_S9_S9_EESD_ST_SE_SF_SG_EUlST_E_NS1_11comp_targetILNS1_3genE3ELNS1_11target_archE908ELNS1_3gpuE7ELNS1_3repE0EEENS1_48merge_mergepath_partition_config_static_selectorELNS0_4arch9wavefront6targetE1EEEvSF_
; %bb.0:
	.section	.rodata,"a",@progbits
	.p2align	6, 0x0
	.amdhsa_kernel _ZN7rocprim17ROCPRIM_400000_NS6detail17trampoline_kernelINS0_14default_configENS1_38merge_sort_block_merge_config_selectorImNS0_10empty_typeEEEZZNS1_27merge_sort_block_merge_implIS3_PmPS5_jNS1_19radix_merge_compareILb1ELb0EmNS0_19identity_decomposerEEEEE10hipError_tT0_T1_T2_jT3_P12ihipStream_tbPNSt15iterator_traitsISE_E10value_typeEPNSK_ISF_E10value_typeEPSG_NS1_7vsmem_tEENKUlT_SE_SF_SG_E_clIS8_S8_S9_S9_EESD_ST_SE_SF_SG_EUlST_E_NS1_11comp_targetILNS1_3genE3ELNS1_11target_archE908ELNS1_3gpuE7ELNS1_3repE0EEENS1_48merge_mergepath_partition_config_static_selectorELNS0_4arch9wavefront6targetE1EEEvSF_
		.amdhsa_group_segment_fixed_size 0
		.amdhsa_private_segment_fixed_size 0
		.amdhsa_kernarg_size 40
		.amdhsa_user_sgpr_count 6
		.amdhsa_user_sgpr_private_segment_buffer 1
		.amdhsa_user_sgpr_dispatch_ptr 0
		.amdhsa_user_sgpr_queue_ptr 0
		.amdhsa_user_sgpr_kernarg_segment_ptr 1
		.amdhsa_user_sgpr_dispatch_id 0
		.amdhsa_user_sgpr_flat_scratch_init 0
		.amdhsa_user_sgpr_kernarg_preload_length 0
		.amdhsa_user_sgpr_kernarg_preload_offset 0
		.amdhsa_user_sgpr_private_segment_size 0
		.amdhsa_uses_dynamic_stack 0
		.amdhsa_system_sgpr_private_segment_wavefront_offset 0
		.amdhsa_system_sgpr_workgroup_id_x 1
		.amdhsa_system_sgpr_workgroup_id_y 0
		.amdhsa_system_sgpr_workgroup_id_z 0
		.amdhsa_system_sgpr_workgroup_info 0
		.amdhsa_system_vgpr_workitem_id 0
		.amdhsa_next_free_vgpr 1
		.amdhsa_next_free_sgpr 0
		.amdhsa_accum_offset 4
		.amdhsa_reserve_vcc 0
		.amdhsa_reserve_flat_scratch 0
		.amdhsa_float_round_mode_32 0
		.amdhsa_float_round_mode_16_64 0
		.amdhsa_float_denorm_mode_32 3
		.amdhsa_float_denorm_mode_16_64 3
		.amdhsa_dx10_clamp 1
		.amdhsa_ieee_mode 1
		.amdhsa_fp16_overflow 0
		.amdhsa_tg_split 0
		.amdhsa_exception_fp_ieee_invalid_op 0
		.amdhsa_exception_fp_denorm_src 0
		.amdhsa_exception_fp_ieee_div_zero 0
		.amdhsa_exception_fp_ieee_overflow 0
		.amdhsa_exception_fp_ieee_underflow 0
		.amdhsa_exception_fp_ieee_inexact 0
		.amdhsa_exception_int_div_zero 0
	.end_amdhsa_kernel
	.section	.text._ZN7rocprim17ROCPRIM_400000_NS6detail17trampoline_kernelINS0_14default_configENS1_38merge_sort_block_merge_config_selectorImNS0_10empty_typeEEEZZNS1_27merge_sort_block_merge_implIS3_PmPS5_jNS1_19radix_merge_compareILb1ELb0EmNS0_19identity_decomposerEEEEE10hipError_tT0_T1_T2_jT3_P12ihipStream_tbPNSt15iterator_traitsISE_E10value_typeEPNSK_ISF_E10value_typeEPSG_NS1_7vsmem_tEENKUlT_SE_SF_SG_E_clIS8_S8_S9_S9_EESD_ST_SE_SF_SG_EUlST_E_NS1_11comp_targetILNS1_3genE3ELNS1_11target_archE908ELNS1_3gpuE7ELNS1_3repE0EEENS1_48merge_mergepath_partition_config_static_selectorELNS0_4arch9wavefront6targetE1EEEvSF_,"axG",@progbits,_ZN7rocprim17ROCPRIM_400000_NS6detail17trampoline_kernelINS0_14default_configENS1_38merge_sort_block_merge_config_selectorImNS0_10empty_typeEEEZZNS1_27merge_sort_block_merge_implIS3_PmPS5_jNS1_19radix_merge_compareILb1ELb0EmNS0_19identity_decomposerEEEEE10hipError_tT0_T1_T2_jT3_P12ihipStream_tbPNSt15iterator_traitsISE_E10value_typeEPNSK_ISF_E10value_typeEPSG_NS1_7vsmem_tEENKUlT_SE_SF_SG_E_clIS8_S8_S9_S9_EESD_ST_SE_SF_SG_EUlST_E_NS1_11comp_targetILNS1_3genE3ELNS1_11target_archE908ELNS1_3gpuE7ELNS1_3repE0EEENS1_48merge_mergepath_partition_config_static_selectorELNS0_4arch9wavefront6targetE1EEEvSF_,comdat
.Lfunc_end2229:
	.size	_ZN7rocprim17ROCPRIM_400000_NS6detail17trampoline_kernelINS0_14default_configENS1_38merge_sort_block_merge_config_selectorImNS0_10empty_typeEEEZZNS1_27merge_sort_block_merge_implIS3_PmPS5_jNS1_19radix_merge_compareILb1ELb0EmNS0_19identity_decomposerEEEEE10hipError_tT0_T1_T2_jT3_P12ihipStream_tbPNSt15iterator_traitsISE_E10value_typeEPNSK_ISF_E10value_typeEPSG_NS1_7vsmem_tEENKUlT_SE_SF_SG_E_clIS8_S8_S9_S9_EESD_ST_SE_SF_SG_EUlST_E_NS1_11comp_targetILNS1_3genE3ELNS1_11target_archE908ELNS1_3gpuE7ELNS1_3repE0EEENS1_48merge_mergepath_partition_config_static_selectorELNS0_4arch9wavefront6targetE1EEEvSF_, .Lfunc_end2229-_ZN7rocprim17ROCPRIM_400000_NS6detail17trampoline_kernelINS0_14default_configENS1_38merge_sort_block_merge_config_selectorImNS0_10empty_typeEEEZZNS1_27merge_sort_block_merge_implIS3_PmPS5_jNS1_19radix_merge_compareILb1ELb0EmNS0_19identity_decomposerEEEEE10hipError_tT0_T1_T2_jT3_P12ihipStream_tbPNSt15iterator_traitsISE_E10value_typeEPNSK_ISF_E10value_typeEPSG_NS1_7vsmem_tEENKUlT_SE_SF_SG_E_clIS8_S8_S9_S9_EESD_ST_SE_SF_SG_EUlST_E_NS1_11comp_targetILNS1_3genE3ELNS1_11target_archE908ELNS1_3gpuE7ELNS1_3repE0EEENS1_48merge_mergepath_partition_config_static_selectorELNS0_4arch9wavefront6targetE1EEEvSF_
                                        ; -- End function
	.section	.AMDGPU.csdata,"",@progbits
; Kernel info:
; codeLenInByte = 0
; NumSgprs: 4
; NumVgprs: 0
; NumAgprs: 0
; TotalNumVgprs: 0
; ScratchSize: 0
; MemoryBound: 0
; FloatMode: 240
; IeeeMode: 1
; LDSByteSize: 0 bytes/workgroup (compile time only)
; SGPRBlocks: 0
; VGPRBlocks: 0
; NumSGPRsForWavesPerEU: 4
; NumVGPRsForWavesPerEU: 1
; AccumOffset: 4
; Occupancy: 8
; WaveLimiterHint : 0
; COMPUTE_PGM_RSRC2:SCRATCH_EN: 0
; COMPUTE_PGM_RSRC2:USER_SGPR: 6
; COMPUTE_PGM_RSRC2:TRAP_HANDLER: 0
; COMPUTE_PGM_RSRC2:TGID_X_EN: 1
; COMPUTE_PGM_RSRC2:TGID_Y_EN: 0
; COMPUTE_PGM_RSRC2:TGID_Z_EN: 0
; COMPUTE_PGM_RSRC2:TIDIG_COMP_CNT: 0
; COMPUTE_PGM_RSRC3_GFX90A:ACCUM_OFFSET: 0
; COMPUTE_PGM_RSRC3_GFX90A:TG_SPLIT: 0
	.section	.text._ZN7rocprim17ROCPRIM_400000_NS6detail17trampoline_kernelINS0_14default_configENS1_38merge_sort_block_merge_config_selectorImNS0_10empty_typeEEEZZNS1_27merge_sort_block_merge_implIS3_PmPS5_jNS1_19radix_merge_compareILb1ELb0EmNS0_19identity_decomposerEEEEE10hipError_tT0_T1_T2_jT3_P12ihipStream_tbPNSt15iterator_traitsISE_E10value_typeEPNSK_ISF_E10value_typeEPSG_NS1_7vsmem_tEENKUlT_SE_SF_SG_E_clIS8_S8_S9_S9_EESD_ST_SE_SF_SG_EUlST_E_NS1_11comp_targetILNS1_3genE2ELNS1_11target_archE906ELNS1_3gpuE6ELNS1_3repE0EEENS1_48merge_mergepath_partition_config_static_selectorELNS0_4arch9wavefront6targetE1EEEvSF_,"axG",@progbits,_ZN7rocprim17ROCPRIM_400000_NS6detail17trampoline_kernelINS0_14default_configENS1_38merge_sort_block_merge_config_selectorImNS0_10empty_typeEEEZZNS1_27merge_sort_block_merge_implIS3_PmPS5_jNS1_19radix_merge_compareILb1ELb0EmNS0_19identity_decomposerEEEEE10hipError_tT0_T1_T2_jT3_P12ihipStream_tbPNSt15iterator_traitsISE_E10value_typeEPNSK_ISF_E10value_typeEPSG_NS1_7vsmem_tEENKUlT_SE_SF_SG_E_clIS8_S8_S9_S9_EESD_ST_SE_SF_SG_EUlST_E_NS1_11comp_targetILNS1_3genE2ELNS1_11target_archE906ELNS1_3gpuE6ELNS1_3repE0EEENS1_48merge_mergepath_partition_config_static_selectorELNS0_4arch9wavefront6targetE1EEEvSF_,comdat
	.protected	_ZN7rocprim17ROCPRIM_400000_NS6detail17trampoline_kernelINS0_14default_configENS1_38merge_sort_block_merge_config_selectorImNS0_10empty_typeEEEZZNS1_27merge_sort_block_merge_implIS3_PmPS5_jNS1_19radix_merge_compareILb1ELb0EmNS0_19identity_decomposerEEEEE10hipError_tT0_T1_T2_jT3_P12ihipStream_tbPNSt15iterator_traitsISE_E10value_typeEPNSK_ISF_E10value_typeEPSG_NS1_7vsmem_tEENKUlT_SE_SF_SG_E_clIS8_S8_S9_S9_EESD_ST_SE_SF_SG_EUlST_E_NS1_11comp_targetILNS1_3genE2ELNS1_11target_archE906ELNS1_3gpuE6ELNS1_3repE0EEENS1_48merge_mergepath_partition_config_static_selectorELNS0_4arch9wavefront6targetE1EEEvSF_ ; -- Begin function _ZN7rocprim17ROCPRIM_400000_NS6detail17trampoline_kernelINS0_14default_configENS1_38merge_sort_block_merge_config_selectorImNS0_10empty_typeEEEZZNS1_27merge_sort_block_merge_implIS3_PmPS5_jNS1_19radix_merge_compareILb1ELb0EmNS0_19identity_decomposerEEEEE10hipError_tT0_T1_T2_jT3_P12ihipStream_tbPNSt15iterator_traitsISE_E10value_typeEPNSK_ISF_E10value_typeEPSG_NS1_7vsmem_tEENKUlT_SE_SF_SG_E_clIS8_S8_S9_S9_EESD_ST_SE_SF_SG_EUlST_E_NS1_11comp_targetILNS1_3genE2ELNS1_11target_archE906ELNS1_3gpuE6ELNS1_3repE0EEENS1_48merge_mergepath_partition_config_static_selectorELNS0_4arch9wavefront6targetE1EEEvSF_
	.globl	_ZN7rocprim17ROCPRIM_400000_NS6detail17trampoline_kernelINS0_14default_configENS1_38merge_sort_block_merge_config_selectorImNS0_10empty_typeEEEZZNS1_27merge_sort_block_merge_implIS3_PmPS5_jNS1_19radix_merge_compareILb1ELb0EmNS0_19identity_decomposerEEEEE10hipError_tT0_T1_T2_jT3_P12ihipStream_tbPNSt15iterator_traitsISE_E10value_typeEPNSK_ISF_E10value_typeEPSG_NS1_7vsmem_tEENKUlT_SE_SF_SG_E_clIS8_S8_S9_S9_EESD_ST_SE_SF_SG_EUlST_E_NS1_11comp_targetILNS1_3genE2ELNS1_11target_archE906ELNS1_3gpuE6ELNS1_3repE0EEENS1_48merge_mergepath_partition_config_static_selectorELNS0_4arch9wavefront6targetE1EEEvSF_
	.p2align	8
	.type	_ZN7rocprim17ROCPRIM_400000_NS6detail17trampoline_kernelINS0_14default_configENS1_38merge_sort_block_merge_config_selectorImNS0_10empty_typeEEEZZNS1_27merge_sort_block_merge_implIS3_PmPS5_jNS1_19radix_merge_compareILb1ELb0EmNS0_19identity_decomposerEEEEE10hipError_tT0_T1_T2_jT3_P12ihipStream_tbPNSt15iterator_traitsISE_E10value_typeEPNSK_ISF_E10value_typeEPSG_NS1_7vsmem_tEENKUlT_SE_SF_SG_E_clIS8_S8_S9_S9_EESD_ST_SE_SF_SG_EUlST_E_NS1_11comp_targetILNS1_3genE2ELNS1_11target_archE906ELNS1_3gpuE6ELNS1_3repE0EEENS1_48merge_mergepath_partition_config_static_selectorELNS0_4arch9wavefront6targetE1EEEvSF_,@function
_ZN7rocprim17ROCPRIM_400000_NS6detail17trampoline_kernelINS0_14default_configENS1_38merge_sort_block_merge_config_selectorImNS0_10empty_typeEEEZZNS1_27merge_sort_block_merge_implIS3_PmPS5_jNS1_19radix_merge_compareILb1ELb0EmNS0_19identity_decomposerEEEEE10hipError_tT0_T1_T2_jT3_P12ihipStream_tbPNSt15iterator_traitsISE_E10value_typeEPNSK_ISF_E10value_typeEPSG_NS1_7vsmem_tEENKUlT_SE_SF_SG_E_clIS8_S8_S9_S9_EESD_ST_SE_SF_SG_EUlST_E_NS1_11comp_targetILNS1_3genE2ELNS1_11target_archE906ELNS1_3gpuE6ELNS1_3repE0EEENS1_48merge_mergepath_partition_config_static_selectorELNS0_4arch9wavefront6targetE1EEEvSF_: ; @_ZN7rocprim17ROCPRIM_400000_NS6detail17trampoline_kernelINS0_14default_configENS1_38merge_sort_block_merge_config_selectorImNS0_10empty_typeEEEZZNS1_27merge_sort_block_merge_implIS3_PmPS5_jNS1_19radix_merge_compareILb1ELb0EmNS0_19identity_decomposerEEEEE10hipError_tT0_T1_T2_jT3_P12ihipStream_tbPNSt15iterator_traitsISE_E10value_typeEPNSK_ISF_E10value_typeEPSG_NS1_7vsmem_tEENKUlT_SE_SF_SG_E_clIS8_S8_S9_S9_EESD_ST_SE_SF_SG_EUlST_E_NS1_11comp_targetILNS1_3genE2ELNS1_11target_archE906ELNS1_3gpuE6ELNS1_3repE0EEENS1_48merge_mergepath_partition_config_static_selectorELNS0_4arch9wavefront6targetE1EEEvSF_
; %bb.0:
	.section	.rodata,"a",@progbits
	.p2align	6, 0x0
	.amdhsa_kernel _ZN7rocprim17ROCPRIM_400000_NS6detail17trampoline_kernelINS0_14default_configENS1_38merge_sort_block_merge_config_selectorImNS0_10empty_typeEEEZZNS1_27merge_sort_block_merge_implIS3_PmPS5_jNS1_19radix_merge_compareILb1ELb0EmNS0_19identity_decomposerEEEEE10hipError_tT0_T1_T2_jT3_P12ihipStream_tbPNSt15iterator_traitsISE_E10value_typeEPNSK_ISF_E10value_typeEPSG_NS1_7vsmem_tEENKUlT_SE_SF_SG_E_clIS8_S8_S9_S9_EESD_ST_SE_SF_SG_EUlST_E_NS1_11comp_targetILNS1_3genE2ELNS1_11target_archE906ELNS1_3gpuE6ELNS1_3repE0EEENS1_48merge_mergepath_partition_config_static_selectorELNS0_4arch9wavefront6targetE1EEEvSF_
		.amdhsa_group_segment_fixed_size 0
		.amdhsa_private_segment_fixed_size 0
		.amdhsa_kernarg_size 40
		.amdhsa_user_sgpr_count 6
		.amdhsa_user_sgpr_private_segment_buffer 1
		.amdhsa_user_sgpr_dispatch_ptr 0
		.amdhsa_user_sgpr_queue_ptr 0
		.amdhsa_user_sgpr_kernarg_segment_ptr 1
		.amdhsa_user_sgpr_dispatch_id 0
		.amdhsa_user_sgpr_flat_scratch_init 0
		.amdhsa_user_sgpr_kernarg_preload_length 0
		.amdhsa_user_sgpr_kernarg_preload_offset 0
		.amdhsa_user_sgpr_private_segment_size 0
		.amdhsa_uses_dynamic_stack 0
		.amdhsa_system_sgpr_private_segment_wavefront_offset 0
		.amdhsa_system_sgpr_workgroup_id_x 1
		.amdhsa_system_sgpr_workgroup_id_y 0
		.amdhsa_system_sgpr_workgroup_id_z 0
		.amdhsa_system_sgpr_workgroup_info 0
		.amdhsa_system_vgpr_workitem_id 0
		.amdhsa_next_free_vgpr 1
		.amdhsa_next_free_sgpr 0
		.amdhsa_accum_offset 4
		.amdhsa_reserve_vcc 0
		.amdhsa_reserve_flat_scratch 0
		.amdhsa_float_round_mode_32 0
		.amdhsa_float_round_mode_16_64 0
		.amdhsa_float_denorm_mode_32 3
		.amdhsa_float_denorm_mode_16_64 3
		.amdhsa_dx10_clamp 1
		.amdhsa_ieee_mode 1
		.amdhsa_fp16_overflow 0
		.amdhsa_tg_split 0
		.amdhsa_exception_fp_ieee_invalid_op 0
		.amdhsa_exception_fp_denorm_src 0
		.amdhsa_exception_fp_ieee_div_zero 0
		.amdhsa_exception_fp_ieee_overflow 0
		.amdhsa_exception_fp_ieee_underflow 0
		.amdhsa_exception_fp_ieee_inexact 0
		.amdhsa_exception_int_div_zero 0
	.end_amdhsa_kernel
	.section	.text._ZN7rocprim17ROCPRIM_400000_NS6detail17trampoline_kernelINS0_14default_configENS1_38merge_sort_block_merge_config_selectorImNS0_10empty_typeEEEZZNS1_27merge_sort_block_merge_implIS3_PmPS5_jNS1_19radix_merge_compareILb1ELb0EmNS0_19identity_decomposerEEEEE10hipError_tT0_T1_T2_jT3_P12ihipStream_tbPNSt15iterator_traitsISE_E10value_typeEPNSK_ISF_E10value_typeEPSG_NS1_7vsmem_tEENKUlT_SE_SF_SG_E_clIS8_S8_S9_S9_EESD_ST_SE_SF_SG_EUlST_E_NS1_11comp_targetILNS1_3genE2ELNS1_11target_archE906ELNS1_3gpuE6ELNS1_3repE0EEENS1_48merge_mergepath_partition_config_static_selectorELNS0_4arch9wavefront6targetE1EEEvSF_,"axG",@progbits,_ZN7rocprim17ROCPRIM_400000_NS6detail17trampoline_kernelINS0_14default_configENS1_38merge_sort_block_merge_config_selectorImNS0_10empty_typeEEEZZNS1_27merge_sort_block_merge_implIS3_PmPS5_jNS1_19radix_merge_compareILb1ELb0EmNS0_19identity_decomposerEEEEE10hipError_tT0_T1_T2_jT3_P12ihipStream_tbPNSt15iterator_traitsISE_E10value_typeEPNSK_ISF_E10value_typeEPSG_NS1_7vsmem_tEENKUlT_SE_SF_SG_E_clIS8_S8_S9_S9_EESD_ST_SE_SF_SG_EUlST_E_NS1_11comp_targetILNS1_3genE2ELNS1_11target_archE906ELNS1_3gpuE6ELNS1_3repE0EEENS1_48merge_mergepath_partition_config_static_selectorELNS0_4arch9wavefront6targetE1EEEvSF_,comdat
.Lfunc_end2230:
	.size	_ZN7rocprim17ROCPRIM_400000_NS6detail17trampoline_kernelINS0_14default_configENS1_38merge_sort_block_merge_config_selectorImNS0_10empty_typeEEEZZNS1_27merge_sort_block_merge_implIS3_PmPS5_jNS1_19radix_merge_compareILb1ELb0EmNS0_19identity_decomposerEEEEE10hipError_tT0_T1_T2_jT3_P12ihipStream_tbPNSt15iterator_traitsISE_E10value_typeEPNSK_ISF_E10value_typeEPSG_NS1_7vsmem_tEENKUlT_SE_SF_SG_E_clIS8_S8_S9_S9_EESD_ST_SE_SF_SG_EUlST_E_NS1_11comp_targetILNS1_3genE2ELNS1_11target_archE906ELNS1_3gpuE6ELNS1_3repE0EEENS1_48merge_mergepath_partition_config_static_selectorELNS0_4arch9wavefront6targetE1EEEvSF_, .Lfunc_end2230-_ZN7rocprim17ROCPRIM_400000_NS6detail17trampoline_kernelINS0_14default_configENS1_38merge_sort_block_merge_config_selectorImNS0_10empty_typeEEEZZNS1_27merge_sort_block_merge_implIS3_PmPS5_jNS1_19radix_merge_compareILb1ELb0EmNS0_19identity_decomposerEEEEE10hipError_tT0_T1_T2_jT3_P12ihipStream_tbPNSt15iterator_traitsISE_E10value_typeEPNSK_ISF_E10value_typeEPSG_NS1_7vsmem_tEENKUlT_SE_SF_SG_E_clIS8_S8_S9_S9_EESD_ST_SE_SF_SG_EUlST_E_NS1_11comp_targetILNS1_3genE2ELNS1_11target_archE906ELNS1_3gpuE6ELNS1_3repE0EEENS1_48merge_mergepath_partition_config_static_selectorELNS0_4arch9wavefront6targetE1EEEvSF_
                                        ; -- End function
	.section	.AMDGPU.csdata,"",@progbits
; Kernel info:
; codeLenInByte = 0
; NumSgprs: 4
; NumVgprs: 0
; NumAgprs: 0
; TotalNumVgprs: 0
; ScratchSize: 0
; MemoryBound: 0
; FloatMode: 240
; IeeeMode: 1
; LDSByteSize: 0 bytes/workgroup (compile time only)
; SGPRBlocks: 0
; VGPRBlocks: 0
; NumSGPRsForWavesPerEU: 4
; NumVGPRsForWavesPerEU: 1
; AccumOffset: 4
; Occupancy: 8
; WaveLimiterHint : 0
; COMPUTE_PGM_RSRC2:SCRATCH_EN: 0
; COMPUTE_PGM_RSRC2:USER_SGPR: 6
; COMPUTE_PGM_RSRC2:TRAP_HANDLER: 0
; COMPUTE_PGM_RSRC2:TGID_X_EN: 1
; COMPUTE_PGM_RSRC2:TGID_Y_EN: 0
; COMPUTE_PGM_RSRC2:TGID_Z_EN: 0
; COMPUTE_PGM_RSRC2:TIDIG_COMP_CNT: 0
; COMPUTE_PGM_RSRC3_GFX90A:ACCUM_OFFSET: 0
; COMPUTE_PGM_RSRC3_GFX90A:TG_SPLIT: 0
	.section	.text._ZN7rocprim17ROCPRIM_400000_NS6detail17trampoline_kernelINS0_14default_configENS1_38merge_sort_block_merge_config_selectorImNS0_10empty_typeEEEZZNS1_27merge_sort_block_merge_implIS3_PmPS5_jNS1_19radix_merge_compareILb1ELb0EmNS0_19identity_decomposerEEEEE10hipError_tT0_T1_T2_jT3_P12ihipStream_tbPNSt15iterator_traitsISE_E10value_typeEPNSK_ISF_E10value_typeEPSG_NS1_7vsmem_tEENKUlT_SE_SF_SG_E_clIS8_S8_S9_S9_EESD_ST_SE_SF_SG_EUlST_E_NS1_11comp_targetILNS1_3genE9ELNS1_11target_archE1100ELNS1_3gpuE3ELNS1_3repE0EEENS1_48merge_mergepath_partition_config_static_selectorELNS0_4arch9wavefront6targetE1EEEvSF_,"axG",@progbits,_ZN7rocprim17ROCPRIM_400000_NS6detail17trampoline_kernelINS0_14default_configENS1_38merge_sort_block_merge_config_selectorImNS0_10empty_typeEEEZZNS1_27merge_sort_block_merge_implIS3_PmPS5_jNS1_19radix_merge_compareILb1ELb0EmNS0_19identity_decomposerEEEEE10hipError_tT0_T1_T2_jT3_P12ihipStream_tbPNSt15iterator_traitsISE_E10value_typeEPNSK_ISF_E10value_typeEPSG_NS1_7vsmem_tEENKUlT_SE_SF_SG_E_clIS8_S8_S9_S9_EESD_ST_SE_SF_SG_EUlST_E_NS1_11comp_targetILNS1_3genE9ELNS1_11target_archE1100ELNS1_3gpuE3ELNS1_3repE0EEENS1_48merge_mergepath_partition_config_static_selectorELNS0_4arch9wavefront6targetE1EEEvSF_,comdat
	.protected	_ZN7rocprim17ROCPRIM_400000_NS6detail17trampoline_kernelINS0_14default_configENS1_38merge_sort_block_merge_config_selectorImNS0_10empty_typeEEEZZNS1_27merge_sort_block_merge_implIS3_PmPS5_jNS1_19radix_merge_compareILb1ELb0EmNS0_19identity_decomposerEEEEE10hipError_tT0_T1_T2_jT3_P12ihipStream_tbPNSt15iterator_traitsISE_E10value_typeEPNSK_ISF_E10value_typeEPSG_NS1_7vsmem_tEENKUlT_SE_SF_SG_E_clIS8_S8_S9_S9_EESD_ST_SE_SF_SG_EUlST_E_NS1_11comp_targetILNS1_3genE9ELNS1_11target_archE1100ELNS1_3gpuE3ELNS1_3repE0EEENS1_48merge_mergepath_partition_config_static_selectorELNS0_4arch9wavefront6targetE1EEEvSF_ ; -- Begin function _ZN7rocprim17ROCPRIM_400000_NS6detail17trampoline_kernelINS0_14default_configENS1_38merge_sort_block_merge_config_selectorImNS0_10empty_typeEEEZZNS1_27merge_sort_block_merge_implIS3_PmPS5_jNS1_19radix_merge_compareILb1ELb0EmNS0_19identity_decomposerEEEEE10hipError_tT0_T1_T2_jT3_P12ihipStream_tbPNSt15iterator_traitsISE_E10value_typeEPNSK_ISF_E10value_typeEPSG_NS1_7vsmem_tEENKUlT_SE_SF_SG_E_clIS8_S8_S9_S9_EESD_ST_SE_SF_SG_EUlST_E_NS1_11comp_targetILNS1_3genE9ELNS1_11target_archE1100ELNS1_3gpuE3ELNS1_3repE0EEENS1_48merge_mergepath_partition_config_static_selectorELNS0_4arch9wavefront6targetE1EEEvSF_
	.globl	_ZN7rocprim17ROCPRIM_400000_NS6detail17trampoline_kernelINS0_14default_configENS1_38merge_sort_block_merge_config_selectorImNS0_10empty_typeEEEZZNS1_27merge_sort_block_merge_implIS3_PmPS5_jNS1_19radix_merge_compareILb1ELb0EmNS0_19identity_decomposerEEEEE10hipError_tT0_T1_T2_jT3_P12ihipStream_tbPNSt15iterator_traitsISE_E10value_typeEPNSK_ISF_E10value_typeEPSG_NS1_7vsmem_tEENKUlT_SE_SF_SG_E_clIS8_S8_S9_S9_EESD_ST_SE_SF_SG_EUlST_E_NS1_11comp_targetILNS1_3genE9ELNS1_11target_archE1100ELNS1_3gpuE3ELNS1_3repE0EEENS1_48merge_mergepath_partition_config_static_selectorELNS0_4arch9wavefront6targetE1EEEvSF_
	.p2align	8
	.type	_ZN7rocprim17ROCPRIM_400000_NS6detail17trampoline_kernelINS0_14default_configENS1_38merge_sort_block_merge_config_selectorImNS0_10empty_typeEEEZZNS1_27merge_sort_block_merge_implIS3_PmPS5_jNS1_19radix_merge_compareILb1ELb0EmNS0_19identity_decomposerEEEEE10hipError_tT0_T1_T2_jT3_P12ihipStream_tbPNSt15iterator_traitsISE_E10value_typeEPNSK_ISF_E10value_typeEPSG_NS1_7vsmem_tEENKUlT_SE_SF_SG_E_clIS8_S8_S9_S9_EESD_ST_SE_SF_SG_EUlST_E_NS1_11comp_targetILNS1_3genE9ELNS1_11target_archE1100ELNS1_3gpuE3ELNS1_3repE0EEENS1_48merge_mergepath_partition_config_static_selectorELNS0_4arch9wavefront6targetE1EEEvSF_,@function
_ZN7rocprim17ROCPRIM_400000_NS6detail17trampoline_kernelINS0_14default_configENS1_38merge_sort_block_merge_config_selectorImNS0_10empty_typeEEEZZNS1_27merge_sort_block_merge_implIS3_PmPS5_jNS1_19radix_merge_compareILb1ELb0EmNS0_19identity_decomposerEEEEE10hipError_tT0_T1_T2_jT3_P12ihipStream_tbPNSt15iterator_traitsISE_E10value_typeEPNSK_ISF_E10value_typeEPSG_NS1_7vsmem_tEENKUlT_SE_SF_SG_E_clIS8_S8_S9_S9_EESD_ST_SE_SF_SG_EUlST_E_NS1_11comp_targetILNS1_3genE9ELNS1_11target_archE1100ELNS1_3gpuE3ELNS1_3repE0EEENS1_48merge_mergepath_partition_config_static_selectorELNS0_4arch9wavefront6targetE1EEEvSF_: ; @_ZN7rocprim17ROCPRIM_400000_NS6detail17trampoline_kernelINS0_14default_configENS1_38merge_sort_block_merge_config_selectorImNS0_10empty_typeEEEZZNS1_27merge_sort_block_merge_implIS3_PmPS5_jNS1_19radix_merge_compareILb1ELb0EmNS0_19identity_decomposerEEEEE10hipError_tT0_T1_T2_jT3_P12ihipStream_tbPNSt15iterator_traitsISE_E10value_typeEPNSK_ISF_E10value_typeEPSG_NS1_7vsmem_tEENKUlT_SE_SF_SG_E_clIS8_S8_S9_S9_EESD_ST_SE_SF_SG_EUlST_E_NS1_11comp_targetILNS1_3genE9ELNS1_11target_archE1100ELNS1_3gpuE3ELNS1_3repE0EEENS1_48merge_mergepath_partition_config_static_selectorELNS0_4arch9wavefront6targetE1EEEvSF_
; %bb.0:
	.section	.rodata,"a",@progbits
	.p2align	6, 0x0
	.amdhsa_kernel _ZN7rocprim17ROCPRIM_400000_NS6detail17trampoline_kernelINS0_14default_configENS1_38merge_sort_block_merge_config_selectorImNS0_10empty_typeEEEZZNS1_27merge_sort_block_merge_implIS3_PmPS5_jNS1_19radix_merge_compareILb1ELb0EmNS0_19identity_decomposerEEEEE10hipError_tT0_T1_T2_jT3_P12ihipStream_tbPNSt15iterator_traitsISE_E10value_typeEPNSK_ISF_E10value_typeEPSG_NS1_7vsmem_tEENKUlT_SE_SF_SG_E_clIS8_S8_S9_S9_EESD_ST_SE_SF_SG_EUlST_E_NS1_11comp_targetILNS1_3genE9ELNS1_11target_archE1100ELNS1_3gpuE3ELNS1_3repE0EEENS1_48merge_mergepath_partition_config_static_selectorELNS0_4arch9wavefront6targetE1EEEvSF_
		.amdhsa_group_segment_fixed_size 0
		.amdhsa_private_segment_fixed_size 0
		.amdhsa_kernarg_size 40
		.amdhsa_user_sgpr_count 6
		.amdhsa_user_sgpr_private_segment_buffer 1
		.amdhsa_user_sgpr_dispatch_ptr 0
		.amdhsa_user_sgpr_queue_ptr 0
		.amdhsa_user_sgpr_kernarg_segment_ptr 1
		.amdhsa_user_sgpr_dispatch_id 0
		.amdhsa_user_sgpr_flat_scratch_init 0
		.amdhsa_user_sgpr_kernarg_preload_length 0
		.amdhsa_user_sgpr_kernarg_preload_offset 0
		.amdhsa_user_sgpr_private_segment_size 0
		.amdhsa_uses_dynamic_stack 0
		.amdhsa_system_sgpr_private_segment_wavefront_offset 0
		.amdhsa_system_sgpr_workgroup_id_x 1
		.amdhsa_system_sgpr_workgroup_id_y 0
		.amdhsa_system_sgpr_workgroup_id_z 0
		.amdhsa_system_sgpr_workgroup_info 0
		.amdhsa_system_vgpr_workitem_id 0
		.amdhsa_next_free_vgpr 1
		.amdhsa_next_free_sgpr 0
		.amdhsa_accum_offset 4
		.amdhsa_reserve_vcc 0
		.amdhsa_reserve_flat_scratch 0
		.amdhsa_float_round_mode_32 0
		.amdhsa_float_round_mode_16_64 0
		.amdhsa_float_denorm_mode_32 3
		.amdhsa_float_denorm_mode_16_64 3
		.amdhsa_dx10_clamp 1
		.amdhsa_ieee_mode 1
		.amdhsa_fp16_overflow 0
		.amdhsa_tg_split 0
		.amdhsa_exception_fp_ieee_invalid_op 0
		.amdhsa_exception_fp_denorm_src 0
		.amdhsa_exception_fp_ieee_div_zero 0
		.amdhsa_exception_fp_ieee_overflow 0
		.amdhsa_exception_fp_ieee_underflow 0
		.amdhsa_exception_fp_ieee_inexact 0
		.amdhsa_exception_int_div_zero 0
	.end_amdhsa_kernel
	.section	.text._ZN7rocprim17ROCPRIM_400000_NS6detail17trampoline_kernelINS0_14default_configENS1_38merge_sort_block_merge_config_selectorImNS0_10empty_typeEEEZZNS1_27merge_sort_block_merge_implIS3_PmPS5_jNS1_19radix_merge_compareILb1ELb0EmNS0_19identity_decomposerEEEEE10hipError_tT0_T1_T2_jT3_P12ihipStream_tbPNSt15iterator_traitsISE_E10value_typeEPNSK_ISF_E10value_typeEPSG_NS1_7vsmem_tEENKUlT_SE_SF_SG_E_clIS8_S8_S9_S9_EESD_ST_SE_SF_SG_EUlST_E_NS1_11comp_targetILNS1_3genE9ELNS1_11target_archE1100ELNS1_3gpuE3ELNS1_3repE0EEENS1_48merge_mergepath_partition_config_static_selectorELNS0_4arch9wavefront6targetE1EEEvSF_,"axG",@progbits,_ZN7rocprim17ROCPRIM_400000_NS6detail17trampoline_kernelINS0_14default_configENS1_38merge_sort_block_merge_config_selectorImNS0_10empty_typeEEEZZNS1_27merge_sort_block_merge_implIS3_PmPS5_jNS1_19radix_merge_compareILb1ELb0EmNS0_19identity_decomposerEEEEE10hipError_tT0_T1_T2_jT3_P12ihipStream_tbPNSt15iterator_traitsISE_E10value_typeEPNSK_ISF_E10value_typeEPSG_NS1_7vsmem_tEENKUlT_SE_SF_SG_E_clIS8_S8_S9_S9_EESD_ST_SE_SF_SG_EUlST_E_NS1_11comp_targetILNS1_3genE9ELNS1_11target_archE1100ELNS1_3gpuE3ELNS1_3repE0EEENS1_48merge_mergepath_partition_config_static_selectorELNS0_4arch9wavefront6targetE1EEEvSF_,comdat
.Lfunc_end2231:
	.size	_ZN7rocprim17ROCPRIM_400000_NS6detail17trampoline_kernelINS0_14default_configENS1_38merge_sort_block_merge_config_selectorImNS0_10empty_typeEEEZZNS1_27merge_sort_block_merge_implIS3_PmPS5_jNS1_19radix_merge_compareILb1ELb0EmNS0_19identity_decomposerEEEEE10hipError_tT0_T1_T2_jT3_P12ihipStream_tbPNSt15iterator_traitsISE_E10value_typeEPNSK_ISF_E10value_typeEPSG_NS1_7vsmem_tEENKUlT_SE_SF_SG_E_clIS8_S8_S9_S9_EESD_ST_SE_SF_SG_EUlST_E_NS1_11comp_targetILNS1_3genE9ELNS1_11target_archE1100ELNS1_3gpuE3ELNS1_3repE0EEENS1_48merge_mergepath_partition_config_static_selectorELNS0_4arch9wavefront6targetE1EEEvSF_, .Lfunc_end2231-_ZN7rocprim17ROCPRIM_400000_NS6detail17trampoline_kernelINS0_14default_configENS1_38merge_sort_block_merge_config_selectorImNS0_10empty_typeEEEZZNS1_27merge_sort_block_merge_implIS3_PmPS5_jNS1_19radix_merge_compareILb1ELb0EmNS0_19identity_decomposerEEEEE10hipError_tT0_T1_T2_jT3_P12ihipStream_tbPNSt15iterator_traitsISE_E10value_typeEPNSK_ISF_E10value_typeEPSG_NS1_7vsmem_tEENKUlT_SE_SF_SG_E_clIS8_S8_S9_S9_EESD_ST_SE_SF_SG_EUlST_E_NS1_11comp_targetILNS1_3genE9ELNS1_11target_archE1100ELNS1_3gpuE3ELNS1_3repE0EEENS1_48merge_mergepath_partition_config_static_selectorELNS0_4arch9wavefront6targetE1EEEvSF_
                                        ; -- End function
	.section	.AMDGPU.csdata,"",@progbits
; Kernel info:
; codeLenInByte = 0
; NumSgprs: 4
; NumVgprs: 0
; NumAgprs: 0
; TotalNumVgprs: 0
; ScratchSize: 0
; MemoryBound: 0
; FloatMode: 240
; IeeeMode: 1
; LDSByteSize: 0 bytes/workgroup (compile time only)
; SGPRBlocks: 0
; VGPRBlocks: 0
; NumSGPRsForWavesPerEU: 4
; NumVGPRsForWavesPerEU: 1
; AccumOffset: 4
; Occupancy: 8
; WaveLimiterHint : 0
; COMPUTE_PGM_RSRC2:SCRATCH_EN: 0
; COMPUTE_PGM_RSRC2:USER_SGPR: 6
; COMPUTE_PGM_RSRC2:TRAP_HANDLER: 0
; COMPUTE_PGM_RSRC2:TGID_X_EN: 1
; COMPUTE_PGM_RSRC2:TGID_Y_EN: 0
; COMPUTE_PGM_RSRC2:TGID_Z_EN: 0
; COMPUTE_PGM_RSRC2:TIDIG_COMP_CNT: 0
; COMPUTE_PGM_RSRC3_GFX90A:ACCUM_OFFSET: 0
; COMPUTE_PGM_RSRC3_GFX90A:TG_SPLIT: 0
	.section	.text._ZN7rocprim17ROCPRIM_400000_NS6detail17trampoline_kernelINS0_14default_configENS1_38merge_sort_block_merge_config_selectorImNS0_10empty_typeEEEZZNS1_27merge_sort_block_merge_implIS3_PmPS5_jNS1_19radix_merge_compareILb1ELb0EmNS0_19identity_decomposerEEEEE10hipError_tT0_T1_T2_jT3_P12ihipStream_tbPNSt15iterator_traitsISE_E10value_typeEPNSK_ISF_E10value_typeEPSG_NS1_7vsmem_tEENKUlT_SE_SF_SG_E_clIS8_S8_S9_S9_EESD_ST_SE_SF_SG_EUlST_E_NS1_11comp_targetILNS1_3genE8ELNS1_11target_archE1030ELNS1_3gpuE2ELNS1_3repE0EEENS1_48merge_mergepath_partition_config_static_selectorELNS0_4arch9wavefront6targetE1EEEvSF_,"axG",@progbits,_ZN7rocprim17ROCPRIM_400000_NS6detail17trampoline_kernelINS0_14default_configENS1_38merge_sort_block_merge_config_selectorImNS0_10empty_typeEEEZZNS1_27merge_sort_block_merge_implIS3_PmPS5_jNS1_19radix_merge_compareILb1ELb0EmNS0_19identity_decomposerEEEEE10hipError_tT0_T1_T2_jT3_P12ihipStream_tbPNSt15iterator_traitsISE_E10value_typeEPNSK_ISF_E10value_typeEPSG_NS1_7vsmem_tEENKUlT_SE_SF_SG_E_clIS8_S8_S9_S9_EESD_ST_SE_SF_SG_EUlST_E_NS1_11comp_targetILNS1_3genE8ELNS1_11target_archE1030ELNS1_3gpuE2ELNS1_3repE0EEENS1_48merge_mergepath_partition_config_static_selectorELNS0_4arch9wavefront6targetE1EEEvSF_,comdat
	.protected	_ZN7rocprim17ROCPRIM_400000_NS6detail17trampoline_kernelINS0_14default_configENS1_38merge_sort_block_merge_config_selectorImNS0_10empty_typeEEEZZNS1_27merge_sort_block_merge_implIS3_PmPS5_jNS1_19radix_merge_compareILb1ELb0EmNS0_19identity_decomposerEEEEE10hipError_tT0_T1_T2_jT3_P12ihipStream_tbPNSt15iterator_traitsISE_E10value_typeEPNSK_ISF_E10value_typeEPSG_NS1_7vsmem_tEENKUlT_SE_SF_SG_E_clIS8_S8_S9_S9_EESD_ST_SE_SF_SG_EUlST_E_NS1_11comp_targetILNS1_3genE8ELNS1_11target_archE1030ELNS1_3gpuE2ELNS1_3repE0EEENS1_48merge_mergepath_partition_config_static_selectorELNS0_4arch9wavefront6targetE1EEEvSF_ ; -- Begin function _ZN7rocprim17ROCPRIM_400000_NS6detail17trampoline_kernelINS0_14default_configENS1_38merge_sort_block_merge_config_selectorImNS0_10empty_typeEEEZZNS1_27merge_sort_block_merge_implIS3_PmPS5_jNS1_19radix_merge_compareILb1ELb0EmNS0_19identity_decomposerEEEEE10hipError_tT0_T1_T2_jT3_P12ihipStream_tbPNSt15iterator_traitsISE_E10value_typeEPNSK_ISF_E10value_typeEPSG_NS1_7vsmem_tEENKUlT_SE_SF_SG_E_clIS8_S8_S9_S9_EESD_ST_SE_SF_SG_EUlST_E_NS1_11comp_targetILNS1_3genE8ELNS1_11target_archE1030ELNS1_3gpuE2ELNS1_3repE0EEENS1_48merge_mergepath_partition_config_static_selectorELNS0_4arch9wavefront6targetE1EEEvSF_
	.globl	_ZN7rocprim17ROCPRIM_400000_NS6detail17trampoline_kernelINS0_14default_configENS1_38merge_sort_block_merge_config_selectorImNS0_10empty_typeEEEZZNS1_27merge_sort_block_merge_implIS3_PmPS5_jNS1_19radix_merge_compareILb1ELb0EmNS0_19identity_decomposerEEEEE10hipError_tT0_T1_T2_jT3_P12ihipStream_tbPNSt15iterator_traitsISE_E10value_typeEPNSK_ISF_E10value_typeEPSG_NS1_7vsmem_tEENKUlT_SE_SF_SG_E_clIS8_S8_S9_S9_EESD_ST_SE_SF_SG_EUlST_E_NS1_11comp_targetILNS1_3genE8ELNS1_11target_archE1030ELNS1_3gpuE2ELNS1_3repE0EEENS1_48merge_mergepath_partition_config_static_selectorELNS0_4arch9wavefront6targetE1EEEvSF_
	.p2align	8
	.type	_ZN7rocprim17ROCPRIM_400000_NS6detail17trampoline_kernelINS0_14default_configENS1_38merge_sort_block_merge_config_selectorImNS0_10empty_typeEEEZZNS1_27merge_sort_block_merge_implIS3_PmPS5_jNS1_19radix_merge_compareILb1ELb0EmNS0_19identity_decomposerEEEEE10hipError_tT0_T1_T2_jT3_P12ihipStream_tbPNSt15iterator_traitsISE_E10value_typeEPNSK_ISF_E10value_typeEPSG_NS1_7vsmem_tEENKUlT_SE_SF_SG_E_clIS8_S8_S9_S9_EESD_ST_SE_SF_SG_EUlST_E_NS1_11comp_targetILNS1_3genE8ELNS1_11target_archE1030ELNS1_3gpuE2ELNS1_3repE0EEENS1_48merge_mergepath_partition_config_static_selectorELNS0_4arch9wavefront6targetE1EEEvSF_,@function
_ZN7rocprim17ROCPRIM_400000_NS6detail17trampoline_kernelINS0_14default_configENS1_38merge_sort_block_merge_config_selectorImNS0_10empty_typeEEEZZNS1_27merge_sort_block_merge_implIS3_PmPS5_jNS1_19radix_merge_compareILb1ELb0EmNS0_19identity_decomposerEEEEE10hipError_tT0_T1_T2_jT3_P12ihipStream_tbPNSt15iterator_traitsISE_E10value_typeEPNSK_ISF_E10value_typeEPSG_NS1_7vsmem_tEENKUlT_SE_SF_SG_E_clIS8_S8_S9_S9_EESD_ST_SE_SF_SG_EUlST_E_NS1_11comp_targetILNS1_3genE8ELNS1_11target_archE1030ELNS1_3gpuE2ELNS1_3repE0EEENS1_48merge_mergepath_partition_config_static_selectorELNS0_4arch9wavefront6targetE1EEEvSF_: ; @_ZN7rocprim17ROCPRIM_400000_NS6detail17trampoline_kernelINS0_14default_configENS1_38merge_sort_block_merge_config_selectorImNS0_10empty_typeEEEZZNS1_27merge_sort_block_merge_implIS3_PmPS5_jNS1_19radix_merge_compareILb1ELb0EmNS0_19identity_decomposerEEEEE10hipError_tT0_T1_T2_jT3_P12ihipStream_tbPNSt15iterator_traitsISE_E10value_typeEPNSK_ISF_E10value_typeEPSG_NS1_7vsmem_tEENKUlT_SE_SF_SG_E_clIS8_S8_S9_S9_EESD_ST_SE_SF_SG_EUlST_E_NS1_11comp_targetILNS1_3genE8ELNS1_11target_archE1030ELNS1_3gpuE2ELNS1_3repE0EEENS1_48merge_mergepath_partition_config_static_selectorELNS0_4arch9wavefront6targetE1EEEvSF_
; %bb.0:
	.section	.rodata,"a",@progbits
	.p2align	6, 0x0
	.amdhsa_kernel _ZN7rocprim17ROCPRIM_400000_NS6detail17trampoline_kernelINS0_14default_configENS1_38merge_sort_block_merge_config_selectorImNS0_10empty_typeEEEZZNS1_27merge_sort_block_merge_implIS3_PmPS5_jNS1_19radix_merge_compareILb1ELb0EmNS0_19identity_decomposerEEEEE10hipError_tT0_T1_T2_jT3_P12ihipStream_tbPNSt15iterator_traitsISE_E10value_typeEPNSK_ISF_E10value_typeEPSG_NS1_7vsmem_tEENKUlT_SE_SF_SG_E_clIS8_S8_S9_S9_EESD_ST_SE_SF_SG_EUlST_E_NS1_11comp_targetILNS1_3genE8ELNS1_11target_archE1030ELNS1_3gpuE2ELNS1_3repE0EEENS1_48merge_mergepath_partition_config_static_selectorELNS0_4arch9wavefront6targetE1EEEvSF_
		.amdhsa_group_segment_fixed_size 0
		.amdhsa_private_segment_fixed_size 0
		.amdhsa_kernarg_size 40
		.amdhsa_user_sgpr_count 6
		.amdhsa_user_sgpr_private_segment_buffer 1
		.amdhsa_user_sgpr_dispatch_ptr 0
		.amdhsa_user_sgpr_queue_ptr 0
		.amdhsa_user_sgpr_kernarg_segment_ptr 1
		.amdhsa_user_sgpr_dispatch_id 0
		.amdhsa_user_sgpr_flat_scratch_init 0
		.amdhsa_user_sgpr_kernarg_preload_length 0
		.amdhsa_user_sgpr_kernarg_preload_offset 0
		.amdhsa_user_sgpr_private_segment_size 0
		.amdhsa_uses_dynamic_stack 0
		.amdhsa_system_sgpr_private_segment_wavefront_offset 0
		.amdhsa_system_sgpr_workgroup_id_x 1
		.amdhsa_system_sgpr_workgroup_id_y 0
		.amdhsa_system_sgpr_workgroup_id_z 0
		.amdhsa_system_sgpr_workgroup_info 0
		.amdhsa_system_vgpr_workitem_id 0
		.amdhsa_next_free_vgpr 1
		.amdhsa_next_free_sgpr 0
		.amdhsa_accum_offset 4
		.amdhsa_reserve_vcc 0
		.amdhsa_reserve_flat_scratch 0
		.amdhsa_float_round_mode_32 0
		.amdhsa_float_round_mode_16_64 0
		.amdhsa_float_denorm_mode_32 3
		.amdhsa_float_denorm_mode_16_64 3
		.amdhsa_dx10_clamp 1
		.amdhsa_ieee_mode 1
		.amdhsa_fp16_overflow 0
		.amdhsa_tg_split 0
		.amdhsa_exception_fp_ieee_invalid_op 0
		.amdhsa_exception_fp_denorm_src 0
		.amdhsa_exception_fp_ieee_div_zero 0
		.amdhsa_exception_fp_ieee_overflow 0
		.amdhsa_exception_fp_ieee_underflow 0
		.amdhsa_exception_fp_ieee_inexact 0
		.amdhsa_exception_int_div_zero 0
	.end_amdhsa_kernel
	.section	.text._ZN7rocprim17ROCPRIM_400000_NS6detail17trampoline_kernelINS0_14default_configENS1_38merge_sort_block_merge_config_selectorImNS0_10empty_typeEEEZZNS1_27merge_sort_block_merge_implIS3_PmPS5_jNS1_19radix_merge_compareILb1ELb0EmNS0_19identity_decomposerEEEEE10hipError_tT0_T1_T2_jT3_P12ihipStream_tbPNSt15iterator_traitsISE_E10value_typeEPNSK_ISF_E10value_typeEPSG_NS1_7vsmem_tEENKUlT_SE_SF_SG_E_clIS8_S8_S9_S9_EESD_ST_SE_SF_SG_EUlST_E_NS1_11comp_targetILNS1_3genE8ELNS1_11target_archE1030ELNS1_3gpuE2ELNS1_3repE0EEENS1_48merge_mergepath_partition_config_static_selectorELNS0_4arch9wavefront6targetE1EEEvSF_,"axG",@progbits,_ZN7rocprim17ROCPRIM_400000_NS6detail17trampoline_kernelINS0_14default_configENS1_38merge_sort_block_merge_config_selectorImNS0_10empty_typeEEEZZNS1_27merge_sort_block_merge_implIS3_PmPS5_jNS1_19radix_merge_compareILb1ELb0EmNS0_19identity_decomposerEEEEE10hipError_tT0_T1_T2_jT3_P12ihipStream_tbPNSt15iterator_traitsISE_E10value_typeEPNSK_ISF_E10value_typeEPSG_NS1_7vsmem_tEENKUlT_SE_SF_SG_E_clIS8_S8_S9_S9_EESD_ST_SE_SF_SG_EUlST_E_NS1_11comp_targetILNS1_3genE8ELNS1_11target_archE1030ELNS1_3gpuE2ELNS1_3repE0EEENS1_48merge_mergepath_partition_config_static_selectorELNS0_4arch9wavefront6targetE1EEEvSF_,comdat
.Lfunc_end2232:
	.size	_ZN7rocprim17ROCPRIM_400000_NS6detail17trampoline_kernelINS0_14default_configENS1_38merge_sort_block_merge_config_selectorImNS0_10empty_typeEEEZZNS1_27merge_sort_block_merge_implIS3_PmPS5_jNS1_19radix_merge_compareILb1ELb0EmNS0_19identity_decomposerEEEEE10hipError_tT0_T1_T2_jT3_P12ihipStream_tbPNSt15iterator_traitsISE_E10value_typeEPNSK_ISF_E10value_typeEPSG_NS1_7vsmem_tEENKUlT_SE_SF_SG_E_clIS8_S8_S9_S9_EESD_ST_SE_SF_SG_EUlST_E_NS1_11comp_targetILNS1_3genE8ELNS1_11target_archE1030ELNS1_3gpuE2ELNS1_3repE0EEENS1_48merge_mergepath_partition_config_static_selectorELNS0_4arch9wavefront6targetE1EEEvSF_, .Lfunc_end2232-_ZN7rocprim17ROCPRIM_400000_NS6detail17trampoline_kernelINS0_14default_configENS1_38merge_sort_block_merge_config_selectorImNS0_10empty_typeEEEZZNS1_27merge_sort_block_merge_implIS3_PmPS5_jNS1_19radix_merge_compareILb1ELb0EmNS0_19identity_decomposerEEEEE10hipError_tT0_T1_T2_jT3_P12ihipStream_tbPNSt15iterator_traitsISE_E10value_typeEPNSK_ISF_E10value_typeEPSG_NS1_7vsmem_tEENKUlT_SE_SF_SG_E_clIS8_S8_S9_S9_EESD_ST_SE_SF_SG_EUlST_E_NS1_11comp_targetILNS1_3genE8ELNS1_11target_archE1030ELNS1_3gpuE2ELNS1_3repE0EEENS1_48merge_mergepath_partition_config_static_selectorELNS0_4arch9wavefront6targetE1EEEvSF_
                                        ; -- End function
	.section	.AMDGPU.csdata,"",@progbits
; Kernel info:
; codeLenInByte = 0
; NumSgprs: 4
; NumVgprs: 0
; NumAgprs: 0
; TotalNumVgprs: 0
; ScratchSize: 0
; MemoryBound: 0
; FloatMode: 240
; IeeeMode: 1
; LDSByteSize: 0 bytes/workgroup (compile time only)
; SGPRBlocks: 0
; VGPRBlocks: 0
; NumSGPRsForWavesPerEU: 4
; NumVGPRsForWavesPerEU: 1
; AccumOffset: 4
; Occupancy: 8
; WaveLimiterHint : 0
; COMPUTE_PGM_RSRC2:SCRATCH_EN: 0
; COMPUTE_PGM_RSRC2:USER_SGPR: 6
; COMPUTE_PGM_RSRC2:TRAP_HANDLER: 0
; COMPUTE_PGM_RSRC2:TGID_X_EN: 1
; COMPUTE_PGM_RSRC2:TGID_Y_EN: 0
; COMPUTE_PGM_RSRC2:TGID_Z_EN: 0
; COMPUTE_PGM_RSRC2:TIDIG_COMP_CNT: 0
; COMPUTE_PGM_RSRC3_GFX90A:ACCUM_OFFSET: 0
; COMPUTE_PGM_RSRC3_GFX90A:TG_SPLIT: 0
	.section	.text._ZN7rocprim17ROCPRIM_400000_NS6detail17trampoline_kernelINS0_14default_configENS1_38merge_sort_block_merge_config_selectorImNS0_10empty_typeEEEZZNS1_27merge_sort_block_merge_implIS3_PmPS5_jNS1_19radix_merge_compareILb1ELb0EmNS0_19identity_decomposerEEEEE10hipError_tT0_T1_T2_jT3_P12ihipStream_tbPNSt15iterator_traitsISE_E10value_typeEPNSK_ISF_E10value_typeEPSG_NS1_7vsmem_tEENKUlT_SE_SF_SG_E_clIS8_S8_S9_S9_EESD_ST_SE_SF_SG_EUlST_E0_NS1_11comp_targetILNS1_3genE0ELNS1_11target_archE4294967295ELNS1_3gpuE0ELNS1_3repE0EEENS1_38merge_mergepath_config_static_selectorELNS0_4arch9wavefront6targetE1EEEvSF_,"axG",@progbits,_ZN7rocprim17ROCPRIM_400000_NS6detail17trampoline_kernelINS0_14default_configENS1_38merge_sort_block_merge_config_selectorImNS0_10empty_typeEEEZZNS1_27merge_sort_block_merge_implIS3_PmPS5_jNS1_19radix_merge_compareILb1ELb0EmNS0_19identity_decomposerEEEEE10hipError_tT0_T1_T2_jT3_P12ihipStream_tbPNSt15iterator_traitsISE_E10value_typeEPNSK_ISF_E10value_typeEPSG_NS1_7vsmem_tEENKUlT_SE_SF_SG_E_clIS8_S8_S9_S9_EESD_ST_SE_SF_SG_EUlST_E0_NS1_11comp_targetILNS1_3genE0ELNS1_11target_archE4294967295ELNS1_3gpuE0ELNS1_3repE0EEENS1_38merge_mergepath_config_static_selectorELNS0_4arch9wavefront6targetE1EEEvSF_,comdat
	.protected	_ZN7rocprim17ROCPRIM_400000_NS6detail17trampoline_kernelINS0_14default_configENS1_38merge_sort_block_merge_config_selectorImNS0_10empty_typeEEEZZNS1_27merge_sort_block_merge_implIS3_PmPS5_jNS1_19radix_merge_compareILb1ELb0EmNS0_19identity_decomposerEEEEE10hipError_tT0_T1_T2_jT3_P12ihipStream_tbPNSt15iterator_traitsISE_E10value_typeEPNSK_ISF_E10value_typeEPSG_NS1_7vsmem_tEENKUlT_SE_SF_SG_E_clIS8_S8_S9_S9_EESD_ST_SE_SF_SG_EUlST_E0_NS1_11comp_targetILNS1_3genE0ELNS1_11target_archE4294967295ELNS1_3gpuE0ELNS1_3repE0EEENS1_38merge_mergepath_config_static_selectorELNS0_4arch9wavefront6targetE1EEEvSF_ ; -- Begin function _ZN7rocprim17ROCPRIM_400000_NS6detail17trampoline_kernelINS0_14default_configENS1_38merge_sort_block_merge_config_selectorImNS0_10empty_typeEEEZZNS1_27merge_sort_block_merge_implIS3_PmPS5_jNS1_19radix_merge_compareILb1ELb0EmNS0_19identity_decomposerEEEEE10hipError_tT0_T1_T2_jT3_P12ihipStream_tbPNSt15iterator_traitsISE_E10value_typeEPNSK_ISF_E10value_typeEPSG_NS1_7vsmem_tEENKUlT_SE_SF_SG_E_clIS8_S8_S9_S9_EESD_ST_SE_SF_SG_EUlST_E0_NS1_11comp_targetILNS1_3genE0ELNS1_11target_archE4294967295ELNS1_3gpuE0ELNS1_3repE0EEENS1_38merge_mergepath_config_static_selectorELNS0_4arch9wavefront6targetE1EEEvSF_
	.globl	_ZN7rocprim17ROCPRIM_400000_NS6detail17trampoline_kernelINS0_14default_configENS1_38merge_sort_block_merge_config_selectorImNS0_10empty_typeEEEZZNS1_27merge_sort_block_merge_implIS3_PmPS5_jNS1_19radix_merge_compareILb1ELb0EmNS0_19identity_decomposerEEEEE10hipError_tT0_T1_T2_jT3_P12ihipStream_tbPNSt15iterator_traitsISE_E10value_typeEPNSK_ISF_E10value_typeEPSG_NS1_7vsmem_tEENKUlT_SE_SF_SG_E_clIS8_S8_S9_S9_EESD_ST_SE_SF_SG_EUlST_E0_NS1_11comp_targetILNS1_3genE0ELNS1_11target_archE4294967295ELNS1_3gpuE0ELNS1_3repE0EEENS1_38merge_mergepath_config_static_selectorELNS0_4arch9wavefront6targetE1EEEvSF_
	.p2align	8
	.type	_ZN7rocprim17ROCPRIM_400000_NS6detail17trampoline_kernelINS0_14default_configENS1_38merge_sort_block_merge_config_selectorImNS0_10empty_typeEEEZZNS1_27merge_sort_block_merge_implIS3_PmPS5_jNS1_19radix_merge_compareILb1ELb0EmNS0_19identity_decomposerEEEEE10hipError_tT0_T1_T2_jT3_P12ihipStream_tbPNSt15iterator_traitsISE_E10value_typeEPNSK_ISF_E10value_typeEPSG_NS1_7vsmem_tEENKUlT_SE_SF_SG_E_clIS8_S8_S9_S9_EESD_ST_SE_SF_SG_EUlST_E0_NS1_11comp_targetILNS1_3genE0ELNS1_11target_archE4294967295ELNS1_3gpuE0ELNS1_3repE0EEENS1_38merge_mergepath_config_static_selectorELNS0_4arch9wavefront6targetE1EEEvSF_,@function
_ZN7rocprim17ROCPRIM_400000_NS6detail17trampoline_kernelINS0_14default_configENS1_38merge_sort_block_merge_config_selectorImNS0_10empty_typeEEEZZNS1_27merge_sort_block_merge_implIS3_PmPS5_jNS1_19radix_merge_compareILb1ELb0EmNS0_19identity_decomposerEEEEE10hipError_tT0_T1_T2_jT3_P12ihipStream_tbPNSt15iterator_traitsISE_E10value_typeEPNSK_ISF_E10value_typeEPSG_NS1_7vsmem_tEENKUlT_SE_SF_SG_E_clIS8_S8_S9_S9_EESD_ST_SE_SF_SG_EUlST_E0_NS1_11comp_targetILNS1_3genE0ELNS1_11target_archE4294967295ELNS1_3gpuE0ELNS1_3repE0EEENS1_38merge_mergepath_config_static_selectorELNS0_4arch9wavefront6targetE1EEEvSF_: ; @_ZN7rocprim17ROCPRIM_400000_NS6detail17trampoline_kernelINS0_14default_configENS1_38merge_sort_block_merge_config_selectorImNS0_10empty_typeEEEZZNS1_27merge_sort_block_merge_implIS3_PmPS5_jNS1_19radix_merge_compareILb1ELb0EmNS0_19identity_decomposerEEEEE10hipError_tT0_T1_T2_jT3_P12ihipStream_tbPNSt15iterator_traitsISE_E10value_typeEPNSK_ISF_E10value_typeEPSG_NS1_7vsmem_tEENKUlT_SE_SF_SG_E_clIS8_S8_S9_S9_EESD_ST_SE_SF_SG_EUlST_E0_NS1_11comp_targetILNS1_3genE0ELNS1_11target_archE4294967295ELNS1_3gpuE0ELNS1_3repE0EEENS1_38merge_mergepath_config_static_selectorELNS0_4arch9wavefront6targetE1EEEvSF_
; %bb.0:
	.section	.rodata,"a",@progbits
	.p2align	6, 0x0
	.amdhsa_kernel _ZN7rocprim17ROCPRIM_400000_NS6detail17trampoline_kernelINS0_14default_configENS1_38merge_sort_block_merge_config_selectorImNS0_10empty_typeEEEZZNS1_27merge_sort_block_merge_implIS3_PmPS5_jNS1_19radix_merge_compareILb1ELb0EmNS0_19identity_decomposerEEEEE10hipError_tT0_T1_T2_jT3_P12ihipStream_tbPNSt15iterator_traitsISE_E10value_typeEPNSK_ISF_E10value_typeEPSG_NS1_7vsmem_tEENKUlT_SE_SF_SG_E_clIS8_S8_S9_S9_EESD_ST_SE_SF_SG_EUlST_E0_NS1_11comp_targetILNS1_3genE0ELNS1_11target_archE4294967295ELNS1_3gpuE0ELNS1_3repE0EEENS1_38merge_mergepath_config_static_selectorELNS0_4arch9wavefront6targetE1EEEvSF_
		.amdhsa_group_segment_fixed_size 0
		.amdhsa_private_segment_fixed_size 0
		.amdhsa_kernarg_size 64
		.amdhsa_user_sgpr_count 6
		.amdhsa_user_sgpr_private_segment_buffer 1
		.amdhsa_user_sgpr_dispatch_ptr 0
		.amdhsa_user_sgpr_queue_ptr 0
		.amdhsa_user_sgpr_kernarg_segment_ptr 1
		.amdhsa_user_sgpr_dispatch_id 0
		.amdhsa_user_sgpr_flat_scratch_init 0
		.amdhsa_user_sgpr_kernarg_preload_length 0
		.amdhsa_user_sgpr_kernarg_preload_offset 0
		.amdhsa_user_sgpr_private_segment_size 0
		.amdhsa_uses_dynamic_stack 0
		.amdhsa_system_sgpr_private_segment_wavefront_offset 0
		.amdhsa_system_sgpr_workgroup_id_x 1
		.amdhsa_system_sgpr_workgroup_id_y 0
		.amdhsa_system_sgpr_workgroup_id_z 0
		.amdhsa_system_sgpr_workgroup_info 0
		.amdhsa_system_vgpr_workitem_id 0
		.amdhsa_next_free_vgpr 1
		.amdhsa_next_free_sgpr 0
		.amdhsa_accum_offset 4
		.amdhsa_reserve_vcc 0
		.amdhsa_reserve_flat_scratch 0
		.amdhsa_float_round_mode_32 0
		.amdhsa_float_round_mode_16_64 0
		.amdhsa_float_denorm_mode_32 3
		.amdhsa_float_denorm_mode_16_64 3
		.amdhsa_dx10_clamp 1
		.amdhsa_ieee_mode 1
		.amdhsa_fp16_overflow 0
		.amdhsa_tg_split 0
		.amdhsa_exception_fp_ieee_invalid_op 0
		.amdhsa_exception_fp_denorm_src 0
		.amdhsa_exception_fp_ieee_div_zero 0
		.amdhsa_exception_fp_ieee_overflow 0
		.amdhsa_exception_fp_ieee_underflow 0
		.amdhsa_exception_fp_ieee_inexact 0
		.amdhsa_exception_int_div_zero 0
	.end_amdhsa_kernel
	.section	.text._ZN7rocprim17ROCPRIM_400000_NS6detail17trampoline_kernelINS0_14default_configENS1_38merge_sort_block_merge_config_selectorImNS0_10empty_typeEEEZZNS1_27merge_sort_block_merge_implIS3_PmPS5_jNS1_19radix_merge_compareILb1ELb0EmNS0_19identity_decomposerEEEEE10hipError_tT0_T1_T2_jT3_P12ihipStream_tbPNSt15iterator_traitsISE_E10value_typeEPNSK_ISF_E10value_typeEPSG_NS1_7vsmem_tEENKUlT_SE_SF_SG_E_clIS8_S8_S9_S9_EESD_ST_SE_SF_SG_EUlST_E0_NS1_11comp_targetILNS1_3genE0ELNS1_11target_archE4294967295ELNS1_3gpuE0ELNS1_3repE0EEENS1_38merge_mergepath_config_static_selectorELNS0_4arch9wavefront6targetE1EEEvSF_,"axG",@progbits,_ZN7rocprim17ROCPRIM_400000_NS6detail17trampoline_kernelINS0_14default_configENS1_38merge_sort_block_merge_config_selectorImNS0_10empty_typeEEEZZNS1_27merge_sort_block_merge_implIS3_PmPS5_jNS1_19radix_merge_compareILb1ELb0EmNS0_19identity_decomposerEEEEE10hipError_tT0_T1_T2_jT3_P12ihipStream_tbPNSt15iterator_traitsISE_E10value_typeEPNSK_ISF_E10value_typeEPSG_NS1_7vsmem_tEENKUlT_SE_SF_SG_E_clIS8_S8_S9_S9_EESD_ST_SE_SF_SG_EUlST_E0_NS1_11comp_targetILNS1_3genE0ELNS1_11target_archE4294967295ELNS1_3gpuE0ELNS1_3repE0EEENS1_38merge_mergepath_config_static_selectorELNS0_4arch9wavefront6targetE1EEEvSF_,comdat
.Lfunc_end2233:
	.size	_ZN7rocprim17ROCPRIM_400000_NS6detail17trampoline_kernelINS0_14default_configENS1_38merge_sort_block_merge_config_selectorImNS0_10empty_typeEEEZZNS1_27merge_sort_block_merge_implIS3_PmPS5_jNS1_19radix_merge_compareILb1ELb0EmNS0_19identity_decomposerEEEEE10hipError_tT0_T1_T2_jT3_P12ihipStream_tbPNSt15iterator_traitsISE_E10value_typeEPNSK_ISF_E10value_typeEPSG_NS1_7vsmem_tEENKUlT_SE_SF_SG_E_clIS8_S8_S9_S9_EESD_ST_SE_SF_SG_EUlST_E0_NS1_11comp_targetILNS1_3genE0ELNS1_11target_archE4294967295ELNS1_3gpuE0ELNS1_3repE0EEENS1_38merge_mergepath_config_static_selectorELNS0_4arch9wavefront6targetE1EEEvSF_, .Lfunc_end2233-_ZN7rocprim17ROCPRIM_400000_NS6detail17trampoline_kernelINS0_14default_configENS1_38merge_sort_block_merge_config_selectorImNS0_10empty_typeEEEZZNS1_27merge_sort_block_merge_implIS3_PmPS5_jNS1_19radix_merge_compareILb1ELb0EmNS0_19identity_decomposerEEEEE10hipError_tT0_T1_T2_jT3_P12ihipStream_tbPNSt15iterator_traitsISE_E10value_typeEPNSK_ISF_E10value_typeEPSG_NS1_7vsmem_tEENKUlT_SE_SF_SG_E_clIS8_S8_S9_S9_EESD_ST_SE_SF_SG_EUlST_E0_NS1_11comp_targetILNS1_3genE0ELNS1_11target_archE4294967295ELNS1_3gpuE0ELNS1_3repE0EEENS1_38merge_mergepath_config_static_selectorELNS0_4arch9wavefront6targetE1EEEvSF_
                                        ; -- End function
	.section	.AMDGPU.csdata,"",@progbits
; Kernel info:
; codeLenInByte = 0
; NumSgprs: 4
; NumVgprs: 0
; NumAgprs: 0
; TotalNumVgprs: 0
; ScratchSize: 0
; MemoryBound: 0
; FloatMode: 240
; IeeeMode: 1
; LDSByteSize: 0 bytes/workgroup (compile time only)
; SGPRBlocks: 0
; VGPRBlocks: 0
; NumSGPRsForWavesPerEU: 4
; NumVGPRsForWavesPerEU: 1
; AccumOffset: 4
; Occupancy: 8
; WaveLimiterHint : 0
; COMPUTE_PGM_RSRC2:SCRATCH_EN: 0
; COMPUTE_PGM_RSRC2:USER_SGPR: 6
; COMPUTE_PGM_RSRC2:TRAP_HANDLER: 0
; COMPUTE_PGM_RSRC2:TGID_X_EN: 1
; COMPUTE_PGM_RSRC2:TGID_Y_EN: 0
; COMPUTE_PGM_RSRC2:TGID_Z_EN: 0
; COMPUTE_PGM_RSRC2:TIDIG_COMP_CNT: 0
; COMPUTE_PGM_RSRC3_GFX90A:ACCUM_OFFSET: 0
; COMPUTE_PGM_RSRC3_GFX90A:TG_SPLIT: 0
	.section	.text._ZN7rocprim17ROCPRIM_400000_NS6detail17trampoline_kernelINS0_14default_configENS1_38merge_sort_block_merge_config_selectorImNS0_10empty_typeEEEZZNS1_27merge_sort_block_merge_implIS3_PmPS5_jNS1_19radix_merge_compareILb1ELb0EmNS0_19identity_decomposerEEEEE10hipError_tT0_T1_T2_jT3_P12ihipStream_tbPNSt15iterator_traitsISE_E10value_typeEPNSK_ISF_E10value_typeEPSG_NS1_7vsmem_tEENKUlT_SE_SF_SG_E_clIS8_S8_S9_S9_EESD_ST_SE_SF_SG_EUlST_E0_NS1_11comp_targetILNS1_3genE10ELNS1_11target_archE1201ELNS1_3gpuE5ELNS1_3repE0EEENS1_38merge_mergepath_config_static_selectorELNS0_4arch9wavefront6targetE1EEEvSF_,"axG",@progbits,_ZN7rocprim17ROCPRIM_400000_NS6detail17trampoline_kernelINS0_14default_configENS1_38merge_sort_block_merge_config_selectorImNS0_10empty_typeEEEZZNS1_27merge_sort_block_merge_implIS3_PmPS5_jNS1_19radix_merge_compareILb1ELb0EmNS0_19identity_decomposerEEEEE10hipError_tT0_T1_T2_jT3_P12ihipStream_tbPNSt15iterator_traitsISE_E10value_typeEPNSK_ISF_E10value_typeEPSG_NS1_7vsmem_tEENKUlT_SE_SF_SG_E_clIS8_S8_S9_S9_EESD_ST_SE_SF_SG_EUlST_E0_NS1_11comp_targetILNS1_3genE10ELNS1_11target_archE1201ELNS1_3gpuE5ELNS1_3repE0EEENS1_38merge_mergepath_config_static_selectorELNS0_4arch9wavefront6targetE1EEEvSF_,comdat
	.protected	_ZN7rocprim17ROCPRIM_400000_NS6detail17trampoline_kernelINS0_14default_configENS1_38merge_sort_block_merge_config_selectorImNS0_10empty_typeEEEZZNS1_27merge_sort_block_merge_implIS3_PmPS5_jNS1_19radix_merge_compareILb1ELb0EmNS0_19identity_decomposerEEEEE10hipError_tT0_T1_T2_jT3_P12ihipStream_tbPNSt15iterator_traitsISE_E10value_typeEPNSK_ISF_E10value_typeEPSG_NS1_7vsmem_tEENKUlT_SE_SF_SG_E_clIS8_S8_S9_S9_EESD_ST_SE_SF_SG_EUlST_E0_NS1_11comp_targetILNS1_3genE10ELNS1_11target_archE1201ELNS1_3gpuE5ELNS1_3repE0EEENS1_38merge_mergepath_config_static_selectorELNS0_4arch9wavefront6targetE1EEEvSF_ ; -- Begin function _ZN7rocprim17ROCPRIM_400000_NS6detail17trampoline_kernelINS0_14default_configENS1_38merge_sort_block_merge_config_selectorImNS0_10empty_typeEEEZZNS1_27merge_sort_block_merge_implIS3_PmPS5_jNS1_19radix_merge_compareILb1ELb0EmNS0_19identity_decomposerEEEEE10hipError_tT0_T1_T2_jT3_P12ihipStream_tbPNSt15iterator_traitsISE_E10value_typeEPNSK_ISF_E10value_typeEPSG_NS1_7vsmem_tEENKUlT_SE_SF_SG_E_clIS8_S8_S9_S9_EESD_ST_SE_SF_SG_EUlST_E0_NS1_11comp_targetILNS1_3genE10ELNS1_11target_archE1201ELNS1_3gpuE5ELNS1_3repE0EEENS1_38merge_mergepath_config_static_selectorELNS0_4arch9wavefront6targetE1EEEvSF_
	.globl	_ZN7rocprim17ROCPRIM_400000_NS6detail17trampoline_kernelINS0_14default_configENS1_38merge_sort_block_merge_config_selectorImNS0_10empty_typeEEEZZNS1_27merge_sort_block_merge_implIS3_PmPS5_jNS1_19radix_merge_compareILb1ELb0EmNS0_19identity_decomposerEEEEE10hipError_tT0_T1_T2_jT3_P12ihipStream_tbPNSt15iterator_traitsISE_E10value_typeEPNSK_ISF_E10value_typeEPSG_NS1_7vsmem_tEENKUlT_SE_SF_SG_E_clIS8_S8_S9_S9_EESD_ST_SE_SF_SG_EUlST_E0_NS1_11comp_targetILNS1_3genE10ELNS1_11target_archE1201ELNS1_3gpuE5ELNS1_3repE0EEENS1_38merge_mergepath_config_static_selectorELNS0_4arch9wavefront6targetE1EEEvSF_
	.p2align	8
	.type	_ZN7rocprim17ROCPRIM_400000_NS6detail17trampoline_kernelINS0_14default_configENS1_38merge_sort_block_merge_config_selectorImNS0_10empty_typeEEEZZNS1_27merge_sort_block_merge_implIS3_PmPS5_jNS1_19radix_merge_compareILb1ELb0EmNS0_19identity_decomposerEEEEE10hipError_tT0_T1_T2_jT3_P12ihipStream_tbPNSt15iterator_traitsISE_E10value_typeEPNSK_ISF_E10value_typeEPSG_NS1_7vsmem_tEENKUlT_SE_SF_SG_E_clIS8_S8_S9_S9_EESD_ST_SE_SF_SG_EUlST_E0_NS1_11comp_targetILNS1_3genE10ELNS1_11target_archE1201ELNS1_3gpuE5ELNS1_3repE0EEENS1_38merge_mergepath_config_static_selectorELNS0_4arch9wavefront6targetE1EEEvSF_,@function
_ZN7rocprim17ROCPRIM_400000_NS6detail17trampoline_kernelINS0_14default_configENS1_38merge_sort_block_merge_config_selectorImNS0_10empty_typeEEEZZNS1_27merge_sort_block_merge_implIS3_PmPS5_jNS1_19radix_merge_compareILb1ELb0EmNS0_19identity_decomposerEEEEE10hipError_tT0_T1_T2_jT3_P12ihipStream_tbPNSt15iterator_traitsISE_E10value_typeEPNSK_ISF_E10value_typeEPSG_NS1_7vsmem_tEENKUlT_SE_SF_SG_E_clIS8_S8_S9_S9_EESD_ST_SE_SF_SG_EUlST_E0_NS1_11comp_targetILNS1_3genE10ELNS1_11target_archE1201ELNS1_3gpuE5ELNS1_3repE0EEENS1_38merge_mergepath_config_static_selectorELNS0_4arch9wavefront6targetE1EEEvSF_: ; @_ZN7rocprim17ROCPRIM_400000_NS6detail17trampoline_kernelINS0_14default_configENS1_38merge_sort_block_merge_config_selectorImNS0_10empty_typeEEEZZNS1_27merge_sort_block_merge_implIS3_PmPS5_jNS1_19radix_merge_compareILb1ELb0EmNS0_19identity_decomposerEEEEE10hipError_tT0_T1_T2_jT3_P12ihipStream_tbPNSt15iterator_traitsISE_E10value_typeEPNSK_ISF_E10value_typeEPSG_NS1_7vsmem_tEENKUlT_SE_SF_SG_E_clIS8_S8_S9_S9_EESD_ST_SE_SF_SG_EUlST_E0_NS1_11comp_targetILNS1_3genE10ELNS1_11target_archE1201ELNS1_3gpuE5ELNS1_3repE0EEENS1_38merge_mergepath_config_static_selectorELNS0_4arch9wavefront6targetE1EEEvSF_
; %bb.0:
	.section	.rodata,"a",@progbits
	.p2align	6, 0x0
	.amdhsa_kernel _ZN7rocprim17ROCPRIM_400000_NS6detail17trampoline_kernelINS0_14default_configENS1_38merge_sort_block_merge_config_selectorImNS0_10empty_typeEEEZZNS1_27merge_sort_block_merge_implIS3_PmPS5_jNS1_19radix_merge_compareILb1ELb0EmNS0_19identity_decomposerEEEEE10hipError_tT0_T1_T2_jT3_P12ihipStream_tbPNSt15iterator_traitsISE_E10value_typeEPNSK_ISF_E10value_typeEPSG_NS1_7vsmem_tEENKUlT_SE_SF_SG_E_clIS8_S8_S9_S9_EESD_ST_SE_SF_SG_EUlST_E0_NS1_11comp_targetILNS1_3genE10ELNS1_11target_archE1201ELNS1_3gpuE5ELNS1_3repE0EEENS1_38merge_mergepath_config_static_selectorELNS0_4arch9wavefront6targetE1EEEvSF_
		.amdhsa_group_segment_fixed_size 0
		.amdhsa_private_segment_fixed_size 0
		.amdhsa_kernarg_size 64
		.amdhsa_user_sgpr_count 6
		.amdhsa_user_sgpr_private_segment_buffer 1
		.amdhsa_user_sgpr_dispatch_ptr 0
		.amdhsa_user_sgpr_queue_ptr 0
		.amdhsa_user_sgpr_kernarg_segment_ptr 1
		.amdhsa_user_sgpr_dispatch_id 0
		.amdhsa_user_sgpr_flat_scratch_init 0
		.amdhsa_user_sgpr_kernarg_preload_length 0
		.amdhsa_user_sgpr_kernarg_preload_offset 0
		.amdhsa_user_sgpr_private_segment_size 0
		.amdhsa_uses_dynamic_stack 0
		.amdhsa_system_sgpr_private_segment_wavefront_offset 0
		.amdhsa_system_sgpr_workgroup_id_x 1
		.amdhsa_system_sgpr_workgroup_id_y 0
		.amdhsa_system_sgpr_workgroup_id_z 0
		.amdhsa_system_sgpr_workgroup_info 0
		.amdhsa_system_vgpr_workitem_id 0
		.amdhsa_next_free_vgpr 1
		.amdhsa_next_free_sgpr 0
		.amdhsa_accum_offset 4
		.amdhsa_reserve_vcc 0
		.amdhsa_reserve_flat_scratch 0
		.amdhsa_float_round_mode_32 0
		.amdhsa_float_round_mode_16_64 0
		.amdhsa_float_denorm_mode_32 3
		.amdhsa_float_denorm_mode_16_64 3
		.amdhsa_dx10_clamp 1
		.amdhsa_ieee_mode 1
		.amdhsa_fp16_overflow 0
		.amdhsa_tg_split 0
		.amdhsa_exception_fp_ieee_invalid_op 0
		.amdhsa_exception_fp_denorm_src 0
		.amdhsa_exception_fp_ieee_div_zero 0
		.amdhsa_exception_fp_ieee_overflow 0
		.amdhsa_exception_fp_ieee_underflow 0
		.amdhsa_exception_fp_ieee_inexact 0
		.amdhsa_exception_int_div_zero 0
	.end_amdhsa_kernel
	.section	.text._ZN7rocprim17ROCPRIM_400000_NS6detail17trampoline_kernelINS0_14default_configENS1_38merge_sort_block_merge_config_selectorImNS0_10empty_typeEEEZZNS1_27merge_sort_block_merge_implIS3_PmPS5_jNS1_19radix_merge_compareILb1ELb0EmNS0_19identity_decomposerEEEEE10hipError_tT0_T1_T2_jT3_P12ihipStream_tbPNSt15iterator_traitsISE_E10value_typeEPNSK_ISF_E10value_typeEPSG_NS1_7vsmem_tEENKUlT_SE_SF_SG_E_clIS8_S8_S9_S9_EESD_ST_SE_SF_SG_EUlST_E0_NS1_11comp_targetILNS1_3genE10ELNS1_11target_archE1201ELNS1_3gpuE5ELNS1_3repE0EEENS1_38merge_mergepath_config_static_selectorELNS0_4arch9wavefront6targetE1EEEvSF_,"axG",@progbits,_ZN7rocprim17ROCPRIM_400000_NS6detail17trampoline_kernelINS0_14default_configENS1_38merge_sort_block_merge_config_selectorImNS0_10empty_typeEEEZZNS1_27merge_sort_block_merge_implIS3_PmPS5_jNS1_19radix_merge_compareILb1ELb0EmNS0_19identity_decomposerEEEEE10hipError_tT0_T1_T2_jT3_P12ihipStream_tbPNSt15iterator_traitsISE_E10value_typeEPNSK_ISF_E10value_typeEPSG_NS1_7vsmem_tEENKUlT_SE_SF_SG_E_clIS8_S8_S9_S9_EESD_ST_SE_SF_SG_EUlST_E0_NS1_11comp_targetILNS1_3genE10ELNS1_11target_archE1201ELNS1_3gpuE5ELNS1_3repE0EEENS1_38merge_mergepath_config_static_selectorELNS0_4arch9wavefront6targetE1EEEvSF_,comdat
.Lfunc_end2234:
	.size	_ZN7rocprim17ROCPRIM_400000_NS6detail17trampoline_kernelINS0_14default_configENS1_38merge_sort_block_merge_config_selectorImNS0_10empty_typeEEEZZNS1_27merge_sort_block_merge_implIS3_PmPS5_jNS1_19radix_merge_compareILb1ELb0EmNS0_19identity_decomposerEEEEE10hipError_tT0_T1_T2_jT3_P12ihipStream_tbPNSt15iterator_traitsISE_E10value_typeEPNSK_ISF_E10value_typeEPSG_NS1_7vsmem_tEENKUlT_SE_SF_SG_E_clIS8_S8_S9_S9_EESD_ST_SE_SF_SG_EUlST_E0_NS1_11comp_targetILNS1_3genE10ELNS1_11target_archE1201ELNS1_3gpuE5ELNS1_3repE0EEENS1_38merge_mergepath_config_static_selectorELNS0_4arch9wavefront6targetE1EEEvSF_, .Lfunc_end2234-_ZN7rocprim17ROCPRIM_400000_NS6detail17trampoline_kernelINS0_14default_configENS1_38merge_sort_block_merge_config_selectorImNS0_10empty_typeEEEZZNS1_27merge_sort_block_merge_implIS3_PmPS5_jNS1_19radix_merge_compareILb1ELb0EmNS0_19identity_decomposerEEEEE10hipError_tT0_T1_T2_jT3_P12ihipStream_tbPNSt15iterator_traitsISE_E10value_typeEPNSK_ISF_E10value_typeEPSG_NS1_7vsmem_tEENKUlT_SE_SF_SG_E_clIS8_S8_S9_S9_EESD_ST_SE_SF_SG_EUlST_E0_NS1_11comp_targetILNS1_3genE10ELNS1_11target_archE1201ELNS1_3gpuE5ELNS1_3repE0EEENS1_38merge_mergepath_config_static_selectorELNS0_4arch9wavefront6targetE1EEEvSF_
                                        ; -- End function
	.section	.AMDGPU.csdata,"",@progbits
; Kernel info:
; codeLenInByte = 0
; NumSgprs: 4
; NumVgprs: 0
; NumAgprs: 0
; TotalNumVgprs: 0
; ScratchSize: 0
; MemoryBound: 0
; FloatMode: 240
; IeeeMode: 1
; LDSByteSize: 0 bytes/workgroup (compile time only)
; SGPRBlocks: 0
; VGPRBlocks: 0
; NumSGPRsForWavesPerEU: 4
; NumVGPRsForWavesPerEU: 1
; AccumOffset: 4
; Occupancy: 8
; WaveLimiterHint : 0
; COMPUTE_PGM_RSRC2:SCRATCH_EN: 0
; COMPUTE_PGM_RSRC2:USER_SGPR: 6
; COMPUTE_PGM_RSRC2:TRAP_HANDLER: 0
; COMPUTE_PGM_RSRC2:TGID_X_EN: 1
; COMPUTE_PGM_RSRC2:TGID_Y_EN: 0
; COMPUTE_PGM_RSRC2:TGID_Z_EN: 0
; COMPUTE_PGM_RSRC2:TIDIG_COMP_CNT: 0
; COMPUTE_PGM_RSRC3_GFX90A:ACCUM_OFFSET: 0
; COMPUTE_PGM_RSRC3_GFX90A:TG_SPLIT: 0
	.section	.text._ZN7rocprim17ROCPRIM_400000_NS6detail17trampoline_kernelINS0_14default_configENS1_38merge_sort_block_merge_config_selectorImNS0_10empty_typeEEEZZNS1_27merge_sort_block_merge_implIS3_PmPS5_jNS1_19radix_merge_compareILb1ELb0EmNS0_19identity_decomposerEEEEE10hipError_tT0_T1_T2_jT3_P12ihipStream_tbPNSt15iterator_traitsISE_E10value_typeEPNSK_ISF_E10value_typeEPSG_NS1_7vsmem_tEENKUlT_SE_SF_SG_E_clIS8_S8_S9_S9_EESD_ST_SE_SF_SG_EUlST_E0_NS1_11comp_targetILNS1_3genE5ELNS1_11target_archE942ELNS1_3gpuE9ELNS1_3repE0EEENS1_38merge_mergepath_config_static_selectorELNS0_4arch9wavefront6targetE1EEEvSF_,"axG",@progbits,_ZN7rocprim17ROCPRIM_400000_NS6detail17trampoline_kernelINS0_14default_configENS1_38merge_sort_block_merge_config_selectorImNS0_10empty_typeEEEZZNS1_27merge_sort_block_merge_implIS3_PmPS5_jNS1_19radix_merge_compareILb1ELb0EmNS0_19identity_decomposerEEEEE10hipError_tT0_T1_T2_jT3_P12ihipStream_tbPNSt15iterator_traitsISE_E10value_typeEPNSK_ISF_E10value_typeEPSG_NS1_7vsmem_tEENKUlT_SE_SF_SG_E_clIS8_S8_S9_S9_EESD_ST_SE_SF_SG_EUlST_E0_NS1_11comp_targetILNS1_3genE5ELNS1_11target_archE942ELNS1_3gpuE9ELNS1_3repE0EEENS1_38merge_mergepath_config_static_selectorELNS0_4arch9wavefront6targetE1EEEvSF_,comdat
	.protected	_ZN7rocprim17ROCPRIM_400000_NS6detail17trampoline_kernelINS0_14default_configENS1_38merge_sort_block_merge_config_selectorImNS0_10empty_typeEEEZZNS1_27merge_sort_block_merge_implIS3_PmPS5_jNS1_19radix_merge_compareILb1ELb0EmNS0_19identity_decomposerEEEEE10hipError_tT0_T1_T2_jT3_P12ihipStream_tbPNSt15iterator_traitsISE_E10value_typeEPNSK_ISF_E10value_typeEPSG_NS1_7vsmem_tEENKUlT_SE_SF_SG_E_clIS8_S8_S9_S9_EESD_ST_SE_SF_SG_EUlST_E0_NS1_11comp_targetILNS1_3genE5ELNS1_11target_archE942ELNS1_3gpuE9ELNS1_3repE0EEENS1_38merge_mergepath_config_static_selectorELNS0_4arch9wavefront6targetE1EEEvSF_ ; -- Begin function _ZN7rocprim17ROCPRIM_400000_NS6detail17trampoline_kernelINS0_14default_configENS1_38merge_sort_block_merge_config_selectorImNS0_10empty_typeEEEZZNS1_27merge_sort_block_merge_implIS3_PmPS5_jNS1_19radix_merge_compareILb1ELb0EmNS0_19identity_decomposerEEEEE10hipError_tT0_T1_T2_jT3_P12ihipStream_tbPNSt15iterator_traitsISE_E10value_typeEPNSK_ISF_E10value_typeEPSG_NS1_7vsmem_tEENKUlT_SE_SF_SG_E_clIS8_S8_S9_S9_EESD_ST_SE_SF_SG_EUlST_E0_NS1_11comp_targetILNS1_3genE5ELNS1_11target_archE942ELNS1_3gpuE9ELNS1_3repE0EEENS1_38merge_mergepath_config_static_selectorELNS0_4arch9wavefront6targetE1EEEvSF_
	.globl	_ZN7rocprim17ROCPRIM_400000_NS6detail17trampoline_kernelINS0_14default_configENS1_38merge_sort_block_merge_config_selectorImNS0_10empty_typeEEEZZNS1_27merge_sort_block_merge_implIS3_PmPS5_jNS1_19radix_merge_compareILb1ELb0EmNS0_19identity_decomposerEEEEE10hipError_tT0_T1_T2_jT3_P12ihipStream_tbPNSt15iterator_traitsISE_E10value_typeEPNSK_ISF_E10value_typeEPSG_NS1_7vsmem_tEENKUlT_SE_SF_SG_E_clIS8_S8_S9_S9_EESD_ST_SE_SF_SG_EUlST_E0_NS1_11comp_targetILNS1_3genE5ELNS1_11target_archE942ELNS1_3gpuE9ELNS1_3repE0EEENS1_38merge_mergepath_config_static_selectorELNS0_4arch9wavefront6targetE1EEEvSF_
	.p2align	8
	.type	_ZN7rocprim17ROCPRIM_400000_NS6detail17trampoline_kernelINS0_14default_configENS1_38merge_sort_block_merge_config_selectorImNS0_10empty_typeEEEZZNS1_27merge_sort_block_merge_implIS3_PmPS5_jNS1_19radix_merge_compareILb1ELb0EmNS0_19identity_decomposerEEEEE10hipError_tT0_T1_T2_jT3_P12ihipStream_tbPNSt15iterator_traitsISE_E10value_typeEPNSK_ISF_E10value_typeEPSG_NS1_7vsmem_tEENKUlT_SE_SF_SG_E_clIS8_S8_S9_S9_EESD_ST_SE_SF_SG_EUlST_E0_NS1_11comp_targetILNS1_3genE5ELNS1_11target_archE942ELNS1_3gpuE9ELNS1_3repE0EEENS1_38merge_mergepath_config_static_selectorELNS0_4arch9wavefront6targetE1EEEvSF_,@function
_ZN7rocprim17ROCPRIM_400000_NS6detail17trampoline_kernelINS0_14default_configENS1_38merge_sort_block_merge_config_selectorImNS0_10empty_typeEEEZZNS1_27merge_sort_block_merge_implIS3_PmPS5_jNS1_19radix_merge_compareILb1ELb0EmNS0_19identity_decomposerEEEEE10hipError_tT0_T1_T2_jT3_P12ihipStream_tbPNSt15iterator_traitsISE_E10value_typeEPNSK_ISF_E10value_typeEPSG_NS1_7vsmem_tEENKUlT_SE_SF_SG_E_clIS8_S8_S9_S9_EESD_ST_SE_SF_SG_EUlST_E0_NS1_11comp_targetILNS1_3genE5ELNS1_11target_archE942ELNS1_3gpuE9ELNS1_3repE0EEENS1_38merge_mergepath_config_static_selectorELNS0_4arch9wavefront6targetE1EEEvSF_: ; @_ZN7rocprim17ROCPRIM_400000_NS6detail17trampoline_kernelINS0_14default_configENS1_38merge_sort_block_merge_config_selectorImNS0_10empty_typeEEEZZNS1_27merge_sort_block_merge_implIS3_PmPS5_jNS1_19radix_merge_compareILb1ELb0EmNS0_19identity_decomposerEEEEE10hipError_tT0_T1_T2_jT3_P12ihipStream_tbPNSt15iterator_traitsISE_E10value_typeEPNSK_ISF_E10value_typeEPSG_NS1_7vsmem_tEENKUlT_SE_SF_SG_E_clIS8_S8_S9_S9_EESD_ST_SE_SF_SG_EUlST_E0_NS1_11comp_targetILNS1_3genE5ELNS1_11target_archE942ELNS1_3gpuE9ELNS1_3repE0EEENS1_38merge_mergepath_config_static_selectorELNS0_4arch9wavefront6targetE1EEEvSF_
; %bb.0:
	.section	.rodata,"a",@progbits
	.p2align	6, 0x0
	.amdhsa_kernel _ZN7rocprim17ROCPRIM_400000_NS6detail17trampoline_kernelINS0_14default_configENS1_38merge_sort_block_merge_config_selectorImNS0_10empty_typeEEEZZNS1_27merge_sort_block_merge_implIS3_PmPS5_jNS1_19radix_merge_compareILb1ELb0EmNS0_19identity_decomposerEEEEE10hipError_tT0_T1_T2_jT3_P12ihipStream_tbPNSt15iterator_traitsISE_E10value_typeEPNSK_ISF_E10value_typeEPSG_NS1_7vsmem_tEENKUlT_SE_SF_SG_E_clIS8_S8_S9_S9_EESD_ST_SE_SF_SG_EUlST_E0_NS1_11comp_targetILNS1_3genE5ELNS1_11target_archE942ELNS1_3gpuE9ELNS1_3repE0EEENS1_38merge_mergepath_config_static_selectorELNS0_4arch9wavefront6targetE1EEEvSF_
		.amdhsa_group_segment_fixed_size 0
		.amdhsa_private_segment_fixed_size 0
		.amdhsa_kernarg_size 64
		.amdhsa_user_sgpr_count 6
		.amdhsa_user_sgpr_private_segment_buffer 1
		.amdhsa_user_sgpr_dispatch_ptr 0
		.amdhsa_user_sgpr_queue_ptr 0
		.amdhsa_user_sgpr_kernarg_segment_ptr 1
		.amdhsa_user_sgpr_dispatch_id 0
		.amdhsa_user_sgpr_flat_scratch_init 0
		.amdhsa_user_sgpr_kernarg_preload_length 0
		.amdhsa_user_sgpr_kernarg_preload_offset 0
		.amdhsa_user_sgpr_private_segment_size 0
		.amdhsa_uses_dynamic_stack 0
		.amdhsa_system_sgpr_private_segment_wavefront_offset 0
		.amdhsa_system_sgpr_workgroup_id_x 1
		.amdhsa_system_sgpr_workgroup_id_y 0
		.amdhsa_system_sgpr_workgroup_id_z 0
		.amdhsa_system_sgpr_workgroup_info 0
		.amdhsa_system_vgpr_workitem_id 0
		.amdhsa_next_free_vgpr 1
		.amdhsa_next_free_sgpr 0
		.amdhsa_accum_offset 4
		.amdhsa_reserve_vcc 0
		.amdhsa_reserve_flat_scratch 0
		.amdhsa_float_round_mode_32 0
		.amdhsa_float_round_mode_16_64 0
		.amdhsa_float_denorm_mode_32 3
		.amdhsa_float_denorm_mode_16_64 3
		.amdhsa_dx10_clamp 1
		.amdhsa_ieee_mode 1
		.amdhsa_fp16_overflow 0
		.amdhsa_tg_split 0
		.amdhsa_exception_fp_ieee_invalid_op 0
		.amdhsa_exception_fp_denorm_src 0
		.amdhsa_exception_fp_ieee_div_zero 0
		.amdhsa_exception_fp_ieee_overflow 0
		.amdhsa_exception_fp_ieee_underflow 0
		.amdhsa_exception_fp_ieee_inexact 0
		.amdhsa_exception_int_div_zero 0
	.end_amdhsa_kernel
	.section	.text._ZN7rocprim17ROCPRIM_400000_NS6detail17trampoline_kernelINS0_14default_configENS1_38merge_sort_block_merge_config_selectorImNS0_10empty_typeEEEZZNS1_27merge_sort_block_merge_implIS3_PmPS5_jNS1_19radix_merge_compareILb1ELb0EmNS0_19identity_decomposerEEEEE10hipError_tT0_T1_T2_jT3_P12ihipStream_tbPNSt15iterator_traitsISE_E10value_typeEPNSK_ISF_E10value_typeEPSG_NS1_7vsmem_tEENKUlT_SE_SF_SG_E_clIS8_S8_S9_S9_EESD_ST_SE_SF_SG_EUlST_E0_NS1_11comp_targetILNS1_3genE5ELNS1_11target_archE942ELNS1_3gpuE9ELNS1_3repE0EEENS1_38merge_mergepath_config_static_selectorELNS0_4arch9wavefront6targetE1EEEvSF_,"axG",@progbits,_ZN7rocprim17ROCPRIM_400000_NS6detail17trampoline_kernelINS0_14default_configENS1_38merge_sort_block_merge_config_selectorImNS0_10empty_typeEEEZZNS1_27merge_sort_block_merge_implIS3_PmPS5_jNS1_19radix_merge_compareILb1ELb0EmNS0_19identity_decomposerEEEEE10hipError_tT0_T1_T2_jT3_P12ihipStream_tbPNSt15iterator_traitsISE_E10value_typeEPNSK_ISF_E10value_typeEPSG_NS1_7vsmem_tEENKUlT_SE_SF_SG_E_clIS8_S8_S9_S9_EESD_ST_SE_SF_SG_EUlST_E0_NS1_11comp_targetILNS1_3genE5ELNS1_11target_archE942ELNS1_3gpuE9ELNS1_3repE0EEENS1_38merge_mergepath_config_static_selectorELNS0_4arch9wavefront6targetE1EEEvSF_,comdat
.Lfunc_end2235:
	.size	_ZN7rocprim17ROCPRIM_400000_NS6detail17trampoline_kernelINS0_14default_configENS1_38merge_sort_block_merge_config_selectorImNS0_10empty_typeEEEZZNS1_27merge_sort_block_merge_implIS3_PmPS5_jNS1_19radix_merge_compareILb1ELb0EmNS0_19identity_decomposerEEEEE10hipError_tT0_T1_T2_jT3_P12ihipStream_tbPNSt15iterator_traitsISE_E10value_typeEPNSK_ISF_E10value_typeEPSG_NS1_7vsmem_tEENKUlT_SE_SF_SG_E_clIS8_S8_S9_S9_EESD_ST_SE_SF_SG_EUlST_E0_NS1_11comp_targetILNS1_3genE5ELNS1_11target_archE942ELNS1_3gpuE9ELNS1_3repE0EEENS1_38merge_mergepath_config_static_selectorELNS0_4arch9wavefront6targetE1EEEvSF_, .Lfunc_end2235-_ZN7rocprim17ROCPRIM_400000_NS6detail17trampoline_kernelINS0_14default_configENS1_38merge_sort_block_merge_config_selectorImNS0_10empty_typeEEEZZNS1_27merge_sort_block_merge_implIS3_PmPS5_jNS1_19radix_merge_compareILb1ELb0EmNS0_19identity_decomposerEEEEE10hipError_tT0_T1_T2_jT3_P12ihipStream_tbPNSt15iterator_traitsISE_E10value_typeEPNSK_ISF_E10value_typeEPSG_NS1_7vsmem_tEENKUlT_SE_SF_SG_E_clIS8_S8_S9_S9_EESD_ST_SE_SF_SG_EUlST_E0_NS1_11comp_targetILNS1_3genE5ELNS1_11target_archE942ELNS1_3gpuE9ELNS1_3repE0EEENS1_38merge_mergepath_config_static_selectorELNS0_4arch9wavefront6targetE1EEEvSF_
                                        ; -- End function
	.section	.AMDGPU.csdata,"",@progbits
; Kernel info:
; codeLenInByte = 0
; NumSgprs: 4
; NumVgprs: 0
; NumAgprs: 0
; TotalNumVgprs: 0
; ScratchSize: 0
; MemoryBound: 0
; FloatMode: 240
; IeeeMode: 1
; LDSByteSize: 0 bytes/workgroup (compile time only)
; SGPRBlocks: 0
; VGPRBlocks: 0
; NumSGPRsForWavesPerEU: 4
; NumVGPRsForWavesPerEU: 1
; AccumOffset: 4
; Occupancy: 8
; WaveLimiterHint : 0
; COMPUTE_PGM_RSRC2:SCRATCH_EN: 0
; COMPUTE_PGM_RSRC2:USER_SGPR: 6
; COMPUTE_PGM_RSRC2:TRAP_HANDLER: 0
; COMPUTE_PGM_RSRC2:TGID_X_EN: 1
; COMPUTE_PGM_RSRC2:TGID_Y_EN: 0
; COMPUTE_PGM_RSRC2:TGID_Z_EN: 0
; COMPUTE_PGM_RSRC2:TIDIG_COMP_CNT: 0
; COMPUTE_PGM_RSRC3_GFX90A:ACCUM_OFFSET: 0
; COMPUTE_PGM_RSRC3_GFX90A:TG_SPLIT: 0
	.section	.text._ZN7rocprim17ROCPRIM_400000_NS6detail17trampoline_kernelINS0_14default_configENS1_38merge_sort_block_merge_config_selectorImNS0_10empty_typeEEEZZNS1_27merge_sort_block_merge_implIS3_PmPS5_jNS1_19radix_merge_compareILb1ELb0EmNS0_19identity_decomposerEEEEE10hipError_tT0_T1_T2_jT3_P12ihipStream_tbPNSt15iterator_traitsISE_E10value_typeEPNSK_ISF_E10value_typeEPSG_NS1_7vsmem_tEENKUlT_SE_SF_SG_E_clIS8_S8_S9_S9_EESD_ST_SE_SF_SG_EUlST_E0_NS1_11comp_targetILNS1_3genE4ELNS1_11target_archE910ELNS1_3gpuE8ELNS1_3repE0EEENS1_38merge_mergepath_config_static_selectorELNS0_4arch9wavefront6targetE1EEEvSF_,"axG",@progbits,_ZN7rocprim17ROCPRIM_400000_NS6detail17trampoline_kernelINS0_14default_configENS1_38merge_sort_block_merge_config_selectorImNS0_10empty_typeEEEZZNS1_27merge_sort_block_merge_implIS3_PmPS5_jNS1_19radix_merge_compareILb1ELb0EmNS0_19identity_decomposerEEEEE10hipError_tT0_T1_T2_jT3_P12ihipStream_tbPNSt15iterator_traitsISE_E10value_typeEPNSK_ISF_E10value_typeEPSG_NS1_7vsmem_tEENKUlT_SE_SF_SG_E_clIS8_S8_S9_S9_EESD_ST_SE_SF_SG_EUlST_E0_NS1_11comp_targetILNS1_3genE4ELNS1_11target_archE910ELNS1_3gpuE8ELNS1_3repE0EEENS1_38merge_mergepath_config_static_selectorELNS0_4arch9wavefront6targetE1EEEvSF_,comdat
	.protected	_ZN7rocprim17ROCPRIM_400000_NS6detail17trampoline_kernelINS0_14default_configENS1_38merge_sort_block_merge_config_selectorImNS0_10empty_typeEEEZZNS1_27merge_sort_block_merge_implIS3_PmPS5_jNS1_19radix_merge_compareILb1ELb0EmNS0_19identity_decomposerEEEEE10hipError_tT0_T1_T2_jT3_P12ihipStream_tbPNSt15iterator_traitsISE_E10value_typeEPNSK_ISF_E10value_typeEPSG_NS1_7vsmem_tEENKUlT_SE_SF_SG_E_clIS8_S8_S9_S9_EESD_ST_SE_SF_SG_EUlST_E0_NS1_11comp_targetILNS1_3genE4ELNS1_11target_archE910ELNS1_3gpuE8ELNS1_3repE0EEENS1_38merge_mergepath_config_static_selectorELNS0_4arch9wavefront6targetE1EEEvSF_ ; -- Begin function _ZN7rocprim17ROCPRIM_400000_NS6detail17trampoline_kernelINS0_14default_configENS1_38merge_sort_block_merge_config_selectorImNS0_10empty_typeEEEZZNS1_27merge_sort_block_merge_implIS3_PmPS5_jNS1_19radix_merge_compareILb1ELb0EmNS0_19identity_decomposerEEEEE10hipError_tT0_T1_T2_jT3_P12ihipStream_tbPNSt15iterator_traitsISE_E10value_typeEPNSK_ISF_E10value_typeEPSG_NS1_7vsmem_tEENKUlT_SE_SF_SG_E_clIS8_S8_S9_S9_EESD_ST_SE_SF_SG_EUlST_E0_NS1_11comp_targetILNS1_3genE4ELNS1_11target_archE910ELNS1_3gpuE8ELNS1_3repE0EEENS1_38merge_mergepath_config_static_selectorELNS0_4arch9wavefront6targetE1EEEvSF_
	.globl	_ZN7rocprim17ROCPRIM_400000_NS6detail17trampoline_kernelINS0_14default_configENS1_38merge_sort_block_merge_config_selectorImNS0_10empty_typeEEEZZNS1_27merge_sort_block_merge_implIS3_PmPS5_jNS1_19radix_merge_compareILb1ELb0EmNS0_19identity_decomposerEEEEE10hipError_tT0_T1_T2_jT3_P12ihipStream_tbPNSt15iterator_traitsISE_E10value_typeEPNSK_ISF_E10value_typeEPSG_NS1_7vsmem_tEENKUlT_SE_SF_SG_E_clIS8_S8_S9_S9_EESD_ST_SE_SF_SG_EUlST_E0_NS1_11comp_targetILNS1_3genE4ELNS1_11target_archE910ELNS1_3gpuE8ELNS1_3repE0EEENS1_38merge_mergepath_config_static_selectorELNS0_4arch9wavefront6targetE1EEEvSF_
	.p2align	8
	.type	_ZN7rocprim17ROCPRIM_400000_NS6detail17trampoline_kernelINS0_14default_configENS1_38merge_sort_block_merge_config_selectorImNS0_10empty_typeEEEZZNS1_27merge_sort_block_merge_implIS3_PmPS5_jNS1_19radix_merge_compareILb1ELb0EmNS0_19identity_decomposerEEEEE10hipError_tT0_T1_T2_jT3_P12ihipStream_tbPNSt15iterator_traitsISE_E10value_typeEPNSK_ISF_E10value_typeEPSG_NS1_7vsmem_tEENKUlT_SE_SF_SG_E_clIS8_S8_S9_S9_EESD_ST_SE_SF_SG_EUlST_E0_NS1_11comp_targetILNS1_3genE4ELNS1_11target_archE910ELNS1_3gpuE8ELNS1_3repE0EEENS1_38merge_mergepath_config_static_selectorELNS0_4arch9wavefront6targetE1EEEvSF_,@function
_ZN7rocprim17ROCPRIM_400000_NS6detail17trampoline_kernelINS0_14default_configENS1_38merge_sort_block_merge_config_selectorImNS0_10empty_typeEEEZZNS1_27merge_sort_block_merge_implIS3_PmPS5_jNS1_19radix_merge_compareILb1ELb0EmNS0_19identity_decomposerEEEEE10hipError_tT0_T1_T2_jT3_P12ihipStream_tbPNSt15iterator_traitsISE_E10value_typeEPNSK_ISF_E10value_typeEPSG_NS1_7vsmem_tEENKUlT_SE_SF_SG_E_clIS8_S8_S9_S9_EESD_ST_SE_SF_SG_EUlST_E0_NS1_11comp_targetILNS1_3genE4ELNS1_11target_archE910ELNS1_3gpuE8ELNS1_3repE0EEENS1_38merge_mergepath_config_static_selectorELNS0_4arch9wavefront6targetE1EEEvSF_: ; @_ZN7rocprim17ROCPRIM_400000_NS6detail17trampoline_kernelINS0_14default_configENS1_38merge_sort_block_merge_config_selectorImNS0_10empty_typeEEEZZNS1_27merge_sort_block_merge_implIS3_PmPS5_jNS1_19radix_merge_compareILb1ELb0EmNS0_19identity_decomposerEEEEE10hipError_tT0_T1_T2_jT3_P12ihipStream_tbPNSt15iterator_traitsISE_E10value_typeEPNSK_ISF_E10value_typeEPSG_NS1_7vsmem_tEENKUlT_SE_SF_SG_E_clIS8_S8_S9_S9_EESD_ST_SE_SF_SG_EUlST_E0_NS1_11comp_targetILNS1_3genE4ELNS1_11target_archE910ELNS1_3gpuE8ELNS1_3repE0EEENS1_38merge_mergepath_config_static_selectorELNS0_4arch9wavefront6targetE1EEEvSF_
; %bb.0:
	s_load_dwordx2 s[14:15], s[4:5], 0x40
	s_load_dword s3, s[4:5], 0x30
	s_add_u32 s0, s4, 64
	s_addc_u32 s1, s5, 0
	s_waitcnt lgkmcnt(0)
	s_mul_i32 s2, s15, s8
	s_add_i32 s2, s2, s7
	s_mul_i32 s2, s2, s14
	s_add_i32 s2, s2, s6
	s_cmp_ge_u32 s2, s3
	s_cbranch_scc1 .LBB2236_31
; %bb.1:
	s_load_dwordx2 s[8:9], s[4:5], 0x28
	s_load_dwordx2 s[10:11], s[4:5], 0x38
	;; [unrolled: 1-line block ×3, first 2 shown]
	s_mov_b32 s3, 0
	v_mov_b32_e32 v9, 0
	s_waitcnt lgkmcnt(0)
	s_lshr_b32 s7, s8, 10
	s_cmp_lg_u32 s2, s7
	s_cselect_b64 s[12:13], -1, 0
	s_lshl_b64 s[18:19], s[2:3], 2
	s_add_u32 s10, s10, s18
	s_addc_u32 s11, s11, s19
	s_load_dwordx2 s[18:19], s[10:11], 0x0
	s_lshr_b32 s10, s9, 9
	s_and_b32 s10, s10, 0x7ffffe
	s_sub_i32 s11, 0, s10
	s_and_b32 s15, s2, s11
	s_lshl_b32 s21, s15, 10
	s_lshl_b32 s10, s2, 10
	;; [unrolled: 1-line block ×3, first 2 shown]
	s_sub_i32 s20, s10, s21
	s_add_i32 s15, s15, s9
	s_add_i32 s22, s15, s20
	s_waitcnt lgkmcnt(0)
	s_sub_i32 s20, s22, s18
	s_sub_i32 s22, s22, s19
	;; [unrolled: 1-line block ×3, first 2 shown]
	s_min_u32 s20, s8, s20
	s_addk_i32 s22, 0x400
	s_or_b32 s11, s2, s11
	s_min_u32 s21, s8, s15
	s_add_i32 s15, s15, s9
	s_cmp_eq_u32 s11, -1
	s_cselect_b32 s9, s15, s22
	s_cselect_b32 s11, s21, s19
	s_min_u32 s15, s9, s8
	s_mov_b32 s19, s3
	s_sub_i32 s9, s11, s18
	s_sub_i32 s15, s15, s20
	s_lshl_b64 s[18:19], s[18:19], 3
	s_add_u32 s18, s16, s18
	s_mov_b32 s21, s3
	s_addc_u32 s19, s17, s19
	s_lshl_b64 s[20:21], s[20:21], 3
	s_add_u32 s16, s16, s20
	s_addc_u32 s17, s17, s21
	s_cmp_lt_u32 s6, s14
	s_cselect_b32 s3, 12, 18
	global_load_dword v1, v9, s[0:1] offset:14
	s_add_u32 s0, s0, s3
	s_addc_u32 s1, s1, 0
	global_load_ushort v2, v9, s[0:1]
	s_cmp_eq_u32 s2, s7
	s_waitcnt vmcnt(1)
	v_lshrrev_b32_e32 v3, 16, v1
	v_and_b32_e32 v1, 0xffff, v1
	v_mul_lo_u32 v1, v1, v3
	s_waitcnt vmcnt(0)
	v_mul_lo_u32 v14, v1, v2
	v_add_u32_e32 v12, v14, v0
	v_lshlrev_b32_e32 v1, 3, v0
	v_add_u32_e32 v10, v12, v14
	s_cbranch_scc1 .LBB2236_3
; %bb.2:
	v_mov_b32_e32 v2, s19
	v_add_co_u32_e32 v4, vcc, s18, v1
	v_subrev_u32_e32 v8, s9, v0
	v_addc_co_u32_e32 v5, vcc, 0, v2, vcc
	v_lshlrev_b64 v[2:3], 3, v[8:9]
	v_mov_b32_e32 v6, s17
	v_add_co_u32_e32 v2, vcc, s16, v2
	v_addc_co_u32_e32 v3, vcc, v6, v3, vcc
	v_cmp_gt_u32_e32 vcc, s9, v0
	v_mov_b32_e32 v13, v9
	v_cndmask_b32_e32 v3, v3, v5, vcc
	v_cndmask_b32_e32 v2, v2, v4, vcc
	v_lshlrev_b64 v[4:5], 3, v[12:13]
	v_mov_b32_e32 v6, s19
	v_add_co_u32_e32 v7, vcc, s18, v4
	v_subrev_u32_e32 v8, s9, v12
	v_addc_co_u32_e32 v6, vcc, v6, v5, vcc
	v_lshlrev_b64 v[4:5], 3, v[8:9]
	v_mov_b32_e32 v8, s17
	v_add_co_u32_e32 v4, vcc, s16, v4
	v_addc_co_u32_e32 v5, vcc, v8, v5, vcc
	v_cmp_gt_u32_e32 vcc, s9, v12
	v_mov_b32_e32 v11, v9
	v_cndmask_b32_e32 v5, v5, v6, vcc
	v_cndmask_b32_e32 v4, v4, v7, vcc
	v_lshlrev_b64 v[6:7], 3, v[10:11]
	v_mov_b32_e32 v8, s19
	v_add_co_u32_e32 v11, vcc, s18, v6
	v_addc_co_u32_e32 v13, vcc, v8, v7, vcc
	v_subrev_u32_e32 v8, s9, v10
	v_lshlrev_b64 v[6:7], 3, v[8:9]
	v_mov_b32_e32 v8, s17
	v_add_co_u32_e32 v6, vcc, s16, v6
	v_addc_co_u32_e32 v7, vcc, v8, v7, vcc
	v_add_u32_e32 v8, v10, v14
	v_cmp_gt_u32_e32 vcc, s9, v10
	v_lshlrev_b64 v[16:17], 3, v[8:9]
	v_cndmask_b32_e32 v7, v7, v13, vcc
	v_cndmask_b32_e32 v6, v6, v11, vcc
	v_mov_b32_e32 v11, s19
	v_add_co_u32_e32 v13, vcc, s18, v16
	v_addc_co_u32_e32 v11, vcc, v11, v17, vcc
	v_cmp_gt_u32_e32 vcc, s9, v8
	v_subrev_u32_e32 v8, s9, v8
	v_lshlrev_b64 v[8:9], 3, v[8:9]
	v_mov_b32_e32 v15, s17
	v_add_co_u32_e64 v8, s[0:1], s16, v8
	v_addc_co_u32_e64 v9, s[0:1], v15, v9, s[0:1]
	v_cndmask_b32_e32 v9, v9, v11, vcc
	v_cndmask_b32_e32 v8, v8, v13, vcc
	global_load_dwordx2 v[2:3], v[2:3], off
	s_add_i32 s11, s15, s9
	global_load_dwordx2 v[4:5], v[4:5], off
	s_nop 0
	global_load_dwordx2 v[6:7], v[6:7], off
	s_nop 0
	global_load_dwordx2 v[8:9], v[8:9], off
	s_load_dwordx2 s[6:7], s[4:5], 0x10
	s_cbranch_execz .LBB2236_4
	s_branch .LBB2236_11
.LBB2236_3:
                                        ; implicit-def: $vgpr2_vgpr3_vgpr4_vgpr5_vgpr6_vgpr7_vgpr8_vgpr9
                                        ; implicit-def: $sgpr11
	s_load_dwordx2 s[6:7], s[4:5], 0x10
.LBB2236_4:
	s_add_i32 s11, s15, s9
	v_cmp_gt_u32_e32 vcc, s11, v0
                                        ; implicit-def: $vgpr2_vgpr3_vgpr4_vgpr5_vgpr6_vgpr7_vgpr8_vgpr9
	s_and_saveexec_b64 s[0:1], vcc
	s_cbranch_execnz .LBB2236_32
; %bb.5:
	s_or_b64 exec, exec, s[0:1]
	v_cmp_gt_u32_e32 vcc, s11, v12
	s_and_saveexec_b64 s[2:3], vcc
	s_cbranch_execnz .LBB2236_33
.LBB2236_6:
	s_or_b64 exec, exec, s[2:3]
	v_cmp_gt_u32_e32 vcc, s11, v10
	s_and_saveexec_b64 s[0:1], vcc
	s_cbranch_execz .LBB2236_8
.LBB2236_7:
	v_mov_b32_e32 v11, 0
	s_waitcnt vmcnt(1)
	v_lshlrev_b64 v[6:7], 3, v[10:11]
	v_mov_b32_e32 v12, s19
	v_add_co_u32_e32 v13, vcc, s18, v6
	v_addc_co_u32_e32 v12, vcc, v12, v7, vcc
	v_subrev_u32_e32 v6, s9, v10
	v_mov_b32_e32 v7, v11
	v_lshlrev_b64 v[6:7], 3, v[6:7]
	v_mov_b32_e32 v11, s17
	v_add_co_u32_e32 v6, vcc, s16, v6
	v_addc_co_u32_e32 v7, vcc, v11, v7, vcc
	v_cmp_gt_u32_e32 vcc, s9, v10
	v_cndmask_b32_e32 v7, v7, v12, vcc
	v_cndmask_b32_e32 v6, v6, v13, vcc
	global_load_dwordx2 v[6:7], v[6:7], off
.LBB2236_8:
	s_or_b64 exec, exec, s[0:1]
	v_add_u32_e32 v10, v10, v14
	v_cmp_gt_u32_e32 vcc, s11, v10
	s_and_saveexec_b64 s[2:3], vcc
	s_cbranch_execz .LBB2236_10
; %bb.9:
	v_mov_b32_e32 v11, 0
	s_waitcnt vmcnt(0)
	v_lshlrev_b64 v[8:9], 3, v[10:11]
	v_mov_b32_e32 v12, s19
	v_add_co_u32_e32 v13, vcc, s18, v8
	v_addc_co_u32_e32 v12, vcc, v12, v9, vcc
	v_cmp_gt_u32_e32 vcc, s9, v10
	v_subrev_u32_e32 v10, s9, v10
	v_lshlrev_b64 v[8:9], 3, v[10:11]
	v_mov_b32_e32 v10, s17
	v_add_co_u32_e64 v8, s[0:1], s16, v8
	v_addc_co_u32_e64 v9, s[0:1], v10, v9, s[0:1]
	v_cndmask_b32_e32 v9, v9, v12, vcc
	v_cndmask_b32_e32 v8, v8, v13, vcc
	global_load_dwordx2 v[8:9], v[8:9], off
.LBB2236_10:
	s_or_b64 exec, exec, s[2:3]
.LBB2236_11:
	v_lshlrev_b32_e32 v10, 2, v0
	v_min_u32_e32 v12, s11, v10
	v_sub_u32_e64 v11, v12, s15 clamp
	v_min_u32_e32 v13, s9, v12
	v_cmp_lt_u32_e32 vcc, v11, v13
	s_waitcnt vmcnt(0)
	ds_write2st64_b64 v1, v[2:3], v[4:5] offset1:4
	ds_write2st64_b64 v1, v[6:7], v[8:9] offset0:8 offset1:12
	s_waitcnt lgkmcnt(0)
	s_barrier
	s_and_saveexec_b64 s[0:1], vcc
	s_cbranch_execz .LBB2236_15
; %bb.12:
	v_lshlrev_b32_e32 v14, 3, v12
	v_lshl_add_u32 v14, s9, 3, v14
	s_mov_b64 s[2:3], 0
.LBB2236_13:                            ; =>This Inner Loop Header: Depth=1
	v_add_u32_e32 v15, v13, v11
	v_lshrrev_b32_e32 v15, 1, v15
	v_not_b32_e32 v16, v15
	v_lshlrev_b32_e32 v17, 3, v15
	v_lshl_add_u32 v18, v16, 3, v14
	ds_read_b64 v[16:17], v17
	ds_read_b64 v[18:19], v18
	v_add_u32_e32 v20, 1, v15
	s_waitcnt lgkmcnt(0)
	v_cmp_gt_u64_e32 vcc, v[18:19], v[16:17]
	v_cndmask_b32_e32 v13, v13, v15, vcc
	v_cndmask_b32_e32 v11, v20, v11, vcc
	v_cmp_ge_u32_e32 vcc, v11, v13
	s_or_b64 s[2:3], vcc, s[2:3]
	s_andn2_b64 exec, exec, s[2:3]
	s_cbranch_execnz .LBB2236_13
; %bb.14:
	s_or_b64 exec, exec, s[2:3]
.LBB2236_15:
	s_or_b64 exec, exec, s[0:1]
	v_sub_u32_e32 v12, v12, v11
	v_add_u32_e32 v12, s9, v12
	v_cmp_ge_u32_e32 vcc, s9, v11
	v_cmp_ge_u32_e64 s[0:1], s11, v12
	s_or_b64 s[0:1], vcc, s[0:1]
	s_and_saveexec_b64 s[14:15], s[0:1]
	s_cbranch_execz .LBB2236_21
; %bb.16:
	v_cmp_gt_u32_e32 vcc, s9, v11
                                        ; implicit-def: $vgpr2_vgpr3
	s_and_saveexec_b64 s[0:1], vcc
	s_cbranch_execz .LBB2236_18
; %bb.17:
	v_lshlrev_b32_e32 v2, 3, v11
	ds_read_b64 v[2:3], v2
.LBB2236_18:
	s_or_b64 exec, exec, s[0:1]
	v_cmp_le_u32_e64 s[0:1], s11, v12
	v_cmp_gt_u32_e64 s[2:3], s11, v12
                                        ; implicit-def: $vgpr4_vgpr5
	s_and_saveexec_b64 s[4:5], s[2:3]
	s_cbranch_execz .LBB2236_20
; %bb.19:
	v_lshlrev_b32_e32 v4, 3, v12
	ds_read_b64 v[4:5], v4
.LBB2236_20:
	s_or_b64 exec, exec, s[4:5]
	s_waitcnt lgkmcnt(0)
	v_cmp_le_u64_e64 s[2:3], v[4:5], v[2:3]
	s_and_b64 s[2:3], vcc, s[2:3]
	s_or_b64 vcc, s[0:1], s[2:3]
	v_mov_b32_e32 v16, s11
	v_mov_b32_e32 v17, s9
	v_cndmask_b32_e32 v6, v12, v11, vcc
	v_cndmask_b32_e32 v7, v16, v17, vcc
	v_add_u32_e32 v13, 1, v6
	v_add_u32_e32 v6, -1, v7
	v_min_u32_e32 v6, v13, v6
	v_lshlrev_b32_e32 v6, 3, v6
	ds_read_b64 v[6:7], v6
	v_cndmask_b32_e32 v11, v11, v13, vcc
	v_cndmask_b32_e32 v18, v13, v12, vcc
	v_cmp_gt_u32_e64 s[2:3], s9, v11
	v_cmp_le_u32_e64 s[0:1], s11, v18
	s_waitcnt lgkmcnt(0)
	v_cndmask_b32_e32 v9, v7, v5, vcc
	v_cndmask_b32_e32 v8, v6, v4, vcc
	;; [unrolled: 1-line block ×4, first 2 shown]
	v_cmp_le_u64_e64 s[4:5], v[8:9], v[6:7]
	s_and_b64 s[2:3], s[2:3], s[4:5]
	s_or_b64 s[0:1], s[0:1], s[2:3]
	v_cndmask_b32_e64 v12, v18, v11, s[0:1]
	v_cndmask_b32_e64 v13, v16, v17, s[0:1]
	v_add_u32_e32 v19, 1, v12
	v_add_u32_e32 v12, -1, v13
	v_min_u32_e32 v12, v19, v12
	v_lshlrev_b32_e32 v12, 3, v12
	ds_read_b64 v[12:13], v12
	v_cndmask_b32_e64 v11, v11, v19, s[0:1]
	v_cndmask_b32_e64 v18, v19, v18, s[0:1]
	v_cmp_gt_u32_e64 s[2:3], s9, v11
	v_cndmask_b32_e32 v3, v5, v3, vcc
	s_waitcnt lgkmcnt(0)
	v_cndmask_b32_e64 v15, v13, v9, s[0:1]
	v_cndmask_b32_e64 v14, v12, v8, s[0:1]
	;; [unrolled: 1-line block ×4, first 2 shown]
	v_cmp_le_u64_e64 s[4:5], v[14:15], v[12:13]
	v_cndmask_b32_e32 v2, v4, v2, vcc
	v_cmp_le_u32_e32 vcc, s11, v18
	s_and_b64 s[2:3], s[2:3], s[4:5]
	s_or_b64 vcc, vcc, s[2:3]
	v_cndmask_b32_e32 v4, v18, v11, vcc
	v_cndmask_b32_e32 v5, v16, v17, vcc
	v_add_u32_e32 v19, 1, v4
	v_add_u32_e32 v4, -1, v5
	v_min_u32_e32 v4, v19, v4
	v_lshlrev_b32_e32 v4, 3, v4
	ds_read_b64 v[16:17], v4
	v_cndmask_b32_e64 v5, v9, v7, s[0:1]
	v_cndmask_b32_e64 v4, v8, v6, s[0:1]
	v_cndmask_b32_e32 v7, v15, v13, vcc
	v_cndmask_b32_e32 v6, v14, v12, vcc
	s_waitcnt lgkmcnt(0)
	v_cndmask_b32_e32 v9, v17, v15, vcc
	v_cndmask_b32_e32 v8, v16, v14, vcc
	;; [unrolled: 1-line block ×6, first 2 shown]
	v_cmp_gt_u32_e64 s[0:1], s9, v11
	v_cmp_le_u64_e64 s[2:3], v[8:9], v[12:13]
	v_cmp_le_u32_e32 vcc, s11, v14
	s_and_b64 s[0:1], s[0:1], s[2:3]
	s_or_b64 vcc, vcc, s[0:1]
	v_cndmask_b32_e32 v9, v9, v13, vcc
	v_cndmask_b32_e32 v8, v8, v12, vcc
.LBB2236_21:
	s_or_b64 exec, exec, s[14:15]
	v_and_b32_e32 v11, 0xf8, v0
	v_lshl_add_u32 v10, v10, 3, v11
	s_barrier
	s_barrier
	ds_write2_b64 v10, v[2:3], v[4:5] offset1:1
	ds_write2_b64 v10, v[6:7], v[8:9] offset0:2 offset1:3
	v_lshrrev_b32_e32 v2, 2, v0
	v_and_b32_e32 v2, 56, v2
	v_or_b32_e32 v12, 0x100, v0
	v_add_u32_e32 v13, v1, v2
	v_lshrrev_b32_e32 v2, 2, v12
	v_and_b32_e32 v2, 0x78, v2
	v_or_b32_e32 v11, 0x200, v0
	s_mov_b32 s11, 0
	v_add_u32_e32 v6, v1, v2
	v_lshrrev_b32_e32 v2, 2, v11
	s_lshl_b64 s[0:1], s[10:11], 3
	v_and_b32_e32 v2, 0xb8, v2
	v_or_b32_e32 v10, 0x300, v0
	s_add_u32 s0, s6, s0
	v_add_u32_e32 v7, v1, v2
	v_lshrrev_b32_e32 v2, 2, v10
	s_addc_u32 s1, s7, s1
	v_and_b32_e32 v2, 0xf8, v2
	v_add_u32_e32 v14, v1, v2
	v_mov_b32_e32 v3, s1
	v_add_co_u32_e32 v2, vcc, s0, v1
	v_addc_co_u32_e32 v3, vcc, 0, v3, vcc
	s_and_b64 vcc, exec, s[12:13]
	s_waitcnt lgkmcnt(0)
	s_cbranch_vccz .LBB2236_23
; %bb.22:
	s_barrier
	ds_read_b64 v[8:9], v13
	ds_read_b64 v[16:17], v6 offset:2048
	ds_read_b64 v[18:19], v7 offset:4096
	;; [unrolled: 1-line block ×3, first 2 shown]
	s_waitcnt lgkmcnt(3)
	global_store_dwordx2 v[2:3], v[8:9], off
	s_waitcnt lgkmcnt(2)
	global_store_dwordx2 v[2:3], v[16:17], off offset:2048
	v_add_co_u32_e32 v8, vcc, 0x1000, v2
	v_addc_co_u32_e32 v9, vcc, 0, v3, vcc
	s_waitcnt lgkmcnt(1)
	global_store_dwordx2 v[8:9], v[18:19], off
	s_mov_b64 s[0:1], -1
	s_cbranch_execz .LBB2236_24
	s_branch .LBB2236_29
.LBB2236_23:
	s_mov_b64 s[0:1], 0
                                        ; implicit-def: $vgpr4_vgpr5
.LBB2236_24:
	s_barrier
	s_waitcnt lgkmcnt(0)
	ds_read_b64 v[8:9], v6 offset:2048
	ds_read_b64 v[6:7], v7 offset:4096
	;; [unrolled: 1-line block ×3, first 2 shown]
	s_sub_i32 s2, s8, s10
	v_cmp_gt_u32_e32 vcc, s2, v0
	s_and_saveexec_b64 s[0:1], vcc
	s_cbranch_execnz .LBB2236_34
; %bb.25:
	s_or_b64 exec, exec, s[0:1]
	v_cmp_gt_u32_e32 vcc, s2, v12
	s_and_saveexec_b64 s[0:1], vcc
	s_cbranch_execnz .LBB2236_35
.LBB2236_26:
	s_or_b64 exec, exec, s[0:1]
	v_cmp_gt_u32_e32 vcc, s2, v11
	s_and_saveexec_b64 s[0:1], vcc
	s_cbranch_execz .LBB2236_28
.LBB2236_27:
	v_add_co_u32_e32 v0, vcc, 0x1000, v2
	v_addc_co_u32_e32 v1, vcc, 0, v3, vcc
	s_waitcnt lgkmcnt(1)
	global_store_dwordx2 v[0:1], v[6:7], off
.LBB2236_28:
	s_or_b64 exec, exec, s[0:1]
	v_cmp_gt_u32_e64 s[0:1], s2, v10
.LBB2236_29:
	s_and_saveexec_b64 s[2:3], s[0:1]
	s_cbranch_execz .LBB2236_31
; %bb.30:
	v_add_co_u32_e32 v0, vcc, 0x1000, v2
	v_addc_co_u32_e32 v1, vcc, 0, v3, vcc
	s_waitcnt lgkmcnt(0)
	global_store_dwordx2 v[0:1], v[4:5], off offset:2048
.LBB2236_31:
	s_endpgm
.LBB2236_32:
	s_waitcnt vmcnt(3)
	v_mov_b32_e32 v2, s19
	s_waitcnt vmcnt(2)
	v_add_co_u32_e32 v4, vcc, s18, v1
	v_mov_b32_e32 v3, 0
	v_addc_co_u32_e32 v5, vcc, 0, v2, vcc
	v_subrev_u32_e32 v2, s9, v0
	v_lshlrev_b64 v[2:3], 3, v[2:3]
	s_waitcnt vmcnt(1)
	v_mov_b32_e32 v6, s17
	v_add_co_u32_e32 v2, vcc, s16, v2
	v_addc_co_u32_e32 v3, vcc, v6, v3, vcc
	v_cmp_gt_u32_e32 vcc, s9, v0
	v_cndmask_b32_e32 v3, v3, v5, vcc
	v_cndmask_b32_e32 v2, v2, v4, vcc
	global_load_dwordx2 v[2:3], v[2:3], off
	s_or_b64 exec, exec, s[0:1]
	v_cmp_gt_u32_e32 vcc, s11, v12
	s_and_saveexec_b64 s[2:3], vcc
	s_cbranch_execz .LBB2236_6
.LBB2236_33:
	v_mov_b32_e32 v13, 0
	s_waitcnt vmcnt(2)
	v_lshlrev_b64 v[4:5], 3, v[12:13]
	v_mov_b32_e32 v11, s19
	v_add_co_u32_e32 v15, vcc, s18, v4
	v_addc_co_u32_e32 v11, vcc, v11, v5, vcc
	v_cmp_gt_u32_e32 vcc, s9, v12
	v_subrev_u32_e32 v12, s9, v12
	v_lshlrev_b64 v[4:5], 3, v[12:13]
	v_mov_b32_e32 v12, s17
	v_add_co_u32_e64 v4, s[0:1], s16, v4
	v_addc_co_u32_e64 v5, s[0:1], v12, v5, s[0:1]
	v_cndmask_b32_e32 v5, v5, v11, vcc
	v_cndmask_b32_e32 v4, v4, v15, vcc
	global_load_dwordx2 v[4:5], v[4:5], off
	s_or_b64 exec, exec, s[2:3]
	v_cmp_gt_u32_e32 vcc, s11, v10
	s_and_saveexec_b64 s[0:1], vcc
	s_cbranch_execnz .LBB2236_7
	s_branch .LBB2236_8
.LBB2236_34:
	ds_read_b64 v[0:1], v13
	s_waitcnt lgkmcnt(0)
	global_store_dwordx2 v[2:3], v[0:1], off
	s_or_b64 exec, exec, s[0:1]
	v_cmp_gt_u32_e32 vcc, s2, v12
	s_and_saveexec_b64 s[0:1], vcc
	s_cbranch_execz .LBB2236_26
.LBB2236_35:
	s_waitcnt lgkmcnt(2)
	global_store_dwordx2 v[2:3], v[8:9], off offset:2048
	s_or_b64 exec, exec, s[0:1]
	v_cmp_gt_u32_e32 vcc, s2, v11
	s_and_saveexec_b64 s[0:1], vcc
	s_cbranch_execnz .LBB2236_27
	s_branch .LBB2236_28
	.section	.rodata,"a",@progbits
	.p2align	6, 0x0
	.amdhsa_kernel _ZN7rocprim17ROCPRIM_400000_NS6detail17trampoline_kernelINS0_14default_configENS1_38merge_sort_block_merge_config_selectorImNS0_10empty_typeEEEZZNS1_27merge_sort_block_merge_implIS3_PmPS5_jNS1_19radix_merge_compareILb1ELb0EmNS0_19identity_decomposerEEEEE10hipError_tT0_T1_T2_jT3_P12ihipStream_tbPNSt15iterator_traitsISE_E10value_typeEPNSK_ISF_E10value_typeEPSG_NS1_7vsmem_tEENKUlT_SE_SF_SG_E_clIS8_S8_S9_S9_EESD_ST_SE_SF_SG_EUlST_E0_NS1_11comp_targetILNS1_3genE4ELNS1_11target_archE910ELNS1_3gpuE8ELNS1_3repE0EEENS1_38merge_mergepath_config_static_selectorELNS0_4arch9wavefront6targetE1EEEvSF_
		.amdhsa_group_segment_fixed_size 8448
		.amdhsa_private_segment_fixed_size 0
		.amdhsa_kernarg_size 320
		.amdhsa_user_sgpr_count 6
		.amdhsa_user_sgpr_private_segment_buffer 1
		.amdhsa_user_sgpr_dispatch_ptr 0
		.amdhsa_user_sgpr_queue_ptr 0
		.amdhsa_user_sgpr_kernarg_segment_ptr 1
		.amdhsa_user_sgpr_dispatch_id 0
		.amdhsa_user_sgpr_flat_scratch_init 0
		.amdhsa_user_sgpr_kernarg_preload_length 0
		.amdhsa_user_sgpr_kernarg_preload_offset 0
		.amdhsa_user_sgpr_private_segment_size 0
		.amdhsa_uses_dynamic_stack 0
		.amdhsa_system_sgpr_private_segment_wavefront_offset 0
		.amdhsa_system_sgpr_workgroup_id_x 1
		.amdhsa_system_sgpr_workgroup_id_y 1
		.amdhsa_system_sgpr_workgroup_id_z 1
		.amdhsa_system_sgpr_workgroup_info 0
		.amdhsa_system_vgpr_workitem_id 0
		.amdhsa_next_free_vgpr 21
		.amdhsa_next_free_sgpr 23
		.amdhsa_accum_offset 24
		.amdhsa_reserve_vcc 1
		.amdhsa_reserve_flat_scratch 0
		.amdhsa_float_round_mode_32 0
		.amdhsa_float_round_mode_16_64 0
		.amdhsa_float_denorm_mode_32 3
		.amdhsa_float_denorm_mode_16_64 3
		.amdhsa_dx10_clamp 1
		.amdhsa_ieee_mode 1
		.amdhsa_fp16_overflow 0
		.amdhsa_tg_split 0
		.amdhsa_exception_fp_ieee_invalid_op 0
		.amdhsa_exception_fp_denorm_src 0
		.amdhsa_exception_fp_ieee_div_zero 0
		.amdhsa_exception_fp_ieee_overflow 0
		.amdhsa_exception_fp_ieee_underflow 0
		.amdhsa_exception_fp_ieee_inexact 0
		.amdhsa_exception_int_div_zero 0
	.end_amdhsa_kernel
	.section	.text._ZN7rocprim17ROCPRIM_400000_NS6detail17trampoline_kernelINS0_14default_configENS1_38merge_sort_block_merge_config_selectorImNS0_10empty_typeEEEZZNS1_27merge_sort_block_merge_implIS3_PmPS5_jNS1_19radix_merge_compareILb1ELb0EmNS0_19identity_decomposerEEEEE10hipError_tT0_T1_T2_jT3_P12ihipStream_tbPNSt15iterator_traitsISE_E10value_typeEPNSK_ISF_E10value_typeEPSG_NS1_7vsmem_tEENKUlT_SE_SF_SG_E_clIS8_S8_S9_S9_EESD_ST_SE_SF_SG_EUlST_E0_NS1_11comp_targetILNS1_3genE4ELNS1_11target_archE910ELNS1_3gpuE8ELNS1_3repE0EEENS1_38merge_mergepath_config_static_selectorELNS0_4arch9wavefront6targetE1EEEvSF_,"axG",@progbits,_ZN7rocprim17ROCPRIM_400000_NS6detail17trampoline_kernelINS0_14default_configENS1_38merge_sort_block_merge_config_selectorImNS0_10empty_typeEEEZZNS1_27merge_sort_block_merge_implIS3_PmPS5_jNS1_19radix_merge_compareILb1ELb0EmNS0_19identity_decomposerEEEEE10hipError_tT0_T1_T2_jT3_P12ihipStream_tbPNSt15iterator_traitsISE_E10value_typeEPNSK_ISF_E10value_typeEPSG_NS1_7vsmem_tEENKUlT_SE_SF_SG_E_clIS8_S8_S9_S9_EESD_ST_SE_SF_SG_EUlST_E0_NS1_11comp_targetILNS1_3genE4ELNS1_11target_archE910ELNS1_3gpuE8ELNS1_3repE0EEENS1_38merge_mergepath_config_static_selectorELNS0_4arch9wavefront6targetE1EEEvSF_,comdat
.Lfunc_end2236:
	.size	_ZN7rocprim17ROCPRIM_400000_NS6detail17trampoline_kernelINS0_14default_configENS1_38merge_sort_block_merge_config_selectorImNS0_10empty_typeEEEZZNS1_27merge_sort_block_merge_implIS3_PmPS5_jNS1_19radix_merge_compareILb1ELb0EmNS0_19identity_decomposerEEEEE10hipError_tT0_T1_T2_jT3_P12ihipStream_tbPNSt15iterator_traitsISE_E10value_typeEPNSK_ISF_E10value_typeEPSG_NS1_7vsmem_tEENKUlT_SE_SF_SG_E_clIS8_S8_S9_S9_EESD_ST_SE_SF_SG_EUlST_E0_NS1_11comp_targetILNS1_3genE4ELNS1_11target_archE910ELNS1_3gpuE8ELNS1_3repE0EEENS1_38merge_mergepath_config_static_selectorELNS0_4arch9wavefront6targetE1EEEvSF_, .Lfunc_end2236-_ZN7rocprim17ROCPRIM_400000_NS6detail17trampoline_kernelINS0_14default_configENS1_38merge_sort_block_merge_config_selectorImNS0_10empty_typeEEEZZNS1_27merge_sort_block_merge_implIS3_PmPS5_jNS1_19radix_merge_compareILb1ELb0EmNS0_19identity_decomposerEEEEE10hipError_tT0_T1_T2_jT3_P12ihipStream_tbPNSt15iterator_traitsISE_E10value_typeEPNSK_ISF_E10value_typeEPSG_NS1_7vsmem_tEENKUlT_SE_SF_SG_E_clIS8_S8_S9_S9_EESD_ST_SE_SF_SG_EUlST_E0_NS1_11comp_targetILNS1_3genE4ELNS1_11target_archE910ELNS1_3gpuE8ELNS1_3repE0EEENS1_38merge_mergepath_config_static_selectorELNS0_4arch9wavefront6targetE1EEEvSF_
                                        ; -- End function
	.section	.AMDGPU.csdata,"",@progbits
; Kernel info:
; codeLenInByte = 2180
; NumSgprs: 27
; NumVgprs: 21
; NumAgprs: 0
; TotalNumVgprs: 21
; ScratchSize: 0
; MemoryBound: 0
; FloatMode: 240
; IeeeMode: 1
; LDSByteSize: 8448 bytes/workgroup (compile time only)
; SGPRBlocks: 3
; VGPRBlocks: 2
; NumSGPRsForWavesPerEU: 27
; NumVGPRsForWavesPerEU: 21
; AccumOffset: 24
; Occupancy: 7
; WaveLimiterHint : 1
; COMPUTE_PGM_RSRC2:SCRATCH_EN: 0
; COMPUTE_PGM_RSRC2:USER_SGPR: 6
; COMPUTE_PGM_RSRC2:TRAP_HANDLER: 0
; COMPUTE_PGM_RSRC2:TGID_X_EN: 1
; COMPUTE_PGM_RSRC2:TGID_Y_EN: 1
; COMPUTE_PGM_RSRC2:TGID_Z_EN: 1
; COMPUTE_PGM_RSRC2:TIDIG_COMP_CNT: 0
; COMPUTE_PGM_RSRC3_GFX90A:ACCUM_OFFSET: 5
; COMPUTE_PGM_RSRC3_GFX90A:TG_SPLIT: 0
	.section	.text._ZN7rocprim17ROCPRIM_400000_NS6detail17trampoline_kernelINS0_14default_configENS1_38merge_sort_block_merge_config_selectorImNS0_10empty_typeEEEZZNS1_27merge_sort_block_merge_implIS3_PmPS5_jNS1_19radix_merge_compareILb1ELb0EmNS0_19identity_decomposerEEEEE10hipError_tT0_T1_T2_jT3_P12ihipStream_tbPNSt15iterator_traitsISE_E10value_typeEPNSK_ISF_E10value_typeEPSG_NS1_7vsmem_tEENKUlT_SE_SF_SG_E_clIS8_S8_S9_S9_EESD_ST_SE_SF_SG_EUlST_E0_NS1_11comp_targetILNS1_3genE3ELNS1_11target_archE908ELNS1_3gpuE7ELNS1_3repE0EEENS1_38merge_mergepath_config_static_selectorELNS0_4arch9wavefront6targetE1EEEvSF_,"axG",@progbits,_ZN7rocprim17ROCPRIM_400000_NS6detail17trampoline_kernelINS0_14default_configENS1_38merge_sort_block_merge_config_selectorImNS0_10empty_typeEEEZZNS1_27merge_sort_block_merge_implIS3_PmPS5_jNS1_19radix_merge_compareILb1ELb0EmNS0_19identity_decomposerEEEEE10hipError_tT0_T1_T2_jT3_P12ihipStream_tbPNSt15iterator_traitsISE_E10value_typeEPNSK_ISF_E10value_typeEPSG_NS1_7vsmem_tEENKUlT_SE_SF_SG_E_clIS8_S8_S9_S9_EESD_ST_SE_SF_SG_EUlST_E0_NS1_11comp_targetILNS1_3genE3ELNS1_11target_archE908ELNS1_3gpuE7ELNS1_3repE0EEENS1_38merge_mergepath_config_static_selectorELNS0_4arch9wavefront6targetE1EEEvSF_,comdat
	.protected	_ZN7rocprim17ROCPRIM_400000_NS6detail17trampoline_kernelINS0_14default_configENS1_38merge_sort_block_merge_config_selectorImNS0_10empty_typeEEEZZNS1_27merge_sort_block_merge_implIS3_PmPS5_jNS1_19radix_merge_compareILb1ELb0EmNS0_19identity_decomposerEEEEE10hipError_tT0_T1_T2_jT3_P12ihipStream_tbPNSt15iterator_traitsISE_E10value_typeEPNSK_ISF_E10value_typeEPSG_NS1_7vsmem_tEENKUlT_SE_SF_SG_E_clIS8_S8_S9_S9_EESD_ST_SE_SF_SG_EUlST_E0_NS1_11comp_targetILNS1_3genE3ELNS1_11target_archE908ELNS1_3gpuE7ELNS1_3repE0EEENS1_38merge_mergepath_config_static_selectorELNS0_4arch9wavefront6targetE1EEEvSF_ ; -- Begin function _ZN7rocprim17ROCPRIM_400000_NS6detail17trampoline_kernelINS0_14default_configENS1_38merge_sort_block_merge_config_selectorImNS0_10empty_typeEEEZZNS1_27merge_sort_block_merge_implIS3_PmPS5_jNS1_19radix_merge_compareILb1ELb0EmNS0_19identity_decomposerEEEEE10hipError_tT0_T1_T2_jT3_P12ihipStream_tbPNSt15iterator_traitsISE_E10value_typeEPNSK_ISF_E10value_typeEPSG_NS1_7vsmem_tEENKUlT_SE_SF_SG_E_clIS8_S8_S9_S9_EESD_ST_SE_SF_SG_EUlST_E0_NS1_11comp_targetILNS1_3genE3ELNS1_11target_archE908ELNS1_3gpuE7ELNS1_3repE0EEENS1_38merge_mergepath_config_static_selectorELNS0_4arch9wavefront6targetE1EEEvSF_
	.globl	_ZN7rocprim17ROCPRIM_400000_NS6detail17trampoline_kernelINS0_14default_configENS1_38merge_sort_block_merge_config_selectorImNS0_10empty_typeEEEZZNS1_27merge_sort_block_merge_implIS3_PmPS5_jNS1_19radix_merge_compareILb1ELb0EmNS0_19identity_decomposerEEEEE10hipError_tT0_T1_T2_jT3_P12ihipStream_tbPNSt15iterator_traitsISE_E10value_typeEPNSK_ISF_E10value_typeEPSG_NS1_7vsmem_tEENKUlT_SE_SF_SG_E_clIS8_S8_S9_S9_EESD_ST_SE_SF_SG_EUlST_E0_NS1_11comp_targetILNS1_3genE3ELNS1_11target_archE908ELNS1_3gpuE7ELNS1_3repE0EEENS1_38merge_mergepath_config_static_selectorELNS0_4arch9wavefront6targetE1EEEvSF_
	.p2align	8
	.type	_ZN7rocprim17ROCPRIM_400000_NS6detail17trampoline_kernelINS0_14default_configENS1_38merge_sort_block_merge_config_selectorImNS0_10empty_typeEEEZZNS1_27merge_sort_block_merge_implIS3_PmPS5_jNS1_19radix_merge_compareILb1ELb0EmNS0_19identity_decomposerEEEEE10hipError_tT0_T1_T2_jT3_P12ihipStream_tbPNSt15iterator_traitsISE_E10value_typeEPNSK_ISF_E10value_typeEPSG_NS1_7vsmem_tEENKUlT_SE_SF_SG_E_clIS8_S8_S9_S9_EESD_ST_SE_SF_SG_EUlST_E0_NS1_11comp_targetILNS1_3genE3ELNS1_11target_archE908ELNS1_3gpuE7ELNS1_3repE0EEENS1_38merge_mergepath_config_static_selectorELNS0_4arch9wavefront6targetE1EEEvSF_,@function
_ZN7rocprim17ROCPRIM_400000_NS6detail17trampoline_kernelINS0_14default_configENS1_38merge_sort_block_merge_config_selectorImNS0_10empty_typeEEEZZNS1_27merge_sort_block_merge_implIS3_PmPS5_jNS1_19radix_merge_compareILb1ELb0EmNS0_19identity_decomposerEEEEE10hipError_tT0_T1_T2_jT3_P12ihipStream_tbPNSt15iterator_traitsISE_E10value_typeEPNSK_ISF_E10value_typeEPSG_NS1_7vsmem_tEENKUlT_SE_SF_SG_E_clIS8_S8_S9_S9_EESD_ST_SE_SF_SG_EUlST_E0_NS1_11comp_targetILNS1_3genE3ELNS1_11target_archE908ELNS1_3gpuE7ELNS1_3repE0EEENS1_38merge_mergepath_config_static_selectorELNS0_4arch9wavefront6targetE1EEEvSF_: ; @_ZN7rocprim17ROCPRIM_400000_NS6detail17trampoline_kernelINS0_14default_configENS1_38merge_sort_block_merge_config_selectorImNS0_10empty_typeEEEZZNS1_27merge_sort_block_merge_implIS3_PmPS5_jNS1_19radix_merge_compareILb1ELb0EmNS0_19identity_decomposerEEEEE10hipError_tT0_T1_T2_jT3_P12ihipStream_tbPNSt15iterator_traitsISE_E10value_typeEPNSK_ISF_E10value_typeEPSG_NS1_7vsmem_tEENKUlT_SE_SF_SG_E_clIS8_S8_S9_S9_EESD_ST_SE_SF_SG_EUlST_E0_NS1_11comp_targetILNS1_3genE3ELNS1_11target_archE908ELNS1_3gpuE7ELNS1_3repE0EEENS1_38merge_mergepath_config_static_selectorELNS0_4arch9wavefront6targetE1EEEvSF_
; %bb.0:
	.section	.rodata,"a",@progbits
	.p2align	6, 0x0
	.amdhsa_kernel _ZN7rocprim17ROCPRIM_400000_NS6detail17trampoline_kernelINS0_14default_configENS1_38merge_sort_block_merge_config_selectorImNS0_10empty_typeEEEZZNS1_27merge_sort_block_merge_implIS3_PmPS5_jNS1_19radix_merge_compareILb1ELb0EmNS0_19identity_decomposerEEEEE10hipError_tT0_T1_T2_jT3_P12ihipStream_tbPNSt15iterator_traitsISE_E10value_typeEPNSK_ISF_E10value_typeEPSG_NS1_7vsmem_tEENKUlT_SE_SF_SG_E_clIS8_S8_S9_S9_EESD_ST_SE_SF_SG_EUlST_E0_NS1_11comp_targetILNS1_3genE3ELNS1_11target_archE908ELNS1_3gpuE7ELNS1_3repE0EEENS1_38merge_mergepath_config_static_selectorELNS0_4arch9wavefront6targetE1EEEvSF_
		.amdhsa_group_segment_fixed_size 0
		.amdhsa_private_segment_fixed_size 0
		.amdhsa_kernarg_size 64
		.amdhsa_user_sgpr_count 6
		.amdhsa_user_sgpr_private_segment_buffer 1
		.amdhsa_user_sgpr_dispatch_ptr 0
		.amdhsa_user_sgpr_queue_ptr 0
		.amdhsa_user_sgpr_kernarg_segment_ptr 1
		.amdhsa_user_sgpr_dispatch_id 0
		.amdhsa_user_sgpr_flat_scratch_init 0
		.amdhsa_user_sgpr_kernarg_preload_length 0
		.amdhsa_user_sgpr_kernarg_preload_offset 0
		.amdhsa_user_sgpr_private_segment_size 0
		.amdhsa_uses_dynamic_stack 0
		.amdhsa_system_sgpr_private_segment_wavefront_offset 0
		.amdhsa_system_sgpr_workgroup_id_x 1
		.amdhsa_system_sgpr_workgroup_id_y 0
		.amdhsa_system_sgpr_workgroup_id_z 0
		.amdhsa_system_sgpr_workgroup_info 0
		.amdhsa_system_vgpr_workitem_id 0
		.amdhsa_next_free_vgpr 1
		.amdhsa_next_free_sgpr 0
		.amdhsa_accum_offset 4
		.amdhsa_reserve_vcc 0
		.amdhsa_reserve_flat_scratch 0
		.amdhsa_float_round_mode_32 0
		.amdhsa_float_round_mode_16_64 0
		.amdhsa_float_denorm_mode_32 3
		.amdhsa_float_denorm_mode_16_64 3
		.amdhsa_dx10_clamp 1
		.amdhsa_ieee_mode 1
		.amdhsa_fp16_overflow 0
		.amdhsa_tg_split 0
		.amdhsa_exception_fp_ieee_invalid_op 0
		.amdhsa_exception_fp_denorm_src 0
		.amdhsa_exception_fp_ieee_div_zero 0
		.amdhsa_exception_fp_ieee_overflow 0
		.amdhsa_exception_fp_ieee_underflow 0
		.amdhsa_exception_fp_ieee_inexact 0
		.amdhsa_exception_int_div_zero 0
	.end_amdhsa_kernel
	.section	.text._ZN7rocprim17ROCPRIM_400000_NS6detail17trampoline_kernelINS0_14default_configENS1_38merge_sort_block_merge_config_selectorImNS0_10empty_typeEEEZZNS1_27merge_sort_block_merge_implIS3_PmPS5_jNS1_19radix_merge_compareILb1ELb0EmNS0_19identity_decomposerEEEEE10hipError_tT0_T1_T2_jT3_P12ihipStream_tbPNSt15iterator_traitsISE_E10value_typeEPNSK_ISF_E10value_typeEPSG_NS1_7vsmem_tEENKUlT_SE_SF_SG_E_clIS8_S8_S9_S9_EESD_ST_SE_SF_SG_EUlST_E0_NS1_11comp_targetILNS1_3genE3ELNS1_11target_archE908ELNS1_3gpuE7ELNS1_3repE0EEENS1_38merge_mergepath_config_static_selectorELNS0_4arch9wavefront6targetE1EEEvSF_,"axG",@progbits,_ZN7rocprim17ROCPRIM_400000_NS6detail17trampoline_kernelINS0_14default_configENS1_38merge_sort_block_merge_config_selectorImNS0_10empty_typeEEEZZNS1_27merge_sort_block_merge_implIS3_PmPS5_jNS1_19radix_merge_compareILb1ELb0EmNS0_19identity_decomposerEEEEE10hipError_tT0_T1_T2_jT3_P12ihipStream_tbPNSt15iterator_traitsISE_E10value_typeEPNSK_ISF_E10value_typeEPSG_NS1_7vsmem_tEENKUlT_SE_SF_SG_E_clIS8_S8_S9_S9_EESD_ST_SE_SF_SG_EUlST_E0_NS1_11comp_targetILNS1_3genE3ELNS1_11target_archE908ELNS1_3gpuE7ELNS1_3repE0EEENS1_38merge_mergepath_config_static_selectorELNS0_4arch9wavefront6targetE1EEEvSF_,comdat
.Lfunc_end2237:
	.size	_ZN7rocprim17ROCPRIM_400000_NS6detail17trampoline_kernelINS0_14default_configENS1_38merge_sort_block_merge_config_selectorImNS0_10empty_typeEEEZZNS1_27merge_sort_block_merge_implIS3_PmPS5_jNS1_19radix_merge_compareILb1ELb0EmNS0_19identity_decomposerEEEEE10hipError_tT0_T1_T2_jT3_P12ihipStream_tbPNSt15iterator_traitsISE_E10value_typeEPNSK_ISF_E10value_typeEPSG_NS1_7vsmem_tEENKUlT_SE_SF_SG_E_clIS8_S8_S9_S9_EESD_ST_SE_SF_SG_EUlST_E0_NS1_11comp_targetILNS1_3genE3ELNS1_11target_archE908ELNS1_3gpuE7ELNS1_3repE0EEENS1_38merge_mergepath_config_static_selectorELNS0_4arch9wavefront6targetE1EEEvSF_, .Lfunc_end2237-_ZN7rocprim17ROCPRIM_400000_NS6detail17trampoline_kernelINS0_14default_configENS1_38merge_sort_block_merge_config_selectorImNS0_10empty_typeEEEZZNS1_27merge_sort_block_merge_implIS3_PmPS5_jNS1_19radix_merge_compareILb1ELb0EmNS0_19identity_decomposerEEEEE10hipError_tT0_T1_T2_jT3_P12ihipStream_tbPNSt15iterator_traitsISE_E10value_typeEPNSK_ISF_E10value_typeEPSG_NS1_7vsmem_tEENKUlT_SE_SF_SG_E_clIS8_S8_S9_S9_EESD_ST_SE_SF_SG_EUlST_E0_NS1_11comp_targetILNS1_3genE3ELNS1_11target_archE908ELNS1_3gpuE7ELNS1_3repE0EEENS1_38merge_mergepath_config_static_selectorELNS0_4arch9wavefront6targetE1EEEvSF_
                                        ; -- End function
	.section	.AMDGPU.csdata,"",@progbits
; Kernel info:
; codeLenInByte = 0
; NumSgprs: 4
; NumVgprs: 0
; NumAgprs: 0
; TotalNumVgprs: 0
; ScratchSize: 0
; MemoryBound: 0
; FloatMode: 240
; IeeeMode: 1
; LDSByteSize: 0 bytes/workgroup (compile time only)
; SGPRBlocks: 0
; VGPRBlocks: 0
; NumSGPRsForWavesPerEU: 4
; NumVGPRsForWavesPerEU: 1
; AccumOffset: 4
; Occupancy: 8
; WaveLimiterHint : 0
; COMPUTE_PGM_RSRC2:SCRATCH_EN: 0
; COMPUTE_PGM_RSRC2:USER_SGPR: 6
; COMPUTE_PGM_RSRC2:TRAP_HANDLER: 0
; COMPUTE_PGM_RSRC2:TGID_X_EN: 1
; COMPUTE_PGM_RSRC2:TGID_Y_EN: 0
; COMPUTE_PGM_RSRC2:TGID_Z_EN: 0
; COMPUTE_PGM_RSRC2:TIDIG_COMP_CNT: 0
; COMPUTE_PGM_RSRC3_GFX90A:ACCUM_OFFSET: 0
; COMPUTE_PGM_RSRC3_GFX90A:TG_SPLIT: 0
	.section	.text._ZN7rocprim17ROCPRIM_400000_NS6detail17trampoline_kernelINS0_14default_configENS1_38merge_sort_block_merge_config_selectorImNS0_10empty_typeEEEZZNS1_27merge_sort_block_merge_implIS3_PmPS5_jNS1_19radix_merge_compareILb1ELb0EmNS0_19identity_decomposerEEEEE10hipError_tT0_T1_T2_jT3_P12ihipStream_tbPNSt15iterator_traitsISE_E10value_typeEPNSK_ISF_E10value_typeEPSG_NS1_7vsmem_tEENKUlT_SE_SF_SG_E_clIS8_S8_S9_S9_EESD_ST_SE_SF_SG_EUlST_E0_NS1_11comp_targetILNS1_3genE2ELNS1_11target_archE906ELNS1_3gpuE6ELNS1_3repE0EEENS1_38merge_mergepath_config_static_selectorELNS0_4arch9wavefront6targetE1EEEvSF_,"axG",@progbits,_ZN7rocprim17ROCPRIM_400000_NS6detail17trampoline_kernelINS0_14default_configENS1_38merge_sort_block_merge_config_selectorImNS0_10empty_typeEEEZZNS1_27merge_sort_block_merge_implIS3_PmPS5_jNS1_19radix_merge_compareILb1ELb0EmNS0_19identity_decomposerEEEEE10hipError_tT0_T1_T2_jT3_P12ihipStream_tbPNSt15iterator_traitsISE_E10value_typeEPNSK_ISF_E10value_typeEPSG_NS1_7vsmem_tEENKUlT_SE_SF_SG_E_clIS8_S8_S9_S9_EESD_ST_SE_SF_SG_EUlST_E0_NS1_11comp_targetILNS1_3genE2ELNS1_11target_archE906ELNS1_3gpuE6ELNS1_3repE0EEENS1_38merge_mergepath_config_static_selectorELNS0_4arch9wavefront6targetE1EEEvSF_,comdat
	.protected	_ZN7rocprim17ROCPRIM_400000_NS6detail17trampoline_kernelINS0_14default_configENS1_38merge_sort_block_merge_config_selectorImNS0_10empty_typeEEEZZNS1_27merge_sort_block_merge_implIS3_PmPS5_jNS1_19radix_merge_compareILb1ELb0EmNS0_19identity_decomposerEEEEE10hipError_tT0_T1_T2_jT3_P12ihipStream_tbPNSt15iterator_traitsISE_E10value_typeEPNSK_ISF_E10value_typeEPSG_NS1_7vsmem_tEENKUlT_SE_SF_SG_E_clIS8_S8_S9_S9_EESD_ST_SE_SF_SG_EUlST_E0_NS1_11comp_targetILNS1_3genE2ELNS1_11target_archE906ELNS1_3gpuE6ELNS1_3repE0EEENS1_38merge_mergepath_config_static_selectorELNS0_4arch9wavefront6targetE1EEEvSF_ ; -- Begin function _ZN7rocprim17ROCPRIM_400000_NS6detail17trampoline_kernelINS0_14default_configENS1_38merge_sort_block_merge_config_selectorImNS0_10empty_typeEEEZZNS1_27merge_sort_block_merge_implIS3_PmPS5_jNS1_19radix_merge_compareILb1ELb0EmNS0_19identity_decomposerEEEEE10hipError_tT0_T1_T2_jT3_P12ihipStream_tbPNSt15iterator_traitsISE_E10value_typeEPNSK_ISF_E10value_typeEPSG_NS1_7vsmem_tEENKUlT_SE_SF_SG_E_clIS8_S8_S9_S9_EESD_ST_SE_SF_SG_EUlST_E0_NS1_11comp_targetILNS1_3genE2ELNS1_11target_archE906ELNS1_3gpuE6ELNS1_3repE0EEENS1_38merge_mergepath_config_static_selectorELNS0_4arch9wavefront6targetE1EEEvSF_
	.globl	_ZN7rocprim17ROCPRIM_400000_NS6detail17trampoline_kernelINS0_14default_configENS1_38merge_sort_block_merge_config_selectorImNS0_10empty_typeEEEZZNS1_27merge_sort_block_merge_implIS3_PmPS5_jNS1_19radix_merge_compareILb1ELb0EmNS0_19identity_decomposerEEEEE10hipError_tT0_T1_T2_jT3_P12ihipStream_tbPNSt15iterator_traitsISE_E10value_typeEPNSK_ISF_E10value_typeEPSG_NS1_7vsmem_tEENKUlT_SE_SF_SG_E_clIS8_S8_S9_S9_EESD_ST_SE_SF_SG_EUlST_E0_NS1_11comp_targetILNS1_3genE2ELNS1_11target_archE906ELNS1_3gpuE6ELNS1_3repE0EEENS1_38merge_mergepath_config_static_selectorELNS0_4arch9wavefront6targetE1EEEvSF_
	.p2align	8
	.type	_ZN7rocprim17ROCPRIM_400000_NS6detail17trampoline_kernelINS0_14default_configENS1_38merge_sort_block_merge_config_selectorImNS0_10empty_typeEEEZZNS1_27merge_sort_block_merge_implIS3_PmPS5_jNS1_19radix_merge_compareILb1ELb0EmNS0_19identity_decomposerEEEEE10hipError_tT0_T1_T2_jT3_P12ihipStream_tbPNSt15iterator_traitsISE_E10value_typeEPNSK_ISF_E10value_typeEPSG_NS1_7vsmem_tEENKUlT_SE_SF_SG_E_clIS8_S8_S9_S9_EESD_ST_SE_SF_SG_EUlST_E0_NS1_11comp_targetILNS1_3genE2ELNS1_11target_archE906ELNS1_3gpuE6ELNS1_3repE0EEENS1_38merge_mergepath_config_static_selectorELNS0_4arch9wavefront6targetE1EEEvSF_,@function
_ZN7rocprim17ROCPRIM_400000_NS6detail17trampoline_kernelINS0_14default_configENS1_38merge_sort_block_merge_config_selectorImNS0_10empty_typeEEEZZNS1_27merge_sort_block_merge_implIS3_PmPS5_jNS1_19radix_merge_compareILb1ELb0EmNS0_19identity_decomposerEEEEE10hipError_tT0_T1_T2_jT3_P12ihipStream_tbPNSt15iterator_traitsISE_E10value_typeEPNSK_ISF_E10value_typeEPSG_NS1_7vsmem_tEENKUlT_SE_SF_SG_E_clIS8_S8_S9_S9_EESD_ST_SE_SF_SG_EUlST_E0_NS1_11comp_targetILNS1_3genE2ELNS1_11target_archE906ELNS1_3gpuE6ELNS1_3repE0EEENS1_38merge_mergepath_config_static_selectorELNS0_4arch9wavefront6targetE1EEEvSF_: ; @_ZN7rocprim17ROCPRIM_400000_NS6detail17trampoline_kernelINS0_14default_configENS1_38merge_sort_block_merge_config_selectorImNS0_10empty_typeEEEZZNS1_27merge_sort_block_merge_implIS3_PmPS5_jNS1_19radix_merge_compareILb1ELb0EmNS0_19identity_decomposerEEEEE10hipError_tT0_T1_T2_jT3_P12ihipStream_tbPNSt15iterator_traitsISE_E10value_typeEPNSK_ISF_E10value_typeEPSG_NS1_7vsmem_tEENKUlT_SE_SF_SG_E_clIS8_S8_S9_S9_EESD_ST_SE_SF_SG_EUlST_E0_NS1_11comp_targetILNS1_3genE2ELNS1_11target_archE906ELNS1_3gpuE6ELNS1_3repE0EEENS1_38merge_mergepath_config_static_selectorELNS0_4arch9wavefront6targetE1EEEvSF_
; %bb.0:
	.section	.rodata,"a",@progbits
	.p2align	6, 0x0
	.amdhsa_kernel _ZN7rocprim17ROCPRIM_400000_NS6detail17trampoline_kernelINS0_14default_configENS1_38merge_sort_block_merge_config_selectorImNS0_10empty_typeEEEZZNS1_27merge_sort_block_merge_implIS3_PmPS5_jNS1_19radix_merge_compareILb1ELb0EmNS0_19identity_decomposerEEEEE10hipError_tT0_T1_T2_jT3_P12ihipStream_tbPNSt15iterator_traitsISE_E10value_typeEPNSK_ISF_E10value_typeEPSG_NS1_7vsmem_tEENKUlT_SE_SF_SG_E_clIS8_S8_S9_S9_EESD_ST_SE_SF_SG_EUlST_E0_NS1_11comp_targetILNS1_3genE2ELNS1_11target_archE906ELNS1_3gpuE6ELNS1_3repE0EEENS1_38merge_mergepath_config_static_selectorELNS0_4arch9wavefront6targetE1EEEvSF_
		.amdhsa_group_segment_fixed_size 0
		.amdhsa_private_segment_fixed_size 0
		.amdhsa_kernarg_size 64
		.amdhsa_user_sgpr_count 6
		.amdhsa_user_sgpr_private_segment_buffer 1
		.amdhsa_user_sgpr_dispatch_ptr 0
		.amdhsa_user_sgpr_queue_ptr 0
		.amdhsa_user_sgpr_kernarg_segment_ptr 1
		.amdhsa_user_sgpr_dispatch_id 0
		.amdhsa_user_sgpr_flat_scratch_init 0
		.amdhsa_user_sgpr_kernarg_preload_length 0
		.amdhsa_user_sgpr_kernarg_preload_offset 0
		.amdhsa_user_sgpr_private_segment_size 0
		.amdhsa_uses_dynamic_stack 0
		.amdhsa_system_sgpr_private_segment_wavefront_offset 0
		.amdhsa_system_sgpr_workgroup_id_x 1
		.amdhsa_system_sgpr_workgroup_id_y 0
		.amdhsa_system_sgpr_workgroup_id_z 0
		.amdhsa_system_sgpr_workgroup_info 0
		.amdhsa_system_vgpr_workitem_id 0
		.amdhsa_next_free_vgpr 1
		.amdhsa_next_free_sgpr 0
		.amdhsa_accum_offset 4
		.amdhsa_reserve_vcc 0
		.amdhsa_reserve_flat_scratch 0
		.amdhsa_float_round_mode_32 0
		.amdhsa_float_round_mode_16_64 0
		.amdhsa_float_denorm_mode_32 3
		.amdhsa_float_denorm_mode_16_64 3
		.amdhsa_dx10_clamp 1
		.amdhsa_ieee_mode 1
		.amdhsa_fp16_overflow 0
		.amdhsa_tg_split 0
		.amdhsa_exception_fp_ieee_invalid_op 0
		.amdhsa_exception_fp_denorm_src 0
		.amdhsa_exception_fp_ieee_div_zero 0
		.amdhsa_exception_fp_ieee_overflow 0
		.amdhsa_exception_fp_ieee_underflow 0
		.amdhsa_exception_fp_ieee_inexact 0
		.amdhsa_exception_int_div_zero 0
	.end_amdhsa_kernel
	.section	.text._ZN7rocprim17ROCPRIM_400000_NS6detail17trampoline_kernelINS0_14default_configENS1_38merge_sort_block_merge_config_selectorImNS0_10empty_typeEEEZZNS1_27merge_sort_block_merge_implIS3_PmPS5_jNS1_19radix_merge_compareILb1ELb0EmNS0_19identity_decomposerEEEEE10hipError_tT0_T1_T2_jT3_P12ihipStream_tbPNSt15iterator_traitsISE_E10value_typeEPNSK_ISF_E10value_typeEPSG_NS1_7vsmem_tEENKUlT_SE_SF_SG_E_clIS8_S8_S9_S9_EESD_ST_SE_SF_SG_EUlST_E0_NS1_11comp_targetILNS1_3genE2ELNS1_11target_archE906ELNS1_3gpuE6ELNS1_3repE0EEENS1_38merge_mergepath_config_static_selectorELNS0_4arch9wavefront6targetE1EEEvSF_,"axG",@progbits,_ZN7rocprim17ROCPRIM_400000_NS6detail17trampoline_kernelINS0_14default_configENS1_38merge_sort_block_merge_config_selectorImNS0_10empty_typeEEEZZNS1_27merge_sort_block_merge_implIS3_PmPS5_jNS1_19radix_merge_compareILb1ELb0EmNS0_19identity_decomposerEEEEE10hipError_tT0_T1_T2_jT3_P12ihipStream_tbPNSt15iterator_traitsISE_E10value_typeEPNSK_ISF_E10value_typeEPSG_NS1_7vsmem_tEENKUlT_SE_SF_SG_E_clIS8_S8_S9_S9_EESD_ST_SE_SF_SG_EUlST_E0_NS1_11comp_targetILNS1_3genE2ELNS1_11target_archE906ELNS1_3gpuE6ELNS1_3repE0EEENS1_38merge_mergepath_config_static_selectorELNS0_4arch9wavefront6targetE1EEEvSF_,comdat
.Lfunc_end2238:
	.size	_ZN7rocprim17ROCPRIM_400000_NS6detail17trampoline_kernelINS0_14default_configENS1_38merge_sort_block_merge_config_selectorImNS0_10empty_typeEEEZZNS1_27merge_sort_block_merge_implIS3_PmPS5_jNS1_19radix_merge_compareILb1ELb0EmNS0_19identity_decomposerEEEEE10hipError_tT0_T1_T2_jT3_P12ihipStream_tbPNSt15iterator_traitsISE_E10value_typeEPNSK_ISF_E10value_typeEPSG_NS1_7vsmem_tEENKUlT_SE_SF_SG_E_clIS8_S8_S9_S9_EESD_ST_SE_SF_SG_EUlST_E0_NS1_11comp_targetILNS1_3genE2ELNS1_11target_archE906ELNS1_3gpuE6ELNS1_3repE0EEENS1_38merge_mergepath_config_static_selectorELNS0_4arch9wavefront6targetE1EEEvSF_, .Lfunc_end2238-_ZN7rocprim17ROCPRIM_400000_NS6detail17trampoline_kernelINS0_14default_configENS1_38merge_sort_block_merge_config_selectorImNS0_10empty_typeEEEZZNS1_27merge_sort_block_merge_implIS3_PmPS5_jNS1_19radix_merge_compareILb1ELb0EmNS0_19identity_decomposerEEEEE10hipError_tT0_T1_T2_jT3_P12ihipStream_tbPNSt15iterator_traitsISE_E10value_typeEPNSK_ISF_E10value_typeEPSG_NS1_7vsmem_tEENKUlT_SE_SF_SG_E_clIS8_S8_S9_S9_EESD_ST_SE_SF_SG_EUlST_E0_NS1_11comp_targetILNS1_3genE2ELNS1_11target_archE906ELNS1_3gpuE6ELNS1_3repE0EEENS1_38merge_mergepath_config_static_selectorELNS0_4arch9wavefront6targetE1EEEvSF_
                                        ; -- End function
	.section	.AMDGPU.csdata,"",@progbits
; Kernel info:
; codeLenInByte = 0
; NumSgprs: 4
; NumVgprs: 0
; NumAgprs: 0
; TotalNumVgprs: 0
; ScratchSize: 0
; MemoryBound: 0
; FloatMode: 240
; IeeeMode: 1
; LDSByteSize: 0 bytes/workgroup (compile time only)
; SGPRBlocks: 0
; VGPRBlocks: 0
; NumSGPRsForWavesPerEU: 4
; NumVGPRsForWavesPerEU: 1
; AccumOffset: 4
; Occupancy: 8
; WaveLimiterHint : 0
; COMPUTE_PGM_RSRC2:SCRATCH_EN: 0
; COMPUTE_PGM_RSRC2:USER_SGPR: 6
; COMPUTE_PGM_RSRC2:TRAP_HANDLER: 0
; COMPUTE_PGM_RSRC2:TGID_X_EN: 1
; COMPUTE_PGM_RSRC2:TGID_Y_EN: 0
; COMPUTE_PGM_RSRC2:TGID_Z_EN: 0
; COMPUTE_PGM_RSRC2:TIDIG_COMP_CNT: 0
; COMPUTE_PGM_RSRC3_GFX90A:ACCUM_OFFSET: 0
; COMPUTE_PGM_RSRC3_GFX90A:TG_SPLIT: 0
	.section	.text._ZN7rocprim17ROCPRIM_400000_NS6detail17trampoline_kernelINS0_14default_configENS1_38merge_sort_block_merge_config_selectorImNS0_10empty_typeEEEZZNS1_27merge_sort_block_merge_implIS3_PmPS5_jNS1_19radix_merge_compareILb1ELb0EmNS0_19identity_decomposerEEEEE10hipError_tT0_T1_T2_jT3_P12ihipStream_tbPNSt15iterator_traitsISE_E10value_typeEPNSK_ISF_E10value_typeEPSG_NS1_7vsmem_tEENKUlT_SE_SF_SG_E_clIS8_S8_S9_S9_EESD_ST_SE_SF_SG_EUlST_E0_NS1_11comp_targetILNS1_3genE9ELNS1_11target_archE1100ELNS1_3gpuE3ELNS1_3repE0EEENS1_38merge_mergepath_config_static_selectorELNS0_4arch9wavefront6targetE1EEEvSF_,"axG",@progbits,_ZN7rocprim17ROCPRIM_400000_NS6detail17trampoline_kernelINS0_14default_configENS1_38merge_sort_block_merge_config_selectorImNS0_10empty_typeEEEZZNS1_27merge_sort_block_merge_implIS3_PmPS5_jNS1_19radix_merge_compareILb1ELb0EmNS0_19identity_decomposerEEEEE10hipError_tT0_T1_T2_jT3_P12ihipStream_tbPNSt15iterator_traitsISE_E10value_typeEPNSK_ISF_E10value_typeEPSG_NS1_7vsmem_tEENKUlT_SE_SF_SG_E_clIS8_S8_S9_S9_EESD_ST_SE_SF_SG_EUlST_E0_NS1_11comp_targetILNS1_3genE9ELNS1_11target_archE1100ELNS1_3gpuE3ELNS1_3repE0EEENS1_38merge_mergepath_config_static_selectorELNS0_4arch9wavefront6targetE1EEEvSF_,comdat
	.protected	_ZN7rocprim17ROCPRIM_400000_NS6detail17trampoline_kernelINS0_14default_configENS1_38merge_sort_block_merge_config_selectorImNS0_10empty_typeEEEZZNS1_27merge_sort_block_merge_implIS3_PmPS5_jNS1_19radix_merge_compareILb1ELb0EmNS0_19identity_decomposerEEEEE10hipError_tT0_T1_T2_jT3_P12ihipStream_tbPNSt15iterator_traitsISE_E10value_typeEPNSK_ISF_E10value_typeEPSG_NS1_7vsmem_tEENKUlT_SE_SF_SG_E_clIS8_S8_S9_S9_EESD_ST_SE_SF_SG_EUlST_E0_NS1_11comp_targetILNS1_3genE9ELNS1_11target_archE1100ELNS1_3gpuE3ELNS1_3repE0EEENS1_38merge_mergepath_config_static_selectorELNS0_4arch9wavefront6targetE1EEEvSF_ ; -- Begin function _ZN7rocprim17ROCPRIM_400000_NS6detail17trampoline_kernelINS0_14default_configENS1_38merge_sort_block_merge_config_selectorImNS0_10empty_typeEEEZZNS1_27merge_sort_block_merge_implIS3_PmPS5_jNS1_19radix_merge_compareILb1ELb0EmNS0_19identity_decomposerEEEEE10hipError_tT0_T1_T2_jT3_P12ihipStream_tbPNSt15iterator_traitsISE_E10value_typeEPNSK_ISF_E10value_typeEPSG_NS1_7vsmem_tEENKUlT_SE_SF_SG_E_clIS8_S8_S9_S9_EESD_ST_SE_SF_SG_EUlST_E0_NS1_11comp_targetILNS1_3genE9ELNS1_11target_archE1100ELNS1_3gpuE3ELNS1_3repE0EEENS1_38merge_mergepath_config_static_selectorELNS0_4arch9wavefront6targetE1EEEvSF_
	.globl	_ZN7rocprim17ROCPRIM_400000_NS6detail17trampoline_kernelINS0_14default_configENS1_38merge_sort_block_merge_config_selectorImNS0_10empty_typeEEEZZNS1_27merge_sort_block_merge_implIS3_PmPS5_jNS1_19radix_merge_compareILb1ELb0EmNS0_19identity_decomposerEEEEE10hipError_tT0_T1_T2_jT3_P12ihipStream_tbPNSt15iterator_traitsISE_E10value_typeEPNSK_ISF_E10value_typeEPSG_NS1_7vsmem_tEENKUlT_SE_SF_SG_E_clIS8_S8_S9_S9_EESD_ST_SE_SF_SG_EUlST_E0_NS1_11comp_targetILNS1_3genE9ELNS1_11target_archE1100ELNS1_3gpuE3ELNS1_3repE0EEENS1_38merge_mergepath_config_static_selectorELNS0_4arch9wavefront6targetE1EEEvSF_
	.p2align	8
	.type	_ZN7rocprim17ROCPRIM_400000_NS6detail17trampoline_kernelINS0_14default_configENS1_38merge_sort_block_merge_config_selectorImNS0_10empty_typeEEEZZNS1_27merge_sort_block_merge_implIS3_PmPS5_jNS1_19radix_merge_compareILb1ELb0EmNS0_19identity_decomposerEEEEE10hipError_tT0_T1_T2_jT3_P12ihipStream_tbPNSt15iterator_traitsISE_E10value_typeEPNSK_ISF_E10value_typeEPSG_NS1_7vsmem_tEENKUlT_SE_SF_SG_E_clIS8_S8_S9_S9_EESD_ST_SE_SF_SG_EUlST_E0_NS1_11comp_targetILNS1_3genE9ELNS1_11target_archE1100ELNS1_3gpuE3ELNS1_3repE0EEENS1_38merge_mergepath_config_static_selectorELNS0_4arch9wavefront6targetE1EEEvSF_,@function
_ZN7rocprim17ROCPRIM_400000_NS6detail17trampoline_kernelINS0_14default_configENS1_38merge_sort_block_merge_config_selectorImNS0_10empty_typeEEEZZNS1_27merge_sort_block_merge_implIS3_PmPS5_jNS1_19radix_merge_compareILb1ELb0EmNS0_19identity_decomposerEEEEE10hipError_tT0_T1_T2_jT3_P12ihipStream_tbPNSt15iterator_traitsISE_E10value_typeEPNSK_ISF_E10value_typeEPSG_NS1_7vsmem_tEENKUlT_SE_SF_SG_E_clIS8_S8_S9_S9_EESD_ST_SE_SF_SG_EUlST_E0_NS1_11comp_targetILNS1_3genE9ELNS1_11target_archE1100ELNS1_3gpuE3ELNS1_3repE0EEENS1_38merge_mergepath_config_static_selectorELNS0_4arch9wavefront6targetE1EEEvSF_: ; @_ZN7rocprim17ROCPRIM_400000_NS6detail17trampoline_kernelINS0_14default_configENS1_38merge_sort_block_merge_config_selectorImNS0_10empty_typeEEEZZNS1_27merge_sort_block_merge_implIS3_PmPS5_jNS1_19radix_merge_compareILb1ELb0EmNS0_19identity_decomposerEEEEE10hipError_tT0_T1_T2_jT3_P12ihipStream_tbPNSt15iterator_traitsISE_E10value_typeEPNSK_ISF_E10value_typeEPSG_NS1_7vsmem_tEENKUlT_SE_SF_SG_E_clIS8_S8_S9_S9_EESD_ST_SE_SF_SG_EUlST_E0_NS1_11comp_targetILNS1_3genE9ELNS1_11target_archE1100ELNS1_3gpuE3ELNS1_3repE0EEENS1_38merge_mergepath_config_static_selectorELNS0_4arch9wavefront6targetE1EEEvSF_
; %bb.0:
	.section	.rodata,"a",@progbits
	.p2align	6, 0x0
	.amdhsa_kernel _ZN7rocprim17ROCPRIM_400000_NS6detail17trampoline_kernelINS0_14default_configENS1_38merge_sort_block_merge_config_selectorImNS0_10empty_typeEEEZZNS1_27merge_sort_block_merge_implIS3_PmPS5_jNS1_19radix_merge_compareILb1ELb0EmNS0_19identity_decomposerEEEEE10hipError_tT0_T1_T2_jT3_P12ihipStream_tbPNSt15iterator_traitsISE_E10value_typeEPNSK_ISF_E10value_typeEPSG_NS1_7vsmem_tEENKUlT_SE_SF_SG_E_clIS8_S8_S9_S9_EESD_ST_SE_SF_SG_EUlST_E0_NS1_11comp_targetILNS1_3genE9ELNS1_11target_archE1100ELNS1_3gpuE3ELNS1_3repE0EEENS1_38merge_mergepath_config_static_selectorELNS0_4arch9wavefront6targetE1EEEvSF_
		.amdhsa_group_segment_fixed_size 0
		.amdhsa_private_segment_fixed_size 0
		.amdhsa_kernarg_size 64
		.amdhsa_user_sgpr_count 6
		.amdhsa_user_sgpr_private_segment_buffer 1
		.amdhsa_user_sgpr_dispatch_ptr 0
		.amdhsa_user_sgpr_queue_ptr 0
		.amdhsa_user_sgpr_kernarg_segment_ptr 1
		.amdhsa_user_sgpr_dispatch_id 0
		.amdhsa_user_sgpr_flat_scratch_init 0
		.amdhsa_user_sgpr_kernarg_preload_length 0
		.amdhsa_user_sgpr_kernarg_preload_offset 0
		.amdhsa_user_sgpr_private_segment_size 0
		.amdhsa_uses_dynamic_stack 0
		.amdhsa_system_sgpr_private_segment_wavefront_offset 0
		.amdhsa_system_sgpr_workgroup_id_x 1
		.amdhsa_system_sgpr_workgroup_id_y 0
		.amdhsa_system_sgpr_workgroup_id_z 0
		.amdhsa_system_sgpr_workgroup_info 0
		.amdhsa_system_vgpr_workitem_id 0
		.amdhsa_next_free_vgpr 1
		.amdhsa_next_free_sgpr 0
		.amdhsa_accum_offset 4
		.amdhsa_reserve_vcc 0
		.amdhsa_reserve_flat_scratch 0
		.amdhsa_float_round_mode_32 0
		.amdhsa_float_round_mode_16_64 0
		.amdhsa_float_denorm_mode_32 3
		.amdhsa_float_denorm_mode_16_64 3
		.amdhsa_dx10_clamp 1
		.amdhsa_ieee_mode 1
		.amdhsa_fp16_overflow 0
		.amdhsa_tg_split 0
		.amdhsa_exception_fp_ieee_invalid_op 0
		.amdhsa_exception_fp_denorm_src 0
		.amdhsa_exception_fp_ieee_div_zero 0
		.amdhsa_exception_fp_ieee_overflow 0
		.amdhsa_exception_fp_ieee_underflow 0
		.amdhsa_exception_fp_ieee_inexact 0
		.amdhsa_exception_int_div_zero 0
	.end_amdhsa_kernel
	.section	.text._ZN7rocprim17ROCPRIM_400000_NS6detail17trampoline_kernelINS0_14default_configENS1_38merge_sort_block_merge_config_selectorImNS0_10empty_typeEEEZZNS1_27merge_sort_block_merge_implIS3_PmPS5_jNS1_19radix_merge_compareILb1ELb0EmNS0_19identity_decomposerEEEEE10hipError_tT0_T1_T2_jT3_P12ihipStream_tbPNSt15iterator_traitsISE_E10value_typeEPNSK_ISF_E10value_typeEPSG_NS1_7vsmem_tEENKUlT_SE_SF_SG_E_clIS8_S8_S9_S9_EESD_ST_SE_SF_SG_EUlST_E0_NS1_11comp_targetILNS1_3genE9ELNS1_11target_archE1100ELNS1_3gpuE3ELNS1_3repE0EEENS1_38merge_mergepath_config_static_selectorELNS0_4arch9wavefront6targetE1EEEvSF_,"axG",@progbits,_ZN7rocprim17ROCPRIM_400000_NS6detail17trampoline_kernelINS0_14default_configENS1_38merge_sort_block_merge_config_selectorImNS0_10empty_typeEEEZZNS1_27merge_sort_block_merge_implIS3_PmPS5_jNS1_19radix_merge_compareILb1ELb0EmNS0_19identity_decomposerEEEEE10hipError_tT0_T1_T2_jT3_P12ihipStream_tbPNSt15iterator_traitsISE_E10value_typeEPNSK_ISF_E10value_typeEPSG_NS1_7vsmem_tEENKUlT_SE_SF_SG_E_clIS8_S8_S9_S9_EESD_ST_SE_SF_SG_EUlST_E0_NS1_11comp_targetILNS1_3genE9ELNS1_11target_archE1100ELNS1_3gpuE3ELNS1_3repE0EEENS1_38merge_mergepath_config_static_selectorELNS0_4arch9wavefront6targetE1EEEvSF_,comdat
.Lfunc_end2239:
	.size	_ZN7rocprim17ROCPRIM_400000_NS6detail17trampoline_kernelINS0_14default_configENS1_38merge_sort_block_merge_config_selectorImNS0_10empty_typeEEEZZNS1_27merge_sort_block_merge_implIS3_PmPS5_jNS1_19radix_merge_compareILb1ELb0EmNS0_19identity_decomposerEEEEE10hipError_tT0_T1_T2_jT3_P12ihipStream_tbPNSt15iterator_traitsISE_E10value_typeEPNSK_ISF_E10value_typeEPSG_NS1_7vsmem_tEENKUlT_SE_SF_SG_E_clIS8_S8_S9_S9_EESD_ST_SE_SF_SG_EUlST_E0_NS1_11comp_targetILNS1_3genE9ELNS1_11target_archE1100ELNS1_3gpuE3ELNS1_3repE0EEENS1_38merge_mergepath_config_static_selectorELNS0_4arch9wavefront6targetE1EEEvSF_, .Lfunc_end2239-_ZN7rocprim17ROCPRIM_400000_NS6detail17trampoline_kernelINS0_14default_configENS1_38merge_sort_block_merge_config_selectorImNS0_10empty_typeEEEZZNS1_27merge_sort_block_merge_implIS3_PmPS5_jNS1_19radix_merge_compareILb1ELb0EmNS0_19identity_decomposerEEEEE10hipError_tT0_T1_T2_jT3_P12ihipStream_tbPNSt15iterator_traitsISE_E10value_typeEPNSK_ISF_E10value_typeEPSG_NS1_7vsmem_tEENKUlT_SE_SF_SG_E_clIS8_S8_S9_S9_EESD_ST_SE_SF_SG_EUlST_E0_NS1_11comp_targetILNS1_3genE9ELNS1_11target_archE1100ELNS1_3gpuE3ELNS1_3repE0EEENS1_38merge_mergepath_config_static_selectorELNS0_4arch9wavefront6targetE1EEEvSF_
                                        ; -- End function
	.section	.AMDGPU.csdata,"",@progbits
; Kernel info:
; codeLenInByte = 0
; NumSgprs: 4
; NumVgprs: 0
; NumAgprs: 0
; TotalNumVgprs: 0
; ScratchSize: 0
; MemoryBound: 0
; FloatMode: 240
; IeeeMode: 1
; LDSByteSize: 0 bytes/workgroup (compile time only)
; SGPRBlocks: 0
; VGPRBlocks: 0
; NumSGPRsForWavesPerEU: 4
; NumVGPRsForWavesPerEU: 1
; AccumOffset: 4
; Occupancy: 8
; WaveLimiterHint : 0
; COMPUTE_PGM_RSRC2:SCRATCH_EN: 0
; COMPUTE_PGM_RSRC2:USER_SGPR: 6
; COMPUTE_PGM_RSRC2:TRAP_HANDLER: 0
; COMPUTE_PGM_RSRC2:TGID_X_EN: 1
; COMPUTE_PGM_RSRC2:TGID_Y_EN: 0
; COMPUTE_PGM_RSRC2:TGID_Z_EN: 0
; COMPUTE_PGM_RSRC2:TIDIG_COMP_CNT: 0
; COMPUTE_PGM_RSRC3_GFX90A:ACCUM_OFFSET: 0
; COMPUTE_PGM_RSRC3_GFX90A:TG_SPLIT: 0
	.section	.text._ZN7rocprim17ROCPRIM_400000_NS6detail17trampoline_kernelINS0_14default_configENS1_38merge_sort_block_merge_config_selectorImNS0_10empty_typeEEEZZNS1_27merge_sort_block_merge_implIS3_PmPS5_jNS1_19radix_merge_compareILb1ELb0EmNS0_19identity_decomposerEEEEE10hipError_tT0_T1_T2_jT3_P12ihipStream_tbPNSt15iterator_traitsISE_E10value_typeEPNSK_ISF_E10value_typeEPSG_NS1_7vsmem_tEENKUlT_SE_SF_SG_E_clIS8_S8_S9_S9_EESD_ST_SE_SF_SG_EUlST_E0_NS1_11comp_targetILNS1_3genE8ELNS1_11target_archE1030ELNS1_3gpuE2ELNS1_3repE0EEENS1_38merge_mergepath_config_static_selectorELNS0_4arch9wavefront6targetE1EEEvSF_,"axG",@progbits,_ZN7rocprim17ROCPRIM_400000_NS6detail17trampoline_kernelINS0_14default_configENS1_38merge_sort_block_merge_config_selectorImNS0_10empty_typeEEEZZNS1_27merge_sort_block_merge_implIS3_PmPS5_jNS1_19radix_merge_compareILb1ELb0EmNS0_19identity_decomposerEEEEE10hipError_tT0_T1_T2_jT3_P12ihipStream_tbPNSt15iterator_traitsISE_E10value_typeEPNSK_ISF_E10value_typeEPSG_NS1_7vsmem_tEENKUlT_SE_SF_SG_E_clIS8_S8_S9_S9_EESD_ST_SE_SF_SG_EUlST_E0_NS1_11comp_targetILNS1_3genE8ELNS1_11target_archE1030ELNS1_3gpuE2ELNS1_3repE0EEENS1_38merge_mergepath_config_static_selectorELNS0_4arch9wavefront6targetE1EEEvSF_,comdat
	.protected	_ZN7rocprim17ROCPRIM_400000_NS6detail17trampoline_kernelINS0_14default_configENS1_38merge_sort_block_merge_config_selectorImNS0_10empty_typeEEEZZNS1_27merge_sort_block_merge_implIS3_PmPS5_jNS1_19radix_merge_compareILb1ELb0EmNS0_19identity_decomposerEEEEE10hipError_tT0_T1_T2_jT3_P12ihipStream_tbPNSt15iterator_traitsISE_E10value_typeEPNSK_ISF_E10value_typeEPSG_NS1_7vsmem_tEENKUlT_SE_SF_SG_E_clIS8_S8_S9_S9_EESD_ST_SE_SF_SG_EUlST_E0_NS1_11comp_targetILNS1_3genE8ELNS1_11target_archE1030ELNS1_3gpuE2ELNS1_3repE0EEENS1_38merge_mergepath_config_static_selectorELNS0_4arch9wavefront6targetE1EEEvSF_ ; -- Begin function _ZN7rocprim17ROCPRIM_400000_NS6detail17trampoline_kernelINS0_14default_configENS1_38merge_sort_block_merge_config_selectorImNS0_10empty_typeEEEZZNS1_27merge_sort_block_merge_implIS3_PmPS5_jNS1_19radix_merge_compareILb1ELb0EmNS0_19identity_decomposerEEEEE10hipError_tT0_T1_T2_jT3_P12ihipStream_tbPNSt15iterator_traitsISE_E10value_typeEPNSK_ISF_E10value_typeEPSG_NS1_7vsmem_tEENKUlT_SE_SF_SG_E_clIS8_S8_S9_S9_EESD_ST_SE_SF_SG_EUlST_E0_NS1_11comp_targetILNS1_3genE8ELNS1_11target_archE1030ELNS1_3gpuE2ELNS1_3repE0EEENS1_38merge_mergepath_config_static_selectorELNS0_4arch9wavefront6targetE1EEEvSF_
	.globl	_ZN7rocprim17ROCPRIM_400000_NS6detail17trampoline_kernelINS0_14default_configENS1_38merge_sort_block_merge_config_selectorImNS0_10empty_typeEEEZZNS1_27merge_sort_block_merge_implIS3_PmPS5_jNS1_19radix_merge_compareILb1ELb0EmNS0_19identity_decomposerEEEEE10hipError_tT0_T1_T2_jT3_P12ihipStream_tbPNSt15iterator_traitsISE_E10value_typeEPNSK_ISF_E10value_typeEPSG_NS1_7vsmem_tEENKUlT_SE_SF_SG_E_clIS8_S8_S9_S9_EESD_ST_SE_SF_SG_EUlST_E0_NS1_11comp_targetILNS1_3genE8ELNS1_11target_archE1030ELNS1_3gpuE2ELNS1_3repE0EEENS1_38merge_mergepath_config_static_selectorELNS0_4arch9wavefront6targetE1EEEvSF_
	.p2align	8
	.type	_ZN7rocprim17ROCPRIM_400000_NS6detail17trampoline_kernelINS0_14default_configENS1_38merge_sort_block_merge_config_selectorImNS0_10empty_typeEEEZZNS1_27merge_sort_block_merge_implIS3_PmPS5_jNS1_19radix_merge_compareILb1ELb0EmNS0_19identity_decomposerEEEEE10hipError_tT0_T1_T2_jT3_P12ihipStream_tbPNSt15iterator_traitsISE_E10value_typeEPNSK_ISF_E10value_typeEPSG_NS1_7vsmem_tEENKUlT_SE_SF_SG_E_clIS8_S8_S9_S9_EESD_ST_SE_SF_SG_EUlST_E0_NS1_11comp_targetILNS1_3genE8ELNS1_11target_archE1030ELNS1_3gpuE2ELNS1_3repE0EEENS1_38merge_mergepath_config_static_selectorELNS0_4arch9wavefront6targetE1EEEvSF_,@function
_ZN7rocprim17ROCPRIM_400000_NS6detail17trampoline_kernelINS0_14default_configENS1_38merge_sort_block_merge_config_selectorImNS0_10empty_typeEEEZZNS1_27merge_sort_block_merge_implIS3_PmPS5_jNS1_19radix_merge_compareILb1ELb0EmNS0_19identity_decomposerEEEEE10hipError_tT0_T1_T2_jT3_P12ihipStream_tbPNSt15iterator_traitsISE_E10value_typeEPNSK_ISF_E10value_typeEPSG_NS1_7vsmem_tEENKUlT_SE_SF_SG_E_clIS8_S8_S9_S9_EESD_ST_SE_SF_SG_EUlST_E0_NS1_11comp_targetILNS1_3genE8ELNS1_11target_archE1030ELNS1_3gpuE2ELNS1_3repE0EEENS1_38merge_mergepath_config_static_selectorELNS0_4arch9wavefront6targetE1EEEvSF_: ; @_ZN7rocprim17ROCPRIM_400000_NS6detail17trampoline_kernelINS0_14default_configENS1_38merge_sort_block_merge_config_selectorImNS0_10empty_typeEEEZZNS1_27merge_sort_block_merge_implIS3_PmPS5_jNS1_19radix_merge_compareILb1ELb0EmNS0_19identity_decomposerEEEEE10hipError_tT0_T1_T2_jT3_P12ihipStream_tbPNSt15iterator_traitsISE_E10value_typeEPNSK_ISF_E10value_typeEPSG_NS1_7vsmem_tEENKUlT_SE_SF_SG_E_clIS8_S8_S9_S9_EESD_ST_SE_SF_SG_EUlST_E0_NS1_11comp_targetILNS1_3genE8ELNS1_11target_archE1030ELNS1_3gpuE2ELNS1_3repE0EEENS1_38merge_mergepath_config_static_selectorELNS0_4arch9wavefront6targetE1EEEvSF_
; %bb.0:
	.section	.rodata,"a",@progbits
	.p2align	6, 0x0
	.amdhsa_kernel _ZN7rocprim17ROCPRIM_400000_NS6detail17trampoline_kernelINS0_14default_configENS1_38merge_sort_block_merge_config_selectorImNS0_10empty_typeEEEZZNS1_27merge_sort_block_merge_implIS3_PmPS5_jNS1_19radix_merge_compareILb1ELb0EmNS0_19identity_decomposerEEEEE10hipError_tT0_T1_T2_jT3_P12ihipStream_tbPNSt15iterator_traitsISE_E10value_typeEPNSK_ISF_E10value_typeEPSG_NS1_7vsmem_tEENKUlT_SE_SF_SG_E_clIS8_S8_S9_S9_EESD_ST_SE_SF_SG_EUlST_E0_NS1_11comp_targetILNS1_3genE8ELNS1_11target_archE1030ELNS1_3gpuE2ELNS1_3repE0EEENS1_38merge_mergepath_config_static_selectorELNS0_4arch9wavefront6targetE1EEEvSF_
		.amdhsa_group_segment_fixed_size 0
		.amdhsa_private_segment_fixed_size 0
		.amdhsa_kernarg_size 64
		.amdhsa_user_sgpr_count 6
		.amdhsa_user_sgpr_private_segment_buffer 1
		.amdhsa_user_sgpr_dispatch_ptr 0
		.amdhsa_user_sgpr_queue_ptr 0
		.amdhsa_user_sgpr_kernarg_segment_ptr 1
		.amdhsa_user_sgpr_dispatch_id 0
		.amdhsa_user_sgpr_flat_scratch_init 0
		.amdhsa_user_sgpr_kernarg_preload_length 0
		.amdhsa_user_sgpr_kernarg_preload_offset 0
		.amdhsa_user_sgpr_private_segment_size 0
		.amdhsa_uses_dynamic_stack 0
		.amdhsa_system_sgpr_private_segment_wavefront_offset 0
		.amdhsa_system_sgpr_workgroup_id_x 1
		.amdhsa_system_sgpr_workgroup_id_y 0
		.amdhsa_system_sgpr_workgroup_id_z 0
		.amdhsa_system_sgpr_workgroup_info 0
		.amdhsa_system_vgpr_workitem_id 0
		.amdhsa_next_free_vgpr 1
		.amdhsa_next_free_sgpr 0
		.amdhsa_accum_offset 4
		.amdhsa_reserve_vcc 0
		.amdhsa_reserve_flat_scratch 0
		.amdhsa_float_round_mode_32 0
		.amdhsa_float_round_mode_16_64 0
		.amdhsa_float_denorm_mode_32 3
		.amdhsa_float_denorm_mode_16_64 3
		.amdhsa_dx10_clamp 1
		.amdhsa_ieee_mode 1
		.amdhsa_fp16_overflow 0
		.amdhsa_tg_split 0
		.amdhsa_exception_fp_ieee_invalid_op 0
		.amdhsa_exception_fp_denorm_src 0
		.amdhsa_exception_fp_ieee_div_zero 0
		.amdhsa_exception_fp_ieee_overflow 0
		.amdhsa_exception_fp_ieee_underflow 0
		.amdhsa_exception_fp_ieee_inexact 0
		.amdhsa_exception_int_div_zero 0
	.end_amdhsa_kernel
	.section	.text._ZN7rocprim17ROCPRIM_400000_NS6detail17trampoline_kernelINS0_14default_configENS1_38merge_sort_block_merge_config_selectorImNS0_10empty_typeEEEZZNS1_27merge_sort_block_merge_implIS3_PmPS5_jNS1_19radix_merge_compareILb1ELb0EmNS0_19identity_decomposerEEEEE10hipError_tT0_T1_T2_jT3_P12ihipStream_tbPNSt15iterator_traitsISE_E10value_typeEPNSK_ISF_E10value_typeEPSG_NS1_7vsmem_tEENKUlT_SE_SF_SG_E_clIS8_S8_S9_S9_EESD_ST_SE_SF_SG_EUlST_E0_NS1_11comp_targetILNS1_3genE8ELNS1_11target_archE1030ELNS1_3gpuE2ELNS1_3repE0EEENS1_38merge_mergepath_config_static_selectorELNS0_4arch9wavefront6targetE1EEEvSF_,"axG",@progbits,_ZN7rocprim17ROCPRIM_400000_NS6detail17trampoline_kernelINS0_14default_configENS1_38merge_sort_block_merge_config_selectorImNS0_10empty_typeEEEZZNS1_27merge_sort_block_merge_implIS3_PmPS5_jNS1_19radix_merge_compareILb1ELb0EmNS0_19identity_decomposerEEEEE10hipError_tT0_T1_T2_jT3_P12ihipStream_tbPNSt15iterator_traitsISE_E10value_typeEPNSK_ISF_E10value_typeEPSG_NS1_7vsmem_tEENKUlT_SE_SF_SG_E_clIS8_S8_S9_S9_EESD_ST_SE_SF_SG_EUlST_E0_NS1_11comp_targetILNS1_3genE8ELNS1_11target_archE1030ELNS1_3gpuE2ELNS1_3repE0EEENS1_38merge_mergepath_config_static_selectorELNS0_4arch9wavefront6targetE1EEEvSF_,comdat
.Lfunc_end2240:
	.size	_ZN7rocprim17ROCPRIM_400000_NS6detail17trampoline_kernelINS0_14default_configENS1_38merge_sort_block_merge_config_selectorImNS0_10empty_typeEEEZZNS1_27merge_sort_block_merge_implIS3_PmPS5_jNS1_19radix_merge_compareILb1ELb0EmNS0_19identity_decomposerEEEEE10hipError_tT0_T1_T2_jT3_P12ihipStream_tbPNSt15iterator_traitsISE_E10value_typeEPNSK_ISF_E10value_typeEPSG_NS1_7vsmem_tEENKUlT_SE_SF_SG_E_clIS8_S8_S9_S9_EESD_ST_SE_SF_SG_EUlST_E0_NS1_11comp_targetILNS1_3genE8ELNS1_11target_archE1030ELNS1_3gpuE2ELNS1_3repE0EEENS1_38merge_mergepath_config_static_selectorELNS0_4arch9wavefront6targetE1EEEvSF_, .Lfunc_end2240-_ZN7rocprim17ROCPRIM_400000_NS6detail17trampoline_kernelINS0_14default_configENS1_38merge_sort_block_merge_config_selectorImNS0_10empty_typeEEEZZNS1_27merge_sort_block_merge_implIS3_PmPS5_jNS1_19radix_merge_compareILb1ELb0EmNS0_19identity_decomposerEEEEE10hipError_tT0_T1_T2_jT3_P12ihipStream_tbPNSt15iterator_traitsISE_E10value_typeEPNSK_ISF_E10value_typeEPSG_NS1_7vsmem_tEENKUlT_SE_SF_SG_E_clIS8_S8_S9_S9_EESD_ST_SE_SF_SG_EUlST_E0_NS1_11comp_targetILNS1_3genE8ELNS1_11target_archE1030ELNS1_3gpuE2ELNS1_3repE0EEENS1_38merge_mergepath_config_static_selectorELNS0_4arch9wavefront6targetE1EEEvSF_
                                        ; -- End function
	.section	.AMDGPU.csdata,"",@progbits
; Kernel info:
; codeLenInByte = 0
; NumSgprs: 4
; NumVgprs: 0
; NumAgprs: 0
; TotalNumVgprs: 0
; ScratchSize: 0
; MemoryBound: 0
; FloatMode: 240
; IeeeMode: 1
; LDSByteSize: 0 bytes/workgroup (compile time only)
; SGPRBlocks: 0
; VGPRBlocks: 0
; NumSGPRsForWavesPerEU: 4
; NumVGPRsForWavesPerEU: 1
; AccumOffset: 4
; Occupancy: 8
; WaveLimiterHint : 0
; COMPUTE_PGM_RSRC2:SCRATCH_EN: 0
; COMPUTE_PGM_RSRC2:USER_SGPR: 6
; COMPUTE_PGM_RSRC2:TRAP_HANDLER: 0
; COMPUTE_PGM_RSRC2:TGID_X_EN: 1
; COMPUTE_PGM_RSRC2:TGID_Y_EN: 0
; COMPUTE_PGM_RSRC2:TGID_Z_EN: 0
; COMPUTE_PGM_RSRC2:TIDIG_COMP_CNT: 0
; COMPUTE_PGM_RSRC3_GFX90A:ACCUM_OFFSET: 0
; COMPUTE_PGM_RSRC3_GFX90A:TG_SPLIT: 0
	.section	.text._ZN7rocprim17ROCPRIM_400000_NS6detail17trampoline_kernelINS0_14default_configENS1_38merge_sort_block_merge_config_selectorImNS0_10empty_typeEEEZZNS1_27merge_sort_block_merge_implIS3_PmPS5_jNS1_19radix_merge_compareILb1ELb0EmNS0_19identity_decomposerEEEEE10hipError_tT0_T1_T2_jT3_P12ihipStream_tbPNSt15iterator_traitsISE_E10value_typeEPNSK_ISF_E10value_typeEPSG_NS1_7vsmem_tEENKUlT_SE_SF_SG_E_clIS8_S8_S9_S9_EESD_ST_SE_SF_SG_EUlST_E1_NS1_11comp_targetILNS1_3genE0ELNS1_11target_archE4294967295ELNS1_3gpuE0ELNS1_3repE0EEENS1_36merge_oddeven_config_static_selectorELNS0_4arch9wavefront6targetE1EEEvSF_,"axG",@progbits,_ZN7rocprim17ROCPRIM_400000_NS6detail17trampoline_kernelINS0_14default_configENS1_38merge_sort_block_merge_config_selectorImNS0_10empty_typeEEEZZNS1_27merge_sort_block_merge_implIS3_PmPS5_jNS1_19radix_merge_compareILb1ELb0EmNS0_19identity_decomposerEEEEE10hipError_tT0_T1_T2_jT3_P12ihipStream_tbPNSt15iterator_traitsISE_E10value_typeEPNSK_ISF_E10value_typeEPSG_NS1_7vsmem_tEENKUlT_SE_SF_SG_E_clIS8_S8_S9_S9_EESD_ST_SE_SF_SG_EUlST_E1_NS1_11comp_targetILNS1_3genE0ELNS1_11target_archE4294967295ELNS1_3gpuE0ELNS1_3repE0EEENS1_36merge_oddeven_config_static_selectorELNS0_4arch9wavefront6targetE1EEEvSF_,comdat
	.protected	_ZN7rocprim17ROCPRIM_400000_NS6detail17trampoline_kernelINS0_14default_configENS1_38merge_sort_block_merge_config_selectorImNS0_10empty_typeEEEZZNS1_27merge_sort_block_merge_implIS3_PmPS5_jNS1_19radix_merge_compareILb1ELb0EmNS0_19identity_decomposerEEEEE10hipError_tT0_T1_T2_jT3_P12ihipStream_tbPNSt15iterator_traitsISE_E10value_typeEPNSK_ISF_E10value_typeEPSG_NS1_7vsmem_tEENKUlT_SE_SF_SG_E_clIS8_S8_S9_S9_EESD_ST_SE_SF_SG_EUlST_E1_NS1_11comp_targetILNS1_3genE0ELNS1_11target_archE4294967295ELNS1_3gpuE0ELNS1_3repE0EEENS1_36merge_oddeven_config_static_selectorELNS0_4arch9wavefront6targetE1EEEvSF_ ; -- Begin function _ZN7rocprim17ROCPRIM_400000_NS6detail17trampoline_kernelINS0_14default_configENS1_38merge_sort_block_merge_config_selectorImNS0_10empty_typeEEEZZNS1_27merge_sort_block_merge_implIS3_PmPS5_jNS1_19radix_merge_compareILb1ELb0EmNS0_19identity_decomposerEEEEE10hipError_tT0_T1_T2_jT3_P12ihipStream_tbPNSt15iterator_traitsISE_E10value_typeEPNSK_ISF_E10value_typeEPSG_NS1_7vsmem_tEENKUlT_SE_SF_SG_E_clIS8_S8_S9_S9_EESD_ST_SE_SF_SG_EUlST_E1_NS1_11comp_targetILNS1_3genE0ELNS1_11target_archE4294967295ELNS1_3gpuE0ELNS1_3repE0EEENS1_36merge_oddeven_config_static_selectorELNS0_4arch9wavefront6targetE1EEEvSF_
	.globl	_ZN7rocprim17ROCPRIM_400000_NS6detail17trampoline_kernelINS0_14default_configENS1_38merge_sort_block_merge_config_selectorImNS0_10empty_typeEEEZZNS1_27merge_sort_block_merge_implIS3_PmPS5_jNS1_19radix_merge_compareILb1ELb0EmNS0_19identity_decomposerEEEEE10hipError_tT0_T1_T2_jT3_P12ihipStream_tbPNSt15iterator_traitsISE_E10value_typeEPNSK_ISF_E10value_typeEPSG_NS1_7vsmem_tEENKUlT_SE_SF_SG_E_clIS8_S8_S9_S9_EESD_ST_SE_SF_SG_EUlST_E1_NS1_11comp_targetILNS1_3genE0ELNS1_11target_archE4294967295ELNS1_3gpuE0ELNS1_3repE0EEENS1_36merge_oddeven_config_static_selectorELNS0_4arch9wavefront6targetE1EEEvSF_
	.p2align	8
	.type	_ZN7rocprim17ROCPRIM_400000_NS6detail17trampoline_kernelINS0_14default_configENS1_38merge_sort_block_merge_config_selectorImNS0_10empty_typeEEEZZNS1_27merge_sort_block_merge_implIS3_PmPS5_jNS1_19radix_merge_compareILb1ELb0EmNS0_19identity_decomposerEEEEE10hipError_tT0_T1_T2_jT3_P12ihipStream_tbPNSt15iterator_traitsISE_E10value_typeEPNSK_ISF_E10value_typeEPSG_NS1_7vsmem_tEENKUlT_SE_SF_SG_E_clIS8_S8_S9_S9_EESD_ST_SE_SF_SG_EUlST_E1_NS1_11comp_targetILNS1_3genE0ELNS1_11target_archE4294967295ELNS1_3gpuE0ELNS1_3repE0EEENS1_36merge_oddeven_config_static_selectorELNS0_4arch9wavefront6targetE1EEEvSF_,@function
_ZN7rocprim17ROCPRIM_400000_NS6detail17trampoline_kernelINS0_14default_configENS1_38merge_sort_block_merge_config_selectorImNS0_10empty_typeEEEZZNS1_27merge_sort_block_merge_implIS3_PmPS5_jNS1_19radix_merge_compareILb1ELb0EmNS0_19identity_decomposerEEEEE10hipError_tT0_T1_T2_jT3_P12ihipStream_tbPNSt15iterator_traitsISE_E10value_typeEPNSK_ISF_E10value_typeEPSG_NS1_7vsmem_tEENKUlT_SE_SF_SG_E_clIS8_S8_S9_S9_EESD_ST_SE_SF_SG_EUlST_E1_NS1_11comp_targetILNS1_3genE0ELNS1_11target_archE4294967295ELNS1_3gpuE0ELNS1_3repE0EEENS1_36merge_oddeven_config_static_selectorELNS0_4arch9wavefront6targetE1EEEvSF_: ; @_ZN7rocprim17ROCPRIM_400000_NS6detail17trampoline_kernelINS0_14default_configENS1_38merge_sort_block_merge_config_selectorImNS0_10empty_typeEEEZZNS1_27merge_sort_block_merge_implIS3_PmPS5_jNS1_19radix_merge_compareILb1ELb0EmNS0_19identity_decomposerEEEEE10hipError_tT0_T1_T2_jT3_P12ihipStream_tbPNSt15iterator_traitsISE_E10value_typeEPNSK_ISF_E10value_typeEPSG_NS1_7vsmem_tEENKUlT_SE_SF_SG_E_clIS8_S8_S9_S9_EESD_ST_SE_SF_SG_EUlST_E1_NS1_11comp_targetILNS1_3genE0ELNS1_11target_archE4294967295ELNS1_3gpuE0ELNS1_3repE0EEENS1_36merge_oddeven_config_static_selectorELNS0_4arch9wavefront6targetE1EEEvSF_
; %bb.0:
	.section	.rodata,"a",@progbits
	.p2align	6, 0x0
	.amdhsa_kernel _ZN7rocprim17ROCPRIM_400000_NS6detail17trampoline_kernelINS0_14default_configENS1_38merge_sort_block_merge_config_selectorImNS0_10empty_typeEEEZZNS1_27merge_sort_block_merge_implIS3_PmPS5_jNS1_19radix_merge_compareILb1ELb0EmNS0_19identity_decomposerEEEEE10hipError_tT0_T1_T2_jT3_P12ihipStream_tbPNSt15iterator_traitsISE_E10value_typeEPNSK_ISF_E10value_typeEPSG_NS1_7vsmem_tEENKUlT_SE_SF_SG_E_clIS8_S8_S9_S9_EESD_ST_SE_SF_SG_EUlST_E1_NS1_11comp_targetILNS1_3genE0ELNS1_11target_archE4294967295ELNS1_3gpuE0ELNS1_3repE0EEENS1_36merge_oddeven_config_static_selectorELNS0_4arch9wavefront6targetE1EEEvSF_
		.amdhsa_group_segment_fixed_size 0
		.amdhsa_private_segment_fixed_size 0
		.amdhsa_kernarg_size 48
		.amdhsa_user_sgpr_count 6
		.amdhsa_user_sgpr_private_segment_buffer 1
		.amdhsa_user_sgpr_dispatch_ptr 0
		.amdhsa_user_sgpr_queue_ptr 0
		.amdhsa_user_sgpr_kernarg_segment_ptr 1
		.amdhsa_user_sgpr_dispatch_id 0
		.amdhsa_user_sgpr_flat_scratch_init 0
		.amdhsa_user_sgpr_kernarg_preload_length 0
		.amdhsa_user_sgpr_kernarg_preload_offset 0
		.amdhsa_user_sgpr_private_segment_size 0
		.amdhsa_uses_dynamic_stack 0
		.amdhsa_system_sgpr_private_segment_wavefront_offset 0
		.amdhsa_system_sgpr_workgroup_id_x 1
		.amdhsa_system_sgpr_workgroup_id_y 0
		.amdhsa_system_sgpr_workgroup_id_z 0
		.amdhsa_system_sgpr_workgroup_info 0
		.amdhsa_system_vgpr_workitem_id 0
		.amdhsa_next_free_vgpr 1
		.amdhsa_next_free_sgpr 0
		.amdhsa_accum_offset 4
		.amdhsa_reserve_vcc 0
		.amdhsa_reserve_flat_scratch 0
		.amdhsa_float_round_mode_32 0
		.amdhsa_float_round_mode_16_64 0
		.amdhsa_float_denorm_mode_32 3
		.amdhsa_float_denorm_mode_16_64 3
		.amdhsa_dx10_clamp 1
		.amdhsa_ieee_mode 1
		.amdhsa_fp16_overflow 0
		.amdhsa_tg_split 0
		.amdhsa_exception_fp_ieee_invalid_op 0
		.amdhsa_exception_fp_denorm_src 0
		.amdhsa_exception_fp_ieee_div_zero 0
		.amdhsa_exception_fp_ieee_overflow 0
		.amdhsa_exception_fp_ieee_underflow 0
		.amdhsa_exception_fp_ieee_inexact 0
		.amdhsa_exception_int_div_zero 0
	.end_amdhsa_kernel
	.section	.text._ZN7rocprim17ROCPRIM_400000_NS6detail17trampoline_kernelINS0_14default_configENS1_38merge_sort_block_merge_config_selectorImNS0_10empty_typeEEEZZNS1_27merge_sort_block_merge_implIS3_PmPS5_jNS1_19radix_merge_compareILb1ELb0EmNS0_19identity_decomposerEEEEE10hipError_tT0_T1_T2_jT3_P12ihipStream_tbPNSt15iterator_traitsISE_E10value_typeEPNSK_ISF_E10value_typeEPSG_NS1_7vsmem_tEENKUlT_SE_SF_SG_E_clIS8_S8_S9_S9_EESD_ST_SE_SF_SG_EUlST_E1_NS1_11comp_targetILNS1_3genE0ELNS1_11target_archE4294967295ELNS1_3gpuE0ELNS1_3repE0EEENS1_36merge_oddeven_config_static_selectorELNS0_4arch9wavefront6targetE1EEEvSF_,"axG",@progbits,_ZN7rocprim17ROCPRIM_400000_NS6detail17trampoline_kernelINS0_14default_configENS1_38merge_sort_block_merge_config_selectorImNS0_10empty_typeEEEZZNS1_27merge_sort_block_merge_implIS3_PmPS5_jNS1_19radix_merge_compareILb1ELb0EmNS0_19identity_decomposerEEEEE10hipError_tT0_T1_T2_jT3_P12ihipStream_tbPNSt15iterator_traitsISE_E10value_typeEPNSK_ISF_E10value_typeEPSG_NS1_7vsmem_tEENKUlT_SE_SF_SG_E_clIS8_S8_S9_S9_EESD_ST_SE_SF_SG_EUlST_E1_NS1_11comp_targetILNS1_3genE0ELNS1_11target_archE4294967295ELNS1_3gpuE0ELNS1_3repE0EEENS1_36merge_oddeven_config_static_selectorELNS0_4arch9wavefront6targetE1EEEvSF_,comdat
.Lfunc_end2241:
	.size	_ZN7rocprim17ROCPRIM_400000_NS6detail17trampoline_kernelINS0_14default_configENS1_38merge_sort_block_merge_config_selectorImNS0_10empty_typeEEEZZNS1_27merge_sort_block_merge_implIS3_PmPS5_jNS1_19radix_merge_compareILb1ELb0EmNS0_19identity_decomposerEEEEE10hipError_tT0_T1_T2_jT3_P12ihipStream_tbPNSt15iterator_traitsISE_E10value_typeEPNSK_ISF_E10value_typeEPSG_NS1_7vsmem_tEENKUlT_SE_SF_SG_E_clIS8_S8_S9_S9_EESD_ST_SE_SF_SG_EUlST_E1_NS1_11comp_targetILNS1_3genE0ELNS1_11target_archE4294967295ELNS1_3gpuE0ELNS1_3repE0EEENS1_36merge_oddeven_config_static_selectorELNS0_4arch9wavefront6targetE1EEEvSF_, .Lfunc_end2241-_ZN7rocprim17ROCPRIM_400000_NS6detail17trampoline_kernelINS0_14default_configENS1_38merge_sort_block_merge_config_selectorImNS0_10empty_typeEEEZZNS1_27merge_sort_block_merge_implIS3_PmPS5_jNS1_19radix_merge_compareILb1ELb0EmNS0_19identity_decomposerEEEEE10hipError_tT0_T1_T2_jT3_P12ihipStream_tbPNSt15iterator_traitsISE_E10value_typeEPNSK_ISF_E10value_typeEPSG_NS1_7vsmem_tEENKUlT_SE_SF_SG_E_clIS8_S8_S9_S9_EESD_ST_SE_SF_SG_EUlST_E1_NS1_11comp_targetILNS1_3genE0ELNS1_11target_archE4294967295ELNS1_3gpuE0ELNS1_3repE0EEENS1_36merge_oddeven_config_static_selectorELNS0_4arch9wavefront6targetE1EEEvSF_
                                        ; -- End function
	.section	.AMDGPU.csdata,"",@progbits
; Kernel info:
; codeLenInByte = 0
; NumSgprs: 4
; NumVgprs: 0
; NumAgprs: 0
; TotalNumVgprs: 0
; ScratchSize: 0
; MemoryBound: 0
; FloatMode: 240
; IeeeMode: 1
; LDSByteSize: 0 bytes/workgroup (compile time only)
; SGPRBlocks: 0
; VGPRBlocks: 0
; NumSGPRsForWavesPerEU: 4
; NumVGPRsForWavesPerEU: 1
; AccumOffset: 4
; Occupancy: 8
; WaveLimiterHint : 0
; COMPUTE_PGM_RSRC2:SCRATCH_EN: 0
; COMPUTE_PGM_RSRC2:USER_SGPR: 6
; COMPUTE_PGM_RSRC2:TRAP_HANDLER: 0
; COMPUTE_PGM_RSRC2:TGID_X_EN: 1
; COMPUTE_PGM_RSRC2:TGID_Y_EN: 0
; COMPUTE_PGM_RSRC2:TGID_Z_EN: 0
; COMPUTE_PGM_RSRC2:TIDIG_COMP_CNT: 0
; COMPUTE_PGM_RSRC3_GFX90A:ACCUM_OFFSET: 0
; COMPUTE_PGM_RSRC3_GFX90A:TG_SPLIT: 0
	.section	.text._ZN7rocprim17ROCPRIM_400000_NS6detail17trampoline_kernelINS0_14default_configENS1_38merge_sort_block_merge_config_selectorImNS0_10empty_typeEEEZZNS1_27merge_sort_block_merge_implIS3_PmPS5_jNS1_19radix_merge_compareILb1ELb0EmNS0_19identity_decomposerEEEEE10hipError_tT0_T1_T2_jT3_P12ihipStream_tbPNSt15iterator_traitsISE_E10value_typeEPNSK_ISF_E10value_typeEPSG_NS1_7vsmem_tEENKUlT_SE_SF_SG_E_clIS8_S8_S9_S9_EESD_ST_SE_SF_SG_EUlST_E1_NS1_11comp_targetILNS1_3genE10ELNS1_11target_archE1201ELNS1_3gpuE5ELNS1_3repE0EEENS1_36merge_oddeven_config_static_selectorELNS0_4arch9wavefront6targetE1EEEvSF_,"axG",@progbits,_ZN7rocprim17ROCPRIM_400000_NS6detail17trampoline_kernelINS0_14default_configENS1_38merge_sort_block_merge_config_selectorImNS0_10empty_typeEEEZZNS1_27merge_sort_block_merge_implIS3_PmPS5_jNS1_19radix_merge_compareILb1ELb0EmNS0_19identity_decomposerEEEEE10hipError_tT0_T1_T2_jT3_P12ihipStream_tbPNSt15iterator_traitsISE_E10value_typeEPNSK_ISF_E10value_typeEPSG_NS1_7vsmem_tEENKUlT_SE_SF_SG_E_clIS8_S8_S9_S9_EESD_ST_SE_SF_SG_EUlST_E1_NS1_11comp_targetILNS1_3genE10ELNS1_11target_archE1201ELNS1_3gpuE5ELNS1_3repE0EEENS1_36merge_oddeven_config_static_selectorELNS0_4arch9wavefront6targetE1EEEvSF_,comdat
	.protected	_ZN7rocprim17ROCPRIM_400000_NS6detail17trampoline_kernelINS0_14default_configENS1_38merge_sort_block_merge_config_selectorImNS0_10empty_typeEEEZZNS1_27merge_sort_block_merge_implIS3_PmPS5_jNS1_19radix_merge_compareILb1ELb0EmNS0_19identity_decomposerEEEEE10hipError_tT0_T1_T2_jT3_P12ihipStream_tbPNSt15iterator_traitsISE_E10value_typeEPNSK_ISF_E10value_typeEPSG_NS1_7vsmem_tEENKUlT_SE_SF_SG_E_clIS8_S8_S9_S9_EESD_ST_SE_SF_SG_EUlST_E1_NS1_11comp_targetILNS1_3genE10ELNS1_11target_archE1201ELNS1_3gpuE5ELNS1_3repE0EEENS1_36merge_oddeven_config_static_selectorELNS0_4arch9wavefront6targetE1EEEvSF_ ; -- Begin function _ZN7rocprim17ROCPRIM_400000_NS6detail17trampoline_kernelINS0_14default_configENS1_38merge_sort_block_merge_config_selectorImNS0_10empty_typeEEEZZNS1_27merge_sort_block_merge_implIS3_PmPS5_jNS1_19radix_merge_compareILb1ELb0EmNS0_19identity_decomposerEEEEE10hipError_tT0_T1_T2_jT3_P12ihipStream_tbPNSt15iterator_traitsISE_E10value_typeEPNSK_ISF_E10value_typeEPSG_NS1_7vsmem_tEENKUlT_SE_SF_SG_E_clIS8_S8_S9_S9_EESD_ST_SE_SF_SG_EUlST_E1_NS1_11comp_targetILNS1_3genE10ELNS1_11target_archE1201ELNS1_3gpuE5ELNS1_3repE0EEENS1_36merge_oddeven_config_static_selectorELNS0_4arch9wavefront6targetE1EEEvSF_
	.globl	_ZN7rocprim17ROCPRIM_400000_NS6detail17trampoline_kernelINS0_14default_configENS1_38merge_sort_block_merge_config_selectorImNS0_10empty_typeEEEZZNS1_27merge_sort_block_merge_implIS3_PmPS5_jNS1_19radix_merge_compareILb1ELb0EmNS0_19identity_decomposerEEEEE10hipError_tT0_T1_T2_jT3_P12ihipStream_tbPNSt15iterator_traitsISE_E10value_typeEPNSK_ISF_E10value_typeEPSG_NS1_7vsmem_tEENKUlT_SE_SF_SG_E_clIS8_S8_S9_S9_EESD_ST_SE_SF_SG_EUlST_E1_NS1_11comp_targetILNS1_3genE10ELNS1_11target_archE1201ELNS1_3gpuE5ELNS1_3repE0EEENS1_36merge_oddeven_config_static_selectorELNS0_4arch9wavefront6targetE1EEEvSF_
	.p2align	8
	.type	_ZN7rocprim17ROCPRIM_400000_NS6detail17trampoline_kernelINS0_14default_configENS1_38merge_sort_block_merge_config_selectorImNS0_10empty_typeEEEZZNS1_27merge_sort_block_merge_implIS3_PmPS5_jNS1_19radix_merge_compareILb1ELb0EmNS0_19identity_decomposerEEEEE10hipError_tT0_T1_T2_jT3_P12ihipStream_tbPNSt15iterator_traitsISE_E10value_typeEPNSK_ISF_E10value_typeEPSG_NS1_7vsmem_tEENKUlT_SE_SF_SG_E_clIS8_S8_S9_S9_EESD_ST_SE_SF_SG_EUlST_E1_NS1_11comp_targetILNS1_3genE10ELNS1_11target_archE1201ELNS1_3gpuE5ELNS1_3repE0EEENS1_36merge_oddeven_config_static_selectorELNS0_4arch9wavefront6targetE1EEEvSF_,@function
_ZN7rocprim17ROCPRIM_400000_NS6detail17trampoline_kernelINS0_14default_configENS1_38merge_sort_block_merge_config_selectorImNS0_10empty_typeEEEZZNS1_27merge_sort_block_merge_implIS3_PmPS5_jNS1_19radix_merge_compareILb1ELb0EmNS0_19identity_decomposerEEEEE10hipError_tT0_T1_T2_jT3_P12ihipStream_tbPNSt15iterator_traitsISE_E10value_typeEPNSK_ISF_E10value_typeEPSG_NS1_7vsmem_tEENKUlT_SE_SF_SG_E_clIS8_S8_S9_S9_EESD_ST_SE_SF_SG_EUlST_E1_NS1_11comp_targetILNS1_3genE10ELNS1_11target_archE1201ELNS1_3gpuE5ELNS1_3repE0EEENS1_36merge_oddeven_config_static_selectorELNS0_4arch9wavefront6targetE1EEEvSF_: ; @_ZN7rocprim17ROCPRIM_400000_NS6detail17trampoline_kernelINS0_14default_configENS1_38merge_sort_block_merge_config_selectorImNS0_10empty_typeEEEZZNS1_27merge_sort_block_merge_implIS3_PmPS5_jNS1_19radix_merge_compareILb1ELb0EmNS0_19identity_decomposerEEEEE10hipError_tT0_T1_T2_jT3_P12ihipStream_tbPNSt15iterator_traitsISE_E10value_typeEPNSK_ISF_E10value_typeEPSG_NS1_7vsmem_tEENKUlT_SE_SF_SG_E_clIS8_S8_S9_S9_EESD_ST_SE_SF_SG_EUlST_E1_NS1_11comp_targetILNS1_3genE10ELNS1_11target_archE1201ELNS1_3gpuE5ELNS1_3repE0EEENS1_36merge_oddeven_config_static_selectorELNS0_4arch9wavefront6targetE1EEEvSF_
; %bb.0:
	.section	.rodata,"a",@progbits
	.p2align	6, 0x0
	.amdhsa_kernel _ZN7rocprim17ROCPRIM_400000_NS6detail17trampoline_kernelINS0_14default_configENS1_38merge_sort_block_merge_config_selectorImNS0_10empty_typeEEEZZNS1_27merge_sort_block_merge_implIS3_PmPS5_jNS1_19radix_merge_compareILb1ELb0EmNS0_19identity_decomposerEEEEE10hipError_tT0_T1_T2_jT3_P12ihipStream_tbPNSt15iterator_traitsISE_E10value_typeEPNSK_ISF_E10value_typeEPSG_NS1_7vsmem_tEENKUlT_SE_SF_SG_E_clIS8_S8_S9_S9_EESD_ST_SE_SF_SG_EUlST_E1_NS1_11comp_targetILNS1_3genE10ELNS1_11target_archE1201ELNS1_3gpuE5ELNS1_3repE0EEENS1_36merge_oddeven_config_static_selectorELNS0_4arch9wavefront6targetE1EEEvSF_
		.amdhsa_group_segment_fixed_size 0
		.amdhsa_private_segment_fixed_size 0
		.amdhsa_kernarg_size 48
		.amdhsa_user_sgpr_count 6
		.amdhsa_user_sgpr_private_segment_buffer 1
		.amdhsa_user_sgpr_dispatch_ptr 0
		.amdhsa_user_sgpr_queue_ptr 0
		.amdhsa_user_sgpr_kernarg_segment_ptr 1
		.amdhsa_user_sgpr_dispatch_id 0
		.amdhsa_user_sgpr_flat_scratch_init 0
		.amdhsa_user_sgpr_kernarg_preload_length 0
		.amdhsa_user_sgpr_kernarg_preload_offset 0
		.amdhsa_user_sgpr_private_segment_size 0
		.amdhsa_uses_dynamic_stack 0
		.amdhsa_system_sgpr_private_segment_wavefront_offset 0
		.amdhsa_system_sgpr_workgroup_id_x 1
		.amdhsa_system_sgpr_workgroup_id_y 0
		.amdhsa_system_sgpr_workgroup_id_z 0
		.amdhsa_system_sgpr_workgroup_info 0
		.amdhsa_system_vgpr_workitem_id 0
		.amdhsa_next_free_vgpr 1
		.amdhsa_next_free_sgpr 0
		.amdhsa_accum_offset 4
		.amdhsa_reserve_vcc 0
		.amdhsa_reserve_flat_scratch 0
		.amdhsa_float_round_mode_32 0
		.amdhsa_float_round_mode_16_64 0
		.amdhsa_float_denorm_mode_32 3
		.amdhsa_float_denorm_mode_16_64 3
		.amdhsa_dx10_clamp 1
		.amdhsa_ieee_mode 1
		.amdhsa_fp16_overflow 0
		.amdhsa_tg_split 0
		.amdhsa_exception_fp_ieee_invalid_op 0
		.amdhsa_exception_fp_denorm_src 0
		.amdhsa_exception_fp_ieee_div_zero 0
		.amdhsa_exception_fp_ieee_overflow 0
		.amdhsa_exception_fp_ieee_underflow 0
		.amdhsa_exception_fp_ieee_inexact 0
		.amdhsa_exception_int_div_zero 0
	.end_amdhsa_kernel
	.section	.text._ZN7rocprim17ROCPRIM_400000_NS6detail17trampoline_kernelINS0_14default_configENS1_38merge_sort_block_merge_config_selectorImNS0_10empty_typeEEEZZNS1_27merge_sort_block_merge_implIS3_PmPS5_jNS1_19radix_merge_compareILb1ELb0EmNS0_19identity_decomposerEEEEE10hipError_tT0_T1_T2_jT3_P12ihipStream_tbPNSt15iterator_traitsISE_E10value_typeEPNSK_ISF_E10value_typeEPSG_NS1_7vsmem_tEENKUlT_SE_SF_SG_E_clIS8_S8_S9_S9_EESD_ST_SE_SF_SG_EUlST_E1_NS1_11comp_targetILNS1_3genE10ELNS1_11target_archE1201ELNS1_3gpuE5ELNS1_3repE0EEENS1_36merge_oddeven_config_static_selectorELNS0_4arch9wavefront6targetE1EEEvSF_,"axG",@progbits,_ZN7rocprim17ROCPRIM_400000_NS6detail17trampoline_kernelINS0_14default_configENS1_38merge_sort_block_merge_config_selectorImNS0_10empty_typeEEEZZNS1_27merge_sort_block_merge_implIS3_PmPS5_jNS1_19radix_merge_compareILb1ELb0EmNS0_19identity_decomposerEEEEE10hipError_tT0_T1_T2_jT3_P12ihipStream_tbPNSt15iterator_traitsISE_E10value_typeEPNSK_ISF_E10value_typeEPSG_NS1_7vsmem_tEENKUlT_SE_SF_SG_E_clIS8_S8_S9_S9_EESD_ST_SE_SF_SG_EUlST_E1_NS1_11comp_targetILNS1_3genE10ELNS1_11target_archE1201ELNS1_3gpuE5ELNS1_3repE0EEENS1_36merge_oddeven_config_static_selectorELNS0_4arch9wavefront6targetE1EEEvSF_,comdat
.Lfunc_end2242:
	.size	_ZN7rocprim17ROCPRIM_400000_NS6detail17trampoline_kernelINS0_14default_configENS1_38merge_sort_block_merge_config_selectorImNS0_10empty_typeEEEZZNS1_27merge_sort_block_merge_implIS3_PmPS5_jNS1_19radix_merge_compareILb1ELb0EmNS0_19identity_decomposerEEEEE10hipError_tT0_T1_T2_jT3_P12ihipStream_tbPNSt15iterator_traitsISE_E10value_typeEPNSK_ISF_E10value_typeEPSG_NS1_7vsmem_tEENKUlT_SE_SF_SG_E_clIS8_S8_S9_S9_EESD_ST_SE_SF_SG_EUlST_E1_NS1_11comp_targetILNS1_3genE10ELNS1_11target_archE1201ELNS1_3gpuE5ELNS1_3repE0EEENS1_36merge_oddeven_config_static_selectorELNS0_4arch9wavefront6targetE1EEEvSF_, .Lfunc_end2242-_ZN7rocprim17ROCPRIM_400000_NS6detail17trampoline_kernelINS0_14default_configENS1_38merge_sort_block_merge_config_selectorImNS0_10empty_typeEEEZZNS1_27merge_sort_block_merge_implIS3_PmPS5_jNS1_19radix_merge_compareILb1ELb0EmNS0_19identity_decomposerEEEEE10hipError_tT0_T1_T2_jT3_P12ihipStream_tbPNSt15iterator_traitsISE_E10value_typeEPNSK_ISF_E10value_typeEPSG_NS1_7vsmem_tEENKUlT_SE_SF_SG_E_clIS8_S8_S9_S9_EESD_ST_SE_SF_SG_EUlST_E1_NS1_11comp_targetILNS1_3genE10ELNS1_11target_archE1201ELNS1_3gpuE5ELNS1_3repE0EEENS1_36merge_oddeven_config_static_selectorELNS0_4arch9wavefront6targetE1EEEvSF_
                                        ; -- End function
	.section	.AMDGPU.csdata,"",@progbits
; Kernel info:
; codeLenInByte = 0
; NumSgprs: 4
; NumVgprs: 0
; NumAgprs: 0
; TotalNumVgprs: 0
; ScratchSize: 0
; MemoryBound: 0
; FloatMode: 240
; IeeeMode: 1
; LDSByteSize: 0 bytes/workgroup (compile time only)
; SGPRBlocks: 0
; VGPRBlocks: 0
; NumSGPRsForWavesPerEU: 4
; NumVGPRsForWavesPerEU: 1
; AccumOffset: 4
; Occupancy: 8
; WaveLimiterHint : 0
; COMPUTE_PGM_RSRC2:SCRATCH_EN: 0
; COMPUTE_PGM_RSRC2:USER_SGPR: 6
; COMPUTE_PGM_RSRC2:TRAP_HANDLER: 0
; COMPUTE_PGM_RSRC2:TGID_X_EN: 1
; COMPUTE_PGM_RSRC2:TGID_Y_EN: 0
; COMPUTE_PGM_RSRC2:TGID_Z_EN: 0
; COMPUTE_PGM_RSRC2:TIDIG_COMP_CNT: 0
; COMPUTE_PGM_RSRC3_GFX90A:ACCUM_OFFSET: 0
; COMPUTE_PGM_RSRC3_GFX90A:TG_SPLIT: 0
	.section	.text._ZN7rocprim17ROCPRIM_400000_NS6detail17trampoline_kernelINS0_14default_configENS1_38merge_sort_block_merge_config_selectorImNS0_10empty_typeEEEZZNS1_27merge_sort_block_merge_implIS3_PmPS5_jNS1_19radix_merge_compareILb1ELb0EmNS0_19identity_decomposerEEEEE10hipError_tT0_T1_T2_jT3_P12ihipStream_tbPNSt15iterator_traitsISE_E10value_typeEPNSK_ISF_E10value_typeEPSG_NS1_7vsmem_tEENKUlT_SE_SF_SG_E_clIS8_S8_S9_S9_EESD_ST_SE_SF_SG_EUlST_E1_NS1_11comp_targetILNS1_3genE5ELNS1_11target_archE942ELNS1_3gpuE9ELNS1_3repE0EEENS1_36merge_oddeven_config_static_selectorELNS0_4arch9wavefront6targetE1EEEvSF_,"axG",@progbits,_ZN7rocprim17ROCPRIM_400000_NS6detail17trampoline_kernelINS0_14default_configENS1_38merge_sort_block_merge_config_selectorImNS0_10empty_typeEEEZZNS1_27merge_sort_block_merge_implIS3_PmPS5_jNS1_19radix_merge_compareILb1ELb0EmNS0_19identity_decomposerEEEEE10hipError_tT0_T1_T2_jT3_P12ihipStream_tbPNSt15iterator_traitsISE_E10value_typeEPNSK_ISF_E10value_typeEPSG_NS1_7vsmem_tEENKUlT_SE_SF_SG_E_clIS8_S8_S9_S9_EESD_ST_SE_SF_SG_EUlST_E1_NS1_11comp_targetILNS1_3genE5ELNS1_11target_archE942ELNS1_3gpuE9ELNS1_3repE0EEENS1_36merge_oddeven_config_static_selectorELNS0_4arch9wavefront6targetE1EEEvSF_,comdat
	.protected	_ZN7rocprim17ROCPRIM_400000_NS6detail17trampoline_kernelINS0_14default_configENS1_38merge_sort_block_merge_config_selectorImNS0_10empty_typeEEEZZNS1_27merge_sort_block_merge_implIS3_PmPS5_jNS1_19radix_merge_compareILb1ELb0EmNS0_19identity_decomposerEEEEE10hipError_tT0_T1_T2_jT3_P12ihipStream_tbPNSt15iterator_traitsISE_E10value_typeEPNSK_ISF_E10value_typeEPSG_NS1_7vsmem_tEENKUlT_SE_SF_SG_E_clIS8_S8_S9_S9_EESD_ST_SE_SF_SG_EUlST_E1_NS1_11comp_targetILNS1_3genE5ELNS1_11target_archE942ELNS1_3gpuE9ELNS1_3repE0EEENS1_36merge_oddeven_config_static_selectorELNS0_4arch9wavefront6targetE1EEEvSF_ ; -- Begin function _ZN7rocprim17ROCPRIM_400000_NS6detail17trampoline_kernelINS0_14default_configENS1_38merge_sort_block_merge_config_selectorImNS0_10empty_typeEEEZZNS1_27merge_sort_block_merge_implIS3_PmPS5_jNS1_19radix_merge_compareILb1ELb0EmNS0_19identity_decomposerEEEEE10hipError_tT0_T1_T2_jT3_P12ihipStream_tbPNSt15iterator_traitsISE_E10value_typeEPNSK_ISF_E10value_typeEPSG_NS1_7vsmem_tEENKUlT_SE_SF_SG_E_clIS8_S8_S9_S9_EESD_ST_SE_SF_SG_EUlST_E1_NS1_11comp_targetILNS1_3genE5ELNS1_11target_archE942ELNS1_3gpuE9ELNS1_3repE0EEENS1_36merge_oddeven_config_static_selectorELNS0_4arch9wavefront6targetE1EEEvSF_
	.globl	_ZN7rocprim17ROCPRIM_400000_NS6detail17trampoline_kernelINS0_14default_configENS1_38merge_sort_block_merge_config_selectorImNS0_10empty_typeEEEZZNS1_27merge_sort_block_merge_implIS3_PmPS5_jNS1_19radix_merge_compareILb1ELb0EmNS0_19identity_decomposerEEEEE10hipError_tT0_T1_T2_jT3_P12ihipStream_tbPNSt15iterator_traitsISE_E10value_typeEPNSK_ISF_E10value_typeEPSG_NS1_7vsmem_tEENKUlT_SE_SF_SG_E_clIS8_S8_S9_S9_EESD_ST_SE_SF_SG_EUlST_E1_NS1_11comp_targetILNS1_3genE5ELNS1_11target_archE942ELNS1_3gpuE9ELNS1_3repE0EEENS1_36merge_oddeven_config_static_selectorELNS0_4arch9wavefront6targetE1EEEvSF_
	.p2align	8
	.type	_ZN7rocprim17ROCPRIM_400000_NS6detail17trampoline_kernelINS0_14default_configENS1_38merge_sort_block_merge_config_selectorImNS0_10empty_typeEEEZZNS1_27merge_sort_block_merge_implIS3_PmPS5_jNS1_19radix_merge_compareILb1ELb0EmNS0_19identity_decomposerEEEEE10hipError_tT0_T1_T2_jT3_P12ihipStream_tbPNSt15iterator_traitsISE_E10value_typeEPNSK_ISF_E10value_typeEPSG_NS1_7vsmem_tEENKUlT_SE_SF_SG_E_clIS8_S8_S9_S9_EESD_ST_SE_SF_SG_EUlST_E1_NS1_11comp_targetILNS1_3genE5ELNS1_11target_archE942ELNS1_3gpuE9ELNS1_3repE0EEENS1_36merge_oddeven_config_static_selectorELNS0_4arch9wavefront6targetE1EEEvSF_,@function
_ZN7rocprim17ROCPRIM_400000_NS6detail17trampoline_kernelINS0_14default_configENS1_38merge_sort_block_merge_config_selectorImNS0_10empty_typeEEEZZNS1_27merge_sort_block_merge_implIS3_PmPS5_jNS1_19radix_merge_compareILb1ELb0EmNS0_19identity_decomposerEEEEE10hipError_tT0_T1_T2_jT3_P12ihipStream_tbPNSt15iterator_traitsISE_E10value_typeEPNSK_ISF_E10value_typeEPSG_NS1_7vsmem_tEENKUlT_SE_SF_SG_E_clIS8_S8_S9_S9_EESD_ST_SE_SF_SG_EUlST_E1_NS1_11comp_targetILNS1_3genE5ELNS1_11target_archE942ELNS1_3gpuE9ELNS1_3repE0EEENS1_36merge_oddeven_config_static_selectorELNS0_4arch9wavefront6targetE1EEEvSF_: ; @_ZN7rocprim17ROCPRIM_400000_NS6detail17trampoline_kernelINS0_14default_configENS1_38merge_sort_block_merge_config_selectorImNS0_10empty_typeEEEZZNS1_27merge_sort_block_merge_implIS3_PmPS5_jNS1_19radix_merge_compareILb1ELb0EmNS0_19identity_decomposerEEEEE10hipError_tT0_T1_T2_jT3_P12ihipStream_tbPNSt15iterator_traitsISE_E10value_typeEPNSK_ISF_E10value_typeEPSG_NS1_7vsmem_tEENKUlT_SE_SF_SG_E_clIS8_S8_S9_S9_EESD_ST_SE_SF_SG_EUlST_E1_NS1_11comp_targetILNS1_3genE5ELNS1_11target_archE942ELNS1_3gpuE9ELNS1_3repE0EEENS1_36merge_oddeven_config_static_selectorELNS0_4arch9wavefront6targetE1EEEvSF_
; %bb.0:
	.section	.rodata,"a",@progbits
	.p2align	6, 0x0
	.amdhsa_kernel _ZN7rocprim17ROCPRIM_400000_NS6detail17trampoline_kernelINS0_14default_configENS1_38merge_sort_block_merge_config_selectorImNS0_10empty_typeEEEZZNS1_27merge_sort_block_merge_implIS3_PmPS5_jNS1_19radix_merge_compareILb1ELb0EmNS0_19identity_decomposerEEEEE10hipError_tT0_T1_T2_jT3_P12ihipStream_tbPNSt15iterator_traitsISE_E10value_typeEPNSK_ISF_E10value_typeEPSG_NS1_7vsmem_tEENKUlT_SE_SF_SG_E_clIS8_S8_S9_S9_EESD_ST_SE_SF_SG_EUlST_E1_NS1_11comp_targetILNS1_3genE5ELNS1_11target_archE942ELNS1_3gpuE9ELNS1_3repE0EEENS1_36merge_oddeven_config_static_selectorELNS0_4arch9wavefront6targetE1EEEvSF_
		.amdhsa_group_segment_fixed_size 0
		.amdhsa_private_segment_fixed_size 0
		.amdhsa_kernarg_size 48
		.amdhsa_user_sgpr_count 6
		.amdhsa_user_sgpr_private_segment_buffer 1
		.amdhsa_user_sgpr_dispatch_ptr 0
		.amdhsa_user_sgpr_queue_ptr 0
		.amdhsa_user_sgpr_kernarg_segment_ptr 1
		.amdhsa_user_sgpr_dispatch_id 0
		.amdhsa_user_sgpr_flat_scratch_init 0
		.amdhsa_user_sgpr_kernarg_preload_length 0
		.amdhsa_user_sgpr_kernarg_preload_offset 0
		.amdhsa_user_sgpr_private_segment_size 0
		.amdhsa_uses_dynamic_stack 0
		.amdhsa_system_sgpr_private_segment_wavefront_offset 0
		.amdhsa_system_sgpr_workgroup_id_x 1
		.amdhsa_system_sgpr_workgroup_id_y 0
		.amdhsa_system_sgpr_workgroup_id_z 0
		.amdhsa_system_sgpr_workgroup_info 0
		.amdhsa_system_vgpr_workitem_id 0
		.amdhsa_next_free_vgpr 1
		.amdhsa_next_free_sgpr 0
		.amdhsa_accum_offset 4
		.amdhsa_reserve_vcc 0
		.amdhsa_reserve_flat_scratch 0
		.amdhsa_float_round_mode_32 0
		.amdhsa_float_round_mode_16_64 0
		.amdhsa_float_denorm_mode_32 3
		.amdhsa_float_denorm_mode_16_64 3
		.amdhsa_dx10_clamp 1
		.amdhsa_ieee_mode 1
		.amdhsa_fp16_overflow 0
		.amdhsa_tg_split 0
		.amdhsa_exception_fp_ieee_invalid_op 0
		.amdhsa_exception_fp_denorm_src 0
		.amdhsa_exception_fp_ieee_div_zero 0
		.amdhsa_exception_fp_ieee_overflow 0
		.amdhsa_exception_fp_ieee_underflow 0
		.amdhsa_exception_fp_ieee_inexact 0
		.amdhsa_exception_int_div_zero 0
	.end_amdhsa_kernel
	.section	.text._ZN7rocprim17ROCPRIM_400000_NS6detail17trampoline_kernelINS0_14default_configENS1_38merge_sort_block_merge_config_selectorImNS0_10empty_typeEEEZZNS1_27merge_sort_block_merge_implIS3_PmPS5_jNS1_19radix_merge_compareILb1ELb0EmNS0_19identity_decomposerEEEEE10hipError_tT0_T1_T2_jT3_P12ihipStream_tbPNSt15iterator_traitsISE_E10value_typeEPNSK_ISF_E10value_typeEPSG_NS1_7vsmem_tEENKUlT_SE_SF_SG_E_clIS8_S8_S9_S9_EESD_ST_SE_SF_SG_EUlST_E1_NS1_11comp_targetILNS1_3genE5ELNS1_11target_archE942ELNS1_3gpuE9ELNS1_3repE0EEENS1_36merge_oddeven_config_static_selectorELNS0_4arch9wavefront6targetE1EEEvSF_,"axG",@progbits,_ZN7rocprim17ROCPRIM_400000_NS6detail17trampoline_kernelINS0_14default_configENS1_38merge_sort_block_merge_config_selectorImNS0_10empty_typeEEEZZNS1_27merge_sort_block_merge_implIS3_PmPS5_jNS1_19radix_merge_compareILb1ELb0EmNS0_19identity_decomposerEEEEE10hipError_tT0_T1_T2_jT3_P12ihipStream_tbPNSt15iterator_traitsISE_E10value_typeEPNSK_ISF_E10value_typeEPSG_NS1_7vsmem_tEENKUlT_SE_SF_SG_E_clIS8_S8_S9_S9_EESD_ST_SE_SF_SG_EUlST_E1_NS1_11comp_targetILNS1_3genE5ELNS1_11target_archE942ELNS1_3gpuE9ELNS1_3repE0EEENS1_36merge_oddeven_config_static_selectorELNS0_4arch9wavefront6targetE1EEEvSF_,comdat
.Lfunc_end2243:
	.size	_ZN7rocprim17ROCPRIM_400000_NS6detail17trampoline_kernelINS0_14default_configENS1_38merge_sort_block_merge_config_selectorImNS0_10empty_typeEEEZZNS1_27merge_sort_block_merge_implIS3_PmPS5_jNS1_19radix_merge_compareILb1ELb0EmNS0_19identity_decomposerEEEEE10hipError_tT0_T1_T2_jT3_P12ihipStream_tbPNSt15iterator_traitsISE_E10value_typeEPNSK_ISF_E10value_typeEPSG_NS1_7vsmem_tEENKUlT_SE_SF_SG_E_clIS8_S8_S9_S9_EESD_ST_SE_SF_SG_EUlST_E1_NS1_11comp_targetILNS1_3genE5ELNS1_11target_archE942ELNS1_3gpuE9ELNS1_3repE0EEENS1_36merge_oddeven_config_static_selectorELNS0_4arch9wavefront6targetE1EEEvSF_, .Lfunc_end2243-_ZN7rocprim17ROCPRIM_400000_NS6detail17trampoline_kernelINS0_14default_configENS1_38merge_sort_block_merge_config_selectorImNS0_10empty_typeEEEZZNS1_27merge_sort_block_merge_implIS3_PmPS5_jNS1_19radix_merge_compareILb1ELb0EmNS0_19identity_decomposerEEEEE10hipError_tT0_T1_T2_jT3_P12ihipStream_tbPNSt15iterator_traitsISE_E10value_typeEPNSK_ISF_E10value_typeEPSG_NS1_7vsmem_tEENKUlT_SE_SF_SG_E_clIS8_S8_S9_S9_EESD_ST_SE_SF_SG_EUlST_E1_NS1_11comp_targetILNS1_3genE5ELNS1_11target_archE942ELNS1_3gpuE9ELNS1_3repE0EEENS1_36merge_oddeven_config_static_selectorELNS0_4arch9wavefront6targetE1EEEvSF_
                                        ; -- End function
	.section	.AMDGPU.csdata,"",@progbits
; Kernel info:
; codeLenInByte = 0
; NumSgprs: 4
; NumVgprs: 0
; NumAgprs: 0
; TotalNumVgprs: 0
; ScratchSize: 0
; MemoryBound: 0
; FloatMode: 240
; IeeeMode: 1
; LDSByteSize: 0 bytes/workgroup (compile time only)
; SGPRBlocks: 0
; VGPRBlocks: 0
; NumSGPRsForWavesPerEU: 4
; NumVGPRsForWavesPerEU: 1
; AccumOffset: 4
; Occupancy: 8
; WaveLimiterHint : 0
; COMPUTE_PGM_RSRC2:SCRATCH_EN: 0
; COMPUTE_PGM_RSRC2:USER_SGPR: 6
; COMPUTE_PGM_RSRC2:TRAP_HANDLER: 0
; COMPUTE_PGM_RSRC2:TGID_X_EN: 1
; COMPUTE_PGM_RSRC2:TGID_Y_EN: 0
; COMPUTE_PGM_RSRC2:TGID_Z_EN: 0
; COMPUTE_PGM_RSRC2:TIDIG_COMP_CNT: 0
; COMPUTE_PGM_RSRC3_GFX90A:ACCUM_OFFSET: 0
; COMPUTE_PGM_RSRC3_GFX90A:TG_SPLIT: 0
	.section	.text._ZN7rocprim17ROCPRIM_400000_NS6detail17trampoline_kernelINS0_14default_configENS1_38merge_sort_block_merge_config_selectorImNS0_10empty_typeEEEZZNS1_27merge_sort_block_merge_implIS3_PmPS5_jNS1_19radix_merge_compareILb1ELb0EmNS0_19identity_decomposerEEEEE10hipError_tT0_T1_T2_jT3_P12ihipStream_tbPNSt15iterator_traitsISE_E10value_typeEPNSK_ISF_E10value_typeEPSG_NS1_7vsmem_tEENKUlT_SE_SF_SG_E_clIS8_S8_S9_S9_EESD_ST_SE_SF_SG_EUlST_E1_NS1_11comp_targetILNS1_3genE4ELNS1_11target_archE910ELNS1_3gpuE8ELNS1_3repE0EEENS1_36merge_oddeven_config_static_selectorELNS0_4arch9wavefront6targetE1EEEvSF_,"axG",@progbits,_ZN7rocprim17ROCPRIM_400000_NS6detail17trampoline_kernelINS0_14default_configENS1_38merge_sort_block_merge_config_selectorImNS0_10empty_typeEEEZZNS1_27merge_sort_block_merge_implIS3_PmPS5_jNS1_19radix_merge_compareILb1ELb0EmNS0_19identity_decomposerEEEEE10hipError_tT0_T1_T2_jT3_P12ihipStream_tbPNSt15iterator_traitsISE_E10value_typeEPNSK_ISF_E10value_typeEPSG_NS1_7vsmem_tEENKUlT_SE_SF_SG_E_clIS8_S8_S9_S9_EESD_ST_SE_SF_SG_EUlST_E1_NS1_11comp_targetILNS1_3genE4ELNS1_11target_archE910ELNS1_3gpuE8ELNS1_3repE0EEENS1_36merge_oddeven_config_static_selectorELNS0_4arch9wavefront6targetE1EEEvSF_,comdat
	.protected	_ZN7rocprim17ROCPRIM_400000_NS6detail17trampoline_kernelINS0_14default_configENS1_38merge_sort_block_merge_config_selectorImNS0_10empty_typeEEEZZNS1_27merge_sort_block_merge_implIS3_PmPS5_jNS1_19radix_merge_compareILb1ELb0EmNS0_19identity_decomposerEEEEE10hipError_tT0_T1_T2_jT3_P12ihipStream_tbPNSt15iterator_traitsISE_E10value_typeEPNSK_ISF_E10value_typeEPSG_NS1_7vsmem_tEENKUlT_SE_SF_SG_E_clIS8_S8_S9_S9_EESD_ST_SE_SF_SG_EUlST_E1_NS1_11comp_targetILNS1_3genE4ELNS1_11target_archE910ELNS1_3gpuE8ELNS1_3repE0EEENS1_36merge_oddeven_config_static_selectorELNS0_4arch9wavefront6targetE1EEEvSF_ ; -- Begin function _ZN7rocprim17ROCPRIM_400000_NS6detail17trampoline_kernelINS0_14default_configENS1_38merge_sort_block_merge_config_selectorImNS0_10empty_typeEEEZZNS1_27merge_sort_block_merge_implIS3_PmPS5_jNS1_19radix_merge_compareILb1ELb0EmNS0_19identity_decomposerEEEEE10hipError_tT0_T1_T2_jT3_P12ihipStream_tbPNSt15iterator_traitsISE_E10value_typeEPNSK_ISF_E10value_typeEPSG_NS1_7vsmem_tEENKUlT_SE_SF_SG_E_clIS8_S8_S9_S9_EESD_ST_SE_SF_SG_EUlST_E1_NS1_11comp_targetILNS1_3genE4ELNS1_11target_archE910ELNS1_3gpuE8ELNS1_3repE0EEENS1_36merge_oddeven_config_static_selectorELNS0_4arch9wavefront6targetE1EEEvSF_
	.globl	_ZN7rocprim17ROCPRIM_400000_NS6detail17trampoline_kernelINS0_14default_configENS1_38merge_sort_block_merge_config_selectorImNS0_10empty_typeEEEZZNS1_27merge_sort_block_merge_implIS3_PmPS5_jNS1_19radix_merge_compareILb1ELb0EmNS0_19identity_decomposerEEEEE10hipError_tT0_T1_T2_jT3_P12ihipStream_tbPNSt15iterator_traitsISE_E10value_typeEPNSK_ISF_E10value_typeEPSG_NS1_7vsmem_tEENKUlT_SE_SF_SG_E_clIS8_S8_S9_S9_EESD_ST_SE_SF_SG_EUlST_E1_NS1_11comp_targetILNS1_3genE4ELNS1_11target_archE910ELNS1_3gpuE8ELNS1_3repE0EEENS1_36merge_oddeven_config_static_selectorELNS0_4arch9wavefront6targetE1EEEvSF_
	.p2align	8
	.type	_ZN7rocprim17ROCPRIM_400000_NS6detail17trampoline_kernelINS0_14default_configENS1_38merge_sort_block_merge_config_selectorImNS0_10empty_typeEEEZZNS1_27merge_sort_block_merge_implIS3_PmPS5_jNS1_19radix_merge_compareILb1ELb0EmNS0_19identity_decomposerEEEEE10hipError_tT0_T1_T2_jT3_P12ihipStream_tbPNSt15iterator_traitsISE_E10value_typeEPNSK_ISF_E10value_typeEPSG_NS1_7vsmem_tEENKUlT_SE_SF_SG_E_clIS8_S8_S9_S9_EESD_ST_SE_SF_SG_EUlST_E1_NS1_11comp_targetILNS1_3genE4ELNS1_11target_archE910ELNS1_3gpuE8ELNS1_3repE0EEENS1_36merge_oddeven_config_static_selectorELNS0_4arch9wavefront6targetE1EEEvSF_,@function
_ZN7rocprim17ROCPRIM_400000_NS6detail17trampoline_kernelINS0_14default_configENS1_38merge_sort_block_merge_config_selectorImNS0_10empty_typeEEEZZNS1_27merge_sort_block_merge_implIS3_PmPS5_jNS1_19radix_merge_compareILb1ELb0EmNS0_19identity_decomposerEEEEE10hipError_tT0_T1_T2_jT3_P12ihipStream_tbPNSt15iterator_traitsISE_E10value_typeEPNSK_ISF_E10value_typeEPSG_NS1_7vsmem_tEENKUlT_SE_SF_SG_E_clIS8_S8_S9_S9_EESD_ST_SE_SF_SG_EUlST_E1_NS1_11comp_targetILNS1_3genE4ELNS1_11target_archE910ELNS1_3gpuE8ELNS1_3repE0EEENS1_36merge_oddeven_config_static_selectorELNS0_4arch9wavefront6targetE1EEEvSF_: ; @_ZN7rocprim17ROCPRIM_400000_NS6detail17trampoline_kernelINS0_14default_configENS1_38merge_sort_block_merge_config_selectorImNS0_10empty_typeEEEZZNS1_27merge_sort_block_merge_implIS3_PmPS5_jNS1_19radix_merge_compareILb1ELb0EmNS0_19identity_decomposerEEEEE10hipError_tT0_T1_T2_jT3_P12ihipStream_tbPNSt15iterator_traitsISE_E10value_typeEPNSK_ISF_E10value_typeEPSG_NS1_7vsmem_tEENKUlT_SE_SF_SG_E_clIS8_S8_S9_S9_EESD_ST_SE_SF_SG_EUlST_E1_NS1_11comp_targetILNS1_3genE4ELNS1_11target_archE910ELNS1_3gpuE8ELNS1_3repE0EEENS1_36merge_oddeven_config_static_selectorELNS0_4arch9wavefront6targetE1EEEvSF_
; %bb.0:
	s_load_dword s18, s[4:5], 0x20
	s_waitcnt lgkmcnt(0)
	s_lshr_b32 s0, s18, 8
	s_cmp_lg_u32 s6, s0
	s_cselect_b64 s[14:15], -1, 0
	s_cmp_eq_u32 s6, s0
	s_cselect_b64 s[12:13], -1, 0
	s_lshl_b32 s16, s6, 8
	s_sub_i32 s0, s18, s16
	v_cmp_gt_u32_e64 s[2:3], s0, v0
	s_or_b64 s[0:1], s[14:15], s[2:3]
	s_and_saveexec_b64 s[8:9], s[0:1]
	s_cbranch_execz .LBB2244_20
; %bb.1:
	s_load_dwordx4 s[8:11], s[4:5], 0x0
	s_load_dword s19, s[4:5], 0x24
	s_mov_b32 s17, 0
	s_lshl_b64 s[0:1], s[16:17], 3
	v_lshlrev_b32_e32 v1, 3, v0
	s_waitcnt lgkmcnt(0)
	s_add_u32 s0, s8, s0
	s_addc_u32 s1, s9, s1
	global_load_dwordx2 v[2:3], v1, s[0:1]
	s_lshr_b32 s0, s19, 8
	s_sub_i32 s1, 0, s0
	s_and_b32 s1, s6, s1
	s_and_b32 s0, s1, s0
	s_lshl_b32 s20, s1, 8
	s_sub_i32 s6, 0, s19
	s_cmp_eq_u32 s0, 0
	s_cselect_b64 s[0:1], -1, 0
	s_and_b64 s[4:5], s[0:1], exec
	s_cselect_b32 s17, s19, s6
	s_add_i32 s17, s17, s20
	s_cmp_lt_u32 s17, s18
	v_add_u32_e32 v0, s16, v0
	s_cbranch_scc1 .LBB2244_3
; %bb.2:
	v_cmp_gt_u32_e32 vcc, s18, v0
	s_or_b64 s[4:5], vcc, s[14:15]
	s_and_b64 s[4:5], s[4:5], exec
	s_cbranch_execz .LBB2244_4
	s_branch .LBB2244_18
.LBB2244_3:
	s_mov_b64 s[4:5], 0
.LBB2244_4:
	s_min_u32 s14, s17, s18
	s_add_i32 s6, s14, s19
	s_min_u32 s15, s6, s18
	s_min_u32 s6, s20, s14
	s_add_i32 s20, s20, s14
	v_subrev_u32_e32 v0, s20, v0
	v_add_u32_e32 v4, s6, v0
	s_and_b64 vcc, exec, s[12:13]
	s_cbranch_vccz .LBB2244_12
; %bb.5:
                                        ; implicit-def: $vgpr0
	s_and_saveexec_b64 s[6:7], s[2:3]
	s_cbranch_execz .LBB2244_11
; %bb.6:
	s_cmp_ge_u32 s17, s15
	v_mov_b32_e32 v5, s14
	s_cbranch_scc1 .LBB2244_10
; %bb.7:
	s_mov_b64 s[2:3], 0
	v_mov_b32_e32 v6, s15
	v_mov_b32_e32 v5, s14
	;; [unrolled: 1-line block ×4, first 2 shown]
.LBB2244_8:                             ; =>This Inner Loop Header: Depth=1
	v_add_u32_e32 v0, v5, v6
	v_lshrrev_b32_e32 v0, 1, v0
	v_lshlrev_b64 v[8:9], 3, v[0:1]
	v_add_co_u32_e32 v8, vcc, s8, v8
	v_addc_co_u32_e32 v9, vcc, v7, v9, vcc
	global_load_dwordx2 v[8:9], v[8:9], off
	v_add_u32_e32 v10, 1, v0
	s_waitcnt vmcnt(0)
	v_cmp_gt_u64_e32 vcc, v[8:9], v[2:3]
	v_cndmask_b32_e64 v11, 0, 1, vcc
	v_cmp_le_u64_e32 vcc, v[2:3], v[8:9]
	v_cndmask_b32_e64 v8, 0, 1, vcc
	v_cndmask_b32_e64 v8, v8, v11, s[0:1]
	v_and_b32_e32 v8, 1, v8
	v_cmp_eq_u32_e32 vcc, 1, v8
	v_cndmask_b32_e32 v6, v0, v6, vcc
	v_cndmask_b32_e32 v5, v5, v10, vcc
	v_cmp_ge_u32_e32 vcc, v5, v6
	s_or_b64 s[2:3], vcc, s[2:3]
	s_andn2_b64 exec, exec, s[2:3]
	s_cbranch_execnz .LBB2244_8
; %bb.9:
	s_or_b64 exec, exec, s[2:3]
.LBB2244_10:
	v_add_u32_e32 v0, v5, v4
	s_or_b64 s[4:5], s[4:5], exec
.LBB2244_11:
	s_or_b64 exec, exec, s[6:7]
	s_branch .LBB2244_18
.LBB2244_12:
                                        ; implicit-def: $vgpr0
	s_cbranch_execz .LBB2244_18
; %bb.13:
	s_cmp_ge_u32 s17, s15
	v_mov_b32_e32 v5, s14
	s_cbranch_scc1 .LBB2244_17
; %bb.14:
	s_mov_b64 s[2:3], 0
	v_mov_b32_e32 v6, s15
	v_mov_b32_e32 v5, s14
	;; [unrolled: 1-line block ×4, first 2 shown]
.LBB2244_15:                            ; =>This Inner Loop Header: Depth=1
	v_add_u32_e32 v0, v5, v6
	v_lshrrev_b32_e32 v0, 1, v0
	v_lshlrev_b64 v[8:9], 3, v[0:1]
	v_add_co_u32_e32 v8, vcc, s8, v8
	v_addc_co_u32_e32 v9, vcc, v7, v9, vcc
	global_load_dwordx2 v[8:9], v[8:9], off
	v_add_u32_e32 v10, 1, v0
	s_waitcnt vmcnt(0)
	v_cmp_gt_u64_e32 vcc, v[8:9], v[2:3]
	v_cndmask_b32_e64 v11, 0, 1, vcc
	v_cmp_le_u64_e32 vcc, v[2:3], v[8:9]
	v_cndmask_b32_e64 v8, 0, 1, vcc
	v_cndmask_b32_e64 v8, v8, v11, s[0:1]
	v_and_b32_e32 v8, 1, v8
	v_cmp_eq_u32_e32 vcc, 1, v8
	v_cndmask_b32_e32 v6, v0, v6, vcc
	v_cndmask_b32_e32 v5, v5, v10, vcc
	v_cmp_ge_u32_e32 vcc, v5, v6
	s_or_b64 s[2:3], vcc, s[2:3]
	s_andn2_b64 exec, exec, s[2:3]
	s_cbranch_execnz .LBB2244_15
; %bb.16:
	s_or_b64 exec, exec, s[2:3]
.LBB2244_17:
	v_add_u32_e32 v0, v5, v4
	s_mov_b64 s[4:5], -1
.LBB2244_18:
	s_and_b64 exec, exec, s[4:5]
	s_cbranch_execz .LBB2244_20
; %bb.19:
	v_mov_b32_e32 v1, 0
	v_lshlrev_b64 v[0:1], 3, v[0:1]
	v_mov_b32_e32 v4, s11
	v_add_co_u32_e32 v0, vcc, s10, v0
	v_addc_co_u32_e32 v1, vcc, v4, v1, vcc
	s_waitcnt vmcnt(0)
	global_store_dwordx2 v[0:1], v[2:3], off
.LBB2244_20:
	s_endpgm
	.section	.rodata,"a",@progbits
	.p2align	6, 0x0
	.amdhsa_kernel _ZN7rocprim17ROCPRIM_400000_NS6detail17trampoline_kernelINS0_14default_configENS1_38merge_sort_block_merge_config_selectorImNS0_10empty_typeEEEZZNS1_27merge_sort_block_merge_implIS3_PmPS5_jNS1_19radix_merge_compareILb1ELb0EmNS0_19identity_decomposerEEEEE10hipError_tT0_T1_T2_jT3_P12ihipStream_tbPNSt15iterator_traitsISE_E10value_typeEPNSK_ISF_E10value_typeEPSG_NS1_7vsmem_tEENKUlT_SE_SF_SG_E_clIS8_S8_S9_S9_EESD_ST_SE_SF_SG_EUlST_E1_NS1_11comp_targetILNS1_3genE4ELNS1_11target_archE910ELNS1_3gpuE8ELNS1_3repE0EEENS1_36merge_oddeven_config_static_selectorELNS0_4arch9wavefront6targetE1EEEvSF_
		.amdhsa_group_segment_fixed_size 0
		.amdhsa_private_segment_fixed_size 0
		.amdhsa_kernarg_size 48
		.amdhsa_user_sgpr_count 6
		.amdhsa_user_sgpr_private_segment_buffer 1
		.amdhsa_user_sgpr_dispatch_ptr 0
		.amdhsa_user_sgpr_queue_ptr 0
		.amdhsa_user_sgpr_kernarg_segment_ptr 1
		.amdhsa_user_sgpr_dispatch_id 0
		.amdhsa_user_sgpr_flat_scratch_init 0
		.amdhsa_user_sgpr_kernarg_preload_length 0
		.amdhsa_user_sgpr_kernarg_preload_offset 0
		.amdhsa_user_sgpr_private_segment_size 0
		.amdhsa_uses_dynamic_stack 0
		.amdhsa_system_sgpr_private_segment_wavefront_offset 0
		.amdhsa_system_sgpr_workgroup_id_x 1
		.amdhsa_system_sgpr_workgroup_id_y 0
		.amdhsa_system_sgpr_workgroup_id_z 0
		.amdhsa_system_sgpr_workgroup_info 0
		.amdhsa_system_vgpr_workitem_id 0
		.amdhsa_next_free_vgpr 12
		.amdhsa_next_free_sgpr 21
		.amdhsa_accum_offset 12
		.amdhsa_reserve_vcc 1
		.amdhsa_reserve_flat_scratch 0
		.amdhsa_float_round_mode_32 0
		.amdhsa_float_round_mode_16_64 0
		.amdhsa_float_denorm_mode_32 3
		.amdhsa_float_denorm_mode_16_64 3
		.amdhsa_dx10_clamp 1
		.amdhsa_ieee_mode 1
		.amdhsa_fp16_overflow 0
		.amdhsa_tg_split 0
		.amdhsa_exception_fp_ieee_invalid_op 0
		.amdhsa_exception_fp_denorm_src 0
		.amdhsa_exception_fp_ieee_div_zero 0
		.amdhsa_exception_fp_ieee_overflow 0
		.amdhsa_exception_fp_ieee_underflow 0
		.amdhsa_exception_fp_ieee_inexact 0
		.amdhsa_exception_int_div_zero 0
	.end_amdhsa_kernel
	.section	.text._ZN7rocprim17ROCPRIM_400000_NS6detail17trampoline_kernelINS0_14default_configENS1_38merge_sort_block_merge_config_selectorImNS0_10empty_typeEEEZZNS1_27merge_sort_block_merge_implIS3_PmPS5_jNS1_19radix_merge_compareILb1ELb0EmNS0_19identity_decomposerEEEEE10hipError_tT0_T1_T2_jT3_P12ihipStream_tbPNSt15iterator_traitsISE_E10value_typeEPNSK_ISF_E10value_typeEPSG_NS1_7vsmem_tEENKUlT_SE_SF_SG_E_clIS8_S8_S9_S9_EESD_ST_SE_SF_SG_EUlST_E1_NS1_11comp_targetILNS1_3genE4ELNS1_11target_archE910ELNS1_3gpuE8ELNS1_3repE0EEENS1_36merge_oddeven_config_static_selectorELNS0_4arch9wavefront6targetE1EEEvSF_,"axG",@progbits,_ZN7rocprim17ROCPRIM_400000_NS6detail17trampoline_kernelINS0_14default_configENS1_38merge_sort_block_merge_config_selectorImNS0_10empty_typeEEEZZNS1_27merge_sort_block_merge_implIS3_PmPS5_jNS1_19radix_merge_compareILb1ELb0EmNS0_19identity_decomposerEEEEE10hipError_tT0_T1_T2_jT3_P12ihipStream_tbPNSt15iterator_traitsISE_E10value_typeEPNSK_ISF_E10value_typeEPSG_NS1_7vsmem_tEENKUlT_SE_SF_SG_E_clIS8_S8_S9_S9_EESD_ST_SE_SF_SG_EUlST_E1_NS1_11comp_targetILNS1_3genE4ELNS1_11target_archE910ELNS1_3gpuE8ELNS1_3repE0EEENS1_36merge_oddeven_config_static_selectorELNS0_4arch9wavefront6targetE1EEEvSF_,comdat
.Lfunc_end2244:
	.size	_ZN7rocprim17ROCPRIM_400000_NS6detail17trampoline_kernelINS0_14default_configENS1_38merge_sort_block_merge_config_selectorImNS0_10empty_typeEEEZZNS1_27merge_sort_block_merge_implIS3_PmPS5_jNS1_19radix_merge_compareILb1ELb0EmNS0_19identity_decomposerEEEEE10hipError_tT0_T1_T2_jT3_P12ihipStream_tbPNSt15iterator_traitsISE_E10value_typeEPNSK_ISF_E10value_typeEPSG_NS1_7vsmem_tEENKUlT_SE_SF_SG_E_clIS8_S8_S9_S9_EESD_ST_SE_SF_SG_EUlST_E1_NS1_11comp_targetILNS1_3genE4ELNS1_11target_archE910ELNS1_3gpuE8ELNS1_3repE0EEENS1_36merge_oddeven_config_static_selectorELNS0_4arch9wavefront6targetE1EEEvSF_, .Lfunc_end2244-_ZN7rocprim17ROCPRIM_400000_NS6detail17trampoline_kernelINS0_14default_configENS1_38merge_sort_block_merge_config_selectorImNS0_10empty_typeEEEZZNS1_27merge_sort_block_merge_implIS3_PmPS5_jNS1_19radix_merge_compareILb1ELb0EmNS0_19identity_decomposerEEEEE10hipError_tT0_T1_T2_jT3_P12ihipStream_tbPNSt15iterator_traitsISE_E10value_typeEPNSK_ISF_E10value_typeEPSG_NS1_7vsmem_tEENKUlT_SE_SF_SG_E_clIS8_S8_S9_S9_EESD_ST_SE_SF_SG_EUlST_E1_NS1_11comp_targetILNS1_3genE4ELNS1_11target_archE910ELNS1_3gpuE8ELNS1_3repE0EEENS1_36merge_oddeven_config_static_selectorELNS0_4arch9wavefront6targetE1EEEvSF_
                                        ; -- End function
	.section	.AMDGPU.csdata,"",@progbits
; Kernel info:
; codeLenInByte = 588
; NumSgprs: 25
; NumVgprs: 12
; NumAgprs: 0
; TotalNumVgprs: 12
; ScratchSize: 0
; MemoryBound: 0
; FloatMode: 240
; IeeeMode: 1
; LDSByteSize: 0 bytes/workgroup (compile time only)
; SGPRBlocks: 3
; VGPRBlocks: 1
; NumSGPRsForWavesPerEU: 25
; NumVGPRsForWavesPerEU: 12
; AccumOffset: 12
; Occupancy: 8
; WaveLimiterHint : 0
; COMPUTE_PGM_RSRC2:SCRATCH_EN: 0
; COMPUTE_PGM_RSRC2:USER_SGPR: 6
; COMPUTE_PGM_RSRC2:TRAP_HANDLER: 0
; COMPUTE_PGM_RSRC2:TGID_X_EN: 1
; COMPUTE_PGM_RSRC2:TGID_Y_EN: 0
; COMPUTE_PGM_RSRC2:TGID_Z_EN: 0
; COMPUTE_PGM_RSRC2:TIDIG_COMP_CNT: 0
; COMPUTE_PGM_RSRC3_GFX90A:ACCUM_OFFSET: 2
; COMPUTE_PGM_RSRC3_GFX90A:TG_SPLIT: 0
	.section	.text._ZN7rocprim17ROCPRIM_400000_NS6detail17trampoline_kernelINS0_14default_configENS1_38merge_sort_block_merge_config_selectorImNS0_10empty_typeEEEZZNS1_27merge_sort_block_merge_implIS3_PmPS5_jNS1_19radix_merge_compareILb1ELb0EmNS0_19identity_decomposerEEEEE10hipError_tT0_T1_T2_jT3_P12ihipStream_tbPNSt15iterator_traitsISE_E10value_typeEPNSK_ISF_E10value_typeEPSG_NS1_7vsmem_tEENKUlT_SE_SF_SG_E_clIS8_S8_S9_S9_EESD_ST_SE_SF_SG_EUlST_E1_NS1_11comp_targetILNS1_3genE3ELNS1_11target_archE908ELNS1_3gpuE7ELNS1_3repE0EEENS1_36merge_oddeven_config_static_selectorELNS0_4arch9wavefront6targetE1EEEvSF_,"axG",@progbits,_ZN7rocprim17ROCPRIM_400000_NS6detail17trampoline_kernelINS0_14default_configENS1_38merge_sort_block_merge_config_selectorImNS0_10empty_typeEEEZZNS1_27merge_sort_block_merge_implIS3_PmPS5_jNS1_19radix_merge_compareILb1ELb0EmNS0_19identity_decomposerEEEEE10hipError_tT0_T1_T2_jT3_P12ihipStream_tbPNSt15iterator_traitsISE_E10value_typeEPNSK_ISF_E10value_typeEPSG_NS1_7vsmem_tEENKUlT_SE_SF_SG_E_clIS8_S8_S9_S9_EESD_ST_SE_SF_SG_EUlST_E1_NS1_11comp_targetILNS1_3genE3ELNS1_11target_archE908ELNS1_3gpuE7ELNS1_3repE0EEENS1_36merge_oddeven_config_static_selectorELNS0_4arch9wavefront6targetE1EEEvSF_,comdat
	.protected	_ZN7rocprim17ROCPRIM_400000_NS6detail17trampoline_kernelINS0_14default_configENS1_38merge_sort_block_merge_config_selectorImNS0_10empty_typeEEEZZNS1_27merge_sort_block_merge_implIS3_PmPS5_jNS1_19radix_merge_compareILb1ELb0EmNS0_19identity_decomposerEEEEE10hipError_tT0_T1_T2_jT3_P12ihipStream_tbPNSt15iterator_traitsISE_E10value_typeEPNSK_ISF_E10value_typeEPSG_NS1_7vsmem_tEENKUlT_SE_SF_SG_E_clIS8_S8_S9_S9_EESD_ST_SE_SF_SG_EUlST_E1_NS1_11comp_targetILNS1_3genE3ELNS1_11target_archE908ELNS1_3gpuE7ELNS1_3repE0EEENS1_36merge_oddeven_config_static_selectorELNS0_4arch9wavefront6targetE1EEEvSF_ ; -- Begin function _ZN7rocprim17ROCPRIM_400000_NS6detail17trampoline_kernelINS0_14default_configENS1_38merge_sort_block_merge_config_selectorImNS0_10empty_typeEEEZZNS1_27merge_sort_block_merge_implIS3_PmPS5_jNS1_19radix_merge_compareILb1ELb0EmNS0_19identity_decomposerEEEEE10hipError_tT0_T1_T2_jT3_P12ihipStream_tbPNSt15iterator_traitsISE_E10value_typeEPNSK_ISF_E10value_typeEPSG_NS1_7vsmem_tEENKUlT_SE_SF_SG_E_clIS8_S8_S9_S9_EESD_ST_SE_SF_SG_EUlST_E1_NS1_11comp_targetILNS1_3genE3ELNS1_11target_archE908ELNS1_3gpuE7ELNS1_3repE0EEENS1_36merge_oddeven_config_static_selectorELNS0_4arch9wavefront6targetE1EEEvSF_
	.globl	_ZN7rocprim17ROCPRIM_400000_NS6detail17trampoline_kernelINS0_14default_configENS1_38merge_sort_block_merge_config_selectorImNS0_10empty_typeEEEZZNS1_27merge_sort_block_merge_implIS3_PmPS5_jNS1_19radix_merge_compareILb1ELb0EmNS0_19identity_decomposerEEEEE10hipError_tT0_T1_T2_jT3_P12ihipStream_tbPNSt15iterator_traitsISE_E10value_typeEPNSK_ISF_E10value_typeEPSG_NS1_7vsmem_tEENKUlT_SE_SF_SG_E_clIS8_S8_S9_S9_EESD_ST_SE_SF_SG_EUlST_E1_NS1_11comp_targetILNS1_3genE3ELNS1_11target_archE908ELNS1_3gpuE7ELNS1_3repE0EEENS1_36merge_oddeven_config_static_selectorELNS0_4arch9wavefront6targetE1EEEvSF_
	.p2align	8
	.type	_ZN7rocprim17ROCPRIM_400000_NS6detail17trampoline_kernelINS0_14default_configENS1_38merge_sort_block_merge_config_selectorImNS0_10empty_typeEEEZZNS1_27merge_sort_block_merge_implIS3_PmPS5_jNS1_19radix_merge_compareILb1ELb0EmNS0_19identity_decomposerEEEEE10hipError_tT0_T1_T2_jT3_P12ihipStream_tbPNSt15iterator_traitsISE_E10value_typeEPNSK_ISF_E10value_typeEPSG_NS1_7vsmem_tEENKUlT_SE_SF_SG_E_clIS8_S8_S9_S9_EESD_ST_SE_SF_SG_EUlST_E1_NS1_11comp_targetILNS1_3genE3ELNS1_11target_archE908ELNS1_3gpuE7ELNS1_3repE0EEENS1_36merge_oddeven_config_static_selectorELNS0_4arch9wavefront6targetE1EEEvSF_,@function
_ZN7rocprim17ROCPRIM_400000_NS6detail17trampoline_kernelINS0_14default_configENS1_38merge_sort_block_merge_config_selectorImNS0_10empty_typeEEEZZNS1_27merge_sort_block_merge_implIS3_PmPS5_jNS1_19radix_merge_compareILb1ELb0EmNS0_19identity_decomposerEEEEE10hipError_tT0_T1_T2_jT3_P12ihipStream_tbPNSt15iterator_traitsISE_E10value_typeEPNSK_ISF_E10value_typeEPSG_NS1_7vsmem_tEENKUlT_SE_SF_SG_E_clIS8_S8_S9_S9_EESD_ST_SE_SF_SG_EUlST_E1_NS1_11comp_targetILNS1_3genE3ELNS1_11target_archE908ELNS1_3gpuE7ELNS1_3repE0EEENS1_36merge_oddeven_config_static_selectorELNS0_4arch9wavefront6targetE1EEEvSF_: ; @_ZN7rocprim17ROCPRIM_400000_NS6detail17trampoline_kernelINS0_14default_configENS1_38merge_sort_block_merge_config_selectorImNS0_10empty_typeEEEZZNS1_27merge_sort_block_merge_implIS3_PmPS5_jNS1_19radix_merge_compareILb1ELb0EmNS0_19identity_decomposerEEEEE10hipError_tT0_T1_T2_jT3_P12ihipStream_tbPNSt15iterator_traitsISE_E10value_typeEPNSK_ISF_E10value_typeEPSG_NS1_7vsmem_tEENKUlT_SE_SF_SG_E_clIS8_S8_S9_S9_EESD_ST_SE_SF_SG_EUlST_E1_NS1_11comp_targetILNS1_3genE3ELNS1_11target_archE908ELNS1_3gpuE7ELNS1_3repE0EEENS1_36merge_oddeven_config_static_selectorELNS0_4arch9wavefront6targetE1EEEvSF_
; %bb.0:
	.section	.rodata,"a",@progbits
	.p2align	6, 0x0
	.amdhsa_kernel _ZN7rocprim17ROCPRIM_400000_NS6detail17trampoline_kernelINS0_14default_configENS1_38merge_sort_block_merge_config_selectorImNS0_10empty_typeEEEZZNS1_27merge_sort_block_merge_implIS3_PmPS5_jNS1_19radix_merge_compareILb1ELb0EmNS0_19identity_decomposerEEEEE10hipError_tT0_T1_T2_jT3_P12ihipStream_tbPNSt15iterator_traitsISE_E10value_typeEPNSK_ISF_E10value_typeEPSG_NS1_7vsmem_tEENKUlT_SE_SF_SG_E_clIS8_S8_S9_S9_EESD_ST_SE_SF_SG_EUlST_E1_NS1_11comp_targetILNS1_3genE3ELNS1_11target_archE908ELNS1_3gpuE7ELNS1_3repE0EEENS1_36merge_oddeven_config_static_selectorELNS0_4arch9wavefront6targetE1EEEvSF_
		.amdhsa_group_segment_fixed_size 0
		.amdhsa_private_segment_fixed_size 0
		.amdhsa_kernarg_size 48
		.amdhsa_user_sgpr_count 6
		.amdhsa_user_sgpr_private_segment_buffer 1
		.amdhsa_user_sgpr_dispatch_ptr 0
		.amdhsa_user_sgpr_queue_ptr 0
		.amdhsa_user_sgpr_kernarg_segment_ptr 1
		.amdhsa_user_sgpr_dispatch_id 0
		.amdhsa_user_sgpr_flat_scratch_init 0
		.amdhsa_user_sgpr_kernarg_preload_length 0
		.amdhsa_user_sgpr_kernarg_preload_offset 0
		.amdhsa_user_sgpr_private_segment_size 0
		.amdhsa_uses_dynamic_stack 0
		.amdhsa_system_sgpr_private_segment_wavefront_offset 0
		.amdhsa_system_sgpr_workgroup_id_x 1
		.amdhsa_system_sgpr_workgroup_id_y 0
		.amdhsa_system_sgpr_workgroup_id_z 0
		.amdhsa_system_sgpr_workgroup_info 0
		.amdhsa_system_vgpr_workitem_id 0
		.amdhsa_next_free_vgpr 1
		.amdhsa_next_free_sgpr 0
		.amdhsa_accum_offset 4
		.amdhsa_reserve_vcc 0
		.amdhsa_reserve_flat_scratch 0
		.amdhsa_float_round_mode_32 0
		.amdhsa_float_round_mode_16_64 0
		.amdhsa_float_denorm_mode_32 3
		.amdhsa_float_denorm_mode_16_64 3
		.amdhsa_dx10_clamp 1
		.amdhsa_ieee_mode 1
		.amdhsa_fp16_overflow 0
		.amdhsa_tg_split 0
		.amdhsa_exception_fp_ieee_invalid_op 0
		.amdhsa_exception_fp_denorm_src 0
		.amdhsa_exception_fp_ieee_div_zero 0
		.amdhsa_exception_fp_ieee_overflow 0
		.amdhsa_exception_fp_ieee_underflow 0
		.amdhsa_exception_fp_ieee_inexact 0
		.amdhsa_exception_int_div_zero 0
	.end_amdhsa_kernel
	.section	.text._ZN7rocprim17ROCPRIM_400000_NS6detail17trampoline_kernelINS0_14default_configENS1_38merge_sort_block_merge_config_selectorImNS0_10empty_typeEEEZZNS1_27merge_sort_block_merge_implIS3_PmPS5_jNS1_19radix_merge_compareILb1ELb0EmNS0_19identity_decomposerEEEEE10hipError_tT0_T1_T2_jT3_P12ihipStream_tbPNSt15iterator_traitsISE_E10value_typeEPNSK_ISF_E10value_typeEPSG_NS1_7vsmem_tEENKUlT_SE_SF_SG_E_clIS8_S8_S9_S9_EESD_ST_SE_SF_SG_EUlST_E1_NS1_11comp_targetILNS1_3genE3ELNS1_11target_archE908ELNS1_3gpuE7ELNS1_3repE0EEENS1_36merge_oddeven_config_static_selectorELNS0_4arch9wavefront6targetE1EEEvSF_,"axG",@progbits,_ZN7rocprim17ROCPRIM_400000_NS6detail17trampoline_kernelINS0_14default_configENS1_38merge_sort_block_merge_config_selectorImNS0_10empty_typeEEEZZNS1_27merge_sort_block_merge_implIS3_PmPS5_jNS1_19radix_merge_compareILb1ELb0EmNS0_19identity_decomposerEEEEE10hipError_tT0_T1_T2_jT3_P12ihipStream_tbPNSt15iterator_traitsISE_E10value_typeEPNSK_ISF_E10value_typeEPSG_NS1_7vsmem_tEENKUlT_SE_SF_SG_E_clIS8_S8_S9_S9_EESD_ST_SE_SF_SG_EUlST_E1_NS1_11comp_targetILNS1_3genE3ELNS1_11target_archE908ELNS1_3gpuE7ELNS1_3repE0EEENS1_36merge_oddeven_config_static_selectorELNS0_4arch9wavefront6targetE1EEEvSF_,comdat
.Lfunc_end2245:
	.size	_ZN7rocprim17ROCPRIM_400000_NS6detail17trampoline_kernelINS0_14default_configENS1_38merge_sort_block_merge_config_selectorImNS0_10empty_typeEEEZZNS1_27merge_sort_block_merge_implIS3_PmPS5_jNS1_19radix_merge_compareILb1ELb0EmNS0_19identity_decomposerEEEEE10hipError_tT0_T1_T2_jT3_P12ihipStream_tbPNSt15iterator_traitsISE_E10value_typeEPNSK_ISF_E10value_typeEPSG_NS1_7vsmem_tEENKUlT_SE_SF_SG_E_clIS8_S8_S9_S9_EESD_ST_SE_SF_SG_EUlST_E1_NS1_11comp_targetILNS1_3genE3ELNS1_11target_archE908ELNS1_3gpuE7ELNS1_3repE0EEENS1_36merge_oddeven_config_static_selectorELNS0_4arch9wavefront6targetE1EEEvSF_, .Lfunc_end2245-_ZN7rocprim17ROCPRIM_400000_NS6detail17trampoline_kernelINS0_14default_configENS1_38merge_sort_block_merge_config_selectorImNS0_10empty_typeEEEZZNS1_27merge_sort_block_merge_implIS3_PmPS5_jNS1_19radix_merge_compareILb1ELb0EmNS0_19identity_decomposerEEEEE10hipError_tT0_T1_T2_jT3_P12ihipStream_tbPNSt15iterator_traitsISE_E10value_typeEPNSK_ISF_E10value_typeEPSG_NS1_7vsmem_tEENKUlT_SE_SF_SG_E_clIS8_S8_S9_S9_EESD_ST_SE_SF_SG_EUlST_E1_NS1_11comp_targetILNS1_3genE3ELNS1_11target_archE908ELNS1_3gpuE7ELNS1_3repE0EEENS1_36merge_oddeven_config_static_selectorELNS0_4arch9wavefront6targetE1EEEvSF_
                                        ; -- End function
	.section	.AMDGPU.csdata,"",@progbits
; Kernel info:
; codeLenInByte = 0
; NumSgprs: 4
; NumVgprs: 0
; NumAgprs: 0
; TotalNumVgprs: 0
; ScratchSize: 0
; MemoryBound: 0
; FloatMode: 240
; IeeeMode: 1
; LDSByteSize: 0 bytes/workgroup (compile time only)
; SGPRBlocks: 0
; VGPRBlocks: 0
; NumSGPRsForWavesPerEU: 4
; NumVGPRsForWavesPerEU: 1
; AccumOffset: 4
; Occupancy: 8
; WaveLimiterHint : 0
; COMPUTE_PGM_RSRC2:SCRATCH_EN: 0
; COMPUTE_PGM_RSRC2:USER_SGPR: 6
; COMPUTE_PGM_RSRC2:TRAP_HANDLER: 0
; COMPUTE_PGM_RSRC2:TGID_X_EN: 1
; COMPUTE_PGM_RSRC2:TGID_Y_EN: 0
; COMPUTE_PGM_RSRC2:TGID_Z_EN: 0
; COMPUTE_PGM_RSRC2:TIDIG_COMP_CNT: 0
; COMPUTE_PGM_RSRC3_GFX90A:ACCUM_OFFSET: 0
; COMPUTE_PGM_RSRC3_GFX90A:TG_SPLIT: 0
	.section	.text._ZN7rocprim17ROCPRIM_400000_NS6detail17trampoline_kernelINS0_14default_configENS1_38merge_sort_block_merge_config_selectorImNS0_10empty_typeEEEZZNS1_27merge_sort_block_merge_implIS3_PmPS5_jNS1_19radix_merge_compareILb1ELb0EmNS0_19identity_decomposerEEEEE10hipError_tT0_T1_T2_jT3_P12ihipStream_tbPNSt15iterator_traitsISE_E10value_typeEPNSK_ISF_E10value_typeEPSG_NS1_7vsmem_tEENKUlT_SE_SF_SG_E_clIS8_S8_S9_S9_EESD_ST_SE_SF_SG_EUlST_E1_NS1_11comp_targetILNS1_3genE2ELNS1_11target_archE906ELNS1_3gpuE6ELNS1_3repE0EEENS1_36merge_oddeven_config_static_selectorELNS0_4arch9wavefront6targetE1EEEvSF_,"axG",@progbits,_ZN7rocprim17ROCPRIM_400000_NS6detail17trampoline_kernelINS0_14default_configENS1_38merge_sort_block_merge_config_selectorImNS0_10empty_typeEEEZZNS1_27merge_sort_block_merge_implIS3_PmPS5_jNS1_19radix_merge_compareILb1ELb0EmNS0_19identity_decomposerEEEEE10hipError_tT0_T1_T2_jT3_P12ihipStream_tbPNSt15iterator_traitsISE_E10value_typeEPNSK_ISF_E10value_typeEPSG_NS1_7vsmem_tEENKUlT_SE_SF_SG_E_clIS8_S8_S9_S9_EESD_ST_SE_SF_SG_EUlST_E1_NS1_11comp_targetILNS1_3genE2ELNS1_11target_archE906ELNS1_3gpuE6ELNS1_3repE0EEENS1_36merge_oddeven_config_static_selectorELNS0_4arch9wavefront6targetE1EEEvSF_,comdat
	.protected	_ZN7rocprim17ROCPRIM_400000_NS6detail17trampoline_kernelINS0_14default_configENS1_38merge_sort_block_merge_config_selectorImNS0_10empty_typeEEEZZNS1_27merge_sort_block_merge_implIS3_PmPS5_jNS1_19radix_merge_compareILb1ELb0EmNS0_19identity_decomposerEEEEE10hipError_tT0_T1_T2_jT3_P12ihipStream_tbPNSt15iterator_traitsISE_E10value_typeEPNSK_ISF_E10value_typeEPSG_NS1_7vsmem_tEENKUlT_SE_SF_SG_E_clIS8_S8_S9_S9_EESD_ST_SE_SF_SG_EUlST_E1_NS1_11comp_targetILNS1_3genE2ELNS1_11target_archE906ELNS1_3gpuE6ELNS1_3repE0EEENS1_36merge_oddeven_config_static_selectorELNS0_4arch9wavefront6targetE1EEEvSF_ ; -- Begin function _ZN7rocprim17ROCPRIM_400000_NS6detail17trampoline_kernelINS0_14default_configENS1_38merge_sort_block_merge_config_selectorImNS0_10empty_typeEEEZZNS1_27merge_sort_block_merge_implIS3_PmPS5_jNS1_19radix_merge_compareILb1ELb0EmNS0_19identity_decomposerEEEEE10hipError_tT0_T1_T2_jT3_P12ihipStream_tbPNSt15iterator_traitsISE_E10value_typeEPNSK_ISF_E10value_typeEPSG_NS1_7vsmem_tEENKUlT_SE_SF_SG_E_clIS8_S8_S9_S9_EESD_ST_SE_SF_SG_EUlST_E1_NS1_11comp_targetILNS1_3genE2ELNS1_11target_archE906ELNS1_3gpuE6ELNS1_3repE0EEENS1_36merge_oddeven_config_static_selectorELNS0_4arch9wavefront6targetE1EEEvSF_
	.globl	_ZN7rocprim17ROCPRIM_400000_NS6detail17trampoline_kernelINS0_14default_configENS1_38merge_sort_block_merge_config_selectorImNS0_10empty_typeEEEZZNS1_27merge_sort_block_merge_implIS3_PmPS5_jNS1_19radix_merge_compareILb1ELb0EmNS0_19identity_decomposerEEEEE10hipError_tT0_T1_T2_jT3_P12ihipStream_tbPNSt15iterator_traitsISE_E10value_typeEPNSK_ISF_E10value_typeEPSG_NS1_7vsmem_tEENKUlT_SE_SF_SG_E_clIS8_S8_S9_S9_EESD_ST_SE_SF_SG_EUlST_E1_NS1_11comp_targetILNS1_3genE2ELNS1_11target_archE906ELNS1_3gpuE6ELNS1_3repE0EEENS1_36merge_oddeven_config_static_selectorELNS0_4arch9wavefront6targetE1EEEvSF_
	.p2align	8
	.type	_ZN7rocprim17ROCPRIM_400000_NS6detail17trampoline_kernelINS0_14default_configENS1_38merge_sort_block_merge_config_selectorImNS0_10empty_typeEEEZZNS1_27merge_sort_block_merge_implIS3_PmPS5_jNS1_19radix_merge_compareILb1ELb0EmNS0_19identity_decomposerEEEEE10hipError_tT0_T1_T2_jT3_P12ihipStream_tbPNSt15iterator_traitsISE_E10value_typeEPNSK_ISF_E10value_typeEPSG_NS1_7vsmem_tEENKUlT_SE_SF_SG_E_clIS8_S8_S9_S9_EESD_ST_SE_SF_SG_EUlST_E1_NS1_11comp_targetILNS1_3genE2ELNS1_11target_archE906ELNS1_3gpuE6ELNS1_3repE0EEENS1_36merge_oddeven_config_static_selectorELNS0_4arch9wavefront6targetE1EEEvSF_,@function
_ZN7rocprim17ROCPRIM_400000_NS6detail17trampoline_kernelINS0_14default_configENS1_38merge_sort_block_merge_config_selectorImNS0_10empty_typeEEEZZNS1_27merge_sort_block_merge_implIS3_PmPS5_jNS1_19radix_merge_compareILb1ELb0EmNS0_19identity_decomposerEEEEE10hipError_tT0_T1_T2_jT3_P12ihipStream_tbPNSt15iterator_traitsISE_E10value_typeEPNSK_ISF_E10value_typeEPSG_NS1_7vsmem_tEENKUlT_SE_SF_SG_E_clIS8_S8_S9_S9_EESD_ST_SE_SF_SG_EUlST_E1_NS1_11comp_targetILNS1_3genE2ELNS1_11target_archE906ELNS1_3gpuE6ELNS1_3repE0EEENS1_36merge_oddeven_config_static_selectorELNS0_4arch9wavefront6targetE1EEEvSF_: ; @_ZN7rocprim17ROCPRIM_400000_NS6detail17trampoline_kernelINS0_14default_configENS1_38merge_sort_block_merge_config_selectorImNS0_10empty_typeEEEZZNS1_27merge_sort_block_merge_implIS3_PmPS5_jNS1_19radix_merge_compareILb1ELb0EmNS0_19identity_decomposerEEEEE10hipError_tT0_T1_T2_jT3_P12ihipStream_tbPNSt15iterator_traitsISE_E10value_typeEPNSK_ISF_E10value_typeEPSG_NS1_7vsmem_tEENKUlT_SE_SF_SG_E_clIS8_S8_S9_S9_EESD_ST_SE_SF_SG_EUlST_E1_NS1_11comp_targetILNS1_3genE2ELNS1_11target_archE906ELNS1_3gpuE6ELNS1_3repE0EEENS1_36merge_oddeven_config_static_selectorELNS0_4arch9wavefront6targetE1EEEvSF_
; %bb.0:
	.section	.rodata,"a",@progbits
	.p2align	6, 0x0
	.amdhsa_kernel _ZN7rocprim17ROCPRIM_400000_NS6detail17trampoline_kernelINS0_14default_configENS1_38merge_sort_block_merge_config_selectorImNS0_10empty_typeEEEZZNS1_27merge_sort_block_merge_implIS3_PmPS5_jNS1_19radix_merge_compareILb1ELb0EmNS0_19identity_decomposerEEEEE10hipError_tT0_T1_T2_jT3_P12ihipStream_tbPNSt15iterator_traitsISE_E10value_typeEPNSK_ISF_E10value_typeEPSG_NS1_7vsmem_tEENKUlT_SE_SF_SG_E_clIS8_S8_S9_S9_EESD_ST_SE_SF_SG_EUlST_E1_NS1_11comp_targetILNS1_3genE2ELNS1_11target_archE906ELNS1_3gpuE6ELNS1_3repE0EEENS1_36merge_oddeven_config_static_selectorELNS0_4arch9wavefront6targetE1EEEvSF_
		.amdhsa_group_segment_fixed_size 0
		.amdhsa_private_segment_fixed_size 0
		.amdhsa_kernarg_size 48
		.amdhsa_user_sgpr_count 6
		.amdhsa_user_sgpr_private_segment_buffer 1
		.amdhsa_user_sgpr_dispatch_ptr 0
		.amdhsa_user_sgpr_queue_ptr 0
		.amdhsa_user_sgpr_kernarg_segment_ptr 1
		.amdhsa_user_sgpr_dispatch_id 0
		.amdhsa_user_sgpr_flat_scratch_init 0
		.amdhsa_user_sgpr_kernarg_preload_length 0
		.amdhsa_user_sgpr_kernarg_preload_offset 0
		.amdhsa_user_sgpr_private_segment_size 0
		.amdhsa_uses_dynamic_stack 0
		.amdhsa_system_sgpr_private_segment_wavefront_offset 0
		.amdhsa_system_sgpr_workgroup_id_x 1
		.amdhsa_system_sgpr_workgroup_id_y 0
		.amdhsa_system_sgpr_workgroup_id_z 0
		.amdhsa_system_sgpr_workgroup_info 0
		.amdhsa_system_vgpr_workitem_id 0
		.amdhsa_next_free_vgpr 1
		.amdhsa_next_free_sgpr 0
		.amdhsa_accum_offset 4
		.amdhsa_reserve_vcc 0
		.amdhsa_reserve_flat_scratch 0
		.amdhsa_float_round_mode_32 0
		.amdhsa_float_round_mode_16_64 0
		.amdhsa_float_denorm_mode_32 3
		.amdhsa_float_denorm_mode_16_64 3
		.amdhsa_dx10_clamp 1
		.amdhsa_ieee_mode 1
		.amdhsa_fp16_overflow 0
		.amdhsa_tg_split 0
		.amdhsa_exception_fp_ieee_invalid_op 0
		.amdhsa_exception_fp_denorm_src 0
		.amdhsa_exception_fp_ieee_div_zero 0
		.amdhsa_exception_fp_ieee_overflow 0
		.amdhsa_exception_fp_ieee_underflow 0
		.amdhsa_exception_fp_ieee_inexact 0
		.amdhsa_exception_int_div_zero 0
	.end_amdhsa_kernel
	.section	.text._ZN7rocprim17ROCPRIM_400000_NS6detail17trampoline_kernelINS0_14default_configENS1_38merge_sort_block_merge_config_selectorImNS0_10empty_typeEEEZZNS1_27merge_sort_block_merge_implIS3_PmPS5_jNS1_19radix_merge_compareILb1ELb0EmNS0_19identity_decomposerEEEEE10hipError_tT0_T1_T2_jT3_P12ihipStream_tbPNSt15iterator_traitsISE_E10value_typeEPNSK_ISF_E10value_typeEPSG_NS1_7vsmem_tEENKUlT_SE_SF_SG_E_clIS8_S8_S9_S9_EESD_ST_SE_SF_SG_EUlST_E1_NS1_11comp_targetILNS1_3genE2ELNS1_11target_archE906ELNS1_3gpuE6ELNS1_3repE0EEENS1_36merge_oddeven_config_static_selectorELNS0_4arch9wavefront6targetE1EEEvSF_,"axG",@progbits,_ZN7rocprim17ROCPRIM_400000_NS6detail17trampoline_kernelINS0_14default_configENS1_38merge_sort_block_merge_config_selectorImNS0_10empty_typeEEEZZNS1_27merge_sort_block_merge_implIS3_PmPS5_jNS1_19radix_merge_compareILb1ELb0EmNS0_19identity_decomposerEEEEE10hipError_tT0_T1_T2_jT3_P12ihipStream_tbPNSt15iterator_traitsISE_E10value_typeEPNSK_ISF_E10value_typeEPSG_NS1_7vsmem_tEENKUlT_SE_SF_SG_E_clIS8_S8_S9_S9_EESD_ST_SE_SF_SG_EUlST_E1_NS1_11comp_targetILNS1_3genE2ELNS1_11target_archE906ELNS1_3gpuE6ELNS1_3repE0EEENS1_36merge_oddeven_config_static_selectorELNS0_4arch9wavefront6targetE1EEEvSF_,comdat
.Lfunc_end2246:
	.size	_ZN7rocprim17ROCPRIM_400000_NS6detail17trampoline_kernelINS0_14default_configENS1_38merge_sort_block_merge_config_selectorImNS0_10empty_typeEEEZZNS1_27merge_sort_block_merge_implIS3_PmPS5_jNS1_19radix_merge_compareILb1ELb0EmNS0_19identity_decomposerEEEEE10hipError_tT0_T1_T2_jT3_P12ihipStream_tbPNSt15iterator_traitsISE_E10value_typeEPNSK_ISF_E10value_typeEPSG_NS1_7vsmem_tEENKUlT_SE_SF_SG_E_clIS8_S8_S9_S9_EESD_ST_SE_SF_SG_EUlST_E1_NS1_11comp_targetILNS1_3genE2ELNS1_11target_archE906ELNS1_3gpuE6ELNS1_3repE0EEENS1_36merge_oddeven_config_static_selectorELNS0_4arch9wavefront6targetE1EEEvSF_, .Lfunc_end2246-_ZN7rocprim17ROCPRIM_400000_NS6detail17trampoline_kernelINS0_14default_configENS1_38merge_sort_block_merge_config_selectorImNS0_10empty_typeEEEZZNS1_27merge_sort_block_merge_implIS3_PmPS5_jNS1_19radix_merge_compareILb1ELb0EmNS0_19identity_decomposerEEEEE10hipError_tT0_T1_T2_jT3_P12ihipStream_tbPNSt15iterator_traitsISE_E10value_typeEPNSK_ISF_E10value_typeEPSG_NS1_7vsmem_tEENKUlT_SE_SF_SG_E_clIS8_S8_S9_S9_EESD_ST_SE_SF_SG_EUlST_E1_NS1_11comp_targetILNS1_3genE2ELNS1_11target_archE906ELNS1_3gpuE6ELNS1_3repE0EEENS1_36merge_oddeven_config_static_selectorELNS0_4arch9wavefront6targetE1EEEvSF_
                                        ; -- End function
	.section	.AMDGPU.csdata,"",@progbits
; Kernel info:
; codeLenInByte = 0
; NumSgprs: 4
; NumVgprs: 0
; NumAgprs: 0
; TotalNumVgprs: 0
; ScratchSize: 0
; MemoryBound: 0
; FloatMode: 240
; IeeeMode: 1
; LDSByteSize: 0 bytes/workgroup (compile time only)
; SGPRBlocks: 0
; VGPRBlocks: 0
; NumSGPRsForWavesPerEU: 4
; NumVGPRsForWavesPerEU: 1
; AccumOffset: 4
; Occupancy: 8
; WaveLimiterHint : 0
; COMPUTE_PGM_RSRC2:SCRATCH_EN: 0
; COMPUTE_PGM_RSRC2:USER_SGPR: 6
; COMPUTE_PGM_RSRC2:TRAP_HANDLER: 0
; COMPUTE_PGM_RSRC2:TGID_X_EN: 1
; COMPUTE_PGM_RSRC2:TGID_Y_EN: 0
; COMPUTE_PGM_RSRC2:TGID_Z_EN: 0
; COMPUTE_PGM_RSRC2:TIDIG_COMP_CNT: 0
; COMPUTE_PGM_RSRC3_GFX90A:ACCUM_OFFSET: 0
; COMPUTE_PGM_RSRC3_GFX90A:TG_SPLIT: 0
	.section	.text._ZN7rocprim17ROCPRIM_400000_NS6detail17trampoline_kernelINS0_14default_configENS1_38merge_sort_block_merge_config_selectorImNS0_10empty_typeEEEZZNS1_27merge_sort_block_merge_implIS3_PmPS5_jNS1_19radix_merge_compareILb1ELb0EmNS0_19identity_decomposerEEEEE10hipError_tT0_T1_T2_jT3_P12ihipStream_tbPNSt15iterator_traitsISE_E10value_typeEPNSK_ISF_E10value_typeEPSG_NS1_7vsmem_tEENKUlT_SE_SF_SG_E_clIS8_S8_S9_S9_EESD_ST_SE_SF_SG_EUlST_E1_NS1_11comp_targetILNS1_3genE9ELNS1_11target_archE1100ELNS1_3gpuE3ELNS1_3repE0EEENS1_36merge_oddeven_config_static_selectorELNS0_4arch9wavefront6targetE1EEEvSF_,"axG",@progbits,_ZN7rocprim17ROCPRIM_400000_NS6detail17trampoline_kernelINS0_14default_configENS1_38merge_sort_block_merge_config_selectorImNS0_10empty_typeEEEZZNS1_27merge_sort_block_merge_implIS3_PmPS5_jNS1_19radix_merge_compareILb1ELb0EmNS0_19identity_decomposerEEEEE10hipError_tT0_T1_T2_jT3_P12ihipStream_tbPNSt15iterator_traitsISE_E10value_typeEPNSK_ISF_E10value_typeEPSG_NS1_7vsmem_tEENKUlT_SE_SF_SG_E_clIS8_S8_S9_S9_EESD_ST_SE_SF_SG_EUlST_E1_NS1_11comp_targetILNS1_3genE9ELNS1_11target_archE1100ELNS1_3gpuE3ELNS1_3repE0EEENS1_36merge_oddeven_config_static_selectorELNS0_4arch9wavefront6targetE1EEEvSF_,comdat
	.protected	_ZN7rocprim17ROCPRIM_400000_NS6detail17trampoline_kernelINS0_14default_configENS1_38merge_sort_block_merge_config_selectorImNS0_10empty_typeEEEZZNS1_27merge_sort_block_merge_implIS3_PmPS5_jNS1_19radix_merge_compareILb1ELb0EmNS0_19identity_decomposerEEEEE10hipError_tT0_T1_T2_jT3_P12ihipStream_tbPNSt15iterator_traitsISE_E10value_typeEPNSK_ISF_E10value_typeEPSG_NS1_7vsmem_tEENKUlT_SE_SF_SG_E_clIS8_S8_S9_S9_EESD_ST_SE_SF_SG_EUlST_E1_NS1_11comp_targetILNS1_3genE9ELNS1_11target_archE1100ELNS1_3gpuE3ELNS1_3repE0EEENS1_36merge_oddeven_config_static_selectorELNS0_4arch9wavefront6targetE1EEEvSF_ ; -- Begin function _ZN7rocprim17ROCPRIM_400000_NS6detail17trampoline_kernelINS0_14default_configENS1_38merge_sort_block_merge_config_selectorImNS0_10empty_typeEEEZZNS1_27merge_sort_block_merge_implIS3_PmPS5_jNS1_19radix_merge_compareILb1ELb0EmNS0_19identity_decomposerEEEEE10hipError_tT0_T1_T2_jT3_P12ihipStream_tbPNSt15iterator_traitsISE_E10value_typeEPNSK_ISF_E10value_typeEPSG_NS1_7vsmem_tEENKUlT_SE_SF_SG_E_clIS8_S8_S9_S9_EESD_ST_SE_SF_SG_EUlST_E1_NS1_11comp_targetILNS1_3genE9ELNS1_11target_archE1100ELNS1_3gpuE3ELNS1_3repE0EEENS1_36merge_oddeven_config_static_selectorELNS0_4arch9wavefront6targetE1EEEvSF_
	.globl	_ZN7rocprim17ROCPRIM_400000_NS6detail17trampoline_kernelINS0_14default_configENS1_38merge_sort_block_merge_config_selectorImNS0_10empty_typeEEEZZNS1_27merge_sort_block_merge_implIS3_PmPS5_jNS1_19radix_merge_compareILb1ELb0EmNS0_19identity_decomposerEEEEE10hipError_tT0_T1_T2_jT3_P12ihipStream_tbPNSt15iterator_traitsISE_E10value_typeEPNSK_ISF_E10value_typeEPSG_NS1_7vsmem_tEENKUlT_SE_SF_SG_E_clIS8_S8_S9_S9_EESD_ST_SE_SF_SG_EUlST_E1_NS1_11comp_targetILNS1_3genE9ELNS1_11target_archE1100ELNS1_3gpuE3ELNS1_3repE0EEENS1_36merge_oddeven_config_static_selectorELNS0_4arch9wavefront6targetE1EEEvSF_
	.p2align	8
	.type	_ZN7rocprim17ROCPRIM_400000_NS6detail17trampoline_kernelINS0_14default_configENS1_38merge_sort_block_merge_config_selectorImNS0_10empty_typeEEEZZNS1_27merge_sort_block_merge_implIS3_PmPS5_jNS1_19radix_merge_compareILb1ELb0EmNS0_19identity_decomposerEEEEE10hipError_tT0_T1_T2_jT3_P12ihipStream_tbPNSt15iterator_traitsISE_E10value_typeEPNSK_ISF_E10value_typeEPSG_NS1_7vsmem_tEENKUlT_SE_SF_SG_E_clIS8_S8_S9_S9_EESD_ST_SE_SF_SG_EUlST_E1_NS1_11comp_targetILNS1_3genE9ELNS1_11target_archE1100ELNS1_3gpuE3ELNS1_3repE0EEENS1_36merge_oddeven_config_static_selectorELNS0_4arch9wavefront6targetE1EEEvSF_,@function
_ZN7rocprim17ROCPRIM_400000_NS6detail17trampoline_kernelINS0_14default_configENS1_38merge_sort_block_merge_config_selectorImNS0_10empty_typeEEEZZNS1_27merge_sort_block_merge_implIS3_PmPS5_jNS1_19radix_merge_compareILb1ELb0EmNS0_19identity_decomposerEEEEE10hipError_tT0_T1_T2_jT3_P12ihipStream_tbPNSt15iterator_traitsISE_E10value_typeEPNSK_ISF_E10value_typeEPSG_NS1_7vsmem_tEENKUlT_SE_SF_SG_E_clIS8_S8_S9_S9_EESD_ST_SE_SF_SG_EUlST_E1_NS1_11comp_targetILNS1_3genE9ELNS1_11target_archE1100ELNS1_3gpuE3ELNS1_3repE0EEENS1_36merge_oddeven_config_static_selectorELNS0_4arch9wavefront6targetE1EEEvSF_: ; @_ZN7rocprim17ROCPRIM_400000_NS6detail17trampoline_kernelINS0_14default_configENS1_38merge_sort_block_merge_config_selectorImNS0_10empty_typeEEEZZNS1_27merge_sort_block_merge_implIS3_PmPS5_jNS1_19radix_merge_compareILb1ELb0EmNS0_19identity_decomposerEEEEE10hipError_tT0_T1_T2_jT3_P12ihipStream_tbPNSt15iterator_traitsISE_E10value_typeEPNSK_ISF_E10value_typeEPSG_NS1_7vsmem_tEENKUlT_SE_SF_SG_E_clIS8_S8_S9_S9_EESD_ST_SE_SF_SG_EUlST_E1_NS1_11comp_targetILNS1_3genE9ELNS1_11target_archE1100ELNS1_3gpuE3ELNS1_3repE0EEENS1_36merge_oddeven_config_static_selectorELNS0_4arch9wavefront6targetE1EEEvSF_
; %bb.0:
	.section	.rodata,"a",@progbits
	.p2align	6, 0x0
	.amdhsa_kernel _ZN7rocprim17ROCPRIM_400000_NS6detail17trampoline_kernelINS0_14default_configENS1_38merge_sort_block_merge_config_selectorImNS0_10empty_typeEEEZZNS1_27merge_sort_block_merge_implIS3_PmPS5_jNS1_19radix_merge_compareILb1ELb0EmNS0_19identity_decomposerEEEEE10hipError_tT0_T1_T2_jT3_P12ihipStream_tbPNSt15iterator_traitsISE_E10value_typeEPNSK_ISF_E10value_typeEPSG_NS1_7vsmem_tEENKUlT_SE_SF_SG_E_clIS8_S8_S9_S9_EESD_ST_SE_SF_SG_EUlST_E1_NS1_11comp_targetILNS1_3genE9ELNS1_11target_archE1100ELNS1_3gpuE3ELNS1_3repE0EEENS1_36merge_oddeven_config_static_selectorELNS0_4arch9wavefront6targetE1EEEvSF_
		.amdhsa_group_segment_fixed_size 0
		.amdhsa_private_segment_fixed_size 0
		.amdhsa_kernarg_size 48
		.amdhsa_user_sgpr_count 6
		.amdhsa_user_sgpr_private_segment_buffer 1
		.amdhsa_user_sgpr_dispatch_ptr 0
		.amdhsa_user_sgpr_queue_ptr 0
		.amdhsa_user_sgpr_kernarg_segment_ptr 1
		.amdhsa_user_sgpr_dispatch_id 0
		.amdhsa_user_sgpr_flat_scratch_init 0
		.amdhsa_user_sgpr_kernarg_preload_length 0
		.amdhsa_user_sgpr_kernarg_preload_offset 0
		.amdhsa_user_sgpr_private_segment_size 0
		.amdhsa_uses_dynamic_stack 0
		.amdhsa_system_sgpr_private_segment_wavefront_offset 0
		.amdhsa_system_sgpr_workgroup_id_x 1
		.amdhsa_system_sgpr_workgroup_id_y 0
		.amdhsa_system_sgpr_workgroup_id_z 0
		.amdhsa_system_sgpr_workgroup_info 0
		.amdhsa_system_vgpr_workitem_id 0
		.amdhsa_next_free_vgpr 1
		.amdhsa_next_free_sgpr 0
		.amdhsa_accum_offset 4
		.amdhsa_reserve_vcc 0
		.amdhsa_reserve_flat_scratch 0
		.amdhsa_float_round_mode_32 0
		.amdhsa_float_round_mode_16_64 0
		.amdhsa_float_denorm_mode_32 3
		.amdhsa_float_denorm_mode_16_64 3
		.amdhsa_dx10_clamp 1
		.amdhsa_ieee_mode 1
		.amdhsa_fp16_overflow 0
		.amdhsa_tg_split 0
		.amdhsa_exception_fp_ieee_invalid_op 0
		.amdhsa_exception_fp_denorm_src 0
		.amdhsa_exception_fp_ieee_div_zero 0
		.amdhsa_exception_fp_ieee_overflow 0
		.amdhsa_exception_fp_ieee_underflow 0
		.amdhsa_exception_fp_ieee_inexact 0
		.amdhsa_exception_int_div_zero 0
	.end_amdhsa_kernel
	.section	.text._ZN7rocprim17ROCPRIM_400000_NS6detail17trampoline_kernelINS0_14default_configENS1_38merge_sort_block_merge_config_selectorImNS0_10empty_typeEEEZZNS1_27merge_sort_block_merge_implIS3_PmPS5_jNS1_19radix_merge_compareILb1ELb0EmNS0_19identity_decomposerEEEEE10hipError_tT0_T1_T2_jT3_P12ihipStream_tbPNSt15iterator_traitsISE_E10value_typeEPNSK_ISF_E10value_typeEPSG_NS1_7vsmem_tEENKUlT_SE_SF_SG_E_clIS8_S8_S9_S9_EESD_ST_SE_SF_SG_EUlST_E1_NS1_11comp_targetILNS1_3genE9ELNS1_11target_archE1100ELNS1_3gpuE3ELNS1_3repE0EEENS1_36merge_oddeven_config_static_selectorELNS0_4arch9wavefront6targetE1EEEvSF_,"axG",@progbits,_ZN7rocprim17ROCPRIM_400000_NS6detail17trampoline_kernelINS0_14default_configENS1_38merge_sort_block_merge_config_selectorImNS0_10empty_typeEEEZZNS1_27merge_sort_block_merge_implIS3_PmPS5_jNS1_19radix_merge_compareILb1ELb0EmNS0_19identity_decomposerEEEEE10hipError_tT0_T1_T2_jT3_P12ihipStream_tbPNSt15iterator_traitsISE_E10value_typeEPNSK_ISF_E10value_typeEPSG_NS1_7vsmem_tEENKUlT_SE_SF_SG_E_clIS8_S8_S9_S9_EESD_ST_SE_SF_SG_EUlST_E1_NS1_11comp_targetILNS1_3genE9ELNS1_11target_archE1100ELNS1_3gpuE3ELNS1_3repE0EEENS1_36merge_oddeven_config_static_selectorELNS0_4arch9wavefront6targetE1EEEvSF_,comdat
.Lfunc_end2247:
	.size	_ZN7rocprim17ROCPRIM_400000_NS6detail17trampoline_kernelINS0_14default_configENS1_38merge_sort_block_merge_config_selectorImNS0_10empty_typeEEEZZNS1_27merge_sort_block_merge_implIS3_PmPS5_jNS1_19radix_merge_compareILb1ELb0EmNS0_19identity_decomposerEEEEE10hipError_tT0_T1_T2_jT3_P12ihipStream_tbPNSt15iterator_traitsISE_E10value_typeEPNSK_ISF_E10value_typeEPSG_NS1_7vsmem_tEENKUlT_SE_SF_SG_E_clIS8_S8_S9_S9_EESD_ST_SE_SF_SG_EUlST_E1_NS1_11comp_targetILNS1_3genE9ELNS1_11target_archE1100ELNS1_3gpuE3ELNS1_3repE0EEENS1_36merge_oddeven_config_static_selectorELNS0_4arch9wavefront6targetE1EEEvSF_, .Lfunc_end2247-_ZN7rocprim17ROCPRIM_400000_NS6detail17trampoline_kernelINS0_14default_configENS1_38merge_sort_block_merge_config_selectorImNS0_10empty_typeEEEZZNS1_27merge_sort_block_merge_implIS3_PmPS5_jNS1_19radix_merge_compareILb1ELb0EmNS0_19identity_decomposerEEEEE10hipError_tT0_T1_T2_jT3_P12ihipStream_tbPNSt15iterator_traitsISE_E10value_typeEPNSK_ISF_E10value_typeEPSG_NS1_7vsmem_tEENKUlT_SE_SF_SG_E_clIS8_S8_S9_S9_EESD_ST_SE_SF_SG_EUlST_E1_NS1_11comp_targetILNS1_3genE9ELNS1_11target_archE1100ELNS1_3gpuE3ELNS1_3repE0EEENS1_36merge_oddeven_config_static_selectorELNS0_4arch9wavefront6targetE1EEEvSF_
                                        ; -- End function
	.section	.AMDGPU.csdata,"",@progbits
; Kernel info:
; codeLenInByte = 0
; NumSgprs: 4
; NumVgprs: 0
; NumAgprs: 0
; TotalNumVgprs: 0
; ScratchSize: 0
; MemoryBound: 0
; FloatMode: 240
; IeeeMode: 1
; LDSByteSize: 0 bytes/workgroup (compile time only)
; SGPRBlocks: 0
; VGPRBlocks: 0
; NumSGPRsForWavesPerEU: 4
; NumVGPRsForWavesPerEU: 1
; AccumOffset: 4
; Occupancy: 8
; WaveLimiterHint : 0
; COMPUTE_PGM_RSRC2:SCRATCH_EN: 0
; COMPUTE_PGM_RSRC2:USER_SGPR: 6
; COMPUTE_PGM_RSRC2:TRAP_HANDLER: 0
; COMPUTE_PGM_RSRC2:TGID_X_EN: 1
; COMPUTE_PGM_RSRC2:TGID_Y_EN: 0
; COMPUTE_PGM_RSRC2:TGID_Z_EN: 0
; COMPUTE_PGM_RSRC2:TIDIG_COMP_CNT: 0
; COMPUTE_PGM_RSRC3_GFX90A:ACCUM_OFFSET: 0
; COMPUTE_PGM_RSRC3_GFX90A:TG_SPLIT: 0
	.section	.text._ZN7rocprim17ROCPRIM_400000_NS6detail17trampoline_kernelINS0_14default_configENS1_38merge_sort_block_merge_config_selectorImNS0_10empty_typeEEEZZNS1_27merge_sort_block_merge_implIS3_PmPS5_jNS1_19radix_merge_compareILb1ELb0EmNS0_19identity_decomposerEEEEE10hipError_tT0_T1_T2_jT3_P12ihipStream_tbPNSt15iterator_traitsISE_E10value_typeEPNSK_ISF_E10value_typeEPSG_NS1_7vsmem_tEENKUlT_SE_SF_SG_E_clIS8_S8_S9_S9_EESD_ST_SE_SF_SG_EUlST_E1_NS1_11comp_targetILNS1_3genE8ELNS1_11target_archE1030ELNS1_3gpuE2ELNS1_3repE0EEENS1_36merge_oddeven_config_static_selectorELNS0_4arch9wavefront6targetE1EEEvSF_,"axG",@progbits,_ZN7rocprim17ROCPRIM_400000_NS6detail17trampoline_kernelINS0_14default_configENS1_38merge_sort_block_merge_config_selectorImNS0_10empty_typeEEEZZNS1_27merge_sort_block_merge_implIS3_PmPS5_jNS1_19radix_merge_compareILb1ELb0EmNS0_19identity_decomposerEEEEE10hipError_tT0_T1_T2_jT3_P12ihipStream_tbPNSt15iterator_traitsISE_E10value_typeEPNSK_ISF_E10value_typeEPSG_NS1_7vsmem_tEENKUlT_SE_SF_SG_E_clIS8_S8_S9_S9_EESD_ST_SE_SF_SG_EUlST_E1_NS1_11comp_targetILNS1_3genE8ELNS1_11target_archE1030ELNS1_3gpuE2ELNS1_3repE0EEENS1_36merge_oddeven_config_static_selectorELNS0_4arch9wavefront6targetE1EEEvSF_,comdat
	.protected	_ZN7rocprim17ROCPRIM_400000_NS6detail17trampoline_kernelINS0_14default_configENS1_38merge_sort_block_merge_config_selectorImNS0_10empty_typeEEEZZNS1_27merge_sort_block_merge_implIS3_PmPS5_jNS1_19radix_merge_compareILb1ELb0EmNS0_19identity_decomposerEEEEE10hipError_tT0_T1_T2_jT3_P12ihipStream_tbPNSt15iterator_traitsISE_E10value_typeEPNSK_ISF_E10value_typeEPSG_NS1_7vsmem_tEENKUlT_SE_SF_SG_E_clIS8_S8_S9_S9_EESD_ST_SE_SF_SG_EUlST_E1_NS1_11comp_targetILNS1_3genE8ELNS1_11target_archE1030ELNS1_3gpuE2ELNS1_3repE0EEENS1_36merge_oddeven_config_static_selectorELNS0_4arch9wavefront6targetE1EEEvSF_ ; -- Begin function _ZN7rocprim17ROCPRIM_400000_NS6detail17trampoline_kernelINS0_14default_configENS1_38merge_sort_block_merge_config_selectorImNS0_10empty_typeEEEZZNS1_27merge_sort_block_merge_implIS3_PmPS5_jNS1_19radix_merge_compareILb1ELb0EmNS0_19identity_decomposerEEEEE10hipError_tT0_T1_T2_jT3_P12ihipStream_tbPNSt15iterator_traitsISE_E10value_typeEPNSK_ISF_E10value_typeEPSG_NS1_7vsmem_tEENKUlT_SE_SF_SG_E_clIS8_S8_S9_S9_EESD_ST_SE_SF_SG_EUlST_E1_NS1_11comp_targetILNS1_3genE8ELNS1_11target_archE1030ELNS1_3gpuE2ELNS1_3repE0EEENS1_36merge_oddeven_config_static_selectorELNS0_4arch9wavefront6targetE1EEEvSF_
	.globl	_ZN7rocprim17ROCPRIM_400000_NS6detail17trampoline_kernelINS0_14default_configENS1_38merge_sort_block_merge_config_selectorImNS0_10empty_typeEEEZZNS1_27merge_sort_block_merge_implIS3_PmPS5_jNS1_19radix_merge_compareILb1ELb0EmNS0_19identity_decomposerEEEEE10hipError_tT0_T1_T2_jT3_P12ihipStream_tbPNSt15iterator_traitsISE_E10value_typeEPNSK_ISF_E10value_typeEPSG_NS1_7vsmem_tEENKUlT_SE_SF_SG_E_clIS8_S8_S9_S9_EESD_ST_SE_SF_SG_EUlST_E1_NS1_11comp_targetILNS1_3genE8ELNS1_11target_archE1030ELNS1_3gpuE2ELNS1_3repE0EEENS1_36merge_oddeven_config_static_selectorELNS0_4arch9wavefront6targetE1EEEvSF_
	.p2align	8
	.type	_ZN7rocprim17ROCPRIM_400000_NS6detail17trampoline_kernelINS0_14default_configENS1_38merge_sort_block_merge_config_selectorImNS0_10empty_typeEEEZZNS1_27merge_sort_block_merge_implIS3_PmPS5_jNS1_19radix_merge_compareILb1ELb0EmNS0_19identity_decomposerEEEEE10hipError_tT0_T1_T2_jT3_P12ihipStream_tbPNSt15iterator_traitsISE_E10value_typeEPNSK_ISF_E10value_typeEPSG_NS1_7vsmem_tEENKUlT_SE_SF_SG_E_clIS8_S8_S9_S9_EESD_ST_SE_SF_SG_EUlST_E1_NS1_11comp_targetILNS1_3genE8ELNS1_11target_archE1030ELNS1_3gpuE2ELNS1_3repE0EEENS1_36merge_oddeven_config_static_selectorELNS0_4arch9wavefront6targetE1EEEvSF_,@function
_ZN7rocprim17ROCPRIM_400000_NS6detail17trampoline_kernelINS0_14default_configENS1_38merge_sort_block_merge_config_selectorImNS0_10empty_typeEEEZZNS1_27merge_sort_block_merge_implIS3_PmPS5_jNS1_19radix_merge_compareILb1ELb0EmNS0_19identity_decomposerEEEEE10hipError_tT0_T1_T2_jT3_P12ihipStream_tbPNSt15iterator_traitsISE_E10value_typeEPNSK_ISF_E10value_typeEPSG_NS1_7vsmem_tEENKUlT_SE_SF_SG_E_clIS8_S8_S9_S9_EESD_ST_SE_SF_SG_EUlST_E1_NS1_11comp_targetILNS1_3genE8ELNS1_11target_archE1030ELNS1_3gpuE2ELNS1_3repE0EEENS1_36merge_oddeven_config_static_selectorELNS0_4arch9wavefront6targetE1EEEvSF_: ; @_ZN7rocprim17ROCPRIM_400000_NS6detail17trampoline_kernelINS0_14default_configENS1_38merge_sort_block_merge_config_selectorImNS0_10empty_typeEEEZZNS1_27merge_sort_block_merge_implIS3_PmPS5_jNS1_19radix_merge_compareILb1ELb0EmNS0_19identity_decomposerEEEEE10hipError_tT0_T1_T2_jT3_P12ihipStream_tbPNSt15iterator_traitsISE_E10value_typeEPNSK_ISF_E10value_typeEPSG_NS1_7vsmem_tEENKUlT_SE_SF_SG_E_clIS8_S8_S9_S9_EESD_ST_SE_SF_SG_EUlST_E1_NS1_11comp_targetILNS1_3genE8ELNS1_11target_archE1030ELNS1_3gpuE2ELNS1_3repE0EEENS1_36merge_oddeven_config_static_selectorELNS0_4arch9wavefront6targetE1EEEvSF_
; %bb.0:
	.section	.rodata,"a",@progbits
	.p2align	6, 0x0
	.amdhsa_kernel _ZN7rocprim17ROCPRIM_400000_NS6detail17trampoline_kernelINS0_14default_configENS1_38merge_sort_block_merge_config_selectorImNS0_10empty_typeEEEZZNS1_27merge_sort_block_merge_implIS3_PmPS5_jNS1_19radix_merge_compareILb1ELb0EmNS0_19identity_decomposerEEEEE10hipError_tT0_T1_T2_jT3_P12ihipStream_tbPNSt15iterator_traitsISE_E10value_typeEPNSK_ISF_E10value_typeEPSG_NS1_7vsmem_tEENKUlT_SE_SF_SG_E_clIS8_S8_S9_S9_EESD_ST_SE_SF_SG_EUlST_E1_NS1_11comp_targetILNS1_3genE8ELNS1_11target_archE1030ELNS1_3gpuE2ELNS1_3repE0EEENS1_36merge_oddeven_config_static_selectorELNS0_4arch9wavefront6targetE1EEEvSF_
		.amdhsa_group_segment_fixed_size 0
		.amdhsa_private_segment_fixed_size 0
		.amdhsa_kernarg_size 48
		.amdhsa_user_sgpr_count 6
		.amdhsa_user_sgpr_private_segment_buffer 1
		.amdhsa_user_sgpr_dispatch_ptr 0
		.amdhsa_user_sgpr_queue_ptr 0
		.amdhsa_user_sgpr_kernarg_segment_ptr 1
		.amdhsa_user_sgpr_dispatch_id 0
		.amdhsa_user_sgpr_flat_scratch_init 0
		.amdhsa_user_sgpr_kernarg_preload_length 0
		.amdhsa_user_sgpr_kernarg_preload_offset 0
		.amdhsa_user_sgpr_private_segment_size 0
		.amdhsa_uses_dynamic_stack 0
		.amdhsa_system_sgpr_private_segment_wavefront_offset 0
		.amdhsa_system_sgpr_workgroup_id_x 1
		.amdhsa_system_sgpr_workgroup_id_y 0
		.amdhsa_system_sgpr_workgroup_id_z 0
		.amdhsa_system_sgpr_workgroup_info 0
		.amdhsa_system_vgpr_workitem_id 0
		.amdhsa_next_free_vgpr 1
		.amdhsa_next_free_sgpr 0
		.amdhsa_accum_offset 4
		.amdhsa_reserve_vcc 0
		.amdhsa_reserve_flat_scratch 0
		.amdhsa_float_round_mode_32 0
		.amdhsa_float_round_mode_16_64 0
		.amdhsa_float_denorm_mode_32 3
		.amdhsa_float_denorm_mode_16_64 3
		.amdhsa_dx10_clamp 1
		.amdhsa_ieee_mode 1
		.amdhsa_fp16_overflow 0
		.amdhsa_tg_split 0
		.amdhsa_exception_fp_ieee_invalid_op 0
		.amdhsa_exception_fp_denorm_src 0
		.amdhsa_exception_fp_ieee_div_zero 0
		.amdhsa_exception_fp_ieee_overflow 0
		.amdhsa_exception_fp_ieee_underflow 0
		.amdhsa_exception_fp_ieee_inexact 0
		.amdhsa_exception_int_div_zero 0
	.end_amdhsa_kernel
	.section	.text._ZN7rocprim17ROCPRIM_400000_NS6detail17trampoline_kernelINS0_14default_configENS1_38merge_sort_block_merge_config_selectorImNS0_10empty_typeEEEZZNS1_27merge_sort_block_merge_implIS3_PmPS5_jNS1_19radix_merge_compareILb1ELb0EmNS0_19identity_decomposerEEEEE10hipError_tT0_T1_T2_jT3_P12ihipStream_tbPNSt15iterator_traitsISE_E10value_typeEPNSK_ISF_E10value_typeEPSG_NS1_7vsmem_tEENKUlT_SE_SF_SG_E_clIS8_S8_S9_S9_EESD_ST_SE_SF_SG_EUlST_E1_NS1_11comp_targetILNS1_3genE8ELNS1_11target_archE1030ELNS1_3gpuE2ELNS1_3repE0EEENS1_36merge_oddeven_config_static_selectorELNS0_4arch9wavefront6targetE1EEEvSF_,"axG",@progbits,_ZN7rocprim17ROCPRIM_400000_NS6detail17trampoline_kernelINS0_14default_configENS1_38merge_sort_block_merge_config_selectorImNS0_10empty_typeEEEZZNS1_27merge_sort_block_merge_implIS3_PmPS5_jNS1_19radix_merge_compareILb1ELb0EmNS0_19identity_decomposerEEEEE10hipError_tT0_T1_T2_jT3_P12ihipStream_tbPNSt15iterator_traitsISE_E10value_typeEPNSK_ISF_E10value_typeEPSG_NS1_7vsmem_tEENKUlT_SE_SF_SG_E_clIS8_S8_S9_S9_EESD_ST_SE_SF_SG_EUlST_E1_NS1_11comp_targetILNS1_3genE8ELNS1_11target_archE1030ELNS1_3gpuE2ELNS1_3repE0EEENS1_36merge_oddeven_config_static_selectorELNS0_4arch9wavefront6targetE1EEEvSF_,comdat
.Lfunc_end2248:
	.size	_ZN7rocprim17ROCPRIM_400000_NS6detail17trampoline_kernelINS0_14default_configENS1_38merge_sort_block_merge_config_selectorImNS0_10empty_typeEEEZZNS1_27merge_sort_block_merge_implIS3_PmPS5_jNS1_19radix_merge_compareILb1ELb0EmNS0_19identity_decomposerEEEEE10hipError_tT0_T1_T2_jT3_P12ihipStream_tbPNSt15iterator_traitsISE_E10value_typeEPNSK_ISF_E10value_typeEPSG_NS1_7vsmem_tEENKUlT_SE_SF_SG_E_clIS8_S8_S9_S9_EESD_ST_SE_SF_SG_EUlST_E1_NS1_11comp_targetILNS1_3genE8ELNS1_11target_archE1030ELNS1_3gpuE2ELNS1_3repE0EEENS1_36merge_oddeven_config_static_selectorELNS0_4arch9wavefront6targetE1EEEvSF_, .Lfunc_end2248-_ZN7rocprim17ROCPRIM_400000_NS6detail17trampoline_kernelINS0_14default_configENS1_38merge_sort_block_merge_config_selectorImNS0_10empty_typeEEEZZNS1_27merge_sort_block_merge_implIS3_PmPS5_jNS1_19radix_merge_compareILb1ELb0EmNS0_19identity_decomposerEEEEE10hipError_tT0_T1_T2_jT3_P12ihipStream_tbPNSt15iterator_traitsISE_E10value_typeEPNSK_ISF_E10value_typeEPSG_NS1_7vsmem_tEENKUlT_SE_SF_SG_E_clIS8_S8_S9_S9_EESD_ST_SE_SF_SG_EUlST_E1_NS1_11comp_targetILNS1_3genE8ELNS1_11target_archE1030ELNS1_3gpuE2ELNS1_3repE0EEENS1_36merge_oddeven_config_static_selectorELNS0_4arch9wavefront6targetE1EEEvSF_
                                        ; -- End function
	.section	.AMDGPU.csdata,"",@progbits
; Kernel info:
; codeLenInByte = 0
; NumSgprs: 4
; NumVgprs: 0
; NumAgprs: 0
; TotalNumVgprs: 0
; ScratchSize: 0
; MemoryBound: 0
; FloatMode: 240
; IeeeMode: 1
; LDSByteSize: 0 bytes/workgroup (compile time only)
; SGPRBlocks: 0
; VGPRBlocks: 0
; NumSGPRsForWavesPerEU: 4
; NumVGPRsForWavesPerEU: 1
; AccumOffset: 4
; Occupancy: 8
; WaveLimiterHint : 0
; COMPUTE_PGM_RSRC2:SCRATCH_EN: 0
; COMPUTE_PGM_RSRC2:USER_SGPR: 6
; COMPUTE_PGM_RSRC2:TRAP_HANDLER: 0
; COMPUTE_PGM_RSRC2:TGID_X_EN: 1
; COMPUTE_PGM_RSRC2:TGID_Y_EN: 0
; COMPUTE_PGM_RSRC2:TGID_Z_EN: 0
; COMPUTE_PGM_RSRC2:TIDIG_COMP_CNT: 0
; COMPUTE_PGM_RSRC3_GFX90A:ACCUM_OFFSET: 0
; COMPUTE_PGM_RSRC3_GFX90A:TG_SPLIT: 0
	.section	.text._ZN7rocprim17ROCPRIM_400000_NS6detail17trampoline_kernelINS0_14default_configENS1_38merge_sort_block_merge_config_selectorImNS0_10empty_typeEEEZZNS1_27merge_sort_block_merge_implIS3_PmPS5_jNS1_19radix_merge_compareILb1ELb1EmNS0_19identity_decomposerEEEEE10hipError_tT0_T1_T2_jT3_P12ihipStream_tbPNSt15iterator_traitsISE_E10value_typeEPNSK_ISF_E10value_typeEPSG_NS1_7vsmem_tEENKUlT_SE_SF_SG_E_clIS8_S8_S9_S9_EESD_ST_SE_SF_SG_EUlST_E_NS1_11comp_targetILNS1_3genE0ELNS1_11target_archE4294967295ELNS1_3gpuE0ELNS1_3repE0EEENS1_48merge_mergepath_partition_config_static_selectorELNS0_4arch9wavefront6targetE1EEEvSF_,"axG",@progbits,_ZN7rocprim17ROCPRIM_400000_NS6detail17trampoline_kernelINS0_14default_configENS1_38merge_sort_block_merge_config_selectorImNS0_10empty_typeEEEZZNS1_27merge_sort_block_merge_implIS3_PmPS5_jNS1_19radix_merge_compareILb1ELb1EmNS0_19identity_decomposerEEEEE10hipError_tT0_T1_T2_jT3_P12ihipStream_tbPNSt15iterator_traitsISE_E10value_typeEPNSK_ISF_E10value_typeEPSG_NS1_7vsmem_tEENKUlT_SE_SF_SG_E_clIS8_S8_S9_S9_EESD_ST_SE_SF_SG_EUlST_E_NS1_11comp_targetILNS1_3genE0ELNS1_11target_archE4294967295ELNS1_3gpuE0ELNS1_3repE0EEENS1_48merge_mergepath_partition_config_static_selectorELNS0_4arch9wavefront6targetE1EEEvSF_,comdat
	.protected	_ZN7rocprim17ROCPRIM_400000_NS6detail17trampoline_kernelINS0_14default_configENS1_38merge_sort_block_merge_config_selectorImNS0_10empty_typeEEEZZNS1_27merge_sort_block_merge_implIS3_PmPS5_jNS1_19radix_merge_compareILb1ELb1EmNS0_19identity_decomposerEEEEE10hipError_tT0_T1_T2_jT3_P12ihipStream_tbPNSt15iterator_traitsISE_E10value_typeEPNSK_ISF_E10value_typeEPSG_NS1_7vsmem_tEENKUlT_SE_SF_SG_E_clIS8_S8_S9_S9_EESD_ST_SE_SF_SG_EUlST_E_NS1_11comp_targetILNS1_3genE0ELNS1_11target_archE4294967295ELNS1_3gpuE0ELNS1_3repE0EEENS1_48merge_mergepath_partition_config_static_selectorELNS0_4arch9wavefront6targetE1EEEvSF_ ; -- Begin function _ZN7rocprim17ROCPRIM_400000_NS6detail17trampoline_kernelINS0_14default_configENS1_38merge_sort_block_merge_config_selectorImNS0_10empty_typeEEEZZNS1_27merge_sort_block_merge_implIS3_PmPS5_jNS1_19radix_merge_compareILb1ELb1EmNS0_19identity_decomposerEEEEE10hipError_tT0_T1_T2_jT3_P12ihipStream_tbPNSt15iterator_traitsISE_E10value_typeEPNSK_ISF_E10value_typeEPSG_NS1_7vsmem_tEENKUlT_SE_SF_SG_E_clIS8_S8_S9_S9_EESD_ST_SE_SF_SG_EUlST_E_NS1_11comp_targetILNS1_3genE0ELNS1_11target_archE4294967295ELNS1_3gpuE0ELNS1_3repE0EEENS1_48merge_mergepath_partition_config_static_selectorELNS0_4arch9wavefront6targetE1EEEvSF_
	.globl	_ZN7rocprim17ROCPRIM_400000_NS6detail17trampoline_kernelINS0_14default_configENS1_38merge_sort_block_merge_config_selectorImNS0_10empty_typeEEEZZNS1_27merge_sort_block_merge_implIS3_PmPS5_jNS1_19radix_merge_compareILb1ELb1EmNS0_19identity_decomposerEEEEE10hipError_tT0_T1_T2_jT3_P12ihipStream_tbPNSt15iterator_traitsISE_E10value_typeEPNSK_ISF_E10value_typeEPSG_NS1_7vsmem_tEENKUlT_SE_SF_SG_E_clIS8_S8_S9_S9_EESD_ST_SE_SF_SG_EUlST_E_NS1_11comp_targetILNS1_3genE0ELNS1_11target_archE4294967295ELNS1_3gpuE0ELNS1_3repE0EEENS1_48merge_mergepath_partition_config_static_selectorELNS0_4arch9wavefront6targetE1EEEvSF_
	.p2align	8
	.type	_ZN7rocprim17ROCPRIM_400000_NS6detail17trampoline_kernelINS0_14default_configENS1_38merge_sort_block_merge_config_selectorImNS0_10empty_typeEEEZZNS1_27merge_sort_block_merge_implIS3_PmPS5_jNS1_19radix_merge_compareILb1ELb1EmNS0_19identity_decomposerEEEEE10hipError_tT0_T1_T2_jT3_P12ihipStream_tbPNSt15iterator_traitsISE_E10value_typeEPNSK_ISF_E10value_typeEPSG_NS1_7vsmem_tEENKUlT_SE_SF_SG_E_clIS8_S8_S9_S9_EESD_ST_SE_SF_SG_EUlST_E_NS1_11comp_targetILNS1_3genE0ELNS1_11target_archE4294967295ELNS1_3gpuE0ELNS1_3repE0EEENS1_48merge_mergepath_partition_config_static_selectorELNS0_4arch9wavefront6targetE1EEEvSF_,@function
_ZN7rocprim17ROCPRIM_400000_NS6detail17trampoline_kernelINS0_14default_configENS1_38merge_sort_block_merge_config_selectorImNS0_10empty_typeEEEZZNS1_27merge_sort_block_merge_implIS3_PmPS5_jNS1_19radix_merge_compareILb1ELb1EmNS0_19identity_decomposerEEEEE10hipError_tT0_T1_T2_jT3_P12ihipStream_tbPNSt15iterator_traitsISE_E10value_typeEPNSK_ISF_E10value_typeEPSG_NS1_7vsmem_tEENKUlT_SE_SF_SG_E_clIS8_S8_S9_S9_EESD_ST_SE_SF_SG_EUlST_E_NS1_11comp_targetILNS1_3genE0ELNS1_11target_archE4294967295ELNS1_3gpuE0ELNS1_3repE0EEENS1_48merge_mergepath_partition_config_static_selectorELNS0_4arch9wavefront6targetE1EEEvSF_: ; @_ZN7rocprim17ROCPRIM_400000_NS6detail17trampoline_kernelINS0_14default_configENS1_38merge_sort_block_merge_config_selectorImNS0_10empty_typeEEEZZNS1_27merge_sort_block_merge_implIS3_PmPS5_jNS1_19radix_merge_compareILb1ELb1EmNS0_19identity_decomposerEEEEE10hipError_tT0_T1_T2_jT3_P12ihipStream_tbPNSt15iterator_traitsISE_E10value_typeEPNSK_ISF_E10value_typeEPSG_NS1_7vsmem_tEENKUlT_SE_SF_SG_E_clIS8_S8_S9_S9_EESD_ST_SE_SF_SG_EUlST_E_NS1_11comp_targetILNS1_3genE0ELNS1_11target_archE4294967295ELNS1_3gpuE0ELNS1_3repE0EEENS1_48merge_mergepath_partition_config_static_selectorELNS0_4arch9wavefront6targetE1EEEvSF_
; %bb.0:
	.section	.rodata,"a",@progbits
	.p2align	6, 0x0
	.amdhsa_kernel _ZN7rocprim17ROCPRIM_400000_NS6detail17trampoline_kernelINS0_14default_configENS1_38merge_sort_block_merge_config_selectorImNS0_10empty_typeEEEZZNS1_27merge_sort_block_merge_implIS3_PmPS5_jNS1_19radix_merge_compareILb1ELb1EmNS0_19identity_decomposerEEEEE10hipError_tT0_T1_T2_jT3_P12ihipStream_tbPNSt15iterator_traitsISE_E10value_typeEPNSK_ISF_E10value_typeEPSG_NS1_7vsmem_tEENKUlT_SE_SF_SG_E_clIS8_S8_S9_S9_EESD_ST_SE_SF_SG_EUlST_E_NS1_11comp_targetILNS1_3genE0ELNS1_11target_archE4294967295ELNS1_3gpuE0ELNS1_3repE0EEENS1_48merge_mergepath_partition_config_static_selectorELNS0_4arch9wavefront6targetE1EEEvSF_
		.amdhsa_group_segment_fixed_size 0
		.amdhsa_private_segment_fixed_size 0
		.amdhsa_kernarg_size 40
		.amdhsa_user_sgpr_count 6
		.amdhsa_user_sgpr_private_segment_buffer 1
		.amdhsa_user_sgpr_dispatch_ptr 0
		.amdhsa_user_sgpr_queue_ptr 0
		.amdhsa_user_sgpr_kernarg_segment_ptr 1
		.amdhsa_user_sgpr_dispatch_id 0
		.amdhsa_user_sgpr_flat_scratch_init 0
		.amdhsa_user_sgpr_kernarg_preload_length 0
		.amdhsa_user_sgpr_kernarg_preload_offset 0
		.amdhsa_user_sgpr_private_segment_size 0
		.amdhsa_uses_dynamic_stack 0
		.amdhsa_system_sgpr_private_segment_wavefront_offset 0
		.amdhsa_system_sgpr_workgroup_id_x 1
		.amdhsa_system_sgpr_workgroup_id_y 0
		.amdhsa_system_sgpr_workgroup_id_z 0
		.amdhsa_system_sgpr_workgroup_info 0
		.amdhsa_system_vgpr_workitem_id 0
		.amdhsa_next_free_vgpr 1
		.amdhsa_next_free_sgpr 0
		.amdhsa_accum_offset 4
		.amdhsa_reserve_vcc 0
		.amdhsa_reserve_flat_scratch 0
		.amdhsa_float_round_mode_32 0
		.amdhsa_float_round_mode_16_64 0
		.amdhsa_float_denorm_mode_32 3
		.amdhsa_float_denorm_mode_16_64 3
		.amdhsa_dx10_clamp 1
		.amdhsa_ieee_mode 1
		.amdhsa_fp16_overflow 0
		.amdhsa_tg_split 0
		.amdhsa_exception_fp_ieee_invalid_op 0
		.amdhsa_exception_fp_denorm_src 0
		.amdhsa_exception_fp_ieee_div_zero 0
		.amdhsa_exception_fp_ieee_overflow 0
		.amdhsa_exception_fp_ieee_underflow 0
		.amdhsa_exception_fp_ieee_inexact 0
		.amdhsa_exception_int_div_zero 0
	.end_amdhsa_kernel
	.section	.text._ZN7rocprim17ROCPRIM_400000_NS6detail17trampoline_kernelINS0_14default_configENS1_38merge_sort_block_merge_config_selectorImNS0_10empty_typeEEEZZNS1_27merge_sort_block_merge_implIS3_PmPS5_jNS1_19radix_merge_compareILb1ELb1EmNS0_19identity_decomposerEEEEE10hipError_tT0_T1_T2_jT3_P12ihipStream_tbPNSt15iterator_traitsISE_E10value_typeEPNSK_ISF_E10value_typeEPSG_NS1_7vsmem_tEENKUlT_SE_SF_SG_E_clIS8_S8_S9_S9_EESD_ST_SE_SF_SG_EUlST_E_NS1_11comp_targetILNS1_3genE0ELNS1_11target_archE4294967295ELNS1_3gpuE0ELNS1_3repE0EEENS1_48merge_mergepath_partition_config_static_selectorELNS0_4arch9wavefront6targetE1EEEvSF_,"axG",@progbits,_ZN7rocprim17ROCPRIM_400000_NS6detail17trampoline_kernelINS0_14default_configENS1_38merge_sort_block_merge_config_selectorImNS0_10empty_typeEEEZZNS1_27merge_sort_block_merge_implIS3_PmPS5_jNS1_19radix_merge_compareILb1ELb1EmNS0_19identity_decomposerEEEEE10hipError_tT0_T1_T2_jT3_P12ihipStream_tbPNSt15iterator_traitsISE_E10value_typeEPNSK_ISF_E10value_typeEPSG_NS1_7vsmem_tEENKUlT_SE_SF_SG_E_clIS8_S8_S9_S9_EESD_ST_SE_SF_SG_EUlST_E_NS1_11comp_targetILNS1_3genE0ELNS1_11target_archE4294967295ELNS1_3gpuE0ELNS1_3repE0EEENS1_48merge_mergepath_partition_config_static_selectorELNS0_4arch9wavefront6targetE1EEEvSF_,comdat
.Lfunc_end2249:
	.size	_ZN7rocprim17ROCPRIM_400000_NS6detail17trampoline_kernelINS0_14default_configENS1_38merge_sort_block_merge_config_selectorImNS0_10empty_typeEEEZZNS1_27merge_sort_block_merge_implIS3_PmPS5_jNS1_19radix_merge_compareILb1ELb1EmNS0_19identity_decomposerEEEEE10hipError_tT0_T1_T2_jT3_P12ihipStream_tbPNSt15iterator_traitsISE_E10value_typeEPNSK_ISF_E10value_typeEPSG_NS1_7vsmem_tEENKUlT_SE_SF_SG_E_clIS8_S8_S9_S9_EESD_ST_SE_SF_SG_EUlST_E_NS1_11comp_targetILNS1_3genE0ELNS1_11target_archE4294967295ELNS1_3gpuE0ELNS1_3repE0EEENS1_48merge_mergepath_partition_config_static_selectorELNS0_4arch9wavefront6targetE1EEEvSF_, .Lfunc_end2249-_ZN7rocprim17ROCPRIM_400000_NS6detail17trampoline_kernelINS0_14default_configENS1_38merge_sort_block_merge_config_selectorImNS0_10empty_typeEEEZZNS1_27merge_sort_block_merge_implIS3_PmPS5_jNS1_19radix_merge_compareILb1ELb1EmNS0_19identity_decomposerEEEEE10hipError_tT0_T1_T2_jT3_P12ihipStream_tbPNSt15iterator_traitsISE_E10value_typeEPNSK_ISF_E10value_typeEPSG_NS1_7vsmem_tEENKUlT_SE_SF_SG_E_clIS8_S8_S9_S9_EESD_ST_SE_SF_SG_EUlST_E_NS1_11comp_targetILNS1_3genE0ELNS1_11target_archE4294967295ELNS1_3gpuE0ELNS1_3repE0EEENS1_48merge_mergepath_partition_config_static_selectorELNS0_4arch9wavefront6targetE1EEEvSF_
                                        ; -- End function
	.section	.AMDGPU.csdata,"",@progbits
; Kernel info:
; codeLenInByte = 0
; NumSgprs: 4
; NumVgprs: 0
; NumAgprs: 0
; TotalNumVgprs: 0
; ScratchSize: 0
; MemoryBound: 0
; FloatMode: 240
; IeeeMode: 1
; LDSByteSize: 0 bytes/workgroup (compile time only)
; SGPRBlocks: 0
; VGPRBlocks: 0
; NumSGPRsForWavesPerEU: 4
; NumVGPRsForWavesPerEU: 1
; AccumOffset: 4
; Occupancy: 8
; WaveLimiterHint : 0
; COMPUTE_PGM_RSRC2:SCRATCH_EN: 0
; COMPUTE_PGM_RSRC2:USER_SGPR: 6
; COMPUTE_PGM_RSRC2:TRAP_HANDLER: 0
; COMPUTE_PGM_RSRC2:TGID_X_EN: 1
; COMPUTE_PGM_RSRC2:TGID_Y_EN: 0
; COMPUTE_PGM_RSRC2:TGID_Z_EN: 0
; COMPUTE_PGM_RSRC2:TIDIG_COMP_CNT: 0
; COMPUTE_PGM_RSRC3_GFX90A:ACCUM_OFFSET: 0
; COMPUTE_PGM_RSRC3_GFX90A:TG_SPLIT: 0
	.section	.text._ZN7rocprim17ROCPRIM_400000_NS6detail17trampoline_kernelINS0_14default_configENS1_38merge_sort_block_merge_config_selectorImNS0_10empty_typeEEEZZNS1_27merge_sort_block_merge_implIS3_PmPS5_jNS1_19radix_merge_compareILb1ELb1EmNS0_19identity_decomposerEEEEE10hipError_tT0_T1_T2_jT3_P12ihipStream_tbPNSt15iterator_traitsISE_E10value_typeEPNSK_ISF_E10value_typeEPSG_NS1_7vsmem_tEENKUlT_SE_SF_SG_E_clIS8_S8_S9_S9_EESD_ST_SE_SF_SG_EUlST_E_NS1_11comp_targetILNS1_3genE10ELNS1_11target_archE1201ELNS1_3gpuE5ELNS1_3repE0EEENS1_48merge_mergepath_partition_config_static_selectorELNS0_4arch9wavefront6targetE1EEEvSF_,"axG",@progbits,_ZN7rocprim17ROCPRIM_400000_NS6detail17trampoline_kernelINS0_14default_configENS1_38merge_sort_block_merge_config_selectorImNS0_10empty_typeEEEZZNS1_27merge_sort_block_merge_implIS3_PmPS5_jNS1_19radix_merge_compareILb1ELb1EmNS0_19identity_decomposerEEEEE10hipError_tT0_T1_T2_jT3_P12ihipStream_tbPNSt15iterator_traitsISE_E10value_typeEPNSK_ISF_E10value_typeEPSG_NS1_7vsmem_tEENKUlT_SE_SF_SG_E_clIS8_S8_S9_S9_EESD_ST_SE_SF_SG_EUlST_E_NS1_11comp_targetILNS1_3genE10ELNS1_11target_archE1201ELNS1_3gpuE5ELNS1_3repE0EEENS1_48merge_mergepath_partition_config_static_selectorELNS0_4arch9wavefront6targetE1EEEvSF_,comdat
	.protected	_ZN7rocprim17ROCPRIM_400000_NS6detail17trampoline_kernelINS0_14default_configENS1_38merge_sort_block_merge_config_selectorImNS0_10empty_typeEEEZZNS1_27merge_sort_block_merge_implIS3_PmPS5_jNS1_19radix_merge_compareILb1ELb1EmNS0_19identity_decomposerEEEEE10hipError_tT0_T1_T2_jT3_P12ihipStream_tbPNSt15iterator_traitsISE_E10value_typeEPNSK_ISF_E10value_typeEPSG_NS1_7vsmem_tEENKUlT_SE_SF_SG_E_clIS8_S8_S9_S9_EESD_ST_SE_SF_SG_EUlST_E_NS1_11comp_targetILNS1_3genE10ELNS1_11target_archE1201ELNS1_3gpuE5ELNS1_3repE0EEENS1_48merge_mergepath_partition_config_static_selectorELNS0_4arch9wavefront6targetE1EEEvSF_ ; -- Begin function _ZN7rocprim17ROCPRIM_400000_NS6detail17trampoline_kernelINS0_14default_configENS1_38merge_sort_block_merge_config_selectorImNS0_10empty_typeEEEZZNS1_27merge_sort_block_merge_implIS3_PmPS5_jNS1_19radix_merge_compareILb1ELb1EmNS0_19identity_decomposerEEEEE10hipError_tT0_T1_T2_jT3_P12ihipStream_tbPNSt15iterator_traitsISE_E10value_typeEPNSK_ISF_E10value_typeEPSG_NS1_7vsmem_tEENKUlT_SE_SF_SG_E_clIS8_S8_S9_S9_EESD_ST_SE_SF_SG_EUlST_E_NS1_11comp_targetILNS1_3genE10ELNS1_11target_archE1201ELNS1_3gpuE5ELNS1_3repE0EEENS1_48merge_mergepath_partition_config_static_selectorELNS0_4arch9wavefront6targetE1EEEvSF_
	.globl	_ZN7rocprim17ROCPRIM_400000_NS6detail17trampoline_kernelINS0_14default_configENS1_38merge_sort_block_merge_config_selectorImNS0_10empty_typeEEEZZNS1_27merge_sort_block_merge_implIS3_PmPS5_jNS1_19radix_merge_compareILb1ELb1EmNS0_19identity_decomposerEEEEE10hipError_tT0_T1_T2_jT3_P12ihipStream_tbPNSt15iterator_traitsISE_E10value_typeEPNSK_ISF_E10value_typeEPSG_NS1_7vsmem_tEENKUlT_SE_SF_SG_E_clIS8_S8_S9_S9_EESD_ST_SE_SF_SG_EUlST_E_NS1_11comp_targetILNS1_3genE10ELNS1_11target_archE1201ELNS1_3gpuE5ELNS1_3repE0EEENS1_48merge_mergepath_partition_config_static_selectorELNS0_4arch9wavefront6targetE1EEEvSF_
	.p2align	8
	.type	_ZN7rocprim17ROCPRIM_400000_NS6detail17trampoline_kernelINS0_14default_configENS1_38merge_sort_block_merge_config_selectorImNS0_10empty_typeEEEZZNS1_27merge_sort_block_merge_implIS3_PmPS5_jNS1_19radix_merge_compareILb1ELb1EmNS0_19identity_decomposerEEEEE10hipError_tT0_T1_T2_jT3_P12ihipStream_tbPNSt15iterator_traitsISE_E10value_typeEPNSK_ISF_E10value_typeEPSG_NS1_7vsmem_tEENKUlT_SE_SF_SG_E_clIS8_S8_S9_S9_EESD_ST_SE_SF_SG_EUlST_E_NS1_11comp_targetILNS1_3genE10ELNS1_11target_archE1201ELNS1_3gpuE5ELNS1_3repE0EEENS1_48merge_mergepath_partition_config_static_selectorELNS0_4arch9wavefront6targetE1EEEvSF_,@function
_ZN7rocprim17ROCPRIM_400000_NS6detail17trampoline_kernelINS0_14default_configENS1_38merge_sort_block_merge_config_selectorImNS0_10empty_typeEEEZZNS1_27merge_sort_block_merge_implIS3_PmPS5_jNS1_19radix_merge_compareILb1ELb1EmNS0_19identity_decomposerEEEEE10hipError_tT0_T1_T2_jT3_P12ihipStream_tbPNSt15iterator_traitsISE_E10value_typeEPNSK_ISF_E10value_typeEPSG_NS1_7vsmem_tEENKUlT_SE_SF_SG_E_clIS8_S8_S9_S9_EESD_ST_SE_SF_SG_EUlST_E_NS1_11comp_targetILNS1_3genE10ELNS1_11target_archE1201ELNS1_3gpuE5ELNS1_3repE0EEENS1_48merge_mergepath_partition_config_static_selectorELNS0_4arch9wavefront6targetE1EEEvSF_: ; @_ZN7rocprim17ROCPRIM_400000_NS6detail17trampoline_kernelINS0_14default_configENS1_38merge_sort_block_merge_config_selectorImNS0_10empty_typeEEEZZNS1_27merge_sort_block_merge_implIS3_PmPS5_jNS1_19radix_merge_compareILb1ELb1EmNS0_19identity_decomposerEEEEE10hipError_tT0_T1_T2_jT3_P12ihipStream_tbPNSt15iterator_traitsISE_E10value_typeEPNSK_ISF_E10value_typeEPSG_NS1_7vsmem_tEENKUlT_SE_SF_SG_E_clIS8_S8_S9_S9_EESD_ST_SE_SF_SG_EUlST_E_NS1_11comp_targetILNS1_3genE10ELNS1_11target_archE1201ELNS1_3gpuE5ELNS1_3repE0EEENS1_48merge_mergepath_partition_config_static_selectorELNS0_4arch9wavefront6targetE1EEEvSF_
; %bb.0:
	.section	.rodata,"a",@progbits
	.p2align	6, 0x0
	.amdhsa_kernel _ZN7rocprim17ROCPRIM_400000_NS6detail17trampoline_kernelINS0_14default_configENS1_38merge_sort_block_merge_config_selectorImNS0_10empty_typeEEEZZNS1_27merge_sort_block_merge_implIS3_PmPS5_jNS1_19radix_merge_compareILb1ELb1EmNS0_19identity_decomposerEEEEE10hipError_tT0_T1_T2_jT3_P12ihipStream_tbPNSt15iterator_traitsISE_E10value_typeEPNSK_ISF_E10value_typeEPSG_NS1_7vsmem_tEENKUlT_SE_SF_SG_E_clIS8_S8_S9_S9_EESD_ST_SE_SF_SG_EUlST_E_NS1_11comp_targetILNS1_3genE10ELNS1_11target_archE1201ELNS1_3gpuE5ELNS1_3repE0EEENS1_48merge_mergepath_partition_config_static_selectorELNS0_4arch9wavefront6targetE1EEEvSF_
		.amdhsa_group_segment_fixed_size 0
		.amdhsa_private_segment_fixed_size 0
		.amdhsa_kernarg_size 40
		.amdhsa_user_sgpr_count 6
		.amdhsa_user_sgpr_private_segment_buffer 1
		.amdhsa_user_sgpr_dispatch_ptr 0
		.amdhsa_user_sgpr_queue_ptr 0
		.amdhsa_user_sgpr_kernarg_segment_ptr 1
		.amdhsa_user_sgpr_dispatch_id 0
		.amdhsa_user_sgpr_flat_scratch_init 0
		.amdhsa_user_sgpr_kernarg_preload_length 0
		.amdhsa_user_sgpr_kernarg_preload_offset 0
		.amdhsa_user_sgpr_private_segment_size 0
		.amdhsa_uses_dynamic_stack 0
		.amdhsa_system_sgpr_private_segment_wavefront_offset 0
		.amdhsa_system_sgpr_workgroup_id_x 1
		.amdhsa_system_sgpr_workgroup_id_y 0
		.amdhsa_system_sgpr_workgroup_id_z 0
		.amdhsa_system_sgpr_workgroup_info 0
		.amdhsa_system_vgpr_workitem_id 0
		.amdhsa_next_free_vgpr 1
		.amdhsa_next_free_sgpr 0
		.amdhsa_accum_offset 4
		.amdhsa_reserve_vcc 0
		.amdhsa_reserve_flat_scratch 0
		.amdhsa_float_round_mode_32 0
		.amdhsa_float_round_mode_16_64 0
		.amdhsa_float_denorm_mode_32 3
		.amdhsa_float_denorm_mode_16_64 3
		.amdhsa_dx10_clamp 1
		.amdhsa_ieee_mode 1
		.amdhsa_fp16_overflow 0
		.amdhsa_tg_split 0
		.amdhsa_exception_fp_ieee_invalid_op 0
		.amdhsa_exception_fp_denorm_src 0
		.amdhsa_exception_fp_ieee_div_zero 0
		.amdhsa_exception_fp_ieee_overflow 0
		.amdhsa_exception_fp_ieee_underflow 0
		.amdhsa_exception_fp_ieee_inexact 0
		.amdhsa_exception_int_div_zero 0
	.end_amdhsa_kernel
	.section	.text._ZN7rocprim17ROCPRIM_400000_NS6detail17trampoline_kernelINS0_14default_configENS1_38merge_sort_block_merge_config_selectorImNS0_10empty_typeEEEZZNS1_27merge_sort_block_merge_implIS3_PmPS5_jNS1_19radix_merge_compareILb1ELb1EmNS0_19identity_decomposerEEEEE10hipError_tT0_T1_T2_jT3_P12ihipStream_tbPNSt15iterator_traitsISE_E10value_typeEPNSK_ISF_E10value_typeEPSG_NS1_7vsmem_tEENKUlT_SE_SF_SG_E_clIS8_S8_S9_S9_EESD_ST_SE_SF_SG_EUlST_E_NS1_11comp_targetILNS1_3genE10ELNS1_11target_archE1201ELNS1_3gpuE5ELNS1_3repE0EEENS1_48merge_mergepath_partition_config_static_selectorELNS0_4arch9wavefront6targetE1EEEvSF_,"axG",@progbits,_ZN7rocprim17ROCPRIM_400000_NS6detail17trampoline_kernelINS0_14default_configENS1_38merge_sort_block_merge_config_selectorImNS0_10empty_typeEEEZZNS1_27merge_sort_block_merge_implIS3_PmPS5_jNS1_19radix_merge_compareILb1ELb1EmNS0_19identity_decomposerEEEEE10hipError_tT0_T1_T2_jT3_P12ihipStream_tbPNSt15iterator_traitsISE_E10value_typeEPNSK_ISF_E10value_typeEPSG_NS1_7vsmem_tEENKUlT_SE_SF_SG_E_clIS8_S8_S9_S9_EESD_ST_SE_SF_SG_EUlST_E_NS1_11comp_targetILNS1_3genE10ELNS1_11target_archE1201ELNS1_3gpuE5ELNS1_3repE0EEENS1_48merge_mergepath_partition_config_static_selectorELNS0_4arch9wavefront6targetE1EEEvSF_,comdat
.Lfunc_end2250:
	.size	_ZN7rocprim17ROCPRIM_400000_NS6detail17trampoline_kernelINS0_14default_configENS1_38merge_sort_block_merge_config_selectorImNS0_10empty_typeEEEZZNS1_27merge_sort_block_merge_implIS3_PmPS5_jNS1_19radix_merge_compareILb1ELb1EmNS0_19identity_decomposerEEEEE10hipError_tT0_T1_T2_jT3_P12ihipStream_tbPNSt15iterator_traitsISE_E10value_typeEPNSK_ISF_E10value_typeEPSG_NS1_7vsmem_tEENKUlT_SE_SF_SG_E_clIS8_S8_S9_S9_EESD_ST_SE_SF_SG_EUlST_E_NS1_11comp_targetILNS1_3genE10ELNS1_11target_archE1201ELNS1_3gpuE5ELNS1_3repE0EEENS1_48merge_mergepath_partition_config_static_selectorELNS0_4arch9wavefront6targetE1EEEvSF_, .Lfunc_end2250-_ZN7rocprim17ROCPRIM_400000_NS6detail17trampoline_kernelINS0_14default_configENS1_38merge_sort_block_merge_config_selectorImNS0_10empty_typeEEEZZNS1_27merge_sort_block_merge_implIS3_PmPS5_jNS1_19radix_merge_compareILb1ELb1EmNS0_19identity_decomposerEEEEE10hipError_tT0_T1_T2_jT3_P12ihipStream_tbPNSt15iterator_traitsISE_E10value_typeEPNSK_ISF_E10value_typeEPSG_NS1_7vsmem_tEENKUlT_SE_SF_SG_E_clIS8_S8_S9_S9_EESD_ST_SE_SF_SG_EUlST_E_NS1_11comp_targetILNS1_3genE10ELNS1_11target_archE1201ELNS1_3gpuE5ELNS1_3repE0EEENS1_48merge_mergepath_partition_config_static_selectorELNS0_4arch9wavefront6targetE1EEEvSF_
                                        ; -- End function
	.section	.AMDGPU.csdata,"",@progbits
; Kernel info:
; codeLenInByte = 0
; NumSgprs: 4
; NumVgprs: 0
; NumAgprs: 0
; TotalNumVgprs: 0
; ScratchSize: 0
; MemoryBound: 0
; FloatMode: 240
; IeeeMode: 1
; LDSByteSize: 0 bytes/workgroup (compile time only)
; SGPRBlocks: 0
; VGPRBlocks: 0
; NumSGPRsForWavesPerEU: 4
; NumVGPRsForWavesPerEU: 1
; AccumOffset: 4
; Occupancy: 8
; WaveLimiterHint : 0
; COMPUTE_PGM_RSRC2:SCRATCH_EN: 0
; COMPUTE_PGM_RSRC2:USER_SGPR: 6
; COMPUTE_PGM_RSRC2:TRAP_HANDLER: 0
; COMPUTE_PGM_RSRC2:TGID_X_EN: 1
; COMPUTE_PGM_RSRC2:TGID_Y_EN: 0
; COMPUTE_PGM_RSRC2:TGID_Z_EN: 0
; COMPUTE_PGM_RSRC2:TIDIG_COMP_CNT: 0
; COMPUTE_PGM_RSRC3_GFX90A:ACCUM_OFFSET: 0
; COMPUTE_PGM_RSRC3_GFX90A:TG_SPLIT: 0
	.section	.text._ZN7rocprim17ROCPRIM_400000_NS6detail17trampoline_kernelINS0_14default_configENS1_38merge_sort_block_merge_config_selectorImNS0_10empty_typeEEEZZNS1_27merge_sort_block_merge_implIS3_PmPS5_jNS1_19radix_merge_compareILb1ELb1EmNS0_19identity_decomposerEEEEE10hipError_tT0_T1_T2_jT3_P12ihipStream_tbPNSt15iterator_traitsISE_E10value_typeEPNSK_ISF_E10value_typeEPSG_NS1_7vsmem_tEENKUlT_SE_SF_SG_E_clIS8_S8_S9_S9_EESD_ST_SE_SF_SG_EUlST_E_NS1_11comp_targetILNS1_3genE5ELNS1_11target_archE942ELNS1_3gpuE9ELNS1_3repE0EEENS1_48merge_mergepath_partition_config_static_selectorELNS0_4arch9wavefront6targetE1EEEvSF_,"axG",@progbits,_ZN7rocprim17ROCPRIM_400000_NS6detail17trampoline_kernelINS0_14default_configENS1_38merge_sort_block_merge_config_selectorImNS0_10empty_typeEEEZZNS1_27merge_sort_block_merge_implIS3_PmPS5_jNS1_19radix_merge_compareILb1ELb1EmNS0_19identity_decomposerEEEEE10hipError_tT0_T1_T2_jT3_P12ihipStream_tbPNSt15iterator_traitsISE_E10value_typeEPNSK_ISF_E10value_typeEPSG_NS1_7vsmem_tEENKUlT_SE_SF_SG_E_clIS8_S8_S9_S9_EESD_ST_SE_SF_SG_EUlST_E_NS1_11comp_targetILNS1_3genE5ELNS1_11target_archE942ELNS1_3gpuE9ELNS1_3repE0EEENS1_48merge_mergepath_partition_config_static_selectorELNS0_4arch9wavefront6targetE1EEEvSF_,comdat
	.protected	_ZN7rocprim17ROCPRIM_400000_NS6detail17trampoline_kernelINS0_14default_configENS1_38merge_sort_block_merge_config_selectorImNS0_10empty_typeEEEZZNS1_27merge_sort_block_merge_implIS3_PmPS5_jNS1_19radix_merge_compareILb1ELb1EmNS0_19identity_decomposerEEEEE10hipError_tT0_T1_T2_jT3_P12ihipStream_tbPNSt15iterator_traitsISE_E10value_typeEPNSK_ISF_E10value_typeEPSG_NS1_7vsmem_tEENKUlT_SE_SF_SG_E_clIS8_S8_S9_S9_EESD_ST_SE_SF_SG_EUlST_E_NS1_11comp_targetILNS1_3genE5ELNS1_11target_archE942ELNS1_3gpuE9ELNS1_3repE0EEENS1_48merge_mergepath_partition_config_static_selectorELNS0_4arch9wavefront6targetE1EEEvSF_ ; -- Begin function _ZN7rocprim17ROCPRIM_400000_NS6detail17trampoline_kernelINS0_14default_configENS1_38merge_sort_block_merge_config_selectorImNS0_10empty_typeEEEZZNS1_27merge_sort_block_merge_implIS3_PmPS5_jNS1_19radix_merge_compareILb1ELb1EmNS0_19identity_decomposerEEEEE10hipError_tT0_T1_T2_jT3_P12ihipStream_tbPNSt15iterator_traitsISE_E10value_typeEPNSK_ISF_E10value_typeEPSG_NS1_7vsmem_tEENKUlT_SE_SF_SG_E_clIS8_S8_S9_S9_EESD_ST_SE_SF_SG_EUlST_E_NS1_11comp_targetILNS1_3genE5ELNS1_11target_archE942ELNS1_3gpuE9ELNS1_3repE0EEENS1_48merge_mergepath_partition_config_static_selectorELNS0_4arch9wavefront6targetE1EEEvSF_
	.globl	_ZN7rocprim17ROCPRIM_400000_NS6detail17trampoline_kernelINS0_14default_configENS1_38merge_sort_block_merge_config_selectorImNS0_10empty_typeEEEZZNS1_27merge_sort_block_merge_implIS3_PmPS5_jNS1_19radix_merge_compareILb1ELb1EmNS0_19identity_decomposerEEEEE10hipError_tT0_T1_T2_jT3_P12ihipStream_tbPNSt15iterator_traitsISE_E10value_typeEPNSK_ISF_E10value_typeEPSG_NS1_7vsmem_tEENKUlT_SE_SF_SG_E_clIS8_S8_S9_S9_EESD_ST_SE_SF_SG_EUlST_E_NS1_11comp_targetILNS1_3genE5ELNS1_11target_archE942ELNS1_3gpuE9ELNS1_3repE0EEENS1_48merge_mergepath_partition_config_static_selectorELNS0_4arch9wavefront6targetE1EEEvSF_
	.p2align	8
	.type	_ZN7rocprim17ROCPRIM_400000_NS6detail17trampoline_kernelINS0_14default_configENS1_38merge_sort_block_merge_config_selectorImNS0_10empty_typeEEEZZNS1_27merge_sort_block_merge_implIS3_PmPS5_jNS1_19radix_merge_compareILb1ELb1EmNS0_19identity_decomposerEEEEE10hipError_tT0_T1_T2_jT3_P12ihipStream_tbPNSt15iterator_traitsISE_E10value_typeEPNSK_ISF_E10value_typeEPSG_NS1_7vsmem_tEENKUlT_SE_SF_SG_E_clIS8_S8_S9_S9_EESD_ST_SE_SF_SG_EUlST_E_NS1_11comp_targetILNS1_3genE5ELNS1_11target_archE942ELNS1_3gpuE9ELNS1_3repE0EEENS1_48merge_mergepath_partition_config_static_selectorELNS0_4arch9wavefront6targetE1EEEvSF_,@function
_ZN7rocprim17ROCPRIM_400000_NS6detail17trampoline_kernelINS0_14default_configENS1_38merge_sort_block_merge_config_selectorImNS0_10empty_typeEEEZZNS1_27merge_sort_block_merge_implIS3_PmPS5_jNS1_19radix_merge_compareILb1ELb1EmNS0_19identity_decomposerEEEEE10hipError_tT0_T1_T2_jT3_P12ihipStream_tbPNSt15iterator_traitsISE_E10value_typeEPNSK_ISF_E10value_typeEPSG_NS1_7vsmem_tEENKUlT_SE_SF_SG_E_clIS8_S8_S9_S9_EESD_ST_SE_SF_SG_EUlST_E_NS1_11comp_targetILNS1_3genE5ELNS1_11target_archE942ELNS1_3gpuE9ELNS1_3repE0EEENS1_48merge_mergepath_partition_config_static_selectorELNS0_4arch9wavefront6targetE1EEEvSF_: ; @_ZN7rocprim17ROCPRIM_400000_NS6detail17trampoline_kernelINS0_14default_configENS1_38merge_sort_block_merge_config_selectorImNS0_10empty_typeEEEZZNS1_27merge_sort_block_merge_implIS3_PmPS5_jNS1_19radix_merge_compareILb1ELb1EmNS0_19identity_decomposerEEEEE10hipError_tT0_T1_T2_jT3_P12ihipStream_tbPNSt15iterator_traitsISE_E10value_typeEPNSK_ISF_E10value_typeEPSG_NS1_7vsmem_tEENKUlT_SE_SF_SG_E_clIS8_S8_S9_S9_EESD_ST_SE_SF_SG_EUlST_E_NS1_11comp_targetILNS1_3genE5ELNS1_11target_archE942ELNS1_3gpuE9ELNS1_3repE0EEENS1_48merge_mergepath_partition_config_static_selectorELNS0_4arch9wavefront6targetE1EEEvSF_
; %bb.0:
	.section	.rodata,"a",@progbits
	.p2align	6, 0x0
	.amdhsa_kernel _ZN7rocprim17ROCPRIM_400000_NS6detail17trampoline_kernelINS0_14default_configENS1_38merge_sort_block_merge_config_selectorImNS0_10empty_typeEEEZZNS1_27merge_sort_block_merge_implIS3_PmPS5_jNS1_19radix_merge_compareILb1ELb1EmNS0_19identity_decomposerEEEEE10hipError_tT0_T1_T2_jT3_P12ihipStream_tbPNSt15iterator_traitsISE_E10value_typeEPNSK_ISF_E10value_typeEPSG_NS1_7vsmem_tEENKUlT_SE_SF_SG_E_clIS8_S8_S9_S9_EESD_ST_SE_SF_SG_EUlST_E_NS1_11comp_targetILNS1_3genE5ELNS1_11target_archE942ELNS1_3gpuE9ELNS1_3repE0EEENS1_48merge_mergepath_partition_config_static_selectorELNS0_4arch9wavefront6targetE1EEEvSF_
		.amdhsa_group_segment_fixed_size 0
		.amdhsa_private_segment_fixed_size 0
		.amdhsa_kernarg_size 40
		.amdhsa_user_sgpr_count 6
		.amdhsa_user_sgpr_private_segment_buffer 1
		.amdhsa_user_sgpr_dispatch_ptr 0
		.amdhsa_user_sgpr_queue_ptr 0
		.amdhsa_user_sgpr_kernarg_segment_ptr 1
		.amdhsa_user_sgpr_dispatch_id 0
		.amdhsa_user_sgpr_flat_scratch_init 0
		.amdhsa_user_sgpr_kernarg_preload_length 0
		.amdhsa_user_sgpr_kernarg_preload_offset 0
		.amdhsa_user_sgpr_private_segment_size 0
		.amdhsa_uses_dynamic_stack 0
		.amdhsa_system_sgpr_private_segment_wavefront_offset 0
		.amdhsa_system_sgpr_workgroup_id_x 1
		.amdhsa_system_sgpr_workgroup_id_y 0
		.amdhsa_system_sgpr_workgroup_id_z 0
		.amdhsa_system_sgpr_workgroup_info 0
		.amdhsa_system_vgpr_workitem_id 0
		.amdhsa_next_free_vgpr 1
		.amdhsa_next_free_sgpr 0
		.amdhsa_accum_offset 4
		.amdhsa_reserve_vcc 0
		.amdhsa_reserve_flat_scratch 0
		.amdhsa_float_round_mode_32 0
		.amdhsa_float_round_mode_16_64 0
		.amdhsa_float_denorm_mode_32 3
		.amdhsa_float_denorm_mode_16_64 3
		.amdhsa_dx10_clamp 1
		.amdhsa_ieee_mode 1
		.amdhsa_fp16_overflow 0
		.amdhsa_tg_split 0
		.amdhsa_exception_fp_ieee_invalid_op 0
		.amdhsa_exception_fp_denorm_src 0
		.amdhsa_exception_fp_ieee_div_zero 0
		.amdhsa_exception_fp_ieee_overflow 0
		.amdhsa_exception_fp_ieee_underflow 0
		.amdhsa_exception_fp_ieee_inexact 0
		.amdhsa_exception_int_div_zero 0
	.end_amdhsa_kernel
	.section	.text._ZN7rocprim17ROCPRIM_400000_NS6detail17trampoline_kernelINS0_14default_configENS1_38merge_sort_block_merge_config_selectorImNS0_10empty_typeEEEZZNS1_27merge_sort_block_merge_implIS3_PmPS5_jNS1_19radix_merge_compareILb1ELb1EmNS0_19identity_decomposerEEEEE10hipError_tT0_T1_T2_jT3_P12ihipStream_tbPNSt15iterator_traitsISE_E10value_typeEPNSK_ISF_E10value_typeEPSG_NS1_7vsmem_tEENKUlT_SE_SF_SG_E_clIS8_S8_S9_S9_EESD_ST_SE_SF_SG_EUlST_E_NS1_11comp_targetILNS1_3genE5ELNS1_11target_archE942ELNS1_3gpuE9ELNS1_3repE0EEENS1_48merge_mergepath_partition_config_static_selectorELNS0_4arch9wavefront6targetE1EEEvSF_,"axG",@progbits,_ZN7rocprim17ROCPRIM_400000_NS6detail17trampoline_kernelINS0_14default_configENS1_38merge_sort_block_merge_config_selectorImNS0_10empty_typeEEEZZNS1_27merge_sort_block_merge_implIS3_PmPS5_jNS1_19radix_merge_compareILb1ELb1EmNS0_19identity_decomposerEEEEE10hipError_tT0_T1_T2_jT3_P12ihipStream_tbPNSt15iterator_traitsISE_E10value_typeEPNSK_ISF_E10value_typeEPSG_NS1_7vsmem_tEENKUlT_SE_SF_SG_E_clIS8_S8_S9_S9_EESD_ST_SE_SF_SG_EUlST_E_NS1_11comp_targetILNS1_3genE5ELNS1_11target_archE942ELNS1_3gpuE9ELNS1_3repE0EEENS1_48merge_mergepath_partition_config_static_selectorELNS0_4arch9wavefront6targetE1EEEvSF_,comdat
.Lfunc_end2251:
	.size	_ZN7rocprim17ROCPRIM_400000_NS6detail17trampoline_kernelINS0_14default_configENS1_38merge_sort_block_merge_config_selectorImNS0_10empty_typeEEEZZNS1_27merge_sort_block_merge_implIS3_PmPS5_jNS1_19radix_merge_compareILb1ELb1EmNS0_19identity_decomposerEEEEE10hipError_tT0_T1_T2_jT3_P12ihipStream_tbPNSt15iterator_traitsISE_E10value_typeEPNSK_ISF_E10value_typeEPSG_NS1_7vsmem_tEENKUlT_SE_SF_SG_E_clIS8_S8_S9_S9_EESD_ST_SE_SF_SG_EUlST_E_NS1_11comp_targetILNS1_3genE5ELNS1_11target_archE942ELNS1_3gpuE9ELNS1_3repE0EEENS1_48merge_mergepath_partition_config_static_selectorELNS0_4arch9wavefront6targetE1EEEvSF_, .Lfunc_end2251-_ZN7rocprim17ROCPRIM_400000_NS6detail17trampoline_kernelINS0_14default_configENS1_38merge_sort_block_merge_config_selectorImNS0_10empty_typeEEEZZNS1_27merge_sort_block_merge_implIS3_PmPS5_jNS1_19radix_merge_compareILb1ELb1EmNS0_19identity_decomposerEEEEE10hipError_tT0_T1_T2_jT3_P12ihipStream_tbPNSt15iterator_traitsISE_E10value_typeEPNSK_ISF_E10value_typeEPSG_NS1_7vsmem_tEENKUlT_SE_SF_SG_E_clIS8_S8_S9_S9_EESD_ST_SE_SF_SG_EUlST_E_NS1_11comp_targetILNS1_3genE5ELNS1_11target_archE942ELNS1_3gpuE9ELNS1_3repE0EEENS1_48merge_mergepath_partition_config_static_selectorELNS0_4arch9wavefront6targetE1EEEvSF_
                                        ; -- End function
	.section	.AMDGPU.csdata,"",@progbits
; Kernel info:
; codeLenInByte = 0
; NumSgprs: 4
; NumVgprs: 0
; NumAgprs: 0
; TotalNumVgprs: 0
; ScratchSize: 0
; MemoryBound: 0
; FloatMode: 240
; IeeeMode: 1
; LDSByteSize: 0 bytes/workgroup (compile time only)
; SGPRBlocks: 0
; VGPRBlocks: 0
; NumSGPRsForWavesPerEU: 4
; NumVGPRsForWavesPerEU: 1
; AccumOffset: 4
; Occupancy: 8
; WaveLimiterHint : 0
; COMPUTE_PGM_RSRC2:SCRATCH_EN: 0
; COMPUTE_PGM_RSRC2:USER_SGPR: 6
; COMPUTE_PGM_RSRC2:TRAP_HANDLER: 0
; COMPUTE_PGM_RSRC2:TGID_X_EN: 1
; COMPUTE_PGM_RSRC2:TGID_Y_EN: 0
; COMPUTE_PGM_RSRC2:TGID_Z_EN: 0
; COMPUTE_PGM_RSRC2:TIDIG_COMP_CNT: 0
; COMPUTE_PGM_RSRC3_GFX90A:ACCUM_OFFSET: 0
; COMPUTE_PGM_RSRC3_GFX90A:TG_SPLIT: 0
	.section	.text._ZN7rocprim17ROCPRIM_400000_NS6detail17trampoline_kernelINS0_14default_configENS1_38merge_sort_block_merge_config_selectorImNS0_10empty_typeEEEZZNS1_27merge_sort_block_merge_implIS3_PmPS5_jNS1_19radix_merge_compareILb1ELb1EmNS0_19identity_decomposerEEEEE10hipError_tT0_T1_T2_jT3_P12ihipStream_tbPNSt15iterator_traitsISE_E10value_typeEPNSK_ISF_E10value_typeEPSG_NS1_7vsmem_tEENKUlT_SE_SF_SG_E_clIS8_S8_S9_S9_EESD_ST_SE_SF_SG_EUlST_E_NS1_11comp_targetILNS1_3genE4ELNS1_11target_archE910ELNS1_3gpuE8ELNS1_3repE0EEENS1_48merge_mergepath_partition_config_static_selectorELNS0_4arch9wavefront6targetE1EEEvSF_,"axG",@progbits,_ZN7rocprim17ROCPRIM_400000_NS6detail17trampoline_kernelINS0_14default_configENS1_38merge_sort_block_merge_config_selectorImNS0_10empty_typeEEEZZNS1_27merge_sort_block_merge_implIS3_PmPS5_jNS1_19radix_merge_compareILb1ELb1EmNS0_19identity_decomposerEEEEE10hipError_tT0_T1_T2_jT3_P12ihipStream_tbPNSt15iterator_traitsISE_E10value_typeEPNSK_ISF_E10value_typeEPSG_NS1_7vsmem_tEENKUlT_SE_SF_SG_E_clIS8_S8_S9_S9_EESD_ST_SE_SF_SG_EUlST_E_NS1_11comp_targetILNS1_3genE4ELNS1_11target_archE910ELNS1_3gpuE8ELNS1_3repE0EEENS1_48merge_mergepath_partition_config_static_selectorELNS0_4arch9wavefront6targetE1EEEvSF_,comdat
	.protected	_ZN7rocprim17ROCPRIM_400000_NS6detail17trampoline_kernelINS0_14default_configENS1_38merge_sort_block_merge_config_selectorImNS0_10empty_typeEEEZZNS1_27merge_sort_block_merge_implIS3_PmPS5_jNS1_19radix_merge_compareILb1ELb1EmNS0_19identity_decomposerEEEEE10hipError_tT0_T1_T2_jT3_P12ihipStream_tbPNSt15iterator_traitsISE_E10value_typeEPNSK_ISF_E10value_typeEPSG_NS1_7vsmem_tEENKUlT_SE_SF_SG_E_clIS8_S8_S9_S9_EESD_ST_SE_SF_SG_EUlST_E_NS1_11comp_targetILNS1_3genE4ELNS1_11target_archE910ELNS1_3gpuE8ELNS1_3repE0EEENS1_48merge_mergepath_partition_config_static_selectorELNS0_4arch9wavefront6targetE1EEEvSF_ ; -- Begin function _ZN7rocprim17ROCPRIM_400000_NS6detail17trampoline_kernelINS0_14default_configENS1_38merge_sort_block_merge_config_selectorImNS0_10empty_typeEEEZZNS1_27merge_sort_block_merge_implIS3_PmPS5_jNS1_19radix_merge_compareILb1ELb1EmNS0_19identity_decomposerEEEEE10hipError_tT0_T1_T2_jT3_P12ihipStream_tbPNSt15iterator_traitsISE_E10value_typeEPNSK_ISF_E10value_typeEPSG_NS1_7vsmem_tEENKUlT_SE_SF_SG_E_clIS8_S8_S9_S9_EESD_ST_SE_SF_SG_EUlST_E_NS1_11comp_targetILNS1_3genE4ELNS1_11target_archE910ELNS1_3gpuE8ELNS1_3repE0EEENS1_48merge_mergepath_partition_config_static_selectorELNS0_4arch9wavefront6targetE1EEEvSF_
	.globl	_ZN7rocprim17ROCPRIM_400000_NS6detail17trampoline_kernelINS0_14default_configENS1_38merge_sort_block_merge_config_selectorImNS0_10empty_typeEEEZZNS1_27merge_sort_block_merge_implIS3_PmPS5_jNS1_19radix_merge_compareILb1ELb1EmNS0_19identity_decomposerEEEEE10hipError_tT0_T1_T2_jT3_P12ihipStream_tbPNSt15iterator_traitsISE_E10value_typeEPNSK_ISF_E10value_typeEPSG_NS1_7vsmem_tEENKUlT_SE_SF_SG_E_clIS8_S8_S9_S9_EESD_ST_SE_SF_SG_EUlST_E_NS1_11comp_targetILNS1_3genE4ELNS1_11target_archE910ELNS1_3gpuE8ELNS1_3repE0EEENS1_48merge_mergepath_partition_config_static_selectorELNS0_4arch9wavefront6targetE1EEEvSF_
	.p2align	8
	.type	_ZN7rocprim17ROCPRIM_400000_NS6detail17trampoline_kernelINS0_14default_configENS1_38merge_sort_block_merge_config_selectorImNS0_10empty_typeEEEZZNS1_27merge_sort_block_merge_implIS3_PmPS5_jNS1_19radix_merge_compareILb1ELb1EmNS0_19identity_decomposerEEEEE10hipError_tT0_T1_T2_jT3_P12ihipStream_tbPNSt15iterator_traitsISE_E10value_typeEPNSK_ISF_E10value_typeEPSG_NS1_7vsmem_tEENKUlT_SE_SF_SG_E_clIS8_S8_S9_S9_EESD_ST_SE_SF_SG_EUlST_E_NS1_11comp_targetILNS1_3genE4ELNS1_11target_archE910ELNS1_3gpuE8ELNS1_3repE0EEENS1_48merge_mergepath_partition_config_static_selectorELNS0_4arch9wavefront6targetE1EEEvSF_,@function
_ZN7rocprim17ROCPRIM_400000_NS6detail17trampoline_kernelINS0_14default_configENS1_38merge_sort_block_merge_config_selectorImNS0_10empty_typeEEEZZNS1_27merge_sort_block_merge_implIS3_PmPS5_jNS1_19radix_merge_compareILb1ELb1EmNS0_19identity_decomposerEEEEE10hipError_tT0_T1_T2_jT3_P12ihipStream_tbPNSt15iterator_traitsISE_E10value_typeEPNSK_ISF_E10value_typeEPSG_NS1_7vsmem_tEENKUlT_SE_SF_SG_E_clIS8_S8_S9_S9_EESD_ST_SE_SF_SG_EUlST_E_NS1_11comp_targetILNS1_3genE4ELNS1_11target_archE910ELNS1_3gpuE8ELNS1_3repE0EEENS1_48merge_mergepath_partition_config_static_selectorELNS0_4arch9wavefront6targetE1EEEvSF_: ; @_ZN7rocprim17ROCPRIM_400000_NS6detail17trampoline_kernelINS0_14default_configENS1_38merge_sort_block_merge_config_selectorImNS0_10empty_typeEEEZZNS1_27merge_sort_block_merge_implIS3_PmPS5_jNS1_19radix_merge_compareILb1ELb1EmNS0_19identity_decomposerEEEEE10hipError_tT0_T1_T2_jT3_P12ihipStream_tbPNSt15iterator_traitsISE_E10value_typeEPNSK_ISF_E10value_typeEPSG_NS1_7vsmem_tEENKUlT_SE_SF_SG_E_clIS8_S8_S9_S9_EESD_ST_SE_SF_SG_EUlST_E_NS1_11comp_targetILNS1_3genE4ELNS1_11target_archE910ELNS1_3gpuE8ELNS1_3repE0EEENS1_48merge_mergepath_partition_config_static_selectorELNS0_4arch9wavefront6targetE1EEEvSF_
; %bb.0:
	s_load_dword s0, s[4:5], 0x0
	v_lshl_or_b32 v0, s6, 7, v0
	s_waitcnt lgkmcnt(0)
	v_cmp_gt_u32_e32 vcc, s0, v0
	s_and_saveexec_b64 s[0:1], vcc
	s_cbranch_execz .LBB2252_6
; %bb.1:
	s_load_dwordx2 s[6:7], s[4:5], 0x4
	s_load_dwordx4 s[0:3], s[4:5], 0x18
	s_waitcnt lgkmcnt(0)
	s_lshr_b32 s8, s6, 9
	s_and_b32 s8, s8, 0x7ffffe
	s_add_i32 s9, s8, -1
	s_sub_i32 s8, 0, s8
	v_and_b32_e32 v1, s8, v0
	v_lshlrev_b32_e32 v1, 10, v1
	v_min_u32_e32 v2, s7, v1
	v_add_u32_e32 v1, s6, v1
	v_min_u32_e32 v4, s7, v1
	v_add_u32_e32 v1, s6, v4
	v_and_b32_e32 v3, s9, v0
	v_min_u32_e32 v1, s7, v1
	v_sub_u32_e32 v5, v1, v2
	v_lshlrev_b32_e32 v3, 10, v3
	v_min_u32_e32 v6, v5, v3
	v_sub_u32_e32 v3, v4, v2
	v_sub_u32_e32 v1, v1, v4
	v_sub_u32_e64 v1, v6, v1 clamp
	v_min_u32_e32 v7, v6, v3
	v_cmp_lt_u32_e32 vcc, v1, v7
	s_and_saveexec_b64 s[6:7], vcc
	s_cbranch_execz .LBB2252_5
; %bb.2:
	s_load_dwordx2 s[4:5], s[4:5], 0x10
	v_mov_b32_e32 v5, 0
	v_mov_b32_e32 v3, v5
	v_lshlrev_b64 v[8:9], 3, v[2:3]
	v_lshlrev_b64 v[10:11], 3, v[4:5]
	s_waitcnt lgkmcnt(0)
	v_mov_b32_e32 v12, s5
	v_add_co_u32_e32 v3, vcc, s4, v8
	v_addc_co_u32_e32 v8, vcc, v12, v9, vcc
	v_add_co_u32_e32 v9, vcc, s4, v10
	v_addc_co_u32_e32 v10, vcc, v12, v11, vcc
	s_mov_b64 s[4:5], 0
.LBB2252_3:                             ; =>This Inner Loop Header: Depth=1
	v_add_u32_e32 v4, v7, v1
	v_lshrrev_b32_e32 v4, 1, v4
	v_lshlrev_b64 v[14:15], 3, v[4:5]
	v_mov_b32_e32 v13, v5
	v_xad_u32 v12, v4, -1, v6
	v_add_co_u32_e32 v14, vcc, v3, v14
	v_addc_co_u32_e32 v15, vcc, v8, v15, vcc
	v_lshlrev_b64 v[12:13], 3, v[12:13]
	v_add_co_u32_e32 v12, vcc, v9, v12
	v_addc_co_u32_e32 v13, vcc, v10, v13, vcc
	global_load_dwordx2 v[14:15], v[14:15], off
	v_add_u32_e32 v11, 1, v4
	global_load_dwordx2 v[12:13], v[12:13], off
	s_waitcnt vmcnt(1)
	v_and_b32_e32 v15, s1, v15
	v_and_b32_e32 v14, s0, v14
	s_waitcnt vmcnt(0)
	v_and_b32_e32 v13, s1, v13
	v_and_b32_e32 v12, s0, v12
	v_cmp_gt_u64_e32 vcc, v[12:13], v[14:15]
	v_cndmask_b32_e32 v7, v7, v4, vcc
	v_cndmask_b32_e32 v1, v11, v1, vcc
	v_cmp_ge_u32_e32 vcc, v1, v7
	s_or_b64 s[4:5], vcc, s[4:5]
	s_andn2_b64 exec, exec, s[4:5]
	s_cbranch_execnz .LBB2252_3
; %bb.4:
	s_or_b64 exec, exec, s[4:5]
.LBB2252_5:
	s_or_b64 exec, exec, s[6:7]
	v_add_u32_e32 v2, v1, v2
	v_mov_b32_e32 v1, 0
	v_lshlrev_b64 v[0:1], 2, v[0:1]
	v_mov_b32_e32 v3, s3
	v_add_co_u32_e32 v0, vcc, s2, v0
	v_addc_co_u32_e32 v1, vcc, v3, v1, vcc
	global_store_dword v[0:1], v2, off
.LBB2252_6:
	s_endpgm
	.section	.rodata,"a",@progbits
	.p2align	6, 0x0
	.amdhsa_kernel _ZN7rocprim17ROCPRIM_400000_NS6detail17trampoline_kernelINS0_14default_configENS1_38merge_sort_block_merge_config_selectorImNS0_10empty_typeEEEZZNS1_27merge_sort_block_merge_implIS3_PmPS5_jNS1_19radix_merge_compareILb1ELb1EmNS0_19identity_decomposerEEEEE10hipError_tT0_T1_T2_jT3_P12ihipStream_tbPNSt15iterator_traitsISE_E10value_typeEPNSK_ISF_E10value_typeEPSG_NS1_7vsmem_tEENKUlT_SE_SF_SG_E_clIS8_S8_S9_S9_EESD_ST_SE_SF_SG_EUlST_E_NS1_11comp_targetILNS1_3genE4ELNS1_11target_archE910ELNS1_3gpuE8ELNS1_3repE0EEENS1_48merge_mergepath_partition_config_static_selectorELNS0_4arch9wavefront6targetE1EEEvSF_
		.amdhsa_group_segment_fixed_size 0
		.amdhsa_private_segment_fixed_size 0
		.amdhsa_kernarg_size 40
		.amdhsa_user_sgpr_count 6
		.amdhsa_user_sgpr_private_segment_buffer 1
		.amdhsa_user_sgpr_dispatch_ptr 0
		.amdhsa_user_sgpr_queue_ptr 0
		.amdhsa_user_sgpr_kernarg_segment_ptr 1
		.amdhsa_user_sgpr_dispatch_id 0
		.amdhsa_user_sgpr_flat_scratch_init 0
		.amdhsa_user_sgpr_kernarg_preload_length 0
		.amdhsa_user_sgpr_kernarg_preload_offset 0
		.amdhsa_user_sgpr_private_segment_size 0
		.amdhsa_uses_dynamic_stack 0
		.amdhsa_system_sgpr_private_segment_wavefront_offset 0
		.amdhsa_system_sgpr_workgroup_id_x 1
		.amdhsa_system_sgpr_workgroup_id_y 0
		.amdhsa_system_sgpr_workgroup_id_z 0
		.amdhsa_system_sgpr_workgroup_info 0
		.amdhsa_system_vgpr_workitem_id 0
		.amdhsa_next_free_vgpr 16
		.amdhsa_next_free_sgpr 10
		.amdhsa_accum_offset 16
		.amdhsa_reserve_vcc 1
		.amdhsa_reserve_flat_scratch 0
		.amdhsa_float_round_mode_32 0
		.amdhsa_float_round_mode_16_64 0
		.amdhsa_float_denorm_mode_32 3
		.amdhsa_float_denorm_mode_16_64 3
		.amdhsa_dx10_clamp 1
		.amdhsa_ieee_mode 1
		.amdhsa_fp16_overflow 0
		.amdhsa_tg_split 0
		.amdhsa_exception_fp_ieee_invalid_op 0
		.amdhsa_exception_fp_denorm_src 0
		.amdhsa_exception_fp_ieee_div_zero 0
		.amdhsa_exception_fp_ieee_overflow 0
		.amdhsa_exception_fp_ieee_underflow 0
		.amdhsa_exception_fp_ieee_inexact 0
		.amdhsa_exception_int_div_zero 0
	.end_amdhsa_kernel
	.section	.text._ZN7rocprim17ROCPRIM_400000_NS6detail17trampoline_kernelINS0_14default_configENS1_38merge_sort_block_merge_config_selectorImNS0_10empty_typeEEEZZNS1_27merge_sort_block_merge_implIS3_PmPS5_jNS1_19radix_merge_compareILb1ELb1EmNS0_19identity_decomposerEEEEE10hipError_tT0_T1_T2_jT3_P12ihipStream_tbPNSt15iterator_traitsISE_E10value_typeEPNSK_ISF_E10value_typeEPSG_NS1_7vsmem_tEENKUlT_SE_SF_SG_E_clIS8_S8_S9_S9_EESD_ST_SE_SF_SG_EUlST_E_NS1_11comp_targetILNS1_3genE4ELNS1_11target_archE910ELNS1_3gpuE8ELNS1_3repE0EEENS1_48merge_mergepath_partition_config_static_selectorELNS0_4arch9wavefront6targetE1EEEvSF_,"axG",@progbits,_ZN7rocprim17ROCPRIM_400000_NS6detail17trampoline_kernelINS0_14default_configENS1_38merge_sort_block_merge_config_selectorImNS0_10empty_typeEEEZZNS1_27merge_sort_block_merge_implIS3_PmPS5_jNS1_19radix_merge_compareILb1ELb1EmNS0_19identity_decomposerEEEEE10hipError_tT0_T1_T2_jT3_P12ihipStream_tbPNSt15iterator_traitsISE_E10value_typeEPNSK_ISF_E10value_typeEPSG_NS1_7vsmem_tEENKUlT_SE_SF_SG_E_clIS8_S8_S9_S9_EESD_ST_SE_SF_SG_EUlST_E_NS1_11comp_targetILNS1_3genE4ELNS1_11target_archE910ELNS1_3gpuE8ELNS1_3repE0EEENS1_48merge_mergepath_partition_config_static_selectorELNS0_4arch9wavefront6targetE1EEEvSF_,comdat
.Lfunc_end2252:
	.size	_ZN7rocprim17ROCPRIM_400000_NS6detail17trampoline_kernelINS0_14default_configENS1_38merge_sort_block_merge_config_selectorImNS0_10empty_typeEEEZZNS1_27merge_sort_block_merge_implIS3_PmPS5_jNS1_19radix_merge_compareILb1ELb1EmNS0_19identity_decomposerEEEEE10hipError_tT0_T1_T2_jT3_P12ihipStream_tbPNSt15iterator_traitsISE_E10value_typeEPNSK_ISF_E10value_typeEPSG_NS1_7vsmem_tEENKUlT_SE_SF_SG_E_clIS8_S8_S9_S9_EESD_ST_SE_SF_SG_EUlST_E_NS1_11comp_targetILNS1_3genE4ELNS1_11target_archE910ELNS1_3gpuE8ELNS1_3repE0EEENS1_48merge_mergepath_partition_config_static_selectorELNS0_4arch9wavefront6targetE1EEEvSF_, .Lfunc_end2252-_ZN7rocprim17ROCPRIM_400000_NS6detail17trampoline_kernelINS0_14default_configENS1_38merge_sort_block_merge_config_selectorImNS0_10empty_typeEEEZZNS1_27merge_sort_block_merge_implIS3_PmPS5_jNS1_19radix_merge_compareILb1ELb1EmNS0_19identity_decomposerEEEEE10hipError_tT0_T1_T2_jT3_P12ihipStream_tbPNSt15iterator_traitsISE_E10value_typeEPNSK_ISF_E10value_typeEPSG_NS1_7vsmem_tEENKUlT_SE_SF_SG_E_clIS8_S8_S9_S9_EESD_ST_SE_SF_SG_EUlST_E_NS1_11comp_targetILNS1_3genE4ELNS1_11target_archE910ELNS1_3gpuE8ELNS1_3repE0EEENS1_48merge_mergepath_partition_config_static_selectorELNS0_4arch9wavefront6targetE1EEEvSF_
                                        ; -- End function
	.section	.AMDGPU.csdata,"",@progbits
; Kernel info:
; codeLenInByte = 380
; NumSgprs: 14
; NumVgprs: 16
; NumAgprs: 0
; TotalNumVgprs: 16
; ScratchSize: 0
; MemoryBound: 0
; FloatMode: 240
; IeeeMode: 1
; LDSByteSize: 0 bytes/workgroup (compile time only)
; SGPRBlocks: 1
; VGPRBlocks: 1
; NumSGPRsForWavesPerEU: 14
; NumVGPRsForWavesPerEU: 16
; AccumOffset: 16
; Occupancy: 8
; WaveLimiterHint : 0
; COMPUTE_PGM_RSRC2:SCRATCH_EN: 0
; COMPUTE_PGM_RSRC2:USER_SGPR: 6
; COMPUTE_PGM_RSRC2:TRAP_HANDLER: 0
; COMPUTE_PGM_RSRC2:TGID_X_EN: 1
; COMPUTE_PGM_RSRC2:TGID_Y_EN: 0
; COMPUTE_PGM_RSRC2:TGID_Z_EN: 0
; COMPUTE_PGM_RSRC2:TIDIG_COMP_CNT: 0
; COMPUTE_PGM_RSRC3_GFX90A:ACCUM_OFFSET: 3
; COMPUTE_PGM_RSRC3_GFX90A:TG_SPLIT: 0
	.section	.text._ZN7rocprim17ROCPRIM_400000_NS6detail17trampoline_kernelINS0_14default_configENS1_38merge_sort_block_merge_config_selectorImNS0_10empty_typeEEEZZNS1_27merge_sort_block_merge_implIS3_PmPS5_jNS1_19radix_merge_compareILb1ELb1EmNS0_19identity_decomposerEEEEE10hipError_tT0_T1_T2_jT3_P12ihipStream_tbPNSt15iterator_traitsISE_E10value_typeEPNSK_ISF_E10value_typeEPSG_NS1_7vsmem_tEENKUlT_SE_SF_SG_E_clIS8_S8_S9_S9_EESD_ST_SE_SF_SG_EUlST_E_NS1_11comp_targetILNS1_3genE3ELNS1_11target_archE908ELNS1_3gpuE7ELNS1_3repE0EEENS1_48merge_mergepath_partition_config_static_selectorELNS0_4arch9wavefront6targetE1EEEvSF_,"axG",@progbits,_ZN7rocprim17ROCPRIM_400000_NS6detail17trampoline_kernelINS0_14default_configENS1_38merge_sort_block_merge_config_selectorImNS0_10empty_typeEEEZZNS1_27merge_sort_block_merge_implIS3_PmPS5_jNS1_19radix_merge_compareILb1ELb1EmNS0_19identity_decomposerEEEEE10hipError_tT0_T1_T2_jT3_P12ihipStream_tbPNSt15iterator_traitsISE_E10value_typeEPNSK_ISF_E10value_typeEPSG_NS1_7vsmem_tEENKUlT_SE_SF_SG_E_clIS8_S8_S9_S9_EESD_ST_SE_SF_SG_EUlST_E_NS1_11comp_targetILNS1_3genE3ELNS1_11target_archE908ELNS1_3gpuE7ELNS1_3repE0EEENS1_48merge_mergepath_partition_config_static_selectorELNS0_4arch9wavefront6targetE1EEEvSF_,comdat
	.protected	_ZN7rocprim17ROCPRIM_400000_NS6detail17trampoline_kernelINS0_14default_configENS1_38merge_sort_block_merge_config_selectorImNS0_10empty_typeEEEZZNS1_27merge_sort_block_merge_implIS3_PmPS5_jNS1_19radix_merge_compareILb1ELb1EmNS0_19identity_decomposerEEEEE10hipError_tT0_T1_T2_jT3_P12ihipStream_tbPNSt15iterator_traitsISE_E10value_typeEPNSK_ISF_E10value_typeEPSG_NS1_7vsmem_tEENKUlT_SE_SF_SG_E_clIS8_S8_S9_S9_EESD_ST_SE_SF_SG_EUlST_E_NS1_11comp_targetILNS1_3genE3ELNS1_11target_archE908ELNS1_3gpuE7ELNS1_3repE0EEENS1_48merge_mergepath_partition_config_static_selectorELNS0_4arch9wavefront6targetE1EEEvSF_ ; -- Begin function _ZN7rocprim17ROCPRIM_400000_NS6detail17trampoline_kernelINS0_14default_configENS1_38merge_sort_block_merge_config_selectorImNS0_10empty_typeEEEZZNS1_27merge_sort_block_merge_implIS3_PmPS5_jNS1_19radix_merge_compareILb1ELb1EmNS0_19identity_decomposerEEEEE10hipError_tT0_T1_T2_jT3_P12ihipStream_tbPNSt15iterator_traitsISE_E10value_typeEPNSK_ISF_E10value_typeEPSG_NS1_7vsmem_tEENKUlT_SE_SF_SG_E_clIS8_S8_S9_S9_EESD_ST_SE_SF_SG_EUlST_E_NS1_11comp_targetILNS1_3genE3ELNS1_11target_archE908ELNS1_3gpuE7ELNS1_3repE0EEENS1_48merge_mergepath_partition_config_static_selectorELNS0_4arch9wavefront6targetE1EEEvSF_
	.globl	_ZN7rocprim17ROCPRIM_400000_NS6detail17trampoline_kernelINS0_14default_configENS1_38merge_sort_block_merge_config_selectorImNS0_10empty_typeEEEZZNS1_27merge_sort_block_merge_implIS3_PmPS5_jNS1_19radix_merge_compareILb1ELb1EmNS0_19identity_decomposerEEEEE10hipError_tT0_T1_T2_jT3_P12ihipStream_tbPNSt15iterator_traitsISE_E10value_typeEPNSK_ISF_E10value_typeEPSG_NS1_7vsmem_tEENKUlT_SE_SF_SG_E_clIS8_S8_S9_S9_EESD_ST_SE_SF_SG_EUlST_E_NS1_11comp_targetILNS1_3genE3ELNS1_11target_archE908ELNS1_3gpuE7ELNS1_3repE0EEENS1_48merge_mergepath_partition_config_static_selectorELNS0_4arch9wavefront6targetE1EEEvSF_
	.p2align	8
	.type	_ZN7rocprim17ROCPRIM_400000_NS6detail17trampoline_kernelINS0_14default_configENS1_38merge_sort_block_merge_config_selectorImNS0_10empty_typeEEEZZNS1_27merge_sort_block_merge_implIS3_PmPS5_jNS1_19radix_merge_compareILb1ELb1EmNS0_19identity_decomposerEEEEE10hipError_tT0_T1_T2_jT3_P12ihipStream_tbPNSt15iterator_traitsISE_E10value_typeEPNSK_ISF_E10value_typeEPSG_NS1_7vsmem_tEENKUlT_SE_SF_SG_E_clIS8_S8_S9_S9_EESD_ST_SE_SF_SG_EUlST_E_NS1_11comp_targetILNS1_3genE3ELNS1_11target_archE908ELNS1_3gpuE7ELNS1_3repE0EEENS1_48merge_mergepath_partition_config_static_selectorELNS0_4arch9wavefront6targetE1EEEvSF_,@function
_ZN7rocprim17ROCPRIM_400000_NS6detail17trampoline_kernelINS0_14default_configENS1_38merge_sort_block_merge_config_selectorImNS0_10empty_typeEEEZZNS1_27merge_sort_block_merge_implIS3_PmPS5_jNS1_19radix_merge_compareILb1ELb1EmNS0_19identity_decomposerEEEEE10hipError_tT0_T1_T2_jT3_P12ihipStream_tbPNSt15iterator_traitsISE_E10value_typeEPNSK_ISF_E10value_typeEPSG_NS1_7vsmem_tEENKUlT_SE_SF_SG_E_clIS8_S8_S9_S9_EESD_ST_SE_SF_SG_EUlST_E_NS1_11comp_targetILNS1_3genE3ELNS1_11target_archE908ELNS1_3gpuE7ELNS1_3repE0EEENS1_48merge_mergepath_partition_config_static_selectorELNS0_4arch9wavefront6targetE1EEEvSF_: ; @_ZN7rocprim17ROCPRIM_400000_NS6detail17trampoline_kernelINS0_14default_configENS1_38merge_sort_block_merge_config_selectorImNS0_10empty_typeEEEZZNS1_27merge_sort_block_merge_implIS3_PmPS5_jNS1_19radix_merge_compareILb1ELb1EmNS0_19identity_decomposerEEEEE10hipError_tT0_T1_T2_jT3_P12ihipStream_tbPNSt15iterator_traitsISE_E10value_typeEPNSK_ISF_E10value_typeEPSG_NS1_7vsmem_tEENKUlT_SE_SF_SG_E_clIS8_S8_S9_S9_EESD_ST_SE_SF_SG_EUlST_E_NS1_11comp_targetILNS1_3genE3ELNS1_11target_archE908ELNS1_3gpuE7ELNS1_3repE0EEENS1_48merge_mergepath_partition_config_static_selectorELNS0_4arch9wavefront6targetE1EEEvSF_
; %bb.0:
	.section	.rodata,"a",@progbits
	.p2align	6, 0x0
	.amdhsa_kernel _ZN7rocprim17ROCPRIM_400000_NS6detail17trampoline_kernelINS0_14default_configENS1_38merge_sort_block_merge_config_selectorImNS0_10empty_typeEEEZZNS1_27merge_sort_block_merge_implIS3_PmPS5_jNS1_19radix_merge_compareILb1ELb1EmNS0_19identity_decomposerEEEEE10hipError_tT0_T1_T2_jT3_P12ihipStream_tbPNSt15iterator_traitsISE_E10value_typeEPNSK_ISF_E10value_typeEPSG_NS1_7vsmem_tEENKUlT_SE_SF_SG_E_clIS8_S8_S9_S9_EESD_ST_SE_SF_SG_EUlST_E_NS1_11comp_targetILNS1_3genE3ELNS1_11target_archE908ELNS1_3gpuE7ELNS1_3repE0EEENS1_48merge_mergepath_partition_config_static_selectorELNS0_4arch9wavefront6targetE1EEEvSF_
		.amdhsa_group_segment_fixed_size 0
		.amdhsa_private_segment_fixed_size 0
		.amdhsa_kernarg_size 40
		.amdhsa_user_sgpr_count 6
		.amdhsa_user_sgpr_private_segment_buffer 1
		.amdhsa_user_sgpr_dispatch_ptr 0
		.amdhsa_user_sgpr_queue_ptr 0
		.amdhsa_user_sgpr_kernarg_segment_ptr 1
		.amdhsa_user_sgpr_dispatch_id 0
		.amdhsa_user_sgpr_flat_scratch_init 0
		.amdhsa_user_sgpr_kernarg_preload_length 0
		.amdhsa_user_sgpr_kernarg_preload_offset 0
		.amdhsa_user_sgpr_private_segment_size 0
		.amdhsa_uses_dynamic_stack 0
		.amdhsa_system_sgpr_private_segment_wavefront_offset 0
		.amdhsa_system_sgpr_workgroup_id_x 1
		.amdhsa_system_sgpr_workgroup_id_y 0
		.amdhsa_system_sgpr_workgroup_id_z 0
		.amdhsa_system_sgpr_workgroup_info 0
		.amdhsa_system_vgpr_workitem_id 0
		.amdhsa_next_free_vgpr 1
		.amdhsa_next_free_sgpr 0
		.amdhsa_accum_offset 4
		.amdhsa_reserve_vcc 0
		.amdhsa_reserve_flat_scratch 0
		.amdhsa_float_round_mode_32 0
		.amdhsa_float_round_mode_16_64 0
		.amdhsa_float_denorm_mode_32 3
		.amdhsa_float_denorm_mode_16_64 3
		.amdhsa_dx10_clamp 1
		.amdhsa_ieee_mode 1
		.amdhsa_fp16_overflow 0
		.amdhsa_tg_split 0
		.amdhsa_exception_fp_ieee_invalid_op 0
		.amdhsa_exception_fp_denorm_src 0
		.amdhsa_exception_fp_ieee_div_zero 0
		.amdhsa_exception_fp_ieee_overflow 0
		.amdhsa_exception_fp_ieee_underflow 0
		.amdhsa_exception_fp_ieee_inexact 0
		.amdhsa_exception_int_div_zero 0
	.end_amdhsa_kernel
	.section	.text._ZN7rocprim17ROCPRIM_400000_NS6detail17trampoline_kernelINS0_14default_configENS1_38merge_sort_block_merge_config_selectorImNS0_10empty_typeEEEZZNS1_27merge_sort_block_merge_implIS3_PmPS5_jNS1_19radix_merge_compareILb1ELb1EmNS0_19identity_decomposerEEEEE10hipError_tT0_T1_T2_jT3_P12ihipStream_tbPNSt15iterator_traitsISE_E10value_typeEPNSK_ISF_E10value_typeEPSG_NS1_7vsmem_tEENKUlT_SE_SF_SG_E_clIS8_S8_S9_S9_EESD_ST_SE_SF_SG_EUlST_E_NS1_11comp_targetILNS1_3genE3ELNS1_11target_archE908ELNS1_3gpuE7ELNS1_3repE0EEENS1_48merge_mergepath_partition_config_static_selectorELNS0_4arch9wavefront6targetE1EEEvSF_,"axG",@progbits,_ZN7rocprim17ROCPRIM_400000_NS6detail17trampoline_kernelINS0_14default_configENS1_38merge_sort_block_merge_config_selectorImNS0_10empty_typeEEEZZNS1_27merge_sort_block_merge_implIS3_PmPS5_jNS1_19radix_merge_compareILb1ELb1EmNS0_19identity_decomposerEEEEE10hipError_tT0_T1_T2_jT3_P12ihipStream_tbPNSt15iterator_traitsISE_E10value_typeEPNSK_ISF_E10value_typeEPSG_NS1_7vsmem_tEENKUlT_SE_SF_SG_E_clIS8_S8_S9_S9_EESD_ST_SE_SF_SG_EUlST_E_NS1_11comp_targetILNS1_3genE3ELNS1_11target_archE908ELNS1_3gpuE7ELNS1_3repE0EEENS1_48merge_mergepath_partition_config_static_selectorELNS0_4arch9wavefront6targetE1EEEvSF_,comdat
.Lfunc_end2253:
	.size	_ZN7rocprim17ROCPRIM_400000_NS6detail17trampoline_kernelINS0_14default_configENS1_38merge_sort_block_merge_config_selectorImNS0_10empty_typeEEEZZNS1_27merge_sort_block_merge_implIS3_PmPS5_jNS1_19radix_merge_compareILb1ELb1EmNS0_19identity_decomposerEEEEE10hipError_tT0_T1_T2_jT3_P12ihipStream_tbPNSt15iterator_traitsISE_E10value_typeEPNSK_ISF_E10value_typeEPSG_NS1_7vsmem_tEENKUlT_SE_SF_SG_E_clIS8_S8_S9_S9_EESD_ST_SE_SF_SG_EUlST_E_NS1_11comp_targetILNS1_3genE3ELNS1_11target_archE908ELNS1_3gpuE7ELNS1_3repE0EEENS1_48merge_mergepath_partition_config_static_selectorELNS0_4arch9wavefront6targetE1EEEvSF_, .Lfunc_end2253-_ZN7rocprim17ROCPRIM_400000_NS6detail17trampoline_kernelINS0_14default_configENS1_38merge_sort_block_merge_config_selectorImNS0_10empty_typeEEEZZNS1_27merge_sort_block_merge_implIS3_PmPS5_jNS1_19radix_merge_compareILb1ELb1EmNS0_19identity_decomposerEEEEE10hipError_tT0_T1_T2_jT3_P12ihipStream_tbPNSt15iterator_traitsISE_E10value_typeEPNSK_ISF_E10value_typeEPSG_NS1_7vsmem_tEENKUlT_SE_SF_SG_E_clIS8_S8_S9_S9_EESD_ST_SE_SF_SG_EUlST_E_NS1_11comp_targetILNS1_3genE3ELNS1_11target_archE908ELNS1_3gpuE7ELNS1_3repE0EEENS1_48merge_mergepath_partition_config_static_selectorELNS0_4arch9wavefront6targetE1EEEvSF_
                                        ; -- End function
	.section	.AMDGPU.csdata,"",@progbits
; Kernel info:
; codeLenInByte = 0
; NumSgprs: 4
; NumVgprs: 0
; NumAgprs: 0
; TotalNumVgprs: 0
; ScratchSize: 0
; MemoryBound: 0
; FloatMode: 240
; IeeeMode: 1
; LDSByteSize: 0 bytes/workgroup (compile time only)
; SGPRBlocks: 0
; VGPRBlocks: 0
; NumSGPRsForWavesPerEU: 4
; NumVGPRsForWavesPerEU: 1
; AccumOffset: 4
; Occupancy: 8
; WaveLimiterHint : 0
; COMPUTE_PGM_RSRC2:SCRATCH_EN: 0
; COMPUTE_PGM_RSRC2:USER_SGPR: 6
; COMPUTE_PGM_RSRC2:TRAP_HANDLER: 0
; COMPUTE_PGM_RSRC2:TGID_X_EN: 1
; COMPUTE_PGM_RSRC2:TGID_Y_EN: 0
; COMPUTE_PGM_RSRC2:TGID_Z_EN: 0
; COMPUTE_PGM_RSRC2:TIDIG_COMP_CNT: 0
; COMPUTE_PGM_RSRC3_GFX90A:ACCUM_OFFSET: 0
; COMPUTE_PGM_RSRC3_GFX90A:TG_SPLIT: 0
	.section	.text._ZN7rocprim17ROCPRIM_400000_NS6detail17trampoline_kernelINS0_14default_configENS1_38merge_sort_block_merge_config_selectorImNS0_10empty_typeEEEZZNS1_27merge_sort_block_merge_implIS3_PmPS5_jNS1_19radix_merge_compareILb1ELb1EmNS0_19identity_decomposerEEEEE10hipError_tT0_T1_T2_jT3_P12ihipStream_tbPNSt15iterator_traitsISE_E10value_typeEPNSK_ISF_E10value_typeEPSG_NS1_7vsmem_tEENKUlT_SE_SF_SG_E_clIS8_S8_S9_S9_EESD_ST_SE_SF_SG_EUlST_E_NS1_11comp_targetILNS1_3genE2ELNS1_11target_archE906ELNS1_3gpuE6ELNS1_3repE0EEENS1_48merge_mergepath_partition_config_static_selectorELNS0_4arch9wavefront6targetE1EEEvSF_,"axG",@progbits,_ZN7rocprim17ROCPRIM_400000_NS6detail17trampoline_kernelINS0_14default_configENS1_38merge_sort_block_merge_config_selectorImNS0_10empty_typeEEEZZNS1_27merge_sort_block_merge_implIS3_PmPS5_jNS1_19radix_merge_compareILb1ELb1EmNS0_19identity_decomposerEEEEE10hipError_tT0_T1_T2_jT3_P12ihipStream_tbPNSt15iterator_traitsISE_E10value_typeEPNSK_ISF_E10value_typeEPSG_NS1_7vsmem_tEENKUlT_SE_SF_SG_E_clIS8_S8_S9_S9_EESD_ST_SE_SF_SG_EUlST_E_NS1_11comp_targetILNS1_3genE2ELNS1_11target_archE906ELNS1_3gpuE6ELNS1_3repE0EEENS1_48merge_mergepath_partition_config_static_selectorELNS0_4arch9wavefront6targetE1EEEvSF_,comdat
	.protected	_ZN7rocprim17ROCPRIM_400000_NS6detail17trampoline_kernelINS0_14default_configENS1_38merge_sort_block_merge_config_selectorImNS0_10empty_typeEEEZZNS1_27merge_sort_block_merge_implIS3_PmPS5_jNS1_19radix_merge_compareILb1ELb1EmNS0_19identity_decomposerEEEEE10hipError_tT0_T1_T2_jT3_P12ihipStream_tbPNSt15iterator_traitsISE_E10value_typeEPNSK_ISF_E10value_typeEPSG_NS1_7vsmem_tEENKUlT_SE_SF_SG_E_clIS8_S8_S9_S9_EESD_ST_SE_SF_SG_EUlST_E_NS1_11comp_targetILNS1_3genE2ELNS1_11target_archE906ELNS1_3gpuE6ELNS1_3repE0EEENS1_48merge_mergepath_partition_config_static_selectorELNS0_4arch9wavefront6targetE1EEEvSF_ ; -- Begin function _ZN7rocprim17ROCPRIM_400000_NS6detail17trampoline_kernelINS0_14default_configENS1_38merge_sort_block_merge_config_selectorImNS0_10empty_typeEEEZZNS1_27merge_sort_block_merge_implIS3_PmPS5_jNS1_19radix_merge_compareILb1ELb1EmNS0_19identity_decomposerEEEEE10hipError_tT0_T1_T2_jT3_P12ihipStream_tbPNSt15iterator_traitsISE_E10value_typeEPNSK_ISF_E10value_typeEPSG_NS1_7vsmem_tEENKUlT_SE_SF_SG_E_clIS8_S8_S9_S9_EESD_ST_SE_SF_SG_EUlST_E_NS1_11comp_targetILNS1_3genE2ELNS1_11target_archE906ELNS1_3gpuE6ELNS1_3repE0EEENS1_48merge_mergepath_partition_config_static_selectorELNS0_4arch9wavefront6targetE1EEEvSF_
	.globl	_ZN7rocprim17ROCPRIM_400000_NS6detail17trampoline_kernelINS0_14default_configENS1_38merge_sort_block_merge_config_selectorImNS0_10empty_typeEEEZZNS1_27merge_sort_block_merge_implIS3_PmPS5_jNS1_19radix_merge_compareILb1ELb1EmNS0_19identity_decomposerEEEEE10hipError_tT0_T1_T2_jT3_P12ihipStream_tbPNSt15iterator_traitsISE_E10value_typeEPNSK_ISF_E10value_typeEPSG_NS1_7vsmem_tEENKUlT_SE_SF_SG_E_clIS8_S8_S9_S9_EESD_ST_SE_SF_SG_EUlST_E_NS1_11comp_targetILNS1_3genE2ELNS1_11target_archE906ELNS1_3gpuE6ELNS1_3repE0EEENS1_48merge_mergepath_partition_config_static_selectorELNS0_4arch9wavefront6targetE1EEEvSF_
	.p2align	8
	.type	_ZN7rocprim17ROCPRIM_400000_NS6detail17trampoline_kernelINS0_14default_configENS1_38merge_sort_block_merge_config_selectorImNS0_10empty_typeEEEZZNS1_27merge_sort_block_merge_implIS3_PmPS5_jNS1_19radix_merge_compareILb1ELb1EmNS0_19identity_decomposerEEEEE10hipError_tT0_T1_T2_jT3_P12ihipStream_tbPNSt15iterator_traitsISE_E10value_typeEPNSK_ISF_E10value_typeEPSG_NS1_7vsmem_tEENKUlT_SE_SF_SG_E_clIS8_S8_S9_S9_EESD_ST_SE_SF_SG_EUlST_E_NS1_11comp_targetILNS1_3genE2ELNS1_11target_archE906ELNS1_3gpuE6ELNS1_3repE0EEENS1_48merge_mergepath_partition_config_static_selectorELNS0_4arch9wavefront6targetE1EEEvSF_,@function
_ZN7rocprim17ROCPRIM_400000_NS6detail17trampoline_kernelINS0_14default_configENS1_38merge_sort_block_merge_config_selectorImNS0_10empty_typeEEEZZNS1_27merge_sort_block_merge_implIS3_PmPS5_jNS1_19radix_merge_compareILb1ELb1EmNS0_19identity_decomposerEEEEE10hipError_tT0_T1_T2_jT3_P12ihipStream_tbPNSt15iterator_traitsISE_E10value_typeEPNSK_ISF_E10value_typeEPSG_NS1_7vsmem_tEENKUlT_SE_SF_SG_E_clIS8_S8_S9_S9_EESD_ST_SE_SF_SG_EUlST_E_NS1_11comp_targetILNS1_3genE2ELNS1_11target_archE906ELNS1_3gpuE6ELNS1_3repE0EEENS1_48merge_mergepath_partition_config_static_selectorELNS0_4arch9wavefront6targetE1EEEvSF_: ; @_ZN7rocprim17ROCPRIM_400000_NS6detail17trampoline_kernelINS0_14default_configENS1_38merge_sort_block_merge_config_selectorImNS0_10empty_typeEEEZZNS1_27merge_sort_block_merge_implIS3_PmPS5_jNS1_19radix_merge_compareILb1ELb1EmNS0_19identity_decomposerEEEEE10hipError_tT0_T1_T2_jT3_P12ihipStream_tbPNSt15iterator_traitsISE_E10value_typeEPNSK_ISF_E10value_typeEPSG_NS1_7vsmem_tEENKUlT_SE_SF_SG_E_clIS8_S8_S9_S9_EESD_ST_SE_SF_SG_EUlST_E_NS1_11comp_targetILNS1_3genE2ELNS1_11target_archE906ELNS1_3gpuE6ELNS1_3repE0EEENS1_48merge_mergepath_partition_config_static_selectorELNS0_4arch9wavefront6targetE1EEEvSF_
; %bb.0:
	.section	.rodata,"a",@progbits
	.p2align	6, 0x0
	.amdhsa_kernel _ZN7rocprim17ROCPRIM_400000_NS6detail17trampoline_kernelINS0_14default_configENS1_38merge_sort_block_merge_config_selectorImNS0_10empty_typeEEEZZNS1_27merge_sort_block_merge_implIS3_PmPS5_jNS1_19radix_merge_compareILb1ELb1EmNS0_19identity_decomposerEEEEE10hipError_tT0_T1_T2_jT3_P12ihipStream_tbPNSt15iterator_traitsISE_E10value_typeEPNSK_ISF_E10value_typeEPSG_NS1_7vsmem_tEENKUlT_SE_SF_SG_E_clIS8_S8_S9_S9_EESD_ST_SE_SF_SG_EUlST_E_NS1_11comp_targetILNS1_3genE2ELNS1_11target_archE906ELNS1_3gpuE6ELNS1_3repE0EEENS1_48merge_mergepath_partition_config_static_selectorELNS0_4arch9wavefront6targetE1EEEvSF_
		.amdhsa_group_segment_fixed_size 0
		.amdhsa_private_segment_fixed_size 0
		.amdhsa_kernarg_size 40
		.amdhsa_user_sgpr_count 6
		.amdhsa_user_sgpr_private_segment_buffer 1
		.amdhsa_user_sgpr_dispatch_ptr 0
		.amdhsa_user_sgpr_queue_ptr 0
		.amdhsa_user_sgpr_kernarg_segment_ptr 1
		.amdhsa_user_sgpr_dispatch_id 0
		.amdhsa_user_sgpr_flat_scratch_init 0
		.amdhsa_user_sgpr_kernarg_preload_length 0
		.amdhsa_user_sgpr_kernarg_preload_offset 0
		.amdhsa_user_sgpr_private_segment_size 0
		.amdhsa_uses_dynamic_stack 0
		.amdhsa_system_sgpr_private_segment_wavefront_offset 0
		.amdhsa_system_sgpr_workgroup_id_x 1
		.amdhsa_system_sgpr_workgroup_id_y 0
		.amdhsa_system_sgpr_workgroup_id_z 0
		.amdhsa_system_sgpr_workgroup_info 0
		.amdhsa_system_vgpr_workitem_id 0
		.amdhsa_next_free_vgpr 1
		.amdhsa_next_free_sgpr 0
		.amdhsa_accum_offset 4
		.amdhsa_reserve_vcc 0
		.amdhsa_reserve_flat_scratch 0
		.amdhsa_float_round_mode_32 0
		.amdhsa_float_round_mode_16_64 0
		.amdhsa_float_denorm_mode_32 3
		.amdhsa_float_denorm_mode_16_64 3
		.amdhsa_dx10_clamp 1
		.amdhsa_ieee_mode 1
		.amdhsa_fp16_overflow 0
		.amdhsa_tg_split 0
		.amdhsa_exception_fp_ieee_invalid_op 0
		.amdhsa_exception_fp_denorm_src 0
		.amdhsa_exception_fp_ieee_div_zero 0
		.amdhsa_exception_fp_ieee_overflow 0
		.amdhsa_exception_fp_ieee_underflow 0
		.amdhsa_exception_fp_ieee_inexact 0
		.amdhsa_exception_int_div_zero 0
	.end_amdhsa_kernel
	.section	.text._ZN7rocprim17ROCPRIM_400000_NS6detail17trampoline_kernelINS0_14default_configENS1_38merge_sort_block_merge_config_selectorImNS0_10empty_typeEEEZZNS1_27merge_sort_block_merge_implIS3_PmPS5_jNS1_19radix_merge_compareILb1ELb1EmNS0_19identity_decomposerEEEEE10hipError_tT0_T1_T2_jT3_P12ihipStream_tbPNSt15iterator_traitsISE_E10value_typeEPNSK_ISF_E10value_typeEPSG_NS1_7vsmem_tEENKUlT_SE_SF_SG_E_clIS8_S8_S9_S9_EESD_ST_SE_SF_SG_EUlST_E_NS1_11comp_targetILNS1_3genE2ELNS1_11target_archE906ELNS1_3gpuE6ELNS1_3repE0EEENS1_48merge_mergepath_partition_config_static_selectorELNS0_4arch9wavefront6targetE1EEEvSF_,"axG",@progbits,_ZN7rocprim17ROCPRIM_400000_NS6detail17trampoline_kernelINS0_14default_configENS1_38merge_sort_block_merge_config_selectorImNS0_10empty_typeEEEZZNS1_27merge_sort_block_merge_implIS3_PmPS5_jNS1_19radix_merge_compareILb1ELb1EmNS0_19identity_decomposerEEEEE10hipError_tT0_T1_T2_jT3_P12ihipStream_tbPNSt15iterator_traitsISE_E10value_typeEPNSK_ISF_E10value_typeEPSG_NS1_7vsmem_tEENKUlT_SE_SF_SG_E_clIS8_S8_S9_S9_EESD_ST_SE_SF_SG_EUlST_E_NS1_11comp_targetILNS1_3genE2ELNS1_11target_archE906ELNS1_3gpuE6ELNS1_3repE0EEENS1_48merge_mergepath_partition_config_static_selectorELNS0_4arch9wavefront6targetE1EEEvSF_,comdat
.Lfunc_end2254:
	.size	_ZN7rocprim17ROCPRIM_400000_NS6detail17trampoline_kernelINS0_14default_configENS1_38merge_sort_block_merge_config_selectorImNS0_10empty_typeEEEZZNS1_27merge_sort_block_merge_implIS3_PmPS5_jNS1_19radix_merge_compareILb1ELb1EmNS0_19identity_decomposerEEEEE10hipError_tT0_T1_T2_jT3_P12ihipStream_tbPNSt15iterator_traitsISE_E10value_typeEPNSK_ISF_E10value_typeEPSG_NS1_7vsmem_tEENKUlT_SE_SF_SG_E_clIS8_S8_S9_S9_EESD_ST_SE_SF_SG_EUlST_E_NS1_11comp_targetILNS1_3genE2ELNS1_11target_archE906ELNS1_3gpuE6ELNS1_3repE0EEENS1_48merge_mergepath_partition_config_static_selectorELNS0_4arch9wavefront6targetE1EEEvSF_, .Lfunc_end2254-_ZN7rocprim17ROCPRIM_400000_NS6detail17trampoline_kernelINS0_14default_configENS1_38merge_sort_block_merge_config_selectorImNS0_10empty_typeEEEZZNS1_27merge_sort_block_merge_implIS3_PmPS5_jNS1_19radix_merge_compareILb1ELb1EmNS0_19identity_decomposerEEEEE10hipError_tT0_T1_T2_jT3_P12ihipStream_tbPNSt15iterator_traitsISE_E10value_typeEPNSK_ISF_E10value_typeEPSG_NS1_7vsmem_tEENKUlT_SE_SF_SG_E_clIS8_S8_S9_S9_EESD_ST_SE_SF_SG_EUlST_E_NS1_11comp_targetILNS1_3genE2ELNS1_11target_archE906ELNS1_3gpuE6ELNS1_3repE0EEENS1_48merge_mergepath_partition_config_static_selectorELNS0_4arch9wavefront6targetE1EEEvSF_
                                        ; -- End function
	.section	.AMDGPU.csdata,"",@progbits
; Kernel info:
; codeLenInByte = 0
; NumSgprs: 4
; NumVgprs: 0
; NumAgprs: 0
; TotalNumVgprs: 0
; ScratchSize: 0
; MemoryBound: 0
; FloatMode: 240
; IeeeMode: 1
; LDSByteSize: 0 bytes/workgroup (compile time only)
; SGPRBlocks: 0
; VGPRBlocks: 0
; NumSGPRsForWavesPerEU: 4
; NumVGPRsForWavesPerEU: 1
; AccumOffset: 4
; Occupancy: 8
; WaveLimiterHint : 0
; COMPUTE_PGM_RSRC2:SCRATCH_EN: 0
; COMPUTE_PGM_RSRC2:USER_SGPR: 6
; COMPUTE_PGM_RSRC2:TRAP_HANDLER: 0
; COMPUTE_PGM_RSRC2:TGID_X_EN: 1
; COMPUTE_PGM_RSRC2:TGID_Y_EN: 0
; COMPUTE_PGM_RSRC2:TGID_Z_EN: 0
; COMPUTE_PGM_RSRC2:TIDIG_COMP_CNT: 0
; COMPUTE_PGM_RSRC3_GFX90A:ACCUM_OFFSET: 0
; COMPUTE_PGM_RSRC3_GFX90A:TG_SPLIT: 0
	.section	.text._ZN7rocprim17ROCPRIM_400000_NS6detail17trampoline_kernelINS0_14default_configENS1_38merge_sort_block_merge_config_selectorImNS0_10empty_typeEEEZZNS1_27merge_sort_block_merge_implIS3_PmPS5_jNS1_19radix_merge_compareILb1ELb1EmNS0_19identity_decomposerEEEEE10hipError_tT0_T1_T2_jT3_P12ihipStream_tbPNSt15iterator_traitsISE_E10value_typeEPNSK_ISF_E10value_typeEPSG_NS1_7vsmem_tEENKUlT_SE_SF_SG_E_clIS8_S8_S9_S9_EESD_ST_SE_SF_SG_EUlST_E_NS1_11comp_targetILNS1_3genE9ELNS1_11target_archE1100ELNS1_3gpuE3ELNS1_3repE0EEENS1_48merge_mergepath_partition_config_static_selectorELNS0_4arch9wavefront6targetE1EEEvSF_,"axG",@progbits,_ZN7rocprim17ROCPRIM_400000_NS6detail17trampoline_kernelINS0_14default_configENS1_38merge_sort_block_merge_config_selectorImNS0_10empty_typeEEEZZNS1_27merge_sort_block_merge_implIS3_PmPS5_jNS1_19radix_merge_compareILb1ELb1EmNS0_19identity_decomposerEEEEE10hipError_tT0_T1_T2_jT3_P12ihipStream_tbPNSt15iterator_traitsISE_E10value_typeEPNSK_ISF_E10value_typeEPSG_NS1_7vsmem_tEENKUlT_SE_SF_SG_E_clIS8_S8_S9_S9_EESD_ST_SE_SF_SG_EUlST_E_NS1_11comp_targetILNS1_3genE9ELNS1_11target_archE1100ELNS1_3gpuE3ELNS1_3repE0EEENS1_48merge_mergepath_partition_config_static_selectorELNS0_4arch9wavefront6targetE1EEEvSF_,comdat
	.protected	_ZN7rocprim17ROCPRIM_400000_NS6detail17trampoline_kernelINS0_14default_configENS1_38merge_sort_block_merge_config_selectorImNS0_10empty_typeEEEZZNS1_27merge_sort_block_merge_implIS3_PmPS5_jNS1_19radix_merge_compareILb1ELb1EmNS0_19identity_decomposerEEEEE10hipError_tT0_T1_T2_jT3_P12ihipStream_tbPNSt15iterator_traitsISE_E10value_typeEPNSK_ISF_E10value_typeEPSG_NS1_7vsmem_tEENKUlT_SE_SF_SG_E_clIS8_S8_S9_S9_EESD_ST_SE_SF_SG_EUlST_E_NS1_11comp_targetILNS1_3genE9ELNS1_11target_archE1100ELNS1_3gpuE3ELNS1_3repE0EEENS1_48merge_mergepath_partition_config_static_selectorELNS0_4arch9wavefront6targetE1EEEvSF_ ; -- Begin function _ZN7rocprim17ROCPRIM_400000_NS6detail17trampoline_kernelINS0_14default_configENS1_38merge_sort_block_merge_config_selectorImNS0_10empty_typeEEEZZNS1_27merge_sort_block_merge_implIS3_PmPS5_jNS1_19radix_merge_compareILb1ELb1EmNS0_19identity_decomposerEEEEE10hipError_tT0_T1_T2_jT3_P12ihipStream_tbPNSt15iterator_traitsISE_E10value_typeEPNSK_ISF_E10value_typeEPSG_NS1_7vsmem_tEENKUlT_SE_SF_SG_E_clIS8_S8_S9_S9_EESD_ST_SE_SF_SG_EUlST_E_NS1_11comp_targetILNS1_3genE9ELNS1_11target_archE1100ELNS1_3gpuE3ELNS1_3repE0EEENS1_48merge_mergepath_partition_config_static_selectorELNS0_4arch9wavefront6targetE1EEEvSF_
	.globl	_ZN7rocprim17ROCPRIM_400000_NS6detail17trampoline_kernelINS0_14default_configENS1_38merge_sort_block_merge_config_selectorImNS0_10empty_typeEEEZZNS1_27merge_sort_block_merge_implIS3_PmPS5_jNS1_19radix_merge_compareILb1ELb1EmNS0_19identity_decomposerEEEEE10hipError_tT0_T1_T2_jT3_P12ihipStream_tbPNSt15iterator_traitsISE_E10value_typeEPNSK_ISF_E10value_typeEPSG_NS1_7vsmem_tEENKUlT_SE_SF_SG_E_clIS8_S8_S9_S9_EESD_ST_SE_SF_SG_EUlST_E_NS1_11comp_targetILNS1_3genE9ELNS1_11target_archE1100ELNS1_3gpuE3ELNS1_3repE0EEENS1_48merge_mergepath_partition_config_static_selectorELNS0_4arch9wavefront6targetE1EEEvSF_
	.p2align	8
	.type	_ZN7rocprim17ROCPRIM_400000_NS6detail17trampoline_kernelINS0_14default_configENS1_38merge_sort_block_merge_config_selectorImNS0_10empty_typeEEEZZNS1_27merge_sort_block_merge_implIS3_PmPS5_jNS1_19radix_merge_compareILb1ELb1EmNS0_19identity_decomposerEEEEE10hipError_tT0_T1_T2_jT3_P12ihipStream_tbPNSt15iterator_traitsISE_E10value_typeEPNSK_ISF_E10value_typeEPSG_NS1_7vsmem_tEENKUlT_SE_SF_SG_E_clIS8_S8_S9_S9_EESD_ST_SE_SF_SG_EUlST_E_NS1_11comp_targetILNS1_3genE9ELNS1_11target_archE1100ELNS1_3gpuE3ELNS1_3repE0EEENS1_48merge_mergepath_partition_config_static_selectorELNS0_4arch9wavefront6targetE1EEEvSF_,@function
_ZN7rocprim17ROCPRIM_400000_NS6detail17trampoline_kernelINS0_14default_configENS1_38merge_sort_block_merge_config_selectorImNS0_10empty_typeEEEZZNS1_27merge_sort_block_merge_implIS3_PmPS5_jNS1_19radix_merge_compareILb1ELb1EmNS0_19identity_decomposerEEEEE10hipError_tT0_T1_T2_jT3_P12ihipStream_tbPNSt15iterator_traitsISE_E10value_typeEPNSK_ISF_E10value_typeEPSG_NS1_7vsmem_tEENKUlT_SE_SF_SG_E_clIS8_S8_S9_S9_EESD_ST_SE_SF_SG_EUlST_E_NS1_11comp_targetILNS1_3genE9ELNS1_11target_archE1100ELNS1_3gpuE3ELNS1_3repE0EEENS1_48merge_mergepath_partition_config_static_selectorELNS0_4arch9wavefront6targetE1EEEvSF_: ; @_ZN7rocprim17ROCPRIM_400000_NS6detail17trampoline_kernelINS0_14default_configENS1_38merge_sort_block_merge_config_selectorImNS0_10empty_typeEEEZZNS1_27merge_sort_block_merge_implIS3_PmPS5_jNS1_19radix_merge_compareILb1ELb1EmNS0_19identity_decomposerEEEEE10hipError_tT0_T1_T2_jT3_P12ihipStream_tbPNSt15iterator_traitsISE_E10value_typeEPNSK_ISF_E10value_typeEPSG_NS1_7vsmem_tEENKUlT_SE_SF_SG_E_clIS8_S8_S9_S9_EESD_ST_SE_SF_SG_EUlST_E_NS1_11comp_targetILNS1_3genE9ELNS1_11target_archE1100ELNS1_3gpuE3ELNS1_3repE0EEENS1_48merge_mergepath_partition_config_static_selectorELNS0_4arch9wavefront6targetE1EEEvSF_
; %bb.0:
	.section	.rodata,"a",@progbits
	.p2align	6, 0x0
	.amdhsa_kernel _ZN7rocprim17ROCPRIM_400000_NS6detail17trampoline_kernelINS0_14default_configENS1_38merge_sort_block_merge_config_selectorImNS0_10empty_typeEEEZZNS1_27merge_sort_block_merge_implIS3_PmPS5_jNS1_19radix_merge_compareILb1ELb1EmNS0_19identity_decomposerEEEEE10hipError_tT0_T1_T2_jT3_P12ihipStream_tbPNSt15iterator_traitsISE_E10value_typeEPNSK_ISF_E10value_typeEPSG_NS1_7vsmem_tEENKUlT_SE_SF_SG_E_clIS8_S8_S9_S9_EESD_ST_SE_SF_SG_EUlST_E_NS1_11comp_targetILNS1_3genE9ELNS1_11target_archE1100ELNS1_3gpuE3ELNS1_3repE0EEENS1_48merge_mergepath_partition_config_static_selectorELNS0_4arch9wavefront6targetE1EEEvSF_
		.amdhsa_group_segment_fixed_size 0
		.amdhsa_private_segment_fixed_size 0
		.amdhsa_kernarg_size 40
		.amdhsa_user_sgpr_count 6
		.amdhsa_user_sgpr_private_segment_buffer 1
		.amdhsa_user_sgpr_dispatch_ptr 0
		.amdhsa_user_sgpr_queue_ptr 0
		.amdhsa_user_sgpr_kernarg_segment_ptr 1
		.amdhsa_user_sgpr_dispatch_id 0
		.amdhsa_user_sgpr_flat_scratch_init 0
		.amdhsa_user_sgpr_kernarg_preload_length 0
		.amdhsa_user_sgpr_kernarg_preload_offset 0
		.amdhsa_user_sgpr_private_segment_size 0
		.amdhsa_uses_dynamic_stack 0
		.amdhsa_system_sgpr_private_segment_wavefront_offset 0
		.amdhsa_system_sgpr_workgroup_id_x 1
		.amdhsa_system_sgpr_workgroup_id_y 0
		.amdhsa_system_sgpr_workgroup_id_z 0
		.amdhsa_system_sgpr_workgroup_info 0
		.amdhsa_system_vgpr_workitem_id 0
		.amdhsa_next_free_vgpr 1
		.amdhsa_next_free_sgpr 0
		.amdhsa_accum_offset 4
		.amdhsa_reserve_vcc 0
		.amdhsa_reserve_flat_scratch 0
		.amdhsa_float_round_mode_32 0
		.amdhsa_float_round_mode_16_64 0
		.amdhsa_float_denorm_mode_32 3
		.amdhsa_float_denorm_mode_16_64 3
		.amdhsa_dx10_clamp 1
		.amdhsa_ieee_mode 1
		.amdhsa_fp16_overflow 0
		.amdhsa_tg_split 0
		.amdhsa_exception_fp_ieee_invalid_op 0
		.amdhsa_exception_fp_denorm_src 0
		.amdhsa_exception_fp_ieee_div_zero 0
		.amdhsa_exception_fp_ieee_overflow 0
		.amdhsa_exception_fp_ieee_underflow 0
		.amdhsa_exception_fp_ieee_inexact 0
		.amdhsa_exception_int_div_zero 0
	.end_amdhsa_kernel
	.section	.text._ZN7rocprim17ROCPRIM_400000_NS6detail17trampoline_kernelINS0_14default_configENS1_38merge_sort_block_merge_config_selectorImNS0_10empty_typeEEEZZNS1_27merge_sort_block_merge_implIS3_PmPS5_jNS1_19radix_merge_compareILb1ELb1EmNS0_19identity_decomposerEEEEE10hipError_tT0_T1_T2_jT3_P12ihipStream_tbPNSt15iterator_traitsISE_E10value_typeEPNSK_ISF_E10value_typeEPSG_NS1_7vsmem_tEENKUlT_SE_SF_SG_E_clIS8_S8_S9_S9_EESD_ST_SE_SF_SG_EUlST_E_NS1_11comp_targetILNS1_3genE9ELNS1_11target_archE1100ELNS1_3gpuE3ELNS1_3repE0EEENS1_48merge_mergepath_partition_config_static_selectorELNS0_4arch9wavefront6targetE1EEEvSF_,"axG",@progbits,_ZN7rocprim17ROCPRIM_400000_NS6detail17trampoline_kernelINS0_14default_configENS1_38merge_sort_block_merge_config_selectorImNS0_10empty_typeEEEZZNS1_27merge_sort_block_merge_implIS3_PmPS5_jNS1_19radix_merge_compareILb1ELb1EmNS0_19identity_decomposerEEEEE10hipError_tT0_T1_T2_jT3_P12ihipStream_tbPNSt15iterator_traitsISE_E10value_typeEPNSK_ISF_E10value_typeEPSG_NS1_7vsmem_tEENKUlT_SE_SF_SG_E_clIS8_S8_S9_S9_EESD_ST_SE_SF_SG_EUlST_E_NS1_11comp_targetILNS1_3genE9ELNS1_11target_archE1100ELNS1_3gpuE3ELNS1_3repE0EEENS1_48merge_mergepath_partition_config_static_selectorELNS0_4arch9wavefront6targetE1EEEvSF_,comdat
.Lfunc_end2255:
	.size	_ZN7rocprim17ROCPRIM_400000_NS6detail17trampoline_kernelINS0_14default_configENS1_38merge_sort_block_merge_config_selectorImNS0_10empty_typeEEEZZNS1_27merge_sort_block_merge_implIS3_PmPS5_jNS1_19radix_merge_compareILb1ELb1EmNS0_19identity_decomposerEEEEE10hipError_tT0_T1_T2_jT3_P12ihipStream_tbPNSt15iterator_traitsISE_E10value_typeEPNSK_ISF_E10value_typeEPSG_NS1_7vsmem_tEENKUlT_SE_SF_SG_E_clIS8_S8_S9_S9_EESD_ST_SE_SF_SG_EUlST_E_NS1_11comp_targetILNS1_3genE9ELNS1_11target_archE1100ELNS1_3gpuE3ELNS1_3repE0EEENS1_48merge_mergepath_partition_config_static_selectorELNS0_4arch9wavefront6targetE1EEEvSF_, .Lfunc_end2255-_ZN7rocprim17ROCPRIM_400000_NS6detail17trampoline_kernelINS0_14default_configENS1_38merge_sort_block_merge_config_selectorImNS0_10empty_typeEEEZZNS1_27merge_sort_block_merge_implIS3_PmPS5_jNS1_19radix_merge_compareILb1ELb1EmNS0_19identity_decomposerEEEEE10hipError_tT0_T1_T2_jT3_P12ihipStream_tbPNSt15iterator_traitsISE_E10value_typeEPNSK_ISF_E10value_typeEPSG_NS1_7vsmem_tEENKUlT_SE_SF_SG_E_clIS8_S8_S9_S9_EESD_ST_SE_SF_SG_EUlST_E_NS1_11comp_targetILNS1_3genE9ELNS1_11target_archE1100ELNS1_3gpuE3ELNS1_3repE0EEENS1_48merge_mergepath_partition_config_static_selectorELNS0_4arch9wavefront6targetE1EEEvSF_
                                        ; -- End function
	.section	.AMDGPU.csdata,"",@progbits
; Kernel info:
; codeLenInByte = 0
; NumSgprs: 4
; NumVgprs: 0
; NumAgprs: 0
; TotalNumVgprs: 0
; ScratchSize: 0
; MemoryBound: 0
; FloatMode: 240
; IeeeMode: 1
; LDSByteSize: 0 bytes/workgroup (compile time only)
; SGPRBlocks: 0
; VGPRBlocks: 0
; NumSGPRsForWavesPerEU: 4
; NumVGPRsForWavesPerEU: 1
; AccumOffset: 4
; Occupancy: 8
; WaveLimiterHint : 0
; COMPUTE_PGM_RSRC2:SCRATCH_EN: 0
; COMPUTE_PGM_RSRC2:USER_SGPR: 6
; COMPUTE_PGM_RSRC2:TRAP_HANDLER: 0
; COMPUTE_PGM_RSRC2:TGID_X_EN: 1
; COMPUTE_PGM_RSRC2:TGID_Y_EN: 0
; COMPUTE_PGM_RSRC2:TGID_Z_EN: 0
; COMPUTE_PGM_RSRC2:TIDIG_COMP_CNT: 0
; COMPUTE_PGM_RSRC3_GFX90A:ACCUM_OFFSET: 0
; COMPUTE_PGM_RSRC3_GFX90A:TG_SPLIT: 0
	.section	.text._ZN7rocprim17ROCPRIM_400000_NS6detail17trampoline_kernelINS0_14default_configENS1_38merge_sort_block_merge_config_selectorImNS0_10empty_typeEEEZZNS1_27merge_sort_block_merge_implIS3_PmPS5_jNS1_19radix_merge_compareILb1ELb1EmNS0_19identity_decomposerEEEEE10hipError_tT0_T1_T2_jT3_P12ihipStream_tbPNSt15iterator_traitsISE_E10value_typeEPNSK_ISF_E10value_typeEPSG_NS1_7vsmem_tEENKUlT_SE_SF_SG_E_clIS8_S8_S9_S9_EESD_ST_SE_SF_SG_EUlST_E_NS1_11comp_targetILNS1_3genE8ELNS1_11target_archE1030ELNS1_3gpuE2ELNS1_3repE0EEENS1_48merge_mergepath_partition_config_static_selectorELNS0_4arch9wavefront6targetE1EEEvSF_,"axG",@progbits,_ZN7rocprim17ROCPRIM_400000_NS6detail17trampoline_kernelINS0_14default_configENS1_38merge_sort_block_merge_config_selectorImNS0_10empty_typeEEEZZNS1_27merge_sort_block_merge_implIS3_PmPS5_jNS1_19radix_merge_compareILb1ELb1EmNS0_19identity_decomposerEEEEE10hipError_tT0_T1_T2_jT3_P12ihipStream_tbPNSt15iterator_traitsISE_E10value_typeEPNSK_ISF_E10value_typeEPSG_NS1_7vsmem_tEENKUlT_SE_SF_SG_E_clIS8_S8_S9_S9_EESD_ST_SE_SF_SG_EUlST_E_NS1_11comp_targetILNS1_3genE8ELNS1_11target_archE1030ELNS1_3gpuE2ELNS1_3repE0EEENS1_48merge_mergepath_partition_config_static_selectorELNS0_4arch9wavefront6targetE1EEEvSF_,comdat
	.protected	_ZN7rocprim17ROCPRIM_400000_NS6detail17trampoline_kernelINS0_14default_configENS1_38merge_sort_block_merge_config_selectorImNS0_10empty_typeEEEZZNS1_27merge_sort_block_merge_implIS3_PmPS5_jNS1_19radix_merge_compareILb1ELb1EmNS0_19identity_decomposerEEEEE10hipError_tT0_T1_T2_jT3_P12ihipStream_tbPNSt15iterator_traitsISE_E10value_typeEPNSK_ISF_E10value_typeEPSG_NS1_7vsmem_tEENKUlT_SE_SF_SG_E_clIS8_S8_S9_S9_EESD_ST_SE_SF_SG_EUlST_E_NS1_11comp_targetILNS1_3genE8ELNS1_11target_archE1030ELNS1_3gpuE2ELNS1_3repE0EEENS1_48merge_mergepath_partition_config_static_selectorELNS0_4arch9wavefront6targetE1EEEvSF_ ; -- Begin function _ZN7rocprim17ROCPRIM_400000_NS6detail17trampoline_kernelINS0_14default_configENS1_38merge_sort_block_merge_config_selectorImNS0_10empty_typeEEEZZNS1_27merge_sort_block_merge_implIS3_PmPS5_jNS1_19radix_merge_compareILb1ELb1EmNS0_19identity_decomposerEEEEE10hipError_tT0_T1_T2_jT3_P12ihipStream_tbPNSt15iterator_traitsISE_E10value_typeEPNSK_ISF_E10value_typeEPSG_NS1_7vsmem_tEENKUlT_SE_SF_SG_E_clIS8_S8_S9_S9_EESD_ST_SE_SF_SG_EUlST_E_NS1_11comp_targetILNS1_3genE8ELNS1_11target_archE1030ELNS1_3gpuE2ELNS1_3repE0EEENS1_48merge_mergepath_partition_config_static_selectorELNS0_4arch9wavefront6targetE1EEEvSF_
	.globl	_ZN7rocprim17ROCPRIM_400000_NS6detail17trampoline_kernelINS0_14default_configENS1_38merge_sort_block_merge_config_selectorImNS0_10empty_typeEEEZZNS1_27merge_sort_block_merge_implIS3_PmPS5_jNS1_19radix_merge_compareILb1ELb1EmNS0_19identity_decomposerEEEEE10hipError_tT0_T1_T2_jT3_P12ihipStream_tbPNSt15iterator_traitsISE_E10value_typeEPNSK_ISF_E10value_typeEPSG_NS1_7vsmem_tEENKUlT_SE_SF_SG_E_clIS8_S8_S9_S9_EESD_ST_SE_SF_SG_EUlST_E_NS1_11comp_targetILNS1_3genE8ELNS1_11target_archE1030ELNS1_3gpuE2ELNS1_3repE0EEENS1_48merge_mergepath_partition_config_static_selectorELNS0_4arch9wavefront6targetE1EEEvSF_
	.p2align	8
	.type	_ZN7rocprim17ROCPRIM_400000_NS6detail17trampoline_kernelINS0_14default_configENS1_38merge_sort_block_merge_config_selectorImNS0_10empty_typeEEEZZNS1_27merge_sort_block_merge_implIS3_PmPS5_jNS1_19radix_merge_compareILb1ELb1EmNS0_19identity_decomposerEEEEE10hipError_tT0_T1_T2_jT3_P12ihipStream_tbPNSt15iterator_traitsISE_E10value_typeEPNSK_ISF_E10value_typeEPSG_NS1_7vsmem_tEENKUlT_SE_SF_SG_E_clIS8_S8_S9_S9_EESD_ST_SE_SF_SG_EUlST_E_NS1_11comp_targetILNS1_3genE8ELNS1_11target_archE1030ELNS1_3gpuE2ELNS1_3repE0EEENS1_48merge_mergepath_partition_config_static_selectorELNS0_4arch9wavefront6targetE1EEEvSF_,@function
_ZN7rocprim17ROCPRIM_400000_NS6detail17trampoline_kernelINS0_14default_configENS1_38merge_sort_block_merge_config_selectorImNS0_10empty_typeEEEZZNS1_27merge_sort_block_merge_implIS3_PmPS5_jNS1_19radix_merge_compareILb1ELb1EmNS0_19identity_decomposerEEEEE10hipError_tT0_T1_T2_jT3_P12ihipStream_tbPNSt15iterator_traitsISE_E10value_typeEPNSK_ISF_E10value_typeEPSG_NS1_7vsmem_tEENKUlT_SE_SF_SG_E_clIS8_S8_S9_S9_EESD_ST_SE_SF_SG_EUlST_E_NS1_11comp_targetILNS1_3genE8ELNS1_11target_archE1030ELNS1_3gpuE2ELNS1_3repE0EEENS1_48merge_mergepath_partition_config_static_selectorELNS0_4arch9wavefront6targetE1EEEvSF_: ; @_ZN7rocprim17ROCPRIM_400000_NS6detail17trampoline_kernelINS0_14default_configENS1_38merge_sort_block_merge_config_selectorImNS0_10empty_typeEEEZZNS1_27merge_sort_block_merge_implIS3_PmPS5_jNS1_19radix_merge_compareILb1ELb1EmNS0_19identity_decomposerEEEEE10hipError_tT0_T1_T2_jT3_P12ihipStream_tbPNSt15iterator_traitsISE_E10value_typeEPNSK_ISF_E10value_typeEPSG_NS1_7vsmem_tEENKUlT_SE_SF_SG_E_clIS8_S8_S9_S9_EESD_ST_SE_SF_SG_EUlST_E_NS1_11comp_targetILNS1_3genE8ELNS1_11target_archE1030ELNS1_3gpuE2ELNS1_3repE0EEENS1_48merge_mergepath_partition_config_static_selectorELNS0_4arch9wavefront6targetE1EEEvSF_
; %bb.0:
	.section	.rodata,"a",@progbits
	.p2align	6, 0x0
	.amdhsa_kernel _ZN7rocprim17ROCPRIM_400000_NS6detail17trampoline_kernelINS0_14default_configENS1_38merge_sort_block_merge_config_selectorImNS0_10empty_typeEEEZZNS1_27merge_sort_block_merge_implIS3_PmPS5_jNS1_19radix_merge_compareILb1ELb1EmNS0_19identity_decomposerEEEEE10hipError_tT0_T1_T2_jT3_P12ihipStream_tbPNSt15iterator_traitsISE_E10value_typeEPNSK_ISF_E10value_typeEPSG_NS1_7vsmem_tEENKUlT_SE_SF_SG_E_clIS8_S8_S9_S9_EESD_ST_SE_SF_SG_EUlST_E_NS1_11comp_targetILNS1_3genE8ELNS1_11target_archE1030ELNS1_3gpuE2ELNS1_3repE0EEENS1_48merge_mergepath_partition_config_static_selectorELNS0_4arch9wavefront6targetE1EEEvSF_
		.amdhsa_group_segment_fixed_size 0
		.amdhsa_private_segment_fixed_size 0
		.amdhsa_kernarg_size 40
		.amdhsa_user_sgpr_count 6
		.amdhsa_user_sgpr_private_segment_buffer 1
		.amdhsa_user_sgpr_dispatch_ptr 0
		.amdhsa_user_sgpr_queue_ptr 0
		.amdhsa_user_sgpr_kernarg_segment_ptr 1
		.amdhsa_user_sgpr_dispatch_id 0
		.amdhsa_user_sgpr_flat_scratch_init 0
		.amdhsa_user_sgpr_kernarg_preload_length 0
		.amdhsa_user_sgpr_kernarg_preload_offset 0
		.amdhsa_user_sgpr_private_segment_size 0
		.amdhsa_uses_dynamic_stack 0
		.amdhsa_system_sgpr_private_segment_wavefront_offset 0
		.amdhsa_system_sgpr_workgroup_id_x 1
		.amdhsa_system_sgpr_workgroup_id_y 0
		.amdhsa_system_sgpr_workgroup_id_z 0
		.amdhsa_system_sgpr_workgroup_info 0
		.amdhsa_system_vgpr_workitem_id 0
		.amdhsa_next_free_vgpr 1
		.amdhsa_next_free_sgpr 0
		.amdhsa_accum_offset 4
		.amdhsa_reserve_vcc 0
		.amdhsa_reserve_flat_scratch 0
		.amdhsa_float_round_mode_32 0
		.amdhsa_float_round_mode_16_64 0
		.amdhsa_float_denorm_mode_32 3
		.amdhsa_float_denorm_mode_16_64 3
		.amdhsa_dx10_clamp 1
		.amdhsa_ieee_mode 1
		.amdhsa_fp16_overflow 0
		.amdhsa_tg_split 0
		.amdhsa_exception_fp_ieee_invalid_op 0
		.amdhsa_exception_fp_denorm_src 0
		.amdhsa_exception_fp_ieee_div_zero 0
		.amdhsa_exception_fp_ieee_overflow 0
		.amdhsa_exception_fp_ieee_underflow 0
		.amdhsa_exception_fp_ieee_inexact 0
		.amdhsa_exception_int_div_zero 0
	.end_amdhsa_kernel
	.section	.text._ZN7rocprim17ROCPRIM_400000_NS6detail17trampoline_kernelINS0_14default_configENS1_38merge_sort_block_merge_config_selectorImNS0_10empty_typeEEEZZNS1_27merge_sort_block_merge_implIS3_PmPS5_jNS1_19radix_merge_compareILb1ELb1EmNS0_19identity_decomposerEEEEE10hipError_tT0_T1_T2_jT3_P12ihipStream_tbPNSt15iterator_traitsISE_E10value_typeEPNSK_ISF_E10value_typeEPSG_NS1_7vsmem_tEENKUlT_SE_SF_SG_E_clIS8_S8_S9_S9_EESD_ST_SE_SF_SG_EUlST_E_NS1_11comp_targetILNS1_3genE8ELNS1_11target_archE1030ELNS1_3gpuE2ELNS1_3repE0EEENS1_48merge_mergepath_partition_config_static_selectorELNS0_4arch9wavefront6targetE1EEEvSF_,"axG",@progbits,_ZN7rocprim17ROCPRIM_400000_NS6detail17trampoline_kernelINS0_14default_configENS1_38merge_sort_block_merge_config_selectorImNS0_10empty_typeEEEZZNS1_27merge_sort_block_merge_implIS3_PmPS5_jNS1_19radix_merge_compareILb1ELb1EmNS0_19identity_decomposerEEEEE10hipError_tT0_T1_T2_jT3_P12ihipStream_tbPNSt15iterator_traitsISE_E10value_typeEPNSK_ISF_E10value_typeEPSG_NS1_7vsmem_tEENKUlT_SE_SF_SG_E_clIS8_S8_S9_S9_EESD_ST_SE_SF_SG_EUlST_E_NS1_11comp_targetILNS1_3genE8ELNS1_11target_archE1030ELNS1_3gpuE2ELNS1_3repE0EEENS1_48merge_mergepath_partition_config_static_selectorELNS0_4arch9wavefront6targetE1EEEvSF_,comdat
.Lfunc_end2256:
	.size	_ZN7rocprim17ROCPRIM_400000_NS6detail17trampoline_kernelINS0_14default_configENS1_38merge_sort_block_merge_config_selectorImNS0_10empty_typeEEEZZNS1_27merge_sort_block_merge_implIS3_PmPS5_jNS1_19radix_merge_compareILb1ELb1EmNS0_19identity_decomposerEEEEE10hipError_tT0_T1_T2_jT3_P12ihipStream_tbPNSt15iterator_traitsISE_E10value_typeEPNSK_ISF_E10value_typeEPSG_NS1_7vsmem_tEENKUlT_SE_SF_SG_E_clIS8_S8_S9_S9_EESD_ST_SE_SF_SG_EUlST_E_NS1_11comp_targetILNS1_3genE8ELNS1_11target_archE1030ELNS1_3gpuE2ELNS1_3repE0EEENS1_48merge_mergepath_partition_config_static_selectorELNS0_4arch9wavefront6targetE1EEEvSF_, .Lfunc_end2256-_ZN7rocprim17ROCPRIM_400000_NS6detail17trampoline_kernelINS0_14default_configENS1_38merge_sort_block_merge_config_selectorImNS0_10empty_typeEEEZZNS1_27merge_sort_block_merge_implIS3_PmPS5_jNS1_19radix_merge_compareILb1ELb1EmNS0_19identity_decomposerEEEEE10hipError_tT0_T1_T2_jT3_P12ihipStream_tbPNSt15iterator_traitsISE_E10value_typeEPNSK_ISF_E10value_typeEPSG_NS1_7vsmem_tEENKUlT_SE_SF_SG_E_clIS8_S8_S9_S9_EESD_ST_SE_SF_SG_EUlST_E_NS1_11comp_targetILNS1_3genE8ELNS1_11target_archE1030ELNS1_3gpuE2ELNS1_3repE0EEENS1_48merge_mergepath_partition_config_static_selectorELNS0_4arch9wavefront6targetE1EEEvSF_
                                        ; -- End function
	.section	.AMDGPU.csdata,"",@progbits
; Kernel info:
; codeLenInByte = 0
; NumSgprs: 4
; NumVgprs: 0
; NumAgprs: 0
; TotalNumVgprs: 0
; ScratchSize: 0
; MemoryBound: 0
; FloatMode: 240
; IeeeMode: 1
; LDSByteSize: 0 bytes/workgroup (compile time only)
; SGPRBlocks: 0
; VGPRBlocks: 0
; NumSGPRsForWavesPerEU: 4
; NumVGPRsForWavesPerEU: 1
; AccumOffset: 4
; Occupancy: 8
; WaveLimiterHint : 0
; COMPUTE_PGM_RSRC2:SCRATCH_EN: 0
; COMPUTE_PGM_RSRC2:USER_SGPR: 6
; COMPUTE_PGM_RSRC2:TRAP_HANDLER: 0
; COMPUTE_PGM_RSRC2:TGID_X_EN: 1
; COMPUTE_PGM_RSRC2:TGID_Y_EN: 0
; COMPUTE_PGM_RSRC2:TGID_Z_EN: 0
; COMPUTE_PGM_RSRC2:TIDIG_COMP_CNT: 0
; COMPUTE_PGM_RSRC3_GFX90A:ACCUM_OFFSET: 0
; COMPUTE_PGM_RSRC3_GFX90A:TG_SPLIT: 0
	.section	.text._ZN7rocprim17ROCPRIM_400000_NS6detail17trampoline_kernelINS0_14default_configENS1_38merge_sort_block_merge_config_selectorImNS0_10empty_typeEEEZZNS1_27merge_sort_block_merge_implIS3_PmPS5_jNS1_19radix_merge_compareILb1ELb1EmNS0_19identity_decomposerEEEEE10hipError_tT0_T1_T2_jT3_P12ihipStream_tbPNSt15iterator_traitsISE_E10value_typeEPNSK_ISF_E10value_typeEPSG_NS1_7vsmem_tEENKUlT_SE_SF_SG_E_clIS8_S8_S9_S9_EESD_ST_SE_SF_SG_EUlST_E0_NS1_11comp_targetILNS1_3genE0ELNS1_11target_archE4294967295ELNS1_3gpuE0ELNS1_3repE0EEENS1_38merge_mergepath_config_static_selectorELNS0_4arch9wavefront6targetE1EEEvSF_,"axG",@progbits,_ZN7rocprim17ROCPRIM_400000_NS6detail17trampoline_kernelINS0_14default_configENS1_38merge_sort_block_merge_config_selectorImNS0_10empty_typeEEEZZNS1_27merge_sort_block_merge_implIS3_PmPS5_jNS1_19radix_merge_compareILb1ELb1EmNS0_19identity_decomposerEEEEE10hipError_tT0_T1_T2_jT3_P12ihipStream_tbPNSt15iterator_traitsISE_E10value_typeEPNSK_ISF_E10value_typeEPSG_NS1_7vsmem_tEENKUlT_SE_SF_SG_E_clIS8_S8_S9_S9_EESD_ST_SE_SF_SG_EUlST_E0_NS1_11comp_targetILNS1_3genE0ELNS1_11target_archE4294967295ELNS1_3gpuE0ELNS1_3repE0EEENS1_38merge_mergepath_config_static_selectorELNS0_4arch9wavefront6targetE1EEEvSF_,comdat
	.protected	_ZN7rocprim17ROCPRIM_400000_NS6detail17trampoline_kernelINS0_14default_configENS1_38merge_sort_block_merge_config_selectorImNS0_10empty_typeEEEZZNS1_27merge_sort_block_merge_implIS3_PmPS5_jNS1_19radix_merge_compareILb1ELb1EmNS0_19identity_decomposerEEEEE10hipError_tT0_T1_T2_jT3_P12ihipStream_tbPNSt15iterator_traitsISE_E10value_typeEPNSK_ISF_E10value_typeEPSG_NS1_7vsmem_tEENKUlT_SE_SF_SG_E_clIS8_S8_S9_S9_EESD_ST_SE_SF_SG_EUlST_E0_NS1_11comp_targetILNS1_3genE0ELNS1_11target_archE4294967295ELNS1_3gpuE0ELNS1_3repE0EEENS1_38merge_mergepath_config_static_selectorELNS0_4arch9wavefront6targetE1EEEvSF_ ; -- Begin function _ZN7rocprim17ROCPRIM_400000_NS6detail17trampoline_kernelINS0_14default_configENS1_38merge_sort_block_merge_config_selectorImNS0_10empty_typeEEEZZNS1_27merge_sort_block_merge_implIS3_PmPS5_jNS1_19radix_merge_compareILb1ELb1EmNS0_19identity_decomposerEEEEE10hipError_tT0_T1_T2_jT3_P12ihipStream_tbPNSt15iterator_traitsISE_E10value_typeEPNSK_ISF_E10value_typeEPSG_NS1_7vsmem_tEENKUlT_SE_SF_SG_E_clIS8_S8_S9_S9_EESD_ST_SE_SF_SG_EUlST_E0_NS1_11comp_targetILNS1_3genE0ELNS1_11target_archE4294967295ELNS1_3gpuE0ELNS1_3repE0EEENS1_38merge_mergepath_config_static_selectorELNS0_4arch9wavefront6targetE1EEEvSF_
	.globl	_ZN7rocprim17ROCPRIM_400000_NS6detail17trampoline_kernelINS0_14default_configENS1_38merge_sort_block_merge_config_selectorImNS0_10empty_typeEEEZZNS1_27merge_sort_block_merge_implIS3_PmPS5_jNS1_19radix_merge_compareILb1ELb1EmNS0_19identity_decomposerEEEEE10hipError_tT0_T1_T2_jT3_P12ihipStream_tbPNSt15iterator_traitsISE_E10value_typeEPNSK_ISF_E10value_typeEPSG_NS1_7vsmem_tEENKUlT_SE_SF_SG_E_clIS8_S8_S9_S9_EESD_ST_SE_SF_SG_EUlST_E0_NS1_11comp_targetILNS1_3genE0ELNS1_11target_archE4294967295ELNS1_3gpuE0ELNS1_3repE0EEENS1_38merge_mergepath_config_static_selectorELNS0_4arch9wavefront6targetE1EEEvSF_
	.p2align	8
	.type	_ZN7rocprim17ROCPRIM_400000_NS6detail17trampoline_kernelINS0_14default_configENS1_38merge_sort_block_merge_config_selectorImNS0_10empty_typeEEEZZNS1_27merge_sort_block_merge_implIS3_PmPS5_jNS1_19radix_merge_compareILb1ELb1EmNS0_19identity_decomposerEEEEE10hipError_tT0_T1_T2_jT3_P12ihipStream_tbPNSt15iterator_traitsISE_E10value_typeEPNSK_ISF_E10value_typeEPSG_NS1_7vsmem_tEENKUlT_SE_SF_SG_E_clIS8_S8_S9_S9_EESD_ST_SE_SF_SG_EUlST_E0_NS1_11comp_targetILNS1_3genE0ELNS1_11target_archE4294967295ELNS1_3gpuE0ELNS1_3repE0EEENS1_38merge_mergepath_config_static_selectorELNS0_4arch9wavefront6targetE1EEEvSF_,@function
_ZN7rocprim17ROCPRIM_400000_NS6detail17trampoline_kernelINS0_14default_configENS1_38merge_sort_block_merge_config_selectorImNS0_10empty_typeEEEZZNS1_27merge_sort_block_merge_implIS3_PmPS5_jNS1_19radix_merge_compareILb1ELb1EmNS0_19identity_decomposerEEEEE10hipError_tT0_T1_T2_jT3_P12ihipStream_tbPNSt15iterator_traitsISE_E10value_typeEPNSK_ISF_E10value_typeEPSG_NS1_7vsmem_tEENKUlT_SE_SF_SG_E_clIS8_S8_S9_S9_EESD_ST_SE_SF_SG_EUlST_E0_NS1_11comp_targetILNS1_3genE0ELNS1_11target_archE4294967295ELNS1_3gpuE0ELNS1_3repE0EEENS1_38merge_mergepath_config_static_selectorELNS0_4arch9wavefront6targetE1EEEvSF_: ; @_ZN7rocprim17ROCPRIM_400000_NS6detail17trampoline_kernelINS0_14default_configENS1_38merge_sort_block_merge_config_selectorImNS0_10empty_typeEEEZZNS1_27merge_sort_block_merge_implIS3_PmPS5_jNS1_19radix_merge_compareILb1ELb1EmNS0_19identity_decomposerEEEEE10hipError_tT0_T1_T2_jT3_P12ihipStream_tbPNSt15iterator_traitsISE_E10value_typeEPNSK_ISF_E10value_typeEPSG_NS1_7vsmem_tEENKUlT_SE_SF_SG_E_clIS8_S8_S9_S9_EESD_ST_SE_SF_SG_EUlST_E0_NS1_11comp_targetILNS1_3genE0ELNS1_11target_archE4294967295ELNS1_3gpuE0ELNS1_3repE0EEENS1_38merge_mergepath_config_static_selectorELNS0_4arch9wavefront6targetE1EEEvSF_
; %bb.0:
	.section	.rodata,"a",@progbits
	.p2align	6, 0x0
	.amdhsa_kernel _ZN7rocprim17ROCPRIM_400000_NS6detail17trampoline_kernelINS0_14default_configENS1_38merge_sort_block_merge_config_selectorImNS0_10empty_typeEEEZZNS1_27merge_sort_block_merge_implIS3_PmPS5_jNS1_19radix_merge_compareILb1ELb1EmNS0_19identity_decomposerEEEEE10hipError_tT0_T1_T2_jT3_P12ihipStream_tbPNSt15iterator_traitsISE_E10value_typeEPNSK_ISF_E10value_typeEPSG_NS1_7vsmem_tEENKUlT_SE_SF_SG_E_clIS8_S8_S9_S9_EESD_ST_SE_SF_SG_EUlST_E0_NS1_11comp_targetILNS1_3genE0ELNS1_11target_archE4294967295ELNS1_3gpuE0ELNS1_3repE0EEENS1_38merge_mergepath_config_static_selectorELNS0_4arch9wavefront6targetE1EEEvSF_
		.amdhsa_group_segment_fixed_size 0
		.amdhsa_private_segment_fixed_size 0
		.amdhsa_kernarg_size 72
		.amdhsa_user_sgpr_count 6
		.amdhsa_user_sgpr_private_segment_buffer 1
		.amdhsa_user_sgpr_dispatch_ptr 0
		.amdhsa_user_sgpr_queue_ptr 0
		.amdhsa_user_sgpr_kernarg_segment_ptr 1
		.amdhsa_user_sgpr_dispatch_id 0
		.amdhsa_user_sgpr_flat_scratch_init 0
		.amdhsa_user_sgpr_kernarg_preload_length 0
		.amdhsa_user_sgpr_kernarg_preload_offset 0
		.amdhsa_user_sgpr_private_segment_size 0
		.amdhsa_uses_dynamic_stack 0
		.amdhsa_system_sgpr_private_segment_wavefront_offset 0
		.amdhsa_system_sgpr_workgroup_id_x 1
		.amdhsa_system_sgpr_workgroup_id_y 0
		.amdhsa_system_sgpr_workgroup_id_z 0
		.amdhsa_system_sgpr_workgroup_info 0
		.amdhsa_system_vgpr_workitem_id 0
		.amdhsa_next_free_vgpr 1
		.amdhsa_next_free_sgpr 0
		.amdhsa_accum_offset 4
		.amdhsa_reserve_vcc 0
		.amdhsa_reserve_flat_scratch 0
		.amdhsa_float_round_mode_32 0
		.amdhsa_float_round_mode_16_64 0
		.amdhsa_float_denorm_mode_32 3
		.amdhsa_float_denorm_mode_16_64 3
		.amdhsa_dx10_clamp 1
		.amdhsa_ieee_mode 1
		.amdhsa_fp16_overflow 0
		.amdhsa_tg_split 0
		.amdhsa_exception_fp_ieee_invalid_op 0
		.amdhsa_exception_fp_denorm_src 0
		.amdhsa_exception_fp_ieee_div_zero 0
		.amdhsa_exception_fp_ieee_overflow 0
		.amdhsa_exception_fp_ieee_underflow 0
		.amdhsa_exception_fp_ieee_inexact 0
		.amdhsa_exception_int_div_zero 0
	.end_amdhsa_kernel
	.section	.text._ZN7rocprim17ROCPRIM_400000_NS6detail17trampoline_kernelINS0_14default_configENS1_38merge_sort_block_merge_config_selectorImNS0_10empty_typeEEEZZNS1_27merge_sort_block_merge_implIS3_PmPS5_jNS1_19radix_merge_compareILb1ELb1EmNS0_19identity_decomposerEEEEE10hipError_tT0_T1_T2_jT3_P12ihipStream_tbPNSt15iterator_traitsISE_E10value_typeEPNSK_ISF_E10value_typeEPSG_NS1_7vsmem_tEENKUlT_SE_SF_SG_E_clIS8_S8_S9_S9_EESD_ST_SE_SF_SG_EUlST_E0_NS1_11comp_targetILNS1_3genE0ELNS1_11target_archE4294967295ELNS1_3gpuE0ELNS1_3repE0EEENS1_38merge_mergepath_config_static_selectorELNS0_4arch9wavefront6targetE1EEEvSF_,"axG",@progbits,_ZN7rocprim17ROCPRIM_400000_NS6detail17trampoline_kernelINS0_14default_configENS1_38merge_sort_block_merge_config_selectorImNS0_10empty_typeEEEZZNS1_27merge_sort_block_merge_implIS3_PmPS5_jNS1_19radix_merge_compareILb1ELb1EmNS0_19identity_decomposerEEEEE10hipError_tT0_T1_T2_jT3_P12ihipStream_tbPNSt15iterator_traitsISE_E10value_typeEPNSK_ISF_E10value_typeEPSG_NS1_7vsmem_tEENKUlT_SE_SF_SG_E_clIS8_S8_S9_S9_EESD_ST_SE_SF_SG_EUlST_E0_NS1_11comp_targetILNS1_3genE0ELNS1_11target_archE4294967295ELNS1_3gpuE0ELNS1_3repE0EEENS1_38merge_mergepath_config_static_selectorELNS0_4arch9wavefront6targetE1EEEvSF_,comdat
.Lfunc_end2257:
	.size	_ZN7rocprim17ROCPRIM_400000_NS6detail17trampoline_kernelINS0_14default_configENS1_38merge_sort_block_merge_config_selectorImNS0_10empty_typeEEEZZNS1_27merge_sort_block_merge_implIS3_PmPS5_jNS1_19radix_merge_compareILb1ELb1EmNS0_19identity_decomposerEEEEE10hipError_tT0_T1_T2_jT3_P12ihipStream_tbPNSt15iterator_traitsISE_E10value_typeEPNSK_ISF_E10value_typeEPSG_NS1_7vsmem_tEENKUlT_SE_SF_SG_E_clIS8_S8_S9_S9_EESD_ST_SE_SF_SG_EUlST_E0_NS1_11comp_targetILNS1_3genE0ELNS1_11target_archE4294967295ELNS1_3gpuE0ELNS1_3repE0EEENS1_38merge_mergepath_config_static_selectorELNS0_4arch9wavefront6targetE1EEEvSF_, .Lfunc_end2257-_ZN7rocprim17ROCPRIM_400000_NS6detail17trampoline_kernelINS0_14default_configENS1_38merge_sort_block_merge_config_selectorImNS0_10empty_typeEEEZZNS1_27merge_sort_block_merge_implIS3_PmPS5_jNS1_19radix_merge_compareILb1ELb1EmNS0_19identity_decomposerEEEEE10hipError_tT0_T1_T2_jT3_P12ihipStream_tbPNSt15iterator_traitsISE_E10value_typeEPNSK_ISF_E10value_typeEPSG_NS1_7vsmem_tEENKUlT_SE_SF_SG_E_clIS8_S8_S9_S9_EESD_ST_SE_SF_SG_EUlST_E0_NS1_11comp_targetILNS1_3genE0ELNS1_11target_archE4294967295ELNS1_3gpuE0ELNS1_3repE0EEENS1_38merge_mergepath_config_static_selectorELNS0_4arch9wavefront6targetE1EEEvSF_
                                        ; -- End function
	.section	.AMDGPU.csdata,"",@progbits
; Kernel info:
; codeLenInByte = 0
; NumSgprs: 4
; NumVgprs: 0
; NumAgprs: 0
; TotalNumVgprs: 0
; ScratchSize: 0
; MemoryBound: 0
; FloatMode: 240
; IeeeMode: 1
; LDSByteSize: 0 bytes/workgroup (compile time only)
; SGPRBlocks: 0
; VGPRBlocks: 0
; NumSGPRsForWavesPerEU: 4
; NumVGPRsForWavesPerEU: 1
; AccumOffset: 4
; Occupancy: 8
; WaveLimiterHint : 0
; COMPUTE_PGM_RSRC2:SCRATCH_EN: 0
; COMPUTE_PGM_RSRC2:USER_SGPR: 6
; COMPUTE_PGM_RSRC2:TRAP_HANDLER: 0
; COMPUTE_PGM_RSRC2:TGID_X_EN: 1
; COMPUTE_PGM_RSRC2:TGID_Y_EN: 0
; COMPUTE_PGM_RSRC2:TGID_Z_EN: 0
; COMPUTE_PGM_RSRC2:TIDIG_COMP_CNT: 0
; COMPUTE_PGM_RSRC3_GFX90A:ACCUM_OFFSET: 0
; COMPUTE_PGM_RSRC3_GFX90A:TG_SPLIT: 0
	.section	.text._ZN7rocprim17ROCPRIM_400000_NS6detail17trampoline_kernelINS0_14default_configENS1_38merge_sort_block_merge_config_selectorImNS0_10empty_typeEEEZZNS1_27merge_sort_block_merge_implIS3_PmPS5_jNS1_19radix_merge_compareILb1ELb1EmNS0_19identity_decomposerEEEEE10hipError_tT0_T1_T2_jT3_P12ihipStream_tbPNSt15iterator_traitsISE_E10value_typeEPNSK_ISF_E10value_typeEPSG_NS1_7vsmem_tEENKUlT_SE_SF_SG_E_clIS8_S8_S9_S9_EESD_ST_SE_SF_SG_EUlST_E0_NS1_11comp_targetILNS1_3genE10ELNS1_11target_archE1201ELNS1_3gpuE5ELNS1_3repE0EEENS1_38merge_mergepath_config_static_selectorELNS0_4arch9wavefront6targetE1EEEvSF_,"axG",@progbits,_ZN7rocprim17ROCPRIM_400000_NS6detail17trampoline_kernelINS0_14default_configENS1_38merge_sort_block_merge_config_selectorImNS0_10empty_typeEEEZZNS1_27merge_sort_block_merge_implIS3_PmPS5_jNS1_19radix_merge_compareILb1ELb1EmNS0_19identity_decomposerEEEEE10hipError_tT0_T1_T2_jT3_P12ihipStream_tbPNSt15iterator_traitsISE_E10value_typeEPNSK_ISF_E10value_typeEPSG_NS1_7vsmem_tEENKUlT_SE_SF_SG_E_clIS8_S8_S9_S9_EESD_ST_SE_SF_SG_EUlST_E0_NS1_11comp_targetILNS1_3genE10ELNS1_11target_archE1201ELNS1_3gpuE5ELNS1_3repE0EEENS1_38merge_mergepath_config_static_selectorELNS0_4arch9wavefront6targetE1EEEvSF_,comdat
	.protected	_ZN7rocprim17ROCPRIM_400000_NS6detail17trampoline_kernelINS0_14default_configENS1_38merge_sort_block_merge_config_selectorImNS0_10empty_typeEEEZZNS1_27merge_sort_block_merge_implIS3_PmPS5_jNS1_19radix_merge_compareILb1ELb1EmNS0_19identity_decomposerEEEEE10hipError_tT0_T1_T2_jT3_P12ihipStream_tbPNSt15iterator_traitsISE_E10value_typeEPNSK_ISF_E10value_typeEPSG_NS1_7vsmem_tEENKUlT_SE_SF_SG_E_clIS8_S8_S9_S9_EESD_ST_SE_SF_SG_EUlST_E0_NS1_11comp_targetILNS1_3genE10ELNS1_11target_archE1201ELNS1_3gpuE5ELNS1_3repE0EEENS1_38merge_mergepath_config_static_selectorELNS0_4arch9wavefront6targetE1EEEvSF_ ; -- Begin function _ZN7rocprim17ROCPRIM_400000_NS6detail17trampoline_kernelINS0_14default_configENS1_38merge_sort_block_merge_config_selectorImNS0_10empty_typeEEEZZNS1_27merge_sort_block_merge_implIS3_PmPS5_jNS1_19radix_merge_compareILb1ELb1EmNS0_19identity_decomposerEEEEE10hipError_tT0_T1_T2_jT3_P12ihipStream_tbPNSt15iterator_traitsISE_E10value_typeEPNSK_ISF_E10value_typeEPSG_NS1_7vsmem_tEENKUlT_SE_SF_SG_E_clIS8_S8_S9_S9_EESD_ST_SE_SF_SG_EUlST_E0_NS1_11comp_targetILNS1_3genE10ELNS1_11target_archE1201ELNS1_3gpuE5ELNS1_3repE0EEENS1_38merge_mergepath_config_static_selectorELNS0_4arch9wavefront6targetE1EEEvSF_
	.globl	_ZN7rocprim17ROCPRIM_400000_NS6detail17trampoline_kernelINS0_14default_configENS1_38merge_sort_block_merge_config_selectorImNS0_10empty_typeEEEZZNS1_27merge_sort_block_merge_implIS3_PmPS5_jNS1_19radix_merge_compareILb1ELb1EmNS0_19identity_decomposerEEEEE10hipError_tT0_T1_T2_jT3_P12ihipStream_tbPNSt15iterator_traitsISE_E10value_typeEPNSK_ISF_E10value_typeEPSG_NS1_7vsmem_tEENKUlT_SE_SF_SG_E_clIS8_S8_S9_S9_EESD_ST_SE_SF_SG_EUlST_E0_NS1_11comp_targetILNS1_3genE10ELNS1_11target_archE1201ELNS1_3gpuE5ELNS1_3repE0EEENS1_38merge_mergepath_config_static_selectorELNS0_4arch9wavefront6targetE1EEEvSF_
	.p2align	8
	.type	_ZN7rocprim17ROCPRIM_400000_NS6detail17trampoline_kernelINS0_14default_configENS1_38merge_sort_block_merge_config_selectorImNS0_10empty_typeEEEZZNS1_27merge_sort_block_merge_implIS3_PmPS5_jNS1_19radix_merge_compareILb1ELb1EmNS0_19identity_decomposerEEEEE10hipError_tT0_T1_T2_jT3_P12ihipStream_tbPNSt15iterator_traitsISE_E10value_typeEPNSK_ISF_E10value_typeEPSG_NS1_7vsmem_tEENKUlT_SE_SF_SG_E_clIS8_S8_S9_S9_EESD_ST_SE_SF_SG_EUlST_E0_NS1_11comp_targetILNS1_3genE10ELNS1_11target_archE1201ELNS1_3gpuE5ELNS1_3repE0EEENS1_38merge_mergepath_config_static_selectorELNS0_4arch9wavefront6targetE1EEEvSF_,@function
_ZN7rocprim17ROCPRIM_400000_NS6detail17trampoline_kernelINS0_14default_configENS1_38merge_sort_block_merge_config_selectorImNS0_10empty_typeEEEZZNS1_27merge_sort_block_merge_implIS3_PmPS5_jNS1_19radix_merge_compareILb1ELb1EmNS0_19identity_decomposerEEEEE10hipError_tT0_T1_T2_jT3_P12ihipStream_tbPNSt15iterator_traitsISE_E10value_typeEPNSK_ISF_E10value_typeEPSG_NS1_7vsmem_tEENKUlT_SE_SF_SG_E_clIS8_S8_S9_S9_EESD_ST_SE_SF_SG_EUlST_E0_NS1_11comp_targetILNS1_3genE10ELNS1_11target_archE1201ELNS1_3gpuE5ELNS1_3repE0EEENS1_38merge_mergepath_config_static_selectorELNS0_4arch9wavefront6targetE1EEEvSF_: ; @_ZN7rocprim17ROCPRIM_400000_NS6detail17trampoline_kernelINS0_14default_configENS1_38merge_sort_block_merge_config_selectorImNS0_10empty_typeEEEZZNS1_27merge_sort_block_merge_implIS3_PmPS5_jNS1_19radix_merge_compareILb1ELb1EmNS0_19identity_decomposerEEEEE10hipError_tT0_T1_T2_jT3_P12ihipStream_tbPNSt15iterator_traitsISE_E10value_typeEPNSK_ISF_E10value_typeEPSG_NS1_7vsmem_tEENKUlT_SE_SF_SG_E_clIS8_S8_S9_S9_EESD_ST_SE_SF_SG_EUlST_E0_NS1_11comp_targetILNS1_3genE10ELNS1_11target_archE1201ELNS1_3gpuE5ELNS1_3repE0EEENS1_38merge_mergepath_config_static_selectorELNS0_4arch9wavefront6targetE1EEEvSF_
; %bb.0:
	.section	.rodata,"a",@progbits
	.p2align	6, 0x0
	.amdhsa_kernel _ZN7rocprim17ROCPRIM_400000_NS6detail17trampoline_kernelINS0_14default_configENS1_38merge_sort_block_merge_config_selectorImNS0_10empty_typeEEEZZNS1_27merge_sort_block_merge_implIS3_PmPS5_jNS1_19radix_merge_compareILb1ELb1EmNS0_19identity_decomposerEEEEE10hipError_tT0_T1_T2_jT3_P12ihipStream_tbPNSt15iterator_traitsISE_E10value_typeEPNSK_ISF_E10value_typeEPSG_NS1_7vsmem_tEENKUlT_SE_SF_SG_E_clIS8_S8_S9_S9_EESD_ST_SE_SF_SG_EUlST_E0_NS1_11comp_targetILNS1_3genE10ELNS1_11target_archE1201ELNS1_3gpuE5ELNS1_3repE0EEENS1_38merge_mergepath_config_static_selectorELNS0_4arch9wavefront6targetE1EEEvSF_
		.amdhsa_group_segment_fixed_size 0
		.amdhsa_private_segment_fixed_size 0
		.amdhsa_kernarg_size 72
		.amdhsa_user_sgpr_count 6
		.amdhsa_user_sgpr_private_segment_buffer 1
		.amdhsa_user_sgpr_dispatch_ptr 0
		.amdhsa_user_sgpr_queue_ptr 0
		.amdhsa_user_sgpr_kernarg_segment_ptr 1
		.amdhsa_user_sgpr_dispatch_id 0
		.amdhsa_user_sgpr_flat_scratch_init 0
		.amdhsa_user_sgpr_kernarg_preload_length 0
		.amdhsa_user_sgpr_kernarg_preload_offset 0
		.amdhsa_user_sgpr_private_segment_size 0
		.amdhsa_uses_dynamic_stack 0
		.amdhsa_system_sgpr_private_segment_wavefront_offset 0
		.amdhsa_system_sgpr_workgroup_id_x 1
		.amdhsa_system_sgpr_workgroup_id_y 0
		.amdhsa_system_sgpr_workgroup_id_z 0
		.amdhsa_system_sgpr_workgroup_info 0
		.amdhsa_system_vgpr_workitem_id 0
		.amdhsa_next_free_vgpr 1
		.amdhsa_next_free_sgpr 0
		.amdhsa_accum_offset 4
		.amdhsa_reserve_vcc 0
		.amdhsa_reserve_flat_scratch 0
		.amdhsa_float_round_mode_32 0
		.amdhsa_float_round_mode_16_64 0
		.amdhsa_float_denorm_mode_32 3
		.amdhsa_float_denorm_mode_16_64 3
		.amdhsa_dx10_clamp 1
		.amdhsa_ieee_mode 1
		.amdhsa_fp16_overflow 0
		.amdhsa_tg_split 0
		.amdhsa_exception_fp_ieee_invalid_op 0
		.amdhsa_exception_fp_denorm_src 0
		.amdhsa_exception_fp_ieee_div_zero 0
		.amdhsa_exception_fp_ieee_overflow 0
		.amdhsa_exception_fp_ieee_underflow 0
		.amdhsa_exception_fp_ieee_inexact 0
		.amdhsa_exception_int_div_zero 0
	.end_amdhsa_kernel
	.section	.text._ZN7rocprim17ROCPRIM_400000_NS6detail17trampoline_kernelINS0_14default_configENS1_38merge_sort_block_merge_config_selectorImNS0_10empty_typeEEEZZNS1_27merge_sort_block_merge_implIS3_PmPS5_jNS1_19radix_merge_compareILb1ELb1EmNS0_19identity_decomposerEEEEE10hipError_tT0_T1_T2_jT3_P12ihipStream_tbPNSt15iterator_traitsISE_E10value_typeEPNSK_ISF_E10value_typeEPSG_NS1_7vsmem_tEENKUlT_SE_SF_SG_E_clIS8_S8_S9_S9_EESD_ST_SE_SF_SG_EUlST_E0_NS1_11comp_targetILNS1_3genE10ELNS1_11target_archE1201ELNS1_3gpuE5ELNS1_3repE0EEENS1_38merge_mergepath_config_static_selectorELNS0_4arch9wavefront6targetE1EEEvSF_,"axG",@progbits,_ZN7rocprim17ROCPRIM_400000_NS6detail17trampoline_kernelINS0_14default_configENS1_38merge_sort_block_merge_config_selectorImNS0_10empty_typeEEEZZNS1_27merge_sort_block_merge_implIS3_PmPS5_jNS1_19radix_merge_compareILb1ELb1EmNS0_19identity_decomposerEEEEE10hipError_tT0_T1_T2_jT3_P12ihipStream_tbPNSt15iterator_traitsISE_E10value_typeEPNSK_ISF_E10value_typeEPSG_NS1_7vsmem_tEENKUlT_SE_SF_SG_E_clIS8_S8_S9_S9_EESD_ST_SE_SF_SG_EUlST_E0_NS1_11comp_targetILNS1_3genE10ELNS1_11target_archE1201ELNS1_3gpuE5ELNS1_3repE0EEENS1_38merge_mergepath_config_static_selectorELNS0_4arch9wavefront6targetE1EEEvSF_,comdat
.Lfunc_end2258:
	.size	_ZN7rocprim17ROCPRIM_400000_NS6detail17trampoline_kernelINS0_14default_configENS1_38merge_sort_block_merge_config_selectorImNS0_10empty_typeEEEZZNS1_27merge_sort_block_merge_implIS3_PmPS5_jNS1_19radix_merge_compareILb1ELb1EmNS0_19identity_decomposerEEEEE10hipError_tT0_T1_T2_jT3_P12ihipStream_tbPNSt15iterator_traitsISE_E10value_typeEPNSK_ISF_E10value_typeEPSG_NS1_7vsmem_tEENKUlT_SE_SF_SG_E_clIS8_S8_S9_S9_EESD_ST_SE_SF_SG_EUlST_E0_NS1_11comp_targetILNS1_3genE10ELNS1_11target_archE1201ELNS1_3gpuE5ELNS1_3repE0EEENS1_38merge_mergepath_config_static_selectorELNS0_4arch9wavefront6targetE1EEEvSF_, .Lfunc_end2258-_ZN7rocprim17ROCPRIM_400000_NS6detail17trampoline_kernelINS0_14default_configENS1_38merge_sort_block_merge_config_selectorImNS0_10empty_typeEEEZZNS1_27merge_sort_block_merge_implIS3_PmPS5_jNS1_19radix_merge_compareILb1ELb1EmNS0_19identity_decomposerEEEEE10hipError_tT0_T1_T2_jT3_P12ihipStream_tbPNSt15iterator_traitsISE_E10value_typeEPNSK_ISF_E10value_typeEPSG_NS1_7vsmem_tEENKUlT_SE_SF_SG_E_clIS8_S8_S9_S9_EESD_ST_SE_SF_SG_EUlST_E0_NS1_11comp_targetILNS1_3genE10ELNS1_11target_archE1201ELNS1_3gpuE5ELNS1_3repE0EEENS1_38merge_mergepath_config_static_selectorELNS0_4arch9wavefront6targetE1EEEvSF_
                                        ; -- End function
	.section	.AMDGPU.csdata,"",@progbits
; Kernel info:
; codeLenInByte = 0
; NumSgprs: 4
; NumVgprs: 0
; NumAgprs: 0
; TotalNumVgprs: 0
; ScratchSize: 0
; MemoryBound: 0
; FloatMode: 240
; IeeeMode: 1
; LDSByteSize: 0 bytes/workgroup (compile time only)
; SGPRBlocks: 0
; VGPRBlocks: 0
; NumSGPRsForWavesPerEU: 4
; NumVGPRsForWavesPerEU: 1
; AccumOffset: 4
; Occupancy: 8
; WaveLimiterHint : 0
; COMPUTE_PGM_RSRC2:SCRATCH_EN: 0
; COMPUTE_PGM_RSRC2:USER_SGPR: 6
; COMPUTE_PGM_RSRC2:TRAP_HANDLER: 0
; COMPUTE_PGM_RSRC2:TGID_X_EN: 1
; COMPUTE_PGM_RSRC2:TGID_Y_EN: 0
; COMPUTE_PGM_RSRC2:TGID_Z_EN: 0
; COMPUTE_PGM_RSRC2:TIDIG_COMP_CNT: 0
; COMPUTE_PGM_RSRC3_GFX90A:ACCUM_OFFSET: 0
; COMPUTE_PGM_RSRC3_GFX90A:TG_SPLIT: 0
	.section	.text._ZN7rocprim17ROCPRIM_400000_NS6detail17trampoline_kernelINS0_14default_configENS1_38merge_sort_block_merge_config_selectorImNS0_10empty_typeEEEZZNS1_27merge_sort_block_merge_implIS3_PmPS5_jNS1_19radix_merge_compareILb1ELb1EmNS0_19identity_decomposerEEEEE10hipError_tT0_T1_T2_jT3_P12ihipStream_tbPNSt15iterator_traitsISE_E10value_typeEPNSK_ISF_E10value_typeEPSG_NS1_7vsmem_tEENKUlT_SE_SF_SG_E_clIS8_S8_S9_S9_EESD_ST_SE_SF_SG_EUlST_E0_NS1_11comp_targetILNS1_3genE5ELNS1_11target_archE942ELNS1_3gpuE9ELNS1_3repE0EEENS1_38merge_mergepath_config_static_selectorELNS0_4arch9wavefront6targetE1EEEvSF_,"axG",@progbits,_ZN7rocprim17ROCPRIM_400000_NS6detail17trampoline_kernelINS0_14default_configENS1_38merge_sort_block_merge_config_selectorImNS0_10empty_typeEEEZZNS1_27merge_sort_block_merge_implIS3_PmPS5_jNS1_19radix_merge_compareILb1ELb1EmNS0_19identity_decomposerEEEEE10hipError_tT0_T1_T2_jT3_P12ihipStream_tbPNSt15iterator_traitsISE_E10value_typeEPNSK_ISF_E10value_typeEPSG_NS1_7vsmem_tEENKUlT_SE_SF_SG_E_clIS8_S8_S9_S9_EESD_ST_SE_SF_SG_EUlST_E0_NS1_11comp_targetILNS1_3genE5ELNS1_11target_archE942ELNS1_3gpuE9ELNS1_3repE0EEENS1_38merge_mergepath_config_static_selectorELNS0_4arch9wavefront6targetE1EEEvSF_,comdat
	.protected	_ZN7rocprim17ROCPRIM_400000_NS6detail17trampoline_kernelINS0_14default_configENS1_38merge_sort_block_merge_config_selectorImNS0_10empty_typeEEEZZNS1_27merge_sort_block_merge_implIS3_PmPS5_jNS1_19radix_merge_compareILb1ELb1EmNS0_19identity_decomposerEEEEE10hipError_tT0_T1_T2_jT3_P12ihipStream_tbPNSt15iterator_traitsISE_E10value_typeEPNSK_ISF_E10value_typeEPSG_NS1_7vsmem_tEENKUlT_SE_SF_SG_E_clIS8_S8_S9_S9_EESD_ST_SE_SF_SG_EUlST_E0_NS1_11comp_targetILNS1_3genE5ELNS1_11target_archE942ELNS1_3gpuE9ELNS1_3repE0EEENS1_38merge_mergepath_config_static_selectorELNS0_4arch9wavefront6targetE1EEEvSF_ ; -- Begin function _ZN7rocprim17ROCPRIM_400000_NS6detail17trampoline_kernelINS0_14default_configENS1_38merge_sort_block_merge_config_selectorImNS0_10empty_typeEEEZZNS1_27merge_sort_block_merge_implIS3_PmPS5_jNS1_19radix_merge_compareILb1ELb1EmNS0_19identity_decomposerEEEEE10hipError_tT0_T1_T2_jT3_P12ihipStream_tbPNSt15iterator_traitsISE_E10value_typeEPNSK_ISF_E10value_typeEPSG_NS1_7vsmem_tEENKUlT_SE_SF_SG_E_clIS8_S8_S9_S9_EESD_ST_SE_SF_SG_EUlST_E0_NS1_11comp_targetILNS1_3genE5ELNS1_11target_archE942ELNS1_3gpuE9ELNS1_3repE0EEENS1_38merge_mergepath_config_static_selectorELNS0_4arch9wavefront6targetE1EEEvSF_
	.globl	_ZN7rocprim17ROCPRIM_400000_NS6detail17trampoline_kernelINS0_14default_configENS1_38merge_sort_block_merge_config_selectorImNS0_10empty_typeEEEZZNS1_27merge_sort_block_merge_implIS3_PmPS5_jNS1_19radix_merge_compareILb1ELb1EmNS0_19identity_decomposerEEEEE10hipError_tT0_T1_T2_jT3_P12ihipStream_tbPNSt15iterator_traitsISE_E10value_typeEPNSK_ISF_E10value_typeEPSG_NS1_7vsmem_tEENKUlT_SE_SF_SG_E_clIS8_S8_S9_S9_EESD_ST_SE_SF_SG_EUlST_E0_NS1_11comp_targetILNS1_3genE5ELNS1_11target_archE942ELNS1_3gpuE9ELNS1_3repE0EEENS1_38merge_mergepath_config_static_selectorELNS0_4arch9wavefront6targetE1EEEvSF_
	.p2align	8
	.type	_ZN7rocprim17ROCPRIM_400000_NS6detail17trampoline_kernelINS0_14default_configENS1_38merge_sort_block_merge_config_selectorImNS0_10empty_typeEEEZZNS1_27merge_sort_block_merge_implIS3_PmPS5_jNS1_19radix_merge_compareILb1ELb1EmNS0_19identity_decomposerEEEEE10hipError_tT0_T1_T2_jT3_P12ihipStream_tbPNSt15iterator_traitsISE_E10value_typeEPNSK_ISF_E10value_typeEPSG_NS1_7vsmem_tEENKUlT_SE_SF_SG_E_clIS8_S8_S9_S9_EESD_ST_SE_SF_SG_EUlST_E0_NS1_11comp_targetILNS1_3genE5ELNS1_11target_archE942ELNS1_3gpuE9ELNS1_3repE0EEENS1_38merge_mergepath_config_static_selectorELNS0_4arch9wavefront6targetE1EEEvSF_,@function
_ZN7rocprim17ROCPRIM_400000_NS6detail17trampoline_kernelINS0_14default_configENS1_38merge_sort_block_merge_config_selectorImNS0_10empty_typeEEEZZNS1_27merge_sort_block_merge_implIS3_PmPS5_jNS1_19radix_merge_compareILb1ELb1EmNS0_19identity_decomposerEEEEE10hipError_tT0_T1_T2_jT3_P12ihipStream_tbPNSt15iterator_traitsISE_E10value_typeEPNSK_ISF_E10value_typeEPSG_NS1_7vsmem_tEENKUlT_SE_SF_SG_E_clIS8_S8_S9_S9_EESD_ST_SE_SF_SG_EUlST_E0_NS1_11comp_targetILNS1_3genE5ELNS1_11target_archE942ELNS1_3gpuE9ELNS1_3repE0EEENS1_38merge_mergepath_config_static_selectorELNS0_4arch9wavefront6targetE1EEEvSF_: ; @_ZN7rocprim17ROCPRIM_400000_NS6detail17trampoline_kernelINS0_14default_configENS1_38merge_sort_block_merge_config_selectorImNS0_10empty_typeEEEZZNS1_27merge_sort_block_merge_implIS3_PmPS5_jNS1_19radix_merge_compareILb1ELb1EmNS0_19identity_decomposerEEEEE10hipError_tT0_T1_T2_jT3_P12ihipStream_tbPNSt15iterator_traitsISE_E10value_typeEPNSK_ISF_E10value_typeEPSG_NS1_7vsmem_tEENKUlT_SE_SF_SG_E_clIS8_S8_S9_S9_EESD_ST_SE_SF_SG_EUlST_E0_NS1_11comp_targetILNS1_3genE5ELNS1_11target_archE942ELNS1_3gpuE9ELNS1_3repE0EEENS1_38merge_mergepath_config_static_selectorELNS0_4arch9wavefront6targetE1EEEvSF_
; %bb.0:
	.section	.rodata,"a",@progbits
	.p2align	6, 0x0
	.amdhsa_kernel _ZN7rocprim17ROCPRIM_400000_NS6detail17trampoline_kernelINS0_14default_configENS1_38merge_sort_block_merge_config_selectorImNS0_10empty_typeEEEZZNS1_27merge_sort_block_merge_implIS3_PmPS5_jNS1_19radix_merge_compareILb1ELb1EmNS0_19identity_decomposerEEEEE10hipError_tT0_T1_T2_jT3_P12ihipStream_tbPNSt15iterator_traitsISE_E10value_typeEPNSK_ISF_E10value_typeEPSG_NS1_7vsmem_tEENKUlT_SE_SF_SG_E_clIS8_S8_S9_S9_EESD_ST_SE_SF_SG_EUlST_E0_NS1_11comp_targetILNS1_3genE5ELNS1_11target_archE942ELNS1_3gpuE9ELNS1_3repE0EEENS1_38merge_mergepath_config_static_selectorELNS0_4arch9wavefront6targetE1EEEvSF_
		.amdhsa_group_segment_fixed_size 0
		.amdhsa_private_segment_fixed_size 0
		.amdhsa_kernarg_size 72
		.amdhsa_user_sgpr_count 6
		.amdhsa_user_sgpr_private_segment_buffer 1
		.amdhsa_user_sgpr_dispatch_ptr 0
		.amdhsa_user_sgpr_queue_ptr 0
		.amdhsa_user_sgpr_kernarg_segment_ptr 1
		.amdhsa_user_sgpr_dispatch_id 0
		.amdhsa_user_sgpr_flat_scratch_init 0
		.amdhsa_user_sgpr_kernarg_preload_length 0
		.amdhsa_user_sgpr_kernarg_preload_offset 0
		.amdhsa_user_sgpr_private_segment_size 0
		.amdhsa_uses_dynamic_stack 0
		.amdhsa_system_sgpr_private_segment_wavefront_offset 0
		.amdhsa_system_sgpr_workgroup_id_x 1
		.amdhsa_system_sgpr_workgroup_id_y 0
		.amdhsa_system_sgpr_workgroup_id_z 0
		.amdhsa_system_sgpr_workgroup_info 0
		.amdhsa_system_vgpr_workitem_id 0
		.amdhsa_next_free_vgpr 1
		.amdhsa_next_free_sgpr 0
		.amdhsa_accum_offset 4
		.amdhsa_reserve_vcc 0
		.amdhsa_reserve_flat_scratch 0
		.amdhsa_float_round_mode_32 0
		.amdhsa_float_round_mode_16_64 0
		.amdhsa_float_denorm_mode_32 3
		.amdhsa_float_denorm_mode_16_64 3
		.amdhsa_dx10_clamp 1
		.amdhsa_ieee_mode 1
		.amdhsa_fp16_overflow 0
		.amdhsa_tg_split 0
		.amdhsa_exception_fp_ieee_invalid_op 0
		.amdhsa_exception_fp_denorm_src 0
		.amdhsa_exception_fp_ieee_div_zero 0
		.amdhsa_exception_fp_ieee_overflow 0
		.amdhsa_exception_fp_ieee_underflow 0
		.amdhsa_exception_fp_ieee_inexact 0
		.amdhsa_exception_int_div_zero 0
	.end_amdhsa_kernel
	.section	.text._ZN7rocprim17ROCPRIM_400000_NS6detail17trampoline_kernelINS0_14default_configENS1_38merge_sort_block_merge_config_selectorImNS0_10empty_typeEEEZZNS1_27merge_sort_block_merge_implIS3_PmPS5_jNS1_19radix_merge_compareILb1ELb1EmNS0_19identity_decomposerEEEEE10hipError_tT0_T1_T2_jT3_P12ihipStream_tbPNSt15iterator_traitsISE_E10value_typeEPNSK_ISF_E10value_typeEPSG_NS1_7vsmem_tEENKUlT_SE_SF_SG_E_clIS8_S8_S9_S9_EESD_ST_SE_SF_SG_EUlST_E0_NS1_11comp_targetILNS1_3genE5ELNS1_11target_archE942ELNS1_3gpuE9ELNS1_3repE0EEENS1_38merge_mergepath_config_static_selectorELNS0_4arch9wavefront6targetE1EEEvSF_,"axG",@progbits,_ZN7rocprim17ROCPRIM_400000_NS6detail17trampoline_kernelINS0_14default_configENS1_38merge_sort_block_merge_config_selectorImNS0_10empty_typeEEEZZNS1_27merge_sort_block_merge_implIS3_PmPS5_jNS1_19radix_merge_compareILb1ELb1EmNS0_19identity_decomposerEEEEE10hipError_tT0_T1_T2_jT3_P12ihipStream_tbPNSt15iterator_traitsISE_E10value_typeEPNSK_ISF_E10value_typeEPSG_NS1_7vsmem_tEENKUlT_SE_SF_SG_E_clIS8_S8_S9_S9_EESD_ST_SE_SF_SG_EUlST_E0_NS1_11comp_targetILNS1_3genE5ELNS1_11target_archE942ELNS1_3gpuE9ELNS1_3repE0EEENS1_38merge_mergepath_config_static_selectorELNS0_4arch9wavefront6targetE1EEEvSF_,comdat
.Lfunc_end2259:
	.size	_ZN7rocprim17ROCPRIM_400000_NS6detail17trampoline_kernelINS0_14default_configENS1_38merge_sort_block_merge_config_selectorImNS0_10empty_typeEEEZZNS1_27merge_sort_block_merge_implIS3_PmPS5_jNS1_19radix_merge_compareILb1ELb1EmNS0_19identity_decomposerEEEEE10hipError_tT0_T1_T2_jT3_P12ihipStream_tbPNSt15iterator_traitsISE_E10value_typeEPNSK_ISF_E10value_typeEPSG_NS1_7vsmem_tEENKUlT_SE_SF_SG_E_clIS8_S8_S9_S9_EESD_ST_SE_SF_SG_EUlST_E0_NS1_11comp_targetILNS1_3genE5ELNS1_11target_archE942ELNS1_3gpuE9ELNS1_3repE0EEENS1_38merge_mergepath_config_static_selectorELNS0_4arch9wavefront6targetE1EEEvSF_, .Lfunc_end2259-_ZN7rocprim17ROCPRIM_400000_NS6detail17trampoline_kernelINS0_14default_configENS1_38merge_sort_block_merge_config_selectorImNS0_10empty_typeEEEZZNS1_27merge_sort_block_merge_implIS3_PmPS5_jNS1_19radix_merge_compareILb1ELb1EmNS0_19identity_decomposerEEEEE10hipError_tT0_T1_T2_jT3_P12ihipStream_tbPNSt15iterator_traitsISE_E10value_typeEPNSK_ISF_E10value_typeEPSG_NS1_7vsmem_tEENKUlT_SE_SF_SG_E_clIS8_S8_S9_S9_EESD_ST_SE_SF_SG_EUlST_E0_NS1_11comp_targetILNS1_3genE5ELNS1_11target_archE942ELNS1_3gpuE9ELNS1_3repE0EEENS1_38merge_mergepath_config_static_selectorELNS0_4arch9wavefront6targetE1EEEvSF_
                                        ; -- End function
	.section	.AMDGPU.csdata,"",@progbits
; Kernel info:
; codeLenInByte = 0
; NumSgprs: 4
; NumVgprs: 0
; NumAgprs: 0
; TotalNumVgprs: 0
; ScratchSize: 0
; MemoryBound: 0
; FloatMode: 240
; IeeeMode: 1
; LDSByteSize: 0 bytes/workgroup (compile time only)
; SGPRBlocks: 0
; VGPRBlocks: 0
; NumSGPRsForWavesPerEU: 4
; NumVGPRsForWavesPerEU: 1
; AccumOffset: 4
; Occupancy: 8
; WaveLimiterHint : 0
; COMPUTE_PGM_RSRC2:SCRATCH_EN: 0
; COMPUTE_PGM_RSRC2:USER_SGPR: 6
; COMPUTE_PGM_RSRC2:TRAP_HANDLER: 0
; COMPUTE_PGM_RSRC2:TGID_X_EN: 1
; COMPUTE_PGM_RSRC2:TGID_Y_EN: 0
; COMPUTE_PGM_RSRC2:TGID_Z_EN: 0
; COMPUTE_PGM_RSRC2:TIDIG_COMP_CNT: 0
; COMPUTE_PGM_RSRC3_GFX90A:ACCUM_OFFSET: 0
; COMPUTE_PGM_RSRC3_GFX90A:TG_SPLIT: 0
	.section	.text._ZN7rocprim17ROCPRIM_400000_NS6detail17trampoline_kernelINS0_14default_configENS1_38merge_sort_block_merge_config_selectorImNS0_10empty_typeEEEZZNS1_27merge_sort_block_merge_implIS3_PmPS5_jNS1_19radix_merge_compareILb1ELb1EmNS0_19identity_decomposerEEEEE10hipError_tT0_T1_T2_jT3_P12ihipStream_tbPNSt15iterator_traitsISE_E10value_typeEPNSK_ISF_E10value_typeEPSG_NS1_7vsmem_tEENKUlT_SE_SF_SG_E_clIS8_S8_S9_S9_EESD_ST_SE_SF_SG_EUlST_E0_NS1_11comp_targetILNS1_3genE4ELNS1_11target_archE910ELNS1_3gpuE8ELNS1_3repE0EEENS1_38merge_mergepath_config_static_selectorELNS0_4arch9wavefront6targetE1EEEvSF_,"axG",@progbits,_ZN7rocprim17ROCPRIM_400000_NS6detail17trampoline_kernelINS0_14default_configENS1_38merge_sort_block_merge_config_selectorImNS0_10empty_typeEEEZZNS1_27merge_sort_block_merge_implIS3_PmPS5_jNS1_19radix_merge_compareILb1ELb1EmNS0_19identity_decomposerEEEEE10hipError_tT0_T1_T2_jT3_P12ihipStream_tbPNSt15iterator_traitsISE_E10value_typeEPNSK_ISF_E10value_typeEPSG_NS1_7vsmem_tEENKUlT_SE_SF_SG_E_clIS8_S8_S9_S9_EESD_ST_SE_SF_SG_EUlST_E0_NS1_11comp_targetILNS1_3genE4ELNS1_11target_archE910ELNS1_3gpuE8ELNS1_3repE0EEENS1_38merge_mergepath_config_static_selectorELNS0_4arch9wavefront6targetE1EEEvSF_,comdat
	.protected	_ZN7rocprim17ROCPRIM_400000_NS6detail17trampoline_kernelINS0_14default_configENS1_38merge_sort_block_merge_config_selectorImNS0_10empty_typeEEEZZNS1_27merge_sort_block_merge_implIS3_PmPS5_jNS1_19radix_merge_compareILb1ELb1EmNS0_19identity_decomposerEEEEE10hipError_tT0_T1_T2_jT3_P12ihipStream_tbPNSt15iterator_traitsISE_E10value_typeEPNSK_ISF_E10value_typeEPSG_NS1_7vsmem_tEENKUlT_SE_SF_SG_E_clIS8_S8_S9_S9_EESD_ST_SE_SF_SG_EUlST_E0_NS1_11comp_targetILNS1_3genE4ELNS1_11target_archE910ELNS1_3gpuE8ELNS1_3repE0EEENS1_38merge_mergepath_config_static_selectorELNS0_4arch9wavefront6targetE1EEEvSF_ ; -- Begin function _ZN7rocprim17ROCPRIM_400000_NS6detail17trampoline_kernelINS0_14default_configENS1_38merge_sort_block_merge_config_selectorImNS0_10empty_typeEEEZZNS1_27merge_sort_block_merge_implIS3_PmPS5_jNS1_19radix_merge_compareILb1ELb1EmNS0_19identity_decomposerEEEEE10hipError_tT0_T1_T2_jT3_P12ihipStream_tbPNSt15iterator_traitsISE_E10value_typeEPNSK_ISF_E10value_typeEPSG_NS1_7vsmem_tEENKUlT_SE_SF_SG_E_clIS8_S8_S9_S9_EESD_ST_SE_SF_SG_EUlST_E0_NS1_11comp_targetILNS1_3genE4ELNS1_11target_archE910ELNS1_3gpuE8ELNS1_3repE0EEENS1_38merge_mergepath_config_static_selectorELNS0_4arch9wavefront6targetE1EEEvSF_
	.globl	_ZN7rocprim17ROCPRIM_400000_NS6detail17trampoline_kernelINS0_14default_configENS1_38merge_sort_block_merge_config_selectorImNS0_10empty_typeEEEZZNS1_27merge_sort_block_merge_implIS3_PmPS5_jNS1_19radix_merge_compareILb1ELb1EmNS0_19identity_decomposerEEEEE10hipError_tT0_T1_T2_jT3_P12ihipStream_tbPNSt15iterator_traitsISE_E10value_typeEPNSK_ISF_E10value_typeEPSG_NS1_7vsmem_tEENKUlT_SE_SF_SG_E_clIS8_S8_S9_S9_EESD_ST_SE_SF_SG_EUlST_E0_NS1_11comp_targetILNS1_3genE4ELNS1_11target_archE910ELNS1_3gpuE8ELNS1_3repE0EEENS1_38merge_mergepath_config_static_selectorELNS0_4arch9wavefront6targetE1EEEvSF_
	.p2align	8
	.type	_ZN7rocprim17ROCPRIM_400000_NS6detail17trampoline_kernelINS0_14default_configENS1_38merge_sort_block_merge_config_selectorImNS0_10empty_typeEEEZZNS1_27merge_sort_block_merge_implIS3_PmPS5_jNS1_19radix_merge_compareILb1ELb1EmNS0_19identity_decomposerEEEEE10hipError_tT0_T1_T2_jT3_P12ihipStream_tbPNSt15iterator_traitsISE_E10value_typeEPNSK_ISF_E10value_typeEPSG_NS1_7vsmem_tEENKUlT_SE_SF_SG_E_clIS8_S8_S9_S9_EESD_ST_SE_SF_SG_EUlST_E0_NS1_11comp_targetILNS1_3genE4ELNS1_11target_archE910ELNS1_3gpuE8ELNS1_3repE0EEENS1_38merge_mergepath_config_static_selectorELNS0_4arch9wavefront6targetE1EEEvSF_,@function
_ZN7rocprim17ROCPRIM_400000_NS6detail17trampoline_kernelINS0_14default_configENS1_38merge_sort_block_merge_config_selectorImNS0_10empty_typeEEEZZNS1_27merge_sort_block_merge_implIS3_PmPS5_jNS1_19radix_merge_compareILb1ELb1EmNS0_19identity_decomposerEEEEE10hipError_tT0_T1_T2_jT3_P12ihipStream_tbPNSt15iterator_traitsISE_E10value_typeEPNSK_ISF_E10value_typeEPSG_NS1_7vsmem_tEENKUlT_SE_SF_SG_E_clIS8_S8_S9_S9_EESD_ST_SE_SF_SG_EUlST_E0_NS1_11comp_targetILNS1_3genE4ELNS1_11target_archE910ELNS1_3gpuE8ELNS1_3repE0EEENS1_38merge_mergepath_config_static_selectorELNS0_4arch9wavefront6targetE1EEEvSF_: ; @_ZN7rocprim17ROCPRIM_400000_NS6detail17trampoline_kernelINS0_14default_configENS1_38merge_sort_block_merge_config_selectorImNS0_10empty_typeEEEZZNS1_27merge_sort_block_merge_implIS3_PmPS5_jNS1_19radix_merge_compareILb1ELb1EmNS0_19identity_decomposerEEEEE10hipError_tT0_T1_T2_jT3_P12ihipStream_tbPNSt15iterator_traitsISE_E10value_typeEPNSK_ISF_E10value_typeEPSG_NS1_7vsmem_tEENKUlT_SE_SF_SG_E_clIS8_S8_S9_S9_EESD_ST_SE_SF_SG_EUlST_E0_NS1_11comp_targetILNS1_3genE4ELNS1_11target_archE910ELNS1_3gpuE8ELNS1_3repE0EEENS1_38merge_mergepath_config_static_selectorELNS0_4arch9wavefront6targetE1EEEvSF_
; %bb.0:
	s_load_dwordx2 s[14:15], s[4:5], 0x48
	s_load_dword s3, s[4:5], 0x30
	s_add_u32 s0, s4, 0x48
	s_addc_u32 s1, s5, 0
	s_waitcnt lgkmcnt(0)
	s_mul_i32 s2, s15, s8
	s_add_i32 s2, s2, s7
	s_mul_i32 s2, s2, s14
	s_add_i32 s2, s2, s6
	s_cmp_ge_u32 s2, s3
	s_cbranch_scc1 .LBB2260_31
; %bb.1:
	s_load_dwordx2 s[8:9], s[4:5], 0x28
	s_load_dwordx2 s[10:11], s[4:5], 0x40
	;; [unrolled: 1-line block ×3, first 2 shown]
	s_mov_b32 s3, 0
	s_mov_b32 s25, s3
	s_waitcnt lgkmcnt(0)
	s_lshr_b32 s7, s8, 10
	s_cmp_lg_u32 s2, s7
	s_cselect_b64 s[12:13], -1, 0
	s_lshl_b64 s[16:17], s[2:3], 2
	s_add_u32 s10, s10, s16
	s_addc_u32 s11, s11, s17
	s_load_dwordx2 s[18:19], s[10:11], 0x0
	s_lshr_b32 s10, s9, 9
	s_and_b32 s10, s10, 0x7ffffe
	s_sub_i32 s11, 0, s10
	s_and_b32 s15, s2, s11
	s_lshl_b32 s16, s15, 10
	s_lshl_b32 s10, s2, 10
	;; [unrolled: 1-line block ×3, first 2 shown]
	s_sub_i32 s17, s10, s16
	s_add_i32 s15, s15, s9
	s_add_i32 s17, s15, s17
	s_waitcnt lgkmcnt(0)
	s_sub_i32 s20, s17, s18
	s_sub_i32 s17, s17, s19
	;; [unrolled: 1-line block ×3, first 2 shown]
	s_min_u32 s24, s8, s20
	s_addk_i32 s17, 0x400
	s_or_b32 s11, s2, s11
	s_min_u32 s16, s8, s15
	s_add_i32 s15, s15, s9
	s_cmp_eq_u32 s11, -1
	s_cselect_b32 s9, s15, s17
	s_cselect_b32 s11, s16, s19
	s_min_u32 s15, s9, s8
	s_mov_b32 s19, s3
	s_sub_i32 s9, s11, s18
	s_sub_i32 s16, s15, s24
	s_lshl_b64 s[20:21], s[18:19], 3
	s_add_u32 s19, s22, s20
	s_addc_u32 s20, s23, s21
	s_lshl_b64 s[24:25], s[24:25], 3
	s_add_u32 s17, s22, s24
	s_addc_u32 s18, s23, s25
	s_cmp_lt_u32 s6, s14
	v_mov_b32_e32 v9, 0
	s_cselect_b32 s3, 12, 18
	global_load_dword v1, v9, s[0:1] offset:14
	s_add_u32 s0, s0, s3
	s_addc_u32 s1, s1, 0
	global_load_ushort v2, v9, s[0:1]
	s_cmp_eq_u32 s2, s7
	s_waitcnt vmcnt(1)
	v_lshrrev_b32_e32 v3, 16, v1
	v_and_b32_e32 v1, 0xffff, v1
	v_mul_lo_u32 v1, v1, v3
	s_waitcnt vmcnt(0)
	v_mul_lo_u32 v14, v1, v2
	v_add_u32_e32 v12, v14, v0
	v_lshlrev_b32_e32 v1, 3, v0
	v_add_u32_e32 v10, v12, v14
	s_cbranch_scc1 .LBB2260_3
; %bb.2:
	v_mov_b32_e32 v2, s20
	v_add_co_u32_e32 v4, vcc, s19, v1
	v_subrev_u32_e32 v8, s9, v0
	v_addc_co_u32_e32 v5, vcc, 0, v2, vcc
	v_lshlrev_b64 v[2:3], 3, v[8:9]
	v_mov_b32_e32 v6, s18
	v_add_co_u32_e32 v2, vcc, s17, v2
	v_addc_co_u32_e32 v3, vcc, v6, v3, vcc
	v_cmp_gt_u32_e32 vcc, s9, v0
	v_mov_b32_e32 v13, v9
	v_cndmask_b32_e32 v3, v3, v5, vcc
	v_cndmask_b32_e32 v2, v2, v4, vcc
	v_lshlrev_b64 v[4:5], 3, v[12:13]
	v_mov_b32_e32 v6, s20
	v_add_co_u32_e32 v7, vcc, s19, v4
	v_subrev_u32_e32 v8, s9, v12
	v_addc_co_u32_e32 v6, vcc, v6, v5, vcc
	v_lshlrev_b64 v[4:5], 3, v[8:9]
	v_mov_b32_e32 v8, s18
	v_add_co_u32_e32 v4, vcc, s17, v4
	v_addc_co_u32_e32 v5, vcc, v8, v5, vcc
	v_cmp_gt_u32_e32 vcc, s9, v12
	v_mov_b32_e32 v11, v9
	v_cndmask_b32_e32 v5, v5, v6, vcc
	v_cndmask_b32_e32 v4, v4, v7, vcc
	v_lshlrev_b64 v[6:7], 3, v[10:11]
	v_mov_b32_e32 v8, s20
	v_add_co_u32_e32 v11, vcc, s19, v6
	v_addc_co_u32_e32 v13, vcc, v8, v7, vcc
	v_subrev_u32_e32 v8, s9, v10
	v_lshlrev_b64 v[6:7], 3, v[8:9]
	v_mov_b32_e32 v8, s18
	v_add_co_u32_e32 v6, vcc, s17, v6
	v_addc_co_u32_e32 v7, vcc, v8, v7, vcc
	v_add_u32_e32 v8, v10, v14
	v_cmp_gt_u32_e32 vcc, s9, v10
	v_lshlrev_b64 v[16:17], 3, v[8:9]
	v_cndmask_b32_e32 v7, v7, v13, vcc
	v_cndmask_b32_e32 v6, v6, v11, vcc
	v_mov_b32_e32 v11, s20
	v_add_co_u32_e32 v13, vcc, s19, v16
	v_addc_co_u32_e32 v11, vcc, v11, v17, vcc
	v_cmp_gt_u32_e32 vcc, s9, v8
	v_subrev_u32_e32 v8, s9, v8
	v_lshlrev_b64 v[8:9], 3, v[8:9]
	v_mov_b32_e32 v15, s18
	v_add_co_u32_e64 v8, s[0:1], s17, v8
	v_addc_co_u32_e64 v9, s[0:1], v15, v9, s[0:1]
	v_cndmask_b32_e32 v9, v9, v11, vcc
	v_cndmask_b32_e32 v8, v8, v13, vcc
	global_load_dwordx2 v[2:3], v[2:3], off
	s_add_i32 s11, s16, s9
	global_load_dwordx2 v[4:5], v[4:5], off
	s_nop 0
	global_load_dwordx2 v[6:7], v[6:7], off
	s_nop 0
	global_load_dwordx2 v[8:9], v[8:9], off
	s_load_dwordx2 s[6:7], s[4:5], 0x10
	s_load_dwordx2 s[14:15], s[4:5], 0x38
	s_cbranch_execz .LBB2260_4
	s_branch .LBB2260_11
.LBB2260_3:
                                        ; implicit-def: $vgpr2_vgpr3_vgpr4_vgpr5_vgpr6_vgpr7_vgpr8_vgpr9
                                        ; implicit-def: $sgpr11
	s_load_dwordx2 s[6:7], s[4:5], 0x10
	s_load_dwordx2 s[14:15], s[4:5], 0x38
.LBB2260_4:
	s_add_i32 s11, s16, s9
	v_cmp_gt_u32_e32 vcc, s11, v0
                                        ; implicit-def: $vgpr2_vgpr3_vgpr4_vgpr5_vgpr6_vgpr7_vgpr8_vgpr9
	s_and_saveexec_b64 s[0:1], vcc
	s_cbranch_execnz .LBB2260_32
; %bb.5:
	s_or_b64 exec, exec, s[0:1]
	v_cmp_gt_u32_e32 vcc, s11, v12
	s_and_saveexec_b64 s[2:3], vcc
	s_cbranch_execnz .LBB2260_33
.LBB2260_6:
	s_or_b64 exec, exec, s[2:3]
	v_cmp_gt_u32_e32 vcc, s11, v10
	s_and_saveexec_b64 s[0:1], vcc
	s_cbranch_execz .LBB2260_8
.LBB2260_7:
	v_mov_b32_e32 v11, 0
	s_waitcnt vmcnt(1)
	v_lshlrev_b64 v[6:7], 3, v[10:11]
	v_mov_b32_e32 v12, s20
	v_add_co_u32_e32 v13, vcc, s19, v6
	v_addc_co_u32_e32 v12, vcc, v12, v7, vcc
	v_subrev_u32_e32 v6, s9, v10
	v_mov_b32_e32 v7, v11
	v_lshlrev_b64 v[6:7], 3, v[6:7]
	v_mov_b32_e32 v11, s18
	v_add_co_u32_e32 v6, vcc, s17, v6
	v_addc_co_u32_e32 v7, vcc, v11, v7, vcc
	v_cmp_gt_u32_e32 vcc, s9, v10
	v_cndmask_b32_e32 v7, v7, v12, vcc
	v_cndmask_b32_e32 v6, v6, v13, vcc
	global_load_dwordx2 v[6:7], v[6:7], off
.LBB2260_8:
	s_or_b64 exec, exec, s[0:1]
	v_add_u32_e32 v10, v10, v14
	v_cmp_gt_u32_e32 vcc, s11, v10
	s_and_saveexec_b64 s[2:3], vcc
	s_cbranch_execz .LBB2260_10
; %bb.9:
	v_mov_b32_e32 v11, 0
	s_waitcnt vmcnt(0)
	v_lshlrev_b64 v[8:9], 3, v[10:11]
	v_mov_b32_e32 v12, s20
	v_add_co_u32_e32 v13, vcc, s19, v8
	v_addc_co_u32_e32 v12, vcc, v12, v9, vcc
	v_cmp_gt_u32_e32 vcc, s9, v10
	v_subrev_u32_e32 v10, s9, v10
	v_lshlrev_b64 v[8:9], 3, v[10:11]
	v_mov_b32_e32 v10, s18
	v_add_co_u32_e64 v8, s[0:1], s17, v8
	v_addc_co_u32_e64 v9, s[0:1], v10, v9, s[0:1]
	v_cndmask_b32_e32 v9, v9, v12, vcc
	v_cndmask_b32_e32 v8, v8, v13, vcc
	global_load_dwordx2 v[8:9], v[8:9], off
.LBB2260_10:
	s_or_b64 exec, exec, s[2:3]
.LBB2260_11:
	v_lshlrev_b32_e32 v10, 2, v0
	v_min_u32_e32 v12, s11, v10
	v_sub_u32_e64 v11, v12, s16 clamp
	v_min_u32_e32 v13, s9, v12
	v_cmp_lt_u32_e32 vcc, v11, v13
	s_waitcnt vmcnt(0)
	ds_write2st64_b64 v1, v[2:3], v[4:5] offset1:4
	ds_write2st64_b64 v1, v[6:7], v[8:9] offset0:8 offset1:12
	s_waitcnt lgkmcnt(0)
	s_barrier
	s_and_saveexec_b64 s[0:1], vcc
	s_cbranch_execz .LBB2260_15
; %bb.12:
	v_lshlrev_b32_e32 v14, 3, v12
	v_lshl_add_u32 v14, s9, 3, v14
	s_mov_b64 s[2:3], 0
.LBB2260_13:                            ; =>This Inner Loop Header: Depth=1
	v_add_u32_e32 v15, v13, v11
	v_lshrrev_b32_e32 v15, 1, v15
	v_not_b32_e32 v18, v15
	v_lshlrev_b32_e32 v16, 3, v15
	v_lshl_add_u32 v18, v18, 3, v14
	ds_read_b64 v[16:17], v16
	ds_read_b64 v[18:19], v18
	v_add_u32_e32 v20, 1, v15
	s_waitcnt lgkmcnt(1)
	v_and_b32_e32 v17, s15, v17
	v_and_b32_e32 v16, s14, v16
	s_waitcnt lgkmcnt(0)
	v_and_b32_e32 v19, s15, v19
	v_and_b32_e32 v18, s14, v18
	v_cmp_gt_u64_e32 vcc, v[18:19], v[16:17]
	v_cndmask_b32_e32 v13, v13, v15, vcc
	v_cndmask_b32_e32 v11, v20, v11, vcc
	v_cmp_ge_u32_e32 vcc, v11, v13
	s_or_b64 s[2:3], vcc, s[2:3]
	s_andn2_b64 exec, exec, s[2:3]
	s_cbranch_execnz .LBB2260_13
; %bb.14:
	s_or_b64 exec, exec, s[2:3]
.LBB2260_15:
	s_or_b64 exec, exec, s[0:1]
	v_sub_u32_e32 v12, v12, v11
	v_add_u32_e32 v12, s9, v12
	v_cmp_ge_u32_e32 vcc, s9, v11
	v_cmp_ge_u32_e64 s[0:1], s11, v12
	s_or_b64 s[0:1], vcc, s[0:1]
	s_and_saveexec_b64 s[16:17], s[0:1]
	s_cbranch_execz .LBB2260_21
; %bb.16:
	v_cmp_gt_u32_e32 vcc, s9, v11
                                        ; implicit-def: $vgpr2_vgpr3
	s_and_saveexec_b64 s[0:1], vcc
	s_cbranch_execz .LBB2260_18
; %bb.17:
	v_lshlrev_b32_e32 v2, 3, v11
	ds_read_b64 v[2:3], v2
.LBB2260_18:
	s_or_b64 exec, exec, s[0:1]
	v_cmp_le_u32_e64 s[0:1], s11, v12
	v_cmp_gt_u32_e64 s[2:3], s11, v12
                                        ; implicit-def: $vgpr4_vgpr5
	s_and_saveexec_b64 s[4:5], s[2:3]
	s_cbranch_execz .LBB2260_20
; %bb.19:
	v_lshlrev_b32_e32 v4, 3, v12
	ds_read_b64 v[4:5], v4
.LBB2260_20:
	s_or_b64 exec, exec, s[4:5]
	s_waitcnt lgkmcnt(0)
	v_and_b32_e32 v7, s15, v5
	v_and_b32_e32 v6, s14, v4
	;; [unrolled: 1-line block ×4, first 2 shown]
	v_cmp_le_u64_e64 s[2:3], v[6:7], v[8:9]
	s_and_b64 s[2:3], vcc, s[2:3]
	s_or_b64 vcc, s[0:1], s[2:3]
	v_mov_b32_e32 v13, s11
	v_mov_b32_e32 v14, s9
	v_cndmask_b32_e32 v6, v12, v11, vcc
	v_cndmask_b32_e32 v7, v13, v14, vcc
	v_add_u32_e32 v8, 1, v6
	v_add_u32_e32 v6, -1, v7
	v_min_u32_e32 v6, v8, v6
	v_lshlrev_b32_e32 v6, 3, v6
	ds_read_b64 v[6:7], v6
	v_cndmask_b32_e32 v12, v8, v12, vcc
	v_cndmask_b32_e32 v11, v11, v8, vcc
	v_cmp_gt_u32_e64 s[2:3], s9, v11
	v_cmp_le_u32_e64 s[0:1], s11, v12
	s_waitcnt lgkmcnt(0)
	v_cndmask_b32_e32 v15, v7, v5, vcc
	v_cndmask_b32_e32 v16, v6, v4, vcc
	;; [unrolled: 1-line block ×4, first 2 shown]
	v_and_b32_e32 v7, s15, v15
	v_and_b32_e32 v6, s14, v16
	;; [unrolled: 1-line block ×4, first 2 shown]
	v_cmp_le_u64_e64 s[4:5], v[6:7], v[8:9]
	s_and_b64 s[2:3], s[2:3], s[4:5]
	s_or_b64 s[0:1], s[0:1], s[2:3]
	v_cndmask_b32_e64 v6, v12, v11, s[0:1]
	v_cndmask_b32_e64 v7, v13, v14, s[0:1]
	v_add_u32_e32 v8, 1, v6
	v_add_u32_e32 v6, -1, v7
	v_min_u32_e32 v6, v8, v6
	v_lshlrev_b32_e32 v6, 3, v6
	ds_read_b64 v[6:7], v6
	v_cndmask_b32_e32 v3, v5, v3, vcc
	v_cndmask_b32_e32 v2, v4, v2, vcc
	v_cndmask_b32_e64 v11, v11, v8, s[0:1]
	v_cndmask_b32_e64 v12, v8, v12, s[0:1]
	s_waitcnt lgkmcnt(0)
	v_cndmask_b32_e64 v19, v7, v15, s[0:1]
	v_cndmask_b32_e64 v20, v6, v16, s[0:1]
	;; [unrolled: 1-line block ×4, first 2 shown]
	v_and_b32_e32 v5, s15, v19
	v_and_b32_e32 v4, s14, v20
	;; [unrolled: 1-line block ×4, first 2 shown]
	v_cmp_gt_u32_e64 s[2:3], s9, v11
	v_cmp_le_u64_e64 s[4:5], v[4:5], v[6:7]
	v_cmp_le_u32_e32 vcc, s11, v12
	s_and_b64 s[2:3], s[2:3], s[4:5]
	s_or_b64 vcc, vcc, s[2:3]
	v_cndmask_b32_e32 v4, v12, v11, vcc
	v_cndmask_b32_e32 v5, v13, v14, vcc
	v_add_u32_e32 v13, 1, v4
	v_add_u32_e32 v4, -1, v5
	v_min_u32_e32 v4, v13, v4
	v_lshlrev_b32_e32 v4, 3, v4
	ds_read_b64 v[8:9], v4
	v_cndmask_b32_e64 v5, v15, v17, s[0:1]
	v_cndmask_b32_e64 v4, v16, v18, s[0:1]
	v_cndmask_b32_e32 v7, v19, v21, vcc
	v_cndmask_b32_e32 v6, v20, v22, vcc
	s_waitcnt lgkmcnt(0)
	v_cndmask_b32_e32 v14, v9, v19, vcc
	v_cndmask_b32_e32 v15, v8, v20, vcc
	;; [unrolled: 1-line block ×6, first 2 shown]
	v_cmp_le_u32_e32 vcc, s11, v8
	v_cmp_gt_u32_e64 s[0:1], s9, v9
	v_and_b32_e32 v9, s15, v14
	v_and_b32_e32 v8, s14, v15
	;; [unrolled: 1-line block ×4, first 2 shown]
	v_cmp_le_u64_e64 s[2:3], v[8:9], v[12:13]
	s_and_b64 s[0:1], s[0:1], s[2:3]
	s_or_b64 vcc, vcc, s[0:1]
	v_cndmask_b32_e32 v9, v14, v16, vcc
	v_cndmask_b32_e32 v8, v15, v17, vcc
.LBB2260_21:
	s_or_b64 exec, exec, s[16:17]
	v_and_b32_e32 v11, 0xf8, v0
	v_lshl_add_u32 v10, v10, 3, v11
	s_barrier
	s_barrier
	ds_write2_b64 v10, v[2:3], v[4:5] offset1:1
	ds_write2_b64 v10, v[6:7], v[8:9] offset0:2 offset1:3
	v_lshrrev_b32_e32 v2, 2, v0
	v_and_b32_e32 v2, 56, v2
	v_or_b32_e32 v12, 0x100, v0
	v_add_u32_e32 v13, v1, v2
	v_lshrrev_b32_e32 v2, 2, v12
	v_and_b32_e32 v2, 0x78, v2
	v_or_b32_e32 v11, 0x200, v0
	s_mov_b32 s11, 0
	v_add_u32_e32 v6, v1, v2
	v_lshrrev_b32_e32 v2, 2, v11
	s_lshl_b64 s[0:1], s[10:11], 3
	v_and_b32_e32 v2, 0xb8, v2
	v_or_b32_e32 v10, 0x300, v0
	s_add_u32 s0, s6, s0
	v_add_u32_e32 v7, v1, v2
	v_lshrrev_b32_e32 v2, 2, v10
	s_addc_u32 s1, s7, s1
	v_and_b32_e32 v2, 0xf8, v2
	v_add_u32_e32 v14, v1, v2
	v_mov_b32_e32 v3, s1
	v_add_co_u32_e32 v2, vcc, s0, v1
	v_addc_co_u32_e32 v3, vcc, 0, v3, vcc
	s_and_b64 vcc, exec, s[12:13]
	s_waitcnt lgkmcnt(0)
	s_cbranch_vccz .LBB2260_23
; %bb.22:
	s_barrier
	ds_read_b64 v[8:9], v13
	ds_read_b64 v[16:17], v6 offset:2048
	ds_read_b64 v[18:19], v7 offset:4096
	;; [unrolled: 1-line block ×3, first 2 shown]
	s_waitcnt lgkmcnt(3)
	global_store_dwordx2 v[2:3], v[8:9], off
	s_waitcnt lgkmcnt(2)
	global_store_dwordx2 v[2:3], v[16:17], off offset:2048
	v_add_co_u32_e32 v8, vcc, 0x1000, v2
	v_addc_co_u32_e32 v9, vcc, 0, v3, vcc
	s_waitcnt lgkmcnt(1)
	global_store_dwordx2 v[8:9], v[18:19], off
	s_mov_b64 s[0:1], -1
	s_cbranch_execz .LBB2260_24
	s_branch .LBB2260_29
.LBB2260_23:
	s_mov_b64 s[0:1], 0
                                        ; implicit-def: $vgpr4_vgpr5
.LBB2260_24:
	s_barrier
	s_waitcnt lgkmcnt(0)
	ds_read_b64 v[8:9], v6 offset:2048
	ds_read_b64 v[6:7], v7 offset:4096
	;; [unrolled: 1-line block ×3, first 2 shown]
	s_sub_i32 s2, s8, s10
	v_cmp_gt_u32_e32 vcc, s2, v0
	s_and_saveexec_b64 s[0:1], vcc
	s_cbranch_execnz .LBB2260_34
; %bb.25:
	s_or_b64 exec, exec, s[0:1]
	v_cmp_gt_u32_e32 vcc, s2, v12
	s_and_saveexec_b64 s[0:1], vcc
	s_cbranch_execnz .LBB2260_35
.LBB2260_26:
	s_or_b64 exec, exec, s[0:1]
	v_cmp_gt_u32_e32 vcc, s2, v11
	s_and_saveexec_b64 s[0:1], vcc
	s_cbranch_execz .LBB2260_28
.LBB2260_27:
	v_add_co_u32_e32 v0, vcc, 0x1000, v2
	v_addc_co_u32_e32 v1, vcc, 0, v3, vcc
	s_waitcnt lgkmcnt(1)
	global_store_dwordx2 v[0:1], v[6:7], off
.LBB2260_28:
	s_or_b64 exec, exec, s[0:1]
	v_cmp_gt_u32_e64 s[0:1], s2, v10
.LBB2260_29:
	s_and_saveexec_b64 s[2:3], s[0:1]
	s_cbranch_execz .LBB2260_31
; %bb.30:
	v_add_co_u32_e32 v0, vcc, 0x1000, v2
	v_addc_co_u32_e32 v1, vcc, 0, v3, vcc
	s_waitcnt lgkmcnt(0)
	global_store_dwordx2 v[0:1], v[4:5], off offset:2048
.LBB2260_31:
	s_endpgm
.LBB2260_32:
	s_waitcnt vmcnt(3)
	v_mov_b32_e32 v2, s20
	s_waitcnt vmcnt(2)
	v_add_co_u32_e32 v4, vcc, s19, v1
	v_mov_b32_e32 v3, 0
	v_addc_co_u32_e32 v5, vcc, 0, v2, vcc
	v_subrev_u32_e32 v2, s9, v0
	v_lshlrev_b64 v[2:3], 3, v[2:3]
	s_waitcnt vmcnt(1)
	v_mov_b32_e32 v6, s18
	v_add_co_u32_e32 v2, vcc, s17, v2
	v_addc_co_u32_e32 v3, vcc, v6, v3, vcc
	v_cmp_gt_u32_e32 vcc, s9, v0
	v_cndmask_b32_e32 v3, v3, v5, vcc
	v_cndmask_b32_e32 v2, v2, v4, vcc
	global_load_dwordx2 v[2:3], v[2:3], off
	s_or_b64 exec, exec, s[0:1]
	v_cmp_gt_u32_e32 vcc, s11, v12
	s_and_saveexec_b64 s[2:3], vcc
	s_cbranch_execz .LBB2260_6
.LBB2260_33:
	v_mov_b32_e32 v13, 0
	s_waitcnt vmcnt(2)
	v_lshlrev_b64 v[4:5], 3, v[12:13]
	v_mov_b32_e32 v11, s20
	v_add_co_u32_e32 v15, vcc, s19, v4
	v_addc_co_u32_e32 v11, vcc, v11, v5, vcc
	v_cmp_gt_u32_e32 vcc, s9, v12
	v_subrev_u32_e32 v12, s9, v12
	v_lshlrev_b64 v[4:5], 3, v[12:13]
	v_mov_b32_e32 v12, s18
	v_add_co_u32_e64 v4, s[0:1], s17, v4
	v_addc_co_u32_e64 v5, s[0:1], v12, v5, s[0:1]
	v_cndmask_b32_e32 v5, v5, v11, vcc
	v_cndmask_b32_e32 v4, v4, v15, vcc
	global_load_dwordx2 v[4:5], v[4:5], off
	s_or_b64 exec, exec, s[2:3]
	v_cmp_gt_u32_e32 vcc, s11, v10
	s_and_saveexec_b64 s[0:1], vcc
	s_cbranch_execnz .LBB2260_7
	s_branch .LBB2260_8
.LBB2260_34:
	ds_read_b64 v[0:1], v13
	s_waitcnt lgkmcnt(0)
	global_store_dwordx2 v[2:3], v[0:1], off
	s_or_b64 exec, exec, s[0:1]
	v_cmp_gt_u32_e32 vcc, s2, v12
	s_and_saveexec_b64 s[0:1], vcc
	s_cbranch_execz .LBB2260_26
.LBB2260_35:
	s_waitcnt lgkmcnt(2)
	global_store_dwordx2 v[2:3], v[8:9], off offset:2048
	s_or_b64 exec, exec, s[0:1]
	v_cmp_gt_u32_e32 vcc, s2, v11
	s_and_saveexec_b64 s[0:1], vcc
	s_cbranch_execnz .LBB2260_27
	s_branch .LBB2260_28
	.section	.rodata,"a",@progbits
	.p2align	6, 0x0
	.amdhsa_kernel _ZN7rocprim17ROCPRIM_400000_NS6detail17trampoline_kernelINS0_14default_configENS1_38merge_sort_block_merge_config_selectorImNS0_10empty_typeEEEZZNS1_27merge_sort_block_merge_implIS3_PmPS5_jNS1_19radix_merge_compareILb1ELb1EmNS0_19identity_decomposerEEEEE10hipError_tT0_T1_T2_jT3_P12ihipStream_tbPNSt15iterator_traitsISE_E10value_typeEPNSK_ISF_E10value_typeEPSG_NS1_7vsmem_tEENKUlT_SE_SF_SG_E_clIS8_S8_S9_S9_EESD_ST_SE_SF_SG_EUlST_E0_NS1_11comp_targetILNS1_3genE4ELNS1_11target_archE910ELNS1_3gpuE8ELNS1_3repE0EEENS1_38merge_mergepath_config_static_selectorELNS0_4arch9wavefront6targetE1EEEvSF_
		.amdhsa_group_segment_fixed_size 8448
		.amdhsa_private_segment_fixed_size 0
		.amdhsa_kernarg_size 328
		.amdhsa_user_sgpr_count 6
		.amdhsa_user_sgpr_private_segment_buffer 1
		.amdhsa_user_sgpr_dispatch_ptr 0
		.amdhsa_user_sgpr_queue_ptr 0
		.amdhsa_user_sgpr_kernarg_segment_ptr 1
		.amdhsa_user_sgpr_dispatch_id 0
		.amdhsa_user_sgpr_flat_scratch_init 0
		.amdhsa_user_sgpr_kernarg_preload_length 0
		.amdhsa_user_sgpr_kernarg_preload_offset 0
		.amdhsa_user_sgpr_private_segment_size 0
		.amdhsa_uses_dynamic_stack 0
		.amdhsa_system_sgpr_private_segment_wavefront_offset 0
		.amdhsa_system_sgpr_workgroup_id_x 1
		.amdhsa_system_sgpr_workgroup_id_y 1
		.amdhsa_system_sgpr_workgroup_id_z 1
		.amdhsa_system_sgpr_workgroup_info 0
		.amdhsa_system_vgpr_workitem_id 0
		.amdhsa_next_free_vgpr 23
		.amdhsa_next_free_sgpr 26
		.amdhsa_accum_offset 24
		.amdhsa_reserve_vcc 1
		.amdhsa_reserve_flat_scratch 0
		.amdhsa_float_round_mode_32 0
		.amdhsa_float_round_mode_16_64 0
		.amdhsa_float_denorm_mode_32 3
		.amdhsa_float_denorm_mode_16_64 3
		.amdhsa_dx10_clamp 1
		.amdhsa_ieee_mode 1
		.amdhsa_fp16_overflow 0
		.amdhsa_tg_split 0
		.amdhsa_exception_fp_ieee_invalid_op 0
		.amdhsa_exception_fp_denorm_src 0
		.amdhsa_exception_fp_ieee_div_zero 0
		.amdhsa_exception_fp_ieee_overflow 0
		.amdhsa_exception_fp_ieee_underflow 0
		.amdhsa_exception_fp_ieee_inexact 0
		.amdhsa_exception_int_div_zero 0
	.end_amdhsa_kernel
	.section	.text._ZN7rocprim17ROCPRIM_400000_NS6detail17trampoline_kernelINS0_14default_configENS1_38merge_sort_block_merge_config_selectorImNS0_10empty_typeEEEZZNS1_27merge_sort_block_merge_implIS3_PmPS5_jNS1_19radix_merge_compareILb1ELb1EmNS0_19identity_decomposerEEEEE10hipError_tT0_T1_T2_jT3_P12ihipStream_tbPNSt15iterator_traitsISE_E10value_typeEPNSK_ISF_E10value_typeEPSG_NS1_7vsmem_tEENKUlT_SE_SF_SG_E_clIS8_S8_S9_S9_EESD_ST_SE_SF_SG_EUlST_E0_NS1_11comp_targetILNS1_3genE4ELNS1_11target_archE910ELNS1_3gpuE8ELNS1_3repE0EEENS1_38merge_mergepath_config_static_selectorELNS0_4arch9wavefront6targetE1EEEvSF_,"axG",@progbits,_ZN7rocprim17ROCPRIM_400000_NS6detail17trampoline_kernelINS0_14default_configENS1_38merge_sort_block_merge_config_selectorImNS0_10empty_typeEEEZZNS1_27merge_sort_block_merge_implIS3_PmPS5_jNS1_19radix_merge_compareILb1ELb1EmNS0_19identity_decomposerEEEEE10hipError_tT0_T1_T2_jT3_P12ihipStream_tbPNSt15iterator_traitsISE_E10value_typeEPNSK_ISF_E10value_typeEPSG_NS1_7vsmem_tEENKUlT_SE_SF_SG_E_clIS8_S8_S9_S9_EESD_ST_SE_SF_SG_EUlST_E0_NS1_11comp_targetILNS1_3genE4ELNS1_11target_archE910ELNS1_3gpuE8ELNS1_3repE0EEENS1_38merge_mergepath_config_static_selectorELNS0_4arch9wavefront6targetE1EEEvSF_,comdat
.Lfunc_end2260:
	.size	_ZN7rocprim17ROCPRIM_400000_NS6detail17trampoline_kernelINS0_14default_configENS1_38merge_sort_block_merge_config_selectorImNS0_10empty_typeEEEZZNS1_27merge_sort_block_merge_implIS3_PmPS5_jNS1_19radix_merge_compareILb1ELb1EmNS0_19identity_decomposerEEEEE10hipError_tT0_T1_T2_jT3_P12ihipStream_tbPNSt15iterator_traitsISE_E10value_typeEPNSK_ISF_E10value_typeEPSG_NS1_7vsmem_tEENKUlT_SE_SF_SG_E_clIS8_S8_S9_S9_EESD_ST_SE_SF_SG_EUlST_E0_NS1_11comp_targetILNS1_3genE4ELNS1_11target_archE910ELNS1_3gpuE8ELNS1_3repE0EEENS1_38merge_mergepath_config_static_selectorELNS0_4arch9wavefront6targetE1EEEvSF_, .Lfunc_end2260-_ZN7rocprim17ROCPRIM_400000_NS6detail17trampoline_kernelINS0_14default_configENS1_38merge_sort_block_merge_config_selectorImNS0_10empty_typeEEEZZNS1_27merge_sort_block_merge_implIS3_PmPS5_jNS1_19radix_merge_compareILb1ELb1EmNS0_19identity_decomposerEEEEE10hipError_tT0_T1_T2_jT3_P12ihipStream_tbPNSt15iterator_traitsISE_E10value_typeEPNSK_ISF_E10value_typeEPSG_NS1_7vsmem_tEENKUlT_SE_SF_SG_E_clIS8_S8_S9_S9_EESD_ST_SE_SF_SG_EUlST_E0_NS1_11comp_targetILNS1_3genE4ELNS1_11target_archE910ELNS1_3gpuE8ELNS1_3repE0EEENS1_38merge_mergepath_config_static_selectorELNS0_4arch9wavefront6targetE1EEEvSF_
                                        ; -- End function
	.section	.AMDGPU.csdata,"",@progbits
; Kernel info:
; codeLenInByte = 2284
; NumSgprs: 30
; NumVgprs: 23
; NumAgprs: 0
; TotalNumVgprs: 23
; ScratchSize: 0
; MemoryBound: 0
; FloatMode: 240
; IeeeMode: 1
; LDSByteSize: 8448 bytes/workgroup (compile time only)
; SGPRBlocks: 3
; VGPRBlocks: 2
; NumSGPRsForWavesPerEU: 30
; NumVGPRsForWavesPerEU: 23
; AccumOffset: 24
; Occupancy: 7
; WaveLimiterHint : 1
; COMPUTE_PGM_RSRC2:SCRATCH_EN: 0
; COMPUTE_PGM_RSRC2:USER_SGPR: 6
; COMPUTE_PGM_RSRC2:TRAP_HANDLER: 0
; COMPUTE_PGM_RSRC2:TGID_X_EN: 1
; COMPUTE_PGM_RSRC2:TGID_Y_EN: 1
; COMPUTE_PGM_RSRC2:TGID_Z_EN: 1
; COMPUTE_PGM_RSRC2:TIDIG_COMP_CNT: 0
; COMPUTE_PGM_RSRC3_GFX90A:ACCUM_OFFSET: 5
; COMPUTE_PGM_RSRC3_GFX90A:TG_SPLIT: 0
	.section	.text._ZN7rocprim17ROCPRIM_400000_NS6detail17trampoline_kernelINS0_14default_configENS1_38merge_sort_block_merge_config_selectorImNS0_10empty_typeEEEZZNS1_27merge_sort_block_merge_implIS3_PmPS5_jNS1_19radix_merge_compareILb1ELb1EmNS0_19identity_decomposerEEEEE10hipError_tT0_T1_T2_jT3_P12ihipStream_tbPNSt15iterator_traitsISE_E10value_typeEPNSK_ISF_E10value_typeEPSG_NS1_7vsmem_tEENKUlT_SE_SF_SG_E_clIS8_S8_S9_S9_EESD_ST_SE_SF_SG_EUlST_E0_NS1_11comp_targetILNS1_3genE3ELNS1_11target_archE908ELNS1_3gpuE7ELNS1_3repE0EEENS1_38merge_mergepath_config_static_selectorELNS0_4arch9wavefront6targetE1EEEvSF_,"axG",@progbits,_ZN7rocprim17ROCPRIM_400000_NS6detail17trampoline_kernelINS0_14default_configENS1_38merge_sort_block_merge_config_selectorImNS0_10empty_typeEEEZZNS1_27merge_sort_block_merge_implIS3_PmPS5_jNS1_19radix_merge_compareILb1ELb1EmNS0_19identity_decomposerEEEEE10hipError_tT0_T1_T2_jT3_P12ihipStream_tbPNSt15iterator_traitsISE_E10value_typeEPNSK_ISF_E10value_typeEPSG_NS1_7vsmem_tEENKUlT_SE_SF_SG_E_clIS8_S8_S9_S9_EESD_ST_SE_SF_SG_EUlST_E0_NS1_11comp_targetILNS1_3genE3ELNS1_11target_archE908ELNS1_3gpuE7ELNS1_3repE0EEENS1_38merge_mergepath_config_static_selectorELNS0_4arch9wavefront6targetE1EEEvSF_,comdat
	.protected	_ZN7rocprim17ROCPRIM_400000_NS6detail17trampoline_kernelINS0_14default_configENS1_38merge_sort_block_merge_config_selectorImNS0_10empty_typeEEEZZNS1_27merge_sort_block_merge_implIS3_PmPS5_jNS1_19radix_merge_compareILb1ELb1EmNS0_19identity_decomposerEEEEE10hipError_tT0_T1_T2_jT3_P12ihipStream_tbPNSt15iterator_traitsISE_E10value_typeEPNSK_ISF_E10value_typeEPSG_NS1_7vsmem_tEENKUlT_SE_SF_SG_E_clIS8_S8_S9_S9_EESD_ST_SE_SF_SG_EUlST_E0_NS1_11comp_targetILNS1_3genE3ELNS1_11target_archE908ELNS1_3gpuE7ELNS1_3repE0EEENS1_38merge_mergepath_config_static_selectorELNS0_4arch9wavefront6targetE1EEEvSF_ ; -- Begin function _ZN7rocprim17ROCPRIM_400000_NS6detail17trampoline_kernelINS0_14default_configENS1_38merge_sort_block_merge_config_selectorImNS0_10empty_typeEEEZZNS1_27merge_sort_block_merge_implIS3_PmPS5_jNS1_19radix_merge_compareILb1ELb1EmNS0_19identity_decomposerEEEEE10hipError_tT0_T1_T2_jT3_P12ihipStream_tbPNSt15iterator_traitsISE_E10value_typeEPNSK_ISF_E10value_typeEPSG_NS1_7vsmem_tEENKUlT_SE_SF_SG_E_clIS8_S8_S9_S9_EESD_ST_SE_SF_SG_EUlST_E0_NS1_11comp_targetILNS1_3genE3ELNS1_11target_archE908ELNS1_3gpuE7ELNS1_3repE0EEENS1_38merge_mergepath_config_static_selectorELNS0_4arch9wavefront6targetE1EEEvSF_
	.globl	_ZN7rocprim17ROCPRIM_400000_NS6detail17trampoline_kernelINS0_14default_configENS1_38merge_sort_block_merge_config_selectorImNS0_10empty_typeEEEZZNS1_27merge_sort_block_merge_implIS3_PmPS5_jNS1_19radix_merge_compareILb1ELb1EmNS0_19identity_decomposerEEEEE10hipError_tT0_T1_T2_jT3_P12ihipStream_tbPNSt15iterator_traitsISE_E10value_typeEPNSK_ISF_E10value_typeEPSG_NS1_7vsmem_tEENKUlT_SE_SF_SG_E_clIS8_S8_S9_S9_EESD_ST_SE_SF_SG_EUlST_E0_NS1_11comp_targetILNS1_3genE3ELNS1_11target_archE908ELNS1_3gpuE7ELNS1_3repE0EEENS1_38merge_mergepath_config_static_selectorELNS0_4arch9wavefront6targetE1EEEvSF_
	.p2align	8
	.type	_ZN7rocprim17ROCPRIM_400000_NS6detail17trampoline_kernelINS0_14default_configENS1_38merge_sort_block_merge_config_selectorImNS0_10empty_typeEEEZZNS1_27merge_sort_block_merge_implIS3_PmPS5_jNS1_19radix_merge_compareILb1ELb1EmNS0_19identity_decomposerEEEEE10hipError_tT0_T1_T2_jT3_P12ihipStream_tbPNSt15iterator_traitsISE_E10value_typeEPNSK_ISF_E10value_typeEPSG_NS1_7vsmem_tEENKUlT_SE_SF_SG_E_clIS8_S8_S9_S9_EESD_ST_SE_SF_SG_EUlST_E0_NS1_11comp_targetILNS1_3genE3ELNS1_11target_archE908ELNS1_3gpuE7ELNS1_3repE0EEENS1_38merge_mergepath_config_static_selectorELNS0_4arch9wavefront6targetE1EEEvSF_,@function
_ZN7rocprim17ROCPRIM_400000_NS6detail17trampoline_kernelINS0_14default_configENS1_38merge_sort_block_merge_config_selectorImNS0_10empty_typeEEEZZNS1_27merge_sort_block_merge_implIS3_PmPS5_jNS1_19radix_merge_compareILb1ELb1EmNS0_19identity_decomposerEEEEE10hipError_tT0_T1_T2_jT3_P12ihipStream_tbPNSt15iterator_traitsISE_E10value_typeEPNSK_ISF_E10value_typeEPSG_NS1_7vsmem_tEENKUlT_SE_SF_SG_E_clIS8_S8_S9_S9_EESD_ST_SE_SF_SG_EUlST_E0_NS1_11comp_targetILNS1_3genE3ELNS1_11target_archE908ELNS1_3gpuE7ELNS1_3repE0EEENS1_38merge_mergepath_config_static_selectorELNS0_4arch9wavefront6targetE1EEEvSF_: ; @_ZN7rocprim17ROCPRIM_400000_NS6detail17trampoline_kernelINS0_14default_configENS1_38merge_sort_block_merge_config_selectorImNS0_10empty_typeEEEZZNS1_27merge_sort_block_merge_implIS3_PmPS5_jNS1_19radix_merge_compareILb1ELb1EmNS0_19identity_decomposerEEEEE10hipError_tT0_T1_T2_jT3_P12ihipStream_tbPNSt15iterator_traitsISE_E10value_typeEPNSK_ISF_E10value_typeEPSG_NS1_7vsmem_tEENKUlT_SE_SF_SG_E_clIS8_S8_S9_S9_EESD_ST_SE_SF_SG_EUlST_E0_NS1_11comp_targetILNS1_3genE3ELNS1_11target_archE908ELNS1_3gpuE7ELNS1_3repE0EEENS1_38merge_mergepath_config_static_selectorELNS0_4arch9wavefront6targetE1EEEvSF_
; %bb.0:
	.section	.rodata,"a",@progbits
	.p2align	6, 0x0
	.amdhsa_kernel _ZN7rocprim17ROCPRIM_400000_NS6detail17trampoline_kernelINS0_14default_configENS1_38merge_sort_block_merge_config_selectorImNS0_10empty_typeEEEZZNS1_27merge_sort_block_merge_implIS3_PmPS5_jNS1_19radix_merge_compareILb1ELb1EmNS0_19identity_decomposerEEEEE10hipError_tT0_T1_T2_jT3_P12ihipStream_tbPNSt15iterator_traitsISE_E10value_typeEPNSK_ISF_E10value_typeEPSG_NS1_7vsmem_tEENKUlT_SE_SF_SG_E_clIS8_S8_S9_S9_EESD_ST_SE_SF_SG_EUlST_E0_NS1_11comp_targetILNS1_3genE3ELNS1_11target_archE908ELNS1_3gpuE7ELNS1_3repE0EEENS1_38merge_mergepath_config_static_selectorELNS0_4arch9wavefront6targetE1EEEvSF_
		.amdhsa_group_segment_fixed_size 0
		.amdhsa_private_segment_fixed_size 0
		.amdhsa_kernarg_size 72
		.amdhsa_user_sgpr_count 6
		.amdhsa_user_sgpr_private_segment_buffer 1
		.amdhsa_user_sgpr_dispatch_ptr 0
		.amdhsa_user_sgpr_queue_ptr 0
		.amdhsa_user_sgpr_kernarg_segment_ptr 1
		.amdhsa_user_sgpr_dispatch_id 0
		.amdhsa_user_sgpr_flat_scratch_init 0
		.amdhsa_user_sgpr_kernarg_preload_length 0
		.amdhsa_user_sgpr_kernarg_preload_offset 0
		.amdhsa_user_sgpr_private_segment_size 0
		.amdhsa_uses_dynamic_stack 0
		.amdhsa_system_sgpr_private_segment_wavefront_offset 0
		.amdhsa_system_sgpr_workgroup_id_x 1
		.amdhsa_system_sgpr_workgroup_id_y 0
		.amdhsa_system_sgpr_workgroup_id_z 0
		.amdhsa_system_sgpr_workgroup_info 0
		.amdhsa_system_vgpr_workitem_id 0
		.amdhsa_next_free_vgpr 1
		.amdhsa_next_free_sgpr 0
		.amdhsa_accum_offset 4
		.amdhsa_reserve_vcc 0
		.amdhsa_reserve_flat_scratch 0
		.amdhsa_float_round_mode_32 0
		.amdhsa_float_round_mode_16_64 0
		.amdhsa_float_denorm_mode_32 3
		.amdhsa_float_denorm_mode_16_64 3
		.amdhsa_dx10_clamp 1
		.amdhsa_ieee_mode 1
		.amdhsa_fp16_overflow 0
		.amdhsa_tg_split 0
		.amdhsa_exception_fp_ieee_invalid_op 0
		.amdhsa_exception_fp_denorm_src 0
		.amdhsa_exception_fp_ieee_div_zero 0
		.amdhsa_exception_fp_ieee_overflow 0
		.amdhsa_exception_fp_ieee_underflow 0
		.amdhsa_exception_fp_ieee_inexact 0
		.amdhsa_exception_int_div_zero 0
	.end_amdhsa_kernel
	.section	.text._ZN7rocprim17ROCPRIM_400000_NS6detail17trampoline_kernelINS0_14default_configENS1_38merge_sort_block_merge_config_selectorImNS0_10empty_typeEEEZZNS1_27merge_sort_block_merge_implIS3_PmPS5_jNS1_19radix_merge_compareILb1ELb1EmNS0_19identity_decomposerEEEEE10hipError_tT0_T1_T2_jT3_P12ihipStream_tbPNSt15iterator_traitsISE_E10value_typeEPNSK_ISF_E10value_typeEPSG_NS1_7vsmem_tEENKUlT_SE_SF_SG_E_clIS8_S8_S9_S9_EESD_ST_SE_SF_SG_EUlST_E0_NS1_11comp_targetILNS1_3genE3ELNS1_11target_archE908ELNS1_3gpuE7ELNS1_3repE0EEENS1_38merge_mergepath_config_static_selectorELNS0_4arch9wavefront6targetE1EEEvSF_,"axG",@progbits,_ZN7rocprim17ROCPRIM_400000_NS6detail17trampoline_kernelINS0_14default_configENS1_38merge_sort_block_merge_config_selectorImNS0_10empty_typeEEEZZNS1_27merge_sort_block_merge_implIS3_PmPS5_jNS1_19radix_merge_compareILb1ELb1EmNS0_19identity_decomposerEEEEE10hipError_tT0_T1_T2_jT3_P12ihipStream_tbPNSt15iterator_traitsISE_E10value_typeEPNSK_ISF_E10value_typeEPSG_NS1_7vsmem_tEENKUlT_SE_SF_SG_E_clIS8_S8_S9_S9_EESD_ST_SE_SF_SG_EUlST_E0_NS1_11comp_targetILNS1_3genE3ELNS1_11target_archE908ELNS1_3gpuE7ELNS1_3repE0EEENS1_38merge_mergepath_config_static_selectorELNS0_4arch9wavefront6targetE1EEEvSF_,comdat
.Lfunc_end2261:
	.size	_ZN7rocprim17ROCPRIM_400000_NS6detail17trampoline_kernelINS0_14default_configENS1_38merge_sort_block_merge_config_selectorImNS0_10empty_typeEEEZZNS1_27merge_sort_block_merge_implIS3_PmPS5_jNS1_19radix_merge_compareILb1ELb1EmNS0_19identity_decomposerEEEEE10hipError_tT0_T1_T2_jT3_P12ihipStream_tbPNSt15iterator_traitsISE_E10value_typeEPNSK_ISF_E10value_typeEPSG_NS1_7vsmem_tEENKUlT_SE_SF_SG_E_clIS8_S8_S9_S9_EESD_ST_SE_SF_SG_EUlST_E0_NS1_11comp_targetILNS1_3genE3ELNS1_11target_archE908ELNS1_3gpuE7ELNS1_3repE0EEENS1_38merge_mergepath_config_static_selectorELNS0_4arch9wavefront6targetE1EEEvSF_, .Lfunc_end2261-_ZN7rocprim17ROCPRIM_400000_NS6detail17trampoline_kernelINS0_14default_configENS1_38merge_sort_block_merge_config_selectorImNS0_10empty_typeEEEZZNS1_27merge_sort_block_merge_implIS3_PmPS5_jNS1_19radix_merge_compareILb1ELb1EmNS0_19identity_decomposerEEEEE10hipError_tT0_T1_T2_jT3_P12ihipStream_tbPNSt15iterator_traitsISE_E10value_typeEPNSK_ISF_E10value_typeEPSG_NS1_7vsmem_tEENKUlT_SE_SF_SG_E_clIS8_S8_S9_S9_EESD_ST_SE_SF_SG_EUlST_E0_NS1_11comp_targetILNS1_3genE3ELNS1_11target_archE908ELNS1_3gpuE7ELNS1_3repE0EEENS1_38merge_mergepath_config_static_selectorELNS0_4arch9wavefront6targetE1EEEvSF_
                                        ; -- End function
	.section	.AMDGPU.csdata,"",@progbits
; Kernel info:
; codeLenInByte = 0
; NumSgprs: 4
; NumVgprs: 0
; NumAgprs: 0
; TotalNumVgprs: 0
; ScratchSize: 0
; MemoryBound: 0
; FloatMode: 240
; IeeeMode: 1
; LDSByteSize: 0 bytes/workgroup (compile time only)
; SGPRBlocks: 0
; VGPRBlocks: 0
; NumSGPRsForWavesPerEU: 4
; NumVGPRsForWavesPerEU: 1
; AccumOffset: 4
; Occupancy: 8
; WaveLimiterHint : 0
; COMPUTE_PGM_RSRC2:SCRATCH_EN: 0
; COMPUTE_PGM_RSRC2:USER_SGPR: 6
; COMPUTE_PGM_RSRC2:TRAP_HANDLER: 0
; COMPUTE_PGM_RSRC2:TGID_X_EN: 1
; COMPUTE_PGM_RSRC2:TGID_Y_EN: 0
; COMPUTE_PGM_RSRC2:TGID_Z_EN: 0
; COMPUTE_PGM_RSRC2:TIDIG_COMP_CNT: 0
; COMPUTE_PGM_RSRC3_GFX90A:ACCUM_OFFSET: 0
; COMPUTE_PGM_RSRC3_GFX90A:TG_SPLIT: 0
	.section	.text._ZN7rocprim17ROCPRIM_400000_NS6detail17trampoline_kernelINS0_14default_configENS1_38merge_sort_block_merge_config_selectorImNS0_10empty_typeEEEZZNS1_27merge_sort_block_merge_implIS3_PmPS5_jNS1_19radix_merge_compareILb1ELb1EmNS0_19identity_decomposerEEEEE10hipError_tT0_T1_T2_jT3_P12ihipStream_tbPNSt15iterator_traitsISE_E10value_typeEPNSK_ISF_E10value_typeEPSG_NS1_7vsmem_tEENKUlT_SE_SF_SG_E_clIS8_S8_S9_S9_EESD_ST_SE_SF_SG_EUlST_E0_NS1_11comp_targetILNS1_3genE2ELNS1_11target_archE906ELNS1_3gpuE6ELNS1_3repE0EEENS1_38merge_mergepath_config_static_selectorELNS0_4arch9wavefront6targetE1EEEvSF_,"axG",@progbits,_ZN7rocprim17ROCPRIM_400000_NS6detail17trampoline_kernelINS0_14default_configENS1_38merge_sort_block_merge_config_selectorImNS0_10empty_typeEEEZZNS1_27merge_sort_block_merge_implIS3_PmPS5_jNS1_19radix_merge_compareILb1ELb1EmNS0_19identity_decomposerEEEEE10hipError_tT0_T1_T2_jT3_P12ihipStream_tbPNSt15iterator_traitsISE_E10value_typeEPNSK_ISF_E10value_typeEPSG_NS1_7vsmem_tEENKUlT_SE_SF_SG_E_clIS8_S8_S9_S9_EESD_ST_SE_SF_SG_EUlST_E0_NS1_11comp_targetILNS1_3genE2ELNS1_11target_archE906ELNS1_3gpuE6ELNS1_3repE0EEENS1_38merge_mergepath_config_static_selectorELNS0_4arch9wavefront6targetE1EEEvSF_,comdat
	.protected	_ZN7rocprim17ROCPRIM_400000_NS6detail17trampoline_kernelINS0_14default_configENS1_38merge_sort_block_merge_config_selectorImNS0_10empty_typeEEEZZNS1_27merge_sort_block_merge_implIS3_PmPS5_jNS1_19radix_merge_compareILb1ELb1EmNS0_19identity_decomposerEEEEE10hipError_tT0_T1_T2_jT3_P12ihipStream_tbPNSt15iterator_traitsISE_E10value_typeEPNSK_ISF_E10value_typeEPSG_NS1_7vsmem_tEENKUlT_SE_SF_SG_E_clIS8_S8_S9_S9_EESD_ST_SE_SF_SG_EUlST_E0_NS1_11comp_targetILNS1_3genE2ELNS1_11target_archE906ELNS1_3gpuE6ELNS1_3repE0EEENS1_38merge_mergepath_config_static_selectorELNS0_4arch9wavefront6targetE1EEEvSF_ ; -- Begin function _ZN7rocprim17ROCPRIM_400000_NS6detail17trampoline_kernelINS0_14default_configENS1_38merge_sort_block_merge_config_selectorImNS0_10empty_typeEEEZZNS1_27merge_sort_block_merge_implIS3_PmPS5_jNS1_19radix_merge_compareILb1ELb1EmNS0_19identity_decomposerEEEEE10hipError_tT0_T1_T2_jT3_P12ihipStream_tbPNSt15iterator_traitsISE_E10value_typeEPNSK_ISF_E10value_typeEPSG_NS1_7vsmem_tEENKUlT_SE_SF_SG_E_clIS8_S8_S9_S9_EESD_ST_SE_SF_SG_EUlST_E0_NS1_11comp_targetILNS1_3genE2ELNS1_11target_archE906ELNS1_3gpuE6ELNS1_3repE0EEENS1_38merge_mergepath_config_static_selectorELNS0_4arch9wavefront6targetE1EEEvSF_
	.globl	_ZN7rocprim17ROCPRIM_400000_NS6detail17trampoline_kernelINS0_14default_configENS1_38merge_sort_block_merge_config_selectorImNS0_10empty_typeEEEZZNS1_27merge_sort_block_merge_implIS3_PmPS5_jNS1_19radix_merge_compareILb1ELb1EmNS0_19identity_decomposerEEEEE10hipError_tT0_T1_T2_jT3_P12ihipStream_tbPNSt15iterator_traitsISE_E10value_typeEPNSK_ISF_E10value_typeEPSG_NS1_7vsmem_tEENKUlT_SE_SF_SG_E_clIS8_S8_S9_S9_EESD_ST_SE_SF_SG_EUlST_E0_NS1_11comp_targetILNS1_3genE2ELNS1_11target_archE906ELNS1_3gpuE6ELNS1_3repE0EEENS1_38merge_mergepath_config_static_selectorELNS0_4arch9wavefront6targetE1EEEvSF_
	.p2align	8
	.type	_ZN7rocprim17ROCPRIM_400000_NS6detail17trampoline_kernelINS0_14default_configENS1_38merge_sort_block_merge_config_selectorImNS0_10empty_typeEEEZZNS1_27merge_sort_block_merge_implIS3_PmPS5_jNS1_19radix_merge_compareILb1ELb1EmNS0_19identity_decomposerEEEEE10hipError_tT0_T1_T2_jT3_P12ihipStream_tbPNSt15iterator_traitsISE_E10value_typeEPNSK_ISF_E10value_typeEPSG_NS1_7vsmem_tEENKUlT_SE_SF_SG_E_clIS8_S8_S9_S9_EESD_ST_SE_SF_SG_EUlST_E0_NS1_11comp_targetILNS1_3genE2ELNS1_11target_archE906ELNS1_3gpuE6ELNS1_3repE0EEENS1_38merge_mergepath_config_static_selectorELNS0_4arch9wavefront6targetE1EEEvSF_,@function
_ZN7rocprim17ROCPRIM_400000_NS6detail17trampoline_kernelINS0_14default_configENS1_38merge_sort_block_merge_config_selectorImNS0_10empty_typeEEEZZNS1_27merge_sort_block_merge_implIS3_PmPS5_jNS1_19radix_merge_compareILb1ELb1EmNS0_19identity_decomposerEEEEE10hipError_tT0_T1_T2_jT3_P12ihipStream_tbPNSt15iterator_traitsISE_E10value_typeEPNSK_ISF_E10value_typeEPSG_NS1_7vsmem_tEENKUlT_SE_SF_SG_E_clIS8_S8_S9_S9_EESD_ST_SE_SF_SG_EUlST_E0_NS1_11comp_targetILNS1_3genE2ELNS1_11target_archE906ELNS1_3gpuE6ELNS1_3repE0EEENS1_38merge_mergepath_config_static_selectorELNS0_4arch9wavefront6targetE1EEEvSF_: ; @_ZN7rocprim17ROCPRIM_400000_NS6detail17trampoline_kernelINS0_14default_configENS1_38merge_sort_block_merge_config_selectorImNS0_10empty_typeEEEZZNS1_27merge_sort_block_merge_implIS3_PmPS5_jNS1_19radix_merge_compareILb1ELb1EmNS0_19identity_decomposerEEEEE10hipError_tT0_T1_T2_jT3_P12ihipStream_tbPNSt15iterator_traitsISE_E10value_typeEPNSK_ISF_E10value_typeEPSG_NS1_7vsmem_tEENKUlT_SE_SF_SG_E_clIS8_S8_S9_S9_EESD_ST_SE_SF_SG_EUlST_E0_NS1_11comp_targetILNS1_3genE2ELNS1_11target_archE906ELNS1_3gpuE6ELNS1_3repE0EEENS1_38merge_mergepath_config_static_selectorELNS0_4arch9wavefront6targetE1EEEvSF_
; %bb.0:
	.section	.rodata,"a",@progbits
	.p2align	6, 0x0
	.amdhsa_kernel _ZN7rocprim17ROCPRIM_400000_NS6detail17trampoline_kernelINS0_14default_configENS1_38merge_sort_block_merge_config_selectorImNS0_10empty_typeEEEZZNS1_27merge_sort_block_merge_implIS3_PmPS5_jNS1_19radix_merge_compareILb1ELb1EmNS0_19identity_decomposerEEEEE10hipError_tT0_T1_T2_jT3_P12ihipStream_tbPNSt15iterator_traitsISE_E10value_typeEPNSK_ISF_E10value_typeEPSG_NS1_7vsmem_tEENKUlT_SE_SF_SG_E_clIS8_S8_S9_S9_EESD_ST_SE_SF_SG_EUlST_E0_NS1_11comp_targetILNS1_3genE2ELNS1_11target_archE906ELNS1_3gpuE6ELNS1_3repE0EEENS1_38merge_mergepath_config_static_selectorELNS0_4arch9wavefront6targetE1EEEvSF_
		.amdhsa_group_segment_fixed_size 0
		.amdhsa_private_segment_fixed_size 0
		.amdhsa_kernarg_size 72
		.amdhsa_user_sgpr_count 6
		.amdhsa_user_sgpr_private_segment_buffer 1
		.amdhsa_user_sgpr_dispatch_ptr 0
		.amdhsa_user_sgpr_queue_ptr 0
		.amdhsa_user_sgpr_kernarg_segment_ptr 1
		.amdhsa_user_sgpr_dispatch_id 0
		.amdhsa_user_sgpr_flat_scratch_init 0
		.amdhsa_user_sgpr_kernarg_preload_length 0
		.amdhsa_user_sgpr_kernarg_preload_offset 0
		.amdhsa_user_sgpr_private_segment_size 0
		.amdhsa_uses_dynamic_stack 0
		.amdhsa_system_sgpr_private_segment_wavefront_offset 0
		.amdhsa_system_sgpr_workgroup_id_x 1
		.amdhsa_system_sgpr_workgroup_id_y 0
		.amdhsa_system_sgpr_workgroup_id_z 0
		.amdhsa_system_sgpr_workgroup_info 0
		.amdhsa_system_vgpr_workitem_id 0
		.amdhsa_next_free_vgpr 1
		.amdhsa_next_free_sgpr 0
		.amdhsa_accum_offset 4
		.amdhsa_reserve_vcc 0
		.amdhsa_reserve_flat_scratch 0
		.amdhsa_float_round_mode_32 0
		.amdhsa_float_round_mode_16_64 0
		.amdhsa_float_denorm_mode_32 3
		.amdhsa_float_denorm_mode_16_64 3
		.amdhsa_dx10_clamp 1
		.amdhsa_ieee_mode 1
		.amdhsa_fp16_overflow 0
		.amdhsa_tg_split 0
		.amdhsa_exception_fp_ieee_invalid_op 0
		.amdhsa_exception_fp_denorm_src 0
		.amdhsa_exception_fp_ieee_div_zero 0
		.amdhsa_exception_fp_ieee_overflow 0
		.amdhsa_exception_fp_ieee_underflow 0
		.amdhsa_exception_fp_ieee_inexact 0
		.amdhsa_exception_int_div_zero 0
	.end_amdhsa_kernel
	.section	.text._ZN7rocprim17ROCPRIM_400000_NS6detail17trampoline_kernelINS0_14default_configENS1_38merge_sort_block_merge_config_selectorImNS0_10empty_typeEEEZZNS1_27merge_sort_block_merge_implIS3_PmPS5_jNS1_19radix_merge_compareILb1ELb1EmNS0_19identity_decomposerEEEEE10hipError_tT0_T1_T2_jT3_P12ihipStream_tbPNSt15iterator_traitsISE_E10value_typeEPNSK_ISF_E10value_typeEPSG_NS1_7vsmem_tEENKUlT_SE_SF_SG_E_clIS8_S8_S9_S9_EESD_ST_SE_SF_SG_EUlST_E0_NS1_11comp_targetILNS1_3genE2ELNS1_11target_archE906ELNS1_3gpuE6ELNS1_3repE0EEENS1_38merge_mergepath_config_static_selectorELNS0_4arch9wavefront6targetE1EEEvSF_,"axG",@progbits,_ZN7rocprim17ROCPRIM_400000_NS6detail17trampoline_kernelINS0_14default_configENS1_38merge_sort_block_merge_config_selectorImNS0_10empty_typeEEEZZNS1_27merge_sort_block_merge_implIS3_PmPS5_jNS1_19radix_merge_compareILb1ELb1EmNS0_19identity_decomposerEEEEE10hipError_tT0_T1_T2_jT3_P12ihipStream_tbPNSt15iterator_traitsISE_E10value_typeEPNSK_ISF_E10value_typeEPSG_NS1_7vsmem_tEENKUlT_SE_SF_SG_E_clIS8_S8_S9_S9_EESD_ST_SE_SF_SG_EUlST_E0_NS1_11comp_targetILNS1_3genE2ELNS1_11target_archE906ELNS1_3gpuE6ELNS1_3repE0EEENS1_38merge_mergepath_config_static_selectorELNS0_4arch9wavefront6targetE1EEEvSF_,comdat
.Lfunc_end2262:
	.size	_ZN7rocprim17ROCPRIM_400000_NS6detail17trampoline_kernelINS0_14default_configENS1_38merge_sort_block_merge_config_selectorImNS0_10empty_typeEEEZZNS1_27merge_sort_block_merge_implIS3_PmPS5_jNS1_19radix_merge_compareILb1ELb1EmNS0_19identity_decomposerEEEEE10hipError_tT0_T1_T2_jT3_P12ihipStream_tbPNSt15iterator_traitsISE_E10value_typeEPNSK_ISF_E10value_typeEPSG_NS1_7vsmem_tEENKUlT_SE_SF_SG_E_clIS8_S8_S9_S9_EESD_ST_SE_SF_SG_EUlST_E0_NS1_11comp_targetILNS1_3genE2ELNS1_11target_archE906ELNS1_3gpuE6ELNS1_3repE0EEENS1_38merge_mergepath_config_static_selectorELNS0_4arch9wavefront6targetE1EEEvSF_, .Lfunc_end2262-_ZN7rocprim17ROCPRIM_400000_NS6detail17trampoline_kernelINS0_14default_configENS1_38merge_sort_block_merge_config_selectorImNS0_10empty_typeEEEZZNS1_27merge_sort_block_merge_implIS3_PmPS5_jNS1_19radix_merge_compareILb1ELb1EmNS0_19identity_decomposerEEEEE10hipError_tT0_T1_T2_jT3_P12ihipStream_tbPNSt15iterator_traitsISE_E10value_typeEPNSK_ISF_E10value_typeEPSG_NS1_7vsmem_tEENKUlT_SE_SF_SG_E_clIS8_S8_S9_S9_EESD_ST_SE_SF_SG_EUlST_E0_NS1_11comp_targetILNS1_3genE2ELNS1_11target_archE906ELNS1_3gpuE6ELNS1_3repE0EEENS1_38merge_mergepath_config_static_selectorELNS0_4arch9wavefront6targetE1EEEvSF_
                                        ; -- End function
	.section	.AMDGPU.csdata,"",@progbits
; Kernel info:
; codeLenInByte = 0
; NumSgprs: 4
; NumVgprs: 0
; NumAgprs: 0
; TotalNumVgprs: 0
; ScratchSize: 0
; MemoryBound: 0
; FloatMode: 240
; IeeeMode: 1
; LDSByteSize: 0 bytes/workgroup (compile time only)
; SGPRBlocks: 0
; VGPRBlocks: 0
; NumSGPRsForWavesPerEU: 4
; NumVGPRsForWavesPerEU: 1
; AccumOffset: 4
; Occupancy: 8
; WaveLimiterHint : 0
; COMPUTE_PGM_RSRC2:SCRATCH_EN: 0
; COMPUTE_PGM_RSRC2:USER_SGPR: 6
; COMPUTE_PGM_RSRC2:TRAP_HANDLER: 0
; COMPUTE_PGM_RSRC2:TGID_X_EN: 1
; COMPUTE_PGM_RSRC2:TGID_Y_EN: 0
; COMPUTE_PGM_RSRC2:TGID_Z_EN: 0
; COMPUTE_PGM_RSRC2:TIDIG_COMP_CNT: 0
; COMPUTE_PGM_RSRC3_GFX90A:ACCUM_OFFSET: 0
; COMPUTE_PGM_RSRC3_GFX90A:TG_SPLIT: 0
	.section	.text._ZN7rocprim17ROCPRIM_400000_NS6detail17trampoline_kernelINS0_14default_configENS1_38merge_sort_block_merge_config_selectorImNS0_10empty_typeEEEZZNS1_27merge_sort_block_merge_implIS3_PmPS5_jNS1_19radix_merge_compareILb1ELb1EmNS0_19identity_decomposerEEEEE10hipError_tT0_T1_T2_jT3_P12ihipStream_tbPNSt15iterator_traitsISE_E10value_typeEPNSK_ISF_E10value_typeEPSG_NS1_7vsmem_tEENKUlT_SE_SF_SG_E_clIS8_S8_S9_S9_EESD_ST_SE_SF_SG_EUlST_E0_NS1_11comp_targetILNS1_3genE9ELNS1_11target_archE1100ELNS1_3gpuE3ELNS1_3repE0EEENS1_38merge_mergepath_config_static_selectorELNS0_4arch9wavefront6targetE1EEEvSF_,"axG",@progbits,_ZN7rocprim17ROCPRIM_400000_NS6detail17trampoline_kernelINS0_14default_configENS1_38merge_sort_block_merge_config_selectorImNS0_10empty_typeEEEZZNS1_27merge_sort_block_merge_implIS3_PmPS5_jNS1_19radix_merge_compareILb1ELb1EmNS0_19identity_decomposerEEEEE10hipError_tT0_T1_T2_jT3_P12ihipStream_tbPNSt15iterator_traitsISE_E10value_typeEPNSK_ISF_E10value_typeEPSG_NS1_7vsmem_tEENKUlT_SE_SF_SG_E_clIS8_S8_S9_S9_EESD_ST_SE_SF_SG_EUlST_E0_NS1_11comp_targetILNS1_3genE9ELNS1_11target_archE1100ELNS1_3gpuE3ELNS1_3repE0EEENS1_38merge_mergepath_config_static_selectorELNS0_4arch9wavefront6targetE1EEEvSF_,comdat
	.protected	_ZN7rocprim17ROCPRIM_400000_NS6detail17trampoline_kernelINS0_14default_configENS1_38merge_sort_block_merge_config_selectorImNS0_10empty_typeEEEZZNS1_27merge_sort_block_merge_implIS3_PmPS5_jNS1_19radix_merge_compareILb1ELb1EmNS0_19identity_decomposerEEEEE10hipError_tT0_T1_T2_jT3_P12ihipStream_tbPNSt15iterator_traitsISE_E10value_typeEPNSK_ISF_E10value_typeEPSG_NS1_7vsmem_tEENKUlT_SE_SF_SG_E_clIS8_S8_S9_S9_EESD_ST_SE_SF_SG_EUlST_E0_NS1_11comp_targetILNS1_3genE9ELNS1_11target_archE1100ELNS1_3gpuE3ELNS1_3repE0EEENS1_38merge_mergepath_config_static_selectorELNS0_4arch9wavefront6targetE1EEEvSF_ ; -- Begin function _ZN7rocprim17ROCPRIM_400000_NS6detail17trampoline_kernelINS0_14default_configENS1_38merge_sort_block_merge_config_selectorImNS0_10empty_typeEEEZZNS1_27merge_sort_block_merge_implIS3_PmPS5_jNS1_19radix_merge_compareILb1ELb1EmNS0_19identity_decomposerEEEEE10hipError_tT0_T1_T2_jT3_P12ihipStream_tbPNSt15iterator_traitsISE_E10value_typeEPNSK_ISF_E10value_typeEPSG_NS1_7vsmem_tEENKUlT_SE_SF_SG_E_clIS8_S8_S9_S9_EESD_ST_SE_SF_SG_EUlST_E0_NS1_11comp_targetILNS1_3genE9ELNS1_11target_archE1100ELNS1_3gpuE3ELNS1_3repE0EEENS1_38merge_mergepath_config_static_selectorELNS0_4arch9wavefront6targetE1EEEvSF_
	.globl	_ZN7rocprim17ROCPRIM_400000_NS6detail17trampoline_kernelINS0_14default_configENS1_38merge_sort_block_merge_config_selectorImNS0_10empty_typeEEEZZNS1_27merge_sort_block_merge_implIS3_PmPS5_jNS1_19radix_merge_compareILb1ELb1EmNS0_19identity_decomposerEEEEE10hipError_tT0_T1_T2_jT3_P12ihipStream_tbPNSt15iterator_traitsISE_E10value_typeEPNSK_ISF_E10value_typeEPSG_NS1_7vsmem_tEENKUlT_SE_SF_SG_E_clIS8_S8_S9_S9_EESD_ST_SE_SF_SG_EUlST_E0_NS1_11comp_targetILNS1_3genE9ELNS1_11target_archE1100ELNS1_3gpuE3ELNS1_3repE0EEENS1_38merge_mergepath_config_static_selectorELNS0_4arch9wavefront6targetE1EEEvSF_
	.p2align	8
	.type	_ZN7rocprim17ROCPRIM_400000_NS6detail17trampoline_kernelINS0_14default_configENS1_38merge_sort_block_merge_config_selectorImNS0_10empty_typeEEEZZNS1_27merge_sort_block_merge_implIS3_PmPS5_jNS1_19radix_merge_compareILb1ELb1EmNS0_19identity_decomposerEEEEE10hipError_tT0_T1_T2_jT3_P12ihipStream_tbPNSt15iterator_traitsISE_E10value_typeEPNSK_ISF_E10value_typeEPSG_NS1_7vsmem_tEENKUlT_SE_SF_SG_E_clIS8_S8_S9_S9_EESD_ST_SE_SF_SG_EUlST_E0_NS1_11comp_targetILNS1_3genE9ELNS1_11target_archE1100ELNS1_3gpuE3ELNS1_3repE0EEENS1_38merge_mergepath_config_static_selectorELNS0_4arch9wavefront6targetE1EEEvSF_,@function
_ZN7rocprim17ROCPRIM_400000_NS6detail17trampoline_kernelINS0_14default_configENS1_38merge_sort_block_merge_config_selectorImNS0_10empty_typeEEEZZNS1_27merge_sort_block_merge_implIS3_PmPS5_jNS1_19radix_merge_compareILb1ELb1EmNS0_19identity_decomposerEEEEE10hipError_tT0_T1_T2_jT3_P12ihipStream_tbPNSt15iterator_traitsISE_E10value_typeEPNSK_ISF_E10value_typeEPSG_NS1_7vsmem_tEENKUlT_SE_SF_SG_E_clIS8_S8_S9_S9_EESD_ST_SE_SF_SG_EUlST_E0_NS1_11comp_targetILNS1_3genE9ELNS1_11target_archE1100ELNS1_3gpuE3ELNS1_3repE0EEENS1_38merge_mergepath_config_static_selectorELNS0_4arch9wavefront6targetE1EEEvSF_: ; @_ZN7rocprim17ROCPRIM_400000_NS6detail17trampoline_kernelINS0_14default_configENS1_38merge_sort_block_merge_config_selectorImNS0_10empty_typeEEEZZNS1_27merge_sort_block_merge_implIS3_PmPS5_jNS1_19radix_merge_compareILb1ELb1EmNS0_19identity_decomposerEEEEE10hipError_tT0_T1_T2_jT3_P12ihipStream_tbPNSt15iterator_traitsISE_E10value_typeEPNSK_ISF_E10value_typeEPSG_NS1_7vsmem_tEENKUlT_SE_SF_SG_E_clIS8_S8_S9_S9_EESD_ST_SE_SF_SG_EUlST_E0_NS1_11comp_targetILNS1_3genE9ELNS1_11target_archE1100ELNS1_3gpuE3ELNS1_3repE0EEENS1_38merge_mergepath_config_static_selectorELNS0_4arch9wavefront6targetE1EEEvSF_
; %bb.0:
	.section	.rodata,"a",@progbits
	.p2align	6, 0x0
	.amdhsa_kernel _ZN7rocprim17ROCPRIM_400000_NS6detail17trampoline_kernelINS0_14default_configENS1_38merge_sort_block_merge_config_selectorImNS0_10empty_typeEEEZZNS1_27merge_sort_block_merge_implIS3_PmPS5_jNS1_19radix_merge_compareILb1ELb1EmNS0_19identity_decomposerEEEEE10hipError_tT0_T1_T2_jT3_P12ihipStream_tbPNSt15iterator_traitsISE_E10value_typeEPNSK_ISF_E10value_typeEPSG_NS1_7vsmem_tEENKUlT_SE_SF_SG_E_clIS8_S8_S9_S9_EESD_ST_SE_SF_SG_EUlST_E0_NS1_11comp_targetILNS1_3genE9ELNS1_11target_archE1100ELNS1_3gpuE3ELNS1_3repE0EEENS1_38merge_mergepath_config_static_selectorELNS0_4arch9wavefront6targetE1EEEvSF_
		.amdhsa_group_segment_fixed_size 0
		.amdhsa_private_segment_fixed_size 0
		.amdhsa_kernarg_size 72
		.amdhsa_user_sgpr_count 6
		.amdhsa_user_sgpr_private_segment_buffer 1
		.amdhsa_user_sgpr_dispatch_ptr 0
		.amdhsa_user_sgpr_queue_ptr 0
		.amdhsa_user_sgpr_kernarg_segment_ptr 1
		.amdhsa_user_sgpr_dispatch_id 0
		.amdhsa_user_sgpr_flat_scratch_init 0
		.amdhsa_user_sgpr_kernarg_preload_length 0
		.amdhsa_user_sgpr_kernarg_preload_offset 0
		.amdhsa_user_sgpr_private_segment_size 0
		.amdhsa_uses_dynamic_stack 0
		.amdhsa_system_sgpr_private_segment_wavefront_offset 0
		.amdhsa_system_sgpr_workgroup_id_x 1
		.amdhsa_system_sgpr_workgroup_id_y 0
		.amdhsa_system_sgpr_workgroup_id_z 0
		.amdhsa_system_sgpr_workgroup_info 0
		.amdhsa_system_vgpr_workitem_id 0
		.amdhsa_next_free_vgpr 1
		.amdhsa_next_free_sgpr 0
		.amdhsa_accum_offset 4
		.amdhsa_reserve_vcc 0
		.amdhsa_reserve_flat_scratch 0
		.amdhsa_float_round_mode_32 0
		.amdhsa_float_round_mode_16_64 0
		.amdhsa_float_denorm_mode_32 3
		.amdhsa_float_denorm_mode_16_64 3
		.amdhsa_dx10_clamp 1
		.amdhsa_ieee_mode 1
		.amdhsa_fp16_overflow 0
		.amdhsa_tg_split 0
		.amdhsa_exception_fp_ieee_invalid_op 0
		.amdhsa_exception_fp_denorm_src 0
		.amdhsa_exception_fp_ieee_div_zero 0
		.amdhsa_exception_fp_ieee_overflow 0
		.amdhsa_exception_fp_ieee_underflow 0
		.amdhsa_exception_fp_ieee_inexact 0
		.amdhsa_exception_int_div_zero 0
	.end_amdhsa_kernel
	.section	.text._ZN7rocprim17ROCPRIM_400000_NS6detail17trampoline_kernelINS0_14default_configENS1_38merge_sort_block_merge_config_selectorImNS0_10empty_typeEEEZZNS1_27merge_sort_block_merge_implIS3_PmPS5_jNS1_19radix_merge_compareILb1ELb1EmNS0_19identity_decomposerEEEEE10hipError_tT0_T1_T2_jT3_P12ihipStream_tbPNSt15iterator_traitsISE_E10value_typeEPNSK_ISF_E10value_typeEPSG_NS1_7vsmem_tEENKUlT_SE_SF_SG_E_clIS8_S8_S9_S9_EESD_ST_SE_SF_SG_EUlST_E0_NS1_11comp_targetILNS1_3genE9ELNS1_11target_archE1100ELNS1_3gpuE3ELNS1_3repE0EEENS1_38merge_mergepath_config_static_selectorELNS0_4arch9wavefront6targetE1EEEvSF_,"axG",@progbits,_ZN7rocprim17ROCPRIM_400000_NS6detail17trampoline_kernelINS0_14default_configENS1_38merge_sort_block_merge_config_selectorImNS0_10empty_typeEEEZZNS1_27merge_sort_block_merge_implIS3_PmPS5_jNS1_19radix_merge_compareILb1ELb1EmNS0_19identity_decomposerEEEEE10hipError_tT0_T1_T2_jT3_P12ihipStream_tbPNSt15iterator_traitsISE_E10value_typeEPNSK_ISF_E10value_typeEPSG_NS1_7vsmem_tEENKUlT_SE_SF_SG_E_clIS8_S8_S9_S9_EESD_ST_SE_SF_SG_EUlST_E0_NS1_11comp_targetILNS1_3genE9ELNS1_11target_archE1100ELNS1_3gpuE3ELNS1_3repE0EEENS1_38merge_mergepath_config_static_selectorELNS0_4arch9wavefront6targetE1EEEvSF_,comdat
.Lfunc_end2263:
	.size	_ZN7rocprim17ROCPRIM_400000_NS6detail17trampoline_kernelINS0_14default_configENS1_38merge_sort_block_merge_config_selectorImNS0_10empty_typeEEEZZNS1_27merge_sort_block_merge_implIS3_PmPS5_jNS1_19radix_merge_compareILb1ELb1EmNS0_19identity_decomposerEEEEE10hipError_tT0_T1_T2_jT3_P12ihipStream_tbPNSt15iterator_traitsISE_E10value_typeEPNSK_ISF_E10value_typeEPSG_NS1_7vsmem_tEENKUlT_SE_SF_SG_E_clIS8_S8_S9_S9_EESD_ST_SE_SF_SG_EUlST_E0_NS1_11comp_targetILNS1_3genE9ELNS1_11target_archE1100ELNS1_3gpuE3ELNS1_3repE0EEENS1_38merge_mergepath_config_static_selectorELNS0_4arch9wavefront6targetE1EEEvSF_, .Lfunc_end2263-_ZN7rocprim17ROCPRIM_400000_NS6detail17trampoline_kernelINS0_14default_configENS1_38merge_sort_block_merge_config_selectorImNS0_10empty_typeEEEZZNS1_27merge_sort_block_merge_implIS3_PmPS5_jNS1_19radix_merge_compareILb1ELb1EmNS0_19identity_decomposerEEEEE10hipError_tT0_T1_T2_jT3_P12ihipStream_tbPNSt15iterator_traitsISE_E10value_typeEPNSK_ISF_E10value_typeEPSG_NS1_7vsmem_tEENKUlT_SE_SF_SG_E_clIS8_S8_S9_S9_EESD_ST_SE_SF_SG_EUlST_E0_NS1_11comp_targetILNS1_3genE9ELNS1_11target_archE1100ELNS1_3gpuE3ELNS1_3repE0EEENS1_38merge_mergepath_config_static_selectorELNS0_4arch9wavefront6targetE1EEEvSF_
                                        ; -- End function
	.section	.AMDGPU.csdata,"",@progbits
; Kernel info:
; codeLenInByte = 0
; NumSgprs: 4
; NumVgprs: 0
; NumAgprs: 0
; TotalNumVgprs: 0
; ScratchSize: 0
; MemoryBound: 0
; FloatMode: 240
; IeeeMode: 1
; LDSByteSize: 0 bytes/workgroup (compile time only)
; SGPRBlocks: 0
; VGPRBlocks: 0
; NumSGPRsForWavesPerEU: 4
; NumVGPRsForWavesPerEU: 1
; AccumOffset: 4
; Occupancy: 8
; WaveLimiterHint : 0
; COMPUTE_PGM_RSRC2:SCRATCH_EN: 0
; COMPUTE_PGM_RSRC2:USER_SGPR: 6
; COMPUTE_PGM_RSRC2:TRAP_HANDLER: 0
; COMPUTE_PGM_RSRC2:TGID_X_EN: 1
; COMPUTE_PGM_RSRC2:TGID_Y_EN: 0
; COMPUTE_PGM_RSRC2:TGID_Z_EN: 0
; COMPUTE_PGM_RSRC2:TIDIG_COMP_CNT: 0
; COMPUTE_PGM_RSRC3_GFX90A:ACCUM_OFFSET: 0
; COMPUTE_PGM_RSRC3_GFX90A:TG_SPLIT: 0
	.section	.text._ZN7rocprim17ROCPRIM_400000_NS6detail17trampoline_kernelINS0_14default_configENS1_38merge_sort_block_merge_config_selectorImNS0_10empty_typeEEEZZNS1_27merge_sort_block_merge_implIS3_PmPS5_jNS1_19radix_merge_compareILb1ELb1EmNS0_19identity_decomposerEEEEE10hipError_tT0_T1_T2_jT3_P12ihipStream_tbPNSt15iterator_traitsISE_E10value_typeEPNSK_ISF_E10value_typeEPSG_NS1_7vsmem_tEENKUlT_SE_SF_SG_E_clIS8_S8_S9_S9_EESD_ST_SE_SF_SG_EUlST_E0_NS1_11comp_targetILNS1_3genE8ELNS1_11target_archE1030ELNS1_3gpuE2ELNS1_3repE0EEENS1_38merge_mergepath_config_static_selectorELNS0_4arch9wavefront6targetE1EEEvSF_,"axG",@progbits,_ZN7rocprim17ROCPRIM_400000_NS6detail17trampoline_kernelINS0_14default_configENS1_38merge_sort_block_merge_config_selectorImNS0_10empty_typeEEEZZNS1_27merge_sort_block_merge_implIS3_PmPS5_jNS1_19radix_merge_compareILb1ELb1EmNS0_19identity_decomposerEEEEE10hipError_tT0_T1_T2_jT3_P12ihipStream_tbPNSt15iterator_traitsISE_E10value_typeEPNSK_ISF_E10value_typeEPSG_NS1_7vsmem_tEENKUlT_SE_SF_SG_E_clIS8_S8_S9_S9_EESD_ST_SE_SF_SG_EUlST_E0_NS1_11comp_targetILNS1_3genE8ELNS1_11target_archE1030ELNS1_3gpuE2ELNS1_3repE0EEENS1_38merge_mergepath_config_static_selectorELNS0_4arch9wavefront6targetE1EEEvSF_,comdat
	.protected	_ZN7rocprim17ROCPRIM_400000_NS6detail17trampoline_kernelINS0_14default_configENS1_38merge_sort_block_merge_config_selectorImNS0_10empty_typeEEEZZNS1_27merge_sort_block_merge_implIS3_PmPS5_jNS1_19radix_merge_compareILb1ELb1EmNS0_19identity_decomposerEEEEE10hipError_tT0_T1_T2_jT3_P12ihipStream_tbPNSt15iterator_traitsISE_E10value_typeEPNSK_ISF_E10value_typeEPSG_NS1_7vsmem_tEENKUlT_SE_SF_SG_E_clIS8_S8_S9_S9_EESD_ST_SE_SF_SG_EUlST_E0_NS1_11comp_targetILNS1_3genE8ELNS1_11target_archE1030ELNS1_3gpuE2ELNS1_3repE0EEENS1_38merge_mergepath_config_static_selectorELNS0_4arch9wavefront6targetE1EEEvSF_ ; -- Begin function _ZN7rocprim17ROCPRIM_400000_NS6detail17trampoline_kernelINS0_14default_configENS1_38merge_sort_block_merge_config_selectorImNS0_10empty_typeEEEZZNS1_27merge_sort_block_merge_implIS3_PmPS5_jNS1_19radix_merge_compareILb1ELb1EmNS0_19identity_decomposerEEEEE10hipError_tT0_T1_T2_jT3_P12ihipStream_tbPNSt15iterator_traitsISE_E10value_typeEPNSK_ISF_E10value_typeEPSG_NS1_7vsmem_tEENKUlT_SE_SF_SG_E_clIS8_S8_S9_S9_EESD_ST_SE_SF_SG_EUlST_E0_NS1_11comp_targetILNS1_3genE8ELNS1_11target_archE1030ELNS1_3gpuE2ELNS1_3repE0EEENS1_38merge_mergepath_config_static_selectorELNS0_4arch9wavefront6targetE1EEEvSF_
	.globl	_ZN7rocprim17ROCPRIM_400000_NS6detail17trampoline_kernelINS0_14default_configENS1_38merge_sort_block_merge_config_selectorImNS0_10empty_typeEEEZZNS1_27merge_sort_block_merge_implIS3_PmPS5_jNS1_19radix_merge_compareILb1ELb1EmNS0_19identity_decomposerEEEEE10hipError_tT0_T1_T2_jT3_P12ihipStream_tbPNSt15iterator_traitsISE_E10value_typeEPNSK_ISF_E10value_typeEPSG_NS1_7vsmem_tEENKUlT_SE_SF_SG_E_clIS8_S8_S9_S9_EESD_ST_SE_SF_SG_EUlST_E0_NS1_11comp_targetILNS1_3genE8ELNS1_11target_archE1030ELNS1_3gpuE2ELNS1_3repE0EEENS1_38merge_mergepath_config_static_selectorELNS0_4arch9wavefront6targetE1EEEvSF_
	.p2align	8
	.type	_ZN7rocprim17ROCPRIM_400000_NS6detail17trampoline_kernelINS0_14default_configENS1_38merge_sort_block_merge_config_selectorImNS0_10empty_typeEEEZZNS1_27merge_sort_block_merge_implIS3_PmPS5_jNS1_19radix_merge_compareILb1ELb1EmNS0_19identity_decomposerEEEEE10hipError_tT0_T1_T2_jT3_P12ihipStream_tbPNSt15iterator_traitsISE_E10value_typeEPNSK_ISF_E10value_typeEPSG_NS1_7vsmem_tEENKUlT_SE_SF_SG_E_clIS8_S8_S9_S9_EESD_ST_SE_SF_SG_EUlST_E0_NS1_11comp_targetILNS1_3genE8ELNS1_11target_archE1030ELNS1_3gpuE2ELNS1_3repE0EEENS1_38merge_mergepath_config_static_selectorELNS0_4arch9wavefront6targetE1EEEvSF_,@function
_ZN7rocprim17ROCPRIM_400000_NS6detail17trampoline_kernelINS0_14default_configENS1_38merge_sort_block_merge_config_selectorImNS0_10empty_typeEEEZZNS1_27merge_sort_block_merge_implIS3_PmPS5_jNS1_19radix_merge_compareILb1ELb1EmNS0_19identity_decomposerEEEEE10hipError_tT0_T1_T2_jT3_P12ihipStream_tbPNSt15iterator_traitsISE_E10value_typeEPNSK_ISF_E10value_typeEPSG_NS1_7vsmem_tEENKUlT_SE_SF_SG_E_clIS8_S8_S9_S9_EESD_ST_SE_SF_SG_EUlST_E0_NS1_11comp_targetILNS1_3genE8ELNS1_11target_archE1030ELNS1_3gpuE2ELNS1_3repE0EEENS1_38merge_mergepath_config_static_selectorELNS0_4arch9wavefront6targetE1EEEvSF_: ; @_ZN7rocprim17ROCPRIM_400000_NS6detail17trampoline_kernelINS0_14default_configENS1_38merge_sort_block_merge_config_selectorImNS0_10empty_typeEEEZZNS1_27merge_sort_block_merge_implIS3_PmPS5_jNS1_19radix_merge_compareILb1ELb1EmNS0_19identity_decomposerEEEEE10hipError_tT0_T1_T2_jT3_P12ihipStream_tbPNSt15iterator_traitsISE_E10value_typeEPNSK_ISF_E10value_typeEPSG_NS1_7vsmem_tEENKUlT_SE_SF_SG_E_clIS8_S8_S9_S9_EESD_ST_SE_SF_SG_EUlST_E0_NS1_11comp_targetILNS1_3genE8ELNS1_11target_archE1030ELNS1_3gpuE2ELNS1_3repE0EEENS1_38merge_mergepath_config_static_selectorELNS0_4arch9wavefront6targetE1EEEvSF_
; %bb.0:
	.section	.rodata,"a",@progbits
	.p2align	6, 0x0
	.amdhsa_kernel _ZN7rocprim17ROCPRIM_400000_NS6detail17trampoline_kernelINS0_14default_configENS1_38merge_sort_block_merge_config_selectorImNS0_10empty_typeEEEZZNS1_27merge_sort_block_merge_implIS3_PmPS5_jNS1_19radix_merge_compareILb1ELb1EmNS0_19identity_decomposerEEEEE10hipError_tT0_T1_T2_jT3_P12ihipStream_tbPNSt15iterator_traitsISE_E10value_typeEPNSK_ISF_E10value_typeEPSG_NS1_7vsmem_tEENKUlT_SE_SF_SG_E_clIS8_S8_S9_S9_EESD_ST_SE_SF_SG_EUlST_E0_NS1_11comp_targetILNS1_3genE8ELNS1_11target_archE1030ELNS1_3gpuE2ELNS1_3repE0EEENS1_38merge_mergepath_config_static_selectorELNS0_4arch9wavefront6targetE1EEEvSF_
		.amdhsa_group_segment_fixed_size 0
		.amdhsa_private_segment_fixed_size 0
		.amdhsa_kernarg_size 72
		.amdhsa_user_sgpr_count 6
		.amdhsa_user_sgpr_private_segment_buffer 1
		.amdhsa_user_sgpr_dispatch_ptr 0
		.amdhsa_user_sgpr_queue_ptr 0
		.amdhsa_user_sgpr_kernarg_segment_ptr 1
		.amdhsa_user_sgpr_dispatch_id 0
		.amdhsa_user_sgpr_flat_scratch_init 0
		.amdhsa_user_sgpr_kernarg_preload_length 0
		.amdhsa_user_sgpr_kernarg_preload_offset 0
		.amdhsa_user_sgpr_private_segment_size 0
		.amdhsa_uses_dynamic_stack 0
		.amdhsa_system_sgpr_private_segment_wavefront_offset 0
		.amdhsa_system_sgpr_workgroup_id_x 1
		.amdhsa_system_sgpr_workgroup_id_y 0
		.amdhsa_system_sgpr_workgroup_id_z 0
		.amdhsa_system_sgpr_workgroup_info 0
		.amdhsa_system_vgpr_workitem_id 0
		.amdhsa_next_free_vgpr 1
		.amdhsa_next_free_sgpr 0
		.amdhsa_accum_offset 4
		.amdhsa_reserve_vcc 0
		.amdhsa_reserve_flat_scratch 0
		.amdhsa_float_round_mode_32 0
		.amdhsa_float_round_mode_16_64 0
		.amdhsa_float_denorm_mode_32 3
		.amdhsa_float_denorm_mode_16_64 3
		.amdhsa_dx10_clamp 1
		.amdhsa_ieee_mode 1
		.amdhsa_fp16_overflow 0
		.amdhsa_tg_split 0
		.amdhsa_exception_fp_ieee_invalid_op 0
		.amdhsa_exception_fp_denorm_src 0
		.amdhsa_exception_fp_ieee_div_zero 0
		.amdhsa_exception_fp_ieee_overflow 0
		.amdhsa_exception_fp_ieee_underflow 0
		.amdhsa_exception_fp_ieee_inexact 0
		.amdhsa_exception_int_div_zero 0
	.end_amdhsa_kernel
	.section	.text._ZN7rocprim17ROCPRIM_400000_NS6detail17trampoline_kernelINS0_14default_configENS1_38merge_sort_block_merge_config_selectorImNS0_10empty_typeEEEZZNS1_27merge_sort_block_merge_implIS3_PmPS5_jNS1_19radix_merge_compareILb1ELb1EmNS0_19identity_decomposerEEEEE10hipError_tT0_T1_T2_jT3_P12ihipStream_tbPNSt15iterator_traitsISE_E10value_typeEPNSK_ISF_E10value_typeEPSG_NS1_7vsmem_tEENKUlT_SE_SF_SG_E_clIS8_S8_S9_S9_EESD_ST_SE_SF_SG_EUlST_E0_NS1_11comp_targetILNS1_3genE8ELNS1_11target_archE1030ELNS1_3gpuE2ELNS1_3repE0EEENS1_38merge_mergepath_config_static_selectorELNS0_4arch9wavefront6targetE1EEEvSF_,"axG",@progbits,_ZN7rocprim17ROCPRIM_400000_NS6detail17trampoline_kernelINS0_14default_configENS1_38merge_sort_block_merge_config_selectorImNS0_10empty_typeEEEZZNS1_27merge_sort_block_merge_implIS3_PmPS5_jNS1_19radix_merge_compareILb1ELb1EmNS0_19identity_decomposerEEEEE10hipError_tT0_T1_T2_jT3_P12ihipStream_tbPNSt15iterator_traitsISE_E10value_typeEPNSK_ISF_E10value_typeEPSG_NS1_7vsmem_tEENKUlT_SE_SF_SG_E_clIS8_S8_S9_S9_EESD_ST_SE_SF_SG_EUlST_E0_NS1_11comp_targetILNS1_3genE8ELNS1_11target_archE1030ELNS1_3gpuE2ELNS1_3repE0EEENS1_38merge_mergepath_config_static_selectorELNS0_4arch9wavefront6targetE1EEEvSF_,comdat
.Lfunc_end2264:
	.size	_ZN7rocprim17ROCPRIM_400000_NS6detail17trampoline_kernelINS0_14default_configENS1_38merge_sort_block_merge_config_selectorImNS0_10empty_typeEEEZZNS1_27merge_sort_block_merge_implIS3_PmPS5_jNS1_19radix_merge_compareILb1ELb1EmNS0_19identity_decomposerEEEEE10hipError_tT0_T1_T2_jT3_P12ihipStream_tbPNSt15iterator_traitsISE_E10value_typeEPNSK_ISF_E10value_typeEPSG_NS1_7vsmem_tEENKUlT_SE_SF_SG_E_clIS8_S8_S9_S9_EESD_ST_SE_SF_SG_EUlST_E0_NS1_11comp_targetILNS1_3genE8ELNS1_11target_archE1030ELNS1_3gpuE2ELNS1_3repE0EEENS1_38merge_mergepath_config_static_selectorELNS0_4arch9wavefront6targetE1EEEvSF_, .Lfunc_end2264-_ZN7rocprim17ROCPRIM_400000_NS6detail17trampoline_kernelINS0_14default_configENS1_38merge_sort_block_merge_config_selectorImNS0_10empty_typeEEEZZNS1_27merge_sort_block_merge_implIS3_PmPS5_jNS1_19radix_merge_compareILb1ELb1EmNS0_19identity_decomposerEEEEE10hipError_tT0_T1_T2_jT3_P12ihipStream_tbPNSt15iterator_traitsISE_E10value_typeEPNSK_ISF_E10value_typeEPSG_NS1_7vsmem_tEENKUlT_SE_SF_SG_E_clIS8_S8_S9_S9_EESD_ST_SE_SF_SG_EUlST_E0_NS1_11comp_targetILNS1_3genE8ELNS1_11target_archE1030ELNS1_3gpuE2ELNS1_3repE0EEENS1_38merge_mergepath_config_static_selectorELNS0_4arch9wavefront6targetE1EEEvSF_
                                        ; -- End function
	.section	.AMDGPU.csdata,"",@progbits
; Kernel info:
; codeLenInByte = 0
; NumSgprs: 4
; NumVgprs: 0
; NumAgprs: 0
; TotalNumVgprs: 0
; ScratchSize: 0
; MemoryBound: 0
; FloatMode: 240
; IeeeMode: 1
; LDSByteSize: 0 bytes/workgroup (compile time only)
; SGPRBlocks: 0
; VGPRBlocks: 0
; NumSGPRsForWavesPerEU: 4
; NumVGPRsForWavesPerEU: 1
; AccumOffset: 4
; Occupancy: 8
; WaveLimiterHint : 0
; COMPUTE_PGM_RSRC2:SCRATCH_EN: 0
; COMPUTE_PGM_RSRC2:USER_SGPR: 6
; COMPUTE_PGM_RSRC2:TRAP_HANDLER: 0
; COMPUTE_PGM_RSRC2:TGID_X_EN: 1
; COMPUTE_PGM_RSRC2:TGID_Y_EN: 0
; COMPUTE_PGM_RSRC2:TGID_Z_EN: 0
; COMPUTE_PGM_RSRC2:TIDIG_COMP_CNT: 0
; COMPUTE_PGM_RSRC3_GFX90A:ACCUM_OFFSET: 0
; COMPUTE_PGM_RSRC3_GFX90A:TG_SPLIT: 0
	.section	.text._ZN7rocprim17ROCPRIM_400000_NS6detail17trampoline_kernelINS0_14default_configENS1_38merge_sort_block_merge_config_selectorImNS0_10empty_typeEEEZZNS1_27merge_sort_block_merge_implIS3_PmPS5_jNS1_19radix_merge_compareILb1ELb1EmNS0_19identity_decomposerEEEEE10hipError_tT0_T1_T2_jT3_P12ihipStream_tbPNSt15iterator_traitsISE_E10value_typeEPNSK_ISF_E10value_typeEPSG_NS1_7vsmem_tEENKUlT_SE_SF_SG_E_clIS8_S8_S9_S9_EESD_ST_SE_SF_SG_EUlST_E1_NS1_11comp_targetILNS1_3genE0ELNS1_11target_archE4294967295ELNS1_3gpuE0ELNS1_3repE0EEENS1_36merge_oddeven_config_static_selectorELNS0_4arch9wavefront6targetE1EEEvSF_,"axG",@progbits,_ZN7rocprim17ROCPRIM_400000_NS6detail17trampoline_kernelINS0_14default_configENS1_38merge_sort_block_merge_config_selectorImNS0_10empty_typeEEEZZNS1_27merge_sort_block_merge_implIS3_PmPS5_jNS1_19radix_merge_compareILb1ELb1EmNS0_19identity_decomposerEEEEE10hipError_tT0_T1_T2_jT3_P12ihipStream_tbPNSt15iterator_traitsISE_E10value_typeEPNSK_ISF_E10value_typeEPSG_NS1_7vsmem_tEENKUlT_SE_SF_SG_E_clIS8_S8_S9_S9_EESD_ST_SE_SF_SG_EUlST_E1_NS1_11comp_targetILNS1_3genE0ELNS1_11target_archE4294967295ELNS1_3gpuE0ELNS1_3repE0EEENS1_36merge_oddeven_config_static_selectorELNS0_4arch9wavefront6targetE1EEEvSF_,comdat
	.protected	_ZN7rocprim17ROCPRIM_400000_NS6detail17trampoline_kernelINS0_14default_configENS1_38merge_sort_block_merge_config_selectorImNS0_10empty_typeEEEZZNS1_27merge_sort_block_merge_implIS3_PmPS5_jNS1_19radix_merge_compareILb1ELb1EmNS0_19identity_decomposerEEEEE10hipError_tT0_T1_T2_jT3_P12ihipStream_tbPNSt15iterator_traitsISE_E10value_typeEPNSK_ISF_E10value_typeEPSG_NS1_7vsmem_tEENKUlT_SE_SF_SG_E_clIS8_S8_S9_S9_EESD_ST_SE_SF_SG_EUlST_E1_NS1_11comp_targetILNS1_3genE0ELNS1_11target_archE4294967295ELNS1_3gpuE0ELNS1_3repE0EEENS1_36merge_oddeven_config_static_selectorELNS0_4arch9wavefront6targetE1EEEvSF_ ; -- Begin function _ZN7rocprim17ROCPRIM_400000_NS6detail17trampoline_kernelINS0_14default_configENS1_38merge_sort_block_merge_config_selectorImNS0_10empty_typeEEEZZNS1_27merge_sort_block_merge_implIS3_PmPS5_jNS1_19radix_merge_compareILb1ELb1EmNS0_19identity_decomposerEEEEE10hipError_tT0_T1_T2_jT3_P12ihipStream_tbPNSt15iterator_traitsISE_E10value_typeEPNSK_ISF_E10value_typeEPSG_NS1_7vsmem_tEENKUlT_SE_SF_SG_E_clIS8_S8_S9_S9_EESD_ST_SE_SF_SG_EUlST_E1_NS1_11comp_targetILNS1_3genE0ELNS1_11target_archE4294967295ELNS1_3gpuE0ELNS1_3repE0EEENS1_36merge_oddeven_config_static_selectorELNS0_4arch9wavefront6targetE1EEEvSF_
	.globl	_ZN7rocprim17ROCPRIM_400000_NS6detail17trampoline_kernelINS0_14default_configENS1_38merge_sort_block_merge_config_selectorImNS0_10empty_typeEEEZZNS1_27merge_sort_block_merge_implIS3_PmPS5_jNS1_19radix_merge_compareILb1ELb1EmNS0_19identity_decomposerEEEEE10hipError_tT0_T1_T2_jT3_P12ihipStream_tbPNSt15iterator_traitsISE_E10value_typeEPNSK_ISF_E10value_typeEPSG_NS1_7vsmem_tEENKUlT_SE_SF_SG_E_clIS8_S8_S9_S9_EESD_ST_SE_SF_SG_EUlST_E1_NS1_11comp_targetILNS1_3genE0ELNS1_11target_archE4294967295ELNS1_3gpuE0ELNS1_3repE0EEENS1_36merge_oddeven_config_static_selectorELNS0_4arch9wavefront6targetE1EEEvSF_
	.p2align	8
	.type	_ZN7rocprim17ROCPRIM_400000_NS6detail17trampoline_kernelINS0_14default_configENS1_38merge_sort_block_merge_config_selectorImNS0_10empty_typeEEEZZNS1_27merge_sort_block_merge_implIS3_PmPS5_jNS1_19radix_merge_compareILb1ELb1EmNS0_19identity_decomposerEEEEE10hipError_tT0_T1_T2_jT3_P12ihipStream_tbPNSt15iterator_traitsISE_E10value_typeEPNSK_ISF_E10value_typeEPSG_NS1_7vsmem_tEENKUlT_SE_SF_SG_E_clIS8_S8_S9_S9_EESD_ST_SE_SF_SG_EUlST_E1_NS1_11comp_targetILNS1_3genE0ELNS1_11target_archE4294967295ELNS1_3gpuE0ELNS1_3repE0EEENS1_36merge_oddeven_config_static_selectorELNS0_4arch9wavefront6targetE1EEEvSF_,@function
_ZN7rocprim17ROCPRIM_400000_NS6detail17trampoline_kernelINS0_14default_configENS1_38merge_sort_block_merge_config_selectorImNS0_10empty_typeEEEZZNS1_27merge_sort_block_merge_implIS3_PmPS5_jNS1_19radix_merge_compareILb1ELb1EmNS0_19identity_decomposerEEEEE10hipError_tT0_T1_T2_jT3_P12ihipStream_tbPNSt15iterator_traitsISE_E10value_typeEPNSK_ISF_E10value_typeEPSG_NS1_7vsmem_tEENKUlT_SE_SF_SG_E_clIS8_S8_S9_S9_EESD_ST_SE_SF_SG_EUlST_E1_NS1_11comp_targetILNS1_3genE0ELNS1_11target_archE4294967295ELNS1_3gpuE0ELNS1_3repE0EEENS1_36merge_oddeven_config_static_selectorELNS0_4arch9wavefront6targetE1EEEvSF_: ; @_ZN7rocprim17ROCPRIM_400000_NS6detail17trampoline_kernelINS0_14default_configENS1_38merge_sort_block_merge_config_selectorImNS0_10empty_typeEEEZZNS1_27merge_sort_block_merge_implIS3_PmPS5_jNS1_19radix_merge_compareILb1ELb1EmNS0_19identity_decomposerEEEEE10hipError_tT0_T1_T2_jT3_P12ihipStream_tbPNSt15iterator_traitsISE_E10value_typeEPNSK_ISF_E10value_typeEPSG_NS1_7vsmem_tEENKUlT_SE_SF_SG_E_clIS8_S8_S9_S9_EESD_ST_SE_SF_SG_EUlST_E1_NS1_11comp_targetILNS1_3genE0ELNS1_11target_archE4294967295ELNS1_3gpuE0ELNS1_3repE0EEENS1_36merge_oddeven_config_static_selectorELNS0_4arch9wavefront6targetE1EEEvSF_
; %bb.0:
	.section	.rodata,"a",@progbits
	.p2align	6, 0x0
	.amdhsa_kernel _ZN7rocprim17ROCPRIM_400000_NS6detail17trampoline_kernelINS0_14default_configENS1_38merge_sort_block_merge_config_selectorImNS0_10empty_typeEEEZZNS1_27merge_sort_block_merge_implIS3_PmPS5_jNS1_19radix_merge_compareILb1ELb1EmNS0_19identity_decomposerEEEEE10hipError_tT0_T1_T2_jT3_P12ihipStream_tbPNSt15iterator_traitsISE_E10value_typeEPNSK_ISF_E10value_typeEPSG_NS1_7vsmem_tEENKUlT_SE_SF_SG_E_clIS8_S8_S9_S9_EESD_ST_SE_SF_SG_EUlST_E1_NS1_11comp_targetILNS1_3genE0ELNS1_11target_archE4294967295ELNS1_3gpuE0ELNS1_3repE0EEENS1_36merge_oddeven_config_static_selectorELNS0_4arch9wavefront6targetE1EEEvSF_
		.amdhsa_group_segment_fixed_size 0
		.amdhsa_private_segment_fixed_size 0
		.amdhsa_kernarg_size 48
		.amdhsa_user_sgpr_count 6
		.amdhsa_user_sgpr_private_segment_buffer 1
		.amdhsa_user_sgpr_dispatch_ptr 0
		.amdhsa_user_sgpr_queue_ptr 0
		.amdhsa_user_sgpr_kernarg_segment_ptr 1
		.amdhsa_user_sgpr_dispatch_id 0
		.amdhsa_user_sgpr_flat_scratch_init 0
		.amdhsa_user_sgpr_kernarg_preload_length 0
		.amdhsa_user_sgpr_kernarg_preload_offset 0
		.amdhsa_user_sgpr_private_segment_size 0
		.amdhsa_uses_dynamic_stack 0
		.amdhsa_system_sgpr_private_segment_wavefront_offset 0
		.amdhsa_system_sgpr_workgroup_id_x 1
		.amdhsa_system_sgpr_workgroup_id_y 0
		.amdhsa_system_sgpr_workgroup_id_z 0
		.amdhsa_system_sgpr_workgroup_info 0
		.amdhsa_system_vgpr_workitem_id 0
		.amdhsa_next_free_vgpr 1
		.amdhsa_next_free_sgpr 0
		.amdhsa_accum_offset 4
		.amdhsa_reserve_vcc 0
		.amdhsa_reserve_flat_scratch 0
		.amdhsa_float_round_mode_32 0
		.amdhsa_float_round_mode_16_64 0
		.amdhsa_float_denorm_mode_32 3
		.amdhsa_float_denorm_mode_16_64 3
		.amdhsa_dx10_clamp 1
		.amdhsa_ieee_mode 1
		.amdhsa_fp16_overflow 0
		.amdhsa_tg_split 0
		.amdhsa_exception_fp_ieee_invalid_op 0
		.amdhsa_exception_fp_denorm_src 0
		.amdhsa_exception_fp_ieee_div_zero 0
		.amdhsa_exception_fp_ieee_overflow 0
		.amdhsa_exception_fp_ieee_underflow 0
		.amdhsa_exception_fp_ieee_inexact 0
		.amdhsa_exception_int_div_zero 0
	.end_amdhsa_kernel
	.section	.text._ZN7rocprim17ROCPRIM_400000_NS6detail17trampoline_kernelINS0_14default_configENS1_38merge_sort_block_merge_config_selectorImNS0_10empty_typeEEEZZNS1_27merge_sort_block_merge_implIS3_PmPS5_jNS1_19radix_merge_compareILb1ELb1EmNS0_19identity_decomposerEEEEE10hipError_tT0_T1_T2_jT3_P12ihipStream_tbPNSt15iterator_traitsISE_E10value_typeEPNSK_ISF_E10value_typeEPSG_NS1_7vsmem_tEENKUlT_SE_SF_SG_E_clIS8_S8_S9_S9_EESD_ST_SE_SF_SG_EUlST_E1_NS1_11comp_targetILNS1_3genE0ELNS1_11target_archE4294967295ELNS1_3gpuE0ELNS1_3repE0EEENS1_36merge_oddeven_config_static_selectorELNS0_4arch9wavefront6targetE1EEEvSF_,"axG",@progbits,_ZN7rocprim17ROCPRIM_400000_NS6detail17trampoline_kernelINS0_14default_configENS1_38merge_sort_block_merge_config_selectorImNS0_10empty_typeEEEZZNS1_27merge_sort_block_merge_implIS3_PmPS5_jNS1_19radix_merge_compareILb1ELb1EmNS0_19identity_decomposerEEEEE10hipError_tT0_T1_T2_jT3_P12ihipStream_tbPNSt15iterator_traitsISE_E10value_typeEPNSK_ISF_E10value_typeEPSG_NS1_7vsmem_tEENKUlT_SE_SF_SG_E_clIS8_S8_S9_S9_EESD_ST_SE_SF_SG_EUlST_E1_NS1_11comp_targetILNS1_3genE0ELNS1_11target_archE4294967295ELNS1_3gpuE0ELNS1_3repE0EEENS1_36merge_oddeven_config_static_selectorELNS0_4arch9wavefront6targetE1EEEvSF_,comdat
.Lfunc_end2265:
	.size	_ZN7rocprim17ROCPRIM_400000_NS6detail17trampoline_kernelINS0_14default_configENS1_38merge_sort_block_merge_config_selectorImNS0_10empty_typeEEEZZNS1_27merge_sort_block_merge_implIS3_PmPS5_jNS1_19radix_merge_compareILb1ELb1EmNS0_19identity_decomposerEEEEE10hipError_tT0_T1_T2_jT3_P12ihipStream_tbPNSt15iterator_traitsISE_E10value_typeEPNSK_ISF_E10value_typeEPSG_NS1_7vsmem_tEENKUlT_SE_SF_SG_E_clIS8_S8_S9_S9_EESD_ST_SE_SF_SG_EUlST_E1_NS1_11comp_targetILNS1_3genE0ELNS1_11target_archE4294967295ELNS1_3gpuE0ELNS1_3repE0EEENS1_36merge_oddeven_config_static_selectorELNS0_4arch9wavefront6targetE1EEEvSF_, .Lfunc_end2265-_ZN7rocprim17ROCPRIM_400000_NS6detail17trampoline_kernelINS0_14default_configENS1_38merge_sort_block_merge_config_selectorImNS0_10empty_typeEEEZZNS1_27merge_sort_block_merge_implIS3_PmPS5_jNS1_19radix_merge_compareILb1ELb1EmNS0_19identity_decomposerEEEEE10hipError_tT0_T1_T2_jT3_P12ihipStream_tbPNSt15iterator_traitsISE_E10value_typeEPNSK_ISF_E10value_typeEPSG_NS1_7vsmem_tEENKUlT_SE_SF_SG_E_clIS8_S8_S9_S9_EESD_ST_SE_SF_SG_EUlST_E1_NS1_11comp_targetILNS1_3genE0ELNS1_11target_archE4294967295ELNS1_3gpuE0ELNS1_3repE0EEENS1_36merge_oddeven_config_static_selectorELNS0_4arch9wavefront6targetE1EEEvSF_
                                        ; -- End function
	.section	.AMDGPU.csdata,"",@progbits
; Kernel info:
; codeLenInByte = 0
; NumSgprs: 4
; NumVgprs: 0
; NumAgprs: 0
; TotalNumVgprs: 0
; ScratchSize: 0
; MemoryBound: 0
; FloatMode: 240
; IeeeMode: 1
; LDSByteSize: 0 bytes/workgroup (compile time only)
; SGPRBlocks: 0
; VGPRBlocks: 0
; NumSGPRsForWavesPerEU: 4
; NumVGPRsForWavesPerEU: 1
; AccumOffset: 4
; Occupancy: 8
; WaveLimiterHint : 0
; COMPUTE_PGM_RSRC2:SCRATCH_EN: 0
; COMPUTE_PGM_RSRC2:USER_SGPR: 6
; COMPUTE_PGM_RSRC2:TRAP_HANDLER: 0
; COMPUTE_PGM_RSRC2:TGID_X_EN: 1
; COMPUTE_PGM_RSRC2:TGID_Y_EN: 0
; COMPUTE_PGM_RSRC2:TGID_Z_EN: 0
; COMPUTE_PGM_RSRC2:TIDIG_COMP_CNT: 0
; COMPUTE_PGM_RSRC3_GFX90A:ACCUM_OFFSET: 0
; COMPUTE_PGM_RSRC3_GFX90A:TG_SPLIT: 0
	.section	.text._ZN7rocprim17ROCPRIM_400000_NS6detail17trampoline_kernelINS0_14default_configENS1_38merge_sort_block_merge_config_selectorImNS0_10empty_typeEEEZZNS1_27merge_sort_block_merge_implIS3_PmPS5_jNS1_19radix_merge_compareILb1ELb1EmNS0_19identity_decomposerEEEEE10hipError_tT0_T1_T2_jT3_P12ihipStream_tbPNSt15iterator_traitsISE_E10value_typeEPNSK_ISF_E10value_typeEPSG_NS1_7vsmem_tEENKUlT_SE_SF_SG_E_clIS8_S8_S9_S9_EESD_ST_SE_SF_SG_EUlST_E1_NS1_11comp_targetILNS1_3genE10ELNS1_11target_archE1201ELNS1_3gpuE5ELNS1_3repE0EEENS1_36merge_oddeven_config_static_selectorELNS0_4arch9wavefront6targetE1EEEvSF_,"axG",@progbits,_ZN7rocprim17ROCPRIM_400000_NS6detail17trampoline_kernelINS0_14default_configENS1_38merge_sort_block_merge_config_selectorImNS0_10empty_typeEEEZZNS1_27merge_sort_block_merge_implIS3_PmPS5_jNS1_19radix_merge_compareILb1ELb1EmNS0_19identity_decomposerEEEEE10hipError_tT0_T1_T2_jT3_P12ihipStream_tbPNSt15iterator_traitsISE_E10value_typeEPNSK_ISF_E10value_typeEPSG_NS1_7vsmem_tEENKUlT_SE_SF_SG_E_clIS8_S8_S9_S9_EESD_ST_SE_SF_SG_EUlST_E1_NS1_11comp_targetILNS1_3genE10ELNS1_11target_archE1201ELNS1_3gpuE5ELNS1_3repE0EEENS1_36merge_oddeven_config_static_selectorELNS0_4arch9wavefront6targetE1EEEvSF_,comdat
	.protected	_ZN7rocprim17ROCPRIM_400000_NS6detail17trampoline_kernelINS0_14default_configENS1_38merge_sort_block_merge_config_selectorImNS0_10empty_typeEEEZZNS1_27merge_sort_block_merge_implIS3_PmPS5_jNS1_19radix_merge_compareILb1ELb1EmNS0_19identity_decomposerEEEEE10hipError_tT0_T1_T2_jT3_P12ihipStream_tbPNSt15iterator_traitsISE_E10value_typeEPNSK_ISF_E10value_typeEPSG_NS1_7vsmem_tEENKUlT_SE_SF_SG_E_clIS8_S8_S9_S9_EESD_ST_SE_SF_SG_EUlST_E1_NS1_11comp_targetILNS1_3genE10ELNS1_11target_archE1201ELNS1_3gpuE5ELNS1_3repE0EEENS1_36merge_oddeven_config_static_selectorELNS0_4arch9wavefront6targetE1EEEvSF_ ; -- Begin function _ZN7rocprim17ROCPRIM_400000_NS6detail17trampoline_kernelINS0_14default_configENS1_38merge_sort_block_merge_config_selectorImNS0_10empty_typeEEEZZNS1_27merge_sort_block_merge_implIS3_PmPS5_jNS1_19radix_merge_compareILb1ELb1EmNS0_19identity_decomposerEEEEE10hipError_tT0_T1_T2_jT3_P12ihipStream_tbPNSt15iterator_traitsISE_E10value_typeEPNSK_ISF_E10value_typeEPSG_NS1_7vsmem_tEENKUlT_SE_SF_SG_E_clIS8_S8_S9_S9_EESD_ST_SE_SF_SG_EUlST_E1_NS1_11comp_targetILNS1_3genE10ELNS1_11target_archE1201ELNS1_3gpuE5ELNS1_3repE0EEENS1_36merge_oddeven_config_static_selectorELNS0_4arch9wavefront6targetE1EEEvSF_
	.globl	_ZN7rocprim17ROCPRIM_400000_NS6detail17trampoline_kernelINS0_14default_configENS1_38merge_sort_block_merge_config_selectorImNS0_10empty_typeEEEZZNS1_27merge_sort_block_merge_implIS3_PmPS5_jNS1_19radix_merge_compareILb1ELb1EmNS0_19identity_decomposerEEEEE10hipError_tT0_T1_T2_jT3_P12ihipStream_tbPNSt15iterator_traitsISE_E10value_typeEPNSK_ISF_E10value_typeEPSG_NS1_7vsmem_tEENKUlT_SE_SF_SG_E_clIS8_S8_S9_S9_EESD_ST_SE_SF_SG_EUlST_E1_NS1_11comp_targetILNS1_3genE10ELNS1_11target_archE1201ELNS1_3gpuE5ELNS1_3repE0EEENS1_36merge_oddeven_config_static_selectorELNS0_4arch9wavefront6targetE1EEEvSF_
	.p2align	8
	.type	_ZN7rocprim17ROCPRIM_400000_NS6detail17trampoline_kernelINS0_14default_configENS1_38merge_sort_block_merge_config_selectorImNS0_10empty_typeEEEZZNS1_27merge_sort_block_merge_implIS3_PmPS5_jNS1_19radix_merge_compareILb1ELb1EmNS0_19identity_decomposerEEEEE10hipError_tT0_T1_T2_jT3_P12ihipStream_tbPNSt15iterator_traitsISE_E10value_typeEPNSK_ISF_E10value_typeEPSG_NS1_7vsmem_tEENKUlT_SE_SF_SG_E_clIS8_S8_S9_S9_EESD_ST_SE_SF_SG_EUlST_E1_NS1_11comp_targetILNS1_3genE10ELNS1_11target_archE1201ELNS1_3gpuE5ELNS1_3repE0EEENS1_36merge_oddeven_config_static_selectorELNS0_4arch9wavefront6targetE1EEEvSF_,@function
_ZN7rocprim17ROCPRIM_400000_NS6detail17trampoline_kernelINS0_14default_configENS1_38merge_sort_block_merge_config_selectorImNS0_10empty_typeEEEZZNS1_27merge_sort_block_merge_implIS3_PmPS5_jNS1_19radix_merge_compareILb1ELb1EmNS0_19identity_decomposerEEEEE10hipError_tT0_T1_T2_jT3_P12ihipStream_tbPNSt15iterator_traitsISE_E10value_typeEPNSK_ISF_E10value_typeEPSG_NS1_7vsmem_tEENKUlT_SE_SF_SG_E_clIS8_S8_S9_S9_EESD_ST_SE_SF_SG_EUlST_E1_NS1_11comp_targetILNS1_3genE10ELNS1_11target_archE1201ELNS1_3gpuE5ELNS1_3repE0EEENS1_36merge_oddeven_config_static_selectorELNS0_4arch9wavefront6targetE1EEEvSF_: ; @_ZN7rocprim17ROCPRIM_400000_NS6detail17trampoline_kernelINS0_14default_configENS1_38merge_sort_block_merge_config_selectorImNS0_10empty_typeEEEZZNS1_27merge_sort_block_merge_implIS3_PmPS5_jNS1_19radix_merge_compareILb1ELb1EmNS0_19identity_decomposerEEEEE10hipError_tT0_T1_T2_jT3_P12ihipStream_tbPNSt15iterator_traitsISE_E10value_typeEPNSK_ISF_E10value_typeEPSG_NS1_7vsmem_tEENKUlT_SE_SF_SG_E_clIS8_S8_S9_S9_EESD_ST_SE_SF_SG_EUlST_E1_NS1_11comp_targetILNS1_3genE10ELNS1_11target_archE1201ELNS1_3gpuE5ELNS1_3repE0EEENS1_36merge_oddeven_config_static_selectorELNS0_4arch9wavefront6targetE1EEEvSF_
; %bb.0:
	.section	.rodata,"a",@progbits
	.p2align	6, 0x0
	.amdhsa_kernel _ZN7rocprim17ROCPRIM_400000_NS6detail17trampoline_kernelINS0_14default_configENS1_38merge_sort_block_merge_config_selectorImNS0_10empty_typeEEEZZNS1_27merge_sort_block_merge_implIS3_PmPS5_jNS1_19radix_merge_compareILb1ELb1EmNS0_19identity_decomposerEEEEE10hipError_tT0_T1_T2_jT3_P12ihipStream_tbPNSt15iterator_traitsISE_E10value_typeEPNSK_ISF_E10value_typeEPSG_NS1_7vsmem_tEENKUlT_SE_SF_SG_E_clIS8_S8_S9_S9_EESD_ST_SE_SF_SG_EUlST_E1_NS1_11comp_targetILNS1_3genE10ELNS1_11target_archE1201ELNS1_3gpuE5ELNS1_3repE0EEENS1_36merge_oddeven_config_static_selectorELNS0_4arch9wavefront6targetE1EEEvSF_
		.amdhsa_group_segment_fixed_size 0
		.amdhsa_private_segment_fixed_size 0
		.amdhsa_kernarg_size 48
		.amdhsa_user_sgpr_count 6
		.amdhsa_user_sgpr_private_segment_buffer 1
		.amdhsa_user_sgpr_dispatch_ptr 0
		.amdhsa_user_sgpr_queue_ptr 0
		.amdhsa_user_sgpr_kernarg_segment_ptr 1
		.amdhsa_user_sgpr_dispatch_id 0
		.amdhsa_user_sgpr_flat_scratch_init 0
		.amdhsa_user_sgpr_kernarg_preload_length 0
		.amdhsa_user_sgpr_kernarg_preload_offset 0
		.amdhsa_user_sgpr_private_segment_size 0
		.amdhsa_uses_dynamic_stack 0
		.amdhsa_system_sgpr_private_segment_wavefront_offset 0
		.amdhsa_system_sgpr_workgroup_id_x 1
		.amdhsa_system_sgpr_workgroup_id_y 0
		.amdhsa_system_sgpr_workgroup_id_z 0
		.amdhsa_system_sgpr_workgroup_info 0
		.amdhsa_system_vgpr_workitem_id 0
		.amdhsa_next_free_vgpr 1
		.amdhsa_next_free_sgpr 0
		.amdhsa_accum_offset 4
		.amdhsa_reserve_vcc 0
		.amdhsa_reserve_flat_scratch 0
		.amdhsa_float_round_mode_32 0
		.amdhsa_float_round_mode_16_64 0
		.amdhsa_float_denorm_mode_32 3
		.amdhsa_float_denorm_mode_16_64 3
		.amdhsa_dx10_clamp 1
		.amdhsa_ieee_mode 1
		.amdhsa_fp16_overflow 0
		.amdhsa_tg_split 0
		.amdhsa_exception_fp_ieee_invalid_op 0
		.amdhsa_exception_fp_denorm_src 0
		.amdhsa_exception_fp_ieee_div_zero 0
		.amdhsa_exception_fp_ieee_overflow 0
		.amdhsa_exception_fp_ieee_underflow 0
		.amdhsa_exception_fp_ieee_inexact 0
		.amdhsa_exception_int_div_zero 0
	.end_amdhsa_kernel
	.section	.text._ZN7rocprim17ROCPRIM_400000_NS6detail17trampoline_kernelINS0_14default_configENS1_38merge_sort_block_merge_config_selectorImNS0_10empty_typeEEEZZNS1_27merge_sort_block_merge_implIS3_PmPS5_jNS1_19radix_merge_compareILb1ELb1EmNS0_19identity_decomposerEEEEE10hipError_tT0_T1_T2_jT3_P12ihipStream_tbPNSt15iterator_traitsISE_E10value_typeEPNSK_ISF_E10value_typeEPSG_NS1_7vsmem_tEENKUlT_SE_SF_SG_E_clIS8_S8_S9_S9_EESD_ST_SE_SF_SG_EUlST_E1_NS1_11comp_targetILNS1_3genE10ELNS1_11target_archE1201ELNS1_3gpuE5ELNS1_3repE0EEENS1_36merge_oddeven_config_static_selectorELNS0_4arch9wavefront6targetE1EEEvSF_,"axG",@progbits,_ZN7rocprim17ROCPRIM_400000_NS6detail17trampoline_kernelINS0_14default_configENS1_38merge_sort_block_merge_config_selectorImNS0_10empty_typeEEEZZNS1_27merge_sort_block_merge_implIS3_PmPS5_jNS1_19radix_merge_compareILb1ELb1EmNS0_19identity_decomposerEEEEE10hipError_tT0_T1_T2_jT3_P12ihipStream_tbPNSt15iterator_traitsISE_E10value_typeEPNSK_ISF_E10value_typeEPSG_NS1_7vsmem_tEENKUlT_SE_SF_SG_E_clIS8_S8_S9_S9_EESD_ST_SE_SF_SG_EUlST_E1_NS1_11comp_targetILNS1_3genE10ELNS1_11target_archE1201ELNS1_3gpuE5ELNS1_3repE0EEENS1_36merge_oddeven_config_static_selectorELNS0_4arch9wavefront6targetE1EEEvSF_,comdat
.Lfunc_end2266:
	.size	_ZN7rocprim17ROCPRIM_400000_NS6detail17trampoline_kernelINS0_14default_configENS1_38merge_sort_block_merge_config_selectorImNS0_10empty_typeEEEZZNS1_27merge_sort_block_merge_implIS3_PmPS5_jNS1_19radix_merge_compareILb1ELb1EmNS0_19identity_decomposerEEEEE10hipError_tT0_T1_T2_jT3_P12ihipStream_tbPNSt15iterator_traitsISE_E10value_typeEPNSK_ISF_E10value_typeEPSG_NS1_7vsmem_tEENKUlT_SE_SF_SG_E_clIS8_S8_S9_S9_EESD_ST_SE_SF_SG_EUlST_E1_NS1_11comp_targetILNS1_3genE10ELNS1_11target_archE1201ELNS1_3gpuE5ELNS1_3repE0EEENS1_36merge_oddeven_config_static_selectorELNS0_4arch9wavefront6targetE1EEEvSF_, .Lfunc_end2266-_ZN7rocprim17ROCPRIM_400000_NS6detail17trampoline_kernelINS0_14default_configENS1_38merge_sort_block_merge_config_selectorImNS0_10empty_typeEEEZZNS1_27merge_sort_block_merge_implIS3_PmPS5_jNS1_19radix_merge_compareILb1ELb1EmNS0_19identity_decomposerEEEEE10hipError_tT0_T1_T2_jT3_P12ihipStream_tbPNSt15iterator_traitsISE_E10value_typeEPNSK_ISF_E10value_typeEPSG_NS1_7vsmem_tEENKUlT_SE_SF_SG_E_clIS8_S8_S9_S9_EESD_ST_SE_SF_SG_EUlST_E1_NS1_11comp_targetILNS1_3genE10ELNS1_11target_archE1201ELNS1_3gpuE5ELNS1_3repE0EEENS1_36merge_oddeven_config_static_selectorELNS0_4arch9wavefront6targetE1EEEvSF_
                                        ; -- End function
	.section	.AMDGPU.csdata,"",@progbits
; Kernel info:
; codeLenInByte = 0
; NumSgprs: 4
; NumVgprs: 0
; NumAgprs: 0
; TotalNumVgprs: 0
; ScratchSize: 0
; MemoryBound: 0
; FloatMode: 240
; IeeeMode: 1
; LDSByteSize: 0 bytes/workgroup (compile time only)
; SGPRBlocks: 0
; VGPRBlocks: 0
; NumSGPRsForWavesPerEU: 4
; NumVGPRsForWavesPerEU: 1
; AccumOffset: 4
; Occupancy: 8
; WaveLimiterHint : 0
; COMPUTE_PGM_RSRC2:SCRATCH_EN: 0
; COMPUTE_PGM_RSRC2:USER_SGPR: 6
; COMPUTE_PGM_RSRC2:TRAP_HANDLER: 0
; COMPUTE_PGM_RSRC2:TGID_X_EN: 1
; COMPUTE_PGM_RSRC2:TGID_Y_EN: 0
; COMPUTE_PGM_RSRC2:TGID_Z_EN: 0
; COMPUTE_PGM_RSRC2:TIDIG_COMP_CNT: 0
; COMPUTE_PGM_RSRC3_GFX90A:ACCUM_OFFSET: 0
; COMPUTE_PGM_RSRC3_GFX90A:TG_SPLIT: 0
	.section	.text._ZN7rocprim17ROCPRIM_400000_NS6detail17trampoline_kernelINS0_14default_configENS1_38merge_sort_block_merge_config_selectorImNS0_10empty_typeEEEZZNS1_27merge_sort_block_merge_implIS3_PmPS5_jNS1_19radix_merge_compareILb1ELb1EmNS0_19identity_decomposerEEEEE10hipError_tT0_T1_T2_jT3_P12ihipStream_tbPNSt15iterator_traitsISE_E10value_typeEPNSK_ISF_E10value_typeEPSG_NS1_7vsmem_tEENKUlT_SE_SF_SG_E_clIS8_S8_S9_S9_EESD_ST_SE_SF_SG_EUlST_E1_NS1_11comp_targetILNS1_3genE5ELNS1_11target_archE942ELNS1_3gpuE9ELNS1_3repE0EEENS1_36merge_oddeven_config_static_selectorELNS0_4arch9wavefront6targetE1EEEvSF_,"axG",@progbits,_ZN7rocprim17ROCPRIM_400000_NS6detail17trampoline_kernelINS0_14default_configENS1_38merge_sort_block_merge_config_selectorImNS0_10empty_typeEEEZZNS1_27merge_sort_block_merge_implIS3_PmPS5_jNS1_19radix_merge_compareILb1ELb1EmNS0_19identity_decomposerEEEEE10hipError_tT0_T1_T2_jT3_P12ihipStream_tbPNSt15iterator_traitsISE_E10value_typeEPNSK_ISF_E10value_typeEPSG_NS1_7vsmem_tEENKUlT_SE_SF_SG_E_clIS8_S8_S9_S9_EESD_ST_SE_SF_SG_EUlST_E1_NS1_11comp_targetILNS1_3genE5ELNS1_11target_archE942ELNS1_3gpuE9ELNS1_3repE0EEENS1_36merge_oddeven_config_static_selectorELNS0_4arch9wavefront6targetE1EEEvSF_,comdat
	.protected	_ZN7rocprim17ROCPRIM_400000_NS6detail17trampoline_kernelINS0_14default_configENS1_38merge_sort_block_merge_config_selectorImNS0_10empty_typeEEEZZNS1_27merge_sort_block_merge_implIS3_PmPS5_jNS1_19radix_merge_compareILb1ELb1EmNS0_19identity_decomposerEEEEE10hipError_tT0_T1_T2_jT3_P12ihipStream_tbPNSt15iterator_traitsISE_E10value_typeEPNSK_ISF_E10value_typeEPSG_NS1_7vsmem_tEENKUlT_SE_SF_SG_E_clIS8_S8_S9_S9_EESD_ST_SE_SF_SG_EUlST_E1_NS1_11comp_targetILNS1_3genE5ELNS1_11target_archE942ELNS1_3gpuE9ELNS1_3repE0EEENS1_36merge_oddeven_config_static_selectorELNS0_4arch9wavefront6targetE1EEEvSF_ ; -- Begin function _ZN7rocprim17ROCPRIM_400000_NS6detail17trampoline_kernelINS0_14default_configENS1_38merge_sort_block_merge_config_selectorImNS0_10empty_typeEEEZZNS1_27merge_sort_block_merge_implIS3_PmPS5_jNS1_19radix_merge_compareILb1ELb1EmNS0_19identity_decomposerEEEEE10hipError_tT0_T1_T2_jT3_P12ihipStream_tbPNSt15iterator_traitsISE_E10value_typeEPNSK_ISF_E10value_typeEPSG_NS1_7vsmem_tEENKUlT_SE_SF_SG_E_clIS8_S8_S9_S9_EESD_ST_SE_SF_SG_EUlST_E1_NS1_11comp_targetILNS1_3genE5ELNS1_11target_archE942ELNS1_3gpuE9ELNS1_3repE0EEENS1_36merge_oddeven_config_static_selectorELNS0_4arch9wavefront6targetE1EEEvSF_
	.globl	_ZN7rocprim17ROCPRIM_400000_NS6detail17trampoline_kernelINS0_14default_configENS1_38merge_sort_block_merge_config_selectorImNS0_10empty_typeEEEZZNS1_27merge_sort_block_merge_implIS3_PmPS5_jNS1_19radix_merge_compareILb1ELb1EmNS0_19identity_decomposerEEEEE10hipError_tT0_T1_T2_jT3_P12ihipStream_tbPNSt15iterator_traitsISE_E10value_typeEPNSK_ISF_E10value_typeEPSG_NS1_7vsmem_tEENKUlT_SE_SF_SG_E_clIS8_S8_S9_S9_EESD_ST_SE_SF_SG_EUlST_E1_NS1_11comp_targetILNS1_3genE5ELNS1_11target_archE942ELNS1_3gpuE9ELNS1_3repE0EEENS1_36merge_oddeven_config_static_selectorELNS0_4arch9wavefront6targetE1EEEvSF_
	.p2align	8
	.type	_ZN7rocprim17ROCPRIM_400000_NS6detail17trampoline_kernelINS0_14default_configENS1_38merge_sort_block_merge_config_selectorImNS0_10empty_typeEEEZZNS1_27merge_sort_block_merge_implIS3_PmPS5_jNS1_19radix_merge_compareILb1ELb1EmNS0_19identity_decomposerEEEEE10hipError_tT0_T1_T2_jT3_P12ihipStream_tbPNSt15iterator_traitsISE_E10value_typeEPNSK_ISF_E10value_typeEPSG_NS1_7vsmem_tEENKUlT_SE_SF_SG_E_clIS8_S8_S9_S9_EESD_ST_SE_SF_SG_EUlST_E1_NS1_11comp_targetILNS1_3genE5ELNS1_11target_archE942ELNS1_3gpuE9ELNS1_3repE0EEENS1_36merge_oddeven_config_static_selectorELNS0_4arch9wavefront6targetE1EEEvSF_,@function
_ZN7rocprim17ROCPRIM_400000_NS6detail17trampoline_kernelINS0_14default_configENS1_38merge_sort_block_merge_config_selectorImNS0_10empty_typeEEEZZNS1_27merge_sort_block_merge_implIS3_PmPS5_jNS1_19radix_merge_compareILb1ELb1EmNS0_19identity_decomposerEEEEE10hipError_tT0_T1_T2_jT3_P12ihipStream_tbPNSt15iterator_traitsISE_E10value_typeEPNSK_ISF_E10value_typeEPSG_NS1_7vsmem_tEENKUlT_SE_SF_SG_E_clIS8_S8_S9_S9_EESD_ST_SE_SF_SG_EUlST_E1_NS1_11comp_targetILNS1_3genE5ELNS1_11target_archE942ELNS1_3gpuE9ELNS1_3repE0EEENS1_36merge_oddeven_config_static_selectorELNS0_4arch9wavefront6targetE1EEEvSF_: ; @_ZN7rocprim17ROCPRIM_400000_NS6detail17trampoline_kernelINS0_14default_configENS1_38merge_sort_block_merge_config_selectorImNS0_10empty_typeEEEZZNS1_27merge_sort_block_merge_implIS3_PmPS5_jNS1_19radix_merge_compareILb1ELb1EmNS0_19identity_decomposerEEEEE10hipError_tT0_T1_T2_jT3_P12ihipStream_tbPNSt15iterator_traitsISE_E10value_typeEPNSK_ISF_E10value_typeEPSG_NS1_7vsmem_tEENKUlT_SE_SF_SG_E_clIS8_S8_S9_S9_EESD_ST_SE_SF_SG_EUlST_E1_NS1_11comp_targetILNS1_3genE5ELNS1_11target_archE942ELNS1_3gpuE9ELNS1_3repE0EEENS1_36merge_oddeven_config_static_selectorELNS0_4arch9wavefront6targetE1EEEvSF_
; %bb.0:
	.section	.rodata,"a",@progbits
	.p2align	6, 0x0
	.amdhsa_kernel _ZN7rocprim17ROCPRIM_400000_NS6detail17trampoline_kernelINS0_14default_configENS1_38merge_sort_block_merge_config_selectorImNS0_10empty_typeEEEZZNS1_27merge_sort_block_merge_implIS3_PmPS5_jNS1_19radix_merge_compareILb1ELb1EmNS0_19identity_decomposerEEEEE10hipError_tT0_T1_T2_jT3_P12ihipStream_tbPNSt15iterator_traitsISE_E10value_typeEPNSK_ISF_E10value_typeEPSG_NS1_7vsmem_tEENKUlT_SE_SF_SG_E_clIS8_S8_S9_S9_EESD_ST_SE_SF_SG_EUlST_E1_NS1_11comp_targetILNS1_3genE5ELNS1_11target_archE942ELNS1_3gpuE9ELNS1_3repE0EEENS1_36merge_oddeven_config_static_selectorELNS0_4arch9wavefront6targetE1EEEvSF_
		.amdhsa_group_segment_fixed_size 0
		.amdhsa_private_segment_fixed_size 0
		.amdhsa_kernarg_size 48
		.amdhsa_user_sgpr_count 6
		.amdhsa_user_sgpr_private_segment_buffer 1
		.amdhsa_user_sgpr_dispatch_ptr 0
		.amdhsa_user_sgpr_queue_ptr 0
		.amdhsa_user_sgpr_kernarg_segment_ptr 1
		.amdhsa_user_sgpr_dispatch_id 0
		.amdhsa_user_sgpr_flat_scratch_init 0
		.amdhsa_user_sgpr_kernarg_preload_length 0
		.amdhsa_user_sgpr_kernarg_preload_offset 0
		.amdhsa_user_sgpr_private_segment_size 0
		.amdhsa_uses_dynamic_stack 0
		.amdhsa_system_sgpr_private_segment_wavefront_offset 0
		.amdhsa_system_sgpr_workgroup_id_x 1
		.amdhsa_system_sgpr_workgroup_id_y 0
		.amdhsa_system_sgpr_workgroup_id_z 0
		.amdhsa_system_sgpr_workgroup_info 0
		.amdhsa_system_vgpr_workitem_id 0
		.amdhsa_next_free_vgpr 1
		.amdhsa_next_free_sgpr 0
		.amdhsa_accum_offset 4
		.amdhsa_reserve_vcc 0
		.amdhsa_reserve_flat_scratch 0
		.amdhsa_float_round_mode_32 0
		.amdhsa_float_round_mode_16_64 0
		.amdhsa_float_denorm_mode_32 3
		.amdhsa_float_denorm_mode_16_64 3
		.amdhsa_dx10_clamp 1
		.amdhsa_ieee_mode 1
		.amdhsa_fp16_overflow 0
		.amdhsa_tg_split 0
		.amdhsa_exception_fp_ieee_invalid_op 0
		.amdhsa_exception_fp_denorm_src 0
		.amdhsa_exception_fp_ieee_div_zero 0
		.amdhsa_exception_fp_ieee_overflow 0
		.amdhsa_exception_fp_ieee_underflow 0
		.amdhsa_exception_fp_ieee_inexact 0
		.amdhsa_exception_int_div_zero 0
	.end_amdhsa_kernel
	.section	.text._ZN7rocprim17ROCPRIM_400000_NS6detail17trampoline_kernelINS0_14default_configENS1_38merge_sort_block_merge_config_selectorImNS0_10empty_typeEEEZZNS1_27merge_sort_block_merge_implIS3_PmPS5_jNS1_19radix_merge_compareILb1ELb1EmNS0_19identity_decomposerEEEEE10hipError_tT0_T1_T2_jT3_P12ihipStream_tbPNSt15iterator_traitsISE_E10value_typeEPNSK_ISF_E10value_typeEPSG_NS1_7vsmem_tEENKUlT_SE_SF_SG_E_clIS8_S8_S9_S9_EESD_ST_SE_SF_SG_EUlST_E1_NS1_11comp_targetILNS1_3genE5ELNS1_11target_archE942ELNS1_3gpuE9ELNS1_3repE0EEENS1_36merge_oddeven_config_static_selectorELNS0_4arch9wavefront6targetE1EEEvSF_,"axG",@progbits,_ZN7rocprim17ROCPRIM_400000_NS6detail17trampoline_kernelINS0_14default_configENS1_38merge_sort_block_merge_config_selectorImNS0_10empty_typeEEEZZNS1_27merge_sort_block_merge_implIS3_PmPS5_jNS1_19radix_merge_compareILb1ELb1EmNS0_19identity_decomposerEEEEE10hipError_tT0_T1_T2_jT3_P12ihipStream_tbPNSt15iterator_traitsISE_E10value_typeEPNSK_ISF_E10value_typeEPSG_NS1_7vsmem_tEENKUlT_SE_SF_SG_E_clIS8_S8_S9_S9_EESD_ST_SE_SF_SG_EUlST_E1_NS1_11comp_targetILNS1_3genE5ELNS1_11target_archE942ELNS1_3gpuE9ELNS1_3repE0EEENS1_36merge_oddeven_config_static_selectorELNS0_4arch9wavefront6targetE1EEEvSF_,comdat
.Lfunc_end2267:
	.size	_ZN7rocprim17ROCPRIM_400000_NS6detail17trampoline_kernelINS0_14default_configENS1_38merge_sort_block_merge_config_selectorImNS0_10empty_typeEEEZZNS1_27merge_sort_block_merge_implIS3_PmPS5_jNS1_19radix_merge_compareILb1ELb1EmNS0_19identity_decomposerEEEEE10hipError_tT0_T1_T2_jT3_P12ihipStream_tbPNSt15iterator_traitsISE_E10value_typeEPNSK_ISF_E10value_typeEPSG_NS1_7vsmem_tEENKUlT_SE_SF_SG_E_clIS8_S8_S9_S9_EESD_ST_SE_SF_SG_EUlST_E1_NS1_11comp_targetILNS1_3genE5ELNS1_11target_archE942ELNS1_3gpuE9ELNS1_3repE0EEENS1_36merge_oddeven_config_static_selectorELNS0_4arch9wavefront6targetE1EEEvSF_, .Lfunc_end2267-_ZN7rocprim17ROCPRIM_400000_NS6detail17trampoline_kernelINS0_14default_configENS1_38merge_sort_block_merge_config_selectorImNS0_10empty_typeEEEZZNS1_27merge_sort_block_merge_implIS3_PmPS5_jNS1_19radix_merge_compareILb1ELb1EmNS0_19identity_decomposerEEEEE10hipError_tT0_T1_T2_jT3_P12ihipStream_tbPNSt15iterator_traitsISE_E10value_typeEPNSK_ISF_E10value_typeEPSG_NS1_7vsmem_tEENKUlT_SE_SF_SG_E_clIS8_S8_S9_S9_EESD_ST_SE_SF_SG_EUlST_E1_NS1_11comp_targetILNS1_3genE5ELNS1_11target_archE942ELNS1_3gpuE9ELNS1_3repE0EEENS1_36merge_oddeven_config_static_selectorELNS0_4arch9wavefront6targetE1EEEvSF_
                                        ; -- End function
	.section	.AMDGPU.csdata,"",@progbits
; Kernel info:
; codeLenInByte = 0
; NumSgprs: 4
; NumVgprs: 0
; NumAgprs: 0
; TotalNumVgprs: 0
; ScratchSize: 0
; MemoryBound: 0
; FloatMode: 240
; IeeeMode: 1
; LDSByteSize: 0 bytes/workgroup (compile time only)
; SGPRBlocks: 0
; VGPRBlocks: 0
; NumSGPRsForWavesPerEU: 4
; NumVGPRsForWavesPerEU: 1
; AccumOffset: 4
; Occupancy: 8
; WaveLimiterHint : 0
; COMPUTE_PGM_RSRC2:SCRATCH_EN: 0
; COMPUTE_PGM_RSRC2:USER_SGPR: 6
; COMPUTE_PGM_RSRC2:TRAP_HANDLER: 0
; COMPUTE_PGM_RSRC2:TGID_X_EN: 1
; COMPUTE_PGM_RSRC2:TGID_Y_EN: 0
; COMPUTE_PGM_RSRC2:TGID_Z_EN: 0
; COMPUTE_PGM_RSRC2:TIDIG_COMP_CNT: 0
; COMPUTE_PGM_RSRC3_GFX90A:ACCUM_OFFSET: 0
; COMPUTE_PGM_RSRC3_GFX90A:TG_SPLIT: 0
	.section	.text._ZN7rocprim17ROCPRIM_400000_NS6detail17trampoline_kernelINS0_14default_configENS1_38merge_sort_block_merge_config_selectorImNS0_10empty_typeEEEZZNS1_27merge_sort_block_merge_implIS3_PmPS5_jNS1_19radix_merge_compareILb1ELb1EmNS0_19identity_decomposerEEEEE10hipError_tT0_T1_T2_jT3_P12ihipStream_tbPNSt15iterator_traitsISE_E10value_typeEPNSK_ISF_E10value_typeEPSG_NS1_7vsmem_tEENKUlT_SE_SF_SG_E_clIS8_S8_S9_S9_EESD_ST_SE_SF_SG_EUlST_E1_NS1_11comp_targetILNS1_3genE4ELNS1_11target_archE910ELNS1_3gpuE8ELNS1_3repE0EEENS1_36merge_oddeven_config_static_selectorELNS0_4arch9wavefront6targetE1EEEvSF_,"axG",@progbits,_ZN7rocprim17ROCPRIM_400000_NS6detail17trampoline_kernelINS0_14default_configENS1_38merge_sort_block_merge_config_selectorImNS0_10empty_typeEEEZZNS1_27merge_sort_block_merge_implIS3_PmPS5_jNS1_19radix_merge_compareILb1ELb1EmNS0_19identity_decomposerEEEEE10hipError_tT0_T1_T2_jT3_P12ihipStream_tbPNSt15iterator_traitsISE_E10value_typeEPNSK_ISF_E10value_typeEPSG_NS1_7vsmem_tEENKUlT_SE_SF_SG_E_clIS8_S8_S9_S9_EESD_ST_SE_SF_SG_EUlST_E1_NS1_11comp_targetILNS1_3genE4ELNS1_11target_archE910ELNS1_3gpuE8ELNS1_3repE0EEENS1_36merge_oddeven_config_static_selectorELNS0_4arch9wavefront6targetE1EEEvSF_,comdat
	.protected	_ZN7rocprim17ROCPRIM_400000_NS6detail17trampoline_kernelINS0_14default_configENS1_38merge_sort_block_merge_config_selectorImNS0_10empty_typeEEEZZNS1_27merge_sort_block_merge_implIS3_PmPS5_jNS1_19radix_merge_compareILb1ELb1EmNS0_19identity_decomposerEEEEE10hipError_tT0_T1_T2_jT3_P12ihipStream_tbPNSt15iterator_traitsISE_E10value_typeEPNSK_ISF_E10value_typeEPSG_NS1_7vsmem_tEENKUlT_SE_SF_SG_E_clIS8_S8_S9_S9_EESD_ST_SE_SF_SG_EUlST_E1_NS1_11comp_targetILNS1_3genE4ELNS1_11target_archE910ELNS1_3gpuE8ELNS1_3repE0EEENS1_36merge_oddeven_config_static_selectorELNS0_4arch9wavefront6targetE1EEEvSF_ ; -- Begin function _ZN7rocprim17ROCPRIM_400000_NS6detail17trampoline_kernelINS0_14default_configENS1_38merge_sort_block_merge_config_selectorImNS0_10empty_typeEEEZZNS1_27merge_sort_block_merge_implIS3_PmPS5_jNS1_19radix_merge_compareILb1ELb1EmNS0_19identity_decomposerEEEEE10hipError_tT0_T1_T2_jT3_P12ihipStream_tbPNSt15iterator_traitsISE_E10value_typeEPNSK_ISF_E10value_typeEPSG_NS1_7vsmem_tEENKUlT_SE_SF_SG_E_clIS8_S8_S9_S9_EESD_ST_SE_SF_SG_EUlST_E1_NS1_11comp_targetILNS1_3genE4ELNS1_11target_archE910ELNS1_3gpuE8ELNS1_3repE0EEENS1_36merge_oddeven_config_static_selectorELNS0_4arch9wavefront6targetE1EEEvSF_
	.globl	_ZN7rocprim17ROCPRIM_400000_NS6detail17trampoline_kernelINS0_14default_configENS1_38merge_sort_block_merge_config_selectorImNS0_10empty_typeEEEZZNS1_27merge_sort_block_merge_implIS3_PmPS5_jNS1_19radix_merge_compareILb1ELb1EmNS0_19identity_decomposerEEEEE10hipError_tT0_T1_T2_jT3_P12ihipStream_tbPNSt15iterator_traitsISE_E10value_typeEPNSK_ISF_E10value_typeEPSG_NS1_7vsmem_tEENKUlT_SE_SF_SG_E_clIS8_S8_S9_S9_EESD_ST_SE_SF_SG_EUlST_E1_NS1_11comp_targetILNS1_3genE4ELNS1_11target_archE910ELNS1_3gpuE8ELNS1_3repE0EEENS1_36merge_oddeven_config_static_selectorELNS0_4arch9wavefront6targetE1EEEvSF_
	.p2align	8
	.type	_ZN7rocprim17ROCPRIM_400000_NS6detail17trampoline_kernelINS0_14default_configENS1_38merge_sort_block_merge_config_selectorImNS0_10empty_typeEEEZZNS1_27merge_sort_block_merge_implIS3_PmPS5_jNS1_19radix_merge_compareILb1ELb1EmNS0_19identity_decomposerEEEEE10hipError_tT0_T1_T2_jT3_P12ihipStream_tbPNSt15iterator_traitsISE_E10value_typeEPNSK_ISF_E10value_typeEPSG_NS1_7vsmem_tEENKUlT_SE_SF_SG_E_clIS8_S8_S9_S9_EESD_ST_SE_SF_SG_EUlST_E1_NS1_11comp_targetILNS1_3genE4ELNS1_11target_archE910ELNS1_3gpuE8ELNS1_3repE0EEENS1_36merge_oddeven_config_static_selectorELNS0_4arch9wavefront6targetE1EEEvSF_,@function
_ZN7rocprim17ROCPRIM_400000_NS6detail17trampoline_kernelINS0_14default_configENS1_38merge_sort_block_merge_config_selectorImNS0_10empty_typeEEEZZNS1_27merge_sort_block_merge_implIS3_PmPS5_jNS1_19radix_merge_compareILb1ELb1EmNS0_19identity_decomposerEEEEE10hipError_tT0_T1_T2_jT3_P12ihipStream_tbPNSt15iterator_traitsISE_E10value_typeEPNSK_ISF_E10value_typeEPSG_NS1_7vsmem_tEENKUlT_SE_SF_SG_E_clIS8_S8_S9_S9_EESD_ST_SE_SF_SG_EUlST_E1_NS1_11comp_targetILNS1_3genE4ELNS1_11target_archE910ELNS1_3gpuE8ELNS1_3repE0EEENS1_36merge_oddeven_config_static_selectorELNS0_4arch9wavefront6targetE1EEEvSF_: ; @_ZN7rocprim17ROCPRIM_400000_NS6detail17trampoline_kernelINS0_14default_configENS1_38merge_sort_block_merge_config_selectorImNS0_10empty_typeEEEZZNS1_27merge_sort_block_merge_implIS3_PmPS5_jNS1_19radix_merge_compareILb1ELb1EmNS0_19identity_decomposerEEEEE10hipError_tT0_T1_T2_jT3_P12ihipStream_tbPNSt15iterator_traitsISE_E10value_typeEPNSK_ISF_E10value_typeEPSG_NS1_7vsmem_tEENKUlT_SE_SF_SG_E_clIS8_S8_S9_S9_EESD_ST_SE_SF_SG_EUlST_E1_NS1_11comp_targetILNS1_3genE4ELNS1_11target_archE910ELNS1_3gpuE8ELNS1_3repE0EEENS1_36merge_oddeven_config_static_selectorELNS0_4arch9wavefront6targetE1EEEvSF_
; %bb.0:
	s_load_dword s18, s[4:5], 0x20
	s_waitcnt lgkmcnt(0)
	s_lshr_b32 s0, s18, 8
	s_cmp_lg_u32 s6, s0
	s_cselect_b64 s[14:15], -1, 0
	s_cmp_eq_u32 s6, s0
	s_cselect_b64 s[12:13], -1, 0
	s_lshl_b32 s16, s6, 8
	s_sub_i32 s0, s18, s16
	v_cmp_gt_u32_e64 s[2:3], s0, v0
	s_or_b64 s[0:1], s[14:15], s[2:3]
	s_and_saveexec_b64 s[8:9], s[0:1]
	s_cbranch_execz .LBB2268_20
; %bb.1:
	s_load_dwordx4 s[8:11], s[4:5], 0x0
	s_load_dword s19, s[4:5], 0x24
	s_mov_b32 s17, 0
	s_lshl_b64 s[0:1], s[16:17], 3
	v_lshlrev_b32_e32 v1, 3, v0
	s_waitcnt lgkmcnt(0)
	s_add_u32 s0, s8, s0
	s_addc_u32 s1, s9, s1
	global_load_dwordx2 v[2:3], v1, s[0:1]
	s_lshr_b32 s0, s19, 8
	s_sub_i32 s1, 0, s0
	s_and_b32 s1, s6, s1
	s_and_b32 s0, s1, s0
	s_lshl_b32 s20, s1, 8
	s_sub_i32 s17, 0, s19
	s_cmp_eq_u32 s0, 0
	s_cselect_b64 s[0:1], -1, 0
	s_and_b64 s[6:7], s[0:1], exec
	s_cselect_b32 s17, s19, s17
	s_add_i32 s17, s17, s20
	s_cmp_lt_u32 s17, s18
	v_add_u32_e32 v0, s16, v0
	s_cbranch_scc1 .LBB2268_3
; %bb.2:
	v_cmp_gt_u32_e32 vcc, s18, v0
	s_or_b64 s[6:7], vcc, s[14:15]
	s_and_b64 s[6:7], s[6:7], exec
	s_cbranch_execz .LBB2268_4
	s_branch .LBB2268_18
.LBB2268_3:
	s_mov_b64 s[6:7], 0
.LBB2268_4:
	s_load_dwordx2 s[4:5], s[4:5], 0x28
	s_min_u32 s14, s17, s18
	s_min_u32 s16, s20, s14
	s_add_i32 s20, s20, s14
	s_add_i32 s15, s14, s19
	v_subrev_u32_e32 v0, s20, v0
	s_min_u32 s15, s15, s18
	v_add_u32_e32 v6, s16, v0
	s_and_b64 vcc, exec, s[12:13]
	s_cbranch_vccz .LBB2268_12
; %bb.5:
                                        ; implicit-def: $vgpr0
	s_and_saveexec_b64 s[12:13], s[2:3]
	s_cbranch_execz .LBB2268_11
; %bb.6:
	s_cmp_ge_u32 s17, s15
	v_mov_b32_e32 v7, s14
	s_cbranch_scc1 .LBB2268_10
; %bb.7:
	s_waitcnt vmcnt(0) lgkmcnt(0)
	v_and_b32_e32 v1, s5, v3
	v_and_b32_e32 v0, s4, v2
	s_mov_b64 s[2:3], 0
	v_mov_b32_e32 v8, s15
	v_mov_b32_e32 v7, s14
	;; [unrolled: 1-line block ×4, first 2 shown]
.LBB2268_8:                             ; =>This Inner Loop Header: Depth=1
	v_add_u32_e32 v4, v7, v8
	v_lshrrev_b32_e32 v4, 1, v4
	v_lshlrev_b64 v[10:11], 3, v[4:5]
	v_add_co_u32_e32 v10, vcc, s8, v10
	v_addc_co_u32_e32 v11, vcc, v9, v11, vcc
	global_load_dwordx2 v[10:11], v[10:11], off
	v_add_u32_e32 v12, 1, v4
	s_waitcnt vmcnt(0)
	v_and_b32_e32 v11, s5, v11
	v_and_b32_e32 v10, s4, v10
	v_cmp_gt_u64_e32 vcc, v[10:11], v[0:1]
	v_cndmask_b32_e64 v13, 0, 1, vcc
	v_cmp_le_u64_e32 vcc, v[0:1], v[10:11]
	v_cndmask_b32_e64 v10, 0, 1, vcc
	v_cndmask_b32_e64 v10, v10, v13, s[0:1]
	v_and_b32_e32 v10, 1, v10
	v_cmp_eq_u32_e32 vcc, 1, v10
	v_cndmask_b32_e32 v8, v4, v8, vcc
	v_cndmask_b32_e32 v7, v7, v12, vcc
	v_cmp_ge_u32_e32 vcc, v7, v8
	s_or_b64 s[2:3], vcc, s[2:3]
	s_andn2_b64 exec, exec, s[2:3]
	s_cbranch_execnz .LBB2268_8
; %bb.9:
	s_or_b64 exec, exec, s[2:3]
.LBB2268_10:
	v_add_u32_e32 v0, v7, v6
	s_or_b64 s[6:7], s[6:7], exec
.LBB2268_11:
	s_or_b64 exec, exec, s[12:13]
	s_branch .LBB2268_18
.LBB2268_12:
                                        ; implicit-def: $vgpr0
	s_cbranch_execz .LBB2268_18
; %bb.13:
	s_cmp_ge_u32 s17, s15
	v_mov_b32_e32 v7, s14
	s_cbranch_scc1 .LBB2268_17
; %bb.14:
	s_waitcnt vmcnt(0) lgkmcnt(0)
	v_and_b32_e32 v1, s5, v3
	v_and_b32_e32 v0, s4, v2
	s_mov_b64 s[2:3], 0
	v_mov_b32_e32 v8, s15
	v_mov_b32_e32 v7, s14
	;; [unrolled: 1-line block ×4, first 2 shown]
.LBB2268_15:                            ; =>This Inner Loop Header: Depth=1
	v_add_u32_e32 v4, v7, v8
	v_lshrrev_b32_e32 v4, 1, v4
	v_lshlrev_b64 v[10:11], 3, v[4:5]
	v_add_co_u32_e32 v10, vcc, s8, v10
	v_addc_co_u32_e32 v11, vcc, v9, v11, vcc
	global_load_dwordx2 v[10:11], v[10:11], off
	v_add_u32_e32 v12, 1, v4
	s_waitcnt vmcnt(0)
	v_and_b32_e32 v11, s5, v11
	v_and_b32_e32 v10, s4, v10
	v_cmp_gt_u64_e32 vcc, v[10:11], v[0:1]
	v_cndmask_b32_e64 v13, 0, 1, vcc
	v_cmp_le_u64_e32 vcc, v[0:1], v[10:11]
	v_cndmask_b32_e64 v10, 0, 1, vcc
	v_cndmask_b32_e64 v10, v10, v13, s[0:1]
	v_and_b32_e32 v10, 1, v10
	v_cmp_eq_u32_e32 vcc, 1, v10
	v_cndmask_b32_e32 v8, v4, v8, vcc
	v_cndmask_b32_e32 v7, v7, v12, vcc
	v_cmp_ge_u32_e32 vcc, v7, v8
	s_or_b64 s[2:3], vcc, s[2:3]
	s_andn2_b64 exec, exec, s[2:3]
	s_cbranch_execnz .LBB2268_15
; %bb.16:
	s_or_b64 exec, exec, s[2:3]
.LBB2268_17:
	v_add_u32_e32 v0, v7, v6
	s_mov_b64 s[6:7], -1
.LBB2268_18:
	s_and_b64 exec, exec, s[6:7]
	s_cbranch_execz .LBB2268_20
; %bb.19:
	v_mov_b32_e32 v1, 0
	v_lshlrev_b64 v[0:1], 3, v[0:1]
	v_mov_b32_e32 v4, s11
	v_add_co_u32_e32 v0, vcc, s10, v0
	v_addc_co_u32_e32 v1, vcc, v4, v1, vcc
	s_waitcnt vmcnt(0)
	global_store_dwordx2 v[0:1], v[2:3], off
.LBB2268_20:
	s_endpgm
	.section	.rodata,"a",@progbits
	.p2align	6, 0x0
	.amdhsa_kernel _ZN7rocprim17ROCPRIM_400000_NS6detail17trampoline_kernelINS0_14default_configENS1_38merge_sort_block_merge_config_selectorImNS0_10empty_typeEEEZZNS1_27merge_sort_block_merge_implIS3_PmPS5_jNS1_19radix_merge_compareILb1ELb1EmNS0_19identity_decomposerEEEEE10hipError_tT0_T1_T2_jT3_P12ihipStream_tbPNSt15iterator_traitsISE_E10value_typeEPNSK_ISF_E10value_typeEPSG_NS1_7vsmem_tEENKUlT_SE_SF_SG_E_clIS8_S8_S9_S9_EESD_ST_SE_SF_SG_EUlST_E1_NS1_11comp_targetILNS1_3genE4ELNS1_11target_archE910ELNS1_3gpuE8ELNS1_3repE0EEENS1_36merge_oddeven_config_static_selectorELNS0_4arch9wavefront6targetE1EEEvSF_
		.amdhsa_group_segment_fixed_size 0
		.amdhsa_private_segment_fixed_size 0
		.amdhsa_kernarg_size 48
		.amdhsa_user_sgpr_count 6
		.amdhsa_user_sgpr_private_segment_buffer 1
		.amdhsa_user_sgpr_dispatch_ptr 0
		.amdhsa_user_sgpr_queue_ptr 0
		.amdhsa_user_sgpr_kernarg_segment_ptr 1
		.amdhsa_user_sgpr_dispatch_id 0
		.amdhsa_user_sgpr_flat_scratch_init 0
		.amdhsa_user_sgpr_kernarg_preload_length 0
		.amdhsa_user_sgpr_kernarg_preload_offset 0
		.amdhsa_user_sgpr_private_segment_size 0
		.amdhsa_uses_dynamic_stack 0
		.amdhsa_system_sgpr_private_segment_wavefront_offset 0
		.amdhsa_system_sgpr_workgroup_id_x 1
		.amdhsa_system_sgpr_workgroup_id_y 0
		.amdhsa_system_sgpr_workgroup_id_z 0
		.amdhsa_system_sgpr_workgroup_info 0
		.amdhsa_system_vgpr_workitem_id 0
		.amdhsa_next_free_vgpr 14
		.amdhsa_next_free_sgpr 21
		.amdhsa_accum_offset 16
		.amdhsa_reserve_vcc 1
		.amdhsa_reserve_flat_scratch 0
		.amdhsa_float_round_mode_32 0
		.amdhsa_float_round_mode_16_64 0
		.amdhsa_float_denorm_mode_32 3
		.amdhsa_float_denorm_mode_16_64 3
		.amdhsa_dx10_clamp 1
		.amdhsa_ieee_mode 1
		.amdhsa_fp16_overflow 0
		.amdhsa_tg_split 0
		.amdhsa_exception_fp_ieee_invalid_op 0
		.amdhsa_exception_fp_denorm_src 0
		.amdhsa_exception_fp_ieee_div_zero 0
		.amdhsa_exception_fp_ieee_overflow 0
		.amdhsa_exception_fp_ieee_underflow 0
		.amdhsa_exception_fp_ieee_inexact 0
		.amdhsa_exception_int_div_zero 0
	.end_amdhsa_kernel
	.section	.text._ZN7rocprim17ROCPRIM_400000_NS6detail17trampoline_kernelINS0_14default_configENS1_38merge_sort_block_merge_config_selectorImNS0_10empty_typeEEEZZNS1_27merge_sort_block_merge_implIS3_PmPS5_jNS1_19radix_merge_compareILb1ELb1EmNS0_19identity_decomposerEEEEE10hipError_tT0_T1_T2_jT3_P12ihipStream_tbPNSt15iterator_traitsISE_E10value_typeEPNSK_ISF_E10value_typeEPSG_NS1_7vsmem_tEENKUlT_SE_SF_SG_E_clIS8_S8_S9_S9_EESD_ST_SE_SF_SG_EUlST_E1_NS1_11comp_targetILNS1_3genE4ELNS1_11target_archE910ELNS1_3gpuE8ELNS1_3repE0EEENS1_36merge_oddeven_config_static_selectorELNS0_4arch9wavefront6targetE1EEEvSF_,"axG",@progbits,_ZN7rocprim17ROCPRIM_400000_NS6detail17trampoline_kernelINS0_14default_configENS1_38merge_sort_block_merge_config_selectorImNS0_10empty_typeEEEZZNS1_27merge_sort_block_merge_implIS3_PmPS5_jNS1_19radix_merge_compareILb1ELb1EmNS0_19identity_decomposerEEEEE10hipError_tT0_T1_T2_jT3_P12ihipStream_tbPNSt15iterator_traitsISE_E10value_typeEPNSK_ISF_E10value_typeEPSG_NS1_7vsmem_tEENKUlT_SE_SF_SG_E_clIS8_S8_S9_S9_EESD_ST_SE_SF_SG_EUlST_E1_NS1_11comp_targetILNS1_3genE4ELNS1_11target_archE910ELNS1_3gpuE8ELNS1_3repE0EEENS1_36merge_oddeven_config_static_selectorELNS0_4arch9wavefront6targetE1EEEvSF_,comdat
.Lfunc_end2268:
	.size	_ZN7rocprim17ROCPRIM_400000_NS6detail17trampoline_kernelINS0_14default_configENS1_38merge_sort_block_merge_config_selectorImNS0_10empty_typeEEEZZNS1_27merge_sort_block_merge_implIS3_PmPS5_jNS1_19radix_merge_compareILb1ELb1EmNS0_19identity_decomposerEEEEE10hipError_tT0_T1_T2_jT3_P12ihipStream_tbPNSt15iterator_traitsISE_E10value_typeEPNSK_ISF_E10value_typeEPSG_NS1_7vsmem_tEENKUlT_SE_SF_SG_E_clIS8_S8_S9_S9_EESD_ST_SE_SF_SG_EUlST_E1_NS1_11comp_targetILNS1_3genE4ELNS1_11target_archE910ELNS1_3gpuE8ELNS1_3repE0EEENS1_36merge_oddeven_config_static_selectorELNS0_4arch9wavefront6targetE1EEEvSF_, .Lfunc_end2268-_ZN7rocprim17ROCPRIM_400000_NS6detail17trampoline_kernelINS0_14default_configENS1_38merge_sort_block_merge_config_selectorImNS0_10empty_typeEEEZZNS1_27merge_sort_block_merge_implIS3_PmPS5_jNS1_19radix_merge_compareILb1ELb1EmNS0_19identity_decomposerEEEEE10hipError_tT0_T1_T2_jT3_P12ihipStream_tbPNSt15iterator_traitsISE_E10value_typeEPNSK_ISF_E10value_typeEPSG_NS1_7vsmem_tEENKUlT_SE_SF_SG_E_clIS8_S8_S9_S9_EESD_ST_SE_SF_SG_EUlST_E1_NS1_11comp_targetILNS1_3genE4ELNS1_11target_archE910ELNS1_3gpuE8ELNS1_3repE0EEENS1_36merge_oddeven_config_static_selectorELNS0_4arch9wavefront6targetE1EEEvSF_
                                        ; -- End function
	.section	.AMDGPU.csdata,"",@progbits
; Kernel info:
; codeLenInByte = 636
; NumSgprs: 25
; NumVgprs: 14
; NumAgprs: 0
; TotalNumVgprs: 14
; ScratchSize: 0
; MemoryBound: 0
; FloatMode: 240
; IeeeMode: 1
; LDSByteSize: 0 bytes/workgroup (compile time only)
; SGPRBlocks: 3
; VGPRBlocks: 1
; NumSGPRsForWavesPerEU: 25
; NumVGPRsForWavesPerEU: 14
; AccumOffset: 16
; Occupancy: 8
; WaveLimiterHint : 0
; COMPUTE_PGM_RSRC2:SCRATCH_EN: 0
; COMPUTE_PGM_RSRC2:USER_SGPR: 6
; COMPUTE_PGM_RSRC2:TRAP_HANDLER: 0
; COMPUTE_PGM_RSRC2:TGID_X_EN: 1
; COMPUTE_PGM_RSRC2:TGID_Y_EN: 0
; COMPUTE_PGM_RSRC2:TGID_Z_EN: 0
; COMPUTE_PGM_RSRC2:TIDIG_COMP_CNT: 0
; COMPUTE_PGM_RSRC3_GFX90A:ACCUM_OFFSET: 3
; COMPUTE_PGM_RSRC3_GFX90A:TG_SPLIT: 0
	.section	.text._ZN7rocprim17ROCPRIM_400000_NS6detail17trampoline_kernelINS0_14default_configENS1_38merge_sort_block_merge_config_selectorImNS0_10empty_typeEEEZZNS1_27merge_sort_block_merge_implIS3_PmPS5_jNS1_19radix_merge_compareILb1ELb1EmNS0_19identity_decomposerEEEEE10hipError_tT0_T1_T2_jT3_P12ihipStream_tbPNSt15iterator_traitsISE_E10value_typeEPNSK_ISF_E10value_typeEPSG_NS1_7vsmem_tEENKUlT_SE_SF_SG_E_clIS8_S8_S9_S9_EESD_ST_SE_SF_SG_EUlST_E1_NS1_11comp_targetILNS1_3genE3ELNS1_11target_archE908ELNS1_3gpuE7ELNS1_3repE0EEENS1_36merge_oddeven_config_static_selectorELNS0_4arch9wavefront6targetE1EEEvSF_,"axG",@progbits,_ZN7rocprim17ROCPRIM_400000_NS6detail17trampoline_kernelINS0_14default_configENS1_38merge_sort_block_merge_config_selectorImNS0_10empty_typeEEEZZNS1_27merge_sort_block_merge_implIS3_PmPS5_jNS1_19radix_merge_compareILb1ELb1EmNS0_19identity_decomposerEEEEE10hipError_tT0_T1_T2_jT3_P12ihipStream_tbPNSt15iterator_traitsISE_E10value_typeEPNSK_ISF_E10value_typeEPSG_NS1_7vsmem_tEENKUlT_SE_SF_SG_E_clIS8_S8_S9_S9_EESD_ST_SE_SF_SG_EUlST_E1_NS1_11comp_targetILNS1_3genE3ELNS1_11target_archE908ELNS1_3gpuE7ELNS1_3repE0EEENS1_36merge_oddeven_config_static_selectorELNS0_4arch9wavefront6targetE1EEEvSF_,comdat
	.protected	_ZN7rocprim17ROCPRIM_400000_NS6detail17trampoline_kernelINS0_14default_configENS1_38merge_sort_block_merge_config_selectorImNS0_10empty_typeEEEZZNS1_27merge_sort_block_merge_implIS3_PmPS5_jNS1_19radix_merge_compareILb1ELb1EmNS0_19identity_decomposerEEEEE10hipError_tT0_T1_T2_jT3_P12ihipStream_tbPNSt15iterator_traitsISE_E10value_typeEPNSK_ISF_E10value_typeEPSG_NS1_7vsmem_tEENKUlT_SE_SF_SG_E_clIS8_S8_S9_S9_EESD_ST_SE_SF_SG_EUlST_E1_NS1_11comp_targetILNS1_3genE3ELNS1_11target_archE908ELNS1_3gpuE7ELNS1_3repE0EEENS1_36merge_oddeven_config_static_selectorELNS0_4arch9wavefront6targetE1EEEvSF_ ; -- Begin function _ZN7rocprim17ROCPRIM_400000_NS6detail17trampoline_kernelINS0_14default_configENS1_38merge_sort_block_merge_config_selectorImNS0_10empty_typeEEEZZNS1_27merge_sort_block_merge_implIS3_PmPS5_jNS1_19radix_merge_compareILb1ELb1EmNS0_19identity_decomposerEEEEE10hipError_tT0_T1_T2_jT3_P12ihipStream_tbPNSt15iterator_traitsISE_E10value_typeEPNSK_ISF_E10value_typeEPSG_NS1_7vsmem_tEENKUlT_SE_SF_SG_E_clIS8_S8_S9_S9_EESD_ST_SE_SF_SG_EUlST_E1_NS1_11comp_targetILNS1_3genE3ELNS1_11target_archE908ELNS1_3gpuE7ELNS1_3repE0EEENS1_36merge_oddeven_config_static_selectorELNS0_4arch9wavefront6targetE1EEEvSF_
	.globl	_ZN7rocprim17ROCPRIM_400000_NS6detail17trampoline_kernelINS0_14default_configENS1_38merge_sort_block_merge_config_selectorImNS0_10empty_typeEEEZZNS1_27merge_sort_block_merge_implIS3_PmPS5_jNS1_19radix_merge_compareILb1ELb1EmNS0_19identity_decomposerEEEEE10hipError_tT0_T1_T2_jT3_P12ihipStream_tbPNSt15iterator_traitsISE_E10value_typeEPNSK_ISF_E10value_typeEPSG_NS1_7vsmem_tEENKUlT_SE_SF_SG_E_clIS8_S8_S9_S9_EESD_ST_SE_SF_SG_EUlST_E1_NS1_11comp_targetILNS1_3genE3ELNS1_11target_archE908ELNS1_3gpuE7ELNS1_3repE0EEENS1_36merge_oddeven_config_static_selectorELNS0_4arch9wavefront6targetE1EEEvSF_
	.p2align	8
	.type	_ZN7rocprim17ROCPRIM_400000_NS6detail17trampoline_kernelINS0_14default_configENS1_38merge_sort_block_merge_config_selectorImNS0_10empty_typeEEEZZNS1_27merge_sort_block_merge_implIS3_PmPS5_jNS1_19radix_merge_compareILb1ELb1EmNS0_19identity_decomposerEEEEE10hipError_tT0_T1_T2_jT3_P12ihipStream_tbPNSt15iterator_traitsISE_E10value_typeEPNSK_ISF_E10value_typeEPSG_NS1_7vsmem_tEENKUlT_SE_SF_SG_E_clIS8_S8_S9_S9_EESD_ST_SE_SF_SG_EUlST_E1_NS1_11comp_targetILNS1_3genE3ELNS1_11target_archE908ELNS1_3gpuE7ELNS1_3repE0EEENS1_36merge_oddeven_config_static_selectorELNS0_4arch9wavefront6targetE1EEEvSF_,@function
_ZN7rocprim17ROCPRIM_400000_NS6detail17trampoline_kernelINS0_14default_configENS1_38merge_sort_block_merge_config_selectorImNS0_10empty_typeEEEZZNS1_27merge_sort_block_merge_implIS3_PmPS5_jNS1_19radix_merge_compareILb1ELb1EmNS0_19identity_decomposerEEEEE10hipError_tT0_T1_T2_jT3_P12ihipStream_tbPNSt15iterator_traitsISE_E10value_typeEPNSK_ISF_E10value_typeEPSG_NS1_7vsmem_tEENKUlT_SE_SF_SG_E_clIS8_S8_S9_S9_EESD_ST_SE_SF_SG_EUlST_E1_NS1_11comp_targetILNS1_3genE3ELNS1_11target_archE908ELNS1_3gpuE7ELNS1_3repE0EEENS1_36merge_oddeven_config_static_selectorELNS0_4arch9wavefront6targetE1EEEvSF_: ; @_ZN7rocprim17ROCPRIM_400000_NS6detail17trampoline_kernelINS0_14default_configENS1_38merge_sort_block_merge_config_selectorImNS0_10empty_typeEEEZZNS1_27merge_sort_block_merge_implIS3_PmPS5_jNS1_19radix_merge_compareILb1ELb1EmNS0_19identity_decomposerEEEEE10hipError_tT0_T1_T2_jT3_P12ihipStream_tbPNSt15iterator_traitsISE_E10value_typeEPNSK_ISF_E10value_typeEPSG_NS1_7vsmem_tEENKUlT_SE_SF_SG_E_clIS8_S8_S9_S9_EESD_ST_SE_SF_SG_EUlST_E1_NS1_11comp_targetILNS1_3genE3ELNS1_11target_archE908ELNS1_3gpuE7ELNS1_3repE0EEENS1_36merge_oddeven_config_static_selectorELNS0_4arch9wavefront6targetE1EEEvSF_
; %bb.0:
	.section	.rodata,"a",@progbits
	.p2align	6, 0x0
	.amdhsa_kernel _ZN7rocprim17ROCPRIM_400000_NS6detail17trampoline_kernelINS0_14default_configENS1_38merge_sort_block_merge_config_selectorImNS0_10empty_typeEEEZZNS1_27merge_sort_block_merge_implIS3_PmPS5_jNS1_19radix_merge_compareILb1ELb1EmNS0_19identity_decomposerEEEEE10hipError_tT0_T1_T2_jT3_P12ihipStream_tbPNSt15iterator_traitsISE_E10value_typeEPNSK_ISF_E10value_typeEPSG_NS1_7vsmem_tEENKUlT_SE_SF_SG_E_clIS8_S8_S9_S9_EESD_ST_SE_SF_SG_EUlST_E1_NS1_11comp_targetILNS1_3genE3ELNS1_11target_archE908ELNS1_3gpuE7ELNS1_3repE0EEENS1_36merge_oddeven_config_static_selectorELNS0_4arch9wavefront6targetE1EEEvSF_
		.amdhsa_group_segment_fixed_size 0
		.amdhsa_private_segment_fixed_size 0
		.amdhsa_kernarg_size 48
		.amdhsa_user_sgpr_count 6
		.amdhsa_user_sgpr_private_segment_buffer 1
		.amdhsa_user_sgpr_dispatch_ptr 0
		.amdhsa_user_sgpr_queue_ptr 0
		.amdhsa_user_sgpr_kernarg_segment_ptr 1
		.amdhsa_user_sgpr_dispatch_id 0
		.amdhsa_user_sgpr_flat_scratch_init 0
		.amdhsa_user_sgpr_kernarg_preload_length 0
		.amdhsa_user_sgpr_kernarg_preload_offset 0
		.amdhsa_user_sgpr_private_segment_size 0
		.amdhsa_uses_dynamic_stack 0
		.amdhsa_system_sgpr_private_segment_wavefront_offset 0
		.amdhsa_system_sgpr_workgroup_id_x 1
		.amdhsa_system_sgpr_workgroup_id_y 0
		.amdhsa_system_sgpr_workgroup_id_z 0
		.amdhsa_system_sgpr_workgroup_info 0
		.amdhsa_system_vgpr_workitem_id 0
		.amdhsa_next_free_vgpr 1
		.amdhsa_next_free_sgpr 0
		.amdhsa_accum_offset 4
		.amdhsa_reserve_vcc 0
		.amdhsa_reserve_flat_scratch 0
		.amdhsa_float_round_mode_32 0
		.amdhsa_float_round_mode_16_64 0
		.amdhsa_float_denorm_mode_32 3
		.amdhsa_float_denorm_mode_16_64 3
		.amdhsa_dx10_clamp 1
		.amdhsa_ieee_mode 1
		.amdhsa_fp16_overflow 0
		.amdhsa_tg_split 0
		.amdhsa_exception_fp_ieee_invalid_op 0
		.amdhsa_exception_fp_denorm_src 0
		.amdhsa_exception_fp_ieee_div_zero 0
		.amdhsa_exception_fp_ieee_overflow 0
		.amdhsa_exception_fp_ieee_underflow 0
		.amdhsa_exception_fp_ieee_inexact 0
		.amdhsa_exception_int_div_zero 0
	.end_amdhsa_kernel
	.section	.text._ZN7rocprim17ROCPRIM_400000_NS6detail17trampoline_kernelINS0_14default_configENS1_38merge_sort_block_merge_config_selectorImNS0_10empty_typeEEEZZNS1_27merge_sort_block_merge_implIS3_PmPS5_jNS1_19radix_merge_compareILb1ELb1EmNS0_19identity_decomposerEEEEE10hipError_tT0_T1_T2_jT3_P12ihipStream_tbPNSt15iterator_traitsISE_E10value_typeEPNSK_ISF_E10value_typeEPSG_NS1_7vsmem_tEENKUlT_SE_SF_SG_E_clIS8_S8_S9_S9_EESD_ST_SE_SF_SG_EUlST_E1_NS1_11comp_targetILNS1_3genE3ELNS1_11target_archE908ELNS1_3gpuE7ELNS1_3repE0EEENS1_36merge_oddeven_config_static_selectorELNS0_4arch9wavefront6targetE1EEEvSF_,"axG",@progbits,_ZN7rocprim17ROCPRIM_400000_NS6detail17trampoline_kernelINS0_14default_configENS1_38merge_sort_block_merge_config_selectorImNS0_10empty_typeEEEZZNS1_27merge_sort_block_merge_implIS3_PmPS5_jNS1_19radix_merge_compareILb1ELb1EmNS0_19identity_decomposerEEEEE10hipError_tT0_T1_T2_jT3_P12ihipStream_tbPNSt15iterator_traitsISE_E10value_typeEPNSK_ISF_E10value_typeEPSG_NS1_7vsmem_tEENKUlT_SE_SF_SG_E_clIS8_S8_S9_S9_EESD_ST_SE_SF_SG_EUlST_E1_NS1_11comp_targetILNS1_3genE3ELNS1_11target_archE908ELNS1_3gpuE7ELNS1_3repE0EEENS1_36merge_oddeven_config_static_selectorELNS0_4arch9wavefront6targetE1EEEvSF_,comdat
.Lfunc_end2269:
	.size	_ZN7rocprim17ROCPRIM_400000_NS6detail17trampoline_kernelINS0_14default_configENS1_38merge_sort_block_merge_config_selectorImNS0_10empty_typeEEEZZNS1_27merge_sort_block_merge_implIS3_PmPS5_jNS1_19radix_merge_compareILb1ELb1EmNS0_19identity_decomposerEEEEE10hipError_tT0_T1_T2_jT3_P12ihipStream_tbPNSt15iterator_traitsISE_E10value_typeEPNSK_ISF_E10value_typeEPSG_NS1_7vsmem_tEENKUlT_SE_SF_SG_E_clIS8_S8_S9_S9_EESD_ST_SE_SF_SG_EUlST_E1_NS1_11comp_targetILNS1_3genE3ELNS1_11target_archE908ELNS1_3gpuE7ELNS1_3repE0EEENS1_36merge_oddeven_config_static_selectorELNS0_4arch9wavefront6targetE1EEEvSF_, .Lfunc_end2269-_ZN7rocprim17ROCPRIM_400000_NS6detail17trampoline_kernelINS0_14default_configENS1_38merge_sort_block_merge_config_selectorImNS0_10empty_typeEEEZZNS1_27merge_sort_block_merge_implIS3_PmPS5_jNS1_19radix_merge_compareILb1ELb1EmNS0_19identity_decomposerEEEEE10hipError_tT0_T1_T2_jT3_P12ihipStream_tbPNSt15iterator_traitsISE_E10value_typeEPNSK_ISF_E10value_typeEPSG_NS1_7vsmem_tEENKUlT_SE_SF_SG_E_clIS8_S8_S9_S9_EESD_ST_SE_SF_SG_EUlST_E1_NS1_11comp_targetILNS1_3genE3ELNS1_11target_archE908ELNS1_3gpuE7ELNS1_3repE0EEENS1_36merge_oddeven_config_static_selectorELNS0_4arch9wavefront6targetE1EEEvSF_
                                        ; -- End function
	.section	.AMDGPU.csdata,"",@progbits
; Kernel info:
; codeLenInByte = 0
; NumSgprs: 4
; NumVgprs: 0
; NumAgprs: 0
; TotalNumVgprs: 0
; ScratchSize: 0
; MemoryBound: 0
; FloatMode: 240
; IeeeMode: 1
; LDSByteSize: 0 bytes/workgroup (compile time only)
; SGPRBlocks: 0
; VGPRBlocks: 0
; NumSGPRsForWavesPerEU: 4
; NumVGPRsForWavesPerEU: 1
; AccumOffset: 4
; Occupancy: 8
; WaveLimiterHint : 0
; COMPUTE_PGM_RSRC2:SCRATCH_EN: 0
; COMPUTE_PGM_RSRC2:USER_SGPR: 6
; COMPUTE_PGM_RSRC2:TRAP_HANDLER: 0
; COMPUTE_PGM_RSRC2:TGID_X_EN: 1
; COMPUTE_PGM_RSRC2:TGID_Y_EN: 0
; COMPUTE_PGM_RSRC2:TGID_Z_EN: 0
; COMPUTE_PGM_RSRC2:TIDIG_COMP_CNT: 0
; COMPUTE_PGM_RSRC3_GFX90A:ACCUM_OFFSET: 0
; COMPUTE_PGM_RSRC3_GFX90A:TG_SPLIT: 0
	.section	.text._ZN7rocprim17ROCPRIM_400000_NS6detail17trampoline_kernelINS0_14default_configENS1_38merge_sort_block_merge_config_selectorImNS0_10empty_typeEEEZZNS1_27merge_sort_block_merge_implIS3_PmPS5_jNS1_19radix_merge_compareILb1ELb1EmNS0_19identity_decomposerEEEEE10hipError_tT0_T1_T2_jT3_P12ihipStream_tbPNSt15iterator_traitsISE_E10value_typeEPNSK_ISF_E10value_typeEPSG_NS1_7vsmem_tEENKUlT_SE_SF_SG_E_clIS8_S8_S9_S9_EESD_ST_SE_SF_SG_EUlST_E1_NS1_11comp_targetILNS1_3genE2ELNS1_11target_archE906ELNS1_3gpuE6ELNS1_3repE0EEENS1_36merge_oddeven_config_static_selectorELNS0_4arch9wavefront6targetE1EEEvSF_,"axG",@progbits,_ZN7rocprim17ROCPRIM_400000_NS6detail17trampoline_kernelINS0_14default_configENS1_38merge_sort_block_merge_config_selectorImNS0_10empty_typeEEEZZNS1_27merge_sort_block_merge_implIS3_PmPS5_jNS1_19radix_merge_compareILb1ELb1EmNS0_19identity_decomposerEEEEE10hipError_tT0_T1_T2_jT3_P12ihipStream_tbPNSt15iterator_traitsISE_E10value_typeEPNSK_ISF_E10value_typeEPSG_NS1_7vsmem_tEENKUlT_SE_SF_SG_E_clIS8_S8_S9_S9_EESD_ST_SE_SF_SG_EUlST_E1_NS1_11comp_targetILNS1_3genE2ELNS1_11target_archE906ELNS1_3gpuE6ELNS1_3repE0EEENS1_36merge_oddeven_config_static_selectorELNS0_4arch9wavefront6targetE1EEEvSF_,comdat
	.protected	_ZN7rocprim17ROCPRIM_400000_NS6detail17trampoline_kernelINS0_14default_configENS1_38merge_sort_block_merge_config_selectorImNS0_10empty_typeEEEZZNS1_27merge_sort_block_merge_implIS3_PmPS5_jNS1_19radix_merge_compareILb1ELb1EmNS0_19identity_decomposerEEEEE10hipError_tT0_T1_T2_jT3_P12ihipStream_tbPNSt15iterator_traitsISE_E10value_typeEPNSK_ISF_E10value_typeEPSG_NS1_7vsmem_tEENKUlT_SE_SF_SG_E_clIS8_S8_S9_S9_EESD_ST_SE_SF_SG_EUlST_E1_NS1_11comp_targetILNS1_3genE2ELNS1_11target_archE906ELNS1_3gpuE6ELNS1_3repE0EEENS1_36merge_oddeven_config_static_selectorELNS0_4arch9wavefront6targetE1EEEvSF_ ; -- Begin function _ZN7rocprim17ROCPRIM_400000_NS6detail17trampoline_kernelINS0_14default_configENS1_38merge_sort_block_merge_config_selectorImNS0_10empty_typeEEEZZNS1_27merge_sort_block_merge_implIS3_PmPS5_jNS1_19radix_merge_compareILb1ELb1EmNS0_19identity_decomposerEEEEE10hipError_tT0_T1_T2_jT3_P12ihipStream_tbPNSt15iterator_traitsISE_E10value_typeEPNSK_ISF_E10value_typeEPSG_NS1_7vsmem_tEENKUlT_SE_SF_SG_E_clIS8_S8_S9_S9_EESD_ST_SE_SF_SG_EUlST_E1_NS1_11comp_targetILNS1_3genE2ELNS1_11target_archE906ELNS1_3gpuE6ELNS1_3repE0EEENS1_36merge_oddeven_config_static_selectorELNS0_4arch9wavefront6targetE1EEEvSF_
	.globl	_ZN7rocprim17ROCPRIM_400000_NS6detail17trampoline_kernelINS0_14default_configENS1_38merge_sort_block_merge_config_selectorImNS0_10empty_typeEEEZZNS1_27merge_sort_block_merge_implIS3_PmPS5_jNS1_19radix_merge_compareILb1ELb1EmNS0_19identity_decomposerEEEEE10hipError_tT0_T1_T2_jT3_P12ihipStream_tbPNSt15iterator_traitsISE_E10value_typeEPNSK_ISF_E10value_typeEPSG_NS1_7vsmem_tEENKUlT_SE_SF_SG_E_clIS8_S8_S9_S9_EESD_ST_SE_SF_SG_EUlST_E1_NS1_11comp_targetILNS1_3genE2ELNS1_11target_archE906ELNS1_3gpuE6ELNS1_3repE0EEENS1_36merge_oddeven_config_static_selectorELNS0_4arch9wavefront6targetE1EEEvSF_
	.p2align	8
	.type	_ZN7rocprim17ROCPRIM_400000_NS6detail17trampoline_kernelINS0_14default_configENS1_38merge_sort_block_merge_config_selectorImNS0_10empty_typeEEEZZNS1_27merge_sort_block_merge_implIS3_PmPS5_jNS1_19radix_merge_compareILb1ELb1EmNS0_19identity_decomposerEEEEE10hipError_tT0_T1_T2_jT3_P12ihipStream_tbPNSt15iterator_traitsISE_E10value_typeEPNSK_ISF_E10value_typeEPSG_NS1_7vsmem_tEENKUlT_SE_SF_SG_E_clIS8_S8_S9_S9_EESD_ST_SE_SF_SG_EUlST_E1_NS1_11comp_targetILNS1_3genE2ELNS1_11target_archE906ELNS1_3gpuE6ELNS1_3repE0EEENS1_36merge_oddeven_config_static_selectorELNS0_4arch9wavefront6targetE1EEEvSF_,@function
_ZN7rocprim17ROCPRIM_400000_NS6detail17trampoline_kernelINS0_14default_configENS1_38merge_sort_block_merge_config_selectorImNS0_10empty_typeEEEZZNS1_27merge_sort_block_merge_implIS3_PmPS5_jNS1_19radix_merge_compareILb1ELb1EmNS0_19identity_decomposerEEEEE10hipError_tT0_T1_T2_jT3_P12ihipStream_tbPNSt15iterator_traitsISE_E10value_typeEPNSK_ISF_E10value_typeEPSG_NS1_7vsmem_tEENKUlT_SE_SF_SG_E_clIS8_S8_S9_S9_EESD_ST_SE_SF_SG_EUlST_E1_NS1_11comp_targetILNS1_3genE2ELNS1_11target_archE906ELNS1_3gpuE6ELNS1_3repE0EEENS1_36merge_oddeven_config_static_selectorELNS0_4arch9wavefront6targetE1EEEvSF_: ; @_ZN7rocprim17ROCPRIM_400000_NS6detail17trampoline_kernelINS0_14default_configENS1_38merge_sort_block_merge_config_selectorImNS0_10empty_typeEEEZZNS1_27merge_sort_block_merge_implIS3_PmPS5_jNS1_19radix_merge_compareILb1ELb1EmNS0_19identity_decomposerEEEEE10hipError_tT0_T1_T2_jT3_P12ihipStream_tbPNSt15iterator_traitsISE_E10value_typeEPNSK_ISF_E10value_typeEPSG_NS1_7vsmem_tEENKUlT_SE_SF_SG_E_clIS8_S8_S9_S9_EESD_ST_SE_SF_SG_EUlST_E1_NS1_11comp_targetILNS1_3genE2ELNS1_11target_archE906ELNS1_3gpuE6ELNS1_3repE0EEENS1_36merge_oddeven_config_static_selectorELNS0_4arch9wavefront6targetE1EEEvSF_
; %bb.0:
	.section	.rodata,"a",@progbits
	.p2align	6, 0x0
	.amdhsa_kernel _ZN7rocprim17ROCPRIM_400000_NS6detail17trampoline_kernelINS0_14default_configENS1_38merge_sort_block_merge_config_selectorImNS0_10empty_typeEEEZZNS1_27merge_sort_block_merge_implIS3_PmPS5_jNS1_19radix_merge_compareILb1ELb1EmNS0_19identity_decomposerEEEEE10hipError_tT0_T1_T2_jT3_P12ihipStream_tbPNSt15iterator_traitsISE_E10value_typeEPNSK_ISF_E10value_typeEPSG_NS1_7vsmem_tEENKUlT_SE_SF_SG_E_clIS8_S8_S9_S9_EESD_ST_SE_SF_SG_EUlST_E1_NS1_11comp_targetILNS1_3genE2ELNS1_11target_archE906ELNS1_3gpuE6ELNS1_3repE0EEENS1_36merge_oddeven_config_static_selectorELNS0_4arch9wavefront6targetE1EEEvSF_
		.amdhsa_group_segment_fixed_size 0
		.amdhsa_private_segment_fixed_size 0
		.amdhsa_kernarg_size 48
		.amdhsa_user_sgpr_count 6
		.amdhsa_user_sgpr_private_segment_buffer 1
		.amdhsa_user_sgpr_dispatch_ptr 0
		.amdhsa_user_sgpr_queue_ptr 0
		.amdhsa_user_sgpr_kernarg_segment_ptr 1
		.amdhsa_user_sgpr_dispatch_id 0
		.amdhsa_user_sgpr_flat_scratch_init 0
		.amdhsa_user_sgpr_kernarg_preload_length 0
		.amdhsa_user_sgpr_kernarg_preload_offset 0
		.amdhsa_user_sgpr_private_segment_size 0
		.amdhsa_uses_dynamic_stack 0
		.amdhsa_system_sgpr_private_segment_wavefront_offset 0
		.amdhsa_system_sgpr_workgroup_id_x 1
		.amdhsa_system_sgpr_workgroup_id_y 0
		.amdhsa_system_sgpr_workgroup_id_z 0
		.amdhsa_system_sgpr_workgroup_info 0
		.amdhsa_system_vgpr_workitem_id 0
		.amdhsa_next_free_vgpr 1
		.amdhsa_next_free_sgpr 0
		.amdhsa_accum_offset 4
		.amdhsa_reserve_vcc 0
		.amdhsa_reserve_flat_scratch 0
		.amdhsa_float_round_mode_32 0
		.amdhsa_float_round_mode_16_64 0
		.amdhsa_float_denorm_mode_32 3
		.amdhsa_float_denorm_mode_16_64 3
		.amdhsa_dx10_clamp 1
		.amdhsa_ieee_mode 1
		.amdhsa_fp16_overflow 0
		.amdhsa_tg_split 0
		.amdhsa_exception_fp_ieee_invalid_op 0
		.amdhsa_exception_fp_denorm_src 0
		.amdhsa_exception_fp_ieee_div_zero 0
		.amdhsa_exception_fp_ieee_overflow 0
		.amdhsa_exception_fp_ieee_underflow 0
		.amdhsa_exception_fp_ieee_inexact 0
		.amdhsa_exception_int_div_zero 0
	.end_amdhsa_kernel
	.section	.text._ZN7rocprim17ROCPRIM_400000_NS6detail17trampoline_kernelINS0_14default_configENS1_38merge_sort_block_merge_config_selectorImNS0_10empty_typeEEEZZNS1_27merge_sort_block_merge_implIS3_PmPS5_jNS1_19radix_merge_compareILb1ELb1EmNS0_19identity_decomposerEEEEE10hipError_tT0_T1_T2_jT3_P12ihipStream_tbPNSt15iterator_traitsISE_E10value_typeEPNSK_ISF_E10value_typeEPSG_NS1_7vsmem_tEENKUlT_SE_SF_SG_E_clIS8_S8_S9_S9_EESD_ST_SE_SF_SG_EUlST_E1_NS1_11comp_targetILNS1_3genE2ELNS1_11target_archE906ELNS1_3gpuE6ELNS1_3repE0EEENS1_36merge_oddeven_config_static_selectorELNS0_4arch9wavefront6targetE1EEEvSF_,"axG",@progbits,_ZN7rocprim17ROCPRIM_400000_NS6detail17trampoline_kernelINS0_14default_configENS1_38merge_sort_block_merge_config_selectorImNS0_10empty_typeEEEZZNS1_27merge_sort_block_merge_implIS3_PmPS5_jNS1_19radix_merge_compareILb1ELb1EmNS0_19identity_decomposerEEEEE10hipError_tT0_T1_T2_jT3_P12ihipStream_tbPNSt15iterator_traitsISE_E10value_typeEPNSK_ISF_E10value_typeEPSG_NS1_7vsmem_tEENKUlT_SE_SF_SG_E_clIS8_S8_S9_S9_EESD_ST_SE_SF_SG_EUlST_E1_NS1_11comp_targetILNS1_3genE2ELNS1_11target_archE906ELNS1_3gpuE6ELNS1_3repE0EEENS1_36merge_oddeven_config_static_selectorELNS0_4arch9wavefront6targetE1EEEvSF_,comdat
.Lfunc_end2270:
	.size	_ZN7rocprim17ROCPRIM_400000_NS6detail17trampoline_kernelINS0_14default_configENS1_38merge_sort_block_merge_config_selectorImNS0_10empty_typeEEEZZNS1_27merge_sort_block_merge_implIS3_PmPS5_jNS1_19radix_merge_compareILb1ELb1EmNS0_19identity_decomposerEEEEE10hipError_tT0_T1_T2_jT3_P12ihipStream_tbPNSt15iterator_traitsISE_E10value_typeEPNSK_ISF_E10value_typeEPSG_NS1_7vsmem_tEENKUlT_SE_SF_SG_E_clIS8_S8_S9_S9_EESD_ST_SE_SF_SG_EUlST_E1_NS1_11comp_targetILNS1_3genE2ELNS1_11target_archE906ELNS1_3gpuE6ELNS1_3repE0EEENS1_36merge_oddeven_config_static_selectorELNS0_4arch9wavefront6targetE1EEEvSF_, .Lfunc_end2270-_ZN7rocprim17ROCPRIM_400000_NS6detail17trampoline_kernelINS0_14default_configENS1_38merge_sort_block_merge_config_selectorImNS0_10empty_typeEEEZZNS1_27merge_sort_block_merge_implIS3_PmPS5_jNS1_19radix_merge_compareILb1ELb1EmNS0_19identity_decomposerEEEEE10hipError_tT0_T1_T2_jT3_P12ihipStream_tbPNSt15iterator_traitsISE_E10value_typeEPNSK_ISF_E10value_typeEPSG_NS1_7vsmem_tEENKUlT_SE_SF_SG_E_clIS8_S8_S9_S9_EESD_ST_SE_SF_SG_EUlST_E1_NS1_11comp_targetILNS1_3genE2ELNS1_11target_archE906ELNS1_3gpuE6ELNS1_3repE0EEENS1_36merge_oddeven_config_static_selectorELNS0_4arch9wavefront6targetE1EEEvSF_
                                        ; -- End function
	.section	.AMDGPU.csdata,"",@progbits
; Kernel info:
; codeLenInByte = 0
; NumSgprs: 4
; NumVgprs: 0
; NumAgprs: 0
; TotalNumVgprs: 0
; ScratchSize: 0
; MemoryBound: 0
; FloatMode: 240
; IeeeMode: 1
; LDSByteSize: 0 bytes/workgroup (compile time only)
; SGPRBlocks: 0
; VGPRBlocks: 0
; NumSGPRsForWavesPerEU: 4
; NumVGPRsForWavesPerEU: 1
; AccumOffset: 4
; Occupancy: 8
; WaveLimiterHint : 0
; COMPUTE_PGM_RSRC2:SCRATCH_EN: 0
; COMPUTE_PGM_RSRC2:USER_SGPR: 6
; COMPUTE_PGM_RSRC2:TRAP_HANDLER: 0
; COMPUTE_PGM_RSRC2:TGID_X_EN: 1
; COMPUTE_PGM_RSRC2:TGID_Y_EN: 0
; COMPUTE_PGM_RSRC2:TGID_Z_EN: 0
; COMPUTE_PGM_RSRC2:TIDIG_COMP_CNT: 0
; COMPUTE_PGM_RSRC3_GFX90A:ACCUM_OFFSET: 0
; COMPUTE_PGM_RSRC3_GFX90A:TG_SPLIT: 0
	.section	.text._ZN7rocprim17ROCPRIM_400000_NS6detail17trampoline_kernelINS0_14default_configENS1_38merge_sort_block_merge_config_selectorImNS0_10empty_typeEEEZZNS1_27merge_sort_block_merge_implIS3_PmPS5_jNS1_19radix_merge_compareILb1ELb1EmNS0_19identity_decomposerEEEEE10hipError_tT0_T1_T2_jT3_P12ihipStream_tbPNSt15iterator_traitsISE_E10value_typeEPNSK_ISF_E10value_typeEPSG_NS1_7vsmem_tEENKUlT_SE_SF_SG_E_clIS8_S8_S9_S9_EESD_ST_SE_SF_SG_EUlST_E1_NS1_11comp_targetILNS1_3genE9ELNS1_11target_archE1100ELNS1_3gpuE3ELNS1_3repE0EEENS1_36merge_oddeven_config_static_selectorELNS0_4arch9wavefront6targetE1EEEvSF_,"axG",@progbits,_ZN7rocprim17ROCPRIM_400000_NS6detail17trampoline_kernelINS0_14default_configENS1_38merge_sort_block_merge_config_selectorImNS0_10empty_typeEEEZZNS1_27merge_sort_block_merge_implIS3_PmPS5_jNS1_19radix_merge_compareILb1ELb1EmNS0_19identity_decomposerEEEEE10hipError_tT0_T1_T2_jT3_P12ihipStream_tbPNSt15iterator_traitsISE_E10value_typeEPNSK_ISF_E10value_typeEPSG_NS1_7vsmem_tEENKUlT_SE_SF_SG_E_clIS8_S8_S9_S9_EESD_ST_SE_SF_SG_EUlST_E1_NS1_11comp_targetILNS1_3genE9ELNS1_11target_archE1100ELNS1_3gpuE3ELNS1_3repE0EEENS1_36merge_oddeven_config_static_selectorELNS0_4arch9wavefront6targetE1EEEvSF_,comdat
	.protected	_ZN7rocprim17ROCPRIM_400000_NS6detail17trampoline_kernelINS0_14default_configENS1_38merge_sort_block_merge_config_selectorImNS0_10empty_typeEEEZZNS1_27merge_sort_block_merge_implIS3_PmPS5_jNS1_19radix_merge_compareILb1ELb1EmNS0_19identity_decomposerEEEEE10hipError_tT0_T1_T2_jT3_P12ihipStream_tbPNSt15iterator_traitsISE_E10value_typeEPNSK_ISF_E10value_typeEPSG_NS1_7vsmem_tEENKUlT_SE_SF_SG_E_clIS8_S8_S9_S9_EESD_ST_SE_SF_SG_EUlST_E1_NS1_11comp_targetILNS1_3genE9ELNS1_11target_archE1100ELNS1_3gpuE3ELNS1_3repE0EEENS1_36merge_oddeven_config_static_selectorELNS0_4arch9wavefront6targetE1EEEvSF_ ; -- Begin function _ZN7rocprim17ROCPRIM_400000_NS6detail17trampoline_kernelINS0_14default_configENS1_38merge_sort_block_merge_config_selectorImNS0_10empty_typeEEEZZNS1_27merge_sort_block_merge_implIS3_PmPS5_jNS1_19radix_merge_compareILb1ELb1EmNS0_19identity_decomposerEEEEE10hipError_tT0_T1_T2_jT3_P12ihipStream_tbPNSt15iterator_traitsISE_E10value_typeEPNSK_ISF_E10value_typeEPSG_NS1_7vsmem_tEENKUlT_SE_SF_SG_E_clIS8_S8_S9_S9_EESD_ST_SE_SF_SG_EUlST_E1_NS1_11comp_targetILNS1_3genE9ELNS1_11target_archE1100ELNS1_3gpuE3ELNS1_3repE0EEENS1_36merge_oddeven_config_static_selectorELNS0_4arch9wavefront6targetE1EEEvSF_
	.globl	_ZN7rocprim17ROCPRIM_400000_NS6detail17trampoline_kernelINS0_14default_configENS1_38merge_sort_block_merge_config_selectorImNS0_10empty_typeEEEZZNS1_27merge_sort_block_merge_implIS3_PmPS5_jNS1_19radix_merge_compareILb1ELb1EmNS0_19identity_decomposerEEEEE10hipError_tT0_T1_T2_jT3_P12ihipStream_tbPNSt15iterator_traitsISE_E10value_typeEPNSK_ISF_E10value_typeEPSG_NS1_7vsmem_tEENKUlT_SE_SF_SG_E_clIS8_S8_S9_S9_EESD_ST_SE_SF_SG_EUlST_E1_NS1_11comp_targetILNS1_3genE9ELNS1_11target_archE1100ELNS1_3gpuE3ELNS1_3repE0EEENS1_36merge_oddeven_config_static_selectorELNS0_4arch9wavefront6targetE1EEEvSF_
	.p2align	8
	.type	_ZN7rocprim17ROCPRIM_400000_NS6detail17trampoline_kernelINS0_14default_configENS1_38merge_sort_block_merge_config_selectorImNS0_10empty_typeEEEZZNS1_27merge_sort_block_merge_implIS3_PmPS5_jNS1_19radix_merge_compareILb1ELb1EmNS0_19identity_decomposerEEEEE10hipError_tT0_T1_T2_jT3_P12ihipStream_tbPNSt15iterator_traitsISE_E10value_typeEPNSK_ISF_E10value_typeEPSG_NS1_7vsmem_tEENKUlT_SE_SF_SG_E_clIS8_S8_S9_S9_EESD_ST_SE_SF_SG_EUlST_E1_NS1_11comp_targetILNS1_3genE9ELNS1_11target_archE1100ELNS1_3gpuE3ELNS1_3repE0EEENS1_36merge_oddeven_config_static_selectorELNS0_4arch9wavefront6targetE1EEEvSF_,@function
_ZN7rocprim17ROCPRIM_400000_NS6detail17trampoline_kernelINS0_14default_configENS1_38merge_sort_block_merge_config_selectorImNS0_10empty_typeEEEZZNS1_27merge_sort_block_merge_implIS3_PmPS5_jNS1_19radix_merge_compareILb1ELb1EmNS0_19identity_decomposerEEEEE10hipError_tT0_T1_T2_jT3_P12ihipStream_tbPNSt15iterator_traitsISE_E10value_typeEPNSK_ISF_E10value_typeEPSG_NS1_7vsmem_tEENKUlT_SE_SF_SG_E_clIS8_S8_S9_S9_EESD_ST_SE_SF_SG_EUlST_E1_NS1_11comp_targetILNS1_3genE9ELNS1_11target_archE1100ELNS1_3gpuE3ELNS1_3repE0EEENS1_36merge_oddeven_config_static_selectorELNS0_4arch9wavefront6targetE1EEEvSF_: ; @_ZN7rocprim17ROCPRIM_400000_NS6detail17trampoline_kernelINS0_14default_configENS1_38merge_sort_block_merge_config_selectorImNS0_10empty_typeEEEZZNS1_27merge_sort_block_merge_implIS3_PmPS5_jNS1_19radix_merge_compareILb1ELb1EmNS0_19identity_decomposerEEEEE10hipError_tT0_T1_T2_jT3_P12ihipStream_tbPNSt15iterator_traitsISE_E10value_typeEPNSK_ISF_E10value_typeEPSG_NS1_7vsmem_tEENKUlT_SE_SF_SG_E_clIS8_S8_S9_S9_EESD_ST_SE_SF_SG_EUlST_E1_NS1_11comp_targetILNS1_3genE9ELNS1_11target_archE1100ELNS1_3gpuE3ELNS1_3repE0EEENS1_36merge_oddeven_config_static_selectorELNS0_4arch9wavefront6targetE1EEEvSF_
; %bb.0:
	.section	.rodata,"a",@progbits
	.p2align	6, 0x0
	.amdhsa_kernel _ZN7rocprim17ROCPRIM_400000_NS6detail17trampoline_kernelINS0_14default_configENS1_38merge_sort_block_merge_config_selectorImNS0_10empty_typeEEEZZNS1_27merge_sort_block_merge_implIS3_PmPS5_jNS1_19radix_merge_compareILb1ELb1EmNS0_19identity_decomposerEEEEE10hipError_tT0_T1_T2_jT3_P12ihipStream_tbPNSt15iterator_traitsISE_E10value_typeEPNSK_ISF_E10value_typeEPSG_NS1_7vsmem_tEENKUlT_SE_SF_SG_E_clIS8_S8_S9_S9_EESD_ST_SE_SF_SG_EUlST_E1_NS1_11comp_targetILNS1_3genE9ELNS1_11target_archE1100ELNS1_3gpuE3ELNS1_3repE0EEENS1_36merge_oddeven_config_static_selectorELNS0_4arch9wavefront6targetE1EEEvSF_
		.amdhsa_group_segment_fixed_size 0
		.amdhsa_private_segment_fixed_size 0
		.amdhsa_kernarg_size 48
		.amdhsa_user_sgpr_count 6
		.amdhsa_user_sgpr_private_segment_buffer 1
		.amdhsa_user_sgpr_dispatch_ptr 0
		.amdhsa_user_sgpr_queue_ptr 0
		.amdhsa_user_sgpr_kernarg_segment_ptr 1
		.amdhsa_user_sgpr_dispatch_id 0
		.amdhsa_user_sgpr_flat_scratch_init 0
		.amdhsa_user_sgpr_kernarg_preload_length 0
		.amdhsa_user_sgpr_kernarg_preload_offset 0
		.amdhsa_user_sgpr_private_segment_size 0
		.amdhsa_uses_dynamic_stack 0
		.amdhsa_system_sgpr_private_segment_wavefront_offset 0
		.amdhsa_system_sgpr_workgroup_id_x 1
		.amdhsa_system_sgpr_workgroup_id_y 0
		.amdhsa_system_sgpr_workgroup_id_z 0
		.amdhsa_system_sgpr_workgroup_info 0
		.amdhsa_system_vgpr_workitem_id 0
		.amdhsa_next_free_vgpr 1
		.amdhsa_next_free_sgpr 0
		.amdhsa_accum_offset 4
		.amdhsa_reserve_vcc 0
		.amdhsa_reserve_flat_scratch 0
		.amdhsa_float_round_mode_32 0
		.amdhsa_float_round_mode_16_64 0
		.amdhsa_float_denorm_mode_32 3
		.amdhsa_float_denorm_mode_16_64 3
		.amdhsa_dx10_clamp 1
		.amdhsa_ieee_mode 1
		.amdhsa_fp16_overflow 0
		.amdhsa_tg_split 0
		.amdhsa_exception_fp_ieee_invalid_op 0
		.amdhsa_exception_fp_denorm_src 0
		.amdhsa_exception_fp_ieee_div_zero 0
		.amdhsa_exception_fp_ieee_overflow 0
		.amdhsa_exception_fp_ieee_underflow 0
		.amdhsa_exception_fp_ieee_inexact 0
		.amdhsa_exception_int_div_zero 0
	.end_amdhsa_kernel
	.section	.text._ZN7rocprim17ROCPRIM_400000_NS6detail17trampoline_kernelINS0_14default_configENS1_38merge_sort_block_merge_config_selectorImNS0_10empty_typeEEEZZNS1_27merge_sort_block_merge_implIS3_PmPS5_jNS1_19radix_merge_compareILb1ELb1EmNS0_19identity_decomposerEEEEE10hipError_tT0_T1_T2_jT3_P12ihipStream_tbPNSt15iterator_traitsISE_E10value_typeEPNSK_ISF_E10value_typeEPSG_NS1_7vsmem_tEENKUlT_SE_SF_SG_E_clIS8_S8_S9_S9_EESD_ST_SE_SF_SG_EUlST_E1_NS1_11comp_targetILNS1_3genE9ELNS1_11target_archE1100ELNS1_3gpuE3ELNS1_3repE0EEENS1_36merge_oddeven_config_static_selectorELNS0_4arch9wavefront6targetE1EEEvSF_,"axG",@progbits,_ZN7rocprim17ROCPRIM_400000_NS6detail17trampoline_kernelINS0_14default_configENS1_38merge_sort_block_merge_config_selectorImNS0_10empty_typeEEEZZNS1_27merge_sort_block_merge_implIS3_PmPS5_jNS1_19radix_merge_compareILb1ELb1EmNS0_19identity_decomposerEEEEE10hipError_tT0_T1_T2_jT3_P12ihipStream_tbPNSt15iterator_traitsISE_E10value_typeEPNSK_ISF_E10value_typeEPSG_NS1_7vsmem_tEENKUlT_SE_SF_SG_E_clIS8_S8_S9_S9_EESD_ST_SE_SF_SG_EUlST_E1_NS1_11comp_targetILNS1_3genE9ELNS1_11target_archE1100ELNS1_3gpuE3ELNS1_3repE0EEENS1_36merge_oddeven_config_static_selectorELNS0_4arch9wavefront6targetE1EEEvSF_,comdat
.Lfunc_end2271:
	.size	_ZN7rocprim17ROCPRIM_400000_NS6detail17trampoline_kernelINS0_14default_configENS1_38merge_sort_block_merge_config_selectorImNS0_10empty_typeEEEZZNS1_27merge_sort_block_merge_implIS3_PmPS5_jNS1_19radix_merge_compareILb1ELb1EmNS0_19identity_decomposerEEEEE10hipError_tT0_T1_T2_jT3_P12ihipStream_tbPNSt15iterator_traitsISE_E10value_typeEPNSK_ISF_E10value_typeEPSG_NS1_7vsmem_tEENKUlT_SE_SF_SG_E_clIS8_S8_S9_S9_EESD_ST_SE_SF_SG_EUlST_E1_NS1_11comp_targetILNS1_3genE9ELNS1_11target_archE1100ELNS1_3gpuE3ELNS1_3repE0EEENS1_36merge_oddeven_config_static_selectorELNS0_4arch9wavefront6targetE1EEEvSF_, .Lfunc_end2271-_ZN7rocprim17ROCPRIM_400000_NS6detail17trampoline_kernelINS0_14default_configENS1_38merge_sort_block_merge_config_selectorImNS0_10empty_typeEEEZZNS1_27merge_sort_block_merge_implIS3_PmPS5_jNS1_19radix_merge_compareILb1ELb1EmNS0_19identity_decomposerEEEEE10hipError_tT0_T1_T2_jT3_P12ihipStream_tbPNSt15iterator_traitsISE_E10value_typeEPNSK_ISF_E10value_typeEPSG_NS1_7vsmem_tEENKUlT_SE_SF_SG_E_clIS8_S8_S9_S9_EESD_ST_SE_SF_SG_EUlST_E1_NS1_11comp_targetILNS1_3genE9ELNS1_11target_archE1100ELNS1_3gpuE3ELNS1_3repE0EEENS1_36merge_oddeven_config_static_selectorELNS0_4arch9wavefront6targetE1EEEvSF_
                                        ; -- End function
	.section	.AMDGPU.csdata,"",@progbits
; Kernel info:
; codeLenInByte = 0
; NumSgprs: 4
; NumVgprs: 0
; NumAgprs: 0
; TotalNumVgprs: 0
; ScratchSize: 0
; MemoryBound: 0
; FloatMode: 240
; IeeeMode: 1
; LDSByteSize: 0 bytes/workgroup (compile time only)
; SGPRBlocks: 0
; VGPRBlocks: 0
; NumSGPRsForWavesPerEU: 4
; NumVGPRsForWavesPerEU: 1
; AccumOffset: 4
; Occupancy: 8
; WaveLimiterHint : 0
; COMPUTE_PGM_RSRC2:SCRATCH_EN: 0
; COMPUTE_PGM_RSRC2:USER_SGPR: 6
; COMPUTE_PGM_RSRC2:TRAP_HANDLER: 0
; COMPUTE_PGM_RSRC2:TGID_X_EN: 1
; COMPUTE_PGM_RSRC2:TGID_Y_EN: 0
; COMPUTE_PGM_RSRC2:TGID_Z_EN: 0
; COMPUTE_PGM_RSRC2:TIDIG_COMP_CNT: 0
; COMPUTE_PGM_RSRC3_GFX90A:ACCUM_OFFSET: 0
; COMPUTE_PGM_RSRC3_GFX90A:TG_SPLIT: 0
	.section	.text._ZN7rocprim17ROCPRIM_400000_NS6detail17trampoline_kernelINS0_14default_configENS1_38merge_sort_block_merge_config_selectorImNS0_10empty_typeEEEZZNS1_27merge_sort_block_merge_implIS3_PmPS5_jNS1_19radix_merge_compareILb1ELb1EmNS0_19identity_decomposerEEEEE10hipError_tT0_T1_T2_jT3_P12ihipStream_tbPNSt15iterator_traitsISE_E10value_typeEPNSK_ISF_E10value_typeEPSG_NS1_7vsmem_tEENKUlT_SE_SF_SG_E_clIS8_S8_S9_S9_EESD_ST_SE_SF_SG_EUlST_E1_NS1_11comp_targetILNS1_3genE8ELNS1_11target_archE1030ELNS1_3gpuE2ELNS1_3repE0EEENS1_36merge_oddeven_config_static_selectorELNS0_4arch9wavefront6targetE1EEEvSF_,"axG",@progbits,_ZN7rocprim17ROCPRIM_400000_NS6detail17trampoline_kernelINS0_14default_configENS1_38merge_sort_block_merge_config_selectorImNS0_10empty_typeEEEZZNS1_27merge_sort_block_merge_implIS3_PmPS5_jNS1_19radix_merge_compareILb1ELb1EmNS0_19identity_decomposerEEEEE10hipError_tT0_T1_T2_jT3_P12ihipStream_tbPNSt15iterator_traitsISE_E10value_typeEPNSK_ISF_E10value_typeEPSG_NS1_7vsmem_tEENKUlT_SE_SF_SG_E_clIS8_S8_S9_S9_EESD_ST_SE_SF_SG_EUlST_E1_NS1_11comp_targetILNS1_3genE8ELNS1_11target_archE1030ELNS1_3gpuE2ELNS1_3repE0EEENS1_36merge_oddeven_config_static_selectorELNS0_4arch9wavefront6targetE1EEEvSF_,comdat
	.protected	_ZN7rocprim17ROCPRIM_400000_NS6detail17trampoline_kernelINS0_14default_configENS1_38merge_sort_block_merge_config_selectorImNS0_10empty_typeEEEZZNS1_27merge_sort_block_merge_implIS3_PmPS5_jNS1_19radix_merge_compareILb1ELb1EmNS0_19identity_decomposerEEEEE10hipError_tT0_T1_T2_jT3_P12ihipStream_tbPNSt15iterator_traitsISE_E10value_typeEPNSK_ISF_E10value_typeEPSG_NS1_7vsmem_tEENKUlT_SE_SF_SG_E_clIS8_S8_S9_S9_EESD_ST_SE_SF_SG_EUlST_E1_NS1_11comp_targetILNS1_3genE8ELNS1_11target_archE1030ELNS1_3gpuE2ELNS1_3repE0EEENS1_36merge_oddeven_config_static_selectorELNS0_4arch9wavefront6targetE1EEEvSF_ ; -- Begin function _ZN7rocprim17ROCPRIM_400000_NS6detail17trampoline_kernelINS0_14default_configENS1_38merge_sort_block_merge_config_selectorImNS0_10empty_typeEEEZZNS1_27merge_sort_block_merge_implIS3_PmPS5_jNS1_19radix_merge_compareILb1ELb1EmNS0_19identity_decomposerEEEEE10hipError_tT0_T1_T2_jT3_P12ihipStream_tbPNSt15iterator_traitsISE_E10value_typeEPNSK_ISF_E10value_typeEPSG_NS1_7vsmem_tEENKUlT_SE_SF_SG_E_clIS8_S8_S9_S9_EESD_ST_SE_SF_SG_EUlST_E1_NS1_11comp_targetILNS1_3genE8ELNS1_11target_archE1030ELNS1_3gpuE2ELNS1_3repE0EEENS1_36merge_oddeven_config_static_selectorELNS0_4arch9wavefront6targetE1EEEvSF_
	.globl	_ZN7rocprim17ROCPRIM_400000_NS6detail17trampoline_kernelINS0_14default_configENS1_38merge_sort_block_merge_config_selectorImNS0_10empty_typeEEEZZNS1_27merge_sort_block_merge_implIS3_PmPS5_jNS1_19radix_merge_compareILb1ELb1EmNS0_19identity_decomposerEEEEE10hipError_tT0_T1_T2_jT3_P12ihipStream_tbPNSt15iterator_traitsISE_E10value_typeEPNSK_ISF_E10value_typeEPSG_NS1_7vsmem_tEENKUlT_SE_SF_SG_E_clIS8_S8_S9_S9_EESD_ST_SE_SF_SG_EUlST_E1_NS1_11comp_targetILNS1_3genE8ELNS1_11target_archE1030ELNS1_3gpuE2ELNS1_3repE0EEENS1_36merge_oddeven_config_static_selectorELNS0_4arch9wavefront6targetE1EEEvSF_
	.p2align	8
	.type	_ZN7rocprim17ROCPRIM_400000_NS6detail17trampoline_kernelINS0_14default_configENS1_38merge_sort_block_merge_config_selectorImNS0_10empty_typeEEEZZNS1_27merge_sort_block_merge_implIS3_PmPS5_jNS1_19radix_merge_compareILb1ELb1EmNS0_19identity_decomposerEEEEE10hipError_tT0_T1_T2_jT3_P12ihipStream_tbPNSt15iterator_traitsISE_E10value_typeEPNSK_ISF_E10value_typeEPSG_NS1_7vsmem_tEENKUlT_SE_SF_SG_E_clIS8_S8_S9_S9_EESD_ST_SE_SF_SG_EUlST_E1_NS1_11comp_targetILNS1_3genE8ELNS1_11target_archE1030ELNS1_3gpuE2ELNS1_3repE0EEENS1_36merge_oddeven_config_static_selectorELNS0_4arch9wavefront6targetE1EEEvSF_,@function
_ZN7rocprim17ROCPRIM_400000_NS6detail17trampoline_kernelINS0_14default_configENS1_38merge_sort_block_merge_config_selectorImNS0_10empty_typeEEEZZNS1_27merge_sort_block_merge_implIS3_PmPS5_jNS1_19radix_merge_compareILb1ELb1EmNS0_19identity_decomposerEEEEE10hipError_tT0_T1_T2_jT3_P12ihipStream_tbPNSt15iterator_traitsISE_E10value_typeEPNSK_ISF_E10value_typeEPSG_NS1_7vsmem_tEENKUlT_SE_SF_SG_E_clIS8_S8_S9_S9_EESD_ST_SE_SF_SG_EUlST_E1_NS1_11comp_targetILNS1_3genE8ELNS1_11target_archE1030ELNS1_3gpuE2ELNS1_3repE0EEENS1_36merge_oddeven_config_static_selectorELNS0_4arch9wavefront6targetE1EEEvSF_: ; @_ZN7rocprim17ROCPRIM_400000_NS6detail17trampoline_kernelINS0_14default_configENS1_38merge_sort_block_merge_config_selectorImNS0_10empty_typeEEEZZNS1_27merge_sort_block_merge_implIS3_PmPS5_jNS1_19radix_merge_compareILb1ELb1EmNS0_19identity_decomposerEEEEE10hipError_tT0_T1_T2_jT3_P12ihipStream_tbPNSt15iterator_traitsISE_E10value_typeEPNSK_ISF_E10value_typeEPSG_NS1_7vsmem_tEENKUlT_SE_SF_SG_E_clIS8_S8_S9_S9_EESD_ST_SE_SF_SG_EUlST_E1_NS1_11comp_targetILNS1_3genE8ELNS1_11target_archE1030ELNS1_3gpuE2ELNS1_3repE0EEENS1_36merge_oddeven_config_static_selectorELNS0_4arch9wavefront6targetE1EEEvSF_
; %bb.0:
	.section	.rodata,"a",@progbits
	.p2align	6, 0x0
	.amdhsa_kernel _ZN7rocprim17ROCPRIM_400000_NS6detail17trampoline_kernelINS0_14default_configENS1_38merge_sort_block_merge_config_selectorImNS0_10empty_typeEEEZZNS1_27merge_sort_block_merge_implIS3_PmPS5_jNS1_19radix_merge_compareILb1ELb1EmNS0_19identity_decomposerEEEEE10hipError_tT0_T1_T2_jT3_P12ihipStream_tbPNSt15iterator_traitsISE_E10value_typeEPNSK_ISF_E10value_typeEPSG_NS1_7vsmem_tEENKUlT_SE_SF_SG_E_clIS8_S8_S9_S9_EESD_ST_SE_SF_SG_EUlST_E1_NS1_11comp_targetILNS1_3genE8ELNS1_11target_archE1030ELNS1_3gpuE2ELNS1_3repE0EEENS1_36merge_oddeven_config_static_selectorELNS0_4arch9wavefront6targetE1EEEvSF_
		.amdhsa_group_segment_fixed_size 0
		.amdhsa_private_segment_fixed_size 0
		.amdhsa_kernarg_size 48
		.amdhsa_user_sgpr_count 6
		.amdhsa_user_sgpr_private_segment_buffer 1
		.amdhsa_user_sgpr_dispatch_ptr 0
		.amdhsa_user_sgpr_queue_ptr 0
		.amdhsa_user_sgpr_kernarg_segment_ptr 1
		.amdhsa_user_sgpr_dispatch_id 0
		.amdhsa_user_sgpr_flat_scratch_init 0
		.amdhsa_user_sgpr_kernarg_preload_length 0
		.amdhsa_user_sgpr_kernarg_preload_offset 0
		.amdhsa_user_sgpr_private_segment_size 0
		.amdhsa_uses_dynamic_stack 0
		.amdhsa_system_sgpr_private_segment_wavefront_offset 0
		.amdhsa_system_sgpr_workgroup_id_x 1
		.amdhsa_system_sgpr_workgroup_id_y 0
		.amdhsa_system_sgpr_workgroup_id_z 0
		.amdhsa_system_sgpr_workgroup_info 0
		.amdhsa_system_vgpr_workitem_id 0
		.amdhsa_next_free_vgpr 1
		.amdhsa_next_free_sgpr 0
		.amdhsa_accum_offset 4
		.amdhsa_reserve_vcc 0
		.amdhsa_reserve_flat_scratch 0
		.amdhsa_float_round_mode_32 0
		.amdhsa_float_round_mode_16_64 0
		.amdhsa_float_denorm_mode_32 3
		.amdhsa_float_denorm_mode_16_64 3
		.amdhsa_dx10_clamp 1
		.amdhsa_ieee_mode 1
		.amdhsa_fp16_overflow 0
		.amdhsa_tg_split 0
		.amdhsa_exception_fp_ieee_invalid_op 0
		.amdhsa_exception_fp_denorm_src 0
		.amdhsa_exception_fp_ieee_div_zero 0
		.amdhsa_exception_fp_ieee_overflow 0
		.amdhsa_exception_fp_ieee_underflow 0
		.amdhsa_exception_fp_ieee_inexact 0
		.amdhsa_exception_int_div_zero 0
	.end_amdhsa_kernel
	.section	.text._ZN7rocprim17ROCPRIM_400000_NS6detail17trampoline_kernelINS0_14default_configENS1_38merge_sort_block_merge_config_selectorImNS0_10empty_typeEEEZZNS1_27merge_sort_block_merge_implIS3_PmPS5_jNS1_19radix_merge_compareILb1ELb1EmNS0_19identity_decomposerEEEEE10hipError_tT0_T1_T2_jT3_P12ihipStream_tbPNSt15iterator_traitsISE_E10value_typeEPNSK_ISF_E10value_typeEPSG_NS1_7vsmem_tEENKUlT_SE_SF_SG_E_clIS8_S8_S9_S9_EESD_ST_SE_SF_SG_EUlST_E1_NS1_11comp_targetILNS1_3genE8ELNS1_11target_archE1030ELNS1_3gpuE2ELNS1_3repE0EEENS1_36merge_oddeven_config_static_selectorELNS0_4arch9wavefront6targetE1EEEvSF_,"axG",@progbits,_ZN7rocprim17ROCPRIM_400000_NS6detail17trampoline_kernelINS0_14default_configENS1_38merge_sort_block_merge_config_selectorImNS0_10empty_typeEEEZZNS1_27merge_sort_block_merge_implIS3_PmPS5_jNS1_19radix_merge_compareILb1ELb1EmNS0_19identity_decomposerEEEEE10hipError_tT0_T1_T2_jT3_P12ihipStream_tbPNSt15iterator_traitsISE_E10value_typeEPNSK_ISF_E10value_typeEPSG_NS1_7vsmem_tEENKUlT_SE_SF_SG_E_clIS8_S8_S9_S9_EESD_ST_SE_SF_SG_EUlST_E1_NS1_11comp_targetILNS1_3genE8ELNS1_11target_archE1030ELNS1_3gpuE2ELNS1_3repE0EEENS1_36merge_oddeven_config_static_selectorELNS0_4arch9wavefront6targetE1EEEvSF_,comdat
.Lfunc_end2272:
	.size	_ZN7rocprim17ROCPRIM_400000_NS6detail17trampoline_kernelINS0_14default_configENS1_38merge_sort_block_merge_config_selectorImNS0_10empty_typeEEEZZNS1_27merge_sort_block_merge_implIS3_PmPS5_jNS1_19radix_merge_compareILb1ELb1EmNS0_19identity_decomposerEEEEE10hipError_tT0_T1_T2_jT3_P12ihipStream_tbPNSt15iterator_traitsISE_E10value_typeEPNSK_ISF_E10value_typeEPSG_NS1_7vsmem_tEENKUlT_SE_SF_SG_E_clIS8_S8_S9_S9_EESD_ST_SE_SF_SG_EUlST_E1_NS1_11comp_targetILNS1_3genE8ELNS1_11target_archE1030ELNS1_3gpuE2ELNS1_3repE0EEENS1_36merge_oddeven_config_static_selectorELNS0_4arch9wavefront6targetE1EEEvSF_, .Lfunc_end2272-_ZN7rocprim17ROCPRIM_400000_NS6detail17trampoline_kernelINS0_14default_configENS1_38merge_sort_block_merge_config_selectorImNS0_10empty_typeEEEZZNS1_27merge_sort_block_merge_implIS3_PmPS5_jNS1_19radix_merge_compareILb1ELb1EmNS0_19identity_decomposerEEEEE10hipError_tT0_T1_T2_jT3_P12ihipStream_tbPNSt15iterator_traitsISE_E10value_typeEPNSK_ISF_E10value_typeEPSG_NS1_7vsmem_tEENKUlT_SE_SF_SG_E_clIS8_S8_S9_S9_EESD_ST_SE_SF_SG_EUlST_E1_NS1_11comp_targetILNS1_3genE8ELNS1_11target_archE1030ELNS1_3gpuE2ELNS1_3repE0EEENS1_36merge_oddeven_config_static_selectorELNS0_4arch9wavefront6targetE1EEEvSF_
                                        ; -- End function
	.section	.AMDGPU.csdata,"",@progbits
; Kernel info:
; codeLenInByte = 0
; NumSgprs: 4
; NumVgprs: 0
; NumAgprs: 0
; TotalNumVgprs: 0
; ScratchSize: 0
; MemoryBound: 0
; FloatMode: 240
; IeeeMode: 1
; LDSByteSize: 0 bytes/workgroup (compile time only)
; SGPRBlocks: 0
; VGPRBlocks: 0
; NumSGPRsForWavesPerEU: 4
; NumVGPRsForWavesPerEU: 1
; AccumOffset: 4
; Occupancy: 8
; WaveLimiterHint : 0
; COMPUTE_PGM_RSRC2:SCRATCH_EN: 0
; COMPUTE_PGM_RSRC2:USER_SGPR: 6
; COMPUTE_PGM_RSRC2:TRAP_HANDLER: 0
; COMPUTE_PGM_RSRC2:TGID_X_EN: 1
; COMPUTE_PGM_RSRC2:TGID_Y_EN: 0
; COMPUTE_PGM_RSRC2:TGID_Z_EN: 0
; COMPUTE_PGM_RSRC2:TIDIG_COMP_CNT: 0
; COMPUTE_PGM_RSRC3_GFX90A:ACCUM_OFFSET: 0
; COMPUTE_PGM_RSRC3_GFX90A:TG_SPLIT: 0
	.section	.text._ZN7rocprim17ROCPRIM_400000_NS6detail17trampoline_kernelINS0_14default_configENS1_35radix_sort_onesweep_config_selectorImNS0_10empty_typeEEEZNS1_34radix_sort_onesweep_global_offsetsIS3_Lb1EPmPS5_mNS0_19identity_decomposerEEE10hipError_tT1_T2_PT3_SE_jT4_jjP12ihipStream_tbEUlT_E_NS1_11comp_targetILNS1_3genE0ELNS1_11target_archE4294967295ELNS1_3gpuE0ELNS1_3repE0EEENS1_52radix_sort_onesweep_histogram_config_static_selectorELNS0_4arch9wavefront6targetE1EEEvSC_,"axG",@progbits,_ZN7rocprim17ROCPRIM_400000_NS6detail17trampoline_kernelINS0_14default_configENS1_35radix_sort_onesweep_config_selectorImNS0_10empty_typeEEEZNS1_34radix_sort_onesweep_global_offsetsIS3_Lb1EPmPS5_mNS0_19identity_decomposerEEE10hipError_tT1_T2_PT3_SE_jT4_jjP12ihipStream_tbEUlT_E_NS1_11comp_targetILNS1_3genE0ELNS1_11target_archE4294967295ELNS1_3gpuE0ELNS1_3repE0EEENS1_52radix_sort_onesweep_histogram_config_static_selectorELNS0_4arch9wavefront6targetE1EEEvSC_,comdat
	.protected	_ZN7rocprim17ROCPRIM_400000_NS6detail17trampoline_kernelINS0_14default_configENS1_35radix_sort_onesweep_config_selectorImNS0_10empty_typeEEEZNS1_34radix_sort_onesweep_global_offsetsIS3_Lb1EPmPS5_mNS0_19identity_decomposerEEE10hipError_tT1_T2_PT3_SE_jT4_jjP12ihipStream_tbEUlT_E_NS1_11comp_targetILNS1_3genE0ELNS1_11target_archE4294967295ELNS1_3gpuE0ELNS1_3repE0EEENS1_52radix_sort_onesweep_histogram_config_static_selectorELNS0_4arch9wavefront6targetE1EEEvSC_ ; -- Begin function _ZN7rocprim17ROCPRIM_400000_NS6detail17trampoline_kernelINS0_14default_configENS1_35radix_sort_onesweep_config_selectorImNS0_10empty_typeEEEZNS1_34radix_sort_onesweep_global_offsetsIS3_Lb1EPmPS5_mNS0_19identity_decomposerEEE10hipError_tT1_T2_PT3_SE_jT4_jjP12ihipStream_tbEUlT_E_NS1_11comp_targetILNS1_3genE0ELNS1_11target_archE4294967295ELNS1_3gpuE0ELNS1_3repE0EEENS1_52radix_sort_onesweep_histogram_config_static_selectorELNS0_4arch9wavefront6targetE1EEEvSC_
	.globl	_ZN7rocprim17ROCPRIM_400000_NS6detail17trampoline_kernelINS0_14default_configENS1_35radix_sort_onesweep_config_selectorImNS0_10empty_typeEEEZNS1_34radix_sort_onesweep_global_offsetsIS3_Lb1EPmPS5_mNS0_19identity_decomposerEEE10hipError_tT1_T2_PT3_SE_jT4_jjP12ihipStream_tbEUlT_E_NS1_11comp_targetILNS1_3genE0ELNS1_11target_archE4294967295ELNS1_3gpuE0ELNS1_3repE0EEENS1_52radix_sort_onesweep_histogram_config_static_selectorELNS0_4arch9wavefront6targetE1EEEvSC_
	.p2align	8
	.type	_ZN7rocprim17ROCPRIM_400000_NS6detail17trampoline_kernelINS0_14default_configENS1_35radix_sort_onesweep_config_selectorImNS0_10empty_typeEEEZNS1_34radix_sort_onesweep_global_offsetsIS3_Lb1EPmPS5_mNS0_19identity_decomposerEEE10hipError_tT1_T2_PT3_SE_jT4_jjP12ihipStream_tbEUlT_E_NS1_11comp_targetILNS1_3genE0ELNS1_11target_archE4294967295ELNS1_3gpuE0ELNS1_3repE0EEENS1_52radix_sort_onesweep_histogram_config_static_selectorELNS0_4arch9wavefront6targetE1EEEvSC_,@function
_ZN7rocprim17ROCPRIM_400000_NS6detail17trampoline_kernelINS0_14default_configENS1_35radix_sort_onesweep_config_selectorImNS0_10empty_typeEEEZNS1_34radix_sort_onesweep_global_offsetsIS3_Lb1EPmPS5_mNS0_19identity_decomposerEEE10hipError_tT1_T2_PT3_SE_jT4_jjP12ihipStream_tbEUlT_E_NS1_11comp_targetILNS1_3genE0ELNS1_11target_archE4294967295ELNS1_3gpuE0ELNS1_3repE0EEENS1_52radix_sort_onesweep_histogram_config_static_selectorELNS0_4arch9wavefront6targetE1EEEvSC_: ; @_ZN7rocprim17ROCPRIM_400000_NS6detail17trampoline_kernelINS0_14default_configENS1_35radix_sort_onesweep_config_selectorImNS0_10empty_typeEEEZNS1_34radix_sort_onesweep_global_offsetsIS3_Lb1EPmPS5_mNS0_19identity_decomposerEEE10hipError_tT1_T2_PT3_SE_jT4_jjP12ihipStream_tbEUlT_E_NS1_11comp_targetILNS1_3genE0ELNS1_11target_archE4294967295ELNS1_3gpuE0ELNS1_3repE0EEENS1_52radix_sort_onesweep_histogram_config_static_selectorELNS0_4arch9wavefront6targetE1EEEvSC_
; %bb.0:
	.section	.rodata,"a",@progbits
	.p2align	6, 0x0
	.amdhsa_kernel _ZN7rocprim17ROCPRIM_400000_NS6detail17trampoline_kernelINS0_14default_configENS1_35radix_sort_onesweep_config_selectorImNS0_10empty_typeEEEZNS1_34radix_sort_onesweep_global_offsetsIS3_Lb1EPmPS5_mNS0_19identity_decomposerEEE10hipError_tT1_T2_PT3_SE_jT4_jjP12ihipStream_tbEUlT_E_NS1_11comp_targetILNS1_3genE0ELNS1_11target_archE4294967295ELNS1_3gpuE0ELNS1_3repE0EEENS1_52radix_sort_onesweep_histogram_config_static_selectorELNS0_4arch9wavefront6targetE1EEEvSC_
		.amdhsa_group_segment_fixed_size 0
		.amdhsa_private_segment_fixed_size 0
		.amdhsa_kernarg_size 48
		.amdhsa_user_sgpr_count 6
		.amdhsa_user_sgpr_private_segment_buffer 1
		.amdhsa_user_sgpr_dispatch_ptr 0
		.amdhsa_user_sgpr_queue_ptr 0
		.amdhsa_user_sgpr_kernarg_segment_ptr 1
		.amdhsa_user_sgpr_dispatch_id 0
		.amdhsa_user_sgpr_flat_scratch_init 0
		.amdhsa_user_sgpr_kernarg_preload_length 0
		.amdhsa_user_sgpr_kernarg_preload_offset 0
		.amdhsa_user_sgpr_private_segment_size 0
		.amdhsa_uses_dynamic_stack 0
		.amdhsa_system_sgpr_private_segment_wavefront_offset 0
		.amdhsa_system_sgpr_workgroup_id_x 1
		.amdhsa_system_sgpr_workgroup_id_y 0
		.amdhsa_system_sgpr_workgroup_id_z 0
		.amdhsa_system_sgpr_workgroup_info 0
		.amdhsa_system_vgpr_workitem_id 0
		.amdhsa_next_free_vgpr 1
		.amdhsa_next_free_sgpr 0
		.amdhsa_accum_offset 4
		.amdhsa_reserve_vcc 0
		.amdhsa_reserve_flat_scratch 0
		.amdhsa_float_round_mode_32 0
		.amdhsa_float_round_mode_16_64 0
		.amdhsa_float_denorm_mode_32 3
		.amdhsa_float_denorm_mode_16_64 3
		.amdhsa_dx10_clamp 1
		.amdhsa_ieee_mode 1
		.amdhsa_fp16_overflow 0
		.amdhsa_tg_split 0
		.amdhsa_exception_fp_ieee_invalid_op 0
		.amdhsa_exception_fp_denorm_src 0
		.amdhsa_exception_fp_ieee_div_zero 0
		.amdhsa_exception_fp_ieee_overflow 0
		.amdhsa_exception_fp_ieee_underflow 0
		.amdhsa_exception_fp_ieee_inexact 0
		.amdhsa_exception_int_div_zero 0
	.end_amdhsa_kernel
	.section	.text._ZN7rocprim17ROCPRIM_400000_NS6detail17trampoline_kernelINS0_14default_configENS1_35radix_sort_onesweep_config_selectorImNS0_10empty_typeEEEZNS1_34radix_sort_onesweep_global_offsetsIS3_Lb1EPmPS5_mNS0_19identity_decomposerEEE10hipError_tT1_T2_PT3_SE_jT4_jjP12ihipStream_tbEUlT_E_NS1_11comp_targetILNS1_3genE0ELNS1_11target_archE4294967295ELNS1_3gpuE0ELNS1_3repE0EEENS1_52radix_sort_onesweep_histogram_config_static_selectorELNS0_4arch9wavefront6targetE1EEEvSC_,"axG",@progbits,_ZN7rocprim17ROCPRIM_400000_NS6detail17trampoline_kernelINS0_14default_configENS1_35radix_sort_onesweep_config_selectorImNS0_10empty_typeEEEZNS1_34radix_sort_onesweep_global_offsetsIS3_Lb1EPmPS5_mNS0_19identity_decomposerEEE10hipError_tT1_T2_PT3_SE_jT4_jjP12ihipStream_tbEUlT_E_NS1_11comp_targetILNS1_3genE0ELNS1_11target_archE4294967295ELNS1_3gpuE0ELNS1_3repE0EEENS1_52radix_sort_onesweep_histogram_config_static_selectorELNS0_4arch9wavefront6targetE1EEEvSC_,comdat
.Lfunc_end2273:
	.size	_ZN7rocprim17ROCPRIM_400000_NS6detail17trampoline_kernelINS0_14default_configENS1_35radix_sort_onesweep_config_selectorImNS0_10empty_typeEEEZNS1_34radix_sort_onesweep_global_offsetsIS3_Lb1EPmPS5_mNS0_19identity_decomposerEEE10hipError_tT1_T2_PT3_SE_jT4_jjP12ihipStream_tbEUlT_E_NS1_11comp_targetILNS1_3genE0ELNS1_11target_archE4294967295ELNS1_3gpuE0ELNS1_3repE0EEENS1_52radix_sort_onesweep_histogram_config_static_selectorELNS0_4arch9wavefront6targetE1EEEvSC_, .Lfunc_end2273-_ZN7rocprim17ROCPRIM_400000_NS6detail17trampoline_kernelINS0_14default_configENS1_35radix_sort_onesweep_config_selectorImNS0_10empty_typeEEEZNS1_34radix_sort_onesweep_global_offsetsIS3_Lb1EPmPS5_mNS0_19identity_decomposerEEE10hipError_tT1_T2_PT3_SE_jT4_jjP12ihipStream_tbEUlT_E_NS1_11comp_targetILNS1_3genE0ELNS1_11target_archE4294967295ELNS1_3gpuE0ELNS1_3repE0EEENS1_52radix_sort_onesweep_histogram_config_static_selectorELNS0_4arch9wavefront6targetE1EEEvSC_
                                        ; -- End function
	.section	.AMDGPU.csdata,"",@progbits
; Kernel info:
; codeLenInByte = 0
; NumSgprs: 4
; NumVgprs: 0
; NumAgprs: 0
; TotalNumVgprs: 0
; ScratchSize: 0
; MemoryBound: 0
; FloatMode: 240
; IeeeMode: 1
; LDSByteSize: 0 bytes/workgroup (compile time only)
; SGPRBlocks: 0
; VGPRBlocks: 0
; NumSGPRsForWavesPerEU: 4
; NumVGPRsForWavesPerEU: 1
; AccumOffset: 4
; Occupancy: 8
; WaveLimiterHint : 0
; COMPUTE_PGM_RSRC2:SCRATCH_EN: 0
; COMPUTE_PGM_RSRC2:USER_SGPR: 6
; COMPUTE_PGM_RSRC2:TRAP_HANDLER: 0
; COMPUTE_PGM_RSRC2:TGID_X_EN: 1
; COMPUTE_PGM_RSRC2:TGID_Y_EN: 0
; COMPUTE_PGM_RSRC2:TGID_Z_EN: 0
; COMPUTE_PGM_RSRC2:TIDIG_COMP_CNT: 0
; COMPUTE_PGM_RSRC3_GFX90A:ACCUM_OFFSET: 0
; COMPUTE_PGM_RSRC3_GFX90A:TG_SPLIT: 0
	.section	.text._ZN7rocprim17ROCPRIM_400000_NS6detail17trampoline_kernelINS0_14default_configENS1_35radix_sort_onesweep_config_selectorImNS0_10empty_typeEEEZNS1_34radix_sort_onesweep_global_offsetsIS3_Lb1EPmPS5_mNS0_19identity_decomposerEEE10hipError_tT1_T2_PT3_SE_jT4_jjP12ihipStream_tbEUlT_E_NS1_11comp_targetILNS1_3genE6ELNS1_11target_archE950ELNS1_3gpuE13ELNS1_3repE0EEENS1_52radix_sort_onesweep_histogram_config_static_selectorELNS0_4arch9wavefront6targetE1EEEvSC_,"axG",@progbits,_ZN7rocprim17ROCPRIM_400000_NS6detail17trampoline_kernelINS0_14default_configENS1_35radix_sort_onesweep_config_selectorImNS0_10empty_typeEEEZNS1_34radix_sort_onesweep_global_offsetsIS3_Lb1EPmPS5_mNS0_19identity_decomposerEEE10hipError_tT1_T2_PT3_SE_jT4_jjP12ihipStream_tbEUlT_E_NS1_11comp_targetILNS1_3genE6ELNS1_11target_archE950ELNS1_3gpuE13ELNS1_3repE0EEENS1_52radix_sort_onesweep_histogram_config_static_selectorELNS0_4arch9wavefront6targetE1EEEvSC_,comdat
	.protected	_ZN7rocprim17ROCPRIM_400000_NS6detail17trampoline_kernelINS0_14default_configENS1_35radix_sort_onesweep_config_selectorImNS0_10empty_typeEEEZNS1_34radix_sort_onesweep_global_offsetsIS3_Lb1EPmPS5_mNS0_19identity_decomposerEEE10hipError_tT1_T2_PT3_SE_jT4_jjP12ihipStream_tbEUlT_E_NS1_11comp_targetILNS1_3genE6ELNS1_11target_archE950ELNS1_3gpuE13ELNS1_3repE0EEENS1_52radix_sort_onesweep_histogram_config_static_selectorELNS0_4arch9wavefront6targetE1EEEvSC_ ; -- Begin function _ZN7rocprim17ROCPRIM_400000_NS6detail17trampoline_kernelINS0_14default_configENS1_35radix_sort_onesweep_config_selectorImNS0_10empty_typeEEEZNS1_34radix_sort_onesweep_global_offsetsIS3_Lb1EPmPS5_mNS0_19identity_decomposerEEE10hipError_tT1_T2_PT3_SE_jT4_jjP12ihipStream_tbEUlT_E_NS1_11comp_targetILNS1_3genE6ELNS1_11target_archE950ELNS1_3gpuE13ELNS1_3repE0EEENS1_52radix_sort_onesweep_histogram_config_static_selectorELNS0_4arch9wavefront6targetE1EEEvSC_
	.globl	_ZN7rocprim17ROCPRIM_400000_NS6detail17trampoline_kernelINS0_14default_configENS1_35radix_sort_onesweep_config_selectorImNS0_10empty_typeEEEZNS1_34radix_sort_onesweep_global_offsetsIS3_Lb1EPmPS5_mNS0_19identity_decomposerEEE10hipError_tT1_T2_PT3_SE_jT4_jjP12ihipStream_tbEUlT_E_NS1_11comp_targetILNS1_3genE6ELNS1_11target_archE950ELNS1_3gpuE13ELNS1_3repE0EEENS1_52radix_sort_onesweep_histogram_config_static_selectorELNS0_4arch9wavefront6targetE1EEEvSC_
	.p2align	8
	.type	_ZN7rocprim17ROCPRIM_400000_NS6detail17trampoline_kernelINS0_14default_configENS1_35radix_sort_onesweep_config_selectorImNS0_10empty_typeEEEZNS1_34radix_sort_onesweep_global_offsetsIS3_Lb1EPmPS5_mNS0_19identity_decomposerEEE10hipError_tT1_T2_PT3_SE_jT4_jjP12ihipStream_tbEUlT_E_NS1_11comp_targetILNS1_3genE6ELNS1_11target_archE950ELNS1_3gpuE13ELNS1_3repE0EEENS1_52radix_sort_onesweep_histogram_config_static_selectorELNS0_4arch9wavefront6targetE1EEEvSC_,@function
_ZN7rocprim17ROCPRIM_400000_NS6detail17trampoline_kernelINS0_14default_configENS1_35radix_sort_onesweep_config_selectorImNS0_10empty_typeEEEZNS1_34radix_sort_onesweep_global_offsetsIS3_Lb1EPmPS5_mNS0_19identity_decomposerEEE10hipError_tT1_T2_PT3_SE_jT4_jjP12ihipStream_tbEUlT_E_NS1_11comp_targetILNS1_3genE6ELNS1_11target_archE950ELNS1_3gpuE13ELNS1_3repE0EEENS1_52radix_sort_onesweep_histogram_config_static_selectorELNS0_4arch9wavefront6targetE1EEEvSC_: ; @_ZN7rocprim17ROCPRIM_400000_NS6detail17trampoline_kernelINS0_14default_configENS1_35radix_sort_onesweep_config_selectorImNS0_10empty_typeEEEZNS1_34radix_sort_onesweep_global_offsetsIS3_Lb1EPmPS5_mNS0_19identity_decomposerEEE10hipError_tT1_T2_PT3_SE_jT4_jjP12ihipStream_tbEUlT_E_NS1_11comp_targetILNS1_3genE6ELNS1_11target_archE950ELNS1_3gpuE13ELNS1_3repE0EEENS1_52radix_sort_onesweep_histogram_config_static_selectorELNS0_4arch9wavefront6targetE1EEEvSC_
; %bb.0:
	.section	.rodata,"a",@progbits
	.p2align	6, 0x0
	.amdhsa_kernel _ZN7rocprim17ROCPRIM_400000_NS6detail17trampoline_kernelINS0_14default_configENS1_35radix_sort_onesweep_config_selectorImNS0_10empty_typeEEEZNS1_34radix_sort_onesweep_global_offsetsIS3_Lb1EPmPS5_mNS0_19identity_decomposerEEE10hipError_tT1_T2_PT3_SE_jT4_jjP12ihipStream_tbEUlT_E_NS1_11comp_targetILNS1_3genE6ELNS1_11target_archE950ELNS1_3gpuE13ELNS1_3repE0EEENS1_52radix_sort_onesweep_histogram_config_static_selectorELNS0_4arch9wavefront6targetE1EEEvSC_
		.amdhsa_group_segment_fixed_size 0
		.amdhsa_private_segment_fixed_size 0
		.amdhsa_kernarg_size 48
		.amdhsa_user_sgpr_count 6
		.amdhsa_user_sgpr_private_segment_buffer 1
		.amdhsa_user_sgpr_dispatch_ptr 0
		.amdhsa_user_sgpr_queue_ptr 0
		.amdhsa_user_sgpr_kernarg_segment_ptr 1
		.amdhsa_user_sgpr_dispatch_id 0
		.amdhsa_user_sgpr_flat_scratch_init 0
		.amdhsa_user_sgpr_kernarg_preload_length 0
		.amdhsa_user_sgpr_kernarg_preload_offset 0
		.amdhsa_user_sgpr_private_segment_size 0
		.amdhsa_uses_dynamic_stack 0
		.amdhsa_system_sgpr_private_segment_wavefront_offset 0
		.amdhsa_system_sgpr_workgroup_id_x 1
		.amdhsa_system_sgpr_workgroup_id_y 0
		.amdhsa_system_sgpr_workgroup_id_z 0
		.amdhsa_system_sgpr_workgroup_info 0
		.amdhsa_system_vgpr_workitem_id 0
		.amdhsa_next_free_vgpr 1
		.amdhsa_next_free_sgpr 0
		.amdhsa_accum_offset 4
		.amdhsa_reserve_vcc 0
		.amdhsa_reserve_flat_scratch 0
		.amdhsa_float_round_mode_32 0
		.amdhsa_float_round_mode_16_64 0
		.amdhsa_float_denorm_mode_32 3
		.amdhsa_float_denorm_mode_16_64 3
		.amdhsa_dx10_clamp 1
		.amdhsa_ieee_mode 1
		.amdhsa_fp16_overflow 0
		.amdhsa_tg_split 0
		.amdhsa_exception_fp_ieee_invalid_op 0
		.amdhsa_exception_fp_denorm_src 0
		.amdhsa_exception_fp_ieee_div_zero 0
		.amdhsa_exception_fp_ieee_overflow 0
		.amdhsa_exception_fp_ieee_underflow 0
		.amdhsa_exception_fp_ieee_inexact 0
		.amdhsa_exception_int_div_zero 0
	.end_amdhsa_kernel
	.section	.text._ZN7rocprim17ROCPRIM_400000_NS6detail17trampoline_kernelINS0_14default_configENS1_35radix_sort_onesweep_config_selectorImNS0_10empty_typeEEEZNS1_34radix_sort_onesweep_global_offsetsIS3_Lb1EPmPS5_mNS0_19identity_decomposerEEE10hipError_tT1_T2_PT3_SE_jT4_jjP12ihipStream_tbEUlT_E_NS1_11comp_targetILNS1_3genE6ELNS1_11target_archE950ELNS1_3gpuE13ELNS1_3repE0EEENS1_52radix_sort_onesweep_histogram_config_static_selectorELNS0_4arch9wavefront6targetE1EEEvSC_,"axG",@progbits,_ZN7rocprim17ROCPRIM_400000_NS6detail17trampoline_kernelINS0_14default_configENS1_35radix_sort_onesweep_config_selectorImNS0_10empty_typeEEEZNS1_34radix_sort_onesweep_global_offsetsIS3_Lb1EPmPS5_mNS0_19identity_decomposerEEE10hipError_tT1_T2_PT3_SE_jT4_jjP12ihipStream_tbEUlT_E_NS1_11comp_targetILNS1_3genE6ELNS1_11target_archE950ELNS1_3gpuE13ELNS1_3repE0EEENS1_52radix_sort_onesweep_histogram_config_static_selectorELNS0_4arch9wavefront6targetE1EEEvSC_,comdat
.Lfunc_end2274:
	.size	_ZN7rocprim17ROCPRIM_400000_NS6detail17trampoline_kernelINS0_14default_configENS1_35radix_sort_onesweep_config_selectorImNS0_10empty_typeEEEZNS1_34radix_sort_onesweep_global_offsetsIS3_Lb1EPmPS5_mNS0_19identity_decomposerEEE10hipError_tT1_T2_PT3_SE_jT4_jjP12ihipStream_tbEUlT_E_NS1_11comp_targetILNS1_3genE6ELNS1_11target_archE950ELNS1_3gpuE13ELNS1_3repE0EEENS1_52radix_sort_onesweep_histogram_config_static_selectorELNS0_4arch9wavefront6targetE1EEEvSC_, .Lfunc_end2274-_ZN7rocprim17ROCPRIM_400000_NS6detail17trampoline_kernelINS0_14default_configENS1_35radix_sort_onesweep_config_selectorImNS0_10empty_typeEEEZNS1_34radix_sort_onesweep_global_offsetsIS3_Lb1EPmPS5_mNS0_19identity_decomposerEEE10hipError_tT1_T2_PT3_SE_jT4_jjP12ihipStream_tbEUlT_E_NS1_11comp_targetILNS1_3genE6ELNS1_11target_archE950ELNS1_3gpuE13ELNS1_3repE0EEENS1_52radix_sort_onesweep_histogram_config_static_selectorELNS0_4arch9wavefront6targetE1EEEvSC_
                                        ; -- End function
	.section	.AMDGPU.csdata,"",@progbits
; Kernel info:
; codeLenInByte = 0
; NumSgprs: 4
; NumVgprs: 0
; NumAgprs: 0
; TotalNumVgprs: 0
; ScratchSize: 0
; MemoryBound: 0
; FloatMode: 240
; IeeeMode: 1
; LDSByteSize: 0 bytes/workgroup (compile time only)
; SGPRBlocks: 0
; VGPRBlocks: 0
; NumSGPRsForWavesPerEU: 4
; NumVGPRsForWavesPerEU: 1
; AccumOffset: 4
; Occupancy: 8
; WaveLimiterHint : 0
; COMPUTE_PGM_RSRC2:SCRATCH_EN: 0
; COMPUTE_PGM_RSRC2:USER_SGPR: 6
; COMPUTE_PGM_RSRC2:TRAP_HANDLER: 0
; COMPUTE_PGM_RSRC2:TGID_X_EN: 1
; COMPUTE_PGM_RSRC2:TGID_Y_EN: 0
; COMPUTE_PGM_RSRC2:TGID_Z_EN: 0
; COMPUTE_PGM_RSRC2:TIDIG_COMP_CNT: 0
; COMPUTE_PGM_RSRC3_GFX90A:ACCUM_OFFSET: 0
; COMPUTE_PGM_RSRC3_GFX90A:TG_SPLIT: 0
	.section	.text._ZN7rocprim17ROCPRIM_400000_NS6detail17trampoline_kernelINS0_14default_configENS1_35radix_sort_onesweep_config_selectorImNS0_10empty_typeEEEZNS1_34radix_sort_onesweep_global_offsetsIS3_Lb1EPmPS5_mNS0_19identity_decomposerEEE10hipError_tT1_T2_PT3_SE_jT4_jjP12ihipStream_tbEUlT_E_NS1_11comp_targetILNS1_3genE5ELNS1_11target_archE942ELNS1_3gpuE9ELNS1_3repE0EEENS1_52radix_sort_onesweep_histogram_config_static_selectorELNS0_4arch9wavefront6targetE1EEEvSC_,"axG",@progbits,_ZN7rocprim17ROCPRIM_400000_NS6detail17trampoline_kernelINS0_14default_configENS1_35radix_sort_onesweep_config_selectorImNS0_10empty_typeEEEZNS1_34radix_sort_onesweep_global_offsetsIS3_Lb1EPmPS5_mNS0_19identity_decomposerEEE10hipError_tT1_T2_PT3_SE_jT4_jjP12ihipStream_tbEUlT_E_NS1_11comp_targetILNS1_3genE5ELNS1_11target_archE942ELNS1_3gpuE9ELNS1_3repE0EEENS1_52radix_sort_onesweep_histogram_config_static_selectorELNS0_4arch9wavefront6targetE1EEEvSC_,comdat
	.protected	_ZN7rocprim17ROCPRIM_400000_NS6detail17trampoline_kernelINS0_14default_configENS1_35radix_sort_onesweep_config_selectorImNS0_10empty_typeEEEZNS1_34radix_sort_onesweep_global_offsetsIS3_Lb1EPmPS5_mNS0_19identity_decomposerEEE10hipError_tT1_T2_PT3_SE_jT4_jjP12ihipStream_tbEUlT_E_NS1_11comp_targetILNS1_3genE5ELNS1_11target_archE942ELNS1_3gpuE9ELNS1_3repE0EEENS1_52radix_sort_onesweep_histogram_config_static_selectorELNS0_4arch9wavefront6targetE1EEEvSC_ ; -- Begin function _ZN7rocprim17ROCPRIM_400000_NS6detail17trampoline_kernelINS0_14default_configENS1_35radix_sort_onesweep_config_selectorImNS0_10empty_typeEEEZNS1_34radix_sort_onesweep_global_offsetsIS3_Lb1EPmPS5_mNS0_19identity_decomposerEEE10hipError_tT1_T2_PT3_SE_jT4_jjP12ihipStream_tbEUlT_E_NS1_11comp_targetILNS1_3genE5ELNS1_11target_archE942ELNS1_3gpuE9ELNS1_3repE0EEENS1_52radix_sort_onesweep_histogram_config_static_selectorELNS0_4arch9wavefront6targetE1EEEvSC_
	.globl	_ZN7rocprim17ROCPRIM_400000_NS6detail17trampoline_kernelINS0_14default_configENS1_35radix_sort_onesweep_config_selectorImNS0_10empty_typeEEEZNS1_34radix_sort_onesweep_global_offsetsIS3_Lb1EPmPS5_mNS0_19identity_decomposerEEE10hipError_tT1_T2_PT3_SE_jT4_jjP12ihipStream_tbEUlT_E_NS1_11comp_targetILNS1_3genE5ELNS1_11target_archE942ELNS1_3gpuE9ELNS1_3repE0EEENS1_52radix_sort_onesweep_histogram_config_static_selectorELNS0_4arch9wavefront6targetE1EEEvSC_
	.p2align	8
	.type	_ZN7rocprim17ROCPRIM_400000_NS6detail17trampoline_kernelINS0_14default_configENS1_35radix_sort_onesweep_config_selectorImNS0_10empty_typeEEEZNS1_34radix_sort_onesweep_global_offsetsIS3_Lb1EPmPS5_mNS0_19identity_decomposerEEE10hipError_tT1_T2_PT3_SE_jT4_jjP12ihipStream_tbEUlT_E_NS1_11comp_targetILNS1_3genE5ELNS1_11target_archE942ELNS1_3gpuE9ELNS1_3repE0EEENS1_52radix_sort_onesweep_histogram_config_static_selectorELNS0_4arch9wavefront6targetE1EEEvSC_,@function
_ZN7rocprim17ROCPRIM_400000_NS6detail17trampoline_kernelINS0_14default_configENS1_35radix_sort_onesweep_config_selectorImNS0_10empty_typeEEEZNS1_34radix_sort_onesweep_global_offsetsIS3_Lb1EPmPS5_mNS0_19identity_decomposerEEE10hipError_tT1_T2_PT3_SE_jT4_jjP12ihipStream_tbEUlT_E_NS1_11comp_targetILNS1_3genE5ELNS1_11target_archE942ELNS1_3gpuE9ELNS1_3repE0EEENS1_52radix_sort_onesweep_histogram_config_static_selectorELNS0_4arch9wavefront6targetE1EEEvSC_: ; @_ZN7rocprim17ROCPRIM_400000_NS6detail17trampoline_kernelINS0_14default_configENS1_35radix_sort_onesweep_config_selectorImNS0_10empty_typeEEEZNS1_34radix_sort_onesweep_global_offsetsIS3_Lb1EPmPS5_mNS0_19identity_decomposerEEE10hipError_tT1_T2_PT3_SE_jT4_jjP12ihipStream_tbEUlT_E_NS1_11comp_targetILNS1_3genE5ELNS1_11target_archE942ELNS1_3gpuE9ELNS1_3repE0EEENS1_52radix_sort_onesweep_histogram_config_static_selectorELNS0_4arch9wavefront6targetE1EEEvSC_
; %bb.0:
	.section	.rodata,"a",@progbits
	.p2align	6, 0x0
	.amdhsa_kernel _ZN7rocprim17ROCPRIM_400000_NS6detail17trampoline_kernelINS0_14default_configENS1_35radix_sort_onesweep_config_selectorImNS0_10empty_typeEEEZNS1_34radix_sort_onesweep_global_offsetsIS3_Lb1EPmPS5_mNS0_19identity_decomposerEEE10hipError_tT1_T2_PT3_SE_jT4_jjP12ihipStream_tbEUlT_E_NS1_11comp_targetILNS1_3genE5ELNS1_11target_archE942ELNS1_3gpuE9ELNS1_3repE0EEENS1_52radix_sort_onesweep_histogram_config_static_selectorELNS0_4arch9wavefront6targetE1EEEvSC_
		.amdhsa_group_segment_fixed_size 0
		.amdhsa_private_segment_fixed_size 0
		.amdhsa_kernarg_size 48
		.amdhsa_user_sgpr_count 6
		.amdhsa_user_sgpr_private_segment_buffer 1
		.amdhsa_user_sgpr_dispatch_ptr 0
		.amdhsa_user_sgpr_queue_ptr 0
		.amdhsa_user_sgpr_kernarg_segment_ptr 1
		.amdhsa_user_sgpr_dispatch_id 0
		.amdhsa_user_sgpr_flat_scratch_init 0
		.amdhsa_user_sgpr_kernarg_preload_length 0
		.amdhsa_user_sgpr_kernarg_preload_offset 0
		.amdhsa_user_sgpr_private_segment_size 0
		.amdhsa_uses_dynamic_stack 0
		.amdhsa_system_sgpr_private_segment_wavefront_offset 0
		.amdhsa_system_sgpr_workgroup_id_x 1
		.amdhsa_system_sgpr_workgroup_id_y 0
		.amdhsa_system_sgpr_workgroup_id_z 0
		.amdhsa_system_sgpr_workgroup_info 0
		.amdhsa_system_vgpr_workitem_id 0
		.amdhsa_next_free_vgpr 1
		.amdhsa_next_free_sgpr 0
		.amdhsa_accum_offset 4
		.amdhsa_reserve_vcc 0
		.amdhsa_reserve_flat_scratch 0
		.amdhsa_float_round_mode_32 0
		.amdhsa_float_round_mode_16_64 0
		.amdhsa_float_denorm_mode_32 3
		.amdhsa_float_denorm_mode_16_64 3
		.amdhsa_dx10_clamp 1
		.amdhsa_ieee_mode 1
		.amdhsa_fp16_overflow 0
		.amdhsa_tg_split 0
		.amdhsa_exception_fp_ieee_invalid_op 0
		.amdhsa_exception_fp_denorm_src 0
		.amdhsa_exception_fp_ieee_div_zero 0
		.amdhsa_exception_fp_ieee_overflow 0
		.amdhsa_exception_fp_ieee_underflow 0
		.amdhsa_exception_fp_ieee_inexact 0
		.amdhsa_exception_int_div_zero 0
	.end_amdhsa_kernel
	.section	.text._ZN7rocprim17ROCPRIM_400000_NS6detail17trampoline_kernelINS0_14default_configENS1_35radix_sort_onesweep_config_selectorImNS0_10empty_typeEEEZNS1_34radix_sort_onesweep_global_offsetsIS3_Lb1EPmPS5_mNS0_19identity_decomposerEEE10hipError_tT1_T2_PT3_SE_jT4_jjP12ihipStream_tbEUlT_E_NS1_11comp_targetILNS1_3genE5ELNS1_11target_archE942ELNS1_3gpuE9ELNS1_3repE0EEENS1_52radix_sort_onesweep_histogram_config_static_selectorELNS0_4arch9wavefront6targetE1EEEvSC_,"axG",@progbits,_ZN7rocprim17ROCPRIM_400000_NS6detail17trampoline_kernelINS0_14default_configENS1_35radix_sort_onesweep_config_selectorImNS0_10empty_typeEEEZNS1_34radix_sort_onesweep_global_offsetsIS3_Lb1EPmPS5_mNS0_19identity_decomposerEEE10hipError_tT1_T2_PT3_SE_jT4_jjP12ihipStream_tbEUlT_E_NS1_11comp_targetILNS1_3genE5ELNS1_11target_archE942ELNS1_3gpuE9ELNS1_3repE0EEENS1_52radix_sort_onesweep_histogram_config_static_selectorELNS0_4arch9wavefront6targetE1EEEvSC_,comdat
.Lfunc_end2275:
	.size	_ZN7rocprim17ROCPRIM_400000_NS6detail17trampoline_kernelINS0_14default_configENS1_35radix_sort_onesweep_config_selectorImNS0_10empty_typeEEEZNS1_34radix_sort_onesweep_global_offsetsIS3_Lb1EPmPS5_mNS0_19identity_decomposerEEE10hipError_tT1_T2_PT3_SE_jT4_jjP12ihipStream_tbEUlT_E_NS1_11comp_targetILNS1_3genE5ELNS1_11target_archE942ELNS1_3gpuE9ELNS1_3repE0EEENS1_52radix_sort_onesweep_histogram_config_static_selectorELNS0_4arch9wavefront6targetE1EEEvSC_, .Lfunc_end2275-_ZN7rocprim17ROCPRIM_400000_NS6detail17trampoline_kernelINS0_14default_configENS1_35radix_sort_onesweep_config_selectorImNS0_10empty_typeEEEZNS1_34radix_sort_onesweep_global_offsetsIS3_Lb1EPmPS5_mNS0_19identity_decomposerEEE10hipError_tT1_T2_PT3_SE_jT4_jjP12ihipStream_tbEUlT_E_NS1_11comp_targetILNS1_3genE5ELNS1_11target_archE942ELNS1_3gpuE9ELNS1_3repE0EEENS1_52radix_sort_onesweep_histogram_config_static_selectorELNS0_4arch9wavefront6targetE1EEEvSC_
                                        ; -- End function
	.section	.AMDGPU.csdata,"",@progbits
; Kernel info:
; codeLenInByte = 0
; NumSgprs: 4
; NumVgprs: 0
; NumAgprs: 0
; TotalNumVgprs: 0
; ScratchSize: 0
; MemoryBound: 0
; FloatMode: 240
; IeeeMode: 1
; LDSByteSize: 0 bytes/workgroup (compile time only)
; SGPRBlocks: 0
; VGPRBlocks: 0
; NumSGPRsForWavesPerEU: 4
; NumVGPRsForWavesPerEU: 1
; AccumOffset: 4
; Occupancy: 8
; WaveLimiterHint : 0
; COMPUTE_PGM_RSRC2:SCRATCH_EN: 0
; COMPUTE_PGM_RSRC2:USER_SGPR: 6
; COMPUTE_PGM_RSRC2:TRAP_HANDLER: 0
; COMPUTE_PGM_RSRC2:TGID_X_EN: 1
; COMPUTE_PGM_RSRC2:TGID_Y_EN: 0
; COMPUTE_PGM_RSRC2:TGID_Z_EN: 0
; COMPUTE_PGM_RSRC2:TIDIG_COMP_CNT: 0
; COMPUTE_PGM_RSRC3_GFX90A:ACCUM_OFFSET: 0
; COMPUTE_PGM_RSRC3_GFX90A:TG_SPLIT: 0
	.section	.text._ZN7rocprim17ROCPRIM_400000_NS6detail17trampoline_kernelINS0_14default_configENS1_35radix_sort_onesweep_config_selectorImNS0_10empty_typeEEEZNS1_34radix_sort_onesweep_global_offsetsIS3_Lb1EPmPS5_mNS0_19identity_decomposerEEE10hipError_tT1_T2_PT3_SE_jT4_jjP12ihipStream_tbEUlT_E_NS1_11comp_targetILNS1_3genE2ELNS1_11target_archE906ELNS1_3gpuE6ELNS1_3repE0EEENS1_52radix_sort_onesweep_histogram_config_static_selectorELNS0_4arch9wavefront6targetE1EEEvSC_,"axG",@progbits,_ZN7rocprim17ROCPRIM_400000_NS6detail17trampoline_kernelINS0_14default_configENS1_35radix_sort_onesweep_config_selectorImNS0_10empty_typeEEEZNS1_34radix_sort_onesweep_global_offsetsIS3_Lb1EPmPS5_mNS0_19identity_decomposerEEE10hipError_tT1_T2_PT3_SE_jT4_jjP12ihipStream_tbEUlT_E_NS1_11comp_targetILNS1_3genE2ELNS1_11target_archE906ELNS1_3gpuE6ELNS1_3repE0EEENS1_52radix_sort_onesweep_histogram_config_static_selectorELNS0_4arch9wavefront6targetE1EEEvSC_,comdat
	.protected	_ZN7rocprim17ROCPRIM_400000_NS6detail17trampoline_kernelINS0_14default_configENS1_35radix_sort_onesweep_config_selectorImNS0_10empty_typeEEEZNS1_34radix_sort_onesweep_global_offsetsIS3_Lb1EPmPS5_mNS0_19identity_decomposerEEE10hipError_tT1_T2_PT3_SE_jT4_jjP12ihipStream_tbEUlT_E_NS1_11comp_targetILNS1_3genE2ELNS1_11target_archE906ELNS1_3gpuE6ELNS1_3repE0EEENS1_52radix_sort_onesweep_histogram_config_static_selectorELNS0_4arch9wavefront6targetE1EEEvSC_ ; -- Begin function _ZN7rocprim17ROCPRIM_400000_NS6detail17trampoline_kernelINS0_14default_configENS1_35radix_sort_onesweep_config_selectorImNS0_10empty_typeEEEZNS1_34radix_sort_onesweep_global_offsetsIS3_Lb1EPmPS5_mNS0_19identity_decomposerEEE10hipError_tT1_T2_PT3_SE_jT4_jjP12ihipStream_tbEUlT_E_NS1_11comp_targetILNS1_3genE2ELNS1_11target_archE906ELNS1_3gpuE6ELNS1_3repE0EEENS1_52radix_sort_onesweep_histogram_config_static_selectorELNS0_4arch9wavefront6targetE1EEEvSC_
	.globl	_ZN7rocprim17ROCPRIM_400000_NS6detail17trampoline_kernelINS0_14default_configENS1_35radix_sort_onesweep_config_selectorImNS0_10empty_typeEEEZNS1_34radix_sort_onesweep_global_offsetsIS3_Lb1EPmPS5_mNS0_19identity_decomposerEEE10hipError_tT1_T2_PT3_SE_jT4_jjP12ihipStream_tbEUlT_E_NS1_11comp_targetILNS1_3genE2ELNS1_11target_archE906ELNS1_3gpuE6ELNS1_3repE0EEENS1_52radix_sort_onesweep_histogram_config_static_selectorELNS0_4arch9wavefront6targetE1EEEvSC_
	.p2align	8
	.type	_ZN7rocprim17ROCPRIM_400000_NS6detail17trampoline_kernelINS0_14default_configENS1_35radix_sort_onesweep_config_selectorImNS0_10empty_typeEEEZNS1_34radix_sort_onesweep_global_offsetsIS3_Lb1EPmPS5_mNS0_19identity_decomposerEEE10hipError_tT1_T2_PT3_SE_jT4_jjP12ihipStream_tbEUlT_E_NS1_11comp_targetILNS1_3genE2ELNS1_11target_archE906ELNS1_3gpuE6ELNS1_3repE0EEENS1_52radix_sort_onesweep_histogram_config_static_selectorELNS0_4arch9wavefront6targetE1EEEvSC_,@function
_ZN7rocprim17ROCPRIM_400000_NS6detail17trampoline_kernelINS0_14default_configENS1_35radix_sort_onesweep_config_selectorImNS0_10empty_typeEEEZNS1_34radix_sort_onesweep_global_offsetsIS3_Lb1EPmPS5_mNS0_19identity_decomposerEEE10hipError_tT1_T2_PT3_SE_jT4_jjP12ihipStream_tbEUlT_E_NS1_11comp_targetILNS1_3genE2ELNS1_11target_archE906ELNS1_3gpuE6ELNS1_3repE0EEENS1_52radix_sort_onesweep_histogram_config_static_selectorELNS0_4arch9wavefront6targetE1EEEvSC_: ; @_ZN7rocprim17ROCPRIM_400000_NS6detail17trampoline_kernelINS0_14default_configENS1_35radix_sort_onesweep_config_selectorImNS0_10empty_typeEEEZNS1_34radix_sort_onesweep_global_offsetsIS3_Lb1EPmPS5_mNS0_19identity_decomposerEEE10hipError_tT1_T2_PT3_SE_jT4_jjP12ihipStream_tbEUlT_E_NS1_11comp_targetILNS1_3genE2ELNS1_11target_archE906ELNS1_3gpuE6ELNS1_3repE0EEENS1_52radix_sort_onesweep_histogram_config_static_selectorELNS0_4arch9wavefront6targetE1EEEvSC_
; %bb.0:
	.section	.rodata,"a",@progbits
	.p2align	6, 0x0
	.amdhsa_kernel _ZN7rocprim17ROCPRIM_400000_NS6detail17trampoline_kernelINS0_14default_configENS1_35radix_sort_onesweep_config_selectorImNS0_10empty_typeEEEZNS1_34radix_sort_onesweep_global_offsetsIS3_Lb1EPmPS5_mNS0_19identity_decomposerEEE10hipError_tT1_T2_PT3_SE_jT4_jjP12ihipStream_tbEUlT_E_NS1_11comp_targetILNS1_3genE2ELNS1_11target_archE906ELNS1_3gpuE6ELNS1_3repE0EEENS1_52radix_sort_onesweep_histogram_config_static_selectorELNS0_4arch9wavefront6targetE1EEEvSC_
		.amdhsa_group_segment_fixed_size 0
		.amdhsa_private_segment_fixed_size 0
		.amdhsa_kernarg_size 48
		.amdhsa_user_sgpr_count 6
		.amdhsa_user_sgpr_private_segment_buffer 1
		.amdhsa_user_sgpr_dispatch_ptr 0
		.amdhsa_user_sgpr_queue_ptr 0
		.amdhsa_user_sgpr_kernarg_segment_ptr 1
		.amdhsa_user_sgpr_dispatch_id 0
		.amdhsa_user_sgpr_flat_scratch_init 0
		.amdhsa_user_sgpr_kernarg_preload_length 0
		.amdhsa_user_sgpr_kernarg_preload_offset 0
		.amdhsa_user_sgpr_private_segment_size 0
		.amdhsa_uses_dynamic_stack 0
		.amdhsa_system_sgpr_private_segment_wavefront_offset 0
		.amdhsa_system_sgpr_workgroup_id_x 1
		.amdhsa_system_sgpr_workgroup_id_y 0
		.amdhsa_system_sgpr_workgroup_id_z 0
		.amdhsa_system_sgpr_workgroup_info 0
		.amdhsa_system_vgpr_workitem_id 0
		.amdhsa_next_free_vgpr 1
		.amdhsa_next_free_sgpr 0
		.amdhsa_accum_offset 4
		.amdhsa_reserve_vcc 0
		.amdhsa_reserve_flat_scratch 0
		.amdhsa_float_round_mode_32 0
		.amdhsa_float_round_mode_16_64 0
		.amdhsa_float_denorm_mode_32 3
		.amdhsa_float_denorm_mode_16_64 3
		.amdhsa_dx10_clamp 1
		.amdhsa_ieee_mode 1
		.amdhsa_fp16_overflow 0
		.amdhsa_tg_split 0
		.amdhsa_exception_fp_ieee_invalid_op 0
		.amdhsa_exception_fp_denorm_src 0
		.amdhsa_exception_fp_ieee_div_zero 0
		.amdhsa_exception_fp_ieee_overflow 0
		.amdhsa_exception_fp_ieee_underflow 0
		.amdhsa_exception_fp_ieee_inexact 0
		.amdhsa_exception_int_div_zero 0
	.end_amdhsa_kernel
	.section	.text._ZN7rocprim17ROCPRIM_400000_NS6detail17trampoline_kernelINS0_14default_configENS1_35radix_sort_onesweep_config_selectorImNS0_10empty_typeEEEZNS1_34radix_sort_onesweep_global_offsetsIS3_Lb1EPmPS5_mNS0_19identity_decomposerEEE10hipError_tT1_T2_PT3_SE_jT4_jjP12ihipStream_tbEUlT_E_NS1_11comp_targetILNS1_3genE2ELNS1_11target_archE906ELNS1_3gpuE6ELNS1_3repE0EEENS1_52radix_sort_onesweep_histogram_config_static_selectorELNS0_4arch9wavefront6targetE1EEEvSC_,"axG",@progbits,_ZN7rocprim17ROCPRIM_400000_NS6detail17trampoline_kernelINS0_14default_configENS1_35radix_sort_onesweep_config_selectorImNS0_10empty_typeEEEZNS1_34radix_sort_onesweep_global_offsetsIS3_Lb1EPmPS5_mNS0_19identity_decomposerEEE10hipError_tT1_T2_PT3_SE_jT4_jjP12ihipStream_tbEUlT_E_NS1_11comp_targetILNS1_3genE2ELNS1_11target_archE906ELNS1_3gpuE6ELNS1_3repE0EEENS1_52radix_sort_onesweep_histogram_config_static_selectorELNS0_4arch9wavefront6targetE1EEEvSC_,comdat
.Lfunc_end2276:
	.size	_ZN7rocprim17ROCPRIM_400000_NS6detail17trampoline_kernelINS0_14default_configENS1_35radix_sort_onesweep_config_selectorImNS0_10empty_typeEEEZNS1_34radix_sort_onesweep_global_offsetsIS3_Lb1EPmPS5_mNS0_19identity_decomposerEEE10hipError_tT1_T2_PT3_SE_jT4_jjP12ihipStream_tbEUlT_E_NS1_11comp_targetILNS1_3genE2ELNS1_11target_archE906ELNS1_3gpuE6ELNS1_3repE0EEENS1_52radix_sort_onesweep_histogram_config_static_selectorELNS0_4arch9wavefront6targetE1EEEvSC_, .Lfunc_end2276-_ZN7rocprim17ROCPRIM_400000_NS6detail17trampoline_kernelINS0_14default_configENS1_35radix_sort_onesweep_config_selectorImNS0_10empty_typeEEEZNS1_34radix_sort_onesweep_global_offsetsIS3_Lb1EPmPS5_mNS0_19identity_decomposerEEE10hipError_tT1_T2_PT3_SE_jT4_jjP12ihipStream_tbEUlT_E_NS1_11comp_targetILNS1_3genE2ELNS1_11target_archE906ELNS1_3gpuE6ELNS1_3repE0EEENS1_52radix_sort_onesweep_histogram_config_static_selectorELNS0_4arch9wavefront6targetE1EEEvSC_
                                        ; -- End function
	.section	.AMDGPU.csdata,"",@progbits
; Kernel info:
; codeLenInByte = 0
; NumSgprs: 4
; NumVgprs: 0
; NumAgprs: 0
; TotalNumVgprs: 0
; ScratchSize: 0
; MemoryBound: 0
; FloatMode: 240
; IeeeMode: 1
; LDSByteSize: 0 bytes/workgroup (compile time only)
; SGPRBlocks: 0
; VGPRBlocks: 0
; NumSGPRsForWavesPerEU: 4
; NumVGPRsForWavesPerEU: 1
; AccumOffset: 4
; Occupancy: 8
; WaveLimiterHint : 0
; COMPUTE_PGM_RSRC2:SCRATCH_EN: 0
; COMPUTE_PGM_RSRC2:USER_SGPR: 6
; COMPUTE_PGM_RSRC2:TRAP_HANDLER: 0
; COMPUTE_PGM_RSRC2:TGID_X_EN: 1
; COMPUTE_PGM_RSRC2:TGID_Y_EN: 0
; COMPUTE_PGM_RSRC2:TGID_Z_EN: 0
; COMPUTE_PGM_RSRC2:TIDIG_COMP_CNT: 0
; COMPUTE_PGM_RSRC3_GFX90A:ACCUM_OFFSET: 0
; COMPUTE_PGM_RSRC3_GFX90A:TG_SPLIT: 0
	.section	.text._ZN7rocprim17ROCPRIM_400000_NS6detail17trampoline_kernelINS0_14default_configENS1_35radix_sort_onesweep_config_selectorImNS0_10empty_typeEEEZNS1_34radix_sort_onesweep_global_offsetsIS3_Lb1EPmPS5_mNS0_19identity_decomposerEEE10hipError_tT1_T2_PT3_SE_jT4_jjP12ihipStream_tbEUlT_E_NS1_11comp_targetILNS1_3genE4ELNS1_11target_archE910ELNS1_3gpuE8ELNS1_3repE0EEENS1_52radix_sort_onesweep_histogram_config_static_selectorELNS0_4arch9wavefront6targetE1EEEvSC_,"axG",@progbits,_ZN7rocprim17ROCPRIM_400000_NS6detail17trampoline_kernelINS0_14default_configENS1_35radix_sort_onesweep_config_selectorImNS0_10empty_typeEEEZNS1_34radix_sort_onesweep_global_offsetsIS3_Lb1EPmPS5_mNS0_19identity_decomposerEEE10hipError_tT1_T2_PT3_SE_jT4_jjP12ihipStream_tbEUlT_E_NS1_11comp_targetILNS1_3genE4ELNS1_11target_archE910ELNS1_3gpuE8ELNS1_3repE0EEENS1_52radix_sort_onesweep_histogram_config_static_selectorELNS0_4arch9wavefront6targetE1EEEvSC_,comdat
	.protected	_ZN7rocprim17ROCPRIM_400000_NS6detail17trampoline_kernelINS0_14default_configENS1_35radix_sort_onesweep_config_selectorImNS0_10empty_typeEEEZNS1_34radix_sort_onesweep_global_offsetsIS3_Lb1EPmPS5_mNS0_19identity_decomposerEEE10hipError_tT1_T2_PT3_SE_jT4_jjP12ihipStream_tbEUlT_E_NS1_11comp_targetILNS1_3genE4ELNS1_11target_archE910ELNS1_3gpuE8ELNS1_3repE0EEENS1_52radix_sort_onesweep_histogram_config_static_selectorELNS0_4arch9wavefront6targetE1EEEvSC_ ; -- Begin function _ZN7rocprim17ROCPRIM_400000_NS6detail17trampoline_kernelINS0_14default_configENS1_35radix_sort_onesweep_config_selectorImNS0_10empty_typeEEEZNS1_34radix_sort_onesweep_global_offsetsIS3_Lb1EPmPS5_mNS0_19identity_decomposerEEE10hipError_tT1_T2_PT3_SE_jT4_jjP12ihipStream_tbEUlT_E_NS1_11comp_targetILNS1_3genE4ELNS1_11target_archE910ELNS1_3gpuE8ELNS1_3repE0EEENS1_52radix_sort_onesweep_histogram_config_static_selectorELNS0_4arch9wavefront6targetE1EEEvSC_
	.globl	_ZN7rocprim17ROCPRIM_400000_NS6detail17trampoline_kernelINS0_14default_configENS1_35radix_sort_onesweep_config_selectorImNS0_10empty_typeEEEZNS1_34radix_sort_onesweep_global_offsetsIS3_Lb1EPmPS5_mNS0_19identity_decomposerEEE10hipError_tT1_T2_PT3_SE_jT4_jjP12ihipStream_tbEUlT_E_NS1_11comp_targetILNS1_3genE4ELNS1_11target_archE910ELNS1_3gpuE8ELNS1_3repE0EEENS1_52radix_sort_onesweep_histogram_config_static_selectorELNS0_4arch9wavefront6targetE1EEEvSC_
	.p2align	8
	.type	_ZN7rocprim17ROCPRIM_400000_NS6detail17trampoline_kernelINS0_14default_configENS1_35radix_sort_onesweep_config_selectorImNS0_10empty_typeEEEZNS1_34radix_sort_onesweep_global_offsetsIS3_Lb1EPmPS5_mNS0_19identity_decomposerEEE10hipError_tT1_T2_PT3_SE_jT4_jjP12ihipStream_tbEUlT_E_NS1_11comp_targetILNS1_3genE4ELNS1_11target_archE910ELNS1_3gpuE8ELNS1_3repE0EEENS1_52radix_sort_onesweep_histogram_config_static_selectorELNS0_4arch9wavefront6targetE1EEEvSC_,@function
_ZN7rocprim17ROCPRIM_400000_NS6detail17trampoline_kernelINS0_14default_configENS1_35radix_sort_onesweep_config_selectorImNS0_10empty_typeEEEZNS1_34radix_sort_onesweep_global_offsetsIS3_Lb1EPmPS5_mNS0_19identity_decomposerEEE10hipError_tT1_T2_PT3_SE_jT4_jjP12ihipStream_tbEUlT_E_NS1_11comp_targetILNS1_3genE4ELNS1_11target_archE910ELNS1_3gpuE8ELNS1_3repE0EEENS1_52radix_sort_onesweep_histogram_config_static_selectorELNS0_4arch9wavefront6targetE1EEEvSC_: ; @_ZN7rocprim17ROCPRIM_400000_NS6detail17trampoline_kernelINS0_14default_configENS1_35radix_sort_onesweep_config_selectorImNS0_10empty_typeEEEZNS1_34radix_sort_onesweep_global_offsetsIS3_Lb1EPmPS5_mNS0_19identity_decomposerEEE10hipError_tT1_T2_PT3_SE_jT4_jjP12ihipStream_tbEUlT_E_NS1_11comp_targetILNS1_3genE4ELNS1_11target_archE910ELNS1_3gpuE8ELNS1_3repE0EEENS1_52radix_sort_onesweep_histogram_config_static_selectorELNS0_4arch9wavefront6targetE1EEEvSC_
; %bb.0:
	s_load_dwordx2 s[10:11], s[4:5], 0x18
	s_load_dwordx4 s[0:3], s[4:5], 0x0
	s_load_dwordx2 s[8:9], s[4:5], 0x24
	s_mov_b32 s7, 0
	v_pk_mov_b32 v[2:3], s[6:7], s[6:7] op_sel:[0,1]
	s_lshl_b64 s[6:7], s[6:7], 16
	s_waitcnt lgkmcnt(0)
	v_cmp_le_u64_e32 vcc, s[10:11], v[2:3]
	s_add_u32 s6, s0, s6
	s_addc_u32 s7, s1, s7
	s_mov_b64 s[0:1], -1
	s_cbranch_vccz .LBB2277_319
; %bb.1:
	s_load_dword s0, s[4:5], 0x10
	s_lshl_b32 s1, s10, 13
                                        ; implicit-def: $vgpr16_vgpr17
	s_waitcnt lgkmcnt(0)
	s_sub_i32 s16, s0, s1
	v_cmp_gt_u32_e32 vcc, s16, v0
	s_and_saveexec_b64 s[0:1], vcc
	s_cbranch_execz .LBB2277_3
; %bb.2:
	v_lshlrev_b32_e32 v1, 3, v0
	global_load_dwordx2 v[16:17], v1, s[6:7]
.LBB2277_3:
	s_or_b64 exec, exec, s[0:1]
	v_or_b32_e32 v24, 0x400, v0
	v_cmp_gt_u32_e32 vcc, s16, v24
                                        ; implicit-def: $vgpr14_vgpr15
	s_and_saveexec_b64 s[0:1], vcc
	s_cbranch_execz .LBB2277_5
; %bb.4:
	v_lshlrev_b32_e32 v1, 3, v24
	global_load_dwordx2 v[14:15], v1, s[6:7]
.LBB2277_5:
	s_or_b64 exec, exec, s[0:1]
	v_or_b32_e32 v23, 0x800, v0
	v_cmp_gt_u32_e32 vcc, s16, v23
                                        ; implicit-def: $vgpr12_vgpr13
	s_and_saveexec_b64 s[0:1], vcc
	s_cbranch_execz .LBB2277_7
; %bb.6:
	v_lshlrev_b32_e32 v1, 3, v23
	global_load_dwordx2 v[12:13], v1, s[6:7]
.LBB2277_7:
	s_or_b64 exec, exec, s[0:1]
	v_or_b32_e32 v22, 0xc00, v0
	v_cmp_gt_u32_e32 vcc, s16, v22
                                        ; implicit-def: $vgpr10_vgpr11
	s_and_saveexec_b64 s[0:1], vcc
	s_cbranch_execz .LBB2277_9
; %bb.8:
	v_lshlrev_b32_e32 v1, 3, v22
	global_load_dwordx2 v[10:11], v1, s[6:7]
.LBB2277_9:
	s_or_b64 exec, exec, s[0:1]
	v_or_b32_e32 v21, 0x1000, v0
	v_cmp_gt_u32_e32 vcc, s16, v21
                                        ; implicit-def: $vgpr8_vgpr9
	s_and_saveexec_b64 s[0:1], vcc
	s_cbranch_execz .LBB2277_11
; %bb.10:
	v_lshlrev_b32_e32 v1, 3, v21
	global_load_dwordx2 v[8:9], v1, s[6:7]
.LBB2277_11:
	s_or_b64 exec, exec, s[0:1]
	v_or_b32_e32 v20, 0x1400, v0
	v_cmp_gt_u32_e32 vcc, s16, v20
                                        ; implicit-def: $vgpr6_vgpr7
	s_and_saveexec_b64 s[0:1], vcc
	s_cbranch_execz .LBB2277_13
; %bb.12:
	v_lshlrev_b32_e32 v1, 3, v20
	global_load_dwordx2 v[6:7], v1, s[6:7]
.LBB2277_13:
	s_or_b64 exec, exec, s[0:1]
	v_or_b32_e32 v19, 0x1800, v0
	v_cmp_gt_u32_e32 vcc, s16, v19
                                        ; implicit-def: $vgpr4_vgpr5
	s_and_saveexec_b64 s[0:1], vcc
	s_cbranch_execz .LBB2277_15
; %bb.14:
	v_lshlrev_b32_e32 v1, 3, v19
	global_load_dwordx2 v[4:5], v1, s[6:7]
.LBB2277_15:
	s_or_b64 exec, exec, s[0:1]
	v_or_b32_e32 v18, 0x1c00, v0
	v_cmp_gt_u32_e32 vcc, s16, v18
                                        ; implicit-def: $vgpr2_vgpr3
	s_and_saveexec_b64 s[0:1], vcc
	s_cbranch_execz .LBB2277_17
; %bb.16:
	v_lshlrev_b32_e32 v1, 3, v18
	global_load_dwordx2 v[2:3], v1, s[6:7]
.LBB2277_17:
	s_or_b64 exec, exec, s[0:1]
	s_cmp_le_u32 s9, s8
	s_cselect_b64 s[4:5], -1, 0
	v_cmp_le_u32_e32 vcc, s16, v0
	s_and_b64 s[0:1], s[4:5], exec
	v_lshlrev_b32_e32 v25, 2, v0
	v_mov_b32_e32 v26, 0
	s_cselect_b32 s17, 8, 10
	s_or_b64 s[0:1], s[4:5], vcc
	v_and_b32_e32 v1, 3, v0
	ds_write2st64_b32 v25, v26, v26 offset1:16
	ds_write2st64_b32 v25, v26, v26 offset0:32 offset1:48
	ds_write2st64_b32 v25, v26, v26 offset0:64 offset1:80
	ds_write2st64_b32 v25, v26, v26 offset0:96 offset1:112
	s_waitcnt vmcnt(0)
	v_not_b32_e32 v17, v17
	v_not_b32_e32 v16, v16
	s_xor_b64 s[10:11], s[0:1], -1
	v_mov_b32_e32 v25, s17
	s_waitcnt lgkmcnt(0)
	s_barrier
	s_and_saveexec_b64 s[0:1], s[10:11]
	s_cbranch_execz .LBB2277_19
; %bb.18:
	s_sub_i32 s10, s9, s8
	s_min_u32 s10, s10, 8
	v_lshrrev_b64 v[26:27], s8, v[16:17]
	v_bfe_u32 v25, v26, 0, s10
	v_lshlrev_b32_e32 v26, 2, v1
	v_lshl_or_b32 v25, v25, 4, v26
	v_mov_b32_e32 v26, 1
	ds_add_u32 v25, v26
	v_mov_b32_e32 v25, 0
.LBB2277_19:
	s_or_b64 exec, exec, s[0:1]
	v_cmp_gt_i32_e64 s[0:1], 10, v25
	s_mov_b64 s[12:13], -1
	s_and_saveexec_b64 s[10:11], s[0:1]
; %bb.20:
	v_cmp_eq_u32_e64 s[0:1], 0, v25
	s_orn2_b64 s[12:13], s[0:1], exec
; %bb.21:
	s_or_b64 exec, exec, s[10:11]
	s_and_saveexec_b64 s[10:11], s[12:13]
	s_cbranch_execz .LBB2277_54
; %bb.22:
	s_add_i32 s12, s8, 8
	s_cmp_le_u32 s9, s12
	s_cselect_b64 s[0:1], -1, 0
	s_and_b64 s[14:15], s[0:1], exec
	s_cselect_b32 s13, 8, 10
	s_or_b64 s[0:1], s[0:1], vcc
	s_xor_b64 s[14:15], s[0:1], -1
	v_mov_b32_e32 v25, s13
	s_and_saveexec_b64 s[0:1], s[14:15]
	s_cbranch_execz .LBB2277_24
; %bb.23:
	s_sub_i32 s13, s9, s12
	s_min_u32 s13, s13, 8
	v_lshrrev_b64 v[26:27], s12, v[16:17]
	v_bfe_u32 v25, v26, 0, s13
	v_lshlrev_b32_e32 v26, 2, v1
	v_lshl_or_b32 v25, v25, 4, v26
	v_mov_b32_e32 v26, 1
	ds_add_u32 v25, v26 offset:4096
	v_mov_b32_e32 v25, 0
.LBB2277_24:
	s_or_b64 exec, exec, s[0:1]
	v_cmp_gt_i32_e64 s[0:1], 10, v25
	s_mov_b64 s[12:13], -1
	s_and_saveexec_b64 s[14:15], s[0:1]
; %bb.25:
	v_cmp_eq_u32_e64 s[0:1], 0, v25
	s_orn2_b64 s[12:13], s[0:1], exec
; %bb.26:
	s_or_b64 exec, exec, s[14:15]
	s_and_b64 exec, exec, s[12:13]
	s_cbranch_execz .LBB2277_54
; %bb.27:
	s_add_i32 s12, s8, 16
	s_cmp_le_u32 s9, s12
	s_cselect_b64 s[0:1], -1, 0
	s_and_b64 s[14:15], s[0:1], exec
	s_cselect_b32 s13, 8, 10
	s_or_b64 s[0:1], s[0:1], vcc
	s_xor_b64 s[14:15], s[0:1], -1
	v_mov_b32_e32 v25, s13
	s_and_saveexec_b64 s[0:1], s[14:15]
	s_cbranch_execz .LBB2277_29
; %bb.28:
	s_sub_i32 s13, s9, s12
	s_min_u32 s13, s13, 8
	v_lshrrev_b64 v[26:27], s12, v[16:17]
	v_bfe_u32 v25, v26, 0, s13
	v_lshlrev_b32_e32 v26, 2, v1
	v_lshl_or_b32 v25, v25, 4, v26
	v_mov_b32_e32 v26, 1
	ds_add_u32 v25, v26 offset:8192
	v_mov_b32_e32 v25, 0
.LBB2277_29:
	s_or_b64 exec, exec, s[0:1]
	v_cmp_gt_i32_e64 s[0:1], 10, v25
	s_mov_b64 s[12:13], -1
	s_and_saveexec_b64 s[14:15], s[0:1]
; %bb.30:
	v_cmp_eq_u32_e64 s[0:1], 0, v25
	s_orn2_b64 s[12:13], s[0:1], exec
; %bb.31:
	s_or_b64 exec, exec, s[14:15]
	s_and_b64 exec, exec, s[12:13]
	;; [unrolled: 33-line block ×6, first 2 shown]
	s_cbranch_execz .LBB2277_54
; %bb.52:
	s_add_i32 s0, s8, 56
	s_cmp_gt_u32 s9, s0
	s_cselect_b64 s[12:13], -1, 0
	s_xor_b64 s[14:15], vcc, -1
	s_and_b64 s[12:13], s[12:13], s[14:15]
	s_and_b64 exec, exec, s[12:13]
	s_cbranch_execz .LBB2277_54
; %bb.53:
	s_sub_i32 s1, s9, s0
	s_min_u32 s1, s1, 8
	v_lshrrev_b64 v[16:17], s0, v[16:17]
	v_bfe_u32 v16, v16, 0, s1
	v_lshlrev_b32_e32 v17, 2, v1
	v_lshl_or_b32 v16, v16, 4, v17
	v_mov_b32_e32 v17, 1
	ds_add_u32 v16, v17 offset:28672
.LBB2277_54:
	s_or_b64 exec, exec, s[10:11]
	v_cmp_le_u32_e32 vcc, s16, v24
	s_or_b64 s[0:1], s[4:5], vcc
	v_not_b32_e32 v15, v15
	v_not_b32_e32 v14, v14
	s_xor_b64 s[10:11], s[0:1], -1
	v_mov_b32_e32 v16, s17
	s_and_saveexec_b64 s[0:1], s[10:11]
	s_cbranch_execz .LBB2277_56
; %bb.55:
	s_sub_i32 s10, s9, s8
	s_min_u32 s10, s10, 8
	v_lshrrev_b64 v[16:17], s8, v[14:15]
	v_bfe_u32 v16, v16, 0, s10
	v_lshlrev_b32_e32 v17, 2, v1
	v_lshl_or_b32 v16, v16, 4, v17
	v_mov_b32_e32 v17, 1
	ds_add_u32 v16, v17
	v_mov_b32_e32 v16, 0
.LBB2277_56:
	s_or_b64 exec, exec, s[0:1]
	v_cmp_gt_i32_e64 s[0:1], 10, v16
	s_mov_b64 s[12:13], -1
	s_and_saveexec_b64 s[10:11], s[0:1]
; %bb.57:
	v_cmp_eq_u32_e64 s[0:1], 0, v16
	s_orn2_b64 s[12:13], s[0:1], exec
; %bb.58:
	s_or_b64 exec, exec, s[10:11]
	s_and_saveexec_b64 s[10:11], s[12:13]
	s_cbranch_execz .LBB2277_91
; %bb.59:
	s_add_i32 s12, s8, 8
	s_cmp_le_u32 s9, s12
	s_cselect_b64 s[0:1], -1, 0
	s_and_b64 s[14:15], s[0:1], exec
	s_cselect_b32 s13, 8, 10
	s_or_b64 s[0:1], s[0:1], vcc
	s_xor_b64 s[14:15], s[0:1], -1
	v_mov_b32_e32 v16, s13
	s_and_saveexec_b64 s[0:1], s[14:15]
	s_cbranch_execz .LBB2277_61
; %bb.60:
	s_sub_i32 s13, s9, s12
	s_min_u32 s13, s13, 8
	v_lshrrev_b64 v[16:17], s12, v[14:15]
	v_bfe_u32 v16, v16, 0, s13
	v_lshlrev_b32_e32 v17, 2, v1
	v_lshl_or_b32 v16, v16, 4, v17
	v_mov_b32_e32 v17, 1
	ds_add_u32 v16, v17 offset:4096
	v_mov_b32_e32 v16, 0
.LBB2277_61:
	s_or_b64 exec, exec, s[0:1]
	v_cmp_gt_i32_e64 s[0:1], 10, v16
	s_mov_b64 s[12:13], -1
	s_and_saveexec_b64 s[14:15], s[0:1]
; %bb.62:
	v_cmp_eq_u32_e64 s[0:1], 0, v16
	s_orn2_b64 s[12:13], s[0:1], exec
; %bb.63:
	s_or_b64 exec, exec, s[14:15]
	s_and_b64 exec, exec, s[12:13]
	s_cbranch_execz .LBB2277_91
; %bb.64:
	s_add_i32 s12, s8, 16
	s_cmp_le_u32 s9, s12
	s_cselect_b64 s[0:1], -1, 0
	s_and_b64 s[14:15], s[0:1], exec
	s_cselect_b32 s13, 8, 10
	s_or_b64 s[0:1], s[0:1], vcc
	s_xor_b64 s[14:15], s[0:1], -1
	v_mov_b32_e32 v16, s13
	s_and_saveexec_b64 s[0:1], s[14:15]
	s_cbranch_execz .LBB2277_66
; %bb.65:
	s_sub_i32 s13, s9, s12
	s_min_u32 s13, s13, 8
	v_lshrrev_b64 v[16:17], s12, v[14:15]
	v_bfe_u32 v16, v16, 0, s13
	v_lshlrev_b32_e32 v17, 2, v1
	v_lshl_or_b32 v16, v16, 4, v17
	v_mov_b32_e32 v17, 1
	ds_add_u32 v16, v17 offset:8192
	v_mov_b32_e32 v16, 0
.LBB2277_66:
	s_or_b64 exec, exec, s[0:1]
	v_cmp_gt_i32_e64 s[0:1], 10, v16
	s_mov_b64 s[12:13], -1
	s_and_saveexec_b64 s[14:15], s[0:1]
; %bb.67:
	v_cmp_eq_u32_e64 s[0:1], 0, v16
	s_orn2_b64 s[12:13], s[0:1], exec
; %bb.68:
	s_or_b64 exec, exec, s[14:15]
	s_and_b64 exec, exec, s[12:13]
	;; [unrolled: 33-line block ×6, first 2 shown]
	s_cbranch_execz .LBB2277_91
; %bb.89:
	s_add_i32 s0, s8, 56
	s_cmp_gt_u32 s9, s0
	s_cselect_b64 s[12:13], -1, 0
	s_xor_b64 s[14:15], vcc, -1
	s_and_b64 s[12:13], s[12:13], s[14:15]
	s_and_b64 exec, exec, s[12:13]
	s_cbranch_execz .LBB2277_91
; %bb.90:
	s_sub_i32 s1, s9, s0
	s_min_u32 s1, s1, 8
	v_lshrrev_b64 v[14:15], s0, v[14:15]
	v_bfe_u32 v14, v14, 0, s1
	v_lshlrev_b32_e32 v15, 2, v1
	v_lshl_or_b32 v14, v14, 4, v15
	v_mov_b32_e32 v15, 1
	ds_add_u32 v14, v15 offset:28672
.LBB2277_91:
	s_or_b64 exec, exec, s[10:11]
	v_cmp_le_u32_e32 vcc, s16, v23
	s_or_b64 s[0:1], s[4:5], vcc
	v_not_b32_e32 v13, v13
	v_not_b32_e32 v12, v12
	s_xor_b64 s[10:11], s[0:1], -1
	v_mov_b32_e32 v14, s17
	s_and_saveexec_b64 s[0:1], s[10:11]
	s_cbranch_execz .LBB2277_93
; %bb.92:
	s_sub_i32 s10, s9, s8
	s_min_u32 s10, s10, 8
	v_lshrrev_b64 v[14:15], s8, v[12:13]
	v_bfe_u32 v14, v14, 0, s10
	v_lshlrev_b32_e32 v15, 2, v1
	v_lshl_or_b32 v14, v14, 4, v15
	v_mov_b32_e32 v15, 1
	ds_add_u32 v14, v15
	v_mov_b32_e32 v14, 0
.LBB2277_93:
	s_or_b64 exec, exec, s[0:1]
	v_cmp_gt_i32_e64 s[0:1], 10, v14
	s_mov_b64 s[12:13], -1
	s_and_saveexec_b64 s[10:11], s[0:1]
; %bb.94:
	v_cmp_eq_u32_e64 s[0:1], 0, v14
	s_orn2_b64 s[12:13], s[0:1], exec
; %bb.95:
	s_or_b64 exec, exec, s[10:11]
	s_and_saveexec_b64 s[10:11], s[12:13]
	s_cbranch_execz .LBB2277_128
; %bb.96:
	s_add_i32 s12, s8, 8
	s_cmp_le_u32 s9, s12
	s_cselect_b64 s[0:1], -1, 0
	s_and_b64 s[14:15], s[0:1], exec
	s_cselect_b32 s13, 8, 10
	s_or_b64 s[0:1], s[0:1], vcc
	s_xor_b64 s[14:15], s[0:1], -1
	v_mov_b32_e32 v14, s13
	s_and_saveexec_b64 s[0:1], s[14:15]
	s_cbranch_execz .LBB2277_98
; %bb.97:
	s_sub_i32 s13, s9, s12
	s_min_u32 s13, s13, 8
	v_lshrrev_b64 v[14:15], s12, v[12:13]
	v_bfe_u32 v14, v14, 0, s13
	v_lshlrev_b32_e32 v15, 2, v1
	v_lshl_or_b32 v14, v14, 4, v15
	v_mov_b32_e32 v15, 1
	ds_add_u32 v14, v15 offset:4096
	v_mov_b32_e32 v14, 0
.LBB2277_98:
	s_or_b64 exec, exec, s[0:1]
	v_cmp_gt_i32_e64 s[0:1], 10, v14
	s_mov_b64 s[12:13], -1
	s_and_saveexec_b64 s[14:15], s[0:1]
; %bb.99:
	v_cmp_eq_u32_e64 s[0:1], 0, v14
	s_orn2_b64 s[12:13], s[0:1], exec
; %bb.100:
	s_or_b64 exec, exec, s[14:15]
	s_and_b64 exec, exec, s[12:13]
	s_cbranch_execz .LBB2277_128
; %bb.101:
	s_add_i32 s12, s8, 16
	s_cmp_le_u32 s9, s12
	s_cselect_b64 s[0:1], -1, 0
	s_and_b64 s[14:15], s[0:1], exec
	s_cselect_b32 s13, 8, 10
	s_or_b64 s[0:1], s[0:1], vcc
	s_xor_b64 s[14:15], s[0:1], -1
	v_mov_b32_e32 v14, s13
	s_and_saveexec_b64 s[0:1], s[14:15]
	s_cbranch_execz .LBB2277_103
; %bb.102:
	s_sub_i32 s13, s9, s12
	s_min_u32 s13, s13, 8
	v_lshrrev_b64 v[14:15], s12, v[12:13]
	v_bfe_u32 v14, v14, 0, s13
	v_lshlrev_b32_e32 v15, 2, v1
	v_lshl_or_b32 v14, v14, 4, v15
	v_mov_b32_e32 v15, 1
	ds_add_u32 v14, v15 offset:8192
	v_mov_b32_e32 v14, 0
.LBB2277_103:
	s_or_b64 exec, exec, s[0:1]
	v_cmp_gt_i32_e64 s[0:1], 10, v14
	s_mov_b64 s[12:13], -1
	s_and_saveexec_b64 s[14:15], s[0:1]
; %bb.104:
	v_cmp_eq_u32_e64 s[0:1], 0, v14
	s_orn2_b64 s[12:13], s[0:1], exec
; %bb.105:
	s_or_b64 exec, exec, s[14:15]
	s_and_b64 exec, exec, s[12:13]
	;; [unrolled: 33-line block ×6, first 2 shown]
	s_cbranch_execz .LBB2277_128
; %bb.126:
	s_add_i32 s0, s8, 56
	s_cmp_gt_u32 s9, s0
	s_cselect_b64 s[12:13], -1, 0
	s_xor_b64 s[14:15], vcc, -1
	s_and_b64 s[12:13], s[12:13], s[14:15]
	s_and_b64 exec, exec, s[12:13]
	s_cbranch_execz .LBB2277_128
; %bb.127:
	s_sub_i32 s1, s9, s0
	s_min_u32 s1, s1, 8
	v_lshrrev_b64 v[12:13], s0, v[12:13]
	v_bfe_u32 v12, v12, 0, s1
	v_lshlrev_b32_e32 v13, 2, v1
	v_lshl_or_b32 v12, v12, 4, v13
	v_mov_b32_e32 v13, 1
	ds_add_u32 v12, v13 offset:28672
.LBB2277_128:
	s_or_b64 exec, exec, s[10:11]
	v_cmp_le_u32_e32 vcc, s16, v22
	s_or_b64 s[0:1], s[4:5], vcc
	v_not_b32_e32 v11, v11
	v_not_b32_e32 v10, v10
	s_xor_b64 s[10:11], s[0:1], -1
	v_mov_b32_e32 v12, s17
	s_and_saveexec_b64 s[0:1], s[10:11]
	s_cbranch_execz .LBB2277_130
; %bb.129:
	s_sub_i32 s10, s9, s8
	s_min_u32 s10, s10, 8
	v_lshrrev_b64 v[12:13], s8, v[10:11]
	v_bfe_u32 v12, v12, 0, s10
	v_lshlrev_b32_e32 v13, 2, v1
	v_lshl_or_b32 v12, v12, 4, v13
	v_mov_b32_e32 v13, 1
	ds_add_u32 v12, v13
	v_mov_b32_e32 v12, 0
.LBB2277_130:
	s_or_b64 exec, exec, s[0:1]
	v_cmp_gt_i32_e64 s[0:1], 10, v12
	s_mov_b64 s[12:13], -1
	s_and_saveexec_b64 s[10:11], s[0:1]
; %bb.131:
	v_cmp_eq_u32_e64 s[0:1], 0, v12
	s_orn2_b64 s[12:13], s[0:1], exec
; %bb.132:
	s_or_b64 exec, exec, s[10:11]
	s_and_saveexec_b64 s[10:11], s[12:13]
	s_cbranch_execz .LBB2277_165
; %bb.133:
	s_add_i32 s12, s8, 8
	s_cmp_le_u32 s9, s12
	s_cselect_b64 s[0:1], -1, 0
	s_and_b64 s[14:15], s[0:1], exec
	s_cselect_b32 s13, 8, 10
	s_or_b64 s[0:1], s[0:1], vcc
	s_xor_b64 s[14:15], s[0:1], -1
	v_mov_b32_e32 v12, s13
	s_and_saveexec_b64 s[0:1], s[14:15]
	s_cbranch_execz .LBB2277_135
; %bb.134:
	s_sub_i32 s13, s9, s12
	s_min_u32 s13, s13, 8
	v_lshrrev_b64 v[12:13], s12, v[10:11]
	v_bfe_u32 v12, v12, 0, s13
	v_lshlrev_b32_e32 v13, 2, v1
	v_lshl_or_b32 v12, v12, 4, v13
	v_mov_b32_e32 v13, 1
	ds_add_u32 v12, v13 offset:4096
	v_mov_b32_e32 v12, 0
.LBB2277_135:
	s_or_b64 exec, exec, s[0:1]
	v_cmp_gt_i32_e64 s[0:1], 10, v12
	s_mov_b64 s[12:13], -1
	s_and_saveexec_b64 s[14:15], s[0:1]
; %bb.136:
	v_cmp_eq_u32_e64 s[0:1], 0, v12
	s_orn2_b64 s[12:13], s[0:1], exec
; %bb.137:
	s_or_b64 exec, exec, s[14:15]
	s_and_b64 exec, exec, s[12:13]
	s_cbranch_execz .LBB2277_165
; %bb.138:
	s_add_i32 s12, s8, 16
	s_cmp_le_u32 s9, s12
	s_cselect_b64 s[0:1], -1, 0
	s_and_b64 s[14:15], s[0:1], exec
	s_cselect_b32 s13, 8, 10
	s_or_b64 s[0:1], s[0:1], vcc
	s_xor_b64 s[14:15], s[0:1], -1
	v_mov_b32_e32 v12, s13
	s_and_saveexec_b64 s[0:1], s[14:15]
	s_cbranch_execz .LBB2277_140
; %bb.139:
	s_sub_i32 s13, s9, s12
	s_min_u32 s13, s13, 8
	v_lshrrev_b64 v[12:13], s12, v[10:11]
	v_bfe_u32 v12, v12, 0, s13
	v_lshlrev_b32_e32 v13, 2, v1
	v_lshl_or_b32 v12, v12, 4, v13
	v_mov_b32_e32 v13, 1
	ds_add_u32 v12, v13 offset:8192
	v_mov_b32_e32 v12, 0
.LBB2277_140:
	s_or_b64 exec, exec, s[0:1]
	v_cmp_gt_i32_e64 s[0:1], 10, v12
	s_mov_b64 s[12:13], -1
	s_and_saveexec_b64 s[14:15], s[0:1]
; %bb.141:
	v_cmp_eq_u32_e64 s[0:1], 0, v12
	s_orn2_b64 s[12:13], s[0:1], exec
; %bb.142:
	s_or_b64 exec, exec, s[14:15]
	s_and_b64 exec, exec, s[12:13]
	;; [unrolled: 33-line block ×6, first 2 shown]
	s_cbranch_execz .LBB2277_165
; %bb.163:
	s_add_i32 s0, s8, 56
	s_cmp_gt_u32 s9, s0
	s_cselect_b64 s[12:13], -1, 0
	s_xor_b64 s[14:15], vcc, -1
	s_and_b64 s[12:13], s[12:13], s[14:15]
	s_and_b64 exec, exec, s[12:13]
	s_cbranch_execz .LBB2277_165
; %bb.164:
	s_sub_i32 s1, s9, s0
	s_min_u32 s1, s1, 8
	v_lshrrev_b64 v[10:11], s0, v[10:11]
	v_bfe_u32 v10, v10, 0, s1
	v_lshlrev_b32_e32 v11, 2, v1
	v_lshl_or_b32 v10, v10, 4, v11
	v_mov_b32_e32 v11, 1
	ds_add_u32 v10, v11 offset:28672
.LBB2277_165:
	s_or_b64 exec, exec, s[10:11]
	v_cmp_le_u32_e32 vcc, s16, v21
	s_or_b64 s[0:1], s[4:5], vcc
	v_not_b32_e32 v9, v9
	v_not_b32_e32 v8, v8
	s_xor_b64 s[10:11], s[0:1], -1
	v_mov_b32_e32 v10, s17
	s_and_saveexec_b64 s[0:1], s[10:11]
	s_cbranch_execz .LBB2277_167
; %bb.166:
	s_sub_i32 s10, s9, s8
	s_min_u32 s10, s10, 8
	v_lshrrev_b64 v[10:11], s8, v[8:9]
	v_bfe_u32 v10, v10, 0, s10
	v_lshlrev_b32_e32 v11, 2, v1
	v_lshl_or_b32 v10, v10, 4, v11
	v_mov_b32_e32 v11, 1
	ds_add_u32 v10, v11
	v_mov_b32_e32 v10, 0
.LBB2277_167:
	s_or_b64 exec, exec, s[0:1]
	v_cmp_gt_i32_e64 s[0:1], 10, v10
	s_mov_b64 s[12:13], -1
	s_and_saveexec_b64 s[10:11], s[0:1]
; %bb.168:
	v_cmp_eq_u32_e64 s[0:1], 0, v10
	s_orn2_b64 s[12:13], s[0:1], exec
; %bb.169:
	s_or_b64 exec, exec, s[10:11]
	s_and_saveexec_b64 s[10:11], s[12:13]
	s_cbranch_execz .LBB2277_202
; %bb.170:
	s_add_i32 s12, s8, 8
	s_cmp_le_u32 s9, s12
	s_cselect_b64 s[0:1], -1, 0
	s_and_b64 s[14:15], s[0:1], exec
	s_cselect_b32 s13, 8, 10
	s_or_b64 s[0:1], s[0:1], vcc
	s_xor_b64 s[14:15], s[0:1], -1
	v_mov_b32_e32 v10, s13
	s_and_saveexec_b64 s[0:1], s[14:15]
	s_cbranch_execz .LBB2277_172
; %bb.171:
	s_sub_i32 s13, s9, s12
	s_min_u32 s13, s13, 8
	v_lshrrev_b64 v[10:11], s12, v[8:9]
	v_bfe_u32 v10, v10, 0, s13
	v_lshlrev_b32_e32 v11, 2, v1
	v_lshl_or_b32 v10, v10, 4, v11
	v_mov_b32_e32 v11, 1
	ds_add_u32 v10, v11 offset:4096
	v_mov_b32_e32 v10, 0
.LBB2277_172:
	s_or_b64 exec, exec, s[0:1]
	v_cmp_gt_i32_e64 s[0:1], 10, v10
	s_mov_b64 s[12:13], -1
	s_and_saveexec_b64 s[14:15], s[0:1]
; %bb.173:
	v_cmp_eq_u32_e64 s[0:1], 0, v10
	s_orn2_b64 s[12:13], s[0:1], exec
; %bb.174:
	s_or_b64 exec, exec, s[14:15]
	s_and_b64 exec, exec, s[12:13]
	s_cbranch_execz .LBB2277_202
; %bb.175:
	s_add_i32 s12, s8, 16
	s_cmp_le_u32 s9, s12
	s_cselect_b64 s[0:1], -1, 0
	s_and_b64 s[14:15], s[0:1], exec
	s_cselect_b32 s13, 8, 10
	s_or_b64 s[0:1], s[0:1], vcc
	s_xor_b64 s[14:15], s[0:1], -1
	v_mov_b32_e32 v10, s13
	s_and_saveexec_b64 s[0:1], s[14:15]
	s_cbranch_execz .LBB2277_177
; %bb.176:
	s_sub_i32 s13, s9, s12
	s_min_u32 s13, s13, 8
	v_lshrrev_b64 v[10:11], s12, v[8:9]
	v_bfe_u32 v10, v10, 0, s13
	v_lshlrev_b32_e32 v11, 2, v1
	v_lshl_or_b32 v10, v10, 4, v11
	v_mov_b32_e32 v11, 1
	ds_add_u32 v10, v11 offset:8192
	v_mov_b32_e32 v10, 0
.LBB2277_177:
	s_or_b64 exec, exec, s[0:1]
	v_cmp_gt_i32_e64 s[0:1], 10, v10
	s_mov_b64 s[12:13], -1
	s_and_saveexec_b64 s[14:15], s[0:1]
; %bb.178:
	v_cmp_eq_u32_e64 s[0:1], 0, v10
	s_orn2_b64 s[12:13], s[0:1], exec
; %bb.179:
	s_or_b64 exec, exec, s[14:15]
	s_and_b64 exec, exec, s[12:13]
	s_cbranch_execz .LBB2277_202
; %bb.180:
	s_add_i32 s12, s8, 24
	s_cmp_le_u32 s9, s12
	s_cselect_b64 s[0:1], -1, 0
	s_and_b64 s[14:15], s[0:1], exec
	s_cselect_b32 s13, 8, 10
	s_or_b64 s[0:1], s[0:1], vcc
	s_xor_b64 s[14:15], s[0:1], -1
	v_mov_b32_e32 v10, s13
	s_and_saveexec_b64 s[0:1], s[14:15]
	s_cbranch_execz .LBB2277_182
; %bb.181:
	s_sub_i32 s13, s9, s12
	s_min_u32 s13, s13, 8
	v_lshrrev_b64 v[10:11], s12, v[8:9]
	v_bfe_u32 v10, v10, 0, s13
	v_lshlrev_b32_e32 v11, 2, v1
	v_lshl_or_b32 v10, v10, 4, v11
	v_mov_b32_e32 v11, 1
	ds_add_u32 v10, v11 offset:12288
	v_mov_b32_e32 v10, 0
.LBB2277_182:
	s_or_b64 exec, exec, s[0:1]
	v_cmp_gt_i32_e64 s[0:1], 10, v10
	s_mov_b64 s[12:13], -1
	s_and_saveexec_b64 s[14:15], s[0:1]
; %bb.183:
	v_cmp_eq_u32_e64 s[0:1], 0, v10
	s_orn2_b64 s[12:13], s[0:1], exec
; %bb.184:
	s_or_b64 exec, exec, s[14:15]
	s_and_b64 exec, exec, s[12:13]
	s_cbranch_execz .LBB2277_202
; %bb.185:
	s_add_i32 s12, s8, 32
	s_cmp_le_u32 s9, s12
	s_cselect_b64 s[0:1], -1, 0
	s_and_b64 s[14:15], s[0:1], exec
	s_cselect_b32 s13, 8, 10
	s_or_b64 s[0:1], s[0:1], vcc
	s_xor_b64 s[14:15], s[0:1], -1
	v_mov_b32_e32 v10, s13
	s_and_saveexec_b64 s[0:1], s[14:15]
	s_cbranch_execz .LBB2277_187
; %bb.186:
	s_sub_i32 s13, s9, s12
	s_min_u32 s13, s13, 8
	v_lshrrev_b64 v[10:11], s12, v[8:9]
	v_bfe_u32 v10, v10, 0, s13
	v_lshlrev_b32_e32 v11, 2, v1
	v_lshl_or_b32 v10, v10, 4, v11
	v_mov_b32_e32 v11, 1
	ds_add_u32 v10, v11 offset:16384
	v_mov_b32_e32 v10, 0
.LBB2277_187:
	s_or_b64 exec, exec, s[0:1]
	v_cmp_gt_i32_e64 s[0:1], 10, v10
	s_mov_b64 s[12:13], -1
	s_and_saveexec_b64 s[14:15], s[0:1]
; %bb.188:
	v_cmp_eq_u32_e64 s[0:1], 0, v10
	s_orn2_b64 s[12:13], s[0:1], exec
; %bb.189:
	s_or_b64 exec, exec, s[14:15]
	s_and_b64 exec, exec, s[12:13]
	s_cbranch_execz .LBB2277_202
; %bb.190:
	s_add_i32 s12, s8, 40
	s_cmp_le_u32 s9, s12
	s_cselect_b64 s[0:1], -1, 0
	s_and_b64 s[14:15], s[0:1], exec
	s_cselect_b32 s13, 8, 10
	s_or_b64 s[0:1], s[0:1], vcc
	s_xor_b64 s[14:15], s[0:1], -1
	v_mov_b32_e32 v10, s13
	s_and_saveexec_b64 s[0:1], s[14:15]
	s_cbranch_execz .LBB2277_192
; %bb.191:
	s_sub_i32 s13, s9, s12
	s_min_u32 s13, s13, 8
	v_lshrrev_b64 v[10:11], s12, v[8:9]
	v_bfe_u32 v10, v10, 0, s13
	v_lshlrev_b32_e32 v11, 2, v1
	v_lshl_or_b32 v10, v10, 4, v11
	v_mov_b32_e32 v11, 1
	ds_add_u32 v10, v11 offset:20480
	v_mov_b32_e32 v10, 0
.LBB2277_192:
	s_or_b64 exec, exec, s[0:1]
	v_cmp_gt_i32_e64 s[0:1], 10, v10
	s_mov_b64 s[12:13], -1
	s_and_saveexec_b64 s[14:15], s[0:1]
; %bb.193:
	v_cmp_eq_u32_e64 s[0:1], 0, v10
	s_orn2_b64 s[12:13], s[0:1], exec
; %bb.194:
	s_or_b64 exec, exec, s[14:15]
	s_and_b64 exec, exec, s[12:13]
	s_cbranch_execz .LBB2277_202
; %bb.195:
	s_add_i32 s12, s8, 48
	s_cmp_le_u32 s9, s12
	s_cselect_b64 s[0:1], -1, 0
	s_and_b64 s[14:15], s[0:1], exec
	s_cselect_b32 s13, 8, 10
	s_or_b64 s[0:1], s[0:1], vcc
	s_xor_b64 s[14:15], s[0:1], -1
	v_mov_b32_e32 v10, s13
	s_and_saveexec_b64 s[0:1], s[14:15]
	s_cbranch_execz .LBB2277_197
; %bb.196:
	s_sub_i32 s13, s9, s12
	s_min_u32 s13, s13, 8
	v_lshrrev_b64 v[10:11], s12, v[8:9]
	v_bfe_u32 v10, v10, 0, s13
	v_lshlrev_b32_e32 v11, 2, v1
	v_lshl_or_b32 v10, v10, 4, v11
	v_mov_b32_e32 v11, 1
	ds_add_u32 v10, v11 offset:24576
	v_mov_b32_e32 v10, 0
.LBB2277_197:
	s_or_b64 exec, exec, s[0:1]
	v_cmp_gt_i32_e64 s[0:1], 10, v10
	s_mov_b64 s[12:13], -1
	s_and_saveexec_b64 s[14:15], s[0:1]
; %bb.198:
	v_cmp_eq_u32_e64 s[0:1], 0, v10
	s_orn2_b64 s[12:13], s[0:1], exec
; %bb.199:
	s_or_b64 exec, exec, s[14:15]
	s_and_b64 exec, exec, s[12:13]
	s_cbranch_execz .LBB2277_202
; %bb.200:
	s_add_i32 s0, s8, 56
	s_cmp_gt_u32 s9, s0
	s_cselect_b64 s[12:13], -1, 0
	s_xor_b64 s[14:15], vcc, -1
	s_and_b64 s[12:13], s[12:13], s[14:15]
	s_and_b64 exec, exec, s[12:13]
	s_cbranch_execz .LBB2277_202
; %bb.201:
	s_sub_i32 s1, s9, s0
	s_min_u32 s1, s1, 8
	v_lshrrev_b64 v[8:9], s0, v[8:9]
	v_bfe_u32 v8, v8, 0, s1
	v_lshlrev_b32_e32 v9, 2, v1
	v_lshl_or_b32 v8, v8, 4, v9
	v_mov_b32_e32 v9, 1
	ds_add_u32 v8, v9 offset:28672
.LBB2277_202:
	s_or_b64 exec, exec, s[10:11]
	v_cmp_le_u32_e32 vcc, s16, v20
	s_or_b64 s[0:1], s[4:5], vcc
	v_not_b32_e32 v7, v7
	v_not_b32_e32 v6, v6
	s_xor_b64 s[10:11], s[0:1], -1
	v_mov_b32_e32 v8, s17
	s_and_saveexec_b64 s[0:1], s[10:11]
	s_cbranch_execz .LBB2277_204
; %bb.203:
	s_sub_i32 s10, s9, s8
	s_min_u32 s10, s10, 8
	v_lshrrev_b64 v[8:9], s8, v[6:7]
	v_bfe_u32 v8, v8, 0, s10
	v_lshlrev_b32_e32 v9, 2, v1
	v_lshl_or_b32 v8, v8, 4, v9
	v_mov_b32_e32 v9, 1
	ds_add_u32 v8, v9
	v_mov_b32_e32 v8, 0
.LBB2277_204:
	s_or_b64 exec, exec, s[0:1]
	v_cmp_gt_i32_e64 s[0:1], 10, v8
	s_mov_b64 s[12:13], -1
	s_and_saveexec_b64 s[10:11], s[0:1]
; %bb.205:
	v_cmp_eq_u32_e64 s[0:1], 0, v8
	s_orn2_b64 s[12:13], s[0:1], exec
; %bb.206:
	s_or_b64 exec, exec, s[10:11]
	s_and_saveexec_b64 s[10:11], s[12:13]
	s_cbranch_execz .LBB2277_239
; %bb.207:
	s_add_i32 s12, s8, 8
	s_cmp_le_u32 s9, s12
	s_cselect_b64 s[0:1], -1, 0
	s_and_b64 s[14:15], s[0:1], exec
	s_cselect_b32 s13, 8, 10
	s_or_b64 s[0:1], s[0:1], vcc
	s_xor_b64 s[14:15], s[0:1], -1
	v_mov_b32_e32 v8, s13
	s_and_saveexec_b64 s[0:1], s[14:15]
	s_cbranch_execz .LBB2277_209
; %bb.208:
	s_sub_i32 s13, s9, s12
	s_min_u32 s13, s13, 8
	v_lshrrev_b64 v[8:9], s12, v[6:7]
	v_bfe_u32 v8, v8, 0, s13
	v_lshlrev_b32_e32 v9, 2, v1
	v_lshl_or_b32 v8, v8, 4, v9
	v_mov_b32_e32 v9, 1
	ds_add_u32 v8, v9 offset:4096
	v_mov_b32_e32 v8, 0
.LBB2277_209:
	s_or_b64 exec, exec, s[0:1]
	v_cmp_gt_i32_e64 s[0:1], 10, v8
	s_mov_b64 s[12:13], -1
	s_and_saveexec_b64 s[14:15], s[0:1]
; %bb.210:
	v_cmp_eq_u32_e64 s[0:1], 0, v8
	s_orn2_b64 s[12:13], s[0:1], exec
; %bb.211:
	s_or_b64 exec, exec, s[14:15]
	s_and_b64 exec, exec, s[12:13]
	s_cbranch_execz .LBB2277_239
; %bb.212:
	s_add_i32 s12, s8, 16
	s_cmp_le_u32 s9, s12
	s_cselect_b64 s[0:1], -1, 0
	s_and_b64 s[14:15], s[0:1], exec
	s_cselect_b32 s13, 8, 10
	s_or_b64 s[0:1], s[0:1], vcc
	s_xor_b64 s[14:15], s[0:1], -1
	v_mov_b32_e32 v8, s13
	s_and_saveexec_b64 s[0:1], s[14:15]
	s_cbranch_execz .LBB2277_214
; %bb.213:
	s_sub_i32 s13, s9, s12
	s_min_u32 s13, s13, 8
	v_lshrrev_b64 v[8:9], s12, v[6:7]
	v_bfe_u32 v8, v8, 0, s13
	v_lshlrev_b32_e32 v9, 2, v1
	v_lshl_or_b32 v8, v8, 4, v9
	v_mov_b32_e32 v9, 1
	ds_add_u32 v8, v9 offset:8192
	v_mov_b32_e32 v8, 0
.LBB2277_214:
	s_or_b64 exec, exec, s[0:1]
	v_cmp_gt_i32_e64 s[0:1], 10, v8
	s_mov_b64 s[12:13], -1
	s_and_saveexec_b64 s[14:15], s[0:1]
; %bb.215:
	v_cmp_eq_u32_e64 s[0:1], 0, v8
	s_orn2_b64 s[12:13], s[0:1], exec
; %bb.216:
	s_or_b64 exec, exec, s[14:15]
	s_and_b64 exec, exec, s[12:13]
	;; [unrolled: 33-line block ×6, first 2 shown]
	s_cbranch_execz .LBB2277_239
; %bb.237:
	s_add_i32 s0, s8, 56
	s_cmp_gt_u32 s9, s0
	s_cselect_b64 s[12:13], -1, 0
	s_xor_b64 s[14:15], vcc, -1
	s_and_b64 s[12:13], s[12:13], s[14:15]
	s_and_b64 exec, exec, s[12:13]
	s_cbranch_execz .LBB2277_239
; %bb.238:
	s_sub_i32 s1, s9, s0
	s_min_u32 s1, s1, 8
	v_lshrrev_b64 v[6:7], s0, v[6:7]
	v_bfe_u32 v6, v6, 0, s1
	v_lshlrev_b32_e32 v7, 2, v1
	v_lshl_or_b32 v6, v6, 4, v7
	v_mov_b32_e32 v7, 1
	ds_add_u32 v6, v7 offset:28672
.LBB2277_239:
	s_or_b64 exec, exec, s[10:11]
	v_cmp_le_u32_e32 vcc, s16, v19
	s_or_b64 s[0:1], s[4:5], vcc
	v_not_b32_e32 v5, v5
	v_not_b32_e32 v4, v4
	s_xor_b64 s[10:11], s[0:1], -1
	v_mov_b32_e32 v6, s17
	s_and_saveexec_b64 s[0:1], s[10:11]
	s_cbranch_execz .LBB2277_241
; %bb.240:
	s_sub_i32 s10, s9, s8
	s_min_u32 s10, s10, 8
	v_lshrrev_b64 v[6:7], s8, v[4:5]
	v_bfe_u32 v6, v6, 0, s10
	v_lshlrev_b32_e32 v7, 2, v1
	v_lshl_or_b32 v6, v6, 4, v7
	v_mov_b32_e32 v7, 1
	ds_add_u32 v6, v7
	v_mov_b32_e32 v6, 0
.LBB2277_241:
	s_or_b64 exec, exec, s[0:1]
	v_cmp_gt_i32_e64 s[0:1], 10, v6
	s_mov_b64 s[12:13], -1
	s_and_saveexec_b64 s[10:11], s[0:1]
; %bb.242:
	v_cmp_eq_u32_e64 s[0:1], 0, v6
	s_orn2_b64 s[12:13], s[0:1], exec
; %bb.243:
	s_or_b64 exec, exec, s[10:11]
	s_and_saveexec_b64 s[10:11], s[12:13]
	s_cbranch_execz .LBB2277_276
; %bb.244:
	s_add_i32 s12, s8, 8
	s_cmp_le_u32 s9, s12
	s_cselect_b64 s[0:1], -1, 0
	s_and_b64 s[14:15], s[0:1], exec
	s_cselect_b32 s13, 8, 10
	s_or_b64 s[0:1], s[0:1], vcc
	s_xor_b64 s[14:15], s[0:1], -1
	v_mov_b32_e32 v6, s13
	s_and_saveexec_b64 s[0:1], s[14:15]
	s_cbranch_execz .LBB2277_246
; %bb.245:
	s_sub_i32 s13, s9, s12
	s_min_u32 s13, s13, 8
	v_lshrrev_b64 v[6:7], s12, v[4:5]
	v_bfe_u32 v6, v6, 0, s13
	v_lshlrev_b32_e32 v7, 2, v1
	v_lshl_or_b32 v6, v6, 4, v7
	v_mov_b32_e32 v7, 1
	ds_add_u32 v6, v7 offset:4096
	v_mov_b32_e32 v6, 0
.LBB2277_246:
	s_or_b64 exec, exec, s[0:1]
	v_cmp_gt_i32_e64 s[0:1], 10, v6
	s_mov_b64 s[12:13], -1
	s_and_saveexec_b64 s[14:15], s[0:1]
; %bb.247:
	v_cmp_eq_u32_e64 s[0:1], 0, v6
	s_orn2_b64 s[12:13], s[0:1], exec
; %bb.248:
	s_or_b64 exec, exec, s[14:15]
	s_and_b64 exec, exec, s[12:13]
	s_cbranch_execz .LBB2277_276
; %bb.249:
	s_add_i32 s12, s8, 16
	s_cmp_le_u32 s9, s12
	s_cselect_b64 s[0:1], -1, 0
	s_and_b64 s[14:15], s[0:1], exec
	s_cselect_b32 s13, 8, 10
	s_or_b64 s[0:1], s[0:1], vcc
	s_xor_b64 s[14:15], s[0:1], -1
	v_mov_b32_e32 v6, s13
	s_and_saveexec_b64 s[0:1], s[14:15]
	s_cbranch_execz .LBB2277_251
; %bb.250:
	s_sub_i32 s13, s9, s12
	s_min_u32 s13, s13, 8
	v_lshrrev_b64 v[6:7], s12, v[4:5]
	v_bfe_u32 v6, v6, 0, s13
	v_lshlrev_b32_e32 v7, 2, v1
	v_lshl_or_b32 v6, v6, 4, v7
	v_mov_b32_e32 v7, 1
	ds_add_u32 v6, v7 offset:8192
	v_mov_b32_e32 v6, 0
.LBB2277_251:
	s_or_b64 exec, exec, s[0:1]
	v_cmp_gt_i32_e64 s[0:1], 10, v6
	s_mov_b64 s[12:13], -1
	s_and_saveexec_b64 s[14:15], s[0:1]
; %bb.252:
	v_cmp_eq_u32_e64 s[0:1], 0, v6
	s_orn2_b64 s[12:13], s[0:1], exec
; %bb.253:
	s_or_b64 exec, exec, s[14:15]
	s_and_b64 exec, exec, s[12:13]
	s_cbranch_execz .LBB2277_276
; %bb.254:
	s_add_i32 s12, s8, 24
	s_cmp_le_u32 s9, s12
	s_cselect_b64 s[0:1], -1, 0
	s_and_b64 s[14:15], s[0:1], exec
	s_cselect_b32 s13, 8, 10
	s_or_b64 s[0:1], s[0:1], vcc
	s_xor_b64 s[14:15], s[0:1], -1
	v_mov_b32_e32 v6, s13
	s_and_saveexec_b64 s[0:1], s[14:15]
	s_cbranch_execz .LBB2277_256
; %bb.255:
	s_sub_i32 s13, s9, s12
	s_min_u32 s13, s13, 8
	v_lshrrev_b64 v[6:7], s12, v[4:5]
	v_bfe_u32 v6, v6, 0, s13
	v_lshlrev_b32_e32 v7, 2, v1
	v_lshl_or_b32 v6, v6, 4, v7
	v_mov_b32_e32 v7, 1
	ds_add_u32 v6, v7 offset:12288
	v_mov_b32_e32 v6, 0
.LBB2277_256:
	s_or_b64 exec, exec, s[0:1]
	v_cmp_gt_i32_e64 s[0:1], 10, v6
	s_mov_b64 s[12:13], -1
	s_and_saveexec_b64 s[14:15], s[0:1]
; %bb.257:
	v_cmp_eq_u32_e64 s[0:1], 0, v6
	s_orn2_b64 s[12:13], s[0:1], exec
; %bb.258:
	s_or_b64 exec, exec, s[14:15]
	s_and_b64 exec, exec, s[12:13]
	s_cbranch_execz .LBB2277_276
; %bb.259:
	s_add_i32 s12, s8, 32
	s_cmp_le_u32 s9, s12
	s_cselect_b64 s[0:1], -1, 0
	s_and_b64 s[14:15], s[0:1], exec
	s_cselect_b32 s13, 8, 10
	s_or_b64 s[0:1], s[0:1], vcc
	s_xor_b64 s[14:15], s[0:1], -1
	v_mov_b32_e32 v6, s13
	s_and_saveexec_b64 s[0:1], s[14:15]
	s_cbranch_execz .LBB2277_261
; %bb.260:
	s_sub_i32 s13, s9, s12
	s_min_u32 s13, s13, 8
	v_lshrrev_b64 v[6:7], s12, v[4:5]
	v_bfe_u32 v6, v6, 0, s13
	v_lshlrev_b32_e32 v7, 2, v1
	v_lshl_or_b32 v6, v6, 4, v7
	v_mov_b32_e32 v7, 1
	ds_add_u32 v6, v7 offset:16384
	v_mov_b32_e32 v6, 0
.LBB2277_261:
	s_or_b64 exec, exec, s[0:1]
	v_cmp_gt_i32_e64 s[0:1], 10, v6
	s_mov_b64 s[12:13], -1
	s_and_saveexec_b64 s[14:15], s[0:1]
; %bb.262:
	v_cmp_eq_u32_e64 s[0:1], 0, v6
	s_orn2_b64 s[12:13], s[0:1], exec
; %bb.263:
	s_or_b64 exec, exec, s[14:15]
	s_and_b64 exec, exec, s[12:13]
	s_cbranch_execz .LBB2277_276
; %bb.264:
	s_add_i32 s12, s8, 40
	s_cmp_le_u32 s9, s12
	s_cselect_b64 s[0:1], -1, 0
	s_and_b64 s[14:15], s[0:1], exec
	s_cselect_b32 s13, 8, 10
	s_or_b64 s[0:1], s[0:1], vcc
	s_xor_b64 s[14:15], s[0:1], -1
	v_mov_b32_e32 v6, s13
	s_and_saveexec_b64 s[0:1], s[14:15]
	s_cbranch_execz .LBB2277_266
; %bb.265:
	s_sub_i32 s13, s9, s12
	s_min_u32 s13, s13, 8
	v_lshrrev_b64 v[6:7], s12, v[4:5]
	v_bfe_u32 v6, v6, 0, s13
	v_lshlrev_b32_e32 v7, 2, v1
	v_lshl_or_b32 v6, v6, 4, v7
	v_mov_b32_e32 v7, 1
	ds_add_u32 v6, v7 offset:20480
	v_mov_b32_e32 v6, 0
.LBB2277_266:
	s_or_b64 exec, exec, s[0:1]
	v_cmp_gt_i32_e64 s[0:1], 10, v6
	s_mov_b64 s[12:13], -1
	s_and_saveexec_b64 s[14:15], s[0:1]
; %bb.267:
	v_cmp_eq_u32_e64 s[0:1], 0, v6
	s_orn2_b64 s[12:13], s[0:1], exec
; %bb.268:
	s_or_b64 exec, exec, s[14:15]
	s_and_b64 exec, exec, s[12:13]
	s_cbranch_execz .LBB2277_276
; %bb.269:
	s_add_i32 s12, s8, 48
	s_cmp_le_u32 s9, s12
	s_cselect_b64 s[0:1], -1, 0
	s_and_b64 s[14:15], s[0:1], exec
	s_cselect_b32 s13, 8, 10
	s_or_b64 s[0:1], s[0:1], vcc
	s_xor_b64 s[14:15], s[0:1], -1
	v_mov_b32_e32 v6, s13
	s_and_saveexec_b64 s[0:1], s[14:15]
	s_cbranch_execz .LBB2277_271
; %bb.270:
	s_sub_i32 s13, s9, s12
	s_min_u32 s13, s13, 8
	v_lshrrev_b64 v[6:7], s12, v[4:5]
	v_bfe_u32 v6, v6, 0, s13
	v_lshlrev_b32_e32 v7, 2, v1
	v_lshl_or_b32 v6, v6, 4, v7
	v_mov_b32_e32 v7, 1
	ds_add_u32 v6, v7 offset:24576
	v_mov_b32_e32 v6, 0
.LBB2277_271:
	s_or_b64 exec, exec, s[0:1]
	v_cmp_gt_i32_e64 s[0:1], 10, v6
	s_mov_b64 s[12:13], -1
	s_and_saveexec_b64 s[14:15], s[0:1]
; %bb.272:
	v_cmp_eq_u32_e64 s[0:1], 0, v6
	s_orn2_b64 s[12:13], s[0:1], exec
; %bb.273:
	s_or_b64 exec, exec, s[14:15]
	s_and_b64 exec, exec, s[12:13]
	s_cbranch_execz .LBB2277_276
; %bb.274:
	s_add_i32 s0, s8, 56
	s_cmp_gt_u32 s9, s0
	s_cselect_b64 s[12:13], -1, 0
	s_xor_b64 s[14:15], vcc, -1
	s_and_b64 s[12:13], s[12:13], s[14:15]
	s_and_b64 exec, exec, s[12:13]
	s_cbranch_execz .LBB2277_276
; %bb.275:
	s_sub_i32 s1, s9, s0
	s_min_u32 s1, s1, 8
	v_lshrrev_b64 v[4:5], s0, v[4:5]
	v_bfe_u32 v4, v4, 0, s1
	v_lshlrev_b32_e32 v5, 2, v1
	v_lshl_or_b32 v4, v4, 4, v5
	v_mov_b32_e32 v5, 1
	ds_add_u32 v4, v5 offset:28672
.LBB2277_276:
	s_or_b64 exec, exec, s[10:11]
	v_cmp_le_u32_e32 vcc, s16, v18
	s_or_b64 s[0:1], s[4:5], vcc
	v_not_b32_e32 v3, v3
	v_not_b32_e32 v2, v2
	s_xor_b64 s[4:5], s[0:1], -1
	v_mov_b32_e32 v4, s17
	s_and_saveexec_b64 s[0:1], s[4:5]
	s_cbranch_execz .LBB2277_278
; %bb.277:
	s_sub_i32 s4, s9, s8
	s_min_u32 s4, s4, 8
	v_lshrrev_b64 v[4:5], s8, v[2:3]
	v_bfe_u32 v4, v4, 0, s4
	v_lshlrev_b32_e32 v5, 2, v1
	v_lshl_or_b32 v4, v4, 4, v5
	v_mov_b32_e32 v5, 1
	ds_add_u32 v4, v5
	v_mov_b32_e32 v4, 0
.LBB2277_278:
	s_or_b64 exec, exec, s[0:1]
	v_cmp_gt_i32_e64 s[0:1], 10, v4
	s_mov_b64 s[10:11], -1
	s_and_saveexec_b64 s[4:5], s[0:1]
; %bb.279:
	v_cmp_eq_u32_e64 s[0:1], 0, v4
	s_orn2_b64 s[10:11], s[0:1], exec
; %bb.280:
	s_or_b64 exec, exec, s[4:5]
	s_and_saveexec_b64 s[4:5], s[10:11]
	s_cbranch_execz .LBB2277_313
; %bb.281:
	s_add_i32 s10, s8, 8
	s_cmp_le_u32 s9, s10
	s_cselect_b64 s[0:1], -1, 0
	s_and_b64 s[12:13], s[0:1], exec
	s_cselect_b32 s11, 8, 10
	s_or_b64 s[0:1], s[0:1], vcc
	s_xor_b64 s[12:13], s[0:1], -1
	v_mov_b32_e32 v4, s11
	s_and_saveexec_b64 s[0:1], s[12:13]
	s_cbranch_execz .LBB2277_283
; %bb.282:
	s_sub_i32 s11, s9, s10
	s_min_u32 s11, s11, 8
	v_lshrrev_b64 v[4:5], s10, v[2:3]
	v_bfe_u32 v4, v4, 0, s11
	v_lshlrev_b32_e32 v5, 2, v1
	v_lshl_or_b32 v4, v4, 4, v5
	v_mov_b32_e32 v5, 1
	ds_add_u32 v4, v5 offset:4096
	v_mov_b32_e32 v4, 0
.LBB2277_283:
	s_or_b64 exec, exec, s[0:1]
	v_cmp_gt_i32_e64 s[0:1], 10, v4
	s_mov_b64 s[10:11], -1
	s_and_saveexec_b64 s[12:13], s[0:1]
; %bb.284:
	v_cmp_eq_u32_e64 s[0:1], 0, v4
	s_orn2_b64 s[10:11], s[0:1], exec
; %bb.285:
	s_or_b64 exec, exec, s[12:13]
	s_and_b64 exec, exec, s[10:11]
	s_cbranch_execz .LBB2277_313
; %bb.286:
	s_add_i32 s10, s8, 16
	s_cmp_le_u32 s9, s10
	s_cselect_b64 s[0:1], -1, 0
	s_and_b64 s[12:13], s[0:1], exec
	s_cselect_b32 s11, 8, 10
	s_or_b64 s[0:1], s[0:1], vcc
	s_xor_b64 s[12:13], s[0:1], -1
	v_mov_b32_e32 v4, s11
	s_and_saveexec_b64 s[0:1], s[12:13]
	s_cbranch_execz .LBB2277_288
; %bb.287:
	s_sub_i32 s11, s9, s10
	s_min_u32 s11, s11, 8
	v_lshrrev_b64 v[4:5], s10, v[2:3]
	v_bfe_u32 v4, v4, 0, s11
	v_lshlrev_b32_e32 v5, 2, v1
	v_lshl_or_b32 v4, v4, 4, v5
	v_mov_b32_e32 v5, 1
	ds_add_u32 v4, v5 offset:8192
	v_mov_b32_e32 v4, 0
.LBB2277_288:
	s_or_b64 exec, exec, s[0:1]
	v_cmp_gt_i32_e64 s[0:1], 10, v4
	s_mov_b64 s[10:11], -1
	s_and_saveexec_b64 s[12:13], s[0:1]
; %bb.289:
	v_cmp_eq_u32_e64 s[0:1], 0, v4
	s_orn2_b64 s[10:11], s[0:1], exec
; %bb.290:
	s_or_b64 exec, exec, s[12:13]
	s_and_b64 exec, exec, s[10:11]
	;; [unrolled: 33-line block ×6, first 2 shown]
	s_cbranch_execz .LBB2277_313
; %bb.311:
	s_add_i32 s0, s8, 56
	s_cmp_gt_u32 s9, s0
	s_cselect_b64 s[10:11], -1, 0
	s_xor_b64 s[12:13], vcc, -1
	s_and_b64 s[10:11], s[10:11], s[12:13]
	s_and_b64 exec, exec, s[10:11]
	s_cbranch_execz .LBB2277_313
; %bb.312:
	s_sub_i32 s1, s9, s0
	s_min_u32 s1, s1, 8
	v_lshrrev_b64 v[2:3], s0, v[2:3]
	v_bfe_u32 v2, v2, 0, s1
	v_lshlrev_b32_e32 v1, 2, v1
	v_lshl_or_b32 v1, v2, 4, v1
	v_mov_b32_e32 v2, 1
	ds_add_u32 v1, v2 offset:28672
.LBB2277_313:
	s_or_b64 exec, exec, s[4:5]
	s_cmp_gt_u32 s9, s8
	s_waitcnt lgkmcnt(0)
	s_barrier
	s_cbranch_scc0 .LBB2277_318
; %bb.314:
	s_movk_i32 s0, 0x100
	v_cmp_gt_u32_e32 vcc, s0, v0
	v_lshlrev_b32_e32 v1, 4, v0
	v_mov_b32_e32 v3, 0
	v_mov_b32_e32 v2, v0
	s_mov_b32 s10, s8
	s_branch .LBB2277_316
.LBB2277_315:                           ;   in Loop: Header=BB2277_316 Depth=1
	s_or_b64 exec, exec, s[4:5]
	s_add_i32 s10, s10, 8
	v_add_u32_e32 v2, 0x100, v2
	s_cmp_lt_u32 s10, s9
	v_add_u32_e32 v1, 0x1000, v1
	s_cbranch_scc0 .LBB2277_318
.LBB2277_316:                           ; =>This Inner Loop Header: Depth=1
	s_and_saveexec_b64 s[4:5], vcc
	s_cbranch_execz .LBB2277_315
; %bb.317:                              ;   in Loop: Header=BB2277_316 Depth=1
	ds_read2_b32 v[4:5], v1 offset1:1
	ds_read2_b32 v[6:7], v1 offset0:2 offset1:3
	v_lshlrev_b64 v[8:9], 3, v[2:3]
	v_mov_b32_e32 v10, s3
	s_waitcnt lgkmcnt(1)
	v_add_u32_e32 v4, v5, v4
	s_waitcnt lgkmcnt(0)
	v_add3_u32 v4, v4, v6, v7
	v_add_co_u32_e64 v6, s[0:1], s2, v8
	v_addc_co_u32_e64 v7, s[0:1], v10, v9, s[0:1]
	v_mov_b32_e32 v5, v3
	global_atomic_add_x2 v[6:7], v[4:5], off
	s_branch .LBB2277_315
.LBB2277_318:
	s_mov_b64 s[0:1], 0
.LBB2277_319:
	s_and_b64 vcc, exec, s[0:1]
	s_cbranch_vccz .LBB2277_411
; %bb.320:
	v_lshlrev_b32_e32 v24, 3, v0
	v_mov_b32_e32 v1, s7
	v_add_co_u32_e32 v16, vcc, s6, v24
	v_addc_co_u32_e32 v1, vcc, 0, v1, vcc
	v_add_co_u32_e32 v10, vcc, 0x2000, v16
	v_addc_co_u32_e32 v11, vcc, 0, v1, vcc
	;; [unrolled: 2-line block ×7, first 2 shown]
	v_add_co_u32_e32 v26, vcc, 0xe000, v16
	global_load_dwordx2 v[8:9], v24, s[6:7]
	global_load_dwordx2 v[4:5], v[10:11], off
	global_load_dwordx2 v[2:3], v[12:13], off
	;; [unrolled: 1-line block ×3, first 2 shown]
	v_addc_co_u32_e32 v27, vcc, 0, v1, vcc
	global_load_dwordx2 v[16:17], v[18:19], off
	global_load_dwordx2 v[12:13], v[20:21], off
	;; [unrolled: 1-line block ×4, first 2 shown]
	s_cmp_eq_u32 s8, 0
	s_cselect_b64 s[0:1], -1, 0
	s_cmp_eq_u32 s9, 64
	s_cselect_b64 s[4:5], -1, 0
	s_and_b64 s[4:5], s[0:1], s[4:5]
	s_mov_b64 s[0:1], -1
	s_and_b64 vcc, exec, s[4:5]
	v_lshlrev_b32_e32 v25, 2, v0
	s_cbranch_vccnz .LBB2277_408
; %bb.321:
	s_cmp_gt_u32 s9, s8
	s_cselect_b64 s[0:1], -1, 0
	v_mov_b32_e32 v1, 0
	s_and_b64 vcc, exec, s[0:1]
	ds_write2st64_b32 v25, v1, v1 offset1:16
	ds_write2st64_b32 v25, v1, v1 offset0:32 offset1:48
	ds_write2st64_b32 v25, v1, v1 offset0:64 offset1:80
	;; [unrolled: 1-line block ×3, first 2 shown]
	s_waitcnt lgkmcnt(0)
	s_barrier
	s_cbranch_vccz .LBB2277_402
; %bb.322:
	s_sub_i32 s4, s9, s8
	s_min_u32 s4, s4, 8
	s_waitcnt vmcnt(7)
	v_not_b32_e32 v21, v9
	v_not_b32_e32 v20, v8
	s_lshl_b32 s4, -1, s4
	v_and_b32_e32 v1, 3, v0
	s_not_b32 s12, s4
	v_lshrrev_b64 v[22:23], s8, v[20:21]
	v_and_b32_e32 v22, s12, v22
	v_lshlrev_b32_e32 v26, 2, v1
	v_lshl_or_b32 v22, v22, 4, v26
	v_mov_b32_e32 v23, 1
	ds_add_u32 v22, v23
	s_add_i32 s13, s8, 8
	s_cmp_le_u32 s9, s13
	s_waitcnt vmcnt(6)
	v_not_b32_e32 v19, v5
	v_not_b32_e32 v18, v4
	s_cselect_b64 s[4:5], -1, 0
	s_and_b64 vcc, exec, s[4:5]
	v_lshrrev_b64 v[22:23], s8, v[18:19]
	s_cbranch_vccz .LBB2277_324
; %bb.323:
	v_and_b32_e32 v23, s12, v22
	v_lshl_or_b32 v23, v23, 2, v1
	s_mov_b64 s[6:7], -1
	s_cbranch_execz .LBB2277_325
	s_branch .LBB2277_340
.LBB2277_324:
	s_mov_b64 s[6:7], 0
                                        ; implicit-def: $vgpr23
.LBB2277_325:
	s_sub_i32 s10, s9, s13
	s_min_u32 s10, s10, 8
	s_lshl_b32 s10, -1, s10
	s_not_b32 s15, s10
	v_lshrrev_b64 v[28:29], s13, v[20:21]
	v_and_b32_e32 v23, s15, v28
	v_lshl_or_b32 v27, v23, 4, v26
	v_mov_b32_e32 v23, 1
	ds_add_u32 v27, v23 offset:4096
	s_add_i32 s14, s8, 16
	s_cmp_gt_u32 s9, s14
	s_cselect_b64 s[10:11], -1, 0
	s_cmp_le_u32 s9, s14
	s_cbranch_scc1 .LBB2277_332
; %bb.326:
	s_sub_i32 s16, s9, s14
	s_min_u32 s16, s16, 8
	v_lshrrev_b64 v[28:29], s14, v[20:21]
	v_bfe_u32 v27, v28, 0, s16
	v_lshl_or_b32 v27, v27, 4, v26
	ds_add_u32 v27, v23 offset:8192
	s_add_i32 s16, s8, 24
	s_cmp_le_u32 s9, s16
	s_cbranch_scc1 .LBB2277_332
; %bb.327:
	s_sub_i32 s17, s9, s16
	s_min_u32 s17, s17, 8
	v_lshrrev_b64 v[28:29], s16, v[20:21]
	v_bfe_u32 v27, v28, 0, s17
	v_lshl_or_b32 v28, v27, 4, v26
	v_mov_b32_e32 v27, 1
	ds_add_u32 v28, v27 offset:12288
	s_add_i32 s16, s8, 32
	s_cmp_le_u32 s9, s16
	s_cbranch_scc1 .LBB2277_332
; %bb.328:
	s_sub_i32 s17, s9, s16
	s_min_u32 s17, s17, 8
	v_lshrrev_b64 v[28:29], s16, v[20:21]
	v_bfe_u32 v28, v28, 0, s17
	v_lshl_or_b32 v28, v28, 4, v26
	ds_add_u32 v28, v27 offset:16384
	s_add_i32 s16, s8, 40
	s_cmp_le_u32 s9, s16
	s_cbranch_scc1 .LBB2277_332
; %bb.329:
	s_sub_i32 s17, s9, s16
	s_min_u32 s17, s17, 8
	v_lshrrev_b64 v[28:29], s16, v[20:21]
	v_bfe_u32 v27, v28, 0, s17
	v_lshl_or_b32 v28, v27, 4, v26
	v_mov_b32_e32 v27, 1
	ds_add_u32 v28, v27 offset:20480
	s_add_i32 s16, s8, 48
	s_cmp_le_u32 s9, s16
	s_cbranch_scc1 .LBB2277_332
; %bb.330:
	s_sub_i32 s17, s9, s16
	s_min_u32 s17, s17, 8
	v_lshrrev_b64 v[28:29], s16, v[20:21]
	v_bfe_u32 v28, v28, 0, s17
	v_lshl_or_b32 v28, v28, 4, v26
	ds_add_u32 v28, v27 offset:24576
	s_add_i32 s16, s8, 56
	s_cmp_le_u32 s9, s16
	s_cbranch_scc1 .LBB2277_332
; %bb.331:
	s_sub_i32 s17, s9, s16
	s_min_u32 s17, s17, 8
	v_lshrrev_b64 v[20:21], s16, v[20:21]
	v_bfe_u32 v20, v20, 0, s17
	v_lshl_or_b32 v20, v20, 4, v26
	v_mov_b32_e32 v21, 1
	ds_add_u32 v20, v21 offset:28672
.LBB2277_332:
	v_and_b32_e32 v20, s12, v22
	v_lshl_or_b32 v20, v20, 4, v26
	ds_add_u32 v20, v23
	v_lshrrev_b64 v[20:21], s13, v[18:19]
	v_and_b32_e32 v20, s15, v20
	v_lshl_or_b32 v20, v20, 4, v26
	ds_add_u32 v20, v23 offset:4096
	s_andn2_b64 vcc, exec, s[10:11]
	s_cbranch_vccnz .LBB2277_339
; %bb.333:
	s_sub_i32 s10, s9, s14
	s_min_u32 s10, s10, 8
	v_lshrrev_b64 v[20:21], s14, v[18:19]
	v_bfe_u32 v20, v20, 0, s10
	v_lshl_or_b32 v21, v20, 4, v26
	v_mov_b32_e32 v20, 1
	ds_add_u32 v21, v20 offset:8192
	s_add_i32 s10, s8, 24
	s_cmp_gt_u32 s9, s10
	s_cbranch_scc0 .LBB2277_339
; %bb.334:
	s_sub_i32 s11, s9, s10
	s_min_u32 s11, s11, 8
	v_lshrrev_b64 v[22:23], s10, v[18:19]
	v_bfe_u32 v21, v22, 0, s11
	v_lshl_or_b32 v21, v21, 4, v26
	ds_add_u32 v21, v20 offset:12288
	s_add_i32 s10, s8, 32
	s_cmp_gt_u32 s9, s10
	s_cbranch_scc0 .LBB2277_339
; %bb.335:
	s_sub_i32 s11, s9, s10
	s_min_u32 s11, s11, 8
	v_lshrrev_b64 v[20:21], s10, v[18:19]
	v_bfe_u32 v20, v20, 0, s11
	v_lshl_or_b32 v21, v20, 4, v26
	v_mov_b32_e32 v20, 1
	ds_add_u32 v21, v20 offset:16384
	s_add_i32 s10, s8, 40
	s_cmp_gt_u32 s9, s10
	s_cbranch_scc0 .LBB2277_339
; %bb.336:
	s_sub_i32 s11, s9, s10
	s_min_u32 s11, s11, 8
	v_lshrrev_b64 v[22:23], s10, v[18:19]
	v_bfe_u32 v21, v22, 0, s11
	v_lshl_or_b32 v21, v21, 4, v26
	ds_add_u32 v21, v20 offset:20480
	s_add_i32 s10, s8, 48
	s_cmp_gt_u32 s9, s10
	s_cbranch_scc0 .LBB2277_339
; %bb.337:
	s_sub_i32 s11, s9, s10
	s_min_u32 s11, s11, 8
	v_lshrrev_b64 v[20:21], s10, v[18:19]
	v_bfe_u32 v20, v20, 0, s11
	v_lshl_or_b32 v20, v20, 4, v26
	v_mov_b32_e32 v21, 1
	ds_add_u32 v20, v21 offset:24576
	s_add_i32 s10, s8, 56
	s_cmp_gt_u32 s9, s10
	s_cbranch_scc0 .LBB2277_339
; %bb.338:
	s_sub_i32 s6, s9, s10
	s_min_u32 s6, s6, 8
	v_lshrrev_b64 v[18:19], s10, v[18:19]
	v_bfe_u32 v18, v18, 0, s6
	v_lshl_or_b32 v18, v18, 2, v1
	v_add_u32_e32 v23, 0x1c00, v18
	s_mov_b64 s[6:7], -1
	s_branch .LBB2277_340
.LBB2277_339:
                                        ; implicit-def: $vgpr23
.LBB2277_340:
	s_and_b64 vcc, exec, s[6:7]
	s_cbranch_vccz .LBB2277_342
; %bb.341:
	v_lshlrev_b32_e32 v18, 2, v23
	v_mov_b32_e32 v19, 1
	ds_add_u32 v18, v19
.LBB2277_342:
	s_waitcnt vmcnt(5)
	v_not_b32_e32 v21, v3
	v_not_b32_e32 v20, v2
	v_lshrrev_b64 v[22:23], s8, v[20:21]
	v_and_b32_e32 v22, s12, v22
	v_lshl_or_b32 v22, v22, 4, v26
	v_mov_b32_e32 v23, 1
	ds_add_u32 v22, v23
	s_waitcnt vmcnt(4)
	v_not_b32_e32 v19, v7
	v_not_b32_e32 v18, v6
	s_and_b64 vcc, exec, s[4:5]
	v_lshrrev_b64 v[22:23], s8, v[18:19]
	s_cbranch_vccz .LBB2277_344
; %bb.343:
	v_and_b32_e32 v23, s12, v22
	v_lshl_or_b32 v23, v23, 2, v1
	s_mov_b64 s[6:7], -1
	s_cbranch_execz .LBB2277_345
	s_branch .LBB2277_360
.LBB2277_344:
	s_mov_b64 s[6:7], 0
                                        ; implicit-def: $vgpr23
.LBB2277_345:
	s_sub_i32 s10, s9, s13
	s_min_u32 s10, s10, 8
	s_lshl_b32 s10, -1, s10
	s_not_b32 s15, s10
	v_lshrrev_b64 v[28:29], s13, v[20:21]
	v_and_b32_e32 v23, s15, v28
	v_lshl_or_b32 v27, v23, 4, v26
	v_mov_b32_e32 v23, 1
	ds_add_u32 v27, v23 offset:4096
	s_add_i32 s14, s8, 16
	s_cmp_gt_u32 s9, s14
	s_cselect_b64 s[10:11], -1, 0
	s_cmp_le_u32 s9, s14
	s_cbranch_scc1 .LBB2277_352
; %bb.346:
	s_sub_i32 s16, s9, s14
	s_min_u32 s16, s16, 8
	v_lshrrev_b64 v[28:29], s14, v[20:21]
	v_bfe_u32 v27, v28, 0, s16
	v_lshl_or_b32 v27, v27, 4, v26
	ds_add_u32 v27, v23 offset:8192
	s_add_i32 s16, s8, 24
	s_cmp_le_u32 s9, s16
	s_cbranch_scc1 .LBB2277_352
; %bb.347:
	s_sub_i32 s17, s9, s16
	s_min_u32 s17, s17, 8
	v_lshrrev_b64 v[28:29], s16, v[20:21]
	v_bfe_u32 v27, v28, 0, s17
	v_lshl_or_b32 v28, v27, 4, v26
	v_mov_b32_e32 v27, 1
	ds_add_u32 v28, v27 offset:12288
	s_add_i32 s16, s8, 32
	s_cmp_le_u32 s9, s16
	s_cbranch_scc1 .LBB2277_352
; %bb.348:
	s_sub_i32 s17, s9, s16
	s_min_u32 s17, s17, 8
	v_lshrrev_b64 v[28:29], s16, v[20:21]
	v_bfe_u32 v28, v28, 0, s17
	v_lshl_or_b32 v28, v28, 4, v26
	ds_add_u32 v28, v27 offset:16384
	s_add_i32 s16, s8, 40
	s_cmp_le_u32 s9, s16
	s_cbranch_scc1 .LBB2277_352
; %bb.349:
	s_sub_i32 s17, s9, s16
	s_min_u32 s17, s17, 8
	v_lshrrev_b64 v[28:29], s16, v[20:21]
	v_bfe_u32 v27, v28, 0, s17
	v_lshl_or_b32 v28, v27, 4, v26
	v_mov_b32_e32 v27, 1
	ds_add_u32 v28, v27 offset:20480
	s_add_i32 s16, s8, 48
	s_cmp_le_u32 s9, s16
	s_cbranch_scc1 .LBB2277_352
; %bb.350:
	s_sub_i32 s17, s9, s16
	s_min_u32 s17, s17, 8
	v_lshrrev_b64 v[28:29], s16, v[20:21]
	v_bfe_u32 v28, v28, 0, s17
	v_lshl_or_b32 v28, v28, 4, v26
	ds_add_u32 v28, v27 offset:24576
	s_add_i32 s16, s8, 56
	s_cmp_le_u32 s9, s16
	s_cbranch_scc1 .LBB2277_352
; %bb.351:
	s_sub_i32 s17, s9, s16
	s_min_u32 s17, s17, 8
	v_lshrrev_b64 v[20:21], s16, v[20:21]
	v_bfe_u32 v20, v20, 0, s17
	v_lshl_or_b32 v20, v20, 4, v26
	v_mov_b32_e32 v21, 1
	ds_add_u32 v20, v21 offset:28672
.LBB2277_352:
	v_and_b32_e32 v20, s12, v22
	v_lshl_or_b32 v20, v20, 4, v26
	ds_add_u32 v20, v23
	v_lshrrev_b64 v[20:21], s13, v[18:19]
	v_and_b32_e32 v20, s15, v20
	v_lshl_or_b32 v20, v20, 4, v26
	ds_add_u32 v20, v23 offset:4096
	s_andn2_b64 vcc, exec, s[10:11]
	s_cbranch_vccnz .LBB2277_359
; %bb.353:
	s_sub_i32 s10, s9, s14
	s_min_u32 s10, s10, 8
	v_lshrrev_b64 v[20:21], s14, v[18:19]
	v_bfe_u32 v20, v20, 0, s10
	v_lshl_or_b32 v21, v20, 4, v26
	v_mov_b32_e32 v20, 1
	ds_add_u32 v21, v20 offset:8192
	s_add_i32 s10, s8, 24
	s_cmp_gt_u32 s9, s10
	s_cbranch_scc0 .LBB2277_359
; %bb.354:
	s_sub_i32 s11, s9, s10
	s_min_u32 s11, s11, 8
	v_lshrrev_b64 v[22:23], s10, v[18:19]
	v_bfe_u32 v21, v22, 0, s11
	v_lshl_or_b32 v21, v21, 4, v26
	ds_add_u32 v21, v20 offset:12288
	s_add_i32 s10, s8, 32
	s_cmp_gt_u32 s9, s10
	s_cbranch_scc0 .LBB2277_359
; %bb.355:
	s_sub_i32 s11, s9, s10
	s_min_u32 s11, s11, 8
	v_lshrrev_b64 v[20:21], s10, v[18:19]
	v_bfe_u32 v20, v20, 0, s11
	v_lshl_or_b32 v21, v20, 4, v26
	v_mov_b32_e32 v20, 1
	ds_add_u32 v21, v20 offset:16384
	s_add_i32 s10, s8, 40
	s_cmp_gt_u32 s9, s10
	s_cbranch_scc0 .LBB2277_359
; %bb.356:
	s_sub_i32 s11, s9, s10
	s_min_u32 s11, s11, 8
	v_lshrrev_b64 v[22:23], s10, v[18:19]
	v_bfe_u32 v21, v22, 0, s11
	v_lshl_or_b32 v21, v21, 4, v26
	ds_add_u32 v21, v20 offset:20480
	s_add_i32 s10, s8, 48
	s_cmp_gt_u32 s9, s10
	s_cbranch_scc0 .LBB2277_359
; %bb.357:
	s_sub_i32 s11, s9, s10
	s_min_u32 s11, s11, 8
	v_lshrrev_b64 v[20:21], s10, v[18:19]
	v_bfe_u32 v20, v20, 0, s11
	v_lshl_or_b32 v20, v20, 4, v26
	v_mov_b32_e32 v21, 1
	ds_add_u32 v20, v21 offset:24576
	s_add_i32 s10, s8, 56
	s_cmp_gt_u32 s9, s10
	s_cbranch_scc0 .LBB2277_359
; %bb.358:
	s_sub_i32 s6, s9, s10
	s_min_u32 s6, s6, 8
	v_lshrrev_b64 v[18:19], s10, v[18:19]
	v_bfe_u32 v18, v18, 0, s6
	v_lshl_or_b32 v18, v18, 2, v1
	v_add_u32_e32 v23, 0x1c00, v18
	s_mov_b64 s[6:7], -1
	s_branch .LBB2277_360
.LBB2277_359:
                                        ; implicit-def: $vgpr23
.LBB2277_360:
	s_and_b64 vcc, exec, s[6:7]
	s_cbranch_vccz .LBB2277_362
; %bb.361:
	v_lshlrev_b32_e32 v18, 2, v23
	v_mov_b32_e32 v19, 1
	ds_add_u32 v18, v19
.LBB2277_362:
	s_waitcnt vmcnt(3)
	v_not_b32_e32 v21, v17
	v_not_b32_e32 v20, v16
	v_lshrrev_b64 v[22:23], s8, v[20:21]
	v_and_b32_e32 v22, s12, v22
	v_lshl_or_b32 v22, v22, 4, v26
	v_mov_b32_e32 v23, 1
	ds_add_u32 v22, v23
	s_waitcnt vmcnt(2)
	v_not_b32_e32 v19, v13
	v_not_b32_e32 v18, v12
	s_and_b64 vcc, exec, s[4:5]
	v_lshrrev_b64 v[22:23], s8, v[18:19]
	s_cbranch_vccz .LBB2277_364
; %bb.363:
	v_and_b32_e32 v23, s12, v22
	v_lshl_or_b32 v23, v23, 2, v1
	s_mov_b64 s[6:7], -1
	s_cbranch_execz .LBB2277_365
	s_branch .LBB2277_380
.LBB2277_364:
	s_mov_b64 s[6:7], 0
                                        ; implicit-def: $vgpr23
.LBB2277_365:
	s_sub_i32 s10, s9, s13
	s_min_u32 s10, s10, 8
	s_lshl_b32 s10, -1, s10
	s_not_b32 s15, s10
	v_lshrrev_b64 v[28:29], s13, v[20:21]
	v_and_b32_e32 v23, s15, v28
	v_lshl_or_b32 v27, v23, 4, v26
	v_mov_b32_e32 v23, 1
	ds_add_u32 v27, v23 offset:4096
	s_add_i32 s14, s8, 16
	s_cmp_gt_u32 s9, s14
	s_cselect_b64 s[10:11], -1, 0
	s_cmp_le_u32 s9, s14
	s_cbranch_scc1 .LBB2277_372
; %bb.366:
	s_sub_i32 s16, s9, s14
	s_min_u32 s16, s16, 8
	v_lshrrev_b64 v[28:29], s14, v[20:21]
	v_bfe_u32 v27, v28, 0, s16
	v_lshl_or_b32 v27, v27, 4, v26
	ds_add_u32 v27, v23 offset:8192
	s_add_i32 s16, s8, 24
	s_cmp_le_u32 s9, s16
	s_cbranch_scc1 .LBB2277_372
; %bb.367:
	s_sub_i32 s17, s9, s16
	s_min_u32 s17, s17, 8
	v_lshrrev_b64 v[28:29], s16, v[20:21]
	v_bfe_u32 v27, v28, 0, s17
	v_lshl_or_b32 v28, v27, 4, v26
	v_mov_b32_e32 v27, 1
	ds_add_u32 v28, v27 offset:12288
	s_add_i32 s16, s8, 32
	s_cmp_le_u32 s9, s16
	s_cbranch_scc1 .LBB2277_372
; %bb.368:
	s_sub_i32 s17, s9, s16
	s_min_u32 s17, s17, 8
	v_lshrrev_b64 v[28:29], s16, v[20:21]
	v_bfe_u32 v28, v28, 0, s17
	v_lshl_or_b32 v28, v28, 4, v26
	ds_add_u32 v28, v27 offset:16384
	s_add_i32 s16, s8, 40
	s_cmp_le_u32 s9, s16
	s_cbranch_scc1 .LBB2277_372
; %bb.369:
	s_sub_i32 s17, s9, s16
	s_min_u32 s17, s17, 8
	v_lshrrev_b64 v[28:29], s16, v[20:21]
	v_bfe_u32 v27, v28, 0, s17
	v_lshl_or_b32 v28, v27, 4, v26
	v_mov_b32_e32 v27, 1
	ds_add_u32 v28, v27 offset:20480
	s_add_i32 s16, s8, 48
	s_cmp_le_u32 s9, s16
	s_cbranch_scc1 .LBB2277_372
; %bb.370:
	s_sub_i32 s17, s9, s16
	s_min_u32 s17, s17, 8
	v_lshrrev_b64 v[28:29], s16, v[20:21]
	v_bfe_u32 v28, v28, 0, s17
	v_lshl_or_b32 v28, v28, 4, v26
	ds_add_u32 v28, v27 offset:24576
	s_add_i32 s16, s8, 56
	s_cmp_le_u32 s9, s16
	s_cbranch_scc1 .LBB2277_372
; %bb.371:
	s_sub_i32 s17, s9, s16
	s_min_u32 s17, s17, 8
	v_lshrrev_b64 v[20:21], s16, v[20:21]
	v_bfe_u32 v20, v20, 0, s17
	v_lshl_or_b32 v20, v20, 4, v26
	v_mov_b32_e32 v21, 1
	ds_add_u32 v20, v21 offset:28672
.LBB2277_372:
	v_and_b32_e32 v20, s12, v22
	v_lshl_or_b32 v20, v20, 4, v26
	ds_add_u32 v20, v23
	v_lshrrev_b64 v[20:21], s13, v[18:19]
	v_and_b32_e32 v20, s15, v20
	v_lshl_or_b32 v20, v20, 4, v26
	ds_add_u32 v20, v23 offset:4096
	s_andn2_b64 vcc, exec, s[10:11]
	s_cbranch_vccnz .LBB2277_379
; %bb.373:
	s_sub_i32 s10, s9, s14
	s_min_u32 s10, s10, 8
	v_lshrrev_b64 v[20:21], s14, v[18:19]
	v_bfe_u32 v20, v20, 0, s10
	v_lshl_or_b32 v21, v20, 4, v26
	v_mov_b32_e32 v20, 1
	ds_add_u32 v21, v20 offset:8192
	s_add_i32 s10, s8, 24
	s_cmp_gt_u32 s9, s10
	s_cbranch_scc0 .LBB2277_379
; %bb.374:
	s_sub_i32 s11, s9, s10
	s_min_u32 s11, s11, 8
	v_lshrrev_b64 v[22:23], s10, v[18:19]
	v_bfe_u32 v21, v22, 0, s11
	v_lshl_or_b32 v21, v21, 4, v26
	ds_add_u32 v21, v20 offset:12288
	s_add_i32 s10, s8, 32
	s_cmp_gt_u32 s9, s10
	s_cbranch_scc0 .LBB2277_379
; %bb.375:
	s_sub_i32 s11, s9, s10
	s_min_u32 s11, s11, 8
	v_lshrrev_b64 v[20:21], s10, v[18:19]
	v_bfe_u32 v20, v20, 0, s11
	v_lshl_or_b32 v21, v20, 4, v26
	v_mov_b32_e32 v20, 1
	ds_add_u32 v21, v20 offset:16384
	s_add_i32 s10, s8, 40
	s_cmp_gt_u32 s9, s10
	s_cbranch_scc0 .LBB2277_379
; %bb.376:
	s_sub_i32 s11, s9, s10
	s_min_u32 s11, s11, 8
	v_lshrrev_b64 v[22:23], s10, v[18:19]
	v_bfe_u32 v21, v22, 0, s11
	v_lshl_or_b32 v21, v21, 4, v26
	ds_add_u32 v21, v20 offset:20480
	s_add_i32 s10, s8, 48
	s_cmp_gt_u32 s9, s10
	s_cbranch_scc0 .LBB2277_379
; %bb.377:
	s_sub_i32 s11, s9, s10
	s_min_u32 s11, s11, 8
	v_lshrrev_b64 v[20:21], s10, v[18:19]
	v_bfe_u32 v20, v20, 0, s11
	v_lshl_or_b32 v20, v20, 4, v26
	v_mov_b32_e32 v21, 1
	ds_add_u32 v20, v21 offset:24576
	s_add_i32 s10, s8, 56
	s_cmp_gt_u32 s9, s10
	s_cbranch_scc0 .LBB2277_379
; %bb.378:
	s_sub_i32 s6, s9, s10
	s_min_u32 s6, s6, 8
	v_lshrrev_b64 v[18:19], s10, v[18:19]
	v_bfe_u32 v18, v18, 0, s6
	v_lshl_or_b32 v18, v18, 2, v1
	v_add_u32_e32 v23, 0x1c00, v18
	s_mov_b64 s[6:7], -1
	s_branch .LBB2277_380
.LBB2277_379:
                                        ; implicit-def: $vgpr23
.LBB2277_380:
	s_and_b64 vcc, exec, s[6:7]
	s_cbranch_vccz .LBB2277_382
; %bb.381:
	v_lshlrev_b32_e32 v18, 2, v23
	v_mov_b32_e32 v19, 1
	ds_add_u32 v18, v19
.LBB2277_382:
	s_waitcnt vmcnt(1)
	v_not_b32_e32 v21, v11
	v_not_b32_e32 v20, v10
	v_lshrrev_b64 v[22:23], s8, v[20:21]
	v_and_b32_e32 v22, s12, v22
	v_lshl_or_b32 v22, v22, 4, v26
	v_mov_b32_e32 v23, 1
	ds_add_u32 v22, v23
	s_waitcnt vmcnt(0)
	v_not_b32_e32 v19, v15
	v_not_b32_e32 v18, v14
	s_and_b64 vcc, exec, s[4:5]
	v_lshrrev_b64 v[22:23], s8, v[18:19]
	s_cbranch_vccz .LBB2277_384
; %bb.383:
	v_and_b32_e32 v23, s12, v22
	v_lshl_or_b32 v23, v23, 2, v1
	s_mov_b64 s[4:5], -1
	s_cbranch_execz .LBB2277_385
	s_branch .LBB2277_400
.LBB2277_384:
	s_mov_b64 s[4:5], 0
                                        ; implicit-def: $vgpr23
.LBB2277_385:
	s_sub_i32 s6, s9, s13
	s_min_u32 s6, s6, 8
	s_lshl_b32 s6, -1, s6
	s_not_b32 s11, s6
	v_lshrrev_b64 v[28:29], s13, v[20:21]
	v_and_b32_e32 v23, s11, v28
	v_lshl_or_b32 v27, v23, 4, v26
	v_mov_b32_e32 v23, 1
	ds_add_u32 v27, v23 offset:4096
	s_add_i32 s10, s8, 16
	s_cmp_gt_u32 s9, s10
	s_cselect_b64 s[6:7], -1, 0
	s_cmp_le_u32 s9, s10
	s_cbranch_scc1 .LBB2277_392
; %bb.386:
	s_sub_i32 s14, s9, s10
	s_min_u32 s14, s14, 8
	v_lshrrev_b64 v[28:29], s10, v[20:21]
	v_bfe_u32 v27, v28, 0, s14
	v_lshl_or_b32 v27, v27, 4, v26
	ds_add_u32 v27, v23 offset:8192
	s_add_i32 s14, s8, 24
	s_cmp_le_u32 s9, s14
	s_cbranch_scc1 .LBB2277_392
; %bb.387:
	s_sub_i32 s15, s9, s14
	s_min_u32 s15, s15, 8
	v_lshrrev_b64 v[28:29], s14, v[20:21]
	v_bfe_u32 v27, v28, 0, s15
	v_lshl_or_b32 v28, v27, 4, v26
	v_mov_b32_e32 v27, 1
	ds_add_u32 v28, v27 offset:12288
	s_add_i32 s14, s8, 32
	s_cmp_le_u32 s9, s14
	s_cbranch_scc1 .LBB2277_392
; %bb.388:
	s_sub_i32 s15, s9, s14
	s_min_u32 s15, s15, 8
	v_lshrrev_b64 v[28:29], s14, v[20:21]
	v_bfe_u32 v28, v28, 0, s15
	v_lshl_or_b32 v28, v28, 4, v26
	ds_add_u32 v28, v27 offset:16384
	s_add_i32 s14, s8, 40
	s_cmp_le_u32 s9, s14
	s_cbranch_scc1 .LBB2277_392
; %bb.389:
	s_sub_i32 s15, s9, s14
	s_min_u32 s15, s15, 8
	v_lshrrev_b64 v[28:29], s14, v[20:21]
	v_bfe_u32 v27, v28, 0, s15
	v_lshl_or_b32 v28, v27, 4, v26
	v_mov_b32_e32 v27, 1
	ds_add_u32 v28, v27 offset:20480
	s_add_i32 s14, s8, 48
	s_cmp_le_u32 s9, s14
	s_cbranch_scc1 .LBB2277_392
; %bb.390:
	s_sub_i32 s15, s9, s14
	s_min_u32 s15, s15, 8
	v_lshrrev_b64 v[28:29], s14, v[20:21]
	v_bfe_u32 v28, v28, 0, s15
	v_lshl_or_b32 v28, v28, 4, v26
	ds_add_u32 v28, v27 offset:24576
	s_add_i32 s14, s8, 56
	s_cmp_le_u32 s9, s14
	s_cbranch_scc1 .LBB2277_392
; %bb.391:
	s_sub_i32 s15, s9, s14
	s_min_u32 s15, s15, 8
	v_lshrrev_b64 v[20:21], s14, v[20:21]
	v_bfe_u32 v20, v20, 0, s15
	v_lshl_or_b32 v20, v20, 4, v26
	v_mov_b32_e32 v21, 1
	ds_add_u32 v20, v21 offset:28672
.LBB2277_392:
	v_and_b32_e32 v20, s12, v22
	v_lshl_or_b32 v20, v20, 4, v26
	ds_add_u32 v20, v23
	v_lshrrev_b64 v[20:21], s13, v[18:19]
	v_and_b32_e32 v20, s11, v20
	v_lshl_or_b32 v20, v20, 4, v26
	ds_add_u32 v20, v23 offset:4096
	s_andn2_b64 vcc, exec, s[6:7]
	s_cbranch_vccnz .LBB2277_399
; %bb.393:
	s_sub_i32 s6, s9, s10
	s_min_u32 s6, s6, 8
	v_lshrrev_b64 v[20:21], s10, v[18:19]
	v_bfe_u32 v20, v20, 0, s6
	v_lshl_or_b32 v21, v20, 4, v26
	v_mov_b32_e32 v20, 1
	ds_add_u32 v21, v20 offset:8192
	s_add_i32 s6, s8, 24
	s_cmp_gt_u32 s9, s6
	s_cbranch_scc0 .LBB2277_399
; %bb.394:
	s_sub_i32 s7, s9, s6
	s_min_u32 s7, s7, 8
	v_lshrrev_b64 v[22:23], s6, v[18:19]
	v_bfe_u32 v21, v22, 0, s7
	v_lshl_or_b32 v21, v21, 4, v26
	ds_add_u32 v21, v20 offset:12288
	s_add_i32 s6, s8, 32
	s_cmp_gt_u32 s9, s6
	s_cbranch_scc0 .LBB2277_399
; %bb.395:
	s_sub_i32 s7, s9, s6
	s_min_u32 s7, s7, 8
	v_lshrrev_b64 v[20:21], s6, v[18:19]
	v_bfe_u32 v20, v20, 0, s7
	v_lshl_or_b32 v21, v20, 4, v26
	v_mov_b32_e32 v20, 1
	ds_add_u32 v21, v20 offset:16384
	s_add_i32 s6, s8, 40
	s_cmp_gt_u32 s9, s6
	s_cbranch_scc0 .LBB2277_399
; %bb.396:
	s_sub_i32 s7, s9, s6
	s_min_u32 s7, s7, 8
	v_lshrrev_b64 v[22:23], s6, v[18:19]
	v_bfe_u32 v21, v22, 0, s7
	v_lshl_or_b32 v21, v21, 4, v26
	ds_add_u32 v21, v20 offset:20480
	s_add_i32 s6, s8, 48
	s_cmp_gt_u32 s9, s6
	s_cbranch_scc0 .LBB2277_399
; %bb.397:
	s_sub_i32 s7, s9, s6
	s_min_u32 s7, s7, 8
	v_lshrrev_b64 v[20:21], s6, v[18:19]
	v_bfe_u32 v20, v20, 0, s7
	v_lshl_or_b32 v20, v20, 4, v26
	v_mov_b32_e32 v21, 1
	ds_add_u32 v20, v21 offset:24576
	s_add_i32 s6, s8, 56
	s_cmp_gt_u32 s9, s6
	s_cbranch_scc0 .LBB2277_399
; %bb.398:
	s_sub_i32 s4, s9, s6
	s_min_u32 s4, s4, 8
	v_lshrrev_b64 v[18:19], s6, v[18:19]
	v_bfe_u32 v18, v18, 0, s4
	v_lshl_or_b32 v1, v18, 2, v1
	v_add_u32_e32 v23, 0x1c00, v1
	s_mov_b64 s[4:5], -1
	s_branch .LBB2277_400
.LBB2277_399:
                                        ; implicit-def: $vgpr23
.LBB2277_400:
	s_and_b64 vcc, exec, s[4:5]
	s_cbranch_vccz .LBB2277_402
; %bb.401:
	v_lshlrev_b32_e32 v1, 2, v23
	v_mov_b32_e32 v18, 1
	ds_add_u32 v1, v18
.LBB2277_402:
	s_and_b64 vcc, exec, s[0:1]
	s_waitcnt lgkmcnt(0)
	s_barrier
	s_cbranch_vccz .LBB2277_407
; %bb.403:
	s_movk_i32 s0, 0x100
	v_cmp_gt_u32_e32 vcc, s0, v0
	v_lshlrev_b32_e32 v1, 4, v0
	v_mov_b32_e32 v19, 0
	v_mov_b32_e32 v18, v0
	s_branch .LBB2277_405
.LBB2277_404:                           ;   in Loop: Header=BB2277_405 Depth=1
	s_or_b64 exec, exec, s[4:5]
	s_add_i32 s8, s8, 8
	v_add_u32_e32 v18, 0x100, v18
	s_cmp_ge_u32 s8, s9
	v_add_u32_e32 v1, 0x1000, v1
	s_cbranch_scc1 .LBB2277_407
.LBB2277_405:                           ; =>This Inner Loop Header: Depth=1
	s_and_saveexec_b64 s[4:5], vcc
	s_cbranch_execz .LBB2277_404
; %bb.406:                              ;   in Loop: Header=BB2277_405 Depth=1
	ds_read2_b32 v[20:21], v1 offset1:1
	ds_read2_b32 v[22:23], v1 offset0:2 offset1:3
	v_lshlrev_b64 v[26:27], 3, v[18:19]
	v_mov_b32_e32 v28, s3
	s_waitcnt lgkmcnt(1)
	v_add_u32_e32 v20, v21, v20
	s_waitcnt lgkmcnt(0)
	v_add3_u32 v20, v20, v22, v23
	v_add_co_u32_e64 v22, s[0:1], s2, v26
	v_addc_co_u32_e64 v23, s[0:1], v28, v27, s[0:1]
	v_mov_b32_e32 v21, v19
	global_atomic_add_x2 v[22:23], v[20:21], off
	s_branch .LBB2277_404
.LBB2277_407:
	s_mov_b64 s[0:1], 0
.LBB2277_408:
	s_and_b64 vcc, exec, s[0:1]
	s_cbranch_vccz .LBB2277_411
; %bb.409:
	s_waitcnt vmcnt(7)
	v_not_b32_e32 v8, v8
	s_waitcnt vmcnt(5)
	v_not_b32_e32 v18, v2
	;; [unrolled: 2-line block ×3, first 2 shown]
	v_and_b32_e32 v15, 3, v0
	v_lshlrev_b32_e32 v19, 2, v8
	s_movk_i32 s0, 0x3fc
	v_and_or_b32 v19, v19, s0, v15
	v_mov_b32_e32 v1, 0
	v_lshlrev_b32_e32 v19, 2, v19
	v_mov_b32_e32 v20, 1
	ds_write2st64_b32 v25, v1, v1 offset1:16
	ds_write2st64_b32 v25, v1, v1 offset0:32 offset1:48
	ds_write2st64_b32 v25, v1, v1 offset0:64 offset1:80
	ds_write2st64_b32 v25, v1, v1 offset0:96 offset1:112
	s_waitcnt lgkmcnt(0)
	s_barrier
	ds_add_u32 v19, v20
	v_bfe_u32 v19, v8, 8, 8
	v_lshl_or_b32 v19, v19, 2, v15
	v_lshlrev_b32_e32 v19, 2, v19
	ds_add_u32 v19, v20 offset:4096
	v_bfe_u32 v19, v8, 16, 8
	v_lshl_or_b32 v19, v19, 2, v15
	v_lshlrev_b32_e32 v19, 2, v19
	v_not_b32_e32 v9, v9
	ds_add_u32 v19, v20 offset:8192
	v_lshrrev_b32_e32 v19, 24, v8
	v_lshl_or_b32 v19, v19, 2, v15
	v_alignbit_b32 v8, v9, v8, 30
	v_lshlrev_b32_e32 v19, 2, v19
	v_and_or_b32 v8, v8, s0, v15
	ds_add_u32 v19, v20 offset:12288
	v_lshlrev_b32_e32 v8, 2, v8
	ds_add_u32 v8, v20 offset:16384
	v_bfe_u32 v8, v9, 8, 8
	v_lshl_or_b32 v8, v8, 2, v15
	v_lshlrev_b32_e32 v8, 2, v8
	ds_add_u32 v8, v20 offset:20480
	v_bfe_u32 v8, v9, 16, 8
	v_lshl_or_b32 v8, v8, 2, v15
	v_lshlrev_b32_e32 v8, 2, v8
	ds_add_u32 v8, v20 offset:24576
	v_lshrrev_b32_e32 v8, 24, v9
	v_lshl_or_b32 v8, v8, 2, v15
	v_not_b32_e32 v4, v4
	v_lshlrev_b32_e32 v8, 2, v8
	ds_add_u32 v8, v20 offset:28672
	v_lshlrev_b32_e32 v8, 2, v4
	v_and_or_b32 v8, v8, s0, v15
	v_lshlrev_b32_e32 v8, 2, v8
	ds_add_u32 v8, v20
	v_bfe_u32 v8, v4, 8, 8
	v_lshl_or_b32 v8, v8, 2, v15
	v_lshlrev_b32_e32 v8, 2, v8
	ds_add_u32 v8, v20 offset:4096
	v_bfe_u32 v8, v4, 16, 8
	v_lshl_or_b32 v8, v8, 2, v15
	v_lshlrev_b32_e32 v8, 2, v8
	v_not_b32_e32 v5, v5
	ds_add_u32 v8, v20 offset:8192
	v_lshrrev_b32_e32 v8, 24, v4
	v_lshl_or_b32 v8, v8, 2, v15
	v_alignbit_b32 v4, v5, v4, 30
	v_lshlrev_b32_e32 v8, 2, v8
	v_and_or_b32 v4, v4, s0, v15
	ds_add_u32 v8, v20 offset:12288
	v_lshlrev_b32_e32 v4, 2, v4
	ds_add_u32 v4, v20 offset:16384
	v_bfe_u32 v4, v5, 8, 8
	v_lshl_or_b32 v4, v4, 2, v15
	v_lshlrev_b32_e32 v4, 2, v4
	ds_add_u32 v4, v20 offset:20480
	v_bfe_u32 v4, v5, 16, 8
	v_lshl_or_b32 v4, v4, 2, v15
	v_lshlrev_b32_e32 v4, 2, v4
	ds_add_u32 v4, v20 offset:24576
	v_lshrrev_b32_e32 v4, 24, v5
	v_lshl_or_b32 v4, v4, 2, v15
	v_lshlrev_b32_e32 v4, 2, v4
	ds_add_u32 v4, v20 offset:28672
	v_lshlrev_b32_e32 v4, 2, v18
	v_and_or_b32 v4, v4, s0, v15
	v_lshlrev_b32_e32 v4, 2, v4
	ds_add_u32 v4, v20
	v_bfe_u32 v4, v18, 8, 8
	v_lshl_or_b32 v4, v4, 2, v15
	v_lshlrev_b32_e32 v4, 2, v4
	ds_add_u32 v4, v20 offset:4096
	v_bfe_u32 v4, v18, 16, 8
	v_lshl_or_b32 v4, v4, 2, v15
	v_lshlrev_b32_e32 v4, 2, v4
	ds_add_u32 v4, v20 offset:8192
	v_lshrrev_b32_e32 v4, 24, v18
	v_lshl_or_b32 v4, v4, 2, v15
	v_not_b32_e32 v3, v3
	v_lshlrev_b32_e32 v4, 2, v4
	ds_add_u32 v4, v20 offset:12288
	v_alignbit_b32 v4, v3, v18, 30
	v_and_or_b32 v4, v4, s0, v15
	v_lshlrev_b32_e32 v4, 2, v4
	ds_add_u32 v4, v20 offset:16384
	v_bfe_u32 v4, v3, 8, 8
	v_lshl_or_b32 v4, v4, 2, v15
	v_lshlrev_b32_e32 v4, 2, v4
	ds_add_u32 v4, v20 offset:20480
	v_bfe_u32 v4, v3, 16, 8
	v_lshl_or_b32 v4, v4, 2, v15
	v_lshrrev_b32_e32 v3, 24, v3
	v_lshlrev_b32_e32 v4, 2, v4
	v_lshl_or_b32 v3, v3, 2, v15
	v_not_b32_e32 v6, v6
	ds_add_u32 v4, v20 offset:24576
	v_lshlrev_b32_e32 v3, 2, v3
	ds_add_u32 v3, v20 offset:28672
	v_lshlrev_b32_e32 v3, 2, v6
	v_and_or_b32 v3, v3, s0, v15
	v_lshlrev_b32_e32 v3, 2, v3
	ds_add_u32 v3, v20
	v_bfe_u32 v3, v6, 8, 8
	v_lshl_or_b32 v3, v3, 2, v15
	v_lshlrev_b32_e32 v3, 2, v3
	ds_add_u32 v3, v20 offset:4096
	v_bfe_u32 v3, v6, 16, 8
	v_lshl_or_b32 v3, v3, 2, v15
	v_lshlrev_b32_e32 v3, 2, v3
	ds_add_u32 v3, v20 offset:8192
	v_lshrrev_b32_e32 v3, 24, v6
	v_lshl_or_b32 v3, v3, 2, v15
	v_not_b32_e32 v7, v7
	v_lshlrev_b32_e32 v3, 2, v3
	ds_add_u32 v3, v20 offset:12288
	v_alignbit_b32 v3, v7, v6, 30
	v_and_or_b32 v3, v3, s0, v15
	v_lshlrev_b32_e32 v3, 2, v3
	ds_add_u32 v3, v20 offset:16384
	v_bfe_u32 v3, v7, 8, 8
	v_lshl_or_b32 v3, v3, 2, v15
	v_lshlrev_b32_e32 v3, 2, v3
	ds_add_u32 v3, v20 offset:20480
	v_bfe_u32 v3, v7, 16, 8
	v_lshl_or_b32 v3, v3, 2, v15
	v_lshlrev_b32_e32 v3, 2, v3
	ds_add_u32 v3, v20 offset:24576
	v_lshrrev_b32_e32 v3, 24, v7
	v_lshl_or_b32 v3, v3, 2, v15
	v_not_b32_e32 v16, v16
	v_lshlrev_b32_e32 v3, 2, v3
	ds_add_u32 v3, v20 offset:28672
	v_lshlrev_b32_e32 v3, 2, v16
	v_and_or_b32 v3, v3, s0, v15
	v_lshlrev_b32_e32 v3, 2, v3
	ds_add_u32 v3, v20
	v_bfe_u32 v3, v16, 8, 8
	v_lshl_or_b32 v3, v3, 2, v15
	v_lshlrev_b32_e32 v3, 2, v3
	ds_add_u32 v3, v20 offset:4096
	v_bfe_u32 v3, v16, 16, 8
	v_lshl_or_b32 v3, v3, 2, v15
	v_lshlrev_b32_e32 v3, 2, v3
	ds_add_u32 v3, v20 offset:8192
	v_lshrrev_b32_e32 v3, 24, v16
	v_lshl_or_b32 v3, v3, 2, v15
	v_not_b32_e32 v17, v17
	v_lshlrev_b32_e32 v3, 2, v3
	ds_add_u32 v3, v20 offset:12288
	v_alignbit_b32 v3, v17, v16, 30
	v_and_or_b32 v3, v3, s0, v15
	v_lshlrev_b32_e32 v3, 2, v3
	ds_add_u32 v3, v20 offset:16384
	v_bfe_u32 v3, v17, 8, 8
	v_lshl_or_b32 v3, v3, 2, v15
	v_lshlrev_b32_e32 v3, 2, v3
	ds_add_u32 v3, v20 offset:20480
	v_bfe_u32 v3, v17, 16, 8
	v_lshl_or_b32 v3, v3, 2, v15
	v_lshlrev_b32_e32 v3, 2, v3
	ds_add_u32 v3, v20 offset:24576
	v_lshrrev_b32_e32 v3, 24, v17
	v_lshl_or_b32 v3, v3, 2, v15
	v_not_b32_e32 v12, v12
	;; [unrolled: 34-line block ×4, first 2 shown]
	v_lshlrev_b32_e32 v3, 2, v3
	ds_add_u32 v3, v20 offset:28672
	v_lshlrev_b32_e32 v3, 2, v14
	v_and_or_b32 v3, v3, s0, v15
	v_lshlrev_b32_e32 v3, 2, v3
	ds_add_u32 v3, v20
	v_bfe_u32 v3, v14, 8, 8
	v_lshl_or_b32 v3, v3, 2, v15
	v_lshlrev_b32_e32 v3, 2, v3
	ds_add_u32 v3, v20 offset:4096
	v_bfe_u32 v3, v14, 16, 8
	v_lshl_or_b32 v3, v3, 2, v15
	v_lshlrev_b32_e32 v3, 2, v3
	ds_add_u32 v3, v20 offset:8192
	v_lshrrev_b32_e32 v3, 24, v14
	v_lshl_or_b32 v3, v3, 2, v15
	v_lshlrev_b32_e32 v3, 2, v3
	ds_add_u32 v3, v20 offset:12288
	v_alignbit_b32 v3, v2, v14, 30
	v_and_or_b32 v3, v3, s0, v15
	v_lshlrev_b32_e32 v3, 2, v3
	ds_add_u32 v3, v20 offset:16384
	v_bfe_u32 v3, v2, 8, 8
	v_lshl_or_b32 v3, v3, 2, v15
	v_lshlrev_b32_e32 v3, 2, v3
	ds_add_u32 v3, v20 offset:20480
	v_bfe_u32 v3, v2, 16, 8
	v_lshl_or_b32 v3, v3, 2, v15
	v_lshrrev_b32_e32 v2, 24, v2
	v_lshlrev_b32_e32 v3, 2, v3
	v_lshl_or_b32 v2, v2, 2, v15
	ds_add_u32 v3, v20 offset:24576
	v_lshlrev_b32_e32 v2, 2, v2
	ds_add_u32 v2, v20 offset:28672
	s_movk_i32 s0, 0x100
	v_cmp_gt_u32_e32 vcc, s0, v0
	s_waitcnt lgkmcnt(0)
	s_barrier
	s_and_saveexec_b64 s[0:1], vcc
	s_cbranch_execz .LBB2277_411
; %bb.410:
	v_lshlrev_b32_e32 v6, 4, v0
	ds_read2_b32 v[2:3], v6 offset1:1
	ds_read2_b32 v[4:5], v6 offset0:2 offset1:3
	v_add_u32_e32 v7, 0x1000, v6
	v_add_u32_e32 v8, 0x1008, v6
	;; [unrolled: 1-line block ×3, first 2 shown]
	s_waitcnt lgkmcnt(1)
	v_add_u32_e32 v0, v3, v2
	s_waitcnt lgkmcnt(0)
	v_add3_u32 v0, v0, v4, v5
	global_atomic_add_x2 v24, v[0:1], s[2:3]
	ds_read2_b32 v[2:3], v7 offset1:1
	ds_read2_b32 v[4:5], v8 offset1:1
	v_add_u32_e32 v7, 0x2000, v6
	v_add_u32_e32 v8, 0x2008, v6
	s_waitcnt lgkmcnt(1)
	v_add_u32_e32 v0, v3, v2
	s_waitcnt lgkmcnt(0)
	v_add3_u32 v0, v0, v4, v5
	global_atomic_add_x2 v24, v[0:1], s[2:3] offset:2048
	ds_read2_b32 v[2:3], v7 offset1:1
	ds_read2_b32 v[4:5], v8 offset1:1
	v_or_b32_e32 v7, 0x1000, v24
	v_add_u32_e32 v8, 0x3000, v6
	s_waitcnt lgkmcnt(1)
	v_add_u32_e32 v0, v3, v2
	s_waitcnt lgkmcnt(0)
	v_add3_u32 v0, v0, v4, v5
	global_atomic_add_x2 v7, v[0:1], s[2:3]
	ds_read2_b32 v[2:3], v8 offset1:1
	ds_read2_b32 v[4:5], v9 offset1:1
	v_or_b32_e32 v7, 0x1800, v24
	v_or_b32_e32 v8, 0x4000, v6
	;; [unrolled: 1-line block ×3, first 2 shown]
	s_waitcnt lgkmcnt(1)
	v_add_u32_e32 v0, v3, v2
	s_waitcnt lgkmcnt(0)
	v_add3_u32 v0, v0, v4, v5
	global_atomic_add_x2 v7, v[0:1], s[2:3]
	ds_read2_b32 v[2:3], v8 offset1:1
	ds_read2_b32 v[4:5], v9 offset1:1
	v_or_b32_e32 v7, 0x2000, v24
	v_add_u32_e32 v8, 0x5000, v6
	v_add_u32_e32 v9, 0x5008, v6
	s_waitcnt lgkmcnt(1)
	v_add_u32_e32 v0, v3, v2
	s_waitcnt lgkmcnt(0)
	v_add3_u32 v0, v0, v4, v5
	global_atomic_add_x2 v7, v[0:1], s[2:3]
	ds_read2_b32 v[2:3], v8 offset1:1
	ds_read2_b32 v[4:5], v9 offset1:1
	v_or_b32_e32 v7, 0x2800, v24
	v_add_u32_e32 v8, 0x6000, v6
	v_add_u32_e32 v9, 0x6008, v6
	;; [unrolled: 10-line block ×3, first 2 shown]
	s_waitcnt lgkmcnt(1)
	v_add_u32_e32 v0, v3, v2
	s_waitcnt lgkmcnt(0)
	v_add3_u32 v0, v0, v4, v5
	global_atomic_add_x2 v7, v[0:1], s[2:3]
	ds_read2_b32 v[2:3], v8 offset1:1
	ds_read2_b32 v[4:5], v6 offset1:1
	s_waitcnt lgkmcnt(1)
	v_add_u32_e32 v0, v3, v2
	s_waitcnt lgkmcnt(0)
	v_add3_u32 v0, v0, v4, v5
	v_or_b32_e32 v2, 0x3800, v24
	global_atomic_add_x2 v2, v[0:1], s[2:3]
.LBB2277_411:
	s_endpgm
	.section	.rodata,"a",@progbits
	.p2align	6, 0x0
	.amdhsa_kernel _ZN7rocprim17ROCPRIM_400000_NS6detail17trampoline_kernelINS0_14default_configENS1_35radix_sort_onesweep_config_selectorImNS0_10empty_typeEEEZNS1_34radix_sort_onesweep_global_offsetsIS3_Lb1EPmPS5_mNS0_19identity_decomposerEEE10hipError_tT1_T2_PT3_SE_jT4_jjP12ihipStream_tbEUlT_E_NS1_11comp_targetILNS1_3genE4ELNS1_11target_archE910ELNS1_3gpuE8ELNS1_3repE0EEENS1_52radix_sort_onesweep_histogram_config_static_selectorELNS0_4arch9wavefront6targetE1EEEvSC_
		.amdhsa_group_segment_fixed_size 32768
		.amdhsa_private_segment_fixed_size 0
		.amdhsa_kernarg_size 48
		.amdhsa_user_sgpr_count 6
		.amdhsa_user_sgpr_private_segment_buffer 1
		.amdhsa_user_sgpr_dispatch_ptr 0
		.amdhsa_user_sgpr_queue_ptr 0
		.amdhsa_user_sgpr_kernarg_segment_ptr 1
		.amdhsa_user_sgpr_dispatch_id 0
		.amdhsa_user_sgpr_flat_scratch_init 0
		.amdhsa_user_sgpr_kernarg_preload_length 0
		.amdhsa_user_sgpr_kernarg_preload_offset 0
		.amdhsa_user_sgpr_private_segment_size 0
		.amdhsa_uses_dynamic_stack 0
		.amdhsa_system_sgpr_private_segment_wavefront_offset 0
		.amdhsa_system_sgpr_workgroup_id_x 1
		.amdhsa_system_sgpr_workgroup_id_y 0
		.amdhsa_system_sgpr_workgroup_id_z 0
		.amdhsa_system_sgpr_workgroup_info 0
		.amdhsa_system_vgpr_workitem_id 0
		.amdhsa_next_free_vgpr 30
		.amdhsa_next_free_sgpr 18
		.amdhsa_accum_offset 32
		.amdhsa_reserve_vcc 1
		.amdhsa_reserve_flat_scratch 0
		.amdhsa_float_round_mode_32 0
		.amdhsa_float_round_mode_16_64 0
		.amdhsa_float_denorm_mode_32 3
		.amdhsa_float_denorm_mode_16_64 3
		.amdhsa_dx10_clamp 1
		.amdhsa_ieee_mode 1
		.amdhsa_fp16_overflow 0
		.amdhsa_tg_split 0
		.amdhsa_exception_fp_ieee_invalid_op 0
		.amdhsa_exception_fp_denorm_src 0
		.amdhsa_exception_fp_ieee_div_zero 0
		.amdhsa_exception_fp_ieee_overflow 0
		.amdhsa_exception_fp_ieee_underflow 0
		.amdhsa_exception_fp_ieee_inexact 0
		.amdhsa_exception_int_div_zero 0
	.end_amdhsa_kernel
	.section	.text._ZN7rocprim17ROCPRIM_400000_NS6detail17trampoline_kernelINS0_14default_configENS1_35radix_sort_onesweep_config_selectorImNS0_10empty_typeEEEZNS1_34radix_sort_onesweep_global_offsetsIS3_Lb1EPmPS5_mNS0_19identity_decomposerEEE10hipError_tT1_T2_PT3_SE_jT4_jjP12ihipStream_tbEUlT_E_NS1_11comp_targetILNS1_3genE4ELNS1_11target_archE910ELNS1_3gpuE8ELNS1_3repE0EEENS1_52radix_sort_onesweep_histogram_config_static_selectorELNS0_4arch9wavefront6targetE1EEEvSC_,"axG",@progbits,_ZN7rocprim17ROCPRIM_400000_NS6detail17trampoline_kernelINS0_14default_configENS1_35radix_sort_onesweep_config_selectorImNS0_10empty_typeEEEZNS1_34radix_sort_onesweep_global_offsetsIS3_Lb1EPmPS5_mNS0_19identity_decomposerEEE10hipError_tT1_T2_PT3_SE_jT4_jjP12ihipStream_tbEUlT_E_NS1_11comp_targetILNS1_3genE4ELNS1_11target_archE910ELNS1_3gpuE8ELNS1_3repE0EEENS1_52radix_sort_onesweep_histogram_config_static_selectorELNS0_4arch9wavefront6targetE1EEEvSC_,comdat
.Lfunc_end2277:
	.size	_ZN7rocprim17ROCPRIM_400000_NS6detail17trampoline_kernelINS0_14default_configENS1_35radix_sort_onesweep_config_selectorImNS0_10empty_typeEEEZNS1_34radix_sort_onesweep_global_offsetsIS3_Lb1EPmPS5_mNS0_19identity_decomposerEEE10hipError_tT1_T2_PT3_SE_jT4_jjP12ihipStream_tbEUlT_E_NS1_11comp_targetILNS1_3genE4ELNS1_11target_archE910ELNS1_3gpuE8ELNS1_3repE0EEENS1_52radix_sort_onesweep_histogram_config_static_selectorELNS0_4arch9wavefront6targetE1EEEvSC_, .Lfunc_end2277-_ZN7rocprim17ROCPRIM_400000_NS6detail17trampoline_kernelINS0_14default_configENS1_35radix_sort_onesweep_config_selectorImNS0_10empty_typeEEEZNS1_34radix_sort_onesweep_global_offsetsIS3_Lb1EPmPS5_mNS0_19identity_decomposerEEE10hipError_tT1_T2_PT3_SE_jT4_jjP12ihipStream_tbEUlT_E_NS1_11comp_targetILNS1_3genE4ELNS1_11target_archE910ELNS1_3gpuE8ELNS1_3repE0EEENS1_52radix_sort_onesweep_histogram_config_static_selectorELNS0_4arch9wavefront6targetE1EEEvSC_
                                        ; -- End function
	.section	.AMDGPU.csdata,"",@progbits
; Kernel info:
; codeLenInByte = 15164
; NumSgprs: 22
; NumVgprs: 30
; NumAgprs: 0
; TotalNumVgprs: 30
; ScratchSize: 0
; MemoryBound: 0
; FloatMode: 240
; IeeeMode: 1
; LDSByteSize: 32768 bytes/workgroup (compile time only)
; SGPRBlocks: 2
; VGPRBlocks: 3
; NumSGPRsForWavesPerEU: 22
; NumVGPRsForWavesPerEU: 30
; AccumOffset: 32
; Occupancy: 8
; WaveLimiterHint : 1
; COMPUTE_PGM_RSRC2:SCRATCH_EN: 0
; COMPUTE_PGM_RSRC2:USER_SGPR: 6
; COMPUTE_PGM_RSRC2:TRAP_HANDLER: 0
; COMPUTE_PGM_RSRC2:TGID_X_EN: 1
; COMPUTE_PGM_RSRC2:TGID_Y_EN: 0
; COMPUTE_PGM_RSRC2:TGID_Z_EN: 0
; COMPUTE_PGM_RSRC2:TIDIG_COMP_CNT: 0
; COMPUTE_PGM_RSRC3_GFX90A:ACCUM_OFFSET: 7
; COMPUTE_PGM_RSRC3_GFX90A:TG_SPLIT: 0
	.section	.text._ZN7rocprim17ROCPRIM_400000_NS6detail17trampoline_kernelINS0_14default_configENS1_35radix_sort_onesweep_config_selectorImNS0_10empty_typeEEEZNS1_34radix_sort_onesweep_global_offsetsIS3_Lb1EPmPS5_mNS0_19identity_decomposerEEE10hipError_tT1_T2_PT3_SE_jT4_jjP12ihipStream_tbEUlT_E_NS1_11comp_targetILNS1_3genE3ELNS1_11target_archE908ELNS1_3gpuE7ELNS1_3repE0EEENS1_52radix_sort_onesweep_histogram_config_static_selectorELNS0_4arch9wavefront6targetE1EEEvSC_,"axG",@progbits,_ZN7rocprim17ROCPRIM_400000_NS6detail17trampoline_kernelINS0_14default_configENS1_35radix_sort_onesweep_config_selectorImNS0_10empty_typeEEEZNS1_34radix_sort_onesweep_global_offsetsIS3_Lb1EPmPS5_mNS0_19identity_decomposerEEE10hipError_tT1_T2_PT3_SE_jT4_jjP12ihipStream_tbEUlT_E_NS1_11comp_targetILNS1_3genE3ELNS1_11target_archE908ELNS1_3gpuE7ELNS1_3repE0EEENS1_52radix_sort_onesweep_histogram_config_static_selectorELNS0_4arch9wavefront6targetE1EEEvSC_,comdat
	.protected	_ZN7rocprim17ROCPRIM_400000_NS6detail17trampoline_kernelINS0_14default_configENS1_35radix_sort_onesweep_config_selectorImNS0_10empty_typeEEEZNS1_34radix_sort_onesweep_global_offsetsIS3_Lb1EPmPS5_mNS0_19identity_decomposerEEE10hipError_tT1_T2_PT3_SE_jT4_jjP12ihipStream_tbEUlT_E_NS1_11comp_targetILNS1_3genE3ELNS1_11target_archE908ELNS1_3gpuE7ELNS1_3repE0EEENS1_52radix_sort_onesweep_histogram_config_static_selectorELNS0_4arch9wavefront6targetE1EEEvSC_ ; -- Begin function _ZN7rocprim17ROCPRIM_400000_NS6detail17trampoline_kernelINS0_14default_configENS1_35radix_sort_onesweep_config_selectorImNS0_10empty_typeEEEZNS1_34radix_sort_onesweep_global_offsetsIS3_Lb1EPmPS5_mNS0_19identity_decomposerEEE10hipError_tT1_T2_PT3_SE_jT4_jjP12ihipStream_tbEUlT_E_NS1_11comp_targetILNS1_3genE3ELNS1_11target_archE908ELNS1_3gpuE7ELNS1_3repE0EEENS1_52radix_sort_onesweep_histogram_config_static_selectorELNS0_4arch9wavefront6targetE1EEEvSC_
	.globl	_ZN7rocprim17ROCPRIM_400000_NS6detail17trampoline_kernelINS0_14default_configENS1_35radix_sort_onesweep_config_selectorImNS0_10empty_typeEEEZNS1_34radix_sort_onesweep_global_offsetsIS3_Lb1EPmPS5_mNS0_19identity_decomposerEEE10hipError_tT1_T2_PT3_SE_jT4_jjP12ihipStream_tbEUlT_E_NS1_11comp_targetILNS1_3genE3ELNS1_11target_archE908ELNS1_3gpuE7ELNS1_3repE0EEENS1_52radix_sort_onesweep_histogram_config_static_selectorELNS0_4arch9wavefront6targetE1EEEvSC_
	.p2align	8
	.type	_ZN7rocprim17ROCPRIM_400000_NS6detail17trampoline_kernelINS0_14default_configENS1_35radix_sort_onesweep_config_selectorImNS0_10empty_typeEEEZNS1_34radix_sort_onesweep_global_offsetsIS3_Lb1EPmPS5_mNS0_19identity_decomposerEEE10hipError_tT1_T2_PT3_SE_jT4_jjP12ihipStream_tbEUlT_E_NS1_11comp_targetILNS1_3genE3ELNS1_11target_archE908ELNS1_3gpuE7ELNS1_3repE0EEENS1_52radix_sort_onesweep_histogram_config_static_selectorELNS0_4arch9wavefront6targetE1EEEvSC_,@function
_ZN7rocprim17ROCPRIM_400000_NS6detail17trampoline_kernelINS0_14default_configENS1_35radix_sort_onesweep_config_selectorImNS0_10empty_typeEEEZNS1_34radix_sort_onesweep_global_offsetsIS3_Lb1EPmPS5_mNS0_19identity_decomposerEEE10hipError_tT1_T2_PT3_SE_jT4_jjP12ihipStream_tbEUlT_E_NS1_11comp_targetILNS1_3genE3ELNS1_11target_archE908ELNS1_3gpuE7ELNS1_3repE0EEENS1_52radix_sort_onesweep_histogram_config_static_selectorELNS0_4arch9wavefront6targetE1EEEvSC_: ; @_ZN7rocprim17ROCPRIM_400000_NS6detail17trampoline_kernelINS0_14default_configENS1_35radix_sort_onesweep_config_selectorImNS0_10empty_typeEEEZNS1_34radix_sort_onesweep_global_offsetsIS3_Lb1EPmPS5_mNS0_19identity_decomposerEEE10hipError_tT1_T2_PT3_SE_jT4_jjP12ihipStream_tbEUlT_E_NS1_11comp_targetILNS1_3genE3ELNS1_11target_archE908ELNS1_3gpuE7ELNS1_3repE0EEENS1_52radix_sort_onesweep_histogram_config_static_selectorELNS0_4arch9wavefront6targetE1EEEvSC_
; %bb.0:
	.section	.rodata,"a",@progbits
	.p2align	6, 0x0
	.amdhsa_kernel _ZN7rocprim17ROCPRIM_400000_NS6detail17trampoline_kernelINS0_14default_configENS1_35radix_sort_onesweep_config_selectorImNS0_10empty_typeEEEZNS1_34radix_sort_onesweep_global_offsetsIS3_Lb1EPmPS5_mNS0_19identity_decomposerEEE10hipError_tT1_T2_PT3_SE_jT4_jjP12ihipStream_tbEUlT_E_NS1_11comp_targetILNS1_3genE3ELNS1_11target_archE908ELNS1_3gpuE7ELNS1_3repE0EEENS1_52radix_sort_onesweep_histogram_config_static_selectorELNS0_4arch9wavefront6targetE1EEEvSC_
		.amdhsa_group_segment_fixed_size 0
		.amdhsa_private_segment_fixed_size 0
		.amdhsa_kernarg_size 48
		.amdhsa_user_sgpr_count 6
		.amdhsa_user_sgpr_private_segment_buffer 1
		.amdhsa_user_sgpr_dispatch_ptr 0
		.amdhsa_user_sgpr_queue_ptr 0
		.amdhsa_user_sgpr_kernarg_segment_ptr 1
		.amdhsa_user_sgpr_dispatch_id 0
		.amdhsa_user_sgpr_flat_scratch_init 0
		.amdhsa_user_sgpr_kernarg_preload_length 0
		.amdhsa_user_sgpr_kernarg_preload_offset 0
		.amdhsa_user_sgpr_private_segment_size 0
		.amdhsa_uses_dynamic_stack 0
		.amdhsa_system_sgpr_private_segment_wavefront_offset 0
		.amdhsa_system_sgpr_workgroup_id_x 1
		.amdhsa_system_sgpr_workgroup_id_y 0
		.amdhsa_system_sgpr_workgroup_id_z 0
		.amdhsa_system_sgpr_workgroup_info 0
		.amdhsa_system_vgpr_workitem_id 0
		.amdhsa_next_free_vgpr 1
		.amdhsa_next_free_sgpr 0
		.amdhsa_accum_offset 4
		.amdhsa_reserve_vcc 0
		.amdhsa_reserve_flat_scratch 0
		.amdhsa_float_round_mode_32 0
		.amdhsa_float_round_mode_16_64 0
		.amdhsa_float_denorm_mode_32 3
		.amdhsa_float_denorm_mode_16_64 3
		.amdhsa_dx10_clamp 1
		.amdhsa_ieee_mode 1
		.amdhsa_fp16_overflow 0
		.amdhsa_tg_split 0
		.amdhsa_exception_fp_ieee_invalid_op 0
		.amdhsa_exception_fp_denorm_src 0
		.amdhsa_exception_fp_ieee_div_zero 0
		.amdhsa_exception_fp_ieee_overflow 0
		.amdhsa_exception_fp_ieee_underflow 0
		.amdhsa_exception_fp_ieee_inexact 0
		.amdhsa_exception_int_div_zero 0
	.end_amdhsa_kernel
	.section	.text._ZN7rocprim17ROCPRIM_400000_NS6detail17trampoline_kernelINS0_14default_configENS1_35radix_sort_onesweep_config_selectorImNS0_10empty_typeEEEZNS1_34radix_sort_onesweep_global_offsetsIS3_Lb1EPmPS5_mNS0_19identity_decomposerEEE10hipError_tT1_T2_PT3_SE_jT4_jjP12ihipStream_tbEUlT_E_NS1_11comp_targetILNS1_3genE3ELNS1_11target_archE908ELNS1_3gpuE7ELNS1_3repE0EEENS1_52radix_sort_onesweep_histogram_config_static_selectorELNS0_4arch9wavefront6targetE1EEEvSC_,"axG",@progbits,_ZN7rocprim17ROCPRIM_400000_NS6detail17trampoline_kernelINS0_14default_configENS1_35radix_sort_onesweep_config_selectorImNS0_10empty_typeEEEZNS1_34radix_sort_onesweep_global_offsetsIS3_Lb1EPmPS5_mNS0_19identity_decomposerEEE10hipError_tT1_T2_PT3_SE_jT4_jjP12ihipStream_tbEUlT_E_NS1_11comp_targetILNS1_3genE3ELNS1_11target_archE908ELNS1_3gpuE7ELNS1_3repE0EEENS1_52radix_sort_onesweep_histogram_config_static_selectorELNS0_4arch9wavefront6targetE1EEEvSC_,comdat
.Lfunc_end2278:
	.size	_ZN7rocprim17ROCPRIM_400000_NS6detail17trampoline_kernelINS0_14default_configENS1_35radix_sort_onesweep_config_selectorImNS0_10empty_typeEEEZNS1_34radix_sort_onesweep_global_offsetsIS3_Lb1EPmPS5_mNS0_19identity_decomposerEEE10hipError_tT1_T2_PT3_SE_jT4_jjP12ihipStream_tbEUlT_E_NS1_11comp_targetILNS1_3genE3ELNS1_11target_archE908ELNS1_3gpuE7ELNS1_3repE0EEENS1_52radix_sort_onesweep_histogram_config_static_selectorELNS0_4arch9wavefront6targetE1EEEvSC_, .Lfunc_end2278-_ZN7rocprim17ROCPRIM_400000_NS6detail17trampoline_kernelINS0_14default_configENS1_35radix_sort_onesweep_config_selectorImNS0_10empty_typeEEEZNS1_34radix_sort_onesweep_global_offsetsIS3_Lb1EPmPS5_mNS0_19identity_decomposerEEE10hipError_tT1_T2_PT3_SE_jT4_jjP12ihipStream_tbEUlT_E_NS1_11comp_targetILNS1_3genE3ELNS1_11target_archE908ELNS1_3gpuE7ELNS1_3repE0EEENS1_52radix_sort_onesweep_histogram_config_static_selectorELNS0_4arch9wavefront6targetE1EEEvSC_
                                        ; -- End function
	.section	.AMDGPU.csdata,"",@progbits
; Kernel info:
; codeLenInByte = 0
; NumSgprs: 4
; NumVgprs: 0
; NumAgprs: 0
; TotalNumVgprs: 0
; ScratchSize: 0
; MemoryBound: 0
; FloatMode: 240
; IeeeMode: 1
; LDSByteSize: 0 bytes/workgroup (compile time only)
; SGPRBlocks: 0
; VGPRBlocks: 0
; NumSGPRsForWavesPerEU: 4
; NumVGPRsForWavesPerEU: 1
; AccumOffset: 4
; Occupancy: 8
; WaveLimiterHint : 0
; COMPUTE_PGM_RSRC2:SCRATCH_EN: 0
; COMPUTE_PGM_RSRC2:USER_SGPR: 6
; COMPUTE_PGM_RSRC2:TRAP_HANDLER: 0
; COMPUTE_PGM_RSRC2:TGID_X_EN: 1
; COMPUTE_PGM_RSRC2:TGID_Y_EN: 0
; COMPUTE_PGM_RSRC2:TGID_Z_EN: 0
; COMPUTE_PGM_RSRC2:TIDIG_COMP_CNT: 0
; COMPUTE_PGM_RSRC3_GFX90A:ACCUM_OFFSET: 0
; COMPUTE_PGM_RSRC3_GFX90A:TG_SPLIT: 0
	.section	.text._ZN7rocprim17ROCPRIM_400000_NS6detail17trampoline_kernelINS0_14default_configENS1_35radix_sort_onesweep_config_selectorImNS0_10empty_typeEEEZNS1_34radix_sort_onesweep_global_offsetsIS3_Lb1EPmPS5_mNS0_19identity_decomposerEEE10hipError_tT1_T2_PT3_SE_jT4_jjP12ihipStream_tbEUlT_E_NS1_11comp_targetILNS1_3genE10ELNS1_11target_archE1201ELNS1_3gpuE5ELNS1_3repE0EEENS1_52radix_sort_onesweep_histogram_config_static_selectorELNS0_4arch9wavefront6targetE1EEEvSC_,"axG",@progbits,_ZN7rocprim17ROCPRIM_400000_NS6detail17trampoline_kernelINS0_14default_configENS1_35radix_sort_onesweep_config_selectorImNS0_10empty_typeEEEZNS1_34radix_sort_onesweep_global_offsetsIS3_Lb1EPmPS5_mNS0_19identity_decomposerEEE10hipError_tT1_T2_PT3_SE_jT4_jjP12ihipStream_tbEUlT_E_NS1_11comp_targetILNS1_3genE10ELNS1_11target_archE1201ELNS1_3gpuE5ELNS1_3repE0EEENS1_52radix_sort_onesweep_histogram_config_static_selectorELNS0_4arch9wavefront6targetE1EEEvSC_,comdat
	.protected	_ZN7rocprim17ROCPRIM_400000_NS6detail17trampoline_kernelINS0_14default_configENS1_35radix_sort_onesweep_config_selectorImNS0_10empty_typeEEEZNS1_34radix_sort_onesweep_global_offsetsIS3_Lb1EPmPS5_mNS0_19identity_decomposerEEE10hipError_tT1_T2_PT3_SE_jT4_jjP12ihipStream_tbEUlT_E_NS1_11comp_targetILNS1_3genE10ELNS1_11target_archE1201ELNS1_3gpuE5ELNS1_3repE0EEENS1_52radix_sort_onesweep_histogram_config_static_selectorELNS0_4arch9wavefront6targetE1EEEvSC_ ; -- Begin function _ZN7rocprim17ROCPRIM_400000_NS6detail17trampoline_kernelINS0_14default_configENS1_35radix_sort_onesweep_config_selectorImNS0_10empty_typeEEEZNS1_34radix_sort_onesweep_global_offsetsIS3_Lb1EPmPS5_mNS0_19identity_decomposerEEE10hipError_tT1_T2_PT3_SE_jT4_jjP12ihipStream_tbEUlT_E_NS1_11comp_targetILNS1_3genE10ELNS1_11target_archE1201ELNS1_3gpuE5ELNS1_3repE0EEENS1_52radix_sort_onesweep_histogram_config_static_selectorELNS0_4arch9wavefront6targetE1EEEvSC_
	.globl	_ZN7rocprim17ROCPRIM_400000_NS6detail17trampoline_kernelINS0_14default_configENS1_35radix_sort_onesweep_config_selectorImNS0_10empty_typeEEEZNS1_34radix_sort_onesweep_global_offsetsIS3_Lb1EPmPS5_mNS0_19identity_decomposerEEE10hipError_tT1_T2_PT3_SE_jT4_jjP12ihipStream_tbEUlT_E_NS1_11comp_targetILNS1_3genE10ELNS1_11target_archE1201ELNS1_3gpuE5ELNS1_3repE0EEENS1_52radix_sort_onesweep_histogram_config_static_selectorELNS0_4arch9wavefront6targetE1EEEvSC_
	.p2align	8
	.type	_ZN7rocprim17ROCPRIM_400000_NS6detail17trampoline_kernelINS0_14default_configENS1_35radix_sort_onesweep_config_selectorImNS0_10empty_typeEEEZNS1_34radix_sort_onesweep_global_offsetsIS3_Lb1EPmPS5_mNS0_19identity_decomposerEEE10hipError_tT1_T2_PT3_SE_jT4_jjP12ihipStream_tbEUlT_E_NS1_11comp_targetILNS1_3genE10ELNS1_11target_archE1201ELNS1_3gpuE5ELNS1_3repE0EEENS1_52radix_sort_onesweep_histogram_config_static_selectorELNS0_4arch9wavefront6targetE1EEEvSC_,@function
_ZN7rocprim17ROCPRIM_400000_NS6detail17trampoline_kernelINS0_14default_configENS1_35radix_sort_onesweep_config_selectorImNS0_10empty_typeEEEZNS1_34radix_sort_onesweep_global_offsetsIS3_Lb1EPmPS5_mNS0_19identity_decomposerEEE10hipError_tT1_T2_PT3_SE_jT4_jjP12ihipStream_tbEUlT_E_NS1_11comp_targetILNS1_3genE10ELNS1_11target_archE1201ELNS1_3gpuE5ELNS1_3repE0EEENS1_52radix_sort_onesweep_histogram_config_static_selectorELNS0_4arch9wavefront6targetE1EEEvSC_: ; @_ZN7rocprim17ROCPRIM_400000_NS6detail17trampoline_kernelINS0_14default_configENS1_35radix_sort_onesweep_config_selectorImNS0_10empty_typeEEEZNS1_34radix_sort_onesweep_global_offsetsIS3_Lb1EPmPS5_mNS0_19identity_decomposerEEE10hipError_tT1_T2_PT3_SE_jT4_jjP12ihipStream_tbEUlT_E_NS1_11comp_targetILNS1_3genE10ELNS1_11target_archE1201ELNS1_3gpuE5ELNS1_3repE0EEENS1_52radix_sort_onesweep_histogram_config_static_selectorELNS0_4arch9wavefront6targetE1EEEvSC_
; %bb.0:
	.section	.rodata,"a",@progbits
	.p2align	6, 0x0
	.amdhsa_kernel _ZN7rocprim17ROCPRIM_400000_NS6detail17trampoline_kernelINS0_14default_configENS1_35radix_sort_onesweep_config_selectorImNS0_10empty_typeEEEZNS1_34radix_sort_onesweep_global_offsetsIS3_Lb1EPmPS5_mNS0_19identity_decomposerEEE10hipError_tT1_T2_PT3_SE_jT4_jjP12ihipStream_tbEUlT_E_NS1_11comp_targetILNS1_3genE10ELNS1_11target_archE1201ELNS1_3gpuE5ELNS1_3repE0EEENS1_52radix_sort_onesweep_histogram_config_static_selectorELNS0_4arch9wavefront6targetE1EEEvSC_
		.amdhsa_group_segment_fixed_size 0
		.amdhsa_private_segment_fixed_size 0
		.amdhsa_kernarg_size 48
		.amdhsa_user_sgpr_count 6
		.amdhsa_user_sgpr_private_segment_buffer 1
		.amdhsa_user_sgpr_dispatch_ptr 0
		.amdhsa_user_sgpr_queue_ptr 0
		.amdhsa_user_sgpr_kernarg_segment_ptr 1
		.amdhsa_user_sgpr_dispatch_id 0
		.amdhsa_user_sgpr_flat_scratch_init 0
		.amdhsa_user_sgpr_kernarg_preload_length 0
		.amdhsa_user_sgpr_kernarg_preload_offset 0
		.amdhsa_user_sgpr_private_segment_size 0
		.amdhsa_uses_dynamic_stack 0
		.amdhsa_system_sgpr_private_segment_wavefront_offset 0
		.amdhsa_system_sgpr_workgroup_id_x 1
		.amdhsa_system_sgpr_workgroup_id_y 0
		.amdhsa_system_sgpr_workgroup_id_z 0
		.amdhsa_system_sgpr_workgroup_info 0
		.amdhsa_system_vgpr_workitem_id 0
		.amdhsa_next_free_vgpr 1
		.amdhsa_next_free_sgpr 0
		.amdhsa_accum_offset 4
		.amdhsa_reserve_vcc 0
		.amdhsa_reserve_flat_scratch 0
		.amdhsa_float_round_mode_32 0
		.amdhsa_float_round_mode_16_64 0
		.amdhsa_float_denorm_mode_32 3
		.amdhsa_float_denorm_mode_16_64 3
		.amdhsa_dx10_clamp 1
		.amdhsa_ieee_mode 1
		.amdhsa_fp16_overflow 0
		.amdhsa_tg_split 0
		.amdhsa_exception_fp_ieee_invalid_op 0
		.amdhsa_exception_fp_denorm_src 0
		.amdhsa_exception_fp_ieee_div_zero 0
		.amdhsa_exception_fp_ieee_overflow 0
		.amdhsa_exception_fp_ieee_underflow 0
		.amdhsa_exception_fp_ieee_inexact 0
		.amdhsa_exception_int_div_zero 0
	.end_amdhsa_kernel
	.section	.text._ZN7rocprim17ROCPRIM_400000_NS6detail17trampoline_kernelINS0_14default_configENS1_35radix_sort_onesweep_config_selectorImNS0_10empty_typeEEEZNS1_34radix_sort_onesweep_global_offsetsIS3_Lb1EPmPS5_mNS0_19identity_decomposerEEE10hipError_tT1_T2_PT3_SE_jT4_jjP12ihipStream_tbEUlT_E_NS1_11comp_targetILNS1_3genE10ELNS1_11target_archE1201ELNS1_3gpuE5ELNS1_3repE0EEENS1_52radix_sort_onesweep_histogram_config_static_selectorELNS0_4arch9wavefront6targetE1EEEvSC_,"axG",@progbits,_ZN7rocprim17ROCPRIM_400000_NS6detail17trampoline_kernelINS0_14default_configENS1_35radix_sort_onesweep_config_selectorImNS0_10empty_typeEEEZNS1_34radix_sort_onesweep_global_offsetsIS3_Lb1EPmPS5_mNS0_19identity_decomposerEEE10hipError_tT1_T2_PT3_SE_jT4_jjP12ihipStream_tbEUlT_E_NS1_11comp_targetILNS1_3genE10ELNS1_11target_archE1201ELNS1_3gpuE5ELNS1_3repE0EEENS1_52radix_sort_onesweep_histogram_config_static_selectorELNS0_4arch9wavefront6targetE1EEEvSC_,comdat
.Lfunc_end2279:
	.size	_ZN7rocprim17ROCPRIM_400000_NS6detail17trampoline_kernelINS0_14default_configENS1_35radix_sort_onesweep_config_selectorImNS0_10empty_typeEEEZNS1_34radix_sort_onesweep_global_offsetsIS3_Lb1EPmPS5_mNS0_19identity_decomposerEEE10hipError_tT1_T2_PT3_SE_jT4_jjP12ihipStream_tbEUlT_E_NS1_11comp_targetILNS1_3genE10ELNS1_11target_archE1201ELNS1_3gpuE5ELNS1_3repE0EEENS1_52radix_sort_onesweep_histogram_config_static_selectorELNS0_4arch9wavefront6targetE1EEEvSC_, .Lfunc_end2279-_ZN7rocprim17ROCPRIM_400000_NS6detail17trampoline_kernelINS0_14default_configENS1_35radix_sort_onesweep_config_selectorImNS0_10empty_typeEEEZNS1_34radix_sort_onesweep_global_offsetsIS3_Lb1EPmPS5_mNS0_19identity_decomposerEEE10hipError_tT1_T2_PT3_SE_jT4_jjP12ihipStream_tbEUlT_E_NS1_11comp_targetILNS1_3genE10ELNS1_11target_archE1201ELNS1_3gpuE5ELNS1_3repE0EEENS1_52radix_sort_onesweep_histogram_config_static_selectorELNS0_4arch9wavefront6targetE1EEEvSC_
                                        ; -- End function
	.section	.AMDGPU.csdata,"",@progbits
; Kernel info:
; codeLenInByte = 0
; NumSgprs: 4
; NumVgprs: 0
; NumAgprs: 0
; TotalNumVgprs: 0
; ScratchSize: 0
; MemoryBound: 0
; FloatMode: 240
; IeeeMode: 1
; LDSByteSize: 0 bytes/workgroup (compile time only)
; SGPRBlocks: 0
; VGPRBlocks: 0
; NumSGPRsForWavesPerEU: 4
; NumVGPRsForWavesPerEU: 1
; AccumOffset: 4
; Occupancy: 8
; WaveLimiterHint : 0
; COMPUTE_PGM_RSRC2:SCRATCH_EN: 0
; COMPUTE_PGM_RSRC2:USER_SGPR: 6
; COMPUTE_PGM_RSRC2:TRAP_HANDLER: 0
; COMPUTE_PGM_RSRC2:TGID_X_EN: 1
; COMPUTE_PGM_RSRC2:TGID_Y_EN: 0
; COMPUTE_PGM_RSRC2:TGID_Z_EN: 0
; COMPUTE_PGM_RSRC2:TIDIG_COMP_CNT: 0
; COMPUTE_PGM_RSRC3_GFX90A:ACCUM_OFFSET: 0
; COMPUTE_PGM_RSRC3_GFX90A:TG_SPLIT: 0
	.section	.text._ZN7rocprim17ROCPRIM_400000_NS6detail17trampoline_kernelINS0_14default_configENS1_35radix_sort_onesweep_config_selectorImNS0_10empty_typeEEEZNS1_34radix_sort_onesweep_global_offsetsIS3_Lb1EPmPS5_mNS0_19identity_decomposerEEE10hipError_tT1_T2_PT3_SE_jT4_jjP12ihipStream_tbEUlT_E_NS1_11comp_targetILNS1_3genE9ELNS1_11target_archE1100ELNS1_3gpuE3ELNS1_3repE0EEENS1_52radix_sort_onesweep_histogram_config_static_selectorELNS0_4arch9wavefront6targetE1EEEvSC_,"axG",@progbits,_ZN7rocprim17ROCPRIM_400000_NS6detail17trampoline_kernelINS0_14default_configENS1_35radix_sort_onesweep_config_selectorImNS0_10empty_typeEEEZNS1_34radix_sort_onesweep_global_offsetsIS3_Lb1EPmPS5_mNS0_19identity_decomposerEEE10hipError_tT1_T2_PT3_SE_jT4_jjP12ihipStream_tbEUlT_E_NS1_11comp_targetILNS1_3genE9ELNS1_11target_archE1100ELNS1_3gpuE3ELNS1_3repE0EEENS1_52radix_sort_onesweep_histogram_config_static_selectorELNS0_4arch9wavefront6targetE1EEEvSC_,comdat
	.protected	_ZN7rocprim17ROCPRIM_400000_NS6detail17trampoline_kernelINS0_14default_configENS1_35radix_sort_onesweep_config_selectorImNS0_10empty_typeEEEZNS1_34radix_sort_onesweep_global_offsetsIS3_Lb1EPmPS5_mNS0_19identity_decomposerEEE10hipError_tT1_T2_PT3_SE_jT4_jjP12ihipStream_tbEUlT_E_NS1_11comp_targetILNS1_3genE9ELNS1_11target_archE1100ELNS1_3gpuE3ELNS1_3repE0EEENS1_52radix_sort_onesweep_histogram_config_static_selectorELNS0_4arch9wavefront6targetE1EEEvSC_ ; -- Begin function _ZN7rocprim17ROCPRIM_400000_NS6detail17trampoline_kernelINS0_14default_configENS1_35radix_sort_onesweep_config_selectorImNS0_10empty_typeEEEZNS1_34radix_sort_onesweep_global_offsetsIS3_Lb1EPmPS5_mNS0_19identity_decomposerEEE10hipError_tT1_T2_PT3_SE_jT4_jjP12ihipStream_tbEUlT_E_NS1_11comp_targetILNS1_3genE9ELNS1_11target_archE1100ELNS1_3gpuE3ELNS1_3repE0EEENS1_52radix_sort_onesweep_histogram_config_static_selectorELNS0_4arch9wavefront6targetE1EEEvSC_
	.globl	_ZN7rocprim17ROCPRIM_400000_NS6detail17trampoline_kernelINS0_14default_configENS1_35radix_sort_onesweep_config_selectorImNS0_10empty_typeEEEZNS1_34radix_sort_onesweep_global_offsetsIS3_Lb1EPmPS5_mNS0_19identity_decomposerEEE10hipError_tT1_T2_PT3_SE_jT4_jjP12ihipStream_tbEUlT_E_NS1_11comp_targetILNS1_3genE9ELNS1_11target_archE1100ELNS1_3gpuE3ELNS1_3repE0EEENS1_52radix_sort_onesweep_histogram_config_static_selectorELNS0_4arch9wavefront6targetE1EEEvSC_
	.p2align	8
	.type	_ZN7rocprim17ROCPRIM_400000_NS6detail17trampoline_kernelINS0_14default_configENS1_35radix_sort_onesweep_config_selectorImNS0_10empty_typeEEEZNS1_34radix_sort_onesweep_global_offsetsIS3_Lb1EPmPS5_mNS0_19identity_decomposerEEE10hipError_tT1_T2_PT3_SE_jT4_jjP12ihipStream_tbEUlT_E_NS1_11comp_targetILNS1_3genE9ELNS1_11target_archE1100ELNS1_3gpuE3ELNS1_3repE0EEENS1_52radix_sort_onesweep_histogram_config_static_selectorELNS0_4arch9wavefront6targetE1EEEvSC_,@function
_ZN7rocprim17ROCPRIM_400000_NS6detail17trampoline_kernelINS0_14default_configENS1_35radix_sort_onesweep_config_selectorImNS0_10empty_typeEEEZNS1_34radix_sort_onesweep_global_offsetsIS3_Lb1EPmPS5_mNS0_19identity_decomposerEEE10hipError_tT1_T2_PT3_SE_jT4_jjP12ihipStream_tbEUlT_E_NS1_11comp_targetILNS1_3genE9ELNS1_11target_archE1100ELNS1_3gpuE3ELNS1_3repE0EEENS1_52radix_sort_onesweep_histogram_config_static_selectorELNS0_4arch9wavefront6targetE1EEEvSC_: ; @_ZN7rocprim17ROCPRIM_400000_NS6detail17trampoline_kernelINS0_14default_configENS1_35radix_sort_onesweep_config_selectorImNS0_10empty_typeEEEZNS1_34radix_sort_onesweep_global_offsetsIS3_Lb1EPmPS5_mNS0_19identity_decomposerEEE10hipError_tT1_T2_PT3_SE_jT4_jjP12ihipStream_tbEUlT_E_NS1_11comp_targetILNS1_3genE9ELNS1_11target_archE1100ELNS1_3gpuE3ELNS1_3repE0EEENS1_52radix_sort_onesweep_histogram_config_static_selectorELNS0_4arch9wavefront6targetE1EEEvSC_
; %bb.0:
	.section	.rodata,"a",@progbits
	.p2align	6, 0x0
	.amdhsa_kernel _ZN7rocprim17ROCPRIM_400000_NS6detail17trampoline_kernelINS0_14default_configENS1_35radix_sort_onesweep_config_selectorImNS0_10empty_typeEEEZNS1_34radix_sort_onesweep_global_offsetsIS3_Lb1EPmPS5_mNS0_19identity_decomposerEEE10hipError_tT1_T2_PT3_SE_jT4_jjP12ihipStream_tbEUlT_E_NS1_11comp_targetILNS1_3genE9ELNS1_11target_archE1100ELNS1_3gpuE3ELNS1_3repE0EEENS1_52radix_sort_onesweep_histogram_config_static_selectorELNS0_4arch9wavefront6targetE1EEEvSC_
		.amdhsa_group_segment_fixed_size 0
		.amdhsa_private_segment_fixed_size 0
		.amdhsa_kernarg_size 48
		.amdhsa_user_sgpr_count 6
		.amdhsa_user_sgpr_private_segment_buffer 1
		.amdhsa_user_sgpr_dispatch_ptr 0
		.amdhsa_user_sgpr_queue_ptr 0
		.amdhsa_user_sgpr_kernarg_segment_ptr 1
		.amdhsa_user_sgpr_dispatch_id 0
		.amdhsa_user_sgpr_flat_scratch_init 0
		.amdhsa_user_sgpr_kernarg_preload_length 0
		.amdhsa_user_sgpr_kernarg_preload_offset 0
		.amdhsa_user_sgpr_private_segment_size 0
		.amdhsa_uses_dynamic_stack 0
		.amdhsa_system_sgpr_private_segment_wavefront_offset 0
		.amdhsa_system_sgpr_workgroup_id_x 1
		.amdhsa_system_sgpr_workgroup_id_y 0
		.amdhsa_system_sgpr_workgroup_id_z 0
		.amdhsa_system_sgpr_workgroup_info 0
		.amdhsa_system_vgpr_workitem_id 0
		.amdhsa_next_free_vgpr 1
		.amdhsa_next_free_sgpr 0
		.amdhsa_accum_offset 4
		.amdhsa_reserve_vcc 0
		.amdhsa_reserve_flat_scratch 0
		.amdhsa_float_round_mode_32 0
		.amdhsa_float_round_mode_16_64 0
		.amdhsa_float_denorm_mode_32 3
		.amdhsa_float_denorm_mode_16_64 3
		.amdhsa_dx10_clamp 1
		.amdhsa_ieee_mode 1
		.amdhsa_fp16_overflow 0
		.amdhsa_tg_split 0
		.amdhsa_exception_fp_ieee_invalid_op 0
		.amdhsa_exception_fp_denorm_src 0
		.amdhsa_exception_fp_ieee_div_zero 0
		.amdhsa_exception_fp_ieee_overflow 0
		.amdhsa_exception_fp_ieee_underflow 0
		.amdhsa_exception_fp_ieee_inexact 0
		.amdhsa_exception_int_div_zero 0
	.end_amdhsa_kernel
	.section	.text._ZN7rocprim17ROCPRIM_400000_NS6detail17trampoline_kernelINS0_14default_configENS1_35radix_sort_onesweep_config_selectorImNS0_10empty_typeEEEZNS1_34radix_sort_onesweep_global_offsetsIS3_Lb1EPmPS5_mNS0_19identity_decomposerEEE10hipError_tT1_T2_PT3_SE_jT4_jjP12ihipStream_tbEUlT_E_NS1_11comp_targetILNS1_3genE9ELNS1_11target_archE1100ELNS1_3gpuE3ELNS1_3repE0EEENS1_52radix_sort_onesweep_histogram_config_static_selectorELNS0_4arch9wavefront6targetE1EEEvSC_,"axG",@progbits,_ZN7rocprim17ROCPRIM_400000_NS6detail17trampoline_kernelINS0_14default_configENS1_35radix_sort_onesweep_config_selectorImNS0_10empty_typeEEEZNS1_34radix_sort_onesweep_global_offsetsIS3_Lb1EPmPS5_mNS0_19identity_decomposerEEE10hipError_tT1_T2_PT3_SE_jT4_jjP12ihipStream_tbEUlT_E_NS1_11comp_targetILNS1_3genE9ELNS1_11target_archE1100ELNS1_3gpuE3ELNS1_3repE0EEENS1_52radix_sort_onesweep_histogram_config_static_selectorELNS0_4arch9wavefront6targetE1EEEvSC_,comdat
.Lfunc_end2280:
	.size	_ZN7rocprim17ROCPRIM_400000_NS6detail17trampoline_kernelINS0_14default_configENS1_35radix_sort_onesweep_config_selectorImNS0_10empty_typeEEEZNS1_34radix_sort_onesweep_global_offsetsIS3_Lb1EPmPS5_mNS0_19identity_decomposerEEE10hipError_tT1_T2_PT3_SE_jT4_jjP12ihipStream_tbEUlT_E_NS1_11comp_targetILNS1_3genE9ELNS1_11target_archE1100ELNS1_3gpuE3ELNS1_3repE0EEENS1_52radix_sort_onesweep_histogram_config_static_selectorELNS0_4arch9wavefront6targetE1EEEvSC_, .Lfunc_end2280-_ZN7rocprim17ROCPRIM_400000_NS6detail17trampoline_kernelINS0_14default_configENS1_35radix_sort_onesweep_config_selectorImNS0_10empty_typeEEEZNS1_34radix_sort_onesweep_global_offsetsIS3_Lb1EPmPS5_mNS0_19identity_decomposerEEE10hipError_tT1_T2_PT3_SE_jT4_jjP12ihipStream_tbEUlT_E_NS1_11comp_targetILNS1_3genE9ELNS1_11target_archE1100ELNS1_3gpuE3ELNS1_3repE0EEENS1_52radix_sort_onesweep_histogram_config_static_selectorELNS0_4arch9wavefront6targetE1EEEvSC_
                                        ; -- End function
	.section	.AMDGPU.csdata,"",@progbits
; Kernel info:
; codeLenInByte = 0
; NumSgprs: 4
; NumVgprs: 0
; NumAgprs: 0
; TotalNumVgprs: 0
; ScratchSize: 0
; MemoryBound: 0
; FloatMode: 240
; IeeeMode: 1
; LDSByteSize: 0 bytes/workgroup (compile time only)
; SGPRBlocks: 0
; VGPRBlocks: 0
; NumSGPRsForWavesPerEU: 4
; NumVGPRsForWavesPerEU: 1
; AccumOffset: 4
; Occupancy: 8
; WaveLimiterHint : 0
; COMPUTE_PGM_RSRC2:SCRATCH_EN: 0
; COMPUTE_PGM_RSRC2:USER_SGPR: 6
; COMPUTE_PGM_RSRC2:TRAP_HANDLER: 0
; COMPUTE_PGM_RSRC2:TGID_X_EN: 1
; COMPUTE_PGM_RSRC2:TGID_Y_EN: 0
; COMPUTE_PGM_RSRC2:TGID_Z_EN: 0
; COMPUTE_PGM_RSRC2:TIDIG_COMP_CNT: 0
; COMPUTE_PGM_RSRC3_GFX90A:ACCUM_OFFSET: 0
; COMPUTE_PGM_RSRC3_GFX90A:TG_SPLIT: 0
	.section	.text._ZN7rocprim17ROCPRIM_400000_NS6detail17trampoline_kernelINS0_14default_configENS1_35radix_sort_onesweep_config_selectorImNS0_10empty_typeEEEZNS1_34radix_sort_onesweep_global_offsetsIS3_Lb1EPmPS5_mNS0_19identity_decomposerEEE10hipError_tT1_T2_PT3_SE_jT4_jjP12ihipStream_tbEUlT_E_NS1_11comp_targetILNS1_3genE8ELNS1_11target_archE1030ELNS1_3gpuE2ELNS1_3repE0EEENS1_52radix_sort_onesweep_histogram_config_static_selectorELNS0_4arch9wavefront6targetE1EEEvSC_,"axG",@progbits,_ZN7rocprim17ROCPRIM_400000_NS6detail17trampoline_kernelINS0_14default_configENS1_35radix_sort_onesweep_config_selectorImNS0_10empty_typeEEEZNS1_34radix_sort_onesweep_global_offsetsIS3_Lb1EPmPS5_mNS0_19identity_decomposerEEE10hipError_tT1_T2_PT3_SE_jT4_jjP12ihipStream_tbEUlT_E_NS1_11comp_targetILNS1_3genE8ELNS1_11target_archE1030ELNS1_3gpuE2ELNS1_3repE0EEENS1_52radix_sort_onesweep_histogram_config_static_selectorELNS0_4arch9wavefront6targetE1EEEvSC_,comdat
	.protected	_ZN7rocprim17ROCPRIM_400000_NS6detail17trampoline_kernelINS0_14default_configENS1_35radix_sort_onesweep_config_selectorImNS0_10empty_typeEEEZNS1_34radix_sort_onesweep_global_offsetsIS3_Lb1EPmPS5_mNS0_19identity_decomposerEEE10hipError_tT1_T2_PT3_SE_jT4_jjP12ihipStream_tbEUlT_E_NS1_11comp_targetILNS1_3genE8ELNS1_11target_archE1030ELNS1_3gpuE2ELNS1_3repE0EEENS1_52radix_sort_onesweep_histogram_config_static_selectorELNS0_4arch9wavefront6targetE1EEEvSC_ ; -- Begin function _ZN7rocprim17ROCPRIM_400000_NS6detail17trampoline_kernelINS0_14default_configENS1_35radix_sort_onesweep_config_selectorImNS0_10empty_typeEEEZNS1_34radix_sort_onesweep_global_offsetsIS3_Lb1EPmPS5_mNS0_19identity_decomposerEEE10hipError_tT1_T2_PT3_SE_jT4_jjP12ihipStream_tbEUlT_E_NS1_11comp_targetILNS1_3genE8ELNS1_11target_archE1030ELNS1_3gpuE2ELNS1_3repE0EEENS1_52radix_sort_onesweep_histogram_config_static_selectorELNS0_4arch9wavefront6targetE1EEEvSC_
	.globl	_ZN7rocprim17ROCPRIM_400000_NS6detail17trampoline_kernelINS0_14default_configENS1_35radix_sort_onesweep_config_selectorImNS0_10empty_typeEEEZNS1_34radix_sort_onesweep_global_offsetsIS3_Lb1EPmPS5_mNS0_19identity_decomposerEEE10hipError_tT1_T2_PT3_SE_jT4_jjP12ihipStream_tbEUlT_E_NS1_11comp_targetILNS1_3genE8ELNS1_11target_archE1030ELNS1_3gpuE2ELNS1_3repE0EEENS1_52radix_sort_onesweep_histogram_config_static_selectorELNS0_4arch9wavefront6targetE1EEEvSC_
	.p2align	8
	.type	_ZN7rocprim17ROCPRIM_400000_NS6detail17trampoline_kernelINS0_14default_configENS1_35radix_sort_onesweep_config_selectorImNS0_10empty_typeEEEZNS1_34radix_sort_onesweep_global_offsetsIS3_Lb1EPmPS5_mNS0_19identity_decomposerEEE10hipError_tT1_T2_PT3_SE_jT4_jjP12ihipStream_tbEUlT_E_NS1_11comp_targetILNS1_3genE8ELNS1_11target_archE1030ELNS1_3gpuE2ELNS1_3repE0EEENS1_52radix_sort_onesweep_histogram_config_static_selectorELNS0_4arch9wavefront6targetE1EEEvSC_,@function
_ZN7rocprim17ROCPRIM_400000_NS6detail17trampoline_kernelINS0_14default_configENS1_35radix_sort_onesweep_config_selectorImNS0_10empty_typeEEEZNS1_34radix_sort_onesweep_global_offsetsIS3_Lb1EPmPS5_mNS0_19identity_decomposerEEE10hipError_tT1_T2_PT3_SE_jT4_jjP12ihipStream_tbEUlT_E_NS1_11comp_targetILNS1_3genE8ELNS1_11target_archE1030ELNS1_3gpuE2ELNS1_3repE0EEENS1_52radix_sort_onesweep_histogram_config_static_selectorELNS0_4arch9wavefront6targetE1EEEvSC_: ; @_ZN7rocprim17ROCPRIM_400000_NS6detail17trampoline_kernelINS0_14default_configENS1_35radix_sort_onesweep_config_selectorImNS0_10empty_typeEEEZNS1_34radix_sort_onesweep_global_offsetsIS3_Lb1EPmPS5_mNS0_19identity_decomposerEEE10hipError_tT1_T2_PT3_SE_jT4_jjP12ihipStream_tbEUlT_E_NS1_11comp_targetILNS1_3genE8ELNS1_11target_archE1030ELNS1_3gpuE2ELNS1_3repE0EEENS1_52radix_sort_onesweep_histogram_config_static_selectorELNS0_4arch9wavefront6targetE1EEEvSC_
; %bb.0:
	.section	.rodata,"a",@progbits
	.p2align	6, 0x0
	.amdhsa_kernel _ZN7rocprim17ROCPRIM_400000_NS6detail17trampoline_kernelINS0_14default_configENS1_35radix_sort_onesweep_config_selectorImNS0_10empty_typeEEEZNS1_34radix_sort_onesweep_global_offsetsIS3_Lb1EPmPS5_mNS0_19identity_decomposerEEE10hipError_tT1_T2_PT3_SE_jT4_jjP12ihipStream_tbEUlT_E_NS1_11comp_targetILNS1_3genE8ELNS1_11target_archE1030ELNS1_3gpuE2ELNS1_3repE0EEENS1_52radix_sort_onesweep_histogram_config_static_selectorELNS0_4arch9wavefront6targetE1EEEvSC_
		.amdhsa_group_segment_fixed_size 0
		.amdhsa_private_segment_fixed_size 0
		.amdhsa_kernarg_size 48
		.amdhsa_user_sgpr_count 6
		.amdhsa_user_sgpr_private_segment_buffer 1
		.amdhsa_user_sgpr_dispatch_ptr 0
		.amdhsa_user_sgpr_queue_ptr 0
		.amdhsa_user_sgpr_kernarg_segment_ptr 1
		.amdhsa_user_sgpr_dispatch_id 0
		.amdhsa_user_sgpr_flat_scratch_init 0
		.amdhsa_user_sgpr_kernarg_preload_length 0
		.amdhsa_user_sgpr_kernarg_preload_offset 0
		.amdhsa_user_sgpr_private_segment_size 0
		.amdhsa_uses_dynamic_stack 0
		.amdhsa_system_sgpr_private_segment_wavefront_offset 0
		.amdhsa_system_sgpr_workgroup_id_x 1
		.amdhsa_system_sgpr_workgroup_id_y 0
		.amdhsa_system_sgpr_workgroup_id_z 0
		.amdhsa_system_sgpr_workgroup_info 0
		.amdhsa_system_vgpr_workitem_id 0
		.amdhsa_next_free_vgpr 1
		.amdhsa_next_free_sgpr 0
		.amdhsa_accum_offset 4
		.amdhsa_reserve_vcc 0
		.amdhsa_reserve_flat_scratch 0
		.amdhsa_float_round_mode_32 0
		.amdhsa_float_round_mode_16_64 0
		.amdhsa_float_denorm_mode_32 3
		.amdhsa_float_denorm_mode_16_64 3
		.amdhsa_dx10_clamp 1
		.amdhsa_ieee_mode 1
		.amdhsa_fp16_overflow 0
		.amdhsa_tg_split 0
		.amdhsa_exception_fp_ieee_invalid_op 0
		.amdhsa_exception_fp_denorm_src 0
		.amdhsa_exception_fp_ieee_div_zero 0
		.amdhsa_exception_fp_ieee_overflow 0
		.amdhsa_exception_fp_ieee_underflow 0
		.amdhsa_exception_fp_ieee_inexact 0
		.amdhsa_exception_int_div_zero 0
	.end_amdhsa_kernel
	.section	.text._ZN7rocprim17ROCPRIM_400000_NS6detail17trampoline_kernelINS0_14default_configENS1_35radix_sort_onesweep_config_selectorImNS0_10empty_typeEEEZNS1_34radix_sort_onesweep_global_offsetsIS3_Lb1EPmPS5_mNS0_19identity_decomposerEEE10hipError_tT1_T2_PT3_SE_jT4_jjP12ihipStream_tbEUlT_E_NS1_11comp_targetILNS1_3genE8ELNS1_11target_archE1030ELNS1_3gpuE2ELNS1_3repE0EEENS1_52radix_sort_onesweep_histogram_config_static_selectorELNS0_4arch9wavefront6targetE1EEEvSC_,"axG",@progbits,_ZN7rocprim17ROCPRIM_400000_NS6detail17trampoline_kernelINS0_14default_configENS1_35radix_sort_onesweep_config_selectorImNS0_10empty_typeEEEZNS1_34radix_sort_onesweep_global_offsetsIS3_Lb1EPmPS5_mNS0_19identity_decomposerEEE10hipError_tT1_T2_PT3_SE_jT4_jjP12ihipStream_tbEUlT_E_NS1_11comp_targetILNS1_3genE8ELNS1_11target_archE1030ELNS1_3gpuE2ELNS1_3repE0EEENS1_52radix_sort_onesweep_histogram_config_static_selectorELNS0_4arch9wavefront6targetE1EEEvSC_,comdat
.Lfunc_end2281:
	.size	_ZN7rocprim17ROCPRIM_400000_NS6detail17trampoline_kernelINS0_14default_configENS1_35radix_sort_onesweep_config_selectorImNS0_10empty_typeEEEZNS1_34radix_sort_onesweep_global_offsetsIS3_Lb1EPmPS5_mNS0_19identity_decomposerEEE10hipError_tT1_T2_PT3_SE_jT4_jjP12ihipStream_tbEUlT_E_NS1_11comp_targetILNS1_3genE8ELNS1_11target_archE1030ELNS1_3gpuE2ELNS1_3repE0EEENS1_52radix_sort_onesweep_histogram_config_static_selectorELNS0_4arch9wavefront6targetE1EEEvSC_, .Lfunc_end2281-_ZN7rocprim17ROCPRIM_400000_NS6detail17trampoline_kernelINS0_14default_configENS1_35radix_sort_onesweep_config_selectorImNS0_10empty_typeEEEZNS1_34radix_sort_onesweep_global_offsetsIS3_Lb1EPmPS5_mNS0_19identity_decomposerEEE10hipError_tT1_T2_PT3_SE_jT4_jjP12ihipStream_tbEUlT_E_NS1_11comp_targetILNS1_3genE8ELNS1_11target_archE1030ELNS1_3gpuE2ELNS1_3repE0EEENS1_52radix_sort_onesweep_histogram_config_static_selectorELNS0_4arch9wavefront6targetE1EEEvSC_
                                        ; -- End function
	.section	.AMDGPU.csdata,"",@progbits
; Kernel info:
; codeLenInByte = 0
; NumSgprs: 4
; NumVgprs: 0
; NumAgprs: 0
; TotalNumVgprs: 0
; ScratchSize: 0
; MemoryBound: 0
; FloatMode: 240
; IeeeMode: 1
; LDSByteSize: 0 bytes/workgroup (compile time only)
; SGPRBlocks: 0
; VGPRBlocks: 0
; NumSGPRsForWavesPerEU: 4
; NumVGPRsForWavesPerEU: 1
; AccumOffset: 4
; Occupancy: 8
; WaveLimiterHint : 0
; COMPUTE_PGM_RSRC2:SCRATCH_EN: 0
; COMPUTE_PGM_RSRC2:USER_SGPR: 6
; COMPUTE_PGM_RSRC2:TRAP_HANDLER: 0
; COMPUTE_PGM_RSRC2:TGID_X_EN: 1
; COMPUTE_PGM_RSRC2:TGID_Y_EN: 0
; COMPUTE_PGM_RSRC2:TGID_Z_EN: 0
; COMPUTE_PGM_RSRC2:TIDIG_COMP_CNT: 0
; COMPUTE_PGM_RSRC3_GFX90A:ACCUM_OFFSET: 0
; COMPUTE_PGM_RSRC3_GFX90A:TG_SPLIT: 0
	.section	.text._ZN7rocprim17ROCPRIM_400000_NS6detail17trampoline_kernelINS0_14default_configENS1_35radix_sort_onesweep_config_selectorImNS0_10empty_typeEEEZNS1_34radix_sort_onesweep_global_offsetsIS3_Lb1EPmPS5_mNS0_19identity_decomposerEEE10hipError_tT1_T2_PT3_SE_jT4_jjP12ihipStream_tbEUlT_E0_NS1_11comp_targetILNS1_3genE0ELNS1_11target_archE4294967295ELNS1_3gpuE0ELNS1_3repE0EEENS1_52radix_sort_onesweep_histogram_config_static_selectorELNS0_4arch9wavefront6targetE1EEEvSC_,"axG",@progbits,_ZN7rocprim17ROCPRIM_400000_NS6detail17trampoline_kernelINS0_14default_configENS1_35radix_sort_onesweep_config_selectorImNS0_10empty_typeEEEZNS1_34radix_sort_onesweep_global_offsetsIS3_Lb1EPmPS5_mNS0_19identity_decomposerEEE10hipError_tT1_T2_PT3_SE_jT4_jjP12ihipStream_tbEUlT_E0_NS1_11comp_targetILNS1_3genE0ELNS1_11target_archE4294967295ELNS1_3gpuE0ELNS1_3repE0EEENS1_52radix_sort_onesweep_histogram_config_static_selectorELNS0_4arch9wavefront6targetE1EEEvSC_,comdat
	.protected	_ZN7rocprim17ROCPRIM_400000_NS6detail17trampoline_kernelINS0_14default_configENS1_35radix_sort_onesweep_config_selectorImNS0_10empty_typeEEEZNS1_34radix_sort_onesweep_global_offsetsIS3_Lb1EPmPS5_mNS0_19identity_decomposerEEE10hipError_tT1_T2_PT3_SE_jT4_jjP12ihipStream_tbEUlT_E0_NS1_11comp_targetILNS1_3genE0ELNS1_11target_archE4294967295ELNS1_3gpuE0ELNS1_3repE0EEENS1_52radix_sort_onesweep_histogram_config_static_selectorELNS0_4arch9wavefront6targetE1EEEvSC_ ; -- Begin function _ZN7rocprim17ROCPRIM_400000_NS6detail17trampoline_kernelINS0_14default_configENS1_35radix_sort_onesweep_config_selectorImNS0_10empty_typeEEEZNS1_34radix_sort_onesweep_global_offsetsIS3_Lb1EPmPS5_mNS0_19identity_decomposerEEE10hipError_tT1_T2_PT3_SE_jT4_jjP12ihipStream_tbEUlT_E0_NS1_11comp_targetILNS1_3genE0ELNS1_11target_archE4294967295ELNS1_3gpuE0ELNS1_3repE0EEENS1_52radix_sort_onesweep_histogram_config_static_selectorELNS0_4arch9wavefront6targetE1EEEvSC_
	.globl	_ZN7rocprim17ROCPRIM_400000_NS6detail17trampoline_kernelINS0_14default_configENS1_35radix_sort_onesweep_config_selectorImNS0_10empty_typeEEEZNS1_34radix_sort_onesweep_global_offsetsIS3_Lb1EPmPS5_mNS0_19identity_decomposerEEE10hipError_tT1_T2_PT3_SE_jT4_jjP12ihipStream_tbEUlT_E0_NS1_11comp_targetILNS1_3genE0ELNS1_11target_archE4294967295ELNS1_3gpuE0ELNS1_3repE0EEENS1_52radix_sort_onesweep_histogram_config_static_selectorELNS0_4arch9wavefront6targetE1EEEvSC_
	.p2align	8
	.type	_ZN7rocprim17ROCPRIM_400000_NS6detail17trampoline_kernelINS0_14default_configENS1_35radix_sort_onesweep_config_selectorImNS0_10empty_typeEEEZNS1_34radix_sort_onesweep_global_offsetsIS3_Lb1EPmPS5_mNS0_19identity_decomposerEEE10hipError_tT1_T2_PT3_SE_jT4_jjP12ihipStream_tbEUlT_E0_NS1_11comp_targetILNS1_3genE0ELNS1_11target_archE4294967295ELNS1_3gpuE0ELNS1_3repE0EEENS1_52radix_sort_onesweep_histogram_config_static_selectorELNS0_4arch9wavefront6targetE1EEEvSC_,@function
_ZN7rocprim17ROCPRIM_400000_NS6detail17trampoline_kernelINS0_14default_configENS1_35radix_sort_onesweep_config_selectorImNS0_10empty_typeEEEZNS1_34radix_sort_onesweep_global_offsetsIS3_Lb1EPmPS5_mNS0_19identity_decomposerEEE10hipError_tT1_T2_PT3_SE_jT4_jjP12ihipStream_tbEUlT_E0_NS1_11comp_targetILNS1_3genE0ELNS1_11target_archE4294967295ELNS1_3gpuE0ELNS1_3repE0EEENS1_52radix_sort_onesweep_histogram_config_static_selectorELNS0_4arch9wavefront6targetE1EEEvSC_: ; @_ZN7rocprim17ROCPRIM_400000_NS6detail17trampoline_kernelINS0_14default_configENS1_35radix_sort_onesweep_config_selectorImNS0_10empty_typeEEEZNS1_34radix_sort_onesweep_global_offsetsIS3_Lb1EPmPS5_mNS0_19identity_decomposerEEE10hipError_tT1_T2_PT3_SE_jT4_jjP12ihipStream_tbEUlT_E0_NS1_11comp_targetILNS1_3genE0ELNS1_11target_archE4294967295ELNS1_3gpuE0ELNS1_3repE0EEENS1_52radix_sort_onesweep_histogram_config_static_selectorELNS0_4arch9wavefront6targetE1EEEvSC_
; %bb.0:
	.section	.rodata,"a",@progbits
	.p2align	6, 0x0
	.amdhsa_kernel _ZN7rocprim17ROCPRIM_400000_NS6detail17trampoline_kernelINS0_14default_configENS1_35radix_sort_onesweep_config_selectorImNS0_10empty_typeEEEZNS1_34radix_sort_onesweep_global_offsetsIS3_Lb1EPmPS5_mNS0_19identity_decomposerEEE10hipError_tT1_T2_PT3_SE_jT4_jjP12ihipStream_tbEUlT_E0_NS1_11comp_targetILNS1_3genE0ELNS1_11target_archE4294967295ELNS1_3gpuE0ELNS1_3repE0EEENS1_52radix_sort_onesweep_histogram_config_static_selectorELNS0_4arch9wavefront6targetE1EEEvSC_
		.amdhsa_group_segment_fixed_size 0
		.amdhsa_private_segment_fixed_size 0
		.amdhsa_kernarg_size 8
		.amdhsa_user_sgpr_count 6
		.amdhsa_user_sgpr_private_segment_buffer 1
		.amdhsa_user_sgpr_dispatch_ptr 0
		.amdhsa_user_sgpr_queue_ptr 0
		.amdhsa_user_sgpr_kernarg_segment_ptr 1
		.amdhsa_user_sgpr_dispatch_id 0
		.amdhsa_user_sgpr_flat_scratch_init 0
		.amdhsa_user_sgpr_kernarg_preload_length 0
		.amdhsa_user_sgpr_kernarg_preload_offset 0
		.amdhsa_user_sgpr_private_segment_size 0
		.amdhsa_uses_dynamic_stack 0
		.amdhsa_system_sgpr_private_segment_wavefront_offset 0
		.amdhsa_system_sgpr_workgroup_id_x 1
		.amdhsa_system_sgpr_workgroup_id_y 0
		.amdhsa_system_sgpr_workgroup_id_z 0
		.amdhsa_system_sgpr_workgroup_info 0
		.amdhsa_system_vgpr_workitem_id 0
		.amdhsa_next_free_vgpr 1
		.amdhsa_next_free_sgpr 0
		.amdhsa_accum_offset 4
		.amdhsa_reserve_vcc 0
		.amdhsa_reserve_flat_scratch 0
		.amdhsa_float_round_mode_32 0
		.amdhsa_float_round_mode_16_64 0
		.amdhsa_float_denorm_mode_32 3
		.amdhsa_float_denorm_mode_16_64 3
		.amdhsa_dx10_clamp 1
		.amdhsa_ieee_mode 1
		.amdhsa_fp16_overflow 0
		.amdhsa_tg_split 0
		.amdhsa_exception_fp_ieee_invalid_op 0
		.amdhsa_exception_fp_denorm_src 0
		.amdhsa_exception_fp_ieee_div_zero 0
		.amdhsa_exception_fp_ieee_overflow 0
		.amdhsa_exception_fp_ieee_underflow 0
		.amdhsa_exception_fp_ieee_inexact 0
		.amdhsa_exception_int_div_zero 0
	.end_amdhsa_kernel
	.section	.text._ZN7rocprim17ROCPRIM_400000_NS6detail17trampoline_kernelINS0_14default_configENS1_35radix_sort_onesweep_config_selectorImNS0_10empty_typeEEEZNS1_34radix_sort_onesweep_global_offsetsIS3_Lb1EPmPS5_mNS0_19identity_decomposerEEE10hipError_tT1_T2_PT3_SE_jT4_jjP12ihipStream_tbEUlT_E0_NS1_11comp_targetILNS1_3genE0ELNS1_11target_archE4294967295ELNS1_3gpuE0ELNS1_3repE0EEENS1_52radix_sort_onesweep_histogram_config_static_selectorELNS0_4arch9wavefront6targetE1EEEvSC_,"axG",@progbits,_ZN7rocprim17ROCPRIM_400000_NS6detail17trampoline_kernelINS0_14default_configENS1_35radix_sort_onesweep_config_selectorImNS0_10empty_typeEEEZNS1_34radix_sort_onesweep_global_offsetsIS3_Lb1EPmPS5_mNS0_19identity_decomposerEEE10hipError_tT1_T2_PT3_SE_jT4_jjP12ihipStream_tbEUlT_E0_NS1_11comp_targetILNS1_3genE0ELNS1_11target_archE4294967295ELNS1_3gpuE0ELNS1_3repE0EEENS1_52radix_sort_onesweep_histogram_config_static_selectorELNS0_4arch9wavefront6targetE1EEEvSC_,comdat
.Lfunc_end2282:
	.size	_ZN7rocprim17ROCPRIM_400000_NS6detail17trampoline_kernelINS0_14default_configENS1_35radix_sort_onesweep_config_selectorImNS0_10empty_typeEEEZNS1_34radix_sort_onesweep_global_offsetsIS3_Lb1EPmPS5_mNS0_19identity_decomposerEEE10hipError_tT1_T2_PT3_SE_jT4_jjP12ihipStream_tbEUlT_E0_NS1_11comp_targetILNS1_3genE0ELNS1_11target_archE4294967295ELNS1_3gpuE0ELNS1_3repE0EEENS1_52radix_sort_onesweep_histogram_config_static_selectorELNS0_4arch9wavefront6targetE1EEEvSC_, .Lfunc_end2282-_ZN7rocprim17ROCPRIM_400000_NS6detail17trampoline_kernelINS0_14default_configENS1_35radix_sort_onesweep_config_selectorImNS0_10empty_typeEEEZNS1_34radix_sort_onesweep_global_offsetsIS3_Lb1EPmPS5_mNS0_19identity_decomposerEEE10hipError_tT1_T2_PT3_SE_jT4_jjP12ihipStream_tbEUlT_E0_NS1_11comp_targetILNS1_3genE0ELNS1_11target_archE4294967295ELNS1_3gpuE0ELNS1_3repE0EEENS1_52radix_sort_onesweep_histogram_config_static_selectorELNS0_4arch9wavefront6targetE1EEEvSC_
                                        ; -- End function
	.section	.AMDGPU.csdata,"",@progbits
; Kernel info:
; codeLenInByte = 0
; NumSgprs: 4
; NumVgprs: 0
; NumAgprs: 0
; TotalNumVgprs: 0
; ScratchSize: 0
; MemoryBound: 0
; FloatMode: 240
; IeeeMode: 1
; LDSByteSize: 0 bytes/workgroup (compile time only)
; SGPRBlocks: 0
; VGPRBlocks: 0
; NumSGPRsForWavesPerEU: 4
; NumVGPRsForWavesPerEU: 1
; AccumOffset: 4
; Occupancy: 8
; WaveLimiterHint : 0
; COMPUTE_PGM_RSRC2:SCRATCH_EN: 0
; COMPUTE_PGM_RSRC2:USER_SGPR: 6
; COMPUTE_PGM_RSRC2:TRAP_HANDLER: 0
; COMPUTE_PGM_RSRC2:TGID_X_EN: 1
; COMPUTE_PGM_RSRC2:TGID_Y_EN: 0
; COMPUTE_PGM_RSRC2:TGID_Z_EN: 0
; COMPUTE_PGM_RSRC2:TIDIG_COMP_CNT: 0
; COMPUTE_PGM_RSRC3_GFX90A:ACCUM_OFFSET: 0
; COMPUTE_PGM_RSRC3_GFX90A:TG_SPLIT: 0
	.section	.text._ZN7rocprim17ROCPRIM_400000_NS6detail17trampoline_kernelINS0_14default_configENS1_35radix_sort_onesweep_config_selectorImNS0_10empty_typeEEEZNS1_34radix_sort_onesweep_global_offsetsIS3_Lb1EPmPS5_mNS0_19identity_decomposerEEE10hipError_tT1_T2_PT3_SE_jT4_jjP12ihipStream_tbEUlT_E0_NS1_11comp_targetILNS1_3genE6ELNS1_11target_archE950ELNS1_3gpuE13ELNS1_3repE0EEENS1_52radix_sort_onesweep_histogram_config_static_selectorELNS0_4arch9wavefront6targetE1EEEvSC_,"axG",@progbits,_ZN7rocprim17ROCPRIM_400000_NS6detail17trampoline_kernelINS0_14default_configENS1_35radix_sort_onesweep_config_selectorImNS0_10empty_typeEEEZNS1_34radix_sort_onesweep_global_offsetsIS3_Lb1EPmPS5_mNS0_19identity_decomposerEEE10hipError_tT1_T2_PT3_SE_jT4_jjP12ihipStream_tbEUlT_E0_NS1_11comp_targetILNS1_3genE6ELNS1_11target_archE950ELNS1_3gpuE13ELNS1_3repE0EEENS1_52radix_sort_onesweep_histogram_config_static_selectorELNS0_4arch9wavefront6targetE1EEEvSC_,comdat
	.protected	_ZN7rocprim17ROCPRIM_400000_NS6detail17trampoline_kernelINS0_14default_configENS1_35radix_sort_onesweep_config_selectorImNS0_10empty_typeEEEZNS1_34radix_sort_onesweep_global_offsetsIS3_Lb1EPmPS5_mNS0_19identity_decomposerEEE10hipError_tT1_T2_PT3_SE_jT4_jjP12ihipStream_tbEUlT_E0_NS1_11comp_targetILNS1_3genE6ELNS1_11target_archE950ELNS1_3gpuE13ELNS1_3repE0EEENS1_52radix_sort_onesweep_histogram_config_static_selectorELNS0_4arch9wavefront6targetE1EEEvSC_ ; -- Begin function _ZN7rocprim17ROCPRIM_400000_NS6detail17trampoline_kernelINS0_14default_configENS1_35radix_sort_onesweep_config_selectorImNS0_10empty_typeEEEZNS1_34radix_sort_onesweep_global_offsetsIS3_Lb1EPmPS5_mNS0_19identity_decomposerEEE10hipError_tT1_T2_PT3_SE_jT4_jjP12ihipStream_tbEUlT_E0_NS1_11comp_targetILNS1_3genE6ELNS1_11target_archE950ELNS1_3gpuE13ELNS1_3repE0EEENS1_52radix_sort_onesweep_histogram_config_static_selectorELNS0_4arch9wavefront6targetE1EEEvSC_
	.globl	_ZN7rocprim17ROCPRIM_400000_NS6detail17trampoline_kernelINS0_14default_configENS1_35radix_sort_onesweep_config_selectorImNS0_10empty_typeEEEZNS1_34radix_sort_onesweep_global_offsetsIS3_Lb1EPmPS5_mNS0_19identity_decomposerEEE10hipError_tT1_T2_PT3_SE_jT4_jjP12ihipStream_tbEUlT_E0_NS1_11comp_targetILNS1_3genE6ELNS1_11target_archE950ELNS1_3gpuE13ELNS1_3repE0EEENS1_52radix_sort_onesweep_histogram_config_static_selectorELNS0_4arch9wavefront6targetE1EEEvSC_
	.p2align	8
	.type	_ZN7rocprim17ROCPRIM_400000_NS6detail17trampoline_kernelINS0_14default_configENS1_35radix_sort_onesweep_config_selectorImNS0_10empty_typeEEEZNS1_34radix_sort_onesweep_global_offsetsIS3_Lb1EPmPS5_mNS0_19identity_decomposerEEE10hipError_tT1_T2_PT3_SE_jT4_jjP12ihipStream_tbEUlT_E0_NS1_11comp_targetILNS1_3genE6ELNS1_11target_archE950ELNS1_3gpuE13ELNS1_3repE0EEENS1_52radix_sort_onesweep_histogram_config_static_selectorELNS0_4arch9wavefront6targetE1EEEvSC_,@function
_ZN7rocprim17ROCPRIM_400000_NS6detail17trampoline_kernelINS0_14default_configENS1_35radix_sort_onesweep_config_selectorImNS0_10empty_typeEEEZNS1_34radix_sort_onesweep_global_offsetsIS3_Lb1EPmPS5_mNS0_19identity_decomposerEEE10hipError_tT1_T2_PT3_SE_jT4_jjP12ihipStream_tbEUlT_E0_NS1_11comp_targetILNS1_3genE6ELNS1_11target_archE950ELNS1_3gpuE13ELNS1_3repE0EEENS1_52radix_sort_onesweep_histogram_config_static_selectorELNS0_4arch9wavefront6targetE1EEEvSC_: ; @_ZN7rocprim17ROCPRIM_400000_NS6detail17trampoline_kernelINS0_14default_configENS1_35radix_sort_onesweep_config_selectorImNS0_10empty_typeEEEZNS1_34radix_sort_onesweep_global_offsetsIS3_Lb1EPmPS5_mNS0_19identity_decomposerEEE10hipError_tT1_T2_PT3_SE_jT4_jjP12ihipStream_tbEUlT_E0_NS1_11comp_targetILNS1_3genE6ELNS1_11target_archE950ELNS1_3gpuE13ELNS1_3repE0EEENS1_52radix_sort_onesweep_histogram_config_static_selectorELNS0_4arch9wavefront6targetE1EEEvSC_
; %bb.0:
	.section	.rodata,"a",@progbits
	.p2align	6, 0x0
	.amdhsa_kernel _ZN7rocprim17ROCPRIM_400000_NS6detail17trampoline_kernelINS0_14default_configENS1_35radix_sort_onesweep_config_selectorImNS0_10empty_typeEEEZNS1_34radix_sort_onesweep_global_offsetsIS3_Lb1EPmPS5_mNS0_19identity_decomposerEEE10hipError_tT1_T2_PT3_SE_jT4_jjP12ihipStream_tbEUlT_E0_NS1_11comp_targetILNS1_3genE6ELNS1_11target_archE950ELNS1_3gpuE13ELNS1_3repE0EEENS1_52radix_sort_onesweep_histogram_config_static_selectorELNS0_4arch9wavefront6targetE1EEEvSC_
		.amdhsa_group_segment_fixed_size 0
		.amdhsa_private_segment_fixed_size 0
		.amdhsa_kernarg_size 8
		.amdhsa_user_sgpr_count 6
		.amdhsa_user_sgpr_private_segment_buffer 1
		.amdhsa_user_sgpr_dispatch_ptr 0
		.amdhsa_user_sgpr_queue_ptr 0
		.amdhsa_user_sgpr_kernarg_segment_ptr 1
		.amdhsa_user_sgpr_dispatch_id 0
		.amdhsa_user_sgpr_flat_scratch_init 0
		.amdhsa_user_sgpr_kernarg_preload_length 0
		.amdhsa_user_sgpr_kernarg_preload_offset 0
		.amdhsa_user_sgpr_private_segment_size 0
		.amdhsa_uses_dynamic_stack 0
		.amdhsa_system_sgpr_private_segment_wavefront_offset 0
		.amdhsa_system_sgpr_workgroup_id_x 1
		.amdhsa_system_sgpr_workgroup_id_y 0
		.amdhsa_system_sgpr_workgroup_id_z 0
		.amdhsa_system_sgpr_workgroup_info 0
		.amdhsa_system_vgpr_workitem_id 0
		.amdhsa_next_free_vgpr 1
		.amdhsa_next_free_sgpr 0
		.amdhsa_accum_offset 4
		.amdhsa_reserve_vcc 0
		.amdhsa_reserve_flat_scratch 0
		.amdhsa_float_round_mode_32 0
		.amdhsa_float_round_mode_16_64 0
		.amdhsa_float_denorm_mode_32 3
		.amdhsa_float_denorm_mode_16_64 3
		.amdhsa_dx10_clamp 1
		.amdhsa_ieee_mode 1
		.amdhsa_fp16_overflow 0
		.amdhsa_tg_split 0
		.amdhsa_exception_fp_ieee_invalid_op 0
		.amdhsa_exception_fp_denorm_src 0
		.amdhsa_exception_fp_ieee_div_zero 0
		.amdhsa_exception_fp_ieee_overflow 0
		.amdhsa_exception_fp_ieee_underflow 0
		.amdhsa_exception_fp_ieee_inexact 0
		.amdhsa_exception_int_div_zero 0
	.end_amdhsa_kernel
	.section	.text._ZN7rocprim17ROCPRIM_400000_NS6detail17trampoline_kernelINS0_14default_configENS1_35radix_sort_onesweep_config_selectorImNS0_10empty_typeEEEZNS1_34radix_sort_onesweep_global_offsetsIS3_Lb1EPmPS5_mNS0_19identity_decomposerEEE10hipError_tT1_T2_PT3_SE_jT4_jjP12ihipStream_tbEUlT_E0_NS1_11comp_targetILNS1_3genE6ELNS1_11target_archE950ELNS1_3gpuE13ELNS1_3repE0EEENS1_52radix_sort_onesweep_histogram_config_static_selectorELNS0_4arch9wavefront6targetE1EEEvSC_,"axG",@progbits,_ZN7rocprim17ROCPRIM_400000_NS6detail17trampoline_kernelINS0_14default_configENS1_35radix_sort_onesweep_config_selectorImNS0_10empty_typeEEEZNS1_34radix_sort_onesweep_global_offsetsIS3_Lb1EPmPS5_mNS0_19identity_decomposerEEE10hipError_tT1_T2_PT3_SE_jT4_jjP12ihipStream_tbEUlT_E0_NS1_11comp_targetILNS1_3genE6ELNS1_11target_archE950ELNS1_3gpuE13ELNS1_3repE0EEENS1_52radix_sort_onesweep_histogram_config_static_selectorELNS0_4arch9wavefront6targetE1EEEvSC_,comdat
.Lfunc_end2283:
	.size	_ZN7rocprim17ROCPRIM_400000_NS6detail17trampoline_kernelINS0_14default_configENS1_35radix_sort_onesweep_config_selectorImNS0_10empty_typeEEEZNS1_34radix_sort_onesweep_global_offsetsIS3_Lb1EPmPS5_mNS0_19identity_decomposerEEE10hipError_tT1_T2_PT3_SE_jT4_jjP12ihipStream_tbEUlT_E0_NS1_11comp_targetILNS1_3genE6ELNS1_11target_archE950ELNS1_3gpuE13ELNS1_3repE0EEENS1_52radix_sort_onesweep_histogram_config_static_selectorELNS0_4arch9wavefront6targetE1EEEvSC_, .Lfunc_end2283-_ZN7rocprim17ROCPRIM_400000_NS6detail17trampoline_kernelINS0_14default_configENS1_35radix_sort_onesweep_config_selectorImNS0_10empty_typeEEEZNS1_34radix_sort_onesweep_global_offsetsIS3_Lb1EPmPS5_mNS0_19identity_decomposerEEE10hipError_tT1_T2_PT3_SE_jT4_jjP12ihipStream_tbEUlT_E0_NS1_11comp_targetILNS1_3genE6ELNS1_11target_archE950ELNS1_3gpuE13ELNS1_3repE0EEENS1_52radix_sort_onesweep_histogram_config_static_selectorELNS0_4arch9wavefront6targetE1EEEvSC_
                                        ; -- End function
	.section	.AMDGPU.csdata,"",@progbits
; Kernel info:
; codeLenInByte = 0
; NumSgprs: 4
; NumVgprs: 0
; NumAgprs: 0
; TotalNumVgprs: 0
; ScratchSize: 0
; MemoryBound: 0
; FloatMode: 240
; IeeeMode: 1
; LDSByteSize: 0 bytes/workgroup (compile time only)
; SGPRBlocks: 0
; VGPRBlocks: 0
; NumSGPRsForWavesPerEU: 4
; NumVGPRsForWavesPerEU: 1
; AccumOffset: 4
; Occupancy: 8
; WaveLimiterHint : 0
; COMPUTE_PGM_RSRC2:SCRATCH_EN: 0
; COMPUTE_PGM_RSRC2:USER_SGPR: 6
; COMPUTE_PGM_RSRC2:TRAP_HANDLER: 0
; COMPUTE_PGM_RSRC2:TGID_X_EN: 1
; COMPUTE_PGM_RSRC2:TGID_Y_EN: 0
; COMPUTE_PGM_RSRC2:TGID_Z_EN: 0
; COMPUTE_PGM_RSRC2:TIDIG_COMP_CNT: 0
; COMPUTE_PGM_RSRC3_GFX90A:ACCUM_OFFSET: 0
; COMPUTE_PGM_RSRC3_GFX90A:TG_SPLIT: 0
	.section	.text._ZN7rocprim17ROCPRIM_400000_NS6detail17trampoline_kernelINS0_14default_configENS1_35radix_sort_onesweep_config_selectorImNS0_10empty_typeEEEZNS1_34radix_sort_onesweep_global_offsetsIS3_Lb1EPmPS5_mNS0_19identity_decomposerEEE10hipError_tT1_T2_PT3_SE_jT4_jjP12ihipStream_tbEUlT_E0_NS1_11comp_targetILNS1_3genE5ELNS1_11target_archE942ELNS1_3gpuE9ELNS1_3repE0EEENS1_52radix_sort_onesweep_histogram_config_static_selectorELNS0_4arch9wavefront6targetE1EEEvSC_,"axG",@progbits,_ZN7rocprim17ROCPRIM_400000_NS6detail17trampoline_kernelINS0_14default_configENS1_35radix_sort_onesweep_config_selectorImNS0_10empty_typeEEEZNS1_34radix_sort_onesweep_global_offsetsIS3_Lb1EPmPS5_mNS0_19identity_decomposerEEE10hipError_tT1_T2_PT3_SE_jT4_jjP12ihipStream_tbEUlT_E0_NS1_11comp_targetILNS1_3genE5ELNS1_11target_archE942ELNS1_3gpuE9ELNS1_3repE0EEENS1_52radix_sort_onesweep_histogram_config_static_selectorELNS0_4arch9wavefront6targetE1EEEvSC_,comdat
	.protected	_ZN7rocprim17ROCPRIM_400000_NS6detail17trampoline_kernelINS0_14default_configENS1_35radix_sort_onesweep_config_selectorImNS0_10empty_typeEEEZNS1_34radix_sort_onesweep_global_offsetsIS3_Lb1EPmPS5_mNS0_19identity_decomposerEEE10hipError_tT1_T2_PT3_SE_jT4_jjP12ihipStream_tbEUlT_E0_NS1_11comp_targetILNS1_3genE5ELNS1_11target_archE942ELNS1_3gpuE9ELNS1_3repE0EEENS1_52radix_sort_onesweep_histogram_config_static_selectorELNS0_4arch9wavefront6targetE1EEEvSC_ ; -- Begin function _ZN7rocprim17ROCPRIM_400000_NS6detail17trampoline_kernelINS0_14default_configENS1_35radix_sort_onesweep_config_selectorImNS0_10empty_typeEEEZNS1_34radix_sort_onesweep_global_offsetsIS3_Lb1EPmPS5_mNS0_19identity_decomposerEEE10hipError_tT1_T2_PT3_SE_jT4_jjP12ihipStream_tbEUlT_E0_NS1_11comp_targetILNS1_3genE5ELNS1_11target_archE942ELNS1_3gpuE9ELNS1_3repE0EEENS1_52radix_sort_onesweep_histogram_config_static_selectorELNS0_4arch9wavefront6targetE1EEEvSC_
	.globl	_ZN7rocprim17ROCPRIM_400000_NS6detail17trampoline_kernelINS0_14default_configENS1_35radix_sort_onesweep_config_selectorImNS0_10empty_typeEEEZNS1_34radix_sort_onesweep_global_offsetsIS3_Lb1EPmPS5_mNS0_19identity_decomposerEEE10hipError_tT1_T2_PT3_SE_jT4_jjP12ihipStream_tbEUlT_E0_NS1_11comp_targetILNS1_3genE5ELNS1_11target_archE942ELNS1_3gpuE9ELNS1_3repE0EEENS1_52radix_sort_onesweep_histogram_config_static_selectorELNS0_4arch9wavefront6targetE1EEEvSC_
	.p2align	8
	.type	_ZN7rocprim17ROCPRIM_400000_NS6detail17trampoline_kernelINS0_14default_configENS1_35radix_sort_onesweep_config_selectorImNS0_10empty_typeEEEZNS1_34radix_sort_onesweep_global_offsetsIS3_Lb1EPmPS5_mNS0_19identity_decomposerEEE10hipError_tT1_T2_PT3_SE_jT4_jjP12ihipStream_tbEUlT_E0_NS1_11comp_targetILNS1_3genE5ELNS1_11target_archE942ELNS1_3gpuE9ELNS1_3repE0EEENS1_52radix_sort_onesweep_histogram_config_static_selectorELNS0_4arch9wavefront6targetE1EEEvSC_,@function
_ZN7rocprim17ROCPRIM_400000_NS6detail17trampoline_kernelINS0_14default_configENS1_35radix_sort_onesweep_config_selectorImNS0_10empty_typeEEEZNS1_34radix_sort_onesweep_global_offsetsIS3_Lb1EPmPS5_mNS0_19identity_decomposerEEE10hipError_tT1_T2_PT3_SE_jT4_jjP12ihipStream_tbEUlT_E0_NS1_11comp_targetILNS1_3genE5ELNS1_11target_archE942ELNS1_3gpuE9ELNS1_3repE0EEENS1_52radix_sort_onesweep_histogram_config_static_selectorELNS0_4arch9wavefront6targetE1EEEvSC_: ; @_ZN7rocprim17ROCPRIM_400000_NS6detail17trampoline_kernelINS0_14default_configENS1_35radix_sort_onesweep_config_selectorImNS0_10empty_typeEEEZNS1_34radix_sort_onesweep_global_offsetsIS3_Lb1EPmPS5_mNS0_19identity_decomposerEEE10hipError_tT1_T2_PT3_SE_jT4_jjP12ihipStream_tbEUlT_E0_NS1_11comp_targetILNS1_3genE5ELNS1_11target_archE942ELNS1_3gpuE9ELNS1_3repE0EEENS1_52radix_sort_onesweep_histogram_config_static_selectorELNS0_4arch9wavefront6targetE1EEEvSC_
; %bb.0:
	.section	.rodata,"a",@progbits
	.p2align	6, 0x0
	.amdhsa_kernel _ZN7rocprim17ROCPRIM_400000_NS6detail17trampoline_kernelINS0_14default_configENS1_35radix_sort_onesweep_config_selectorImNS0_10empty_typeEEEZNS1_34radix_sort_onesweep_global_offsetsIS3_Lb1EPmPS5_mNS0_19identity_decomposerEEE10hipError_tT1_T2_PT3_SE_jT4_jjP12ihipStream_tbEUlT_E0_NS1_11comp_targetILNS1_3genE5ELNS1_11target_archE942ELNS1_3gpuE9ELNS1_3repE0EEENS1_52radix_sort_onesweep_histogram_config_static_selectorELNS0_4arch9wavefront6targetE1EEEvSC_
		.amdhsa_group_segment_fixed_size 0
		.amdhsa_private_segment_fixed_size 0
		.amdhsa_kernarg_size 8
		.amdhsa_user_sgpr_count 6
		.amdhsa_user_sgpr_private_segment_buffer 1
		.amdhsa_user_sgpr_dispatch_ptr 0
		.amdhsa_user_sgpr_queue_ptr 0
		.amdhsa_user_sgpr_kernarg_segment_ptr 1
		.amdhsa_user_sgpr_dispatch_id 0
		.amdhsa_user_sgpr_flat_scratch_init 0
		.amdhsa_user_sgpr_kernarg_preload_length 0
		.amdhsa_user_sgpr_kernarg_preload_offset 0
		.amdhsa_user_sgpr_private_segment_size 0
		.amdhsa_uses_dynamic_stack 0
		.amdhsa_system_sgpr_private_segment_wavefront_offset 0
		.amdhsa_system_sgpr_workgroup_id_x 1
		.amdhsa_system_sgpr_workgroup_id_y 0
		.amdhsa_system_sgpr_workgroup_id_z 0
		.amdhsa_system_sgpr_workgroup_info 0
		.amdhsa_system_vgpr_workitem_id 0
		.amdhsa_next_free_vgpr 1
		.amdhsa_next_free_sgpr 0
		.amdhsa_accum_offset 4
		.amdhsa_reserve_vcc 0
		.amdhsa_reserve_flat_scratch 0
		.amdhsa_float_round_mode_32 0
		.amdhsa_float_round_mode_16_64 0
		.amdhsa_float_denorm_mode_32 3
		.amdhsa_float_denorm_mode_16_64 3
		.amdhsa_dx10_clamp 1
		.amdhsa_ieee_mode 1
		.amdhsa_fp16_overflow 0
		.amdhsa_tg_split 0
		.amdhsa_exception_fp_ieee_invalid_op 0
		.amdhsa_exception_fp_denorm_src 0
		.amdhsa_exception_fp_ieee_div_zero 0
		.amdhsa_exception_fp_ieee_overflow 0
		.amdhsa_exception_fp_ieee_underflow 0
		.amdhsa_exception_fp_ieee_inexact 0
		.amdhsa_exception_int_div_zero 0
	.end_amdhsa_kernel
	.section	.text._ZN7rocprim17ROCPRIM_400000_NS6detail17trampoline_kernelINS0_14default_configENS1_35radix_sort_onesweep_config_selectorImNS0_10empty_typeEEEZNS1_34radix_sort_onesweep_global_offsetsIS3_Lb1EPmPS5_mNS0_19identity_decomposerEEE10hipError_tT1_T2_PT3_SE_jT4_jjP12ihipStream_tbEUlT_E0_NS1_11comp_targetILNS1_3genE5ELNS1_11target_archE942ELNS1_3gpuE9ELNS1_3repE0EEENS1_52radix_sort_onesweep_histogram_config_static_selectorELNS0_4arch9wavefront6targetE1EEEvSC_,"axG",@progbits,_ZN7rocprim17ROCPRIM_400000_NS6detail17trampoline_kernelINS0_14default_configENS1_35radix_sort_onesweep_config_selectorImNS0_10empty_typeEEEZNS1_34radix_sort_onesweep_global_offsetsIS3_Lb1EPmPS5_mNS0_19identity_decomposerEEE10hipError_tT1_T2_PT3_SE_jT4_jjP12ihipStream_tbEUlT_E0_NS1_11comp_targetILNS1_3genE5ELNS1_11target_archE942ELNS1_3gpuE9ELNS1_3repE0EEENS1_52radix_sort_onesweep_histogram_config_static_selectorELNS0_4arch9wavefront6targetE1EEEvSC_,comdat
.Lfunc_end2284:
	.size	_ZN7rocprim17ROCPRIM_400000_NS6detail17trampoline_kernelINS0_14default_configENS1_35radix_sort_onesweep_config_selectorImNS0_10empty_typeEEEZNS1_34radix_sort_onesweep_global_offsetsIS3_Lb1EPmPS5_mNS0_19identity_decomposerEEE10hipError_tT1_T2_PT3_SE_jT4_jjP12ihipStream_tbEUlT_E0_NS1_11comp_targetILNS1_3genE5ELNS1_11target_archE942ELNS1_3gpuE9ELNS1_3repE0EEENS1_52radix_sort_onesweep_histogram_config_static_selectorELNS0_4arch9wavefront6targetE1EEEvSC_, .Lfunc_end2284-_ZN7rocprim17ROCPRIM_400000_NS6detail17trampoline_kernelINS0_14default_configENS1_35radix_sort_onesweep_config_selectorImNS0_10empty_typeEEEZNS1_34radix_sort_onesweep_global_offsetsIS3_Lb1EPmPS5_mNS0_19identity_decomposerEEE10hipError_tT1_T2_PT3_SE_jT4_jjP12ihipStream_tbEUlT_E0_NS1_11comp_targetILNS1_3genE5ELNS1_11target_archE942ELNS1_3gpuE9ELNS1_3repE0EEENS1_52radix_sort_onesweep_histogram_config_static_selectorELNS0_4arch9wavefront6targetE1EEEvSC_
                                        ; -- End function
	.section	.AMDGPU.csdata,"",@progbits
; Kernel info:
; codeLenInByte = 0
; NumSgprs: 4
; NumVgprs: 0
; NumAgprs: 0
; TotalNumVgprs: 0
; ScratchSize: 0
; MemoryBound: 0
; FloatMode: 240
; IeeeMode: 1
; LDSByteSize: 0 bytes/workgroup (compile time only)
; SGPRBlocks: 0
; VGPRBlocks: 0
; NumSGPRsForWavesPerEU: 4
; NumVGPRsForWavesPerEU: 1
; AccumOffset: 4
; Occupancy: 8
; WaveLimiterHint : 0
; COMPUTE_PGM_RSRC2:SCRATCH_EN: 0
; COMPUTE_PGM_RSRC2:USER_SGPR: 6
; COMPUTE_PGM_RSRC2:TRAP_HANDLER: 0
; COMPUTE_PGM_RSRC2:TGID_X_EN: 1
; COMPUTE_PGM_RSRC2:TGID_Y_EN: 0
; COMPUTE_PGM_RSRC2:TGID_Z_EN: 0
; COMPUTE_PGM_RSRC2:TIDIG_COMP_CNT: 0
; COMPUTE_PGM_RSRC3_GFX90A:ACCUM_OFFSET: 0
; COMPUTE_PGM_RSRC3_GFX90A:TG_SPLIT: 0
	.section	.text._ZN7rocprim17ROCPRIM_400000_NS6detail17trampoline_kernelINS0_14default_configENS1_35radix_sort_onesweep_config_selectorImNS0_10empty_typeEEEZNS1_34radix_sort_onesweep_global_offsetsIS3_Lb1EPmPS5_mNS0_19identity_decomposerEEE10hipError_tT1_T2_PT3_SE_jT4_jjP12ihipStream_tbEUlT_E0_NS1_11comp_targetILNS1_3genE2ELNS1_11target_archE906ELNS1_3gpuE6ELNS1_3repE0EEENS1_52radix_sort_onesweep_histogram_config_static_selectorELNS0_4arch9wavefront6targetE1EEEvSC_,"axG",@progbits,_ZN7rocprim17ROCPRIM_400000_NS6detail17trampoline_kernelINS0_14default_configENS1_35radix_sort_onesweep_config_selectorImNS0_10empty_typeEEEZNS1_34radix_sort_onesweep_global_offsetsIS3_Lb1EPmPS5_mNS0_19identity_decomposerEEE10hipError_tT1_T2_PT3_SE_jT4_jjP12ihipStream_tbEUlT_E0_NS1_11comp_targetILNS1_3genE2ELNS1_11target_archE906ELNS1_3gpuE6ELNS1_3repE0EEENS1_52radix_sort_onesweep_histogram_config_static_selectorELNS0_4arch9wavefront6targetE1EEEvSC_,comdat
	.protected	_ZN7rocprim17ROCPRIM_400000_NS6detail17trampoline_kernelINS0_14default_configENS1_35radix_sort_onesweep_config_selectorImNS0_10empty_typeEEEZNS1_34radix_sort_onesweep_global_offsetsIS3_Lb1EPmPS5_mNS0_19identity_decomposerEEE10hipError_tT1_T2_PT3_SE_jT4_jjP12ihipStream_tbEUlT_E0_NS1_11comp_targetILNS1_3genE2ELNS1_11target_archE906ELNS1_3gpuE6ELNS1_3repE0EEENS1_52radix_sort_onesweep_histogram_config_static_selectorELNS0_4arch9wavefront6targetE1EEEvSC_ ; -- Begin function _ZN7rocprim17ROCPRIM_400000_NS6detail17trampoline_kernelINS0_14default_configENS1_35radix_sort_onesweep_config_selectorImNS0_10empty_typeEEEZNS1_34radix_sort_onesweep_global_offsetsIS3_Lb1EPmPS5_mNS0_19identity_decomposerEEE10hipError_tT1_T2_PT3_SE_jT4_jjP12ihipStream_tbEUlT_E0_NS1_11comp_targetILNS1_3genE2ELNS1_11target_archE906ELNS1_3gpuE6ELNS1_3repE0EEENS1_52radix_sort_onesweep_histogram_config_static_selectorELNS0_4arch9wavefront6targetE1EEEvSC_
	.globl	_ZN7rocprim17ROCPRIM_400000_NS6detail17trampoline_kernelINS0_14default_configENS1_35radix_sort_onesweep_config_selectorImNS0_10empty_typeEEEZNS1_34radix_sort_onesweep_global_offsetsIS3_Lb1EPmPS5_mNS0_19identity_decomposerEEE10hipError_tT1_T2_PT3_SE_jT4_jjP12ihipStream_tbEUlT_E0_NS1_11comp_targetILNS1_3genE2ELNS1_11target_archE906ELNS1_3gpuE6ELNS1_3repE0EEENS1_52radix_sort_onesweep_histogram_config_static_selectorELNS0_4arch9wavefront6targetE1EEEvSC_
	.p2align	8
	.type	_ZN7rocprim17ROCPRIM_400000_NS6detail17trampoline_kernelINS0_14default_configENS1_35radix_sort_onesweep_config_selectorImNS0_10empty_typeEEEZNS1_34radix_sort_onesweep_global_offsetsIS3_Lb1EPmPS5_mNS0_19identity_decomposerEEE10hipError_tT1_T2_PT3_SE_jT4_jjP12ihipStream_tbEUlT_E0_NS1_11comp_targetILNS1_3genE2ELNS1_11target_archE906ELNS1_3gpuE6ELNS1_3repE0EEENS1_52radix_sort_onesweep_histogram_config_static_selectorELNS0_4arch9wavefront6targetE1EEEvSC_,@function
_ZN7rocprim17ROCPRIM_400000_NS6detail17trampoline_kernelINS0_14default_configENS1_35radix_sort_onesweep_config_selectorImNS0_10empty_typeEEEZNS1_34radix_sort_onesweep_global_offsetsIS3_Lb1EPmPS5_mNS0_19identity_decomposerEEE10hipError_tT1_T2_PT3_SE_jT4_jjP12ihipStream_tbEUlT_E0_NS1_11comp_targetILNS1_3genE2ELNS1_11target_archE906ELNS1_3gpuE6ELNS1_3repE0EEENS1_52radix_sort_onesweep_histogram_config_static_selectorELNS0_4arch9wavefront6targetE1EEEvSC_: ; @_ZN7rocprim17ROCPRIM_400000_NS6detail17trampoline_kernelINS0_14default_configENS1_35radix_sort_onesweep_config_selectorImNS0_10empty_typeEEEZNS1_34radix_sort_onesweep_global_offsetsIS3_Lb1EPmPS5_mNS0_19identity_decomposerEEE10hipError_tT1_T2_PT3_SE_jT4_jjP12ihipStream_tbEUlT_E0_NS1_11comp_targetILNS1_3genE2ELNS1_11target_archE906ELNS1_3gpuE6ELNS1_3repE0EEENS1_52radix_sort_onesweep_histogram_config_static_selectorELNS0_4arch9wavefront6targetE1EEEvSC_
; %bb.0:
	.section	.rodata,"a",@progbits
	.p2align	6, 0x0
	.amdhsa_kernel _ZN7rocprim17ROCPRIM_400000_NS6detail17trampoline_kernelINS0_14default_configENS1_35radix_sort_onesweep_config_selectorImNS0_10empty_typeEEEZNS1_34radix_sort_onesweep_global_offsetsIS3_Lb1EPmPS5_mNS0_19identity_decomposerEEE10hipError_tT1_T2_PT3_SE_jT4_jjP12ihipStream_tbEUlT_E0_NS1_11comp_targetILNS1_3genE2ELNS1_11target_archE906ELNS1_3gpuE6ELNS1_3repE0EEENS1_52radix_sort_onesweep_histogram_config_static_selectorELNS0_4arch9wavefront6targetE1EEEvSC_
		.amdhsa_group_segment_fixed_size 0
		.amdhsa_private_segment_fixed_size 0
		.amdhsa_kernarg_size 8
		.amdhsa_user_sgpr_count 6
		.amdhsa_user_sgpr_private_segment_buffer 1
		.amdhsa_user_sgpr_dispatch_ptr 0
		.amdhsa_user_sgpr_queue_ptr 0
		.amdhsa_user_sgpr_kernarg_segment_ptr 1
		.amdhsa_user_sgpr_dispatch_id 0
		.amdhsa_user_sgpr_flat_scratch_init 0
		.amdhsa_user_sgpr_kernarg_preload_length 0
		.amdhsa_user_sgpr_kernarg_preload_offset 0
		.amdhsa_user_sgpr_private_segment_size 0
		.amdhsa_uses_dynamic_stack 0
		.amdhsa_system_sgpr_private_segment_wavefront_offset 0
		.amdhsa_system_sgpr_workgroup_id_x 1
		.amdhsa_system_sgpr_workgroup_id_y 0
		.amdhsa_system_sgpr_workgroup_id_z 0
		.amdhsa_system_sgpr_workgroup_info 0
		.amdhsa_system_vgpr_workitem_id 0
		.amdhsa_next_free_vgpr 1
		.amdhsa_next_free_sgpr 0
		.amdhsa_accum_offset 4
		.amdhsa_reserve_vcc 0
		.amdhsa_reserve_flat_scratch 0
		.amdhsa_float_round_mode_32 0
		.amdhsa_float_round_mode_16_64 0
		.amdhsa_float_denorm_mode_32 3
		.amdhsa_float_denorm_mode_16_64 3
		.amdhsa_dx10_clamp 1
		.amdhsa_ieee_mode 1
		.amdhsa_fp16_overflow 0
		.amdhsa_tg_split 0
		.amdhsa_exception_fp_ieee_invalid_op 0
		.amdhsa_exception_fp_denorm_src 0
		.amdhsa_exception_fp_ieee_div_zero 0
		.amdhsa_exception_fp_ieee_overflow 0
		.amdhsa_exception_fp_ieee_underflow 0
		.amdhsa_exception_fp_ieee_inexact 0
		.amdhsa_exception_int_div_zero 0
	.end_amdhsa_kernel
	.section	.text._ZN7rocprim17ROCPRIM_400000_NS6detail17trampoline_kernelINS0_14default_configENS1_35radix_sort_onesweep_config_selectorImNS0_10empty_typeEEEZNS1_34radix_sort_onesweep_global_offsetsIS3_Lb1EPmPS5_mNS0_19identity_decomposerEEE10hipError_tT1_T2_PT3_SE_jT4_jjP12ihipStream_tbEUlT_E0_NS1_11comp_targetILNS1_3genE2ELNS1_11target_archE906ELNS1_3gpuE6ELNS1_3repE0EEENS1_52radix_sort_onesweep_histogram_config_static_selectorELNS0_4arch9wavefront6targetE1EEEvSC_,"axG",@progbits,_ZN7rocprim17ROCPRIM_400000_NS6detail17trampoline_kernelINS0_14default_configENS1_35radix_sort_onesweep_config_selectorImNS0_10empty_typeEEEZNS1_34radix_sort_onesweep_global_offsetsIS3_Lb1EPmPS5_mNS0_19identity_decomposerEEE10hipError_tT1_T2_PT3_SE_jT4_jjP12ihipStream_tbEUlT_E0_NS1_11comp_targetILNS1_3genE2ELNS1_11target_archE906ELNS1_3gpuE6ELNS1_3repE0EEENS1_52radix_sort_onesweep_histogram_config_static_selectorELNS0_4arch9wavefront6targetE1EEEvSC_,comdat
.Lfunc_end2285:
	.size	_ZN7rocprim17ROCPRIM_400000_NS6detail17trampoline_kernelINS0_14default_configENS1_35radix_sort_onesweep_config_selectorImNS0_10empty_typeEEEZNS1_34radix_sort_onesweep_global_offsetsIS3_Lb1EPmPS5_mNS0_19identity_decomposerEEE10hipError_tT1_T2_PT3_SE_jT4_jjP12ihipStream_tbEUlT_E0_NS1_11comp_targetILNS1_3genE2ELNS1_11target_archE906ELNS1_3gpuE6ELNS1_3repE0EEENS1_52radix_sort_onesweep_histogram_config_static_selectorELNS0_4arch9wavefront6targetE1EEEvSC_, .Lfunc_end2285-_ZN7rocprim17ROCPRIM_400000_NS6detail17trampoline_kernelINS0_14default_configENS1_35radix_sort_onesweep_config_selectorImNS0_10empty_typeEEEZNS1_34radix_sort_onesweep_global_offsetsIS3_Lb1EPmPS5_mNS0_19identity_decomposerEEE10hipError_tT1_T2_PT3_SE_jT4_jjP12ihipStream_tbEUlT_E0_NS1_11comp_targetILNS1_3genE2ELNS1_11target_archE906ELNS1_3gpuE6ELNS1_3repE0EEENS1_52radix_sort_onesweep_histogram_config_static_selectorELNS0_4arch9wavefront6targetE1EEEvSC_
                                        ; -- End function
	.section	.AMDGPU.csdata,"",@progbits
; Kernel info:
; codeLenInByte = 0
; NumSgprs: 4
; NumVgprs: 0
; NumAgprs: 0
; TotalNumVgprs: 0
; ScratchSize: 0
; MemoryBound: 0
; FloatMode: 240
; IeeeMode: 1
; LDSByteSize: 0 bytes/workgroup (compile time only)
; SGPRBlocks: 0
; VGPRBlocks: 0
; NumSGPRsForWavesPerEU: 4
; NumVGPRsForWavesPerEU: 1
; AccumOffset: 4
; Occupancy: 8
; WaveLimiterHint : 0
; COMPUTE_PGM_RSRC2:SCRATCH_EN: 0
; COMPUTE_PGM_RSRC2:USER_SGPR: 6
; COMPUTE_PGM_RSRC2:TRAP_HANDLER: 0
; COMPUTE_PGM_RSRC2:TGID_X_EN: 1
; COMPUTE_PGM_RSRC2:TGID_Y_EN: 0
; COMPUTE_PGM_RSRC2:TGID_Z_EN: 0
; COMPUTE_PGM_RSRC2:TIDIG_COMP_CNT: 0
; COMPUTE_PGM_RSRC3_GFX90A:ACCUM_OFFSET: 0
; COMPUTE_PGM_RSRC3_GFX90A:TG_SPLIT: 0
	.section	.text._ZN7rocprim17ROCPRIM_400000_NS6detail17trampoline_kernelINS0_14default_configENS1_35radix_sort_onesweep_config_selectorImNS0_10empty_typeEEEZNS1_34radix_sort_onesweep_global_offsetsIS3_Lb1EPmPS5_mNS0_19identity_decomposerEEE10hipError_tT1_T2_PT3_SE_jT4_jjP12ihipStream_tbEUlT_E0_NS1_11comp_targetILNS1_3genE4ELNS1_11target_archE910ELNS1_3gpuE8ELNS1_3repE0EEENS1_52radix_sort_onesweep_histogram_config_static_selectorELNS0_4arch9wavefront6targetE1EEEvSC_,"axG",@progbits,_ZN7rocprim17ROCPRIM_400000_NS6detail17trampoline_kernelINS0_14default_configENS1_35radix_sort_onesweep_config_selectorImNS0_10empty_typeEEEZNS1_34radix_sort_onesweep_global_offsetsIS3_Lb1EPmPS5_mNS0_19identity_decomposerEEE10hipError_tT1_T2_PT3_SE_jT4_jjP12ihipStream_tbEUlT_E0_NS1_11comp_targetILNS1_3genE4ELNS1_11target_archE910ELNS1_3gpuE8ELNS1_3repE0EEENS1_52radix_sort_onesweep_histogram_config_static_selectorELNS0_4arch9wavefront6targetE1EEEvSC_,comdat
	.protected	_ZN7rocprim17ROCPRIM_400000_NS6detail17trampoline_kernelINS0_14default_configENS1_35radix_sort_onesweep_config_selectorImNS0_10empty_typeEEEZNS1_34radix_sort_onesweep_global_offsetsIS3_Lb1EPmPS5_mNS0_19identity_decomposerEEE10hipError_tT1_T2_PT3_SE_jT4_jjP12ihipStream_tbEUlT_E0_NS1_11comp_targetILNS1_3genE4ELNS1_11target_archE910ELNS1_3gpuE8ELNS1_3repE0EEENS1_52radix_sort_onesweep_histogram_config_static_selectorELNS0_4arch9wavefront6targetE1EEEvSC_ ; -- Begin function _ZN7rocprim17ROCPRIM_400000_NS6detail17trampoline_kernelINS0_14default_configENS1_35radix_sort_onesweep_config_selectorImNS0_10empty_typeEEEZNS1_34radix_sort_onesweep_global_offsetsIS3_Lb1EPmPS5_mNS0_19identity_decomposerEEE10hipError_tT1_T2_PT3_SE_jT4_jjP12ihipStream_tbEUlT_E0_NS1_11comp_targetILNS1_3genE4ELNS1_11target_archE910ELNS1_3gpuE8ELNS1_3repE0EEENS1_52radix_sort_onesweep_histogram_config_static_selectorELNS0_4arch9wavefront6targetE1EEEvSC_
	.globl	_ZN7rocprim17ROCPRIM_400000_NS6detail17trampoline_kernelINS0_14default_configENS1_35radix_sort_onesweep_config_selectorImNS0_10empty_typeEEEZNS1_34radix_sort_onesweep_global_offsetsIS3_Lb1EPmPS5_mNS0_19identity_decomposerEEE10hipError_tT1_T2_PT3_SE_jT4_jjP12ihipStream_tbEUlT_E0_NS1_11comp_targetILNS1_3genE4ELNS1_11target_archE910ELNS1_3gpuE8ELNS1_3repE0EEENS1_52radix_sort_onesweep_histogram_config_static_selectorELNS0_4arch9wavefront6targetE1EEEvSC_
	.p2align	8
	.type	_ZN7rocprim17ROCPRIM_400000_NS6detail17trampoline_kernelINS0_14default_configENS1_35radix_sort_onesweep_config_selectorImNS0_10empty_typeEEEZNS1_34radix_sort_onesweep_global_offsetsIS3_Lb1EPmPS5_mNS0_19identity_decomposerEEE10hipError_tT1_T2_PT3_SE_jT4_jjP12ihipStream_tbEUlT_E0_NS1_11comp_targetILNS1_3genE4ELNS1_11target_archE910ELNS1_3gpuE8ELNS1_3repE0EEENS1_52radix_sort_onesweep_histogram_config_static_selectorELNS0_4arch9wavefront6targetE1EEEvSC_,@function
_ZN7rocprim17ROCPRIM_400000_NS6detail17trampoline_kernelINS0_14default_configENS1_35radix_sort_onesweep_config_selectorImNS0_10empty_typeEEEZNS1_34radix_sort_onesweep_global_offsetsIS3_Lb1EPmPS5_mNS0_19identity_decomposerEEE10hipError_tT1_T2_PT3_SE_jT4_jjP12ihipStream_tbEUlT_E0_NS1_11comp_targetILNS1_3genE4ELNS1_11target_archE910ELNS1_3gpuE8ELNS1_3repE0EEENS1_52radix_sort_onesweep_histogram_config_static_selectorELNS0_4arch9wavefront6targetE1EEEvSC_: ; @_ZN7rocprim17ROCPRIM_400000_NS6detail17trampoline_kernelINS0_14default_configENS1_35radix_sort_onesweep_config_selectorImNS0_10empty_typeEEEZNS1_34radix_sort_onesweep_global_offsetsIS3_Lb1EPmPS5_mNS0_19identity_decomposerEEE10hipError_tT1_T2_PT3_SE_jT4_jjP12ihipStream_tbEUlT_E0_NS1_11comp_targetILNS1_3genE4ELNS1_11target_archE910ELNS1_3gpuE8ELNS1_3repE0EEENS1_52radix_sort_onesweep_histogram_config_static_selectorELNS0_4arch9wavefront6targetE1EEEvSC_
; %bb.0:
	s_load_dwordx2 s[0:1], s[4:5], 0x0
	s_lshl_b32 s2, s6, 8
	s_mov_b32 s3, 0
	s_lshl_b64 s[2:3], s[2:3], 3
	v_lshlrev_b32_e32 v5, 3, v0
	s_waitcnt lgkmcnt(0)
	s_add_u32 s14, s0, s2
	s_movk_i32 s0, 0x100
	s_addc_u32 s15, s1, s3
	v_cmp_gt_u32_e32 vcc, s0, v0
                                        ; implicit-def: $vgpr2_vgpr3
	s_and_saveexec_b64 s[0:1], vcc
	s_cbranch_execz .LBB2286_2
; %bb.1:
	global_load_dwordx2 v[2:3], v5, s[14:15]
.LBB2286_2:
	s_or_b64 exec, exec, s[0:1]
	s_waitcnt vmcnt(0)
	v_mov_b32_dpp v4, v2 row_shr:1 row_mask:0xf bank_mask:0xf
	v_add_co_u32_e64 v4, s[0:1], v2, v4
	v_mbcnt_lo_u32_b32 v1, -1, 0
	v_addc_co_u32_e64 v8, s[0:1], 0, v3, s[0:1]
	v_mbcnt_hi_u32_b32 v6, -1, v1
	v_mov_b32_dpp v7, v3 row_shr:1 row_mask:0xf bank_mask:0xf
	v_add_co_u32_e64 v9, s[0:1], 0, v4
	v_and_b32_e32 v1, 15, v6
	v_addc_co_u32_e64 v7, s[0:1], v7, v8, s[0:1]
	v_cmp_eq_u32_e64 s[0:1], 0, v1
	v_cndmask_b32_e64 v4, v4, v2, s[0:1]
	v_cndmask_b32_e64 v7, v7, v3, s[0:1]
	v_cndmask_b32_e64 v8, v9, v2, s[0:1]
	v_mov_b32_dpp v9, v4 row_shr:2 row_mask:0xf bank_mask:0xf
	v_mov_b32_dpp v10, v7 row_shr:2 row_mask:0xf bank_mask:0xf
	v_add_co_u32_e64 v9, s[2:3], v9, v8
	v_cmp_lt_u32_e64 s[4:5], 1, v1
	v_addc_co_u32_e64 v10, s[2:3], v10, v7, s[2:3]
	v_cndmask_b32_e64 v4, v4, v9, s[4:5]
	v_cndmask_b32_e64 v7, v7, v10, s[4:5]
	v_cndmask_b32_e64 v8, v8, v9, s[4:5]
	v_mov_b32_dpp v9, v4 row_shr:4 row_mask:0xf bank_mask:0xf
	v_mov_b32_dpp v10, v7 row_shr:4 row_mask:0xf bank_mask:0xf
	v_add_co_u32_e64 v9, s[2:3], v9, v8
	v_cmp_lt_u32_e64 s[6:7], 3, v1
	v_addc_co_u32_e64 v10, s[2:3], v10, v7, s[2:3]
	;; [unrolled: 8-line block ×3, first 2 shown]
	v_cndmask_b32_e64 v11, v4, v9, s[8:9]
	v_cndmask_b32_e64 v1, v7, v10, s[8:9]
	;; [unrolled: 1-line block ×3, first 2 shown]
	v_mov_b32_dpp v7, v11 row_bcast:15 row_mask:0xf bank_mask:0xf
	v_mov_b32_dpp v8, v1 row_bcast:15 row_mask:0xf bank_mask:0xf
	v_and_b32_e32 v10, 16, v6
	v_add_co_u32_e64 v7, s[2:3], v7, v4
	v_addc_co_u32_e64 v9, s[2:3], v8, v1, s[2:3]
	v_cmp_eq_u32_e64 s[10:11], 0, v10
	v_cndmask_b32_e64 v10, v9, v1, s[10:11]
	v_cndmask_b32_e64 v8, v7, v11, s[10:11]
	v_cmp_eq_u32_e64 s[2:3], 0, v6
	v_mov_b32_dpp v10, v10 row_bcast:31 row_mask:0xf bank_mask:0xf
	v_mov_b32_dpp v8, v8 row_bcast:31 row_mask:0xf bank_mask:0xf
	v_cmp_ne_u32_e64 s[12:13], 0, v6
	s_and_saveexec_b64 s[16:17], s[12:13]
; %bb.3:
	v_cndmask_b32_e64 v1, v9, v1, s[10:11]
	v_cndmask_b32_e64 v2, v7, v4, s[10:11]
	v_cmp_lt_u32_e64 s[10:11], 31, v6
	v_cndmask_b32_e64 v4, 0, v8, s[10:11]
	v_cndmask_b32_e64 v3, 0, v10, s[10:11]
	v_add_co_u32_e64 v2, s[10:11], v4, v2
	v_addc_co_u32_e64 v3, s[10:11], v3, v1, s[10:11]
; %bb.4:
	s_or_b64 exec, exec, s[16:17]
	v_and_b32_e32 v1, 63, v0
	v_lshrrev_b32_e32 v4, 6, v0
	v_cmp_eq_u32_e64 s[10:11], 63, v1
	s_and_saveexec_b64 s[12:13], s[10:11]
	s_cbranch_execz .LBB2286_6
; %bb.5:
	v_lshlrev_b32_e32 v1, 3, v4
	ds_write_b64 v1, v[2:3]
.LBB2286_6:
	s_or_b64 exec, exec, s[12:13]
	v_cmp_gt_u32_e64 s[10:11], 16, v0
	s_waitcnt lgkmcnt(0)
	s_barrier
	s_and_saveexec_b64 s[12:13], s[10:11]
	s_cbranch_execz .LBB2286_8
; %bb.7:
	ds_read_b64 v[8:9], v5
	s_waitcnt lgkmcnt(0)
	s_nop 0
	v_mov_b32_dpp v1, v8 row_shr:1 row_mask:0xf bank_mask:0xf
	v_add_co_u32_e64 v1, s[10:11], v8, v1
	v_addc_co_u32_e64 v10, s[10:11], 0, v9, s[10:11]
	v_mov_b32_dpp v7, v9 row_shr:1 row_mask:0xf bank_mask:0xf
	v_add_co_u32_e64 v11, s[10:11], 0, v1
	v_addc_co_u32_e64 v7, s[10:11], v7, v10, s[10:11]
	v_cndmask_b32_e64 v1, v1, v8, s[0:1]
	v_cndmask_b32_e64 v7, v7, v9, s[0:1]
	v_cndmask_b32_e64 v10, v11, v8, s[0:1]
	v_mov_b32_dpp v11, v1 row_shr:2 row_mask:0xf bank_mask:0xf
	v_mov_b32_dpp v12, v7 row_shr:2 row_mask:0xf bank_mask:0xf
	v_add_co_u32_e64 v11, s[10:11], v11, v10
	v_addc_co_u32_e64 v12, s[10:11], v12, v7, s[10:11]
	v_cndmask_b32_e64 v1, v1, v11, s[4:5]
	v_cndmask_b32_e64 v7, v7, v12, s[4:5]
	v_cndmask_b32_e64 v10, v10, v11, s[4:5]
	v_mov_b32_dpp v11, v1 row_shr:4 row_mask:0xf bank_mask:0xf
	;; [unrolled: 7-line block ×3, first 2 shown]
	v_mov_b32_dpp v12, v7 row_shr:8 row_mask:0xf bank_mask:0xf
	v_cndmask_b32_e64 v1, 0, v1, s[8:9]
	v_cndmask_b32_e64 v11, 0, v12, s[8:9]
	v_add_co_u32_e64 v1, s[4:5], v1, v10
	v_addc_co_u32_e64 v7, s[4:5], v11, v7, s[4:5]
	v_cndmask_b32_e64 v9, v7, v9, s[0:1]
	v_cndmask_b32_e64 v8, v1, v8, s[0:1]
	ds_write_b64 v5, v[8:9]
.LBB2286_8:
	s_or_b64 exec, exec, s[12:13]
	v_cmp_lt_u32_e64 s[0:1], 63, v0
	v_pk_mov_b32 v[0:1], 0, 0
	s_waitcnt lgkmcnt(0)
	s_barrier
	s_and_saveexec_b64 s[4:5], s[0:1]
	s_cbranch_execz .LBB2286_10
; %bb.9:
	v_lshl_add_u32 v0, v4, 3, -8
	ds_read_b64 v[0:1], v0
.LBB2286_10:
	s_or_b64 exec, exec, s[4:5]
	s_waitcnt lgkmcnt(0)
	v_add_co_u32_e64 v2, s[0:1], v0, v2
	v_addc_co_u32_e64 v3, s[0:1], v1, v3, s[0:1]
	v_add_u32_e32 v4, -1, v6
	v_and_b32_e32 v7, 64, v6
	v_cmp_lt_i32_e64 s[0:1], v4, v7
	v_cndmask_b32_e64 v4, v4, v6, s[0:1]
	v_lshlrev_b32_e32 v4, 2, v4
	ds_bpermute_b32 v2, v4, v2
	ds_bpermute_b32 v3, v4, v3
	s_and_saveexec_b64 s[0:1], vcc
	s_cbranch_execz .LBB2286_12
; %bb.11:
	s_waitcnt lgkmcnt(0)
	v_cndmask_b32_e64 v1, v3, v1, s[2:3]
	v_cndmask_b32_e64 v0, v2, v0, s[2:3]
	global_store_dwordx2 v5, v[0:1], s[14:15]
.LBB2286_12:
	s_endpgm
	.section	.rodata,"a",@progbits
	.p2align	6, 0x0
	.amdhsa_kernel _ZN7rocprim17ROCPRIM_400000_NS6detail17trampoline_kernelINS0_14default_configENS1_35radix_sort_onesweep_config_selectorImNS0_10empty_typeEEEZNS1_34radix_sort_onesweep_global_offsetsIS3_Lb1EPmPS5_mNS0_19identity_decomposerEEE10hipError_tT1_T2_PT3_SE_jT4_jjP12ihipStream_tbEUlT_E0_NS1_11comp_targetILNS1_3genE4ELNS1_11target_archE910ELNS1_3gpuE8ELNS1_3repE0EEENS1_52radix_sort_onesweep_histogram_config_static_selectorELNS0_4arch9wavefront6targetE1EEEvSC_
		.amdhsa_group_segment_fixed_size 128
		.amdhsa_private_segment_fixed_size 0
		.amdhsa_kernarg_size 8
		.amdhsa_user_sgpr_count 6
		.amdhsa_user_sgpr_private_segment_buffer 1
		.amdhsa_user_sgpr_dispatch_ptr 0
		.amdhsa_user_sgpr_queue_ptr 0
		.amdhsa_user_sgpr_kernarg_segment_ptr 1
		.amdhsa_user_sgpr_dispatch_id 0
		.amdhsa_user_sgpr_flat_scratch_init 0
		.amdhsa_user_sgpr_kernarg_preload_length 0
		.amdhsa_user_sgpr_kernarg_preload_offset 0
		.amdhsa_user_sgpr_private_segment_size 0
		.amdhsa_uses_dynamic_stack 0
		.amdhsa_system_sgpr_private_segment_wavefront_offset 0
		.amdhsa_system_sgpr_workgroup_id_x 1
		.amdhsa_system_sgpr_workgroup_id_y 0
		.amdhsa_system_sgpr_workgroup_id_z 0
		.amdhsa_system_sgpr_workgroup_info 0
		.amdhsa_system_vgpr_workitem_id 0
		.amdhsa_next_free_vgpr 13
		.amdhsa_next_free_sgpr 18
		.amdhsa_accum_offset 16
		.amdhsa_reserve_vcc 1
		.amdhsa_reserve_flat_scratch 0
		.amdhsa_float_round_mode_32 0
		.amdhsa_float_round_mode_16_64 0
		.amdhsa_float_denorm_mode_32 3
		.amdhsa_float_denorm_mode_16_64 3
		.amdhsa_dx10_clamp 1
		.amdhsa_ieee_mode 1
		.amdhsa_fp16_overflow 0
		.amdhsa_tg_split 0
		.amdhsa_exception_fp_ieee_invalid_op 0
		.amdhsa_exception_fp_denorm_src 0
		.amdhsa_exception_fp_ieee_div_zero 0
		.amdhsa_exception_fp_ieee_overflow 0
		.amdhsa_exception_fp_ieee_underflow 0
		.amdhsa_exception_fp_ieee_inexact 0
		.amdhsa_exception_int_div_zero 0
	.end_amdhsa_kernel
	.section	.text._ZN7rocprim17ROCPRIM_400000_NS6detail17trampoline_kernelINS0_14default_configENS1_35radix_sort_onesweep_config_selectorImNS0_10empty_typeEEEZNS1_34radix_sort_onesweep_global_offsetsIS3_Lb1EPmPS5_mNS0_19identity_decomposerEEE10hipError_tT1_T2_PT3_SE_jT4_jjP12ihipStream_tbEUlT_E0_NS1_11comp_targetILNS1_3genE4ELNS1_11target_archE910ELNS1_3gpuE8ELNS1_3repE0EEENS1_52radix_sort_onesweep_histogram_config_static_selectorELNS0_4arch9wavefront6targetE1EEEvSC_,"axG",@progbits,_ZN7rocprim17ROCPRIM_400000_NS6detail17trampoline_kernelINS0_14default_configENS1_35radix_sort_onesweep_config_selectorImNS0_10empty_typeEEEZNS1_34radix_sort_onesweep_global_offsetsIS3_Lb1EPmPS5_mNS0_19identity_decomposerEEE10hipError_tT1_T2_PT3_SE_jT4_jjP12ihipStream_tbEUlT_E0_NS1_11comp_targetILNS1_3genE4ELNS1_11target_archE910ELNS1_3gpuE8ELNS1_3repE0EEENS1_52radix_sort_onesweep_histogram_config_static_selectorELNS0_4arch9wavefront6targetE1EEEvSC_,comdat
.Lfunc_end2286:
	.size	_ZN7rocprim17ROCPRIM_400000_NS6detail17trampoline_kernelINS0_14default_configENS1_35radix_sort_onesweep_config_selectorImNS0_10empty_typeEEEZNS1_34radix_sort_onesweep_global_offsetsIS3_Lb1EPmPS5_mNS0_19identity_decomposerEEE10hipError_tT1_T2_PT3_SE_jT4_jjP12ihipStream_tbEUlT_E0_NS1_11comp_targetILNS1_3genE4ELNS1_11target_archE910ELNS1_3gpuE8ELNS1_3repE0EEENS1_52radix_sort_onesweep_histogram_config_static_selectorELNS0_4arch9wavefront6targetE1EEEvSC_, .Lfunc_end2286-_ZN7rocprim17ROCPRIM_400000_NS6detail17trampoline_kernelINS0_14default_configENS1_35radix_sort_onesweep_config_selectorImNS0_10empty_typeEEEZNS1_34radix_sort_onesweep_global_offsetsIS3_Lb1EPmPS5_mNS0_19identity_decomposerEEE10hipError_tT1_T2_PT3_SE_jT4_jjP12ihipStream_tbEUlT_E0_NS1_11comp_targetILNS1_3genE4ELNS1_11target_archE910ELNS1_3gpuE8ELNS1_3repE0EEENS1_52radix_sort_onesweep_histogram_config_static_selectorELNS0_4arch9wavefront6targetE1EEEvSC_
                                        ; -- End function
	.section	.AMDGPU.csdata,"",@progbits
; Kernel info:
; codeLenInByte = 1012
; NumSgprs: 22
; NumVgprs: 13
; NumAgprs: 0
; TotalNumVgprs: 13
; ScratchSize: 0
; MemoryBound: 0
; FloatMode: 240
; IeeeMode: 1
; LDSByteSize: 128 bytes/workgroup (compile time only)
; SGPRBlocks: 2
; VGPRBlocks: 1
; NumSGPRsForWavesPerEU: 22
; NumVGPRsForWavesPerEU: 13
; AccumOffset: 16
; Occupancy: 8
; WaveLimiterHint : 0
; COMPUTE_PGM_RSRC2:SCRATCH_EN: 0
; COMPUTE_PGM_RSRC2:USER_SGPR: 6
; COMPUTE_PGM_RSRC2:TRAP_HANDLER: 0
; COMPUTE_PGM_RSRC2:TGID_X_EN: 1
; COMPUTE_PGM_RSRC2:TGID_Y_EN: 0
; COMPUTE_PGM_RSRC2:TGID_Z_EN: 0
; COMPUTE_PGM_RSRC2:TIDIG_COMP_CNT: 0
; COMPUTE_PGM_RSRC3_GFX90A:ACCUM_OFFSET: 3
; COMPUTE_PGM_RSRC3_GFX90A:TG_SPLIT: 0
	.section	.text._ZN7rocprim17ROCPRIM_400000_NS6detail17trampoline_kernelINS0_14default_configENS1_35radix_sort_onesweep_config_selectorImNS0_10empty_typeEEEZNS1_34radix_sort_onesweep_global_offsetsIS3_Lb1EPmPS5_mNS0_19identity_decomposerEEE10hipError_tT1_T2_PT3_SE_jT4_jjP12ihipStream_tbEUlT_E0_NS1_11comp_targetILNS1_3genE3ELNS1_11target_archE908ELNS1_3gpuE7ELNS1_3repE0EEENS1_52radix_sort_onesweep_histogram_config_static_selectorELNS0_4arch9wavefront6targetE1EEEvSC_,"axG",@progbits,_ZN7rocprim17ROCPRIM_400000_NS6detail17trampoline_kernelINS0_14default_configENS1_35radix_sort_onesweep_config_selectorImNS0_10empty_typeEEEZNS1_34radix_sort_onesweep_global_offsetsIS3_Lb1EPmPS5_mNS0_19identity_decomposerEEE10hipError_tT1_T2_PT3_SE_jT4_jjP12ihipStream_tbEUlT_E0_NS1_11comp_targetILNS1_3genE3ELNS1_11target_archE908ELNS1_3gpuE7ELNS1_3repE0EEENS1_52radix_sort_onesweep_histogram_config_static_selectorELNS0_4arch9wavefront6targetE1EEEvSC_,comdat
	.protected	_ZN7rocprim17ROCPRIM_400000_NS6detail17trampoline_kernelINS0_14default_configENS1_35radix_sort_onesweep_config_selectorImNS0_10empty_typeEEEZNS1_34radix_sort_onesweep_global_offsetsIS3_Lb1EPmPS5_mNS0_19identity_decomposerEEE10hipError_tT1_T2_PT3_SE_jT4_jjP12ihipStream_tbEUlT_E0_NS1_11comp_targetILNS1_3genE3ELNS1_11target_archE908ELNS1_3gpuE7ELNS1_3repE0EEENS1_52radix_sort_onesweep_histogram_config_static_selectorELNS0_4arch9wavefront6targetE1EEEvSC_ ; -- Begin function _ZN7rocprim17ROCPRIM_400000_NS6detail17trampoline_kernelINS0_14default_configENS1_35radix_sort_onesweep_config_selectorImNS0_10empty_typeEEEZNS1_34radix_sort_onesweep_global_offsetsIS3_Lb1EPmPS5_mNS0_19identity_decomposerEEE10hipError_tT1_T2_PT3_SE_jT4_jjP12ihipStream_tbEUlT_E0_NS1_11comp_targetILNS1_3genE3ELNS1_11target_archE908ELNS1_3gpuE7ELNS1_3repE0EEENS1_52radix_sort_onesweep_histogram_config_static_selectorELNS0_4arch9wavefront6targetE1EEEvSC_
	.globl	_ZN7rocprim17ROCPRIM_400000_NS6detail17trampoline_kernelINS0_14default_configENS1_35radix_sort_onesweep_config_selectorImNS0_10empty_typeEEEZNS1_34radix_sort_onesweep_global_offsetsIS3_Lb1EPmPS5_mNS0_19identity_decomposerEEE10hipError_tT1_T2_PT3_SE_jT4_jjP12ihipStream_tbEUlT_E0_NS1_11comp_targetILNS1_3genE3ELNS1_11target_archE908ELNS1_3gpuE7ELNS1_3repE0EEENS1_52radix_sort_onesweep_histogram_config_static_selectorELNS0_4arch9wavefront6targetE1EEEvSC_
	.p2align	8
	.type	_ZN7rocprim17ROCPRIM_400000_NS6detail17trampoline_kernelINS0_14default_configENS1_35radix_sort_onesweep_config_selectorImNS0_10empty_typeEEEZNS1_34radix_sort_onesweep_global_offsetsIS3_Lb1EPmPS5_mNS0_19identity_decomposerEEE10hipError_tT1_T2_PT3_SE_jT4_jjP12ihipStream_tbEUlT_E0_NS1_11comp_targetILNS1_3genE3ELNS1_11target_archE908ELNS1_3gpuE7ELNS1_3repE0EEENS1_52radix_sort_onesweep_histogram_config_static_selectorELNS0_4arch9wavefront6targetE1EEEvSC_,@function
_ZN7rocprim17ROCPRIM_400000_NS6detail17trampoline_kernelINS0_14default_configENS1_35radix_sort_onesweep_config_selectorImNS0_10empty_typeEEEZNS1_34radix_sort_onesweep_global_offsetsIS3_Lb1EPmPS5_mNS0_19identity_decomposerEEE10hipError_tT1_T2_PT3_SE_jT4_jjP12ihipStream_tbEUlT_E0_NS1_11comp_targetILNS1_3genE3ELNS1_11target_archE908ELNS1_3gpuE7ELNS1_3repE0EEENS1_52radix_sort_onesweep_histogram_config_static_selectorELNS0_4arch9wavefront6targetE1EEEvSC_: ; @_ZN7rocprim17ROCPRIM_400000_NS6detail17trampoline_kernelINS0_14default_configENS1_35radix_sort_onesweep_config_selectorImNS0_10empty_typeEEEZNS1_34radix_sort_onesweep_global_offsetsIS3_Lb1EPmPS5_mNS0_19identity_decomposerEEE10hipError_tT1_T2_PT3_SE_jT4_jjP12ihipStream_tbEUlT_E0_NS1_11comp_targetILNS1_3genE3ELNS1_11target_archE908ELNS1_3gpuE7ELNS1_3repE0EEENS1_52radix_sort_onesweep_histogram_config_static_selectorELNS0_4arch9wavefront6targetE1EEEvSC_
; %bb.0:
	.section	.rodata,"a",@progbits
	.p2align	6, 0x0
	.amdhsa_kernel _ZN7rocprim17ROCPRIM_400000_NS6detail17trampoline_kernelINS0_14default_configENS1_35radix_sort_onesweep_config_selectorImNS0_10empty_typeEEEZNS1_34radix_sort_onesweep_global_offsetsIS3_Lb1EPmPS5_mNS0_19identity_decomposerEEE10hipError_tT1_T2_PT3_SE_jT4_jjP12ihipStream_tbEUlT_E0_NS1_11comp_targetILNS1_3genE3ELNS1_11target_archE908ELNS1_3gpuE7ELNS1_3repE0EEENS1_52radix_sort_onesweep_histogram_config_static_selectorELNS0_4arch9wavefront6targetE1EEEvSC_
		.amdhsa_group_segment_fixed_size 0
		.amdhsa_private_segment_fixed_size 0
		.amdhsa_kernarg_size 8
		.amdhsa_user_sgpr_count 6
		.amdhsa_user_sgpr_private_segment_buffer 1
		.amdhsa_user_sgpr_dispatch_ptr 0
		.amdhsa_user_sgpr_queue_ptr 0
		.amdhsa_user_sgpr_kernarg_segment_ptr 1
		.amdhsa_user_sgpr_dispatch_id 0
		.amdhsa_user_sgpr_flat_scratch_init 0
		.amdhsa_user_sgpr_kernarg_preload_length 0
		.amdhsa_user_sgpr_kernarg_preload_offset 0
		.amdhsa_user_sgpr_private_segment_size 0
		.amdhsa_uses_dynamic_stack 0
		.amdhsa_system_sgpr_private_segment_wavefront_offset 0
		.amdhsa_system_sgpr_workgroup_id_x 1
		.amdhsa_system_sgpr_workgroup_id_y 0
		.amdhsa_system_sgpr_workgroup_id_z 0
		.amdhsa_system_sgpr_workgroup_info 0
		.amdhsa_system_vgpr_workitem_id 0
		.amdhsa_next_free_vgpr 1
		.amdhsa_next_free_sgpr 0
		.amdhsa_accum_offset 4
		.amdhsa_reserve_vcc 0
		.amdhsa_reserve_flat_scratch 0
		.amdhsa_float_round_mode_32 0
		.amdhsa_float_round_mode_16_64 0
		.amdhsa_float_denorm_mode_32 3
		.amdhsa_float_denorm_mode_16_64 3
		.amdhsa_dx10_clamp 1
		.amdhsa_ieee_mode 1
		.amdhsa_fp16_overflow 0
		.amdhsa_tg_split 0
		.amdhsa_exception_fp_ieee_invalid_op 0
		.amdhsa_exception_fp_denorm_src 0
		.amdhsa_exception_fp_ieee_div_zero 0
		.amdhsa_exception_fp_ieee_overflow 0
		.amdhsa_exception_fp_ieee_underflow 0
		.amdhsa_exception_fp_ieee_inexact 0
		.amdhsa_exception_int_div_zero 0
	.end_amdhsa_kernel
	.section	.text._ZN7rocprim17ROCPRIM_400000_NS6detail17trampoline_kernelINS0_14default_configENS1_35radix_sort_onesweep_config_selectorImNS0_10empty_typeEEEZNS1_34radix_sort_onesweep_global_offsetsIS3_Lb1EPmPS5_mNS0_19identity_decomposerEEE10hipError_tT1_T2_PT3_SE_jT4_jjP12ihipStream_tbEUlT_E0_NS1_11comp_targetILNS1_3genE3ELNS1_11target_archE908ELNS1_3gpuE7ELNS1_3repE0EEENS1_52radix_sort_onesweep_histogram_config_static_selectorELNS0_4arch9wavefront6targetE1EEEvSC_,"axG",@progbits,_ZN7rocprim17ROCPRIM_400000_NS6detail17trampoline_kernelINS0_14default_configENS1_35radix_sort_onesweep_config_selectorImNS0_10empty_typeEEEZNS1_34radix_sort_onesweep_global_offsetsIS3_Lb1EPmPS5_mNS0_19identity_decomposerEEE10hipError_tT1_T2_PT3_SE_jT4_jjP12ihipStream_tbEUlT_E0_NS1_11comp_targetILNS1_3genE3ELNS1_11target_archE908ELNS1_3gpuE7ELNS1_3repE0EEENS1_52radix_sort_onesweep_histogram_config_static_selectorELNS0_4arch9wavefront6targetE1EEEvSC_,comdat
.Lfunc_end2287:
	.size	_ZN7rocprim17ROCPRIM_400000_NS6detail17trampoline_kernelINS0_14default_configENS1_35radix_sort_onesweep_config_selectorImNS0_10empty_typeEEEZNS1_34radix_sort_onesweep_global_offsetsIS3_Lb1EPmPS5_mNS0_19identity_decomposerEEE10hipError_tT1_T2_PT3_SE_jT4_jjP12ihipStream_tbEUlT_E0_NS1_11comp_targetILNS1_3genE3ELNS1_11target_archE908ELNS1_3gpuE7ELNS1_3repE0EEENS1_52radix_sort_onesweep_histogram_config_static_selectorELNS0_4arch9wavefront6targetE1EEEvSC_, .Lfunc_end2287-_ZN7rocprim17ROCPRIM_400000_NS6detail17trampoline_kernelINS0_14default_configENS1_35radix_sort_onesweep_config_selectorImNS0_10empty_typeEEEZNS1_34radix_sort_onesweep_global_offsetsIS3_Lb1EPmPS5_mNS0_19identity_decomposerEEE10hipError_tT1_T2_PT3_SE_jT4_jjP12ihipStream_tbEUlT_E0_NS1_11comp_targetILNS1_3genE3ELNS1_11target_archE908ELNS1_3gpuE7ELNS1_3repE0EEENS1_52radix_sort_onesweep_histogram_config_static_selectorELNS0_4arch9wavefront6targetE1EEEvSC_
                                        ; -- End function
	.section	.AMDGPU.csdata,"",@progbits
; Kernel info:
; codeLenInByte = 0
; NumSgprs: 4
; NumVgprs: 0
; NumAgprs: 0
; TotalNumVgprs: 0
; ScratchSize: 0
; MemoryBound: 0
; FloatMode: 240
; IeeeMode: 1
; LDSByteSize: 0 bytes/workgroup (compile time only)
; SGPRBlocks: 0
; VGPRBlocks: 0
; NumSGPRsForWavesPerEU: 4
; NumVGPRsForWavesPerEU: 1
; AccumOffset: 4
; Occupancy: 8
; WaveLimiterHint : 0
; COMPUTE_PGM_RSRC2:SCRATCH_EN: 0
; COMPUTE_PGM_RSRC2:USER_SGPR: 6
; COMPUTE_PGM_RSRC2:TRAP_HANDLER: 0
; COMPUTE_PGM_RSRC2:TGID_X_EN: 1
; COMPUTE_PGM_RSRC2:TGID_Y_EN: 0
; COMPUTE_PGM_RSRC2:TGID_Z_EN: 0
; COMPUTE_PGM_RSRC2:TIDIG_COMP_CNT: 0
; COMPUTE_PGM_RSRC3_GFX90A:ACCUM_OFFSET: 0
; COMPUTE_PGM_RSRC3_GFX90A:TG_SPLIT: 0
	.section	.text._ZN7rocprim17ROCPRIM_400000_NS6detail17trampoline_kernelINS0_14default_configENS1_35radix_sort_onesweep_config_selectorImNS0_10empty_typeEEEZNS1_34radix_sort_onesweep_global_offsetsIS3_Lb1EPmPS5_mNS0_19identity_decomposerEEE10hipError_tT1_T2_PT3_SE_jT4_jjP12ihipStream_tbEUlT_E0_NS1_11comp_targetILNS1_3genE10ELNS1_11target_archE1201ELNS1_3gpuE5ELNS1_3repE0EEENS1_52radix_sort_onesweep_histogram_config_static_selectorELNS0_4arch9wavefront6targetE1EEEvSC_,"axG",@progbits,_ZN7rocprim17ROCPRIM_400000_NS6detail17trampoline_kernelINS0_14default_configENS1_35radix_sort_onesweep_config_selectorImNS0_10empty_typeEEEZNS1_34radix_sort_onesweep_global_offsetsIS3_Lb1EPmPS5_mNS0_19identity_decomposerEEE10hipError_tT1_T2_PT3_SE_jT4_jjP12ihipStream_tbEUlT_E0_NS1_11comp_targetILNS1_3genE10ELNS1_11target_archE1201ELNS1_3gpuE5ELNS1_3repE0EEENS1_52radix_sort_onesweep_histogram_config_static_selectorELNS0_4arch9wavefront6targetE1EEEvSC_,comdat
	.protected	_ZN7rocprim17ROCPRIM_400000_NS6detail17trampoline_kernelINS0_14default_configENS1_35radix_sort_onesweep_config_selectorImNS0_10empty_typeEEEZNS1_34radix_sort_onesweep_global_offsetsIS3_Lb1EPmPS5_mNS0_19identity_decomposerEEE10hipError_tT1_T2_PT3_SE_jT4_jjP12ihipStream_tbEUlT_E0_NS1_11comp_targetILNS1_3genE10ELNS1_11target_archE1201ELNS1_3gpuE5ELNS1_3repE0EEENS1_52radix_sort_onesweep_histogram_config_static_selectorELNS0_4arch9wavefront6targetE1EEEvSC_ ; -- Begin function _ZN7rocprim17ROCPRIM_400000_NS6detail17trampoline_kernelINS0_14default_configENS1_35radix_sort_onesweep_config_selectorImNS0_10empty_typeEEEZNS1_34radix_sort_onesweep_global_offsetsIS3_Lb1EPmPS5_mNS0_19identity_decomposerEEE10hipError_tT1_T2_PT3_SE_jT4_jjP12ihipStream_tbEUlT_E0_NS1_11comp_targetILNS1_3genE10ELNS1_11target_archE1201ELNS1_3gpuE5ELNS1_3repE0EEENS1_52radix_sort_onesweep_histogram_config_static_selectorELNS0_4arch9wavefront6targetE1EEEvSC_
	.globl	_ZN7rocprim17ROCPRIM_400000_NS6detail17trampoline_kernelINS0_14default_configENS1_35radix_sort_onesweep_config_selectorImNS0_10empty_typeEEEZNS1_34radix_sort_onesweep_global_offsetsIS3_Lb1EPmPS5_mNS0_19identity_decomposerEEE10hipError_tT1_T2_PT3_SE_jT4_jjP12ihipStream_tbEUlT_E0_NS1_11comp_targetILNS1_3genE10ELNS1_11target_archE1201ELNS1_3gpuE5ELNS1_3repE0EEENS1_52radix_sort_onesweep_histogram_config_static_selectorELNS0_4arch9wavefront6targetE1EEEvSC_
	.p2align	8
	.type	_ZN7rocprim17ROCPRIM_400000_NS6detail17trampoline_kernelINS0_14default_configENS1_35radix_sort_onesweep_config_selectorImNS0_10empty_typeEEEZNS1_34radix_sort_onesweep_global_offsetsIS3_Lb1EPmPS5_mNS0_19identity_decomposerEEE10hipError_tT1_T2_PT3_SE_jT4_jjP12ihipStream_tbEUlT_E0_NS1_11comp_targetILNS1_3genE10ELNS1_11target_archE1201ELNS1_3gpuE5ELNS1_3repE0EEENS1_52radix_sort_onesweep_histogram_config_static_selectorELNS0_4arch9wavefront6targetE1EEEvSC_,@function
_ZN7rocprim17ROCPRIM_400000_NS6detail17trampoline_kernelINS0_14default_configENS1_35radix_sort_onesweep_config_selectorImNS0_10empty_typeEEEZNS1_34radix_sort_onesweep_global_offsetsIS3_Lb1EPmPS5_mNS0_19identity_decomposerEEE10hipError_tT1_T2_PT3_SE_jT4_jjP12ihipStream_tbEUlT_E0_NS1_11comp_targetILNS1_3genE10ELNS1_11target_archE1201ELNS1_3gpuE5ELNS1_3repE0EEENS1_52radix_sort_onesweep_histogram_config_static_selectorELNS0_4arch9wavefront6targetE1EEEvSC_: ; @_ZN7rocprim17ROCPRIM_400000_NS6detail17trampoline_kernelINS0_14default_configENS1_35radix_sort_onesweep_config_selectorImNS0_10empty_typeEEEZNS1_34radix_sort_onesweep_global_offsetsIS3_Lb1EPmPS5_mNS0_19identity_decomposerEEE10hipError_tT1_T2_PT3_SE_jT4_jjP12ihipStream_tbEUlT_E0_NS1_11comp_targetILNS1_3genE10ELNS1_11target_archE1201ELNS1_3gpuE5ELNS1_3repE0EEENS1_52radix_sort_onesweep_histogram_config_static_selectorELNS0_4arch9wavefront6targetE1EEEvSC_
; %bb.0:
	.section	.rodata,"a",@progbits
	.p2align	6, 0x0
	.amdhsa_kernel _ZN7rocprim17ROCPRIM_400000_NS6detail17trampoline_kernelINS0_14default_configENS1_35radix_sort_onesweep_config_selectorImNS0_10empty_typeEEEZNS1_34radix_sort_onesweep_global_offsetsIS3_Lb1EPmPS5_mNS0_19identity_decomposerEEE10hipError_tT1_T2_PT3_SE_jT4_jjP12ihipStream_tbEUlT_E0_NS1_11comp_targetILNS1_3genE10ELNS1_11target_archE1201ELNS1_3gpuE5ELNS1_3repE0EEENS1_52radix_sort_onesweep_histogram_config_static_selectorELNS0_4arch9wavefront6targetE1EEEvSC_
		.amdhsa_group_segment_fixed_size 0
		.amdhsa_private_segment_fixed_size 0
		.amdhsa_kernarg_size 8
		.amdhsa_user_sgpr_count 6
		.amdhsa_user_sgpr_private_segment_buffer 1
		.amdhsa_user_sgpr_dispatch_ptr 0
		.amdhsa_user_sgpr_queue_ptr 0
		.amdhsa_user_sgpr_kernarg_segment_ptr 1
		.amdhsa_user_sgpr_dispatch_id 0
		.amdhsa_user_sgpr_flat_scratch_init 0
		.amdhsa_user_sgpr_kernarg_preload_length 0
		.amdhsa_user_sgpr_kernarg_preload_offset 0
		.amdhsa_user_sgpr_private_segment_size 0
		.amdhsa_uses_dynamic_stack 0
		.amdhsa_system_sgpr_private_segment_wavefront_offset 0
		.amdhsa_system_sgpr_workgroup_id_x 1
		.amdhsa_system_sgpr_workgroup_id_y 0
		.amdhsa_system_sgpr_workgroup_id_z 0
		.amdhsa_system_sgpr_workgroup_info 0
		.amdhsa_system_vgpr_workitem_id 0
		.amdhsa_next_free_vgpr 1
		.amdhsa_next_free_sgpr 0
		.amdhsa_accum_offset 4
		.amdhsa_reserve_vcc 0
		.amdhsa_reserve_flat_scratch 0
		.amdhsa_float_round_mode_32 0
		.amdhsa_float_round_mode_16_64 0
		.amdhsa_float_denorm_mode_32 3
		.amdhsa_float_denorm_mode_16_64 3
		.amdhsa_dx10_clamp 1
		.amdhsa_ieee_mode 1
		.amdhsa_fp16_overflow 0
		.amdhsa_tg_split 0
		.amdhsa_exception_fp_ieee_invalid_op 0
		.amdhsa_exception_fp_denorm_src 0
		.amdhsa_exception_fp_ieee_div_zero 0
		.amdhsa_exception_fp_ieee_overflow 0
		.amdhsa_exception_fp_ieee_underflow 0
		.amdhsa_exception_fp_ieee_inexact 0
		.amdhsa_exception_int_div_zero 0
	.end_amdhsa_kernel
	.section	.text._ZN7rocprim17ROCPRIM_400000_NS6detail17trampoline_kernelINS0_14default_configENS1_35radix_sort_onesweep_config_selectorImNS0_10empty_typeEEEZNS1_34radix_sort_onesweep_global_offsetsIS3_Lb1EPmPS5_mNS0_19identity_decomposerEEE10hipError_tT1_T2_PT3_SE_jT4_jjP12ihipStream_tbEUlT_E0_NS1_11comp_targetILNS1_3genE10ELNS1_11target_archE1201ELNS1_3gpuE5ELNS1_3repE0EEENS1_52radix_sort_onesweep_histogram_config_static_selectorELNS0_4arch9wavefront6targetE1EEEvSC_,"axG",@progbits,_ZN7rocprim17ROCPRIM_400000_NS6detail17trampoline_kernelINS0_14default_configENS1_35radix_sort_onesweep_config_selectorImNS0_10empty_typeEEEZNS1_34radix_sort_onesweep_global_offsetsIS3_Lb1EPmPS5_mNS0_19identity_decomposerEEE10hipError_tT1_T2_PT3_SE_jT4_jjP12ihipStream_tbEUlT_E0_NS1_11comp_targetILNS1_3genE10ELNS1_11target_archE1201ELNS1_3gpuE5ELNS1_3repE0EEENS1_52radix_sort_onesweep_histogram_config_static_selectorELNS0_4arch9wavefront6targetE1EEEvSC_,comdat
.Lfunc_end2288:
	.size	_ZN7rocprim17ROCPRIM_400000_NS6detail17trampoline_kernelINS0_14default_configENS1_35radix_sort_onesweep_config_selectorImNS0_10empty_typeEEEZNS1_34radix_sort_onesweep_global_offsetsIS3_Lb1EPmPS5_mNS0_19identity_decomposerEEE10hipError_tT1_T2_PT3_SE_jT4_jjP12ihipStream_tbEUlT_E0_NS1_11comp_targetILNS1_3genE10ELNS1_11target_archE1201ELNS1_3gpuE5ELNS1_3repE0EEENS1_52radix_sort_onesweep_histogram_config_static_selectorELNS0_4arch9wavefront6targetE1EEEvSC_, .Lfunc_end2288-_ZN7rocprim17ROCPRIM_400000_NS6detail17trampoline_kernelINS0_14default_configENS1_35radix_sort_onesweep_config_selectorImNS0_10empty_typeEEEZNS1_34radix_sort_onesweep_global_offsetsIS3_Lb1EPmPS5_mNS0_19identity_decomposerEEE10hipError_tT1_T2_PT3_SE_jT4_jjP12ihipStream_tbEUlT_E0_NS1_11comp_targetILNS1_3genE10ELNS1_11target_archE1201ELNS1_3gpuE5ELNS1_3repE0EEENS1_52radix_sort_onesweep_histogram_config_static_selectorELNS0_4arch9wavefront6targetE1EEEvSC_
                                        ; -- End function
	.section	.AMDGPU.csdata,"",@progbits
; Kernel info:
; codeLenInByte = 0
; NumSgprs: 4
; NumVgprs: 0
; NumAgprs: 0
; TotalNumVgprs: 0
; ScratchSize: 0
; MemoryBound: 0
; FloatMode: 240
; IeeeMode: 1
; LDSByteSize: 0 bytes/workgroup (compile time only)
; SGPRBlocks: 0
; VGPRBlocks: 0
; NumSGPRsForWavesPerEU: 4
; NumVGPRsForWavesPerEU: 1
; AccumOffset: 4
; Occupancy: 8
; WaveLimiterHint : 0
; COMPUTE_PGM_RSRC2:SCRATCH_EN: 0
; COMPUTE_PGM_RSRC2:USER_SGPR: 6
; COMPUTE_PGM_RSRC2:TRAP_HANDLER: 0
; COMPUTE_PGM_RSRC2:TGID_X_EN: 1
; COMPUTE_PGM_RSRC2:TGID_Y_EN: 0
; COMPUTE_PGM_RSRC2:TGID_Z_EN: 0
; COMPUTE_PGM_RSRC2:TIDIG_COMP_CNT: 0
; COMPUTE_PGM_RSRC3_GFX90A:ACCUM_OFFSET: 0
; COMPUTE_PGM_RSRC3_GFX90A:TG_SPLIT: 0
	.section	.text._ZN7rocprim17ROCPRIM_400000_NS6detail17trampoline_kernelINS0_14default_configENS1_35radix_sort_onesweep_config_selectorImNS0_10empty_typeEEEZNS1_34radix_sort_onesweep_global_offsetsIS3_Lb1EPmPS5_mNS0_19identity_decomposerEEE10hipError_tT1_T2_PT3_SE_jT4_jjP12ihipStream_tbEUlT_E0_NS1_11comp_targetILNS1_3genE9ELNS1_11target_archE1100ELNS1_3gpuE3ELNS1_3repE0EEENS1_52radix_sort_onesweep_histogram_config_static_selectorELNS0_4arch9wavefront6targetE1EEEvSC_,"axG",@progbits,_ZN7rocprim17ROCPRIM_400000_NS6detail17trampoline_kernelINS0_14default_configENS1_35radix_sort_onesweep_config_selectorImNS0_10empty_typeEEEZNS1_34radix_sort_onesweep_global_offsetsIS3_Lb1EPmPS5_mNS0_19identity_decomposerEEE10hipError_tT1_T2_PT3_SE_jT4_jjP12ihipStream_tbEUlT_E0_NS1_11comp_targetILNS1_3genE9ELNS1_11target_archE1100ELNS1_3gpuE3ELNS1_3repE0EEENS1_52radix_sort_onesweep_histogram_config_static_selectorELNS0_4arch9wavefront6targetE1EEEvSC_,comdat
	.protected	_ZN7rocprim17ROCPRIM_400000_NS6detail17trampoline_kernelINS0_14default_configENS1_35radix_sort_onesweep_config_selectorImNS0_10empty_typeEEEZNS1_34radix_sort_onesweep_global_offsetsIS3_Lb1EPmPS5_mNS0_19identity_decomposerEEE10hipError_tT1_T2_PT3_SE_jT4_jjP12ihipStream_tbEUlT_E0_NS1_11comp_targetILNS1_3genE9ELNS1_11target_archE1100ELNS1_3gpuE3ELNS1_3repE0EEENS1_52radix_sort_onesweep_histogram_config_static_selectorELNS0_4arch9wavefront6targetE1EEEvSC_ ; -- Begin function _ZN7rocprim17ROCPRIM_400000_NS6detail17trampoline_kernelINS0_14default_configENS1_35radix_sort_onesweep_config_selectorImNS0_10empty_typeEEEZNS1_34radix_sort_onesweep_global_offsetsIS3_Lb1EPmPS5_mNS0_19identity_decomposerEEE10hipError_tT1_T2_PT3_SE_jT4_jjP12ihipStream_tbEUlT_E0_NS1_11comp_targetILNS1_3genE9ELNS1_11target_archE1100ELNS1_3gpuE3ELNS1_3repE0EEENS1_52radix_sort_onesweep_histogram_config_static_selectorELNS0_4arch9wavefront6targetE1EEEvSC_
	.globl	_ZN7rocprim17ROCPRIM_400000_NS6detail17trampoline_kernelINS0_14default_configENS1_35radix_sort_onesweep_config_selectorImNS0_10empty_typeEEEZNS1_34radix_sort_onesweep_global_offsetsIS3_Lb1EPmPS5_mNS0_19identity_decomposerEEE10hipError_tT1_T2_PT3_SE_jT4_jjP12ihipStream_tbEUlT_E0_NS1_11comp_targetILNS1_3genE9ELNS1_11target_archE1100ELNS1_3gpuE3ELNS1_3repE0EEENS1_52radix_sort_onesweep_histogram_config_static_selectorELNS0_4arch9wavefront6targetE1EEEvSC_
	.p2align	8
	.type	_ZN7rocprim17ROCPRIM_400000_NS6detail17trampoline_kernelINS0_14default_configENS1_35radix_sort_onesweep_config_selectorImNS0_10empty_typeEEEZNS1_34radix_sort_onesweep_global_offsetsIS3_Lb1EPmPS5_mNS0_19identity_decomposerEEE10hipError_tT1_T2_PT3_SE_jT4_jjP12ihipStream_tbEUlT_E0_NS1_11comp_targetILNS1_3genE9ELNS1_11target_archE1100ELNS1_3gpuE3ELNS1_3repE0EEENS1_52radix_sort_onesweep_histogram_config_static_selectorELNS0_4arch9wavefront6targetE1EEEvSC_,@function
_ZN7rocprim17ROCPRIM_400000_NS6detail17trampoline_kernelINS0_14default_configENS1_35radix_sort_onesweep_config_selectorImNS0_10empty_typeEEEZNS1_34radix_sort_onesweep_global_offsetsIS3_Lb1EPmPS5_mNS0_19identity_decomposerEEE10hipError_tT1_T2_PT3_SE_jT4_jjP12ihipStream_tbEUlT_E0_NS1_11comp_targetILNS1_3genE9ELNS1_11target_archE1100ELNS1_3gpuE3ELNS1_3repE0EEENS1_52radix_sort_onesweep_histogram_config_static_selectorELNS0_4arch9wavefront6targetE1EEEvSC_: ; @_ZN7rocprim17ROCPRIM_400000_NS6detail17trampoline_kernelINS0_14default_configENS1_35radix_sort_onesweep_config_selectorImNS0_10empty_typeEEEZNS1_34radix_sort_onesweep_global_offsetsIS3_Lb1EPmPS5_mNS0_19identity_decomposerEEE10hipError_tT1_T2_PT3_SE_jT4_jjP12ihipStream_tbEUlT_E0_NS1_11comp_targetILNS1_3genE9ELNS1_11target_archE1100ELNS1_3gpuE3ELNS1_3repE0EEENS1_52radix_sort_onesweep_histogram_config_static_selectorELNS0_4arch9wavefront6targetE1EEEvSC_
; %bb.0:
	.section	.rodata,"a",@progbits
	.p2align	6, 0x0
	.amdhsa_kernel _ZN7rocprim17ROCPRIM_400000_NS6detail17trampoline_kernelINS0_14default_configENS1_35radix_sort_onesweep_config_selectorImNS0_10empty_typeEEEZNS1_34radix_sort_onesweep_global_offsetsIS3_Lb1EPmPS5_mNS0_19identity_decomposerEEE10hipError_tT1_T2_PT3_SE_jT4_jjP12ihipStream_tbEUlT_E0_NS1_11comp_targetILNS1_3genE9ELNS1_11target_archE1100ELNS1_3gpuE3ELNS1_3repE0EEENS1_52radix_sort_onesweep_histogram_config_static_selectorELNS0_4arch9wavefront6targetE1EEEvSC_
		.amdhsa_group_segment_fixed_size 0
		.amdhsa_private_segment_fixed_size 0
		.amdhsa_kernarg_size 8
		.amdhsa_user_sgpr_count 6
		.amdhsa_user_sgpr_private_segment_buffer 1
		.amdhsa_user_sgpr_dispatch_ptr 0
		.amdhsa_user_sgpr_queue_ptr 0
		.amdhsa_user_sgpr_kernarg_segment_ptr 1
		.amdhsa_user_sgpr_dispatch_id 0
		.amdhsa_user_sgpr_flat_scratch_init 0
		.amdhsa_user_sgpr_kernarg_preload_length 0
		.amdhsa_user_sgpr_kernarg_preload_offset 0
		.amdhsa_user_sgpr_private_segment_size 0
		.amdhsa_uses_dynamic_stack 0
		.amdhsa_system_sgpr_private_segment_wavefront_offset 0
		.amdhsa_system_sgpr_workgroup_id_x 1
		.amdhsa_system_sgpr_workgroup_id_y 0
		.amdhsa_system_sgpr_workgroup_id_z 0
		.amdhsa_system_sgpr_workgroup_info 0
		.amdhsa_system_vgpr_workitem_id 0
		.amdhsa_next_free_vgpr 1
		.amdhsa_next_free_sgpr 0
		.amdhsa_accum_offset 4
		.amdhsa_reserve_vcc 0
		.amdhsa_reserve_flat_scratch 0
		.amdhsa_float_round_mode_32 0
		.amdhsa_float_round_mode_16_64 0
		.amdhsa_float_denorm_mode_32 3
		.amdhsa_float_denorm_mode_16_64 3
		.amdhsa_dx10_clamp 1
		.amdhsa_ieee_mode 1
		.amdhsa_fp16_overflow 0
		.amdhsa_tg_split 0
		.amdhsa_exception_fp_ieee_invalid_op 0
		.amdhsa_exception_fp_denorm_src 0
		.amdhsa_exception_fp_ieee_div_zero 0
		.amdhsa_exception_fp_ieee_overflow 0
		.amdhsa_exception_fp_ieee_underflow 0
		.amdhsa_exception_fp_ieee_inexact 0
		.amdhsa_exception_int_div_zero 0
	.end_amdhsa_kernel
	.section	.text._ZN7rocprim17ROCPRIM_400000_NS6detail17trampoline_kernelINS0_14default_configENS1_35radix_sort_onesweep_config_selectorImNS0_10empty_typeEEEZNS1_34radix_sort_onesweep_global_offsetsIS3_Lb1EPmPS5_mNS0_19identity_decomposerEEE10hipError_tT1_T2_PT3_SE_jT4_jjP12ihipStream_tbEUlT_E0_NS1_11comp_targetILNS1_3genE9ELNS1_11target_archE1100ELNS1_3gpuE3ELNS1_3repE0EEENS1_52radix_sort_onesweep_histogram_config_static_selectorELNS0_4arch9wavefront6targetE1EEEvSC_,"axG",@progbits,_ZN7rocprim17ROCPRIM_400000_NS6detail17trampoline_kernelINS0_14default_configENS1_35radix_sort_onesweep_config_selectorImNS0_10empty_typeEEEZNS1_34radix_sort_onesweep_global_offsetsIS3_Lb1EPmPS5_mNS0_19identity_decomposerEEE10hipError_tT1_T2_PT3_SE_jT4_jjP12ihipStream_tbEUlT_E0_NS1_11comp_targetILNS1_3genE9ELNS1_11target_archE1100ELNS1_3gpuE3ELNS1_3repE0EEENS1_52radix_sort_onesweep_histogram_config_static_selectorELNS0_4arch9wavefront6targetE1EEEvSC_,comdat
.Lfunc_end2289:
	.size	_ZN7rocprim17ROCPRIM_400000_NS6detail17trampoline_kernelINS0_14default_configENS1_35radix_sort_onesweep_config_selectorImNS0_10empty_typeEEEZNS1_34radix_sort_onesweep_global_offsetsIS3_Lb1EPmPS5_mNS0_19identity_decomposerEEE10hipError_tT1_T2_PT3_SE_jT4_jjP12ihipStream_tbEUlT_E0_NS1_11comp_targetILNS1_3genE9ELNS1_11target_archE1100ELNS1_3gpuE3ELNS1_3repE0EEENS1_52radix_sort_onesweep_histogram_config_static_selectorELNS0_4arch9wavefront6targetE1EEEvSC_, .Lfunc_end2289-_ZN7rocprim17ROCPRIM_400000_NS6detail17trampoline_kernelINS0_14default_configENS1_35radix_sort_onesweep_config_selectorImNS0_10empty_typeEEEZNS1_34radix_sort_onesweep_global_offsetsIS3_Lb1EPmPS5_mNS0_19identity_decomposerEEE10hipError_tT1_T2_PT3_SE_jT4_jjP12ihipStream_tbEUlT_E0_NS1_11comp_targetILNS1_3genE9ELNS1_11target_archE1100ELNS1_3gpuE3ELNS1_3repE0EEENS1_52radix_sort_onesweep_histogram_config_static_selectorELNS0_4arch9wavefront6targetE1EEEvSC_
                                        ; -- End function
	.section	.AMDGPU.csdata,"",@progbits
; Kernel info:
; codeLenInByte = 0
; NumSgprs: 4
; NumVgprs: 0
; NumAgprs: 0
; TotalNumVgprs: 0
; ScratchSize: 0
; MemoryBound: 0
; FloatMode: 240
; IeeeMode: 1
; LDSByteSize: 0 bytes/workgroup (compile time only)
; SGPRBlocks: 0
; VGPRBlocks: 0
; NumSGPRsForWavesPerEU: 4
; NumVGPRsForWavesPerEU: 1
; AccumOffset: 4
; Occupancy: 8
; WaveLimiterHint : 0
; COMPUTE_PGM_RSRC2:SCRATCH_EN: 0
; COMPUTE_PGM_RSRC2:USER_SGPR: 6
; COMPUTE_PGM_RSRC2:TRAP_HANDLER: 0
; COMPUTE_PGM_RSRC2:TGID_X_EN: 1
; COMPUTE_PGM_RSRC2:TGID_Y_EN: 0
; COMPUTE_PGM_RSRC2:TGID_Z_EN: 0
; COMPUTE_PGM_RSRC2:TIDIG_COMP_CNT: 0
; COMPUTE_PGM_RSRC3_GFX90A:ACCUM_OFFSET: 0
; COMPUTE_PGM_RSRC3_GFX90A:TG_SPLIT: 0
	.section	.text._ZN7rocprim17ROCPRIM_400000_NS6detail17trampoline_kernelINS0_14default_configENS1_35radix_sort_onesweep_config_selectorImNS0_10empty_typeEEEZNS1_34radix_sort_onesweep_global_offsetsIS3_Lb1EPmPS5_mNS0_19identity_decomposerEEE10hipError_tT1_T2_PT3_SE_jT4_jjP12ihipStream_tbEUlT_E0_NS1_11comp_targetILNS1_3genE8ELNS1_11target_archE1030ELNS1_3gpuE2ELNS1_3repE0EEENS1_52radix_sort_onesweep_histogram_config_static_selectorELNS0_4arch9wavefront6targetE1EEEvSC_,"axG",@progbits,_ZN7rocprim17ROCPRIM_400000_NS6detail17trampoline_kernelINS0_14default_configENS1_35radix_sort_onesweep_config_selectorImNS0_10empty_typeEEEZNS1_34radix_sort_onesweep_global_offsetsIS3_Lb1EPmPS5_mNS0_19identity_decomposerEEE10hipError_tT1_T2_PT3_SE_jT4_jjP12ihipStream_tbEUlT_E0_NS1_11comp_targetILNS1_3genE8ELNS1_11target_archE1030ELNS1_3gpuE2ELNS1_3repE0EEENS1_52radix_sort_onesweep_histogram_config_static_selectorELNS0_4arch9wavefront6targetE1EEEvSC_,comdat
	.protected	_ZN7rocprim17ROCPRIM_400000_NS6detail17trampoline_kernelINS0_14default_configENS1_35radix_sort_onesweep_config_selectorImNS0_10empty_typeEEEZNS1_34radix_sort_onesweep_global_offsetsIS3_Lb1EPmPS5_mNS0_19identity_decomposerEEE10hipError_tT1_T2_PT3_SE_jT4_jjP12ihipStream_tbEUlT_E0_NS1_11comp_targetILNS1_3genE8ELNS1_11target_archE1030ELNS1_3gpuE2ELNS1_3repE0EEENS1_52radix_sort_onesweep_histogram_config_static_selectorELNS0_4arch9wavefront6targetE1EEEvSC_ ; -- Begin function _ZN7rocprim17ROCPRIM_400000_NS6detail17trampoline_kernelINS0_14default_configENS1_35radix_sort_onesweep_config_selectorImNS0_10empty_typeEEEZNS1_34radix_sort_onesweep_global_offsetsIS3_Lb1EPmPS5_mNS0_19identity_decomposerEEE10hipError_tT1_T2_PT3_SE_jT4_jjP12ihipStream_tbEUlT_E0_NS1_11comp_targetILNS1_3genE8ELNS1_11target_archE1030ELNS1_3gpuE2ELNS1_3repE0EEENS1_52radix_sort_onesweep_histogram_config_static_selectorELNS0_4arch9wavefront6targetE1EEEvSC_
	.globl	_ZN7rocprim17ROCPRIM_400000_NS6detail17trampoline_kernelINS0_14default_configENS1_35radix_sort_onesweep_config_selectorImNS0_10empty_typeEEEZNS1_34radix_sort_onesweep_global_offsetsIS3_Lb1EPmPS5_mNS0_19identity_decomposerEEE10hipError_tT1_T2_PT3_SE_jT4_jjP12ihipStream_tbEUlT_E0_NS1_11comp_targetILNS1_3genE8ELNS1_11target_archE1030ELNS1_3gpuE2ELNS1_3repE0EEENS1_52radix_sort_onesweep_histogram_config_static_selectorELNS0_4arch9wavefront6targetE1EEEvSC_
	.p2align	8
	.type	_ZN7rocprim17ROCPRIM_400000_NS6detail17trampoline_kernelINS0_14default_configENS1_35radix_sort_onesweep_config_selectorImNS0_10empty_typeEEEZNS1_34radix_sort_onesweep_global_offsetsIS3_Lb1EPmPS5_mNS0_19identity_decomposerEEE10hipError_tT1_T2_PT3_SE_jT4_jjP12ihipStream_tbEUlT_E0_NS1_11comp_targetILNS1_3genE8ELNS1_11target_archE1030ELNS1_3gpuE2ELNS1_3repE0EEENS1_52radix_sort_onesweep_histogram_config_static_selectorELNS0_4arch9wavefront6targetE1EEEvSC_,@function
_ZN7rocprim17ROCPRIM_400000_NS6detail17trampoline_kernelINS0_14default_configENS1_35radix_sort_onesweep_config_selectorImNS0_10empty_typeEEEZNS1_34radix_sort_onesweep_global_offsetsIS3_Lb1EPmPS5_mNS0_19identity_decomposerEEE10hipError_tT1_T2_PT3_SE_jT4_jjP12ihipStream_tbEUlT_E0_NS1_11comp_targetILNS1_3genE8ELNS1_11target_archE1030ELNS1_3gpuE2ELNS1_3repE0EEENS1_52radix_sort_onesweep_histogram_config_static_selectorELNS0_4arch9wavefront6targetE1EEEvSC_: ; @_ZN7rocprim17ROCPRIM_400000_NS6detail17trampoline_kernelINS0_14default_configENS1_35radix_sort_onesweep_config_selectorImNS0_10empty_typeEEEZNS1_34radix_sort_onesweep_global_offsetsIS3_Lb1EPmPS5_mNS0_19identity_decomposerEEE10hipError_tT1_T2_PT3_SE_jT4_jjP12ihipStream_tbEUlT_E0_NS1_11comp_targetILNS1_3genE8ELNS1_11target_archE1030ELNS1_3gpuE2ELNS1_3repE0EEENS1_52radix_sort_onesweep_histogram_config_static_selectorELNS0_4arch9wavefront6targetE1EEEvSC_
; %bb.0:
	.section	.rodata,"a",@progbits
	.p2align	6, 0x0
	.amdhsa_kernel _ZN7rocprim17ROCPRIM_400000_NS6detail17trampoline_kernelINS0_14default_configENS1_35radix_sort_onesweep_config_selectorImNS0_10empty_typeEEEZNS1_34radix_sort_onesweep_global_offsetsIS3_Lb1EPmPS5_mNS0_19identity_decomposerEEE10hipError_tT1_T2_PT3_SE_jT4_jjP12ihipStream_tbEUlT_E0_NS1_11comp_targetILNS1_3genE8ELNS1_11target_archE1030ELNS1_3gpuE2ELNS1_3repE0EEENS1_52radix_sort_onesweep_histogram_config_static_selectorELNS0_4arch9wavefront6targetE1EEEvSC_
		.amdhsa_group_segment_fixed_size 0
		.amdhsa_private_segment_fixed_size 0
		.amdhsa_kernarg_size 8
		.amdhsa_user_sgpr_count 6
		.amdhsa_user_sgpr_private_segment_buffer 1
		.amdhsa_user_sgpr_dispatch_ptr 0
		.amdhsa_user_sgpr_queue_ptr 0
		.amdhsa_user_sgpr_kernarg_segment_ptr 1
		.amdhsa_user_sgpr_dispatch_id 0
		.amdhsa_user_sgpr_flat_scratch_init 0
		.amdhsa_user_sgpr_kernarg_preload_length 0
		.amdhsa_user_sgpr_kernarg_preload_offset 0
		.amdhsa_user_sgpr_private_segment_size 0
		.amdhsa_uses_dynamic_stack 0
		.amdhsa_system_sgpr_private_segment_wavefront_offset 0
		.amdhsa_system_sgpr_workgroup_id_x 1
		.amdhsa_system_sgpr_workgroup_id_y 0
		.amdhsa_system_sgpr_workgroup_id_z 0
		.amdhsa_system_sgpr_workgroup_info 0
		.amdhsa_system_vgpr_workitem_id 0
		.amdhsa_next_free_vgpr 1
		.amdhsa_next_free_sgpr 0
		.amdhsa_accum_offset 4
		.amdhsa_reserve_vcc 0
		.amdhsa_reserve_flat_scratch 0
		.amdhsa_float_round_mode_32 0
		.amdhsa_float_round_mode_16_64 0
		.amdhsa_float_denorm_mode_32 3
		.amdhsa_float_denorm_mode_16_64 3
		.amdhsa_dx10_clamp 1
		.amdhsa_ieee_mode 1
		.amdhsa_fp16_overflow 0
		.amdhsa_tg_split 0
		.amdhsa_exception_fp_ieee_invalid_op 0
		.amdhsa_exception_fp_denorm_src 0
		.amdhsa_exception_fp_ieee_div_zero 0
		.amdhsa_exception_fp_ieee_overflow 0
		.amdhsa_exception_fp_ieee_underflow 0
		.amdhsa_exception_fp_ieee_inexact 0
		.amdhsa_exception_int_div_zero 0
	.end_amdhsa_kernel
	.section	.text._ZN7rocprim17ROCPRIM_400000_NS6detail17trampoline_kernelINS0_14default_configENS1_35radix_sort_onesweep_config_selectorImNS0_10empty_typeEEEZNS1_34radix_sort_onesweep_global_offsetsIS3_Lb1EPmPS5_mNS0_19identity_decomposerEEE10hipError_tT1_T2_PT3_SE_jT4_jjP12ihipStream_tbEUlT_E0_NS1_11comp_targetILNS1_3genE8ELNS1_11target_archE1030ELNS1_3gpuE2ELNS1_3repE0EEENS1_52radix_sort_onesweep_histogram_config_static_selectorELNS0_4arch9wavefront6targetE1EEEvSC_,"axG",@progbits,_ZN7rocprim17ROCPRIM_400000_NS6detail17trampoline_kernelINS0_14default_configENS1_35radix_sort_onesweep_config_selectorImNS0_10empty_typeEEEZNS1_34radix_sort_onesweep_global_offsetsIS3_Lb1EPmPS5_mNS0_19identity_decomposerEEE10hipError_tT1_T2_PT3_SE_jT4_jjP12ihipStream_tbEUlT_E0_NS1_11comp_targetILNS1_3genE8ELNS1_11target_archE1030ELNS1_3gpuE2ELNS1_3repE0EEENS1_52radix_sort_onesweep_histogram_config_static_selectorELNS0_4arch9wavefront6targetE1EEEvSC_,comdat
.Lfunc_end2290:
	.size	_ZN7rocprim17ROCPRIM_400000_NS6detail17trampoline_kernelINS0_14default_configENS1_35radix_sort_onesweep_config_selectorImNS0_10empty_typeEEEZNS1_34radix_sort_onesweep_global_offsetsIS3_Lb1EPmPS5_mNS0_19identity_decomposerEEE10hipError_tT1_T2_PT3_SE_jT4_jjP12ihipStream_tbEUlT_E0_NS1_11comp_targetILNS1_3genE8ELNS1_11target_archE1030ELNS1_3gpuE2ELNS1_3repE0EEENS1_52radix_sort_onesweep_histogram_config_static_selectorELNS0_4arch9wavefront6targetE1EEEvSC_, .Lfunc_end2290-_ZN7rocprim17ROCPRIM_400000_NS6detail17trampoline_kernelINS0_14default_configENS1_35radix_sort_onesweep_config_selectorImNS0_10empty_typeEEEZNS1_34radix_sort_onesweep_global_offsetsIS3_Lb1EPmPS5_mNS0_19identity_decomposerEEE10hipError_tT1_T2_PT3_SE_jT4_jjP12ihipStream_tbEUlT_E0_NS1_11comp_targetILNS1_3genE8ELNS1_11target_archE1030ELNS1_3gpuE2ELNS1_3repE0EEENS1_52radix_sort_onesweep_histogram_config_static_selectorELNS0_4arch9wavefront6targetE1EEEvSC_
                                        ; -- End function
	.section	.AMDGPU.csdata,"",@progbits
; Kernel info:
; codeLenInByte = 0
; NumSgprs: 4
; NumVgprs: 0
; NumAgprs: 0
; TotalNumVgprs: 0
; ScratchSize: 0
; MemoryBound: 0
; FloatMode: 240
; IeeeMode: 1
; LDSByteSize: 0 bytes/workgroup (compile time only)
; SGPRBlocks: 0
; VGPRBlocks: 0
; NumSGPRsForWavesPerEU: 4
; NumVGPRsForWavesPerEU: 1
; AccumOffset: 4
; Occupancy: 8
; WaveLimiterHint : 0
; COMPUTE_PGM_RSRC2:SCRATCH_EN: 0
; COMPUTE_PGM_RSRC2:USER_SGPR: 6
; COMPUTE_PGM_RSRC2:TRAP_HANDLER: 0
; COMPUTE_PGM_RSRC2:TGID_X_EN: 1
; COMPUTE_PGM_RSRC2:TGID_Y_EN: 0
; COMPUTE_PGM_RSRC2:TGID_Z_EN: 0
; COMPUTE_PGM_RSRC2:TIDIG_COMP_CNT: 0
; COMPUTE_PGM_RSRC3_GFX90A:ACCUM_OFFSET: 0
; COMPUTE_PGM_RSRC3_GFX90A:TG_SPLIT: 0
	.section	.text._ZN7rocprim17ROCPRIM_400000_NS6detail17trampoline_kernelINS0_14default_configENS1_35radix_sort_onesweep_config_selectorImNS0_10empty_typeEEEZZNS1_29radix_sort_onesweep_iterationIS3_Lb1EPmS8_PS5_S9_mNS0_19identity_decomposerENS1_16block_id_wrapperIjLb1EEEEE10hipError_tT1_PNSt15iterator_traitsISE_E10value_typeET2_T3_PNSF_ISK_E10value_typeET4_T5_PSP_SQ_PNS1_23onesweep_lookback_stateEbbT6_jjT7_P12ihipStream_tbENKUlT_T0_SE_SJ_E_clIS8_S8_S9_S9_EEDaSX_SY_SE_SJ_EUlSX_E_NS1_11comp_targetILNS1_3genE0ELNS1_11target_archE4294967295ELNS1_3gpuE0ELNS1_3repE0EEENS1_47radix_sort_onesweep_sort_config_static_selectorELNS0_4arch9wavefront6targetE1EEEvSE_,"axG",@progbits,_ZN7rocprim17ROCPRIM_400000_NS6detail17trampoline_kernelINS0_14default_configENS1_35radix_sort_onesweep_config_selectorImNS0_10empty_typeEEEZZNS1_29radix_sort_onesweep_iterationIS3_Lb1EPmS8_PS5_S9_mNS0_19identity_decomposerENS1_16block_id_wrapperIjLb1EEEEE10hipError_tT1_PNSt15iterator_traitsISE_E10value_typeET2_T3_PNSF_ISK_E10value_typeET4_T5_PSP_SQ_PNS1_23onesweep_lookback_stateEbbT6_jjT7_P12ihipStream_tbENKUlT_T0_SE_SJ_E_clIS8_S8_S9_S9_EEDaSX_SY_SE_SJ_EUlSX_E_NS1_11comp_targetILNS1_3genE0ELNS1_11target_archE4294967295ELNS1_3gpuE0ELNS1_3repE0EEENS1_47radix_sort_onesweep_sort_config_static_selectorELNS0_4arch9wavefront6targetE1EEEvSE_,comdat
	.protected	_ZN7rocprim17ROCPRIM_400000_NS6detail17trampoline_kernelINS0_14default_configENS1_35radix_sort_onesweep_config_selectorImNS0_10empty_typeEEEZZNS1_29radix_sort_onesweep_iterationIS3_Lb1EPmS8_PS5_S9_mNS0_19identity_decomposerENS1_16block_id_wrapperIjLb1EEEEE10hipError_tT1_PNSt15iterator_traitsISE_E10value_typeET2_T3_PNSF_ISK_E10value_typeET4_T5_PSP_SQ_PNS1_23onesweep_lookback_stateEbbT6_jjT7_P12ihipStream_tbENKUlT_T0_SE_SJ_E_clIS8_S8_S9_S9_EEDaSX_SY_SE_SJ_EUlSX_E_NS1_11comp_targetILNS1_3genE0ELNS1_11target_archE4294967295ELNS1_3gpuE0ELNS1_3repE0EEENS1_47radix_sort_onesweep_sort_config_static_selectorELNS0_4arch9wavefront6targetE1EEEvSE_ ; -- Begin function _ZN7rocprim17ROCPRIM_400000_NS6detail17trampoline_kernelINS0_14default_configENS1_35radix_sort_onesweep_config_selectorImNS0_10empty_typeEEEZZNS1_29radix_sort_onesweep_iterationIS3_Lb1EPmS8_PS5_S9_mNS0_19identity_decomposerENS1_16block_id_wrapperIjLb1EEEEE10hipError_tT1_PNSt15iterator_traitsISE_E10value_typeET2_T3_PNSF_ISK_E10value_typeET4_T5_PSP_SQ_PNS1_23onesweep_lookback_stateEbbT6_jjT7_P12ihipStream_tbENKUlT_T0_SE_SJ_E_clIS8_S8_S9_S9_EEDaSX_SY_SE_SJ_EUlSX_E_NS1_11comp_targetILNS1_3genE0ELNS1_11target_archE4294967295ELNS1_3gpuE0ELNS1_3repE0EEENS1_47radix_sort_onesweep_sort_config_static_selectorELNS0_4arch9wavefront6targetE1EEEvSE_
	.globl	_ZN7rocprim17ROCPRIM_400000_NS6detail17trampoline_kernelINS0_14default_configENS1_35radix_sort_onesweep_config_selectorImNS0_10empty_typeEEEZZNS1_29radix_sort_onesweep_iterationIS3_Lb1EPmS8_PS5_S9_mNS0_19identity_decomposerENS1_16block_id_wrapperIjLb1EEEEE10hipError_tT1_PNSt15iterator_traitsISE_E10value_typeET2_T3_PNSF_ISK_E10value_typeET4_T5_PSP_SQ_PNS1_23onesweep_lookback_stateEbbT6_jjT7_P12ihipStream_tbENKUlT_T0_SE_SJ_E_clIS8_S8_S9_S9_EEDaSX_SY_SE_SJ_EUlSX_E_NS1_11comp_targetILNS1_3genE0ELNS1_11target_archE4294967295ELNS1_3gpuE0ELNS1_3repE0EEENS1_47radix_sort_onesweep_sort_config_static_selectorELNS0_4arch9wavefront6targetE1EEEvSE_
	.p2align	8
	.type	_ZN7rocprim17ROCPRIM_400000_NS6detail17trampoline_kernelINS0_14default_configENS1_35radix_sort_onesweep_config_selectorImNS0_10empty_typeEEEZZNS1_29radix_sort_onesweep_iterationIS3_Lb1EPmS8_PS5_S9_mNS0_19identity_decomposerENS1_16block_id_wrapperIjLb1EEEEE10hipError_tT1_PNSt15iterator_traitsISE_E10value_typeET2_T3_PNSF_ISK_E10value_typeET4_T5_PSP_SQ_PNS1_23onesweep_lookback_stateEbbT6_jjT7_P12ihipStream_tbENKUlT_T0_SE_SJ_E_clIS8_S8_S9_S9_EEDaSX_SY_SE_SJ_EUlSX_E_NS1_11comp_targetILNS1_3genE0ELNS1_11target_archE4294967295ELNS1_3gpuE0ELNS1_3repE0EEENS1_47radix_sort_onesweep_sort_config_static_selectorELNS0_4arch9wavefront6targetE1EEEvSE_,@function
_ZN7rocprim17ROCPRIM_400000_NS6detail17trampoline_kernelINS0_14default_configENS1_35radix_sort_onesweep_config_selectorImNS0_10empty_typeEEEZZNS1_29radix_sort_onesweep_iterationIS3_Lb1EPmS8_PS5_S9_mNS0_19identity_decomposerENS1_16block_id_wrapperIjLb1EEEEE10hipError_tT1_PNSt15iterator_traitsISE_E10value_typeET2_T3_PNSF_ISK_E10value_typeET4_T5_PSP_SQ_PNS1_23onesweep_lookback_stateEbbT6_jjT7_P12ihipStream_tbENKUlT_T0_SE_SJ_E_clIS8_S8_S9_S9_EEDaSX_SY_SE_SJ_EUlSX_E_NS1_11comp_targetILNS1_3genE0ELNS1_11target_archE4294967295ELNS1_3gpuE0ELNS1_3repE0EEENS1_47radix_sort_onesweep_sort_config_static_selectorELNS0_4arch9wavefront6targetE1EEEvSE_: ; @_ZN7rocprim17ROCPRIM_400000_NS6detail17trampoline_kernelINS0_14default_configENS1_35radix_sort_onesweep_config_selectorImNS0_10empty_typeEEEZZNS1_29radix_sort_onesweep_iterationIS3_Lb1EPmS8_PS5_S9_mNS0_19identity_decomposerENS1_16block_id_wrapperIjLb1EEEEE10hipError_tT1_PNSt15iterator_traitsISE_E10value_typeET2_T3_PNSF_ISK_E10value_typeET4_T5_PSP_SQ_PNS1_23onesweep_lookback_stateEbbT6_jjT7_P12ihipStream_tbENKUlT_T0_SE_SJ_E_clIS8_S8_S9_S9_EEDaSX_SY_SE_SJ_EUlSX_E_NS1_11comp_targetILNS1_3genE0ELNS1_11target_archE4294967295ELNS1_3gpuE0ELNS1_3repE0EEENS1_47radix_sort_onesweep_sort_config_static_selectorELNS0_4arch9wavefront6targetE1EEEvSE_
; %bb.0:
	.section	.rodata,"a",@progbits
	.p2align	6, 0x0
	.amdhsa_kernel _ZN7rocprim17ROCPRIM_400000_NS6detail17trampoline_kernelINS0_14default_configENS1_35radix_sort_onesweep_config_selectorImNS0_10empty_typeEEEZZNS1_29radix_sort_onesweep_iterationIS3_Lb1EPmS8_PS5_S9_mNS0_19identity_decomposerENS1_16block_id_wrapperIjLb1EEEEE10hipError_tT1_PNSt15iterator_traitsISE_E10value_typeET2_T3_PNSF_ISK_E10value_typeET4_T5_PSP_SQ_PNS1_23onesweep_lookback_stateEbbT6_jjT7_P12ihipStream_tbENKUlT_T0_SE_SJ_E_clIS8_S8_S9_S9_EEDaSX_SY_SE_SJ_EUlSX_E_NS1_11comp_targetILNS1_3genE0ELNS1_11target_archE4294967295ELNS1_3gpuE0ELNS1_3repE0EEENS1_47radix_sort_onesweep_sort_config_static_selectorELNS0_4arch9wavefront6targetE1EEEvSE_
		.amdhsa_group_segment_fixed_size 0
		.amdhsa_private_segment_fixed_size 0
		.amdhsa_kernarg_size 88
		.amdhsa_user_sgpr_count 6
		.amdhsa_user_sgpr_private_segment_buffer 1
		.amdhsa_user_sgpr_dispatch_ptr 0
		.amdhsa_user_sgpr_queue_ptr 0
		.amdhsa_user_sgpr_kernarg_segment_ptr 1
		.amdhsa_user_sgpr_dispatch_id 0
		.amdhsa_user_sgpr_flat_scratch_init 0
		.amdhsa_user_sgpr_kernarg_preload_length 0
		.amdhsa_user_sgpr_kernarg_preload_offset 0
		.amdhsa_user_sgpr_private_segment_size 0
		.amdhsa_uses_dynamic_stack 0
		.amdhsa_system_sgpr_private_segment_wavefront_offset 0
		.amdhsa_system_sgpr_workgroup_id_x 1
		.amdhsa_system_sgpr_workgroup_id_y 0
		.amdhsa_system_sgpr_workgroup_id_z 0
		.amdhsa_system_sgpr_workgroup_info 0
		.amdhsa_system_vgpr_workitem_id 0
		.amdhsa_next_free_vgpr 1
		.amdhsa_next_free_sgpr 0
		.amdhsa_accum_offset 4
		.amdhsa_reserve_vcc 0
		.amdhsa_reserve_flat_scratch 0
		.amdhsa_float_round_mode_32 0
		.amdhsa_float_round_mode_16_64 0
		.amdhsa_float_denorm_mode_32 3
		.amdhsa_float_denorm_mode_16_64 3
		.amdhsa_dx10_clamp 1
		.amdhsa_ieee_mode 1
		.amdhsa_fp16_overflow 0
		.amdhsa_tg_split 0
		.amdhsa_exception_fp_ieee_invalid_op 0
		.amdhsa_exception_fp_denorm_src 0
		.amdhsa_exception_fp_ieee_div_zero 0
		.amdhsa_exception_fp_ieee_overflow 0
		.amdhsa_exception_fp_ieee_underflow 0
		.amdhsa_exception_fp_ieee_inexact 0
		.amdhsa_exception_int_div_zero 0
	.end_amdhsa_kernel
	.section	.text._ZN7rocprim17ROCPRIM_400000_NS6detail17trampoline_kernelINS0_14default_configENS1_35radix_sort_onesweep_config_selectorImNS0_10empty_typeEEEZZNS1_29radix_sort_onesweep_iterationIS3_Lb1EPmS8_PS5_S9_mNS0_19identity_decomposerENS1_16block_id_wrapperIjLb1EEEEE10hipError_tT1_PNSt15iterator_traitsISE_E10value_typeET2_T3_PNSF_ISK_E10value_typeET4_T5_PSP_SQ_PNS1_23onesweep_lookback_stateEbbT6_jjT7_P12ihipStream_tbENKUlT_T0_SE_SJ_E_clIS8_S8_S9_S9_EEDaSX_SY_SE_SJ_EUlSX_E_NS1_11comp_targetILNS1_3genE0ELNS1_11target_archE4294967295ELNS1_3gpuE0ELNS1_3repE0EEENS1_47radix_sort_onesweep_sort_config_static_selectorELNS0_4arch9wavefront6targetE1EEEvSE_,"axG",@progbits,_ZN7rocprim17ROCPRIM_400000_NS6detail17trampoline_kernelINS0_14default_configENS1_35radix_sort_onesweep_config_selectorImNS0_10empty_typeEEEZZNS1_29radix_sort_onesweep_iterationIS3_Lb1EPmS8_PS5_S9_mNS0_19identity_decomposerENS1_16block_id_wrapperIjLb1EEEEE10hipError_tT1_PNSt15iterator_traitsISE_E10value_typeET2_T3_PNSF_ISK_E10value_typeET4_T5_PSP_SQ_PNS1_23onesweep_lookback_stateEbbT6_jjT7_P12ihipStream_tbENKUlT_T0_SE_SJ_E_clIS8_S8_S9_S9_EEDaSX_SY_SE_SJ_EUlSX_E_NS1_11comp_targetILNS1_3genE0ELNS1_11target_archE4294967295ELNS1_3gpuE0ELNS1_3repE0EEENS1_47radix_sort_onesweep_sort_config_static_selectorELNS0_4arch9wavefront6targetE1EEEvSE_,comdat
.Lfunc_end2291:
	.size	_ZN7rocprim17ROCPRIM_400000_NS6detail17trampoline_kernelINS0_14default_configENS1_35radix_sort_onesweep_config_selectorImNS0_10empty_typeEEEZZNS1_29radix_sort_onesweep_iterationIS3_Lb1EPmS8_PS5_S9_mNS0_19identity_decomposerENS1_16block_id_wrapperIjLb1EEEEE10hipError_tT1_PNSt15iterator_traitsISE_E10value_typeET2_T3_PNSF_ISK_E10value_typeET4_T5_PSP_SQ_PNS1_23onesweep_lookback_stateEbbT6_jjT7_P12ihipStream_tbENKUlT_T0_SE_SJ_E_clIS8_S8_S9_S9_EEDaSX_SY_SE_SJ_EUlSX_E_NS1_11comp_targetILNS1_3genE0ELNS1_11target_archE4294967295ELNS1_3gpuE0ELNS1_3repE0EEENS1_47radix_sort_onesweep_sort_config_static_selectorELNS0_4arch9wavefront6targetE1EEEvSE_, .Lfunc_end2291-_ZN7rocprim17ROCPRIM_400000_NS6detail17trampoline_kernelINS0_14default_configENS1_35radix_sort_onesweep_config_selectorImNS0_10empty_typeEEEZZNS1_29radix_sort_onesweep_iterationIS3_Lb1EPmS8_PS5_S9_mNS0_19identity_decomposerENS1_16block_id_wrapperIjLb1EEEEE10hipError_tT1_PNSt15iterator_traitsISE_E10value_typeET2_T3_PNSF_ISK_E10value_typeET4_T5_PSP_SQ_PNS1_23onesweep_lookback_stateEbbT6_jjT7_P12ihipStream_tbENKUlT_T0_SE_SJ_E_clIS8_S8_S9_S9_EEDaSX_SY_SE_SJ_EUlSX_E_NS1_11comp_targetILNS1_3genE0ELNS1_11target_archE4294967295ELNS1_3gpuE0ELNS1_3repE0EEENS1_47radix_sort_onesweep_sort_config_static_selectorELNS0_4arch9wavefront6targetE1EEEvSE_
                                        ; -- End function
	.section	.AMDGPU.csdata,"",@progbits
; Kernel info:
; codeLenInByte = 0
; NumSgprs: 4
; NumVgprs: 0
; NumAgprs: 0
; TotalNumVgprs: 0
; ScratchSize: 0
; MemoryBound: 0
; FloatMode: 240
; IeeeMode: 1
; LDSByteSize: 0 bytes/workgroup (compile time only)
; SGPRBlocks: 0
; VGPRBlocks: 0
; NumSGPRsForWavesPerEU: 4
; NumVGPRsForWavesPerEU: 1
; AccumOffset: 4
; Occupancy: 8
; WaveLimiterHint : 0
; COMPUTE_PGM_RSRC2:SCRATCH_EN: 0
; COMPUTE_PGM_RSRC2:USER_SGPR: 6
; COMPUTE_PGM_RSRC2:TRAP_HANDLER: 0
; COMPUTE_PGM_RSRC2:TGID_X_EN: 1
; COMPUTE_PGM_RSRC2:TGID_Y_EN: 0
; COMPUTE_PGM_RSRC2:TGID_Z_EN: 0
; COMPUTE_PGM_RSRC2:TIDIG_COMP_CNT: 0
; COMPUTE_PGM_RSRC3_GFX90A:ACCUM_OFFSET: 0
; COMPUTE_PGM_RSRC3_GFX90A:TG_SPLIT: 0
	.section	.text._ZN7rocprim17ROCPRIM_400000_NS6detail17trampoline_kernelINS0_14default_configENS1_35radix_sort_onesweep_config_selectorImNS0_10empty_typeEEEZZNS1_29radix_sort_onesweep_iterationIS3_Lb1EPmS8_PS5_S9_mNS0_19identity_decomposerENS1_16block_id_wrapperIjLb1EEEEE10hipError_tT1_PNSt15iterator_traitsISE_E10value_typeET2_T3_PNSF_ISK_E10value_typeET4_T5_PSP_SQ_PNS1_23onesweep_lookback_stateEbbT6_jjT7_P12ihipStream_tbENKUlT_T0_SE_SJ_E_clIS8_S8_S9_S9_EEDaSX_SY_SE_SJ_EUlSX_E_NS1_11comp_targetILNS1_3genE6ELNS1_11target_archE950ELNS1_3gpuE13ELNS1_3repE0EEENS1_47radix_sort_onesweep_sort_config_static_selectorELNS0_4arch9wavefront6targetE1EEEvSE_,"axG",@progbits,_ZN7rocprim17ROCPRIM_400000_NS6detail17trampoline_kernelINS0_14default_configENS1_35radix_sort_onesweep_config_selectorImNS0_10empty_typeEEEZZNS1_29radix_sort_onesweep_iterationIS3_Lb1EPmS8_PS5_S9_mNS0_19identity_decomposerENS1_16block_id_wrapperIjLb1EEEEE10hipError_tT1_PNSt15iterator_traitsISE_E10value_typeET2_T3_PNSF_ISK_E10value_typeET4_T5_PSP_SQ_PNS1_23onesweep_lookback_stateEbbT6_jjT7_P12ihipStream_tbENKUlT_T0_SE_SJ_E_clIS8_S8_S9_S9_EEDaSX_SY_SE_SJ_EUlSX_E_NS1_11comp_targetILNS1_3genE6ELNS1_11target_archE950ELNS1_3gpuE13ELNS1_3repE0EEENS1_47radix_sort_onesweep_sort_config_static_selectorELNS0_4arch9wavefront6targetE1EEEvSE_,comdat
	.protected	_ZN7rocprim17ROCPRIM_400000_NS6detail17trampoline_kernelINS0_14default_configENS1_35radix_sort_onesweep_config_selectorImNS0_10empty_typeEEEZZNS1_29radix_sort_onesweep_iterationIS3_Lb1EPmS8_PS5_S9_mNS0_19identity_decomposerENS1_16block_id_wrapperIjLb1EEEEE10hipError_tT1_PNSt15iterator_traitsISE_E10value_typeET2_T3_PNSF_ISK_E10value_typeET4_T5_PSP_SQ_PNS1_23onesweep_lookback_stateEbbT6_jjT7_P12ihipStream_tbENKUlT_T0_SE_SJ_E_clIS8_S8_S9_S9_EEDaSX_SY_SE_SJ_EUlSX_E_NS1_11comp_targetILNS1_3genE6ELNS1_11target_archE950ELNS1_3gpuE13ELNS1_3repE0EEENS1_47radix_sort_onesweep_sort_config_static_selectorELNS0_4arch9wavefront6targetE1EEEvSE_ ; -- Begin function _ZN7rocprim17ROCPRIM_400000_NS6detail17trampoline_kernelINS0_14default_configENS1_35radix_sort_onesweep_config_selectorImNS0_10empty_typeEEEZZNS1_29radix_sort_onesweep_iterationIS3_Lb1EPmS8_PS5_S9_mNS0_19identity_decomposerENS1_16block_id_wrapperIjLb1EEEEE10hipError_tT1_PNSt15iterator_traitsISE_E10value_typeET2_T3_PNSF_ISK_E10value_typeET4_T5_PSP_SQ_PNS1_23onesweep_lookback_stateEbbT6_jjT7_P12ihipStream_tbENKUlT_T0_SE_SJ_E_clIS8_S8_S9_S9_EEDaSX_SY_SE_SJ_EUlSX_E_NS1_11comp_targetILNS1_3genE6ELNS1_11target_archE950ELNS1_3gpuE13ELNS1_3repE0EEENS1_47radix_sort_onesweep_sort_config_static_selectorELNS0_4arch9wavefront6targetE1EEEvSE_
	.globl	_ZN7rocprim17ROCPRIM_400000_NS6detail17trampoline_kernelINS0_14default_configENS1_35radix_sort_onesweep_config_selectorImNS0_10empty_typeEEEZZNS1_29radix_sort_onesweep_iterationIS3_Lb1EPmS8_PS5_S9_mNS0_19identity_decomposerENS1_16block_id_wrapperIjLb1EEEEE10hipError_tT1_PNSt15iterator_traitsISE_E10value_typeET2_T3_PNSF_ISK_E10value_typeET4_T5_PSP_SQ_PNS1_23onesweep_lookback_stateEbbT6_jjT7_P12ihipStream_tbENKUlT_T0_SE_SJ_E_clIS8_S8_S9_S9_EEDaSX_SY_SE_SJ_EUlSX_E_NS1_11comp_targetILNS1_3genE6ELNS1_11target_archE950ELNS1_3gpuE13ELNS1_3repE0EEENS1_47radix_sort_onesweep_sort_config_static_selectorELNS0_4arch9wavefront6targetE1EEEvSE_
	.p2align	8
	.type	_ZN7rocprim17ROCPRIM_400000_NS6detail17trampoline_kernelINS0_14default_configENS1_35radix_sort_onesweep_config_selectorImNS0_10empty_typeEEEZZNS1_29radix_sort_onesweep_iterationIS3_Lb1EPmS8_PS5_S9_mNS0_19identity_decomposerENS1_16block_id_wrapperIjLb1EEEEE10hipError_tT1_PNSt15iterator_traitsISE_E10value_typeET2_T3_PNSF_ISK_E10value_typeET4_T5_PSP_SQ_PNS1_23onesweep_lookback_stateEbbT6_jjT7_P12ihipStream_tbENKUlT_T0_SE_SJ_E_clIS8_S8_S9_S9_EEDaSX_SY_SE_SJ_EUlSX_E_NS1_11comp_targetILNS1_3genE6ELNS1_11target_archE950ELNS1_3gpuE13ELNS1_3repE0EEENS1_47radix_sort_onesweep_sort_config_static_selectorELNS0_4arch9wavefront6targetE1EEEvSE_,@function
_ZN7rocprim17ROCPRIM_400000_NS6detail17trampoline_kernelINS0_14default_configENS1_35radix_sort_onesweep_config_selectorImNS0_10empty_typeEEEZZNS1_29radix_sort_onesweep_iterationIS3_Lb1EPmS8_PS5_S9_mNS0_19identity_decomposerENS1_16block_id_wrapperIjLb1EEEEE10hipError_tT1_PNSt15iterator_traitsISE_E10value_typeET2_T3_PNSF_ISK_E10value_typeET4_T5_PSP_SQ_PNS1_23onesweep_lookback_stateEbbT6_jjT7_P12ihipStream_tbENKUlT_T0_SE_SJ_E_clIS8_S8_S9_S9_EEDaSX_SY_SE_SJ_EUlSX_E_NS1_11comp_targetILNS1_3genE6ELNS1_11target_archE950ELNS1_3gpuE13ELNS1_3repE0EEENS1_47radix_sort_onesweep_sort_config_static_selectorELNS0_4arch9wavefront6targetE1EEEvSE_: ; @_ZN7rocprim17ROCPRIM_400000_NS6detail17trampoline_kernelINS0_14default_configENS1_35radix_sort_onesweep_config_selectorImNS0_10empty_typeEEEZZNS1_29radix_sort_onesweep_iterationIS3_Lb1EPmS8_PS5_S9_mNS0_19identity_decomposerENS1_16block_id_wrapperIjLb1EEEEE10hipError_tT1_PNSt15iterator_traitsISE_E10value_typeET2_T3_PNSF_ISK_E10value_typeET4_T5_PSP_SQ_PNS1_23onesweep_lookback_stateEbbT6_jjT7_P12ihipStream_tbENKUlT_T0_SE_SJ_E_clIS8_S8_S9_S9_EEDaSX_SY_SE_SJ_EUlSX_E_NS1_11comp_targetILNS1_3genE6ELNS1_11target_archE950ELNS1_3gpuE13ELNS1_3repE0EEENS1_47radix_sort_onesweep_sort_config_static_selectorELNS0_4arch9wavefront6targetE1EEEvSE_
; %bb.0:
	.section	.rodata,"a",@progbits
	.p2align	6, 0x0
	.amdhsa_kernel _ZN7rocprim17ROCPRIM_400000_NS6detail17trampoline_kernelINS0_14default_configENS1_35radix_sort_onesweep_config_selectorImNS0_10empty_typeEEEZZNS1_29radix_sort_onesweep_iterationIS3_Lb1EPmS8_PS5_S9_mNS0_19identity_decomposerENS1_16block_id_wrapperIjLb1EEEEE10hipError_tT1_PNSt15iterator_traitsISE_E10value_typeET2_T3_PNSF_ISK_E10value_typeET4_T5_PSP_SQ_PNS1_23onesweep_lookback_stateEbbT6_jjT7_P12ihipStream_tbENKUlT_T0_SE_SJ_E_clIS8_S8_S9_S9_EEDaSX_SY_SE_SJ_EUlSX_E_NS1_11comp_targetILNS1_3genE6ELNS1_11target_archE950ELNS1_3gpuE13ELNS1_3repE0EEENS1_47radix_sort_onesweep_sort_config_static_selectorELNS0_4arch9wavefront6targetE1EEEvSE_
		.amdhsa_group_segment_fixed_size 0
		.amdhsa_private_segment_fixed_size 0
		.amdhsa_kernarg_size 88
		.amdhsa_user_sgpr_count 6
		.amdhsa_user_sgpr_private_segment_buffer 1
		.amdhsa_user_sgpr_dispatch_ptr 0
		.amdhsa_user_sgpr_queue_ptr 0
		.amdhsa_user_sgpr_kernarg_segment_ptr 1
		.amdhsa_user_sgpr_dispatch_id 0
		.amdhsa_user_sgpr_flat_scratch_init 0
		.amdhsa_user_sgpr_kernarg_preload_length 0
		.amdhsa_user_sgpr_kernarg_preload_offset 0
		.amdhsa_user_sgpr_private_segment_size 0
		.amdhsa_uses_dynamic_stack 0
		.amdhsa_system_sgpr_private_segment_wavefront_offset 0
		.amdhsa_system_sgpr_workgroup_id_x 1
		.amdhsa_system_sgpr_workgroup_id_y 0
		.amdhsa_system_sgpr_workgroup_id_z 0
		.amdhsa_system_sgpr_workgroup_info 0
		.amdhsa_system_vgpr_workitem_id 0
		.amdhsa_next_free_vgpr 1
		.amdhsa_next_free_sgpr 0
		.amdhsa_accum_offset 4
		.amdhsa_reserve_vcc 0
		.amdhsa_reserve_flat_scratch 0
		.amdhsa_float_round_mode_32 0
		.amdhsa_float_round_mode_16_64 0
		.amdhsa_float_denorm_mode_32 3
		.amdhsa_float_denorm_mode_16_64 3
		.amdhsa_dx10_clamp 1
		.amdhsa_ieee_mode 1
		.amdhsa_fp16_overflow 0
		.amdhsa_tg_split 0
		.amdhsa_exception_fp_ieee_invalid_op 0
		.amdhsa_exception_fp_denorm_src 0
		.amdhsa_exception_fp_ieee_div_zero 0
		.amdhsa_exception_fp_ieee_overflow 0
		.amdhsa_exception_fp_ieee_underflow 0
		.amdhsa_exception_fp_ieee_inexact 0
		.amdhsa_exception_int_div_zero 0
	.end_amdhsa_kernel
	.section	.text._ZN7rocprim17ROCPRIM_400000_NS6detail17trampoline_kernelINS0_14default_configENS1_35radix_sort_onesweep_config_selectorImNS0_10empty_typeEEEZZNS1_29radix_sort_onesweep_iterationIS3_Lb1EPmS8_PS5_S9_mNS0_19identity_decomposerENS1_16block_id_wrapperIjLb1EEEEE10hipError_tT1_PNSt15iterator_traitsISE_E10value_typeET2_T3_PNSF_ISK_E10value_typeET4_T5_PSP_SQ_PNS1_23onesweep_lookback_stateEbbT6_jjT7_P12ihipStream_tbENKUlT_T0_SE_SJ_E_clIS8_S8_S9_S9_EEDaSX_SY_SE_SJ_EUlSX_E_NS1_11comp_targetILNS1_3genE6ELNS1_11target_archE950ELNS1_3gpuE13ELNS1_3repE0EEENS1_47radix_sort_onesweep_sort_config_static_selectorELNS0_4arch9wavefront6targetE1EEEvSE_,"axG",@progbits,_ZN7rocprim17ROCPRIM_400000_NS6detail17trampoline_kernelINS0_14default_configENS1_35radix_sort_onesweep_config_selectorImNS0_10empty_typeEEEZZNS1_29radix_sort_onesweep_iterationIS3_Lb1EPmS8_PS5_S9_mNS0_19identity_decomposerENS1_16block_id_wrapperIjLb1EEEEE10hipError_tT1_PNSt15iterator_traitsISE_E10value_typeET2_T3_PNSF_ISK_E10value_typeET4_T5_PSP_SQ_PNS1_23onesweep_lookback_stateEbbT6_jjT7_P12ihipStream_tbENKUlT_T0_SE_SJ_E_clIS8_S8_S9_S9_EEDaSX_SY_SE_SJ_EUlSX_E_NS1_11comp_targetILNS1_3genE6ELNS1_11target_archE950ELNS1_3gpuE13ELNS1_3repE0EEENS1_47radix_sort_onesweep_sort_config_static_selectorELNS0_4arch9wavefront6targetE1EEEvSE_,comdat
.Lfunc_end2292:
	.size	_ZN7rocprim17ROCPRIM_400000_NS6detail17trampoline_kernelINS0_14default_configENS1_35radix_sort_onesweep_config_selectorImNS0_10empty_typeEEEZZNS1_29radix_sort_onesweep_iterationIS3_Lb1EPmS8_PS5_S9_mNS0_19identity_decomposerENS1_16block_id_wrapperIjLb1EEEEE10hipError_tT1_PNSt15iterator_traitsISE_E10value_typeET2_T3_PNSF_ISK_E10value_typeET4_T5_PSP_SQ_PNS1_23onesweep_lookback_stateEbbT6_jjT7_P12ihipStream_tbENKUlT_T0_SE_SJ_E_clIS8_S8_S9_S9_EEDaSX_SY_SE_SJ_EUlSX_E_NS1_11comp_targetILNS1_3genE6ELNS1_11target_archE950ELNS1_3gpuE13ELNS1_3repE0EEENS1_47radix_sort_onesweep_sort_config_static_selectorELNS0_4arch9wavefront6targetE1EEEvSE_, .Lfunc_end2292-_ZN7rocprim17ROCPRIM_400000_NS6detail17trampoline_kernelINS0_14default_configENS1_35radix_sort_onesweep_config_selectorImNS0_10empty_typeEEEZZNS1_29radix_sort_onesweep_iterationIS3_Lb1EPmS8_PS5_S9_mNS0_19identity_decomposerENS1_16block_id_wrapperIjLb1EEEEE10hipError_tT1_PNSt15iterator_traitsISE_E10value_typeET2_T3_PNSF_ISK_E10value_typeET4_T5_PSP_SQ_PNS1_23onesweep_lookback_stateEbbT6_jjT7_P12ihipStream_tbENKUlT_T0_SE_SJ_E_clIS8_S8_S9_S9_EEDaSX_SY_SE_SJ_EUlSX_E_NS1_11comp_targetILNS1_3genE6ELNS1_11target_archE950ELNS1_3gpuE13ELNS1_3repE0EEENS1_47radix_sort_onesweep_sort_config_static_selectorELNS0_4arch9wavefront6targetE1EEEvSE_
                                        ; -- End function
	.section	.AMDGPU.csdata,"",@progbits
; Kernel info:
; codeLenInByte = 0
; NumSgprs: 4
; NumVgprs: 0
; NumAgprs: 0
; TotalNumVgprs: 0
; ScratchSize: 0
; MemoryBound: 0
; FloatMode: 240
; IeeeMode: 1
; LDSByteSize: 0 bytes/workgroup (compile time only)
; SGPRBlocks: 0
; VGPRBlocks: 0
; NumSGPRsForWavesPerEU: 4
; NumVGPRsForWavesPerEU: 1
; AccumOffset: 4
; Occupancy: 8
; WaveLimiterHint : 0
; COMPUTE_PGM_RSRC2:SCRATCH_EN: 0
; COMPUTE_PGM_RSRC2:USER_SGPR: 6
; COMPUTE_PGM_RSRC2:TRAP_HANDLER: 0
; COMPUTE_PGM_RSRC2:TGID_X_EN: 1
; COMPUTE_PGM_RSRC2:TGID_Y_EN: 0
; COMPUTE_PGM_RSRC2:TGID_Z_EN: 0
; COMPUTE_PGM_RSRC2:TIDIG_COMP_CNT: 0
; COMPUTE_PGM_RSRC3_GFX90A:ACCUM_OFFSET: 0
; COMPUTE_PGM_RSRC3_GFX90A:TG_SPLIT: 0
	.section	.text._ZN7rocprim17ROCPRIM_400000_NS6detail17trampoline_kernelINS0_14default_configENS1_35radix_sort_onesweep_config_selectorImNS0_10empty_typeEEEZZNS1_29radix_sort_onesweep_iterationIS3_Lb1EPmS8_PS5_S9_mNS0_19identity_decomposerENS1_16block_id_wrapperIjLb1EEEEE10hipError_tT1_PNSt15iterator_traitsISE_E10value_typeET2_T3_PNSF_ISK_E10value_typeET4_T5_PSP_SQ_PNS1_23onesweep_lookback_stateEbbT6_jjT7_P12ihipStream_tbENKUlT_T0_SE_SJ_E_clIS8_S8_S9_S9_EEDaSX_SY_SE_SJ_EUlSX_E_NS1_11comp_targetILNS1_3genE5ELNS1_11target_archE942ELNS1_3gpuE9ELNS1_3repE0EEENS1_47radix_sort_onesweep_sort_config_static_selectorELNS0_4arch9wavefront6targetE1EEEvSE_,"axG",@progbits,_ZN7rocprim17ROCPRIM_400000_NS6detail17trampoline_kernelINS0_14default_configENS1_35radix_sort_onesweep_config_selectorImNS0_10empty_typeEEEZZNS1_29radix_sort_onesweep_iterationIS3_Lb1EPmS8_PS5_S9_mNS0_19identity_decomposerENS1_16block_id_wrapperIjLb1EEEEE10hipError_tT1_PNSt15iterator_traitsISE_E10value_typeET2_T3_PNSF_ISK_E10value_typeET4_T5_PSP_SQ_PNS1_23onesweep_lookback_stateEbbT6_jjT7_P12ihipStream_tbENKUlT_T0_SE_SJ_E_clIS8_S8_S9_S9_EEDaSX_SY_SE_SJ_EUlSX_E_NS1_11comp_targetILNS1_3genE5ELNS1_11target_archE942ELNS1_3gpuE9ELNS1_3repE0EEENS1_47radix_sort_onesweep_sort_config_static_selectorELNS0_4arch9wavefront6targetE1EEEvSE_,comdat
	.protected	_ZN7rocprim17ROCPRIM_400000_NS6detail17trampoline_kernelINS0_14default_configENS1_35radix_sort_onesweep_config_selectorImNS0_10empty_typeEEEZZNS1_29radix_sort_onesweep_iterationIS3_Lb1EPmS8_PS5_S9_mNS0_19identity_decomposerENS1_16block_id_wrapperIjLb1EEEEE10hipError_tT1_PNSt15iterator_traitsISE_E10value_typeET2_T3_PNSF_ISK_E10value_typeET4_T5_PSP_SQ_PNS1_23onesweep_lookback_stateEbbT6_jjT7_P12ihipStream_tbENKUlT_T0_SE_SJ_E_clIS8_S8_S9_S9_EEDaSX_SY_SE_SJ_EUlSX_E_NS1_11comp_targetILNS1_3genE5ELNS1_11target_archE942ELNS1_3gpuE9ELNS1_3repE0EEENS1_47radix_sort_onesweep_sort_config_static_selectorELNS0_4arch9wavefront6targetE1EEEvSE_ ; -- Begin function _ZN7rocprim17ROCPRIM_400000_NS6detail17trampoline_kernelINS0_14default_configENS1_35radix_sort_onesweep_config_selectorImNS0_10empty_typeEEEZZNS1_29radix_sort_onesweep_iterationIS3_Lb1EPmS8_PS5_S9_mNS0_19identity_decomposerENS1_16block_id_wrapperIjLb1EEEEE10hipError_tT1_PNSt15iterator_traitsISE_E10value_typeET2_T3_PNSF_ISK_E10value_typeET4_T5_PSP_SQ_PNS1_23onesweep_lookback_stateEbbT6_jjT7_P12ihipStream_tbENKUlT_T0_SE_SJ_E_clIS8_S8_S9_S9_EEDaSX_SY_SE_SJ_EUlSX_E_NS1_11comp_targetILNS1_3genE5ELNS1_11target_archE942ELNS1_3gpuE9ELNS1_3repE0EEENS1_47radix_sort_onesweep_sort_config_static_selectorELNS0_4arch9wavefront6targetE1EEEvSE_
	.globl	_ZN7rocprim17ROCPRIM_400000_NS6detail17trampoline_kernelINS0_14default_configENS1_35radix_sort_onesweep_config_selectorImNS0_10empty_typeEEEZZNS1_29radix_sort_onesweep_iterationIS3_Lb1EPmS8_PS5_S9_mNS0_19identity_decomposerENS1_16block_id_wrapperIjLb1EEEEE10hipError_tT1_PNSt15iterator_traitsISE_E10value_typeET2_T3_PNSF_ISK_E10value_typeET4_T5_PSP_SQ_PNS1_23onesweep_lookback_stateEbbT6_jjT7_P12ihipStream_tbENKUlT_T0_SE_SJ_E_clIS8_S8_S9_S9_EEDaSX_SY_SE_SJ_EUlSX_E_NS1_11comp_targetILNS1_3genE5ELNS1_11target_archE942ELNS1_3gpuE9ELNS1_3repE0EEENS1_47radix_sort_onesweep_sort_config_static_selectorELNS0_4arch9wavefront6targetE1EEEvSE_
	.p2align	8
	.type	_ZN7rocprim17ROCPRIM_400000_NS6detail17trampoline_kernelINS0_14default_configENS1_35radix_sort_onesweep_config_selectorImNS0_10empty_typeEEEZZNS1_29radix_sort_onesweep_iterationIS3_Lb1EPmS8_PS5_S9_mNS0_19identity_decomposerENS1_16block_id_wrapperIjLb1EEEEE10hipError_tT1_PNSt15iterator_traitsISE_E10value_typeET2_T3_PNSF_ISK_E10value_typeET4_T5_PSP_SQ_PNS1_23onesweep_lookback_stateEbbT6_jjT7_P12ihipStream_tbENKUlT_T0_SE_SJ_E_clIS8_S8_S9_S9_EEDaSX_SY_SE_SJ_EUlSX_E_NS1_11comp_targetILNS1_3genE5ELNS1_11target_archE942ELNS1_3gpuE9ELNS1_3repE0EEENS1_47radix_sort_onesweep_sort_config_static_selectorELNS0_4arch9wavefront6targetE1EEEvSE_,@function
_ZN7rocprim17ROCPRIM_400000_NS6detail17trampoline_kernelINS0_14default_configENS1_35radix_sort_onesweep_config_selectorImNS0_10empty_typeEEEZZNS1_29radix_sort_onesweep_iterationIS3_Lb1EPmS8_PS5_S9_mNS0_19identity_decomposerENS1_16block_id_wrapperIjLb1EEEEE10hipError_tT1_PNSt15iterator_traitsISE_E10value_typeET2_T3_PNSF_ISK_E10value_typeET4_T5_PSP_SQ_PNS1_23onesweep_lookback_stateEbbT6_jjT7_P12ihipStream_tbENKUlT_T0_SE_SJ_E_clIS8_S8_S9_S9_EEDaSX_SY_SE_SJ_EUlSX_E_NS1_11comp_targetILNS1_3genE5ELNS1_11target_archE942ELNS1_3gpuE9ELNS1_3repE0EEENS1_47radix_sort_onesweep_sort_config_static_selectorELNS0_4arch9wavefront6targetE1EEEvSE_: ; @_ZN7rocprim17ROCPRIM_400000_NS6detail17trampoline_kernelINS0_14default_configENS1_35radix_sort_onesweep_config_selectorImNS0_10empty_typeEEEZZNS1_29radix_sort_onesweep_iterationIS3_Lb1EPmS8_PS5_S9_mNS0_19identity_decomposerENS1_16block_id_wrapperIjLb1EEEEE10hipError_tT1_PNSt15iterator_traitsISE_E10value_typeET2_T3_PNSF_ISK_E10value_typeET4_T5_PSP_SQ_PNS1_23onesweep_lookback_stateEbbT6_jjT7_P12ihipStream_tbENKUlT_T0_SE_SJ_E_clIS8_S8_S9_S9_EEDaSX_SY_SE_SJ_EUlSX_E_NS1_11comp_targetILNS1_3genE5ELNS1_11target_archE942ELNS1_3gpuE9ELNS1_3repE0EEENS1_47radix_sort_onesweep_sort_config_static_selectorELNS0_4arch9wavefront6targetE1EEEvSE_
; %bb.0:
	.section	.rodata,"a",@progbits
	.p2align	6, 0x0
	.amdhsa_kernel _ZN7rocprim17ROCPRIM_400000_NS6detail17trampoline_kernelINS0_14default_configENS1_35radix_sort_onesweep_config_selectorImNS0_10empty_typeEEEZZNS1_29radix_sort_onesweep_iterationIS3_Lb1EPmS8_PS5_S9_mNS0_19identity_decomposerENS1_16block_id_wrapperIjLb1EEEEE10hipError_tT1_PNSt15iterator_traitsISE_E10value_typeET2_T3_PNSF_ISK_E10value_typeET4_T5_PSP_SQ_PNS1_23onesweep_lookback_stateEbbT6_jjT7_P12ihipStream_tbENKUlT_T0_SE_SJ_E_clIS8_S8_S9_S9_EEDaSX_SY_SE_SJ_EUlSX_E_NS1_11comp_targetILNS1_3genE5ELNS1_11target_archE942ELNS1_3gpuE9ELNS1_3repE0EEENS1_47radix_sort_onesweep_sort_config_static_selectorELNS0_4arch9wavefront6targetE1EEEvSE_
		.amdhsa_group_segment_fixed_size 0
		.amdhsa_private_segment_fixed_size 0
		.amdhsa_kernarg_size 88
		.amdhsa_user_sgpr_count 6
		.amdhsa_user_sgpr_private_segment_buffer 1
		.amdhsa_user_sgpr_dispatch_ptr 0
		.amdhsa_user_sgpr_queue_ptr 0
		.amdhsa_user_sgpr_kernarg_segment_ptr 1
		.amdhsa_user_sgpr_dispatch_id 0
		.amdhsa_user_sgpr_flat_scratch_init 0
		.amdhsa_user_sgpr_kernarg_preload_length 0
		.amdhsa_user_sgpr_kernarg_preload_offset 0
		.amdhsa_user_sgpr_private_segment_size 0
		.amdhsa_uses_dynamic_stack 0
		.amdhsa_system_sgpr_private_segment_wavefront_offset 0
		.amdhsa_system_sgpr_workgroup_id_x 1
		.amdhsa_system_sgpr_workgroup_id_y 0
		.amdhsa_system_sgpr_workgroup_id_z 0
		.amdhsa_system_sgpr_workgroup_info 0
		.amdhsa_system_vgpr_workitem_id 0
		.amdhsa_next_free_vgpr 1
		.amdhsa_next_free_sgpr 0
		.amdhsa_accum_offset 4
		.amdhsa_reserve_vcc 0
		.amdhsa_reserve_flat_scratch 0
		.amdhsa_float_round_mode_32 0
		.amdhsa_float_round_mode_16_64 0
		.amdhsa_float_denorm_mode_32 3
		.amdhsa_float_denorm_mode_16_64 3
		.amdhsa_dx10_clamp 1
		.amdhsa_ieee_mode 1
		.amdhsa_fp16_overflow 0
		.amdhsa_tg_split 0
		.amdhsa_exception_fp_ieee_invalid_op 0
		.amdhsa_exception_fp_denorm_src 0
		.amdhsa_exception_fp_ieee_div_zero 0
		.amdhsa_exception_fp_ieee_overflow 0
		.amdhsa_exception_fp_ieee_underflow 0
		.amdhsa_exception_fp_ieee_inexact 0
		.amdhsa_exception_int_div_zero 0
	.end_amdhsa_kernel
	.section	.text._ZN7rocprim17ROCPRIM_400000_NS6detail17trampoline_kernelINS0_14default_configENS1_35radix_sort_onesweep_config_selectorImNS0_10empty_typeEEEZZNS1_29radix_sort_onesweep_iterationIS3_Lb1EPmS8_PS5_S9_mNS0_19identity_decomposerENS1_16block_id_wrapperIjLb1EEEEE10hipError_tT1_PNSt15iterator_traitsISE_E10value_typeET2_T3_PNSF_ISK_E10value_typeET4_T5_PSP_SQ_PNS1_23onesweep_lookback_stateEbbT6_jjT7_P12ihipStream_tbENKUlT_T0_SE_SJ_E_clIS8_S8_S9_S9_EEDaSX_SY_SE_SJ_EUlSX_E_NS1_11comp_targetILNS1_3genE5ELNS1_11target_archE942ELNS1_3gpuE9ELNS1_3repE0EEENS1_47radix_sort_onesweep_sort_config_static_selectorELNS0_4arch9wavefront6targetE1EEEvSE_,"axG",@progbits,_ZN7rocprim17ROCPRIM_400000_NS6detail17trampoline_kernelINS0_14default_configENS1_35radix_sort_onesweep_config_selectorImNS0_10empty_typeEEEZZNS1_29radix_sort_onesweep_iterationIS3_Lb1EPmS8_PS5_S9_mNS0_19identity_decomposerENS1_16block_id_wrapperIjLb1EEEEE10hipError_tT1_PNSt15iterator_traitsISE_E10value_typeET2_T3_PNSF_ISK_E10value_typeET4_T5_PSP_SQ_PNS1_23onesweep_lookback_stateEbbT6_jjT7_P12ihipStream_tbENKUlT_T0_SE_SJ_E_clIS8_S8_S9_S9_EEDaSX_SY_SE_SJ_EUlSX_E_NS1_11comp_targetILNS1_3genE5ELNS1_11target_archE942ELNS1_3gpuE9ELNS1_3repE0EEENS1_47radix_sort_onesweep_sort_config_static_selectorELNS0_4arch9wavefront6targetE1EEEvSE_,comdat
.Lfunc_end2293:
	.size	_ZN7rocprim17ROCPRIM_400000_NS6detail17trampoline_kernelINS0_14default_configENS1_35radix_sort_onesweep_config_selectorImNS0_10empty_typeEEEZZNS1_29radix_sort_onesweep_iterationIS3_Lb1EPmS8_PS5_S9_mNS0_19identity_decomposerENS1_16block_id_wrapperIjLb1EEEEE10hipError_tT1_PNSt15iterator_traitsISE_E10value_typeET2_T3_PNSF_ISK_E10value_typeET4_T5_PSP_SQ_PNS1_23onesweep_lookback_stateEbbT6_jjT7_P12ihipStream_tbENKUlT_T0_SE_SJ_E_clIS8_S8_S9_S9_EEDaSX_SY_SE_SJ_EUlSX_E_NS1_11comp_targetILNS1_3genE5ELNS1_11target_archE942ELNS1_3gpuE9ELNS1_3repE0EEENS1_47radix_sort_onesweep_sort_config_static_selectorELNS0_4arch9wavefront6targetE1EEEvSE_, .Lfunc_end2293-_ZN7rocprim17ROCPRIM_400000_NS6detail17trampoline_kernelINS0_14default_configENS1_35radix_sort_onesweep_config_selectorImNS0_10empty_typeEEEZZNS1_29radix_sort_onesweep_iterationIS3_Lb1EPmS8_PS5_S9_mNS0_19identity_decomposerENS1_16block_id_wrapperIjLb1EEEEE10hipError_tT1_PNSt15iterator_traitsISE_E10value_typeET2_T3_PNSF_ISK_E10value_typeET4_T5_PSP_SQ_PNS1_23onesweep_lookback_stateEbbT6_jjT7_P12ihipStream_tbENKUlT_T0_SE_SJ_E_clIS8_S8_S9_S9_EEDaSX_SY_SE_SJ_EUlSX_E_NS1_11comp_targetILNS1_3genE5ELNS1_11target_archE942ELNS1_3gpuE9ELNS1_3repE0EEENS1_47radix_sort_onesweep_sort_config_static_selectorELNS0_4arch9wavefront6targetE1EEEvSE_
                                        ; -- End function
	.section	.AMDGPU.csdata,"",@progbits
; Kernel info:
; codeLenInByte = 0
; NumSgprs: 4
; NumVgprs: 0
; NumAgprs: 0
; TotalNumVgprs: 0
; ScratchSize: 0
; MemoryBound: 0
; FloatMode: 240
; IeeeMode: 1
; LDSByteSize: 0 bytes/workgroup (compile time only)
; SGPRBlocks: 0
; VGPRBlocks: 0
; NumSGPRsForWavesPerEU: 4
; NumVGPRsForWavesPerEU: 1
; AccumOffset: 4
; Occupancy: 8
; WaveLimiterHint : 0
; COMPUTE_PGM_RSRC2:SCRATCH_EN: 0
; COMPUTE_PGM_RSRC2:USER_SGPR: 6
; COMPUTE_PGM_RSRC2:TRAP_HANDLER: 0
; COMPUTE_PGM_RSRC2:TGID_X_EN: 1
; COMPUTE_PGM_RSRC2:TGID_Y_EN: 0
; COMPUTE_PGM_RSRC2:TGID_Z_EN: 0
; COMPUTE_PGM_RSRC2:TIDIG_COMP_CNT: 0
; COMPUTE_PGM_RSRC3_GFX90A:ACCUM_OFFSET: 0
; COMPUTE_PGM_RSRC3_GFX90A:TG_SPLIT: 0
	.section	.text._ZN7rocprim17ROCPRIM_400000_NS6detail17trampoline_kernelINS0_14default_configENS1_35radix_sort_onesweep_config_selectorImNS0_10empty_typeEEEZZNS1_29radix_sort_onesweep_iterationIS3_Lb1EPmS8_PS5_S9_mNS0_19identity_decomposerENS1_16block_id_wrapperIjLb1EEEEE10hipError_tT1_PNSt15iterator_traitsISE_E10value_typeET2_T3_PNSF_ISK_E10value_typeET4_T5_PSP_SQ_PNS1_23onesweep_lookback_stateEbbT6_jjT7_P12ihipStream_tbENKUlT_T0_SE_SJ_E_clIS8_S8_S9_S9_EEDaSX_SY_SE_SJ_EUlSX_E_NS1_11comp_targetILNS1_3genE2ELNS1_11target_archE906ELNS1_3gpuE6ELNS1_3repE0EEENS1_47radix_sort_onesweep_sort_config_static_selectorELNS0_4arch9wavefront6targetE1EEEvSE_,"axG",@progbits,_ZN7rocprim17ROCPRIM_400000_NS6detail17trampoline_kernelINS0_14default_configENS1_35radix_sort_onesweep_config_selectorImNS0_10empty_typeEEEZZNS1_29radix_sort_onesweep_iterationIS3_Lb1EPmS8_PS5_S9_mNS0_19identity_decomposerENS1_16block_id_wrapperIjLb1EEEEE10hipError_tT1_PNSt15iterator_traitsISE_E10value_typeET2_T3_PNSF_ISK_E10value_typeET4_T5_PSP_SQ_PNS1_23onesweep_lookback_stateEbbT6_jjT7_P12ihipStream_tbENKUlT_T0_SE_SJ_E_clIS8_S8_S9_S9_EEDaSX_SY_SE_SJ_EUlSX_E_NS1_11comp_targetILNS1_3genE2ELNS1_11target_archE906ELNS1_3gpuE6ELNS1_3repE0EEENS1_47radix_sort_onesweep_sort_config_static_selectorELNS0_4arch9wavefront6targetE1EEEvSE_,comdat
	.protected	_ZN7rocprim17ROCPRIM_400000_NS6detail17trampoline_kernelINS0_14default_configENS1_35radix_sort_onesweep_config_selectorImNS0_10empty_typeEEEZZNS1_29radix_sort_onesweep_iterationIS3_Lb1EPmS8_PS5_S9_mNS0_19identity_decomposerENS1_16block_id_wrapperIjLb1EEEEE10hipError_tT1_PNSt15iterator_traitsISE_E10value_typeET2_T3_PNSF_ISK_E10value_typeET4_T5_PSP_SQ_PNS1_23onesweep_lookback_stateEbbT6_jjT7_P12ihipStream_tbENKUlT_T0_SE_SJ_E_clIS8_S8_S9_S9_EEDaSX_SY_SE_SJ_EUlSX_E_NS1_11comp_targetILNS1_3genE2ELNS1_11target_archE906ELNS1_3gpuE6ELNS1_3repE0EEENS1_47radix_sort_onesweep_sort_config_static_selectorELNS0_4arch9wavefront6targetE1EEEvSE_ ; -- Begin function _ZN7rocprim17ROCPRIM_400000_NS6detail17trampoline_kernelINS0_14default_configENS1_35radix_sort_onesweep_config_selectorImNS0_10empty_typeEEEZZNS1_29radix_sort_onesweep_iterationIS3_Lb1EPmS8_PS5_S9_mNS0_19identity_decomposerENS1_16block_id_wrapperIjLb1EEEEE10hipError_tT1_PNSt15iterator_traitsISE_E10value_typeET2_T3_PNSF_ISK_E10value_typeET4_T5_PSP_SQ_PNS1_23onesweep_lookback_stateEbbT6_jjT7_P12ihipStream_tbENKUlT_T0_SE_SJ_E_clIS8_S8_S9_S9_EEDaSX_SY_SE_SJ_EUlSX_E_NS1_11comp_targetILNS1_3genE2ELNS1_11target_archE906ELNS1_3gpuE6ELNS1_3repE0EEENS1_47radix_sort_onesweep_sort_config_static_selectorELNS0_4arch9wavefront6targetE1EEEvSE_
	.globl	_ZN7rocprim17ROCPRIM_400000_NS6detail17trampoline_kernelINS0_14default_configENS1_35radix_sort_onesweep_config_selectorImNS0_10empty_typeEEEZZNS1_29radix_sort_onesweep_iterationIS3_Lb1EPmS8_PS5_S9_mNS0_19identity_decomposerENS1_16block_id_wrapperIjLb1EEEEE10hipError_tT1_PNSt15iterator_traitsISE_E10value_typeET2_T3_PNSF_ISK_E10value_typeET4_T5_PSP_SQ_PNS1_23onesweep_lookback_stateEbbT6_jjT7_P12ihipStream_tbENKUlT_T0_SE_SJ_E_clIS8_S8_S9_S9_EEDaSX_SY_SE_SJ_EUlSX_E_NS1_11comp_targetILNS1_3genE2ELNS1_11target_archE906ELNS1_3gpuE6ELNS1_3repE0EEENS1_47radix_sort_onesweep_sort_config_static_selectorELNS0_4arch9wavefront6targetE1EEEvSE_
	.p2align	8
	.type	_ZN7rocprim17ROCPRIM_400000_NS6detail17trampoline_kernelINS0_14default_configENS1_35radix_sort_onesweep_config_selectorImNS0_10empty_typeEEEZZNS1_29radix_sort_onesweep_iterationIS3_Lb1EPmS8_PS5_S9_mNS0_19identity_decomposerENS1_16block_id_wrapperIjLb1EEEEE10hipError_tT1_PNSt15iterator_traitsISE_E10value_typeET2_T3_PNSF_ISK_E10value_typeET4_T5_PSP_SQ_PNS1_23onesweep_lookback_stateEbbT6_jjT7_P12ihipStream_tbENKUlT_T0_SE_SJ_E_clIS8_S8_S9_S9_EEDaSX_SY_SE_SJ_EUlSX_E_NS1_11comp_targetILNS1_3genE2ELNS1_11target_archE906ELNS1_3gpuE6ELNS1_3repE0EEENS1_47radix_sort_onesweep_sort_config_static_selectorELNS0_4arch9wavefront6targetE1EEEvSE_,@function
_ZN7rocprim17ROCPRIM_400000_NS6detail17trampoline_kernelINS0_14default_configENS1_35radix_sort_onesweep_config_selectorImNS0_10empty_typeEEEZZNS1_29radix_sort_onesweep_iterationIS3_Lb1EPmS8_PS5_S9_mNS0_19identity_decomposerENS1_16block_id_wrapperIjLb1EEEEE10hipError_tT1_PNSt15iterator_traitsISE_E10value_typeET2_T3_PNSF_ISK_E10value_typeET4_T5_PSP_SQ_PNS1_23onesweep_lookback_stateEbbT6_jjT7_P12ihipStream_tbENKUlT_T0_SE_SJ_E_clIS8_S8_S9_S9_EEDaSX_SY_SE_SJ_EUlSX_E_NS1_11comp_targetILNS1_3genE2ELNS1_11target_archE906ELNS1_3gpuE6ELNS1_3repE0EEENS1_47radix_sort_onesweep_sort_config_static_selectorELNS0_4arch9wavefront6targetE1EEEvSE_: ; @_ZN7rocprim17ROCPRIM_400000_NS6detail17trampoline_kernelINS0_14default_configENS1_35radix_sort_onesweep_config_selectorImNS0_10empty_typeEEEZZNS1_29radix_sort_onesweep_iterationIS3_Lb1EPmS8_PS5_S9_mNS0_19identity_decomposerENS1_16block_id_wrapperIjLb1EEEEE10hipError_tT1_PNSt15iterator_traitsISE_E10value_typeET2_T3_PNSF_ISK_E10value_typeET4_T5_PSP_SQ_PNS1_23onesweep_lookback_stateEbbT6_jjT7_P12ihipStream_tbENKUlT_T0_SE_SJ_E_clIS8_S8_S9_S9_EEDaSX_SY_SE_SJ_EUlSX_E_NS1_11comp_targetILNS1_3genE2ELNS1_11target_archE906ELNS1_3gpuE6ELNS1_3repE0EEENS1_47radix_sort_onesweep_sort_config_static_selectorELNS0_4arch9wavefront6targetE1EEEvSE_
; %bb.0:
	.section	.rodata,"a",@progbits
	.p2align	6, 0x0
	.amdhsa_kernel _ZN7rocprim17ROCPRIM_400000_NS6detail17trampoline_kernelINS0_14default_configENS1_35radix_sort_onesweep_config_selectorImNS0_10empty_typeEEEZZNS1_29radix_sort_onesweep_iterationIS3_Lb1EPmS8_PS5_S9_mNS0_19identity_decomposerENS1_16block_id_wrapperIjLb1EEEEE10hipError_tT1_PNSt15iterator_traitsISE_E10value_typeET2_T3_PNSF_ISK_E10value_typeET4_T5_PSP_SQ_PNS1_23onesweep_lookback_stateEbbT6_jjT7_P12ihipStream_tbENKUlT_T0_SE_SJ_E_clIS8_S8_S9_S9_EEDaSX_SY_SE_SJ_EUlSX_E_NS1_11comp_targetILNS1_3genE2ELNS1_11target_archE906ELNS1_3gpuE6ELNS1_3repE0EEENS1_47radix_sort_onesweep_sort_config_static_selectorELNS0_4arch9wavefront6targetE1EEEvSE_
		.amdhsa_group_segment_fixed_size 0
		.amdhsa_private_segment_fixed_size 0
		.amdhsa_kernarg_size 88
		.amdhsa_user_sgpr_count 6
		.amdhsa_user_sgpr_private_segment_buffer 1
		.amdhsa_user_sgpr_dispatch_ptr 0
		.amdhsa_user_sgpr_queue_ptr 0
		.amdhsa_user_sgpr_kernarg_segment_ptr 1
		.amdhsa_user_sgpr_dispatch_id 0
		.amdhsa_user_sgpr_flat_scratch_init 0
		.amdhsa_user_sgpr_kernarg_preload_length 0
		.amdhsa_user_sgpr_kernarg_preload_offset 0
		.amdhsa_user_sgpr_private_segment_size 0
		.amdhsa_uses_dynamic_stack 0
		.amdhsa_system_sgpr_private_segment_wavefront_offset 0
		.amdhsa_system_sgpr_workgroup_id_x 1
		.amdhsa_system_sgpr_workgroup_id_y 0
		.amdhsa_system_sgpr_workgroup_id_z 0
		.amdhsa_system_sgpr_workgroup_info 0
		.amdhsa_system_vgpr_workitem_id 0
		.amdhsa_next_free_vgpr 1
		.amdhsa_next_free_sgpr 0
		.amdhsa_accum_offset 4
		.amdhsa_reserve_vcc 0
		.amdhsa_reserve_flat_scratch 0
		.amdhsa_float_round_mode_32 0
		.amdhsa_float_round_mode_16_64 0
		.amdhsa_float_denorm_mode_32 3
		.amdhsa_float_denorm_mode_16_64 3
		.amdhsa_dx10_clamp 1
		.amdhsa_ieee_mode 1
		.amdhsa_fp16_overflow 0
		.amdhsa_tg_split 0
		.amdhsa_exception_fp_ieee_invalid_op 0
		.amdhsa_exception_fp_denorm_src 0
		.amdhsa_exception_fp_ieee_div_zero 0
		.amdhsa_exception_fp_ieee_overflow 0
		.amdhsa_exception_fp_ieee_underflow 0
		.amdhsa_exception_fp_ieee_inexact 0
		.amdhsa_exception_int_div_zero 0
	.end_amdhsa_kernel
	.section	.text._ZN7rocprim17ROCPRIM_400000_NS6detail17trampoline_kernelINS0_14default_configENS1_35radix_sort_onesweep_config_selectorImNS0_10empty_typeEEEZZNS1_29radix_sort_onesweep_iterationIS3_Lb1EPmS8_PS5_S9_mNS0_19identity_decomposerENS1_16block_id_wrapperIjLb1EEEEE10hipError_tT1_PNSt15iterator_traitsISE_E10value_typeET2_T3_PNSF_ISK_E10value_typeET4_T5_PSP_SQ_PNS1_23onesweep_lookback_stateEbbT6_jjT7_P12ihipStream_tbENKUlT_T0_SE_SJ_E_clIS8_S8_S9_S9_EEDaSX_SY_SE_SJ_EUlSX_E_NS1_11comp_targetILNS1_3genE2ELNS1_11target_archE906ELNS1_3gpuE6ELNS1_3repE0EEENS1_47radix_sort_onesweep_sort_config_static_selectorELNS0_4arch9wavefront6targetE1EEEvSE_,"axG",@progbits,_ZN7rocprim17ROCPRIM_400000_NS6detail17trampoline_kernelINS0_14default_configENS1_35radix_sort_onesweep_config_selectorImNS0_10empty_typeEEEZZNS1_29radix_sort_onesweep_iterationIS3_Lb1EPmS8_PS5_S9_mNS0_19identity_decomposerENS1_16block_id_wrapperIjLb1EEEEE10hipError_tT1_PNSt15iterator_traitsISE_E10value_typeET2_T3_PNSF_ISK_E10value_typeET4_T5_PSP_SQ_PNS1_23onesweep_lookback_stateEbbT6_jjT7_P12ihipStream_tbENKUlT_T0_SE_SJ_E_clIS8_S8_S9_S9_EEDaSX_SY_SE_SJ_EUlSX_E_NS1_11comp_targetILNS1_3genE2ELNS1_11target_archE906ELNS1_3gpuE6ELNS1_3repE0EEENS1_47radix_sort_onesweep_sort_config_static_selectorELNS0_4arch9wavefront6targetE1EEEvSE_,comdat
.Lfunc_end2294:
	.size	_ZN7rocprim17ROCPRIM_400000_NS6detail17trampoline_kernelINS0_14default_configENS1_35radix_sort_onesweep_config_selectorImNS0_10empty_typeEEEZZNS1_29radix_sort_onesweep_iterationIS3_Lb1EPmS8_PS5_S9_mNS0_19identity_decomposerENS1_16block_id_wrapperIjLb1EEEEE10hipError_tT1_PNSt15iterator_traitsISE_E10value_typeET2_T3_PNSF_ISK_E10value_typeET4_T5_PSP_SQ_PNS1_23onesweep_lookback_stateEbbT6_jjT7_P12ihipStream_tbENKUlT_T0_SE_SJ_E_clIS8_S8_S9_S9_EEDaSX_SY_SE_SJ_EUlSX_E_NS1_11comp_targetILNS1_3genE2ELNS1_11target_archE906ELNS1_3gpuE6ELNS1_3repE0EEENS1_47radix_sort_onesweep_sort_config_static_selectorELNS0_4arch9wavefront6targetE1EEEvSE_, .Lfunc_end2294-_ZN7rocprim17ROCPRIM_400000_NS6detail17trampoline_kernelINS0_14default_configENS1_35radix_sort_onesweep_config_selectorImNS0_10empty_typeEEEZZNS1_29radix_sort_onesweep_iterationIS3_Lb1EPmS8_PS5_S9_mNS0_19identity_decomposerENS1_16block_id_wrapperIjLb1EEEEE10hipError_tT1_PNSt15iterator_traitsISE_E10value_typeET2_T3_PNSF_ISK_E10value_typeET4_T5_PSP_SQ_PNS1_23onesweep_lookback_stateEbbT6_jjT7_P12ihipStream_tbENKUlT_T0_SE_SJ_E_clIS8_S8_S9_S9_EEDaSX_SY_SE_SJ_EUlSX_E_NS1_11comp_targetILNS1_3genE2ELNS1_11target_archE906ELNS1_3gpuE6ELNS1_3repE0EEENS1_47radix_sort_onesweep_sort_config_static_selectorELNS0_4arch9wavefront6targetE1EEEvSE_
                                        ; -- End function
	.section	.AMDGPU.csdata,"",@progbits
; Kernel info:
; codeLenInByte = 0
; NumSgprs: 4
; NumVgprs: 0
; NumAgprs: 0
; TotalNumVgprs: 0
; ScratchSize: 0
; MemoryBound: 0
; FloatMode: 240
; IeeeMode: 1
; LDSByteSize: 0 bytes/workgroup (compile time only)
; SGPRBlocks: 0
; VGPRBlocks: 0
; NumSGPRsForWavesPerEU: 4
; NumVGPRsForWavesPerEU: 1
; AccumOffset: 4
; Occupancy: 8
; WaveLimiterHint : 0
; COMPUTE_PGM_RSRC2:SCRATCH_EN: 0
; COMPUTE_PGM_RSRC2:USER_SGPR: 6
; COMPUTE_PGM_RSRC2:TRAP_HANDLER: 0
; COMPUTE_PGM_RSRC2:TGID_X_EN: 1
; COMPUTE_PGM_RSRC2:TGID_Y_EN: 0
; COMPUTE_PGM_RSRC2:TGID_Z_EN: 0
; COMPUTE_PGM_RSRC2:TIDIG_COMP_CNT: 0
; COMPUTE_PGM_RSRC3_GFX90A:ACCUM_OFFSET: 0
; COMPUTE_PGM_RSRC3_GFX90A:TG_SPLIT: 0
	.section	.text._ZN7rocprim17ROCPRIM_400000_NS6detail17trampoline_kernelINS0_14default_configENS1_35radix_sort_onesweep_config_selectorImNS0_10empty_typeEEEZZNS1_29radix_sort_onesweep_iterationIS3_Lb1EPmS8_PS5_S9_mNS0_19identity_decomposerENS1_16block_id_wrapperIjLb1EEEEE10hipError_tT1_PNSt15iterator_traitsISE_E10value_typeET2_T3_PNSF_ISK_E10value_typeET4_T5_PSP_SQ_PNS1_23onesweep_lookback_stateEbbT6_jjT7_P12ihipStream_tbENKUlT_T0_SE_SJ_E_clIS8_S8_S9_S9_EEDaSX_SY_SE_SJ_EUlSX_E_NS1_11comp_targetILNS1_3genE4ELNS1_11target_archE910ELNS1_3gpuE8ELNS1_3repE0EEENS1_47radix_sort_onesweep_sort_config_static_selectorELNS0_4arch9wavefront6targetE1EEEvSE_,"axG",@progbits,_ZN7rocprim17ROCPRIM_400000_NS6detail17trampoline_kernelINS0_14default_configENS1_35radix_sort_onesweep_config_selectorImNS0_10empty_typeEEEZZNS1_29radix_sort_onesweep_iterationIS3_Lb1EPmS8_PS5_S9_mNS0_19identity_decomposerENS1_16block_id_wrapperIjLb1EEEEE10hipError_tT1_PNSt15iterator_traitsISE_E10value_typeET2_T3_PNSF_ISK_E10value_typeET4_T5_PSP_SQ_PNS1_23onesweep_lookback_stateEbbT6_jjT7_P12ihipStream_tbENKUlT_T0_SE_SJ_E_clIS8_S8_S9_S9_EEDaSX_SY_SE_SJ_EUlSX_E_NS1_11comp_targetILNS1_3genE4ELNS1_11target_archE910ELNS1_3gpuE8ELNS1_3repE0EEENS1_47radix_sort_onesweep_sort_config_static_selectorELNS0_4arch9wavefront6targetE1EEEvSE_,comdat
	.protected	_ZN7rocprim17ROCPRIM_400000_NS6detail17trampoline_kernelINS0_14default_configENS1_35radix_sort_onesweep_config_selectorImNS0_10empty_typeEEEZZNS1_29radix_sort_onesweep_iterationIS3_Lb1EPmS8_PS5_S9_mNS0_19identity_decomposerENS1_16block_id_wrapperIjLb1EEEEE10hipError_tT1_PNSt15iterator_traitsISE_E10value_typeET2_T3_PNSF_ISK_E10value_typeET4_T5_PSP_SQ_PNS1_23onesweep_lookback_stateEbbT6_jjT7_P12ihipStream_tbENKUlT_T0_SE_SJ_E_clIS8_S8_S9_S9_EEDaSX_SY_SE_SJ_EUlSX_E_NS1_11comp_targetILNS1_3genE4ELNS1_11target_archE910ELNS1_3gpuE8ELNS1_3repE0EEENS1_47radix_sort_onesweep_sort_config_static_selectorELNS0_4arch9wavefront6targetE1EEEvSE_ ; -- Begin function _ZN7rocprim17ROCPRIM_400000_NS6detail17trampoline_kernelINS0_14default_configENS1_35radix_sort_onesweep_config_selectorImNS0_10empty_typeEEEZZNS1_29radix_sort_onesweep_iterationIS3_Lb1EPmS8_PS5_S9_mNS0_19identity_decomposerENS1_16block_id_wrapperIjLb1EEEEE10hipError_tT1_PNSt15iterator_traitsISE_E10value_typeET2_T3_PNSF_ISK_E10value_typeET4_T5_PSP_SQ_PNS1_23onesweep_lookback_stateEbbT6_jjT7_P12ihipStream_tbENKUlT_T0_SE_SJ_E_clIS8_S8_S9_S9_EEDaSX_SY_SE_SJ_EUlSX_E_NS1_11comp_targetILNS1_3genE4ELNS1_11target_archE910ELNS1_3gpuE8ELNS1_3repE0EEENS1_47radix_sort_onesweep_sort_config_static_selectorELNS0_4arch9wavefront6targetE1EEEvSE_
	.globl	_ZN7rocprim17ROCPRIM_400000_NS6detail17trampoline_kernelINS0_14default_configENS1_35radix_sort_onesweep_config_selectorImNS0_10empty_typeEEEZZNS1_29radix_sort_onesweep_iterationIS3_Lb1EPmS8_PS5_S9_mNS0_19identity_decomposerENS1_16block_id_wrapperIjLb1EEEEE10hipError_tT1_PNSt15iterator_traitsISE_E10value_typeET2_T3_PNSF_ISK_E10value_typeET4_T5_PSP_SQ_PNS1_23onesweep_lookback_stateEbbT6_jjT7_P12ihipStream_tbENKUlT_T0_SE_SJ_E_clIS8_S8_S9_S9_EEDaSX_SY_SE_SJ_EUlSX_E_NS1_11comp_targetILNS1_3genE4ELNS1_11target_archE910ELNS1_3gpuE8ELNS1_3repE0EEENS1_47radix_sort_onesweep_sort_config_static_selectorELNS0_4arch9wavefront6targetE1EEEvSE_
	.p2align	8
	.type	_ZN7rocprim17ROCPRIM_400000_NS6detail17trampoline_kernelINS0_14default_configENS1_35radix_sort_onesweep_config_selectorImNS0_10empty_typeEEEZZNS1_29radix_sort_onesweep_iterationIS3_Lb1EPmS8_PS5_S9_mNS0_19identity_decomposerENS1_16block_id_wrapperIjLb1EEEEE10hipError_tT1_PNSt15iterator_traitsISE_E10value_typeET2_T3_PNSF_ISK_E10value_typeET4_T5_PSP_SQ_PNS1_23onesweep_lookback_stateEbbT6_jjT7_P12ihipStream_tbENKUlT_T0_SE_SJ_E_clIS8_S8_S9_S9_EEDaSX_SY_SE_SJ_EUlSX_E_NS1_11comp_targetILNS1_3genE4ELNS1_11target_archE910ELNS1_3gpuE8ELNS1_3repE0EEENS1_47radix_sort_onesweep_sort_config_static_selectorELNS0_4arch9wavefront6targetE1EEEvSE_,@function
_ZN7rocprim17ROCPRIM_400000_NS6detail17trampoline_kernelINS0_14default_configENS1_35radix_sort_onesweep_config_selectorImNS0_10empty_typeEEEZZNS1_29radix_sort_onesweep_iterationIS3_Lb1EPmS8_PS5_S9_mNS0_19identity_decomposerENS1_16block_id_wrapperIjLb1EEEEE10hipError_tT1_PNSt15iterator_traitsISE_E10value_typeET2_T3_PNSF_ISK_E10value_typeET4_T5_PSP_SQ_PNS1_23onesweep_lookback_stateEbbT6_jjT7_P12ihipStream_tbENKUlT_T0_SE_SJ_E_clIS8_S8_S9_S9_EEDaSX_SY_SE_SJ_EUlSX_E_NS1_11comp_targetILNS1_3genE4ELNS1_11target_archE910ELNS1_3gpuE8ELNS1_3repE0EEENS1_47radix_sort_onesweep_sort_config_static_selectorELNS0_4arch9wavefront6targetE1EEEvSE_: ; @_ZN7rocprim17ROCPRIM_400000_NS6detail17trampoline_kernelINS0_14default_configENS1_35radix_sort_onesweep_config_selectorImNS0_10empty_typeEEEZZNS1_29radix_sort_onesweep_iterationIS3_Lb1EPmS8_PS5_S9_mNS0_19identity_decomposerENS1_16block_id_wrapperIjLb1EEEEE10hipError_tT1_PNSt15iterator_traitsISE_E10value_typeET2_T3_PNSF_ISK_E10value_typeET4_T5_PSP_SQ_PNS1_23onesweep_lookback_stateEbbT6_jjT7_P12ihipStream_tbENKUlT_T0_SE_SJ_E_clIS8_S8_S9_S9_EEDaSX_SY_SE_SJ_EUlSX_E_NS1_11comp_targetILNS1_3genE4ELNS1_11target_archE910ELNS1_3gpuE8ELNS1_3repE0EEENS1_47radix_sort_onesweep_sort_config_static_selectorELNS0_4arch9wavefront6targetE1EEEvSE_
; %bb.0:
	s_load_dwordx4 s[16:19], s[4:5], 0x28
	s_load_dwordx2 s[14:15], s[4:5], 0x38
	s_load_dwordx4 s[20:23], s[4:5], 0x44
	v_and_b32_e32 v2, 0x3ff, v0
	v_cmp_eq_u32_e64 s[0:1], 0, v2
	s_and_saveexec_b64 s[2:3], s[0:1]
	s_cbranch_execz .LBB2295_4
; %bb.1:
	s_mov_b64 s[10:11], exec
	v_mbcnt_lo_u32_b32 v1, s10, 0
	v_mbcnt_hi_u32_b32 v1, s11, v1
	v_cmp_eq_u32_e32 vcc, 0, v1
                                        ; implicit-def: $vgpr3
	s_and_saveexec_b64 s[8:9], vcc
	s_cbranch_execz .LBB2295_3
; %bb.2:
	s_load_dwordx2 s[12:13], s[4:5], 0x50
	s_bcnt1_i32_b64 s7, s[10:11]
	v_mov_b32_e32 v3, 0
	v_mov_b32_e32 v4, s7
	s_waitcnt lgkmcnt(0)
	global_atomic_add v3, v3, v4, s[12:13] glc
.LBB2295_3:
	s_or_b64 exec, exec, s[8:9]
	s_waitcnt vmcnt(0)
	v_readfirstlane_b32 s7, v3
	v_add_u32_e32 v1, s7, v1
	v_mov_b32_e32 v3, 0
	ds_write_b32 v3, v1 offset:20544
.LBB2295_4:
	s_or_b64 exec, exec, s[2:3]
	v_mov_b32_e32 v1, 0
	s_load_dwordx4 s[24:27], s[4:5], 0x0
	s_load_dword s2, s[4:5], 0x20
	s_waitcnt lgkmcnt(0)
	s_barrier
	ds_read_b32 v1, v1 offset:20544
	v_mbcnt_lo_u32_b32 v29, -1, 0
	v_lshlrev_b32_e32 v28, 3, v2
	s_waitcnt lgkmcnt(0)
	s_barrier
	v_cmp_le_u32_e32 vcc, s22, v1
	v_readfirstlane_b32 s28, v1
	s_cbranch_vccz .LBB2295_65
; %bb.5:
	s_lshl_b32 s3, s22, 13
	s_sub_i32 s7, s2, s3
	s_lshl_b32 s2, s28, 13
	s_mov_b32 s3, 0
	s_lshl_b64 s[2:3], s[2:3], 3
	v_mbcnt_hi_u32_b32 v1, -1, v29
	s_add_u32 s2, s24, s2
	v_and_b32_e32 v3, 63, v1
	s_addc_u32 s3, s25, s3
	v_lshlrev_b32_e32 v5, 3, v3
	v_and_b32_e32 v4, 0x1e00, v28
	v_mov_b32_e32 v6, s3
	v_add_co_u32_e32 v5, vcc, s2, v5
	v_addc_co_u32_e32 v6, vcc, 0, v6, vcc
	v_lshlrev_b32_e32 v7, 3, v4
	v_add_co_u32_e32 v20, vcc, v5, v7
	v_addc_co_u32_e32 v21, vcc, 0, v6, vcc
	v_or_b32_e32 v3, v3, v4
	v_pk_mov_b32 v[6:7], 0, 0
	v_cmp_gt_u32_e32 vcc, s7, v3
	v_pk_mov_b32 v[4:5], v[6:7], v[6:7] op_sel:[0,1]
	s_and_saveexec_b64 s[2:3], vcc
	s_cbranch_execz .LBB2295_7
; %bb.6:
	global_load_dwordx2 v[4:5], v[20:21], off
.LBB2295_7:
	s_or_b64 exec, exec, s[2:3]
	v_or_b32_e32 v8, 64, v3
	v_cmp_gt_u32_e32 vcc, s7, v8
	s_and_saveexec_b64 s[2:3], vcc
	s_cbranch_execz .LBB2295_9
; %bb.8:
	global_load_dwordx2 v[6:7], v[20:21], off offset:512
.LBB2295_9:
	s_or_b64 exec, exec, s[2:3]
	v_or_b32_e32 v8, 0x80, v3
	v_pk_mov_b32 v[10:11], 0, 0
	v_cmp_gt_u32_e32 vcc, s7, v8
	v_pk_mov_b32 v[8:9], v[10:11], v[10:11] op_sel:[0,1]
	s_and_saveexec_b64 s[2:3], vcc
	s_cbranch_execz .LBB2295_11
; %bb.10:
	global_load_dwordx2 v[8:9], v[20:21], off offset:1024
.LBB2295_11:
	s_or_b64 exec, exec, s[2:3]
	v_or_b32_e32 v12, 0xc0, v3
	v_cmp_gt_u32_e32 vcc, s7, v12
	s_and_saveexec_b64 s[2:3], vcc
	s_cbranch_execz .LBB2295_13
; %bb.12:
	global_load_dwordx2 v[10:11], v[20:21], off offset:1536
.LBB2295_13:
	s_or_b64 exec, exec, s[2:3]
	v_or_b32_e32 v12, 0x100, v3
	v_pk_mov_b32 v[16:17], 0, 0
	v_cmp_gt_u32_e32 vcc, s7, v12
	v_pk_mov_b32 v[12:13], v[16:17], v[16:17] op_sel:[0,1]
	s_and_saveexec_b64 s[2:3], vcc
	s_cbranch_execz .LBB2295_15
; %bb.14:
	global_load_dwordx2 v[12:13], v[20:21], off offset:2048
.LBB2295_15:
	s_or_b64 exec, exec, s[2:3]
	v_or_b32_e32 v14, 0x140, v3
	v_cmp_gt_u32_e32 vcc, s7, v14
	s_and_saveexec_b64 s[2:3], vcc
	s_cbranch_execz .LBB2295_17
; %bb.16:
	global_load_dwordx2 v[16:17], v[20:21], off offset:2560
.LBB2295_17:
	s_or_b64 exec, exec, s[2:3]
	v_or_b32_e32 v14, 0x180, v3
	v_cmp_gt_u32_e32 vcc, s7, v14
	v_pk_mov_b32 v[14:15], 0, 0
	v_pk_mov_b32 v[18:19], v[14:15], v[14:15] op_sel:[0,1]
	s_and_saveexec_b64 s[2:3], vcc
	s_cbranch_execz .LBB2295_19
; %bb.18:
	global_load_dwordx2 v[18:19], v[20:21], off offset:3072
.LBB2295_19:
	s_or_b64 exec, exec, s[2:3]
	v_or_b32_e32 v3, 0x1c0, v3
	v_cmp_gt_u32_e32 vcc, s7, v3
	s_and_saveexec_b64 s[2:3], vcc
	s_cbranch_execz .LBB2295_21
; %bb.20:
	global_load_dwordx2 v[14:15], v[20:21], off offset:3584
.LBB2295_21:
	s_or_b64 exec, exec, s[2:3]
	s_load_dword s2, s[4:5], 0x64
	s_load_dword s29, s[4:5], 0x58
	s_add_u32 s3, s4, 0x58
	s_addc_u32 s8, s5, 0
	v_mov_b32_e32 v20, 0
	s_waitcnt lgkmcnt(0)
	s_lshr_b32 s9, s2, 16
	s_cmp_lt_u32 s6, s29
	s_cselect_b32 s2, 12, 18
	s_add_u32 s2, s3, s2
	s_addc_u32 s3, s8, 0
	global_load_ushort v24, v20, s[2:3]
	s_waitcnt vmcnt(1)
	v_not_b32_e32 v5, v5
	v_not_b32_e32 v4, v4
	s_lshl_b32 s2, -1, s21
	v_lshrrev_b64 v[22:23], s20, v[4:5]
	s_not_b32 s30, s2
	v_and_b32_e32 v22, s30, v22
	v_and_b32_e32 v26, 1, v22
	v_bfe_u32 v21, v0, 10, 10
	v_bfe_u32 v25, v0, 20, 10
	v_add_co_u32_e32 v27, vcc, -1, v26
	v_mad_u32_u24 v23, v25, s9, v21
	v_lshlrev_b32_e32 v21, 30, v22
	v_addc_co_u32_e64 v30, s[2:3], 0, -1, vcc
	v_cmp_ne_u32_e32 vcc, 0, v26
	v_cmp_gt_i64_e64 s[2:3], 0, v[20:21]
	v_not_b32_e32 v26, v21
	v_lshlrev_b32_e32 v21, 29, v22
	v_xor_b32_e32 v30, vcc_hi, v30
	v_xor_b32_e32 v27, vcc_lo, v27
	v_ashrrev_i32_e32 v26, 31, v26
	v_cmp_gt_i64_e32 vcc, 0, v[20:21]
	v_not_b32_e32 v31, v21
	v_lshlrev_b32_e32 v21, 28, v22
	v_and_b32_e32 v30, exec_hi, v30
	v_and_b32_e32 v27, exec_lo, v27
	v_xor_b32_e32 v32, s3, v26
	v_xor_b32_e32 v26, s2, v26
	v_ashrrev_i32_e32 v31, 31, v31
	v_cmp_gt_i64_e64 s[2:3], 0, v[20:21]
	v_not_b32_e32 v33, v21
	v_lshlrev_b32_e32 v21, 27, v22
	v_and_b32_e32 v30, v30, v32
	v_and_b32_e32 v26, v27, v26
	v_xor_b32_e32 v27, vcc_hi, v31
	v_xor_b32_e32 v31, vcc_lo, v31
	v_ashrrev_i32_e32 v32, 31, v33
	v_cmp_gt_i64_e32 vcc, 0, v[20:21]
	v_not_b32_e32 v33, v21
	v_lshlrev_b32_e32 v21, 26, v22
	v_and_b32_e32 v27, v30, v27
	v_and_b32_e32 v26, v26, v31
	v_xor_b32_e32 v30, s3, v32
	v_xor_b32_e32 v31, s2, v32
	v_ashrrev_i32_e32 v32, 31, v33
	v_cmp_gt_i64_e64 s[2:3], 0, v[20:21]
	v_not_b32_e32 v33, v21
	v_lshlrev_b32_e32 v21, 25, v22
	v_and_b32_e32 v27, v27, v30
	v_and_b32_e32 v26, v26, v31
	v_xor_b32_e32 v30, vcc_hi, v32
	v_xor_b32_e32 v31, vcc_lo, v32
	v_ashrrev_i32_e32 v32, 31, v33
	v_not_b32_e32 v33, v21
	v_mul_u32_u24_e32 v3, 5, v2
	v_lshl_add_u32 v25, v22, 4, v22
	v_cmp_gt_i64_e32 vcc, 0, v[20:21]
	v_lshlrev_b32_e32 v21, 24, v22
	v_and_b32_e32 v22, v27, v30
	v_and_b32_e32 v26, v26, v31
	v_xor_b32_e32 v27, s3, v32
	v_ashrrev_i32_e32 v31, 31, v33
	v_lshlrev_b32_e32 v3, 2, v3
	v_xor_b32_e32 v30, s2, v32
	v_cmp_gt_i64_e64 s[2:3], 0, v[20:21]
	v_and_b32_e32 v22, v22, v27
	v_xor_b32_e32 v27, vcc_hi, v31
	v_not_b32_e32 v21, v21
	v_and_b32_e32 v26, v26, v30
	v_xor_b32_e32 v30, vcc_lo, v31
	v_and_b32_e32 v31, v22, v27
	v_ashrrev_i32_e32 v21, 31, v21
	v_and_b32_e32 v26, v26, v30
	ds_write2_b32 v3, v20, v20 offset0:16 offset1:17
	ds_write2_b32 v3, v20, v20 offset0:18 offset1:19
	ds_write_b32 v3, v20 offset:80
	s_waitcnt lgkmcnt(0)
	s_barrier
	s_waitcnt vmcnt(0)
	v_mad_u64_u32 v[22:23], s[8:9], v23, v24, v[2:3]
	v_lshrrev_b32_e32 v27, 6, v22
	v_xor_b32_e32 v22, s3, v21
	v_xor_b32_e32 v21, s2, v21
	v_and_b32_e32 v23, v31, v22
	v_and_b32_e32 v22, v26, v21
	v_mbcnt_lo_u32_b32 v21, v22, 0
	v_mbcnt_hi_u32_b32 v30, v23, v21
	v_cmp_eq_u32_e32 vcc, 0, v30
	v_cmp_ne_u64_e64 s[2:3], 0, v[22:23]
	v_add_lshl_u32 v24, v27, v25, 2
	s_and_b64 s[8:9], s[2:3], vcc
	; wave barrier
	s_and_saveexec_b64 s[2:3], s[8:9]
	s_cbranch_execz .LBB2295_23
; %bb.22:
	v_bcnt_u32_b32 v21, v22, 0
	v_bcnt_u32_b32 v21, v23, v21
	ds_write_b32 v24, v21 offset:64
.LBB2295_23:
	s_or_b64 exec, exec, s[2:3]
	v_not_b32_e32 v7, v7
	v_not_b32_e32 v6, v6
	v_lshrrev_b64 v[22:23], s20, v[6:7]
	v_and_b32_e32 v22, s30, v22
	v_lshl_add_u32 v21, v22, 4, v22
	v_add_lshl_u32 v25, v27, v21, 2
	v_and_b32_e32 v21, 1, v22
	v_add_co_u32_e32 v23, vcc, -1, v21
	v_addc_co_u32_e64 v26, s[2:3], 0, -1, vcc
	v_cmp_ne_u32_e32 vcc, 0, v21
	v_xor_b32_e32 v21, vcc_hi, v26
	v_and_b32_e32 v26, exec_hi, v21
	v_lshlrev_b32_e32 v21, 30, v22
	v_xor_b32_e32 v23, vcc_lo, v23
	v_cmp_gt_i64_e32 vcc, 0, v[20:21]
	v_not_b32_e32 v21, v21
	v_ashrrev_i32_e32 v21, 31, v21
	v_and_b32_e32 v23, exec_lo, v23
	v_xor_b32_e32 v32, vcc_hi, v21
	v_xor_b32_e32 v21, vcc_lo, v21
	v_and_b32_e32 v23, v23, v21
	v_lshlrev_b32_e32 v21, 29, v22
	v_cmp_gt_i64_e32 vcc, 0, v[20:21]
	v_not_b32_e32 v21, v21
	v_ashrrev_i32_e32 v21, 31, v21
	v_and_b32_e32 v26, v26, v32
	v_xor_b32_e32 v32, vcc_hi, v21
	v_xor_b32_e32 v21, vcc_lo, v21
	v_and_b32_e32 v23, v23, v21
	v_lshlrev_b32_e32 v21, 28, v22
	v_cmp_gt_i64_e32 vcc, 0, v[20:21]
	v_not_b32_e32 v21, v21
	v_ashrrev_i32_e32 v21, 31, v21
	v_and_b32_e32 v26, v26, v32
	;; [unrolled: 8-line block ×5, first 2 shown]
	v_xor_b32_e32 v32, vcc_hi, v21
	v_xor_b32_e32 v21, vcc_lo, v21
	v_and_b32_e32 v23, v23, v21
	v_lshlrev_b32_e32 v21, 24, v22
	v_cmp_gt_i64_e32 vcc, 0, v[20:21]
	v_not_b32_e32 v20, v21
	v_ashrrev_i32_e32 v20, 31, v20
	v_xor_b32_e32 v21, vcc_hi, v20
	v_xor_b32_e32 v20, vcc_lo, v20
	; wave barrier
	ds_read_b32 v31, v25 offset:64
	v_and_b32_e32 v26, v26, v32
	v_and_b32_e32 v20, v23, v20
	;; [unrolled: 1-line block ×3, first 2 shown]
	v_mbcnt_lo_u32_b32 v22, v20, 0
	v_mbcnt_hi_u32_b32 v32, v21, v22
	v_cmp_eq_u32_e32 vcc, 0, v32
	v_cmp_ne_u64_e64 s[2:3], 0, v[20:21]
	s_and_b64 s[8:9], s[2:3], vcc
	; wave barrier
	s_and_saveexec_b64 s[2:3], s[8:9]
	s_cbranch_execz .LBB2295_25
; %bb.24:
	v_bcnt_u32_b32 v20, v20, 0
	v_bcnt_u32_b32 v20, v21, v20
	s_waitcnt lgkmcnt(0)
	v_add_u32_e32 v20, v31, v20
	ds_write_b32 v25, v20 offset:64
.LBB2295_25:
	s_or_b64 exec, exec, s[2:3]
	v_not_b32_e32 v9, v9
	v_not_b32_e32 v8, v8
	v_lshrrev_b64 v[20:21], s20, v[8:9]
	v_and_b32_e32 v22, s30, v20
	v_and_b32_e32 v21, 1, v22
	v_add_co_u32_e32 v23, vcc, -1, v21
	v_addc_co_u32_e64 v34, s[2:3], 0, -1, vcc
	v_cmp_ne_u32_e32 vcc, 0, v21
	v_lshl_add_u32 v20, v22, 4, v22
	v_xor_b32_e32 v21, vcc_hi, v34
	v_add_lshl_u32 v26, v27, v20, 2
	v_mov_b32_e32 v20, 0
	v_and_b32_e32 v34, exec_hi, v21
	v_lshlrev_b32_e32 v21, 30, v22
	v_xor_b32_e32 v23, vcc_lo, v23
	v_cmp_gt_i64_e32 vcc, 0, v[20:21]
	v_not_b32_e32 v21, v21
	v_ashrrev_i32_e32 v21, 31, v21
	v_and_b32_e32 v23, exec_lo, v23
	v_xor_b32_e32 v35, vcc_hi, v21
	v_xor_b32_e32 v21, vcc_lo, v21
	v_and_b32_e32 v23, v23, v21
	v_lshlrev_b32_e32 v21, 29, v22
	v_cmp_gt_i64_e32 vcc, 0, v[20:21]
	v_not_b32_e32 v21, v21
	v_ashrrev_i32_e32 v21, 31, v21
	v_and_b32_e32 v34, v34, v35
	v_xor_b32_e32 v35, vcc_hi, v21
	v_xor_b32_e32 v21, vcc_lo, v21
	v_and_b32_e32 v23, v23, v21
	v_lshlrev_b32_e32 v21, 28, v22
	v_cmp_gt_i64_e32 vcc, 0, v[20:21]
	v_not_b32_e32 v21, v21
	v_ashrrev_i32_e32 v21, 31, v21
	v_and_b32_e32 v34, v34, v35
	;; [unrolled: 8-line block ×5, first 2 shown]
	v_xor_b32_e32 v35, vcc_hi, v21
	v_xor_b32_e32 v21, vcc_lo, v21
	v_and_b32_e32 v34, v34, v35
	v_and_b32_e32 v35, v23, v21
	v_lshlrev_b32_e32 v21, 24, v22
	v_cmp_gt_i64_e32 vcc, 0, v[20:21]
	v_not_b32_e32 v21, v21
	v_ashrrev_i32_e32 v21, 31, v21
	v_xor_b32_e32 v22, vcc_hi, v21
	v_xor_b32_e32 v21, vcc_lo, v21
	; wave barrier
	ds_read_b32 v33, v26 offset:64
	v_and_b32_e32 v23, v34, v22
	v_and_b32_e32 v22, v35, v21
	v_mbcnt_lo_u32_b32 v21, v22, 0
	v_mbcnt_hi_u32_b32 v34, v23, v21
	v_cmp_eq_u32_e32 vcc, 0, v34
	v_cmp_ne_u64_e64 s[2:3], 0, v[22:23]
	s_and_b64 s[8:9], s[2:3], vcc
	; wave barrier
	s_and_saveexec_b64 s[2:3], s[8:9]
	s_cbranch_execz .LBB2295_27
; %bb.26:
	v_bcnt_u32_b32 v21, v22, 0
	v_bcnt_u32_b32 v21, v23, v21
	s_waitcnt lgkmcnt(0)
	v_add_u32_e32 v21, v33, v21
	ds_write_b32 v26, v21 offset:64
.LBB2295_27:
	s_or_b64 exec, exec, s[2:3]
	v_not_b32_e32 v11, v11
	v_not_b32_e32 v10, v10
	v_lshrrev_b64 v[22:23], s20, v[10:11]
	v_and_b32_e32 v22, s30, v22
	v_lshl_add_u32 v21, v22, 4, v22
	v_add_lshl_u32 v38, v27, v21, 2
	v_and_b32_e32 v21, 1, v22
	v_add_co_u32_e32 v23, vcc, -1, v21
	v_addc_co_u32_e64 v36, s[2:3], 0, -1, vcc
	v_cmp_ne_u32_e32 vcc, 0, v21
	v_xor_b32_e32 v21, vcc_hi, v36
	v_and_b32_e32 v36, exec_hi, v21
	v_lshlrev_b32_e32 v21, 30, v22
	v_xor_b32_e32 v23, vcc_lo, v23
	v_cmp_gt_i64_e32 vcc, 0, v[20:21]
	v_not_b32_e32 v21, v21
	v_ashrrev_i32_e32 v21, 31, v21
	v_and_b32_e32 v23, exec_lo, v23
	v_xor_b32_e32 v37, vcc_hi, v21
	v_xor_b32_e32 v21, vcc_lo, v21
	v_and_b32_e32 v23, v23, v21
	v_lshlrev_b32_e32 v21, 29, v22
	v_cmp_gt_i64_e32 vcc, 0, v[20:21]
	v_not_b32_e32 v21, v21
	v_ashrrev_i32_e32 v21, 31, v21
	v_and_b32_e32 v36, v36, v37
	v_xor_b32_e32 v37, vcc_hi, v21
	v_xor_b32_e32 v21, vcc_lo, v21
	v_and_b32_e32 v23, v23, v21
	v_lshlrev_b32_e32 v21, 28, v22
	v_cmp_gt_i64_e32 vcc, 0, v[20:21]
	v_not_b32_e32 v21, v21
	v_ashrrev_i32_e32 v21, 31, v21
	v_and_b32_e32 v36, v36, v37
	;; [unrolled: 8-line block ×5, first 2 shown]
	v_xor_b32_e32 v37, vcc_hi, v21
	v_xor_b32_e32 v21, vcc_lo, v21
	v_and_b32_e32 v23, v23, v21
	v_lshlrev_b32_e32 v21, 24, v22
	v_cmp_gt_i64_e32 vcc, 0, v[20:21]
	v_not_b32_e32 v20, v21
	v_ashrrev_i32_e32 v20, 31, v20
	v_xor_b32_e32 v21, vcc_hi, v20
	v_xor_b32_e32 v20, vcc_lo, v20
	; wave barrier
	ds_read_b32 v35, v38 offset:64
	v_and_b32_e32 v36, v36, v37
	v_and_b32_e32 v20, v23, v20
	;; [unrolled: 1-line block ×3, first 2 shown]
	v_mbcnt_lo_u32_b32 v22, v20, 0
	v_mbcnt_hi_u32_b32 v36, v21, v22
	v_cmp_eq_u32_e32 vcc, 0, v36
	v_cmp_ne_u64_e64 s[2:3], 0, v[20:21]
	s_and_b64 s[8:9], s[2:3], vcc
	; wave barrier
	s_and_saveexec_b64 s[2:3], s[8:9]
	s_cbranch_execz .LBB2295_29
; %bb.28:
	v_bcnt_u32_b32 v20, v20, 0
	v_bcnt_u32_b32 v20, v21, v20
	s_waitcnt lgkmcnt(0)
	v_add_u32_e32 v20, v35, v20
	ds_write_b32 v38, v20 offset:64
.LBB2295_29:
	s_or_b64 exec, exec, s[2:3]
	v_not_b32_e32 v13, v13
	v_not_b32_e32 v12, v12
	v_lshrrev_b64 v[20:21], s20, v[12:13]
	v_and_b32_e32 v22, s30, v20
	v_and_b32_e32 v21, 1, v22
	v_add_co_u32_e32 v23, vcc, -1, v21
	v_addc_co_u32_e64 v39, s[2:3], 0, -1, vcc
	v_cmp_ne_u32_e32 vcc, 0, v21
	v_lshl_add_u32 v20, v22, 4, v22
	v_xor_b32_e32 v21, vcc_hi, v39
	v_add_lshl_u32 v42, v27, v20, 2
	v_mov_b32_e32 v20, 0
	v_and_b32_e32 v39, exec_hi, v21
	v_lshlrev_b32_e32 v21, 30, v22
	v_xor_b32_e32 v23, vcc_lo, v23
	v_cmp_gt_i64_e32 vcc, 0, v[20:21]
	v_not_b32_e32 v21, v21
	v_ashrrev_i32_e32 v21, 31, v21
	v_and_b32_e32 v23, exec_lo, v23
	v_xor_b32_e32 v40, vcc_hi, v21
	v_xor_b32_e32 v21, vcc_lo, v21
	v_and_b32_e32 v23, v23, v21
	v_lshlrev_b32_e32 v21, 29, v22
	v_cmp_gt_i64_e32 vcc, 0, v[20:21]
	v_not_b32_e32 v21, v21
	v_ashrrev_i32_e32 v21, 31, v21
	v_and_b32_e32 v39, v39, v40
	v_xor_b32_e32 v40, vcc_hi, v21
	v_xor_b32_e32 v21, vcc_lo, v21
	v_and_b32_e32 v23, v23, v21
	v_lshlrev_b32_e32 v21, 28, v22
	v_cmp_gt_i64_e32 vcc, 0, v[20:21]
	v_not_b32_e32 v21, v21
	v_ashrrev_i32_e32 v21, 31, v21
	v_and_b32_e32 v39, v39, v40
	v_xor_b32_e32 v40, vcc_hi, v21
	v_xor_b32_e32 v21, vcc_lo, v21
	v_and_b32_e32 v23, v23, v21
	v_lshlrev_b32_e32 v21, 27, v22
	v_cmp_gt_i64_e32 vcc, 0, v[20:21]
	v_not_b32_e32 v21, v21
	v_ashrrev_i32_e32 v21, 31, v21
	v_and_b32_e32 v39, v39, v40
	v_xor_b32_e32 v40, vcc_hi, v21
	v_xor_b32_e32 v21, vcc_lo, v21
	v_and_b32_e32 v23, v23, v21
	v_lshlrev_b32_e32 v21, 26, v22
	v_cmp_gt_i64_e32 vcc, 0, v[20:21]
	v_not_b32_e32 v21, v21
	v_ashrrev_i32_e32 v21, 31, v21
	v_and_b32_e32 v39, v39, v40
	v_xor_b32_e32 v40, vcc_hi, v21
	v_xor_b32_e32 v21, vcc_lo, v21
	v_and_b32_e32 v23, v23, v21
	v_lshlrev_b32_e32 v21, 25, v22
	v_cmp_gt_i64_e32 vcc, 0, v[20:21]
	v_not_b32_e32 v21, v21
	v_ashrrev_i32_e32 v21, 31, v21
	v_and_b32_e32 v39, v39, v40
	v_xor_b32_e32 v40, vcc_hi, v21
	v_xor_b32_e32 v21, vcc_lo, v21
	v_and_b32_e32 v39, v39, v40
	v_and_b32_e32 v40, v23, v21
	v_lshlrev_b32_e32 v21, 24, v22
	v_cmp_gt_i64_e32 vcc, 0, v[20:21]
	v_not_b32_e32 v21, v21
	v_ashrrev_i32_e32 v21, 31, v21
	v_xor_b32_e32 v22, vcc_hi, v21
	v_xor_b32_e32 v21, vcc_lo, v21
	; wave barrier
	ds_read_b32 v37, v42 offset:64
	v_and_b32_e32 v23, v39, v22
	v_and_b32_e32 v22, v40, v21
	v_mbcnt_lo_u32_b32 v21, v22, 0
	v_mbcnt_hi_u32_b32 v39, v23, v21
	v_cmp_eq_u32_e32 vcc, 0, v39
	v_cmp_ne_u64_e64 s[2:3], 0, v[22:23]
	s_and_b64 s[8:9], s[2:3], vcc
	; wave barrier
	s_and_saveexec_b64 s[2:3], s[8:9]
	s_cbranch_execz .LBB2295_31
; %bb.30:
	v_bcnt_u32_b32 v21, v22, 0
	v_bcnt_u32_b32 v21, v23, v21
	s_waitcnt lgkmcnt(0)
	v_add_u32_e32 v21, v37, v21
	ds_write_b32 v42, v21 offset:64
.LBB2295_31:
	s_or_b64 exec, exec, s[2:3]
	v_not_b32_e32 v17, v17
	v_not_b32_e32 v16, v16
	v_lshrrev_b64 v[22:23], s20, v[16:17]
	v_and_b32_e32 v22, s30, v22
	v_lshl_add_u32 v21, v22, 4, v22
	v_add_lshl_u32 v45, v27, v21, 2
	v_and_b32_e32 v21, 1, v22
	v_add_co_u32_e32 v23, vcc, -1, v21
	v_addc_co_u32_e64 v41, s[2:3], 0, -1, vcc
	v_cmp_ne_u32_e32 vcc, 0, v21
	v_xor_b32_e32 v21, vcc_hi, v41
	v_and_b32_e32 v41, exec_hi, v21
	v_lshlrev_b32_e32 v21, 30, v22
	v_xor_b32_e32 v23, vcc_lo, v23
	v_cmp_gt_i64_e32 vcc, 0, v[20:21]
	v_not_b32_e32 v21, v21
	v_ashrrev_i32_e32 v21, 31, v21
	v_and_b32_e32 v23, exec_lo, v23
	v_xor_b32_e32 v43, vcc_hi, v21
	v_xor_b32_e32 v21, vcc_lo, v21
	v_and_b32_e32 v23, v23, v21
	v_lshlrev_b32_e32 v21, 29, v22
	v_cmp_gt_i64_e32 vcc, 0, v[20:21]
	v_not_b32_e32 v21, v21
	v_ashrrev_i32_e32 v21, 31, v21
	v_and_b32_e32 v41, v41, v43
	v_xor_b32_e32 v43, vcc_hi, v21
	v_xor_b32_e32 v21, vcc_lo, v21
	v_and_b32_e32 v23, v23, v21
	v_lshlrev_b32_e32 v21, 28, v22
	v_cmp_gt_i64_e32 vcc, 0, v[20:21]
	v_not_b32_e32 v21, v21
	v_ashrrev_i32_e32 v21, 31, v21
	v_and_b32_e32 v41, v41, v43
	;; [unrolled: 8-line block ×5, first 2 shown]
	v_xor_b32_e32 v43, vcc_hi, v21
	v_xor_b32_e32 v21, vcc_lo, v21
	v_and_b32_e32 v23, v23, v21
	v_lshlrev_b32_e32 v21, 24, v22
	v_cmp_gt_i64_e32 vcc, 0, v[20:21]
	v_not_b32_e32 v20, v21
	v_ashrrev_i32_e32 v20, 31, v20
	v_xor_b32_e32 v21, vcc_hi, v20
	v_xor_b32_e32 v20, vcc_lo, v20
	; wave barrier
	ds_read_b32 v40, v45 offset:64
	v_and_b32_e32 v41, v41, v43
	v_and_b32_e32 v20, v23, v20
	;; [unrolled: 1-line block ×3, first 2 shown]
	v_mbcnt_lo_u32_b32 v22, v20, 0
	v_mbcnt_hi_u32_b32 v41, v21, v22
	v_cmp_eq_u32_e32 vcc, 0, v41
	v_cmp_ne_u64_e64 s[2:3], 0, v[20:21]
	s_and_b64 s[8:9], s[2:3], vcc
	; wave barrier
	s_and_saveexec_b64 s[2:3], s[8:9]
	s_cbranch_execz .LBB2295_33
; %bb.32:
	v_bcnt_u32_b32 v20, v20, 0
	v_bcnt_u32_b32 v20, v21, v20
	s_waitcnt lgkmcnt(0)
	v_add_u32_e32 v20, v40, v20
	ds_write_b32 v45, v20 offset:64
.LBB2295_33:
	s_or_b64 exec, exec, s[2:3]
	v_not_b32_e32 v21, v19
	v_not_b32_e32 v20, v18
	v_lshrrev_b64 v[18:19], s20, v[20:21]
	v_and_b32_e32 v22, s30, v18
	v_and_b32_e32 v19, 1, v22
	v_add_co_u32_e32 v23, vcc, -1, v19
	v_addc_co_u32_e64 v44, s[2:3], 0, -1, vcc
	v_cmp_ne_u32_e32 vcc, 0, v19
	v_lshl_add_u32 v18, v22, 4, v22
	v_xor_b32_e32 v19, vcc_hi, v44
	v_add_lshl_u32 v47, v27, v18, 2
	v_mov_b32_e32 v18, 0
	v_and_b32_e32 v44, exec_hi, v19
	v_lshlrev_b32_e32 v19, 30, v22
	v_xor_b32_e32 v23, vcc_lo, v23
	v_cmp_gt_i64_e32 vcc, 0, v[18:19]
	v_not_b32_e32 v19, v19
	v_ashrrev_i32_e32 v19, 31, v19
	v_and_b32_e32 v23, exec_lo, v23
	v_xor_b32_e32 v46, vcc_hi, v19
	v_xor_b32_e32 v19, vcc_lo, v19
	v_and_b32_e32 v23, v23, v19
	v_lshlrev_b32_e32 v19, 29, v22
	v_cmp_gt_i64_e32 vcc, 0, v[18:19]
	v_not_b32_e32 v19, v19
	v_ashrrev_i32_e32 v19, 31, v19
	v_and_b32_e32 v44, v44, v46
	v_xor_b32_e32 v46, vcc_hi, v19
	v_xor_b32_e32 v19, vcc_lo, v19
	v_and_b32_e32 v23, v23, v19
	v_lshlrev_b32_e32 v19, 28, v22
	v_cmp_gt_i64_e32 vcc, 0, v[18:19]
	v_not_b32_e32 v19, v19
	v_ashrrev_i32_e32 v19, 31, v19
	v_and_b32_e32 v44, v44, v46
	;; [unrolled: 8-line block ×5, first 2 shown]
	v_xor_b32_e32 v46, vcc_hi, v19
	v_xor_b32_e32 v19, vcc_lo, v19
	v_and_b32_e32 v44, v44, v46
	v_and_b32_e32 v46, v23, v19
	v_lshlrev_b32_e32 v19, 24, v22
	v_cmp_gt_i64_e32 vcc, 0, v[18:19]
	v_not_b32_e32 v19, v19
	v_ashrrev_i32_e32 v19, 31, v19
	v_xor_b32_e32 v22, vcc_hi, v19
	v_xor_b32_e32 v19, vcc_lo, v19
	; wave barrier
	ds_read_b32 v43, v47 offset:64
	v_and_b32_e32 v23, v44, v22
	v_and_b32_e32 v22, v46, v19
	v_mbcnt_lo_u32_b32 v19, v22, 0
	v_mbcnt_hi_u32_b32 v44, v23, v19
	v_cmp_eq_u32_e32 vcc, 0, v44
	v_cmp_ne_u64_e64 s[2:3], 0, v[22:23]
	s_and_b64 s[8:9], s[2:3], vcc
	; wave barrier
	s_and_saveexec_b64 s[2:3], s[8:9]
	s_cbranch_execz .LBB2295_35
; %bb.34:
	v_bcnt_u32_b32 v19, v22, 0
	v_bcnt_u32_b32 v19, v23, v19
	s_waitcnt lgkmcnt(0)
	v_add_u32_e32 v19, v43, v19
	ds_write_b32 v47, v19 offset:64
.LBB2295_35:
	s_or_b64 exec, exec, s[2:3]
	v_not_b32_e32 v15, v15
	v_not_b32_e32 v14, v14
	v_lshrrev_b64 v[22:23], s20, v[14:15]
	v_and_b32_e32 v22, s30, v22
	v_lshl_add_u32 v19, v22, 4, v22
	v_add_lshl_u32 v27, v27, v19, 2
	v_and_b32_e32 v19, 1, v22
	v_add_co_u32_e32 v23, vcc, -1, v19
	v_addc_co_u32_e64 v48, s[2:3], 0, -1, vcc
	v_cmp_ne_u32_e32 vcc, 0, v19
	v_xor_b32_e32 v19, vcc_hi, v48
	v_and_b32_e32 v48, exec_hi, v19
	v_lshlrev_b32_e32 v19, 30, v22
	v_xor_b32_e32 v23, vcc_lo, v23
	v_cmp_gt_i64_e32 vcc, 0, v[18:19]
	v_not_b32_e32 v19, v19
	v_ashrrev_i32_e32 v19, 31, v19
	v_and_b32_e32 v23, exec_lo, v23
	v_xor_b32_e32 v50, vcc_hi, v19
	v_xor_b32_e32 v19, vcc_lo, v19
	v_and_b32_e32 v23, v23, v19
	v_lshlrev_b32_e32 v19, 29, v22
	v_cmp_gt_i64_e32 vcc, 0, v[18:19]
	v_not_b32_e32 v19, v19
	v_ashrrev_i32_e32 v19, 31, v19
	v_and_b32_e32 v48, v48, v50
	v_xor_b32_e32 v50, vcc_hi, v19
	v_xor_b32_e32 v19, vcc_lo, v19
	v_and_b32_e32 v23, v23, v19
	v_lshlrev_b32_e32 v19, 28, v22
	v_cmp_gt_i64_e32 vcc, 0, v[18:19]
	v_not_b32_e32 v19, v19
	v_ashrrev_i32_e32 v19, 31, v19
	v_and_b32_e32 v48, v48, v50
	;; [unrolled: 8-line block ×5, first 2 shown]
	v_xor_b32_e32 v50, vcc_hi, v19
	v_xor_b32_e32 v19, vcc_lo, v19
	v_and_b32_e32 v23, v23, v19
	v_lshlrev_b32_e32 v19, 24, v22
	v_cmp_gt_i64_e32 vcc, 0, v[18:19]
	v_not_b32_e32 v18, v19
	v_ashrrev_i32_e32 v18, 31, v18
	v_xor_b32_e32 v19, vcc_hi, v18
	v_xor_b32_e32 v18, vcc_lo, v18
	; wave barrier
	ds_read_b32 v46, v27 offset:64
	v_and_b32_e32 v48, v48, v50
	v_and_b32_e32 v18, v23, v18
	;; [unrolled: 1-line block ×3, first 2 shown]
	v_mbcnt_lo_u32_b32 v22, v18, 0
	v_mbcnt_hi_u32_b32 v48, v19, v22
	v_cmp_eq_u32_e32 vcc, 0, v48
	v_cmp_ne_u64_e64 s[2:3], 0, v[18:19]
	v_add_u32_e32 v49, 64, v3
	s_and_b64 s[8:9], s[2:3], vcc
	; wave barrier
	s_and_saveexec_b64 s[2:3], s[8:9]
	s_cbranch_execz .LBB2295_37
; %bb.36:
	v_bcnt_u32_b32 v18, v18, 0
	v_bcnt_u32_b32 v18, v19, v18
	s_waitcnt lgkmcnt(0)
	v_add_u32_e32 v18, v46, v18
	ds_write_b32 v27, v18 offset:64
.LBB2295_37:
	s_or_b64 exec, exec, s[2:3]
	; wave barrier
	s_waitcnt lgkmcnt(0)
	s_barrier
	ds_read2_b32 v[22:23], v3 offset0:16 offset1:17
	ds_read2_b32 v[18:19], v49 offset0:2 offset1:3
	ds_read_b32 v50, v49 offset:16
	v_cmp_lt_u32_e64 s[12:13], 31, v1
	s_waitcnt lgkmcnt(1)
	v_add3_u32 v51, v23, v22, v18
	s_waitcnt lgkmcnt(0)
	v_add3_u32 v50, v51, v19, v50
	v_and_b32_e32 v51, 15, v1
	v_cmp_eq_u32_e32 vcc, 0, v51
	v_mov_b32_dpp v52, v50 row_shr:1 row_mask:0xf bank_mask:0xf
	v_cndmask_b32_e64 v52, v52, 0, vcc
	v_add_u32_e32 v50, v52, v50
	v_cmp_lt_u32_e64 s[2:3], 1, v51
	v_cmp_lt_u32_e64 s[10:11], 3, v51
	v_mov_b32_dpp v52, v50 row_shr:2 row_mask:0xf bank_mask:0xf
	v_cndmask_b32_e64 v52, 0, v52, s[2:3]
	v_add_u32_e32 v50, v50, v52
	v_cmp_lt_u32_e64 s[8:9], 7, v51
	s_nop 0
	v_mov_b32_dpp v52, v50 row_shr:4 row_mask:0xf bank_mask:0xf
	v_cndmask_b32_e64 v52, 0, v52, s[10:11]
	v_add_u32_e32 v50, v50, v52
	s_nop 1
	v_mov_b32_dpp v52, v50 row_shr:8 row_mask:0xf bank_mask:0xf
	v_cndmask_b32_e64 v51, 0, v52, s[8:9]
	v_add_u32_e32 v50, v50, v51
	v_bfe_i32 v52, v1, 4, 1
	s_nop 0
	v_mov_b32_dpp v51, v50 row_bcast:15 row_mask:0xf bank_mask:0xf
	v_and_b32_e32 v51, v52, v51
	v_add_u32_e32 v50, v50, v51
	v_and_b32_e32 v52, 63, v2
	s_nop 0
	v_mov_b32_dpp v51, v50 row_bcast:31 row_mask:0xf bank_mask:0xf
	v_cndmask_b32_e64 v51, 0, v51, s[12:13]
	v_add_u32_e32 v50, v50, v51
	v_lshrrev_b32_e32 v51, 6, v2
	v_cmp_eq_u32_e64 s[12:13], 63, v52
	s_and_saveexec_b64 s[22:23], s[12:13]
	s_cbranch_execz .LBB2295_39
; %bb.38:
	v_lshlrev_b32_e32 v52, 2, v51
	ds_write_b32 v52, v50
.LBB2295_39:
	s_or_b64 exec, exec, s[22:23]
	v_cmp_gt_u32_e64 s[12:13], 16, v2
	s_waitcnt lgkmcnt(0)
	s_barrier
	s_and_saveexec_b64 s[22:23], s[12:13]
	s_cbranch_execz .LBB2295_41
; %bb.40:
	v_lshlrev_b32_e32 v52, 2, v2
	ds_read_b32 v53, v52
	s_waitcnt lgkmcnt(0)
	s_nop 0
	v_mov_b32_dpp v54, v53 row_shr:1 row_mask:0xf bank_mask:0xf
	v_cndmask_b32_e64 v54, v54, 0, vcc
	v_add_u32_e32 v53, v54, v53
	s_nop 1
	v_mov_b32_dpp v54, v53 row_shr:2 row_mask:0xf bank_mask:0xf
	v_cndmask_b32_e64 v54, 0, v54, s[2:3]
	v_add_u32_e32 v53, v53, v54
	s_nop 1
	v_mov_b32_dpp v54, v53 row_shr:4 row_mask:0xf bank_mask:0xf
	v_cndmask_b32_e64 v54, 0, v54, s[10:11]
	;; [unrolled: 4-line block ×3, first 2 shown]
	v_add_u32_e32 v53, v53, v54
	ds_write_b32 v52, v53
.LBB2295_41:
	s_or_b64 exec, exec, s[22:23]
	v_cmp_lt_u32_e32 vcc, 63, v2
	v_mov_b32_e32 v52, 0
	s_waitcnt lgkmcnt(0)
	s_barrier
	s_and_saveexec_b64 s[2:3], vcc
	s_cbranch_execz .LBB2295_43
; %bb.42:
	v_lshl_add_u32 v51, v51, 2, -4
	ds_read_b32 v52, v51
.LBB2295_43:
	s_or_b64 exec, exec, s[2:3]
	v_add_u32_e32 v51, -1, v1
	v_and_b32_e32 v53, 64, v1
	v_cmp_lt_i32_e32 vcc, v51, v53
	v_cndmask_b32_e32 v51, v51, v1, vcc
	s_waitcnt lgkmcnt(0)
	v_add_u32_e32 v50, v52, v50
	v_lshlrev_b32_e32 v51, 2, v51
	ds_bpermute_b32 v50, v51, v50
	v_cmp_eq_u32_e32 vcc, 0, v1
	s_movk_i32 s8, 0xff
	s_movk_i32 s2, 0x100
	v_cmp_gt_u32_e64 s[2:3], s2, v2
	s_waitcnt lgkmcnt(0)
	v_cndmask_b32_e32 v1, v50, v52, vcc
	v_cndmask_b32_e64 v1, v1, 0, s[0:1]
	v_add_u32_e32 v22, v1, v22
	v_add_u32_e32 v23, v22, v23
	v_add_u32_e32 v18, v23, v18
	v_add_u32_e32 v19, v18, v19
	ds_write2_b32 v3, v1, v22 offset0:16 offset1:17
	ds_write2_b32 v49, v23, v18 offset0:2 offset1:3
	ds_write_b32 v49, v19 offset:16
	s_waitcnt lgkmcnt(0)
	s_barrier
	ds_read_b32 v51, v24 offset:64
	ds_read_b32 v1, v25 offset:64
	;; [unrolled: 1-line block ×8, first 2 shown]
	v_cmp_lt_u32_e32 vcc, s8, v2
	v_pk_mov_b32 v[18:19], 0, 0
                                        ; implicit-def: $vgpr38
	s_and_saveexec_b64 s[10:11], s[2:3]
	s_cbranch_execz .LBB2295_47
; %bb.44:
	v_mul_u32_u24_e32 v3, 17, v2
	v_lshlrev_b32_e32 v19, 2, v3
	ds_read_b32 v18, v19 offset:64
	v_cmp_ne_u32_e64 s[8:9], s8, v2
	v_mov_b32_e32 v3, 0x2000
	s_and_saveexec_b64 s[12:13], s[8:9]
	s_cbranch_execz .LBB2295_46
; %bb.45:
	ds_read_b32 v3, v19 offset:132
.LBB2295_46:
	s_or_b64 exec, exec, s[12:13]
	s_waitcnt lgkmcnt(0)
	v_sub_u32_e32 v38, v3, v18
	v_mov_b32_e32 v19, 0
.LBB2295_47:
	s_or_b64 exec, exec, s[10:11]
	s_waitcnt lgkmcnt(0)
	s_barrier
	s_and_saveexec_b64 s[8:9], vcc
	s_xor_b64 s[8:9], exec, s[8:9]
; %bb.48:
	v_mov_b32_e32 v3, 0
; %bb.49:
	s_andn2_saveexec_b64 s[8:9], s[8:9]
	s_cbranch_execz .LBB2295_59
; %bb.50:
	v_lshl_or_b32 v22, s28, 8, v2
	v_mov_b32_e32 v23, 0
	v_lshlrev_b64 v[24:25], 2, v[22:23]
	v_mov_b32_e32 v3, s15
	v_add_co_u32_e32 v24, vcc, s14, v24
	v_addc_co_u32_e32 v25, vcc, v3, v25, vcc
	v_or_b32_e32 v22, 2.0, v38
	s_mov_b64 s[10:11], 0
	s_brev_b32 s31, 1
	s_mov_b32 s33, s28
	v_mov_b32_e32 v53, 0
	global_store_dword v[24:25], v22, off
                                        ; implicit-def: $sgpr12_sgpr13
	s_branch .LBB2295_52
.LBB2295_51:                            ;   in Loop: Header=BB2295_52 Depth=1
	s_or_b64 exec, exec, s[12:13]
	v_and_b32_e32 v26, 0x3fffffff, v54
	v_add_u32_e32 v53, v26, v53
	v_cmp_eq_u32_e64 s[12:13], s31, v22
	s_and_b64 s[22:23], exec, s[12:13]
	s_or_b64 s[10:11], s[22:23], s[10:11]
	s_andn2_b64 exec, exec, s[10:11]
	s_cbranch_execz .LBB2295_58
.LBB2295_52:                            ; =>This Loop Header: Depth=1
                                        ;     Child Loop BB2295_55 Depth 2
	s_or_b64 s[12:13], s[12:13], exec
	s_cmp_eq_u32 s33, 0
	s_cbranch_scc1 .LBB2295_57
; %bb.53:                               ;   in Loop: Header=BB2295_52 Depth=1
	s_add_i32 s33, s33, -1
	v_lshl_or_b32 v22, s33, 8, v2
	v_lshlrev_b64 v[26:27], 2, v[22:23]
	v_add_co_u32_e32 v26, vcc, s14, v26
	v_addc_co_u32_e32 v27, vcc, v3, v27, vcc
	global_load_dword v54, v[26:27], off glc
	s_waitcnt vmcnt(0)
	v_and_b32_e32 v22, -2.0, v54
	v_cmp_eq_u32_e32 vcc, 0, v22
	s_and_saveexec_b64 s[12:13], vcc
	s_cbranch_execz .LBB2295_51
; %bb.54:                               ;   in Loop: Header=BB2295_52 Depth=1
	s_mov_b64 s[22:23], 0
.LBB2295_55:                            ;   Parent Loop BB2295_52 Depth=1
                                        ; =>  This Inner Loop Header: Depth=2
	global_load_dword v54, v[26:27], off glc
	s_waitcnt vmcnt(0)
	v_and_b32_e32 v22, -2.0, v54
	v_cmp_ne_u32_e32 vcc, 0, v22
	s_or_b64 s[22:23], vcc, s[22:23]
	s_andn2_b64 exec, exec, s[22:23]
	s_cbranch_execnz .LBB2295_55
; %bb.56:                               ;   in Loop: Header=BB2295_52 Depth=1
	s_or_b64 exec, exec, s[22:23]
	s_branch .LBB2295_51
.LBB2295_57:                            ;   in Loop: Header=BB2295_52 Depth=1
                                        ; implicit-def: $sgpr33
	s_and_b64 s[22:23], exec, s[12:13]
	s_or_b64 s[10:11], s[22:23], s[10:11]
	s_andn2_b64 exec, exec, s[10:11]
	s_cbranch_execnz .LBB2295_52
.LBB2295_58:
	s_or_b64 exec, exec, s[10:11]
	v_add_u32_e32 v3, v53, v38
	v_or_b32_e32 v3, 0x80000000, v3
	global_store_dword v[24:25], v3, off
	global_load_dwordx2 v[22:23], v28, s[16:17]
	v_sub_co_u32_e32 v24, vcc, v53, v18
	v_subb_co_u32_e32 v25, vcc, 0, v19, vcc
	v_mov_b32_e32 v3, 0
	s_waitcnt vmcnt(0)
	v_add_co_u32_e32 v22, vcc, v24, v22
	v_addc_co_u32_e32 v23, vcc, v25, v23, vcc
	ds_write_b64 v28, v[22:23]
.LBB2295_59:
	s_or_b64 exec, exec, s[8:9]
	v_add_u32_e32 v23, v51, v30
	v_add3_u32 v30, v39, v42, v37
	v_add3_u32 v35, v36, v50, v35
	v_lshlrev_b64 v[36:37], 3, v[2:3]
	v_add3_u32 v31, v32, v1, v31
	v_mov_b32_e32 v1, s27
	v_add_co_u32_e32 v22, vcc, s26, v36
	v_add_u32_e32 v24, 0x800, v28
	v_add3_u32 v25, v48, v52, v46
	v_add3_u32 v26, v44, v47, v43
	;; [unrolled: 1-line block ×4, first 2 shown]
	v_addc_co_u32_e32 v1, vcc, v1, v37, vcc
	s_mov_b32 s10, 0
	v_mov_b32_e32 v32, v2
	s_branch .LBB2295_61
.LBB2295_60:                            ;   in Loop: Header=BB2295_61 Depth=1
	s_or_b64 exec, exec, s[8:9]
	s_addk_i32 s10, 0xf800
	v_add_co_u32_e32 v22, vcc, 0x4000, v22
	v_addc_co_u32_e32 v1, vcc, 0, v1, vcc
	s_cmpk_eq_i32 s10, 0xe000
	v_add_u32_e32 v32, 0x800, v32
	s_barrier
	s_cbranch_scc1 .LBB2295_66
.LBB2295_61:                            ; =>This Inner Loop Header: Depth=1
	v_add_u32_e32 v34, s10, v23
	v_min_u32_e32 v34, 0x800, v34
	v_lshlrev_b32_e32 v34, 3, v34
	ds_write_b64 v34, v[4:5] offset:2048
	v_add_u32_e32 v34, s10, v31
	v_min_u32_e32 v34, 0x800, v34
	v_lshlrev_b32_e32 v34, 3, v34
	ds_write_b64 v34, v[6:7] offset:2048
	;; [unrolled: 4-line block ×7, first 2 shown]
	v_add_u32_e32 v34, s10, v25
	v_min_u32_e32 v34, 0x800, v34
	v_lshlrev_b32_e32 v34, 3, v34
	v_cmp_gt_u32_e32 vcc, s7, v32
	ds_write_b64 v34, v[14:15] offset:2048
	s_waitcnt lgkmcnt(0)
	s_barrier
	s_and_saveexec_b64 s[8:9], vcc
	s_cbranch_execz .LBB2295_63
; %bb.62:                               ;   in Loop: Header=BB2295_61 Depth=1
	ds_read_b64 v[36:37], v28 offset:2048
	s_waitcnt lgkmcnt(0)
	v_lshrrev_b64 v[40:41], s20, v[36:37]
	v_and_b32_e32 v34, s30, v40
	v_lshlrev_b32_e32 v34, 3, v34
	ds_read_b64 v[40:41], v34
	v_not_b32_e32 v37, v37
	v_not_b32_e32 v36, v36
	s_waitcnt lgkmcnt(0)
	v_lshlrev_b64 v[40:41], 3, v[40:41]
	v_add_co_u32_e32 v40, vcc, v22, v40
	v_addc_co_u32_e32 v41, vcc, v1, v41, vcc
	global_store_dwordx2 v[40:41], v[36:37], off
.LBB2295_63:                            ;   in Loop: Header=BB2295_61 Depth=1
	s_or_b64 exec, exec, s[8:9]
	v_add_u32_e32 v34, 0x400, v32
	v_cmp_gt_u32_e32 vcc, s7, v34
	s_and_saveexec_b64 s[8:9], vcc
	s_cbranch_execz .LBB2295_60
; %bb.64:                               ;   in Loop: Header=BB2295_61 Depth=1
	ds_read_b64 v[36:37], v24 offset:8192
	s_waitcnt lgkmcnt(0)
	v_lshrrev_b64 v[40:41], s20, v[36:37]
	v_and_b32_e32 v34, s30, v40
	v_lshlrev_b32_e32 v34, 3, v34
	ds_read_b64 v[40:41], v34
	v_not_b32_e32 v37, v37
	v_not_b32_e32 v36, v36
	s_waitcnt lgkmcnt(0)
	v_lshlrev_b64 v[40:41], 3, v[40:41]
	v_add_co_u32_e32 v34, vcc, v22, v40
	v_addc_co_u32_e32 v39, vcc, v1, v41, vcc
	v_add_co_u32_e32 v40, vcc, 0x2000, v34
	v_addc_co_u32_e32 v41, vcc, 0, v39, vcc
	global_store_dwordx2 v[40:41], v[36:37], off
	s_branch .LBB2295_60
.LBB2295_65:
	s_mov_b64 s[2:3], 0
                                        ; implicit-def: $vgpr18_vgpr19
                                        ; implicit-def: $vgpr38
	s_cbranch_execnz .LBB2295_67
	s_branch .LBB2295_108
.LBB2295_66:
	s_add_i32 s29, s29, -1
	s_cmp_eq_u32 s29, s28
	s_cselect_b64 s[8:9], -1, 0
	s_and_b64 s[2:3], s[2:3], s[8:9]
	s_branch .LBB2295_108
.LBB2295_67:
	s_lshl_b32 s2, s28, 13
	s_mov_b32 s3, 0
	v_mbcnt_hi_u32_b32 v3, -1, v29
	s_lshl_b64 s[2:3], s[2:3], 3
	v_and_b32_e32 v1, 63, v3
	s_add_u32 s2, s24, s2
	v_lshlrev_b32_e32 v1, 3, v1
	v_add_co_u32_e32 v1, vcc, s2, v1
	s_load_dword s12, s[4:5], 0x58
	s_load_dword s2, s[4:5], 0x64
	s_addc_u32 s3, s25, s3
	v_mov_b32_e32 v4, s3
	v_lshlrev_b32_e32 v5, 6, v2
	v_addc_co_u32_e32 v4, vcc, 0, v4, vcc
	v_and_b32_e32 v5, 0xf000, v5
	s_add_u32 s3, s4, 0x58
	v_add_co_u32_e32 v20, vcc, v1, v5
	s_addc_u32 s4, s5, 0
	s_waitcnt lgkmcnt(0)
	s_lshr_b32 s5, s2, 16
	v_addc_co_u32_e32 v21, vcc, 0, v4, vcc
	s_cmp_lt_u32 s6, s12
	global_load_dwordx2 v[24:25], v[20:21], off
	s_cselect_b32 s2, 12, 18
	s_add_u32 s2, s3, s2
	v_mov_b32_e32 v6, 0
	s_addc_u32 s3, s4, 0
	global_load_ushort v7, v6, s[2:3]
	v_mul_u32_u24_e32 v4, 5, v2
	v_lshlrev_b32_e32 v22, 2, v4
	ds_write2_b32 v22, v6, v6 offset0:16 offset1:17
	ds_write2_b32 v22, v6, v6 offset0:18 offset1:19
	ds_write_b32 v22, v6 offset:80
	global_load_dwordx2 v[4:5], v[20:21], off offset:512
	global_load_dwordx2 v[18:19], v[20:21], off offset:1024
	global_load_dwordx2 v[8:9], v[20:21], off offset:1536
	global_load_dwordx2 v[10:11], v[20:21], off offset:2048
	global_load_dwordx2 v[14:15], v[20:21], off offset:2560
	global_load_dwordx2 v[16:17], v[20:21], off offset:3072
	global_load_dwordx2 v[12:13], v[20:21], off offset:3584
	v_bfe_u32 v1, v0, 10, 10
	v_bfe_u32 v0, v0, 20, 10
	v_mad_u32_u24 v23, v0, s5, v1
	s_lshl_b32 s2, -1, s21
	s_not_b32 s13, s2
	s_waitcnt lgkmcnt(0)
	s_barrier
	s_waitcnt lgkmcnt(0)
	; wave barrier
	s_waitcnt vmcnt(8)
	v_not_b32_e32 v1, v25
	v_not_b32_e32 v0, v24
	v_lshrrev_b64 v[20:21], s20, v[0:1]
	v_and_b32_e32 v24, s13, v20
	s_waitcnt vmcnt(7)
	v_mad_u64_u32 v[20:21], s[2:3], v23, v7, v[2:3]
	v_and_b32_e32 v23, 1, v24
	v_lshrrev_b32_e32 v25, 6, v20
	v_add_co_u32_e32 v20, vcc, -1, v23
	v_lshlrev_b32_e32 v7, 30, v24
	v_addc_co_u32_e64 v26, s[2:3], 0, -1, vcc
	v_lshl_add_u32 v21, v24, 4, v24
	v_cmp_ne_u32_e32 vcc, 0, v23
	v_cmp_gt_i64_e64 s[2:3], 0, v[6:7]
	v_not_b32_e32 v27, v7
	v_lshlrev_b32_e32 v7, 29, v24
	v_add_lshl_u32 v23, v25, v21, 2
	v_xor_b32_e32 v21, vcc_hi, v26
	v_xor_b32_e32 v20, vcc_lo, v20
	v_ashrrev_i32_e32 v26, 31, v27
	v_cmp_gt_i64_e32 vcc, 0, v[6:7]
	v_not_b32_e32 v27, v7
	v_lshlrev_b32_e32 v7, 28, v24
	v_and_b32_e32 v21, exec_hi, v21
	v_and_b32_e32 v20, exec_lo, v20
	v_xor_b32_e32 v29, s3, v26
	v_xor_b32_e32 v26, s2, v26
	v_ashrrev_i32_e32 v27, 31, v27
	v_cmp_gt_i64_e64 s[2:3], 0, v[6:7]
	v_not_b32_e32 v30, v7
	v_lshlrev_b32_e32 v7, 27, v24
	v_and_b32_e32 v21, v21, v29
	v_and_b32_e32 v20, v20, v26
	v_xor_b32_e32 v26, vcc_hi, v27
	v_xor_b32_e32 v27, vcc_lo, v27
	v_ashrrev_i32_e32 v29, 31, v30
	v_cmp_gt_i64_e32 vcc, 0, v[6:7]
	v_not_b32_e32 v7, v7
	v_and_b32_e32 v21, v21, v26
	v_and_b32_e32 v20, v20, v27
	v_xor_b32_e32 v26, s3, v29
	v_xor_b32_e32 v27, s2, v29
	v_ashrrev_i32_e32 v7, 31, v7
	v_and_b32_e32 v21, v21, v26
	v_and_b32_e32 v20, v20, v27
	v_xor_b32_e32 v26, vcc_hi, v7
	v_xor_b32_e32 v7, vcc_lo, v7
	v_and_b32_e32 v20, v20, v7
	v_lshlrev_b32_e32 v7, 26, v24
	v_cmp_gt_i64_e32 vcc, 0, v[6:7]
	v_not_b32_e32 v7, v7
	v_ashrrev_i32_e32 v7, 31, v7
	v_and_b32_e32 v21, v21, v26
	v_xor_b32_e32 v26, vcc_hi, v7
	v_xor_b32_e32 v7, vcc_lo, v7
	v_and_b32_e32 v20, v20, v7
	v_lshlrev_b32_e32 v7, 25, v24
	v_cmp_gt_i64_e32 vcc, 0, v[6:7]
	v_not_b32_e32 v7, v7
	v_ashrrev_i32_e32 v7, 31, v7
	;; [unrolled: 8-line block ×3, first 2 shown]
	v_xor_b32_e32 v24, vcc_hi, v7
	v_xor_b32_e32 v7, vcc_lo, v7
	v_and_b32_e32 v21, v21, v26
	v_and_b32_e32 v20, v20, v7
	;; [unrolled: 1-line block ×3, first 2 shown]
	v_mbcnt_lo_u32_b32 v7, v20, 0
	v_mbcnt_hi_u32_b32 v26, v21, v7
	v_cmp_eq_u32_e32 vcc, 0, v26
	v_cmp_ne_u64_e64 s[2:3], 0, v[20:21]
	s_and_b64 s[4:5], s[2:3], vcc
	s_and_saveexec_b64 s[2:3], s[4:5]
	s_cbranch_execz .LBB2295_69
; %bb.68:
	v_bcnt_u32_b32 v7, v20, 0
	v_bcnt_u32_b32 v7, v21, v7
	ds_write_b32 v23, v7 offset:64
.LBB2295_69:
	s_or_b64 exec, exec, s[2:3]
	s_waitcnt vmcnt(6)
	v_not_b32_e32 v5, v5
	v_not_b32_e32 v4, v4
	v_lshrrev_b64 v[20:21], s20, v[4:5]
	v_and_b32_e32 v20, s13, v20
	v_lshl_add_u32 v7, v20, 4, v20
	v_add_lshl_u32 v24, v25, v7, 2
	v_and_b32_e32 v7, 1, v20
	v_add_co_u32_e32 v21, vcc, -1, v7
	v_addc_co_u32_e64 v29, s[2:3], 0, -1, vcc
	v_cmp_ne_u32_e32 vcc, 0, v7
	v_xor_b32_e32 v7, vcc_hi, v29
	v_and_b32_e32 v29, exec_hi, v7
	v_lshlrev_b32_e32 v7, 30, v20
	v_xor_b32_e32 v21, vcc_lo, v21
	v_cmp_gt_i64_e32 vcc, 0, v[6:7]
	v_not_b32_e32 v7, v7
	v_ashrrev_i32_e32 v7, 31, v7
	v_and_b32_e32 v21, exec_lo, v21
	v_xor_b32_e32 v30, vcc_hi, v7
	v_xor_b32_e32 v7, vcc_lo, v7
	v_and_b32_e32 v21, v21, v7
	v_lshlrev_b32_e32 v7, 29, v20
	v_cmp_gt_i64_e32 vcc, 0, v[6:7]
	v_not_b32_e32 v7, v7
	v_ashrrev_i32_e32 v7, 31, v7
	v_and_b32_e32 v29, v29, v30
	v_xor_b32_e32 v30, vcc_hi, v7
	v_xor_b32_e32 v7, vcc_lo, v7
	v_and_b32_e32 v21, v21, v7
	v_lshlrev_b32_e32 v7, 28, v20
	v_cmp_gt_i64_e32 vcc, 0, v[6:7]
	v_not_b32_e32 v7, v7
	v_ashrrev_i32_e32 v7, 31, v7
	v_and_b32_e32 v29, v29, v30
	;; [unrolled: 8-line block ×5, first 2 shown]
	v_xor_b32_e32 v30, vcc_hi, v7
	v_xor_b32_e32 v7, vcc_lo, v7
	v_and_b32_e32 v21, v21, v7
	v_lshlrev_b32_e32 v7, 24, v20
	v_cmp_gt_i64_e32 vcc, 0, v[6:7]
	v_not_b32_e32 v6, v7
	v_ashrrev_i32_e32 v6, 31, v6
	v_xor_b32_e32 v7, vcc_hi, v6
	v_xor_b32_e32 v6, vcc_lo, v6
	; wave barrier
	ds_read_b32 v27, v24 offset:64
	v_and_b32_e32 v29, v29, v30
	v_and_b32_e32 v6, v21, v6
	;; [unrolled: 1-line block ×3, first 2 shown]
	v_mbcnt_lo_u32_b32 v20, v6, 0
	v_mbcnt_hi_u32_b32 v29, v7, v20
	v_cmp_eq_u32_e32 vcc, 0, v29
	v_cmp_ne_u64_e64 s[2:3], 0, v[6:7]
	s_and_b64 s[4:5], s[2:3], vcc
	; wave barrier
	s_and_saveexec_b64 s[2:3], s[4:5]
	s_cbranch_execz .LBB2295_71
; %bb.70:
	v_bcnt_u32_b32 v6, v6, 0
	v_bcnt_u32_b32 v6, v7, v6
	s_waitcnt lgkmcnt(0)
	v_add_u32_e32 v6, v27, v6
	ds_write_b32 v24, v6 offset:64
.LBB2295_71:
	s_or_b64 exec, exec, s[2:3]
	s_waitcnt vmcnt(5)
	v_not_b32_e32 v7, v19
	v_not_b32_e32 v6, v18
	v_lshrrev_b64 v[18:19], s20, v[6:7]
	v_and_b32_e32 v20, s13, v18
	v_and_b32_e32 v19, 1, v20
	v_add_co_u32_e32 v21, vcc, -1, v19
	v_addc_co_u32_e64 v31, s[2:3], 0, -1, vcc
	v_cmp_ne_u32_e32 vcc, 0, v19
	v_lshl_add_u32 v18, v20, 4, v20
	v_xor_b32_e32 v19, vcc_hi, v31
	v_add_lshl_u32 v34, v25, v18, 2
	v_mov_b32_e32 v18, 0
	v_and_b32_e32 v31, exec_hi, v19
	v_lshlrev_b32_e32 v19, 30, v20
	v_xor_b32_e32 v21, vcc_lo, v21
	v_cmp_gt_i64_e32 vcc, 0, v[18:19]
	v_not_b32_e32 v19, v19
	v_ashrrev_i32_e32 v19, 31, v19
	v_and_b32_e32 v21, exec_lo, v21
	v_xor_b32_e32 v32, vcc_hi, v19
	v_xor_b32_e32 v19, vcc_lo, v19
	v_and_b32_e32 v21, v21, v19
	v_lshlrev_b32_e32 v19, 29, v20
	v_cmp_gt_i64_e32 vcc, 0, v[18:19]
	v_not_b32_e32 v19, v19
	v_ashrrev_i32_e32 v19, 31, v19
	v_and_b32_e32 v31, v31, v32
	v_xor_b32_e32 v32, vcc_hi, v19
	v_xor_b32_e32 v19, vcc_lo, v19
	v_and_b32_e32 v21, v21, v19
	v_lshlrev_b32_e32 v19, 28, v20
	v_cmp_gt_i64_e32 vcc, 0, v[18:19]
	v_not_b32_e32 v19, v19
	v_ashrrev_i32_e32 v19, 31, v19
	v_and_b32_e32 v31, v31, v32
	;; [unrolled: 8-line block ×5, first 2 shown]
	v_xor_b32_e32 v32, vcc_hi, v19
	v_xor_b32_e32 v19, vcc_lo, v19
	v_and_b32_e32 v31, v31, v32
	v_and_b32_e32 v32, v21, v19
	v_lshlrev_b32_e32 v19, 24, v20
	v_cmp_gt_i64_e32 vcc, 0, v[18:19]
	v_not_b32_e32 v19, v19
	v_ashrrev_i32_e32 v19, 31, v19
	v_xor_b32_e32 v20, vcc_hi, v19
	v_xor_b32_e32 v19, vcc_lo, v19
	; wave barrier
	ds_read_b32 v30, v34 offset:64
	v_and_b32_e32 v21, v31, v20
	v_and_b32_e32 v20, v32, v19
	v_mbcnt_lo_u32_b32 v19, v20, 0
	v_mbcnt_hi_u32_b32 v31, v21, v19
	v_cmp_eq_u32_e32 vcc, 0, v31
	v_cmp_ne_u64_e64 s[2:3], 0, v[20:21]
	s_and_b64 s[4:5], s[2:3], vcc
	; wave barrier
	s_and_saveexec_b64 s[2:3], s[4:5]
	s_cbranch_execz .LBB2295_73
; %bb.72:
	v_bcnt_u32_b32 v19, v20, 0
	v_bcnt_u32_b32 v19, v21, v19
	s_waitcnt lgkmcnt(0)
	v_add_u32_e32 v19, v30, v19
	ds_write_b32 v34, v19 offset:64
.LBB2295_73:
	s_or_b64 exec, exec, s[2:3]
	s_waitcnt vmcnt(4)
	v_not_b32_e32 v9, v9
	v_not_b32_e32 v8, v8
	v_lshrrev_b64 v[20:21], s20, v[8:9]
	v_and_b32_e32 v20, s13, v20
	v_lshl_add_u32 v19, v20, 4, v20
	v_add_lshl_u32 v37, v25, v19, 2
	v_and_b32_e32 v19, 1, v20
	v_add_co_u32_e32 v21, vcc, -1, v19
	v_addc_co_u32_e64 v33, s[2:3], 0, -1, vcc
	v_cmp_ne_u32_e32 vcc, 0, v19
	v_xor_b32_e32 v19, vcc_hi, v33
	v_and_b32_e32 v33, exec_hi, v19
	v_lshlrev_b32_e32 v19, 30, v20
	v_xor_b32_e32 v21, vcc_lo, v21
	v_cmp_gt_i64_e32 vcc, 0, v[18:19]
	v_not_b32_e32 v19, v19
	v_ashrrev_i32_e32 v19, 31, v19
	v_and_b32_e32 v21, exec_lo, v21
	v_xor_b32_e32 v35, vcc_hi, v19
	v_xor_b32_e32 v19, vcc_lo, v19
	v_and_b32_e32 v21, v21, v19
	v_lshlrev_b32_e32 v19, 29, v20
	v_cmp_gt_i64_e32 vcc, 0, v[18:19]
	v_not_b32_e32 v19, v19
	v_ashrrev_i32_e32 v19, 31, v19
	v_and_b32_e32 v33, v33, v35
	v_xor_b32_e32 v35, vcc_hi, v19
	v_xor_b32_e32 v19, vcc_lo, v19
	v_and_b32_e32 v21, v21, v19
	v_lshlrev_b32_e32 v19, 28, v20
	v_cmp_gt_i64_e32 vcc, 0, v[18:19]
	v_not_b32_e32 v19, v19
	v_ashrrev_i32_e32 v19, 31, v19
	v_and_b32_e32 v33, v33, v35
	;; [unrolled: 8-line block ×5, first 2 shown]
	v_xor_b32_e32 v35, vcc_hi, v19
	v_xor_b32_e32 v19, vcc_lo, v19
	v_and_b32_e32 v21, v21, v19
	v_lshlrev_b32_e32 v19, 24, v20
	v_cmp_gt_i64_e32 vcc, 0, v[18:19]
	v_not_b32_e32 v18, v19
	v_ashrrev_i32_e32 v18, 31, v18
	v_xor_b32_e32 v19, vcc_hi, v18
	v_xor_b32_e32 v18, vcc_lo, v18
	; wave barrier
	ds_read_b32 v32, v37 offset:64
	v_and_b32_e32 v33, v33, v35
	v_and_b32_e32 v18, v21, v18
	;; [unrolled: 1-line block ×3, first 2 shown]
	v_mbcnt_lo_u32_b32 v20, v18, 0
	v_mbcnt_hi_u32_b32 v33, v19, v20
	v_cmp_eq_u32_e32 vcc, 0, v33
	v_cmp_ne_u64_e64 s[2:3], 0, v[18:19]
	s_and_b64 s[4:5], s[2:3], vcc
	; wave barrier
	s_and_saveexec_b64 s[2:3], s[4:5]
	s_cbranch_execz .LBB2295_75
; %bb.74:
	v_bcnt_u32_b32 v18, v18, 0
	v_bcnt_u32_b32 v18, v19, v18
	s_waitcnt lgkmcnt(0)
	v_add_u32_e32 v18, v32, v18
	ds_write_b32 v37, v18 offset:64
.LBB2295_75:
	s_or_b64 exec, exec, s[2:3]
	s_waitcnt vmcnt(3)
	v_not_b32_e32 v11, v11
	v_not_b32_e32 v10, v10
	v_lshrrev_b64 v[18:19], s20, v[10:11]
	v_and_b32_e32 v20, s13, v18
	v_and_b32_e32 v19, 1, v20
	v_add_co_u32_e32 v21, vcc, -1, v19
	v_addc_co_u32_e64 v36, s[2:3], 0, -1, vcc
	v_cmp_ne_u32_e32 vcc, 0, v19
	v_lshl_add_u32 v18, v20, 4, v20
	v_xor_b32_e32 v19, vcc_hi, v36
	v_add_lshl_u32 v38, v25, v18, 2
	v_mov_b32_e32 v18, 0
	v_and_b32_e32 v36, exec_hi, v19
	v_lshlrev_b32_e32 v19, 30, v20
	v_xor_b32_e32 v21, vcc_lo, v21
	v_cmp_gt_i64_e32 vcc, 0, v[18:19]
	v_not_b32_e32 v19, v19
	v_ashrrev_i32_e32 v19, 31, v19
	v_and_b32_e32 v21, exec_lo, v21
	v_xor_b32_e32 v39, vcc_hi, v19
	v_xor_b32_e32 v19, vcc_lo, v19
	v_and_b32_e32 v21, v21, v19
	v_lshlrev_b32_e32 v19, 29, v20
	v_cmp_gt_i64_e32 vcc, 0, v[18:19]
	v_not_b32_e32 v19, v19
	v_ashrrev_i32_e32 v19, 31, v19
	v_and_b32_e32 v36, v36, v39
	v_xor_b32_e32 v39, vcc_hi, v19
	v_xor_b32_e32 v19, vcc_lo, v19
	v_and_b32_e32 v21, v21, v19
	v_lshlrev_b32_e32 v19, 28, v20
	v_cmp_gt_i64_e32 vcc, 0, v[18:19]
	v_not_b32_e32 v19, v19
	v_ashrrev_i32_e32 v19, 31, v19
	v_and_b32_e32 v36, v36, v39
	;; [unrolled: 8-line block ×5, first 2 shown]
	v_xor_b32_e32 v39, vcc_hi, v19
	v_xor_b32_e32 v19, vcc_lo, v19
	v_and_b32_e32 v36, v36, v39
	v_and_b32_e32 v39, v21, v19
	v_lshlrev_b32_e32 v19, 24, v20
	v_cmp_gt_i64_e32 vcc, 0, v[18:19]
	v_not_b32_e32 v19, v19
	v_ashrrev_i32_e32 v19, 31, v19
	v_xor_b32_e32 v20, vcc_hi, v19
	v_xor_b32_e32 v19, vcc_lo, v19
	; wave barrier
	ds_read_b32 v35, v38 offset:64
	v_and_b32_e32 v21, v36, v20
	v_and_b32_e32 v20, v39, v19
	v_mbcnt_lo_u32_b32 v19, v20, 0
	v_mbcnt_hi_u32_b32 v36, v21, v19
	v_cmp_eq_u32_e32 vcc, 0, v36
	v_cmp_ne_u64_e64 s[2:3], 0, v[20:21]
	s_and_b64 s[4:5], s[2:3], vcc
	; wave barrier
	s_and_saveexec_b64 s[2:3], s[4:5]
	s_cbranch_execz .LBB2295_77
; %bb.76:
	v_bcnt_u32_b32 v19, v20, 0
	v_bcnt_u32_b32 v19, v21, v19
	s_waitcnt lgkmcnt(0)
	v_add_u32_e32 v19, v35, v19
	ds_write_b32 v38, v19 offset:64
.LBB2295_77:
	s_or_b64 exec, exec, s[2:3]
	s_waitcnt vmcnt(2)
	v_not_b32_e32 v15, v15
	v_not_b32_e32 v14, v14
	v_lshrrev_b64 v[20:21], s20, v[14:15]
	v_and_b32_e32 v20, s13, v20
	v_lshl_add_u32 v19, v20, 4, v20
	v_add_lshl_u32 v43, v25, v19, 2
	v_and_b32_e32 v19, 1, v20
	v_add_co_u32_e32 v21, vcc, -1, v19
	v_addc_co_u32_e64 v40, s[2:3], 0, -1, vcc
	v_cmp_ne_u32_e32 vcc, 0, v19
	v_xor_b32_e32 v19, vcc_hi, v40
	v_and_b32_e32 v40, exec_hi, v19
	v_lshlrev_b32_e32 v19, 30, v20
	v_xor_b32_e32 v21, vcc_lo, v21
	v_cmp_gt_i64_e32 vcc, 0, v[18:19]
	v_not_b32_e32 v19, v19
	v_ashrrev_i32_e32 v19, 31, v19
	v_and_b32_e32 v21, exec_lo, v21
	v_xor_b32_e32 v41, vcc_hi, v19
	v_xor_b32_e32 v19, vcc_lo, v19
	v_and_b32_e32 v21, v21, v19
	v_lshlrev_b32_e32 v19, 29, v20
	v_cmp_gt_i64_e32 vcc, 0, v[18:19]
	v_not_b32_e32 v19, v19
	v_ashrrev_i32_e32 v19, 31, v19
	v_and_b32_e32 v40, v40, v41
	v_xor_b32_e32 v41, vcc_hi, v19
	v_xor_b32_e32 v19, vcc_lo, v19
	v_and_b32_e32 v21, v21, v19
	v_lshlrev_b32_e32 v19, 28, v20
	v_cmp_gt_i64_e32 vcc, 0, v[18:19]
	v_not_b32_e32 v19, v19
	v_ashrrev_i32_e32 v19, 31, v19
	v_and_b32_e32 v40, v40, v41
	;; [unrolled: 8-line block ×5, first 2 shown]
	v_xor_b32_e32 v41, vcc_hi, v19
	v_xor_b32_e32 v19, vcc_lo, v19
	v_and_b32_e32 v21, v21, v19
	v_lshlrev_b32_e32 v19, 24, v20
	v_cmp_gt_i64_e32 vcc, 0, v[18:19]
	v_not_b32_e32 v18, v19
	v_ashrrev_i32_e32 v18, 31, v18
	v_xor_b32_e32 v19, vcc_hi, v18
	v_xor_b32_e32 v18, vcc_lo, v18
	; wave barrier
	ds_read_b32 v39, v43 offset:64
	v_and_b32_e32 v40, v40, v41
	v_and_b32_e32 v18, v21, v18
	;; [unrolled: 1-line block ×3, first 2 shown]
	v_mbcnt_lo_u32_b32 v20, v18, 0
	v_mbcnt_hi_u32_b32 v40, v19, v20
	v_cmp_eq_u32_e32 vcc, 0, v40
	v_cmp_ne_u64_e64 s[2:3], 0, v[18:19]
	s_and_b64 s[4:5], s[2:3], vcc
	; wave barrier
	s_and_saveexec_b64 s[2:3], s[4:5]
	s_cbranch_execz .LBB2295_79
; %bb.78:
	v_bcnt_u32_b32 v18, v18, 0
	v_bcnt_u32_b32 v18, v19, v18
	s_waitcnt lgkmcnt(0)
	v_add_u32_e32 v18, v39, v18
	ds_write_b32 v43, v18 offset:64
.LBB2295_79:
	s_or_b64 exec, exec, s[2:3]
	s_waitcnt vmcnt(1)
	v_not_b32_e32 v17, v17
	v_not_b32_e32 v16, v16
	v_lshrrev_b64 v[18:19], s20, v[16:17]
	v_and_b32_e32 v20, s13, v18
	v_and_b32_e32 v19, 1, v20
	v_add_co_u32_e32 v21, vcc, -1, v19
	v_addc_co_u32_e64 v42, s[2:3], 0, -1, vcc
	v_cmp_ne_u32_e32 vcc, 0, v19
	v_lshl_add_u32 v18, v20, 4, v20
	v_xor_b32_e32 v19, vcc_hi, v42
	v_add_lshl_u32 v46, v25, v18, 2
	v_mov_b32_e32 v18, 0
	v_and_b32_e32 v42, exec_hi, v19
	v_lshlrev_b32_e32 v19, 30, v20
	v_xor_b32_e32 v21, vcc_lo, v21
	v_cmp_gt_i64_e32 vcc, 0, v[18:19]
	v_not_b32_e32 v19, v19
	v_ashrrev_i32_e32 v19, 31, v19
	v_and_b32_e32 v21, exec_lo, v21
	v_xor_b32_e32 v44, vcc_hi, v19
	v_xor_b32_e32 v19, vcc_lo, v19
	v_and_b32_e32 v21, v21, v19
	v_lshlrev_b32_e32 v19, 29, v20
	v_cmp_gt_i64_e32 vcc, 0, v[18:19]
	v_not_b32_e32 v19, v19
	v_ashrrev_i32_e32 v19, 31, v19
	v_and_b32_e32 v42, v42, v44
	v_xor_b32_e32 v44, vcc_hi, v19
	v_xor_b32_e32 v19, vcc_lo, v19
	v_and_b32_e32 v21, v21, v19
	v_lshlrev_b32_e32 v19, 28, v20
	v_cmp_gt_i64_e32 vcc, 0, v[18:19]
	v_not_b32_e32 v19, v19
	v_ashrrev_i32_e32 v19, 31, v19
	v_and_b32_e32 v42, v42, v44
	;; [unrolled: 8-line block ×5, first 2 shown]
	v_xor_b32_e32 v44, vcc_hi, v19
	v_xor_b32_e32 v19, vcc_lo, v19
	v_and_b32_e32 v42, v42, v44
	v_and_b32_e32 v44, v21, v19
	v_lshlrev_b32_e32 v19, 24, v20
	v_cmp_gt_i64_e32 vcc, 0, v[18:19]
	v_not_b32_e32 v19, v19
	v_ashrrev_i32_e32 v19, 31, v19
	v_xor_b32_e32 v20, vcc_hi, v19
	v_xor_b32_e32 v19, vcc_lo, v19
	; wave barrier
	ds_read_b32 v41, v46 offset:64
	v_and_b32_e32 v21, v42, v20
	v_and_b32_e32 v20, v44, v19
	v_mbcnt_lo_u32_b32 v19, v20, 0
	v_mbcnt_hi_u32_b32 v42, v21, v19
	v_cmp_eq_u32_e32 vcc, 0, v42
	v_cmp_ne_u64_e64 s[2:3], 0, v[20:21]
	s_and_b64 s[4:5], s[2:3], vcc
	; wave barrier
	s_and_saveexec_b64 s[2:3], s[4:5]
	s_cbranch_execz .LBB2295_81
; %bb.80:
	v_bcnt_u32_b32 v19, v20, 0
	v_bcnt_u32_b32 v19, v21, v19
	s_waitcnt lgkmcnt(0)
	v_add_u32_e32 v19, v41, v19
	ds_write_b32 v46, v19 offset:64
.LBB2295_81:
	s_or_b64 exec, exec, s[2:3]
	s_waitcnt vmcnt(0)
	v_not_b32_e32 v13, v13
	v_not_b32_e32 v12, v12
	v_lshrrev_b64 v[20:21], s20, v[12:13]
	v_and_b32_e32 v20, s13, v20
	v_lshl_add_u32 v19, v20, 4, v20
	v_add_lshl_u32 v25, v25, v19, 2
	v_and_b32_e32 v19, 1, v20
	v_add_co_u32_e32 v21, vcc, -1, v19
	v_addc_co_u32_e64 v45, s[2:3], 0, -1, vcc
	v_cmp_ne_u32_e32 vcc, 0, v19
	v_xor_b32_e32 v19, vcc_hi, v45
	v_and_b32_e32 v45, exec_hi, v19
	v_lshlrev_b32_e32 v19, 30, v20
	v_xor_b32_e32 v21, vcc_lo, v21
	v_cmp_gt_i64_e32 vcc, 0, v[18:19]
	v_not_b32_e32 v19, v19
	v_ashrrev_i32_e32 v19, 31, v19
	v_and_b32_e32 v21, exec_lo, v21
	v_xor_b32_e32 v48, vcc_hi, v19
	v_xor_b32_e32 v19, vcc_lo, v19
	v_and_b32_e32 v21, v21, v19
	v_lshlrev_b32_e32 v19, 29, v20
	v_cmp_gt_i64_e32 vcc, 0, v[18:19]
	v_not_b32_e32 v19, v19
	v_ashrrev_i32_e32 v19, 31, v19
	v_and_b32_e32 v45, v45, v48
	v_xor_b32_e32 v48, vcc_hi, v19
	v_xor_b32_e32 v19, vcc_lo, v19
	v_and_b32_e32 v21, v21, v19
	v_lshlrev_b32_e32 v19, 28, v20
	v_cmp_gt_i64_e32 vcc, 0, v[18:19]
	v_not_b32_e32 v19, v19
	v_ashrrev_i32_e32 v19, 31, v19
	v_and_b32_e32 v45, v45, v48
	;; [unrolled: 8-line block ×5, first 2 shown]
	v_xor_b32_e32 v48, vcc_hi, v19
	v_xor_b32_e32 v19, vcc_lo, v19
	v_and_b32_e32 v21, v21, v19
	v_lshlrev_b32_e32 v19, 24, v20
	v_cmp_gt_i64_e32 vcc, 0, v[18:19]
	v_not_b32_e32 v18, v19
	v_ashrrev_i32_e32 v18, 31, v18
	v_xor_b32_e32 v19, vcc_hi, v18
	v_xor_b32_e32 v18, vcc_lo, v18
	; wave barrier
	ds_read_b32 v44, v25 offset:64
	v_and_b32_e32 v45, v45, v48
	v_and_b32_e32 v18, v21, v18
	;; [unrolled: 1-line block ×3, first 2 shown]
	v_mbcnt_lo_u32_b32 v20, v18, 0
	v_mbcnt_hi_u32_b32 v45, v19, v20
	v_cmp_eq_u32_e32 vcc, 0, v45
	v_cmp_ne_u64_e64 s[2:3], 0, v[18:19]
	v_add_u32_e32 v47, 64, v22
	s_and_b64 s[4:5], s[2:3], vcc
	; wave barrier
	s_and_saveexec_b64 s[2:3], s[4:5]
	s_cbranch_execz .LBB2295_83
; %bb.82:
	v_bcnt_u32_b32 v18, v18, 0
	v_bcnt_u32_b32 v18, v19, v18
	s_waitcnt lgkmcnt(0)
	v_add_u32_e32 v18, v44, v18
	ds_write_b32 v25, v18 offset:64
.LBB2295_83:
	s_or_b64 exec, exec, s[2:3]
	; wave barrier
	s_waitcnt lgkmcnt(0)
	s_barrier
	ds_read2_b32 v[20:21], v22 offset0:16 offset1:17
	ds_read2_b32 v[18:19], v47 offset0:2 offset1:3
	ds_read_b32 v48, v47 offset:16
	v_cmp_lt_u32_e64 s[8:9], 31, v3
	s_waitcnt lgkmcnt(1)
	v_add3_u32 v49, v21, v20, v18
	s_waitcnt lgkmcnt(0)
	v_add3_u32 v48, v49, v19, v48
	v_and_b32_e32 v49, 15, v3
	v_cmp_eq_u32_e32 vcc, 0, v49
	v_mov_b32_dpp v50, v48 row_shr:1 row_mask:0xf bank_mask:0xf
	v_cndmask_b32_e64 v50, v50, 0, vcc
	v_add_u32_e32 v48, v50, v48
	v_cmp_lt_u32_e64 s[2:3], 1, v49
	v_cmp_lt_u32_e64 s[4:5], 3, v49
	v_mov_b32_dpp v50, v48 row_shr:2 row_mask:0xf bank_mask:0xf
	v_cndmask_b32_e64 v50, 0, v50, s[2:3]
	v_add_u32_e32 v48, v48, v50
	v_cmp_lt_u32_e64 s[6:7], 7, v49
	s_nop 0
	v_mov_b32_dpp v50, v48 row_shr:4 row_mask:0xf bank_mask:0xf
	v_cndmask_b32_e64 v50, 0, v50, s[4:5]
	v_add_u32_e32 v48, v48, v50
	s_nop 1
	v_mov_b32_dpp v50, v48 row_shr:8 row_mask:0xf bank_mask:0xf
	v_cndmask_b32_e64 v49, 0, v50, s[6:7]
	v_add_u32_e32 v48, v48, v49
	v_bfe_i32 v50, v3, 4, 1
	s_nop 0
	v_mov_b32_dpp v49, v48 row_bcast:15 row_mask:0xf bank_mask:0xf
	v_and_b32_e32 v49, v50, v49
	v_add_u32_e32 v48, v48, v49
	v_and_b32_e32 v50, 63, v2
	s_nop 0
	v_mov_b32_dpp v49, v48 row_bcast:31 row_mask:0xf bank_mask:0xf
	v_cndmask_b32_e64 v49, 0, v49, s[8:9]
	v_add_u32_e32 v48, v48, v49
	v_lshrrev_b32_e32 v49, 6, v2
	v_cmp_eq_u32_e64 s[8:9], 63, v50
	s_and_saveexec_b64 s[10:11], s[8:9]
	s_cbranch_execz .LBB2295_85
; %bb.84:
	v_lshlrev_b32_e32 v50, 2, v49
	ds_write_b32 v50, v48
.LBB2295_85:
	s_or_b64 exec, exec, s[10:11]
	v_cmp_gt_u32_e64 s[8:9], 16, v2
	s_waitcnt lgkmcnt(0)
	s_barrier
	s_and_saveexec_b64 s[10:11], s[8:9]
	s_cbranch_execz .LBB2295_87
; %bb.86:
	v_lshlrev_b32_e32 v50, 2, v2
	ds_read_b32 v51, v50
	s_waitcnt lgkmcnt(0)
	s_nop 0
	v_mov_b32_dpp v52, v51 row_shr:1 row_mask:0xf bank_mask:0xf
	v_cndmask_b32_e64 v52, v52, 0, vcc
	v_add_u32_e32 v51, v52, v51
	s_nop 1
	v_mov_b32_dpp v52, v51 row_shr:2 row_mask:0xf bank_mask:0xf
	v_cndmask_b32_e64 v52, 0, v52, s[2:3]
	v_add_u32_e32 v51, v51, v52
	s_nop 1
	v_mov_b32_dpp v52, v51 row_shr:4 row_mask:0xf bank_mask:0xf
	v_cndmask_b32_e64 v52, 0, v52, s[4:5]
	;; [unrolled: 4-line block ×3, first 2 shown]
	v_add_u32_e32 v51, v51, v52
	ds_write_b32 v50, v51
.LBB2295_87:
	s_or_b64 exec, exec, s[10:11]
	v_cmp_lt_u32_e32 vcc, 63, v2
	v_mov_b32_e32 v50, 0
	s_waitcnt lgkmcnt(0)
	s_barrier
	s_and_saveexec_b64 s[2:3], vcc
	s_cbranch_execz .LBB2295_89
; %bb.88:
	v_lshl_add_u32 v49, v49, 2, -4
	ds_read_b32 v50, v49
.LBB2295_89:
	s_or_b64 exec, exec, s[2:3]
	v_add_u32_e32 v49, -1, v3
	v_and_b32_e32 v51, 64, v3
	v_cmp_lt_i32_e32 vcc, v49, v51
	v_cndmask_b32_e32 v49, v49, v3, vcc
	s_waitcnt lgkmcnt(0)
	v_add_u32_e32 v48, v50, v48
	v_lshlrev_b32_e32 v49, 2, v49
	ds_bpermute_b32 v48, v49, v48
	v_cmp_eq_u32_e32 vcc, 0, v3
	s_movk_i32 s2, 0xff
	s_waitcnt lgkmcnt(0)
	v_cndmask_b32_e32 v3, v48, v50, vcc
	v_cndmask_b32_e64 v3, v3, 0, s[0:1]
	v_add_u32_e32 v20, v3, v20
	v_add_u32_e32 v21, v20, v21
	;; [unrolled: 1-line block ×4, first 2 shown]
	ds_write2_b32 v22, v3, v20 offset0:16 offset1:17
	ds_write2_b32 v47, v21, v18 offset0:2 offset1:3
	ds_write_b32 v47, v19 offset:16
	s_waitcnt lgkmcnt(0)
	s_barrier
	ds_read_b32 v49, v23 offset:64
	ds_read_b32 v47, v24 offset:64
	;; [unrolled: 1-line block ×8, first 2 shown]
	s_movk_i32 s0, 0x100
	v_cmp_lt_u32_e32 vcc, s2, v2
	v_cmp_gt_u32_e64 s[0:1], s0, v2
	v_pk_mov_b32 v[18:19], 0, 0
                                        ; implicit-def: $vgpr38
	s_and_saveexec_b64 s[4:5], s[0:1]
	s_cbranch_execz .LBB2295_93
; %bb.90:
	v_mul_u32_u24_e32 v3, 17, v2
	v_lshlrev_b32_e32 v19, 2, v3
	ds_read_b32 v18, v19 offset:64
	v_cmp_ne_u32_e64 s[2:3], s2, v2
	v_mov_b32_e32 v3, 0x2000
	s_and_saveexec_b64 s[6:7], s[2:3]
	s_cbranch_execz .LBB2295_92
; %bb.91:
	ds_read_b32 v3, v19 offset:132
.LBB2295_92:
	s_or_b64 exec, exec, s[6:7]
	s_waitcnt lgkmcnt(0)
	v_sub_u32_e32 v38, v3, v18
	v_mov_b32_e32 v19, 0
.LBB2295_93:
	s_or_b64 exec, exec, s[4:5]
	s_waitcnt lgkmcnt(0)
	s_barrier
	s_and_saveexec_b64 s[2:3], vcc
	s_xor_b64 s[2:3], exec, s[2:3]
; %bb.94:
	v_mov_b32_e32 v3, 0
; %bb.95:
	s_andn2_saveexec_b64 s[2:3], s[2:3]
	s_cbranch_execz .LBB2295_105
; %bb.96:
	v_lshl_or_b32 v20, s28, 8, v2
	v_mov_b32_e32 v21, 0
	v_lshlrev_b64 v[22:23], 2, v[20:21]
	v_mov_b32_e32 v3, s15
	v_add_co_u32_e32 v22, vcc, s14, v22
	v_addc_co_u32_e32 v23, vcc, v3, v23, vcc
	v_or_b32_e32 v20, 2.0, v38
	s_mov_b64 s[4:5], 0
	s_brev_b32 s10, 1
	s_mov_b32 s11, s28
	v_mov_b32_e32 v51, 0
	global_store_dword v[22:23], v20, off
                                        ; implicit-def: $sgpr6_sgpr7
	s_branch .LBB2295_99
.LBB2295_97:                            ;   in Loop: Header=BB2295_99 Depth=1
	s_or_b64 exec, exec, s[8:9]
.LBB2295_98:                            ;   in Loop: Header=BB2295_99 Depth=1
	s_or_b64 exec, exec, s[6:7]
	v_and_b32_e32 v24, 0x3fffffff, v52
	v_add_u32_e32 v51, v24, v51
	v_cmp_eq_u32_e64 s[6:7], s10, v20
	s_and_b64 s[8:9], exec, s[6:7]
	s_or_b64 s[4:5], s[8:9], s[4:5]
	s_andn2_b64 exec, exec, s[4:5]
	s_cbranch_execz .LBB2295_104
.LBB2295_99:                            ; =>This Loop Header: Depth=1
                                        ;     Child Loop BB2295_102 Depth 2
	s_or_b64 s[6:7], s[6:7], exec
	s_cmp_eq_u32 s11, 0
	s_cbranch_scc1 .LBB2295_103
; %bb.100:                              ;   in Loop: Header=BB2295_99 Depth=1
	s_add_i32 s11, s11, -1
	v_lshl_or_b32 v20, s11, 8, v2
	v_lshlrev_b64 v[24:25], 2, v[20:21]
	v_add_co_u32_e32 v24, vcc, s14, v24
	v_addc_co_u32_e32 v25, vcc, v3, v25, vcc
	global_load_dword v52, v[24:25], off glc
	s_waitcnt vmcnt(0)
	v_and_b32_e32 v20, -2.0, v52
	v_cmp_eq_u32_e32 vcc, 0, v20
	s_and_saveexec_b64 s[6:7], vcc
	s_cbranch_execz .LBB2295_98
; %bb.101:                              ;   in Loop: Header=BB2295_99 Depth=1
	s_mov_b64 s[8:9], 0
.LBB2295_102:                           ;   Parent Loop BB2295_99 Depth=1
                                        ; =>  This Inner Loop Header: Depth=2
	global_load_dword v52, v[24:25], off glc
	s_waitcnt vmcnt(0)
	v_and_b32_e32 v20, -2.0, v52
	v_cmp_ne_u32_e32 vcc, 0, v20
	s_or_b64 s[8:9], vcc, s[8:9]
	s_andn2_b64 exec, exec, s[8:9]
	s_cbranch_execnz .LBB2295_102
	s_branch .LBB2295_97
.LBB2295_103:                           ;   in Loop: Header=BB2295_99 Depth=1
                                        ; implicit-def: $sgpr11
	s_and_b64 s[8:9], exec, s[6:7]
	s_or_b64 s[4:5], s[8:9], s[4:5]
	s_andn2_b64 exec, exec, s[4:5]
	s_cbranch_execnz .LBB2295_99
.LBB2295_104:
	s_or_b64 exec, exec, s[4:5]
	v_add_u32_e32 v3, v51, v38
	v_or_b32_e32 v3, 0x80000000, v3
	global_store_dword v[22:23], v3, off
	global_load_dwordx2 v[20:21], v28, s[16:17]
	v_sub_co_u32_e32 v22, vcc, v51, v18
	v_subb_co_u32_e32 v23, vcc, 0, v19, vcc
	v_mov_b32_e32 v3, 0
	s_waitcnt vmcnt(0)
	v_add_co_u32_e32 v20, vcc, v22, v20
	v_addc_co_u32_e32 v21, vcc, v23, v21, vcc
	ds_write_b64 v28, v[20:21]
.LBB2295_105:
	s_or_b64 exec, exec, s[2:3]
	v_lshlrev_b64 v[20:21], 3, v[2:3]
	v_add3_u32 v27, v29, v47, v27
	v_mov_b32_e32 v29, s27
	v_add_co_u32_e32 v20, vcc, s26, v20
	v_add_u32_e32 v22, v49, v26
	v_add_u32_e32 v23, 0x800, v28
	v_add3_u32 v24, v45, v50, v44
	v_add3_u32 v25, v42, v46, v41
	;; [unrolled: 1-line block ×6, first 2 shown]
	v_addc_co_u32_e32 v21, vcc, v29, v21, vcc
	s_mov_b32 s2, 0
.LBB2295_106:                           ; =>This Inner Loop Header: Depth=1
	v_add_u32_e32 v29, s2, v22
	v_add_u32_e32 v36, s2, v35
	;; [unrolled: 1-line block ×8, first 2 shown]
	v_min_u32_e32 v29, 0x800, v29
	v_min_u32_e32 v36, 0x800, v36
	;; [unrolled: 1-line block ×8, first 2 shown]
	v_lshlrev_b32_e32 v29, 3, v29
	v_lshlrev_b32_e32 v36, 3, v36
	;; [unrolled: 1-line block ×8, first 2 shown]
	ds_write_b64 v29, v[0:1] offset:2048
	ds_write_b64 v31, v[4:5] offset:2048
	;; [unrolled: 1-line block ×8, first 2 shown]
	s_waitcnt lgkmcnt(0)
	s_barrier
	ds_read_b64 v[36:37], v28 offset:2048
	s_addk_i32 s2, 0xf800
	s_cmpk_lg_i32 s2, 0xe000
	s_waitcnt lgkmcnt(0)
	v_lshrrev_b64 v[40:41], s20, v[36:37]
	v_and_b32_e32 v29, s13, v40
	v_lshlrev_b32_e32 v29, 3, v29
	ds_read_b64 v[40:41], v29
	ds_read_b64 v[42:43], v23 offset:8192
	v_not_b32_e32 v37, v37
	v_not_b32_e32 v36, v36
	s_waitcnt lgkmcnt(1)
	v_lshlrev_b64 v[40:41], 3, v[40:41]
	s_waitcnt lgkmcnt(0)
	v_lshrrev_b64 v[44:45], s20, v[42:43]
	v_add_co_u32_e32 v40, vcc, v20, v40
	v_and_b32_e32 v29, s13, v44
	v_addc_co_u32_e32 v41, vcc, v21, v41, vcc
	v_lshlrev_b32_e32 v29, 3, v29
	global_store_dwordx2 v[40:41], v[36:37], off
	ds_read_b64 v[36:37], v29
	v_not_b32_e32 v43, v43
	v_not_b32_e32 v42, v42
	s_waitcnt lgkmcnt(0)
	v_lshlrev_b64 v[36:37], 3, v[36:37]
	v_add_co_u32_e32 v29, vcc, v20, v36
	v_addc_co_u32_e32 v31, vcc, v21, v37, vcc
	v_add_co_u32_e32 v36, vcc, 0x2000, v29
	v_addc_co_u32_e32 v37, vcc, 0, v31, vcc
	;; [unrolled: 2-line block ×3, first 2 shown]
	global_store_dwordx2 v[36:37], v[42:43], off
	s_barrier
	s_cbranch_scc1 .LBB2295_106
; %bb.107:
	s_add_i32 s12, s12, -1
	s_cmp_eq_u32 s12, s28
	s_cselect_b64 s[2:3], -1, 0
	s_and_b64 s[2:3], s[0:1], s[2:3]
.LBB2295_108:
	s_and_saveexec_b64 s[0:1], s[2:3]
	s_cbranch_execnz .LBB2295_110
; %bb.109:
	s_endpgm
.LBB2295_110:
	v_lshlrev_b64 v[0:1], 3, v[2:3]
	ds_read_b64 v[2:3], v28
	v_add_co_u32_e32 v4, vcc, v18, v38
	v_addc_co_u32_e32 v5, vcc, 0, v19, vcc
	v_mov_b32_e32 v6, s19
	v_add_co_u32_e32 v0, vcc, s18, v0
	v_addc_co_u32_e32 v1, vcc, v6, v1, vcc
	s_waitcnt lgkmcnt(0)
	v_add_co_u32_e32 v2, vcc, v4, v2
	v_addc_co_u32_e32 v3, vcc, v5, v3, vcc
	global_store_dwordx2 v[0:1], v[2:3], off
	s_endpgm
	.section	.rodata,"a",@progbits
	.p2align	6, 0x0
	.amdhsa_kernel _ZN7rocprim17ROCPRIM_400000_NS6detail17trampoline_kernelINS0_14default_configENS1_35radix_sort_onesweep_config_selectorImNS0_10empty_typeEEEZZNS1_29radix_sort_onesweep_iterationIS3_Lb1EPmS8_PS5_S9_mNS0_19identity_decomposerENS1_16block_id_wrapperIjLb1EEEEE10hipError_tT1_PNSt15iterator_traitsISE_E10value_typeET2_T3_PNSF_ISK_E10value_typeET4_T5_PSP_SQ_PNS1_23onesweep_lookback_stateEbbT6_jjT7_P12ihipStream_tbENKUlT_T0_SE_SJ_E_clIS8_S8_S9_S9_EEDaSX_SY_SE_SJ_EUlSX_E_NS1_11comp_targetILNS1_3genE4ELNS1_11target_archE910ELNS1_3gpuE8ELNS1_3repE0EEENS1_47radix_sort_onesweep_sort_config_static_selectorELNS0_4arch9wavefront6targetE1EEEvSE_
		.amdhsa_group_segment_fixed_size 20552
		.amdhsa_private_segment_fixed_size 0
		.amdhsa_kernarg_size 344
		.amdhsa_user_sgpr_count 6
		.amdhsa_user_sgpr_private_segment_buffer 1
		.amdhsa_user_sgpr_dispatch_ptr 0
		.amdhsa_user_sgpr_queue_ptr 0
		.amdhsa_user_sgpr_kernarg_segment_ptr 1
		.amdhsa_user_sgpr_dispatch_id 0
		.amdhsa_user_sgpr_flat_scratch_init 0
		.amdhsa_user_sgpr_kernarg_preload_length 0
		.amdhsa_user_sgpr_kernarg_preload_offset 0
		.amdhsa_user_sgpr_private_segment_size 0
		.amdhsa_uses_dynamic_stack 0
		.amdhsa_system_sgpr_private_segment_wavefront_offset 0
		.amdhsa_system_sgpr_workgroup_id_x 1
		.amdhsa_system_sgpr_workgroup_id_y 0
		.amdhsa_system_sgpr_workgroup_id_z 0
		.amdhsa_system_sgpr_workgroup_info 0
		.amdhsa_system_vgpr_workitem_id 2
		.amdhsa_next_free_vgpr 55
		.amdhsa_next_free_sgpr 34
		.amdhsa_accum_offset 56
		.amdhsa_reserve_vcc 1
		.amdhsa_reserve_flat_scratch 0
		.amdhsa_float_round_mode_32 0
		.amdhsa_float_round_mode_16_64 0
		.amdhsa_float_denorm_mode_32 3
		.amdhsa_float_denorm_mode_16_64 3
		.amdhsa_dx10_clamp 1
		.amdhsa_ieee_mode 1
		.amdhsa_fp16_overflow 0
		.amdhsa_tg_split 0
		.amdhsa_exception_fp_ieee_invalid_op 0
		.amdhsa_exception_fp_denorm_src 0
		.amdhsa_exception_fp_ieee_div_zero 0
		.amdhsa_exception_fp_ieee_overflow 0
		.amdhsa_exception_fp_ieee_underflow 0
		.amdhsa_exception_fp_ieee_inexact 0
		.amdhsa_exception_int_div_zero 0
	.end_amdhsa_kernel
	.section	.text._ZN7rocprim17ROCPRIM_400000_NS6detail17trampoline_kernelINS0_14default_configENS1_35radix_sort_onesweep_config_selectorImNS0_10empty_typeEEEZZNS1_29radix_sort_onesweep_iterationIS3_Lb1EPmS8_PS5_S9_mNS0_19identity_decomposerENS1_16block_id_wrapperIjLb1EEEEE10hipError_tT1_PNSt15iterator_traitsISE_E10value_typeET2_T3_PNSF_ISK_E10value_typeET4_T5_PSP_SQ_PNS1_23onesweep_lookback_stateEbbT6_jjT7_P12ihipStream_tbENKUlT_T0_SE_SJ_E_clIS8_S8_S9_S9_EEDaSX_SY_SE_SJ_EUlSX_E_NS1_11comp_targetILNS1_3genE4ELNS1_11target_archE910ELNS1_3gpuE8ELNS1_3repE0EEENS1_47radix_sort_onesweep_sort_config_static_selectorELNS0_4arch9wavefront6targetE1EEEvSE_,"axG",@progbits,_ZN7rocprim17ROCPRIM_400000_NS6detail17trampoline_kernelINS0_14default_configENS1_35radix_sort_onesweep_config_selectorImNS0_10empty_typeEEEZZNS1_29radix_sort_onesweep_iterationIS3_Lb1EPmS8_PS5_S9_mNS0_19identity_decomposerENS1_16block_id_wrapperIjLb1EEEEE10hipError_tT1_PNSt15iterator_traitsISE_E10value_typeET2_T3_PNSF_ISK_E10value_typeET4_T5_PSP_SQ_PNS1_23onesweep_lookback_stateEbbT6_jjT7_P12ihipStream_tbENKUlT_T0_SE_SJ_E_clIS8_S8_S9_S9_EEDaSX_SY_SE_SJ_EUlSX_E_NS1_11comp_targetILNS1_3genE4ELNS1_11target_archE910ELNS1_3gpuE8ELNS1_3repE0EEENS1_47radix_sort_onesweep_sort_config_static_selectorELNS0_4arch9wavefront6targetE1EEEvSE_,comdat
.Lfunc_end2295:
	.size	_ZN7rocprim17ROCPRIM_400000_NS6detail17trampoline_kernelINS0_14default_configENS1_35radix_sort_onesweep_config_selectorImNS0_10empty_typeEEEZZNS1_29radix_sort_onesweep_iterationIS3_Lb1EPmS8_PS5_S9_mNS0_19identity_decomposerENS1_16block_id_wrapperIjLb1EEEEE10hipError_tT1_PNSt15iterator_traitsISE_E10value_typeET2_T3_PNSF_ISK_E10value_typeET4_T5_PSP_SQ_PNS1_23onesweep_lookback_stateEbbT6_jjT7_P12ihipStream_tbENKUlT_T0_SE_SJ_E_clIS8_S8_S9_S9_EEDaSX_SY_SE_SJ_EUlSX_E_NS1_11comp_targetILNS1_3genE4ELNS1_11target_archE910ELNS1_3gpuE8ELNS1_3repE0EEENS1_47radix_sort_onesweep_sort_config_static_selectorELNS0_4arch9wavefront6targetE1EEEvSE_, .Lfunc_end2295-_ZN7rocprim17ROCPRIM_400000_NS6detail17trampoline_kernelINS0_14default_configENS1_35radix_sort_onesweep_config_selectorImNS0_10empty_typeEEEZZNS1_29radix_sort_onesweep_iterationIS3_Lb1EPmS8_PS5_S9_mNS0_19identity_decomposerENS1_16block_id_wrapperIjLb1EEEEE10hipError_tT1_PNSt15iterator_traitsISE_E10value_typeET2_T3_PNSF_ISK_E10value_typeET4_T5_PSP_SQ_PNS1_23onesweep_lookback_stateEbbT6_jjT7_P12ihipStream_tbENKUlT_T0_SE_SJ_E_clIS8_S8_S9_S9_EEDaSX_SY_SE_SJ_EUlSX_E_NS1_11comp_targetILNS1_3genE4ELNS1_11target_archE910ELNS1_3gpuE8ELNS1_3repE0EEENS1_47radix_sort_onesweep_sort_config_static_selectorELNS0_4arch9wavefront6targetE1EEEvSE_
                                        ; -- End function
	.section	.AMDGPU.csdata,"",@progbits
; Kernel info:
; codeLenInByte = 10448
; NumSgprs: 38
; NumVgprs: 55
; NumAgprs: 0
; TotalNumVgprs: 55
; ScratchSize: 0
; MemoryBound: 0
; FloatMode: 240
; IeeeMode: 1
; LDSByteSize: 20552 bytes/workgroup (compile time only)
; SGPRBlocks: 4
; VGPRBlocks: 6
; NumSGPRsForWavesPerEU: 38
; NumVGPRsForWavesPerEU: 55
; AccumOffset: 56
; Occupancy: 8
; WaveLimiterHint : 1
; COMPUTE_PGM_RSRC2:SCRATCH_EN: 0
; COMPUTE_PGM_RSRC2:USER_SGPR: 6
; COMPUTE_PGM_RSRC2:TRAP_HANDLER: 0
; COMPUTE_PGM_RSRC2:TGID_X_EN: 1
; COMPUTE_PGM_RSRC2:TGID_Y_EN: 0
; COMPUTE_PGM_RSRC2:TGID_Z_EN: 0
; COMPUTE_PGM_RSRC2:TIDIG_COMP_CNT: 2
; COMPUTE_PGM_RSRC3_GFX90A:ACCUM_OFFSET: 13
; COMPUTE_PGM_RSRC3_GFX90A:TG_SPLIT: 0
	.section	.text._ZN7rocprim17ROCPRIM_400000_NS6detail17trampoline_kernelINS0_14default_configENS1_35radix_sort_onesweep_config_selectorImNS0_10empty_typeEEEZZNS1_29radix_sort_onesweep_iterationIS3_Lb1EPmS8_PS5_S9_mNS0_19identity_decomposerENS1_16block_id_wrapperIjLb1EEEEE10hipError_tT1_PNSt15iterator_traitsISE_E10value_typeET2_T3_PNSF_ISK_E10value_typeET4_T5_PSP_SQ_PNS1_23onesweep_lookback_stateEbbT6_jjT7_P12ihipStream_tbENKUlT_T0_SE_SJ_E_clIS8_S8_S9_S9_EEDaSX_SY_SE_SJ_EUlSX_E_NS1_11comp_targetILNS1_3genE3ELNS1_11target_archE908ELNS1_3gpuE7ELNS1_3repE0EEENS1_47radix_sort_onesweep_sort_config_static_selectorELNS0_4arch9wavefront6targetE1EEEvSE_,"axG",@progbits,_ZN7rocprim17ROCPRIM_400000_NS6detail17trampoline_kernelINS0_14default_configENS1_35radix_sort_onesweep_config_selectorImNS0_10empty_typeEEEZZNS1_29radix_sort_onesweep_iterationIS3_Lb1EPmS8_PS5_S9_mNS0_19identity_decomposerENS1_16block_id_wrapperIjLb1EEEEE10hipError_tT1_PNSt15iterator_traitsISE_E10value_typeET2_T3_PNSF_ISK_E10value_typeET4_T5_PSP_SQ_PNS1_23onesweep_lookback_stateEbbT6_jjT7_P12ihipStream_tbENKUlT_T0_SE_SJ_E_clIS8_S8_S9_S9_EEDaSX_SY_SE_SJ_EUlSX_E_NS1_11comp_targetILNS1_3genE3ELNS1_11target_archE908ELNS1_3gpuE7ELNS1_3repE0EEENS1_47radix_sort_onesweep_sort_config_static_selectorELNS0_4arch9wavefront6targetE1EEEvSE_,comdat
	.protected	_ZN7rocprim17ROCPRIM_400000_NS6detail17trampoline_kernelINS0_14default_configENS1_35radix_sort_onesweep_config_selectorImNS0_10empty_typeEEEZZNS1_29radix_sort_onesweep_iterationIS3_Lb1EPmS8_PS5_S9_mNS0_19identity_decomposerENS1_16block_id_wrapperIjLb1EEEEE10hipError_tT1_PNSt15iterator_traitsISE_E10value_typeET2_T3_PNSF_ISK_E10value_typeET4_T5_PSP_SQ_PNS1_23onesweep_lookback_stateEbbT6_jjT7_P12ihipStream_tbENKUlT_T0_SE_SJ_E_clIS8_S8_S9_S9_EEDaSX_SY_SE_SJ_EUlSX_E_NS1_11comp_targetILNS1_3genE3ELNS1_11target_archE908ELNS1_3gpuE7ELNS1_3repE0EEENS1_47radix_sort_onesweep_sort_config_static_selectorELNS0_4arch9wavefront6targetE1EEEvSE_ ; -- Begin function _ZN7rocprim17ROCPRIM_400000_NS6detail17trampoline_kernelINS0_14default_configENS1_35radix_sort_onesweep_config_selectorImNS0_10empty_typeEEEZZNS1_29radix_sort_onesweep_iterationIS3_Lb1EPmS8_PS5_S9_mNS0_19identity_decomposerENS1_16block_id_wrapperIjLb1EEEEE10hipError_tT1_PNSt15iterator_traitsISE_E10value_typeET2_T3_PNSF_ISK_E10value_typeET4_T5_PSP_SQ_PNS1_23onesweep_lookback_stateEbbT6_jjT7_P12ihipStream_tbENKUlT_T0_SE_SJ_E_clIS8_S8_S9_S9_EEDaSX_SY_SE_SJ_EUlSX_E_NS1_11comp_targetILNS1_3genE3ELNS1_11target_archE908ELNS1_3gpuE7ELNS1_3repE0EEENS1_47radix_sort_onesweep_sort_config_static_selectorELNS0_4arch9wavefront6targetE1EEEvSE_
	.globl	_ZN7rocprim17ROCPRIM_400000_NS6detail17trampoline_kernelINS0_14default_configENS1_35radix_sort_onesweep_config_selectorImNS0_10empty_typeEEEZZNS1_29radix_sort_onesweep_iterationIS3_Lb1EPmS8_PS5_S9_mNS0_19identity_decomposerENS1_16block_id_wrapperIjLb1EEEEE10hipError_tT1_PNSt15iterator_traitsISE_E10value_typeET2_T3_PNSF_ISK_E10value_typeET4_T5_PSP_SQ_PNS1_23onesweep_lookback_stateEbbT6_jjT7_P12ihipStream_tbENKUlT_T0_SE_SJ_E_clIS8_S8_S9_S9_EEDaSX_SY_SE_SJ_EUlSX_E_NS1_11comp_targetILNS1_3genE3ELNS1_11target_archE908ELNS1_3gpuE7ELNS1_3repE0EEENS1_47radix_sort_onesweep_sort_config_static_selectorELNS0_4arch9wavefront6targetE1EEEvSE_
	.p2align	8
	.type	_ZN7rocprim17ROCPRIM_400000_NS6detail17trampoline_kernelINS0_14default_configENS1_35radix_sort_onesweep_config_selectorImNS0_10empty_typeEEEZZNS1_29radix_sort_onesweep_iterationIS3_Lb1EPmS8_PS5_S9_mNS0_19identity_decomposerENS1_16block_id_wrapperIjLb1EEEEE10hipError_tT1_PNSt15iterator_traitsISE_E10value_typeET2_T3_PNSF_ISK_E10value_typeET4_T5_PSP_SQ_PNS1_23onesweep_lookback_stateEbbT6_jjT7_P12ihipStream_tbENKUlT_T0_SE_SJ_E_clIS8_S8_S9_S9_EEDaSX_SY_SE_SJ_EUlSX_E_NS1_11comp_targetILNS1_3genE3ELNS1_11target_archE908ELNS1_3gpuE7ELNS1_3repE0EEENS1_47radix_sort_onesweep_sort_config_static_selectorELNS0_4arch9wavefront6targetE1EEEvSE_,@function
_ZN7rocprim17ROCPRIM_400000_NS6detail17trampoline_kernelINS0_14default_configENS1_35radix_sort_onesweep_config_selectorImNS0_10empty_typeEEEZZNS1_29radix_sort_onesweep_iterationIS3_Lb1EPmS8_PS5_S9_mNS0_19identity_decomposerENS1_16block_id_wrapperIjLb1EEEEE10hipError_tT1_PNSt15iterator_traitsISE_E10value_typeET2_T3_PNSF_ISK_E10value_typeET4_T5_PSP_SQ_PNS1_23onesweep_lookback_stateEbbT6_jjT7_P12ihipStream_tbENKUlT_T0_SE_SJ_E_clIS8_S8_S9_S9_EEDaSX_SY_SE_SJ_EUlSX_E_NS1_11comp_targetILNS1_3genE3ELNS1_11target_archE908ELNS1_3gpuE7ELNS1_3repE0EEENS1_47radix_sort_onesweep_sort_config_static_selectorELNS0_4arch9wavefront6targetE1EEEvSE_: ; @_ZN7rocprim17ROCPRIM_400000_NS6detail17trampoline_kernelINS0_14default_configENS1_35radix_sort_onesweep_config_selectorImNS0_10empty_typeEEEZZNS1_29radix_sort_onesweep_iterationIS3_Lb1EPmS8_PS5_S9_mNS0_19identity_decomposerENS1_16block_id_wrapperIjLb1EEEEE10hipError_tT1_PNSt15iterator_traitsISE_E10value_typeET2_T3_PNSF_ISK_E10value_typeET4_T5_PSP_SQ_PNS1_23onesweep_lookback_stateEbbT6_jjT7_P12ihipStream_tbENKUlT_T0_SE_SJ_E_clIS8_S8_S9_S9_EEDaSX_SY_SE_SJ_EUlSX_E_NS1_11comp_targetILNS1_3genE3ELNS1_11target_archE908ELNS1_3gpuE7ELNS1_3repE0EEENS1_47radix_sort_onesweep_sort_config_static_selectorELNS0_4arch9wavefront6targetE1EEEvSE_
; %bb.0:
	.section	.rodata,"a",@progbits
	.p2align	6, 0x0
	.amdhsa_kernel _ZN7rocprim17ROCPRIM_400000_NS6detail17trampoline_kernelINS0_14default_configENS1_35radix_sort_onesweep_config_selectorImNS0_10empty_typeEEEZZNS1_29radix_sort_onesweep_iterationIS3_Lb1EPmS8_PS5_S9_mNS0_19identity_decomposerENS1_16block_id_wrapperIjLb1EEEEE10hipError_tT1_PNSt15iterator_traitsISE_E10value_typeET2_T3_PNSF_ISK_E10value_typeET4_T5_PSP_SQ_PNS1_23onesweep_lookback_stateEbbT6_jjT7_P12ihipStream_tbENKUlT_T0_SE_SJ_E_clIS8_S8_S9_S9_EEDaSX_SY_SE_SJ_EUlSX_E_NS1_11comp_targetILNS1_3genE3ELNS1_11target_archE908ELNS1_3gpuE7ELNS1_3repE0EEENS1_47radix_sort_onesweep_sort_config_static_selectorELNS0_4arch9wavefront6targetE1EEEvSE_
		.amdhsa_group_segment_fixed_size 0
		.amdhsa_private_segment_fixed_size 0
		.amdhsa_kernarg_size 88
		.amdhsa_user_sgpr_count 6
		.amdhsa_user_sgpr_private_segment_buffer 1
		.amdhsa_user_sgpr_dispatch_ptr 0
		.amdhsa_user_sgpr_queue_ptr 0
		.amdhsa_user_sgpr_kernarg_segment_ptr 1
		.amdhsa_user_sgpr_dispatch_id 0
		.amdhsa_user_sgpr_flat_scratch_init 0
		.amdhsa_user_sgpr_kernarg_preload_length 0
		.amdhsa_user_sgpr_kernarg_preload_offset 0
		.amdhsa_user_sgpr_private_segment_size 0
		.amdhsa_uses_dynamic_stack 0
		.amdhsa_system_sgpr_private_segment_wavefront_offset 0
		.amdhsa_system_sgpr_workgroup_id_x 1
		.amdhsa_system_sgpr_workgroup_id_y 0
		.amdhsa_system_sgpr_workgroup_id_z 0
		.amdhsa_system_sgpr_workgroup_info 0
		.amdhsa_system_vgpr_workitem_id 0
		.amdhsa_next_free_vgpr 1
		.amdhsa_next_free_sgpr 0
		.amdhsa_accum_offset 4
		.amdhsa_reserve_vcc 0
		.amdhsa_reserve_flat_scratch 0
		.amdhsa_float_round_mode_32 0
		.amdhsa_float_round_mode_16_64 0
		.amdhsa_float_denorm_mode_32 3
		.amdhsa_float_denorm_mode_16_64 3
		.amdhsa_dx10_clamp 1
		.amdhsa_ieee_mode 1
		.amdhsa_fp16_overflow 0
		.amdhsa_tg_split 0
		.amdhsa_exception_fp_ieee_invalid_op 0
		.amdhsa_exception_fp_denorm_src 0
		.amdhsa_exception_fp_ieee_div_zero 0
		.amdhsa_exception_fp_ieee_overflow 0
		.amdhsa_exception_fp_ieee_underflow 0
		.amdhsa_exception_fp_ieee_inexact 0
		.amdhsa_exception_int_div_zero 0
	.end_amdhsa_kernel
	.section	.text._ZN7rocprim17ROCPRIM_400000_NS6detail17trampoline_kernelINS0_14default_configENS1_35radix_sort_onesweep_config_selectorImNS0_10empty_typeEEEZZNS1_29radix_sort_onesweep_iterationIS3_Lb1EPmS8_PS5_S9_mNS0_19identity_decomposerENS1_16block_id_wrapperIjLb1EEEEE10hipError_tT1_PNSt15iterator_traitsISE_E10value_typeET2_T3_PNSF_ISK_E10value_typeET4_T5_PSP_SQ_PNS1_23onesweep_lookback_stateEbbT6_jjT7_P12ihipStream_tbENKUlT_T0_SE_SJ_E_clIS8_S8_S9_S9_EEDaSX_SY_SE_SJ_EUlSX_E_NS1_11comp_targetILNS1_3genE3ELNS1_11target_archE908ELNS1_3gpuE7ELNS1_3repE0EEENS1_47radix_sort_onesweep_sort_config_static_selectorELNS0_4arch9wavefront6targetE1EEEvSE_,"axG",@progbits,_ZN7rocprim17ROCPRIM_400000_NS6detail17trampoline_kernelINS0_14default_configENS1_35radix_sort_onesweep_config_selectorImNS0_10empty_typeEEEZZNS1_29radix_sort_onesweep_iterationIS3_Lb1EPmS8_PS5_S9_mNS0_19identity_decomposerENS1_16block_id_wrapperIjLb1EEEEE10hipError_tT1_PNSt15iterator_traitsISE_E10value_typeET2_T3_PNSF_ISK_E10value_typeET4_T5_PSP_SQ_PNS1_23onesweep_lookback_stateEbbT6_jjT7_P12ihipStream_tbENKUlT_T0_SE_SJ_E_clIS8_S8_S9_S9_EEDaSX_SY_SE_SJ_EUlSX_E_NS1_11comp_targetILNS1_3genE3ELNS1_11target_archE908ELNS1_3gpuE7ELNS1_3repE0EEENS1_47radix_sort_onesweep_sort_config_static_selectorELNS0_4arch9wavefront6targetE1EEEvSE_,comdat
.Lfunc_end2296:
	.size	_ZN7rocprim17ROCPRIM_400000_NS6detail17trampoline_kernelINS0_14default_configENS1_35radix_sort_onesweep_config_selectorImNS0_10empty_typeEEEZZNS1_29radix_sort_onesweep_iterationIS3_Lb1EPmS8_PS5_S9_mNS0_19identity_decomposerENS1_16block_id_wrapperIjLb1EEEEE10hipError_tT1_PNSt15iterator_traitsISE_E10value_typeET2_T3_PNSF_ISK_E10value_typeET4_T5_PSP_SQ_PNS1_23onesweep_lookback_stateEbbT6_jjT7_P12ihipStream_tbENKUlT_T0_SE_SJ_E_clIS8_S8_S9_S9_EEDaSX_SY_SE_SJ_EUlSX_E_NS1_11comp_targetILNS1_3genE3ELNS1_11target_archE908ELNS1_3gpuE7ELNS1_3repE0EEENS1_47radix_sort_onesweep_sort_config_static_selectorELNS0_4arch9wavefront6targetE1EEEvSE_, .Lfunc_end2296-_ZN7rocprim17ROCPRIM_400000_NS6detail17trampoline_kernelINS0_14default_configENS1_35radix_sort_onesweep_config_selectorImNS0_10empty_typeEEEZZNS1_29radix_sort_onesweep_iterationIS3_Lb1EPmS8_PS5_S9_mNS0_19identity_decomposerENS1_16block_id_wrapperIjLb1EEEEE10hipError_tT1_PNSt15iterator_traitsISE_E10value_typeET2_T3_PNSF_ISK_E10value_typeET4_T5_PSP_SQ_PNS1_23onesweep_lookback_stateEbbT6_jjT7_P12ihipStream_tbENKUlT_T0_SE_SJ_E_clIS8_S8_S9_S9_EEDaSX_SY_SE_SJ_EUlSX_E_NS1_11comp_targetILNS1_3genE3ELNS1_11target_archE908ELNS1_3gpuE7ELNS1_3repE0EEENS1_47radix_sort_onesweep_sort_config_static_selectorELNS0_4arch9wavefront6targetE1EEEvSE_
                                        ; -- End function
	.section	.AMDGPU.csdata,"",@progbits
; Kernel info:
; codeLenInByte = 0
; NumSgprs: 4
; NumVgprs: 0
; NumAgprs: 0
; TotalNumVgprs: 0
; ScratchSize: 0
; MemoryBound: 0
; FloatMode: 240
; IeeeMode: 1
; LDSByteSize: 0 bytes/workgroup (compile time only)
; SGPRBlocks: 0
; VGPRBlocks: 0
; NumSGPRsForWavesPerEU: 4
; NumVGPRsForWavesPerEU: 1
; AccumOffset: 4
; Occupancy: 8
; WaveLimiterHint : 0
; COMPUTE_PGM_RSRC2:SCRATCH_EN: 0
; COMPUTE_PGM_RSRC2:USER_SGPR: 6
; COMPUTE_PGM_RSRC2:TRAP_HANDLER: 0
; COMPUTE_PGM_RSRC2:TGID_X_EN: 1
; COMPUTE_PGM_RSRC2:TGID_Y_EN: 0
; COMPUTE_PGM_RSRC2:TGID_Z_EN: 0
; COMPUTE_PGM_RSRC2:TIDIG_COMP_CNT: 0
; COMPUTE_PGM_RSRC3_GFX90A:ACCUM_OFFSET: 0
; COMPUTE_PGM_RSRC3_GFX90A:TG_SPLIT: 0
	.section	.text._ZN7rocprim17ROCPRIM_400000_NS6detail17trampoline_kernelINS0_14default_configENS1_35radix_sort_onesweep_config_selectorImNS0_10empty_typeEEEZZNS1_29radix_sort_onesweep_iterationIS3_Lb1EPmS8_PS5_S9_mNS0_19identity_decomposerENS1_16block_id_wrapperIjLb1EEEEE10hipError_tT1_PNSt15iterator_traitsISE_E10value_typeET2_T3_PNSF_ISK_E10value_typeET4_T5_PSP_SQ_PNS1_23onesweep_lookback_stateEbbT6_jjT7_P12ihipStream_tbENKUlT_T0_SE_SJ_E_clIS8_S8_S9_S9_EEDaSX_SY_SE_SJ_EUlSX_E_NS1_11comp_targetILNS1_3genE10ELNS1_11target_archE1201ELNS1_3gpuE5ELNS1_3repE0EEENS1_47radix_sort_onesweep_sort_config_static_selectorELNS0_4arch9wavefront6targetE1EEEvSE_,"axG",@progbits,_ZN7rocprim17ROCPRIM_400000_NS6detail17trampoline_kernelINS0_14default_configENS1_35radix_sort_onesweep_config_selectorImNS0_10empty_typeEEEZZNS1_29radix_sort_onesweep_iterationIS3_Lb1EPmS8_PS5_S9_mNS0_19identity_decomposerENS1_16block_id_wrapperIjLb1EEEEE10hipError_tT1_PNSt15iterator_traitsISE_E10value_typeET2_T3_PNSF_ISK_E10value_typeET4_T5_PSP_SQ_PNS1_23onesweep_lookback_stateEbbT6_jjT7_P12ihipStream_tbENKUlT_T0_SE_SJ_E_clIS8_S8_S9_S9_EEDaSX_SY_SE_SJ_EUlSX_E_NS1_11comp_targetILNS1_3genE10ELNS1_11target_archE1201ELNS1_3gpuE5ELNS1_3repE0EEENS1_47radix_sort_onesweep_sort_config_static_selectorELNS0_4arch9wavefront6targetE1EEEvSE_,comdat
	.protected	_ZN7rocprim17ROCPRIM_400000_NS6detail17trampoline_kernelINS0_14default_configENS1_35radix_sort_onesweep_config_selectorImNS0_10empty_typeEEEZZNS1_29radix_sort_onesweep_iterationIS3_Lb1EPmS8_PS5_S9_mNS0_19identity_decomposerENS1_16block_id_wrapperIjLb1EEEEE10hipError_tT1_PNSt15iterator_traitsISE_E10value_typeET2_T3_PNSF_ISK_E10value_typeET4_T5_PSP_SQ_PNS1_23onesweep_lookback_stateEbbT6_jjT7_P12ihipStream_tbENKUlT_T0_SE_SJ_E_clIS8_S8_S9_S9_EEDaSX_SY_SE_SJ_EUlSX_E_NS1_11comp_targetILNS1_3genE10ELNS1_11target_archE1201ELNS1_3gpuE5ELNS1_3repE0EEENS1_47radix_sort_onesweep_sort_config_static_selectorELNS0_4arch9wavefront6targetE1EEEvSE_ ; -- Begin function _ZN7rocprim17ROCPRIM_400000_NS6detail17trampoline_kernelINS0_14default_configENS1_35radix_sort_onesweep_config_selectorImNS0_10empty_typeEEEZZNS1_29radix_sort_onesweep_iterationIS3_Lb1EPmS8_PS5_S9_mNS0_19identity_decomposerENS1_16block_id_wrapperIjLb1EEEEE10hipError_tT1_PNSt15iterator_traitsISE_E10value_typeET2_T3_PNSF_ISK_E10value_typeET4_T5_PSP_SQ_PNS1_23onesweep_lookback_stateEbbT6_jjT7_P12ihipStream_tbENKUlT_T0_SE_SJ_E_clIS8_S8_S9_S9_EEDaSX_SY_SE_SJ_EUlSX_E_NS1_11comp_targetILNS1_3genE10ELNS1_11target_archE1201ELNS1_3gpuE5ELNS1_3repE0EEENS1_47radix_sort_onesweep_sort_config_static_selectorELNS0_4arch9wavefront6targetE1EEEvSE_
	.globl	_ZN7rocprim17ROCPRIM_400000_NS6detail17trampoline_kernelINS0_14default_configENS1_35radix_sort_onesweep_config_selectorImNS0_10empty_typeEEEZZNS1_29radix_sort_onesweep_iterationIS3_Lb1EPmS8_PS5_S9_mNS0_19identity_decomposerENS1_16block_id_wrapperIjLb1EEEEE10hipError_tT1_PNSt15iterator_traitsISE_E10value_typeET2_T3_PNSF_ISK_E10value_typeET4_T5_PSP_SQ_PNS1_23onesweep_lookback_stateEbbT6_jjT7_P12ihipStream_tbENKUlT_T0_SE_SJ_E_clIS8_S8_S9_S9_EEDaSX_SY_SE_SJ_EUlSX_E_NS1_11comp_targetILNS1_3genE10ELNS1_11target_archE1201ELNS1_3gpuE5ELNS1_3repE0EEENS1_47radix_sort_onesweep_sort_config_static_selectorELNS0_4arch9wavefront6targetE1EEEvSE_
	.p2align	8
	.type	_ZN7rocprim17ROCPRIM_400000_NS6detail17trampoline_kernelINS0_14default_configENS1_35radix_sort_onesweep_config_selectorImNS0_10empty_typeEEEZZNS1_29radix_sort_onesweep_iterationIS3_Lb1EPmS8_PS5_S9_mNS0_19identity_decomposerENS1_16block_id_wrapperIjLb1EEEEE10hipError_tT1_PNSt15iterator_traitsISE_E10value_typeET2_T3_PNSF_ISK_E10value_typeET4_T5_PSP_SQ_PNS1_23onesweep_lookback_stateEbbT6_jjT7_P12ihipStream_tbENKUlT_T0_SE_SJ_E_clIS8_S8_S9_S9_EEDaSX_SY_SE_SJ_EUlSX_E_NS1_11comp_targetILNS1_3genE10ELNS1_11target_archE1201ELNS1_3gpuE5ELNS1_3repE0EEENS1_47radix_sort_onesweep_sort_config_static_selectorELNS0_4arch9wavefront6targetE1EEEvSE_,@function
_ZN7rocprim17ROCPRIM_400000_NS6detail17trampoline_kernelINS0_14default_configENS1_35radix_sort_onesweep_config_selectorImNS0_10empty_typeEEEZZNS1_29radix_sort_onesweep_iterationIS3_Lb1EPmS8_PS5_S9_mNS0_19identity_decomposerENS1_16block_id_wrapperIjLb1EEEEE10hipError_tT1_PNSt15iterator_traitsISE_E10value_typeET2_T3_PNSF_ISK_E10value_typeET4_T5_PSP_SQ_PNS1_23onesweep_lookback_stateEbbT6_jjT7_P12ihipStream_tbENKUlT_T0_SE_SJ_E_clIS8_S8_S9_S9_EEDaSX_SY_SE_SJ_EUlSX_E_NS1_11comp_targetILNS1_3genE10ELNS1_11target_archE1201ELNS1_3gpuE5ELNS1_3repE0EEENS1_47radix_sort_onesweep_sort_config_static_selectorELNS0_4arch9wavefront6targetE1EEEvSE_: ; @_ZN7rocprim17ROCPRIM_400000_NS6detail17trampoline_kernelINS0_14default_configENS1_35radix_sort_onesweep_config_selectorImNS0_10empty_typeEEEZZNS1_29radix_sort_onesweep_iterationIS3_Lb1EPmS8_PS5_S9_mNS0_19identity_decomposerENS1_16block_id_wrapperIjLb1EEEEE10hipError_tT1_PNSt15iterator_traitsISE_E10value_typeET2_T3_PNSF_ISK_E10value_typeET4_T5_PSP_SQ_PNS1_23onesweep_lookback_stateEbbT6_jjT7_P12ihipStream_tbENKUlT_T0_SE_SJ_E_clIS8_S8_S9_S9_EEDaSX_SY_SE_SJ_EUlSX_E_NS1_11comp_targetILNS1_3genE10ELNS1_11target_archE1201ELNS1_3gpuE5ELNS1_3repE0EEENS1_47radix_sort_onesweep_sort_config_static_selectorELNS0_4arch9wavefront6targetE1EEEvSE_
; %bb.0:
	.section	.rodata,"a",@progbits
	.p2align	6, 0x0
	.amdhsa_kernel _ZN7rocprim17ROCPRIM_400000_NS6detail17trampoline_kernelINS0_14default_configENS1_35radix_sort_onesweep_config_selectorImNS0_10empty_typeEEEZZNS1_29radix_sort_onesweep_iterationIS3_Lb1EPmS8_PS5_S9_mNS0_19identity_decomposerENS1_16block_id_wrapperIjLb1EEEEE10hipError_tT1_PNSt15iterator_traitsISE_E10value_typeET2_T3_PNSF_ISK_E10value_typeET4_T5_PSP_SQ_PNS1_23onesweep_lookback_stateEbbT6_jjT7_P12ihipStream_tbENKUlT_T0_SE_SJ_E_clIS8_S8_S9_S9_EEDaSX_SY_SE_SJ_EUlSX_E_NS1_11comp_targetILNS1_3genE10ELNS1_11target_archE1201ELNS1_3gpuE5ELNS1_3repE0EEENS1_47radix_sort_onesweep_sort_config_static_selectorELNS0_4arch9wavefront6targetE1EEEvSE_
		.amdhsa_group_segment_fixed_size 0
		.amdhsa_private_segment_fixed_size 0
		.amdhsa_kernarg_size 88
		.amdhsa_user_sgpr_count 6
		.amdhsa_user_sgpr_private_segment_buffer 1
		.amdhsa_user_sgpr_dispatch_ptr 0
		.amdhsa_user_sgpr_queue_ptr 0
		.amdhsa_user_sgpr_kernarg_segment_ptr 1
		.amdhsa_user_sgpr_dispatch_id 0
		.amdhsa_user_sgpr_flat_scratch_init 0
		.amdhsa_user_sgpr_kernarg_preload_length 0
		.amdhsa_user_sgpr_kernarg_preload_offset 0
		.amdhsa_user_sgpr_private_segment_size 0
		.amdhsa_uses_dynamic_stack 0
		.amdhsa_system_sgpr_private_segment_wavefront_offset 0
		.amdhsa_system_sgpr_workgroup_id_x 1
		.amdhsa_system_sgpr_workgroup_id_y 0
		.amdhsa_system_sgpr_workgroup_id_z 0
		.amdhsa_system_sgpr_workgroup_info 0
		.amdhsa_system_vgpr_workitem_id 0
		.amdhsa_next_free_vgpr 1
		.amdhsa_next_free_sgpr 0
		.amdhsa_accum_offset 4
		.amdhsa_reserve_vcc 0
		.amdhsa_reserve_flat_scratch 0
		.amdhsa_float_round_mode_32 0
		.amdhsa_float_round_mode_16_64 0
		.amdhsa_float_denorm_mode_32 3
		.amdhsa_float_denorm_mode_16_64 3
		.amdhsa_dx10_clamp 1
		.amdhsa_ieee_mode 1
		.amdhsa_fp16_overflow 0
		.amdhsa_tg_split 0
		.amdhsa_exception_fp_ieee_invalid_op 0
		.amdhsa_exception_fp_denorm_src 0
		.amdhsa_exception_fp_ieee_div_zero 0
		.amdhsa_exception_fp_ieee_overflow 0
		.amdhsa_exception_fp_ieee_underflow 0
		.amdhsa_exception_fp_ieee_inexact 0
		.amdhsa_exception_int_div_zero 0
	.end_amdhsa_kernel
	.section	.text._ZN7rocprim17ROCPRIM_400000_NS6detail17trampoline_kernelINS0_14default_configENS1_35radix_sort_onesweep_config_selectorImNS0_10empty_typeEEEZZNS1_29radix_sort_onesweep_iterationIS3_Lb1EPmS8_PS5_S9_mNS0_19identity_decomposerENS1_16block_id_wrapperIjLb1EEEEE10hipError_tT1_PNSt15iterator_traitsISE_E10value_typeET2_T3_PNSF_ISK_E10value_typeET4_T5_PSP_SQ_PNS1_23onesweep_lookback_stateEbbT6_jjT7_P12ihipStream_tbENKUlT_T0_SE_SJ_E_clIS8_S8_S9_S9_EEDaSX_SY_SE_SJ_EUlSX_E_NS1_11comp_targetILNS1_3genE10ELNS1_11target_archE1201ELNS1_3gpuE5ELNS1_3repE0EEENS1_47radix_sort_onesweep_sort_config_static_selectorELNS0_4arch9wavefront6targetE1EEEvSE_,"axG",@progbits,_ZN7rocprim17ROCPRIM_400000_NS6detail17trampoline_kernelINS0_14default_configENS1_35radix_sort_onesweep_config_selectorImNS0_10empty_typeEEEZZNS1_29radix_sort_onesweep_iterationIS3_Lb1EPmS8_PS5_S9_mNS0_19identity_decomposerENS1_16block_id_wrapperIjLb1EEEEE10hipError_tT1_PNSt15iterator_traitsISE_E10value_typeET2_T3_PNSF_ISK_E10value_typeET4_T5_PSP_SQ_PNS1_23onesweep_lookback_stateEbbT6_jjT7_P12ihipStream_tbENKUlT_T0_SE_SJ_E_clIS8_S8_S9_S9_EEDaSX_SY_SE_SJ_EUlSX_E_NS1_11comp_targetILNS1_3genE10ELNS1_11target_archE1201ELNS1_3gpuE5ELNS1_3repE0EEENS1_47radix_sort_onesweep_sort_config_static_selectorELNS0_4arch9wavefront6targetE1EEEvSE_,comdat
.Lfunc_end2297:
	.size	_ZN7rocprim17ROCPRIM_400000_NS6detail17trampoline_kernelINS0_14default_configENS1_35radix_sort_onesweep_config_selectorImNS0_10empty_typeEEEZZNS1_29radix_sort_onesweep_iterationIS3_Lb1EPmS8_PS5_S9_mNS0_19identity_decomposerENS1_16block_id_wrapperIjLb1EEEEE10hipError_tT1_PNSt15iterator_traitsISE_E10value_typeET2_T3_PNSF_ISK_E10value_typeET4_T5_PSP_SQ_PNS1_23onesweep_lookback_stateEbbT6_jjT7_P12ihipStream_tbENKUlT_T0_SE_SJ_E_clIS8_S8_S9_S9_EEDaSX_SY_SE_SJ_EUlSX_E_NS1_11comp_targetILNS1_3genE10ELNS1_11target_archE1201ELNS1_3gpuE5ELNS1_3repE0EEENS1_47radix_sort_onesweep_sort_config_static_selectorELNS0_4arch9wavefront6targetE1EEEvSE_, .Lfunc_end2297-_ZN7rocprim17ROCPRIM_400000_NS6detail17trampoline_kernelINS0_14default_configENS1_35radix_sort_onesweep_config_selectorImNS0_10empty_typeEEEZZNS1_29radix_sort_onesweep_iterationIS3_Lb1EPmS8_PS5_S9_mNS0_19identity_decomposerENS1_16block_id_wrapperIjLb1EEEEE10hipError_tT1_PNSt15iterator_traitsISE_E10value_typeET2_T3_PNSF_ISK_E10value_typeET4_T5_PSP_SQ_PNS1_23onesweep_lookback_stateEbbT6_jjT7_P12ihipStream_tbENKUlT_T0_SE_SJ_E_clIS8_S8_S9_S9_EEDaSX_SY_SE_SJ_EUlSX_E_NS1_11comp_targetILNS1_3genE10ELNS1_11target_archE1201ELNS1_3gpuE5ELNS1_3repE0EEENS1_47radix_sort_onesweep_sort_config_static_selectorELNS0_4arch9wavefront6targetE1EEEvSE_
                                        ; -- End function
	.section	.AMDGPU.csdata,"",@progbits
; Kernel info:
; codeLenInByte = 0
; NumSgprs: 4
; NumVgprs: 0
; NumAgprs: 0
; TotalNumVgprs: 0
; ScratchSize: 0
; MemoryBound: 0
; FloatMode: 240
; IeeeMode: 1
; LDSByteSize: 0 bytes/workgroup (compile time only)
; SGPRBlocks: 0
; VGPRBlocks: 0
; NumSGPRsForWavesPerEU: 4
; NumVGPRsForWavesPerEU: 1
; AccumOffset: 4
; Occupancy: 8
; WaveLimiterHint : 0
; COMPUTE_PGM_RSRC2:SCRATCH_EN: 0
; COMPUTE_PGM_RSRC2:USER_SGPR: 6
; COMPUTE_PGM_RSRC2:TRAP_HANDLER: 0
; COMPUTE_PGM_RSRC2:TGID_X_EN: 1
; COMPUTE_PGM_RSRC2:TGID_Y_EN: 0
; COMPUTE_PGM_RSRC2:TGID_Z_EN: 0
; COMPUTE_PGM_RSRC2:TIDIG_COMP_CNT: 0
; COMPUTE_PGM_RSRC3_GFX90A:ACCUM_OFFSET: 0
; COMPUTE_PGM_RSRC3_GFX90A:TG_SPLIT: 0
	.section	.text._ZN7rocprim17ROCPRIM_400000_NS6detail17trampoline_kernelINS0_14default_configENS1_35radix_sort_onesweep_config_selectorImNS0_10empty_typeEEEZZNS1_29radix_sort_onesweep_iterationIS3_Lb1EPmS8_PS5_S9_mNS0_19identity_decomposerENS1_16block_id_wrapperIjLb1EEEEE10hipError_tT1_PNSt15iterator_traitsISE_E10value_typeET2_T3_PNSF_ISK_E10value_typeET4_T5_PSP_SQ_PNS1_23onesweep_lookback_stateEbbT6_jjT7_P12ihipStream_tbENKUlT_T0_SE_SJ_E_clIS8_S8_S9_S9_EEDaSX_SY_SE_SJ_EUlSX_E_NS1_11comp_targetILNS1_3genE9ELNS1_11target_archE1100ELNS1_3gpuE3ELNS1_3repE0EEENS1_47radix_sort_onesweep_sort_config_static_selectorELNS0_4arch9wavefront6targetE1EEEvSE_,"axG",@progbits,_ZN7rocprim17ROCPRIM_400000_NS6detail17trampoline_kernelINS0_14default_configENS1_35radix_sort_onesweep_config_selectorImNS0_10empty_typeEEEZZNS1_29radix_sort_onesweep_iterationIS3_Lb1EPmS8_PS5_S9_mNS0_19identity_decomposerENS1_16block_id_wrapperIjLb1EEEEE10hipError_tT1_PNSt15iterator_traitsISE_E10value_typeET2_T3_PNSF_ISK_E10value_typeET4_T5_PSP_SQ_PNS1_23onesweep_lookback_stateEbbT6_jjT7_P12ihipStream_tbENKUlT_T0_SE_SJ_E_clIS8_S8_S9_S9_EEDaSX_SY_SE_SJ_EUlSX_E_NS1_11comp_targetILNS1_3genE9ELNS1_11target_archE1100ELNS1_3gpuE3ELNS1_3repE0EEENS1_47radix_sort_onesweep_sort_config_static_selectorELNS0_4arch9wavefront6targetE1EEEvSE_,comdat
	.protected	_ZN7rocprim17ROCPRIM_400000_NS6detail17trampoline_kernelINS0_14default_configENS1_35radix_sort_onesweep_config_selectorImNS0_10empty_typeEEEZZNS1_29radix_sort_onesweep_iterationIS3_Lb1EPmS8_PS5_S9_mNS0_19identity_decomposerENS1_16block_id_wrapperIjLb1EEEEE10hipError_tT1_PNSt15iterator_traitsISE_E10value_typeET2_T3_PNSF_ISK_E10value_typeET4_T5_PSP_SQ_PNS1_23onesweep_lookback_stateEbbT6_jjT7_P12ihipStream_tbENKUlT_T0_SE_SJ_E_clIS8_S8_S9_S9_EEDaSX_SY_SE_SJ_EUlSX_E_NS1_11comp_targetILNS1_3genE9ELNS1_11target_archE1100ELNS1_3gpuE3ELNS1_3repE0EEENS1_47radix_sort_onesweep_sort_config_static_selectorELNS0_4arch9wavefront6targetE1EEEvSE_ ; -- Begin function _ZN7rocprim17ROCPRIM_400000_NS6detail17trampoline_kernelINS0_14default_configENS1_35radix_sort_onesweep_config_selectorImNS0_10empty_typeEEEZZNS1_29radix_sort_onesweep_iterationIS3_Lb1EPmS8_PS5_S9_mNS0_19identity_decomposerENS1_16block_id_wrapperIjLb1EEEEE10hipError_tT1_PNSt15iterator_traitsISE_E10value_typeET2_T3_PNSF_ISK_E10value_typeET4_T5_PSP_SQ_PNS1_23onesweep_lookback_stateEbbT6_jjT7_P12ihipStream_tbENKUlT_T0_SE_SJ_E_clIS8_S8_S9_S9_EEDaSX_SY_SE_SJ_EUlSX_E_NS1_11comp_targetILNS1_3genE9ELNS1_11target_archE1100ELNS1_3gpuE3ELNS1_3repE0EEENS1_47radix_sort_onesweep_sort_config_static_selectorELNS0_4arch9wavefront6targetE1EEEvSE_
	.globl	_ZN7rocprim17ROCPRIM_400000_NS6detail17trampoline_kernelINS0_14default_configENS1_35radix_sort_onesweep_config_selectorImNS0_10empty_typeEEEZZNS1_29radix_sort_onesweep_iterationIS3_Lb1EPmS8_PS5_S9_mNS0_19identity_decomposerENS1_16block_id_wrapperIjLb1EEEEE10hipError_tT1_PNSt15iterator_traitsISE_E10value_typeET2_T3_PNSF_ISK_E10value_typeET4_T5_PSP_SQ_PNS1_23onesweep_lookback_stateEbbT6_jjT7_P12ihipStream_tbENKUlT_T0_SE_SJ_E_clIS8_S8_S9_S9_EEDaSX_SY_SE_SJ_EUlSX_E_NS1_11comp_targetILNS1_3genE9ELNS1_11target_archE1100ELNS1_3gpuE3ELNS1_3repE0EEENS1_47radix_sort_onesweep_sort_config_static_selectorELNS0_4arch9wavefront6targetE1EEEvSE_
	.p2align	8
	.type	_ZN7rocprim17ROCPRIM_400000_NS6detail17trampoline_kernelINS0_14default_configENS1_35radix_sort_onesweep_config_selectorImNS0_10empty_typeEEEZZNS1_29radix_sort_onesweep_iterationIS3_Lb1EPmS8_PS5_S9_mNS0_19identity_decomposerENS1_16block_id_wrapperIjLb1EEEEE10hipError_tT1_PNSt15iterator_traitsISE_E10value_typeET2_T3_PNSF_ISK_E10value_typeET4_T5_PSP_SQ_PNS1_23onesweep_lookback_stateEbbT6_jjT7_P12ihipStream_tbENKUlT_T0_SE_SJ_E_clIS8_S8_S9_S9_EEDaSX_SY_SE_SJ_EUlSX_E_NS1_11comp_targetILNS1_3genE9ELNS1_11target_archE1100ELNS1_3gpuE3ELNS1_3repE0EEENS1_47radix_sort_onesweep_sort_config_static_selectorELNS0_4arch9wavefront6targetE1EEEvSE_,@function
_ZN7rocprim17ROCPRIM_400000_NS6detail17trampoline_kernelINS0_14default_configENS1_35radix_sort_onesweep_config_selectorImNS0_10empty_typeEEEZZNS1_29radix_sort_onesweep_iterationIS3_Lb1EPmS8_PS5_S9_mNS0_19identity_decomposerENS1_16block_id_wrapperIjLb1EEEEE10hipError_tT1_PNSt15iterator_traitsISE_E10value_typeET2_T3_PNSF_ISK_E10value_typeET4_T5_PSP_SQ_PNS1_23onesweep_lookback_stateEbbT6_jjT7_P12ihipStream_tbENKUlT_T0_SE_SJ_E_clIS8_S8_S9_S9_EEDaSX_SY_SE_SJ_EUlSX_E_NS1_11comp_targetILNS1_3genE9ELNS1_11target_archE1100ELNS1_3gpuE3ELNS1_3repE0EEENS1_47radix_sort_onesweep_sort_config_static_selectorELNS0_4arch9wavefront6targetE1EEEvSE_: ; @_ZN7rocprim17ROCPRIM_400000_NS6detail17trampoline_kernelINS0_14default_configENS1_35radix_sort_onesweep_config_selectorImNS0_10empty_typeEEEZZNS1_29radix_sort_onesweep_iterationIS3_Lb1EPmS8_PS5_S9_mNS0_19identity_decomposerENS1_16block_id_wrapperIjLb1EEEEE10hipError_tT1_PNSt15iterator_traitsISE_E10value_typeET2_T3_PNSF_ISK_E10value_typeET4_T5_PSP_SQ_PNS1_23onesweep_lookback_stateEbbT6_jjT7_P12ihipStream_tbENKUlT_T0_SE_SJ_E_clIS8_S8_S9_S9_EEDaSX_SY_SE_SJ_EUlSX_E_NS1_11comp_targetILNS1_3genE9ELNS1_11target_archE1100ELNS1_3gpuE3ELNS1_3repE0EEENS1_47radix_sort_onesweep_sort_config_static_selectorELNS0_4arch9wavefront6targetE1EEEvSE_
; %bb.0:
	.section	.rodata,"a",@progbits
	.p2align	6, 0x0
	.amdhsa_kernel _ZN7rocprim17ROCPRIM_400000_NS6detail17trampoline_kernelINS0_14default_configENS1_35radix_sort_onesweep_config_selectorImNS0_10empty_typeEEEZZNS1_29radix_sort_onesweep_iterationIS3_Lb1EPmS8_PS5_S9_mNS0_19identity_decomposerENS1_16block_id_wrapperIjLb1EEEEE10hipError_tT1_PNSt15iterator_traitsISE_E10value_typeET2_T3_PNSF_ISK_E10value_typeET4_T5_PSP_SQ_PNS1_23onesweep_lookback_stateEbbT6_jjT7_P12ihipStream_tbENKUlT_T0_SE_SJ_E_clIS8_S8_S9_S9_EEDaSX_SY_SE_SJ_EUlSX_E_NS1_11comp_targetILNS1_3genE9ELNS1_11target_archE1100ELNS1_3gpuE3ELNS1_3repE0EEENS1_47radix_sort_onesweep_sort_config_static_selectorELNS0_4arch9wavefront6targetE1EEEvSE_
		.amdhsa_group_segment_fixed_size 0
		.amdhsa_private_segment_fixed_size 0
		.amdhsa_kernarg_size 88
		.amdhsa_user_sgpr_count 6
		.amdhsa_user_sgpr_private_segment_buffer 1
		.amdhsa_user_sgpr_dispatch_ptr 0
		.amdhsa_user_sgpr_queue_ptr 0
		.amdhsa_user_sgpr_kernarg_segment_ptr 1
		.amdhsa_user_sgpr_dispatch_id 0
		.amdhsa_user_sgpr_flat_scratch_init 0
		.amdhsa_user_sgpr_kernarg_preload_length 0
		.amdhsa_user_sgpr_kernarg_preload_offset 0
		.amdhsa_user_sgpr_private_segment_size 0
		.amdhsa_uses_dynamic_stack 0
		.amdhsa_system_sgpr_private_segment_wavefront_offset 0
		.amdhsa_system_sgpr_workgroup_id_x 1
		.amdhsa_system_sgpr_workgroup_id_y 0
		.amdhsa_system_sgpr_workgroup_id_z 0
		.amdhsa_system_sgpr_workgroup_info 0
		.amdhsa_system_vgpr_workitem_id 0
		.amdhsa_next_free_vgpr 1
		.amdhsa_next_free_sgpr 0
		.amdhsa_accum_offset 4
		.amdhsa_reserve_vcc 0
		.amdhsa_reserve_flat_scratch 0
		.amdhsa_float_round_mode_32 0
		.amdhsa_float_round_mode_16_64 0
		.amdhsa_float_denorm_mode_32 3
		.amdhsa_float_denorm_mode_16_64 3
		.amdhsa_dx10_clamp 1
		.amdhsa_ieee_mode 1
		.amdhsa_fp16_overflow 0
		.amdhsa_tg_split 0
		.amdhsa_exception_fp_ieee_invalid_op 0
		.amdhsa_exception_fp_denorm_src 0
		.amdhsa_exception_fp_ieee_div_zero 0
		.amdhsa_exception_fp_ieee_overflow 0
		.amdhsa_exception_fp_ieee_underflow 0
		.amdhsa_exception_fp_ieee_inexact 0
		.amdhsa_exception_int_div_zero 0
	.end_amdhsa_kernel
	.section	.text._ZN7rocprim17ROCPRIM_400000_NS6detail17trampoline_kernelINS0_14default_configENS1_35radix_sort_onesweep_config_selectorImNS0_10empty_typeEEEZZNS1_29radix_sort_onesweep_iterationIS3_Lb1EPmS8_PS5_S9_mNS0_19identity_decomposerENS1_16block_id_wrapperIjLb1EEEEE10hipError_tT1_PNSt15iterator_traitsISE_E10value_typeET2_T3_PNSF_ISK_E10value_typeET4_T5_PSP_SQ_PNS1_23onesweep_lookback_stateEbbT6_jjT7_P12ihipStream_tbENKUlT_T0_SE_SJ_E_clIS8_S8_S9_S9_EEDaSX_SY_SE_SJ_EUlSX_E_NS1_11comp_targetILNS1_3genE9ELNS1_11target_archE1100ELNS1_3gpuE3ELNS1_3repE0EEENS1_47radix_sort_onesweep_sort_config_static_selectorELNS0_4arch9wavefront6targetE1EEEvSE_,"axG",@progbits,_ZN7rocprim17ROCPRIM_400000_NS6detail17trampoline_kernelINS0_14default_configENS1_35radix_sort_onesweep_config_selectorImNS0_10empty_typeEEEZZNS1_29radix_sort_onesweep_iterationIS3_Lb1EPmS8_PS5_S9_mNS0_19identity_decomposerENS1_16block_id_wrapperIjLb1EEEEE10hipError_tT1_PNSt15iterator_traitsISE_E10value_typeET2_T3_PNSF_ISK_E10value_typeET4_T5_PSP_SQ_PNS1_23onesweep_lookback_stateEbbT6_jjT7_P12ihipStream_tbENKUlT_T0_SE_SJ_E_clIS8_S8_S9_S9_EEDaSX_SY_SE_SJ_EUlSX_E_NS1_11comp_targetILNS1_3genE9ELNS1_11target_archE1100ELNS1_3gpuE3ELNS1_3repE0EEENS1_47radix_sort_onesweep_sort_config_static_selectorELNS0_4arch9wavefront6targetE1EEEvSE_,comdat
.Lfunc_end2298:
	.size	_ZN7rocprim17ROCPRIM_400000_NS6detail17trampoline_kernelINS0_14default_configENS1_35radix_sort_onesweep_config_selectorImNS0_10empty_typeEEEZZNS1_29radix_sort_onesweep_iterationIS3_Lb1EPmS8_PS5_S9_mNS0_19identity_decomposerENS1_16block_id_wrapperIjLb1EEEEE10hipError_tT1_PNSt15iterator_traitsISE_E10value_typeET2_T3_PNSF_ISK_E10value_typeET4_T5_PSP_SQ_PNS1_23onesweep_lookback_stateEbbT6_jjT7_P12ihipStream_tbENKUlT_T0_SE_SJ_E_clIS8_S8_S9_S9_EEDaSX_SY_SE_SJ_EUlSX_E_NS1_11comp_targetILNS1_3genE9ELNS1_11target_archE1100ELNS1_3gpuE3ELNS1_3repE0EEENS1_47radix_sort_onesweep_sort_config_static_selectorELNS0_4arch9wavefront6targetE1EEEvSE_, .Lfunc_end2298-_ZN7rocprim17ROCPRIM_400000_NS6detail17trampoline_kernelINS0_14default_configENS1_35radix_sort_onesweep_config_selectorImNS0_10empty_typeEEEZZNS1_29radix_sort_onesweep_iterationIS3_Lb1EPmS8_PS5_S9_mNS0_19identity_decomposerENS1_16block_id_wrapperIjLb1EEEEE10hipError_tT1_PNSt15iterator_traitsISE_E10value_typeET2_T3_PNSF_ISK_E10value_typeET4_T5_PSP_SQ_PNS1_23onesweep_lookback_stateEbbT6_jjT7_P12ihipStream_tbENKUlT_T0_SE_SJ_E_clIS8_S8_S9_S9_EEDaSX_SY_SE_SJ_EUlSX_E_NS1_11comp_targetILNS1_3genE9ELNS1_11target_archE1100ELNS1_3gpuE3ELNS1_3repE0EEENS1_47radix_sort_onesweep_sort_config_static_selectorELNS0_4arch9wavefront6targetE1EEEvSE_
                                        ; -- End function
	.section	.AMDGPU.csdata,"",@progbits
; Kernel info:
; codeLenInByte = 0
; NumSgprs: 4
; NumVgprs: 0
; NumAgprs: 0
; TotalNumVgprs: 0
; ScratchSize: 0
; MemoryBound: 0
; FloatMode: 240
; IeeeMode: 1
; LDSByteSize: 0 bytes/workgroup (compile time only)
; SGPRBlocks: 0
; VGPRBlocks: 0
; NumSGPRsForWavesPerEU: 4
; NumVGPRsForWavesPerEU: 1
; AccumOffset: 4
; Occupancy: 8
; WaveLimiterHint : 0
; COMPUTE_PGM_RSRC2:SCRATCH_EN: 0
; COMPUTE_PGM_RSRC2:USER_SGPR: 6
; COMPUTE_PGM_RSRC2:TRAP_HANDLER: 0
; COMPUTE_PGM_RSRC2:TGID_X_EN: 1
; COMPUTE_PGM_RSRC2:TGID_Y_EN: 0
; COMPUTE_PGM_RSRC2:TGID_Z_EN: 0
; COMPUTE_PGM_RSRC2:TIDIG_COMP_CNT: 0
; COMPUTE_PGM_RSRC3_GFX90A:ACCUM_OFFSET: 0
; COMPUTE_PGM_RSRC3_GFX90A:TG_SPLIT: 0
	.section	.text._ZN7rocprim17ROCPRIM_400000_NS6detail17trampoline_kernelINS0_14default_configENS1_35radix_sort_onesweep_config_selectorImNS0_10empty_typeEEEZZNS1_29radix_sort_onesweep_iterationIS3_Lb1EPmS8_PS5_S9_mNS0_19identity_decomposerENS1_16block_id_wrapperIjLb1EEEEE10hipError_tT1_PNSt15iterator_traitsISE_E10value_typeET2_T3_PNSF_ISK_E10value_typeET4_T5_PSP_SQ_PNS1_23onesweep_lookback_stateEbbT6_jjT7_P12ihipStream_tbENKUlT_T0_SE_SJ_E_clIS8_S8_S9_S9_EEDaSX_SY_SE_SJ_EUlSX_E_NS1_11comp_targetILNS1_3genE8ELNS1_11target_archE1030ELNS1_3gpuE2ELNS1_3repE0EEENS1_47radix_sort_onesweep_sort_config_static_selectorELNS0_4arch9wavefront6targetE1EEEvSE_,"axG",@progbits,_ZN7rocprim17ROCPRIM_400000_NS6detail17trampoline_kernelINS0_14default_configENS1_35radix_sort_onesweep_config_selectorImNS0_10empty_typeEEEZZNS1_29radix_sort_onesweep_iterationIS3_Lb1EPmS8_PS5_S9_mNS0_19identity_decomposerENS1_16block_id_wrapperIjLb1EEEEE10hipError_tT1_PNSt15iterator_traitsISE_E10value_typeET2_T3_PNSF_ISK_E10value_typeET4_T5_PSP_SQ_PNS1_23onesweep_lookback_stateEbbT6_jjT7_P12ihipStream_tbENKUlT_T0_SE_SJ_E_clIS8_S8_S9_S9_EEDaSX_SY_SE_SJ_EUlSX_E_NS1_11comp_targetILNS1_3genE8ELNS1_11target_archE1030ELNS1_3gpuE2ELNS1_3repE0EEENS1_47radix_sort_onesweep_sort_config_static_selectorELNS0_4arch9wavefront6targetE1EEEvSE_,comdat
	.protected	_ZN7rocprim17ROCPRIM_400000_NS6detail17trampoline_kernelINS0_14default_configENS1_35radix_sort_onesweep_config_selectorImNS0_10empty_typeEEEZZNS1_29radix_sort_onesweep_iterationIS3_Lb1EPmS8_PS5_S9_mNS0_19identity_decomposerENS1_16block_id_wrapperIjLb1EEEEE10hipError_tT1_PNSt15iterator_traitsISE_E10value_typeET2_T3_PNSF_ISK_E10value_typeET4_T5_PSP_SQ_PNS1_23onesweep_lookback_stateEbbT6_jjT7_P12ihipStream_tbENKUlT_T0_SE_SJ_E_clIS8_S8_S9_S9_EEDaSX_SY_SE_SJ_EUlSX_E_NS1_11comp_targetILNS1_3genE8ELNS1_11target_archE1030ELNS1_3gpuE2ELNS1_3repE0EEENS1_47radix_sort_onesweep_sort_config_static_selectorELNS0_4arch9wavefront6targetE1EEEvSE_ ; -- Begin function _ZN7rocprim17ROCPRIM_400000_NS6detail17trampoline_kernelINS0_14default_configENS1_35radix_sort_onesweep_config_selectorImNS0_10empty_typeEEEZZNS1_29radix_sort_onesweep_iterationIS3_Lb1EPmS8_PS5_S9_mNS0_19identity_decomposerENS1_16block_id_wrapperIjLb1EEEEE10hipError_tT1_PNSt15iterator_traitsISE_E10value_typeET2_T3_PNSF_ISK_E10value_typeET4_T5_PSP_SQ_PNS1_23onesweep_lookback_stateEbbT6_jjT7_P12ihipStream_tbENKUlT_T0_SE_SJ_E_clIS8_S8_S9_S9_EEDaSX_SY_SE_SJ_EUlSX_E_NS1_11comp_targetILNS1_3genE8ELNS1_11target_archE1030ELNS1_3gpuE2ELNS1_3repE0EEENS1_47radix_sort_onesweep_sort_config_static_selectorELNS0_4arch9wavefront6targetE1EEEvSE_
	.globl	_ZN7rocprim17ROCPRIM_400000_NS6detail17trampoline_kernelINS0_14default_configENS1_35radix_sort_onesweep_config_selectorImNS0_10empty_typeEEEZZNS1_29radix_sort_onesweep_iterationIS3_Lb1EPmS8_PS5_S9_mNS0_19identity_decomposerENS1_16block_id_wrapperIjLb1EEEEE10hipError_tT1_PNSt15iterator_traitsISE_E10value_typeET2_T3_PNSF_ISK_E10value_typeET4_T5_PSP_SQ_PNS1_23onesweep_lookback_stateEbbT6_jjT7_P12ihipStream_tbENKUlT_T0_SE_SJ_E_clIS8_S8_S9_S9_EEDaSX_SY_SE_SJ_EUlSX_E_NS1_11comp_targetILNS1_3genE8ELNS1_11target_archE1030ELNS1_3gpuE2ELNS1_3repE0EEENS1_47radix_sort_onesweep_sort_config_static_selectorELNS0_4arch9wavefront6targetE1EEEvSE_
	.p2align	8
	.type	_ZN7rocprim17ROCPRIM_400000_NS6detail17trampoline_kernelINS0_14default_configENS1_35radix_sort_onesweep_config_selectorImNS0_10empty_typeEEEZZNS1_29radix_sort_onesweep_iterationIS3_Lb1EPmS8_PS5_S9_mNS0_19identity_decomposerENS1_16block_id_wrapperIjLb1EEEEE10hipError_tT1_PNSt15iterator_traitsISE_E10value_typeET2_T3_PNSF_ISK_E10value_typeET4_T5_PSP_SQ_PNS1_23onesweep_lookback_stateEbbT6_jjT7_P12ihipStream_tbENKUlT_T0_SE_SJ_E_clIS8_S8_S9_S9_EEDaSX_SY_SE_SJ_EUlSX_E_NS1_11comp_targetILNS1_3genE8ELNS1_11target_archE1030ELNS1_3gpuE2ELNS1_3repE0EEENS1_47radix_sort_onesweep_sort_config_static_selectorELNS0_4arch9wavefront6targetE1EEEvSE_,@function
_ZN7rocprim17ROCPRIM_400000_NS6detail17trampoline_kernelINS0_14default_configENS1_35radix_sort_onesweep_config_selectorImNS0_10empty_typeEEEZZNS1_29radix_sort_onesweep_iterationIS3_Lb1EPmS8_PS5_S9_mNS0_19identity_decomposerENS1_16block_id_wrapperIjLb1EEEEE10hipError_tT1_PNSt15iterator_traitsISE_E10value_typeET2_T3_PNSF_ISK_E10value_typeET4_T5_PSP_SQ_PNS1_23onesweep_lookback_stateEbbT6_jjT7_P12ihipStream_tbENKUlT_T0_SE_SJ_E_clIS8_S8_S9_S9_EEDaSX_SY_SE_SJ_EUlSX_E_NS1_11comp_targetILNS1_3genE8ELNS1_11target_archE1030ELNS1_3gpuE2ELNS1_3repE0EEENS1_47radix_sort_onesweep_sort_config_static_selectorELNS0_4arch9wavefront6targetE1EEEvSE_: ; @_ZN7rocprim17ROCPRIM_400000_NS6detail17trampoline_kernelINS0_14default_configENS1_35radix_sort_onesweep_config_selectorImNS0_10empty_typeEEEZZNS1_29radix_sort_onesweep_iterationIS3_Lb1EPmS8_PS5_S9_mNS0_19identity_decomposerENS1_16block_id_wrapperIjLb1EEEEE10hipError_tT1_PNSt15iterator_traitsISE_E10value_typeET2_T3_PNSF_ISK_E10value_typeET4_T5_PSP_SQ_PNS1_23onesweep_lookback_stateEbbT6_jjT7_P12ihipStream_tbENKUlT_T0_SE_SJ_E_clIS8_S8_S9_S9_EEDaSX_SY_SE_SJ_EUlSX_E_NS1_11comp_targetILNS1_3genE8ELNS1_11target_archE1030ELNS1_3gpuE2ELNS1_3repE0EEENS1_47radix_sort_onesweep_sort_config_static_selectorELNS0_4arch9wavefront6targetE1EEEvSE_
; %bb.0:
	.section	.rodata,"a",@progbits
	.p2align	6, 0x0
	.amdhsa_kernel _ZN7rocprim17ROCPRIM_400000_NS6detail17trampoline_kernelINS0_14default_configENS1_35radix_sort_onesweep_config_selectorImNS0_10empty_typeEEEZZNS1_29radix_sort_onesweep_iterationIS3_Lb1EPmS8_PS5_S9_mNS0_19identity_decomposerENS1_16block_id_wrapperIjLb1EEEEE10hipError_tT1_PNSt15iterator_traitsISE_E10value_typeET2_T3_PNSF_ISK_E10value_typeET4_T5_PSP_SQ_PNS1_23onesweep_lookback_stateEbbT6_jjT7_P12ihipStream_tbENKUlT_T0_SE_SJ_E_clIS8_S8_S9_S9_EEDaSX_SY_SE_SJ_EUlSX_E_NS1_11comp_targetILNS1_3genE8ELNS1_11target_archE1030ELNS1_3gpuE2ELNS1_3repE0EEENS1_47radix_sort_onesweep_sort_config_static_selectorELNS0_4arch9wavefront6targetE1EEEvSE_
		.amdhsa_group_segment_fixed_size 0
		.amdhsa_private_segment_fixed_size 0
		.amdhsa_kernarg_size 88
		.amdhsa_user_sgpr_count 6
		.amdhsa_user_sgpr_private_segment_buffer 1
		.amdhsa_user_sgpr_dispatch_ptr 0
		.amdhsa_user_sgpr_queue_ptr 0
		.amdhsa_user_sgpr_kernarg_segment_ptr 1
		.amdhsa_user_sgpr_dispatch_id 0
		.amdhsa_user_sgpr_flat_scratch_init 0
		.amdhsa_user_sgpr_kernarg_preload_length 0
		.amdhsa_user_sgpr_kernarg_preload_offset 0
		.amdhsa_user_sgpr_private_segment_size 0
		.amdhsa_uses_dynamic_stack 0
		.amdhsa_system_sgpr_private_segment_wavefront_offset 0
		.amdhsa_system_sgpr_workgroup_id_x 1
		.amdhsa_system_sgpr_workgroup_id_y 0
		.amdhsa_system_sgpr_workgroup_id_z 0
		.amdhsa_system_sgpr_workgroup_info 0
		.amdhsa_system_vgpr_workitem_id 0
		.amdhsa_next_free_vgpr 1
		.amdhsa_next_free_sgpr 0
		.amdhsa_accum_offset 4
		.amdhsa_reserve_vcc 0
		.amdhsa_reserve_flat_scratch 0
		.amdhsa_float_round_mode_32 0
		.amdhsa_float_round_mode_16_64 0
		.amdhsa_float_denorm_mode_32 3
		.amdhsa_float_denorm_mode_16_64 3
		.amdhsa_dx10_clamp 1
		.amdhsa_ieee_mode 1
		.amdhsa_fp16_overflow 0
		.amdhsa_tg_split 0
		.amdhsa_exception_fp_ieee_invalid_op 0
		.amdhsa_exception_fp_denorm_src 0
		.amdhsa_exception_fp_ieee_div_zero 0
		.amdhsa_exception_fp_ieee_overflow 0
		.amdhsa_exception_fp_ieee_underflow 0
		.amdhsa_exception_fp_ieee_inexact 0
		.amdhsa_exception_int_div_zero 0
	.end_amdhsa_kernel
	.section	.text._ZN7rocprim17ROCPRIM_400000_NS6detail17trampoline_kernelINS0_14default_configENS1_35radix_sort_onesweep_config_selectorImNS0_10empty_typeEEEZZNS1_29radix_sort_onesweep_iterationIS3_Lb1EPmS8_PS5_S9_mNS0_19identity_decomposerENS1_16block_id_wrapperIjLb1EEEEE10hipError_tT1_PNSt15iterator_traitsISE_E10value_typeET2_T3_PNSF_ISK_E10value_typeET4_T5_PSP_SQ_PNS1_23onesweep_lookback_stateEbbT6_jjT7_P12ihipStream_tbENKUlT_T0_SE_SJ_E_clIS8_S8_S9_S9_EEDaSX_SY_SE_SJ_EUlSX_E_NS1_11comp_targetILNS1_3genE8ELNS1_11target_archE1030ELNS1_3gpuE2ELNS1_3repE0EEENS1_47radix_sort_onesweep_sort_config_static_selectorELNS0_4arch9wavefront6targetE1EEEvSE_,"axG",@progbits,_ZN7rocprim17ROCPRIM_400000_NS6detail17trampoline_kernelINS0_14default_configENS1_35radix_sort_onesweep_config_selectorImNS0_10empty_typeEEEZZNS1_29radix_sort_onesweep_iterationIS3_Lb1EPmS8_PS5_S9_mNS0_19identity_decomposerENS1_16block_id_wrapperIjLb1EEEEE10hipError_tT1_PNSt15iterator_traitsISE_E10value_typeET2_T3_PNSF_ISK_E10value_typeET4_T5_PSP_SQ_PNS1_23onesweep_lookback_stateEbbT6_jjT7_P12ihipStream_tbENKUlT_T0_SE_SJ_E_clIS8_S8_S9_S9_EEDaSX_SY_SE_SJ_EUlSX_E_NS1_11comp_targetILNS1_3genE8ELNS1_11target_archE1030ELNS1_3gpuE2ELNS1_3repE0EEENS1_47radix_sort_onesweep_sort_config_static_selectorELNS0_4arch9wavefront6targetE1EEEvSE_,comdat
.Lfunc_end2299:
	.size	_ZN7rocprim17ROCPRIM_400000_NS6detail17trampoline_kernelINS0_14default_configENS1_35radix_sort_onesweep_config_selectorImNS0_10empty_typeEEEZZNS1_29radix_sort_onesweep_iterationIS3_Lb1EPmS8_PS5_S9_mNS0_19identity_decomposerENS1_16block_id_wrapperIjLb1EEEEE10hipError_tT1_PNSt15iterator_traitsISE_E10value_typeET2_T3_PNSF_ISK_E10value_typeET4_T5_PSP_SQ_PNS1_23onesweep_lookback_stateEbbT6_jjT7_P12ihipStream_tbENKUlT_T0_SE_SJ_E_clIS8_S8_S9_S9_EEDaSX_SY_SE_SJ_EUlSX_E_NS1_11comp_targetILNS1_3genE8ELNS1_11target_archE1030ELNS1_3gpuE2ELNS1_3repE0EEENS1_47radix_sort_onesweep_sort_config_static_selectorELNS0_4arch9wavefront6targetE1EEEvSE_, .Lfunc_end2299-_ZN7rocprim17ROCPRIM_400000_NS6detail17trampoline_kernelINS0_14default_configENS1_35radix_sort_onesweep_config_selectorImNS0_10empty_typeEEEZZNS1_29radix_sort_onesweep_iterationIS3_Lb1EPmS8_PS5_S9_mNS0_19identity_decomposerENS1_16block_id_wrapperIjLb1EEEEE10hipError_tT1_PNSt15iterator_traitsISE_E10value_typeET2_T3_PNSF_ISK_E10value_typeET4_T5_PSP_SQ_PNS1_23onesweep_lookback_stateEbbT6_jjT7_P12ihipStream_tbENKUlT_T0_SE_SJ_E_clIS8_S8_S9_S9_EEDaSX_SY_SE_SJ_EUlSX_E_NS1_11comp_targetILNS1_3genE8ELNS1_11target_archE1030ELNS1_3gpuE2ELNS1_3repE0EEENS1_47radix_sort_onesweep_sort_config_static_selectorELNS0_4arch9wavefront6targetE1EEEvSE_
                                        ; -- End function
	.section	.AMDGPU.csdata,"",@progbits
; Kernel info:
; codeLenInByte = 0
; NumSgprs: 4
; NumVgprs: 0
; NumAgprs: 0
; TotalNumVgprs: 0
; ScratchSize: 0
; MemoryBound: 0
; FloatMode: 240
; IeeeMode: 1
; LDSByteSize: 0 bytes/workgroup (compile time only)
; SGPRBlocks: 0
; VGPRBlocks: 0
; NumSGPRsForWavesPerEU: 4
; NumVGPRsForWavesPerEU: 1
; AccumOffset: 4
; Occupancy: 8
; WaveLimiterHint : 0
; COMPUTE_PGM_RSRC2:SCRATCH_EN: 0
; COMPUTE_PGM_RSRC2:USER_SGPR: 6
; COMPUTE_PGM_RSRC2:TRAP_HANDLER: 0
; COMPUTE_PGM_RSRC2:TGID_X_EN: 1
; COMPUTE_PGM_RSRC2:TGID_Y_EN: 0
; COMPUTE_PGM_RSRC2:TGID_Z_EN: 0
; COMPUTE_PGM_RSRC2:TIDIG_COMP_CNT: 0
; COMPUTE_PGM_RSRC3_GFX90A:ACCUM_OFFSET: 0
; COMPUTE_PGM_RSRC3_GFX90A:TG_SPLIT: 0
	.section	.text._ZN7rocprim17ROCPRIM_400000_NS6detail17trampoline_kernelINS0_14default_configENS1_35radix_sort_onesweep_config_selectorImNS0_10empty_typeEEEZZNS1_29radix_sort_onesweep_iterationIS3_Lb1EPmS8_PS5_S9_mNS0_19identity_decomposerENS1_16block_id_wrapperIjLb0EEEEE10hipError_tT1_PNSt15iterator_traitsISE_E10value_typeET2_T3_PNSF_ISK_E10value_typeET4_T5_PSP_SQ_PNS1_23onesweep_lookback_stateEbbT6_jjT7_P12ihipStream_tbENKUlT_T0_SE_SJ_E_clIS8_S8_S9_S9_EEDaSX_SY_SE_SJ_EUlSX_E_NS1_11comp_targetILNS1_3genE0ELNS1_11target_archE4294967295ELNS1_3gpuE0ELNS1_3repE0EEENS1_47radix_sort_onesweep_sort_config_static_selectorELNS0_4arch9wavefront6targetE1EEEvSE_,"axG",@progbits,_ZN7rocprim17ROCPRIM_400000_NS6detail17trampoline_kernelINS0_14default_configENS1_35radix_sort_onesweep_config_selectorImNS0_10empty_typeEEEZZNS1_29radix_sort_onesweep_iterationIS3_Lb1EPmS8_PS5_S9_mNS0_19identity_decomposerENS1_16block_id_wrapperIjLb0EEEEE10hipError_tT1_PNSt15iterator_traitsISE_E10value_typeET2_T3_PNSF_ISK_E10value_typeET4_T5_PSP_SQ_PNS1_23onesweep_lookback_stateEbbT6_jjT7_P12ihipStream_tbENKUlT_T0_SE_SJ_E_clIS8_S8_S9_S9_EEDaSX_SY_SE_SJ_EUlSX_E_NS1_11comp_targetILNS1_3genE0ELNS1_11target_archE4294967295ELNS1_3gpuE0ELNS1_3repE0EEENS1_47radix_sort_onesweep_sort_config_static_selectorELNS0_4arch9wavefront6targetE1EEEvSE_,comdat
	.protected	_ZN7rocprim17ROCPRIM_400000_NS6detail17trampoline_kernelINS0_14default_configENS1_35radix_sort_onesweep_config_selectorImNS0_10empty_typeEEEZZNS1_29radix_sort_onesweep_iterationIS3_Lb1EPmS8_PS5_S9_mNS0_19identity_decomposerENS1_16block_id_wrapperIjLb0EEEEE10hipError_tT1_PNSt15iterator_traitsISE_E10value_typeET2_T3_PNSF_ISK_E10value_typeET4_T5_PSP_SQ_PNS1_23onesweep_lookback_stateEbbT6_jjT7_P12ihipStream_tbENKUlT_T0_SE_SJ_E_clIS8_S8_S9_S9_EEDaSX_SY_SE_SJ_EUlSX_E_NS1_11comp_targetILNS1_3genE0ELNS1_11target_archE4294967295ELNS1_3gpuE0ELNS1_3repE0EEENS1_47radix_sort_onesweep_sort_config_static_selectorELNS0_4arch9wavefront6targetE1EEEvSE_ ; -- Begin function _ZN7rocprim17ROCPRIM_400000_NS6detail17trampoline_kernelINS0_14default_configENS1_35radix_sort_onesweep_config_selectorImNS0_10empty_typeEEEZZNS1_29radix_sort_onesweep_iterationIS3_Lb1EPmS8_PS5_S9_mNS0_19identity_decomposerENS1_16block_id_wrapperIjLb0EEEEE10hipError_tT1_PNSt15iterator_traitsISE_E10value_typeET2_T3_PNSF_ISK_E10value_typeET4_T5_PSP_SQ_PNS1_23onesweep_lookback_stateEbbT6_jjT7_P12ihipStream_tbENKUlT_T0_SE_SJ_E_clIS8_S8_S9_S9_EEDaSX_SY_SE_SJ_EUlSX_E_NS1_11comp_targetILNS1_3genE0ELNS1_11target_archE4294967295ELNS1_3gpuE0ELNS1_3repE0EEENS1_47radix_sort_onesweep_sort_config_static_selectorELNS0_4arch9wavefront6targetE1EEEvSE_
	.globl	_ZN7rocprim17ROCPRIM_400000_NS6detail17trampoline_kernelINS0_14default_configENS1_35radix_sort_onesweep_config_selectorImNS0_10empty_typeEEEZZNS1_29radix_sort_onesweep_iterationIS3_Lb1EPmS8_PS5_S9_mNS0_19identity_decomposerENS1_16block_id_wrapperIjLb0EEEEE10hipError_tT1_PNSt15iterator_traitsISE_E10value_typeET2_T3_PNSF_ISK_E10value_typeET4_T5_PSP_SQ_PNS1_23onesweep_lookback_stateEbbT6_jjT7_P12ihipStream_tbENKUlT_T0_SE_SJ_E_clIS8_S8_S9_S9_EEDaSX_SY_SE_SJ_EUlSX_E_NS1_11comp_targetILNS1_3genE0ELNS1_11target_archE4294967295ELNS1_3gpuE0ELNS1_3repE0EEENS1_47radix_sort_onesweep_sort_config_static_selectorELNS0_4arch9wavefront6targetE1EEEvSE_
	.p2align	8
	.type	_ZN7rocprim17ROCPRIM_400000_NS6detail17trampoline_kernelINS0_14default_configENS1_35radix_sort_onesweep_config_selectorImNS0_10empty_typeEEEZZNS1_29radix_sort_onesweep_iterationIS3_Lb1EPmS8_PS5_S9_mNS0_19identity_decomposerENS1_16block_id_wrapperIjLb0EEEEE10hipError_tT1_PNSt15iterator_traitsISE_E10value_typeET2_T3_PNSF_ISK_E10value_typeET4_T5_PSP_SQ_PNS1_23onesweep_lookback_stateEbbT6_jjT7_P12ihipStream_tbENKUlT_T0_SE_SJ_E_clIS8_S8_S9_S9_EEDaSX_SY_SE_SJ_EUlSX_E_NS1_11comp_targetILNS1_3genE0ELNS1_11target_archE4294967295ELNS1_3gpuE0ELNS1_3repE0EEENS1_47radix_sort_onesweep_sort_config_static_selectorELNS0_4arch9wavefront6targetE1EEEvSE_,@function
_ZN7rocprim17ROCPRIM_400000_NS6detail17trampoline_kernelINS0_14default_configENS1_35radix_sort_onesweep_config_selectorImNS0_10empty_typeEEEZZNS1_29radix_sort_onesweep_iterationIS3_Lb1EPmS8_PS5_S9_mNS0_19identity_decomposerENS1_16block_id_wrapperIjLb0EEEEE10hipError_tT1_PNSt15iterator_traitsISE_E10value_typeET2_T3_PNSF_ISK_E10value_typeET4_T5_PSP_SQ_PNS1_23onesweep_lookback_stateEbbT6_jjT7_P12ihipStream_tbENKUlT_T0_SE_SJ_E_clIS8_S8_S9_S9_EEDaSX_SY_SE_SJ_EUlSX_E_NS1_11comp_targetILNS1_3genE0ELNS1_11target_archE4294967295ELNS1_3gpuE0ELNS1_3repE0EEENS1_47radix_sort_onesweep_sort_config_static_selectorELNS0_4arch9wavefront6targetE1EEEvSE_: ; @_ZN7rocprim17ROCPRIM_400000_NS6detail17trampoline_kernelINS0_14default_configENS1_35radix_sort_onesweep_config_selectorImNS0_10empty_typeEEEZZNS1_29radix_sort_onesweep_iterationIS3_Lb1EPmS8_PS5_S9_mNS0_19identity_decomposerENS1_16block_id_wrapperIjLb0EEEEE10hipError_tT1_PNSt15iterator_traitsISE_E10value_typeET2_T3_PNSF_ISK_E10value_typeET4_T5_PSP_SQ_PNS1_23onesweep_lookback_stateEbbT6_jjT7_P12ihipStream_tbENKUlT_T0_SE_SJ_E_clIS8_S8_S9_S9_EEDaSX_SY_SE_SJ_EUlSX_E_NS1_11comp_targetILNS1_3genE0ELNS1_11target_archE4294967295ELNS1_3gpuE0ELNS1_3repE0EEENS1_47radix_sort_onesweep_sort_config_static_selectorELNS0_4arch9wavefront6targetE1EEEvSE_
; %bb.0:
	.section	.rodata,"a",@progbits
	.p2align	6, 0x0
	.amdhsa_kernel _ZN7rocprim17ROCPRIM_400000_NS6detail17trampoline_kernelINS0_14default_configENS1_35radix_sort_onesweep_config_selectorImNS0_10empty_typeEEEZZNS1_29radix_sort_onesweep_iterationIS3_Lb1EPmS8_PS5_S9_mNS0_19identity_decomposerENS1_16block_id_wrapperIjLb0EEEEE10hipError_tT1_PNSt15iterator_traitsISE_E10value_typeET2_T3_PNSF_ISK_E10value_typeET4_T5_PSP_SQ_PNS1_23onesweep_lookback_stateEbbT6_jjT7_P12ihipStream_tbENKUlT_T0_SE_SJ_E_clIS8_S8_S9_S9_EEDaSX_SY_SE_SJ_EUlSX_E_NS1_11comp_targetILNS1_3genE0ELNS1_11target_archE4294967295ELNS1_3gpuE0ELNS1_3repE0EEENS1_47radix_sort_onesweep_sort_config_static_selectorELNS0_4arch9wavefront6targetE1EEEvSE_
		.amdhsa_group_segment_fixed_size 0
		.amdhsa_private_segment_fixed_size 0
		.amdhsa_kernarg_size 88
		.amdhsa_user_sgpr_count 6
		.amdhsa_user_sgpr_private_segment_buffer 1
		.amdhsa_user_sgpr_dispatch_ptr 0
		.amdhsa_user_sgpr_queue_ptr 0
		.amdhsa_user_sgpr_kernarg_segment_ptr 1
		.amdhsa_user_sgpr_dispatch_id 0
		.amdhsa_user_sgpr_flat_scratch_init 0
		.amdhsa_user_sgpr_kernarg_preload_length 0
		.amdhsa_user_sgpr_kernarg_preload_offset 0
		.amdhsa_user_sgpr_private_segment_size 0
		.amdhsa_uses_dynamic_stack 0
		.amdhsa_system_sgpr_private_segment_wavefront_offset 0
		.amdhsa_system_sgpr_workgroup_id_x 1
		.amdhsa_system_sgpr_workgroup_id_y 0
		.amdhsa_system_sgpr_workgroup_id_z 0
		.amdhsa_system_sgpr_workgroup_info 0
		.amdhsa_system_vgpr_workitem_id 0
		.amdhsa_next_free_vgpr 1
		.amdhsa_next_free_sgpr 0
		.amdhsa_accum_offset 4
		.amdhsa_reserve_vcc 0
		.amdhsa_reserve_flat_scratch 0
		.amdhsa_float_round_mode_32 0
		.amdhsa_float_round_mode_16_64 0
		.amdhsa_float_denorm_mode_32 3
		.amdhsa_float_denorm_mode_16_64 3
		.amdhsa_dx10_clamp 1
		.amdhsa_ieee_mode 1
		.amdhsa_fp16_overflow 0
		.amdhsa_tg_split 0
		.amdhsa_exception_fp_ieee_invalid_op 0
		.amdhsa_exception_fp_denorm_src 0
		.amdhsa_exception_fp_ieee_div_zero 0
		.amdhsa_exception_fp_ieee_overflow 0
		.amdhsa_exception_fp_ieee_underflow 0
		.amdhsa_exception_fp_ieee_inexact 0
		.amdhsa_exception_int_div_zero 0
	.end_amdhsa_kernel
	.section	.text._ZN7rocprim17ROCPRIM_400000_NS6detail17trampoline_kernelINS0_14default_configENS1_35radix_sort_onesweep_config_selectorImNS0_10empty_typeEEEZZNS1_29radix_sort_onesweep_iterationIS3_Lb1EPmS8_PS5_S9_mNS0_19identity_decomposerENS1_16block_id_wrapperIjLb0EEEEE10hipError_tT1_PNSt15iterator_traitsISE_E10value_typeET2_T3_PNSF_ISK_E10value_typeET4_T5_PSP_SQ_PNS1_23onesweep_lookback_stateEbbT6_jjT7_P12ihipStream_tbENKUlT_T0_SE_SJ_E_clIS8_S8_S9_S9_EEDaSX_SY_SE_SJ_EUlSX_E_NS1_11comp_targetILNS1_3genE0ELNS1_11target_archE4294967295ELNS1_3gpuE0ELNS1_3repE0EEENS1_47radix_sort_onesweep_sort_config_static_selectorELNS0_4arch9wavefront6targetE1EEEvSE_,"axG",@progbits,_ZN7rocprim17ROCPRIM_400000_NS6detail17trampoline_kernelINS0_14default_configENS1_35radix_sort_onesweep_config_selectorImNS0_10empty_typeEEEZZNS1_29radix_sort_onesweep_iterationIS3_Lb1EPmS8_PS5_S9_mNS0_19identity_decomposerENS1_16block_id_wrapperIjLb0EEEEE10hipError_tT1_PNSt15iterator_traitsISE_E10value_typeET2_T3_PNSF_ISK_E10value_typeET4_T5_PSP_SQ_PNS1_23onesweep_lookback_stateEbbT6_jjT7_P12ihipStream_tbENKUlT_T0_SE_SJ_E_clIS8_S8_S9_S9_EEDaSX_SY_SE_SJ_EUlSX_E_NS1_11comp_targetILNS1_3genE0ELNS1_11target_archE4294967295ELNS1_3gpuE0ELNS1_3repE0EEENS1_47radix_sort_onesweep_sort_config_static_selectorELNS0_4arch9wavefront6targetE1EEEvSE_,comdat
.Lfunc_end2300:
	.size	_ZN7rocprim17ROCPRIM_400000_NS6detail17trampoline_kernelINS0_14default_configENS1_35radix_sort_onesweep_config_selectorImNS0_10empty_typeEEEZZNS1_29radix_sort_onesweep_iterationIS3_Lb1EPmS8_PS5_S9_mNS0_19identity_decomposerENS1_16block_id_wrapperIjLb0EEEEE10hipError_tT1_PNSt15iterator_traitsISE_E10value_typeET2_T3_PNSF_ISK_E10value_typeET4_T5_PSP_SQ_PNS1_23onesweep_lookback_stateEbbT6_jjT7_P12ihipStream_tbENKUlT_T0_SE_SJ_E_clIS8_S8_S9_S9_EEDaSX_SY_SE_SJ_EUlSX_E_NS1_11comp_targetILNS1_3genE0ELNS1_11target_archE4294967295ELNS1_3gpuE0ELNS1_3repE0EEENS1_47radix_sort_onesweep_sort_config_static_selectorELNS0_4arch9wavefront6targetE1EEEvSE_, .Lfunc_end2300-_ZN7rocprim17ROCPRIM_400000_NS6detail17trampoline_kernelINS0_14default_configENS1_35radix_sort_onesweep_config_selectorImNS0_10empty_typeEEEZZNS1_29radix_sort_onesweep_iterationIS3_Lb1EPmS8_PS5_S9_mNS0_19identity_decomposerENS1_16block_id_wrapperIjLb0EEEEE10hipError_tT1_PNSt15iterator_traitsISE_E10value_typeET2_T3_PNSF_ISK_E10value_typeET4_T5_PSP_SQ_PNS1_23onesweep_lookback_stateEbbT6_jjT7_P12ihipStream_tbENKUlT_T0_SE_SJ_E_clIS8_S8_S9_S9_EEDaSX_SY_SE_SJ_EUlSX_E_NS1_11comp_targetILNS1_3genE0ELNS1_11target_archE4294967295ELNS1_3gpuE0ELNS1_3repE0EEENS1_47radix_sort_onesweep_sort_config_static_selectorELNS0_4arch9wavefront6targetE1EEEvSE_
                                        ; -- End function
	.section	.AMDGPU.csdata,"",@progbits
; Kernel info:
; codeLenInByte = 0
; NumSgprs: 4
; NumVgprs: 0
; NumAgprs: 0
; TotalNumVgprs: 0
; ScratchSize: 0
; MemoryBound: 0
; FloatMode: 240
; IeeeMode: 1
; LDSByteSize: 0 bytes/workgroup (compile time only)
; SGPRBlocks: 0
; VGPRBlocks: 0
; NumSGPRsForWavesPerEU: 4
; NumVGPRsForWavesPerEU: 1
; AccumOffset: 4
; Occupancy: 8
; WaveLimiterHint : 0
; COMPUTE_PGM_RSRC2:SCRATCH_EN: 0
; COMPUTE_PGM_RSRC2:USER_SGPR: 6
; COMPUTE_PGM_RSRC2:TRAP_HANDLER: 0
; COMPUTE_PGM_RSRC2:TGID_X_EN: 1
; COMPUTE_PGM_RSRC2:TGID_Y_EN: 0
; COMPUTE_PGM_RSRC2:TGID_Z_EN: 0
; COMPUTE_PGM_RSRC2:TIDIG_COMP_CNT: 0
; COMPUTE_PGM_RSRC3_GFX90A:ACCUM_OFFSET: 0
; COMPUTE_PGM_RSRC3_GFX90A:TG_SPLIT: 0
	.section	.text._ZN7rocprim17ROCPRIM_400000_NS6detail17trampoline_kernelINS0_14default_configENS1_35radix_sort_onesweep_config_selectorImNS0_10empty_typeEEEZZNS1_29radix_sort_onesweep_iterationIS3_Lb1EPmS8_PS5_S9_mNS0_19identity_decomposerENS1_16block_id_wrapperIjLb0EEEEE10hipError_tT1_PNSt15iterator_traitsISE_E10value_typeET2_T3_PNSF_ISK_E10value_typeET4_T5_PSP_SQ_PNS1_23onesweep_lookback_stateEbbT6_jjT7_P12ihipStream_tbENKUlT_T0_SE_SJ_E_clIS8_S8_S9_S9_EEDaSX_SY_SE_SJ_EUlSX_E_NS1_11comp_targetILNS1_3genE6ELNS1_11target_archE950ELNS1_3gpuE13ELNS1_3repE0EEENS1_47radix_sort_onesweep_sort_config_static_selectorELNS0_4arch9wavefront6targetE1EEEvSE_,"axG",@progbits,_ZN7rocprim17ROCPRIM_400000_NS6detail17trampoline_kernelINS0_14default_configENS1_35radix_sort_onesweep_config_selectorImNS0_10empty_typeEEEZZNS1_29radix_sort_onesweep_iterationIS3_Lb1EPmS8_PS5_S9_mNS0_19identity_decomposerENS1_16block_id_wrapperIjLb0EEEEE10hipError_tT1_PNSt15iterator_traitsISE_E10value_typeET2_T3_PNSF_ISK_E10value_typeET4_T5_PSP_SQ_PNS1_23onesweep_lookback_stateEbbT6_jjT7_P12ihipStream_tbENKUlT_T0_SE_SJ_E_clIS8_S8_S9_S9_EEDaSX_SY_SE_SJ_EUlSX_E_NS1_11comp_targetILNS1_3genE6ELNS1_11target_archE950ELNS1_3gpuE13ELNS1_3repE0EEENS1_47radix_sort_onesweep_sort_config_static_selectorELNS0_4arch9wavefront6targetE1EEEvSE_,comdat
	.protected	_ZN7rocprim17ROCPRIM_400000_NS6detail17trampoline_kernelINS0_14default_configENS1_35radix_sort_onesweep_config_selectorImNS0_10empty_typeEEEZZNS1_29radix_sort_onesweep_iterationIS3_Lb1EPmS8_PS5_S9_mNS0_19identity_decomposerENS1_16block_id_wrapperIjLb0EEEEE10hipError_tT1_PNSt15iterator_traitsISE_E10value_typeET2_T3_PNSF_ISK_E10value_typeET4_T5_PSP_SQ_PNS1_23onesweep_lookback_stateEbbT6_jjT7_P12ihipStream_tbENKUlT_T0_SE_SJ_E_clIS8_S8_S9_S9_EEDaSX_SY_SE_SJ_EUlSX_E_NS1_11comp_targetILNS1_3genE6ELNS1_11target_archE950ELNS1_3gpuE13ELNS1_3repE0EEENS1_47radix_sort_onesweep_sort_config_static_selectorELNS0_4arch9wavefront6targetE1EEEvSE_ ; -- Begin function _ZN7rocprim17ROCPRIM_400000_NS6detail17trampoline_kernelINS0_14default_configENS1_35radix_sort_onesweep_config_selectorImNS0_10empty_typeEEEZZNS1_29radix_sort_onesweep_iterationIS3_Lb1EPmS8_PS5_S9_mNS0_19identity_decomposerENS1_16block_id_wrapperIjLb0EEEEE10hipError_tT1_PNSt15iterator_traitsISE_E10value_typeET2_T3_PNSF_ISK_E10value_typeET4_T5_PSP_SQ_PNS1_23onesweep_lookback_stateEbbT6_jjT7_P12ihipStream_tbENKUlT_T0_SE_SJ_E_clIS8_S8_S9_S9_EEDaSX_SY_SE_SJ_EUlSX_E_NS1_11comp_targetILNS1_3genE6ELNS1_11target_archE950ELNS1_3gpuE13ELNS1_3repE0EEENS1_47radix_sort_onesweep_sort_config_static_selectorELNS0_4arch9wavefront6targetE1EEEvSE_
	.globl	_ZN7rocprim17ROCPRIM_400000_NS6detail17trampoline_kernelINS0_14default_configENS1_35radix_sort_onesweep_config_selectorImNS0_10empty_typeEEEZZNS1_29radix_sort_onesweep_iterationIS3_Lb1EPmS8_PS5_S9_mNS0_19identity_decomposerENS1_16block_id_wrapperIjLb0EEEEE10hipError_tT1_PNSt15iterator_traitsISE_E10value_typeET2_T3_PNSF_ISK_E10value_typeET4_T5_PSP_SQ_PNS1_23onesweep_lookback_stateEbbT6_jjT7_P12ihipStream_tbENKUlT_T0_SE_SJ_E_clIS8_S8_S9_S9_EEDaSX_SY_SE_SJ_EUlSX_E_NS1_11comp_targetILNS1_3genE6ELNS1_11target_archE950ELNS1_3gpuE13ELNS1_3repE0EEENS1_47radix_sort_onesweep_sort_config_static_selectorELNS0_4arch9wavefront6targetE1EEEvSE_
	.p2align	8
	.type	_ZN7rocprim17ROCPRIM_400000_NS6detail17trampoline_kernelINS0_14default_configENS1_35radix_sort_onesweep_config_selectorImNS0_10empty_typeEEEZZNS1_29radix_sort_onesweep_iterationIS3_Lb1EPmS8_PS5_S9_mNS0_19identity_decomposerENS1_16block_id_wrapperIjLb0EEEEE10hipError_tT1_PNSt15iterator_traitsISE_E10value_typeET2_T3_PNSF_ISK_E10value_typeET4_T5_PSP_SQ_PNS1_23onesweep_lookback_stateEbbT6_jjT7_P12ihipStream_tbENKUlT_T0_SE_SJ_E_clIS8_S8_S9_S9_EEDaSX_SY_SE_SJ_EUlSX_E_NS1_11comp_targetILNS1_3genE6ELNS1_11target_archE950ELNS1_3gpuE13ELNS1_3repE0EEENS1_47radix_sort_onesweep_sort_config_static_selectorELNS0_4arch9wavefront6targetE1EEEvSE_,@function
_ZN7rocprim17ROCPRIM_400000_NS6detail17trampoline_kernelINS0_14default_configENS1_35radix_sort_onesweep_config_selectorImNS0_10empty_typeEEEZZNS1_29radix_sort_onesweep_iterationIS3_Lb1EPmS8_PS5_S9_mNS0_19identity_decomposerENS1_16block_id_wrapperIjLb0EEEEE10hipError_tT1_PNSt15iterator_traitsISE_E10value_typeET2_T3_PNSF_ISK_E10value_typeET4_T5_PSP_SQ_PNS1_23onesweep_lookback_stateEbbT6_jjT7_P12ihipStream_tbENKUlT_T0_SE_SJ_E_clIS8_S8_S9_S9_EEDaSX_SY_SE_SJ_EUlSX_E_NS1_11comp_targetILNS1_3genE6ELNS1_11target_archE950ELNS1_3gpuE13ELNS1_3repE0EEENS1_47radix_sort_onesweep_sort_config_static_selectorELNS0_4arch9wavefront6targetE1EEEvSE_: ; @_ZN7rocprim17ROCPRIM_400000_NS6detail17trampoline_kernelINS0_14default_configENS1_35radix_sort_onesweep_config_selectorImNS0_10empty_typeEEEZZNS1_29radix_sort_onesweep_iterationIS3_Lb1EPmS8_PS5_S9_mNS0_19identity_decomposerENS1_16block_id_wrapperIjLb0EEEEE10hipError_tT1_PNSt15iterator_traitsISE_E10value_typeET2_T3_PNSF_ISK_E10value_typeET4_T5_PSP_SQ_PNS1_23onesweep_lookback_stateEbbT6_jjT7_P12ihipStream_tbENKUlT_T0_SE_SJ_E_clIS8_S8_S9_S9_EEDaSX_SY_SE_SJ_EUlSX_E_NS1_11comp_targetILNS1_3genE6ELNS1_11target_archE950ELNS1_3gpuE13ELNS1_3repE0EEENS1_47radix_sort_onesweep_sort_config_static_selectorELNS0_4arch9wavefront6targetE1EEEvSE_
; %bb.0:
	.section	.rodata,"a",@progbits
	.p2align	6, 0x0
	.amdhsa_kernel _ZN7rocprim17ROCPRIM_400000_NS6detail17trampoline_kernelINS0_14default_configENS1_35radix_sort_onesweep_config_selectorImNS0_10empty_typeEEEZZNS1_29radix_sort_onesweep_iterationIS3_Lb1EPmS8_PS5_S9_mNS0_19identity_decomposerENS1_16block_id_wrapperIjLb0EEEEE10hipError_tT1_PNSt15iterator_traitsISE_E10value_typeET2_T3_PNSF_ISK_E10value_typeET4_T5_PSP_SQ_PNS1_23onesweep_lookback_stateEbbT6_jjT7_P12ihipStream_tbENKUlT_T0_SE_SJ_E_clIS8_S8_S9_S9_EEDaSX_SY_SE_SJ_EUlSX_E_NS1_11comp_targetILNS1_3genE6ELNS1_11target_archE950ELNS1_3gpuE13ELNS1_3repE0EEENS1_47radix_sort_onesweep_sort_config_static_selectorELNS0_4arch9wavefront6targetE1EEEvSE_
		.amdhsa_group_segment_fixed_size 0
		.amdhsa_private_segment_fixed_size 0
		.amdhsa_kernarg_size 88
		.amdhsa_user_sgpr_count 6
		.amdhsa_user_sgpr_private_segment_buffer 1
		.amdhsa_user_sgpr_dispatch_ptr 0
		.amdhsa_user_sgpr_queue_ptr 0
		.amdhsa_user_sgpr_kernarg_segment_ptr 1
		.amdhsa_user_sgpr_dispatch_id 0
		.amdhsa_user_sgpr_flat_scratch_init 0
		.amdhsa_user_sgpr_kernarg_preload_length 0
		.amdhsa_user_sgpr_kernarg_preload_offset 0
		.amdhsa_user_sgpr_private_segment_size 0
		.amdhsa_uses_dynamic_stack 0
		.amdhsa_system_sgpr_private_segment_wavefront_offset 0
		.amdhsa_system_sgpr_workgroup_id_x 1
		.amdhsa_system_sgpr_workgroup_id_y 0
		.amdhsa_system_sgpr_workgroup_id_z 0
		.amdhsa_system_sgpr_workgroup_info 0
		.amdhsa_system_vgpr_workitem_id 0
		.amdhsa_next_free_vgpr 1
		.amdhsa_next_free_sgpr 0
		.amdhsa_accum_offset 4
		.amdhsa_reserve_vcc 0
		.amdhsa_reserve_flat_scratch 0
		.amdhsa_float_round_mode_32 0
		.amdhsa_float_round_mode_16_64 0
		.amdhsa_float_denorm_mode_32 3
		.amdhsa_float_denorm_mode_16_64 3
		.amdhsa_dx10_clamp 1
		.amdhsa_ieee_mode 1
		.amdhsa_fp16_overflow 0
		.amdhsa_tg_split 0
		.amdhsa_exception_fp_ieee_invalid_op 0
		.amdhsa_exception_fp_denorm_src 0
		.amdhsa_exception_fp_ieee_div_zero 0
		.amdhsa_exception_fp_ieee_overflow 0
		.amdhsa_exception_fp_ieee_underflow 0
		.amdhsa_exception_fp_ieee_inexact 0
		.amdhsa_exception_int_div_zero 0
	.end_amdhsa_kernel
	.section	.text._ZN7rocprim17ROCPRIM_400000_NS6detail17trampoline_kernelINS0_14default_configENS1_35radix_sort_onesweep_config_selectorImNS0_10empty_typeEEEZZNS1_29radix_sort_onesweep_iterationIS3_Lb1EPmS8_PS5_S9_mNS0_19identity_decomposerENS1_16block_id_wrapperIjLb0EEEEE10hipError_tT1_PNSt15iterator_traitsISE_E10value_typeET2_T3_PNSF_ISK_E10value_typeET4_T5_PSP_SQ_PNS1_23onesweep_lookback_stateEbbT6_jjT7_P12ihipStream_tbENKUlT_T0_SE_SJ_E_clIS8_S8_S9_S9_EEDaSX_SY_SE_SJ_EUlSX_E_NS1_11comp_targetILNS1_3genE6ELNS1_11target_archE950ELNS1_3gpuE13ELNS1_3repE0EEENS1_47radix_sort_onesweep_sort_config_static_selectorELNS0_4arch9wavefront6targetE1EEEvSE_,"axG",@progbits,_ZN7rocprim17ROCPRIM_400000_NS6detail17trampoline_kernelINS0_14default_configENS1_35radix_sort_onesweep_config_selectorImNS0_10empty_typeEEEZZNS1_29radix_sort_onesweep_iterationIS3_Lb1EPmS8_PS5_S9_mNS0_19identity_decomposerENS1_16block_id_wrapperIjLb0EEEEE10hipError_tT1_PNSt15iterator_traitsISE_E10value_typeET2_T3_PNSF_ISK_E10value_typeET4_T5_PSP_SQ_PNS1_23onesweep_lookback_stateEbbT6_jjT7_P12ihipStream_tbENKUlT_T0_SE_SJ_E_clIS8_S8_S9_S9_EEDaSX_SY_SE_SJ_EUlSX_E_NS1_11comp_targetILNS1_3genE6ELNS1_11target_archE950ELNS1_3gpuE13ELNS1_3repE0EEENS1_47radix_sort_onesweep_sort_config_static_selectorELNS0_4arch9wavefront6targetE1EEEvSE_,comdat
.Lfunc_end2301:
	.size	_ZN7rocprim17ROCPRIM_400000_NS6detail17trampoline_kernelINS0_14default_configENS1_35radix_sort_onesweep_config_selectorImNS0_10empty_typeEEEZZNS1_29radix_sort_onesweep_iterationIS3_Lb1EPmS8_PS5_S9_mNS0_19identity_decomposerENS1_16block_id_wrapperIjLb0EEEEE10hipError_tT1_PNSt15iterator_traitsISE_E10value_typeET2_T3_PNSF_ISK_E10value_typeET4_T5_PSP_SQ_PNS1_23onesweep_lookback_stateEbbT6_jjT7_P12ihipStream_tbENKUlT_T0_SE_SJ_E_clIS8_S8_S9_S9_EEDaSX_SY_SE_SJ_EUlSX_E_NS1_11comp_targetILNS1_3genE6ELNS1_11target_archE950ELNS1_3gpuE13ELNS1_3repE0EEENS1_47radix_sort_onesweep_sort_config_static_selectorELNS0_4arch9wavefront6targetE1EEEvSE_, .Lfunc_end2301-_ZN7rocprim17ROCPRIM_400000_NS6detail17trampoline_kernelINS0_14default_configENS1_35radix_sort_onesweep_config_selectorImNS0_10empty_typeEEEZZNS1_29radix_sort_onesweep_iterationIS3_Lb1EPmS8_PS5_S9_mNS0_19identity_decomposerENS1_16block_id_wrapperIjLb0EEEEE10hipError_tT1_PNSt15iterator_traitsISE_E10value_typeET2_T3_PNSF_ISK_E10value_typeET4_T5_PSP_SQ_PNS1_23onesweep_lookback_stateEbbT6_jjT7_P12ihipStream_tbENKUlT_T0_SE_SJ_E_clIS8_S8_S9_S9_EEDaSX_SY_SE_SJ_EUlSX_E_NS1_11comp_targetILNS1_3genE6ELNS1_11target_archE950ELNS1_3gpuE13ELNS1_3repE0EEENS1_47radix_sort_onesweep_sort_config_static_selectorELNS0_4arch9wavefront6targetE1EEEvSE_
                                        ; -- End function
	.section	.AMDGPU.csdata,"",@progbits
; Kernel info:
; codeLenInByte = 0
; NumSgprs: 4
; NumVgprs: 0
; NumAgprs: 0
; TotalNumVgprs: 0
; ScratchSize: 0
; MemoryBound: 0
; FloatMode: 240
; IeeeMode: 1
; LDSByteSize: 0 bytes/workgroup (compile time only)
; SGPRBlocks: 0
; VGPRBlocks: 0
; NumSGPRsForWavesPerEU: 4
; NumVGPRsForWavesPerEU: 1
; AccumOffset: 4
; Occupancy: 8
; WaveLimiterHint : 0
; COMPUTE_PGM_RSRC2:SCRATCH_EN: 0
; COMPUTE_PGM_RSRC2:USER_SGPR: 6
; COMPUTE_PGM_RSRC2:TRAP_HANDLER: 0
; COMPUTE_PGM_RSRC2:TGID_X_EN: 1
; COMPUTE_PGM_RSRC2:TGID_Y_EN: 0
; COMPUTE_PGM_RSRC2:TGID_Z_EN: 0
; COMPUTE_PGM_RSRC2:TIDIG_COMP_CNT: 0
; COMPUTE_PGM_RSRC3_GFX90A:ACCUM_OFFSET: 0
; COMPUTE_PGM_RSRC3_GFX90A:TG_SPLIT: 0
	.section	.text._ZN7rocprim17ROCPRIM_400000_NS6detail17trampoline_kernelINS0_14default_configENS1_35radix_sort_onesweep_config_selectorImNS0_10empty_typeEEEZZNS1_29radix_sort_onesweep_iterationIS3_Lb1EPmS8_PS5_S9_mNS0_19identity_decomposerENS1_16block_id_wrapperIjLb0EEEEE10hipError_tT1_PNSt15iterator_traitsISE_E10value_typeET2_T3_PNSF_ISK_E10value_typeET4_T5_PSP_SQ_PNS1_23onesweep_lookback_stateEbbT6_jjT7_P12ihipStream_tbENKUlT_T0_SE_SJ_E_clIS8_S8_S9_S9_EEDaSX_SY_SE_SJ_EUlSX_E_NS1_11comp_targetILNS1_3genE5ELNS1_11target_archE942ELNS1_3gpuE9ELNS1_3repE0EEENS1_47radix_sort_onesweep_sort_config_static_selectorELNS0_4arch9wavefront6targetE1EEEvSE_,"axG",@progbits,_ZN7rocprim17ROCPRIM_400000_NS6detail17trampoline_kernelINS0_14default_configENS1_35radix_sort_onesweep_config_selectorImNS0_10empty_typeEEEZZNS1_29radix_sort_onesweep_iterationIS3_Lb1EPmS8_PS5_S9_mNS0_19identity_decomposerENS1_16block_id_wrapperIjLb0EEEEE10hipError_tT1_PNSt15iterator_traitsISE_E10value_typeET2_T3_PNSF_ISK_E10value_typeET4_T5_PSP_SQ_PNS1_23onesweep_lookback_stateEbbT6_jjT7_P12ihipStream_tbENKUlT_T0_SE_SJ_E_clIS8_S8_S9_S9_EEDaSX_SY_SE_SJ_EUlSX_E_NS1_11comp_targetILNS1_3genE5ELNS1_11target_archE942ELNS1_3gpuE9ELNS1_3repE0EEENS1_47radix_sort_onesweep_sort_config_static_selectorELNS0_4arch9wavefront6targetE1EEEvSE_,comdat
	.protected	_ZN7rocprim17ROCPRIM_400000_NS6detail17trampoline_kernelINS0_14default_configENS1_35radix_sort_onesweep_config_selectorImNS0_10empty_typeEEEZZNS1_29radix_sort_onesweep_iterationIS3_Lb1EPmS8_PS5_S9_mNS0_19identity_decomposerENS1_16block_id_wrapperIjLb0EEEEE10hipError_tT1_PNSt15iterator_traitsISE_E10value_typeET2_T3_PNSF_ISK_E10value_typeET4_T5_PSP_SQ_PNS1_23onesweep_lookback_stateEbbT6_jjT7_P12ihipStream_tbENKUlT_T0_SE_SJ_E_clIS8_S8_S9_S9_EEDaSX_SY_SE_SJ_EUlSX_E_NS1_11comp_targetILNS1_3genE5ELNS1_11target_archE942ELNS1_3gpuE9ELNS1_3repE0EEENS1_47radix_sort_onesweep_sort_config_static_selectorELNS0_4arch9wavefront6targetE1EEEvSE_ ; -- Begin function _ZN7rocprim17ROCPRIM_400000_NS6detail17trampoline_kernelINS0_14default_configENS1_35radix_sort_onesweep_config_selectorImNS0_10empty_typeEEEZZNS1_29radix_sort_onesweep_iterationIS3_Lb1EPmS8_PS5_S9_mNS0_19identity_decomposerENS1_16block_id_wrapperIjLb0EEEEE10hipError_tT1_PNSt15iterator_traitsISE_E10value_typeET2_T3_PNSF_ISK_E10value_typeET4_T5_PSP_SQ_PNS1_23onesweep_lookback_stateEbbT6_jjT7_P12ihipStream_tbENKUlT_T0_SE_SJ_E_clIS8_S8_S9_S9_EEDaSX_SY_SE_SJ_EUlSX_E_NS1_11comp_targetILNS1_3genE5ELNS1_11target_archE942ELNS1_3gpuE9ELNS1_3repE0EEENS1_47radix_sort_onesweep_sort_config_static_selectorELNS0_4arch9wavefront6targetE1EEEvSE_
	.globl	_ZN7rocprim17ROCPRIM_400000_NS6detail17trampoline_kernelINS0_14default_configENS1_35radix_sort_onesweep_config_selectorImNS0_10empty_typeEEEZZNS1_29radix_sort_onesweep_iterationIS3_Lb1EPmS8_PS5_S9_mNS0_19identity_decomposerENS1_16block_id_wrapperIjLb0EEEEE10hipError_tT1_PNSt15iterator_traitsISE_E10value_typeET2_T3_PNSF_ISK_E10value_typeET4_T5_PSP_SQ_PNS1_23onesweep_lookback_stateEbbT6_jjT7_P12ihipStream_tbENKUlT_T0_SE_SJ_E_clIS8_S8_S9_S9_EEDaSX_SY_SE_SJ_EUlSX_E_NS1_11comp_targetILNS1_3genE5ELNS1_11target_archE942ELNS1_3gpuE9ELNS1_3repE0EEENS1_47radix_sort_onesweep_sort_config_static_selectorELNS0_4arch9wavefront6targetE1EEEvSE_
	.p2align	8
	.type	_ZN7rocprim17ROCPRIM_400000_NS6detail17trampoline_kernelINS0_14default_configENS1_35radix_sort_onesweep_config_selectorImNS0_10empty_typeEEEZZNS1_29radix_sort_onesweep_iterationIS3_Lb1EPmS8_PS5_S9_mNS0_19identity_decomposerENS1_16block_id_wrapperIjLb0EEEEE10hipError_tT1_PNSt15iterator_traitsISE_E10value_typeET2_T3_PNSF_ISK_E10value_typeET4_T5_PSP_SQ_PNS1_23onesweep_lookback_stateEbbT6_jjT7_P12ihipStream_tbENKUlT_T0_SE_SJ_E_clIS8_S8_S9_S9_EEDaSX_SY_SE_SJ_EUlSX_E_NS1_11comp_targetILNS1_3genE5ELNS1_11target_archE942ELNS1_3gpuE9ELNS1_3repE0EEENS1_47radix_sort_onesweep_sort_config_static_selectorELNS0_4arch9wavefront6targetE1EEEvSE_,@function
_ZN7rocprim17ROCPRIM_400000_NS6detail17trampoline_kernelINS0_14default_configENS1_35radix_sort_onesweep_config_selectorImNS0_10empty_typeEEEZZNS1_29radix_sort_onesweep_iterationIS3_Lb1EPmS8_PS5_S9_mNS0_19identity_decomposerENS1_16block_id_wrapperIjLb0EEEEE10hipError_tT1_PNSt15iterator_traitsISE_E10value_typeET2_T3_PNSF_ISK_E10value_typeET4_T5_PSP_SQ_PNS1_23onesweep_lookback_stateEbbT6_jjT7_P12ihipStream_tbENKUlT_T0_SE_SJ_E_clIS8_S8_S9_S9_EEDaSX_SY_SE_SJ_EUlSX_E_NS1_11comp_targetILNS1_3genE5ELNS1_11target_archE942ELNS1_3gpuE9ELNS1_3repE0EEENS1_47radix_sort_onesweep_sort_config_static_selectorELNS0_4arch9wavefront6targetE1EEEvSE_: ; @_ZN7rocprim17ROCPRIM_400000_NS6detail17trampoline_kernelINS0_14default_configENS1_35radix_sort_onesweep_config_selectorImNS0_10empty_typeEEEZZNS1_29radix_sort_onesweep_iterationIS3_Lb1EPmS8_PS5_S9_mNS0_19identity_decomposerENS1_16block_id_wrapperIjLb0EEEEE10hipError_tT1_PNSt15iterator_traitsISE_E10value_typeET2_T3_PNSF_ISK_E10value_typeET4_T5_PSP_SQ_PNS1_23onesweep_lookback_stateEbbT6_jjT7_P12ihipStream_tbENKUlT_T0_SE_SJ_E_clIS8_S8_S9_S9_EEDaSX_SY_SE_SJ_EUlSX_E_NS1_11comp_targetILNS1_3genE5ELNS1_11target_archE942ELNS1_3gpuE9ELNS1_3repE0EEENS1_47radix_sort_onesweep_sort_config_static_selectorELNS0_4arch9wavefront6targetE1EEEvSE_
; %bb.0:
	.section	.rodata,"a",@progbits
	.p2align	6, 0x0
	.amdhsa_kernel _ZN7rocprim17ROCPRIM_400000_NS6detail17trampoline_kernelINS0_14default_configENS1_35radix_sort_onesweep_config_selectorImNS0_10empty_typeEEEZZNS1_29radix_sort_onesweep_iterationIS3_Lb1EPmS8_PS5_S9_mNS0_19identity_decomposerENS1_16block_id_wrapperIjLb0EEEEE10hipError_tT1_PNSt15iterator_traitsISE_E10value_typeET2_T3_PNSF_ISK_E10value_typeET4_T5_PSP_SQ_PNS1_23onesweep_lookback_stateEbbT6_jjT7_P12ihipStream_tbENKUlT_T0_SE_SJ_E_clIS8_S8_S9_S9_EEDaSX_SY_SE_SJ_EUlSX_E_NS1_11comp_targetILNS1_3genE5ELNS1_11target_archE942ELNS1_3gpuE9ELNS1_3repE0EEENS1_47radix_sort_onesweep_sort_config_static_selectorELNS0_4arch9wavefront6targetE1EEEvSE_
		.amdhsa_group_segment_fixed_size 0
		.amdhsa_private_segment_fixed_size 0
		.amdhsa_kernarg_size 88
		.amdhsa_user_sgpr_count 6
		.amdhsa_user_sgpr_private_segment_buffer 1
		.amdhsa_user_sgpr_dispatch_ptr 0
		.amdhsa_user_sgpr_queue_ptr 0
		.amdhsa_user_sgpr_kernarg_segment_ptr 1
		.amdhsa_user_sgpr_dispatch_id 0
		.amdhsa_user_sgpr_flat_scratch_init 0
		.amdhsa_user_sgpr_kernarg_preload_length 0
		.amdhsa_user_sgpr_kernarg_preload_offset 0
		.amdhsa_user_sgpr_private_segment_size 0
		.amdhsa_uses_dynamic_stack 0
		.amdhsa_system_sgpr_private_segment_wavefront_offset 0
		.amdhsa_system_sgpr_workgroup_id_x 1
		.amdhsa_system_sgpr_workgroup_id_y 0
		.amdhsa_system_sgpr_workgroup_id_z 0
		.amdhsa_system_sgpr_workgroup_info 0
		.amdhsa_system_vgpr_workitem_id 0
		.amdhsa_next_free_vgpr 1
		.amdhsa_next_free_sgpr 0
		.amdhsa_accum_offset 4
		.amdhsa_reserve_vcc 0
		.amdhsa_reserve_flat_scratch 0
		.amdhsa_float_round_mode_32 0
		.amdhsa_float_round_mode_16_64 0
		.amdhsa_float_denorm_mode_32 3
		.amdhsa_float_denorm_mode_16_64 3
		.amdhsa_dx10_clamp 1
		.amdhsa_ieee_mode 1
		.amdhsa_fp16_overflow 0
		.amdhsa_tg_split 0
		.amdhsa_exception_fp_ieee_invalid_op 0
		.amdhsa_exception_fp_denorm_src 0
		.amdhsa_exception_fp_ieee_div_zero 0
		.amdhsa_exception_fp_ieee_overflow 0
		.amdhsa_exception_fp_ieee_underflow 0
		.amdhsa_exception_fp_ieee_inexact 0
		.amdhsa_exception_int_div_zero 0
	.end_amdhsa_kernel
	.section	.text._ZN7rocprim17ROCPRIM_400000_NS6detail17trampoline_kernelINS0_14default_configENS1_35radix_sort_onesweep_config_selectorImNS0_10empty_typeEEEZZNS1_29radix_sort_onesweep_iterationIS3_Lb1EPmS8_PS5_S9_mNS0_19identity_decomposerENS1_16block_id_wrapperIjLb0EEEEE10hipError_tT1_PNSt15iterator_traitsISE_E10value_typeET2_T3_PNSF_ISK_E10value_typeET4_T5_PSP_SQ_PNS1_23onesweep_lookback_stateEbbT6_jjT7_P12ihipStream_tbENKUlT_T0_SE_SJ_E_clIS8_S8_S9_S9_EEDaSX_SY_SE_SJ_EUlSX_E_NS1_11comp_targetILNS1_3genE5ELNS1_11target_archE942ELNS1_3gpuE9ELNS1_3repE0EEENS1_47radix_sort_onesweep_sort_config_static_selectorELNS0_4arch9wavefront6targetE1EEEvSE_,"axG",@progbits,_ZN7rocprim17ROCPRIM_400000_NS6detail17trampoline_kernelINS0_14default_configENS1_35radix_sort_onesweep_config_selectorImNS0_10empty_typeEEEZZNS1_29radix_sort_onesweep_iterationIS3_Lb1EPmS8_PS5_S9_mNS0_19identity_decomposerENS1_16block_id_wrapperIjLb0EEEEE10hipError_tT1_PNSt15iterator_traitsISE_E10value_typeET2_T3_PNSF_ISK_E10value_typeET4_T5_PSP_SQ_PNS1_23onesweep_lookback_stateEbbT6_jjT7_P12ihipStream_tbENKUlT_T0_SE_SJ_E_clIS8_S8_S9_S9_EEDaSX_SY_SE_SJ_EUlSX_E_NS1_11comp_targetILNS1_3genE5ELNS1_11target_archE942ELNS1_3gpuE9ELNS1_3repE0EEENS1_47radix_sort_onesweep_sort_config_static_selectorELNS0_4arch9wavefront6targetE1EEEvSE_,comdat
.Lfunc_end2302:
	.size	_ZN7rocprim17ROCPRIM_400000_NS6detail17trampoline_kernelINS0_14default_configENS1_35radix_sort_onesweep_config_selectorImNS0_10empty_typeEEEZZNS1_29radix_sort_onesweep_iterationIS3_Lb1EPmS8_PS5_S9_mNS0_19identity_decomposerENS1_16block_id_wrapperIjLb0EEEEE10hipError_tT1_PNSt15iterator_traitsISE_E10value_typeET2_T3_PNSF_ISK_E10value_typeET4_T5_PSP_SQ_PNS1_23onesweep_lookback_stateEbbT6_jjT7_P12ihipStream_tbENKUlT_T0_SE_SJ_E_clIS8_S8_S9_S9_EEDaSX_SY_SE_SJ_EUlSX_E_NS1_11comp_targetILNS1_3genE5ELNS1_11target_archE942ELNS1_3gpuE9ELNS1_3repE0EEENS1_47radix_sort_onesweep_sort_config_static_selectorELNS0_4arch9wavefront6targetE1EEEvSE_, .Lfunc_end2302-_ZN7rocprim17ROCPRIM_400000_NS6detail17trampoline_kernelINS0_14default_configENS1_35radix_sort_onesweep_config_selectorImNS0_10empty_typeEEEZZNS1_29radix_sort_onesweep_iterationIS3_Lb1EPmS8_PS5_S9_mNS0_19identity_decomposerENS1_16block_id_wrapperIjLb0EEEEE10hipError_tT1_PNSt15iterator_traitsISE_E10value_typeET2_T3_PNSF_ISK_E10value_typeET4_T5_PSP_SQ_PNS1_23onesweep_lookback_stateEbbT6_jjT7_P12ihipStream_tbENKUlT_T0_SE_SJ_E_clIS8_S8_S9_S9_EEDaSX_SY_SE_SJ_EUlSX_E_NS1_11comp_targetILNS1_3genE5ELNS1_11target_archE942ELNS1_3gpuE9ELNS1_3repE0EEENS1_47radix_sort_onesweep_sort_config_static_selectorELNS0_4arch9wavefront6targetE1EEEvSE_
                                        ; -- End function
	.section	.AMDGPU.csdata,"",@progbits
; Kernel info:
; codeLenInByte = 0
; NumSgprs: 4
; NumVgprs: 0
; NumAgprs: 0
; TotalNumVgprs: 0
; ScratchSize: 0
; MemoryBound: 0
; FloatMode: 240
; IeeeMode: 1
; LDSByteSize: 0 bytes/workgroup (compile time only)
; SGPRBlocks: 0
; VGPRBlocks: 0
; NumSGPRsForWavesPerEU: 4
; NumVGPRsForWavesPerEU: 1
; AccumOffset: 4
; Occupancy: 8
; WaveLimiterHint : 0
; COMPUTE_PGM_RSRC2:SCRATCH_EN: 0
; COMPUTE_PGM_RSRC2:USER_SGPR: 6
; COMPUTE_PGM_RSRC2:TRAP_HANDLER: 0
; COMPUTE_PGM_RSRC2:TGID_X_EN: 1
; COMPUTE_PGM_RSRC2:TGID_Y_EN: 0
; COMPUTE_PGM_RSRC2:TGID_Z_EN: 0
; COMPUTE_PGM_RSRC2:TIDIG_COMP_CNT: 0
; COMPUTE_PGM_RSRC3_GFX90A:ACCUM_OFFSET: 0
; COMPUTE_PGM_RSRC3_GFX90A:TG_SPLIT: 0
	.section	.text._ZN7rocprim17ROCPRIM_400000_NS6detail17trampoline_kernelINS0_14default_configENS1_35radix_sort_onesweep_config_selectorImNS0_10empty_typeEEEZZNS1_29radix_sort_onesweep_iterationIS3_Lb1EPmS8_PS5_S9_mNS0_19identity_decomposerENS1_16block_id_wrapperIjLb0EEEEE10hipError_tT1_PNSt15iterator_traitsISE_E10value_typeET2_T3_PNSF_ISK_E10value_typeET4_T5_PSP_SQ_PNS1_23onesweep_lookback_stateEbbT6_jjT7_P12ihipStream_tbENKUlT_T0_SE_SJ_E_clIS8_S8_S9_S9_EEDaSX_SY_SE_SJ_EUlSX_E_NS1_11comp_targetILNS1_3genE2ELNS1_11target_archE906ELNS1_3gpuE6ELNS1_3repE0EEENS1_47radix_sort_onesweep_sort_config_static_selectorELNS0_4arch9wavefront6targetE1EEEvSE_,"axG",@progbits,_ZN7rocprim17ROCPRIM_400000_NS6detail17trampoline_kernelINS0_14default_configENS1_35radix_sort_onesweep_config_selectorImNS0_10empty_typeEEEZZNS1_29radix_sort_onesweep_iterationIS3_Lb1EPmS8_PS5_S9_mNS0_19identity_decomposerENS1_16block_id_wrapperIjLb0EEEEE10hipError_tT1_PNSt15iterator_traitsISE_E10value_typeET2_T3_PNSF_ISK_E10value_typeET4_T5_PSP_SQ_PNS1_23onesweep_lookback_stateEbbT6_jjT7_P12ihipStream_tbENKUlT_T0_SE_SJ_E_clIS8_S8_S9_S9_EEDaSX_SY_SE_SJ_EUlSX_E_NS1_11comp_targetILNS1_3genE2ELNS1_11target_archE906ELNS1_3gpuE6ELNS1_3repE0EEENS1_47radix_sort_onesweep_sort_config_static_selectorELNS0_4arch9wavefront6targetE1EEEvSE_,comdat
	.protected	_ZN7rocprim17ROCPRIM_400000_NS6detail17trampoline_kernelINS0_14default_configENS1_35radix_sort_onesweep_config_selectorImNS0_10empty_typeEEEZZNS1_29radix_sort_onesweep_iterationIS3_Lb1EPmS8_PS5_S9_mNS0_19identity_decomposerENS1_16block_id_wrapperIjLb0EEEEE10hipError_tT1_PNSt15iterator_traitsISE_E10value_typeET2_T3_PNSF_ISK_E10value_typeET4_T5_PSP_SQ_PNS1_23onesweep_lookback_stateEbbT6_jjT7_P12ihipStream_tbENKUlT_T0_SE_SJ_E_clIS8_S8_S9_S9_EEDaSX_SY_SE_SJ_EUlSX_E_NS1_11comp_targetILNS1_3genE2ELNS1_11target_archE906ELNS1_3gpuE6ELNS1_3repE0EEENS1_47radix_sort_onesweep_sort_config_static_selectorELNS0_4arch9wavefront6targetE1EEEvSE_ ; -- Begin function _ZN7rocprim17ROCPRIM_400000_NS6detail17trampoline_kernelINS0_14default_configENS1_35radix_sort_onesweep_config_selectorImNS0_10empty_typeEEEZZNS1_29radix_sort_onesweep_iterationIS3_Lb1EPmS8_PS5_S9_mNS0_19identity_decomposerENS1_16block_id_wrapperIjLb0EEEEE10hipError_tT1_PNSt15iterator_traitsISE_E10value_typeET2_T3_PNSF_ISK_E10value_typeET4_T5_PSP_SQ_PNS1_23onesweep_lookback_stateEbbT6_jjT7_P12ihipStream_tbENKUlT_T0_SE_SJ_E_clIS8_S8_S9_S9_EEDaSX_SY_SE_SJ_EUlSX_E_NS1_11comp_targetILNS1_3genE2ELNS1_11target_archE906ELNS1_3gpuE6ELNS1_3repE0EEENS1_47radix_sort_onesweep_sort_config_static_selectorELNS0_4arch9wavefront6targetE1EEEvSE_
	.globl	_ZN7rocprim17ROCPRIM_400000_NS6detail17trampoline_kernelINS0_14default_configENS1_35radix_sort_onesweep_config_selectorImNS0_10empty_typeEEEZZNS1_29radix_sort_onesweep_iterationIS3_Lb1EPmS8_PS5_S9_mNS0_19identity_decomposerENS1_16block_id_wrapperIjLb0EEEEE10hipError_tT1_PNSt15iterator_traitsISE_E10value_typeET2_T3_PNSF_ISK_E10value_typeET4_T5_PSP_SQ_PNS1_23onesweep_lookback_stateEbbT6_jjT7_P12ihipStream_tbENKUlT_T0_SE_SJ_E_clIS8_S8_S9_S9_EEDaSX_SY_SE_SJ_EUlSX_E_NS1_11comp_targetILNS1_3genE2ELNS1_11target_archE906ELNS1_3gpuE6ELNS1_3repE0EEENS1_47radix_sort_onesweep_sort_config_static_selectorELNS0_4arch9wavefront6targetE1EEEvSE_
	.p2align	8
	.type	_ZN7rocprim17ROCPRIM_400000_NS6detail17trampoline_kernelINS0_14default_configENS1_35radix_sort_onesweep_config_selectorImNS0_10empty_typeEEEZZNS1_29radix_sort_onesweep_iterationIS3_Lb1EPmS8_PS5_S9_mNS0_19identity_decomposerENS1_16block_id_wrapperIjLb0EEEEE10hipError_tT1_PNSt15iterator_traitsISE_E10value_typeET2_T3_PNSF_ISK_E10value_typeET4_T5_PSP_SQ_PNS1_23onesweep_lookback_stateEbbT6_jjT7_P12ihipStream_tbENKUlT_T0_SE_SJ_E_clIS8_S8_S9_S9_EEDaSX_SY_SE_SJ_EUlSX_E_NS1_11comp_targetILNS1_3genE2ELNS1_11target_archE906ELNS1_3gpuE6ELNS1_3repE0EEENS1_47radix_sort_onesweep_sort_config_static_selectorELNS0_4arch9wavefront6targetE1EEEvSE_,@function
_ZN7rocprim17ROCPRIM_400000_NS6detail17trampoline_kernelINS0_14default_configENS1_35radix_sort_onesweep_config_selectorImNS0_10empty_typeEEEZZNS1_29radix_sort_onesweep_iterationIS3_Lb1EPmS8_PS5_S9_mNS0_19identity_decomposerENS1_16block_id_wrapperIjLb0EEEEE10hipError_tT1_PNSt15iterator_traitsISE_E10value_typeET2_T3_PNSF_ISK_E10value_typeET4_T5_PSP_SQ_PNS1_23onesweep_lookback_stateEbbT6_jjT7_P12ihipStream_tbENKUlT_T0_SE_SJ_E_clIS8_S8_S9_S9_EEDaSX_SY_SE_SJ_EUlSX_E_NS1_11comp_targetILNS1_3genE2ELNS1_11target_archE906ELNS1_3gpuE6ELNS1_3repE0EEENS1_47radix_sort_onesweep_sort_config_static_selectorELNS0_4arch9wavefront6targetE1EEEvSE_: ; @_ZN7rocprim17ROCPRIM_400000_NS6detail17trampoline_kernelINS0_14default_configENS1_35radix_sort_onesweep_config_selectorImNS0_10empty_typeEEEZZNS1_29radix_sort_onesweep_iterationIS3_Lb1EPmS8_PS5_S9_mNS0_19identity_decomposerENS1_16block_id_wrapperIjLb0EEEEE10hipError_tT1_PNSt15iterator_traitsISE_E10value_typeET2_T3_PNSF_ISK_E10value_typeET4_T5_PSP_SQ_PNS1_23onesweep_lookback_stateEbbT6_jjT7_P12ihipStream_tbENKUlT_T0_SE_SJ_E_clIS8_S8_S9_S9_EEDaSX_SY_SE_SJ_EUlSX_E_NS1_11comp_targetILNS1_3genE2ELNS1_11target_archE906ELNS1_3gpuE6ELNS1_3repE0EEENS1_47radix_sort_onesweep_sort_config_static_selectorELNS0_4arch9wavefront6targetE1EEEvSE_
; %bb.0:
	.section	.rodata,"a",@progbits
	.p2align	6, 0x0
	.amdhsa_kernel _ZN7rocprim17ROCPRIM_400000_NS6detail17trampoline_kernelINS0_14default_configENS1_35radix_sort_onesweep_config_selectorImNS0_10empty_typeEEEZZNS1_29radix_sort_onesweep_iterationIS3_Lb1EPmS8_PS5_S9_mNS0_19identity_decomposerENS1_16block_id_wrapperIjLb0EEEEE10hipError_tT1_PNSt15iterator_traitsISE_E10value_typeET2_T3_PNSF_ISK_E10value_typeET4_T5_PSP_SQ_PNS1_23onesweep_lookback_stateEbbT6_jjT7_P12ihipStream_tbENKUlT_T0_SE_SJ_E_clIS8_S8_S9_S9_EEDaSX_SY_SE_SJ_EUlSX_E_NS1_11comp_targetILNS1_3genE2ELNS1_11target_archE906ELNS1_3gpuE6ELNS1_3repE0EEENS1_47radix_sort_onesweep_sort_config_static_selectorELNS0_4arch9wavefront6targetE1EEEvSE_
		.amdhsa_group_segment_fixed_size 0
		.amdhsa_private_segment_fixed_size 0
		.amdhsa_kernarg_size 88
		.amdhsa_user_sgpr_count 6
		.amdhsa_user_sgpr_private_segment_buffer 1
		.amdhsa_user_sgpr_dispatch_ptr 0
		.amdhsa_user_sgpr_queue_ptr 0
		.amdhsa_user_sgpr_kernarg_segment_ptr 1
		.amdhsa_user_sgpr_dispatch_id 0
		.amdhsa_user_sgpr_flat_scratch_init 0
		.amdhsa_user_sgpr_kernarg_preload_length 0
		.amdhsa_user_sgpr_kernarg_preload_offset 0
		.amdhsa_user_sgpr_private_segment_size 0
		.amdhsa_uses_dynamic_stack 0
		.amdhsa_system_sgpr_private_segment_wavefront_offset 0
		.amdhsa_system_sgpr_workgroup_id_x 1
		.amdhsa_system_sgpr_workgroup_id_y 0
		.amdhsa_system_sgpr_workgroup_id_z 0
		.amdhsa_system_sgpr_workgroup_info 0
		.amdhsa_system_vgpr_workitem_id 0
		.amdhsa_next_free_vgpr 1
		.amdhsa_next_free_sgpr 0
		.amdhsa_accum_offset 4
		.amdhsa_reserve_vcc 0
		.amdhsa_reserve_flat_scratch 0
		.amdhsa_float_round_mode_32 0
		.amdhsa_float_round_mode_16_64 0
		.amdhsa_float_denorm_mode_32 3
		.amdhsa_float_denorm_mode_16_64 3
		.amdhsa_dx10_clamp 1
		.amdhsa_ieee_mode 1
		.amdhsa_fp16_overflow 0
		.amdhsa_tg_split 0
		.amdhsa_exception_fp_ieee_invalid_op 0
		.amdhsa_exception_fp_denorm_src 0
		.amdhsa_exception_fp_ieee_div_zero 0
		.amdhsa_exception_fp_ieee_overflow 0
		.amdhsa_exception_fp_ieee_underflow 0
		.amdhsa_exception_fp_ieee_inexact 0
		.amdhsa_exception_int_div_zero 0
	.end_amdhsa_kernel
	.section	.text._ZN7rocprim17ROCPRIM_400000_NS6detail17trampoline_kernelINS0_14default_configENS1_35radix_sort_onesweep_config_selectorImNS0_10empty_typeEEEZZNS1_29radix_sort_onesweep_iterationIS3_Lb1EPmS8_PS5_S9_mNS0_19identity_decomposerENS1_16block_id_wrapperIjLb0EEEEE10hipError_tT1_PNSt15iterator_traitsISE_E10value_typeET2_T3_PNSF_ISK_E10value_typeET4_T5_PSP_SQ_PNS1_23onesweep_lookback_stateEbbT6_jjT7_P12ihipStream_tbENKUlT_T0_SE_SJ_E_clIS8_S8_S9_S9_EEDaSX_SY_SE_SJ_EUlSX_E_NS1_11comp_targetILNS1_3genE2ELNS1_11target_archE906ELNS1_3gpuE6ELNS1_3repE0EEENS1_47radix_sort_onesweep_sort_config_static_selectorELNS0_4arch9wavefront6targetE1EEEvSE_,"axG",@progbits,_ZN7rocprim17ROCPRIM_400000_NS6detail17trampoline_kernelINS0_14default_configENS1_35radix_sort_onesweep_config_selectorImNS0_10empty_typeEEEZZNS1_29radix_sort_onesweep_iterationIS3_Lb1EPmS8_PS5_S9_mNS0_19identity_decomposerENS1_16block_id_wrapperIjLb0EEEEE10hipError_tT1_PNSt15iterator_traitsISE_E10value_typeET2_T3_PNSF_ISK_E10value_typeET4_T5_PSP_SQ_PNS1_23onesweep_lookback_stateEbbT6_jjT7_P12ihipStream_tbENKUlT_T0_SE_SJ_E_clIS8_S8_S9_S9_EEDaSX_SY_SE_SJ_EUlSX_E_NS1_11comp_targetILNS1_3genE2ELNS1_11target_archE906ELNS1_3gpuE6ELNS1_3repE0EEENS1_47radix_sort_onesweep_sort_config_static_selectorELNS0_4arch9wavefront6targetE1EEEvSE_,comdat
.Lfunc_end2303:
	.size	_ZN7rocprim17ROCPRIM_400000_NS6detail17trampoline_kernelINS0_14default_configENS1_35radix_sort_onesweep_config_selectorImNS0_10empty_typeEEEZZNS1_29radix_sort_onesweep_iterationIS3_Lb1EPmS8_PS5_S9_mNS0_19identity_decomposerENS1_16block_id_wrapperIjLb0EEEEE10hipError_tT1_PNSt15iterator_traitsISE_E10value_typeET2_T3_PNSF_ISK_E10value_typeET4_T5_PSP_SQ_PNS1_23onesweep_lookback_stateEbbT6_jjT7_P12ihipStream_tbENKUlT_T0_SE_SJ_E_clIS8_S8_S9_S9_EEDaSX_SY_SE_SJ_EUlSX_E_NS1_11comp_targetILNS1_3genE2ELNS1_11target_archE906ELNS1_3gpuE6ELNS1_3repE0EEENS1_47radix_sort_onesweep_sort_config_static_selectorELNS0_4arch9wavefront6targetE1EEEvSE_, .Lfunc_end2303-_ZN7rocprim17ROCPRIM_400000_NS6detail17trampoline_kernelINS0_14default_configENS1_35radix_sort_onesweep_config_selectorImNS0_10empty_typeEEEZZNS1_29radix_sort_onesweep_iterationIS3_Lb1EPmS8_PS5_S9_mNS0_19identity_decomposerENS1_16block_id_wrapperIjLb0EEEEE10hipError_tT1_PNSt15iterator_traitsISE_E10value_typeET2_T3_PNSF_ISK_E10value_typeET4_T5_PSP_SQ_PNS1_23onesweep_lookback_stateEbbT6_jjT7_P12ihipStream_tbENKUlT_T0_SE_SJ_E_clIS8_S8_S9_S9_EEDaSX_SY_SE_SJ_EUlSX_E_NS1_11comp_targetILNS1_3genE2ELNS1_11target_archE906ELNS1_3gpuE6ELNS1_3repE0EEENS1_47radix_sort_onesweep_sort_config_static_selectorELNS0_4arch9wavefront6targetE1EEEvSE_
                                        ; -- End function
	.section	.AMDGPU.csdata,"",@progbits
; Kernel info:
; codeLenInByte = 0
; NumSgprs: 4
; NumVgprs: 0
; NumAgprs: 0
; TotalNumVgprs: 0
; ScratchSize: 0
; MemoryBound: 0
; FloatMode: 240
; IeeeMode: 1
; LDSByteSize: 0 bytes/workgroup (compile time only)
; SGPRBlocks: 0
; VGPRBlocks: 0
; NumSGPRsForWavesPerEU: 4
; NumVGPRsForWavesPerEU: 1
; AccumOffset: 4
; Occupancy: 8
; WaveLimiterHint : 0
; COMPUTE_PGM_RSRC2:SCRATCH_EN: 0
; COMPUTE_PGM_RSRC2:USER_SGPR: 6
; COMPUTE_PGM_RSRC2:TRAP_HANDLER: 0
; COMPUTE_PGM_RSRC2:TGID_X_EN: 1
; COMPUTE_PGM_RSRC2:TGID_Y_EN: 0
; COMPUTE_PGM_RSRC2:TGID_Z_EN: 0
; COMPUTE_PGM_RSRC2:TIDIG_COMP_CNT: 0
; COMPUTE_PGM_RSRC3_GFX90A:ACCUM_OFFSET: 0
; COMPUTE_PGM_RSRC3_GFX90A:TG_SPLIT: 0
	.section	.text._ZN7rocprim17ROCPRIM_400000_NS6detail17trampoline_kernelINS0_14default_configENS1_35radix_sort_onesweep_config_selectorImNS0_10empty_typeEEEZZNS1_29radix_sort_onesweep_iterationIS3_Lb1EPmS8_PS5_S9_mNS0_19identity_decomposerENS1_16block_id_wrapperIjLb0EEEEE10hipError_tT1_PNSt15iterator_traitsISE_E10value_typeET2_T3_PNSF_ISK_E10value_typeET4_T5_PSP_SQ_PNS1_23onesweep_lookback_stateEbbT6_jjT7_P12ihipStream_tbENKUlT_T0_SE_SJ_E_clIS8_S8_S9_S9_EEDaSX_SY_SE_SJ_EUlSX_E_NS1_11comp_targetILNS1_3genE4ELNS1_11target_archE910ELNS1_3gpuE8ELNS1_3repE0EEENS1_47radix_sort_onesweep_sort_config_static_selectorELNS0_4arch9wavefront6targetE1EEEvSE_,"axG",@progbits,_ZN7rocprim17ROCPRIM_400000_NS6detail17trampoline_kernelINS0_14default_configENS1_35radix_sort_onesweep_config_selectorImNS0_10empty_typeEEEZZNS1_29radix_sort_onesweep_iterationIS3_Lb1EPmS8_PS5_S9_mNS0_19identity_decomposerENS1_16block_id_wrapperIjLb0EEEEE10hipError_tT1_PNSt15iterator_traitsISE_E10value_typeET2_T3_PNSF_ISK_E10value_typeET4_T5_PSP_SQ_PNS1_23onesweep_lookback_stateEbbT6_jjT7_P12ihipStream_tbENKUlT_T0_SE_SJ_E_clIS8_S8_S9_S9_EEDaSX_SY_SE_SJ_EUlSX_E_NS1_11comp_targetILNS1_3genE4ELNS1_11target_archE910ELNS1_3gpuE8ELNS1_3repE0EEENS1_47radix_sort_onesweep_sort_config_static_selectorELNS0_4arch9wavefront6targetE1EEEvSE_,comdat
	.protected	_ZN7rocprim17ROCPRIM_400000_NS6detail17trampoline_kernelINS0_14default_configENS1_35radix_sort_onesweep_config_selectorImNS0_10empty_typeEEEZZNS1_29radix_sort_onesweep_iterationIS3_Lb1EPmS8_PS5_S9_mNS0_19identity_decomposerENS1_16block_id_wrapperIjLb0EEEEE10hipError_tT1_PNSt15iterator_traitsISE_E10value_typeET2_T3_PNSF_ISK_E10value_typeET4_T5_PSP_SQ_PNS1_23onesweep_lookback_stateEbbT6_jjT7_P12ihipStream_tbENKUlT_T0_SE_SJ_E_clIS8_S8_S9_S9_EEDaSX_SY_SE_SJ_EUlSX_E_NS1_11comp_targetILNS1_3genE4ELNS1_11target_archE910ELNS1_3gpuE8ELNS1_3repE0EEENS1_47radix_sort_onesweep_sort_config_static_selectorELNS0_4arch9wavefront6targetE1EEEvSE_ ; -- Begin function _ZN7rocprim17ROCPRIM_400000_NS6detail17trampoline_kernelINS0_14default_configENS1_35radix_sort_onesweep_config_selectorImNS0_10empty_typeEEEZZNS1_29radix_sort_onesweep_iterationIS3_Lb1EPmS8_PS5_S9_mNS0_19identity_decomposerENS1_16block_id_wrapperIjLb0EEEEE10hipError_tT1_PNSt15iterator_traitsISE_E10value_typeET2_T3_PNSF_ISK_E10value_typeET4_T5_PSP_SQ_PNS1_23onesweep_lookback_stateEbbT6_jjT7_P12ihipStream_tbENKUlT_T0_SE_SJ_E_clIS8_S8_S9_S9_EEDaSX_SY_SE_SJ_EUlSX_E_NS1_11comp_targetILNS1_3genE4ELNS1_11target_archE910ELNS1_3gpuE8ELNS1_3repE0EEENS1_47radix_sort_onesweep_sort_config_static_selectorELNS0_4arch9wavefront6targetE1EEEvSE_
	.globl	_ZN7rocprim17ROCPRIM_400000_NS6detail17trampoline_kernelINS0_14default_configENS1_35radix_sort_onesweep_config_selectorImNS0_10empty_typeEEEZZNS1_29radix_sort_onesweep_iterationIS3_Lb1EPmS8_PS5_S9_mNS0_19identity_decomposerENS1_16block_id_wrapperIjLb0EEEEE10hipError_tT1_PNSt15iterator_traitsISE_E10value_typeET2_T3_PNSF_ISK_E10value_typeET4_T5_PSP_SQ_PNS1_23onesweep_lookback_stateEbbT6_jjT7_P12ihipStream_tbENKUlT_T0_SE_SJ_E_clIS8_S8_S9_S9_EEDaSX_SY_SE_SJ_EUlSX_E_NS1_11comp_targetILNS1_3genE4ELNS1_11target_archE910ELNS1_3gpuE8ELNS1_3repE0EEENS1_47radix_sort_onesweep_sort_config_static_selectorELNS0_4arch9wavefront6targetE1EEEvSE_
	.p2align	8
	.type	_ZN7rocprim17ROCPRIM_400000_NS6detail17trampoline_kernelINS0_14default_configENS1_35radix_sort_onesweep_config_selectorImNS0_10empty_typeEEEZZNS1_29radix_sort_onesweep_iterationIS3_Lb1EPmS8_PS5_S9_mNS0_19identity_decomposerENS1_16block_id_wrapperIjLb0EEEEE10hipError_tT1_PNSt15iterator_traitsISE_E10value_typeET2_T3_PNSF_ISK_E10value_typeET4_T5_PSP_SQ_PNS1_23onesweep_lookback_stateEbbT6_jjT7_P12ihipStream_tbENKUlT_T0_SE_SJ_E_clIS8_S8_S9_S9_EEDaSX_SY_SE_SJ_EUlSX_E_NS1_11comp_targetILNS1_3genE4ELNS1_11target_archE910ELNS1_3gpuE8ELNS1_3repE0EEENS1_47radix_sort_onesweep_sort_config_static_selectorELNS0_4arch9wavefront6targetE1EEEvSE_,@function
_ZN7rocprim17ROCPRIM_400000_NS6detail17trampoline_kernelINS0_14default_configENS1_35radix_sort_onesweep_config_selectorImNS0_10empty_typeEEEZZNS1_29radix_sort_onesweep_iterationIS3_Lb1EPmS8_PS5_S9_mNS0_19identity_decomposerENS1_16block_id_wrapperIjLb0EEEEE10hipError_tT1_PNSt15iterator_traitsISE_E10value_typeET2_T3_PNSF_ISK_E10value_typeET4_T5_PSP_SQ_PNS1_23onesweep_lookback_stateEbbT6_jjT7_P12ihipStream_tbENKUlT_T0_SE_SJ_E_clIS8_S8_S9_S9_EEDaSX_SY_SE_SJ_EUlSX_E_NS1_11comp_targetILNS1_3genE4ELNS1_11target_archE910ELNS1_3gpuE8ELNS1_3repE0EEENS1_47radix_sort_onesweep_sort_config_static_selectorELNS0_4arch9wavefront6targetE1EEEvSE_: ; @_ZN7rocprim17ROCPRIM_400000_NS6detail17trampoline_kernelINS0_14default_configENS1_35radix_sort_onesweep_config_selectorImNS0_10empty_typeEEEZZNS1_29radix_sort_onesweep_iterationIS3_Lb1EPmS8_PS5_S9_mNS0_19identity_decomposerENS1_16block_id_wrapperIjLb0EEEEE10hipError_tT1_PNSt15iterator_traitsISE_E10value_typeET2_T3_PNSF_ISK_E10value_typeET4_T5_PSP_SQ_PNS1_23onesweep_lookback_stateEbbT6_jjT7_P12ihipStream_tbENKUlT_T0_SE_SJ_E_clIS8_S8_S9_S9_EEDaSX_SY_SE_SJ_EUlSX_E_NS1_11comp_targetILNS1_3genE4ELNS1_11target_archE910ELNS1_3gpuE8ELNS1_3repE0EEENS1_47radix_sort_onesweep_sort_config_static_selectorELNS0_4arch9wavefront6targetE1EEEvSE_
; %bb.0:
	s_load_dwordx2 s[24:25], s[4:5], 0x38
	s_load_dwordx4 s[16:19], s[4:5], 0x44
	s_load_dwordx4 s[20:23], s[4:5], 0x0
	;; [unrolled: 1-line block ×3, first 2 shown]
	v_mbcnt_lo_u32_b32 v28, -1, 0
	s_waitcnt lgkmcnt(0)
	s_cmp_ge_u32 s6, s18
	s_cbranch_scc0 .LBB2304_61
; %bb.1:
	s_load_dword s2, s[4:5], 0x20
	s_lshl_b32 s3, s18, 13
	s_lshl_b32 s0, s6, 13
	s_mov_b32 s1, 0
	s_lshl_b64 s[0:1], s[0:1], 3
	s_waitcnt lgkmcnt(0)
	s_sub_i32 s7, s2, s3
	v_mbcnt_hi_u32_b32 v1, -1, v28
	v_and_b32_e32 v2, 0x3ff, v0
	s_add_u32 s0, s20, s0
	v_and_b32_e32 v3, 63, v1
	s_addc_u32 s1, s21, s1
	v_lshlrev_b32_e32 v29, 3, v2
	v_lshlrev_b32_e32 v5, 3, v3
	v_and_b32_e32 v4, 0x1e00, v29
	v_mov_b32_e32 v6, s1
	v_add_co_u32_e32 v5, vcc, s0, v5
	v_addc_co_u32_e32 v6, vcc, 0, v6, vcc
	v_lshlrev_b32_e32 v7, 3, v4
	v_add_co_u32_e32 v20, vcc, v5, v7
	v_addc_co_u32_e32 v21, vcc, 0, v6, vcc
	v_or_b32_e32 v3, v3, v4
	v_pk_mov_b32 v[6:7], 0, 0
	v_cmp_gt_u32_e32 vcc, s7, v3
	v_pk_mov_b32 v[4:5], v[6:7], v[6:7] op_sel:[0,1]
	s_and_saveexec_b64 s[0:1], vcc
	s_cbranch_execz .LBB2304_3
; %bb.2:
	global_load_dwordx2 v[4:5], v[20:21], off
.LBB2304_3:
	s_or_b64 exec, exec, s[0:1]
	v_or_b32_e32 v8, 64, v3
	v_cmp_gt_u32_e32 vcc, s7, v8
	s_and_saveexec_b64 s[0:1], vcc
	s_cbranch_execz .LBB2304_5
; %bb.4:
	global_load_dwordx2 v[6:7], v[20:21], off offset:512
.LBB2304_5:
	s_or_b64 exec, exec, s[0:1]
	v_or_b32_e32 v8, 0x80, v3
	v_pk_mov_b32 v[10:11], 0, 0
	v_cmp_gt_u32_e32 vcc, s7, v8
	v_pk_mov_b32 v[8:9], v[10:11], v[10:11] op_sel:[0,1]
	s_and_saveexec_b64 s[0:1], vcc
	s_cbranch_execz .LBB2304_7
; %bb.6:
	global_load_dwordx2 v[8:9], v[20:21], off offset:1024
.LBB2304_7:
	s_or_b64 exec, exec, s[0:1]
	v_or_b32_e32 v12, 0xc0, v3
	v_cmp_gt_u32_e32 vcc, s7, v12
	s_and_saveexec_b64 s[0:1], vcc
	s_cbranch_execz .LBB2304_9
; %bb.8:
	global_load_dwordx2 v[10:11], v[20:21], off offset:1536
.LBB2304_9:
	s_or_b64 exec, exec, s[0:1]
	v_or_b32_e32 v12, 0x100, v3
	v_pk_mov_b32 v[16:17], 0, 0
	v_cmp_gt_u32_e32 vcc, s7, v12
	v_pk_mov_b32 v[12:13], v[16:17], v[16:17] op_sel:[0,1]
	s_and_saveexec_b64 s[0:1], vcc
	s_cbranch_execz .LBB2304_11
; %bb.10:
	global_load_dwordx2 v[12:13], v[20:21], off offset:2048
.LBB2304_11:
	s_or_b64 exec, exec, s[0:1]
	v_or_b32_e32 v14, 0x140, v3
	v_cmp_gt_u32_e32 vcc, s7, v14
	s_and_saveexec_b64 s[0:1], vcc
	s_cbranch_execz .LBB2304_13
; %bb.12:
	global_load_dwordx2 v[16:17], v[20:21], off offset:2560
.LBB2304_13:
	s_or_b64 exec, exec, s[0:1]
	v_or_b32_e32 v14, 0x180, v3
	v_cmp_gt_u32_e32 vcc, s7, v14
	v_pk_mov_b32 v[14:15], 0, 0
	v_pk_mov_b32 v[18:19], v[14:15], v[14:15] op_sel:[0,1]
	s_and_saveexec_b64 s[0:1], vcc
	s_cbranch_execz .LBB2304_15
; %bb.14:
	global_load_dwordx2 v[18:19], v[20:21], off offset:3072
.LBB2304_15:
	s_or_b64 exec, exec, s[0:1]
	v_or_b32_e32 v3, 0x1c0, v3
	v_cmp_gt_u32_e32 vcc, s7, v3
	s_and_saveexec_b64 s[0:1], vcc
	s_cbranch_execz .LBB2304_17
; %bb.16:
	global_load_dwordx2 v[14:15], v[20:21], off offset:3584
.LBB2304_17:
	s_or_b64 exec, exec, s[0:1]
	s_load_dword s0, s[4:5], 0x64
	s_load_dword s26, s[4:5], 0x58
	s_add_u32 s1, s4, 0x58
	s_addc_u32 s2, s5, 0
	v_mov_b32_e32 v20, 0
	s_waitcnt lgkmcnt(0)
	s_lshr_b32 s3, s0, 16
	s_cmp_lt_u32 s6, s26
	s_cselect_b32 s0, 12, 18
	s_add_u32 s0, s1, s0
	s_addc_u32 s1, s2, 0
	global_load_ushort v24, v20, s[0:1]
	s_waitcnt vmcnt(1)
	v_not_b32_e32 v5, v5
	v_not_b32_e32 v4, v4
	s_lshl_b32 s0, -1, s17
	v_lshrrev_b64 v[22:23], s16, v[4:5]
	s_not_b32 s27, s0
	v_and_b32_e32 v22, s27, v22
	v_and_b32_e32 v26, 1, v22
	v_bfe_u32 v21, v0, 10, 10
	v_bfe_u32 v25, v0, 20, 10
	v_add_co_u32_e32 v27, vcc, -1, v26
	v_mad_u32_u24 v23, v25, s3, v21
	v_lshlrev_b32_e32 v21, 30, v22
	v_addc_co_u32_e64 v30, s[0:1], 0, -1, vcc
	v_cmp_ne_u32_e32 vcc, 0, v26
	v_cmp_gt_i64_e64 s[0:1], 0, v[20:21]
	v_not_b32_e32 v26, v21
	v_lshlrev_b32_e32 v21, 29, v22
	v_xor_b32_e32 v30, vcc_hi, v30
	v_xor_b32_e32 v27, vcc_lo, v27
	v_ashrrev_i32_e32 v26, 31, v26
	v_cmp_gt_i64_e32 vcc, 0, v[20:21]
	v_not_b32_e32 v31, v21
	v_lshlrev_b32_e32 v21, 28, v22
	v_and_b32_e32 v30, exec_hi, v30
	v_and_b32_e32 v27, exec_lo, v27
	v_xor_b32_e32 v32, s1, v26
	v_xor_b32_e32 v26, s0, v26
	v_ashrrev_i32_e32 v31, 31, v31
	v_cmp_gt_i64_e64 s[0:1], 0, v[20:21]
	v_not_b32_e32 v33, v21
	v_lshlrev_b32_e32 v21, 27, v22
	v_and_b32_e32 v30, v30, v32
	v_and_b32_e32 v26, v27, v26
	v_xor_b32_e32 v27, vcc_hi, v31
	v_xor_b32_e32 v31, vcc_lo, v31
	v_ashrrev_i32_e32 v32, 31, v33
	v_cmp_gt_i64_e32 vcc, 0, v[20:21]
	v_not_b32_e32 v33, v21
	v_lshlrev_b32_e32 v21, 26, v22
	v_and_b32_e32 v27, v30, v27
	v_and_b32_e32 v26, v26, v31
	v_xor_b32_e32 v30, s1, v32
	v_xor_b32_e32 v31, s0, v32
	v_ashrrev_i32_e32 v32, 31, v33
	v_cmp_gt_i64_e64 s[0:1], 0, v[20:21]
	v_not_b32_e32 v33, v21
	v_lshlrev_b32_e32 v21, 25, v22
	v_and_b32_e32 v27, v27, v30
	v_and_b32_e32 v26, v26, v31
	v_xor_b32_e32 v30, vcc_hi, v32
	v_xor_b32_e32 v31, vcc_lo, v32
	v_ashrrev_i32_e32 v32, 31, v33
	v_not_b32_e32 v33, v21
	v_mul_u32_u24_e32 v3, 5, v2
	v_lshl_add_u32 v25, v22, 4, v22
	v_cmp_gt_i64_e32 vcc, 0, v[20:21]
	v_lshlrev_b32_e32 v21, 24, v22
	v_and_b32_e32 v22, v27, v30
	v_and_b32_e32 v26, v26, v31
	v_xor_b32_e32 v27, s1, v32
	v_ashrrev_i32_e32 v31, 31, v33
	v_lshlrev_b32_e32 v3, 2, v3
	v_xor_b32_e32 v30, s0, v32
	v_cmp_gt_i64_e64 s[0:1], 0, v[20:21]
	v_and_b32_e32 v22, v22, v27
	v_xor_b32_e32 v27, vcc_hi, v31
	v_not_b32_e32 v21, v21
	v_and_b32_e32 v26, v26, v30
	v_xor_b32_e32 v30, vcc_lo, v31
	v_and_b32_e32 v31, v22, v27
	v_ashrrev_i32_e32 v21, 31, v21
	v_and_b32_e32 v26, v26, v30
	ds_write2_b32 v3, v20, v20 offset0:16 offset1:17
	ds_write2_b32 v3, v20, v20 offset0:18 offset1:19
	ds_write_b32 v3, v20 offset:80
	s_waitcnt lgkmcnt(0)
	s_barrier
	s_waitcnt vmcnt(0)
	v_mad_u64_u32 v[22:23], s[2:3], v23, v24, v[2:3]
	v_lshrrev_b32_e32 v27, 6, v22
	v_xor_b32_e32 v22, s1, v21
	v_xor_b32_e32 v21, s0, v21
	v_and_b32_e32 v23, v31, v22
	v_and_b32_e32 v22, v26, v21
	v_mbcnt_lo_u32_b32 v21, v22, 0
	v_mbcnt_hi_u32_b32 v30, v23, v21
	v_cmp_eq_u32_e32 vcc, 0, v30
	v_cmp_ne_u64_e64 s[0:1], 0, v[22:23]
	v_add_lshl_u32 v24, v27, v25, 2
	s_and_b64 s[2:3], s[0:1], vcc
	; wave barrier
	s_and_saveexec_b64 s[0:1], s[2:3]
	s_cbranch_execz .LBB2304_19
; %bb.18:
	v_bcnt_u32_b32 v21, v22, 0
	v_bcnt_u32_b32 v21, v23, v21
	ds_write_b32 v24, v21 offset:64
.LBB2304_19:
	s_or_b64 exec, exec, s[0:1]
	v_not_b32_e32 v7, v7
	v_not_b32_e32 v6, v6
	v_lshrrev_b64 v[22:23], s16, v[6:7]
	v_and_b32_e32 v22, s27, v22
	v_lshl_add_u32 v21, v22, 4, v22
	v_add_lshl_u32 v25, v27, v21, 2
	v_and_b32_e32 v21, 1, v22
	v_add_co_u32_e32 v23, vcc, -1, v21
	v_addc_co_u32_e64 v26, s[0:1], 0, -1, vcc
	v_cmp_ne_u32_e32 vcc, 0, v21
	v_xor_b32_e32 v21, vcc_hi, v26
	v_and_b32_e32 v26, exec_hi, v21
	v_lshlrev_b32_e32 v21, 30, v22
	v_xor_b32_e32 v23, vcc_lo, v23
	v_cmp_gt_i64_e32 vcc, 0, v[20:21]
	v_not_b32_e32 v21, v21
	v_ashrrev_i32_e32 v21, 31, v21
	v_and_b32_e32 v23, exec_lo, v23
	v_xor_b32_e32 v32, vcc_hi, v21
	v_xor_b32_e32 v21, vcc_lo, v21
	v_and_b32_e32 v23, v23, v21
	v_lshlrev_b32_e32 v21, 29, v22
	v_cmp_gt_i64_e32 vcc, 0, v[20:21]
	v_not_b32_e32 v21, v21
	v_ashrrev_i32_e32 v21, 31, v21
	v_and_b32_e32 v26, v26, v32
	v_xor_b32_e32 v32, vcc_hi, v21
	v_xor_b32_e32 v21, vcc_lo, v21
	v_and_b32_e32 v23, v23, v21
	v_lshlrev_b32_e32 v21, 28, v22
	v_cmp_gt_i64_e32 vcc, 0, v[20:21]
	v_not_b32_e32 v21, v21
	v_ashrrev_i32_e32 v21, 31, v21
	v_and_b32_e32 v26, v26, v32
	;; [unrolled: 8-line block ×5, first 2 shown]
	v_xor_b32_e32 v32, vcc_hi, v21
	v_xor_b32_e32 v21, vcc_lo, v21
	v_and_b32_e32 v23, v23, v21
	v_lshlrev_b32_e32 v21, 24, v22
	v_cmp_gt_i64_e32 vcc, 0, v[20:21]
	v_not_b32_e32 v20, v21
	v_ashrrev_i32_e32 v20, 31, v20
	v_xor_b32_e32 v21, vcc_hi, v20
	v_xor_b32_e32 v20, vcc_lo, v20
	; wave barrier
	ds_read_b32 v31, v25 offset:64
	v_and_b32_e32 v26, v26, v32
	v_and_b32_e32 v20, v23, v20
	;; [unrolled: 1-line block ×3, first 2 shown]
	v_mbcnt_lo_u32_b32 v22, v20, 0
	v_mbcnt_hi_u32_b32 v32, v21, v22
	v_cmp_eq_u32_e32 vcc, 0, v32
	v_cmp_ne_u64_e64 s[0:1], 0, v[20:21]
	s_and_b64 s[2:3], s[0:1], vcc
	; wave barrier
	s_and_saveexec_b64 s[0:1], s[2:3]
	s_cbranch_execz .LBB2304_21
; %bb.20:
	v_bcnt_u32_b32 v20, v20, 0
	v_bcnt_u32_b32 v20, v21, v20
	s_waitcnt lgkmcnt(0)
	v_add_u32_e32 v20, v31, v20
	ds_write_b32 v25, v20 offset:64
.LBB2304_21:
	s_or_b64 exec, exec, s[0:1]
	v_not_b32_e32 v9, v9
	v_not_b32_e32 v8, v8
	v_lshrrev_b64 v[20:21], s16, v[8:9]
	v_and_b32_e32 v22, s27, v20
	v_and_b32_e32 v21, 1, v22
	v_add_co_u32_e32 v23, vcc, -1, v21
	v_addc_co_u32_e64 v34, s[0:1], 0, -1, vcc
	v_cmp_ne_u32_e32 vcc, 0, v21
	v_lshl_add_u32 v20, v22, 4, v22
	v_xor_b32_e32 v21, vcc_hi, v34
	v_add_lshl_u32 v26, v27, v20, 2
	v_mov_b32_e32 v20, 0
	v_and_b32_e32 v34, exec_hi, v21
	v_lshlrev_b32_e32 v21, 30, v22
	v_xor_b32_e32 v23, vcc_lo, v23
	v_cmp_gt_i64_e32 vcc, 0, v[20:21]
	v_not_b32_e32 v21, v21
	v_ashrrev_i32_e32 v21, 31, v21
	v_and_b32_e32 v23, exec_lo, v23
	v_xor_b32_e32 v35, vcc_hi, v21
	v_xor_b32_e32 v21, vcc_lo, v21
	v_and_b32_e32 v23, v23, v21
	v_lshlrev_b32_e32 v21, 29, v22
	v_cmp_gt_i64_e32 vcc, 0, v[20:21]
	v_not_b32_e32 v21, v21
	v_ashrrev_i32_e32 v21, 31, v21
	v_and_b32_e32 v34, v34, v35
	v_xor_b32_e32 v35, vcc_hi, v21
	v_xor_b32_e32 v21, vcc_lo, v21
	v_and_b32_e32 v23, v23, v21
	v_lshlrev_b32_e32 v21, 28, v22
	v_cmp_gt_i64_e32 vcc, 0, v[20:21]
	v_not_b32_e32 v21, v21
	v_ashrrev_i32_e32 v21, 31, v21
	v_and_b32_e32 v34, v34, v35
	;; [unrolled: 8-line block ×5, first 2 shown]
	v_xor_b32_e32 v35, vcc_hi, v21
	v_xor_b32_e32 v21, vcc_lo, v21
	v_and_b32_e32 v34, v34, v35
	v_and_b32_e32 v35, v23, v21
	v_lshlrev_b32_e32 v21, 24, v22
	v_cmp_gt_i64_e32 vcc, 0, v[20:21]
	v_not_b32_e32 v21, v21
	v_ashrrev_i32_e32 v21, 31, v21
	v_xor_b32_e32 v22, vcc_hi, v21
	v_xor_b32_e32 v21, vcc_lo, v21
	; wave barrier
	ds_read_b32 v33, v26 offset:64
	v_and_b32_e32 v23, v34, v22
	v_and_b32_e32 v22, v35, v21
	v_mbcnt_lo_u32_b32 v21, v22, 0
	v_mbcnt_hi_u32_b32 v34, v23, v21
	v_cmp_eq_u32_e32 vcc, 0, v34
	v_cmp_ne_u64_e64 s[0:1], 0, v[22:23]
	s_and_b64 s[2:3], s[0:1], vcc
	; wave barrier
	s_and_saveexec_b64 s[0:1], s[2:3]
	s_cbranch_execz .LBB2304_23
; %bb.22:
	v_bcnt_u32_b32 v21, v22, 0
	v_bcnt_u32_b32 v21, v23, v21
	s_waitcnt lgkmcnt(0)
	v_add_u32_e32 v21, v33, v21
	ds_write_b32 v26, v21 offset:64
.LBB2304_23:
	s_or_b64 exec, exec, s[0:1]
	v_not_b32_e32 v11, v11
	v_not_b32_e32 v10, v10
	v_lshrrev_b64 v[22:23], s16, v[10:11]
	v_and_b32_e32 v22, s27, v22
	v_lshl_add_u32 v21, v22, 4, v22
	v_add_lshl_u32 v38, v27, v21, 2
	v_and_b32_e32 v21, 1, v22
	v_add_co_u32_e32 v23, vcc, -1, v21
	v_addc_co_u32_e64 v36, s[0:1], 0, -1, vcc
	v_cmp_ne_u32_e32 vcc, 0, v21
	v_xor_b32_e32 v21, vcc_hi, v36
	v_and_b32_e32 v36, exec_hi, v21
	v_lshlrev_b32_e32 v21, 30, v22
	v_xor_b32_e32 v23, vcc_lo, v23
	v_cmp_gt_i64_e32 vcc, 0, v[20:21]
	v_not_b32_e32 v21, v21
	v_ashrrev_i32_e32 v21, 31, v21
	v_and_b32_e32 v23, exec_lo, v23
	v_xor_b32_e32 v37, vcc_hi, v21
	v_xor_b32_e32 v21, vcc_lo, v21
	v_and_b32_e32 v23, v23, v21
	v_lshlrev_b32_e32 v21, 29, v22
	v_cmp_gt_i64_e32 vcc, 0, v[20:21]
	v_not_b32_e32 v21, v21
	v_ashrrev_i32_e32 v21, 31, v21
	v_and_b32_e32 v36, v36, v37
	v_xor_b32_e32 v37, vcc_hi, v21
	v_xor_b32_e32 v21, vcc_lo, v21
	v_and_b32_e32 v23, v23, v21
	v_lshlrev_b32_e32 v21, 28, v22
	v_cmp_gt_i64_e32 vcc, 0, v[20:21]
	v_not_b32_e32 v21, v21
	v_ashrrev_i32_e32 v21, 31, v21
	v_and_b32_e32 v36, v36, v37
	;; [unrolled: 8-line block ×5, first 2 shown]
	v_xor_b32_e32 v37, vcc_hi, v21
	v_xor_b32_e32 v21, vcc_lo, v21
	v_and_b32_e32 v23, v23, v21
	v_lshlrev_b32_e32 v21, 24, v22
	v_cmp_gt_i64_e32 vcc, 0, v[20:21]
	v_not_b32_e32 v20, v21
	v_ashrrev_i32_e32 v20, 31, v20
	v_xor_b32_e32 v21, vcc_hi, v20
	v_xor_b32_e32 v20, vcc_lo, v20
	; wave barrier
	ds_read_b32 v35, v38 offset:64
	v_and_b32_e32 v36, v36, v37
	v_and_b32_e32 v20, v23, v20
	;; [unrolled: 1-line block ×3, first 2 shown]
	v_mbcnt_lo_u32_b32 v22, v20, 0
	v_mbcnt_hi_u32_b32 v36, v21, v22
	v_cmp_eq_u32_e32 vcc, 0, v36
	v_cmp_ne_u64_e64 s[0:1], 0, v[20:21]
	s_and_b64 s[2:3], s[0:1], vcc
	; wave barrier
	s_and_saveexec_b64 s[0:1], s[2:3]
	s_cbranch_execz .LBB2304_25
; %bb.24:
	v_bcnt_u32_b32 v20, v20, 0
	v_bcnt_u32_b32 v20, v21, v20
	s_waitcnt lgkmcnt(0)
	v_add_u32_e32 v20, v35, v20
	ds_write_b32 v38, v20 offset:64
.LBB2304_25:
	s_or_b64 exec, exec, s[0:1]
	v_not_b32_e32 v13, v13
	v_not_b32_e32 v12, v12
	v_lshrrev_b64 v[20:21], s16, v[12:13]
	v_and_b32_e32 v22, s27, v20
	v_and_b32_e32 v21, 1, v22
	v_add_co_u32_e32 v23, vcc, -1, v21
	v_addc_co_u32_e64 v39, s[0:1], 0, -1, vcc
	v_cmp_ne_u32_e32 vcc, 0, v21
	v_lshl_add_u32 v20, v22, 4, v22
	v_xor_b32_e32 v21, vcc_hi, v39
	v_add_lshl_u32 v42, v27, v20, 2
	v_mov_b32_e32 v20, 0
	v_and_b32_e32 v39, exec_hi, v21
	v_lshlrev_b32_e32 v21, 30, v22
	v_xor_b32_e32 v23, vcc_lo, v23
	v_cmp_gt_i64_e32 vcc, 0, v[20:21]
	v_not_b32_e32 v21, v21
	v_ashrrev_i32_e32 v21, 31, v21
	v_and_b32_e32 v23, exec_lo, v23
	v_xor_b32_e32 v40, vcc_hi, v21
	v_xor_b32_e32 v21, vcc_lo, v21
	v_and_b32_e32 v23, v23, v21
	v_lshlrev_b32_e32 v21, 29, v22
	v_cmp_gt_i64_e32 vcc, 0, v[20:21]
	v_not_b32_e32 v21, v21
	v_ashrrev_i32_e32 v21, 31, v21
	v_and_b32_e32 v39, v39, v40
	v_xor_b32_e32 v40, vcc_hi, v21
	v_xor_b32_e32 v21, vcc_lo, v21
	v_and_b32_e32 v23, v23, v21
	v_lshlrev_b32_e32 v21, 28, v22
	v_cmp_gt_i64_e32 vcc, 0, v[20:21]
	v_not_b32_e32 v21, v21
	v_ashrrev_i32_e32 v21, 31, v21
	v_and_b32_e32 v39, v39, v40
	;; [unrolled: 8-line block ×5, first 2 shown]
	v_xor_b32_e32 v40, vcc_hi, v21
	v_xor_b32_e32 v21, vcc_lo, v21
	v_and_b32_e32 v39, v39, v40
	v_and_b32_e32 v40, v23, v21
	v_lshlrev_b32_e32 v21, 24, v22
	v_cmp_gt_i64_e32 vcc, 0, v[20:21]
	v_not_b32_e32 v21, v21
	v_ashrrev_i32_e32 v21, 31, v21
	v_xor_b32_e32 v22, vcc_hi, v21
	v_xor_b32_e32 v21, vcc_lo, v21
	; wave barrier
	ds_read_b32 v37, v42 offset:64
	v_and_b32_e32 v23, v39, v22
	v_and_b32_e32 v22, v40, v21
	v_mbcnt_lo_u32_b32 v21, v22, 0
	v_mbcnt_hi_u32_b32 v39, v23, v21
	v_cmp_eq_u32_e32 vcc, 0, v39
	v_cmp_ne_u64_e64 s[0:1], 0, v[22:23]
	s_and_b64 s[2:3], s[0:1], vcc
	; wave barrier
	s_and_saveexec_b64 s[0:1], s[2:3]
	s_cbranch_execz .LBB2304_27
; %bb.26:
	v_bcnt_u32_b32 v21, v22, 0
	v_bcnt_u32_b32 v21, v23, v21
	s_waitcnt lgkmcnt(0)
	v_add_u32_e32 v21, v37, v21
	ds_write_b32 v42, v21 offset:64
.LBB2304_27:
	s_or_b64 exec, exec, s[0:1]
	v_not_b32_e32 v17, v17
	v_not_b32_e32 v16, v16
	v_lshrrev_b64 v[22:23], s16, v[16:17]
	v_and_b32_e32 v22, s27, v22
	v_lshl_add_u32 v21, v22, 4, v22
	v_add_lshl_u32 v45, v27, v21, 2
	v_and_b32_e32 v21, 1, v22
	v_add_co_u32_e32 v23, vcc, -1, v21
	v_addc_co_u32_e64 v41, s[0:1], 0, -1, vcc
	v_cmp_ne_u32_e32 vcc, 0, v21
	v_xor_b32_e32 v21, vcc_hi, v41
	v_and_b32_e32 v41, exec_hi, v21
	v_lshlrev_b32_e32 v21, 30, v22
	v_xor_b32_e32 v23, vcc_lo, v23
	v_cmp_gt_i64_e32 vcc, 0, v[20:21]
	v_not_b32_e32 v21, v21
	v_ashrrev_i32_e32 v21, 31, v21
	v_and_b32_e32 v23, exec_lo, v23
	v_xor_b32_e32 v43, vcc_hi, v21
	v_xor_b32_e32 v21, vcc_lo, v21
	v_and_b32_e32 v23, v23, v21
	v_lshlrev_b32_e32 v21, 29, v22
	v_cmp_gt_i64_e32 vcc, 0, v[20:21]
	v_not_b32_e32 v21, v21
	v_ashrrev_i32_e32 v21, 31, v21
	v_and_b32_e32 v41, v41, v43
	v_xor_b32_e32 v43, vcc_hi, v21
	v_xor_b32_e32 v21, vcc_lo, v21
	v_and_b32_e32 v23, v23, v21
	v_lshlrev_b32_e32 v21, 28, v22
	v_cmp_gt_i64_e32 vcc, 0, v[20:21]
	v_not_b32_e32 v21, v21
	v_ashrrev_i32_e32 v21, 31, v21
	v_and_b32_e32 v41, v41, v43
	;; [unrolled: 8-line block ×5, first 2 shown]
	v_xor_b32_e32 v43, vcc_hi, v21
	v_xor_b32_e32 v21, vcc_lo, v21
	v_and_b32_e32 v23, v23, v21
	v_lshlrev_b32_e32 v21, 24, v22
	v_cmp_gt_i64_e32 vcc, 0, v[20:21]
	v_not_b32_e32 v20, v21
	v_ashrrev_i32_e32 v20, 31, v20
	v_xor_b32_e32 v21, vcc_hi, v20
	v_xor_b32_e32 v20, vcc_lo, v20
	; wave barrier
	ds_read_b32 v40, v45 offset:64
	v_and_b32_e32 v41, v41, v43
	v_and_b32_e32 v20, v23, v20
	;; [unrolled: 1-line block ×3, first 2 shown]
	v_mbcnt_lo_u32_b32 v22, v20, 0
	v_mbcnt_hi_u32_b32 v41, v21, v22
	v_cmp_eq_u32_e32 vcc, 0, v41
	v_cmp_ne_u64_e64 s[0:1], 0, v[20:21]
	s_and_b64 s[2:3], s[0:1], vcc
	; wave barrier
	s_and_saveexec_b64 s[0:1], s[2:3]
	s_cbranch_execz .LBB2304_29
; %bb.28:
	v_bcnt_u32_b32 v20, v20, 0
	v_bcnt_u32_b32 v20, v21, v20
	s_waitcnt lgkmcnt(0)
	v_add_u32_e32 v20, v40, v20
	ds_write_b32 v45, v20 offset:64
.LBB2304_29:
	s_or_b64 exec, exec, s[0:1]
	v_not_b32_e32 v21, v19
	v_not_b32_e32 v20, v18
	v_lshrrev_b64 v[18:19], s16, v[20:21]
	v_and_b32_e32 v22, s27, v18
	v_and_b32_e32 v19, 1, v22
	v_add_co_u32_e32 v23, vcc, -1, v19
	v_addc_co_u32_e64 v44, s[0:1], 0, -1, vcc
	v_cmp_ne_u32_e32 vcc, 0, v19
	v_lshl_add_u32 v18, v22, 4, v22
	v_xor_b32_e32 v19, vcc_hi, v44
	v_add_lshl_u32 v47, v27, v18, 2
	v_mov_b32_e32 v18, 0
	v_and_b32_e32 v44, exec_hi, v19
	v_lshlrev_b32_e32 v19, 30, v22
	v_xor_b32_e32 v23, vcc_lo, v23
	v_cmp_gt_i64_e32 vcc, 0, v[18:19]
	v_not_b32_e32 v19, v19
	v_ashrrev_i32_e32 v19, 31, v19
	v_and_b32_e32 v23, exec_lo, v23
	v_xor_b32_e32 v46, vcc_hi, v19
	v_xor_b32_e32 v19, vcc_lo, v19
	v_and_b32_e32 v23, v23, v19
	v_lshlrev_b32_e32 v19, 29, v22
	v_cmp_gt_i64_e32 vcc, 0, v[18:19]
	v_not_b32_e32 v19, v19
	v_ashrrev_i32_e32 v19, 31, v19
	v_and_b32_e32 v44, v44, v46
	v_xor_b32_e32 v46, vcc_hi, v19
	v_xor_b32_e32 v19, vcc_lo, v19
	v_and_b32_e32 v23, v23, v19
	v_lshlrev_b32_e32 v19, 28, v22
	v_cmp_gt_i64_e32 vcc, 0, v[18:19]
	v_not_b32_e32 v19, v19
	v_ashrrev_i32_e32 v19, 31, v19
	v_and_b32_e32 v44, v44, v46
	;; [unrolled: 8-line block ×5, first 2 shown]
	v_xor_b32_e32 v46, vcc_hi, v19
	v_xor_b32_e32 v19, vcc_lo, v19
	v_and_b32_e32 v44, v44, v46
	v_and_b32_e32 v46, v23, v19
	v_lshlrev_b32_e32 v19, 24, v22
	v_cmp_gt_i64_e32 vcc, 0, v[18:19]
	v_not_b32_e32 v19, v19
	v_ashrrev_i32_e32 v19, 31, v19
	v_xor_b32_e32 v22, vcc_hi, v19
	v_xor_b32_e32 v19, vcc_lo, v19
	; wave barrier
	ds_read_b32 v43, v47 offset:64
	v_and_b32_e32 v23, v44, v22
	v_and_b32_e32 v22, v46, v19
	v_mbcnt_lo_u32_b32 v19, v22, 0
	v_mbcnt_hi_u32_b32 v44, v23, v19
	v_cmp_eq_u32_e32 vcc, 0, v44
	v_cmp_ne_u64_e64 s[0:1], 0, v[22:23]
	s_and_b64 s[2:3], s[0:1], vcc
	; wave barrier
	s_and_saveexec_b64 s[0:1], s[2:3]
	s_cbranch_execz .LBB2304_31
; %bb.30:
	v_bcnt_u32_b32 v19, v22, 0
	v_bcnt_u32_b32 v19, v23, v19
	s_waitcnt lgkmcnt(0)
	v_add_u32_e32 v19, v43, v19
	ds_write_b32 v47, v19 offset:64
.LBB2304_31:
	s_or_b64 exec, exec, s[0:1]
	v_not_b32_e32 v15, v15
	v_not_b32_e32 v14, v14
	v_lshrrev_b64 v[22:23], s16, v[14:15]
	v_and_b32_e32 v22, s27, v22
	v_lshl_add_u32 v19, v22, 4, v22
	v_add_lshl_u32 v27, v27, v19, 2
	v_and_b32_e32 v19, 1, v22
	v_add_co_u32_e32 v23, vcc, -1, v19
	v_addc_co_u32_e64 v48, s[0:1], 0, -1, vcc
	v_cmp_ne_u32_e32 vcc, 0, v19
	v_xor_b32_e32 v19, vcc_hi, v48
	v_and_b32_e32 v48, exec_hi, v19
	v_lshlrev_b32_e32 v19, 30, v22
	v_xor_b32_e32 v23, vcc_lo, v23
	v_cmp_gt_i64_e32 vcc, 0, v[18:19]
	v_not_b32_e32 v19, v19
	v_ashrrev_i32_e32 v19, 31, v19
	v_and_b32_e32 v23, exec_lo, v23
	v_xor_b32_e32 v50, vcc_hi, v19
	v_xor_b32_e32 v19, vcc_lo, v19
	v_and_b32_e32 v23, v23, v19
	v_lshlrev_b32_e32 v19, 29, v22
	v_cmp_gt_i64_e32 vcc, 0, v[18:19]
	v_not_b32_e32 v19, v19
	v_ashrrev_i32_e32 v19, 31, v19
	v_and_b32_e32 v48, v48, v50
	v_xor_b32_e32 v50, vcc_hi, v19
	v_xor_b32_e32 v19, vcc_lo, v19
	v_and_b32_e32 v23, v23, v19
	v_lshlrev_b32_e32 v19, 28, v22
	v_cmp_gt_i64_e32 vcc, 0, v[18:19]
	v_not_b32_e32 v19, v19
	v_ashrrev_i32_e32 v19, 31, v19
	v_and_b32_e32 v48, v48, v50
	v_xor_b32_e32 v50, vcc_hi, v19
	v_xor_b32_e32 v19, vcc_lo, v19
	v_and_b32_e32 v23, v23, v19
	v_lshlrev_b32_e32 v19, 27, v22
	v_cmp_gt_i64_e32 vcc, 0, v[18:19]
	v_not_b32_e32 v19, v19
	v_ashrrev_i32_e32 v19, 31, v19
	v_and_b32_e32 v48, v48, v50
	v_xor_b32_e32 v50, vcc_hi, v19
	v_xor_b32_e32 v19, vcc_lo, v19
	v_and_b32_e32 v23, v23, v19
	v_lshlrev_b32_e32 v19, 26, v22
	v_cmp_gt_i64_e32 vcc, 0, v[18:19]
	v_not_b32_e32 v19, v19
	v_ashrrev_i32_e32 v19, 31, v19
	v_and_b32_e32 v48, v48, v50
	v_xor_b32_e32 v50, vcc_hi, v19
	v_xor_b32_e32 v19, vcc_lo, v19
	v_and_b32_e32 v23, v23, v19
	v_lshlrev_b32_e32 v19, 25, v22
	v_cmp_gt_i64_e32 vcc, 0, v[18:19]
	v_not_b32_e32 v19, v19
	v_ashrrev_i32_e32 v19, 31, v19
	v_and_b32_e32 v48, v48, v50
	v_xor_b32_e32 v50, vcc_hi, v19
	v_xor_b32_e32 v19, vcc_lo, v19
	v_and_b32_e32 v23, v23, v19
	v_lshlrev_b32_e32 v19, 24, v22
	v_cmp_gt_i64_e32 vcc, 0, v[18:19]
	v_not_b32_e32 v18, v19
	v_ashrrev_i32_e32 v18, 31, v18
	v_xor_b32_e32 v19, vcc_hi, v18
	v_xor_b32_e32 v18, vcc_lo, v18
	; wave barrier
	ds_read_b32 v46, v27 offset:64
	v_and_b32_e32 v48, v48, v50
	v_and_b32_e32 v18, v23, v18
	;; [unrolled: 1-line block ×3, first 2 shown]
	v_mbcnt_lo_u32_b32 v22, v18, 0
	v_mbcnt_hi_u32_b32 v48, v19, v22
	v_cmp_eq_u32_e32 vcc, 0, v48
	v_cmp_ne_u64_e64 s[0:1], 0, v[18:19]
	v_add_u32_e32 v49, 64, v3
	s_and_b64 s[2:3], s[0:1], vcc
	; wave barrier
	s_and_saveexec_b64 s[0:1], s[2:3]
	s_cbranch_execz .LBB2304_33
; %bb.32:
	v_bcnt_u32_b32 v18, v18, 0
	v_bcnt_u32_b32 v18, v19, v18
	s_waitcnt lgkmcnt(0)
	v_add_u32_e32 v18, v46, v18
	ds_write_b32 v27, v18 offset:64
.LBB2304_33:
	s_or_b64 exec, exec, s[0:1]
	; wave barrier
	s_waitcnt lgkmcnt(0)
	s_barrier
	ds_read2_b32 v[22:23], v3 offset0:16 offset1:17
	ds_read2_b32 v[18:19], v49 offset0:2 offset1:3
	ds_read_b32 v50, v49 offset:16
	v_cmp_lt_u32_e64 s[10:11], 31, v1
	s_waitcnt lgkmcnt(1)
	v_add3_u32 v51, v23, v22, v18
	s_waitcnt lgkmcnt(0)
	v_add3_u32 v50, v51, v19, v50
	v_and_b32_e32 v51, 15, v1
	v_cmp_eq_u32_e32 vcc, 0, v51
	v_mov_b32_dpp v52, v50 row_shr:1 row_mask:0xf bank_mask:0xf
	v_cndmask_b32_e64 v52, v52, 0, vcc
	v_add_u32_e32 v50, v52, v50
	v_cmp_lt_u32_e64 s[0:1], 1, v51
	v_cmp_lt_u32_e64 s[2:3], 3, v51
	v_mov_b32_dpp v52, v50 row_shr:2 row_mask:0xf bank_mask:0xf
	v_cndmask_b32_e64 v52, 0, v52, s[0:1]
	v_add_u32_e32 v50, v50, v52
	v_cmp_lt_u32_e64 s[8:9], 7, v51
	s_nop 0
	v_mov_b32_dpp v52, v50 row_shr:4 row_mask:0xf bank_mask:0xf
	v_cndmask_b32_e64 v52, 0, v52, s[2:3]
	v_add_u32_e32 v50, v50, v52
	s_nop 1
	v_mov_b32_dpp v52, v50 row_shr:8 row_mask:0xf bank_mask:0xf
	v_cndmask_b32_e64 v51, 0, v52, s[8:9]
	v_add_u32_e32 v50, v50, v51
	v_bfe_i32 v52, v1, 4, 1
	s_nop 0
	v_mov_b32_dpp v51, v50 row_bcast:15 row_mask:0xf bank_mask:0xf
	v_and_b32_e32 v51, v52, v51
	v_add_u32_e32 v50, v50, v51
	v_and_b32_e32 v52, 63, v2
	s_nop 0
	v_mov_b32_dpp v51, v50 row_bcast:31 row_mask:0xf bank_mask:0xf
	v_cndmask_b32_e64 v51, 0, v51, s[10:11]
	v_add_u32_e32 v50, v50, v51
	v_lshrrev_b32_e32 v51, 6, v2
	v_cmp_eq_u32_e64 s[10:11], 63, v52
	s_and_saveexec_b64 s[18:19], s[10:11]
	s_cbranch_execz .LBB2304_35
; %bb.34:
	v_lshlrev_b32_e32 v52, 2, v51
	ds_write_b32 v52, v50
.LBB2304_35:
	s_or_b64 exec, exec, s[18:19]
	v_cmp_gt_u32_e64 s[10:11], 16, v2
	s_waitcnt lgkmcnt(0)
	s_barrier
	s_and_saveexec_b64 s[18:19], s[10:11]
	s_cbranch_execz .LBB2304_37
; %bb.36:
	v_lshlrev_b32_e32 v52, 2, v2
	ds_read_b32 v53, v52
	s_waitcnt lgkmcnt(0)
	s_nop 0
	v_mov_b32_dpp v54, v53 row_shr:1 row_mask:0xf bank_mask:0xf
	v_cndmask_b32_e64 v54, v54, 0, vcc
	v_add_u32_e32 v53, v54, v53
	s_nop 1
	v_mov_b32_dpp v54, v53 row_shr:2 row_mask:0xf bank_mask:0xf
	v_cndmask_b32_e64 v54, 0, v54, s[0:1]
	v_add_u32_e32 v53, v53, v54
	s_nop 1
	v_mov_b32_dpp v54, v53 row_shr:4 row_mask:0xf bank_mask:0xf
	v_cndmask_b32_e64 v54, 0, v54, s[2:3]
	v_add_u32_e32 v53, v53, v54
	s_nop 1
	v_mov_b32_dpp v54, v53 row_shr:8 row_mask:0xf bank_mask:0xf
	v_cndmask_b32_e64 v54, 0, v54, s[8:9]
	v_add_u32_e32 v53, v53, v54
	ds_write_b32 v52, v53
.LBB2304_37:
	s_or_b64 exec, exec, s[18:19]
	v_cmp_lt_u32_e32 vcc, 63, v2
	v_mov_b32_e32 v52, 0
	s_waitcnt lgkmcnt(0)
	s_barrier
	s_and_saveexec_b64 s[0:1], vcc
	s_cbranch_execz .LBB2304_39
; %bb.38:
	v_lshl_add_u32 v51, v51, 2, -4
	ds_read_b32 v52, v51
.LBB2304_39:
	s_or_b64 exec, exec, s[0:1]
	v_add_u32_e32 v51, -1, v1
	v_and_b32_e32 v53, 64, v1
	v_cmp_lt_i32_e32 vcc, v51, v53
	v_cndmask_b32_e32 v51, v51, v1, vcc
	s_waitcnt lgkmcnt(0)
	v_add_u32_e32 v50, v52, v50
	v_lshlrev_b32_e32 v51, 2, v51
	ds_bpermute_b32 v50, v51, v50
	v_cmp_eq_u32_e32 vcc, 0, v1
	s_movk_i32 s2, 0xff
	s_movk_i32 s0, 0x100
	v_cmp_gt_u32_e64 s[0:1], s0, v2
	s_waitcnt lgkmcnt(0)
	v_cndmask_b32_e32 v1, v50, v52, vcc
	v_cmp_ne_u32_e32 vcc, 0, v2
	v_cndmask_b32_e32 v1, 0, v1, vcc
	v_add_u32_e32 v22, v1, v22
	v_add_u32_e32 v23, v22, v23
	;; [unrolled: 1-line block ×4, first 2 shown]
	ds_write2_b32 v3, v1, v22 offset0:16 offset1:17
	ds_write2_b32 v49, v23, v18 offset0:2 offset1:3
	ds_write_b32 v49, v19 offset:16
	s_waitcnt lgkmcnt(0)
	s_barrier
	ds_read_b32 v51, v24 offset:64
	ds_read_b32 v1, v25 offset:64
	;; [unrolled: 1-line block ×8, first 2 shown]
	v_cmp_lt_u32_e32 vcc, s2, v2
	v_pk_mov_b32 v[18:19], 0, 0
                                        ; implicit-def: $vgpr38
	s_and_saveexec_b64 s[8:9], s[0:1]
	s_cbranch_execz .LBB2304_43
; %bb.40:
	v_mul_u32_u24_e32 v3, 17, v2
	v_lshlrev_b32_e32 v19, 2, v3
	ds_read_b32 v18, v19 offset:64
	v_cmp_ne_u32_e64 s[2:3], s2, v2
	v_mov_b32_e32 v3, 0x2000
	s_and_saveexec_b64 s[10:11], s[2:3]
	s_cbranch_execz .LBB2304_42
; %bb.41:
	ds_read_b32 v3, v19 offset:132
.LBB2304_42:
	s_or_b64 exec, exec, s[10:11]
	s_waitcnt lgkmcnt(0)
	v_sub_u32_e32 v38, v3, v18
	v_mov_b32_e32 v19, 0
.LBB2304_43:
	s_or_b64 exec, exec, s[8:9]
	s_waitcnt lgkmcnt(0)
	s_barrier
	s_and_saveexec_b64 s[2:3], vcc
	s_xor_b64 s[2:3], exec, s[2:3]
; %bb.44:
	v_mov_b32_e32 v3, 0
; %bb.45:
	s_andn2_saveexec_b64 s[2:3], s[2:3]
	s_cbranch_execz .LBB2304_55
; %bb.46:
	v_lshl_or_b32 v22, s6, 8, v2
	v_mov_b32_e32 v23, 0
	v_lshlrev_b64 v[24:25], 2, v[22:23]
	v_mov_b32_e32 v3, s25
	v_add_co_u32_e32 v24, vcc, s24, v24
	v_addc_co_u32_e32 v25, vcc, v3, v25, vcc
	v_or_b32_e32 v22, 2.0, v38
	s_mov_b64 s[8:9], 0
	s_brev_b32 s28, 1
	s_mov_b32 s29, s6
	v_mov_b32_e32 v53, 0
	global_store_dword v[24:25], v22, off
                                        ; implicit-def: $sgpr10_sgpr11
	s_branch .LBB2304_48
.LBB2304_47:                            ;   in Loop: Header=BB2304_48 Depth=1
	s_or_b64 exec, exec, s[10:11]
	v_and_b32_e32 v26, 0x3fffffff, v54
	v_add_u32_e32 v53, v26, v53
	v_cmp_eq_u32_e64 s[10:11], s28, v22
	s_and_b64 s[18:19], exec, s[10:11]
	s_or_b64 s[8:9], s[18:19], s[8:9]
	s_andn2_b64 exec, exec, s[8:9]
	s_cbranch_execz .LBB2304_54
.LBB2304_48:                            ; =>This Loop Header: Depth=1
                                        ;     Child Loop BB2304_51 Depth 2
	s_or_b64 s[10:11], s[10:11], exec
	s_cmp_eq_u32 s29, 0
	s_cbranch_scc1 .LBB2304_53
; %bb.49:                               ;   in Loop: Header=BB2304_48 Depth=1
	s_add_i32 s29, s29, -1
	v_lshl_or_b32 v22, s29, 8, v2
	v_lshlrev_b64 v[26:27], 2, v[22:23]
	v_add_co_u32_e32 v26, vcc, s24, v26
	v_addc_co_u32_e32 v27, vcc, v3, v27, vcc
	global_load_dword v54, v[26:27], off glc
	s_waitcnt vmcnt(0)
	v_and_b32_e32 v22, -2.0, v54
	v_cmp_eq_u32_e32 vcc, 0, v22
	s_and_saveexec_b64 s[10:11], vcc
	s_cbranch_execz .LBB2304_47
; %bb.50:                               ;   in Loop: Header=BB2304_48 Depth=1
	s_mov_b64 s[18:19], 0
.LBB2304_51:                            ;   Parent Loop BB2304_48 Depth=1
                                        ; =>  This Inner Loop Header: Depth=2
	global_load_dword v54, v[26:27], off glc
	s_waitcnt vmcnt(0)
	v_and_b32_e32 v22, -2.0, v54
	v_cmp_ne_u32_e32 vcc, 0, v22
	s_or_b64 s[18:19], vcc, s[18:19]
	s_andn2_b64 exec, exec, s[18:19]
	s_cbranch_execnz .LBB2304_51
; %bb.52:                               ;   in Loop: Header=BB2304_48 Depth=1
	s_or_b64 exec, exec, s[18:19]
	s_branch .LBB2304_47
.LBB2304_53:                            ;   in Loop: Header=BB2304_48 Depth=1
                                        ; implicit-def: $sgpr29
	s_and_b64 s[18:19], exec, s[10:11]
	s_or_b64 s[8:9], s[18:19], s[8:9]
	s_andn2_b64 exec, exec, s[8:9]
	s_cbranch_execnz .LBB2304_48
.LBB2304_54:
	s_or_b64 exec, exec, s[8:9]
	v_add_u32_e32 v3, v53, v38
	v_or_b32_e32 v3, 0x80000000, v3
	global_store_dword v[24:25], v3, off
	global_load_dwordx2 v[22:23], v29, s[12:13]
	v_sub_co_u32_e32 v24, vcc, v53, v18
	v_subb_co_u32_e32 v25, vcc, 0, v19, vcc
	v_mov_b32_e32 v3, 0
	s_waitcnt vmcnt(0)
	v_add_co_u32_e32 v22, vcc, v24, v22
	v_addc_co_u32_e32 v23, vcc, v25, v23, vcc
	ds_write_b64 v29, v[22:23]
.LBB2304_55:
	s_or_b64 exec, exec, s[2:3]
	v_add_u32_e32 v23, v51, v30
	v_add3_u32 v30, v39, v42, v37
	v_add3_u32 v35, v36, v50, v35
	v_lshlrev_b64 v[36:37], 3, v[2:3]
	v_add3_u32 v31, v32, v1, v31
	v_mov_b32_e32 v1, s23
	v_add_co_u32_e32 v22, vcc, s22, v36
	v_add_u32_e32 v24, 0x800, v29
	v_add3_u32 v25, v48, v52, v46
	v_add3_u32 v26, v44, v47, v43
	;; [unrolled: 1-line block ×4, first 2 shown]
	v_addc_co_u32_e32 v1, vcc, v1, v37, vcc
	s_mov_b32 s8, 0
	v_mov_b32_e32 v32, v2
	s_branch .LBB2304_57
.LBB2304_56:                            ;   in Loop: Header=BB2304_57 Depth=1
	s_or_b64 exec, exec, s[2:3]
	s_addk_i32 s8, 0xf800
	v_add_co_u32_e32 v22, vcc, 0x4000, v22
	v_addc_co_u32_e32 v1, vcc, 0, v1, vcc
	s_cmpk_eq_i32 s8, 0xe000
	v_add_u32_e32 v32, 0x800, v32
	s_barrier
	s_cbranch_scc1 .LBB2304_62
.LBB2304_57:                            ; =>This Inner Loop Header: Depth=1
	v_add_u32_e32 v34, s8, v23
	v_min_u32_e32 v34, 0x800, v34
	v_lshlrev_b32_e32 v34, 3, v34
	ds_write_b64 v34, v[4:5] offset:2048
	v_add_u32_e32 v34, s8, v31
	v_min_u32_e32 v34, 0x800, v34
	v_lshlrev_b32_e32 v34, 3, v34
	ds_write_b64 v34, v[6:7] offset:2048
	;; [unrolled: 4-line block ×7, first 2 shown]
	v_add_u32_e32 v34, s8, v25
	v_min_u32_e32 v34, 0x800, v34
	v_lshlrev_b32_e32 v34, 3, v34
	v_cmp_gt_u32_e32 vcc, s7, v32
	ds_write_b64 v34, v[14:15] offset:2048
	s_waitcnt lgkmcnt(0)
	s_barrier
	s_and_saveexec_b64 s[2:3], vcc
	s_cbranch_execz .LBB2304_59
; %bb.58:                               ;   in Loop: Header=BB2304_57 Depth=1
	ds_read_b64 v[36:37], v29 offset:2048
	s_waitcnt lgkmcnt(0)
	v_lshrrev_b64 v[40:41], s16, v[36:37]
	v_and_b32_e32 v34, s27, v40
	v_lshlrev_b32_e32 v34, 3, v34
	ds_read_b64 v[40:41], v34
	v_not_b32_e32 v37, v37
	v_not_b32_e32 v36, v36
	s_waitcnt lgkmcnt(0)
	v_lshlrev_b64 v[40:41], 3, v[40:41]
	v_add_co_u32_e32 v40, vcc, v22, v40
	v_addc_co_u32_e32 v41, vcc, v1, v41, vcc
	global_store_dwordx2 v[40:41], v[36:37], off
.LBB2304_59:                            ;   in Loop: Header=BB2304_57 Depth=1
	s_or_b64 exec, exec, s[2:3]
	v_add_u32_e32 v34, 0x400, v32
	v_cmp_gt_u32_e32 vcc, s7, v34
	s_and_saveexec_b64 s[2:3], vcc
	s_cbranch_execz .LBB2304_56
; %bb.60:                               ;   in Loop: Header=BB2304_57 Depth=1
	ds_read_b64 v[36:37], v24 offset:8192
	s_waitcnt lgkmcnt(0)
	v_lshrrev_b64 v[40:41], s16, v[36:37]
	v_and_b32_e32 v34, s27, v40
	v_lshlrev_b32_e32 v34, 3, v34
	ds_read_b64 v[40:41], v34
	v_not_b32_e32 v37, v37
	v_not_b32_e32 v36, v36
	s_waitcnt lgkmcnt(0)
	v_lshlrev_b64 v[40:41], 3, v[40:41]
	v_add_co_u32_e32 v34, vcc, v22, v40
	v_addc_co_u32_e32 v39, vcc, v1, v41, vcc
	v_add_co_u32_e32 v40, vcc, 0x2000, v34
	v_addc_co_u32_e32 v41, vcc, 0, v39, vcc
	global_store_dwordx2 v[40:41], v[36:37], off
	s_branch .LBB2304_56
.LBB2304_61:
	s_mov_b64 s[0:1], 0
                                        ; implicit-def: $vgpr2
                                        ; implicit-def: $vgpr18_vgpr19
                                        ; implicit-def: $vgpr38
	s_cbranch_execnz .LBB2304_63
	s_branch .LBB2304_104
.LBB2304_62:
	s_add_i32 s26, s26, -1
	s_cmp_eq_u32 s26, s6
	s_cselect_b64 s[2:3], -1, 0
	s_and_b64 s[0:1], s[0:1], s[2:3]
	s_branch .LBB2304_104
.LBB2304_63:
	s_lshl_b32 s0, s6, 13
	s_mov_b32 s1, 0
	v_mbcnt_hi_u32_b32 v3, -1, v28
	s_lshl_b64 s[0:1], s[0:1], 3
	v_and_b32_e32 v1, 63, v3
	s_add_u32 s0, s20, s0
	v_lshlrev_b32_e32 v1, 3, v1
	v_add_co_u32_e32 v1, vcc, s0, v1
	s_load_dword s7, s[4:5], 0x58
	s_load_dword s0, s[4:5], 0x64
	v_and_b32_e32 v2, 0x3ff, v0
	s_addc_u32 s1, s21, s1
	v_mov_b32_e32 v4, s1
	v_lshlrev_b32_e32 v5, 6, v2
	v_addc_co_u32_e32 v4, vcc, 0, v4, vcc
	v_and_b32_e32 v5, 0xf000, v5
	s_add_u32 s1, s4, 0x58
	v_add_co_u32_e32 v20, vcc, v1, v5
	s_addc_u32 s2, s5, 0
	s_waitcnt lgkmcnt(0)
	s_lshr_b32 s3, s0, 16
	v_addc_co_u32_e32 v21, vcc, 0, v4, vcc
	s_cmp_lt_u32 s6, s7
	global_load_dwordx2 v[24:25], v[20:21], off
	s_cselect_b32 s0, 12, 18
	s_add_u32 s0, s1, s0
	v_mov_b32_e32 v6, 0
	s_addc_u32 s1, s2, 0
	global_load_ushort v7, v6, s[0:1]
	v_mul_u32_u24_e32 v4, 5, v2
	v_lshlrev_b32_e32 v22, 2, v4
	ds_write2_b32 v22, v6, v6 offset0:16 offset1:17
	ds_write2_b32 v22, v6, v6 offset0:18 offset1:19
	ds_write_b32 v22, v6 offset:80
	global_load_dwordx2 v[4:5], v[20:21], off offset:512
	global_load_dwordx2 v[18:19], v[20:21], off offset:1024
	global_load_dwordx2 v[8:9], v[20:21], off offset:1536
	global_load_dwordx2 v[10:11], v[20:21], off offset:2048
	global_load_dwordx2 v[14:15], v[20:21], off offset:2560
	global_load_dwordx2 v[16:17], v[20:21], off offset:3072
	global_load_dwordx2 v[12:13], v[20:21], off offset:3584
	v_bfe_u32 v1, v0, 10, 10
	v_bfe_u32 v0, v0, 20, 10
	v_mad_u32_u24 v23, v0, s3, v1
	s_lshl_b32 s0, -1, s17
	s_not_b32 s17, s0
	s_waitcnt lgkmcnt(0)
	s_barrier
	s_waitcnt lgkmcnt(0)
	; wave barrier
	s_waitcnt vmcnt(8)
	v_not_b32_e32 v1, v25
	v_not_b32_e32 v0, v24
	v_lshrrev_b64 v[20:21], s16, v[0:1]
	v_and_b32_e32 v24, s17, v20
	s_waitcnt vmcnt(7)
	v_mad_u64_u32 v[20:21], s[0:1], v23, v7, v[2:3]
	v_and_b32_e32 v23, 1, v24
	v_lshrrev_b32_e32 v25, 6, v20
	v_add_co_u32_e32 v20, vcc, -1, v23
	v_lshlrev_b32_e32 v7, 30, v24
	v_addc_co_u32_e64 v26, s[0:1], 0, -1, vcc
	v_lshl_add_u32 v21, v24, 4, v24
	v_cmp_ne_u32_e32 vcc, 0, v23
	v_cmp_gt_i64_e64 s[0:1], 0, v[6:7]
	v_not_b32_e32 v27, v7
	v_lshlrev_b32_e32 v7, 29, v24
	v_add_lshl_u32 v23, v25, v21, 2
	v_xor_b32_e32 v21, vcc_hi, v26
	v_xor_b32_e32 v20, vcc_lo, v20
	v_ashrrev_i32_e32 v26, 31, v27
	v_cmp_gt_i64_e32 vcc, 0, v[6:7]
	v_not_b32_e32 v27, v7
	v_lshlrev_b32_e32 v7, 28, v24
	v_and_b32_e32 v21, exec_hi, v21
	v_and_b32_e32 v20, exec_lo, v20
	v_xor_b32_e32 v28, s1, v26
	v_xor_b32_e32 v26, s0, v26
	v_ashrrev_i32_e32 v27, 31, v27
	v_cmp_gt_i64_e64 s[0:1], 0, v[6:7]
	v_not_b32_e32 v29, v7
	v_lshlrev_b32_e32 v7, 27, v24
	v_and_b32_e32 v21, v21, v28
	v_and_b32_e32 v20, v20, v26
	v_xor_b32_e32 v26, vcc_hi, v27
	v_xor_b32_e32 v27, vcc_lo, v27
	v_ashrrev_i32_e32 v28, 31, v29
	v_cmp_gt_i64_e32 vcc, 0, v[6:7]
	v_not_b32_e32 v7, v7
	v_and_b32_e32 v21, v21, v26
	v_and_b32_e32 v20, v20, v27
	v_xor_b32_e32 v26, s1, v28
	v_xor_b32_e32 v27, s0, v28
	v_ashrrev_i32_e32 v7, 31, v7
	v_and_b32_e32 v21, v21, v26
	v_and_b32_e32 v20, v20, v27
	v_xor_b32_e32 v26, vcc_hi, v7
	v_xor_b32_e32 v7, vcc_lo, v7
	v_and_b32_e32 v20, v20, v7
	v_lshlrev_b32_e32 v7, 26, v24
	v_cmp_gt_i64_e32 vcc, 0, v[6:7]
	v_not_b32_e32 v7, v7
	v_ashrrev_i32_e32 v7, 31, v7
	v_and_b32_e32 v21, v21, v26
	v_xor_b32_e32 v26, vcc_hi, v7
	v_xor_b32_e32 v7, vcc_lo, v7
	v_and_b32_e32 v20, v20, v7
	v_lshlrev_b32_e32 v7, 25, v24
	v_cmp_gt_i64_e32 vcc, 0, v[6:7]
	v_not_b32_e32 v7, v7
	v_ashrrev_i32_e32 v7, 31, v7
	;; [unrolled: 8-line block ×3, first 2 shown]
	v_xor_b32_e32 v24, vcc_hi, v7
	v_xor_b32_e32 v7, vcc_lo, v7
	v_and_b32_e32 v21, v21, v26
	v_and_b32_e32 v20, v20, v7
	;; [unrolled: 1-line block ×3, first 2 shown]
	v_mbcnt_lo_u32_b32 v7, v20, 0
	v_mbcnt_hi_u32_b32 v26, v21, v7
	v_cmp_eq_u32_e32 vcc, 0, v26
	v_cmp_ne_u64_e64 s[0:1], 0, v[20:21]
	s_and_b64 s[2:3], s[0:1], vcc
	s_and_saveexec_b64 s[0:1], s[2:3]
	s_cbranch_execz .LBB2304_65
; %bb.64:
	v_bcnt_u32_b32 v7, v20, 0
	v_bcnt_u32_b32 v7, v21, v7
	ds_write_b32 v23, v7 offset:64
.LBB2304_65:
	s_or_b64 exec, exec, s[0:1]
	s_waitcnt vmcnt(6)
	v_not_b32_e32 v5, v5
	v_not_b32_e32 v4, v4
	v_lshrrev_b64 v[20:21], s16, v[4:5]
	v_and_b32_e32 v20, s17, v20
	v_lshl_add_u32 v7, v20, 4, v20
	v_add_lshl_u32 v24, v25, v7, 2
	v_and_b32_e32 v7, 1, v20
	v_add_co_u32_e32 v21, vcc, -1, v7
	v_addc_co_u32_e64 v28, s[0:1], 0, -1, vcc
	v_cmp_ne_u32_e32 vcc, 0, v7
	v_xor_b32_e32 v7, vcc_hi, v28
	v_and_b32_e32 v28, exec_hi, v7
	v_lshlrev_b32_e32 v7, 30, v20
	v_xor_b32_e32 v21, vcc_lo, v21
	v_cmp_gt_i64_e32 vcc, 0, v[6:7]
	v_not_b32_e32 v7, v7
	v_ashrrev_i32_e32 v7, 31, v7
	v_and_b32_e32 v21, exec_lo, v21
	v_xor_b32_e32 v29, vcc_hi, v7
	v_xor_b32_e32 v7, vcc_lo, v7
	v_and_b32_e32 v21, v21, v7
	v_lshlrev_b32_e32 v7, 29, v20
	v_cmp_gt_i64_e32 vcc, 0, v[6:7]
	v_not_b32_e32 v7, v7
	v_ashrrev_i32_e32 v7, 31, v7
	v_and_b32_e32 v28, v28, v29
	v_xor_b32_e32 v29, vcc_hi, v7
	v_xor_b32_e32 v7, vcc_lo, v7
	v_and_b32_e32 v21, v21, v7
	v_lshlrev_b32_e32 v7, 28, v20
	v_cmp_gt_i64_e32 vcc, 0, v[6:7]
	v_not_b32_e32 v7, v7
	v_ashrrev_i32_e32 v7, 31, v7
	v_and_b32_e32 v28, v28, v29
	;; [unrolled: 8-line block ×5, first 2 shown]
	v_xor_b32_e32 v29, vcc_hi, v7
	v_xor_b32_e32 v7, vcc_lo, v7
	v_and_b32_e32 v21, v21, v7
	v_lshlrev_b32_e32 v7, 24, v20
	v_cmp_gt_i64_e32 vcc, 0, v[6:7]
	v_not_b32_e32 v6, v7
	v_ashrrev_i32_e32 v6, 31, v6
	v_xor_b32_e32 v7, vcc_hi, v6
	v_xor_b32_e32 v6, vcc_lo, v6
	; wave barrier
	ds_read_b32 v27, v24 offset:64
	v_and_b32_e32 v28, v28, v29
	v_and_b32_e32 v6, v21, v6
	;; [unrolled: 1-line block ×3, first 2 shown]
	v_mbcnt_lo_u32_b32 v20, v6, 0
	v_mbcnt_hi_u32_b32 v28, v7, v20
	v_cmp_eq_u32_e32 vcc, 0, v28
	v_cmp_ne_u64_e64 s[0:1], 0, v[6:7]
	s_and_b64 s[2:3], s[0:1], vcc
	; wave barrier
	s_and_saveexec_b64 s[0:1], s[2:3]
	s_cbranch_execz .LBB2304_67
; %bb.66:
	v_bcnt_u32_b32 v6, v6, 0
	v_bcnt_u32_b32 v6, v7, v6
	s_waitcnt lgkmcnt(0)
	v_add_u32_e32 v6, v27, v6
	ds_write_b32 v24, v6 offset:64
.LBB2304_67:
	s_or_b64 exec, exec, s[0:1]
	s_waitcnt vmcnt(5)
	v_not_b32_e32 v7, v19
	v_not_b32_e32 v6, v18
	v_lshrrev_b64 v[18:19], s16, v[6:7]
	v_and_b32_e32 v20, s17, v18
	v_and_b32_e32 v19, 1, v20
	v_add_co_u32_e32 v21, vcc, -1, v19
	v_addc_co_u32_e64 v30, s[0:1], 0, -1, vcc
	v_cmp_ne_u32_e32 vcc, 0, v19
	v_lshl_add_u32 v18, v20, 4, v20
	v_xor_b32_e32 v19, vcc_hi, v30
	v_add_lshl_u32 v33, v25, v18, 2
	v_mov_b32_e32 v18, 0
	v_and_b32_e32 v30, exec_hi, v19
	v_lshlrev_b32_e32 v19, 30, v20
	v_xor_b32_e32 v21, vcc_lo, v21
	v_cmp_gt_i64_e32 vcc, 0, v[18:19]
	v_not_b32_e32 v19, v19
	v_ashrrev_i32_e32 v19, 31, v19
	v_and_b32_e32 v21, exec_lo, v21
	v_xor_b32_e32 v31, vcc_hi, v19
	v_xor_b32_e32 v19, vcc_lo, v19
	v_and_b32_e32 v21, v21, v19
	v_lshlrev_b32_e32 v19, 29, v20
	v_cmp_gt_i64_e32 vcc, 0, v[18:19]
	v_not_b32_e32 v19, v19
	v_ashrrev_i32_e32 v19, 31, v19
	v_and_b32_e32 v30, v30, v31
	v_xor_b32_e32 v31, vcc_hi, v19
	v_xor_b32_e32 v19, vcc_lo, v19
	v_and_b32_e32 v21, v21, v19
	v_lshlrev_b32_e32 v19, 28, v20
	v_cmp_gt_i64_e32 vcc, 0, v[18:19]
	v_not_b32_e32 v19, v19
	v_ashrrev_i32_e32 v19, 31, v19
	v_and_b32_e32 v30, v30, v31
	;; [unrolled: 8-line block ×5, first 2 shown]
	v_xor_b32_e32 v31, vcc_hi, v19
	v_xor_b32_e32 v19, vcc_lo, v19
	v_and_b32_e32 v30, v30, v31
	v_and_b32_e32 v31, v21, v19
	v_lshlrev_b32_e32 v19, 24, v20
	v_cmp_gt_i64_e32 vcc, 0, v[18:19]
	v_not_b32_e32 v19, v19
	v_ashrrev_i32_e32 v19, 31, v19
	v_xor_b32_e32 v20, vcc_hi, v19
	v_xor_b32_e32 v19, vcc_lo, v19
	; wave barrier
	ds_read_b32 v29, v33 offset:64
	v_and_b32_e32 v21, v30, v20
	v_and_b32_e32 v20, v31, v19
	v_mbcnt_lo_u32_b32 v19, v20, 0
	v_mbcnt_hi_u32_b32 v30, v21, v19
	v_cmp_eq_u32_e32 vcc, 0, v30
	v_cmp_ne_u64_e64 s[0:1], 0, v[20:21]
	s_and_b64 s[2:3], s[0:1], vcc
	; wave barrier
	s_and_saveexec_b64 s[0:1], s[2:3]
	s_cbranch_execz .LBB2304_69
; %bb.68:
	v_bcnt_u32_b32 v19, v20, 0
	v_bcnt_u32_b32 v19, v21, v19
	s_waitcnt lgkmcnt(0)
	v_add_u32_e32 v19, v29, v19
	ds_write_b32 v33, v19 offset:64
.LBB2304_69:
	s_or_b64 exec, exec, s[0:1]
	s_waitcnt vmcnt(4)
	v_not_b32_e32 v9, v9
	v_not_b32_e32 v8, v8
	v_lshrrev_b64 v[20:21], s16, v[8:9]
	v_and_b32_e32 v20, s17, v20
	v_lshl_add_u32 v19, v20, 4, v20
	v_add_lshl_u32 v36, v25, v19, 2
	v_and_b32_e32 v19, 1, v20
	v_add_co_u32_e32 v21, vcc, -1, v19
	v_addc_co_u32_e64 v32, s[0:1], 0, -1, vcc
	v_cmp_ne_u32_e32 vcc, 0, v19
	v_xor_b32_e32 v19, vcc_hi, v32
	v_and_b32_e32 v32, exec_hi, v19
	v_lshlrev_b32_e32 v19, 30, v20
	v_xor_b32_e32 v21, vcc_lo, v21
	v_cmp_gt_i64_e32 vcc, 0, v[18:19]
	v_not_b32_e32 v19, v19
	v_ashrrev_i32_e32 v19, 31, v19
	v_and_b32_e32 v21, exec_lo, v21
	v_xor_b32_e32 v34, vcc_hi, v19
	v_xor_b32_e32 v19, vcc_lo, v19
	v_and_b32_e32 v21, v21, v19
	v_lshlrev_b32_e32 v19, 29, v20
	v_cmp_gt_i64_e32 vcc, 0, v[18:19]
	v_not_b32_e32 v19, v19
	v_ashrrev_i32_e32 v19, 31, v19
	v_and_b32_e32 v32, v32, v34
	v_xor_b32_e32 v34, vcc_hi, v19
	v_xor_b32_e32 v19, vcc_lo, v19
	v_and_b32_e32 v21, v21, v19
	v_lshlrev_b32_e32 v19, 28, v20
	v_cmp_gt_i64_e32 vcc, 0, v[18:19]
	v_not_b32_e32 v19, v19
	v_ashrrev_i32_e32 v19, 31, v19
	v_and_b32_e32 v32, v32, v34
	;; [unrolled: 8-line block ×5, first 2 shown]
	v_xor_b32_e32 v34, vcc_hi, v19
	v_xor_b32_e32 v19, vcc_lo, v19
	v_and_b32_e32 v21, v21, v19
	v_lshlrev_b32_e32 v19, 24, v20
	v_cmp_gt_i64_e32 vcc, 0, v[18:19]
	v_not_b32_e32 v18, v19
	v_ashrrev_i32_e32 v18, 31, v18
	v_xor_b32_e32 v19, vcc_hi, v18
	v_xor_b32_e32 v18, vcc_lo, v18
	; wave barrier
	ds_read_b32 v31, v36 offset:64
	v_and_b32_e32 v32, v32, v34
	v_and_b32_e32 v18, v21, v18
	;; [unrolled: 1-line block ×3, first 2 shown]
	v_mbcnt_lo_u32_b32 v20, v18, 0
	v_mbcnt_hi_u32_b32 v32, v19, v20
	v_cmp_eq_u32_e32 vcc, 0, v32
	v_cmp_ne_u64_e64 s[0:1], 0, v[18:19]
	s_and_b64 s[2:3], s[0:1], vcc
	; wave barrier
	s_and_saveexec_b64 s[0:1], s[2:3]
	s_cbranch_execz .LBB2304_71
; %bb.70:
	v_bcnt_u32_b32 v18, v18, 0
	v_bcnt_u32_b32 v18, v19, v18
	s_waitcnt lgkmcnt(0)
	v_add_u32_e32 v18, v31, v18
	ds_write_b32 v36, v18 offset:64
.LBB2304_71:
	s_or_b64 exec, exec, s[0:1]
	s_waitcnt vmcnt(3)
	v_not_b32_e32 v11, v11
	v_not_b32_e32 v10, v10
	v_lshrrev_b64 v[18:19], s16, v[10:11]
	v_and_b32_e32 v20, s17, v18
	v_and_b32_e32 v19, 1, v20
	v_add_co_u32_e32 v21, vcc, -1, v19
	v_addc_co_u32_e64 v35, s[0:1], 0, -1, vcc
	v_cmp_ne_u32_e32 vcc, 0, v19
	v_lshl_add_u32 v18, v20, 4, v20
	v_xor_b32_e32 v19, vcc_hi, v35
	v_add_lshl_u32 v38, v25, v18, 2
	v_mov_b32_e32 v18, 0
	v_and_b32_e32 v35, exec_hi, v19
	v_lshlrev_b32_e32 v19, 30, v20
	v_xor_b32_e32 v21, vcc_lo, v21
	v_cmp_gt_i64_e32 vcc, 0, v[18:19]
	v_not_b32_e32 v19, v19
	v_ashrrev_i32_e32 v19, 31, v19
	v_and_b32_e32 v21, exec_lo, v21
	v_xor_b32_e32 v37, vcc_hi, v19
	v_xor_b32_e32 v19, vcc_lo, v19
	v_and_b32_e32 v21, v21, v19
	v_lshlrev_b32_e32 v19, 29, v20
	v_cmp_gt_i64_e32 vcc, 0, v[18:19]
	v_not_b32_e32 v19, v19
	v_ashrrev_i32_e32 v19, 31, v19
	v_and_b32_e32 v35, v35, v37
	v_xor_b32_e32 v37, vcc_hi, v19
	v_xor_b32_e32 v19, vcc_lo, v19
	v_and_b32_e32 v21, v21, v19
	v_lshlrev_b32_e32 v19, 28, v20
	v_cmp_gt_i64_e32 vcc, 0, v[18:19]
	v_not_b32_e32 v19, v19
	v_ashrrev_i32_e32 v19, 31, v19
	v_and_b32_e32 v35, v35, v37
	;; [unrolled: 8-line block ×5, first 2 shown]
	v_xor_b32_e32 v37, vcc_hi, v19
	v_xor_b32_e32 v19, vcc_lo, v19
	v_and_b32_e32 v35, v35, v37
	v_and_b32_e32 v37, v21, v19
	v_lshlrev_b32_e32 v19, 24, v20
	v_cmp_gt_i64_e32 vcc, 0, v[18:19]
	v_not_b32_e32 v19, v19
	v_ashrrev_i32_e32 v19, 31, v19
	v_xor_b32_e32 v20, vcc_hi, v19
	v_xor_b32_e32 v19, vcc_lo, v19
	; wave barrier
	ds_read_b32 v34, v38 offset:64
	v_and_b32_e32 v21, v35, v20
	v_and_b32_e32 v20, v37, v19
	v_mbcnt_lo_u32_b32 v19, v20, 0
	v_mbcnt_hi_u32_b32 v35, v21, v19
	v_cmp_eq_u32_e32 vcc, 0, v35
	v_cmp_ne_u64_e64 s[0:1], 0, v[20:21]
	s_and_b64 s[2:3], s[0:1], vcc
	; wave barrier
	s_and_saveexec_b64 s[0:1], s[2:3]
	s_cbranch_execz .LBB2304_73
; %bb.72:
	v_bcnt_u32_b32 v19, v20, 0
	v_bcnt_u32_b32 v19, v21, v19
	s_waitcnt lgkmcnt(0)
	v_add_u32_e32 v19, v34, v19
	ds_write_b32 v38, v19 offset:64
.LBB2304_73:
	s_or_b64 exec, exec, s[0:1]
	s_waitcnt vmcnt(2)
	v_not_b32_e32 v15, v15
	v_not_b32_e32 v14, v14
	v_lshrrev_b64 v[20:21], s16, v[14:15]
	v_and_b32_e32 v20, s17, v20
	v_lshl_add_u32 v19, v20, 4, v20
	v_add_lshl_u32 v42, v25, v19, 2
	v_and_b32_e32 v19, 1, v20
	v_add_co_u32_e32 v21, vcc, -1, v19
	v_addc_co_u32_e64 v39, s[0:1], 0, -1, vcc
	v_cmp_ne_u32_e32 vcc, 0, v19
	v_xor_b32_e32 v19, vcc_hi, v39
	v_and_b32_e32 v39, exec_hi, v19
	v_lshlrev_b32_e32 v19, 30, v20
	v_xor_b32_e32 v21, vcc_lo, v21
	v_cmp_gt_i64_e32 vcc, 0, v[18:19]
	v_not_b32_e32 v19, v19
	v_ashrrev_i32_e32 v19, 31, v19
	v_and_b32_e32 v21, exec_lo, v21
	v_xor_b32_e32 v40, vcc_hi, v19
	v_xor_b32_e32 v19, vcc_lo, v19
	v_and_b32_e32 v21, v21, v19
	v_lshlrev_b32_e32 v19, 29, v20
	v_cmp_gt_i64_e32 vcc, 0, v[18:19]
	v_not_b32_e32 v19, v19
	v_ashrrev_i32_e32 v19, 31, v19
	v_and_b32_e32 v39, v39, v40
	v_xor_b32_e32 v40, vcc_hi, v19
	v_xor_b32_e32 v19, vcc_lo, v19
	v_and_b32_e32 v21, v21, v19
	v_lshlrev_b32_e32 v19, 28, v20
	v_cmp_gt_i64_e32 vcc, 0, v[18:19]
	v_not_b32_e32 v19, v19
	v_ashrrev_i32_e32 v19, 31, v19
	v_and_b32_e32 v39, v39, v40
	;; [unrolled: 8-line block ×5, first 2 shown]
	v_xor_b32_e32 v40, vcc_hi, v19
	v_xor_b32_e32 v19, vcc_lo, v19
	v_and_b32_e32 v21, v21, v19
	v_lshlrev_b32_e32 v19, 24, v20
	v_cmp_gt_i64_e32 vcc, 0, v[18:19]
	v_not_b32_e32 v18, v19
	v_ashrrev_i32_e32 v18, 31, v18
	v_xor_b32_e32 v19, vcc_hi, v18
	v_xor_b32_e32 v18, vcc_lo, v18
	; wave barrier
	ds_read_b32 v37, v42 offset:64
	v_and_b32_e32 v39, v39, v40
	v_and_b32_e32 v18, v21, v18
	;; [unrolled: 1-line block ×3, first 2 shown]
	v_mbcnt_lo_u32_b32 v20, v18, 0
	v_mbcnt_hi_u32_b32 v39, v19, v20
	v_cmp_eq_u32_e32 vcc, 0, v39
	v_cmp_ne_u64_e64 s[0:1], 0, v[18:19]
	s_and_b64 s[2:3], s[0:1], vcc
	; wave barrier
	s_and_saveexec_b64 s[0:1], s[2:3]
	s_cbranch_execz .LBB2304_75
; %bb.74:
	v_bcnt_u32_b32 v18, v18, 0
	v_bcnt_u32_b32 v18, v19, v18
	s_waitcnt lgkmcnt(0)
	v_add_u32_e32 v18, v37, v18
	ds_write_b32 v42, v18 offset:64
.LBB2304_75:
	s_or_b64 exec, exec, s[0:1]
	s_waitcnt vmcnt(1)
	v_not_b32_e32 v17, v17
	v_not_b32_e32 v16, v16
	v_lshrrev_b64 v[18:19], s16, v[16:17]
	v_and_b32_e32 v20, s17, v18
	v_and_b32_e32 v19, 1, v20
	v_add_co_u32_e32 v21, vcc, -1, v19
	v_addc_co_u32_e64 v41, s[0:1], 0, -1, vcc
	v_cmp_ne_u32_e32 vcc, 0, v19
	v_lshl_add_u32 v18, v20, 4, v20
	v_xor_b32_e32 v19, vcc_hi, v41
	v_add_lshl_u32 v44, v25, v18, 2
	v_mov_b32_e32 v18, 0
	v_and_b32_e32 v41, exec_hi, v19
	v_lshlrev_b32_e32 v19, 30, v20
	v_xor_b32_e32 v21, vcc_lo, v21
	v_cmp_gt_i64_e32 vcc, 0, v[18:19]
	v_not_b32_e32 v19, v19
	v_ashrrev_i32_e32 v19, 31, v19
	v_and_b32_e32 v21, exec_lo, v21
	v_xor_b32_e32 v43, vcc_hi, v19
	v_xor_b32_e32 v19, vcc_lo, v19
	v_and_b32_e32 v21, v21, v19
	v_lshlrev_b32_e32 v19, 29, v20
	v_cmp_gt_i64_e32 vcc, 0, v[18:19]
	v_not_b32_e32 v19, v19
	v_ashrrev_i32_e32 v19, 31, v19
	v_and_b32_e32 v41, v41, v43
	v_xor_b32_e32 v43, vcc_hi, v19
	v_xor_b32_e32 v19, vcc_lo, v19
	v_and_b32_e32 v21, v21, v19
	v_lshlrev_b32_e32 v19, 28, v20
	v_cmp_gt_i64_e32 vcc, 0, v[18:19]
	v_not_b32_e32 v19, v19
	v_ashrrev_i32_e32 v19, 31, v19
	v_and_b32_e32 v41, v41, v43
	;; [unrolled: 8-line block ×5, first 2 shown]
	v_xor_b32_e32 v43, vcc_hi, v19
	v_xor_b32_e32 v19, vcc_lo, v19
	v_and_b32_e32 v41, v41, v43
	v_and_b32_e32 v43, v21, v19
	v_lshlrev_b32_e32 v19, 24, v20
	v_cmp_gt_i64_e32 vcc, 0, v[18:19]
	v_not_b32_e32 v19, v19
	v_ashrrev_i32_e32 v19, 31, v19
	v_xor_b32_e32 v20, vcc_hi, v19
	v_xor_b32_e32 v19, vcc_lo, v19
	; wave barrier
	ds_read_b32 v40, v44 offset:64
	v_and_b32_e32 v21, v41, v20
	v_and_b32_e32 v20, v43, v19
	v_mbcnt_lo_u32_b32 v19, v20, 0
	v_mbcnt_hi_u32_b32 v41, v21, v19
	v_cmp_eq_u32_e32 vcc, 0, v41
	v_cmp_ne_u64_e64 s[0:1], 0, v[20:21]
	s_and_b64 s[2:3], s[0:1], vcc
	; wave barrier
	s_and_saveexec_b64 s[0:1], s[2:3]
	s_cbranch_execz .LBB2304_77
; %bb.76:
	v_bcnt_u32_b32 v19, v20, 0
	v_bcnt_u32_b32 v19, v21, v19
	s_waitcnt lgkmcnt(0)
	v_add_u32_e32 v19, v40, v19
	ds_write_b32 v44, v19 offset:64
.LBB2304_77:
	s_or_b64 exec, exec, s[0:1]
	s_waitcnt vmcnt(0)
	v_not_b32_e32 v13, v13
	v_not_b32_e32 v12, v12
	v_lshrrev_b64 v[20:21], s16, v[12:13]
	v_and_b32_e32 v20, s17, v20
	v_lshl_add_u32 v19, v20, 4, v20
	v_add_lshl_u32 v25, v25, v19, 2
	v_and_b32_e32 v19, 1, v20
	v_add_co_u32_e32 v21, vcc, -1, v19
	v_addc_co_u32_e64 v45, s[0:1], 0, -1, vcc
	v_cmp_ne_u32_e32 vcc, 0, v19
	v_xor_b32_e32 v19, vcc_hi, v45
	v_and_b32_e32 v45, exec_hi, v19
	v_lshlrev_b32_e32 v19, 30, v20
	v_xor_b32_e32 v21, vcc_lo, v21
	v_cmp_gt_i64_e32 vcc, 0, v[18:19]
	v_not_b32_e32 v19, v19
	v_ashrrev_i32_e32 v19, 31, v19
	v_and_b32_e32 v21, exec_lo, v21
	v_xor_b32_e32 v47, vcc_hi, v19
	v_xor_b32_e32 v19, vcc_lo, v19
	v_and_b32_e32 v21, v21, v19
	v_lshlrev_b32_e32 v19, 29, v20
	v_cmp_gt_i64_e32 vcc, 0, v[18:19]
	v_not_b32_e32 v19, v19
	v_ashrrev_i32_e32 v19, 31, v19
	v_and_b32_e32 v45, v45, v47
	v_xor_b32_e32 v47, vcc_hi, v19
	v_xor_b32_e32 v19, vcc_lo, v19
	v_and_b32_e32 v21, v21, v19
	v_lshlrev_b32_e32 v19, 28, v20
	v_cmp_gt_i64_e32 vcc, 0, v[18:19]
	v_not_b32_e32 v19, v19
	v_ashrrev_i32_e32 v19, 31, v19
	v_and_b32_e32 v45, v45, v47
	;; [unrolled: 8-line block ×5, first 2 shown]
	v_xor_b32_e32 v47, vcc_hi, v19
	v_xor_b32_e32 v19, vcc_lo, v19
	v_and_b32_e32 v21, v21, v19
	v_lshlrev_b32_e32 v19, 24, v20
	v_cmp_gt_i64_e32 vcc, 0, v[18:19]
	v_not_b32_e32 v18, v19
	v_ashrrev_i32_e32 v18, 31, v18
	v_xor_b32_e32 v19, vcc_hi, v18
	v_xor_b32_e32 v18, vcc_lo, v18
	; wave barrier
	ds_read_b32 v43, v25 offset:64
	v_and_b32_e32 v45, v45, v47
	v_and_b32_e32 v18, v21, v18
	;; [unrolled: 1-line block ×3, first 2 shown]
	v_mbcnt_lo_u32_b32 v20, v18, 0
	v_mbcnt_hi_u32_b32 v45, v19, v20
	v_cmp_eq_u32_e32 vcc, 0, v45
	v_cmp_ne_u64_e64 s[0:1], 0, v[18:19]
	v_add_u32_e32 v46, 64, v22
	s_and_b64 s[2:3], s[0:1], vcc
	; wave barrier
	s_and_saveexec_b64 s[0:1], s[2:3]
	s_cbranch_execz .LBB2304_79
; %bb.78:
	v_bcnt_u32_b32 v18, v18, 0
	v_bcnt_u32_b32 v18, v19, v18
	s_waitcnt lgkmcnt(0)
	v_add_u32_e32 v18, v43, v18
	ds_write_b32 v25, v18 offset:64
.LBB2304_79:
	s_or_b64 exec, exec, s[0:1]
	; wave barrier
	s_waitcnt lgkmcnt(0)
	s_barrier
	ds_read2_b32 v[20:21], v22 offset0:16 offset1:17
	ds_read2_b32 v[18:19], v46 offset0:2 offset1:3
	ds_read_b32 v47, v46 offset:16
	v_cmp_lt_u32_e64 s[8:9], 31, v3
	s_waitcnt lgkmcnt(1)
	v_add3_u32 v48, v21, v20, v18
	s_waitcnt lgkmcnt(0)
	v_add3_u32 v47, v48, v19, v47
	v_and_b32_e32 v48, 15, v3
	v_cmp_eq_u32_e32 vcc, 0, v48
	v_mov_b32_dpp v49, v47 row_shr:1 row_mask:0xf bank_mask:0xf
	v_cndmask_b32_e64 v49, v49, 0, vcc
	v_add_u32_e32 v47, v49, v47
	v_cmp_lt_u32_e64 s[0:1], 1, v48
	v_cmp_lt_u32_e64 s[2:3], 3, v48
	v_mov_b32_dpp v49, v47 row_shr:2 row_mask:0xf bank_mask:0xf
	v_cndmask_b32_e64 v49, 0, v49, s[0:1]
	v_add_u32_e32 v47, v47, v49
	v_cmp_lt_u32_e64 s[4:5], 7, v48
	s_nop 0
	v_mov_b32_dpp v49, v47 row_shr:4 row_mask:0xf bank_mask:0xf
	v_cndmask_b32_e64 v49, 0, v49, s[2:3]
	v_add_u32_e32 v47, v47, v49
	s_nop 1
	v_mov_b32_dpp v49, v47 row_shr:8 row_mask:0xf bank_mask:0xf
	v_cndmask_b32_e64 v48, 0, v49, s[4:5]
	v_add_u32_e32 v47, v47, v48
	v_bfe_i32 v49, v3, 4, 1
	s_nop 0
	v_mov_b32_dpp v48, v47 row_bcast:15 row_mask:0xf bank_mask:0xf
	v_and_b32_e32 v48, v49, v48
	v_add_u32_e32 v47, v47, v48
	v_and_b32_e32 v49, 63, v2
	s_nop 0
	v_mov_b32_dpp v48, v47 row_bcast:31 row_mask:0xf bank_mask:0xf
	v_cndmask_b32_e64 v48, 0, v48, s[8:9]
	v_add_u32_e32 v47, v47, v48
	v_lshrrev_b32_e32 v48, 6, v2
	v_cmp_eq_u32_e64 s[8:9], 63, v49
	s_and_saveexec_b64 s[10:11], s[8:9]
	s_cbranch_execz .LBB2304_81
; %bb.80:
	v_lshlrev_b32_e32 v49, 2, v48
	ds_write_b32 v49, v47
.LBB2304_81:
	s_or_b64 exec, exec, s[10:11]
	v_cmp_gt_u32_e64 s[8:9], 16, v2
	s_waitcnt lgkmcnt(0)
	s_barrier
	s_and_saveexec_b64 s[10:11], s[8:9]
	s_cbranch_execz .LBB2304_83
; %bb.82:
	v_lshlrev_b32_e32 v49, 2, v2
	ds_read_b32 v50, v49
	s_waitcnt lgkmcnt(0)
	s_nop 0
	v_mov_b32_dpp v51, v50 row_shr:1 row_mask:0xf bank_mask:0xf
	v_cndmask_b32_e64 v51, v51, 0, vcc
	v_add_u32_e32 v50, v51, v50
	s_nop 1
	v_mov_b32_dpp v51, v50 row_shr:2 row_mask:0xf bank_mask:0xf
	v_cndmask_b32_e64 v51, 0, v51, s[0:1]
	v_add_u32_e32 v50, v50, v51
	s_nop 1
	v_mov_b32_dpp v51, v50 row_shr:4 row_mask:0xf bank_mask:0xf
	v_cndmask_b32_e64 v51, 0, v51, s[2:3]
	;; [unrolled: 4-line block ×3, first 2 shown]
	v_add_u32_e32 v50, v50, v51
	ds_write_b32 v49, v50
.LBB2304_83:
	s_or_b64 exec, exec, s[10:11]
	v_cmp_lt_u32_e32 vcc, 63, v2
	v_mov_b32_e32 v49, 0
	s_waitcnt lgkmcnt(0)
	s_barrier
	s_and_saveexec_b64 s[0:1], vcc
	s_cbranch_execz .LBB2304_85
; %bb.84:
	v_lshl_add_u32 v48, v48, 2, -4
	ds_read_b32 v49, v48
.LBB2304_85:
	s_or_b64 exec, exec, s[0:1]
	v_add_u32_e32 v48, -1, v3
	v_and_b32_e32 v50, 64, v3
	v_cmp_lt_i32_e32 vcc, v48, v50
	v_cndmask_b32_e32 v48, v48, v3, vcc
	s_waitcnt lgkmcnt(0)
	v_add_u32_e32 v47, v49, v47
	v_lshlrev_b32_e32 v48, 2, v48
	ds_bpermute_b32 v47, v48, v47
	v_cmp_eq_u32_e32 vcc, 0, v3
	s_movk_i32 s2, 0xff
	s_movk_i32 s0, 0x100
	v_cmp_gt_u32_e64 s[0:1], s0, v2
	s_waitcnt lgkmcnt(0)
	v_cndmask_b32_e32 v3, v47, v49, vcc
	v_cmp_ne_u32_e32 vcc, 0, v2
	v_cndmask_b32_e32 v3, 0, v3, vcc
	v_add_u32_e32 v20, v3, v20
	v_add_u32_e32 v21, v20, v21
	;; [unrolled: 1-line block ×4, first 2 shown]
	ds_write2_b32 v22, v3, v20 offset0:16 offset1:17
	ds_write2_b32 v46, v21, v18 offset0:2 offset1:3
	ds_write_b32 v46, v19 offset:16
	s_waitcnt lgkmcnt(0)
	s_barrier
	ds_read_b32 v48, v23 offset:64
	ds_read_b32 v46, v24 offset:64
	;; [unrolled: 1-line block ×8, first 2 shown]
	v_cmp_lt_u32_e32 vcc, s2, v2
	v_pk_mov_b32 v[18:19], 0, 0
                                        ; implicit-def: $vgpr38
	s_and_saveexec_b64 s[4:5], s[0:1]
	s_cbranch_execz .LBB2304_89
; %bb.86:
	v_mul_u32_u24_e32 v3, 17, v2
	v_lshlrev_b32_e32 v19, 2, v3
	ds_read_b32 v18, v19 offset:64
	v_cmp_ne_u32_e64 s[2:3], s2, v2
	v_mov_b32_e32 v3, 0x2000
	s_and_saveexec_b64 s[8:9], s[2:3]
	s_cbranch_execz .LBB2304_88
; %bb.87:
	ds_read_b32 v3, v19 offset:132
.LBB2304_88:
	s_or_b64 exec, exec, s[8:9]
	s_waitcnt lgkmcnt(0)
	v_sub_u32_e32 v38, v3, v18
	v_mov_b32_e32 v19, 0
.LBB2304_89:
	s_or_b64 exec, exec, s[4:5]
	s_waitcnt lgkmcnt(0)
	s_barrier
	s_and_saveexec_b64 s[2:3], vcc
	s_xor_b64 s[2:3], exec, s[2:3]
; %bb.90:
	v_mov_b32_e32 v3, 0
; %bb.91:
	s_andn2_saveexec_b64 s[2:3], s[2:3]
	s_cbranch_execz .LBB2304_101
; %bb.92:
	v_lshl_or_b32 v20, s6, 8, v2
	v_mov_b32_e32 v21, 0
	v_lshlrev_b64 v[22:23], 2, v[20:21]
	v_mov_b32_e32 v3, s25
	v_add_co_u32_e32 v22, vcc, s24, v22
	v_addc_co_u32_e32 v23, vcc, v3, v23, vcc
	v_or_b32_e32 v20, 2.0, v38
	s_mov_b64 s[4:5], 0
	s_brev_b32 s18, 1
	s_mov_b32 s19, s6
	v_mov_b32_e32 v50, 0
	global_store_dword v[22:23], v20, off
                                        ; implicit-def: $sgpr8_sgpr9
	s_branch .LBB2304_95
.LBB2304_93:                            ;   in Loop: Header=BB2304_95 Depth=1
	s_or_b64 exec, exec, s[10:11]
.LBB2304_94:                            ;   in Loop: Header=BB2304_95 Depth=1
	s_or_b64 exec, exec, s[8:9]
	v_and_b32_e32 v24, 0x3fffffff, v51
	v_add_u32_e32 v50, v24, v50
	v_cmp_eq_u32_e64 s[8:9], s18, v20
	s_and_b64 s[10:11], exec, s[8:9]
	s_or_b64 s[4:5], s[10:11], s[4:5]
	s_andn2_b64 exec, exec, s[4:5]
	s_cbranch_execz .LBB2304_100
.LBB2304_95:                            ; =>This Loop Header: Depth=1
                                        ;     Child Loop BB2304_98 Depth 2
	s_or_b64 s[8:9], s[8:9], exec
	s_cmp_eq_u32 s19, 0
	s_cbranch_scc1 .LBB2304_99
; %bb.96:                               ;   in Loop: Header=BB2304_95 Depth=1
	s_add_i32 s19, s19, -1
	v_lshl_or_b32 v20, s19, 8, v2
	v_lshlrev_b64 v[24:25], 2, v[20:21]
	v_add_co_u32_e32 v24, vcc, s24, v24
	v_addc_co_u32_e32 v25, vcc, v3, v25, vcc
	global_load_dword v51, v[24:25], off glc
	s_waitcnt vmcnt(0)
	v_and_b32_e32 v20, -2.0, v51
	v_cmp_eq_u32_e32 vcc, 0, v20
	s_and_saveexec_b64 s[8:9], vcc
	s_cbranch_execz .LBB2304_94
; %bb.97:                               ;   in Loop: Header=BB2304_95 Depth=1
	s_mov_b64 s[10:11], 0
.LBB2304_98:                            ;   Parent Loop BB2304_95 Depth=1
                                        ; =>  This Inner Loop Header: Depth=2
	global_load_dword v51, v[24:25], off glc
	s_waitcnt vmcnt(0)
	v_and_b32_e32 v20, -2.0, v51
	v_cmp_ne_u32_e32 vcc, 0, v20
	s_or_b64 s[10:11], vcc, s[10:11]
	s_andn2_b64 exec, exec, s[10:11]
	s_cbranch_execnz .LBB2304_98
	s_branch .LBB2304_93
.LBB2304_99:                            ;   in Loop: Header=BB2304_95 Depth=1
                                        ; implicit-def: $sgpr19
	s_and_b64 s[10:11], exec, s[8:9]
	s_or_b64 s[4:5], s[10:11], s[4:5]
	s_andn2_b64 exec, exec, s[4:5]
	s_cbranch_execnz .LBB2304_95
.LBB2304_100:
	s_or_b64 exec, exec, s[4:5]
	v_add_u32_e32 v3, v50, v38
	v_or_b32_e32 v3, 0x80000000, v3
	global_store_dword v[22:23], v3, off
	v_lshlrev_b32_e32 v22, 3, v2
	global_load_dwordx2 v[20:21], v22, s[12:13]
	v_sub_co_u32_e32 v23, vcc, v50, v18
	v_subb_co_u32_e32 v24, vcc, 0, v19, vcc
	v_mov_b32_e32 v3, 0
	s_waitcnt vmcnt(0)
	v_add_co_u32_e32 v20, vcc, v23, v20
	v_addc_co_u32_e32 v21, vcc, v24, v21, vcc
	ds_write_b64 v22, v[20:21]
.LBB2304_101:
	s_or_b64 exec, exec, s[2:3]
	v_lshlrev_b64 v[20:21], 3, v[2:3]
	v_lshlrev_b32_e32 v23, 3, v2
	v_add3_u32 v27, v28, v46, v27
	v_mov_b32_e32 v28, s23
	v_add_co_u32_e32 v20, vcc, s22, v20
	v_add_u32_e32 v22, v48, v26
	v_add_u32_e32 v24, 0x800, v23
	v_add3_u32 v25, v45, v49, v43
	v_add3_u32 v26, v41, v44, v40
	;; [unrolled: 1-line block ×6, first 2 shown]
	v_addc_co_u32_e32 v21, vcc, v28, v21, vcc
	s_mov_b32 s2, 0
.LBB2304_102:                           ; =>This Inner Loop Header: Depth=1
	v_add_u32_e32 v28, s2, v22
	v_add_u32_e32 v32, s2, v29
	;; [unrolled: 1-line block ×8, first 2 shown]
	v_min_u32_e32 v28, 0x800, v28
	v_min_u32_e32 v32, 0x800, v32
	;; [unrolled: 1-line block ×8, first 2 shown]
	v_lshlrev_b32_e32 v28, 3, v28
	v_lshlrev_b32_e32 v32, 3, v32
	;; [unrolled: 1-line block ×8, first 2 shown]
	ds_write_b64 v28, v[0:1] offset:2048
	ds_write_b64 v30, v[4:5] offset:2048
	;; [unrolled: 1-line block ×8, first 2 shown]
	s_waitcnt lgkmcnt(0)
	s_barrier
	ds_read_b64 v[32:33], v23 offset:2048
	ds_read_b64 v[40:41], v24 offset:8192
	s_addk_i32 s2, 0xf800
	s_cmpk_lg_i32 s2, 0xe000
	s_waitcnt lgkmcnt(1)
	v_lshrrev_b64 v[42:43], s16, v[32:33]
	s_waitcnt lgkmcnt(0)
	v_lshrrev_b64 v[44:45], s16, v[40:41]
	v_and_b32_e32 v28, s17, v42
	v_and_b32_e32 v30, s17, v44
	v_lshlrev_b32_e32 v28, 3, v28
	v_lshlrev_b32_e32 v30, 3, v30
	ds_read_b64 v[42:43], v28
	ds_read_b64 v[44:45], v30
	v_not_b32_e32 v33, v33
	v_not_b32_e32 v32, v32
	;; [unrolled: 1-line block ×3, first 2 shown]
	s_waitcnt lgkmcnt(1)
	v_lshlrev_b64 v[42:43], 3, v[42:43]
	v_add_co_u32_e32 v42, vcc, v20, v42
	s_waitcnt lgkmcnt(0)
	v_lshlrev_b64 v[44:45], 3, v[44:45]
	v_addc_co_u32_e32 v43, vcc, v21, v43, vcc
	v_add_co_u32_e32 v28, vcc, v20, v44
	v_addc_co_u32_e32 v30, vcc, v21, v45, vcc
	global_store_dwordx2 v[42:43], v[32:33], off
	v_add_co_u32_e32 v32, vcc, 0x2000, v28
	v_addc_co_u32_e32 v33, vcc, 0, v30, vcc
	v_add_co_u32_e32 v20, vcc, 0x4000, v20
	v_not_b32_e32 v40, v40
	v_addc_co_u32_e32 v21, vcc, 0, v21, vcc
	global_store_dwordx2 v[32:33], v[40:41], off
	s_barrier
	s_cbranch_scc1 .LBB2304_102
; %bb.103:
	s_add_i32 s7, s7, -1
	s_cmp_eq_u32 s7, s6
	s_cselect_b64 s[2:3], -1, 0
	s_and_b64 s[0:1], s[0:1], s[2:3]
.LBB2304_104:
	s_and_saveexec_b64 s[2:3], s[0:1]
	s_cbranch_execnz .LBB2304_106
; %bb.105:
	s_endpgm
.LBB2304_106:
	v_lshlrev_b32_e32 v6, 3, v2
	v_lshlrev_b64 v[0:1], 3, v[2:3]
	ds_read_b64 v[2:3], v6
	v_add_co_u32_e32 v4, vcc, v18, v38
	v_addc_co_u32_e32 v5, vcc, 0, v19, vcc
	v_mov_b32_e32 v7, s15
	v_add_co_u32_e32 v0, vcc, s14, v0
	v_addc_co_u32_e32 v1, vcc, v7, v1, vcc
	s_waitcnt lgkmcnt(0)
	v_add_co_u32_e32 v2, vcc, v4, v2
	v_addc_co_u32_e32 v3, vcc, v5, v3, vcc
	global_store_dwordx2 v[0:1], v[2:3], off
	s_endpgm
	.section	.rodata,"a",@progbits
	.p2align	6, 0x0
	.amdhsa_kernel _ZN7rocprim17ROCPRIM_400000_NS6detail17trampoline_kernelINS0_14default_configENS1_35radix_sort_onesweep_config_selectorImNS0_10empty_typeEEEZZNS1_29radix_sort_onesweep_iterationIS3_Lb1EPmS8_PS5_S9_mNS0_19identity_decomposerENS1_16block_id_wrapperIjLb0EEEEE10hipError_tT1_PNSt15iterator_traitsISE_E10value_typeET2_T3_PNSF_ISK_E10value_typeET4_T5_PSP_SQ_PNS1_23onesweep_lookback_stateEbbT6_jjT7_P12ihipStream_tbENKUlT_T0_SE_SJ_E_clIS8_S8_S9_S9_EEDaSX_SY_SE_SJ_EUlSX_E_NS1_11comp_targetILNS1_3genE4ELNS1_11target_archE910ELNS1_3gpuE8ELNS1_3repE0EEENS1_47radix_sort_onesweep_sort_config_static_selectorELNS0_4arch9wavefront6targetE1EEEvSE_
		.amdhsa_group_segment_fixed_size 20552
		.amdhsa_private_segment_fixed_size 0
		.amdhsa_kernarg_size 344
		.amdhsa_user_sgpr_count 6
		.amdhsa_user_sgpr_private_segment_buffer 1
		.amdhsa_user_sgpr_dispatch_ptr 0
		.amdhsa_user_sgpr_queue_ptr 0
		.amdhsa_user_sgpr_kernarg_segment_ptr 1
		.amdhsa_user_sgpr_dispatch_id 0
		.amdhsa_user_sgpr_flat_scratch_init 0
		.amdhsa_user_sgpr_kernarg_preload_length 0
		.amdhsa_user_sgpr_kernarg_preload_offset 0
		.amdhsa_user_sgpr_private_segment_size 0
		.amdhsa_uses_dynamic_stack 0
		.amdhsa_system_sgpr_private_segment_wavefront_offset 0
		.amdhsa_system_sgpr_workgroup_id_x 1
		.amdhsa_system_sgpr_workgroup_id_y 0
		.amdhsa_system_sgpr_workgroup_id_z 0
		.amdhsa_system_sgpr_workgroup_info 0
		.amdhsa_system_vgpr_workitem_id 2
		.amdhsa_next_free_vgpr 55
		.amdhsa_next_free_sgpr 30
		.amdhsa_accum_offset 56
		.amdhsa_reserve_vcc 1
		.amdhsa_reserve_flat_scratch 0
		.amdhsa_float_round_mode_32 0
		.amdhsa_float_round_mode_16_64 0
		.amdhsa_float_denorm_mode_32 3
		.amdhsa_float_denorm_mode_16_64 3
		.amdhsa_dx10_clamp 1
		.amdhsa_ieee_mode 1
		.amdhsa_fp16_overflow 0
		.amdhsa_tg_split 0
		.amdhsa_exception_fp_ieee_invalid_op 0
		.amdhsa_exception_fp_denorm_src 0
		.amdhsa_exception_fp_ieee_div_zero 0
		.amdhsa_exception_fp_ieee_overflow 0
		.amdhsa_exception_fp_ieee_underflow 0
		.amdhsa_exception_fp_ieee_inexact 0
		.amdhsa_exception_int_div_zero 0
	.end_amdhsa_kernel
	.section	.text._ZN7rocprim17ROCPRIM_400000_NS6detail17trampoline_kernelINS0_14default_configENS1_35radix_sort_onesweep_config_selectorImNS0_10empty_typeEEEZZNS1_29radix_sort_onesweep_iterationIS3_Lb1EPmS8_PS5_S9_mNS0_19identity_decomposerENS1_16block_id_wrapperIjLb0EEEEE10hipError_tT1_PNSt15iterator_traitsISE_E10value_typeET2_T3_PNSF_ISK_E10value_typeET4_T5_PSP_SQ_PNS1_23onesweep_lookback_stateEbbT6_jjT7_P12ihipStream_tbENKUlT_T0_SE_SJ_E_clIS8_S8_S9_S9_EEDaSX_SY_SE_SJ_EUlSX_E_NS1_11comp_targetILNS1_3genE4ELNS1_11target_archE910ELNS1_3gpuE8ELNS1_3repE0EEENS1_47radix_sort_onesweep_sort_config_static_selectorELNS0_4arch9wavefront6targetE1EEEvSE_,"axG",@progbits,_ZN7rocprim17ROCPRIM_400000_NS6detail17trampoline_kernelINS0_14default_configENS1_35radix_sort_onesweep_config_selectorImNS0_10empty_typeEEEZZNS1_29radix_sort_onesweep_iterationIS3_Lb1EPmS8_PS5_S9_mNS0_19identity_decomposerENS1_16block_id_wrapperIjLb0EEEEE10hipError_tT1_PNSt15iterator_traitsISE_E10value_typeET2_T3_PNSF_ISK_E10value_typeET4_T5_PSP_SQ_PNS1_23onesweep_lookback_stateEbbT6_jjT7_P12ihipStream_tbENKUlT_T0_SE_SJ_E_clIS8_S8_S9_S9_EEDaSX_SY_SE_SJ_EUlSX_E_NS1_11comp_targetILNS1_3genE4ELNS1_11target_archE910ELNS1_3gpuE8ELNS1_3repE0EEENS1_47radix_sort_onesweep_sort_config_static_selectorELNS0_4arch9wavefront6targetE1EEEvSE_,comdat
.Lfunc_end2304:
	.size	_ZN7rocprim17ROCPRIM_400000_NS6detail17trampoline_kernelINS0_14default_configENS1_35radix_sort_onesweep_config_selectorImNS0_10empty_typeEEEZZNS1_29radix_sort_onesweep_iterationIS3_Lb1EPmS8_PS5_S9_mNS0_19identity_decomposerENS1_16block_id_wrapperIjLb0EEEEE10hipError_tT1_PNSt15iterator_traitsISE_E10value_typeET2_T3_PNSF_ISK_E10value_typeET4_T5_PSP_SQ_PNS1_23onesweep_lookback_stateEbbT6_jjT7_P12ihipStream_tbENKUlT_T0_SE_SJ_E_clIS8_S8_S9_S9_EEDaSX_SY_SE_SJ_EUlSX_E_NS1_11comp_targetILNS1_3genE4ELNS1_11target_archE910ELNS1_3gpuE8ELNS1_3repE0EEENS1_47radix_sort_onesweep_sort_config_static_selectorELNS0_4arch9wavefront6targetE1EEEvSE_, .Lfunc_end2304-_ZN7rocprim17ROCPRIM_400000_NS6detail17trampoline_kernelINS0_14default_configENS1_35radix_sort_onesweep_config_selectorImNS0_10empty_typeEEEZZNS1_29radix_sort_onesweep_iterationIS3_Lb1EPmS8_PS5_S9_mNS0_19identity_decomposerENS1_16block_id_wrapperIjLb0EEEEE10hipError_tT1_PNSt15iterator_traitsISE_E10value_typeET2_T3_PNSF_ISK_E10value_typeET4_T5_PSP_SQ_PNS1_23onesweep_lookback_stateEbbT6_jjT7_P12ihipStream_tbENKUlT_T0_SE_SJ_E_clIS8_S8_S9_S9_EEDaSX_SY_SE_SJ_EUlSX_E_NS1_11comp_targetILNS1_3genE4ELNS1_11target_archE910ELNS1_3gpuE8ELNS1_3repE0EEENS1_47radix_sort_onesweep_sort_config_static_selectorELNS0_4arch9wavefront6targetE1EEEvSE_
                                        ; -- End function
	.section	.AMDGPU.csdata,"",@progbits
; Kernel info:
; codeLenInByte = 10332
; NumSgprs: 34
; NumVgprs: 55
; NumAgprs: 0
; TotalNumVgprs: 55
; ScratchSize: 0
; MemoryBound: 0
; FloatMode: 240
; IeeeMode: 1
; LDSByteSize: 20552 bytes/workgroup (compile time only)
; SGPRBlocks: 4
; VGPRBlocks: 6
; NumSGPRsForWavesPerEU: 34
; NumVGPRsForWavesPerEU: 55
; AccumOffset: 56
; Occupancy: 8
; WaveLimiterHint : 1
; COMPUTE_PGM_RSRC2:SCRATCH_EN: 0
; COMPUTE_PGM_RSRC2:USER_SGPR: 6
; COMPUTE_PGM_RSRC2:TRAP_HANDLER: 0
; COMPUTE_PGM_RSRC2:TGID_X_EN: 1
; COMPUTE_PGM_RSRC2:TGID_Y_EN: 0
; COMPUTE_PGM_RSRC2:TGID_Z_EN: 0
; COMPUTE_PGM_RSRC2:TIDIG_COMP_CNT: 2
; COMPUTE_PGM_RSRC3_GFX90A:ACCUM_OFFSET: 13
; COMPUTE_PGM_RSRC3_GFX90A:TG_SPLIT: 0
	.section	.text._ZN7rocprim17ROCPRIM_400000_NS6detail17trampoline_kernelINS0_14default_configENS1_35radix_sort_onesweep_config_selectorImNS0_10empty_typeEEEZZNS1_29radix_sort_onesweep_iterationIS3_Lb1EPmS8_PS5_S9_mNS0_19identity_decomposerENS1_16block_id_wrapperIjLb0EEEEE10hipError_tT1_PNSt15iterator_traitsISE_E10value_typeET2_T3_PNSF_ISK_E10value_typeET4_T5_PSP_SQ_PNS1_23onesweep_lookback_stateEbbT6_jjT7_P12ihipStream_tbENKUlT_T0_SE_SJ_E_clIS8_S8_S9_S9_EEDaSX_SY_SE_SJ_EUlSX_E_NS1_11comp_targetILNS1_3genE3ELNS1_11target_archE908ELNS1_3gpuE7ELNS1_3repE0EEENS1_47radix_sort_onesweep_sort_config_static_selectorELNS0_4arch9wavefront6targetE1EEEvSE_,"axG",@progbits,_ZN7rocprim17ROCPRIM_400000_NS6detail17trampoline_kernelINS0_14default_configENS1_35radix_sort_onesweep_config_selectorImNS0_10empty_typeEEEZZNS1_29radix_sort_onesweep_iterationIS3_Lb1EPmS8_PS5_S9_mNS0_19identity_decomposerENS1_16block_id_wrapperIjLb0EEEEE10hipError_tT1_PNSt15iterator_traitsISE_E10value_typeET2_T3_PNSF_ISK_E10value_typeET4_T5_PSP_SQ_PNS1_23onesweep_lookback_stateEbbT6_jjT7_P12ihipStream_tbENKUlT_T0_SE_SJ_E_clIS8_S8_S9_S9_EEDaSX_SY_SE_SJ_EUlSX_E_NS1_11comp_targetILNS1_3genE3ELNS1_11target_archE908ELNS1_3gpuE7ELNS1_3repE0EEENS1_47radix_sort_onesweep_sort_config_static_selectorELNS0_4arch9wavefront6targetE1EEEvSE_,comdat
	.protected	_ZN7rocprim17ROCPRIM_400000_NS6detail17trampoline_kernelINS0_14default_configENS1_35radix_sort_onesweep_config_selectorImNS0_10empty_typeEEEZZNS1_29radix_sort_onesweep_iterationIS3_Lb1EPmS8_PS5_S9_mNS0_19identity_decomposerENS1_16block_id_wrapperIjLb0EEEEE10hipError_tT1_PNSt15iterator_traitsISE_E10value_typeET2_T3_PNSF_ISK_E10value_typeET4_T5_PSP_SQ_PNS1_23onesweep_lookback_stateEbbT6_jjT7_P12ihipStream_tbENKUlT_T0_SE_SJ_E_clIS8_S8_S9_S9_EEDaSX_SY_SE_SJ_EUlSX_E_NS1_11comp_targetILNS1_3genE3ELNS1_11target_archE908ELNS1_3gpuE7ELNS1_3repE0EEENS1_47radix_sort_onesweep_sort_config_static_selectorELNS0_4arch9wavefront6targetE1EEEvSE_ ; -- Begin function _ZN7rocprim17ROCPRIM_400000_NS6detail17trampoline_kernelINS0_14default_configENS1_35radix_sort_onesweep_config_selectorImNS0_10empty_typeEEEZZNS1_29radix_sort_onesweep_iterationIS3_Lb1EPmS8_PS5_S9_mNS0_19identity_decomposerENS1_16block_id_wrapperIjLb0EEEEE10hipError_tT1_PNSt15iterator_traitsISE_E10value_typeET2_T3_PNSF_ISK_E10value_typeET4_T5_PSP_SQ_PNS1_23onesweep_lookback_stateEbbT6_jjT7_P12ihipStream_tbENKUlT_T0_SE_SJ_E_clIS8_S8_S9_S9_EEDaSX_SY_SE_SJ_EUlSX_E_NS1_11comp_targetILNS1_3genE3ELNS1_11target_archE908ELNS1_3gpuE7ELNS1_3repE0EEENS1_47radix_sort_onesweep_sort_config_static_selectorELNS0_4arch9wavefront6targetE1EEEvSE_
	.globl	_ZN7rocprim17ROCPRIM_400000_NS6detail17trampoline_kernelINS0_14default_configENS1_35radix_sort_onesweep_config_selectorImNS0_10empty_typeEEEZZNS1_29radix_sort_onesweep_iterationIS3_Lb1EPmS8_PS5_S9_mNS0_19identity_decomposerENS1_16block_id_wrapperIjLb0EEEEE10hipError_tT1_PNSt15iterator_traitsISE_E10value_typeET2_T3_PNSF_ISK_E10value_typeET4_T5_PSP_SQ_PNS1_23onesweep_lookback_stateEbbT6_jjT7_P12ihipStream_tbENKUlT_T0_SE_SJ_E_clIS8_S8_S9_S9_EEDaSX_SY_SE_SJ_EUlSX_E_NS1_11comp_targetILNS1_3genE3ELNS1_11target_archE908ELNS1_3gpuE7ELNS1_3repE0EEENS1_47radix_sort_onesweep_sort_config_static_selectorELNS0_4arch9wavefront6targetE1EEEvSE_
	.p2align	8
	.type	_ZN7rocprim17ROCPRIM_400000_NS6detail17trampoline_kernelINS0_14default_configENS1_35radix_sort_onesweep_config_selectorImNS0_10empty_typeEEEZZNS1_29radix_sort_onesweep_iterationIS3_Lb1EPmS8_PS5_S9_mNS0_19identity_decomposerENS1_16block_id_wrapperIjLb0EEEEE10hipError_tT1_PNSt15iterator_traitsISE_E10value_typeET2_T3_PNSF_ISK_E10value_typeET4_T5_PSP_SQ_PNS1_23onesweep_lookback_stateEbbT6_jjT7_P12ihipStream_tbENKUlT_T0_SE_SJ_E_clIS8_S8_S9_S9_EEDaSX_SY_SE_SJ_EUlSX_E_NS1_11comp_targetILNS1_3genE3ELNS1_11target_archE908ELNS1_3gpuE7ELNS1_3repE0EEENS1_47radix_sort_onesweep_sort_config_static_selectorELNS0_4arch9wavefront6targetE1EEEvSE_,@function
_ZN7rocprim17ROCPRIM_400000_NS6detail17trampoline_kernelINS0_14default_configENS1_35radix_sort_onesweep_config_selectorImNS0_10empty_typeEEEZZNS1_29radix_sort_onesweep_iterationIS3_Lb1EPmS8_PS5_S9_mNS0_19identity_decomposerENS1_16block_id_wrapperIjLb0EEEEE10hipError_tT1_PNSt15iterator_traitsISE_E10value_typeET2_T3_PNSF_ISK_E10value_typeET4_T5_PSP_SQ_PNS1_23onesweep_lookback_stateEbbT6_jjT7_P12ihipStream_tbENKUlT_T0_SE_SJ_E_clIS8_S8_S9_S9_EEDaSX_SY_SE_SJ_EUlSX_E_NS1_11comp_targetILNS1_3genE3ELNS1_11target_archE908ELNS1_3gpuE7ELNS1_3repE0EEENS1_47radix_sort_onesweep_sort_config_static_selectorELNS0_4arch9wavefront6targetE1EEEvSE_: ; @_ZN7rocprim17ROCPRIM_400000_NS6detail17trampoline_kernelINS0_14default_configENS1_35radix_sort_onesweep_config_selectorImNS0_10empty_typeEEEZZNS1_29radix_sort_onesweep_iterationIS3_Lb1EPmS8_PS5_S9_mNS0_19identity_decomposerENS1_16block_id_wrapperIjLb0EEEEE10hipError_tT1_PNSt15iterator_traitsISE_E10value_typeET2_T3_PNSF_ISK_E10value_typeET4_T5_PSP_SQ_PNS1_23onesweep_lookback_stateEbbT6_jjT7_P12ihipStream_tbENKUlT_T0_SE_SJ_E_clIS8_S8_S9_S9_EEDaSX_SY_SE_SJ_EUlSX_E_NS1_11comp_targetILNS1_3genE3ELNS1_11target_archE908ELNS1_3gpuE7ELNS1_3repE0EEENS1_47radix_sort_onesweep_sort_config_static_selectorELNS0_4arch9wavefront6targetE1EEEvSE_
; %bb.0:
	.section	.rodata,"a",@progbits
	.p2align	6, 0x0
	.amdhsa_kernel _ZN7rocprim17ROCPRIM_400000_NS6detail17trampoline_kernelINS0_14default_configENS1_35radix_sort_onesweep_config_selectorImNS0_10empty_typeEEEZZNS1_29radix_sort_onesweep_iterationIS3_Lb1EPmS8_PS5_S9_mNS0_19identity_decomposerENS1_16block_id_wrapperIjLb0EEEEE10hipError_tT1_PNSt15iterator_traitsISE_E10value_typeET2_T3_PNSF_ISK_E10value_typeET4_T5_PSP_SQ_PNS1_23onesweep_lookback_stateEbbT6_jjT7_P12ihipStream_tbENKUlT_T0_SE_SJ_E_clIS8_S8_S9_S9_EEDaSX_SY_SE_SJ_EUlSX_E_NS1_11comp_targetILNS1_3genE3ELNS1_11target_archE908ELNS1_3gpuE7ELNS1_3repE0EEENS1_47radix_sort_onesweep_sort_config_static_selectorELNS0_4arch9wavefront6targetE1EEEvSE_
		.amdhsa_group_segment_fixed_size 0
		.amdhsa_private_segment_fixed_size 0
		.amdhsa_kernarg_size 88
		.amdhsa_user_sgpr_count 6
		.amdhsa_user_sgpr_private_segment_buffer 1
		.amdhsa_user_sgpr_dispatch_ptr 0
		.amdhsa_user_sgpr_queue_ptr 0
		.amdhsa_user_sgpr_kernarg_segment_ptr 1
		.amdhsa_user_sgpr_dispatch_id 0
		.amdhsa_user_sgpr_flat_scratch_init 0
		.amdhsa_user_sgpr_kernarg_preload_length 0
		.amdhsa_user_sgpr_kernarg_preload_offset 0
		.amdhsa_user_sgpr_private_segment_size 0
		.amdhsa_uses_dynamic_stack 0
		.amdhsa_system_sgpr_private_segment_wavefront_offset 0
		.amdhsa_system_sgpr_workgroup_id_x 1
		.amdhsa_system_sgpr_workgroup_id_y 0
		.amdhsa_system_sgpr_workgroup_id_z 0
		.amdhsa_system_sgpr_workgroup_info 0
		.amdhsa_system_vgpr_workitem_id 0
		.amdhsa_next_free_vgpr 1
		.amdhsa_next_free_sgpr 0
		.amdhsa_accum_offset 4
		.amdhsa_reserve_vcc 0
		.amdhsa_reserve_flat_scratch 0
		.amdhsa_float_round_mode_32 0
		.amdhsa_float_round_mode_16_64 0
		.amdhsa_float_denorm_mode_32 3
		.amdhsa_float_denorm_mode_16_64 3
		.amdhsa_dx10_clamp 1
		.amdhsa_ieee_mode 1
		.amdhsa_fp16_overflow 0
		.amdhsa_tg_split 0
		.amdhsa_exception_fp_ieee_invalid_op 0
		.amdhsa_exception_fp_denorm_src 0
		.amdhsa_exception_fp_ieee_div_zero 0
		.amdhsa_exception_fp_ieee_overflow 0
		.amdhsa_exception_fp_ieee_underflow 0
		.amdhsa_exception_fp_ieee_inexact 0
		.amdhsa_exception_int_div_zero 0
	.end_amdhsa_kernel
	.section	.text._ZN7rocprim17ROCPRIM_400000_NS6detail17trampoline_kernelINS0_14default_configENS1_35radix_sort_onesweep_config_selectorImNS0_10empty_typeEEEZZNS1_29radix_sort_onesweep_iterationIS3_Lb1EPmS8_PS5_S9_mNS0_19identity_decomposerENS1_16block_id_wrapperIjLb0EEEEE10hipError_tT1_PNSt15iterator_traitsISE_E10value_typeET2_T3_PNSF_ISK_E10value_typeET4_T5_PSP_SQ_PNS1_23onesweep_lookback_stateEbbT6_jjT7_P12ihipStream_tbENKUlT_T0_SE_SJ_E_clIS8_S8_S9_S9_EEDaSX_SY_SE_SJ_EUlSX_E_NS1_11comp_targetILNS1_3genE3ELNS1_11target_archE908ELNS1_3gpuE7ELNS1_3repE0EEENS1_47radix_sort_onesweep_sort_config_static_selectorELNS0_4arch9wavefront6targetE1EEEvSE_,"axG",@progbits,_ZN7rocprim17ROCPRIM_400000_NS6detail17trampoline_kernelINS0_14default_configENS1_35radix_sort_onesweep_config_selectorImNS0_10empty_typeEEEZZNS1_29radix_sort_onesweep_iterationIS3_Lb1EPmS8_PS5_S9_mNS0_19identity_decomposerENS1_16block_id_wrapperIjLb0EEEEE10hipError_tT1_PNSt15iterator_traitsISE_E10value_typeET2_T3_PNSF_ISK_E10value_typeET4_T5_PSP_SQ_PNS1_23onesweep_lookback_stateEbbT6_jjT7_P12ihipStream_tbENKUlT_T0_SE_SJ_E_clIS8_S8_S9_S9_EEDaSX_SY_SE_SJ_EUlSX_E_NS1_11comp_targetILNS1_3genE3ELNS1_11target_archE908ELNS1_3gpuE7ELNS1_3repE0EEENS1_47radix_sort_onesweep_sort_config_static_selectorELNS0_4arch9wavefront6targetE1EEEvSE_,comdat
.Lfunc_end2305:
	.size	_ZN7rocprim17ROCPRIM_400000_NS6detail17trampoline_kernelINS0_14default_configENS1_35radix_sort_onesweep_config_selectorImNS0_10empty_typeEEEZZNS1_29radix_sort_onesweep_iterationIS3_Lb1EPmS8_PS5_S9_mNS0_19identity_decomposerENS1_16block_id_wrapperIjLb0EEEEE10hipError_tT1_PNSt15iterator_traitsISE_E10value_typeET2_T3_PNSF_ISK_E10value_typeET4_T5_PSP_SQ_PNS1_23onesweep_lookback_stateEbbT6_jjT7_P12ihipStream_tbENKUlT_T0_SE_SJ_E_clIS8_S8_S9_S9_EEDaSX_SY_SE_SJ_EUlSX_E_NS1_11comp_targetILNS1_3genE3ELNS1_11target_archE908ELNS1_3gpuE7ELNS1_3repE0EEENS1_47radix_sort_onesweep_sort_config_static_selectorELNS0_4arch9wavefront6targetE1EEEvSE_, .Lfunc_end2305-_ZN7rocprim17ROCPRIM_400000_NS6detail17trampoline_kernelINS0_14default_configENS1_35radix_sort_onesweep_config_selectorImNS0_10empty_typeEEEZZNS1_29radix_sort_onesweep_iterationIS3_Lb1EPmS8_PS5_S9_mNS0_19identity_decomposerENS1_16block_id_wrapperIjLb0EEEEE10hipError_tT1_PNSt15iterator_traitsISE_E10value_typeET2_T3_PNSF_ISK_E10value_typeET4_T5_PSP_SQ_PNS1_23onesweep_lookback_stateEbbT6_jjT7_P12ihipStream_tbENKUlT_T0_SE_SJ_E_clIS8_S8_S9_S9_EEDaSX_SY_SE_SJ_EUlSX_E_NS1_11comp_targetILNS1_3genE3ELNS1_11target_archE908ELNS1_3gpuE7ELNS1_3repE0EEENS1_47radix_sort_onesweep_sort_config_static_selectorELNS0_4arch9wavefront6targetE1EEEvSE_
                                        ; -- End function
	.section	.AMDGPU.csdata,"",@progbits
; Kernel info:
; codeLenInByte = 0
; NumSgprs: 4
; NumVgprs: 0
; NumAgprs: 0
; TotalNumVgprs: 0
; ScratchSize: 0
; MemoryBound: 0
; FloatMode: 240
; IeeeMode: 1
; LDSByteSize: 0 bytes/workgroup (compile time only)
; SGPRBlocks: 0
; VGPRBlocks: 0
; NumSGPRsForWavesPerEU: 4
; NumVGPRsForWavesPerEU: 1
; AccumOffset: 4
; Occupancy: 8
; WaveLimiterHint : 0
; COMPUTE_PGM_RSRC2:SCRATCH_EN: 0
; COMPUTE_PGM_RSRC2:USER_SGPR: 6
; COMPUTE_PGM_RSRC2:TRAP_HANDLER: 0
; COMPUTE_PGM_RSRC2:TGID_X_EN: 1
; COMPUTE_PGM_RSRC2:TGID_Y_EN: 0
; COMPUTE_PGM_RSRC2:TGID_Z_EN: 0
; COMPUTE_PGM_RSRC2:TIDIG_COMP_CNT: 0
; COMPUTE_PGM_RSRC3_GFX90A:ACCUM_OFFSET: 0
; COMPUTE_PGM_RSRC3_GFX90A:TG_SPLIT: 0
	.section	.text._ZN7rocprim17ROCPRIM_400000_NS6detail17trampoline_kernelINS0_14default_configENS1_35radix_sort_onesweep_config_selectorImNS0_10empty_typeEEEZZNS1_29radix_sort_onesweep_iterationIS3_Lb1EPmS8_PS5_S9_mNS0_19identity_decomposerENS1_16block_id_wrapperIjLb0EEEEE10hipError_tT1_PNSt15iterator_traitsISE_E10value_typeET2_T3_PNSF_ISK_E10value_typeET4_T5_PSP_SQ_PNS1_23onesweep_lookback_stateEbbT6_jjT7_P12ihipStream_tbENKUlT_T0_SE_SJ_E_clIS8_S8_S9_S9_EEDaSX_SY_SE_SJ_EUlSX_E_NS1_11comp_targetILNS1_3genE10ELNS1_11target_archE1201ELNS1_3gpuE5ELNS1_3repE0EEENS1_47radix_sort_onesweep_sort_config_static_selectorELNS0_4arch9wavefront6targetE1EEEvSE_,"axG",@progbits,_ZN7rocprim17ROCPRIM_400000_NS6detail17trampoline_kernelINS0_14default_configENS1_35radix_sort_onesweep_config_selectorImNS0_10empty_typeEEEZZNS1_29radix_sort_onesweep_iterationIS3_Lb1EPmS8_PS5_S9_mNS0_19identity_decomposerENS1_16block_id_wrapperIjLb0EEEEE10hipError_tT1_PNSt15iterator_traitsISE_E10value_typeET2_T3_PNSF_ISK_E10value_typeET4_T5_PSP_SQ_PNS1_23onesweep_lookback_stateEbbT6_jjT7_P12ihipStream_tbENKUlT_T0_SE_SJ_E_clIS8_S8_S9_S9_EEDaSX_SY_SE_SJ_EUlSX_E_NS1_11comp_targetILNS1_3genE10ELNS1_11target_archE1201ELNS1_3gpuE5ELNS1_3repE0EEENS1_47radix_sort_onesweep_sort_config_static_selectorELNS0_4arch9wavefront6targetE1EEEvSE_,comdat
	.protected	_ZN7rocprim17ROCPRIM_400000_NS6detail17trampoline_kernelINS0_14default_configENS1_35radix_sort_onesweep_config_selectorImNS0_10empty_typeEEEZZNS1_29radix_sort_onesweep_iterationIS3_Lb1EPmS8_PS5_S9_mNS0_19identity_decomposerENS1_16block_id_wrapperIjLb0EEEEE10hipError_tT1_PNSt15iterator_traitsISE_E10value_typeET2_T3_PNSF_ISK_E10value_typeET4_T5_PSP_SQ_PNS1_23onesweep_lookback_stateEbbT6_jjT7_P12ihipStream_tbENKUlT_T0_SE_SJ_E_clIS8_S8_S9_S9_EEDaSX_SY_SE_SJ_EUlSX_E_NS1_11comp_targetILNS1_3genE10ELNS1_11target_archE1201ELNS1_3gpuE5ELNS1_3repE0EEENS1_47radix_sort_onesweep_sort_config_static_selectorELNS0_4arch9wavefront6targetE1EEEvSE_ ; -- Begin function _ZN7rocprim17ROCPRIM_400000_NS6detail17trampoline_kernelINS0_14default_configENS1_35radix_sort_onesweep_config_selectorImNS0_10empty_typeEEEZZNS1_29radix_sort_onesweep_iterationIS3_Lb1EPmS8_PS5_S9_mNS0_19identity_decomposerENS1_16block_id_wrapperIjLb0EEEEE10hipError_tT1_PNSt15iterator_traitsISE_E10value_typeET2_T3_PNSF_ISK_E10value_typeET4_T5_PSP_SQ_PNS1_23onesweep_lookback_stateEbbT6_jjT7_P12ihipStream_tbENKUlT_T0_SE_SJ_E_clIS8_S8_S9_S9_EEDaSX_SY_SE_SJ_EUlSX_E_NS1_11comp_targetILNS1_3genE10ELNS1_11target_archE1201ELNS1_3gpuE5ELNS1_3repE0EEENS1_47radix_sort_onesweep_sort_config_static_selectorELNS0_4arch9wavefront6targetE1EEEvSE_
	.globl	_ZN7rocprim17ROCPRIM_400000_NS6detail17trampoline_kernelINS0_14default_configENS1_35radix_sort_onesweep_config_selectorImNS0_10empty_typeEEEZZNS1_29radix_sort_onesweep_iterationIS3_Lb1EPmS8_PS5_S9_mNS0_19identity_decomposerENS1_16block_id_wrapperIjLb0EEEEE10hipError_tT1_PNSt15iterator_traitsISE_E10value_typeET2_T3_PNSF_ISK_E10value_typeET4_T5_PSP_SQ_PNS1_23onesweep_lookback_stateEbbT6_jjT7_P12ihipStream_tbENKUlT_T0_SE_SJ_E_clIS8_S8_S9_S9_EEDaSX_SY_SE_SJ_EUlSX_E_NS1_11comp_targetILNS1_3genE10ELNS1_11target_archE1201ELNS1_3gpuE5ELNS1_3repE0EEENS1_47radix_sort_onesweep_sort_config_static_selectorELNS0_4arch9wavefront6targetE1EEEvSE_
	.p2align	8
	.type	_ZN7rocprim17ROCPRIM_400000_NS6detail17trampoline_kernelINS0_14default_configENS1_35radix_sort_onesweep_config_selectorImNS0_10empty_typeEEEZZNS1_29radix_sort_onesweep_iterationIS3_Lb1EPmS8_PS5_S9_mNS0_19identity_decomposerENS1_16block_id_wrapperIjLb0EEEEE10hipError_tT1_PNSt15iterator_traitsISE_E10value_typeET2_T3_PNSF_ISK_E10value_typeET4_T5_PSP_SQ_PNS1_23onesweep_lookback_stateEbbT6_jjT7_P12ihipStream_tbENKUlT_T0_SE_SJ_E_clIS8_S8_S9_S9_EEDaSX_SY_SE_SJ_EUlSX_E_NS1_11comp_targetILNS1_3genE10ELNS1_11target_archE1201ELNS1_3gpuE5ELNS1_3repE0EEENS1_47radix_sort_onesweep_sort_config_static_selectorELNS0_4arch9wavefront6targetE1EEEvSE_,@function
_ZN7rocprim17ROCPRIM_400000_NS6detail17trampoline_kernelINS0_14default_configENS1_35radix_sort_onesweep_config_selectorImNS0_10empty_typeEEEZZNS1_29radix_sort_onesweep_iterationIS3_Lb1EPmS8_PS5_S9_mNS0_19identity_decomposerENS1_16block_id_wrapperIjLb0EEEEE10hipError_tT1_PNSt15iterator_traitsISE_E10value_typeET2_T3_PNSF_ISK_E10value_typeET4_T5_PSP_SQ_PNS1_23onesweep_lookback_stateEbbT6_jjT7_P12ihipStream_tbENKUlT_T0_SE_SJ_E_clIS8_S8_S9_S9_EEDaSX_SY_SE_SJ_EUlSX_E_NS1_11comp_targetILNS1_3genE10ELNS1_11target_archE1201ELNS1_3gpuE5ELNS1_3repE0EEENS1_47radix_sort_onesweep_sort_config_static_selectorELNS0_4arch9wavefront6targetE1EEEvSE_: ; @_ZN7rocprim17ROCPRIM_400000_NS6detail17trampoline_kernelINS0_14default_configENS1_35radix_sort_onesweep_config_selectorImNS0_10empty_typeEEEZZNS1_29radix_sort_onesweep_iterationIS3_Lb1EPmS8_PS5_S9_mNS0_19identity_decomposerENS1_16block_id_wrapperIjLb0EEEEE10hipError_tT1_PNSt15iterator_traitsISE_E10value_typeET2_T3_PNSF_ISK_E10value_typeET4_T5_PSP_SQ_PNS1_23onesweep_lookback_stateEbbT6_jjT7_P12ihipStream_tbENKUlT_T0_SE_SJ_E_clIS8_S8_S9_S9_EEDaSX_SY_SE_SJ_EUlSX_E_NS1_11comp_targetILNS1_3genE10ELNS1_11target_archE1201ELNS1_3gpuE5ELNS1_3repE0EEENS1_47radix_sort_onesweep_sort_config_static_selectorELNS0_4arch9wavefront6targetE1EEEvSE_
; %bb.0:
	.section	.rodata,"a",@progbits
	.p2align	6, 0x0
	.amdhsa_kernel _ZN7rocprim17ROCPRIM_400000_NS6detail17trampoline_kernelINS0_14default_configENS1_35radix_sort_onesweep_config_selectorImNS0_10empty_typeEEEZZNS1_29radix_sort_onesweep_iterationIS3_Lb1EPmS8_PS5_S9_mNS0_19identity_decomposerENS1_16block_id_wrapperIjLb0EEEEE10hipError_tT1_PNSt15iterator_traitsISE_E10value_typeET2_T3_PNSF_ISK_E10value_typeET4_T5_PSP_SQ_PNS1_23onesweep_lookback_stateEbbT6_jjT7_P12ihipStream_tbENKUlT_T0_SE_SJ_E_clIS8_S8_S9_S9_EEDaSX_SY_SE_SJ_EUlSX_E_NS1_11comp_targetILNS1_3genE10ELNS1_11target_archE1201ELNS1_3gpuE5ELNS1_3repE0EEENS1_47radix_sort_onesweep_sort_config_static_selectorELNS0_4arch9wavefront6targetE1EEEvSE_
		.amdhsa_group_segment_fixed_size 0
		.amdhsa_private_segment_fixed_size 0
		.amdhsa_kernarg_size 88
		.amdhsa_user_sgpr_count 6
		.amdhsa_user_sgpr_private_segment_buffer 1
		.amdhsa_user_sgpr_dispatch_ptr 0
		.amdhsa_user_sgpr_queue_ptr 0
		.amdhsa_user_sgpr_kernarg_segment_ptr 1
		.amdhsa_user_sgpr_dispatch_id 0
		.amdhsa_user_sgpr_flat_scratch_init 0
		.amdhsa_user_sgpr_kernarg_preload_length 0
		.amdhsa_user_sgpr_kernarg_preload_offset 0
		.amdhsa_user_sgpr_private_segment_size 0
		.amdhsa_uses_dynamic_stack 0
		.amdhsa_system_sgpr_private_segment_wavefront_offset 0
		.amdhsa_system_sgpr_workgroup_id_x 1
		.amdhsa_system_sgpr_workgroup_id_y 0
		.amdhsa_system_sgpr_workgroup_id_z 0
		.amdhsa_system_sgpr_workgroup_info 0
		.amdhsa_system_vgpr_workitem_id 0
		.amdhsa_next_free_vgpr 1
		.amdhsa_next_free_sgpr 0
		.amdhsa_accum_offset 4
		.amdhsa_reserve_vcc 0
		.amdhsa_reserve_flat_scratch 0
		.amdhsa_float_round_mode_32 0
		.amdhsa_float_round_mode_16_64 0
		.amdhsa_float_denorm_mode_32 3
		.amdhsa_float_denorm_mode_16_64 3
		.amdhsa_dx10_clamp 1
		.amdhsa_ieee_mode 1
		.amdhsa_fp16_overflow 0
		.amdhsa_tg_split 0
		.amdhsa_exception_fp_ieee_invalid_op 0
		.amdhsa_exception_fp_denorm_src 0
		.amdhsa_exception_fp_ieee_div_zero 0
		.amdhsa_exception_fp_ieee_overflow 0
		.amdhsa_exception_fp_ieee_underflow 0
		.amdhsa_exception_fp_ieee_inexact 0
		.amdhsa_exception_int_div_zero 0
	.end_amdhsa_kernel
	.section	.text._ZN7rocprim17ROCPRIM_400000_NS6detail17trampoline_kernelINS0_14default_configENS1_35radix_sort_onesweep_config_selectorImNS0_10empty_typeEEEZZNS1_29radix_sort_onesweep_iterationIS3_Lb1EPmS8_PS5_S9_mNS0_19identity_decomposerENS1_16block_id_wrapperIjLb0EEEEE10hipError_tT1_PNSt15iterator_traitsISE_E10value_typeET2_T3_PNSF_ISK_E10value_typeET4_T5_PSP_SQ_PNS1_23onesweep_lookback_stateEbbT6_jjT7_P12ihipStream_tbENKUlT_T0_SE_SJ_E_clIS8_S8_S9_S9_EEDaSX_SY_SE_SJ_EUlSX_E_NS1_11comp_targetILNS1_3genE10ELNS1_11target_archE1201ELNS1_3gpuE5ELNS1_3repE0EEENS1_47radix_sort_onesweep_sort_config_static_selectorELNS0_4arch9wavefront6targetE1EEEvSE_,"axG",@progbits,_ZN7rocprim17ROCPRIM_400000_NS6detail17trampoline_kernelINS0_14default_configENS1_35radix_sort_onesweep_config_selectorImNS0_10empty_typeEEEZZNS1_29radix_sort_onesweep_iterationIS3_Lb1EPmS8_PS5_S9_mNS0_19identity_decomposerENS1_16block_id_wrapperIjLb0EEEEE10hipError_tT1_PNSt15iterator_traitsISE_E10value_typeET2_T3_PNSF_ISK_E10value_typeET4_T5_PSP_SQ_PNS1_23onesweep_lookback_stateEbbT6_jjT7_P12ihipStream_tbENKUlT_T0_SE_SJ_E_clIS8_S8_S9_S9_EEDaSX_SY_SE_SJ_EUlSX_E_NS1_11comp_targetILNS1_3genE10ELNS1_11target_archE1201ELNS1_3gpuE5ELNS1_3repE0EEENS1_47radix_sort_onesweep_sort_config_static_selectorELNS0_4arch9wavefront6targetE1EEEvSE_,comdat
.Lfunc_end2306:
	.size	_ZN7rocprim17ROCPRIM_400000_NS6detail17trampoline_kernelINS0_14default_configENS1_35radix_sort_onesweep_config_selectorImNS0_10empty_typeEEEZZNS1_29radix_sort_onesweep_iterationIS3_Lb1EPmS8_PS5_S9_mNS0_19identity_decomposerENS1_16block_id_wrapperIjLb0EEEEE10hipError_tT1_PNSt15iterator_traitsISE_E10value_typeET2_T3_PNSF_ISK_E10value_typeET4_T5_PSP_SQ_PNS1_23onesweep_lookback_stateEbbT6_jjT7_P12ihipStream_tbENKUlT_T0_SE_SJ_E_clIS8_S8_S9_S9_EEDaSX_SY_SE_SJ_EUlSX_E_NS1_11comp_targetILNS1_3genE10ELNS1_11target_archE1201ELNS1_3gpuE5ELNS1_3repE0EEENS1_47radix_sort_onesweep_sort_config_static_selectorELNS0_4arch9wavefront6targetE1EEEvSE_, .Lfunc_end2306-_ZN7rocprim17ROCPRIM_400000_NS6detail17trampoline_kernelINS0_14default_configENS1_35radix_sort_onesweep_config_selectorImNS0_10empty_typeEEEZZNS1_29radix_sort_onesweep_iterationIS3_Lb1EPmS8_PS5_S9_mNS0_19identity_decomposerENS1_16block_id_wrapperIjLb0EEEEE10hipError_tT1_PNSt15iterator_traitsISE_E10value_typeET2_T3_PNSF_ISK_E10value_typeET4_T5_PSP_SQ_PNS1_23onesweep_lookback_stateEbbT6_jjT7_P12ihipStream_tbENKUlT_T0_SE_SJ_E_clIS8_S8_S9_S9_EEDaSX_SY_SE_SJ_EUlSX_E_NS1_11comp_targetILNS1_3genE10ELNS1_11target_archE1201ELNS1_3gpuE5ELNS1_3repE0EEENS1_47radix_sort_onesweep_sort_config_static_selectorELNS0_4arch9wavefront6targetE1EEEvSE_
                                        ; -- End function
	.section	.AMDGPU.csdata,"",@progbits
; Kernel info:
; codeLenInByte = 0
; NumSgprs: 4
; NumVgprs: 0
; NumAgprs: 0
; TotalNumVgprs: 0
; ScratchSize: 0
; MemoryBound: 0
; FloatMode: 240
; IeeeMode: 1
; LDSByteSize: 0 bytes/workgroup (compile time only)
; SGPRBlocks: 0
; VGPRBlocks: 0
; NumSGPRsForWavesPerEU: 4
; NumVGPRsForWavesPerEU: 1
; AccumOffset: 4
; Occupancy: 8
; WaveLimiterHint : 0
; COMPUTE_PGM_RSRC2:SCRATCH_EN: 0
; COMPUTE_PGM_RSRC2:USER_SGPR: 6
; COMPUTE_PGM_RSRC2:TRAP_HANDLER: 0
; COMPUTE_PGM_RSRC2:TGID_X_EN: 1
; COMPUTE_PGM_RSRC2:TGID_Y_EN: 0
; COMPUTE_PGM_RSRC2:TGID_Z_EN: 0
; COMPUTE_PGM_RSRC2:TIDIG_COMP_CNT: 0
; COMPUTE_PGM_RSRC3_GFX90A:ACCUM_OFFSET: 0
; COMPUTE_PGM_RSRC3_GFX90A:TG_SPLIT: 0
	.section	.text._ZN7rocprim17ROCPRIM_400000_NS6detail17trampoline_kernelINS0_14default_configENS1_35radix_sort_onesweep_config_selectorImNS0_10empty_typeEEEZZNS1_29radix_sort_onesweep_iterationIS3_Lb1EPmS8_PS5_S9_mNS0_19identity_decomposerENS1_16block_id_wrapperIjLb0EEEEE10hipError_tT1_PNSt15iterator_traitsISE_E10value_typeET2_T3_PNSF_ISK_E10value_typeET4_T5_PSP_SQ_PNS1_23onesweep_lookback_stateEbbT6_jjT7_P12ihipStream_tbENKUlT_T0_SE_SJ_E_clIS8_S8_S9_S9_EEDaSX_SY_SE_SJ_EUlSX_E_NS1_11comp_targetILNS1_3genE9ELNS1_11target_archE1100ELNS1_3gpuE3ELNS1_3repE0EEENS1_47radix_sort_onesweep_sort_config_static_selectorELNS0_4arch9wavefront6targetE1EEEvSE_,"axG",@progbits,_ZN7rocprim17ROCPRIM_400000_NS6detail17trampoline_kernelINS0_14default_configENS1_35radix_sort_onesweep_config_selectorImNS0_10empty_typeEEEZZNS1_29radix_sort_onesweep_iterationIS3_Lb1EPmS8_PS5_S9_mNS0_19identity_decomposerENS1_16block_id_wrapperIjLb0EEEEE10hipError_tT1_PNSt15iterator_traitsISE_E10value_typeET2_T3_PNSF_ISK_E10value_typeET4_T5_PSP_SQ_PNS1_23onesweep_lookback_stateEbbT6_jjT7_P12ihipStream_tbENKUlT_T0_SE_SJ_E_clIS8_S8_S9_S9_EEDaSX_SY_SE_SJ_EUlSX_E_NS1_11comp_targetILNS1_3genE9ELNS1_11target_archE1100ELNS1_3gpuE3ELNS1_3repE0EEENS1_47radix_sort_onesweep_sort_config_static_selectorELNS0_4arch9wavefront6targetE1EEEvSE_,comdat
	.protected	_ZN7rocprim17ROCPRIM_400000_NS6detail17trampoline_kernelINS0_14default_configENS1_35radix_sort_onesweep_config_selectorImNS0_10empty_typeEEEZZNS1_29radix_sort_onesweep_iterationIS3_Lb1EPmS8_PS5_S9_mNS0_19identity_decomposerENS1_16block_id_wrapperIjLb0EEEEE10hipError_tT1_PNSt15iterator_traitsISE_E10value_typeET2_T3_PNSF_ISK_E10value_typeET4_T5_PSP_SQ_PNS1_23onesweep_lookback_stateEbbT6_jjT7_P12ihipStream_tbENKUlT_T0_SE_SJ_E_clIS8_S8_S9_S9_EEDaSX_SY_SE_SJ_EUlSX_E_NS1_11comp_targetILNS1_3genE9ELNS1_11target_archE1100ELNS1_3gpuE3ELNS1_3repE0EEENS1_47radix_sort_onesweep_sort_config_static_selectorELNS0_4arch9wavefront6targetE1EEEvSE_ ; -- Begin function _ZN7rocprim17ROCPRIM_400000_NS6detail17trampoline_kernelINS0_14default_configENS1_35radix_sort_onesweep_config_selectorImNS0_10empty_typeEEEZZNS1_29radix_sort_onesweep_iterationIS3_Lb1EPmS8_PS5_S9_mNS0_19identity_decomposerENS1_16block_id_wrapperIjLb0EEEEE10hipError_tT1_PNSt15iterator_traitsISE_E10value_typeET2_T3_PNSF_ISK_E10value_typeET4_T5_PSP_SQ_PNS1_23onesweep_lookback_stateEbbT6_jjT7_P12ihipStream_tbENKUlT_T0_SE_SJ_E_clIS8_S8_S9_S9_EEDaSX_SY_SE_SJ_EUlSX_E_NS1_11comp_targetILNS1_3genE9ELNS1_11target_archE1100ELNS1_3gpuE3ELNS1_3repE0EEENS1_47radix_sort_onesweep_sort_config_static_selectorELNS0_4arch9wavefront6targetE1EEEvSE_
	.globl	_ZN7rocprim17ROCPRIM_400000_NS6detail17trampoline_kernelINS0_14default_configENS1_35radix_sort_onesweep_config_selectorImNS0_10empty_typeEEEZZNS1_29radix_sort_onesweep_iterationIS3_Lb1EPmS8_PS5_S9_mNS0_19identity_decomposerENS1_16block_id_wrapperIjLb0EEEEE10hipError_tT1_PNSt15iterator_traitsISE_E10value_typeET2_T3_PNSF_ISK_E10value_typeET4_T5_PSP_SQ_PNS1_23onesweep_lookback_stateEbbT6_jjT7_P12ihipStream_tbENKUlT_T0_SE_SJ_E_clIS8_S8_S9_S9_EEDaSX_SY_SE_SJ_EUlSX_E_NS1_11comp_targetILNS1_3genE9ELNS1_11target_archE1100ELNS1_3gpuE3ELNS1_3repE0EEENS1_47radix_sort_onesweep_sort_config_static_selectorELNS0_4arch9wavefront6targetE1EEEvSE_
	.p2align	8
	.type	_ZN7rocprim17ROCPRIM_400000_NS6detail17trampoline_kernelINS0_14default_configENS1_35radix_sort_onesweep_config_selectorImNS0_10empty_typeEEEZZNS1_29radix_sort_onesweep_iterationIS3_Lb1EPmS8_PS5_S9_mNS0_19identity_decomposerENS1_16block_id_wrapperIjLb0EEEEE10hipError_tT1_PNSt15iterator_traitsISE_E10value_typeET2_T3_PNSF_ISK_E10value_typeET4_T5_PSP_SQ_PNS1_23onesweep_lookback_stateEbbT6_jjT7_P12ihipStream_tbENKUlT_T0_SE_SJ_E_clIS8_S8_S9_S9_EEDaSX_SY_SE_SJ_EUlSX_E_NS1_11comp_targetILNS1_3genE9ELNS1_11target_archE1100ELNS1_3gpuE3ELNS1_3repE0EEENS1_47radix_sort_onesweep_sort_config_static_selectorELNS0_4arch9wavefront6targetE1EEEvSE_,@function
_ZN7rocprim17ROCPRIM_400000_NS6detail17trampoline_kernelINS0_14default_configENS1_35radix_sort_onesweep_config_selectorImNS0_10empty_typeEEEZZNS1_29radix_sort_onesweep_iterationIS3_Lb1EPmS8_PS5_S9_mNS0_19identity_decomposerENS1_16block_id_wrapperIjLb0EEEEE10hipError_tT1_PNSt15iterator_traitsISE_E10value_typeET2_T3_PNSF_ISK_E10value_typeET4_T5_PSP_SQ_PNS1_23onesweep_lookback_stateEbbT6_jjT7_P12ihipStream_tbENKUlT_T0_SE_SJ_E_clIS8_S8_S9_S9_EEDaSX_SY_SE_SJ_EUlSX_E_NS1_11comp_targetILNS1_3genE9ELNS1_11target_archE1100ELNS1_3gpuE3ELNS1_3repE0EEENS1_47radix_sort_onesweep_sort_config_static_selectorELNS0_4arch9wavefront6targetE1EEEvSE_: ; @_ZN7rocprim17ROCPRIM_400000_NS6detail17trampoline_kernelINS0_14default_configENS1_35radix_sort_onesweep_config_selectorImNS0_10empty_typeEEEZZNS1_29radix_sort_onesweep_iterationIS3_Lb1EPmS8_PS5_S9_mNS0_19identity_decomposerENS1_16block_id_wrapperIjLb0EEEEE10hipError_tT1_PNSt15iterator_traitsISE_E10value_typeET2_T3_PNSF_ISK_E10value_typeET4_T5_PSP_SQ_PNS1_23onesweep_lookback_stateEbbT6_jjT7_P12ihipStream_tbENKUlT_T0_SE_SJ_E_clIS8_S8_S9_S9_EEDaSX_SY_SE_SJ_EUlSX_E_NS1_11comp_targetILNS1_3genE9ELNS1_11target_archE1100ELNS1_3gpuE3ELNS1_3repE0EEENS1_47radix_sort_onesweep_sort_config_static_selectorELNS0_4arch9wavefront6targetE1EEEvSE_
; %bb.0:
	.section	.rodata,"a",@progbits
	.p2align	6, 0x0
	.amdhsa_kernel _ZN7rocprim17ROCPRIM_400000_NS6detail17trampoline_kernelINS0_14default_configENS1_35radix_sort_onesweep_config_selectorImNS0_10empty_typeEEEZZNS1_29radix_sort_onesweep_iterationIS3_Lb1EPmS8_PS5_S9_mNS0_19identity_decomposerENS1_16block_id_wrapperIjLb0EEEEE10hipError_tT1_PNSt15iterator_traitsISE_E10value_typeET2_T3_PNSF_ISK_E10value_typeET4_T5_PSP_SQ_PNS1_23onesweep_lookback_stateEbbT6_jjT7_P12ihipStream_tbENKUlT_T0_SE_SJ_E_clIS8_S8_S9_S9_EEDaSX_SY_SE_SJ_EUlSX_E_NS1_11comp_targetILNS1_3genE9ELNS1_11target_archE1100ELNS1_3gpuE3ELNS1_3repE0EEENS1_47radix_sort_onesweep_sort_config_static_selectorELNS0_4arch9wavefront6targetE1EEEvSE_
		.amdhsa_group_segment_fixed_size 0
		.amdhsa_private_segment_fixed_size 0
		.amdhsa_kernarg_size 88
		.amdhsa_user_sgpr_count 6
		.amdhsa_user_sgpr_private_segment_buffer 1
		.amdhsa_user_sgpr_dispatch_ptr 0
		.amdhsa_user_sgpr_queue_ptr 0
		.amdhsa_user_sgpr_kernarg_segment_ptr 1
		.amdhsa_user_sgpr_dispatch_id 0
		.amdhsa_user_sgpr_flat_scratch_init 0
		.amdhsa_user_sgpr_kernarg_preload_length 0
		.amdhsa_user_sgpr_kernarg_preload_offset 0
		.amdhsa_user_sgpr_private_segment_size 0
		.amdhsa_uses_dynamic_stack 0
		.amdhsa_system_sgpr_private_segment_wavefront_offset 0
		.amdhsa_system_sgpr_workgroup_id_x 1
		.amdhsa_system_sgpr_workgroup_id_y 0
		.amdhsa_system_sgpr_workgroup_id_z 0
		.amdhsa_system_sgpr_workgroup_info 0
		.amdhsa_system_vgpr_workitem_id 0
		.amdhsa_next_free_vgpr 1
		.amdhsa_next_free_sgpr 0
		.amdhsa_accum_offset 4
		.amdhsa_reserve_vcc 0
		.amdhsa_reserve_flat_scratch 0
		.amdhsa_float_round_mode_32 0
		.amdhsa_float_round_mode_16_64 0
		.amdhsa_float_denorm_mode_32 3
		.amdhsa_float_denorm_mode_16_64 3
		.amdhsa_dx10_clamp 1
		.amdhsa_ieee_mode 1
		.amdhsa_fp16_overflow 0
		.amdhsa_tg_split 0
		.amdhsa_exception_fp_ieee_invalid_op 0
		.amdhsa_exception_fp_denorm_src 0
		.amdhsa_exception_fp_ieee_div_zero 0
		.amdhsa_exception_fp_ieee_overflow 0
		.amdhsa_exception_fp_ieee_underflow 0
		.amdhsa_exception_fp_ieee_inexact 0
		.amdhsa_exception_int_div_zero 0
	.end_amdhsa_kernel
	.section	.text._ZN7rocprim17ROCPRIM_400000_NS6detail17trampoline_kernelINS0_14default_configENS1_35radix_sort_onesweep_config_selectorImNS0_10empty_typeEEEZZNS1_29radix_sort_onesweep_iterationIS3_Lb1EPmS8_PS5_S9_mNS0_19identity_decomposerENS1_16block_id_wrapperIjLb0EEEEE10hipError_tT1_PNSt15iterator_traitsISE_E10value_typeET2_T3_PNSF_ISK_E10value_typeET4_T5_PSP_SQ_PNS1_23onesweep_lookback_stateEbbT6_jjT7_P12ihipStream_tbENKUlT_T0_SE_SJ_E_clIS8_S8_S9_S9_EEDaSX_SY_SE_SJ_EUlSX_E_NS1_11comp_targetILNS1_3genE9ELNS1_11target_archE1100ELNS1_3gpuE3ELNS1_3repE0EEENS1_47radix_sort_onesweep_sort_config_static_selectorELNS0_4arch9wavefront6targetE1EEEvSE_,"axG",@progbits,_ZN7rocprim17ROCPRIM_400000_NS6detail17trampoline_kernelINS0_14default_configENS1_35radix_sort_onesweep_config_selectorImNS0_10empty_typeEEEZZNS1_29radix_sort_onesweep_iterationIS3_Lb1EPmS8_PS5_S9_mNS0_19identity_decomposerENS1_16block_id_wrapperIjLb0EEEEE10hipError_tT1_PNSt15iterator_traitsISE_E10value_typeET2_T3_PNSF_ISK_E10value_typeET4_T5_PSP_SQ_PNS1_23onesweep_lookback_stateEbbT6_jjT7_P12ihipStream_tbENKUlT_T0_SE_SJ_E_clIS8_S8_S9_S9_EEDaSX_SY_SE_SJ_EUlSX_E_NS1_11comp_targetILNS1_3genE9ELNS1_11target_archE1100ELNS1_3gpuE3ELNS1_3repE0EEENS1_47radix_sort_onesweep_sort_config_static_selectorELNS0_4arch9wavefront6targetE1EEEvSE_,comdat
.Lfunc_end2307:
	.size	_ZN7rocprim17ROCPRIM_400000_NS6detail17trampoline_kernelINS0_14default_configENS1_35radix_sort_onesweep_config_selectorImNS0_10empty_typeEEEZZNS1_29radix_sort_onesweep_iterationIS3_Lb1EPmS8_PS5_S9_mNS0_19identity_decomposerENS1_16block_id_wrapperIjLb0EEEEE10hipError_tT1_PNSt15iterator_traitsISE_E10value_typeET2_T3_PNSF_ISK_E10value_typeET4_T5_PSP_SQ_PNS1_23onesweep_lookback_stateEbbT6_jjT7_P12ihipStream_tbENKUlT_T0_SE_SJ_E_clIS8_S8_S9_S9_EEDaSX_SY_SE_SJ_EUlSX_E_NS1_11comp_targetILNS1_3genE9ELNS1_11target_archE1100ELNS1_3gpuE3ELNS1_3repE0EEENS1_47radix_sort_onesweep_sort_config_static_selectorELNS0_4arch9wavefront6targetE1EEEvSE_, .Lfunc_end2307-_ZN7rocprim17ROCPRIM_400000_NS6detail17trampoline_kernelINS0_14default_configENS1_35radix_sort_onesweep_config_selectorImNS0_10empty_typeEEEZZNS1_29radix_sort_onesweep_iterationIS3_Lb1EPmS8_PS5_S9_mNS0_19identity_decomposerENS1_16block_id_wrapperIjLb0EEEEE10hipError_tT1_PNSt15iterator_traitsISE_E10value_typeET2_T3_PNSF_ISK_E10value_typeET4_T5_PSP_SQ_PNS1_23onesweep_lookback_stateEbbT6_jjT7_P12ihipStream_tbENKUlT_T0_SE_SJ_E_clIS8_S8_S9_S9_EEDaSX_SY_SE_SJ_EUlSX_E_NS1_11comp_targetILNS1_3genE9ELNS1_11target_archE1100ELNS1_3gpuE3ELNS1_3repE0EEENS1_47radix_sort_onesweep_sort_config_static_selectorELNS0_4arch9wavefront6targetE1EEEvSE_
                                        ; -- End function
	.section	.AMDGPU.csdata,"",@progbits
; Kernel info:
; codeLenInByte = 0
; NumSgprs: 4
; NumVgprs: 0
; NumAgprs: 0
; TotalNumVgprs: 0
; ScratchSize: 0
; MemoryBound: 0
; FloatMode: 240
; IeeeMode: 1
; LDSByteSize: 0 bytes/workgroup (compile time only)
; SGPRBlocks: 0
; VGPRBlocks: 0
; NumSGPRsForWavesPerEU: 4
; NumVGPRsForWavesPerEU: 1
; AccumOffset: 4
; Occupancy: 8
; WaveLimiterHint : 0
; COMPUTE_PGM_RSRC2:SCRATCH_EN: 0
; COMPUTE_PGM_RSRC2:USER_SGPR: 6
; COMPUTE_PGM_RSRC2:TRAP_HANDLER: 0
; COMPUTE_PGM_RSRC2:TGID_X_EN: 1
; COMPUTE_PGM_RSRC2:TGID_Y_EN: 0
; COMPUTE_PGM_RSRC2:TGID_Z_EN: 0
; COMPUTE_PGM_RSRC2:TIDIG_COMP_CNT: 0
; COMPUTE_PGM_RSRC3_GFX90A:ACCUM_OFFSET: 0
; COMPUTE_PGM_RSRC3_GFX90A:TG_SPLIT: 0
	.section	.text._ZN7rocprim17ROCPRIM_400000_NS6detail17trampoline_kernelINS0_14default_configENS1_35radix_sort_onesweep_config_selectorImNS0_10empty_typeEEEZZNS1_29radix_sort_onesweep_iterationIS3_Lb1EPmS8_PS5_S9_mNS0_19identity_decomposerENS1_16block_id_wrapperIjLb0EEEEE10hipError_tT1_PNSt15iterator_traitsISE_E10value_typeET2_T3_PNSF_ISK_E10value_typeET4_T5_PSP_SQ_PNS1_23onesweep_lookback_stateEbbT6_jjT7_P12ihipStream_tbENKUlT_T0_SE_SJ_E_clIS8_S8_S9_S9_EEDaSX_SY_SE_SJ_EUlSX_E_NS1_11comp_targetILNS1_3genE8ELNS1_11target_archE1030ELNS1_3gpuE2ELNS1_3repE0EEENS1_47radix_sort_onesweep_sort_config_static_selectorELNS0_4arch9wavefront6targetE1EEEvSE_,"axG",@progbits,_ZN7rocprim17ROCPRIM_400000_NS6detail17trampoline_kernelINS0_14default_configENS1_35radix_sort_onesweep_config_selectorImNS0_10empty_typeEEEZZNS1_29radix_sort_onesweep_iterationIS3_Lb1EPmS8_PS5_S9_mNS0_19identity_decomposerENS1_16block_id_wrapperIjLb0EEEEE10hipError_tT1_PNSt15iterator_traitsISE_E10value_typeET2_T3_PNSF_ISK_E10value_typeET4_T5_PSP_SQ_PNS1_23onesweep_lookback_stateEbbT6_jjT7_P12ihipStream_tbENKUlT_T0_SE_SJ_E_clIS8_S8_S9_S9_EEDaSX_SY_SE_SJ_EUlSX_E_NS1_11comp_targetILNS1_3genE8ELNS1_11target_archE1030ELNS1_3gpuE2ELNS1_3repE0EEENS1_47radix_sort_onesweep_sort_config_static_selectorELNS0_4arch9wavefront6targetE1EEEvSE_,comdat
	.protected	_ZN7rocprim17ROCPRIM_400000_NS6detail17trampoline_kernelINS0_14default_configENS1_35radix_sort_onesweep_config_selectorImNS0_10empty_typeEEEZZNS1_29radix_sort_onesweep_iterationIS3_Lb1EPmS8_PS5_S9_mNS0_19identity_decomposerENS1_16block_id_wrapperIjLb0EEEEE10hipError_tT1_PNSt15iterator_traitsISE_E10value_typeET2_T3_PNSF_ISK_E10value_typeET4_T5_PSP_SQ_PNS1_23onesweep_lookback_stateEbbT6_jjT7_P12ihipStream_tbENKUlT_T0_SE_SJ_E_clIS8_S8_S9_S9_EEDaSX_SY_SE_SJ_EUlSX_E_NS1_11comp_targetILNS1_3genE8ELNS1_11target_archE1030ELNS1_3gpuE2ELNS1_3repE0EEENS1_47radix_sort_onesweep_sort_config_static_selectorELNS0_4arch9wavefront6targetE1EEEvSE_ ; -- Begin function _ZN7rocprim17ROCPRIM_400000_NS6detail17trampoline_kernelINS0_14default_configENS1_35radix_sort_onesweep_config_selectorImNS0_10empty_typeEEEZZNS1_29radix_sort_onesweep_iterationIS3_Lb1EPmS8_PS5_S9_mNS0_19identity_decomposerENS1_16block_id_wrapperIjLb0EEEEE10hipError_tT1_PNSt15iterator_traitsISE_E10value_typeET2_T3_PNSF_ISK_E10value_typeET4_T5_PSP_SQ_PNS1_23onesweep_lookback_stateEbbT6_jjT7_P12ihipStream_tbENKUlT_T0_SE_SJ_E_clIS8_S8_S9_S9_EEDaSX_SY_SE_SJ_EUlSX_E_NS1_11comp_targetILNS1_3genE8ELNS1_11target_archE1030ELNS1_3gpuE2ELNS1_3repE0EEENS1_47radix_sort_onesweep_sort_config_static_selectorELNS0_4arch9wavefront6targetE1EEEvSE_
	.globl	_ZN7rocprim17ROCPRIM_400000_NS6detail17trampoline_kernelINS0_14default_configENS1_35radix_sort_onesweep_config_selectorImNS0_10empty_typeEEEZZNS1_29radix_sort_onesweep_iterationIS3_Lb1EPmS8_PS5_S9_mNS0_19identity_decomposerENS1_16block_id_wrapperIjLb0EEEEE10hipError_tT1_PNSt15iterator_traitsISE_E10value_typeET2_T3_PNSF_ISK_E10value_typeET4_T5_PSP_SQ_PNS1_23onesweep_lookback_stateEbbT6_jjT7_P12ihipStream_tbENKUlT_T0_SE_SJ_E_clIS8_S8_S9_S9_EEDaSX_SY_SE_SJ_EUlSX_E_NS1_11comp_targetILNS1_3genE8ELNS1_11target_archE1030ELNS1_3gpuE2ELNS1_3repE0EEENS1_47radix_sort_onesweep_sort_config_static_selectorELNS0_4arch9wavefront6targetE1EEEvSE_
	.p2align	8
	.type	_ZN7rocprim17ROCPRIM_400000_NS6detail17trampoline_kernelINS0_14default_configENS1_35radix_sort_onesweep_config_selectorImNS0_10empty_typeEEEZZNS1_29radix_sort_onesweep_iterationIS3_Lb1EPmS8_PS5_S9_mNS0_19identity_decomposerENS1_16block_id_wrapperIjLb0EEEEE10hipError_tT1_PNSt15iterator_traitsISE_E10value_typeET2_T3_PNSF_ISK_E10value_typeET4_T5_PSP_SQ_PNS1_23onesweep_lookback_stateEbbT6_jjT7_P12ihipStream_tbENKUlT_T0_SE_SJ_E_clIS8_S8_S9_S9_EEDaSX_SY_SE_SJ_EUlSX_E_NS1_11comp_targetILNS1_3genE8ELNS1_11target_archE1030ELNS1_3gpuE2ELNS1_3repE0EEENS1_47radix_sort_onesweep_sort_config_static_selectorELNS0_4arch9wavefront6targetE1EEEvSE_,@function
_ZN7rocprim17ROCPRIM_400000_NS6detail17trampoline_kernelINS0_14default_configENS1_35radix_sort_onesweep_config_selectorImNS0_10empty_typeEEEZZNS1_29radix_sort_onesweep_iterationIS3_Lb1EPmS8_PS5_S9_mNS0_19identity_decomposerENS1_16block_id_wrapperIjLb0EEEEE10hipError_tT1_PNSt15iterator_traitsISE_E10value_typeET2_T3_PNSF_ISK_E10value_typeET4_T5_PSP_SQ_PNS1_23onesweep_lookback_stateEbbT6_jjT7_P12ihipStream_tbENKUlT_T0_SE_SJ_E_clIS8_S8_S9_S9_EEDaSX_SY_SE_SJ_EUlSX_E_NS1_11comp_targetILNS1_3genE8ELNS1_11target_archE1030ELNS1_3gpuE2ELNS1_3repE0EEENS1_47radix_sort_onesweep_sort_config_static_selectorELNS0_4arch9wavefront6targetE1EEEvSE_: ; @_ZN7rocprim17ROCPRIM_400000_NS6detail17trampoline_kernelINS0_14default_configENS1_35radix_sort_onesweep_config_selectorImNS0_10empty_typeEEEZZNS1_29radix_sort_onesweep_iterationIS3_Lb1EPmS8_PS5_S9_mNS0_19identity_decomposerENS1_16block_id_wrapperIjLb0EEEEE10hipError_tT1_PNSt15iterator_traitsISE_E10value_typeET2_T3_PNSF_ISK_E10value_typeET4_T5_PSP_SQ_PNS1_23onesweep_lookback_stateEbbT6_jjT7_P12ihipStream_tbENKUlT_T0_SE_SJ_E_clIS8_S8_S9_S9_EEDaSX_SY_SE_SJ_EUlSX_E_NS1_11comp_targetILNS1_3genE8ELNS1_11target_archE1030ELNS1_3gpuE2ELNS1_3repE0EEENS1_47radix_sort_onesweep_sort_config_static_selectorELNS0_4arch9wavefront6targetE1EEEvSE_
; %bb.0:
	.section	.rodata,"a",@progbits
	.p2align	6, 0x0
	.amdhsa_kernel _ZN7rocprim17ROCPRIM_400000_NS6detail17trampoline_kernelINS0_14default_configENS1_35radix_sort_onesweep_config_selectorImNS0_10empty_typeEEEZZNS1_29radix_sort_onesweep_iterationIS3_Lb1EPmS8_PS5_S9_mNS0_19identity_decomposerENS1_16block_id_wrapperIjLb0EEEEE10hipError_tT1_PNSt15iterator_traitsISE_E10value_typeET2_T3_PNSF_ISK_E10value_typeET4_T5_PSP_SQ_PNS1_23onesweep_lookback_stateEbbT6_jjT7_P12ihipStream_tbENKUlT_T0_SE_SJ_E_clIS8_S8_S9_S9_EEDaSX_SY_SE_SJ_EUlSX_E_NS1_11comp_targetILNS1_3genE8ELNS1_11target_archE1030ELNS1_3gpuE2ELNS1_3repE0EEENS1_47radix_sort_onesweep_sort_config_static_selectorELNS0_4arch9wavefront6targetE1EEEvSE_
		.amdhsa_group_segment_fixed_size 0
		.amdhsa_private_segment_fixed_size 0
		.amdhsa_kernarg_size 88
		.amdhsa_user_sgpr_count 6
		.amdhsa_user_sgpr_private_segment_buffer 1
		.amdhsa_user_sgpr_dispatch_ptr 0
		.amdhsa_user_sgpr_queue_ptr 0
		.amdhsa_user_sgpr_kernarg_segment_ptr 1
		.amdhsa_user_sgpr_dispatch_id 0
		.amdhsa_user_sgpr_flat_scratch_init 0
		.amdhsa_user_sgpr_kernarg_preload_length 0
		.amdhsa_user_sgpr_kernarg_preload_offset 0
		.amdhsa_user_sgpr_private_segment_size 0
		.amdhsa_uses_dynamic_stack 0
		.amdhsa_system_sgpr_private_segment_wavefront_offset 0
		.amdhsa_system_sgpr_workgroup_id_x 1
		.amdhsa_system_sgpr_workgroup_id_y 0
		.amdhsa_system_sgpr_workgroup_id_z 0
		.amdhsa_system_sgpr_workgroup_info 0
		.amdhsa_system_vgpr_workitem_id 0
		.amdhsa_next_free_vgpr 1
		.amdhsa_next_free_sgpr 0
		.amdhsa_accum_offset 4
		.amdhsa_reserve_vcc 0
		.amdhsa_reserve_flat_scratch 0
		.amdhsa_float_round_mode_32 0
		.amdhsa_float_round_mode_16_64 0
		.amdhsa_float_denorm_mode_32 3
		.amdhsa_float_denorm_mode_16_64 3
		.amdhsa_dx10_clamp 1
		.amdhsa_ieee_mode 1
		.amdhsa_fp16_overflow 0
		.amdhsa_tg_split 0
		.amdhsa_exception_fp_ieee_invalid_op 0
		.amdhsa_exception_fp_denorm_src 0
		.amdhsa_exception_fp_ieee_div_zero 0
		.amdhsa_exception_fp_ieee_overflow 0
		.amdhsa_exception_fp_ieee_underflow 0
		.amdhsa_exception_fp_ieee_inexact 0
		.amdhsa_exception_int_div_zero 0
	.end_amdhsa_kernel
	.section	.text._ZN7rocprim17ROCPRIM_400000_NS6detail17trampoline_kernelINS0_14default_configENS1_35radix_sort_onesweep_config_selectorImNS0_10empty_typeEEEZZNS1_29radix_sort_onesweep_iterationIS3_Lb1EPmS8_PS5_S9_mNS0_19identity_decomposerENS1_16block_id_wrapperIjLb0EEEEE10hipError_tT1_PNSt15iterator_traitsISE_E10value_typeET2_T3_PNSF_ISK_E10value_typeET4_T5_PSP_SQ_PNS1_23onesweep_lookback_stateEbbT6_jjT7_P12ihipStream_tbENKUlT_T0_SE_SJ_E_clIS8_S8_S9_S9_EEDaSX_SY_SE_SJ_EUlSX_E_NS1_11comp_targetILNS1_3genE8ELNS1_11target_archE1030ELNS1_3gpuE2ELNS1_3repE0EEENS1_47radix_sort_onesweep_sort_config_static_selectorELNS0_4arch9wavefront6targetE1EEEvSE_,"axG",@progbits,_ZN7rocprim17ROCPRIM_400000_NS6detail17trampoline_kernelINS0_14default_configENS1_35radix_sort_onesweep_config_selectorImNS0_10empty_typeEEEZZNS1_29radix_sort_onesweep_iterationIS3_Lb1EPmS8_PS5_S9_mNS0_19identity_decomposerENS1_16block_id_wrapperIjLb0EEEEE10hipError_tT1_PNSt15iterator_traitsISE_E10value_typeET2_T3_PNSF_ISK_E10value_typeET4_T5_PSP_SQ_PNS1_23onesweep_lookback_stateEbbT6_jjT7_P12ihipStream_tbENKUlT_T0_SE_SJ_E_clIS8_S8_S9_S9_EEDaSX_SY_SE_SJ_EUlSX_E_NS1_11comp_targetILNS1_3genE8ELNS1_11target_archE1030ELNS1_3gpuE2ELNS1_3repE0EEENS1_47radix_sort_onesweep_sort_config_static_selectorELNS0_4arch9wavefront6targetE1EEEvSE_,comdat
.Lfunc_end2308:
	.size	_ZN7rocprim17ROCPRIM_400000_NS6detail17trampoline_kernelINS0_14default_configENS1_35radix_sort_onesweep_config_selectorImNS0_10empty_typeEEEZZNS1_29radix_sort_onesweep_iterationIS3_Lb1EPmS8_PS5_S9_mNS0_19identity_decomposerENS1_16block_id_wrapperIjLb0EEEEE10hipError_tT1_PNSt15iterator_traitsISE_E10value_typeET2_T3_PNSF_ISK_E10value_typeET4_T5_PSP_SQ_PNS1_23onesweep_lookback_stateEbbT6_jjT7_P12ihipStream_tbENKUlT_T0_SE_SJ_E_clIS8_S8_S9_S9_EEDaSX_SY_SE_SJ_EUlSX_E_NS1_11comp_targetILNS1_3genE8ELNS1_11target_archE1030ELNS1_3gpuE2ELNS1_3repE0EEENS1_47radix_sort_onesweep_sort_config_static_selectorELNS0_4arch9wavefront6targetE1EEEvSE_, .Lfunc_end2308-_ZN7rocprim17ROCPRIM_400000_NS6detail17trampoline_kernelINS0_14default_configENS1_35radix_sort_onesweep_config_selectorImNS0_10empty_typeEEEZZNS1_29radix_sort_onesweep_iterationIS3_Lb1EPmS8_PS5_S9_mNS0_19identity_decomposerENS1_16block_id_wrapperIjLb0EEEEE10hipError_tT1_PNSt15iterator_traitsISE_E10value_typeET2_T3_PNSF_ISK_E10value_typeET4_T5_PSP_SQ_PNS1_23onesweep_lookback_stateEbbT6_jjT7_P12ihipStream_tbENKUlT_T0_SE_SJ_E_clIS8_S8_S9_S9_EEDaSX_SY_SE_SJ_EUlSX_E_NS1_11comp_targetILNS1_3genE8ELNS1_11target_archE1030ELNS1_3gpuE2ELNS1_3repE0EEENS1_47radix_sort_onesweep_sort_config_static_selectorELNS0_4arch9wavefront6targetE1EEEvSE_
                                        ; -- End function
	.section	.AMDGPU.csdata,"",@progbits
; Kernel info:
; codeLenInByte = 0
; NumSgprs: 4
; NumVgprs: 0
; NumAgprs: 0
; TotalNumVgprs: 0
; ScratchSize: 0
; MemoryBound: 0
; FloatMode: 240
; IeeeMode: 1
; LDSByteSize: 0 bytes/workgroup (compile time only)
; SGPRBlocks: 0
; VGPRBlocks: 0
; NumSGPRsForWavesPerEU: 4
; NumVGPRsForWavesPerEU: 1
; AccumOffset: 4
; Occupancy: 8
; WaveLimiterHint : 0
; COMPUTE_PGM_RSRC2:SCRATCH_EN: 0
; COMPUTE_PGM_RSRC2:USER_SGPR: 6
; COMPUTE_PGM_RSRC2:TRAP_HANDLER: 0
; COMPUTE_PGM_RSRC2:TGID_X_EN: 1
; COMPUTE_PGM_RSRC2:TGID_Y_EN: 0
; COMPUTE_PGM_RSRC2:TGID_Z_EN: 0
; COMPUTE_PGM_RSRC2:TIDIG_COMP_CNT: 0
; COMPUTE_PGM_RSRC3_GFX90A:ACCUM_OFFSET: 0
; COMPUTE_PGM_RSRC3_GFX90A:TG_SPLIT: 0
	.section	.text._ZN7rocprim17ROCPRIM_400000_NS6detail17trampoline_kernelINS0_13kernel_configILj256ELj4ELj4294967295EEENS1_37radix_sort_block_sort_config_selectorIxNS0_10empty_typeEEEZNS1_21radix_sort_block_sortIS4_Lb1EPxS9_PS6_SA_NS0_19identity_decomposerEEE10hipError_tT1_T2_T3_T4_jRjT5_jjP12ihipStream_tbEUlT_E_NS1_11comp_targetILNS1_3genE0ELNS1_11target_archE4294967295ELNS1_3gpuE0ELNS1_3repE0EEENS1_44radix_sort_block_sort_config_static_selectorELNS0_4arch9wavefront6targetE1EEEvSD_,"axG",@progbits,_ZN7rocprim17ROCPRIM_400000_NS6detail17trampoline_kernelINS0_13kernel_configILj256ELj4ELj4294967295EEENS1_37radix_sort_block_sort_config_selectorIxNS0_10empty_typeEEEZNS1_21radix_sort_block_sortIS4_Lb1EPxS9_PS6_SA_NS0_19identity_decomposerEEE10hipError_tT1_T2_T3_T4_jRjT5_jjP12ihipStream_tbEUlT_E_NS1_11comp_targetILNS1_3genE0ELNS1_11target_archE4294967295ELNS1_3gpuE0ELNS1_3repE0EEENS1_44radix_sort_block_sort_config_static_selectorELNS0_4arch9wavefront6targetE1EEEvSD_,comdat
	.protected	_ZN7rocprim17ROCPRIM_400000_NS6detail17trampoline_kernelINS0_13kernel_configILj256ELj4ELj4294967295EEENS1_37radix_sort_block_sort_config_selectorIxNS0_10empty_typeEEEZNS1_21radix_sort_block_sortIS4_Lb1EPxS9_PS6_SA_NS0_19identity_decomposerEEE10hipError_tT1_T2_T3_T4_jRjT5_jjP12ihipStream_tbEUlT_E_NS1_11comp_targetILNS1_3genE0ELNS1_11target_archE4294967295ELNS1_3gpuE0ELNS1_3repE0EEENS1_44radix_sort_block_sort_config_static_selectorELNS0_4arch9wavefront6targetE1EEEvSD_ ; -- Begin function _ZN7rocprim17ROCPRIM_400000_NS6detail17trampoline_kernelINS0_13kernel_configILj256ELj4ELj4294967295EEENS1_37radix_sort_block_sort_config_selectorIxNS0_10empty_typeEEEZNS1_21radix_sort_block_sortIS4_Lb1EPxS9_PS6_SA_NS0_19identity_decomposerEEE10hipError_tT1_T2_T3_T4_jRjT5_jjP12ihipStream_tbEUlT_E_NS1_11comp_targetILNS1_3genE0ELNS1_11target_archE4294967295ELNS1_3gpuE0ELNS1_3repE0EEENS1_44radix_sort_block_sort_config_static_selectorELNS0_4arch9wavefront6targetE1EEEvSD_
	.globl	_ZN7rocprim17ROCPRIM_400000_NS6detail17trampoline_kernelINS0_13kernel_configILj256ELj4ELj4294967295EEENS1_37radix_sort_block_sort_config_selectorIxNS0_10empty_typeEEEZNS1_21radix_sort_block_sortIS4_Lb1EPxS9_PS6_SA_NS0_19identity_decomposerEEE10hipError_tT1_T2_T3_T4_jRjT5_jjP12ihipStream_tbEUlT_E_NS1_11comp_targetILNS1_3genE0ELNS1_11target_archE4294967295ELNS1_3gpuE0ELNS1_3repE0EEENS1_44radix_sort_block_sort_config_static_selectorELNS0_4arch9wavefront6targetE1EEEvSD_
	.p2align	8
	.type	_ZN7rocprim17ROCPRIM_400000_NS6detail17trampoline_kernelINS0_13kernel_configILj256ELj4ELj4294967295EEENS1_37radix_sort_block_sort_config_selectorIxNS0_10empty_typeEEEZNS1_21radix_sort_block_sortIS4_Lb1EPxS9_PS6_SA_NS0_19identity_decomposerEEE10hipError_tT1_T2_T3_T4_jRjT5_jjP12ihipStream_tbEUlT_E_NS1_11comp_targetILNS1_3genE0ELNS1_11target_archE4294967295ELNS1_3gpuE0ELNS1_3repE0EEENS1_44radix_sort_block_sort_config_static_selectorELNS0_4arch9wavefront6targetE1EEEvSD_,@function
_ZN7rocprim17ROCPRIM_400000_NS6detail17trampoline_kernelINS0_13kernel_configILj256ELj4ELj4294967295EEENS1_37radix_sort_block_sort_config_selectorIxNS0_10empty_typeEEEZNS1_21radix_sort_block_sortIS4_Lb1EPxS9_PS6_SA_NS0_19identity_decomposerEEE10hipError_tT1_T2_T3_T4_jRjT5_jjP12ihipStream_tbEUlT_E_NS1_11comp_targetILNS1_3genE0ELNS1_11target_archE4294967295ELNS1_3gpuE0ELNS1_3repE0EEENS1_44radix_sort_block_sort_config_static_selectorELNS0_4arch9wavefront6targetE1EEEvSD_: ; @_ZN7rocprim17ROCPRIM_400000_NS6detail17trampoline_kernelINS0_13kernel_configILj256ELj4ELj4294967295EEENS1_37radix_sort_block_sort_config_selectorIxNS0_10empty_typeEEEZNS1_21radix_sort_block_sortIS4_Lb1EPxS9_PS6_SA_NS0_19identity_decomposerEEE10hipError_tT1_T2_T3_T4_jRjT5_jjP12ihipStream_tbEUlT_E_NS1_11comp_targetILNS1_3genE0ELNS1_11target_archE4294967295ELNS1_3gpuE0ELNS1_3repE0EEENS1_44radix_sort_block_sort_config_static_selectorELNS0_4arch9wavefront6targetE1EEEvSD_
; %bb.0:
	.section	.rodata,"a",@progbits
	.p2align	6, 0x0
	.amdhsa_kernel _ZN7rocprim17ROCPRIM_400000_NS6detail17trampoline_kernelINS0_13kernel_configILj256ELj4ELj4294967295EEENS1_37radix_sort_block_sort_config_selectorIxNS0_10empty_typeEEEZNS1_21radix_sort_block_sortIS4_Lb1EPxS9_PS6_SA_NS0_19identity_decomposerEEE10hipError_tT1_T2_T3_T4_jRjT5_jjP12ihipStream_tbEUlT_E_NS1_11comp_targetILNS1_3genE0ELNS1_11target_archE4294967295ELNS1_3gpuE0ELNS1_3repE0EEENS1_44radix_sort_block_sort_config_static_selectorELNS0_4arch9wavefront6targetE1EEEvSD_
		.amdhsa_group_segment_fixed_size 0
		.amdhsa_private_segment_fixed_size 0
		.amdhsa_kernarg_size 48
		.amdhsa_user_sgpr_count 6
		.amdhsa_user_sgpr_private_segment_buffer 1
		.amdhsa_user_sgpr_dispatch_ptr 0
		.amdhsa_user_sgpr_queue_ptr 0
		.amdhsa_user_sgpr_kernarg_segment_ptr 1
		.amdhsa_user_sgpr_dispatch_id 0
		.amdhsa_user_sgpr_flat_scratch_init 0
		.amdhsa_user_sgpr_kernarg_preload_length 0
		.amdhsa_user_sgpr_kernarg_preload_offset 0
		.amdhsa_user_sgpr_private_segment_size 0
		.amdhsa_uses_dynamic_stack 0
		.amdhsa_system_sgpr_private_segment_wavefront_offset 0
		.amdhsa_system_sgpr_workgroup_id_x 1
		.amdhsa_system_sgpr_workgroup_id_y 0
		.amdhsa_system_sgpr_workgroup_id_z 0
		.amdhsa_system_sgpr_workgroup_info 0
		.amdhsa_system_vgpr_workitem_id 0
		.amdhsa_next_free_vgpr 1
		.amdhsa_next_free_sgpr 0
		.amdhsa_accum_offset 4
		.amdhsa_reserve_vcc 0
		.amdhsa_reserve_flat_scratch 0
		.amdhsa_float_round_mode_32 0
		.amdhsa_float_round_mode_16_64 0
		.amdhsa_float_denorm_mode_32 3
		.amdhsa_float_denorm_mode_16_64 3
		.amdhsa_dx10_clamp 1
		.amdhsa_ieee_mode 1
		.amdhsa_fp16_overflow 0
		.amdhsa_tg_split 0
		.amdhsa_exception_fp_ieee_invalid_op 0
		.amdhsa_exception_fp_denorm_src 0
		.amdhsa_exception_fp_ieee_div_zero 0
		.amdhsa_exception_fp_ieee_overflow 0
		.amdhsa_exception_fp_ieee_underflow 0
		.amdhsa_exception_fp_ieee_inexact 0
		.amdhsa_exception_int_div_zero 0
	.end_amdhsa_kernel
	.section	.text._ZN7rocprim17ROCPRIM_400000_NS6detail17trampoline_kernelINS0_13kernel_configILj256ELj4ELj4294967295EEENS1_37radix_sort_block_sort_config_selectorIxNS0_10empty_typeEEEZNS1_21radix_sort_block_sortIS4_Lb1EPxS9_PS6_SA_NS0_19identity_decomposerEEE10hipError_tT1_T2_T3_T4_jRjT5_jjP12ihipStream_tbEUlT_E_NS1_11comp_targetILNS1_3genE0ELNS1_11target_archE4294967295ELNS1_3gpuE0ELNS1_3repE0EEENS1_44radix_sort_block_sort_config_static_selectorELNS0_4arch9wavefront6targetE1EEEvSD_,"axG",@progbits,_ZN7rocprim17ROCPRIM_400000_NS6detail17trampoline_kernelINS0_13kernel_configILj256ELj4ELj4294967295EEENS1_37radix_sort_block_sort_config_selectorIxNS0_10empty_typeEEEZNS1_21radix_sort_block_sortIS4_Lb1EPxS9_PS6_SA_NS0_19identity_decomposerEEE10hipError_tT1_T2_T3_T4_jRjT5_jjP12ihipStream_tbEUlT_E_NS1_11comp_targetILNS1_3genE0ELNS1_11target_archE4294967295ELNS1_3gpuE0ELNS1_3repE0EEENS1_44radix_sort_block_sort_config_static_selectorELNS0_4arch9wavefront6targetE1EEEvSD_,comdat
.Lfunc_end2309:
	.size	_ZN7rocprim17ROCPRIM_400000_NS6detail17trampoline_kernelINS0_13kernel_configILj256ELj4ELj4294967295EEENS1_37radix_sort_block_sort_config_selectorIxNS0_10empty_typeEEEZNS1_21radix_sort_block_sortIS4_Lb1EPxS9_PS6_SA_NS0_19identity_decomposerEEE10hipError_tT1_T2_T3_T4_jRjT5_jjP12ihipStream_tbEUlT_E_NS1_11comp_targetILNS1_3genE0ELNS1_11target_archE4294967295ELNS1_3gpuE0ELNS1_3repE0EEENS1_44radix_sort_block_sort_config_static_selectorELNS0_4arch9wavefront6targetE1EEEvSD_, .Lfunc_end2309-_ZN7rocprim17ROCPRIM_400000_NS6detail17trampoline_kernelINS0_13kernel_configILj256ELj4ELj4294967295EEENS1_37radix_sort_block_sort_config_selectorIxNS0_10empty_typeEEEZNS1_21radix_sort_block_sortIS4_Lb1EPxS9_PS6_SA_NS0_19identity_decomposerEEE10hipError_tT1_T2_T3_T4_jRjT5_jjP12ihipStream_tbEUlT_E_NS1_11comp_targetILNS1_3genE0ELNS1_11target_archE4294967295ELNS1_3gpuE0ELNS1_3repE0EEENS1_44radix_sort_block_sort_config_static_selectorELNS0_4arch9wavefront6targetE1EEEvSD_
                                        ; -- End function
	.section	.AMDGPU.csdata,"",@progbits
; Kernel info:
; codeLenInByte = 0
; NumSgprs: 4
; NumVgprs: 0
; NumAgprs: 0
; TotalNumVgprs: 0
; ScratchSize: 0
; MemoryBound: 0
; FloatMode: 240
; IeeeMode: 1
; LDSByteSize: 0 bytes/workgroup (compile time only)
; SGPRBlocks: 0
; VGPRBlocks: 0
; NumSGPRsForWavesPerEU: 4
; NumVGPRsForWavesPerEU: 1
; AccumOffset: 4
; Occupancy: 8
; WaveLimiterHint : 0
; COMPUTE_PGM_RSRC2:SCRATCH_EN: 0
; COMPUTE_PGM_RSRC2:USER_SGPR: 6
; COMPUTE_PGM_RSRC2:TRAP_HANDLER: 0
; COMPUTE_PGM_RSRC2:TGID_X_EN: 1
; COMPUTE_PGM_RSRC2:TGID_Y_EN: 0
; COMPUTE_PGM_RSRC2:TGID_Z_EN: 0
; COMPUTE_PGM_RSRC2:TIDIG_COMP_CNT: 0
; COMPUTE_PGM_RSRC3_GFX90A:ACCUM_OFFSET: 0
; COMPUTE_PGM_RSRC3_GFX90A:TG_SPLIT: 0
	.section	.text._ZN7rocprim17ROCPRIM_400000_NS6detail17trampoline_kernelINS0_13kernel_configILj256ELj4ELj4294967295EEENS1_37radix_sort_block_sort_config_selectorIxNS0_10empty_typeEEEZNS1_21radix_sort_block_sortIS4_Lb1EPxS9_PS6_SA_NS0_19identity_decomposerEEE10hipError_tT1_T2_T3_T4_jRjT5_jjP12ihipStream_tbEUlT_E_NS1_11comp_targetILNS1_3genE5ELNS1_11target_archE942ELNS1_3gpuE9ELNS1_3repE0EEENS1_44radix_sort_block_sort_config_static_selectorELNS0_4arch9wavefront6targetE1EEEvSD_,"axG",@progbits,_ZN7rocprim17ROCPRIM_400000_NS6detail17trampoline_kernelINS0_13kernel_configILj256ELj4ELj4294967295EEENS1_37radix_sort_block_sort_config_selectorIxNS0_10empty_typeEEEZNS1_21radix_sort_block_sortIS4_Lb1EPxS9_PS6_SA_NS0_19identity_decomposerEEE10hipError_tT1_T2_T3_T4_jRjT5_jjP12ihipStream_tbEUlT_E_NS1_11comp_targetILNS1_3genE5ELNS1_11target_archE942ELNS1_3gpuE9ELNS1_3repE0EEENS1_44radix_sort_block_sort_config_static_selectorELNS0_4arch9wavefront6targetE1EEEvSD_,comdat
	.protected	_ZN7rocprim17ROCPRIM_400000_NS6detail17trampoline_kernelINS0_13kernel_configILj256ELj4ELj4294967295EEENS1_37radix_sort_block_sort_config_selectorIxNS0_10empty_typeEEEZNS1_21radix_sort_block_sortIS4_Lb1EPxS9_PS6_SA_NS0_19identity_decomposerEEE10hipError_tT1_T2_T3_T4_jRjT5_jjP12ihipStream_tbEUlT_E_NS1_11comp_targetILNS1_3genE5ELNS1_11target_archE942ELNS1_3gpuE9ELNS1_3repE0EEENS1_44radix_sort_block_sort_config_static_selectorELNS0_4arch9wavefront6targetE1EEEvSD_ ; -- Begin function _ZN7rocprim17ROCPRIM_400000_NS6detail17trampoline_kernelINS0_13kernel_configILj256ELj4ELj4294967295EEENS1_37radix_sort_block_sort_config_selectorIxNS0_10empty_typeEEEZNS1_21radix_sort_block_sortIS4_Lb1EPxS9_PS6_SA_NS0_19identity_decomposerEEE10hipError_tT1_T2_T3_T4_jRjT5_jjP12ihipStream_tbEUlT_E_NS1_11comp_targetILNS1_3genE5ELNS1_11target_archE942ELNS1_3gpuE9ELNS1_3repE0EEENS1_44radix_sort_block_sort_config_static_selectorELNS0_4arch9wavefront6targetE1EEEvSD_
	.globl	_ZN7rocprim17ROCPRIM_400000_NS6detail17trampoline_kernelINS0_13kernel_configILj256ELj4ELj4294967295EEENS1_37radix_sort_block_sort_config_selectorIxNS0_10empty_typeEEEZNS1_21radix_sort_block_sortIS4_Lb1EPxS9_PS6_SA_NS0_19identity_decomposerEEE10hipError_tT1_T2_T3_T4_jRjT5_jjP12ihipStream_tbEUlT_E_NS1_11comp_targetILNS1_3genE5ELNS1_11target_archE942ELNS1_3gpuE9ELNS1_3repE0EEENS1_44radix_sort_block_sort_config_static_selectorELNS0_4arch9wavefront6targetE1EEEvSD_
	.p2align	8
	.type	_ZN7rocprim17ROCPRIM_400000_NS6detail17trampoline_kernelINS0_13kernel_configILj256ELj4ELj4294967295EEENS1_37radix_sort_block_sort_config_selectorIxNS0_10empty_typeEEEZNS1_21radix_sort_block_sortIS4_Lb1EPxS9_PS6_SA_NS0_19identity_decomposerEEE10hipError_tT1_T2_T3_T4_jRjT5_jjP12ihipStream_tbEUlT_E_NS1_11comp_targetILNS1_3genE5ELNS1_11target_archE942ELNS1_3gpuE9ELNS1_3repE0EEENS1_44radix_sort_block_sort_config_static_selectorELNS0_4arch9wavefront6targetE1EEEvSD_,@function
_ZN7rocprim17ROCPRIM_400000_NS6detail17trampoline_kernelINS0_13kernel_configILj256ELj4ELj4294967295EEENS1_37radix_sort_block_sort_config_selectorIxNS0_10empty_typeEEEZNS1_21radix_sort_block_sortIS4_Lb1EPxS9_PS6_SA_NS0_19identity_decomposerEEE10hipError_tT1_T2_T3_T4_jRjT5_jjP12ihipStream_tbEUlT_E_NS1_11comp_targetILNS1_3genE5ELNS1_11target_archE942ELNS1_3gpuE9ELNS1_3repE0EEENS1_44radix_sort_block_sort_config_static_selectorELNS0_4arch9wavefront6targetE1EEEvSD_: ; @_ZN7rocprim17ROCPRIM_400000_NS6detail17trampoline_kernelINS0_13kernel_configILj256ELj4ELj4294967295EEENS1_37radix_sort_block_sort_config_selectorIxNS0_10empty_typeEEEZNS1_21radix_sort_block_sortIS4_Lb1EPxS9_PS6_SA_NS0_19identity_decomposerEEE10hipError_tT1_T2_T3_T4_jRjT5_jjP12ihipStream_tbEUlT_E_NS1_11comp_targetILNS1_3genE5ELNS1_11target_archE942ELNS1_3gpuE9ELNS1_3repE0EEENS1_44radix_sort_block_sort_config_static_selectorELNS0_4arch9wavefront6targetE1EEEvSD_
; %bb.0:
	.section	.rodata,"a",@progbits
	.p2align	6, 0x0
	.amdhsa_kernel _ZN7rocprim17ROCPRIM_400000_NS6detail17trampoline_kernelINS0_13kernel_configILj256ELj4ELj4294967295EEENS1_37radix_sort_block_sort_config_selectorIxNS0_10empty_typeEEEZNS1_21radix_sort_block_sortIS4_Lb1EPxS9_PS6_SA_NS0_19identity_decomposerEEE10hipError_tT1_T2_T3_T4_jRjT5_jjP12ihipStream_tbEUlT_E_NS1_11comp_targetILNS1_3genE5ELNS1_11target_archE942ELNS1_3gpuE9ELNS1_3repE0EEENS1_44radix_sort_block_sort_config_static_selectorELNS0_4arch9wavefront6targetE1EEEvSD_
		.amdhsa_group_segment_fixed_size 0
		.amdhsa_private_segment_fixed_size 0
		.amdhsa_kernarg_size 48
		.amdhsa_user_sgpr_count 6
		.amdhsa_user_sgpr_private_segment_buffer 1
		.amdhsa_user_sgpr_dispatch_ptr 0
		.amdhsa_user_sgpr_queue_ptr 0
		.amdhsa_user_sgpr_kernarg_segment_ptr 1
		.amdhsa_user_sgpr_dispatch_id 0
		.amdhsa_user_sgpr_flat_scratch_init 0
		.amdhsa_user_sgpr_kernarg_preload_length 0
		.amdhsa_user_sgpr_kernarg_preload_offset 0
		.amdhsa_user_sgpr_private_segment_size 0
		.amdhsa_uses_dynamic_stack 0
		.amdhsa_system_sgpr_private_segment_wavefront_offset 0
		.amdhsa_system_sgpr_workgroup_id_x 1
		.amdhsa_system_sgpr_workgroup_id_y 0
		.amdhsa_system_sgpr_workgroup_id_z 0
		.amdhsa_system_sgpr_workgroup_info 0
		.amdhsa_system_vgpr_workitem_id 0
		.amdhsa_next_free_vgpr 1
		.amdhsa_next_free_sgpr 0
		.amdhsa_accum_offset 4
		.amdhsa_reserve_vcc 0
		.amdhsa_reserve_flat_scratch 0
		.amdhsa_float_round_mode_32 0
		.amdhsa_float_round_mode_16_64 0
		.amdhsa_float_denorm_mode_32 3
		.amdhsa_float_denorm_mode_16_64 3
		.amdhsa_dx10_clamp 1
		.amdhsa_ieee_mode 1
		.amdhsa_fp16_overflow 0
		.amdhsa_tg_split 0
		.amdhsa_exception_fp_ieee_invalid_op 0
		.amdhsa_exception_fp_denorm_src 0
		.amdhsa_exception_fp_ieee_div_zero 0
		.amdhsa_exception_fp_ieee_overflow 0
		.amdhsa_exception_fp_ieee_underflow 0
		.amdhsa_exception_fp_ieee_inexact 0
		.amdhsa_exception_int_div_zero 0
	.end_amdhsa_kernel
	.section	.text._ZN7rocprim17ROCPRIM_400000_NS6detail17trampoline_kernelINS0_13kernel_configILj256ELj4ELj4294967295EEENS1_37radix_sort_block_sort_config_selectorIxNS0_10empty_typeEEEZNS1_21radix_sort_block_sortIS4_Lb1EPxS9_PS6_SA_NS0_19identity_decomposerEEE10hipError_tT1_T2_T3_T4_jRjT5_jjP12ihipStream_tbEUlT_E_NS1_11comp_targetILNS1_3genE5ELNS1_11target_archE942ELNS1_3gpuE9ELNS1_3repE0EEENS1_44radix_sort_block_sort_config_static_selectorELNS0_4arch9wavefront6targetE1EEEvSD_,"axG",@progbits,_ZN7rocprim17ROCPRIM_400000_NS6detail17trampoline_kernelINS0_13kernel_configILj256ELj4ELj4294967295EEENS1_37radix_sort_block_sort_config_selectorIxNS0_10empty_typeEEEZNS1_21radix_sort_block_sortIS4_Lb1EPxS9_PS6_SA_NS0_19identity_decomposerEEE10hipError_tT1_T2_T3_T4_jRjT5_jjP12ihipStream_tbEUlT_E_NS1_11comp_targetILNS1_3genE5ELNS1_11target_archE942ELNS1_3gpuE9ELNS1_3repE0EEENS1_44radix_sort_block_sort_config_static_selectorELNS0_4arch9wavefront6targetE1EEEvSD_,comdat
.Lfunc_end2310:
	.size	_ZN7rocprim17ROCPRIM_400000_NS6detail17trampoline_kernelINS0_13kernel_configILj256ELj4ELj4294967295EEENS1_37radix_sort_block_sort_config_selectorIxNS0_10empty_typeEEEZNS1_21radix_sort_block_sortIS4_Lb1EPxS9_PS6_SA_NS0_19identity_decomposerEEE10hipError_tT1_T2_T3_T4_jRjT5_jjP12ihipStream_tbEUlT_E_NS1_11comp_targetILNS1_3genE5ELNS1_11target_archE942ELNS1_3gpuE9ELNS1_3repE0EEENS1_44radix_sort_block_sort_config_static_selectorELNS0_4arch9wavefront6targetE1EEEvSD_, .Lfunc_end2310-_ZN7rocprim17ROCPRIM_400000_NS6detail17trampoline_kernelINS0_13kernel_configILj256ELj4ELj4294967295EEENS1_37radix_sort_block_sort_config_selectorIxNS0_10empty_typeEEEZNS1_21radix_sort_block_sortIS4_Lb1EPxS9_PS6_SA_NS0_19identity_decomposerEEE10hipError_tT1_T2_T3_T4_jRjT5_jjP12ihipStream_tbEUlT_E_NS1_11comp_targetILNS1_3genE5ELNS1_11target_archE942ELNS1_3gpuE9ELNS1_3repE0EEENS1_44radix_sort_block_sort_config_static_selectorELNS0_4arch9wavefront6targetE1EEEvSD_
                                        ; -- End function
	.section	.AMDGPU.csdata,"",@progbits
; Kernel info:
; codeLenInByte = 0
; NumSgprs: 4
; NumVgprs: 0
; NumAgprs: 0
; TotalNumVgprs: 0
; ScratchSize: 0
; MemoryBound: 0
; FloatMode: 240
; IeeeMode: 1
; LDSByteSize: 0 bytes/workgroup (compile time only)
; SGPRBlocks: 0
; VGPRBlocks: 0
; NumSGPRsForWavesPerEU: 4
; NumVGPRsForWavesPerEU: 1
; AccumOffset: 4
; Occupancy: 8
; WaveLimiterHint : 0
; COMPUTE_PGM_RSRC2:SCRATCH_EN: 0
; COMPUTE_PGM_RSRC2:USER_SGPR: 6
; COMPUTE_PGM_RSRC2:TRAP_HANDLER: 0
; COMPUTE_PGM_RSRC2:TGID_X_EN: 1
; COMPUTE_PGM_RSRC2:TGID_Y_EN: 0
; COMPUTE_PGM_RSRC2:TGID_Z_EN: 0
; COMPUTE_PGM_RSRC2:TIDIG_COMP_CNT: 0
; COMPUTE_PGM_RSRC3_GFX90A:ACCUM_OFFSET: 0
; COMPUTE_PGM_RSRC3_GFX90A:TG_SPLIT: 0
	.section	.text._ZN7rocprim17ROCPRIM_400000_NS6detail17trampoline_kernelINS0_13kernel_configILj256ELj4ELj4294967295EEENS1_37radix_sort_block_sort_config_selectorIxNS0_10empty_typeEEEZNS1_21radix_sort_block_sortIS4_Lb1EPxS9_PS6_SA_NS0_19identity_decomposerEEE10hipError_tT1_T2_T3_T4_jRjT5_jjP12ihipStream_tbEUlT_E_NS1_11comp_targetILNS1_3genE4ELNS1_11target_archE910ELNS1_3gpuE8ELNS1_3repE0EEENS1_44radix_sort_block_sort_config_static_selectorELNS0_4arch9wavefront6targetE1EEEvSD_,"axG",@progbits,_ZN7rocprim17ROCPRIM_400000_NS6detail17trampoline_kernelINS0_13kernel_configILj256ELj4ELj4294967295EEENS1_37radix_sort_block_sort_config_selectorIxNS0_10empty_typeEEEZNS1_21radix_sort_block_sortIS4_Lb1EPxS9_PS6_SA_NS0_19identity_decomposerEEE10hipError_tT1_T2_T3_T4_jRjT5_jjP12ihipStream_tbEUlT_E_NS1_11comp_targetILNS1_3genE4ELNS1_11target_archE910ELNS1_3gpuE8ELNS1_3repE0EEENS1_44radix_sort_block_sort_config_static_selectorELNS0_4arch9wavefront6targetE1EEEvSD_,comdat
	.protected	_ZN7rocprim17ROCPRIM_400000_NS6detail17trampoline_kernelINS0_13kernel_configILj256ELj4ELj4294967295EEENS1_37radix_sort_block_sort_config_selectorIxNS0_10empty_typeEEEZNS1_21radix_sort_block_sortIS4_Lb1EPxS9_PS6_SA_NS0_19identity_decomposerEEE10hipError_tT1_T2_T3_T4_jRjT5_jjP12ihipStream_tbEUlT_E_NS1_11comp_targetILNS1_3genE4ELNS1_11target_archE910ELNS1_3gpuE8ELNS1_3repE0EEENS1_44radix_sort_block_sort_config_static_selectorELNS0_4arch9wavefront6targetE1EEEvSD_ ; -- Begin function _ZN7rocprim17ROCPRIM_400000_NS6detail17trampoline_kernelINS0_13kernel_configILj256ELj4ELj4294967295EEENS1_37radix_sort_block_sort_config_selectorIxNS0_10empty_typeEEEZNS1_21radix_sort_block_sortIS4_Lb1EPxS9_PS6_SA_NS0_19identity_decomposerEEE10hipError_tT1_T2_T3_T4_jRjT5_jjP12ihipStream_tbEUlT_E_NS1_11comp_targetILNS1_3genE4ELNS1_11target_archE910ELNS1_3gpuE8ELNS1_3repE0EEENS1_44radix_sort_block_sort_config_static_selectorELNS0_4arch9wavefront6targetE1EEEvSD_
	.globl	_ZN7rocprim17ROCPRIM_400000_NS6detail17trampoline_kernelINS0_13kernel_configILj256ELj4ELj4294967295EEENS1_37radix_sort_block_sort_config_selectorIxNS0_10empty_typeEEEZNS1_21radix_sort_block_sortIS4_Lb1EPxS9_PS6_SA_NS0_19identity_decomposerEEE10hipError_tT1_T2_T3_T4_jRjT5_jjP12ihipStream_tbEUlT_E_NS1_11comp_targetILNS1_3genE4ELNS1_11target_archE910ELNS1_3gpuE8ELNS1_3repE0EEENS1_44radix_sort_block_sort_config_static_selectorELNS0_4arch9wavefront6targetE1EEEvSD_
	.p2align	8
	.type	_ZN7rocprim17ROCPRIM_400000_NS6detail17trampoline_kernelINS0_13kernel_configILj256ELj4ELj4294967295EEENS1_37radix_sort_block_sort_config_selectorIxNS0_10empty_typeEEEZNS1_21radix_sort_block_sortIS4_Lb1EPxS9_PS6_SA_NS0_19identity_decomposerEEE10hipError_tT1_T2_T3_T4_jRjT5_jjP12ihipStream_tbEUlT_E_NS1_11comp_targetILNS1_3genE4ELNS1_11target_archE910ELNS1_3gpuE8ELNS1_3repE0EEENS1_44radix_sort_block_sort_config_static_selectorELNS0_4arch9wavefront6targetE1EEEvSD_,@function
_ZN7rocprim17ROCPRIM_400000_NS6detail17trampoline_kernelINS0_13kernel_configILj256ELj4ELj4294967295EEENS1_37radix_sort_block_sort_config_selectorIxNS0_10empty_typeEEEZNS1_21radix_sort_block_sortIS4_Lb1EPxS9_PS6_SA_NS0_19identity_decomposerEEE10hipError_tT1_T2_T3_T4_jRjT5_jjP12ihipStream_tbEUlT_E_NS1_11comp_targetILNS1_3genE4ELNS1_11target_archE910ELNS1_3gpuE8ELNS1_3repE0EEENS1_44radix_sort_block_sort_config_static_selectorELNS0_4arch9wavefront6targetE1EEEvSD_: ; @_ZN7rocprim17ROCPRIM_400000_NS6detail17trampoline_kernelINS0_13kernel_configILj256ELj4ELj4294967295EEENS1_37radix_sort_block_sort_config_selectorIxNS0_10empty_typeEEEZNS1_21radix_sort_block_sortIS4_Lb1EPxS9_PS6_SA_NS0_19identity_decomposerEEE10hipError_tT1_T2_T3_T4_jRjT5_jjP12ihipStream_tbEUlT_E_NS1_11comp_targetILNS1_3genE4ELNS1_11target_archE910ELNS1_3gpuE8ELNS1_3repE0EEENS1_44radix_sort_block_sort_config_static_selectorELNS0_4arch9wavefront6targetE1EEEvSD_
; %bb.0:
	s_load_dword s7, s[4:5], 0x20
	s_load_dwordx4 s[28:31], s[4:5], 0x0
	s_lshl_b32 s0, s6, 10
	s_mov_b32 s1, 0
	v_mbcnt_lo_u32_b32 v1, -1, 0
	s_waitcnt lgkmcnt(0)
	s_lshr_b32 s2, s7, 10
	s_cmp_lg_u32 s6, s2
	s_cselect_b64 s[34:35], -1, 0
	s_lshl_b64 s[36:37], s[0:1], 3
	v_mbcnt_hi_u32_b32 v1, -1, v1
	v_and_b32_e32 v10, 0x3ff, v0
	s_add_u32 s1, s28, s36
	v_and_b32_e32 v14, 63, v1
	s_addc_u32 s3, s29, s37
	v_lshlrev_b32_e32 v11, 2, v10
	v_lshlrev_b32_e32 v2, 3, v14
	v_and_b32_e32 v16, 0x300, v11
	v_mov_b32_e32 v3, s3
	v_add_co_u32_e32 v2, vcc, s1, v2
	v_addc_co_u32_e32 v3, vcc, 0, v3, vcc
	v_lshlrev_b32_e32 v4, 3, v16
	v_add_co_u32_e32 v12, vcc, v2, v4
	s_cmp_eq_u32 s6, s2
	v_addc_co_u32_e32 v13, vcc, 0, v3, vcc
	v_or_b32_e32 v15, v14, v16
	s_cbranch_scc1 .LBB2311_2
; %bb.1:
	global_load_dwordx2 v[2:3], v[12:13], off
	global_load_dwordx2 v[4:5], v[12:13], off offset:512
	global_load_dwordx2 v[6:7], v[12:13], off offset:1024
	;; [unrolled: 1-line block ×3, first 2 shown]
	v_or_b32_e32 v18, v14, v16
	v_or_b32_e32 v14, 64, v18
	v_or_b32_e32 v16, 0x80, v18
	v_or_b32_e32 v17, 0xc0, v18
	s_load_dwordx2 s[28:29], s[4:5], 0x28
	s_sub_i32 s33, s7, s0
	s_cbranch_execz .LBB2311_3
	s_branch .LBB2311_12
.LBB2311_2:
                                        ; implicit-def: $vgpr2_vgpr3_vgpr4_vgpr5_vgpr6_vgpr7_vgpr8_vgpr9
                                        ; implicit-def: $vgpr18
                                        ; implicit-def: $vgpr14
                                        ; implicit-def: $vgpr16
                                        ; implicit-def: $vgpr17
	s_load_dwordx2 s[28:29], s[4:5], 0x28
	s_sub_i32 s33, s7, s0
.LBB2311_3:
	s_brev_b32 s9, 1
	s_mov_b32 s8, 0
	s_mov_b32 s10, s8
	s_mov_b32 s11, s9
	s_mov_b32 s12, s8
	s_mov_b32 s13, s9
	s_mov_b32 s14, s8
	s_mov_b32 s15, s9
	s_waitcnt vmcnt(0)
	v_pk_mov_b32 v[2:3], s[8:9], s[8:9] op_sel:[0,1]
	v_cmp_gt_u32_e32 vcc, s33, v15
	v_pk_mov_b32 v[4:5], s[10:11], s[10:11] op_sel:[0,1]
	v_pk_mov_b32 v[6:7], s[12:13], s[12:13] op_sel:[0,1]
	v_pk_mov_b32 v[8:9], s[14:15], s[14:15] op_sel:[0,1]
	s_and_saveexec_b64 s[0:1], vcc
	s_cbranch_execz .LBB2311_5
; %bb.4:
	global_load_dwordx2 v[2:3], v[12:13], off
	v_mov_b32_e32 v4, 0
	v_bfrev_b32_e32 v5, 1
	v_mov_b32_e32 v6, v4
	v_mov_b32_e32 v7, v5
	;; [unrolled: 1-line block ×4, first 2 shown]
.LBB2311_5:
	s_or_b64 exec, exec, s[0:1]
	v_or_b32_e32 v14, 64, v15
	v_cmp_gt_u32_e32 vcc, s33, v14
	s_and_saveexec_b64 s[0:1], vcc
	s_cbranch_execz .LBB2311_7
; %bb.6:
	global_load_dwordx2 v[4:5], v[12:13], off offset:512
.LBB2311_7:
	s_or_b64 exec, exec, s[0:1]
	v_or_b32_e32 v16, 0x80, v15
	v_cmp_gt_u32_e32 vcc, s33, v16
	s_and_saveexec_b64 s[0:1], vcc
	s_cbranch_execz .LBB2311_9
; %bb.8:
	global_load_dwordx2 v[6:7], v[12:13], off offset:1024
.LBB2311_9:
	;; [unrolled: 8-line block ×3, first 2 shown]
	s_or_b64 exec, exec, s[0:1]
	v_mov_b32_e32 v18, v15
.LBB2311_12:
	s_load_dword s2, s[4:5], 0x3c
	s_waitcnt lgkmcnt(0)
	s_add_i32 s38, s29, s28
	s_getpc_b64 s[0:1]
	s_add_u32 s0, s0, _ZN7rocprim17ROCPRIM_400000_NS16block_radix_sortIxLj256ELj4ENS0_10empty_typeELj1ELj1ELj0ELNS0_26block_radix_rank_algorithmE1ELNS0_18block_padding_hintE2ELNS0_4arch9wavefront6targetE1EE19radix_bits_per_passE@rel32@lo+4
	s_addc_u32 s1, s1, _ZN7rocprim17ROCPRIM_400000_NS16block_radix_sortIxLj256ELj4ENS0_10empty_typeELj1ELj1ELj0ELNS0_26block_radix_rank_algorithmE1ELNS0_18block_padding_hintE2ELNS0_4arch9wavefront6targetE1EE19radix_bits_per_passE@rel32@hi+12
	s_waitcnt vmcnt(0)
	v_xor_b32_e32 v20, -1, v4
	s_load_dword s39, s[0:1], 0x0
	s_lshr_b32 s0, s2, 16
	v_bfe_u32 v4, v0, 10, 10
	v_bfe_u32 v0, v0, 20, 10
	s_and_b32 s1, s2, 0xffff
	v_mad_u32_u24 v0, v0, s0, v4
	v_xor_b32_e32 v21, 0x7fffffff, v5
	v_mad_u64_u32 v[4:5], s[0:1], v0, s1, v[10:11]
	v_and_b32_e32 v0, 15, v1
	v_cmp_eq_u32_e64 s[0:1], 0, v0
	v_cmp_lt_u32_e64 s[2:3], 1, v0
	v_cmp_lt_u32_e64 s[4:5], 3, v0
	v_cmp_lt_u32_e64 s[6:7], 7, v0
	v_and_b32_e32 v0, 16, v1
	v_cmp_eq_u32_e64 s[8:9], 0, v0
	v_and_b32_e32 v0, 0x3c0, v10
	v_min_u32_e32 v0, 0xc0, v0
	v_or_b32_e32 v0, 63, v0
	v_lshrrev_b32_e32 v26, 6, v4
	v_cmp_eq_u32_e64 s[12:13], v0, v10
	v_add_u32_e32 v0, -1, v1
	v_and_b32_e32 v4, 64, v1
	v_cmp_lt_i32_e32 vcc, v0, v4
	v_cndmask_b32_e32 v0, v0, v1, vcc
	s_mov_b32 s26, 0
	v_lshlrev_b32_e32 v27, 2, v0
	v_lshrrev_b32_e32 v0, 4, v10
	v_lshlrev_b32_e32 v11, 2, v11
	v_cmp_lt_u32_e64 s[10:11], 31, v1
	v_cmp_eq_u32_e64 s[18:19], 0, v1
	v_and_b32_e32 v28, 60, v0
	v_mul_i32_i24_e32 v0, -12, v10
	v_and_b32_e32 v1, 3, v1
	s_mov_b32 s27, s26
	s_mov_b32 s40, s26
	s_mov_b32 s41, s26
	v_xor_b32_e32 v3, 0x7fffffff, v3
	v_xor_b32_e32 v2, -1, v2
	v_xor_b32_e32 v23, 0x7fffffff, v7
	v_xor_b32_e32 v22, -1, v6
	;; [unrolled: 2-line block ×3, first 2 shown]
	v_cmp_gt_u32_e64 s[14:15], 4, v10
	v_cmp_lt_u32_e64 s[16:17], 63, v10
	v_cmp_eq_u32_e64 s[20:21], 0, v10
	v_cmp_eq_u32_e64 s[22:23], 0, v1
	v_cmp_lt_u32_e64 s[24:25], 1, v1
	v_add_u32_e32 v29, -4, v28
	v_lshlrev_b32_e32 v30, 3, v18
	v_lshlrev_b32_e32 v31, 3, v14
	;; [unrolled: 1-line block ×4, first 2 shown]
	v_pk_mov_b32 v[4:5], s[26:27], s[26:27] op_sel:[0,1]
	v_pk_mov_b32 v[6:7], s[40:41], s[40:41] op_sel:[0,1]
	v_add_u32_e32 v34, v11, v0
	v_mov_b32_e32 v8, 0
	s_branch .LBB2311_14
.LBB2311_13:                            ;   in Loop: Header=BB2311_14 Depth=1
	s_barrier
	ds_write_b64 v0, v[18:19]
	ds_write_b64 v1, v[16:17]
	;; [unrolled: 1-line block ×4, first 2 shown]
	s_waitcnt lgkmcnt(0)
	s_barrier
	ds_read_b64 v[2:3], v30
	ds_read_b64 v[20:21], v31
	;; [unrolled: 1-line block ×4, first 2 shown]
	s_add_i32 s29, s29, -8
	s_waitcnt lgkmcnt(0)
	s_barrier
	s_cbranch_execz .LBB2311_30
.LBB2311_14:                            ; =>This Inner Loop Header: Depth=1
	s_waitcnt lgkmcnt(0)
	s_min_u32 s26, s39, s29
	v_pk_mov_b32 v[18:19], v[2:3], v[2:3] op_sel:[0,1]
	s_lshl_b32 s26, -1, s26
	s_not_b32 s40, s26
	v_lshrrev_b64 v[0:1], s28, v[18:19]
	v_and_b32_e32 v0, s40, v0
	v_lshl_add_u32 v1, v0, 2, v26
	v_pk_mov_b32 v[16:17], v[20:21], v[20:21] op_sel:[0,1]
	v_lshl_add_u32 v20, v1, 2, 16
	v_and_b32_e32 v1, 1, v0
	v_add_co_u32_e32 v2, vcc, -1, v1
	v_addc_co_u32_e64 v3, s[26:27], 0, -1, vcc
	v_cmp_ne_u32_e32 vcc, 0, v1
	v_lshlrev_b32_e32 v9, 30, v0
	v_xor_b32_e32 v1, vcc_hi, v3
	v_not_b32_e32 v3, v9
	v_xor_b32_e32 v2, vcc_lo, v2
	v_cmp_gt_i64_e32 vcc, 0, v[8:9]
	v_ashrrev_i32_e32 v3, 31, v3
	v_and_b32_e32 v1, exec_hi, v1
	v_xor_b32_e32 v9, vcc_hi, v3
	v_and_b32_e32 v2, exec_lo, v2
	v_xor_b32_e32 v3, vcc_lo, v3
	v_and_b32_e32 v1, v1, v9
	v_lshlrev_b32_e32 v9, 29, v0
	v_and_b32_e32 v2, v2, v3
	v_not_b32_e32 v3, v9
	v_cmp_gt_i64_e32 vcc, 0, v[8:9]
	v_ashrrev_i32_e32 v3, 31, v3
	v_xor_b32_e32 v9, vcc_hi, v3
	v_xor_b32_e32 v3, vcc_lo, v3
	v_and_b32_e32 v1, v1, v9
	v_lshlrev_b32_e32 v9, 28, v0
	v_and_b32_e32 v2, v2, v3
	v_not_b32_e32 v3, v9
	v_cmp_gt_i64_e32 vcc, 0, v[8:9]
	v_ashrrev_i32_e32 v3, 31, v3
	v_xor_b32_e32 v9, vcc_hi, v3
	;; [unrolled: 8-line block ×5, first 2 shown]
	v_and_b32_e32 v1, v1, v9
	v_lshlrev_b32_e32 v9, 24, v0
	v_not_b32_e32 v0, v9
	v_xor_b32_e32 v3, vcc_lo, v3
	v_cmp_gt_i64_e32 vcc, 0, v[8:9]
	v_ashrrev_i32_e32 v0, 31, v0
	v_and_b32_e32 v2, v2, v3
	v_xor_b32_e32 v3, vcc_hi, v0
	v_xor_b32_e32 v0, vcc_lo, v0
	v_and_b32_e32 v0, v2, v0
	v_and_b32_e32 v1, v1, v3
	v_mbcnt_lo_u32_b32 v2, v0, 0
	v_mbcnt_hi_u32_b32 v21, v1, v2
	v_cmp_eq_u32_e32 vcc, 0, v21
	v_cmp_ne_u64_e64 s[26:27], 0, v[0:1]
	v_pk_mov_b32 v[12:13], v[24:25], v[24:25] op_sel:[0,1]
	v_pk_mov_b32 v[14:15], v[22:23], v[22:23] op_sel:[0,1]
	s_and_b64 s[42:43], s[26:27], vcc
	ds_write2_b64 v11, v[4:5], v[6:7] offset0:2 offset1:3
	s_waitcnt lgkmcnt(0)
	s_barrier
	s_waitcnt lgkmcnt(0)
	; wave barrier
	s_and_saveexec_b64 s[26:27], s[42:43]
	s_cbranch_execz .LBB2311_16
; %bb.15:                               ;   in Loop: Header=BB2311_14 Depth=1
	v_bcnt_u32_b32 v0, v0, 0
	v_bcnt_u32_b32 v0, v1, v0
	ds_write_b32 v20, v0
.LBB2311_16:                            ;   in Loop: Header=BB2311_14 Depth=1
	s_or_b64 exec, exec, s[26:27]
	v_lshrrev_b64 v[0:1], s28, v[16:17]
	v_and_b32_e32 v0, s40, v0
	v_lshlrev_b32_e32 v1, 2, v0
	v_add_lshl_u32 v1, v1, v26, 2
	; wave barrier
	v_add_u32_e32 v23, 16, v1
	ds_read_b32 v22, v1 offset:16
	v_and_b32_e32 v1, 1, v0
	v_add_co_u32_e32 v2, vcc, -1, v1
	v_addc_co_u32_e64 v3, s[26:27], 0, -1, vcc
	v_cmp_ne_u32_e32 vcc, 0, v1
	v_lshlrev_b32_e32 v9, 30, v0
	v_xor_b32_e32 v1, vcc_hi, v3
	v_not_b32_e32 v3, v9
	v_xor_b32_e32 v2, vcc_lo, v2
	v_cmp_gt_i64_e32 vcc, 0, v[8:9]
	v_ashrrev_i32_e32 v3, 31, v3
	v_and_b32_e32 v1, exec_hi, v1
	v_xor_b32_e32 v9, vcc_hi, v3
	v_and_b32_e32 v2, exec_lo, v2
	v_xor_b32_e32 v3, vcc_lo, v3
	v_and_b32_e32 v1, v1, v9
	v_lshlrev_b32_e32 v9, 29, v0
	v_and_b32_e32 v2, v2, v3
	v_not_b32_e32 v3, v9
	v_cmp_gt_i64_e32 vcc, 0, v[8:9]
	v_ashrrev_i32_e32 v3, 31, v3
	v_xor_b32_e32 v9, vcc_hi, v3
	v_xor_b32_e32 v3, vcc_lo, v3
	v_and_b32_e32 v1, v1, v9
	v_lshlrev_b32_e32 v9, 28, v0
	v_and_b32_e32 v2, v2, v3
	v_not_b32_e32 v3, v9
	v_cmp_gt_i64_e32 vcc, 0, v[8:9]
	v_ashrrev_i32_e32 v3, 31, v3
	v_xor_b32_e32 v9, vcc_hi, v3
	;; [unrolled: 8-line block ×5, first 2 shown]
	v_and_b32_e32 v1, v1, v9
	v_lshlrev_b32_e32 v9, 24, v0
	v_not_b32_e32 v0, v9
	v_xor_b32_e32 v3, vcc_lo, v3
	v_cmp_gt_i64_e32 vcc, 0, v[8:9]
	v_ashrrev_i32_e32 v0, 31, v0
	v_and_b32_e32 v2, v2, v3
	v_xor_b32_e32 v3, vcc_hi, v0
	v_xor_b32_e32 v0, vcc_lo, v0
	v_and_b32_e32 v0, v2, v0
	v_and_b32_e32 v1, v1, v3
	v_mbcnt_lo_u32_b32 v2, v0, 0
	v_mbcnt_hi_u32_b32 v24, v1, v2
	v_cmp_eq_u32_e32 vcc, 0, v24
	v_cmp_ne_u64_e64 s[26:27], 0, v[0:1]
	s_and_b64 s[42:43], s[26:27], vcc
	; wave barrier
	s_and_saveexec_b64 s[26:27], s[42:43]
	s_cbranch_execz .LBB2311_18
; %bb.17:                               ;   in Loop: Header=BB2311_14 Depth=1
	v_bcnt_u32_b32 v0, v0, 0
	v_bcnt_u32_b32 v0, v1, v0
	s_waitcnt lgkmcnt(0)
	v_add_u32_e32 v0, v22, v0
	ds_write_b32 v23, v0
.LBB2311_18:                            ;   in Loop: Header=BB2311_14 Depth=1
	s_or_b64 exec, exec, s[26:27]
	v_lshrrev_b64 v[0:1], s28, v[14:15]
	v_and_b32_e32 v0, s40, v0
	v_lshlrev_b32_e32 v1, 2, v0
	v_add_lshl_u32 v1, v1, v26, 2
	; wave barrier
	v_add_u32_e32 v35, 16, v1
	ds_read_b32 v25, v1 offset:16
	v_and_b32_e32 v1, 1, v0
	v_add_co_u32_e32 v2, vcc, -1, v1
	v_addc_co_u32_e64 v3, s[26:27], 0, -1, vcc
	v_cmp_ne_u32_e32 vcc, 0, v1
	v_lshlrev_b32_e32 v9, 30, v0
	v_xor_b32_e32 v1, vcc_hi, v3
	v_not_b32_e32 v3, v9
	v_xor_b32_e32 v2, vcc_lo, v2
	v_cmp_gt_i64_e32 vcc, 0, v[8:9]
	v_ashrrev_i32_e32 v3, 31, v3
	v_and_b32_e32 v1, exec_hi, v1
	v_xor_b32_e32 v9, vcc_hi, v3
	v_and_b32_e32 v2, exec_lo, v2
	v_xor_b32_e32 v3, vcc_lo, v3
	v_and_b32_e32 v1, v1, v9
	v_lshlrev_b32_e32 v9, 29, v0
	v_and_b32_e32 v2, v2, v3
	v_not_b32_e32 v3, v9
	v_cmp_gt_i64_e32 vcc, 0, v[8:9]
	v_ashrrev_i32_e32 v3, 31, v3
	v_xor_b32_e32 v9, vcc_hi, v3
	v_xor_b32_e32 v3, vcc_lo, v3
	v_and_b32_e32 v1, v1, v9
	v_lshlrev_b32_e32 v9, 28, v0
	v_and_b32_e32 v2, v2, v3
	v_not_b32_e32 v3, v9
	v_cmp_gt_i64_e32 vcc, 0, v[8:9]
	v_ashrrev_i32_e32 v3, 31, v3
	v_xor_b32_e32 v9, vcc_hi, v3
	;; [unrolled: 8-line block ×5, first 2 shown]
	v_and_b32_e32 v1, v1, v9
	v_lshlrev_b32_e32 v9, 24, v0
	v_not_b32_e32 v0, v9
	v_xor_b32_e32 v3, vcc_lo, v3
	v_cmp_gt_i64_e32 vcc, 0, v[8:9]
	v_ashrrev_i32_e32 v0, 31, v0
	v_and_b32_e32 v2, v2, v3
	v_xor_b32_e32 v3, vcc_hi, v0
	v_xor_b32_e32 v0, vcc_lo, v0
	v_and_b32_e32 v0, v2, v0
	v_and_b32_e32 v1, v1, v3
	v_mbcnt_lo_u32_b32 v2, v0, 0
	v_mbcnt_hi_u32_b32 v36, v1, v2
	v_cmp_eq_u32_e32 vcc, 0, v36
	v_cmp_ne_u64_e64 s[26:27], 0, v[0:1]
	s_and_b64 s[42:43], s[26:27], vcc
	; wave barrier
	s_and_saveexec_b64 s[26:27], s[42:43]
	s_cbranch_execz .LBB2311_20
; %bb.19:                               ;   in Loop: Header=BB2311_14 Depth=1
	v_bcnt_u32_b32 v0, v0, 0
	v_bcnt_u32_b32 v0, v1, v0
	s_waitcnt lgkmcnt(0)
	v_add_u32_e32 v0, v25, v0
	ds_write_b32 v35, v0
.LBB2311_20:                            ;   in Loop: Header=BB2311_14 Depth=1
	s_or_b64 exec, exec, s[26:27]
	v_lshrrev_b64 v[0:1], s28, v[12:13]
	v_and_b32_e32 v0, s40, v0
	v_lshlrev_b32_e32 v1, 2, v0
	v_add_lshl_u32 v1, v1, v26, 2
	; wave barrier
	v_add_u32_e32 v38, 16, v1
	ds_read_b32 v37, v1 offset:16
	v_and_b32_e32 v1, 1, v0
	v_add_co_u32_e32 v2, vcc, -1, v1
	v_addc_co_u32_e64 v3, s[26:27], 0, -1, vcc
	v_cmp_ne_u32_e32 vcc, 0, v1
	v_lshlrev_b32_e32 v9, 30, v0
	v_xor_b32_e32 v1, vcc_hi, v3
	v_not_b32_e32 v3, v9
	v_xor_b32_e32 v2, vcc_lo, v2
	v_cmp_gt_i64_e32 vcc, 0, v[8:9]
	v_ashrrev_i32_e32 v3, 31, v3
	v_and_b32_e32 v1, exec_hi, v1
	v_xor_b32_e32 v9, vcc_hi, v3
	v_and_b32_e32 v2, exec_lo, v2
	v_xor_b32_e32 v3, vcc_lo, v3
	v_and_b32_e32 v1, v1, v9
	v_lshlrev_b32_e32 v9, 29, v0
	v_and_b32_e32 v2, v2, v3
	v_not_b32_e32 v3, v9
	v_cmp_gt_i64_e32 vcc, 0, v[8:9]
	v_ashrrev_i32_e32 v3, 31, v3
	v_xor_b32_e32 v9, vcc_hi, v3
	v_xor_b32_e32 v3, vcc_lo, v3
	v_and_b32_e32 v1, v1, v9
	v_lshlrev_b32_e32 v9, 28, v0
	v_and_b32_e32 v2, v2, v3
	v_not_b32_e32 v3, v9
	v_cmp_gt_i64_e32 vcc, 0, v[8:9]
	v_ashrrev_i32_e32 v3, 31, v3
	v_xor_b32_e32 v9, vcc_hi, v3
	;; [unrolled: 8-line block ×5, first 2 shown]
	v_and_b32_e32 v1, v1, v9
	v_lshlrev_b32_e32 v9, 24, v0
	v_not_b32_e32 v0, v9
	v_xor_b32_e32 v3, vcc_lo, v3
	v_cmp_gt_i64_e32 vcc, 0, v[8:9]
	v_ashrrev_i32_e32 v0, 31, v0
	v_and_b32_e32 v2, v2, v3
	v_xor_b32_e32 v3, vcc_hi, v0
	v_xor_b32_e32 v0, vcc_lo, v0
	v_and_b32_e32 v0, v2, v0
	v_and_b32_e32 v1, v1, v3
	v_mbcnt_lo_u32_b32 v2, v0, 0
	v_mbcnt_hi_u32_b32 v9, v1, v2
	v_cmp_eq_u32_e32 vcc, 0, v9
	v_cmp_ne_u64_e64 s[26:27], 0, v[0:1]
	s_and_b64 s[40:41], s[26:27], vcc
	; wave barrier
	s_and_saveexec_b64 s[26:27], s[40:41]
	s_cbranch_execz .LBB2311_22
; %bb.21:                               ;   in Loop: Header=BB2311_14 Depth=1
	v_bcnt_u32_b32 v0, v0, 0
	v_bcnt_u32_b32 v0, v1, v0
	s_waitcnt lgkmcnt(0)
	v_add_u32_e32 v0, v37, v0
	ds_write_b32 v38, v0
.LBB2311_22:                            ;   in Loop: Header=BB2311_14 Depth=1
	s_or_b64 exec, exec, s[26:27]
	; wave barrier
	s_waitcnt lgkmcnt(0)
	s_barrier
	ds_read2_b64 v[0:3], v11 offset0:2 offset1:3
	s_waitcnt lgkmcnt(0)
	v_add_u32_e32 v39, v1, v0
	v_add3_u32 v3, v39, v2, v3
	s_nop 1
	v_mov_b32_dpp v39, v3 row_shr:1 row_mask:0xf bank_mask:0xf
	v_cndmask_b32_e64 v39, v39, 0, s[0:1]
	v_add_u32_e32 v3, v39, v3
	s_nop 1
	v_mov_b32_dpp v39, v3 row_shr:2 row_mask:0xf bank_mask:0xf
	v_cndmask_b32_e64 v39, 0, v39, s[2:3]
	v_add_u32_e32 v3, v3, v39
	;; [unrolled: 4-line block ×4, first 2 shown]
	s_nop 1
	v_mov_b32_dpp v39, v3 row_bcast:15 row_mask:0xf bank_mask:0xf
	v_cndmask_b32_e64 v39, v39, 0, s[8:9]
	v_add_u32_e32 v3, v3, v39
	s_nop 1
	v_mov_b32_dpp v39, v3 row_bcast:31 row_mask:0xf bank_mask:0xf
	v_cndmask_b32_e64 v39, 0, v39, s[10:11]
	v_add_u32_e32 v3, v3, v39
	s_and_saveexec_b64 s[26:27], s[12:13]
	s_cbranch_execz .LBB2311_24
; %bb.23:                               ;   in Loop: Header=BB2311_14 Depth=1
	ds_write_b32 v28, v3
.LBB2311_24:                            ;   in Loop: Header=BB2311_14 Depth=1
	s_or_b64 exec, exec, s[26:27]
	s_waitcnt lgkmcnt(0)
	s_barrier
	s_and_saveexec_b64 s[26:27], s[14:15]
	s_cbranch_execz .LBB2311_26
; %bb.25:                               ;   in Loop: Header=BB2311_14 Depth=1
	ds_read_b32 v39, v34
	s_waitcnt lgkmcnt(0)
	s_nop 0
	v_mov_b32_dpp v40, v39 row_shr:1 row_mask:0xf bank_mask:0xf
	v_cndmask_b32_e64 v40, v40, 0, s[22:23]
	v_add_u32_e32 v39, v40, v39
	s_nop 1
	v_mov_b32_dpp v40, v39 row_shr:2 row_mask:0xf bank_mask:0xf
	v_cndmask_b32_e64 v40, 0, v40, s[24:25]
	v_add_u32_e32 v39, v39, v40
	ds_write_b32 v34, v39
.LBB2311_26:                            ;   in Loop: Header=BB2311_14 Depth=1
	s_or_b64 exec, exec, s[26:27]
	v_mov_b32_e32 v39, 0
	s_waitcnt lgkmcnt(0)
	s_barrier
	s_and_saveexec_b64 s[26:27], s[16:17]
	s_cbranch_execz .LBB2311_28
; %bb.27:                               ;   in Loop: Header=BB2311_14 Depth=1
	ds_read_b32 v39, v29
.LBB2311_28:                            ;   in Loop: Header=BB2311_14 Depth=1
	s_or_b64 exec, exec, s[26:27]
	s_waitcnt lgkmcnt(0)
	v_add_u32_e32 v3, v39, v3
	ds_bpermute_b32 v3, v27, v3
	s_add_i32 s28, s28, 8
	s_cmp_ge_u32 s28, s38
	s_waitcnt lgkmcnt(0)
	v_cndmask_b32_e64 v3, v3, v39, s[18:19]
	v_cndmask_b32_e64 v40, v3, 0, s[20:21]
	v_add_u32_e32 v41, v40, v0
	v_add_u32_e32 v0, v41, v1
	;; [unrolled: 1-line block ×3, first 2 shown]
	ds_write2_b64 v11, v[40:41], v[0:1] offset0:2 offset1:3
	s_waitcnt lgkmcnt(0)
	s_barrier
	ds_read_b32 v0, v20
	ds_read_b32 v1, v23
	;; [unrolled: 1-line block ×4, first 2 shown]
	v_lshlrev_b32_e32 v20, 3, v21
	s_waitcnt lgkmcnt(3)
	v_lshl_add_u32 v0, v0, 3, v20
	v_lshlrev_b32_e32 v20, 3, v24
	v_lshlrev_b32_e32 v21, 3, v22
	s_waitcnt lgkmcnt(2)
	v_lshlrev_b32_e32 v1, 3, v1
	v_add3_u32 v1, v20, v21, v1
	v_lshlrev_b32_e32 v20, 3, v36
	v_lshlrev_b32_e32 v21, 3, v25
	s_waitcnt lgkmcnt(1)
	v_lshlrev_b32_e32 v2, 3, v2
	v_add3_u32 v35, v20, v21, v2
	;; [unrolled: 5-line block ×3, first 2 shown]
	s_cbranch_scc0 .LBB2311_13
; %bb.29:
                                        ; implicit-def: $vgpr24_vgpr25
                                        ; implicit-def: $vgpr22_vgpr23
                                        ; implicit-def: $vgpr20_vgpr21
                                        ; implicit-def: $vgpr2_vgpr3
                                        ; implicit-def: $sgpr28
.LBB2311_30:
	v_lshlrev_b32_e32 v11, 3, v10
	s_barrier
	ds_write_b64 v0, v[18:19]
	ds_write_b64 v1, v[16:17]
	;; [unrolled: 1-line block ×4, first 2 shown]
	s_waitcnt lgkmcnt(0)
	s_barrier
	ds_read2st64_b64 v[4:7], v11 offset1:4
	ds_read2st64_b64 v[0:3], v11 offset0:8 offset1:12
	s_add_u32 s0, s30, s36
	s_addc_u32 s1, s31, s37
	s_andn2_b64 vcc, exec, s[34:35]
	s_waitcnt lgkmcnt(1)
	v_xor_b32_e32 v9, 0x7fffffff, v5
	v_xor_b32_e32 v8, -1, v4
	s_waitcnt lgkmcnt(0)
	v_xor_b32_e32 v5, 0x7fffffff, v1
	v_xor_b32_e32 v4, -1, v0
	v_mov_b32_e32 v1, s1
	v_add_co_u32_e64 v0, s[0:1], s0, v11
	v_xor_b32_e32 v7, 0x7fffffff, v7
	v_xor_b32_e32 v6, -1, v6
	v_addc_co_u32_e64 v1, s[0:1], 0, v1, s[0:1]
	s_cbranch_vccnz .LBB2311_32
; %bb.31:
	v_add_co_u32_e32 v12, vcc, 0x1000, v0
	v_addc_co_u32_e32 v13, vcc, 0, v1, vcc
	s_mov_b64 s[0:1], -1
	global_store_dwordx2 v[0:1], v[8:9], off
	global_store_dwordx2 v[0:1], v[6:7], off offset:2048
	global_store_dwordx2 v[12:13], v[4:5], off
	s_cbranch_execz .LBB2311_33
	s_branch .LBB2311_40
.LBB2311_32:
	s_mov_b64 s[0:1], 0
.LBB2311_33:
	v_cmp_gt_u32_e32 vcc, s33, v10
	s_and_saveexec_b64 s[0:1], vcc
	s_cbranch_execz .LBB2311_35
; %bb.34:
	global_store_dwordx2 v[0:1], v[8:9], off
.LBB2311_35:
	s_or_b64 exec, exec, s[0:1]
	v_add_u32_e32 v8, 0x100, v10
	v_cmp_gt_u32_e32 vcc, s33, v8
	s_and_saveexec_b64 s[0:1], vcc
	s_cbranch_execz .LBB2311_37
; %bb.36:
	global_store_dwordx2 v[0:1], v[6:7], off offset:2048
.LBB2311_37:
	s_or_b64 exec, exec, s[0:1]
	v_add_u32_e32 v6, 0x200, v10
	v_cmp_gt_u32_e32 vcc, s33, v6
	s_and_saveexec_b64 s[0:1], vcc
	s_cbranch_execz .LBB2311_39
; %bb.38:
	v_add_co_u32_e32 v6, vcc, 0x1000, v0
	v_addc_co_u32_e32 v7, vcc, 0, v1, vcc
	global_store_dwordx2 v[6:7], v[4:5], off
.LBB2311_39:
	s_or_b64 exec, exec, s[0:1]
	v_add_u32_e32 v4, 0x300, v10
	v_cmp_gt_u32_e64 s[0:1], s33, v4
.LBB2311_40:
	s_and_saveexec_b64 s[2:3], s[0:1]
	s_cbranch_execnz .LBB2311_42
; %bb.41:
	s_endpgm
.LBB2311_42:
	v_add_co_u32_e32 v0, vcc, 0x1000, v0
	v_xor_b32_e32 v3, 0x7fffffff, v3
	v_not_b32_e32 v2, v2
	v_addc_co_u32_e32 v1, vcc, 0, v1, vcc
	global_store_dwordx2 v[0:1], v[2:3], off offset:2048
	s_endpgm
	.section	.rodata,"a",@progbits
	.p2align	6, 0x0
	.amdhsa_kernel _ZN7rocprim17ROCPRIM_400000_NS6detail17trampoline_kernelINS0_13kernel_configILj256ELj4ELj4294967295EEENS1_37radix_sort_block_sort_config_selectorIxNS0_10empty_typeEEEZNS1_21radix_sort_block_sortIS4_Lb1EPxS9_PS6_SA_NS0_19identity_decomposerEEE10hipError_tT1_T2_T3_T4_jRjT5_jjP12ihipStream_tbEUlT_E_NS1_11comp_targetILNS1_3genE4ELNS1_11target_archE910ELNS1_3gpuE8ELNS1_3repE0EEENS1_44radix_sort_block_sort_config_static_selectorELNS0_4arch9wavefront6targetE1EEEvSD_
		.amdhsa_group_segment_fixed_size 8192
		.amdhsa_private_segment_fixed_size 0
		.amdhsa_kernarg_size 304
		.amdhsa_user_sgpr_count 6
		.amdhsa_user_sgpr_private_segment_buffer 1
		.amdhsa_user_sgpr_dispatch_ptr 0
		.amdhsa_user_sgpr_queue_ptr 0
		.amdhsa_user_sgpr_kernarg_segment_ptr 1
		.amdhsa_user_sgpr_dispatch_id 0
		.amdhsa_user_sgpr_flat_scratch_init 0
		.amdhsa_user_sgpr_kernarg_preload_length 0
		.amdhsa_user_sgpr_kernarg_preload_offset 0
		.amdhsa_user_sgpr_private_segment_size 0
		.amdhsa_uses_dynamic_stack 0
		.amdhsa_system_sgpr_private_segment_wavefront_offset 0
		.amdhsa_system_sgpr_workgroup_id_x 1
		.amdhsa_system_sgpr_workgroup_id_y 0
		.amdhsa_system_sgpr_workgroup_id_z 0
		.amdhsa_system_sgpr_workgroup_info 0
		.amdhsa_system_vgpr_workitem_id 2
		.amdhsa_next_free_vgpr 42
		.amdhsa_next_free_sgpr 44
		.amdhsa_accum_offset 44
		.amdhsa_reserve_vcc 1
		.amdhsa_reserve_flat_scratch 0
		.amdhsa_float_round_mode_32 0
		.amdhsa_float_round_mode_16_64 0
		.amdhsa_float_denorm_mode_32 3
		.amdhsa_float_denorm_mode_16_64 3
		.amdhsa_dx10_clamp 1
		.amdhsa_ieee_mode 1
		.amdhsa_fp16_overflow 0
		.amdhsa_tg_split 0
		.amdhsa_exception_fp_ieee_invalid_op 0
		.amdhsa_exception_fp_denorm_src 0
		.amdhsa_exception_fp_ieee_div_zero 0
		.amdhsa_exception_fp_ieee_overflow 0
		.amdhsa_exception_fp_ieee_underflow 0
		.amdhsa_exception_fp_ieee_inexact 0
		.amdhsa_exception_int_div_zero 0
	.end_amdhsa_kernel
	.section	.text._ZN7rocprim17ROCPRIM_400000_NS6detail17trampoline_kernelINS0_13kernel_configILj256ELj4ELj4294967295EEENS1_37radix_sort_block_sort_config_selectorIxNS0_10empty_typeEEEZNS1_21radix_sort_block_sortIS4_Lb1EPxS9_PS6_SA_NS0_19identity_decomposerEEE10hipError_tT1_T2_T3_T4_jRjT5_jjP12ihipStream_tbEUlT_E_NS1_11comp_targetILNS1_3genE4ELNS1_11target_archE910ELNS1_3gpuE8ELNS1_3repE0EEENS1_44radix_sort_block_sort_config_static_selectorELNS0_4arch9wavefront6targetE1EEEvSD_,"axG",@progbits,_ZN7rocprim17ROCPRIM_400000_NS6detail17trampoline_kernelINS0_13kernel_configILj256ELj4ELj4294967295EEENS1_37radix_sort_block_sort_config_selectorIxNS0_10empty_typeEEEZNS1_21radix_sort_block_sortIS4_Lb1EPxS9_PS6_SA_NS0_19identity_decomposerEEE10hipError_tT1_T2_T3_T4_jRjT5_jjP12ihipStream_tbEUlT_E_NS1_11comp_targetILNS1_3genE4ELNS1_11target_archE910ELNS1_3gpuE8ELNS1_3repE0EEENS1_44radix_sort_block_sort_config_static_selectorELNS0_4arch9wavefront6targetE1EEEvSD_,comdat
.Lfunc_end2311:
	.size	_ZN7rocprim17ROCPRIM_400000_NS6detail17trampoline_kernelINS0_13kernel_configILj256ELj4ELj4294967295EEENS1_37radix_sort_block_sort_config_selectorIxNS0_10empty_typeEEEZNS1_21radix_sort_block_sortIS4_Lb1EPxS9_PS6_SA_NS0_19identity_decomposerEEE10hipError_tT1_T2_T3_T4_jRjT5_jjP12ihipStream_tbEUlT_E_NS1_11comp_targetILNS1_3genE4ELNS1_11target_archE910ELNS1_3gpuE8ELNS1_3repE0EEENS1_44radix_sort_block_sort_config_static_selectorELNS0_4arch9wavefront6targetE1EEEvSD_, .Lfunc_end2311-_ZN7rocprim17ROCPRIM_400000_NS6detail17trampoline_kernelINS0_13kernel_configILj256ELj4ELj4294967295EEENS1_37radix_sort_block_sort_config_selectorIxNS0_10empty_typeEEEZNS1_21radix_sort_block_sortIS4_Lb1EPxS9_PS6_SA_NS0_19identity_decomposerEEE10hipError_tT1_T2_T3_T4_jRjT5_jjP12ihipStream_tbEUlT_E_NS1_11comp_targetILNS1_3genE4ELNS1_11target_archE910ELNS1_3gpuE8ELNS1_3repE0EEENS1_44radix_sort_block_sort_config_static_selectorELNS0_4arch9wavefront6targetE1EEEvSD_
                                        ; -- End function
	.section	.AMDGPU.csdata,"",@progbits
; Kernel info:
; codeLenInByte = 3316
; NumSgprs: 48
; NumVgprs: 42
; NumAgprs: 0
; TotalNumVgprs: 42
; ScratchSize: 0
; MemoryBound: 1
; FloatMode: 240
; IeeeMode: 1
; LDSByteSize: 8192 bytes/workgroup (compile time only)
; SGPRBlocks: 5
; VGPRBlocks: 5
; NumSGPRsForWavesPerEU: 48
; NumVGPRsForWavesPerEU: 42
; AccumOffset: 44
; Occupancy: 8
; WaveLimiterHint : 1
; COMPUTE_PGM_RSRC2:SCRATCH_EN: 0
; COMPUTE_PGM_RSRC2:USER_SGPR: 6
; COMPUTE_PGM_RSRC2:TRAP_HANDLER: 0
; COMPUTE_PGM_RSRC2:TGID_X_EN: 1
; COMPUTE_PGM_RSRC2:TGID_Y_EN: 0
; COMPUTE_PGM_RSRC2:TGID_Z_EN: 0
; COMPUTE_PGM_RSRC2:TIDIG_COMP_CNT: 2
; COMPUTE_PGM_RSRC3_GFX90A:ACCUM_OFFSET: 10
; COMPUTE_PGM_RSRC3_GFX90A:TG_SPLIT: 0
	.section	.text._ZN7rocprim17ROCPRIM_400000_NS6detail17trampoline_kernelINS0_13kernel_configILj256ELj4ELj4294967295EEENS1_37radix_sort_block_sort_config_selectorIxNS0_10empty_typeEEEZNS1_21radix_sort_block_sortIS4_Lb1EPxS9_PS6_SA_NS0_19identity_decomposerEEE10hipError_tT1_T2_T3_T4_jRjT5_jjP12ihipStream_tbEUlT_E_NS1_11comp_targetILNS1_3genE3ELNS1_11target_archE908ELNS1_3gpuE7ELNS1_3repE0EEENS1_44radix_sort_block_sort_config_static_selectorELNS0_4arch9wavefront6targetE1EEEvSD_,"axG",@progbits,_ZN7rocprim17ROCPRIM_400000_NS6detail17trampoline_kernelINS0_13kernel_configILj256ELj4ELj4294967295EEENS1_37radix_sort_block_sort_config_selectorIxNS0_10empty_typeEEEZNS1_21radix_sort_block_sortIS4_Lb1EPxS9_PS6_SA_NS0_19identity_decomposerEEE10hipError_tT1_T2_T3_T4_jRjT5_jjP12ihipStream_tbEUlT_E_NS1_11comp_targetILNS1_3genE3ELNS1_11target_archE908ELNS1_3gpuE7ELNS1_3repE0EEENS1_44radix_sort_block_sort_config_static_selectorELNS0_4arch9wavefront6targetE1EEEvSD_,comdat
	.protected	_ZN7rocprim17ROCPRIM_400000_NS6detail17trampoline_kernelINS0_13kernel_configILj256ELj4ELj4294967295EEENS1_37radix_sort_block_sort_config_selectorIxNS0_10empty_typeEEEZNS1_21radix_sort_block_sortIS4_Lb1EPxS9_PS6_SA_NS0_19identity_decomposerEEE10hipError_tT1_T2_T3_T4_jRjT5_jjP12ihipStream_tbEUlT_E_NS1_11comp_targetILNS1_3genE3ELNS1_11target_archE908ELNS1_3gpuE7ELNS1_3repE0EEENS1_44radix_sort_block_sort_config_static_selectorELNS0_4arch9wavefront6targetE1EEEvSD_ ; -- Begin function _ZN7rocprim17ROCPRIM_400000_NS6detail17trampoline_kernelINS0_13kernel_configILj256ELj4ELj4294967295EEENS1_37radix_sort_block_sort_config_selectorIxNS0_10empty_typeEEEZNS1_21radix_sort_block_sortIS4_Lb1EPxS9_PS6_SA_NS0_19identity_decomposerEEE10hipError_tT1_T2_T3_T4_jRjT5_jjP12ihipStream_tbEUlT_E_NS1_11comp_targetILNS1_3genE3ELNS1_11target_archE908ELNS1_3gpuE7ELNS1_3repE0EEENS1_44radix_sort_block_sort_config_static_selectorELNS0_4arch9wavefront6targetE1EEEvSD_
	.globl	_ZN7rocprim17ROCPRIM_400000_NS6detail17trampoline_kernelINS0_13kernel_configILj256ELj4ELj4294967295EEENS1_37radix_sort_block_sort_config_selectorIxNS0_10empty_typeEEEZNS1_21radix_sort_block_sortIS4_Lb1EPxS9_PS6_SA_NS0_19identity_decomposerEEE10hipError_tT1_T2_T3_T4_jRjT5_jjP12ihipStream_tbEUlT_E_NS1_11comp_targetILNS1_3genE3ELNS1_11target_archE908ELNS1_3gpuE7ELNS1_3repE0EEENS1_44radix_sort_block_sort_config_static_selectorELNS0_4arch9wavefront6targetE1EEEvSD_
	.p2align	8
	.type	_ZN7rocprim17ROCPRIM_400000_NS6detail17trampoline_kernelINS0_13kernel_configILj256ELj4ELj4294967295EEENS1_37radix_sort_block_sort_config_selectorIxNS0_10empty_typeEEEZNS1_21radix_sort_block_sortIS4_Lb1EPxS9_PS6_SA_NS0_19identity_decomposerEEE10hipError_tT1_T2_T3_T4_jRjT5_jjP12ihipStream_tbEUlT_E_NS1_11comp_targetILNS1_3genE3ELNS1_11target_archE908ELNS1_3gpuE7ELNS1_3repE0EEENS1_44radix_sort_block_sort_config_static_selectorELNS0_4arch9wavefront6targetE1EEEvSD_,@function
_ZN7rocprim17ROCPRIM_400000_NS6detail17trampoline_kernelINS0_13kernel_configILj256ELj4ELj4294967295EEENS1_37radix_sort_block_sort_config_selectorIxNS0_10empty_typeEEEZNS1_21radix_sort_block_sortIS4_Lb1EPxS9_PS6_SA_NS0_19identity_decomposerEEE10hipError_tT1_T2_T3_T4_jRjT5_jjP12ihipStream_tbEUlT_E_NS1_11comp_targetILNS1_3genE3ELNS1_11target_archE908ELNS1_3gpuE7ELNS1_3repE0EEENS1_44radix_sort_block_sort_config_static_selectorELNS0_4arch9wavefront6targetE1EEEvSD_: ; @_ZN7rocprim17ROCPRIM_400000_NS6detail17trampoline_kernelINS0_13kernel_configILj256ELj4ELj4294967295EEENS1_37radix_sort_block_sort_config_selectorIxNS0_10empty_typeEEEZNS1_21radix_sort_block_sortIS4_Lb1EPxS9_PS6_SA_NS0_19identity_decomposerEEE10hipError_tT1_T2_T3_T4_jRjT5_jjP12ihipStream_tbEUlT_E_NS1_11comp_targetILNS1_3genE3ELNS1_11target_archE908ELNS1_3gpuE7ELNS1_3repE0EEENS1_44radix_sort_block_sort_config_static_selectorELNS0_4arch9wavefront6targetE1EEEvSD_
; %bb.0:
	.section	.rodata,"a",@progbits
	.p2align	6, 0x0
	.amdhsa_kernel _ZN7rocprim17ROCPRIM_400000_NS6detail17trampoline_kernelINS0_13kernel_configILj256ELj4ELj4294967295EEENS1_37radix_sort_block_sort_config_selectorIxNS0_10empty_typeEEEZNS1_21radix_sort_block_sortIS4_Lb1EPxS9_PS6_SA_NS0_19identity_decomposerEEE10hipError_tT1_T2_T3_T4_jRjT5_jjP12ihipStream_tbEUlT_E_NS1_11comp_targetILNS1_3genE3ELNS1_11target_archE908ELNS1_3gpuE7ELNS1_3repE0EEENS1_44radix_sort_block_sort_config_static_selectorELNS0_4arch9wavefront6targetE1EEEvSD_
		.amdhsa_group_segment_fixed_size 0
		.amdhsa_private_segment_fixed_size 0
		.amdhsa_kernarg_size 48
		.amdhsa_user_sgpr_count 6
		.amdhsa_user_sgpr_private_segment_buffer 1
		.amdhsa_user_sgpr_dispatch_ptr 0
		.amdhsa_user_sgpr_queue_ptr 0
		.amdhsa_user_sgpr_kernarg_segment_ptr 1
		.amdhsa_user_sgpr_dispatch_id 0
		.amdhsa_user_sgpr_flat_scratch_init 0
		.amdhsa_user_sgpr_kernarg_preload_length 0
		.amdhsa_user_sgpr_kernarg_preload_offset 0
		.amdhsa_user_sgpr_private_segment_size 0
		.amdhsa_uses_dynamic_stack 0
		.amdhsa_system_sgpr_private_segment_wavefront_offset 0
		.amdhsa_system_sgpr_workgroup_id_x 1
		.amdhsa_system_sgpr_workgroup_id_y 0
		.amdhsa_system_sgpr_workgroup_id_z 0
		.amdhsa_system_sgpr_workgroup_info 0
		.amdhsa_system_vgpr_workitem_id 0
		.amdhsa_next_free_vgpr 1
		.amdhsa_next_free_sgpr 0
		.amdhsa_accum_offset 4
		.amdhsa_reserve_vcc 0
		.amdhsa_reserve_flat_scratch 0
		.amdhsa_float_round_mode_32 0
		.amdhsa_float_round_mode_16_64 0
		.amdhsa_float_denorm_mode_32 3
		.amdhsa_float_denorm_mode_16_64 3
		.amdhsa_dx10_clamp 1
		.amdhsa_ieee_mode 1
		.amdhsa_fp16_overflow 0
		.amdhsa_tg_split 0
		.amdhsa_exception_fp_ieee_invalid_op 0
		.amdhsa_exception_fp_denorm_src 0
		.amdhsa_exception_fp_ieee_div_zero 0
		.amdhsa_exception_fp_ieee_overflow 0
		.amdhsa_exception_fp_ieee_underflow 0
		.amdhsa_exception_fp_ieee_inexact 0
		.amdhsa_exception_int_div_zero 0
	.end_amdhsa_kernel
	.section	.text._ZN7rocprim17ROCPRIM_400000_NS6detail17trampoline_kernelINS0_13kernel_configILj256ELj4ELj4294967295EEENS1_37radix_sort_block_sort_config_selectorIxNS0_10empty_typeEEEZNS1_21radix_sort_block_sortIS4_Lb1EPxS9_PS6_SA_NS0_19identity_decomposerEEE10hipError_tT1_T2_T3_T4_jRjT5_jjP12ihipStream_tbEUlT_E_NS1_11comp_targetILNS1_3genE3ELNS1_11target_archE908ELNS1_3gpuE7ELNS1_3repE0EEENS1_44radix_sort_block_sort_config_static_selectorELNS0_4arch9wavefront6targetE1EEEvSD_,"axG",@progbits,_ZN7rocprim17ROCPRIM_400000_NS6detail17trampoline_kernelINS0_13kernel_configILj256ELj4ELj4294967295EEENS1_37radix_sort_block_sort_config_selectorIxNS0_10empty_typeEEEZNS1_21radix_sort_block_sortIS4_Lb1EPxS9_PS6_SA_NS0_19identity_decomposerEEE10hipError_tT1_T2_T3_T4_jRjT5_jjP12ihipStream_tbEUlT_E_NS1_11comp_targetILNS1_3genE3ELNS1_11target_archE908ELNS1_3gpuE7ELNS1_3repE0EEENS1_44radix_sort_block_sort_config_static_selectorELNS0_4arch9wavefront6targetE1EEEvSD_,comdat
.Lfunc_end2312:
	.size	_ZN7rocprim17ROCPRIM_400000_NS6detail17trampoline_kernelINS0_13kernel_configILj256ELj4ELj4294967295EEENS1_37radix_sort_block_sort_config_selectorIxNS0_10empty_typeEEEZNS1_21radix_sort_block_sortIS4_Lb1EPxS9_PS6_SA_NS0_19identity_decomposerEEE10hipError_tT1_T2_T3_T4_jRjT5_jjP12ihipStream_tbEUlT_E_NS1_11comp_targetILNS1_3genE3ELNS1_11target_archE908ELNS1_3gpuE7ELNS1_3repE0EEENS1_44radix_sort_block_sort_config_static_selectorELNS0_4arch9wavefront6targetE1EEEvSD_, .Lfunc_end2312-_ZN7rocprim17ROCPRIM_400000_NS6detail17trampoline_kernelINS0_13kernel_configILj256ELj4ELj4294967295EEENS1_37radix_sort_block_sort_config_selectorIxNS0_10empty_typeEEEZNS1_21radix_sort_block_sortIS4_Lb1EPxS9_PS6_SA_NS0_19identity_decomposerEEE10hipError_tT1_T2_T3_T4_jRjT5_jjP12ihipStream_tbEUlT_E_NS1_11comp_targetILNS1_3genE3ELNS1_11target_archE908ELNS1_3gpuE7ELNS1_3repE0EEENS1_44radix_sort_block_sort_config_static_selectorELNS0_4arch9wavefront6targetE1EEEvSD_
                                        ; -- End function
	.section	.AMDGPU.csdata,"",@progbits
; Kernel info:
; codeLenInByte = 0
; NumSgprs: 4
; NumVgprs: 0
; NumAgprs: 0
; TotalNumVgprs: 0
; ScratchSize: 0
; MemoryBound: 0
; FloatMode: 240
; IeeeMode: 1
; LDSByteSize: 0 bytes/workgroup (compile time only)
; SGPRBlocks: 0
; VGPRBlocks: 0
; NumSGPRsForWavesPerEU: 4
; NumVGPRsForWavesPerEU: 1
; AccumOffset: 4
; Occupancy: 8
; WaveLimiterHint : 0
; COMPUTE_PGM_RSRC2:SCRATCH_EN: 0
; COMPUTE_PGM_RSRC2:USER_SGPR: 6
; COMPUTE_PGM_RSRC2:TRAP_HANDLER: 0
; COMPUTE_PGM_RSRC2:TGID_X_EN: 1
; COMPUTE_PGM_RSRC2:TGID_Y_EN: 0
; COMPUTE_PGM_RSRC2:TGID_Z_EN: 0
; COMPUTE_PGM_RSRC2:TIDIG_COMP_CNT: 0
; COMPUTE_PGM_RSRC3_GFX90A:ACCUM_OFFSET: 0
; COMPUTE_PGM_RSRC3_GFX90A:TG_SPLIT: 0
	.section	.text._ZN7rocprim17ROCPRIM_400000_NS6detail17trampoline_kernelINS0_13kernel_configILj256ELj4ELj4294967295EEENS1_37radix_sort_block_sort_config_selectorIxNS0_10empty_typeEEEZNS1_21radix_sort_block_sortIS4_Lb1EPxS9_PS6_SA_NS0_19identity_decomposerEEE10hipError_tT1_T2_T3_T4_jRjT5_jjP12ihipStream_tbEUlT_E_NS1_11comp_targetILNS1_3genE2ELNS1_11target_archE906ELNS1_3gpuE6ELNS1_3repE0EEENS1_44radix_sort_block_sort_config_static_selectorELNS0_4arch9wavefront6targetE1EEEvSD_,"axG",@progbits,_ZN7rocprim17ROCPRIM_400000_NS6detail17trampoline_kernelINS0_13kernel_configILj256ELj4ELj4294967295EEENS1_37radix_sort_block_sort_config_selectorIxNS0_10empty_typeEEEZNS1_21radix_sort_block_sortIS4_Lb1EPxS9_PS6_SA_NS0_19identity_decomposerEEE10hipError_tT1_T2_T3_T4_jRjT5_jjP12ihipStream_tbEUlT_E_NS1_11comp_targetILNS1_3genE2ELNS1_11target_archE906ELNS1_3gpuE6ELNS1_3repE0EEENS1_44radix_sort_block_sort_config_static_selectorELNS0_4arch9wavefront6targetE1EEEvSD_,comdat
	.protected	_ZN7rocprim17ROCPRIM_400000_NS6detail17trampoline_kernelINS0_13kernel_configILj256ELj4ELj4294967295EEENS1_37radix_sort_block_sort_config_selectorIxNS0_10empty_typeEEEZNS1_21radix_sort_block_sortIS4_Lb1EPxS9_PS6_SA_NS0_19identity_decomposerEEE10hipError_tT1_T2_T3_T4_jRjT5_jjP12ihipStream_tbEUlT_E_NS1_11comp_targetILNS1_3genE2ELNS1_11target_archE906ELNS1_3gpuE6ELNS1_3repE0EEENS1_44radix_sort_block_sort_config_static_selectorELNS0_4arch9wavefront6targetE1EEEvSD_ ; -- Begin function _ZN7rocprim17ROCPRIM_400000_NS6detail17trampoline_kernelINS0_13kernel_configILj256ELj4ELj4294967295EEENS1_37radix_sort_block_sort_config_selectorIxNS0_10empty_typeEEEZNS1_21radix_sort_block_sortIS4_Lb1EPxS9_PS6_SA_NS0_19identity_decomposerEEE10hipError_tT1_T2_T3_T4_jRjT5_jjP12ihipStream_tbEUlT_E_NS1_11comp_targetILNS1_3genE2ELNS1_11target_archE906ELNS1_3gpuE6ELNS1_3repE0EEENS1_44radix_sort_block_sort_config_static_selectorELNS0_4arch9wavefront6targetE1EEEvSD_
	.globl	_ZN7rocprim17ROCPRIM_400000_NS6detail17trampoline_kernelINS0_13kernel_configILj256ELj4ELj4294967295EEENS1_37radix_sort_block_sort_config_selectorIxNS0_10empty_typeEEEZNS1_21radix_sort_block_sortIS4_Lb1EPxS9_PS6_SA_NS0_19identity_decomposerEEE10hipError_tT1_T2_T3_T4_jRjT5_jjP12ihipStream_tbEUlT_E_NS1_11comp_targetILNS1_3genE2ELNS1_11target_archE906ELNS1_3gpuE6ELNS1_3repE0EEENS1_44radix_sort_block_sort_config_static_selectorELNS0_4arch9wavefront6targetE1EEEvSD_
	.p2align	8
	.type	_ZN7rocprim17ROCPRIM_400000_NS6detail17trampoline_kernelINS0_13kernel_configILj256ELj4ELj4294967295EEENS1_37radix_sort_block_sort_config_selectorIxNS0_10empty_typeEEEZNS1_21radix_sort_block_sortIS4_Lb1EPxS9_PS6_SA_NS0_19identity_decomposerEEE10hipError_tT1_T2_T3_T4_jRjT5_jjP12ihipStream_tbEUlT_E_NS1_11comp_targetILNS1_3genE2ELNS1_11target_archE906ELNS1_3gpuE6ELNS1_3repE0EEENS1_44radix_sort_block_sort_config_static_selectorELNS0_4arch9wavefront6targetE1EEEvSD_,@function
_ZN7rocprim17ROCPRIM_400000_NS6detail17trampoline_kernelINS0_13kernel_configILj256ELj4ELj4294967295EEENS1_37radix_sort_block_sort_config_selectorIxNS0_10empty_typeEEEZNS1_21radix_sort_block_sortIS4_Lb1EPxS9_PS6_SA_NS0_19identity_decomposerEEE10hipError_tT1_T2_T3_T4_jRjT5_jjP12ihipStream_tbEUlT_E_NS1_11comp_targetILNS1_3genE2ELNS1_11target_archE906ELNS1_3gpuE6ELNS1_3repE0EEENS1_44radix_sort_block_sort_config_static_selectorELNS0_4arch9wavefront6targetE1EEEvSD_: ; @_ZN7rocprim17ROCPRIM_400000_NS6detail17trampoline_kernelINS0_13kernel_configILj256ELj4ELj4294967295EEENS1_37radix_sort_block_sort_config_selectorIxNS0_10empty_typeEEEZNS1_21radix_sort_block_sortIS4_Lb1EPxS9_PS6_SA_NS0_19identity_decomposerEEE10hipError_tT1_T2_T3_T4_jRjT5_jjP12ihipStream_tbEUlT_E_NS1_11comp_targetILNS1_3genE2ELNS1_11target_archE906ELNS1_3gpuE6ELNS1_3repE0EEENS1_44radix_sort_block_sort_config_static_selectorELNS0_4arch9wavefront6targetE1EEEvSD_
; %bb.0:
	.section	.rodata,"a",@progbits
	.p2align	6, 0x0
	.amdhsa_kernel _ZN7rocprim17ROCPRIM_400000_NS6detail17trampoline_kernelINS0_13kernel_configILj256ELj4ELj4294967295EEENS1_37radix_sort_block_sort_config_selectorIxNS0_10empty_typeEEEZNS1_21radix_sort_block_sortIS4_Lb1EPxS9_PS6_SA_NS0_19identity_decomposerEEE10hipError_tT1_T2_T3_T4_jRjT5_jjP12ihipStream_tbEUlT_E_NS1_11comp_targetILNS1_3genE2ELNS1_11target_archE906ELNS1_3gpuE6ELNS1_3repE0EEENS1_44radix_sort_block_sort_config_static_selectorELNS0_4arch9wavefront6targetE1EEEvSD_
		.amdhsa_group_segment_fixed_size 0
		.amdhsa_private_segment_fixed_size 0
		.amdhsa_kernarg_size 48
		.amdhsa_user_sgpr_count 6
		.amdhsa_user_sgpr_private_segment_buffer 1
		.amdhsa_user_sgpr_dispatch_ptr 0
		.amdhsa_user_sgpr_queue_ptr 0
		.amdhsa_user_sgpr_kernarg_segment_ptr 1
		.amdhsa_user_sgpr_dispatch_id 0
		.amdhsa_user_sgpr_flat_scratch_init 0
		.amdhsa_user_sgpr_kernarg_preload_length 0
		.amdhsa_user_sgpr_kernarg_preload_offset 0
		.amdhsa_user_sgpr_private_segment_size 0
		.amdhsa_uses_dynamic_stack 0
		.amdhsa_system_sgpr_private_segment_wavefront_offset 0
		.amdhsa_system_sgpr_workgroup_id_x 1
		.amdhsa_system_sgpr_workgroup_id_y 0
		.amdhsa_system_sgpr_workgroup_id_z 0
		.amdhsa_system_sgpr_workgroup_info 0
		.amdhsa_system_vgpr_workitem_id 0
		.amdhsa_next_free_vgpr 1
		.amdhsa_next_free_sgpr 0
		.amdhsa_accum_offset 4
		.amdhsa_reserve_vcc 0
		.amdhsa_reserve_flat_scratch 0
		.amdhsa_float_round_mode_32 0
		.amdhsa_float_round_mode_16_64 0
		.amdhsa_float_denorm_mode_32 3
		.amdhsa_float_denorm_mode_16_64 3
		.amdhsa_dx10_clamp 1
		.amdhsa_ieee_mode 1
		.amdhsa_fp16_overflow 0
		.amdhsa_tg_split 0
		.amdhsa_exception_fp_ieee_invalid_op 0
		.amdhsa_exception_fp_denorm_src 0
		.amdhsa_exception_fp_ieee_div_zero 0
		.amdhsa_exception_fp_ieee_overflow 0
		.amdhsa_exception_fp_ieee_underflow 0
		.amdhsa_exception_fp_ieee_inexact 0
		.amdhsa_exception_int_div_zero 0
	.end_amdhsa_kernel
	.section	.text._ZN7rocprim17ROCPRIM_400000_NS6detail17trampoline_kernelINS0_13kernel_configILj256ELj4ELj4294967295EEENS1_37radix_sort_block_sort_config_selectorIxNS0_10empty_typeEEEZNS1_21radix_sort_block_sortIS4_Lb1EPxS9_PS6_SA_NS0_19identity_decomposerEEE10hipError_tT1_T2_T3_T4_jRjT5_jjP12ihipStream_tbEUlT_E_NS1_11comp_targetILNS1_3genE2ELNS1_11target_archE906ELNS1_3gpuE6ELNS1_3repE0EEENS1_44radix_sort_block_sort_config_static_selectorELNS0_4arch9wavefront6targetE1EEEvSD_,"axG",@progbits,_ZN7rocprim17ROCPRIM_400000_NS6detail17trampoline_kernelINS0_13kernel_configILj256ELj4ELj4294967295EEENS1_37radix_sort_block_sort_config_selectorIxNS0_10empty_typeEEEZNS1_21radix_sort_block_sortIS4_Lb1EPxS9_PS6_SA_NS0_19identity_decomposerEEE10hipError_tT1_T2_T3_T4_jRjT5_jjP12ihipStream_tbEUlT_E_NS1_11comp_targetILNS1_3genE2ELNS1_11target_archE906ELNS1_3gpuE6ELNS1_3repE0EEENS1_44radix_sort_block_sort_config_static_selectorELNS0_4arch9wavefront6targetE1EEEvSD_,comdat
.Lfunc_end2313:
	.size	_ZN7rocprim17ROCPRIM_400000_NS6detail17trampoline_kernelINS0_13kernel_configILj256ELj4ELj4294967295EEENS1_37radix_sort_block_sort_config_selectorIxNS0_10empty_typeEEEZNS1_21radix_sort_block_sortIS4_Lb1EPxS9_PS6_SA_NS0_19identity_decomposerEEE10hipError_tT1_T2_T3_T4_jRjT5_jjP12ihipStream_tbEUlT_E_NS1_11comp_targetILNS1_3genE2ELNS1_11target_archE906ELNS1_3gpuE6ELNS1_3repE0EEENS1_44radix_sort_block_sort_config_static_selectorELNS0_4arch9wavefront6targetE1EEEvSD_, .Lfunc_end2313-_ZN7rocprim17ROCPRIM_400000_NS6detail17trampoline_kernelINS0_13kernel_configILj256ELj4ELj4294967295EEENS1_37radix_sort_block_sort_config_selectorIxNS0_10empty_typeEEEZNS1_21radix_sort_block_sortIS4_Lb1EPxS9_PS6_SA_NS0_19identity_decomposerEEE10hipError_tT1_T2_T3_T4_jRjT5_jjP12ihipStream_tbEUlT_E_NS1_11comp_targetILNS1_3genE2ELNS1_11target_archE906ELNS1_3gpuE6ELNS1_3repE0EEENS1_44radix_sort_block_sort_config_static_selectorELNS0_4arch9wavefront6targetE1EEEvSD_
                                        ; -- End function
	.section	.AMDGPU.csdata,"",@progbits
; Kernel info:
; codeLenInByte = 0
; NumSgprs: 4
; NumVgprs: 0
; NumAgprs: 0
; TotalNumVgprs: 0
; ScratchSize: 0
; MemoryBound: 0
; FloatMode: 240
; IeeeMode: 1
; LDSByteSize: 0 bytes/workgroup (compile time only)
; SGPRBlocks: 0
; VGPRBlocks: 0
; NumSGPRsForWavesPerEU: 4
; NumVGPRsForWavesPerEU: 1
; AccumOffset: 4
; Occupancy: 8
; WaveLimiterHint : 0
; COMPUTE_PGM_RSRC2:SCRATCH_EN: 0
; COMPUTE_PGM_RSRC2:USER_SGPR: 6
; COMPUTE_PGM_RSRC2:TRAP_HANDLER: 0
; COMPUTE_PGM_RSRC2:TGID_X_EN: 1
; COMPUTE_PGM_RSRC2:TGID_Y_EN: 0
; COMPUTE_PGM_RSRC2:TGID_Z_EN: 0
; COMPUTE_PGM_RSRC2:TIDIG_COMP_CNT: 0
; COMPUTE_PGM_RSRC3_GFX90A:ACCUM_OFFSET: 0
; COMPUTE_PGM_RSRC3_GFX90A:TG_SPLIT: 0
	.section	.text._ZN7rocprim17ROCPRIM_400000_NS6detail17trampoline_kernelINS0_13kernel_configILj256ELj4ELj4294967295EEENS1_37radix_sort_block_sort_config_selectorIxNS0_10empty_typeEEEZNS1_21radix_sort_block_sortIS4_Lb1EPxS9_PS6_SA_NS0_19identity_decomposerEEE10hipError_tT1_T2_T3_T4_jRjT5_jjP12ihipStream_tbEUlT_E_NS1_11comp_targetILNS1_3genE10ELNS1_11target_archE1201ELNS1_3gpuE5ELNS1_3repE0EEENS1_44radix_sort_block_sort_config_static_selectorELNS0_4arch9wavefront6targetE1EEEvSD_,"axG",@progbits,_ZN7rocprim17ROCPRIM_400000_NS6detail17trampoline_kernelINS0_13kernel_configILj256ELj4ELj4294967295EEENS1_37radix_sort_block_sort_config_selectorIxNS0_10empty_typeEEEZNS1_21radix_sort_block_sortIS4_Lb1EPxS9_PS6_SA_NS0_19identity_decomposerEEE10hipError_tT1_T2_T3_T4_jRjT5_jjP12ihipStream_tbEUlT_E_NS1_11comp_targetILNS1_3genE10ELNS1_11target_archE1201ELNS1_3gpuE5ELNS1_3repE0EEENS1_44radix_sort_block_sort_config_static_selectorELNS0_4arch9wavefront6targetE1EEEvSD_,comdat
	.protected	_ZN7rocprim17ROCPRIM_400000_NS6detail17trampoline_kernelINS0_13kernel_configILj256ELj4ELj4294967295EEENS1_37radix_sort_block_sort_config_selectorIxNS0_10empty_typeEEEZNS1_21radix_sort_block_sortIS4_Lb1EPxS9_PS6_SA_NS0_19identity_decomposerEEE10hipError_tT1_T2_T3_T4_jRjT5_jjP12ihipStream_tbEUlT_E_NS1_11comp_targetILNS1_3genE10ELNS1_11target_archE1201ELNS1_3gpuE5ELNS1_3repE0EEENS1_44radix_sort_block_sort_config_static_selectorELNS0_4arch9wavefront6targetE1EEEvSD_ ; -- Begin function _ZN7rocprim17ROCPRIM_400000_NS6detail17trampoline_kernelINS0_13kernel_configILj256ELj4ELj4294967295EEENS1_37radix_sort_block_sort_config_selectorIxNS0_10empty_typeEEEZNS1_21radix_sort_block_sortIS4_Lb1EPxS9_PS6_SA_NS0_19identity_decomposerEEE10hipError_tT1_T2_T3_T4_jRjT5_jjP12ihipStream_tbEUlT_E_NS1_11comp_targetILNS1_3genE10ELNS1_11target_archE1201ELNS1_3gpuE5ELNS1_3repE0EEENS1_44radix_sort_block_sort_config_static_selectorELNS0_4arch9wavefront6targetE1EEEvSD_
	.globl	_ZN7rocprim17ROCPRIM_400000_NS6detail17trampoline_kernelINS0_13kernel_configILj256ELj4ELj4294967295EEENS1_37radix_sort_block_sort_config_selectorIxNS0_10empty_typeEEEZNS1_21radix_sort_block_sortIS4_Lb1EPxS9_PS6_SA_NS0_19identity_decomposerEEE10hipError_tT1_T2_T3_T4_jRjT5_jjP12ihipStream_tbEUlT_E_NS1_11comp_targetILNS1_3genE10ELNS1_11target_archE1201ELNS1_3gpuE5ELNS1_3repE0EEENS1_44radix_sort_block_sort_config_static_selectorELNS0_4arch9wavefront6targetE1EEEvSD_
	.p2align	8
	.type	_ZN7rocprim17ROCPRIM_400000_NS6detail17trampoline_kernelINS0_13kernel_configILj256ELj4ELj4294967295EEENS1_37radix_sort_block_sort_config_selectorIxNS0_10empty_typeEEEZNS1_21radix_sort_block_sortIS4_Lb1EPxS9_PS6_SA_NS0_19identity_decomposerEEE10hipError_tT1_T2_T3_T4_jRjT5_jjP12ihipStream_tbEUlT_E_NS1_11comp_targetILNS1_3genE10ELNS1_11target_archE1201ELNS1_3gpuE5ELNS1_3repE0EEENS1_44radix_sort_block_sort_config_static_selectorELNS0_4arch9wavefront6targetE1EEEvSD_,@function
_ZN7rocprim17ROCPRIM_400000_NS6detail17trampoline_kernelINS0_13kernel_configILj256ELj4ELj4294967295EEENS1_37radix_sort_block_sort_config_selectorIxNS0_10empty_typeEEEZNS1_21radix_sort_block_sortIS4_Lb1EPxS9_PS6_SA_NS0_19identity_decomposerEEE10hipError_tT1_T2_T3_T4_jRjT5_jjP12ihipStream_tbEUlT_E_NS1_11comp_targetILNS1_3genE10ELNS1_11target_archE1201ELNS1_3gpuE5ELNS1_3repE0EEENS1_44radix_sort_block_sort_config_static_selectorELNS0_4arch9wavefront6targetE1EEEvSD_: ; @_ZN7rocprim17ROCPRIM_400000_NS6detail17trampoline_kernelINS0_13kernel_configILj256ELj4ELj4294967295EEENS1_37radix_sort_block_sort_config_selectorIxNS0_10empty_typeEEEZNS1_21radix_sort_block_sortIS4_Lb1EPxS9_PS6_SA_NS0_19identity_decomposerEEE10hipError_tT1_T2_T3_T4_jRjT5_jjP12ihipStream_tbEUlT_E_NS1_11comp_targetILNS1_3genE10ELNS1_11target_archE1201ELNS1_3gpuE5ELNS1_3repE0EEENS1_44radix_sort_block_sort_config_static_selectorELNS0_4arch9wavefront6targetE1EEEvSD_
; %bb.0:
	.section	.rodata,"a",@progbits
	.p2align	6, 0x0
	.amdhsa_kernel _ZN7rocprim17ROCPRIM_400000_NS6detail17trampoline_kernelINS0_13kernel_configILj256ELj4ELj4294967295EEENS1_37radix_sort_block_sort_config_selectorIxNS0_10empty_typeEEEZNS1_21radix_sort_block_sortIS4_Lb1EPxS9_PS6_SA_NS0_19identity_decomposerEEE10hipError_tT1_T2_T3_T4_jRjT5_jjP12ihipStream_tbEUlT_E_NS1_11comp_targetILNS1_3genE10ELNS1_11target_archE1201ELNS1_3gpuE5ELNS1_3repE0EEENS1_44radix_sort_block_sort_config_static_selectorELNS0_4arch9wavefront6targetE1EEEvSD_
		.amdhsa_group_segment_fixed_size 0
		.amdhsa_private_segment_fixed_size 0
		.amdhsa_kernarg_size 48
		.amdhsa_user_sgpr_count 6
		.amdhsa_user_sgpr_private_segment_buffer 1
		.amdhsa_user_sgpr_dispatch_ptr 0
		.amdhsa_user_sgpr_queue_ptr 0
		.amdhsa_user_sgpr_kernarg_segment_ptr 1
		.amdhsa_user_sgpr_dispatch_id 0
		.amdhsa_user_sgpr_flat_scratch_init 0
		.amdhsa_user_sgpr_kernarg_preload_length 0
		.amdhsa_user_sgpr_kernarg_preload_offset 0
		.amdhsa_user_sgpr_private_segment_size 0
		.amdhsa_uses_dynamic_stack 0
		.amdhsa_system_sgpr_private_segment_wavefront_offset 0
		.amdhsa_system_sgpr_workgroup_id_x 1
		.amdhsa_system_sgpr_workgroup_id_y 0
		.amdhsa_system_sgpr_workgroup_id_z 0
		.amdhsa_system_sgpr_workgroup_info 0
		.amdhsa_system_vgpr_workitem_id 0
		.amdhsa_next_free_vgpr 1
		.amdhsa_next_free_sgpr 0
		.amdhsa_accum_offset 4
		.amdhsa_reserve_vcc 0
		.amdhsa_reserve_flat_scratch 0
		.amdhsa_float_round_mode_32 0
		.amdhsa_float_round_mode_16_64 0
		.amdhsa_float_denorm_mode_32 3
		.amdhsa_float_denorm_mode_16_64 3
		.amdhsa_dx10_clamp 1
		.amdhsa_ieee_mode 1
		.amdhsa_fp16_overflow 0
		.amdhsa_tg_split 0
		.amdhsa_exception_fp_ieee_invalid_op 0
		.amdhsa_exception_fp_denorm_src 0
		.amdhsa_exception_fp_ieee_div_zero 0
		.amdhsa_exception_fp_ieee_overflow 0
		.amdhsa_exception_fp_ieee_underflow 0
		.amdhsa_exception_fp_ieee_inexact 0
		.amdhsa_exception_int_div_zero 0
	.end_amdhsa_kernel
	.section	.text._ZN7rocprim17ROCPRIM_400000_NS6detail17trampoline_kernelINS0_13kernel_configILj256ELj4ELj4294967295EEENS1_37radix_sort_block_sort_config_selectorIxNS0_10empty_typeEEEZNS1_21radix_sort_block_sortIS4_Lb1EPxS9_PS6_SA_NS0_19identity_decomposerEEE10hipError_tT1_T2_T3_T4_jRjT5_jjP12ihipStream_tbEUlT_E_NS1_11comp_targetILNS1_3genE10ELNS1_11target_archE1201ELNS1_3gpuE5ELNS1_3repE0EEENS1_44radix_sort_block_sort_config_static_selectorELNS0_4arch9wavefront6targetE1EEEvSD_,"axG",@progbits,_ZN7rocprim17ROCPRIM_400000_NS6detail17trampoline_kernelINS0_13kernel_configILj256ELj4ELj4294967295EEENS1_37radix_sort_block_sort_config_selectorIxNS0_10empty_typeEEEZNS1_21radix_sort_block_sortIS4_Lb1EPxS9_PS6_SA_NS0_19identity_decomposerEEE10hipError_tT1_T2_T3_T4_jRjT5_jjP12ihipStream_tbEUlT_E_NS1_11comp_targetILNS1_3genE10ELNS1_11target_archE1201ELNS1_3gpuE5ELNS1_3repE0EEENS1_44radix_sort_block_sort_config_static_selectorELNS0_4arch9wavefront6targetE1EEEvSD_,comdat
.Lfunc_end2314:
	.size	_ZN7rocprim17ROCPRIM_400000_NS6detail17trampoline_kernelINS0_13kernel_configILj256ELj4ELj4294967295EEENS1_37radix_sort_block_sort_config_selectorIxNS0_10empty_typeEEEZNS1_21radix_sort_block_sortIS4_Lb1EPxS9_PS6_SA_NS0_19identity_decomposerEEE10hipError_tT1_T2_T3_T4_jRjT5_jjP12ihipStream_tbEUlT_E_NS1_11comp_targetILNS1_3genE10ELNS1_11target_archE1201ELNS1_3gpuE5ELNS1_3repE0EEENS1_44radix_sort_block_sort_config_static_selectorELNS0_4arch9wavefront6targetE1EEEvSD_, .Lfunc_end2314-_ZN7rocprim17ROCPRIM_400000_NS6detail17trampoline_kernelINS0_13kernel_configILj256ELj4ELj4294967295EEENS1_37radix_sort_block_sort_config_selectorIxNS0_10empty_typeEEEZNS1_21radix_sort_block_sortIS4_Lb1EPxS9_PS6_SA_NS0_19identity_decomposerEEE10hipError_tT1_T2_T3_T4_jRjT5_jjP12ihipStream_tbEUlT_E_NS1_11comp_targetILNS1_3genE10ELNS1_11target_archE1201ELNS1_3gpuE5ELNS1_3repE0EEENS1_44radix_sort_block_sort_config_static_selectorELNS0_4arch9wavefront6targetE1EEEvSD_
                                        ; -- End function
	.section	.AMDGPU.csdata,"",@progbits
; Kernel info:
; codeLenInByte = 0
; NumSgprs: 4
; NumVgprs: 0
; NumAgprs: 0
; TotalNumVgprs: 0
; ScratchSize: 0
; MemoryBound: 0
; FloatMode: 240
; IeeeMode: 1
; LDSByteSize: 0 bytes/workgroup (compile time only)
; SGPRBlocks: 0
; VGPRBlocks: 0
; NumSGPRsForWavesPerEU: 4
; NumVGPRsForWavesPerEU: 1
; AccumOffset: 4
; Occupancy: 8
; WaveLimiterHint : 0
; COMPUTE_PGM_RSRC2:SCRATCH_EN: 0
; COMPUTE_PGM_RSRC2:USER_SGPR: 6
; COMPUTE_PGM_RSRC2:TRAP_HANDLER: 0
; COMPUTE_PGM_RSRC2:TGID_X_EN: 1
; COMPUTE_PGM_RSRC2:TGID_Y_EN: 0
; COMPUTE_PGM_RSRC2:TGID_Z_EN: 0
; COMPUTE_PGM_RSRC2:TIDIG_COMP_CNT: 0
; COMPUTE_PGM_RSRC3_GFX90A:ACCUM_OFFSET: 0
; COMPUTE_PGM_RSRC3_GFX90A:TG_SPLIT: 0
	.section	.text._ZN7rocprim17ROCPRIM_400000_NS6detail17trampoline_kernelINS0_13kernel_configILj256ELj4ELj4294967295EEENS1_37radix_sort_block_sort_config_selectorIxNS0_10empty_typeEEEZNS1_21radix_sort_block_sortIS4_Lb1EPxS9_PS6_SA_NS0_19identity_decomposerEEE10hipError_tT1_T2_T3_T4_jRjT5_jjP12ihipStream_tbEUlT_E_NS1_11comp_targetILNS1_3genE10ELNS1_11target_archE1200ELNS1_3gpuE4ELNS1_3repE0EEENS1_44radix_sort_block_sort_config_static_selectorELNS0_4arch9wavefront6targetE1EEEvSD_,"axG",@progbits,_ZN7rocprim17ROCPRIM_400000_NS6detail17trampoline_kernelINS0_13kernel_configILj256ELj4ELj4294967295EEENS1_37radix_sort_block_sort_config_selectorIxNS0_10empty_typeEEEZNS1_21radix_sort_block_sortIS4_Lb1EPxS9_PS6_SA_NS0_19identity_decomposerEEE10hipError_tT1_T2_T3_T4_jRjT5_jjP12ihipStream_tbEUlT_E_NS1_11comp_targetILNS1_3genE10ELNS1_11target_archE1200ELNS1_3gpuE4ELNS1_3repE0EEENS1_44radix_sort_block_sort_config_static_selectorELNS0_4arch9wavefront6targetE1EEEvSD_,comdat
	.protected	_ZN7rocprim17ROCPRIM_400000_NS6detail17trampoline_kernelINS0_13kernel_configILj256ELj4ELj4294967295EEENS1_37radix_sort_block_sort_config_selectorIxNS0_10empty_typeEEEZNS1_21radix_sort_block_sortIS4_Lb1EPxS9_PS6_SA_NS0_19identity_decomposerEEE10hipError_tT1_T2_T3_T4_jRjT5_jjP12ihipStream_tbEUlT_E_NS1_11comp_targetILNS1_3genE10ELNS1_11target_archE1200ELNS1_3gpuE4ELNS1_3repE0EEENS1_44radix_sort_block_sort_config_static_selectorELNS0_4arch9wavefront6targetE1EEEvSD_ ; -- Begin function _ZN7rocprim17ROCPRIM_400000_NS6detail17trampoline_kernelINS0_13kernel_configILj256ELj4ELj4294967295EEENS1_37radix_sort_block_sort_config_selectorIxNS0_10empty_typeEEEZNS1_21radix_sort_block_sortIS4_Lb1EPxS9_PS6_SA_NS0_19identity_decomposerEEE10hipError_tT1_T2_T3_T4_jRjT5_jjP12ihipStream_tbEUlT_E_NS1_11comp_targetILNS1_3genE10ELNS1_11target_archE1200ELNS1_3gpuE4ELNS1_3repE0EEENS1_44radix_sort_block_sort_config_static_selectorELNS0_4arch9wavefront6targetE1EEEvSD_
	.globl	_ZN7rocprim17ROCPRIM_400000_NS6detail17trampoline_kernelINS0_13kernel_configILj256ELj4ELj4294967295EEENS1_37radix_sort_block_sort_config_selectorIxNS0_10empty_typeEEEZNS1_21radix_sort_block_sortIS4_Lb1EPxS9_PS6_SA_NS0_19identity_decomposerEEE10hipError_tT1_T2_T3_T4_jRjT5_jjP12ihipStream_tbEUlT_E_NS1_11comp_targetILNS1_3genE10ELNS1_11target_archE1200ELNS1_3gpuE4ELNS1_3repE0EEENS1_44radix_sort_block_sort_config_static_selectorELNS0_4arch9wavefront6targetE1EEEvSD_
	.p2align	8
	.type	_ZN7rocprim17ROCPRIM_400000_NS6detail17trampoline_kernelINS0_13kernel_configILj256ELj4ELj4294967295EEENS1_37radix_sort_block_sort_config_selectorIxNS0_10empty_typeEEEZNS1_21radix_sort_block_sortIS4_Lb1EPxS9_PS6_SA_NS0_19identity_decomposerEEE10hipError_tT1_T2_T3_T4_jRjT5_jjP12ihipStream_tbEUlT_E_NS1_11comp_targetILNS1_3genE10ELNS1_11target_archE1200ELNS1_3gpuE4ELNS1_3repE0EEENS1_44radix_sort_block_sort_config_static_selectorELNS0_4arch9wavefront6targetE1EEEvSD_,@function
_ZN7rocprim17ROCPRIM_400000_NS6detail17trampoline_kernelINS0_13kernel_configILj256ELj4ELj4294967295EEENS1_37radix_sort_block_sort_config_selectorIxNS0_10empty_typeEEEZNS1_21radix_sort_block_sortIS4_Lb1EPxS9_PS6_SA_NS0_19identity_decomposerEEE10hipError_tT1_T2_T3_T4_jRjT5_jjP12ihipStream_tbEUlT_E_NS1_11comp_targetILNS1_3genE10ELNS1_11target_archE1200ELNS1_3gpuE4ELNS1_3repE0EEENS1_44radix_sort_block_sort_config_static_selectorELNS0_4arch9wavefront6targetE1EEEvSD_: ; @_ZN7rocprim17ROCPRIM_400000_NS6detail17trampoline_kernelINS0_13kernel_configILj256ELj4ELj4294967295EEENS1_37radix_sort_block_sort_config_selectorIxNS0_10empty_typeEEEZNS1_21radix_sort_block_sortIS4_Lb1EPxS9_PS6_SA_NS0_19identity_decomposerEEE10hipError_tT1_T2_T3_T4_jRjT5_jjP12ihipStream_tbEUlT_E_NS1_11comp_targetILNS1_3genE10ELNS1_11target_archE1200ELNS1_3gpuE4ELNS1_3repE0EEENS1_44radix_sort_block_sort_config_static_selectorELNS0_4arch9wavefront6targetE1EEEvSD_
; %bb.0:
	.section	.rodata,"a",@progbits
	.p2align	6, 0x0
	.amdhsa_kernel _ZN7rocprim17ROCPRIM_400000_NS6detail17trampoline_kernelINS0_13kernel_configILj256ELj4ELj4294967295EEENS1_37radix_sort_block_sort_config_selectorIxNS0_10empty_typeEEEZNS1_21radix_sort_block_sortIS4_Lb1EPxS9_PS6_SA_NS0_19identity_decomposerEEE10hipError_tT1_T2_T3_T4_jRjT5_jjP12ihipStream_tbEUlT_E_NS1_11comp_targetILNS1_3genE10ELNS1_11target_archE1200ELNS1_3gpuE4ELNS1_3repE0EEENS1_44radix_sort_block_sort_config_static_selectorELNS0_4arch9wavefront6targetE1EEEvSD_
		.amdhsa_group_segment_fixed_size 0
		.amdhsa_private_segment_fixed_size 0
		.amdhsa_kernarg_size 48
		.amdhsa_user_sgpr_count 6
		.amdhsa_user_sgpr_private_segment_buffer 1
		.amdhsa_user_sgpr_dispatch_ptr 0
		.amdhsa_user_sgpr_queue_ptr 0
		.amdhsa_user_sgpr_kernarg_segment_ptr 1
		.amdhsa_user_sgpr_dispatch_id 0
		.amdhsa_user_sgpr_flat_scratch_init 0
		.amdhsa_user_sgpr_kernarg_preload_length 0
		.amdhsa_user_sgpr_kernarg_preload_offset 0
		.amdhsa_user_sgpr_private_segment_size 0
		.amdhsa_uses_dynamic_stack 0
		.amdhsa_system_sgpr_private_segment_wavefront_offset 0
		.amdhsa_system_sgpr_workgroup_id_x 1
		.amdhsa_system_sgpr_workgroup_id_y 0
		.amdhsa_system_sgpr_workgroup_id_z 0
		.amdhsa_system_sgpr_workgroup_info 0
		.amdhsa_system_vgpr_workitem_id 0
		.amdhsa_next_free_vgpr 1
		.amdhsa_next_free_sgpr 0
		.amdhsa_accum_offset 4
		.amdhsa_reserve_vcc 0
		.amdhsa_reserve_flat_scratch 0
		.amdhsa_float_round_mode_32 0
		.amdhsa_float_round_mode_16_64 0
		.amdhsa_float_denorm_mode_32 3
		.amdhsa_float_denorm_mode_16_64 3
		.amdhsa_dx10_clamp 1
		.amdhsa_ieee_mode 1
		.amdhsa_fp16_overflow 0
		.amdhsa_tg_split 0
		.amdhsa_exception_fp_ieee_invalid_op 0
		.amdhsa_exception_fp_denorm_src 0
		.amdhsa_exception_fp_ieee_div_zero 0
		.amdhsa_exception_fp_ieee_overflow 0
		.amdhsa_exception_fp_ieee_underflow 0
		.amdhsa_exception_fp_ieee_inexact 0
		.amdhsa_exception_int_div_zero 0
	.end_amdhsa_kernel
	.section	.text._ZN7rocprim17ROCPRIM_400000_NS6detail17trampoline_kernelINS0_13kernel_configILj256ELj4ELj4294967295EEENS1_37radix_sort_block_sort_config_selectorIxNS0_10empty_typeEEEZNS1_21radix_sort_block_sortIS4_Lb1EPxS9_PS6_SA_NS0_19identity_decomposerEEE10hipError_tT1_T2_T3_T4_jRjT5_jjP12ihipStream_tbEUlT_E_NS1_11comp_targetILNS1_3genE10ELNS1_11target_archE1200ELNS1_3gpuE4ELNS1_3repE0EEENS1_44radix_sort_block_sort_config_static_selectorELNS0_4arch9wavefront6targetE1EEEvSD_,"axG",@progbits,_ZN7rocprim17ROCPRIM_400000_NS6detail17trampoline_kernelINS0_13kernel_configILj256ELj4ELj4294967295EEENS1_37radix_sort_block_sort_config_selectorIxNS0_10empty_typeEEEZNS1_21radix_sort_block_sortIS4_Lb1EPxS9_PS6_SA_NS0_19identity_decomposerEEE10hipError_tT1_T2_T3_T4_jRjT5_jjP12ihipStream_tbEUlT_E_NS1_11comp_targetILNS1_3genE10ELNS1_11target_archE1200ELNS1_3gpuE4ELNS1_3repE0EEENS1_44radix_sort_block_sort_config_static_selectorELNS0_4arch9wavefront6targetE1EEEvSD_,comdat
.Lfunc_end2315:
	.size	_ZN7rocprim17ROCPRIM_400000_NS6detail17trampoline_kernelINS0_13kernel_configILj256ELj4ELj4294967295EEENS1_37radix_sort_block_sort_config_selectorIxNS0_10empty_typeEEEZNS1_21radix_sort_block_sortIS4_Lb1EPxS9_PS6_SA_NS0_19identity_decomposerEEE10hipError_tT1_T2_T3_T4_jRjT5_jjP12ihipStream_tbEUlT_E_NS1_11comp_targetILNS1_3genE10ELNS1_11target_archE1200ELNS1_3gpuE4ELNS1_3repE0EEENS1_44radix_sort_block_sort_config_static_selectorELNS0_4arch9wavefront6targetE1EEEvSD_, .Lfunc_end2315-_ZN7rocprim17ROCPRIM_400000_NS6detail17trampoline_kernelINS0_13kernel_configILj256ELj4ELj4294967295EEENS1_37radix_sort_block_sort_config_selectorIxNS0_10empty_typeEEEZNS1_21radix_sort_block_sortIS4_Lb1EPxS9_PS6_SA_NS0_19identity_decomposerEEE10hipError_tT1_T2_T3_T4_jRjT5_jjP12ihipStream_tbEUlT_E_NS1_11comp_targetILNS1_3genE10ELNS1_11target_archE1200ELNS1_3gpuE4ELNS1_3repE0EEENS1_44radix_sort_block_sort_config_static_selectorELNS0_4arch9wavefront6targetE1EEEvSD_
                                        ; -- End function
	.section	.AMDGPU.csdata,"",@progbits
; Kernel info:
; codeLenInByte = 0
; NumSgprs: 4
; NumVgprs: 0
; NumAgprs: 0
; TotalNumVgprs: 0
; ScratchSize: 0
; MemoryBound: 0
; FloatMode: 240
; IeeeMode: 1
; LDSByteSize: 0 bytes/workgroup (compile time only)
; SGPRBlocks: 0
; VGPRBlocks: 0
; NumSGPRsForWavesPerEU: 4
; NumVGPRsForWavesPerEU: 1
; AccumOffset: 4
; Occupancy: 8
; WaveLimiterHint : 0
; COMPUTE_PGM_RSRC2:SCRATCH_EN: 0
; COMPUTE_PGM_RSRC2:USER_SGPR: 6
; COMPUTE_PGM_RSRC2:TRAP_HANDLER: 0
; COMPUTE_PGM_RSRC2:TGID_X_EN: 1
; COMPUTE_PGM_RSRC2:TGID_Y_EN: 0
; COMPUTE_PGM_RSRC2:TGID_Z_EN: 0
; COMPUTE_PGM_RSRC2:TIDIG_COMP_CNT: 0
; COMPUTE_PGM_RSRC3_GFX90A:ACCUM_OFFSET: 0
; COMPUTE_PGM_RSRC3_GFX90A:TG_SPLIT: 0
	.section	.text._ZN7rocprim17ROCPRIM_400000_NS6detail17trampoline_kernelINS0_13kernel_configILj256ELj4ELj4294967295EEENS1_37radix_sort_block_sort_config_selectorIxNS0_10empty_typeEEEZNS1_21radix_sort_block_sortIS4_Lb1EPxS9_PS6_SA_NS0_19identity_decomposerEEE10hipError_tT1_T2_T3_T4_jRjT5_jjP12ihipStream_tbEUlT_E_NS1_11comp_targetILNS1_3genE9ELNS1_11target_archE1100ELNS1_3gpuE3ELNS1_3repE0EEENS1_44radix_sort_block_sort_config_static_selectorELNS0_4arch9wavefront6targetE1EEEvSD_,"axG",@progbits,_ZN7rocprim17ROCPRIM_400000_NS6detail17trampoline_kernelINS0_13kernel_configILj256ELj4ELj4294967295EEENS1_37radix_sort_block_sort_config_selectorIxNS0_10empty_typeEEEZNS1_21radix_sort_block_sortIS4_Lb1EPxS9_PS6_SA_NS0_19identity_decomposerEEE10hipError_tT1_T2_T3_T4_jRjT5_jjP12ihipStream_tbEUlT_E_NS1_11comp_targetILNS1_3genE9ELNS1_11target_archE1100ELNS1_3gpuE3ELNS1_3repE0EEENS1_44radix_sort_block_sort_config_static_selectorELNS0_4arch9wavefront6targetE1EEEvSD_,comdat
	.protected	_ZN7rocprim17ROCPRIM_400000_NS6detail17trampoline_kernelINS0_13kernel_configILj256ELj4ELj4294967295EEENS1_37radix_sort_block_sort_config_selectorIxNS0_10empty_typeEEEZNS1_21radix_sort_block_sortIS4_Lb1EPxS9_PS6_SA_NS0_19identity_decomposerEEE10hipError_tT1_T2_T3_T4_jRjT5_jjP12ihipStream_tbEUlT_E_NS1_11comp_targetILNS1_3genE9ELNS1_11target_archE1100ELNS1_3gpuE3ELNS1_3repE0EEENS1_44radix_sort_block_sort_config_static_selectorELNS0_4arch9wavefront6targetE1EEEvSD_ ; -- Begin function _ZN7rocprim17ROCPRIM_400000_NS6detail17trampoline_kernelINS0_13kernel_configILj256ELj4ELj4294967295EEENS1_37radix_sort_block_sort_config_selectorIxNS0_10empty_typeEEEZNS1_21radix_sort_block_sortIS4_Lb1EPxS9_PS6_SA_NS0_19identity_decomposerEEE10hipError_tT1_T2_T3_T4_jRjT5_jjP12ihipStream_tbEUlT_E_NS1_11comp_targetILNS1_3genE9ELNS1_11target_archE1100ELNS1_3gpuE3ELNS1_3repE0EEENS1_44radix_sort_block_sort_config_static_selectorELNS0_4arch9wavefront6targetE1EEEvSD_
	.globl	_ZN7rocprim17ROCPRIM_400000_NS6detail17trampoline_kernelINS0_13kernel_configILj256ELj4ELj4294967295EEENS1_37radix_sort_block_sort_config_selectorIxNS0_10empty_typeEEEZNS1_21radix_sort_block_sortIS4_Lb1EPxS9_PS6_SA_NS0_19identity_decomposerEEE10hipError_tT1_T2_T3_T4_jRjT5_jjP12ihipStream_tbEUlT_E_NS1_11comp_targetILNS1_3genE9ELNS1_11target_archE1100ELNS1_3gpuE3ELNS1_3repE0EEENS1_44radix_sort_block_sort_config_static_selectorELNS0_4arch9wavefront6targetE1EEEvSD_
	.p2align	8
	.type	_ZN7rocprim17ROCPRIM_400000_NS6detail17trampoline_kernelINS0_13kernel_configILj256ELj4ELj4294967295EEENS1_37radix_sort_block_sort_config_selectorIxNS0_10empty_typeEEEZNS1_21radix_sort_block_sortIS4_Lb1EPxS9_PS6_SA_NS0_19identity_decomposerEEE10hipError_tT1_T2_T3_T4_jRjT5_jjP12ihipStream_tbEUlT_E_NS1_11comp_targetILNS1_3genE9ELNS1_11target_archE1100ELNS1_3gpuE3ELNS1_3repE0EEENS1_44radix_sort_block_sort_config_static_selectorELNS0_4arch9wavefront6targetE1EEEvSD_,@function
_ZN7rocprim17ROCPRIM_400000_NS6detail17trampoline_kernelINS0_13kernel_configILj256ELj4ELj4294967295EEENS1_37radix_sort_block_sort_config_selectorIxNS0_10empty_typeEEEZNS1_21radix_sort_block_sortIS4_Lb1EPxS9_PS6_SA_NS0_19identity_decomposerEEE10hipError_tT1_T2_T3_T4_jRjT5_jjP12ihipStream_tbEUlT_E_NS1_11comp_targetILNS1_3genE9ELNS1_11target_archE1100ELNS1_3gpuE3ELNS1_3repE0EEENS1_44radix_sort_block_sort_config_static_selectorELNS0_4arch9wavefront6targetE1EEEvSD_: ; @_ZN7rocprim17ROCPRIM_400000_NS6detail17trampoline_kernelINS0_13kernel_configILj256ELj4ELj4294967295EEENS1_37radix_sort_block_sort_config_selectorIxNS0_10empty_typeEEEZNS1_21radix_sort_block_sortIS4_Lb1EPxS9_PS6_SA_NS0_19identity_decomposerEEE10hipError_tT1_T2_T3_T4_jRjT5_jjP12ihipStream_tbEUlT_E_NS1_11comp_targetILNS1_3genE9ELNS1_11target_archE1100ELNS1_3gpuE3ELNS1_3repE0EEENS1_44radix_sort_block_sort_config_static_selectorELNS0_4arch9wavefront6targetE1EEEvSD_
; %bb.0:
	.section	.rodata,"a",@progbits
	.p2align	6, 0x0
	.amdhsa_kernel _ZN7rocprim17ROCPRIM_400000_NS6detail17trampoline_kernelINS0_13kernel_configILj256ELj4ELj4294967295EEENS1_37radix_sort_block_sort_config_selectorIxNS0_10empty_typeEEEZNS1_21radix_sort_block_sortIS4_Lb1EPxS9_PS6_SA_NS0_19identity_decomposerEEE10hipError_tT1_T2_T3_T4_jRjT5_jjP12ihipStream_tbEUlT_E_NS1_11comp_targetILNS1_3genE9ELNS1_11target_archE1100ELNS1_3gpuE3ELNS1_3repE0EEENS1_44radix_sort_block_sort_config_static_selectorELNS0_4arch9wavefront6targetE1EEEvSD_
		.amdhsa_group_segment_fixed_size 0
		.amdhsa_private_segment_fixed_size 0
		.amdhsa_kernarg_size 48
		.amdhsa_user_sgpr_count 6
		.amdhsa_user_sgpr_private_segment_buffer 1
		.amdhsa_user_sgpr_dispatch_ptr 0
		.amdhsa_user_sgpr_queue_ptr 0
		.amdhsa_user_sgpr_kernarg_segment_ptr 1
		.amdhsa_user_sgpr_dispatch_id 0
		.amdhsa_user_sgpr_flat_scratch_init 0
		.amdhsa_user_sgpr_kernarg_preload_length 0
		.amdhsa_user_sgpr_kernarg_preload_offset 0
		.amdhsa_user_sgpr_private_segment_size 0
		.amdhsa_uses_dynamic_stack 0
		.amdhsa_system_sgpr_private_segment_wavefront_offset 0
		.amdhsa_system_sgpr_workgroup_id_x 1
		.amdhsa_system_sgpr_workgroup_id_y 0
		.amdhsa_system_sgpr_workgroup_id_z 0
		.amdhsa_system_sgpr_workgroup_info 0
		.amdhsa_system_vgpr_workitem_id 0
		.amdhsa_next_free_vgpr 1
		.amdhsa_next_free_sgpr 0
		.amdhsa_accum_offset 4
		.amdhsa_reserve_vcc 0
		.amdhsa_reserve_flat_scratch 0
		.amdhsa_float_round_mode_32 0
		.amdhsa_float_round_mode_16_64 0
		.amdhsa_float_denorm_mode_32 3
		.amdhsa_float_denorm_mode_16_64 3
		.amdhsa_dx10_clamp 1
		.amdhsa_ieee_mode 1
		.amdhsa_fp16_overflow 0
		.amdhsa_tg_split 0
		.amdhsa_exception_fp_ieee_invalid_op 0
		.amdhsa_exception_fp_denorm_src 0
		.amdhsa_exception_fp_ieee_div_zero 0
		.amdhsa_exception_fp_ieee_overflow 0
		.amdhsa_exception_fp_ieee_underflow 0
		.amdhsa_exception_fp_ieee_inexact 0
		.amdhsa_exception_int_div_zero 0
	.end_amdhsa_kernel
	.section	.text._ZN7rocprim17ROCPRIM_400000_NS6detail17trampoline_kernelINS0_13kernel_configILj256ELj4ELj4294967295EEENS1_37radix_sort_block_sort_config_selectorIxNS0_10empty_typeEEEZNS1_21radix_sort_block_sortIS4_Lb1EPxS9_PS6_SA_NS0_19identity_decomposerEEE10hipError_tT1_T2_T3_T4_jRjT5_jjP12ihipStream_tbEUlT_E_NS1_11comp_targetILNS1_3genE9ELNS1_11target_archE1100ELNS1_3gpuE3ELNS1_3repE0EEENS1_44radix_sort_block_sort_config_static_selectorELNS0_4arch9wavefront6targetE1EEEvSD_,"axG",@progbits,_ZN7rocprim17ROCPRIM_400000_NS6detail17trampoline_kernelINS0_13kernel_configILj256ELj4ELj4294967295EEENS1_37radix_sort_block_sort_config_selectorIxNS0_10empty_typeEEEZNS1_21radix_sort_block_sortIS4_Lb1EPxS9_PS6_SA_NS0_19identity_decomposerEEE10hipError_tT1_T2_T3_T4_jRjT5_jjP12ihipStream_tbEUlT_E_NS1_11comp_targetILNS1_3genE9ELNS1_11target_archE1100ELNS1_3gpuE3ELNS1_3repE0EEENS1_44radix_sort_block_sort_config_static_selectorELNS0_4arch9wavefront6targetE1EEEvSD_,comdat
.Lfunc_end2316:
	.size	_ZN7rocprim17ROCPRIM_400000_NS6detail17trampoline_kernelINS0_13kernel_configILj256ELj4ELj4294967295EEENS1_37radix_sort_block_sort_config_selectorIxNS0_10empty_typeEEEZNS1_21radix_sort_block_sortIS4_Lb1EPxS9_PS6_SA_NS0_19identity_decomposerEEE10hipError_tT1_T2_T3_T4_jRjT5_jjP12ihipStream_tbEUlT_E_NS1_11comp_targetILNS1_3genE9ELNS1_11target_archE1100ELNS1_3gpuE3ELNS1_3repE0EEENS1_44radix_sort_block_sort_config_static_selectorELNS0_4arch9wavefront6targetE1EEEvSD_, .Lfunc_end2316-_ZN7rocprim17ROCPRIM_400000_NS6detail17trampoline_kernelINS0_13kernel_configILj256ELj4ELj4294967295EEENS1_37radix_sort_block_sort_config_selectorIxNS0_10empty_typeEEEZNS1_21radix_sort_block_sortIS4_Lb1EPxS9_PS6_SA_NS0_19identity_decomposerEEE10hipError_tT1_T2_T3_T4_jRjT5_jjP12ihipStream_tbEUlT_E_NS1_11comp_targetILNS1_3genE9ELNS1_11target_archE1100ELNS1_3gpuE3ELNS1_3repE0EEENS1_44radix_sort_block_sort_config_static_selectorELNS0_4arch9wavefront6targetE1EEEvSD_
                                        ; -- End function
	.section	.AMDGPU.csdata,"",@progbits
; Kernel info:
; codeLenInByte = 0
; NumSgprs: 4
; NumVgprs: 0
; NumAgprs: 0
; TotalNumVgprs: 0
; ScratchSize: 0
; MemoryBound: 0
; FloatMode: 240
; IeeeMode: 1
; LDSByteSize: 0 bytes/workgroup (compile time only)
; SGPRBlocks: 0
; VGPRBlocks: 0
; NumSGPRsForWavesPerEU: 4
; NumVGPRsForWavesPerEU: 1
; AccumOffset: 4
; Occupancy: 8
; WaveLimiterHint : 0
; COMPUTE_PGM_RSRC2:SCRATCH_EN: 0
; COMPUTE_PGM_RSRC2:USER_SGPR: 6
; COMPUTE_PGM_RSRC2:TRAP_HANDLER: 0
; COMPUTE_PGM_RSRC2:TGID_X_EN: 1
; COMPUTE_PGM_RSRC2:TGID_Y_EN: 0
; COMPUTE_PGM_RSRC2:TGID_Z_EN: 0
; COMPUTE_PGM_RSRC2:TIDIG_COMP_CNT: 0
; COMPUTE_PGM_RSRC3_GFX90A:ACCUM_OFFSET: 0
; COMPUTE_PGM_RSRC3_GFX90A:TG_SPLIT: 0
	.section	.text._ZN7rocprim17ROCPRIM_400000_NS6detail17trampoline_kernelINS0_13kernel_configILj256ELj4ELj4294967295EEENS1_37radix_sort_block_sort_config_selectorIxNS0_10empty_typeEEEZNS1_21radix_sort_block_sortIS4_Lb1EPxS9_PS6_SA_NS0_19identity_decomposerEEE10hipError_tT1_T2_T3_T4_jRjT5_jjP12ihipStream_tbEUlT_E_NS1_11comp_targetILNS1_3genE8ELNS1_11target_archE1030ELNS1_3gpuE2ELNS1_3repE0EEENS1_44radix_sort_block_sort_config_static_selectorELNS0_4arch9wavefront6targetE1EEEvSD_,"axG",@progbits,_ZN7rocprim17ROCPRIM_400000_NS6detail17trampoline_kernelINS0_13kernel_configILj256ELj4ELj4294967295EEENS1_37radix_sort_block_sort_config_selectorIxNS0_10empty_typeEEEZNS1_21radix_sort_block_sortIS4_Lb1EPxS9_PS6_SA_NS0_19identity_decomposerEEE10hipError_tT1_T2_T3_T4_jRjT5_jjP12ihipStream_tbEUlT_E_NS1_11comp_targetILNS1_3genE8ELNS1_11target_archE1030ELNS1_3gpuE2ELNS1_3repE0EEENS1_44radix_sort_block_sort_config_static_selectorELNS0_4arch9wavefront6targetE1EEEvSD_,comdat
	.protected	_ZN7rocprim17ROCPRIM_400000_NS6detail17trampoline_kernelINS0_13kernel_configILj256ELj4ELj4294967295EEENS1_37radix_sort_block_sort_config_selectorIxNS0_10empty_typeEEEZNS1_21radix_sort_block_sortIS4_Lb1EPxS9_PS6_SA_NS0_19identity_decomposerEEE10hipError_tT1_T2_T3_T4_jRjT5_jjP12ihipStream_tbEUlT_E_NS1_11comp_targetILNS1_3genE8ELNS1_11target_archE1030ELNS1_3gpuE2ELNS1_3repE0EEENS1_44radix_sort_block_sort_config_static_selectorELNS0_4arch9wavefront6targetE1EEEvSD_ ; -- Begin function _ZN7rocprim17ROCPRIM_400000_NS6detail17trampoline_kernelINS0_13kernel_configILj256ELj4ELj4294967295EEENS1_37radix_sort_block_sort_config_selectorIxNS0_10empty_typeEEEZNS1_21radix_sort_block_sortIS4_Lb1EPxS9_PS6_SA_NS0_19identity_decomposerEEE10hipError_tT1_T2_T3_T4_jRjT5_jjP12ihipStream_tbEUlT_E_NS1_11comp_targetILNS1_3genE8ELNS1_11target_archE1030ELNS1_3gpuE2ELNS1_3repE0EEENS1_44radix_sort_block_sort_config_static_selectorELNS0_4arch9wavefront6targetE1EEEvSD_
	.globl	_ZN7rocprim17ROCPRIM_400000_NS6detail17trampoline_kernelINS0_13kernel_configILj256ELj4ELj4294967295EEENS1_37radix_sort_block_sort_config_selectorIxNS0_10empty_typeEEEZNS1_21radix_sort_block_sortIS4_Lb1EPxS9_PS6_SA_NS0_19identity_decomposerEEE10hipError_tT1_T2_T3_T4_jRjT5_jjP12ihipStream_tbEUlT_E_NS1_11comp_targetILNS1_3genE8ELNS1_11target_archE1030ELNS1_3gpuE2ELNS1_3repE0EEENS1_44radix_sort_block_sort_config_static_selectorELNS0_4arch9wavefront6targetE1EEEvSD_
	.p2align	8
	.type	_ZN7rocprim17ROCPRIM_400000_NS6detail17trampoline_kernelINS0_13kernel_configILj256ELj4ELj4294967295EEENS1_37radix_sort_block_sort_config_selectorIxNS0_10empty_typeEEEZNS1_21radix_sort_block_sortIS4_Lb1EPxS9_PS6_SA_NS0_19identity_decomposerEEE10hipError_tT1_T2_T3_T4_jRjT5_jjP12ihipStream_tbEUlT_E_NS1_11comp_targetILNS1_3genE8ELNS1_11target_archE1030ELNS1_3gpuE2ELNS1_3repE0EEENS1_44radix_sort_block_sort_config_static_selectorELNS0_4arch9wavefront6targetE1EEEvSD_,@function
_ZN7rocprim17ROCPRIM_400000_NS6detail17trampoline_kernelINS0_13kernel_configILj256ELj4ELj4294967295EEENS1_37radix_sort_block_sort_config_selectorIxNS0_10empty_typeEEEZNS1_21radix_sort_block_sortIS4_Lb1EPxS9_PS6_SA_NS0_19identity_decomposerEEE10hipError_tT1_T2_T3_T4_jRjT5_jjP12ihipStream_tbEUlT_E_NS1_11comp_targetILNS1_3genE8ELNS1_11target_archE1030ELNS1_3gpuE2ELNS1_3repE0EEENS1_44radix_sort_block_sort_config_static_selectorELNS0_4arch9wavefront6targetE1EEEvSD_: ; @_ZN7rocprim17ROCPRIM_400000_NS6detail17trampoline_kernelINS0_13kernel_configILj256ELj4ELj4294967295EEENS1_37radix_sort_block_sort_config_selectorIxNS0_10empty_typeEEEZNS1_21radix_sort_block_sortIS4_Lb1EPxS9_PS6_SA_NS0_19identity_decomposerEEE10hipError_tT1_T2_T3_T4_jRjT5_jjP12ihipStream_tbEUlT_E_NS1_11comp_targetILNS1_3genE8ELNS1_11target_archE1030ELNS1_3gpuE2ELNS1_3repE0EEENS1_44radix_sort_block_sort_config_static_selectorELNS0_4arch9wavefront6targetE1EEEvSD_
; %bb.0:
	.section	.rodata,"a",@progbits
	.p2align	6, 0x0
	.amdhsa_kernel _ZN7rocprim17ROCPRIM_400000_NS6detail17trampoline_kernelINS0_13kernel_configILj256ELj4ELj4294967295EEENS1_37radix_sort_block_sort_config_selectorIxNS0_10empty_typeEEEZNS1_21radix_sort_block_sortIS4_Lb1EPxS9_PS6_SA_NS0_19identity_decomposerEEE10hipError_tT1_T2_T3_T4_jRjT5_jjP12ihipStream_tbEUlT_E_NS1_11comp_targetILNS1_3genE8ELNS1_11target_archE1030ELNS1_3gpuE2ELNS1_3repE0EEENS1_44radix_sort_block_sort_config_static_selectorELNS0_4arch9wavefront6targetE1EEEvSD_
		.amdhsa_group_segment_fixed_size 0
		.amdhsa_private_segment_fixed_size 0
		.amdhsa_kernarg_size 48
		.amdhsa_user_sgpr_count 6
		.amdhsa_user_sgpr_private_segment_buffer 1
		.amdhsa_user_sgpr_dispatch_ptr 0
		.amdhsa_user_sgpr_queue_ptr 0
		.amdhsa_user_sgpr_kernarg_segment_ptr 1
		.amdhsa_user_sgpr_dispatch_id 0
		.amdhsa_user_sgpr_flat_scratch_init 0
		.amdhsa_user_sgpr_kernarg_preload_length 0
		.amdhsa_user_sgpr_kernarg_preload_offset 0
		.amdhsa_user_sgpr_private_segment_size 0
		.amdhsa_uses_dynamic_stack 0
		.amdhsa_system_sgpr_private_segment_wavefront_offset 0
		.amdhsa_system_sgpr_workgroup_id_x 1
		.amdhsa_system_sgpr_workgroup_id_y 0
		.amdhsa_system_sgpr_workgroup_id_z 0
		.amdhsa_system_sgpr_workgroup_info 0
		.amdhsa_system_vgpr_workitem_id 0
		.amdhsa_next_free_vgpr 1
		.amdhsa_next_free_sgpr 0
		.amdhsa_accum_offset 4
		.amdhsa_reserve_vcc 0
		.amdhsa_reserve_flat_scratch 0
		.amdhsa_float_round_mode_32 0
		.amdhsa_float_round_mode_16_64 0
		.amdhsa_float_denorm_mode_32 3
		.amdhsa_float_denorm_mode_16_64 3
		.amdhsa_dx10_clamp 1
		.amdhsa_ieee_mode 1
		.amdhsa_fp16_overflow 0
		.amdhsa_tg_split 0
		.amdhsa_exception_fp_ieee_invalid_op 0
		.amdhsa_exception_fp_denorm_src 0
		.amdhsa_exception_fp_ieee_div_zero 0
		.amdhsa_exception_fp_ieee_overflow 0
		.amdhsa_exception_fp_ieee_underflow 0
		.amdhsa_exception_fp_ieee_inexact 0
		.amdhsa_exception_int_div_zero 0
	.end_amdhsa_kernel
	.section	.text._ZN7rocprim17ROCPRIM_400000_NS6detail17trampoline_kernelINS0_13kernel_configILj256ELj4ELj4294967295EEENS1_37radix_sort_block_sort_config_selectorIxNS0_10empty_typeEEEZNS1_21radix_sort_block_sortIS4_Lb1EPxS9_PS6_SA_NS0_19identity_decomposerEEE10hipError_tT1_T2_T3_T4_jRjT5_jjP12ihipStream_tbEUlT_E_NS1_11comp_targetILNS1_3genE8ELNS1_11target_archE1030ELNS1_3gpuE2ELNS1_3repE0EEENS1_44radix_sort_block_sort_config_static_selectorELNS0_4arch9wavefront6targetE1EEEvSD_,"axG",@progbits,_ZN7rocprim17ROCPRIM_400000_NS6detail17trampoline_kernelINS0_13kernel_configILj256ELj4ELj4294967295EEENS1_37radix_sort_block_sort_config_selectorIxNS0_10empty_typeEEEZNS1_21radix_sort_block_sortIS4_Lb1EPxS9_PS6_SA_NS0_19identity_decomposerEEE10hipError_tT1_T2_T3_T4_jRjT5_jjP12ihipStream_tbEUlT_E_NS1_11comp_targetILNS1_3genE8ELNS1_11target_archE1030ELNS1_3gpuE2ELNS1_3repE0EEENS1_44radix_sort_block_sort_config_static_selectorELNS0_4arch9wavefront6targetE1EEEvSD_,comdat
.Lfunc_end2317:
	.size	_ZN7rocprim17ROCPRIM_400000_NS6detail17trampoline_kernelINS0_13kernel_configILj256ELj4ELj4294967295EEENS1_37radix_sort_block_sort_config_selectorIxNS0_10empty_typeEEEZNS1_21radix_sort_block_sortIS4_Lb1EPxS9_PS6_SA_NS0_19identity_decomposerEEE10hipError_tT1_T2_T3_T4_jRjT5_jjP12ihipStream_tbEUlT_E_NS1_11comp_targetILNS1_3genE8ELNS1_11target_archE1030ELNS1_3gpuE2ELNS1_3repE0EEENS1_44radix_sort_block_sort_config_static_selectorELNS0_4arch9wavefront6targetE1EEEvSD_, .Lfunc_end2317-_ZN7rocprim17ROCPRIM_400000_NS6detail17trampoline_kernelINS0_13kernel_configILj256ELj4ELj4294967295EEENS1_37radix_sort_block_sort_config_selectorIxNS0_10empty_typeEEEZNS1_21radix_sort_block_sortIS4_Lb1EPxS9_PS6_SA_NS0_19identity_decomposerEEE10hipError_tT1_T2_T3_T4_jRjT5_jjP12ihipStream_tbEUlT_E_NS1_11comp_targetILNS1_3genE8ELNS1_11target_archE1030ELNS1_3gpuE2ELNS1_3repE0EEENS1_44radix_sort_block_sort_config_static_selectorELNS0_4arch9wavefront6targetE1EEEvSD_
                                        ; -- End function
	.section	.AMDGPU.csdata,"",@progbits
; Kernel info:
; codeLenInByte = 0
; NumSgprs: 4
; NumVgprs: 0
; NumAgprs: 0
; TotalNumVgprs: 0
; ScratchSize: 0
; MemoryBound: 0
; FloatMode: 240
; IeeeMode: 1
; LDSByteSize: 0 bytes/workgroup (compile time only)
; SGPRBlocks: 0
; VGPRBlocks: 0
; NumSGPRsForWavesPerEU: 4
; NumVGPRsForWavesPerEU: 1
; AccumOffset: 4
; Occupancy: 8
; WaveLimiterHint : 0
; COMPUTE_PGM_RSRC2:SCRATCH_EN: 0
; COMPUTE_PGM_RSRC2:USER_SGPR: 6
; COMPUTE_PGM_RSRC2:TRAP_HANDLER: 0
; COMPUTE_PGM_RSRC2:TGID_X_EN: 1
; COMPUTE_PGM_RSRC2:TGID_Y_EN: 0
; COMPUTE_PGM_RSRC2:TGID_Z_EN: 0
; COMPUTE_PGM_RSRC2:TIDIG_COMP_CNT: 0
; COMPUTE_PGM_RSRC3_GFX90A:ACCUM_OFFSET: 0
; COMPUTE_PGM_RSRC3_GFX90A:TG_SPLIT: 0
	.section	.text._ZN7rocprim17ROCPRIM_400000_NS6detail17trampoline_kernelINS0_14default_configENS1_38merge_sort_block_merge_config_selectorIxNS0_10empty_typeEEEZZNS1_27merge_sort_block_merge_implIS3_PxPS5_jNS1_19radix_merge_compareILb1ELb0ExNS0_19identity_decomposerEEEEE10hipError_tT0_T1_T2_jT3_P12ihipStream_tbPNSt15iterator_traitsISE_E10value_typeEPNSK_ISF_E10value_typeEPSG_NS1_7vsmem_tEENKUlT_SE_SF_SG_E_clIS8_S8_S9_S9_EESD_ST_SE_SF_SG_EUlST_E_NS1_11comp_targetILNS1_3genE0ELNS1_11target_archE4294967295ELNS1_3gpuE0ELNS1_3repE0EEENS1_48merge_mergepath_partition_config_static_selectorELNS0_4arch9wavefront6targetE1EEEvSF_,"axG",@progbits,_ZN7rocprim17ROCPRIM_400000_NS6detail17trampoline_kernelINS0_14default_configENS1_38merge_sort_block_merge_config_selectorIxNS0_10empty_typeEEEZZNS1_27merge_sort_block_merge_implIS3_PxPS5_jNS1_19radix_merge_compareILb1ELb0ExNS0_19identity_decomposerEEEEE10hipError_tT0_T1_T2_jT3_P12ihipStream_tbPNSt15iterator_traitsISE_E10value_typeEPNSK_ISF_E10value_typeEPSG_NS1_7vsmem_tEENKUlT_SE_SF_SG_E_clIS8_S8_S9_S9_EESD_ST_SE_SF_SG_EUlST_E_NS1_11comp_targetILNS1_3genE0ELNS1_11target_archE4294967295ELNS1_3gpuE0ELNS1_3repE0EEENS1_48merge_mergepath_partition_config_static_selectorELNS0_4arch9wavefront6targetE1EEEvSF_,comdat
	.protected	_ZN7rocprim17ROCPRIM_400000_NS6detail17trampoline_kernelINS0_14default_configENS1_38merge_sort_block_merge_config_selectorIxNS0_10empty_typeEEEZZNS1_27merge_sort_block_merge_implIS3_PxPS5_jNS1_19radix_merge_compareILb1ELb0ExNS0_19identity_decomposerEEEEE10hipError_tT0_T1_T2_jT3_P12ihipStream_tbPNSt15iterator_traitsISE_E10value_typeEPNSK_ISF_E10value_typeEPSG_NS1_7vsmem_tEENKUlT_SE_SF_SG_E_clIS8_S8_S9_S9_EESD_ST_SE_SF_SG_EUlST_E_NS1_11comp_targetILNS1_3genE0ELNS1_11target_archE4294967295ELNS1_3gpuE0ELNS1_3repE0EEENS1_48merge_mergepath_partition_config_static_selectorELNS0_4arch9wavefront6targetE1EEEvSF_ ; -- Begin function _ZN7rocprim17ROCPRIM_400000_NS6detail17trampoline_kernelINS0_14default_configENS1_38merge_sort_block_merge_config_selectorIxNS0_10empty_typeEEEZZNS1_27merge_sort_block_merge_implIS3_PxPS5_jNS1_19radix_merge_compareILb1ELb0ExNS0_19identity_decomposerEEEEE10hipError_tT0_T1_T2_jT3_P12ihipStream_tbPNSt15iterator_traitsISE_E10value_typeEPNSK_ISF_E10value_typeEPSG_NS1_7vsmem_tEENKUlT_SE_SF_SG_E_clIS8_S8_S9_S9_EESD_ST_SE_SF_SG_EUlST_E_NS1_11comp_targetILNS1_3genE0ELNS1_11target_archE4294967295ELNS1_3gpuE0ELNS1_3repE0EEENS1_48merge_mergepath_partition_config_static_selectorELNS0_4arch9wavefront6targetE1EEEvSF_
	.globl	_ZN7rocprim17ROCPRIM_400000_NS6detail17trampoline_kernelINS0_14default_configENS1_38merge_sort_block_merge_config_selectorIxNS0_10empty_typeEEEZZNS1_27merge_sort_block_merge_implIS3_PxPS5_jNS1_19radix_merge_compareILb1ELb0ExNS0_19identity_decomposerEEEEE10hipError_tT0_T1_T2_jT3_P12ihipStream_tbPNSt15iterator_traitsISE_E10value_typeEPNSK_ISF_E10value_typeEPSG_NS1_7vsmem_tEENKUlT_SE_SF_SG_E_clIS8_S8_S9_S9_EESD_ST_SE_SF_SG_EUlST_E_NS1_11comp_targetILNS1_3genE0ELNS1_11target_archE4294967295ELNS1_3gpuE0ELNS1_3repE0EEENS1_48merge_mergepath_partition_config_static_selectorELNS0_4arch9wavefront6targetE1EEEvSF_
	.p2align	8
	.type	_ZN7rocprim17ROCPRIM_400000_NS6detail17trampoline_kernelINS0_14default_configENS1_38merge_sort_block_merge_config_selectorIxNS0_10empty_typeEEEZZNS1_27merge_sort_block_merge_implIS3_PxPS5_jNS1_19radix_merge_compareILb1ELb0ExNS0_19identity_decomposerEEEEE10hipError_tT0_T1_T2_jT3_P12ihipStream_tbPNSt15iterator_traitsISE_E10value_typeEPNSK_ISF_E10value_typeEPSG_NS1_7vsmem_tEENKUlT_SE_SF_SG_E_clIS8_S8_S9_S9_EESD_ST_SE_SF_SG_EUlST_E_NS1_11comp_targetILNS1_3genE0ELNS1_11target_archE4294967295ELNS1_3gpuE0ELNS1_3repE0EEENS1_48merge_mergepath_partition_config_static_selectorELNS0_4arch9wavefront6targetE1EEEvSF_,@function
_ZN7rocprim17ROCPRIM_400000_NS6detail17trampoline_kernelINS0_14default_configENS1_38merge_sort_block_merge_config_selectorIxNS0_10empty_typeEEEZZNS1_27merge_sort_block_merge_implIS3_PxPS5_jNS1_19radix_merge_compareILb1ELb0ExNS0_19identity_decomposerEEEEE10hipError_tT0_T1_T2_jT3_P12ihipStream_tbPNSt15iterator_traitsISE_E10value_typeEPNSK_ISF_E10value_typeEPSG_NS1_7vsmem_tEENKUlT_SE_SF_SG_E_clIS8_S8_S9_S9_EESD_ST_SE_SF_SG_EUlST_E_NS1_11comp_targetILNS1_3genE0ELNS1_11target_archE4294967295ELNS1_3gpuE0ELNS1_3repE0EEENS1_48merge_mergepath_partition_config_static_selectorELNS0_4arch9wavefront6targetE1EEEvSF_: ; @_ZN7rocprim17ROCPRIM_400000_NS6detail17trampoline_kernelINS0_14default_configENS1_38merge_sort_block_merge_config_selectorIxNS0_10empty_typeEEEZZNS1_27merge_sort_block_merge_implIS3_PxPS5_jNS1_19radix_merge_compareILb1ELb0ExNS0_19identity_decomposerEEEEE10hipError_tT0_T1_T2_jT3_P12ihipStream_tbPNSt15iterator_traitsISE_E10value_typeEPNSK_ISF_E10value_typeEPSG_NS1_7vsmem_tEENKUlT_SE_SF_SG_E_clIS8_S8_S9_S9_EESD_ST_SE_SF_SG_EUlST_E_NS1_11comp_targetILNS1_3genE0ELNS1_11target_archE4294967295ELNS1_3gpuE0ELNS1_3repE0EEENS1_48merge_mergepath_partition_config_static_selectorELNS0_4arch9wavefront6targetE1EEEvSF_
; %bb.0:
	.section	.rodata,"a",@progbits
	.p2align	6, 0x0
	.amdhsa_kernel _ZN7rocprim17ROCPRIM_400000_NS6detail17trampoline_kernelINS0_14default_configENS1_38merge_sort_block_merge_config_selectorIxNS0_10empty_typeEEEZZNS1_27merge_sort_block_merge_implIS3_PxPS5_jNS1_19radix_merge_compareILb1ELb0ExNS0_19identity_decomposerEEEEE10hipError_tT0_T1_T2_jT3_P12ihipStream_tbPNSt15iterator_traitsISE_E10value_typeEPNSK_ISF_E10value_typeEPSG_NS1_7vsmem_tEENKUlT_SE_SF_SG_E_clIS8_S8_S9_S9_EESD_ST_SE_SF_SG_EUlST_E_NS1_11comp_targetILNS1_3genE0ELNS1_11target_archE4294967295ELNS1_3gpuE0ELNS1_3repE0EEENS1_48merge_mergepath_partition_config_static_selectorELNS0_4arch9wavefront6targetE1EEEvSF_
		.amdhsa_group_segment_fixed_size 0
		.amdhsa_private_segment_fixed_size 0
		.amdhsa_kernarg_size 40
		.amdhsa_user_sgpr_count 6
		.amdhsa_user_sgpr_private_segment_buffer 1
		.amdhsa_user_sgpr_dispatch_ptr 0
		.amdhsa_user_sgpr_queue_ptr 0
		.amdhsa_user_sgpr_kernarg_segment_ptr 1
		.amdhsa_user_sgpr_dispatch_id 0
		.amdhsa_user_sgpr_flat_scratch_init 0
		.amdhsa_user_sgpr_kernarg_preload_length 0
		.amdhsa_user_sgpr_kernarg_preload_offset 0
		.amdhsa_user_sgpr_private_segment_size 0
		.amdhsa_uses_dynamic_stack 0
		.amdhsa_system_sgpr_private_segment_wavefront_offset 0
		.amdhsa_system_sgpr_workgroup_id_x 1
		.amdhsa_system_sgpr_workgroup_id_y 0
		.amdhsa_system_sgpr_workgroup_id_z 0
		.amdhsa_system_sgpr_workgroup_info 0
		.amdhsa_system_vgpr_workitem_id 0
		.amdhsa_next_free_vgpr 1
		.amdhsa_next_free_sgpr 0
		.amdhsa_accum_offset 4
		.amdhsa_reserve_vcc 0
		.amdhsa_reserve_flat_scratch 0
		.amdhsa_float_round_mode_32 0
		.amdhsa_float_round_mode_16_64 0
		.amdhsa_float_denorm_mode_32 3
		.amdhsa_float_denorm_mode_16_64 3
		.amdhsa_dx10_clamp 1
		.amdhsa_ieee_mode 1
		.amdhsa_fp16_overflow 0
		.amdhsa_tg_split 0
		.amdhsa_exception_fp_ieee_invalid_op 0
		.amdhsa_exception_fp_denorm_src 0
		.amdhsa_exception_fp_ieee_div_zero 0
		.amdhsa_exception_fp_ieee_overflow 0
		.amdhsa_exception_fp_ieee_underflow 0
		.amdhsa_exception_fp_ieee_inexact 0
		.amdhsa_exception_int_div_zero 0
	.end_amdhsa_kernel
	.section	.text._ZN7rocprim17ROCPRIM_400000_NS6detail17trampoline_kernelINS0_14default_configENS1_38merge_sort_block_merge_config_selectorIxNS0_10empty_typeEEEZZNS1_27merge_sort_block_merge_implIS3_PxPS5_jNS1_19radix_merge_compareILb1ELb0ExNS0_19identity_decomposerEEEEE10hipError_tT0_T1_T2_jT3_P12ihipStream_tbPNSt15iterator_traitsISE_E10value_typeEPNSK_ISF_E10value_typeEPSG_NS1_7vsmem_tEENKUlT_SE_SF_SG_E_clIS8_S8_S9_S9_EESD_ST_SE_SF_SG_EUlST_E_NS1_11comp_targetILNS1_3genE0ELNS1_11target_archE4294967295ELNS1_3gpuE0ELNS1_3repE0EEENS1_48merge_mergepath_partition_config_static_selectorELNS0_4arch9wavefront6targetE1EEEvSF_,"axG",@progbits,_ZN7rocprim17ROCPRIM_400000_NS6detail17trampoline_kernelINS0_14default_configENS1_38merge_sort_block_merge_config_selectorIxNS0_10empty_typeEEEZZNS1_27merge_sort_block_merge_implIS3_PxPS5_jNS1_19radix_merge_compareILb1ELb0ExNS0_19identity_decomposerEEEEE10hipError_tT0_T1_T2_jT3_P12ihipStream_tbPNSt15iterator_traitsISE_E10value_typeEPNSK_ISF_E10value_typeEPSG_NS1_7vsmem_tEENKUlT_SE_SF_SG_E_clIS8_S8_S9_S9_EESD_ST_SE_SF_SG_EUlST_E_NS1_11comp_targetILNS1_3genE0ELNS1_11target_archE4294967295ELNS1_3gpuE0ELNS1_3repE0EEENS1_48merge_mergepath_partition_config_static_selectorELNS0_4arch9wavefront6targetE1EEEvSF_,comdat
.Lfunc_end2318:
	.size	_ZN7rocprim17ROCPRIM_400000_NS6detail17trampoline_kernelINS0_14default_configENS1_38merge_sort_block_merge_config_selectorIxNS0_10empty_typeEEEZZNS1_27merge_sort_block_merge_implIS3_PxPS5_jNS1_19radix_merge_compareILb1ELb0ExNS0_19identity_decomposerEEEEE10hipError_tT0_T1_T2_jT3_P12ihipStream_tbPNSt15iterator_traitsISE_E10value_typeEPNSK_ISF_E10value_typeEPSG_NS1_7vsmem_tEENKUlT_SE_SF_SG_E_clIS8_S8_S9_S9_EESD_ST_SE_SF_SG_EUlST_E_NS1_11comp_targetILNS1_3genE0ELNS1_11target_archE4294967295ELNS1_3gpuE0ELNS1_3repE0EEENS1_48merge_mergepath_partition_config_static_selectorELNS0_4arch9wavefront6targetE1EEEvSF_, .Lfunc_end2318-_ZN7rocprim17ROCPRIM_400000_NS6detail17trampoline_kernelINS0_14default_configENS1_38merge_sort_block_merge_config_selectorIxNS0_10empty_typeEEEZZNS1_27merge_sort_block_merge_implIS3_PxPS5_jNS1_19radix_merge_compareILb1ELb0ExNS0_19identity_decomposerEEEEE10hipError_tT0_T1_T2_jT3_P12ihipStream_tbPNSt15iterator_traitsISE_E10value_typeEPNSK_ISF_E10value_typeEPSG_NS1_7vsmem_tEENKUlT_SE_SF_SG_E_clIS8_S8_S9_S9_EESD_ST_SE_SF_SG_EUlST_E_NS1_11comp_targetILNS1_3genE0ELNS1_11target_archE4294967295ELNS1_3gpuE0ELNS1_3repE0EEENS1_48merge_mergepath_partition_config_static_selectorELNS0_4arch9wavefront6targetE1EEEvSF_
                                        ; -- End function
	.section	.AMDGPU.csdata,"",@progbits
; Kernel info:
; codeLenInByte = 0
; NumSgprs: 4
; NumVgprs: 0
; NumAgprs: 0
; TotalNumVgprs: 0
; ScratchSize: 0
; MemoryBound: 0
; FloatMode: 240
; IeeeMode: 1
; LDSByteSize: 0 bytes/workgroup (compile time only)
; SGPRBlocks: 0
; VGPRBlocks: 0
; NumSGPRsForWavesPerEU: 4
; NumVGPRsForWavesPerEU: 1
; AccumOffset: 4
; Occupancy: 8
; WaveLimiterHint : 0
; COMPUTE_PGM_RSRC2:SCRATCH_EN: 0
; COMPUTE_PGM_RSRC2:USER_SGPR: 6
; COMPUTE_PGM_RSRC2:TRAP_HANDLER: 0
; COMPUTE_PGM_RSRC2:TGID_X_EN: 1
; COMPUTE_PGM_RSRC2:TGID_Y_EN: 0
; COMPUTE_PGM_RSRC2:TGID_Z_EN: 0
; COMPUTE_PGM_RSRC2:TIDIG_COMP_CNT: 0
; COMPUTE_PGM_RSRC3_GFX90A:ACCUM_OFFSET: 0
; COMPUTE_PGM_RSRC3_GFX90A:TG_SPLIT: 0
	.section	.text._ZN7rocprim17ROCPRIM_400000_NS6detail17trampoline_kernelINS0_14default_configENS1_38merge_sort_block_merge_config_selectorIxNS0_10empty_typeEEEZZNS1_27merge_sort_block_merge_implIS3_PxPS5_jNS1_19radix_merge_compareILb1ELb0ExNS0_19identity_decomposerEEEEE10hipError_tT0_T1_T2_jT3_P12ihipStream_tbPNSt15iterator_traitsISE_E10value_typeEPNSK_ISF_E10value_typeEPSG_NS1_7vsmem_tEENKUlT_SE_SF_SG_E_clIS8_S8_S9_S9_EESD_ST_SE_SF_SG_EUlST_E_NS1_11comp_targetILNS1_3genE10ELNS1_11target_archE1201ELNS1_3gpuE5ELNS1_3repE0EEENS1_48merge_mergepath_partition_config_static_selectorELNS0_4arch9wavefront6targetE1EEEvSF_,"axG",@progbits,_ZN7rocprim17ROCPRIM_400000_NS6detail17trampoline_kernelINS0_14default_configENS1_38merge_sort_block_merge_config_selectorIxNS0_10empty_typeEEEZZNS1_27merge_sort_block_merge_implIS3_PxPS5_jNS1_19radix_merge_compareILb1ELb0ExNS0_19identity_decomposerEEEEE10hipError_tT0_T1_T2_jT3_P12ihipStream_tbPNSt15iterator_traitsISE_E10value_typeEPNSK_ISF_E10value_typeEPSG_NS1_7vsmem_tEENKUlT_SE_SF_SG_E_clIS8_S8_S9_S9_EESD_ST_SE_SF_SG_EUlST_E_NS1_11comp_targetILNS1_3genE10ELNS1_11target_archE1201ELNS1_3gpuE5ELNS1_3repE0EEENS1_48merge_mergepath_partition_config_static_selectorELNS0_4arch9wavefront6targetE1EEEvSF_,comdat
	.protected	_ZN7rocprim17ROCPRIM_400000_NS6detail17trampoline_kernelINS0_14default_configENS1_38merge_sort_block_merge_config_selectorIxNS0_10empty_typeEEEZZNS1_27merge_sort_block_merge_implIS3_PxPS5_jNS1_19radix_merge_compareILb1ELb0ExNS0_19identity_decomposerEEEEE10hipError_tT0_T1_T2_jT3_P12ihipStream_tbPNSt15iterator_traitsISE_E10value_typeEPNSK_ISF_E10value_typeEPSG_NS1_7vsmem_tEENKUlT_SE_SF_SG_E_clIS8_S8_S9_S9_EESD_ST_SE_SF_SG_EUlST_E_NS1_11comp_targetILNS1_3genE10ELNS1_11target_archE1201ELNS1_3gpuE5ELNS1_3repE0EEENS1_48merge_mergepath_partition_config_static_selectorELNS0_4arch9wavefront6targetE1EEEvSF_ ; -- Begin function _ZN7rocprim17ROCPRIM_400000_NS6detail17trampoline_kernelINS0_14default_configENS1_38merge_sort_block_merge_config_selectorIxNS0_10empty_typeEEEZZNS1_27merge_sort_block_merge_implIS3_PxPS5_jNS1_19radix_merge_compareILb1ELb0ExNS0_19identity_decomposerEEEEE10hipError_tT0_T1_T2_jT3_P12ihipStream_tbPNSt15iterator_traitsISE_E10value_typeEPNSK_ISF_E10value_typeEPSG_NS1_7vsmem_tEENKUlT_SE_SF_SG_E_clIS8_S8_S9_S9_EESD_ST_SE_SF_SG_EUlST_E_NS1_11comp_targetILNS1_3genE10ELNS1_11target_archE1201ELNS1_3gpuE5ELNS1_3repE0EEENS1_48merge_mergepath_partition_config_static_selectorELNS0_4arch9wavefront6targetE1EEEvSF_
	.globl	_ZN7rocprim17ROCPRIM_400000_NS6detail17trampoline_kernelINS0_14default_configENS1_38merge_sort_block_merge_config_selectorIxNS0_10empty_typeEEEZZNS1_27merge_sort_block_merge_implIS3_PxPS5_jNS1_19radix_merge_compareILb1ELb0ExNS0_19identity_decomposerEEEEE10hipError_tT0_T1_T2_jT3_P12ihipStream_tbPNSt15iterator_traitsISE_E10value_typeEPNSK_ISF_E10value_typeEPSG_NS1_7vsmem_tEENKUlT_SE_SF_SG_E_clIS8_S8_S9_S9_EESD_ST_SE_SF_SG_EUlST_E_NS1_11comp_targetILNS1_3genE10ELNS1_11target_archE1201ELNS1_3gpuE5ELNS1_3repE0EEENS1_48merge_mergepath_partition_config_static_selectorELNS0_4arch9wavefront6targetE1EEEvSF_
	.p2align	8
	.type	_ZN7rocprim17ROCPRIM_400000_NS6detail17trampoline_kernelINS0_14default_configENS1_38merge_sort_block_merge_config_selectorIxNS0_10empty_typeEEEZZNS1_27merge_sort_block_merge_implIS3_PxPS5_jNS1_19radix_merge_compareILb1ELb0ExNS0_19identity_decomposerEEEEE10hipError_tT0_T1_T2_jT3_P12ihipStream_tbPNSt15iterator_traitsISE_E10value_typeEPNSK_ISF_E10value_typeEPSG_NS1_7vsmem_tEENKUlT_SE_SF_SG_E_clIS8_S8_S9_S9_EESD_ST_SE_SF_SG_EUlST_E_NS1_11comp_targetILNS1_3genE10ELNS1_11target_archE1201ELNS1_3gpuE5ELNS1_3repE0EEENS1_48merge_mergepath_partition_config_static_selectorELNS0_4arch9wavefront6targetE1EEEvSF_,@function
_ZN7rocprim17ROCPRIM_400000_NS6detail17trampoline_kernelINS0_14default_configENS1_38merge_sort_block_merge_config_selectorIxNS0_10empty_typeEEEZZNS1_27merge_sort_block_merge_implIS3_PxPS5_jNS1_19radix_merge_compareILb1ELb0ExNS0_19identity_decomposerEEEEE10hipError_tT0_T1_T2_jT3_P12ihipStream_tbPNSt15iterator_traitsISE_E10value_typeEPNSK_ISF_E10value_typeEPSG_NS1_7vsmem_tEENKUlT_SE_SF_SG_E_clIS8_S8_S9_S9_EESD_ST_SE_SF_SG_EUlST_E_NS1_11comp_targetILNS1_3genE10ELNS1_11target_archE1201ELNS1_3gpuE5ELNS1_3repE0EEENS1_48merge_mergepath_partition_config_static_selectorELNS0_4arch9wavefront6targetE1EEEvSF_: ; @_ZN7rocprim17ROCPRIM_400000_NS6detail17trampoline_kernelINS0_14default_configENS1_38merge_sort_block_merge_config_selectorIxNS0_10empty_typeEEEZZNS1_27merge_sort_block_merge_implIS3_PxPS5_jNS1_19radix_merge_compareILb1ELb0ExNS0_19identity_decomposerEEEEE10hipError_tT0_T1_T2_jT3_P12ihipStream_tbPNSt15iterator_traitsISE_E10value_typeEPNSK_ISF_E10value_typeEPSG_NS1_7vsmem_tEENKUlT_SE_SF_SG_E_clIS8_S8_S9_S9_EESD_ST_SE_SF_SG_EUlST_E_NS1_11comp_targetILNS1_3genE10ELNS1_11target_archE1201ELNS1_3gpuE5ELNS1_3repE0EEENS1_48merge_mergepath_partition_config_static_selectorELNS0_4arch9wavefront6targetE1EEEvSF_
; %bb.0:
	.section	.rodata,"a",@progbits
	.p2align	6, 0x0
	.amdhsa_kernel _ZN7rocprim17ROCPRIM_400000_NS6detail17trampoline_kernelINS0_14default_configENS1_38merge_sort_block_merge_config_selectorIxNS0_10empty_typeEEEZZNS1_27merge_sort_block_merge_implIS3_PxPS5_jNS1_19radix_merge_compareILb1ELb0ExNS0_19identity_decomposerEEEEE10hipError_tT0_T1_T2_jT3_P12ihipStream_tbPNSt15iterator_traitsISE_E10value_typeEPNSK_ISF_E10value_typeEPSG_NS1_7vsmem_tEENKUlT_SE_SF_SG_E_clIS8_S8_S9_S9_EESD_ST_SE_SF_SG_EUlST_E_NS1_11comp_targetILNS1_3genE10ELNS1_11target_archE1201ELNS1_3gpuE5ELNS1_3repE0EEENS1_48merge_mergepath_partition_config_static_selectorELNS0_4arch9wavefront6targetE1EEEvSF_
		.amdhsa_group_segment_fixed_size 0
		.amdhsa_private_segment_fixed_size 0
		.amdhsa_kernarg_size 40
		.amdhsa_user_sgpr_count 6
		.amdhsa_user_sgpr_private_segment_buffer 1
		.amdhsa_user_sgpr_dispatch_ptr 0
		.amdhsa_user_sgpr_queue_ptr 0
		.amdhsa_user_sgpr_kernarg_segment_ptr 1
		.amdhsa_user_sgpr_dispatch_id 0
		.amdhsa_user_sgpr_flat_scratch_init 0
		.amdhsa_user_sgpr_kernarg_preload_length 0
		.amdhsa_user_sgpr_kernarg_preload_offset 0
		.amdhsa_user_sgpr_private_segment_size 0
		.amdhsa_uses_dynamic_stack 0
		.amdhsa_system_sgpr_private_segment_wavefront_offset 0
		.amdhsa_system_sgpr_workgroup_id_x 1
		.amdhsa_system_sgpr_workgroup_id_y 0
		.amdhsa_system_sgpr_workgroup_id_z 0
		.amdhsa_system_sgpr_workgroup_info 0
		.amdhsa_system_vgpr_workitem_id 0
		.amdhsa_next_free_vgpr 1
		.amdhsa_next_free_sgpr 0
		.amdhsa_accum_offset 4
		.amdhsa_reserve_vcc 0
		.amdhsa_reserve_flat_scratch 0
		.amdhsa_float_round_mode_32 0
		.amdhsa_float_round_mode_16_64 0
		.amdhsa_float_denorm_mode_32 3
		.amdhsa_float_denorm_mode_16_64 3
		.amdhsa_dx10_clamp 1
		.amdhsa_ieee_mode 1
		.amdhsa_fp16_overflow 0
		.amdhsa_tg_split 0
		.amdhsa_exception_fp_ieee_invalid_op 0
		.amdhsa_exception_fp_denorm_src 0
		.amdhsa_exception_fp_ieee_div_zero 0
		.amdhsa_exception_fp_ieee_overflow 0
		.amdhsa_exception_fp_ieee_underflow 0
		.amdhsa_exception_fp_ieee_inexact 0
		.amdhsa_exception_int_div_zero 0
	.end_amdhsa_kernel
	.section	.text._ZN7rocprim17ROCPRIM_400000_NS6detail17trampoline_kernelINS0_14default_configENS1_38merge_sort_block_merge_config_selectorIxNS0_10empty_typeEEEZZNS1_27merge_sort_block_merge_implIS3_PxPS5_jNS1_19radix_merge_compareILb1ELb0ExNS0_19identity_decomposerEEEEE10hipError_tT0_T1_T2_jT3_P12ihipStream_tbPNSt15iterator_traitsISE_E10value_typeEPNSK_ISF_E10value_typeEPSG_NS1_7vsmem_tEENKUlT_SE_SF_SG_E_clIS8_S8_S9_S9_EESD_ST_SE_SF_SG_EUlST_E_NS1_11comp_targetILNS1_3genE10ELNS1_11target_archE1201ELNS1_3gpuE5ELNS1_3repE0EEENS1_48merge_mergepath_partition_config_static_selectorELNS0_4arch9wavefront6targetE1EEEvSF_,"axG",@progbits,_ZN7rocprim17ROCPRIM_400000_NS6detail17trampoline_kernelINS0_14default_configENS1_38merge_sort_block_merge_config_selectorIxNS0_10empty_typeEEEZZNS1_27merge_sort_block_merge_implIS3_PxPS5_jNS1_19radix_merge_compareILb1ELb0ExNS0_19identity_decomposerEEEEE10hipError_tT0_T1_T2_jT3_P12ihipStream_tbPNSt15iterator_traitsISE_E10value_typeEPNSK_ISF_E10value_typeEPSG_NS1_7vsmem_tEENKUlT_SE_SF_SG_E_clIS8_S8_S9_S9_EESD_ST_SE_SF_SG_EUlST_E_NS1_11comp_targetILNS1_3genE10ELNS1_11target_archE1201ELNS1_3gpuE5ELNS1_3repE0EEENS1_48merge_mergepath_partition_config_static_selectorELNS0_4arch9wavefront6targetE1EEEvSF_,comdat
.Lfunc_end2319:
	.size	_ZN7rocprim17ROCPRIM_400000_NS6detail17trampoline_kernelINS0_14default_configENS1_38merge_sort_block_merge_config_selectorIxNS0_10empty_typeEEEZZNS1_27merge_sort_block_merge_implIS3_PxPS5_jNS1_19radix_merge_compareILb1ELb0ExNS0_19identity_decomposerEEEEE10hipError_tT0_T1_T2_jT3_P12ihipStream_tbPNSt15iterator_traitsISE_E10value_typeEPNSK_ISF_E10value_typeEPSG_NS1_7vsmem_tEENKUlT_SE_SF_SG_E_clIS8_S8_S9_S9_EESD_ST_SE_SF_SG_EUlST_E_NS1_11comp_targetILNS1_3genE10ELNS1_11target_archE1201ELNS1_3gpuE5ELNS1_3repE0EEENS1_48merge_mergepath_partition_config_static_selectorELNS0_4arch9wavefront6targetE1EEEvSF_, .Lfunc_end2319-_ZN7rocprim17ROCPRIM_400000_NS6detail17trampoline_kernelINS0_14default_configENS1_38merge_sort_block_merge_config_selectorIxNS0_10empty_typeEEEZZNS1_27merge_sort_block_merge_implIS3_PxPS5_jNS1_19radix_merge_compareILb1ELb0ExNS0_19identity_decomposerEEEEE10hipError_tT0_T1_T2_jT3_P12ihipStream_tbPNSt15iterator_traitsISE_E10value_typeEPNSK_ISF_E10value_typeEPSG_NS1_7vsmem_tEENKUlT_SE_SF_SG_E_clIS8_S8_S9_S9_EESD_ST_SE_SF_SG_EUlST_E_NS1_11comp_targetILNS1_3genE10ELNS1_11target_archE1201ELNS1_3gpuE5ELNS1_3repE0EEENS1_48merge_mergepath_partition_config_static_selectorELNS0_4arch9wavefront6targetE1EEEvSF_
                                        ; -- End function
	.section	.AMDGPU.csdata,"",@progbits
; Kernel info:
; codeLenInByte = 0
; NumSgprs: 4
; NumVgprs: 0
; NumAgprs: 0
; TotalNumVgprs: 0
; ScratchSize: 0
; MemoryBound: 0
; FloatMode: 240
; IeeeMode: 1
; LDSByteSize: 0 bytes/workgroup (compile time only)
; SGPRBlocks: 0
; VGPRBlocks: 0
; NumSGPRsForWavesPerEU: 4
; NumVGPRsForWavesPerEU: 1
; AccumOffset: 4
; Occupancy: 8
; WaveLimiterHint : 0
; COMPUTE_PGM_RSRC2:SCRATCH_EN: 0
; COMPUTE_PGM_RSRC2:USER_SGPR: 6
; COMPUTE_PGM_RSRC2:TRAP_HANDLER: 0
; COMPUTE_PGM_RSRC2:TGID_X_EN: 1
; COMPUTE_PGM_RSRC2:TGID_Y_EN: 0
; COMPUTE_PGM_RSRC2:TGID_Z_EN: 0
; COMPUTE_PGM_RSRC2:TIDIG_COMP_CNT: 0
; COMPUTE_PGM_RSRC3_GFX90A:ACCUM_OFFSET: 0
; COMPUTE_PGM_RSRC3_GFX90A:TG_SPLIT: 0
	.section	.text._ZN7rocprim17ROCPRIM_400000_NS6detail17trampoline_kernelINS0_14default_configENS1_38merge_sort_block_merge_config_selectorIxNS0_10empty_typeEEEZZNS1_27merge_sort_block_merge_implIS3_PxPS5_jNS1_19radix_merge_compareILb1ELb0ExNS0_19identity_decomposerEEEEE10hipError_tT0_T1_T2_jT3_P12ihipStream_tbPNSt15iterator_traitsISE_E10value_typeEPNSK_ISF_E10value_typeEPSG_NS1_7vsmem_tEENKUlT_SE_SF_SG_E_clIS8_S8_S9_S9_EESD_ST_SE_SF_SG_EUlST_E_NS1_11comp_targetILNS1_3genE5ELNS1_11target_archE942ELNS1_3gpuE9ELNS1_3repE0EEENS1_48merge_mergepath_partition_config_static_selectorELNS0_4arch9wavefront6targetE1EEEvSF_,"axG",@progbits,_ZN7rocprim17ROCPRIM_400000_NS6detail17trampoline_kernelINS0_14default_configENS1_38merge_sort_block_merge_config_selectorIxNS0_10empty_typeEEEZZNS1_27merge_sort_block_merge_implIS3_PxPS5_jNS1_19radix_merge_compareILb1ELb0ExNS0_19identity_decomposerEEEEE10hipError_tT0_T1_T2_jT3_P12ihipStream_tbPNSt15iterator_traitsISE_E10value_typeEPNSK_ISF_E10value_typeEPSG_NS1_7vsmem_tEENKUlT_SE_SF_SG_E_clIS8_S8_S9_S9_EESD_ST_SE_SF_SG_EUlST_E_NS1_11comp_targetILNS1_3genE5ELNS1_11target_archE942ELNS1_3gpuE9ELNS1_3repE0EEENS1_48merge_mergepath_partition_config_static_selectorELNS0_4arch9wavefront6targetE1EEEvSF_,comdat
	.protected	_ZN7rocprim17ROCPRIM_400000_NS6detail17trampoline_kernelINS0_14default_configENS1_38merge_sort_block_merge_config_selectorIxNS0_10empty_typeEEEZZNS1_27merge_sort_block_merge_implIS3_PxPS5_jNS1_19radix_merge_compareILb1ELb0ExNS0_19identity_decomposerEEEEE10hipError_tT0_T1_T2_jT3_P12ihipStream_tbPNSt15iterator_traitsISE_E10value_typeEPNSK_ISF_E10value_typeEPSG_NS1_7vsmem_tEENKUlT_SE_SF_SG_E_clIS8_S8_S9_S9_EESD_ST_SE_SF_SG_EUlST_E_NS1_11comp_targetILNS1_3genE5ELNS1_11target_archE942ELNS1_3gpuE9ELNS1_3repE0EEENS1_48merge_mergepath_partition_config_static_selectorELNS0_4arch9wavefront6targetE1EEEvSF_ ; -- Begin function _ZN7rocprim17ROCPRIM_400000_NS6detail17trampoline_kernelINS0_14default_configENS1_38merge_sort_block_merge_config_selectorIxNS0_10empty_typeEEEZZNS1_27merge_sort_block_merge_implIS3_PxPS5_jNS1_19radix_merge_compareILb1ELb0ExNS0_19identity_decomposerEEEEE10hipError_tT0_T1_T2_jT3_P12ihipStream_tbPNSt15iterator_traitsISE_E10value_typeEPNSK_ISF_E10value_typeEPSG_NS1_7vsmem_tEENKUlT_SE_SF_SG_E_clIS8_S8_S9_S9_EESD_ST_SE_SF_SG_EUlST_E_NS1_11comp_targetILNS1_3genE5ELNS1_11target_archE942ELNS1_3gpuE9ELNS1_3repE0EEENS1_48merge_mergepath_partition_config_static_selectorELNS0_4arch9wavefront6targetE1EEEvSF_
	.globl	_ZN7rocprim17ROCPRIM_400000_NS6detail17trampoline_kernelINS0_14default_configENS1_38merge_sort_block_merge_config_selectorIxNS0_10empty_typeEEEZZNS1_27merge_sort_block_merge_implIS3_PxPS5_jNS1_19radix_merge_compareILb1ELb0ExNS0_19identity_decomposerEEEEE10hipError_tT0_T1_T2_jT3_P12ihipStream_tbPNSt15iterator_traitsISE_E10value_typeEPNSK_ISF_E10value_typeEPSG_NS1_7vsmem_tEENKUlT_SE_SF_SG_E_clIS8_S8_S9_S9_EESD_ST_SE_SF_SG_EUlST_E_NS1_11comp_targetILNS1_3genE5ELNS1_11target_archE942ELNS1_3gpuE9ELNS1_3repE0EEENS1_48merge_mergepath_partition_config_static_selectorELNS0_4arch9wavefront6targetE1EEEvSF_
	.p2align	8
	.type	_ZN7rocprim17ROCPRIM_400000_NS6detail17trampoline_kernelINS0_14default_configENS1_38merge_sort_block_merge_config_selectorIxNS0_10empty_typeEEEZZNS1_27merge_sort_block_merge_implIS3_PxPS5_jNS1_19radix_merge_compareILb1ELb0ExNS0_19identity_decomposerEEEEE10hipError_tT0_T1_T2_jT3_P12ihipStream_tbPNSt15iterator_traitsISE_E10value_typeEPNSK_ISF_E10value_typeEPSG_NS1_7vsmem_tEENKUlT_SE_SF_SG_E_clIS8_S8_S9_S9_EESD_ST_SE_SF_SG_EUlST_E_NS1_11comp_targetILNS1_3genE5ELNS1_11target_archE942ELNS1_3gpuE9ELNS1_3repE0EEENS1_48merge_mergepath_partition_config_static_selectorELNS0_4arch9wavefront6targetE1EEEvSF_,@function
_ZN7rocprim17ROCPRIM_400000_NS6detail17trampoline_kernelINS0_14default_configENS1_38merge_sort_block_merge_config_selectorIxNS0_10empty_typeEEEZZNS1_27merge_sort_block_merge_implIS3_PxPS5_jNS1_19radix_merge_compareILb1ELb0ExNS0_19identity_decomposerEEEEE10hipError_tT0_T1_T2_jT3_P12ihipStream_tbPNSt15iterator_traitsISE_E10value_typeEPNSK_ISF_E10value_typeEPSG_NS1_7vsmem_tEENKUlT_SE_SF_SG_E_clIS8_S8_S9_S9_EESD_ST_SE_SF_SG_EUlST_E_NS1_11comp_targetILNS1_3genE5ELNS1_11target_archE942ELNS1_3gpuE9ELNS1_3repE0EEENS1_48merge_mergepath_partition_config_static_selectorELNS0_4arch9wavefront6targetE1EEEvSF_: ; @_ZN7rocprim17ROCPRIM_400000_NS6detail17trampoline_kernelINS0_14default_configENS1_38merge_sort_block_merge_config_selectorIxNS0_10empty_typeEEEZZNS1_27merge_sort_block_merge_implIS3_PxPS5_jNS1_19radix_merge_compareILb1ELb0ExNS0_19identity_decomposerEEEEE10hipError_tT0_T1_T2_jT3_P12ihipStream_tbPNSt15iterator_traitsISE_E10value_typeEPNSK_ISF_E10value_typeEPSG_NS1_7vsmem_tEENKUlT_SE_SF_SG_E_clIS8_S8_S9_S9_EESD_ST_SE_SF_SG_EUlST_E_NS1_11comp_targetILNS1_3genE5ELNS1_11target_archE942ELNS1_3gpuE9ELNS1_3repE0EEENS1_48merge_mergepath_partition_config_static_selectorELNS0_4arch9wavefront6targetE1EEEvSF_
; %bb.0:
	.section	.rodata,"a",@progbits
	.p2align	6, 0x0
	.amdhsa_kernel _ZN7rocprim17ROCPRIM_400000_NS6detail17trampoline_kernelINS0_14default_configENS1_38merge_sort_block_merge_config_selectorIxNS0_10empty_typeEEEZZNS1_27merge_sort_block_merge_implIS3_PxPS5_jNS1_19radix_merge_compareILb1ELb0ExNS0_19identity_decomposerEEEEE10hipError_tT0_T1_T2_jT3_P12ihipStream_tbPNSt15iterator_traitsISE_E10value_typeEPNSK_ISF_E10value_typeEPSG_NS1_7vsmem_tEENKUlT_SE_SF_SG_E_clIS8_S8_S9_S9_EESD_ST_SE_SF_SG_EUlST_E_NS1_11comp_targetILNS1_3genE5ELNS1_11target_archE942ELNS1_3gpuE9ELNS1_3repE0EEENS1_48merge_mergepath_partition_config_static_selectorELNS0_4arch9wavefront6targetE1EEEvSF_
		.amdhsa_group_segment_fixed_size 0
		.amdhsa_private_segment_fixed_size 0
		.amdhsa_kernarg_size 40
		.amdhsa_user_sgpr_count 6
		.amdhsa_user_sgpr_private_segment_buffer 1
		.amdhsa_user_sgpr_dispatch_ptr 0
		.amdhsa_user_sgpr_queue_ptr 0
		.amdhsa_user_sgpr_kernarg_segment_ptr 1
		.amdhsa_user_sgpr_dispatch_id 0
		.amdhsa_user_sgpr_flat_scratch_init 0
		.amdhsa_user_sgpr_kernarg_preload_length 0
		.amdhsa_user_sgpr_kernarg_preload_offset 0
		.amdhsa_user_sgpr_private_segment_size 0
		.amdhsa_uses_dynamic_stack 0
		.amdhsa_system_sgpr_private_segment_wavefront_offset 0
		.amdhsa_system_sgpr_workgroup_id_x 1
		.amdhsa_system_sgpr_workgroup_id_y 0
		.amdhsa_system_sgpr_workgroup_id_z 0
		.amdhsa_system_sgpr_workgroup_info 0
		.amdhsa_system_vgpr_workitem_id 0
		.amdhsa_next_free_vgpr 1
		.amdhsa_next_free_sgpr 0
		.amdhsa_accum_offset 4
		.amdhsa_reserve_vcc 0
		.amdhsa_reserve_flat_scratch 0
		.amdhsa_float_round_mode_32 0
		.amdhsa_float_round_mode_16_64 0
		.amdhsa_float_denorm_mode_32 3
		.amdhsa_float_denorm_mode_16_64 3
		.amdhsa_dx10_clamp 1
		.amdhsa_ieee_mode 1
		.amdhsa_fp16_overflow 0
		.amdhsa_tg_split 0
		.amdhsa_exception_fp_ieee_invalid_op 0
		.amdhsa_exception_fp_denorm_src 0
		.amdhsa_exception_fp_ieee_div_zero 0
		.amdhsa_exception_fp_ieee_overflow 0
		.amdhsa_exception_fp_ieee_underflow 0
		.amdhsa_exception_fp_ieee_inexact 0
		.amdhsa_exception_int_div_zero 0
	.end_amdhsa_kernel
	.section	.text._ZN7rocprim17ROCPRIM_400000_NS6detail17trampoline_kernelINS0_14default_configENS1_38merge_sort_block_merge_config_selectorIxNS0_10empty_typeEEEZZNS1_27merge_sort_block_merge_implIS3_PxPS5_jNS1_19radix_merge_compareILb1ELb0ExNS0_19identity_decomposerEEEEE10hipError_tT0_T1_T2_jT3_P12ihipStream_tbPNSt15iterator_traitsISE_E10value_typeEPNSK_ISF_E10value_typeEPSG_NS1_7vsmem_tEENKUlT_SE_SF_SG_E_clIS8_S8_S9_S9_EESD_ST_SE_SF_SG_EUlST_E_NS1_11comp_targetILNS1_3genE5ELNS1_11target_archE942ELNS1_3gpuE9ELNS1_3repE0EEENS1_48merge_mergepath_partition_config_static_selectorELNS0_4arch9wavefront6targetE1EEEvSF_,"axG",@progbits,_ZN7rocprim17ROCPRIM_400000_NS6detail17trampoline_kernelINS0_14default_configENS1_38merge_sort_block_merge_config_selectorIxNS0_10empty_typeEEEZZNS1_27merge_sort_block_merge_implIS3_PxPS5_jNS1_19radix_merge_compareILb1ELb0ExNS0_19identity_decomposerEEEEE10hipError_tT0_T1_T2_jT3_P12ihipStream_tbPNSt15iterator_traitsISE_E10value_typeEPNSK_ISF_E10value_typeEPSG_NS1_7vsmem_tEENKUlT_SE_SF_SG_E_clIS8_S8_S9_S9_EESD_ST_SE_SF_SG_EUlST_E_NS1_11comp_targetILNS1_3genE5ELNS1_11target_archE942ELNS1_3gpuE9ELNS1_3repE0EEENS1_48merge_mergepath_partition_config_static_selectorELNS0_4arch9wavefront6targetE1EEEvSF_,comdat
.Lfunc_end2320:
	.size	_ZN7rocprim17ROCPRIM_400000_NS6detail17trampoline_kernelINS0_14default_configENS1_38merge_sort_block_merge_config_selectorIxNS0_10empty_typeEEEZZNS1_27merge_sort_block_merge_implIS3_PxPS5_jNS1_19radix_merge_compareILb1ELb0ExNS0_19identity_decomposerEEEEE10hipError_tT0_T1_T2_jT3_P12ihipStream_tbPNSt15iterator_traitsISE_E10value_typeEPNSK_ISF_E10value_typeEPSG_NS1_7vsmem_tEENKUlT_SE_SF_SG_E_clIS8_S8_S9_S9_EESD_ST_SE_SF_SG_EUlST_E_NS1_11comp_targetILNS1_3genE5ELNS1_11target_archE942ELNS1_3gpuE9ELNS1_3repE0EEENS1_48merge_mergepath_partition_config_static_selectorELNS0_4arch9wavefront6targetE1EEEvSF_, .Lfunc_end2320-_ZN7rocprim17ROCPRIM_400000_NS6detail17trampoline_kernelINS0_14default_configENS1_38merge_sort_block_merge_config_selectorIxNS0_10empty_typeEEEZZNS1_27merge_sort_block_merge_implIS3_PxPS5_jNS1_19radix_merge_compareILb1ELb0ExNS0_19identity_decomposerEEEEE10hipError_tT0_T1_T2_jT3_P12ihipStream_tbPNSt15iterator_traitsISE_E10value_typeEPNSK_ISF_E10value_typeEPSG_NS1_7vsmem_tEENKUlT_SE_SF_SG_E_clIS8_S8_S9_S9_EESD_ST_SE_SF_SG_EUlST_E_NS1_11comp_targetILNS1_3genE5ELNS1_11target_archE942ELNS1_3gpuE9ELNS1_3repE0EEENS1_48merge_mergepath_partition_config_static_selectorELNS0_4arch9wavefront6targetE1EEEvSF_
                                        ; -- End function
	.section	.AMDGPU.csdata,"",@progbits
; Kernel info:
; codeLenInByte = 0
; NumSgprs: 4
; NumVgprs: 0
; NumAgprs: 0
; TotalNumVgprs: 0
; ScratchSize: 0
; MemoryBound: 0
; FloatMode: 240
; IeeeMode: 1
; LDSByteSize: 0 bytes/workgroup (compile time only)
; SGPRBlocks: 0
; VGPRBlocks: 0
; NumSGPRsForWavesPerEU: 4
; NumVGPRsForWavesPerEU: 1
; AccumOffset: 4
; Occupancy: 8
; WaveLimiterHint : 0
; COMPUTE_PGM_RSRC2:SCRATCH_EN: 0
; COMPUTE_PGM_RSRC2:USER_SGPR: 6
; COMPUTE_PGM_RSRC2:TRAP_HANDLER: 0
; COMPUTE_PGM_RSRC2:TGID_X_EN: 1
; COMPUTE_PGM_RSRC2:TGID_Y_EN: 0
; COMPUTE_PGM_RSRC2:TGID_Z_EN: 0
; COMPUTE_PGM_RSRC2:TIDIG_COMP_CNT: 0
; COMPUTE_PGM_RSRC3_GFX90A:ACCUM_OFFSET: 0
; COMPUTE_PGM_RSRC3_GFX90A:TG_SPLIT: 0
	.section	.text._ZN7rocprim17ROCPRIM_400000_NS6detail17trampoline_kernelINS0_14default_configENS1_38merge_sort_block_merge_config_selectorIxNS0_10empty_typeEEEZZNS1_27merge_sort_block_merge_implIS3_PxPS5_jNS1_19radix_merge_compareILb1ELb0ExNS0_19identity_decomposerEEEEE10hipError_tT0_T1_T2_jT3_P12ihipStream_tbPNSt15iterator_traitsISE_E10value_typeEPNSK_ISF_E10value_typeEPSG_NS1_7vsmem_tEENKUlT_SE_SF_SG_E_clIS8_S8_S9_S9_EESD_ST_SE_SF_SG_EUlST_E_NS1_11comp_targetILNS1_3genE4ELNS1_11target_archE910ELNS1_3gpuE8ELNS1_3repE0EEENS1_48merge_mergepath_partition_config_static_selectorELNS0_4arch9wavefront6targetE1EEEvSF_,"axG",@progbits,_ZN7rocprim17ROCPRIM_400000_NS6detail17trampoline_kernelINS0_14default_configENS1_38merge_sort_block_merge_config_selectorIxNS0_10empty_typeEEEZZNS1_27merge_sort_block_merge_implIS3_PxPS5_jNS1_19radix_merge_compareILb1ELb0ExNS0_19identity_decomposerEEEEE10hipError_tT0_T1_T2_jT3_P12ihipStream_tbPNSt15iterator_traitsISE_E10value_typeEPNSK_ISF_E10value_typeEPSG_NS1_7vsmem_tEENKUlT_SE_SF_SG_E_clIS8_S8_S9_S9_EESD_ST_SE_SF_SG_EUlST_E_NS1_11comp_targetILNS1_3genE4ELNS1_11target_archE910ELNS1_3gpuE8ELNS1_3repE0EEENS1_48merge_mergepath_partition_config_static_selectorELNS0_4arch9wavefront6targetE1EEEvSF_,comdat
	.protected	_ZN7rocprim17ROCPRIM_400000_NS6detail17trampoline_kernelINS0_14default_configENS1_38merge_sort_block_merge_config_selectorIxNS0_10empty_typeEEEZZNS1_27merge_sort_block_merge_implIS3_PxPS5_jNS1_19radix_merge_compareILb1ELb0ExNS0_19identity_decomposerEEEEE10hipError_tT0_T1_T2_jT3_P12ihipStream_tbPNSt15iterator_traitsISE_E10value_typeEPNSK_ISF_E10value_typeEPSG_NS1_7vsmem_tEENKUlT_SE_SF_SG_E_clIS8_S8_S9_S9_EESD_ST_SE_SF_SG_EUlST_E_NS1_11comp_targetILNS1_3genE4ELNS1_11target_archE910ELNS1_3gpuE8ELNS1_3repE0EEENS1_48merge_mergepath_partition_config_static_selectorELNS0_4arch9wavefront6targetE1EEEvSF_ ; -- Begin function _ZN7rocprim17ROCPRIM_400000_NS6detail17trampoline_kernelINS0_14default_configENS1_38merge_sort_block_merge_config_selectorIxNS0_10empty_typeEEEZZNS1_27merge_sort_block_merge_implIS3_PxPS5_jNS1_19radix_merge_compareILb1ELb0ExNS0_19identity_decomposerEEEEE10hipError_tT0_T1_T2_jT3_P12ihipStream_tbPNSt15iterator_traitsISE_E10value_typeEPNSK_ISF_E10value_typeEPSG_NS1_7vsmem_tEENKUlT_SE_SF_SG_E_clIS8_S8_S9_S9_EESD_ST_SE_SF_SG_EUlST_E_NS1_11comp_targetILNS1_3genE4ELNS1_11target_archE910ELNS1_3gpuE8ELNS1_3repE0EEENS1_48merge_mergepath_partition_config_static_selectorELNS0_4arch9wavefront6targetE1EEEvSF_
	.globl	_ZN7rocprim17ROCPRIM_400000_NS6detail17trampoline_kernelINS0_14default_configENS1_38merge_sort_block_merge_config_selectorIxNS0_10empty_typeEEEZZNS1_27merge_sort_block_merge_implIS3_PxPS5_jNS1_19radix_merge_compareILb1ELb0ExNS0_19identity_decomposerEEEEE10hipError_tT0_T1_T2_jT3_P12ihipStream_tbPNSt15iterator_traitsISE_E10value_typeEPNSK_ISF_E10value_typeEPSG_NS1_7vsmem_tEENKUlT_SE_SF_SG_E_clIS8_S8_S9_S9_EESD_ST_SE_SF_SG_EUlST_E_NS1_11comp_targetILNS1_3genE4ELNS1_11target_archE910ELNS1_3gpuE8ELNS1_3repE0EEENS1_48merge_mergepath_partition_config_static_selectorELNS0_4arch9wavefront6targetE1EEEvSF_
	.p2align	8
	.type	_ZN7rocprim17ROCPRIM_400000_NS6detail17trampoline_kernelINS0_14default_configENS1_38merge_sort_block_merge_config_selectorIxNS0_10empty_typeEEEZZNS1_27merge_sort_block_merge_implIS3_PxPS5_jNS1_19radix_merge_compareILb1ELb0ExNS0_19identity_decomposerEEEEE10hipError_tT0_T1_T2_jT3_P12ihipStream_tbPNSt15iterator_traitsISE_E10value_typeEPNSK_ISF_E10value_typeEPSG_NS1_7vsmem_tEENKUlT_SE_SF_SG_E_clIS8_S8_S9_S9_EESD_ST_SE_SF_SG_EUlST_E_NS1_11comp_targetILNS1_3genE4ELNS1_11target_archE910ELNS1_3gpuE8ELNS1_3repE0EEENS1_48merge_mergepath_partition_config_static_selectorELNS0_4arch9wavefront6targetE1EEEvSF_,@function
_ZN7rocprim17ROCPRIM_400000_NS6detail17trampoline_kernelINS0_14default_configENS1_38merge_sort_block_merge_config_selectorIxNS0_10empty_typeEEEZZNS1_27merge_sort_block_merge_implIS3_PxPS5_jNS1_19radix_merge_compareILb1ELb0ExNS0_19identity_decomposerEEEEE10hipError_tT0_T1_T2_jT3_P12ihipStream_tbPNSt15iterator_traitsISE_E10value_typeEPNSK_ISF_E10value_typeEPSG_NS1_7vsmem_tEENKUlT_SE_SF_SG_E_clIS8_S8_S9_S9_EESD_ST_SE_SF_SG_EUlST_E_NS1_11comp_targetILNS1_3genE4ELNS1_11target_archE910ELNS1_3gpuE8ELNS1_3repE0EEENS1_48merge_mergepath_partition_config_static_selectorELNS0_4arch9wavefront6targetE1EEEvSF_: ; @_ZN7rocprim17ROCPRIM_400000_NS6detail17trampoline_kernelINS0_14default_configENS1_38merge_sort_block_merge_config_selectorIxNS0_10empty_typeEEEZZNS1_27merge_sort_block_merge_implIS3_PxPS5_jNS1_19radix_merge_compareILb1ELb0ExNS0_19identity_decomposerEEEEE10hipError_tT0_T1_T2_jT3_P12ihipStream_tbPNSt15iterator_traitsISE_E10value_typeEPNSK_ISF_E10value_typeEPSG_NS1_7vsmem_tEENKUlT_SE_SF_SG_E_clIS8_S8_S9_S9_EESD_ST_SE_SF_SG_EUlST_E_NS1_11comp_targetILNS1_3genE4ELNS1_11target_archE910ELNS1_3gpuE8ELNS1_3repE0EEENS1_48merge_mergepath_partition_config_static_selectorELNS0_4arch9wavefront6targetE1EEEvSF_
; %bb.0:
	s_load_dword s0, s[4:5], 0x0
	v_lshl_or_b32 v0, s6, 7, v0
	s_waitcnt lgkmcnt(0)
	v_cmp_gt_u32_e32 vcc, s0, v0
	s_and_saveexec_b64 s[0:1], vcc
	s_cbranch_execz .LBB2321_6
; %bb.1:
	s_load_dwordx2 s[2:3], s[4:5], 0x4
	s_load_dwordx2 s[0:1], s[4:5], 0x20
	s_waitcnt lgkmcnt(0)
	s_lshr_b32 s6, s2, 9
	s_and_b32 s6, s6, 0x7ffffe
	s_add_i32 s7, s6, -1
	s_sub_i32 s6, 0, s6
	v_and_b32_e32 v1, s6, v0
	v_lshlrev_b32_e32 v1, 10, v1
	v_min_u32_e32 v2, s3, v1
	v_add_u32_e32 v1, s2, v1
	v_min_u32_e32 v4, s3, v1
	v_add_u32_e32 v1, s2, v4
	v_and_b32_e32 v3, s7, v0
	v_min_u32_e32 v1, s3, v1
	v_sub_u32_e32 v5, v1, v2
	v_lshlrev_b32_e32 v3, 10, v3
	v_min_u32_e32 v6, v5, v3
	v_sub_u32_e32 v3, v4, v2
	v_sub_u32_e32 v1, v1, v4
	v_sub_u32_e64 v1, v6, v1 clamp
	v_min_u32_e32 v7, v6, v3
	v_cmp_lt_u32_e32 vcc, v1, v7
	s_and_saveexec_b64 s[2:3], vcc
	s_cbranch_execz .LBB2321_5
; %bb.2:
	s_load_dwordx2 s[4:5], s[4:5], 0x10
	v_mov_b32_e32 v5, 0
	v_mov_b32_e32 v3, v5
	v_lshlrev_b64 v[8:9], 3, v[2:3]
	v_lshlrev_b64 v[10:11], 3, v[4:5]
	s_waitcnt lgkmcnt(0)
	v_mov_b32_e32 v12, s5
	v_add_co_u32_e32 v3, vcc, s4, v8
	v_addc_co_u32_e32 v8, vcc, v12, v9, vcc
	v_add_co_u32_e32 v9, vcc, s4, v10
	v_addc_co_u32_e32 v10, vcc, v12, v11, vcc
	s_mov_b64 s[4:5], 0
.LBB2321_3:                             ; =>This Inner Loop Header: Depth=1
	v_add_u32_e32 v4, v7, v1
	v_lshrrev_b32_e32 v4, 1, v4
	v_lshlrev_b64 v[14:15], 3, v[4:5]
	v_mov_b32_e32 v13, v5
	v_xad_u32 v12, v4, -1, v6
	v_add_co_u32_e32 v14, vcc, v3, v14
	v_addc_co_u32_e32 v15, vcc, v8, v15, vcc
	v_lshlrev_b64 v[12:13], 3, v[12:13]
	v_add_co_u32_e32 v12, vcc, v9, v12
	v_addc_co_u32_e32 v13, vcc, v10, v13, vcc
	global_load_dwordx2 v[16:17], v[14:15], off
	global_load_dwordx2 v[18:19], v[12:13], off
	v_add_u32_e32 v11, 1, v4
	s_waitcnt vmcnt(0)
	v_cmp_gt_i64_e32 vcc, v[18:19], v[16:17]
	v_cndmask_b32_e32 v7, v7, v4, vcc
	v_cndmask_b32_e32 v1, v11, v1, vcc
	v_cmp_ge_u32_e32 vcc, v1, v7
	s_or_b64 s[4:5], vcc, s[4:5]
	s_andn2_b64 exec, exec, s[4:5]
	s_cbranch_execnz .LBB2321_3
; %bb.4:
	s_or_b64 exec, exec, s[4:5]
.LBB2321_5:
	s_or_b64 exec, exec, s[2:3]
	v_add_u32_e32 v2, v1, v2
	v_mov_b32_e32 v1, 0
	v_lshlrev_b64 v[0:1], 2, v[0:1]
	v_mov_b32_e32 v3, s1
	v_add_co_u32_e32 v0, vcc, s0, v0
	v_addc_co_u32_e32 v1, vcc, v3, v1, vcc
	global_store_dword v[0:1], v2, off
.LBB2321_6:
	s_endpgm
	.section	.rodata,"a",@progbits
	.p2align	6, 0x0
	.amdhsa_kernel _ZN7rocprim17ROCPRIM_400000_NS6detail17trampoline_kernelINS0_14default_configENS1_38merge_sort_block_merge_config_selectorIxNS0_10empty_typeEEEZZNS1_27merge_sort_block_merge_implIS3_PxPS5_jNS1_19radix_merge_compareILb1ELb0ExNS0_19identity_decomposerEEEEE10hipError_tT0_T1_T2_jT3_P12ihipStream_tbPNSt15iterator_traitsISE_E10value_typeEPNSK_ISF_E10value_typeEPSG_NS1_7vsmem_tEENKUlT_SE_SF_SG_E_clIS8_S8_S9_S9_EESD_ST_SE_SF_SG_EUlST_E_NS1_11comp_targetILNS1_3genE4ELNS1_11target_archE910ELNS1_3gpuE8ELNS1_3repE0EEENS1_48merge_mergepath_partition_config_static_selectorELNS0_4arch9wavefront6targetE1EEEvSF_
		.amdhsa_group_segment_fixed_size 0
		.amdhsa_private_segment_fixed_size 0
		.amdhsa_kernarg_size 40
		.amdhsa_user_sgpr_count 6
		.amdhsa_user_sgpr_private_segment_buffer 1
		.amdhsa_user_sgpr_dispatch_ptr 0
		.amdhsa_user_sgpr_queue_ptr 0
		.amdhsa_user_sgpr_kernarg_segment_ptr 1
		.amdhsa_user_sgpr_dispatch_id 0
		.amdhsa_user_sgpr_flat_scratch_init 0
		.amdhsa_user_sgpr_kernarg_preload_length 0
		.amdhsa_user_sgpr_kernarg_preload_offset 0
		.amdhsa_user_sgpr_private_segment_size 0
		.amdhsa_uses_dynamic_stack 0
		.amdhsa_system_sgpr_private_segment_wavefront_offset 0
		.amdhsa_system_sgpr_workgroup_id_x 1
		.amdhsa_system_sgpr_workgroup_id_y 0
		.amdhsa_system_sgpr_workgroup_id_z 0
		.amdhsa_system_sgpr_workgroup_info 0
		.amdhsa_system_vgpr_workitem_id 0
		.amdhsa_next_free_vgpr 20
		.amdhsa_next_free_sgpr 8
		.amdhsa_accum_offset 20
		.amdhsa_reserve_vcc 1
		.amdhsa_reserve_flat_scratch 0
		.amdhsa_float_round_mode_32 0
		.amdhsa_float_round_mode_16_64 0
		.amdhsa_float_denorm_mode_32 3
		.amdhsa_float_denorm_mode_16_64 3
		.amdhsa_dx10_clamp 1
		.amdhsa_ieee_mode 1
		.amdhsa_fp16_overflow 0
		.amdhsa_tg_split 0
		.amdhsa_exception_fp_ieee_invalid_op 0
		.amdhsa_exception_fp_denorm_src 0
		.amdhsa_exception_fp_ieee_div_zero 0
		.amdhsa_exception_fp_ieee_overflow 0
		.amdhsa_exception_fp_ieee_underflow 0
		.amdhsa_exception_fp_ieee_inexact 0
		.amdhsa_exception_int_div_zero 0
	.end_amdhsa_kernel
	.section	.text._ZN7rocprim17ROCPRIM_400000_NS6detail17trampoline_kernelINS0_14default_configENS1_38merge_sort_block_merge_config_selectorIxNS0_10empty_typeEEEZZNS1_27merge_sort_block_merge_implIS3_PxPS5_jNS1_19radix_merge_compareILb1ELb0ExNS0_19identity_decomposerEEEEE10hipError_tT0_T1_T2_jT3_P12ihipStream_tbPNSt15iterator_traitsISE_E10value_typeEPNSK_ISF_E10value_typeEPSG_NS1_7vsmem_tEENKUlT_SE_SF_SG_E_clIS8_S8_S9_S9_EESD_ST_SE_SF_SG_EUlST_E_NS1_11comp_targetILNS1_3genE4ELNS1_11target_archE910ELNS1_3gpuE8ELNS1_3repE0EEENS1_48merge_mergepath_partition_config_static_selectorELNS0_4arch9wavefront6targetE1EEEvSF_,"axG",@progbits,_ZN7rocprim17ROCPRIM_400000_NS6detail17trampoline_kernelINS0_14default_configENS1_38merge_sort_block_merge_config_selectorIxNS0_10empty_typeEEEZZNS1_27merge_sort_block_merge_implIS3_PxPS5_jNS1_19radix_merge_compareILb1ELb0ExNS0_19identity_decomposerEEEEE10hipError_tT0_T1_T2_jT3_P12ihipStream_tbPNSt15iterator_traitsISE_E10value_typeEPNSK_ISF_E10value_typeEPSG_NS1_7vsmem_tEENKUlT_SE_SF_SG_E_clIS8_S8_S9_S9_EESD_ST_SE_SF_SG_EUlST_E_NS1_11comp_targetILNS1_3genE4ELNS1_11target_archE910ELNS1_3gpuE8ELNS1_3repE0EEENS1_48merge_mergepath_partition_config_static_selectorELNS0_4arch9wavefront6targetE1EEEvSF_,comdat
.Lfunc_end2321:
	.size	_ZN7rocprim17ROCPRIM_400000_NS6detail17trampoline_kernelINS0_14default_configENS1_38merge_sort_block_merge_config_selectorIxNS0_10empty_typeEEEZZNS1_27merge_sort_block_merge_implIS3_PxPS5_jNS1_19radix_merge_compareILb1ELb0ExNS0_19identity_decomposerEEEEE10hipError_tT0_T1_T2_jT3_P12ihipStream_tbPNSt15iterator_traitsISE_E10value_typeEPNSK_ISF_E10value_typeEPSG_NS1_7vsmem_tEENKUlT_SE_SF_SG_E_clIS8_S8_S9_S9_EESD_ST_SE_SF_SG_EUlST_E_NS1_11comp_targetILNS1_3genE4ELNS1_11target_archE910ELNS1_3gpuE8ELNS1_3repE0EEENS1_48merge_mergepath_partition_config_static_selectorELNS0_4arch9wavefront6targetE1EEEvSF_, .Lfunc_end2321-_ZN7rocprim17ROCPRIM_400000_NS6detail17trampoline_kernelINS0_14default_configENS1_38merge_sort_block_merge_config_selectorIxNS0_10empty_typeEEEZZNS1_27merge_sort_block_merge_implIS3_PxPS5_jNS1_19radix_merge_compareILb1ELb0ExNS0_19identity_decomposerEEEEE10hipError_tT0_T1_T2_jT3_P12ihipStream_tbPNSt15iterator_traitsISE_E10value_typeEPNSK_ISF_E10value_typeEPSG_NS1_7vsmem_tEENKUlT_SE_SF_SG_E_clIS8_S8_S9_S9_EESD_ST_SE_SF_SG_EUlST_E_NS1_11comp_targetILNS1_3genE4ELNS1_11target_archE910ELNS1_3gpuE8ELNS1_3repE0EEENS1_48merge_mergepath_partition_config_static_selectorELNS0_4arch9wavefront6targetE1EEEvSF_
                                        ; -- End function
	.section	.AMDGPU.csdata,"",@progbits
; Kernel info:
; codeLenInByte = 360
; NumSgprs: 12
; NumVgprs: 20
; NumAgprs: 0
; TotalNumVgprs: 20
; ScratchSize: 0
; MemoryBound: 0
; FloatMode: 240
; IeeeMode: 1
; LDSByteSize: 0 bytes/workgroup (compile time only)
; SGPRBlocks: 1
; VGPRBlocks: 2
; NumSGPRsForWavesPerEU: 12
; NumVGPRsForWavesPerEU: 20
; AccumOffset: 20
; Occupancy: 8
; WaveLimiterHint : 0
; COMPUTE_PGM_RSRC2:SCRATCH_EN: 0
; COMPUTE_PGM_RSRC2:USER_SGPR: 6
; COMPUTE_PGM_RSRC2:TRAP_HANDLER: 0
; COMPUTE_PGM_RSRC2:TGID_X_EN: 1
; COMPUTE_PGM_RSRC2:TGID_Y_EN: 0
; COMPUTE_PGM_RSRC2:TGID_Z_EN: 0
; COMPUTE_PGM_RSRC2:TIDIG_COMP_CNT: 0
; COMPUTE_PGM_RSRC3_GFX90A:ACCUM_OFFSET: 4
; COMPUTE_PGM_RSRC3_GFX90A:TG_SPLIT: 0
	.section	.text._ZN7rocprim17ROCPRIM_400000_NS6detail17trampoline_kernelINS0_14default_configENS1_38merge_sort_block_merge_config_selectorIxNS0_10empty_typeEEEZZNS1_27merge_sort_block_merge_implIS3_PxPS5_jNS1_19radix_merge_compareILb1ELb0ExNS0_19identity_decomposerEEEEE10hipError_tT0_T1_T2_jT3_P12ihipStream_tbPNSt15iterator_traitsISE_E10value_typeEPNSK_ISF_E10value_typeEPSG_NS1_7vsmem_tEENKUlT_SE_SF_SG_E_clIS8_S8_S9_S9_EESD_ST_SE_SF_SG_EUlST_E_NS1_11comp_targetILNS1_3genE3ELNS1_11target_archE908ELNS1_3gpuE7ELNS1_3repE0EEENS1_48merge_mergepath_partition_config_static_selectorELNS0_4arch9wavefront6targetE1EEEvSF_,"axG",@progbits,_ZN7rocprim17ROCPRIM_400000_NS6detail17trampoline_kernelINS0_14default_configENS1_38merge_sort_block_merge_config_selectorIxNS0_10empty_typeEEEZZNS1_27merge_sort_block_merge_implIS3_PxPS5_jNS1_19radix_merge_compareILb1ELb0ExNS0_19identity_decomposerEEEEE10hipError_tT0_T1_T2_jT3_P12ihipStream_tbPNSt15iterator_traitsISE_E10value_typeEPNSK_ISF_E10value_typeEPSG_NS1_7vsmem_tEENKUlT_SE_SF_SG_E_clIS8_S8_S9_S9_EESD_ST_SE_SF_SG_EUlST_E_NS1_11comp_targetILNS1_3genE3ELNS1_11target_archE908ELNS1_3gpuE7ELNS1_3repE0EEENS1_48merge_mergepath_partition_config_static_selectorELNS0_4arch9wavefront6targetE1EEEvSF_,comdat
	.protected	_ZN7rocprim17ROCPRIM_400000_NS6detail17trampoline_kernelINS0_14default_configENS1_38merge_sort_block_merge_config_selectorIxNS0_10empty_typeEEEZZNS1_27merge_sort_block_merge_implIS3_PxPS5_jNS1_19radix_merge_compareILb1ELb0ExNS0_19identity_decomposerEEEEE10hipError_tT0_T1_T2_jT3_P12ihipStream_tbPNSt15iterator_traitsISE_E10value_typeEPNSK_ISF_E10value_typeEPSG_NS1_7vsmem_tEENKUlT_SE_SF_SG_E_clIS8_S8_S9_S9_EESD_ST_SE_SF_SG_EUlST_E_NS1_11comp_targetILNS1_3genE3ELNS1_11target_archE908ELNS1_3gpuE7ELNS1_3repE0EEENS1_48merge_mergepath_partition_config_static_selectorELNS0_4arch9wavefront6targetE1EEEvSF_ ; -- Begin function _ZN7rocprim17ROCPRIM_400000_NS6detail17trampoline_kernelINS0_14default_configENS1_38merge_sort_block_merge_config_selectorIxNS0_10empty_typeEEEZZNS1_27merge_sort_block_merge_implIS3_PxPS5_jNS1_19radix_merge_compareILb1ELb0ExNS0_19identity_decomposerEEEEE10hipError_tT0_T1_T2_jT3_P12ihipStream_tbPNSt15iterator_traitsISE_E10value_typeEPNSK_ISF_E10value_typeEPSG_NS1_7vsmem_tEENKUlT_SE_SF_SG_E_clIS8_S8_S9_S9_EESD_ST_SE_SF_SG_EUlST_E_NS1_11comp_targetILNS1_3genE3ELNS1_11target_archE908ELNS1_3gpuE7ELNS1_3repE0EEENS1_48merge_mergepath_partition_config_static_selectorELNS0_4arch9wavefront6targetE1EEEvSF_
	.globl	_ZN7rocprim17ROCPRIM_400000_NS6detail17trampoline_kernelINS0_14default_configENS1_38merge_sort_block_merge_config_selectorIxNS0_10empty_typeEEEZZNS1_27merge_sort_block_merge_implIS3_PxPS5_jNS1_19radix_merge_compareILb1ELb0ExNS0_19identity_decomposerEEEEE10hipError_tT0_T1_T2_jT3_P12ihipStream_tbPNSt15iterator_traitsISE_E10value_typeEPNSK_ISF_E10value_typeEPSG_NS1_7vsmem_tEENKUlT_SE_SF_SG_E_clIS8_S8_S9_S9_EESD_ST_SE_SF_SG_EUlST_E_NS1_11comp_targetILNS1_3genE3ELNS1_11target_archE908ELNS1_3gpuE7ELNS1_3repE0EEENS1_48merge_mergepath_partition_config_static_selectorELNS0_4arch9wavefront6targetE1EEEvSF_
	.p2align	8
	.type	_ZN7rocprim17ROCPRIM_400000_NS6detail17trampoline_kernelINS0_14default_configENS1_38merge_sort_block_merge_config_selectorIxNS0_10empty_typeEEEZZNS1_27merge_sort_block_merge_implIS3_PxPS5_jNS1_19radix_merge_compareILb1ELb0ExNS0_19identity_decomposerEEEEE10hipError_tT0_T1_T2_jT3_P12ihipStream_tbPNSt15iterator_traitsISE_E10value_typeEPNSK_ISF_E10value_typeEPSG_NS1_7vsmem_tEENKUlT_SE_SF_SG_E_clIS8_S8_S9_S9_EESD_ST_SE_SF_SG_EUlST_E_NS1_11comp_targetILNS1_3genE3ELNS1_11target_archE908ELNS1_3gpuE7ELNS1_3repE0EEENS1_48merge_mergepath_partition_config_static_selectorELNS0_4arch9wavefront6targetE1EEEvSF_,@function
_ZN7rocprim17ROCPRIM_400000_NS6detail17trampoline_kernelINS0_14default_configENS1_38merge_sort_block_merge_config_selectorIxNS0_10empty_typeEEEZZNS1_27merge_sort_block_merge_implIS3_PxPS5_jNS1_19radix_merge_compareILb1ELb0ExNS0_19identity_decomposerEEEEE10hipError_tT0_T1_T2_jT3_P12ihipStream_tbPNSt15iterator_traitsISE_E10value_typeEPNSK_ISF_E10value_typeEPSG_NS1_7vsmem_tEENKUlT_SE_SF_SG_E_clIS8_S8_S9_S9_EESD_ST_SE_SF_SG_EUlST_E_NS1_11comp_targetILNS1_3genE3ELNS1_11target_archE908ELNS1_3gpuE7ELNS1_3repE0EEENS1_48merge_mergepath_partition_config_static_selectorELNS0_4arch9wavefront6targetE1EEEvSF_: ; @_ZN7rocprim17ROCPRIM_400000_NS6detail17trampoline_kernelINS0_14default_configENS1_38merge_sort_block_merge_config_selectorIxNS0_10empty_typeEEEZZNS1_27merge_sort_block_merge_implIS3_PxPS5_jNS1_19radix_merge_compareILb1ELb0ExNS0_19identity_decomposerEEEEE10hipError_tT0_T1_T2_jT3_P12ihipStream_tbPNSt15iterator_traitsISE_E10value_typeEPNSK_ISF_E10value_typeEPSG_NS1_7vsmem_tEENKUlT_SE_SF_SG_E_clIS8_S8_S9_S9_EESD_ST_SE_SF_SG_EUlST_E_NS1_11comp_targetILNS1_3genE3ELNS1_11target_archE908ELNS1_3gpuE7ELNS1_3repE0EEENS1_48merge_mergepath_partition_config_static_selectorELNS0_4arch9wavefront6targetE1EEEvSF_
; %bb.0:
	.section	.rodata,"a",@progbits
	.p2align	6, 0x0
	.amdhsa_kernel _ZN7rocprim17ROCPRIM_400000_NS6detail17trampoline_kernelINS0_14default_configENS1_38merge_sort_block_merge_config_selectorIxNS0_10empty_typeEEEZZNS1_27merge_sort_block_merge_implIS3_PxPS5_jNS1_19radix_merge_compareILb1ELb0ExNS0_19identity_decomposerEEEEE10hipError_tT0_T1_T2_jT3_P12ihipStream_tbPNSt15iterator_traitsISE_E10value_typeEPNSK_ISF_E10value_typeEPSG_NS1_7vsmem_tEENKUlT_SE_SF_SG_E_clIS8_S8_S9_S9_EESD_ST_SE_SF_SG_EUlST_E_NS1_11comp_targetILNS1_3genE3ELNS1_11target_archE908ELNS1_3gpuE7ELNS1_3repE0EEENS1_48merge_mergepath_partition_config_static_selectorELNS0_4arch9wavefront6targetE1EEEvSF_
		.amdhsa_group_segment_fixed_size 0
		.amdhsa_private_segment_fixed_size 0
		.amdhsa_kernarg_size 40
		.amdhsa_user_sgpr_count 6
		.amdhsa_user_sgpr_private_segment_buffer 1
		.amdhsa_user_sgpr_dispatch_ptr 0
		.amdhsa_user_sgpr_queue_ptr 0
		.amdhsa_user_sgpr_kernarg_segment_ptr 1
		.amdhsa_user_sgpr_dispatch_id 0
		.amdhsa_user_sgpr_flat_scratch_init 0
		.amdhsa_user_sgpr_kernarg_preload_length 0
		.amdhsa_user_sgpr_kernarg_preload_offset 0
		.amdhsa_user_sgpr_private_segment_size 0
		.amdhsa_uses_dynamic_stack 0
		.amdhsa_system_sgpr_private_segment_wavefront_offset 0
		.amdhsa_system_sgpr_workgroup_id_x 1
		.amdhsa_system_sgpr_workgroup_id_y 0
		.amdhsa_system_sgpr_workgroup_id_z 0
		.amdhsa_system_sgpr_workgroup_info 0
		.amdhsa_system_vgpr_workitem_id 0
		.amdhsa_next_free_vgpr 1
		.amdhsa_next_free_sgpr 0
		.amdhsa_accum_offset 4
		.amdhsa_reserve_vcc 0
		.amdhsa_reserve_flat_scratch 0
		.amdhsa_float_round_mode_32 0
		.amdhsa_float_round_mode_16_64 0
		.amdhsa_float_denorm_mode_32 3
		.amdhsa_float_denorm_mode_16_64 3
		.amdhsa_dx10_clamp 1
		.amdhsa_ieee_mode 1
		.amdhsa_fp16_overflow 0
		.amdhsa_tg_split 0
		.amdhsa_exception_fp_ieee_invalid_op 0
		.amdhsa_exception_fp_denorm_src 0
		.amdhsa_exception_fp_ieee_div_zero 0
		.amdhsa_exception_fp_ieee_overflow 0
		.amdhsa_exception_fp_ieee_underflow 0
		.amdhsa_exception_fp_ieee_inexact 0
		.amdhsa_exception_int_div_zero 0
	.end_amdhsa_kernel
	.section	.text._ZN7rocprim17ROCPRIM_400000_NS6detail17trampoline_kernelINS0_14default_configENS1_38merge_sort_block_merge_config_selectorIxNS0_10empty_typeEEEZZNS1_27merge_sort_block_merge_implIS3_PxPS5_jNS1_19radix_merge_compareILb1ELb0ExNS0_19identity_decomposerEEEEE10hipError_tT0_T1_T2_jT3_P12ihipStream_tbPNSt15iterator_traitsISE_E10value_typeEPNSK_ISF_E10value_typeEPSG_NS1_7vsmem_tEENKUlT_SE_SF_SG_E_clIS8_S8_S9_S9_EESD_ST_SE_SF_SG_EUlST_E_NS1_11comp_targetILNS1_3genE3ELNS1_11target_archE908ELNS1_3gpuE7ELNS1_3repE0EEENS1_48merge_mergepath_partition_config_static_selectorELNS0_4arch9wavefront6targetE1EEEvSF_,"axG",@progbits,_ZN7rocprim17ROCPRIM_400000_NS6detail17trampoline_kernelINS0_14default_configENS1_38merge_sort_block_merge_config_selectorIxNS0_10empty_typeEEEZZNS1_27merge_sort_block_merge_implIS3_PxPS5_jNS1_19radix_merge_compareILb1ELb0ExNS0_19identity_decomposerEEEEE10hipError_tT0_T1_T2_jT3_P12ihipStream_tbPNSt15iterator_traitsISE_E10value_typeEPNSK_ISF_E10value_typeEPSG_NS1_7vsmem_tEENKUlT_SE_SF_SG_E_clIS8_S8_S9_S9_EESD_ST_SE_SF_SG_EUlST_E_NS1_11comp_targetILNS1_3genE3ELNS1_11target_archE908ELNS1_3gpuE7ELNS1_3repE0EEENS1_48merge_mergepath_partition_config_static_selectorELNS0_4arch9wavefront6targetE1EEEvSF_,comdat
.Lfunc_end2322:
	.size	_ZN7rocprim17ROCPRIM_400000_NS6detail17trampoline_kernelINS0_14default_configENS1_38merge_sort_block_merge_config_selectorIxNS0_10empty_typeEEEZZNS1_27merge_sort_block_merge_implIS3_PxPS5_jNS1_19radix_merge_compareILb1ELb0ExNS0_19identity_decomposerEEEEE10hipError_tT0_T1_T2_jT3_P12ihipStream_tbPNSt15iterator_traitsISE_E10value_typeEPNSK_ISF_E10value_typeEPSG_NS1_7vsmem_tEENKUlT_SE_SF_SG_E_clIS8_S8_S9_S9_EESD_ST_SE_SF_SG_EUlST_E_NS1_11comp_targetILNS1_3genE3ELNS1_11target_archE908ELNS1_3gpuE7ELNS1_3repE0EEENS1_48merge_mergepath_partition_config_static_selectorELNS0_4arch9wavefront6targetE1EEEvSF_, .Lfunc_end2322-_ZN7rocprim17ROCPRIM_400000_NS6detail17trampoline_kernelINS0_14default_configENS1_38merge_sort_block_merge_config_selectorIxNS0_10empty_typeEEEZZNS1_27merge_sort_block_merge_implIS3_PxPS5_jNS1_19radix_merge_compareILb1ELb0ExNS0_19identity_decomposerEEEEE10hipError_tT0_T1_T2_jT3_P12ihipStream_tbPNSt15iterator_traitsISE_E10value_typeEPNSK_ISF_E10value_typeEPSG_NS1_7vsmem_tEENKUlT_SE_SF_SG_E_clIS8_S8_S9_S9_EESD_ST_SE_SF_SG_EUlST_E_NS1_11comp_targetILNS1_3genE3ELNS1_11target_archE908ELNS1_3gpuE7ELNS1_3repE0EEENS1_48merge_mergepath_partition_config_static_selectorELNS0_4arch9wavefront6targetE1EEEvSF_
                                        ; -- End function
	.section	.AMDGPU.csdata,"",@progbits
; Kernel info:
; codeLenInByte = 0
; NumSgprs: 4
; NumVgprs: 0
; NumAgprs: 0
; TotalNumVgprs: 0
; ScratchSize: 0
; MemoryBound: 0
; FloatMode: 240
; IeeeMode: 1
; LDSByteSize: 0 bytes/workgroup (compile time only)
; SGPRBlocks: 0
; VGPRBlocks: 0
; NumSGPRsForWavesPerEU: 4
; NumVGPRsForWavesPerEU: 1
; AccumOffset: 4
; Occupancy: 8
; WaveLimiterHint : 0
; COMPUTE_PGM_RSRC2:SCRATCH_EN: 0
; COMPUTE_PGM_RSRC2:USER_SGPR: 6
; COMPUTE_PGM_RSRC2:TRAP_HANDLER: 0
; COMPUTE_PGM_RSRC2:TGID_X_EN: 1
; COMPUTE_PGM_RSRC2:TGID_Y_EN: 0
; COMPUTE_PGM_RSRC2:TGID_Z_EN: 0
; COMPUTE_PGM_RSRC2:TIDIG_COMP_CNT: 0
; COMPUTE_PGM_RSRC3_GFX90A:ACCUM_OFFSET: 0
; COMPUTE_PGM_RSRC3_GFX90A:TG_SPLIT: 0
	.section	.text._ZN7rocprim17ROCPRIM_400000_NS6detail17trampoline_kernelINS0_14default_configENS1_38merge_sort_block_merge_config_selectorIxNS0_10empty_typeEEEZZNS1_27merge_sort_block_merge_implIS3_PxPS5_jNS1_19radix_merge_compareILb1ELb0ExNS0_19identity_decomposerEEEEE10hipError_tT0_T1_T2_jT3_P12ihipStream_tbPNSt15iterator_traitsISE_E10value_typeEPNSK_ISF_E10value_typeEPSG_NS1_7vsmem_tEENKUlT_SE_SF_SG_E_clIS8_S8_S9_S9_EESD_ST_SE_SF_SG_EUlST_E_NS1_11comp_targetILNS1_3genE2ELNS1_11target_archE906ELNS1_3gpuE6ELNS1_3repE0EEENS1_48merge_mergepath_partition_config_static_selectorELNS0_4arch9wavefront6targetE1EEEvSF_,"axG",@progbits,_ZN7rocprim17ROCPRIM_400000_NS6detail17trampoline_kernelINS0_14default_configENS1_38merge_sort_block_merge_config_selectorIxNS0_10empty_typeEEEZZNS1_27merge_sort_block_merge_implIS3_PxPS5_jNS1_19radix_merge_compareILb1ELb0ExNS0_19identity_decomposerEEEEE10hipError_tT0_T1_T2_jT3_P12ihipStream_tbPNSt15iterator_traitsISE_E10value_typeEPNSK_ISF_E10value_typeEPSG_NS1_7vsmem_tEENKUlT_SE_SF_SG_E_clIS8_S8_S9_S9_EESD_ST_SE_SF_SG_EUlST_E_NS1_11comp_targetILNS1_3genE2ELNS1_11target_archE906ELNS1_3gpuE6ELNS1_3repE0EEENS1_48merge_mergepath_partition_config_static_selectorELNS0_4arch9wavefront6targetE1EEEvSF_,comdat
	.protected	_ZN7rocprim17ROCPRIM_400000_NS6detail17trampoline_kernelINS0_14default_configENS1_38merge_sort_block_merge_config_selectorIxNS0_10empty_typeEEEZZNS1_27merge_sort_block_merge_implIS3_PxPS5_jNS1_19radix_merge_compareILb1ELb0ExNS0_19identity_decomposerEEEEE10hipError_tT0_T1_T2_jT3_P12ihipStream_tbPNSt15iterator_traitsISE_E10value_typeEPNSK_ISF_E10value_typeEPSG_NS1_7vsmem_tEENKUlT_SE_SF_SG_E_clIS8_S8_S9_S9_EESD_ST_SE_SF_SG_EUlST_E_NS1_11comp_targetILNS1_3genE2ELNS1_11target_archE906ELNS1_3gpuE6ELNS1_3repE0EEENS1_48merge_mergepath_partition_config_static_selectorELNS0_4arch9wavefront6targetE1EEEvSF_ ; -- Begin function _ZN7rocprim17ROCPRIM_400000_NS6detail17trampoline_kernelINS0_14default_configENS1_38merge_sort_block_merge_config_selectorIxNS0_10empty_typeEEEZZNS1_27merge_sort_block_merge_implIS3_PxPS5_jNS1_19radix_merge_compareILb1ELb0ExNS0_19identity_decomposerEEEEE10hipError_tT0_T1_T2_jT3_P12ihipStream_tbPNSt15iterator_traitsISE_E10value_typeEPNSK_ISF_E10value_typeEPSG_NS1_7vsmem_tEENKUlT_SE_SF_SG_E_clIS8_S8_S9_S9_EESD_ST_SE_SF_SG_EUlST_E_NS1_11comp_targetILNS1_3genE2ELNS1_11target_archE906ELNS1_3gpuE6ELNS1_3repE0EEENS1_48merge_mergepath_partition_config_static_selectorELNS0_4arch9wavefront6targetE1EEEvSF_
	.globl	_ZN7rocprim17ROCPRIM_400000_NS6detail17trampoline_kernelINS0_14default_configENS1_38merge_sort_block_merge_config_selectorIxNS0_10empty_typeEEEZZNS1_27merge_sort_block_merge_implIS3_PxPS5_jNS1_19radix_merge_compareILb1ELb0ExNS0_19identity_decomposerEEEEE10hipError_tT0_T1_T2_jT3_P12ihipStream_tbPNSt15iterator_traitsISE_E10value_typeEPNSK_ISF_E10value_typeEPSG_NS1_7vsmem_tEENKUlT_SE_SF_SG_E_clIS8_S8_S9_S9_EESD_ST_SE_SF_SG_EUlST_E_NS1_11comp_targetILNS1_3genE2ELNS1_11target_archE906ELNS1_3gpuE6ELNS1_3repE0EEENS1_48merge_mergepath_partition_config_static_selectorELNS0_4arch9wavefront6targetE1EEEvSF_
	.p2align	8
	.type	_ZN7rocprim17ROCPRIM_400000_NS6detail17trampoline_kernelINS0_14default_configENS1_38merge_sort_block_merge_config_selectorIxNS0_10empty_typeEEEZZNS1_27merge_sort_block_merge_implIS3_PxPS5_jNS1_19radix_merge_compareILb1ELb0ExNS0_19identity_decomposerEEEEE10hipError_tT0_T1_T2_jT3_P12ihipStream_tbPNSt15iterator_traitsISE_E10value_typeEPNSK_ISF_E10value_typeEPSG_NS1_7vsmem_tEENKUlT_SE_SF_SG_E_clIS8_S8_S9_S9_EESD_ST_SE_SF_SG_EUlST_E_NS1_11comp_targetILNS1_3genE2ELNS1_11target_archE906ELNS1_3gpuE6ELNS1_3repE0EEENS1_48merge_mergepath_partition_config_static_selectorELNS0_4arch9wavefront6targetE1EEEvSF_,@function
_ZN7rocprim17ROCPRIM_400000_NS6detail17trampoline_kernelINS0_14default_configENS1_38merge_sort_block_merge_config_selectorIxNS0_10empty_typeEEEZZNS1_27merge_sort_block_merge_implIS3_PxPS5_jNS1_19radix_merge_compareILb1ELb0ExNS0_19identity_decomposerEEEEE10hipError_tT0_T1_T2_jT3_P12ihipStream_tbPNSt15iterator_traitsISE_E10value_typeEPNSK_ISF_E10value_typeEPSG_NS1_7vsmem_tEENKUlT_SE_SF_SG_E_clIS8_S8_S9_S9_EESD_ST_SE_SF_SG_EUlST_E_NS1_11comp_targetILNS1_3genE2ELNS1_11target_archE906ELNS1_3gpuE6ELNS1_3repE0EEENS1_48merge_mergepath_partition_config_static_selectorELNS0_4arch9wavefront6targetE1EEEvSF_: ; @_ZN7rocprim17ROCPRIM_400000_NS6detail17trampoline_kernelINS0_14default_configENS1_38merge_sort_block_merge_config_selectorIxNS0_10empty_typeEEEZZNS1_27merge_sort_block_merge_implIS3_PxPS5_jNS1_19radix_merge_compareILb1ELb0ExNS0_19identity_decomposerEEEEE10hipError_tT0_T1_T2_jT3_P12ihipStream_tbPNSt15iterator_traitsISE_E10value_typeEPNSK_ISF_E10value_typeEPSG_NS1_7vsmem_tEENKUlT_SE_SF_SG_E_clIS8_S8_S9_S9_EESD_ST_SE_SF_SG_EUlST_E_NS1_11comp_targetILNS1_3genE2ELNS1_11target_archE906ELNS1_3gpuE6ELNS1_3repE0EEENS1_48merge_mergepath_partition_config_static_selectorELNS0_4arch9wavefront6targetE1EEEvSF_
; %bb.0:
	.section	.rodata,"a",@progbits
	.p2align	6, 0x0
	.amdhsa_kernel _ZN7rocprim17ROCPRIM_400000_NS6detail17trampoline_kernelINS0_14default_configENS1_38merge_sort_block_merge_config_selectorIxNS0_10empty_typeEEEZZNS1_27merge_sort_block_merge_implIS3_PxPS5_jNS1_19radix_merge_compareILb1ELb0ExNS0_19identity_decomposerEEEEE10hipError_tT0_T1_T2_jT3_P12ihipStream_tbPNSt15iterator_traitsISE_E10value_typeEPNSK_ISF_E10value_typeEPSG_NS1_7vsmem_tEENKUlT_SE_SF_SG_E_clIS8_S8_S9_S9_EESD_ST_SE_SF_SG_EUlST_E_NS1_11comp_targetILNS1_3genE2ELNS1_11target_archE906ELNS1_3gpuE6ELNS1_3repE0EEENS1_48merge_mergepath_partition_config_static_selectorELNS0_4arch9wavefront6targetE1EEEvSF_
		.amdhsa_group_segment_fixed_size 0
		.amdhsa_private_segment_fixed_size 0
		.amdhsa_kernarg_size 40
		.amdhsa_user_sgpr_count 6
		.amdhsa_user_sgpr_private_segment_buffer 1
		.amdhsa_user_sgpr_dispatch_ptr 0
		.amdhsa_user_sgpr_queue_ptr 0
		.amdhsa_user_sgpr_kernarg_segment_ptr 1
		.amdhsa_user_sgpr_dispatch_id 0
		.amdhsa_user_sgpr_flat_scratch_init 0
		.amdhsa_user_sgpr_kernarg_preload_length 0
		.amdhsa_user_sgpr_kernarg_preload_offset 0
		.amdhsa_user_sgpr_private_segment_size 0
		.amdhsa_uses_dynamic_stack 0
		.amdhsa_system_sgpr_private_segment_wavefront_offset 0
		.amdhsa_system_sgpr_workgroup_id_x 1
		.amdhsa_system_sgpr_workgroup_id_y 0
		.amdhsa_system_sgpr_workgroup_id_z 0
		.amdhsa_system_sgpr_workgroup_info 0
		.amdhsa_system_vgpr_workitem_id 0
		.amdhsa_next_free_vgpr 1
		.amdhsa_next_free_sgpr 0
		.amdhsa_accum_offset 4
		.amdhsa_reserve_vcc 0
		.amdhsa_reserve_flat_scratch 0
		.amdhsa_float_round_mode_32 0
		.amdhsa_float_round_mode_16_64 0
		.amdhsa_float_denorm_mode_32 3
		.amdhsa_float_denorm_mode_16_64 3
		.amdhsa_dx10_clamp 1
		.amdhsa_ieee_mode 1
		.amdhsa_fp16_overflow 0
		.amdhsa_tg_split 0
		.amdhsa_exception_fp_ieee_invalid_op 0
		.amdhsa_exception_fp_denorm_src 0
		.amdhsa_exception_fp_ieee_div_zero 0
		.amdhsa_exception_fp_ieee_overflow 0
		.amdhsa_exception_fp_ieee_underflow 0
		.amdhsa_exception_fp_ieee_inexact 0
		.amdhsa_exception_int_div_zero 0
	.end_amdhsa_kernel
	.section	.text._ZN7rocprim17ROCPRIM_400000_NS6detail17trampoline_kernelINS0_14default_configENS1_38merge_sort_block_merge_config_selectorIxNS0_10empty_typeEEEZZNS1_27merge_sort_block_merge_implIS3_PxPS5_jNS1_19radix_merge_compareILb1ELb0ExNS0_19identity_decomposerEEEEE10hipError_tT0_T1_T2_jT3_P12ihipStream_tbPNSt15iterator_traitsISE_E10value_typeEPNSK_ISF_E10value_typeEPSG_NS1_7vsmem_tEENKUlT_SE_SF_SG_E_clIS8_S8_S9_S9_EESD_ST_SE_SF_SG_EUlST_E_NS1_11comp_targetILNS1_3genE2ELNS1_11target_archE906ELNS1_3gpuE6ELNS1_3repE0EEENS1_48merge_mergepath_partition_config_static_selectorELNS0_4arch9wavefront6targetE1EEEvSF_,"axG",@progbits,_ZN7rocprim17ROCPRIM_400000_NS6detail17trampoline_kernelINS0_14default_configENS1_38merge_sort_block_merge_config_selectorIxNS0_10empty_typeEEEZZNS1_27merge_sort_block_merge_implIS3_PxPS5_jNS1_19radix_merge_compareILb1ELb0ExNS0_19identity_decomposerEEEEE10hipError_tT0_T1_T2_jT3_P12ihipStream_tbPNSt15iterator_traitsISE_E10value_typeEPNSK_ISF_E10value_typeEPSG_NS1_7vsmem_tEENKUlT_SE_SF_SG_E_clIS8_S8_S9_S9_EESD_ST_SE_SF_SG_EUlST_E_NS1_11comp_targetILNS1_3genE2ELNS1_11target_archE906ELNS1_3gpuE6ELNS1_3repE0EEENS1_48merge_mergepath_partition_config_static_selectorELNS0_4arch9wavefront6targetE1EEEvSF_,comdat
.Lfunc_end2323:
	.size	_ZN7rocprim17ROCPRIM_400000_NS6detail17trampoline_kernelINS0_14default_configENS1_38merge_sort_block_merge_config_selectorIxNS0_10empty_typeEEEZZNS1_27merge_sort_block_merge_implIS3_PxPS5_jNS1_19radix_merge_compareILb1ELb0ExNS0_19identity_decomposerEEEEE10hipError_tT0_T1_T2_jT3_P12ihipStream_tbPNSt15iterator_traitsISE_E10value_typeEPNSK_ISF_E10value_typeEPSG_NS1_7vsmem_tEENKUlT_SE_SF_SG_E_clIS8_S8_S9_S9_EESD_ST_SE_SF_SG_EUlST_E_NS1_11comp_targetILNS1_3genE2ELNS1_11target_archE906ELNS1_3gpuE6ELNS1_3repE0EEENS1_48merge_mergepath_partition_config_static_selectorELNS0_4arch9wavefront6targetE1EEEvSF_, .Lfunc_end2323-_ZN7rocprim17ROCPRIM_400000_NS6detail17trampoline_kernelINS0_14default_configENS1_38merge_sort_block_merge_config_selectorIxNS0_10empty_typeEEEZZNS1_27merge_sort_block_merge_implIS3_PxPS5_jNS1_19radix_merge_compareILb1ELb0ExNS0_19identity_decomposerEEEEE10hipError_tT0_T1_T2_jT3_P12ihipStream_tbPNSt15iterator_traitsISE_E10value_typeEPNSK_ISF_E10value_typeEPSG_NS1_7vsmem_tEENKUlT_SE_SF_SG_E_clIS8_S8_S9_S9_EESD_ST_SE_SF_SG_EUlST_E_NS1_11comp_targetILNS1_3genE2ELNS1_11target_archE906ELNS1_3gpuE6ELNS1_3repE0EEENS1_48merge_mergepath_partition_config_static_selectorELNS0_4arch9wavefront6targetE1EEEvSF_
                                        ; -- End function
	.section	.AMDGPU.csdata,"",@progbits
; Kernel info:
; codeLenInByte = 0
; NumSgprs: 4
; NumVgprs: 0
; NumAgprs: 0
; TotalNumVgprs: 0
; ScratchSize: 0
; MemoryBound: 0
; FloatMode: 240
; IeeeMode: 1
; LDSByteSize: 0 bytes/workgroup (compile time only)
; SGPRBlocks: 0
; VGPRBlocks: 0
; NumSGPRsForWavesPerEU: 4
; NumVGPRsForWavesPerEU: 1
; AccumOffset: 4
; Occupancy: 8
; WaveLimiterHint : 0
; COMPUTE_PGM_RSRC2:SCRATCH_EN: 0
; COMPUTE_PGM_RSRC2:USER_SGPR: 6
; COMPUTE_PGM_RSRC2:TRAP_HANDLER: 0
; COMPUTE_PGM_RSRC2:TGID_X_EN: 1
; COMPUTE_PGM_RSRC2:TGID_Y_EN: 0
; COMPUTE_PGM_RSRC2:TGID_Z_EN: 0
; COMPUTE_PGM_RSRC2:TIDIG_COMP_CNT: 0
; COMPUTE_PGM_RSRC3_GFX90A:ACCUM_OFFSET: 0
; COMPUTE_PGM_RSRC3_GFX90A:TG_SPLIT: 0
	.section	.text._ZN7rocprim17ROCPRIM_400000_NS6detail17trampoline_kernelINS0_14default_configENS1_38merge_sort_block_merge_config_selectorIxNS0_10empty_typeEEEZZNS1_27merge_sort_block_merge_implIS3_PxPS5_jNS1_19radix_merge_compareILb1ELb0ExNS0_19identity_decomposerEEEEE10hipError_tT0_T1_T2_jT3_P12ihipStream_tbPNSt15iterator_traitsISE_E10value_typeEPNSK_ISF_E10value_typeEPSG_NS1_7vsmem_tEENKUlT_SE_SF_SG_E_clIS8_S8_S9_S9_EESD_ST_SE_SF_SG_EUlST_E_NS1_11comp_targetILNS1_3genE9ELNS1_11target_archE1100ELNS1_3gpuE3ELNS1_3repE0EEENS1_48merge_mergepath_partition_config_static_selectorELNS0_4arch9wavefront6targetE1EEEvSF_,"axG",@progbits,_ZN7rocprim17ROCPRIM_400000_NS6detail17trampoline_kernelINS0_14default_configENS1_38merge_sort_block_merge_config_selectorIxNS0_10empty_typeEEEZZNS1_27merge_sort_block_merge_implIS3_PxPS5_jNS1_19radix_merge_compareILb1ELb0ExNS0_19identity_decomposerEEEEE10hipError_tT0_T1_T2_jT3_P12ihipStream_tbPNSt15iterator_traitsISE_E10value_typeEPNSK_ISF_E10value_typeEPSG_NS1_7vsmem_tEENKUlT_SE_SF_SG_E_clIS8_S8_S9_S9_EESD_ST_SE_SF_SG_EUlST_E_NS1_11comp_targetILNS1_3genE9ELNS1_11target_archE1100ELNS1_3gpuE3ELNS1_3repE0EEENS1_48merge_mergepath_partition_config_static_selectorELNS0_4arch9wavefront6targetE1EEEvSF_,comdat
	.protected	_ZN7rocprim17ROCPRIM_400000_NS6detail17trampoline_kernelINS0_14default_configENS1_38merge_sort_block_merge_config_selectorIxNS0_10empty_typeEEEZZNS1_27merge_sort_block_merge_implIS3_PxPS5_jNS1_19radix_merge_compareILb1ELb0ExNS0_19identity_decomposerEEEEE10hipError_tT0_T1_T2_jT3_P12ihipStream_tbPNSt15iterator_traitsISE_E10value_typeEPNSK_ISF_E10value_typeEPSG_NS1_7vsmem_tEENKUlT_SE_SF_SG_E_clIS8_S8_S9_S9_EESD_ST_SE_SF_SG_EUlST_E_NS1_11comp_targetILNS1_3genE9ELNS1_11target_archE1100ELNS1_3gpuE3ELNS1_3repE0EEENS1_48merge_mergepath_partition_config_static_selectorELNS0_4arch9wavefront6targetE1EEEvSF_ ; -- Begin function _ZN7rocprim17ROCPRIM_400000_NS6detail17trampoline_kernelINS0_14default_configENS1_38merge_sort_block_merge_config_selectorIxNS0_10empty_typeEEEZZNS1_27merge_sort_block_merge_implIS3_PxPS5_jNS1_19radix_merge_compareILb1ELb0ExNS0_19identity_decomposerEEEEE10hipError_tT0_T1_T2_jT3_P12ihipStream_tbPNSt15iterator_traitsISE_E10value_typeEPNSK_ISF_E10value_typeEPSG_NS1_7vsmem_tEENKUlT_SE_SF_SG_E_clIS8_S8_S9_S9_EESD_ST_SE_SF_SG_EUlST_E_NS1_11comp_targetILNS1_3genE9ELNS1_11target_archE1100ELNS1_3gpuE3ELNS1_3repE0EEENS1_48merge_mergepath_partition_config_static_selectorELNS0_4arch9wavefront6targetE1EEEvSF_
	.globl	_ZN7rocprim17ROCPRIM_400000_NS6detail17trampoline_kernelINS0_14default_configENS1_38merge_sort_block_merge_config_selectorIxNS0_10empty_typeEEEZZNS1_27merge_sort_block_merge_implIS3_PxPS5_jNS1_19radix_merge_compareILb1ELb0ExNS0_19identity_decomposerEEEEE10hipError_tT0_T1_T2_jT3_P12ihipStream_tbPNSt15iterator_traitsISE_E10value_typeEPNSK_ISF_E10value_typeEPSG_NS1_7vsmem_tEENKUlT_SE_SF_SG_E_clIS8_S8_S9_S9_EESD_ST_SE_SF_SG_EUlST_E_NS1_11comp_targetILNS1_3genE9ELNS1_11target_archE1100ELNS1_3gpuE3ELNS1_3repE0EEENS1_48merge_mergepath_partition_config_static_selectorELNS0_4arch9wavefront6targetE1EEEvSF_
	.p2align	8
	.type	_ZN7rocprim17ROCPRIM_400000_NS6detail17trampoline_kernelINS0_14default_configENS1_38merge_sort_block_merge_config_selectorIxNS0_10empty_typeEEEZZNS1_27merge_sort_block_merge_implIS3_PxPS5_jNS1_19radix_merge_compareILb1ELb0ExNS0_19identity_decomposerEEEEE10hipError_tT0_T1_T2_jT3_P12ihipStream_tbPNSt15iterator_traitsISE_E10value_typeEPNSK_ISF_E10value_typeEPSG_NS1_7vsmem_tEENKUlT_SE_SF_SG_E_clIS8_S8_S9_S9_EESD_ST_SE_SF_SG_EUlST_E_NS1_11comp_targetILNS1_3genE9ELNS1_11target_archE1100ELNS1_3gpuE3ELNS1_3repE0EEENS1_48merge_mergepath_partition_config_static_selectorELNS0_4arch9wavefront6targetE1EEEvSF_,@function
_ZN7rocprim17ROCPRIM_400000_NS6detail17trampoline_kernelINS0_14default_configENS1_38merge_sort_block_merge_config_selectorIxNS0_10empty_typeEEEZZNS1_27merge_sort_block_merge_implIS3_PxPS5_jNS1_19radix_merge_compareILb1ELb0ExNS0_19identity_decomposerEEEEE10hipError_tT0_T1_T2_jT3_P12ihipStream_tbPNSt15iterator_traitsISE_E10value_typeEPNSK_ISF_E10value_typeEPSG_NS1_7vsmem_tEENKUlT_SE_SF_SG_E_clIS8_S8_S9_S9_EESD_ST_SE_SF_SG_EUlST_E_NS1_11comp_targetILNS1_3genE9ELNS1_11target_archE1100ELNS1_3gpuE3ELNS1_3repE0EEENS1_48merge_mergepath_partition_config_static_selectorELNS0_4arch9wavefront6targetE1EEEvSF_: ; @_ZN7rocprim17ROCPRIM_400000_NS6detail17trampoline_kernelINS0_14default_configENS1_38merge_sort_block_merge_config_selectorIxNS0_10empty_typeEEEZZNS1_27merge_sort_block_merge_implIS3_PxPS5_jNS1_19radix_merge_compareILb1ELb0ExNS0_19identity_decomposerEEEEE10hipError_tT0_T1_T2_jT3_P12ihipStream_tbPNSt15iterator_traitsISE_E10value_typeEPNSK_ISF_E10value_typeEPSG_NS1_7vsmem_tEENKUlT_SE_SF_SG_E_clIS8_S8_S9_S9_EESD_ST_SE_SF_SG_EUlST_E_NS1_11comp_targetILNS1_3genE9ELNS1_11target_archE1100ELNS1_3gpuE3ELNS1_3repE0EEENS1_48merge_mergepath_partition_config_static_selectorELNS0_4arch9wavefront6targetE1EEEvSF_
; %bb.0:
	.section	.rodata,"a",@progbits
	.p2align	6, 0x0
	.amdhsa_kernel _ZN7rocprim17ROCPRIM_400000_NS6detail17trampoline_kernelINS0_14default_configENS1_38merge_sort_block_merge_config_selectorIxNS0_10empty_typeEEEZZNS1_27merge_sort_block_merge_implIS3_PxPS5_jNS1_19radix_merge_compareILb1ELb0ExNS0_19identity_decomposerEEEEE10hipError_tT0_T1_T2_jT3_P12ihipStream_tbPNSt15iterator_traitsISE_E10value_typeEPNSK_ISF_E10value_typeEPSG_NS1_7vsmem_tEENKUlT_SE_SF_SG_E_clIS8_S8_S9_S9_EESD_ST_SE_SF_SG_EUlST_E_NS1_11comp_targetILNS1_3genE9ELNS1_11target_archE1100ELNS1_3gpuE3ELNS1_3repE0EEENS1_48merge_mergepath_partition_config_static_selectorELNS0_4arch9wavefront6targetE1EEEvSF_
		.amdhsa_group_segment_fixed_size 0
		.amdhsa_private_segment_fixed_size 0
		.amdhsa_kernarg_size 40
		.amdhsa_user_sgpr_count 6
		.amdhsa_user_sgpr_private_segment_buffer 1
		.amdhsa_user_sgpr_dispatch_ptr 0
		.amdhsa_user_sgpr_queue_ptr 0
		.amdhsa_user_sgpr_kernarg_segment_ptr 1
		.amdhsa_user_sgpr_dispatch_id 0
		.amdhsa_user_sgpr_flat_scratch_init 0
		.amdhsa_user_sgpr_kernarg_preload_length 0
		.amdhsa_user_sgpr_kernarg_preload_offset 0
		.amdhsa_user_sgpr_private_segment_size 0
		.amdhsa_uses_dynamic_stack 0
		.amdhsa_system_sgpr_private_segment_wavefront_offset 0
		.amdhsa_system_sgpr_workgroup_id_x 1
		.amdhsa_system_sgpr_workgroup_id_y 0
		.amdhsa_system_sgpr_workgroup_id_z 0
		.amdhsa_system_sgpr_workgroup_info 0
		.amdhsa_system_vgpr_workitem_id 0
		.amdhsa_next_free_vgpr 1
		.amdhsa_next_free_sgpr 0
		.amdhsa_accum_offset 4
		.amdhsa_reserve_vcc 0
		.amdhsa_reserve_flat_scratch 0
		.amdhsa_float_round_mode_32 0
		.amdhsa_float_round_mode_16_64 0
		.amdhsa_float_denorm_mode_32 3
		.amdhsa_float_denorm_mode_16_64 3
		.amdhsa_dx10_clamp 1
		.amdhsa_ieee_mode 1
		.amdhsa_fp16_overflow 0
		.amdhsa_tg_split 0
		.amdhsa_exception_fp_ieee_invalid_op 0
		.amdhsa_exception_fp_denorm_src 0
		.amdhsa_exception_fp_ieee_div_zero 0
		.amdhsa_exception_fp_ieee_overflow 0
		.amdhsa_exception_fp_ieee_underflow 0
		.amdhsa_exception_fp_ieee_inexact 0
		.amdhsa_exception_int_div_zero 0
	.end_amdhsa_kernel
	.section	.text._ZN7rocprim17ROCPRIM_400000_NS6detail17trampoline_kernelINS0_14default_configENS1_38merge_sort_block_merge_config_selectorIxNS0_10empty_typeEEEZZNS1_27merge_sort_block_merge_implIS3_PxPS5_jNS1_19radix_merge_compareILb1ELb0ExNS0_19identity_decomposerEEEEE10hipError_tT0_T1_T2_jT3_P12ihipStream_tbPNSt15iterator_traitsISE_E10value_typeEPNSK_ISF_E10value_typeEPSG_NS1_7vsmem_tEENKUlT_SE_SF_SG_E_clIS8_S8_S9_S9_EESD_ST_SE_SF_SG_EUlST_E_NS1_11comp_targetILNS1_3genE9ELNS1_11target_archE1100ELNS1_3gpuE3ELNS1_3repE0EEENS1_48merge_mergepath_partition_config_static_selectorELNS0_4arch9wavefront6targetE1EEEvSF_,"axG",@progbits,_ZN7rocprim17ROCPRIM_400000_NS6detail17trampoline_kernelINS0_14default_configENS1_38merge_sort_block_merge_config_selectorIxNS0_10empty_typeEEEZZNS1_27merge_sort_block_merge_implIS3_PxPS5_jNS1_19radix_merge_compareILb1ELb0ExNS0_19identity_decomposerEEEEE10hipError_tT0_T1_T2_jT3_P12ihipStream_tbPNSt15iterator_traitsISE_E10value_typeEPNSK_ISF_E10value_typeEPSG_NS1_7vsmem_tEENKUlT_SE_SF_SG_E_clIS8_S8_S9_S9_EESD_ST_SE_SF_SG_EUlST_E_NS1_11comp_targetILNS1_3genE9ELNS1_11target_archE1100ELNS1_3gpuE3ELNS1_3repE0EEENS1_48merge_mergepath_partition_config_static_selectorELNS0_4arch9wavefront6targetE1EEEvSF_,comdat
.Lfunc_end2324:
	.size	_ZN7rocprim17ROCPRIM_400000_NS6detail17trampoline_kernelINS0_14default_configENS1_38merge_sort_block_merge_config_selectorIxNS0_10empty_typeEEEZZNS1_27merge_sort_block_merge_implIS3_PxPS5_jNS1_19radix_merge_compareILb1ELb0ExNS0_19identity_decomposerEEEEE10hipError_tT0_T1_T2_jT3_P12ihipStream_tbPNSt15iterator_traitsISE_E10value_typeEPNSK_ISF_E10value_typeEPSG_NS1_7vsmem_tEENKUlT_SE_SF_SG_E_clIS8_S8_S9_S9_EESD_ST_SE_SF_SG_EUlST_E_NS1_11comp_targetILNS1_3genE9ELNS1_11target_archE1100ELNS1_3gpuE3ELNS1_3repE0EEENS1_48merge_mergepath_partition_config_static_selectorELNS0_4arch9wavefront6targetE1EEEvSF_, .Lfunc_end2324-_ZN7rocprim17ROCPRIM_400000_NS6detail17trampoline_kernelINS0_14default_configENS1_38merge_sort_block_merge_config_selectorIxNS0_10empty_typeEEEZZNS1_27merge_sort_block_merge_implIS3_PxPS5_jNS1_19radix_merge_compareILb1ELb0ExNS0_19identity_decomposerEEEEE10hipError_tT0_T1_T2_jT3_P12ihipStream_tbPNSt15iterator_traitsISE_E10value_typeEPNSK_ISF_E10value_typeEPSG_NS1_7vsmem_tEENKUlT_SE_SF_SG_E_clIS8_S8_S9_S9_EESD_ST_SE_SF_SG_EUlST_E_NS1_11comp_targetILNS1_3genE9ELNS1_11target_archE1100ELNS1_3gpuE3ELNS1_3repE0EEENS1_48merge_mergepath_partition_config_static_selectorELNS0_4arch9wavefront6targetE1EEEvSF_
                                        ; -- End function
	.section	.AMDGPU.csdata,"",@progbits
; Kernel info:
; codeLenInByte = 0
; NumSgprs: 4
; NumVgprs: 0
; NumAgprs: 0
; TotalNumVgprs: 0
; ScratchSize: 0
; MemoryBound: 0
; FloatMode: 240
; IeeeMode: 1
; LDSByteSize: 0 bytes/workgroup (compile time only)
; SGPRBlocks: 0
; VGPRBlocks: 0
; NumSGPRsForWavesPerEU: 4
; NumVGPRsForWavesPerEU: 1
; AccumOffset: 4
; Occupancy: 8
; WaveLimiterHint : 0
; COMPUTE_PGM_RSRC2:SCRATCH_EN: 0
; COMPUTE_PGM_RSRC2:USER_SGPR: 6
; COMPUTE_PGM_RSRC2:TRAP_HANDLER: 0
; COMPUTE_PGM_RSRC2:TGID_X_EN: 1
; COMPUTE_PGM_RSRC2:TGID_Y_EN: 0
; COMPUTE_PGM_RSRC2:TGID_Z_EN: 0
; COMPUTE_PGM_RSRC2:TIDIG_COMP_CNT: 0
; COMPUTE_PGM_RSRC3_GFX90A:ACCUM_OFFSET: 0
; COMPUTE_PGM_RSRC3_GFX90A:TG_SPLIT: 0
	.section	.text._ZN7rocprim17ROCPRIM_400000_NS6detail17trampoline_kernelINS0_14default_configENS1_38merge_sort_block_merge_config_selectorIxNS0_10empty_typeEEEZZNS1_27merge_sort_block_merge_implIS3_PxPS5_jNS1_19radix_merge_compareILb1ELb0ExNS0_19identity_decomposerEEEEE10hipError_tT0_T1_T2_jT3_P12ihipStream_tbPNSt15iterator_traitsISE_E10value_typeEPNSK_ISF_E10value_typeEPSG_NS1_7vsmem_tEENKUlT_SE_SF_SG_E_clIS8_S8_S9_S9_EESD_ST_SE_SF_SG_EUlST_E_NS1_11comp_targetILNS1_3genE8ELNS1_11target_archE1030ELNS1_3gpuE2ELNS1_3repE0EEENS1_48merge_mergepath_partition_config_static_selectorELNS0_4arch9wavefront6targetE1EEEvSF_,"axG",@progbits,_ZN7rocprim17ROCPRIM_400000_NS6detail17trampoline_kernelINS0_14default_configENS1_38merge_sort_block_merge_config_selectorIxNS0_10empty_typeEEEZZNS1_27merge_sort_block_merge_implIS3_PxPS5_jNS1_19radix_merge_compareILb1ELb0ExNS0_19identity_decomposerEEEEE10hipError_tT0_T1_T2_jT3_P12ihipStream_tbPNSt15iterator_traitsISE_E10value_typeEPNSK_ISF_E10value_typeEPSG_NS1_7vsmem_tEENKUlT_SE_SF_SG_E_clIS8_S8_S9_S9_EESD_ST_SE_SF_SG_EUlST_E_NS1_11comp_targetILNS1_3genE8ELNS1_11target_archE1030ELNS1_3gpuE2ELNS1_3repE0EEENS1_48merge_mergepath_partition_config_static_selectorELNS0_4arch9wavefront6targetE1EEEvSF_,comdat
	.protected	_ZN7rocprim17ROCPRIM_400000_NS6detail17trampoline_kernelINS0_14default_configENS1_38merge_sort_block_merge_config_selectorIxNS0_10empty_typeEEEZZNS1_27merge_sort_block_merge_implIS3_PxPS5_jNS1_19radix_merge_compareILb1ELb0ExNS0_19identity_decomposerEEEEE10hipError_tT0_T1_T2_jT3_P12ihipStream_tbPNSt15iterator_traitsISE_E10value_typeEPNSK_ISF_E10value_typeEPSG_NS1_7vsmem_tEENKUlT_SE_SF_SG_E_clIS8_S8_S9_S9_EESD_ST_SE_SF_SG_EUlST_E_NS1_11comp_targetILNS1_3genE8ELNS1_11target_archE1030ELNS1_3gpuE2ELNS1_3repE0EEENS1_48merge_mergepath_partition_config_static_selectorELNS0_4arch9wavefront6targetE1EEEvSF_ ; -- Begin function _ZN7rocprim17ROCPRIM_400000_NS6detail17trampoline_kernelINS0_14default_configENS1_38merge_sort_block_merge_config_selectorIxNS0_10empty_typeEEEZZNS1_27merge_sort_block_merge_implIS3_PxPS5_jNS1_19radix_merge_compareILb1ELb0ExNS0_19identity_decomposerEEEEE10hipError_tT0_T1_T2_jT3_P12ihipStream_tbPNSt15iterator_traitsISE_E10value_typeEPNSK_ISF_E10value_typeEPSG_NS1_7vsmem_tEENKUlT_SE_SF_SG_E_clIS8_S8_S9_S9_EESD_ST_SE_SF_SG_EUlST_E_NS1_11comp_targetILNS1_3genE8ELNS1_11target_archE1030ELNS1_3gpuE2ELNS1_3repE0EEENS1_48merge_mergepath_partition_config_static_selectorELNS0_4arch9wavefront6targetE1EEEvSF_
	.globl	_ZN7rocprim17ROCPRIM_400000_NS6detail17trampoline_kernelINS0_14default_configENS1_38merge_sort_block_merge_config_selectorIxNS0_10empty_typeEEEZZNS1_27merge_sort_block_merge_implIS3_PxPS5_jNS1_19radix_merge_compareILb1ELb0ExNS0_19identity_decomposerEEEEE10hipError_tT0_T1_T2_jT3_P12ihipStream_tbPNSt15iterator_traitsISE_E10value_typeEPNSK_ISF_E10value_typeEPSG_NS1_7vsmem_tEENKUlT_SE_SF_SG_E_clIS8_S8_S9_S9_EESD_ST_SE_SF_SG_EUlST_E_NS1_11comp_targetILNS1_3genE8ELNS1_11target_archE1030ELNS1_3gpuE2ELNS1_3repE0EEENS1_48merge_mergepath_partition_config_static_selectorELNS0_4arch9wavefront6targetE1EEEvSF_
	.p2align	8
	.type	_ZN7rocprim17ROCPRIM_400000_NS6detail17trampoline_kernelINS0_14default_configENS1_38merge_sort_block_merge_config_selectorIxNS0_10empty_typeEEEZZNS1_27merge_sort_block_merge_implIS3_PxPS5_jNS1_19radix_merge_compareILb1ELb0ExNS0_19identity_decomposerEEEEE10hipError_tT0_T1_T2_jT3_P12ihipStream_tbPNSt15iterator_traitsISE_E10value_typeEPNSK_ISF_E10value_typeEPSG_NS1_7vsmem_tEENKUlT_SE_SF_SG_E_clIS8_S8_S9_S9_EESD_ST_SE_SF_SG_EUlST_E_NS1_11comp_targetILNS1_3genE8ELNS1_11target_archE1030ELNS1_3gpuE2ELNS1_3repE0EEENS1_48merge_mergepath_partition_config_static_selectorELNS0_4arch9wavefront6targetE1EEEvSF_,@function
_ZN7rocprim17ROCPRIM_400000_NS6detail17trampoline_kernelINS0_14default_configENS1_38merge_sort_block_merge_config_selectorIxNS0_10empty_typeEEEZZNS1_27merge_sort_block_merge_implIS3_PxPS5_jNS1_19radix_merge_compareILb1ELb0ExNS0_19identity_decomposerEEEEE10hipError_tT0_T1_T2_jT3_P12ihipStream_tbPNSt15iterator_traitsISE_E10value_typeEPNSK_ISF_E10value_typeEPSG_NS1_7vsmem_tEENKUlT_SE_SF_SG_E_clIS8_S8_S9_S9_EESD_ST_SE_SF_SG_EUlST_E_NS1_11comp_targetILNS1_3genE8ELNS1_11target_archE1030ELNS1_3gpuE2ELNS1_3repE0EEENS1_48merge_mergepath_partition_config_static_selectorELNS0_4arch9wavefront6targetE1EEEvSF_: ; @_ZN7rocprim17ROCPRIM_400000_NS6detail17trampoline_kernelINS0_14default_configENS1_38merge_sort_block_merge_config_selectorIxNS0_10empty_typeEEEZZNS1_27merge_sort_block_merge_implIS3_PxPS5_jNS1_19radix_merge_compareILb1ELb0ExNS0_19identity_decomposerEEEEE10hipError_tT0_T1_T2_jT3_P12ihipStream_tbPNSt15iterator_traitsISE_E10value_typeEPNSK_ISF_E10value_typeEPSG_NS1_7vsmem_tEENKUlT_SE_SF_SG_E_clIS8_S8_S9_S9_EESD_ST_SE_SF_SG_EUlST_E_NS1_11comp_targetILNS1_3genE8ELNS1_11target_archE1030ELNS1_3gpuE2ELNS1_3repE0EEENS1_48merge_mergepath_partition_config_static_selectorELNS0_4arch9wavefront6targetE1EEEvSF_
; %bb.0:
	.section	.rodata,"a",@progbits
	.p2align	6, 0x0
	.amdhsa_kernel _ZN7rocprim17ROCPRIM_400000_NS6detail17trampoline_kernelINS0_14default_configENS1_38merge_sort_block_merge_config_selectorIxNS0_10empty_typeEEEZZNS1_27merge_sort_block_merge_implIS3_PxPS5_jNS1_19radix_merge_compareILb1ELb0ExNS0_19identity_decomposerEEEEE10hipError_tT0_T1_T2_jT3_P12ihipStream_tbPNSt15iterator_traitsISE_E10value_typeEPNSK_ISF_E10value_typeEPSG_NS1_7vsmem_tEENKUlT_SE_SF_SG_E_clIS8_S8_S9_S9_EESD_ST_SE_SF_SG_EUlST_E_NS1_11comp_targetILNS1_3genE8ELNS1_11target_archE1030ELNS1_3gpuE2ELNS1_3repE0EEENS1_48merge_mergepath_partition_config_static_selectorELNS0_4arch9wavefront6targetE1EEEvSF_
		.amdhsa_group_segment_fixed_size 0
		.amdhsa_private_segment_fixed_size 0
		.amdhsa_kernarg_size 40
		.amdhsa_user_sgpr_count 6
		.amdhsa_user_sgpr_private_segment_buffer 1
		.amdhsa_user_sgpr_dispatch_ptr 0
		.amdhsa_user_sgpr_queue_ptr 0
		.amdhsa_user_sgpr_kernarg_segment_ptr 1
		.amdhsa_user_sgpr_dispatch_id 0
		.amdhsa_user_sgpr_flat_scratch_init 0
		.amdhsa_user_sgpr_kernarg_preload_length 0
		.amdhsa_user_sgpr_kernarg_preload_offset 0
		.amdhsa_user_sgpr_private_segment_size 0
		.amdhsa_uses_dynamic_stack 0
		.amdhsa_system_sgpr_private_segment_wavefront_offset 0
		.amdhsa_system_sgpr_workgroup_id_x 1
		.amdhsa_system_sgpr_workgroup_id_y 0
		.amdhsa_system_sgpr_workgroup_id_z 0
		.amdhsa_system_sgpr_workgroup_info 0
		.amdhsa_system_vgpr_workitem_id 0
		.amdhsa_next_free_vgpr 1
		.amdhsa_next_free_sgpr 0
		.amdhsa_accum_offset 4
		.amdhsa_reserve_vcc 0
		.amdhsa_reserve_flat_scratch 0
		.amdhsa_float_round_mode_32 0
		.amdhsa_float_round_mode_16_64 0
		.amdhsa_float_denorm_mode_32 3
		.amdhsa_float_denorm_mode_16_64 3
		.amdhsa_dx10_clamp 1
		.amdhsa_ieee_mode 1
		.amdhsa_fp16_overflow 0
		.amdhsa_tg_split 0
		.amdhsa_exception_fp_ieee_invalid_op 0
		.amdhsa_exception_fp_denorm_src 0
		.amdhsa_exception_fp_ieee_div_zero 0
		.amdhsa_exception_fp_ieee_overflow 0
		.amdhsa_exception_fp_ieee_underflow 0
		.amdhsa_exception_fp_ieee_inexact 0
		.amdhsa_exception_int_div_zero 0
	.end_amdhsa_kernel
	.section	.text._ZN7rocprim17ROCPRIM_400000_NS6detail17trampoline_kernelINS0_14default_configENS1_38merge_sort_block_merge_config_selectorIxNS0_10empty_typeEEEZZNS1_27merge_sort_block_merge_implIS3_PxPS5_jNS1_19radix_merge_compareILb1ELb0ExNS0_19identity_decomposerEEEEE10hipError_tT0_T1_T2_jT3_P12ihipStream_tbPNSt15iterator_traitsISE_E10value_typeEPNSK_ISF_E10value_typeEPSG_NS1_7vsmem_tEENKUlT_SE_SF_SG_E_clIS8_S8_S9_S9_EESD_ST_SE_SF_SG_EUlST_E_NS1_11comp_targetILNS1_3genE8ELNS1_11target_archE1030ELNS1_3gpuE2ELNS1_3repE0EEENS1_48merge_mergepath_partition_config_static_selectorELNS0_4arch9wavefront6targetE1EEEvSF_,"axG",@progbits,_ZN7rocprim17ROCPRIM_400000_NS6detail17trampoline_kernelINS0_14default_configENS1_38merge_sort_block_merge_config_selectorIxNS0_10empty_typeEEEZZNS1_27merge_sort_block_merge_implIS3_PxPS5_jNS1_19radix_merge_compareILb1ELb0ExNS0_19identity_decomposerEEEEE10hipError_tT0_T1_T2_jT3_P12ihipStream_tbPNSt15iterator_traitsISE_E10value_typeEPNSK_ISF_E10value_typeEPSG_NS1_7vsmem_tEENKUlT_SE_SF_SG_E_clIS8_S8_S9_S9_EESD_ST_SE_SF_SG_EUlST_E_NS1_11comp_targetILNS1_3genE8ELNS1_11target_archE1030ELNS1_3gpuE2ELNS1_3repE0EEENS1_48merge_mergepath_partition_config_static_selectorELNS0_4arch9wavefront6targetE1EEEvSF_,comdat
.Lfunc_end2325:
	.size	_ZN7rocprim17ROCPRIM_400000_NS6detail17trampoline_kernelINS0_14default_configENS1_38merge_sort_block_merge_config_selectorIxNS0_10empty_typeEEEZZNS1_27merge_sort_block_merge_implIS3_PxPS5_jNS1_19radix_merge_compareILb1ELb0ExNS0_19identity_decomposerEEEEE10hipError_tT0_T1_T2_jT3_P12ihipStream_tbPNSt15iterator_traitsISE_E10value_typeEPNSK_ISF_E10value_typeEPSG_NS1_7vsmem_tEENKUlT_SE_SF_SG_E_clIS8_S8_S9_S9_EESD_ST_SE_SF_SG_EUlST_E_NS1_11comp_targetILNS1_3genE8ELNS1_11target_archE1030ELNS1_3gpuE2ELNS1_3repE0EEENS1_48merge_mergepath_partition_config_static_selectorELNS0_4arch9wavefront6targetE1EEEvSF_, .Lfunc_end2325-_ZN7rocprim17ROCPRIM_400000_NS6detail17trampoline_kernelINS0_14default_configENS1_38merge_sort_block_merge_config_selectorIxNS0_10empty_typeEEEZZNS1_27merge_sort_block_merge_implIS3_PxPS5_jNS1_19radix_merge_compareILb1ELb0ExNS0_19identity_decomposerEEEEE10hipError_tT0_T1_T2_jT3_P12ihipStream_tbPNSt15iterator_traitsISE_E10value_typeEPNSK_ISF_E10value_typeEPSG_NS1_7vsmem_tEENKUlT_SE_SF_SG_E_clIS8_S8_S9_S9_EESD_ST_SE_SF_SG_EUlST_E_NS1_11comp_targetILNS1_3genE8ELNS1_11target_archE1030ELNS1_3gpuE2ELNS1_3repE0EEENS1_48merge_mergepath_partition_config_static_selectorELNS0_4arch9wavefront6targetE1EEEvSF_
                                        ; -- End function
	.section	.AMDGPU.csdata,"",@progbits
; Kernel info:
; codeLenInByte = 0
; NumSgprs: 4
; NumVgprs: 0
; NumAgprs: 0
; TotalNumVgprs: 0
; ScratchSize: 0
; MemoryBound: 0
; FloatMode: 240
; IeeeMode: 1
; LDSByteSize: 0 bytes/workgroup (compile time only)
; SGPRBlocks: 0
; VGPRBlocks: 0
; NumSGPRsForWavesPerEU: 4
; NumVGPRsForWavesPerEU: 1
; AccumOffset: 4
; Occupancy: 8
; WaveLimiterHint : 0
; COMPUTE_PGM_RSRC2:SCRATCH_EN: 0
; COMPUTE_PGM_RSRC2:USER_SGPR: 6
; COMPUTE_PGM_RSRC2:TRAP_HANDLER: 0
; COMPUTE_PGM_RSRC2:TGID_X_EN: 1
; COMPUTE_PGM_RSRC2:TGID_Y_EN: 0
; COMPUTE_PGM_RSRC2:TGID_Z_EN: 0
; COMPUTE_PGM_RSRC2:TIDIG_COMP_CNT: 0
; COMPUTE_PGM_RSRC3_GFX90A:ACCUM_OFFSET: 0
; COMPUTE_PGM_RSRC3_GFX90A:TG_SPLIT: 0
	.section	.text._ZN7rocprim17ROCPRIM_400000_NS6detail17trampoline_kernelINS0_14default_configENS1_38merge_sort_block_merge_config_selectorIxNS0_10empty_typeEEEZZNS1_27merge_sort_block_merge_implIS3_PxPS5_jNS1_19radix_merge_compareILb1ELb0ExNS0_19identity_decomposerEEEEE10hipError_tT0_T1_T2_jT3_P12ihipStream_tbPNSt15iterator_traitsISE_E10value_typeEPNSK_ISF_E10value_typeEPSG_NS1_7vsmem_tEENKUlT_SE_SF_SG_E_clIS8_S8_S9_S9_EESD_ST_SE_SF_SG_EUlST_E0_NS1_11comp_targetILNS1_3genE0ELNS1_11target_archE4294967295ELNS1_3gpuE0ELNS1_3repE0EEENS1_38merge_mergepath_config_static_selectorELNS0_4arch9wavefront6targetE1EEEvSF_,"axG",@progbits,_ZN7rocprim17ROCPRIM_400000_NS6detail17trampoline_kernelINS0_14default_configENS1_38merge_sort_block_merge_config_selectorIxNS0_10empty_typeEEEZZNS1_27merge_sort_block_merge_implIS3_PxPS5_jNS1_19radix_merge_compareILb1ELb0ExNS0_19identity_decomposerEEEEE10hipError_tT0_T1_T2_jT3_P12ihipStream_tbPNSt15iterator_traitsISE_E10value_typeEPNSK_ISF_E10value_typeEPSG_NS1_7vsmem_tEENKUlT_SE_SF_SG_E_clIS8_S8_S9_S9_EESD_ST_SE_SF_SG_EUlST_E0_NS1_11comp_targetILNS1_3genE0ELNS1_11target_archE4294967295ELNS1_3gpuE0ELNS1_3repE0EEENS1_38merge_mergepath_config_static_selectorELNS0_4arch9wavefront6targetE1EEEvSF_,comdat
	.protected	_ZN7rocprim17ROCPRIM_400000_NS6detail17trampoline_kernelINS0_14default_configENS1_38merge_sort_block_merge_config_selectorIxNS0_10empty_typeEEEZZNS1_27merge_sort_block_merge_implIS3_PxPS5_jNS1_19radix_merge_compareILb1ELb0ExNS0_19identity_decomposerEEEEE10hipError_tT0_T1_T2_jT3_P12ihipStream_tbPNSt15iterator_traitsISE_E10value_typeEPNSK_ISF_E10value_typeEPSG_NS1_7vsmem_tEENKUlT_SE_SF_SG_E_clIS8_S8_S9_S9_EESD_ST_SE_SF_SG_EUlST_E0_NS1_11comp_targetILNS1_3genE0ELNS1_11target_archE4294967295ELNS1_3gpuE0ELNS1_3repE0EEENS1_38merge_mergepath_config_static_selectorELNS0_4arch9wavefront6targetE1EEEvSF_ ; -- Begin function _ZN7rocprim17ROCPRIM_400000_NS6detail17trampoline_kernelINS0_14default_configENS1_38merge_sort_block_merge_config_selectorIxNS0_10empty_typeEEEZZNS1_27merge_sort_block_merge_implIS3_PxPS5_jNS1_19radix_merge_compareILb1ELb0ExNS0_19identity_decomposerEEEEE10hipError_tT0_T1_T2_jT3_P12ihipStream_tbPNSt15iterator_traitsISE_E10value_typeEPNSK_ISF_E10value_typeEPSG_NS1_7vsmem_tEENKUlT_SE_SF_SG_E_clIS8_S8_S9_S9_EESD_ST_SE_SF_SG_EUlST_E0_NS1_11comp_targetILNS1_3genE0ELNS1_11target_archE4294967295ELNS1_3gpuE0ELNS1_3repE0EEENS1_38merge_mergepath_config_static_selectorELNS0_4arch9wavefront6targetE1EEEvSF_
	.globl	_ZN7rocprim17ROCPRIM_400000_NS6detail17trampoline_kernelINS0_14default_configENS1_38merge_sort_block_merge_config_selectorIxNS0_10empty_typeEEEZZNS1_27merge_sort_block_merge_implIS3_PxPS5_jNS1_19radix_merge_compareILb1ELb0ExNS0_19identity_decomposerEEEEE10hipError_tT0_T1_T2_jT3_P12ihipStream_tbPNSt15iterator_traitsISE_E10value_typeEPNSK_ISF_E10value_typeEPSG_NS1_7vsmem_tEENKUlT_SE_SF_SG_E_clIS8_S8_S9_S9_EESD_ST_SE_SF_SG_EUlST_E0_NS1_11comp_targetILNS1_3genE0ELNS1_11target_archE4294967295ELNS1_3gpuE0ELNS1_3repE0EEENS1_38merge_mergepath_config_static_selectorELNS0_4arch9wavefront6targetE1EEEvSF_
	.p2align	8
	.type	_ZN7rocprim17ROCPRIM_400000_NS6detail17trampoline_kernelINS0_14default_configENS1_38merge_sort_block_merge_config_selectorIxNS0_10empty_typeEEEZZNS1_27merge_sort_block_merge_implIS3_PxPS5_jNS1_19radix_merge_compareILb1ELb0ExNS0_19identity_decomposerEEEEE10hipError_tT0_T1_T2_jT3_P12ihipStream_tbPNSt15iterator_traitsISE_E10value_typeEPNSK_ISF_E10value_typeEPSG_NS1_7vsmem_tEENKUlT_SE_SF_SG_E_clIS8_S8_S9_S9_EESD_ST_SE_SF_SG_EUlST_E0_NS1_11comp_targetILNS1_3genE0ELNS1_11target_archE4294967295ELNS1_3gpuE0ELNS1_3repE0EEENS1_38merge_mergepath_config_static_selectorELNS0_4arch9wavefront6targetE1EEEvSF_,@function
_ZN7rocprim17ROCPRIM_400000_NS6detail17trampoline_kernelINS0_14default_configENS1_38merge_sort_block_merge_config_selectorIxNS0_10empty_typeEEEZZNS1_27merge_sort_block_merge_implIS3_PxPS5_jNS1_19radix_merge_compareILb1ELb0ExNS0_19identity_decomposerEEEEE10hipError_tT0_T1_T2_jT3_P12ihipStream_tbPNSt15iterator_traitsISE_E10value_typeEPNSK_ISF_E10value_typeEPSG_NS1_7vsmem_tEENKUlT_SE_SF_SG_E_clIS8_S8_S9_S9_EESD_ST_SE_SF_SG_EUlST_E0_NS1_11comp_targetILNS1_3genE0ELNS1_11target_archE4294967295ELNS1_3gpuE0ELNS1_3repE0EEENS1_38merge_mergepath_config_static_selectorELNS0_4arch9wavefront6targetE1EEEvSF_: ; @_ZN7rocprim17ROCPRIM_400000_NS6detail17trampoline_kernelINS0_14default_configENS1_38merge_sort_block_merge_config_selectorIxNS0_10empty_typeEEEZZNS1_27merge_sort_block_merge_implIS3_PxPS5_jNS1_19radix_merge_compareILb1ELb0ExNS0_19identity_decomposerEEEEE10hipError_tT0_T1_T2_jT3_P12ihipStream_tbPNSt15iterator_traitsISE_E10value_typeEPNSK_ISF_E10value_typeEPSG_NS1_7vsmem_tEENKUlT_SE_SF_SG_E_clIS8_S8_S9_S9_EESD_ST_SE_SF_SG_EUlST_E0_NS1_11comp_targetILNS1_3genE0ELNS1_11target_archE4294967295ELNS1_3gpuE0ELNS1_3repE0EEENS1_38merge_mergepath_config_static_selectorELNS0_4arch9wavefront6targetE1EEEvSF_
; %bb.0:
	.section	.rodata,"a",@progbits
	.p2align	6, 0x0
	.amdhsa_kernel _ZN7rocprim17ROCPRIM_400000_NS6detail17trampoline_kernelINS0_14default_configENS1_38merge_sort_block_merge_config_selectorIxNS0_10empty_typeEEEZZNS1_27merge_sort_block_merge_implIS3_PxPS5_jNS1_19radix_merge_compareILb1ELb0ExNS0_19identity_decomposerEEEEE10hipError_tT0_T1_T2_jT3_P12ihipStream_tbPNSt15iterator_traitsISE_E10value_typeEPNSK_ISF_E10value_typeEPSG_NS1_7vsmem_tEENKUlT_SE_SF_SG_E_clIS8_S8_S9_S9_EESD_ST_SE_SF_SG_EUlST_E0_NS1_11comp_targetILNS1_3genE0ELNS1_11target_archE4294967295ELNS1_3gpuE0ELNS1_3repE0EEENS1_38merge_mergepath_config_static_selectorELNS0_4arch9wavefront6targetE1EEEvSF_
		.amdhsa_group_segment_fixed_size 0
		.amdhsa_private_segment_fixed_size 0
		.amdhsa_kernarg_size 64
		.amdhsa_user_sgpr_count 6
		.amdhsa_user_sgpr_private_segment_buffer 1
		.amdhsa_user_sgpr_dispatch_ptr 0
		.amdhsa_user_sgpr_queue_ptr 0
		.amdhsa_user_sgpr_kernarg_segment_ptr 1
		.amdhsa_user_sgpr_dispatch_id 0
		.amdhsa_user_sgpr_flat_scratch_init 0
		.amdhsa_user_sgpr_kernarg_preload_length 0
		.amdhsa_user_sgpr_kernarg_preload_offset 0
		.amdhsa_user_sgpr_private_segment_size 0
		.amdhsa_uses_dynamic_stack 0
		.amdhsa_system_sgpr_private_segment_wavefront_offset 0
		.amdhsa_system_sgpr_workgroup_id_x 1
		.amdhsa_system_sgpr_workgroup_id_y 0
		.amdhsa_system_sgpr_workgroup_id_z 0
		.amdhsa_system_sgpr_workgroup_info 0
		.amdhsa_system_vgpr_workitem_id 0
		.amdhsa_next_free_vgpr 1
		.amdhsa_next_free_sgpr 0
		.amdhsa_accum_offset 4
		.amdhsa_reserve_vcc 0
		.amdhsa_reserve_flat_scratch 0
		.amdhsa_float_round_mode_32 0
		.amdhsa_float_round_mode_16_64 0
		.amdhsa_float_denorm_mode_32 3
		.amdhsa_float_denorm_mode_16_64 3
		.amdhsa_dx10_clamp 1
		.amdhsa_ieee_mode 1
		.amdhsa_fp16_overflow 0
		.amdhsa_tg_split 0
		.amdhsa_exception_fp_ieee_invalid_op 0
		.amdhsa_exception_fp_denorm_src 0
		.amdhsa_exception_fp_ieee_div_zero 0
		.amdhsa_exception_fp_ieee_overflow 0
		.amdhsa_exception_fp_ieee_underflow 0
		.amdhsa_exception_fp_ieee_inexact 0
		.amdhsa_exception_int_div_zero 0
	.end_amdhsa_kernel
	.section	.text._ZN7rocprim17ROCPRIM_400000_NS6detail17trampoline_kernelINS0_14default_configENS1_38merge_sort_block_merge_config_selectorIxNS0_10empty_typeEEEZZNS1_27merge_sort_block_merge_implIS3_PxPS5_jNS1_19radix_merge_compareILb1ELb0ExNS0_19identity_decomposerEEEEE10hipError_tT0_T1_T2_jT3_P12ihipStream_tbPNSt15iterator_traitsISE_E10value_typeEPNSK_ISF_E10value_typeEPSG_NS1_7vsmem_tEENKUlT_SE_SF_SG_E_clIS8_S8_S9_S9_EESD_ST_SE_SF_SG_EUlST_E0_NS1_11comp_targetILNS1_3genE0ELNS1_11target_archE4294967295ELNS1_3gpuE0ELNS1_3repE0EEENS1_38merge_mergepath_config_static_selectorELNS0_4arch9wavefront6targetE1EEEvSF_,"axG",@progbits,_ZN7rocprim17ROCPRIM_400000_NS6detail17trampoline_kernelINS0_14default_configENS1_38merge_sort_block_merge_config_selectorIxNS0_10empty_typeEEEZZNS1_27merge_sort_block_merge_implIS3_PxPS5_jNS1_19radix_merge_compareILb1ELb0ExNS0_19identity_decomposerEEEEE10hipError_tT0_T1_T2_jT3_P12ihipStream_tbPNSt15iterator_traitsISE_E10value_typeEPNSK_ISF_E10value_typeEPSG_NS1_7vsmem_tEENKUlT_SE_SF_SG_E_clIS8_S8_S9_S9_EESD_ST_SE_SF_SG_EUlST_E0_NS1_11comp_targetILNS1_3genE0ELNS1_11target_archE4294967295ELNS1_3gpuE0ELNS1_3repE0EEENS1_38merge_mergepath_config_static_selectorELNS0_4arch9wavefront6targetE1EEEvSF_,comdat
.Lfunc_end2326:
	.size	_ZN7rocprim17ROCPRIM_400000_NS6detail17trampoline_kernelINS0_14default_configENS1_38merge_sort_block_merge_config_selectorIxNS0_10empty_typeEEEZZNS1_27merge_sort_block_merge_implIS3_PxPS5_jNS1_19radix_merge_compareILb1ELb0ExNS0_19identity_decomposerEEEEE10hipError_tT0_T1_T2_jT3_P12ihipStream_tbPNSt15iterator_traitsISE_E10value_typeEPNSK_ISF_E10value_typeEPSG_NS1_7vsmem_tEENKUlT_SE_SF_SG_E_clIS8_S8_S9_S9_EESD_ST_SE_SF_SG_EUlST_E0_NS1_11comp_targetILNS1_3genE0ELNS1_11target_archE4294967295ELNS1_3gpuE0ELNS1_3repE0EEENS1_38merge_mergepath_config_static_selectorELNS0_4arch9wavefront6targetE1EEEvSF_, .Lfunc_end2326-_ZN7rocprim17ROCPRIM_400000_NS6detail17trampoline_kernelINS0_14default_configENS1_38merge_sort_block_merge_config_selectorIxNS0_10empty_typeEEEZZNS1_27merge_sort_block_merge_implIS3_PxPS5_jNS1_19radix_merge_compareILb1ELb0ExNS0_19identity_decomposerEEEEE10hipError_tT0_T1_T2_jT3_P12ihipStream_tbPNSt15iterator_traitsISE_E10value_typeEPNSK_ISF_E10value_typeEPSG_NS1_7vsmem_tEENKUlT_SE_SF_SG_E_clIS8_S8_S9_S9_EESD_ST_SE_SF_SG_EUlST_E0_NS1_11comp_targetILNS1_3genE0ELNS1_11target_archE4294967295ELNS1_3gpuE0ELNS1_3repE0EEENS1_38merge_mergepath_config_static_selectorELNS0_4arch9wavefront6targetE1EEEvSF_
                                        ; -- End function
	.section	.AMDGPU.csdata,"",@progbits
; Kernel info:
; codeLenInByte = 0
; NumSgprs: 4
; NumVgprs: 0
; NumAgprs: 0
; TotalNumVgprs: 0
; ScratchSize: 0
; MemoryBound: 0
; FloatMode: 240
; IeeeMode: 1
; LDSByteSize: 0 bytes/workgroup (compile time only)
; SGPRBlocks: 0
; VGPRBlocks: 0
; NumSGPRsForWavesPerEU: 4
; NumVGPRsForWavesPerEU: 1
; AccumOffset: 4
; Occupancy: 8
; WaveLimiterHint : 0
; COMPUTE_PGM_RSRC2:SCRATCH_EN: 0
; COMPUTE_PGM_RSRC2:USER_SGPR: 6
; COMPUTE_PGM_RSRC2:TRAP_HANDLER: 0
; COMPUTE_PGM_RSRC2:TGID_X_EN: 1
; COMPUTE_PGM_RSRC2:TGID_Y_EN: 0
; COMPUTE_PGM_RSRC2:TGID_Z_EN: 0
; COMPUTE_PGM_RSRC2:TIDIG_COMP_CNT: 0
; COMPUTE_PGM_RSRC3_GFX90A:ACCUM_OFFSET: 0
; COMPUTE_PGM_RSRC3_GFX90A:TG_SPLIT: 0
	.section	.text._ZN7rocprim17ROCPRIM_400000_NS6detail17trampoline_kernelINS0_14default_configENS1_38merge_sort_block_merge_config_selectorIxNS0_10empty_typeEEEZZNS1_27merge_sort_block_merge_implIS3_PxPS5_jNS1_19radix_merge_compareILb1ELb0ExNS0_19identity_decomposerEEEEE10hipError_tT0_T1_T2_jT3_P12ihipStream_tbPNSt15iterator_traitsISE_E10value_typeEPNSK_ISF_E10value_typeEPSG_NS1_7vsmem_tEENKUlT_SE_SF_SG_E_clIS8_S8_S9_S9_EESD_ST_SE_SF_SG_EUlST_E0_NS1_11comp_targetILNS1_3genE10ELNS1_11target_archE1201ELNS1_3gpuE5ELNS1_3repE0EEENS1_38merge_mergepath_config_static_selectorELNS0_4arch9wavefront6targetE1EEEvSF_,"axG",@progbits,_ZN7rocprim17ROCPRIM_400000_NS6detail17trampoline_kernelINS0_14default_configENS1_38merge_sort_block_merge_config_selectorIxNS0_10empty_typeEEEZZNS1_27merge_sort_block_merge_implIS3_PxPS5_jNS1_19radix_merge_compareILb1ELb0ExNS0_19identity_decomposerEEEEE10hipError_tT0_T1_T2_jT3_P12ihipStream_tbPNSt15iterator_traitsISE_E10value_typeEPNSK_ISF_E10value_typeEPSG_NS1_7vsmem_tEENKUlT_SE_SF_SG_E_clIS8_S8_S9_S9_EESD_ST_SE_SF_SG_EUlST_E0_NS1_11comp_targetILNS1_3genE10ELNS1_11target_archE1201ELNS1_3gpuE5ELNS1_3repE0EEENS1_38merge_mergepath_config_static_selectorELNS0_4arch9wavefront6targetE1EEEvSF_,comdat
	.protected	_ZN7rocprim17ROCPRIM_400000_NS6detail17trampoline_kernelINS0_14default_configENS1_38merge_sort_block_merge_config_selectorIxNS0_10empty_typeEEEZZNS1_27merge_sort_block_merge_implIS3_PxPS5_jNS1_19radix_merge_compareILb1ELb0ExNS0_19identity_decomposerEEEEE10hipError_tT0_T1_T2_jT3_P12ihipStream_tbPNSt15iterator_traitsISE_E10value_typeEPNSK_ISF_E10value_typeEPSG_NS1_7vsmem_tEENKUlT_SE_SF_SG_E_clIS8_S8_S9_S9_EESD_ST_SE_SF_SG_EUlST_E0_NS1_11comp_targetILNS1_3genE10ELNS1_11target_archE1201ELNS1_3gpuE5ELNS1_3repE0EEENS1_38merge_mergepath_config_static_selectorELNS0_4arch9wavefront6targetE1EEEvSF_ ; -- Begin function _ZN7rocprim17ROCPRIM_400000_NS6detail17trampoline_kernelINS0_14default_configENS1_38merge_sort_block_merge_config_selectorIxNS0_10empty_typeEEEZZNS1_27merge_sort_block_merge_implIS3_PxPS5_jNS1_19radix_merge_compareILb1ELb0ExNS0_19identity_decomposerEEEEE10hipError_tT0_T1_T2_jT3_P12ihipStream_tbPNSt15iterator_traitsISE_E10value_typeEPNSK_ISF_E10value_typeEPSG_NS1_7vsmem_tEENKUlT_SE_SF_SG_E_clIS8_S8_S9_S9_EESD_ST_SE_SF_SG_EUlST_E0_NS1_11comp_targetILNS1_3genE10ELNS1_11target_archE1201ELNS1_3gpuE5ELNS1_3repE0EEENS1_38merge_mergepath_config_static_selectorELNS0_4arch9wavefront6targetE1EEEvSF_
	.globl	_ZN7rocprim17ROCPRIM_400000_NS6detail17trampoline_kernelINS0_14default_configENS1_38merge_sort_block_merge_config_selectorIxNS0_10empty_typeEEEZZNS1_27merge_sort_block_merge_implIS3_PxPS5_jNS1_19radix_merge_compareILb1ELb0ExNS0_19identity_decomposerEEEEE10hipError_tT0_T1_T2_jT3_P12ihipStream_tbPNSt15iterator_traitsISE_E10value_typeEPNSK_ISF_E10value_typeEPSG_NS1_7vsmem_tEENKUlT_SE_SF_SG_E_clIS8_S8_S9_S9_EESD_ST_SE_SF_SG_EUlST_E0_NS1_11comp_targetILNS1_3genE10ELNS1_11target_archE1201ELNS1_3gpuE5ELNS1_3repE0EEENS1_38merge_mergepath_config_static_selectorELNS0_4arch9wavefront6targetE1EEEvSF_
	.p2align	8
	.type	_ZN7rocprim17ROCPRIM_400000_NS6detail17trampoline_kernelINS0_14default_configENS1_38merge_sort_block_merge_config_selectorIxNS0_10empty_typeEEEZZNS1_27merge_sort_block_merge_implIS3_PxPS5_jNS1_19radix_merge_compareILb1ELb0ExNS0_19identity_decomposerEEEEE10hipError_tT0_T1_T2_jT3_P12ihipStream_tbPNSt15iterator_traitsISE_E10value_typeEPNSK_ISF_E10value_typeEPSG_NS1_7vsmem_tEENKUlT_SE_SF_SG_E_clIS8_S8_S9_S9_EESD_ST_SE_SF_SG_EUlST_E0_NS1_11comp_targetILNS1_3genE10ELNS1_11target_archE1201ELNS1_3gpuE5ELNS1_3repE0EEENS1_38merge_mergepath_config_static_selectorELNS0_4arch9wavefront6targetE1EEEvSF_,@function
_ZN7rocprim17ROCPRIM_400000_NS6detail17trampoline_kernelINS0_14default_configENS1_38merge_sort_block_merge_config_selectorIxNS0_10empty_typeEEEZZNS1_27merge_sort_block_merge_implIS3_PxPS5_jNS1_19radix_merge_compareILb1ELb0ExNS0_19identity_decomposerEEEEE10hipError_tT0_T1_T2_jT3_P12ihipStream_tbPNSt15iterator_traitsISE_E10value_typeEPNSK_ISF_E10value_typeEPSG_NS1_7vsmem_tEENKUlT_SE_SF_SG_E_clIS8_S8_S9_S9_EESD_ST_SE_SF_SG_EUlST_E0_NS1_11comp_targetILNS1_3genE10ELNS1_11target_archE1201ELNS1_3gpuE5ELNS1_3repE0EEENS1_38merge_mergepath_config_static_selectorELNS0_4arch9wavefront6targetE1EEEvSF_: ; @_ZN7rocprim17ROCPRIM_400000_NS6detail17trampoline_kernelINS0_14default_configENS1_38merge_sort_block_merge_config_selectorIxNS0_10empty_typeEEEZZNS1_27merge_sort_block_merge_implIS3_PxPS5_jNS1_19radix_merge_compareILb1ELb0ExNS0_19identity_decomposerEEEEE10hipError_tT0_T1_T2_jT3_P12ihipStream_tbPNSt15iterator_traitsISE_E10value_typeEPNSK_ISF_E10value_typeEPSG_NS1_7vsmem_tEENKUlT_SE_SF_SG_E_clIS8_S8_S9_S9_EESD_ST_SE_SF_SG_EUlST_E0_NS1_11comp_targetILNS1_3genE10ELNS1_11target_archE1201ELNS1_3gpuE5ELNS1_3repE0EEENS1_38merge_mergepath_config_static_selectorELNS0_4arch9wavefront6targetE1EEEvSF_
; %bb.0:
	.section	.rodata,"a",@progbits
	.p2align	6, 0x0
	.amdhsa_kernel _ZN7rocprim17ROCPRIM_400000_NS6detail17trampoline_kernelINS0_14default_configENS1_38merge_sort_block_merge_config_selectorIxNS0_10empty_typeEEEZZNS1_27merge_sort_block_merge_implIS3_PxPS5_jNS1_19radix_merge_compareILb1ELb0ExNS0_19identity_decomposerEEEEE10hipError_tT0_T1_T2_jT3_P12ihipStream_tbPNSt15iterator_traitsISE_E10value_typeEPNSK_ISF_E10value_typeEPSG_NS1_7vsmem_tEENKUlT_SE_SF_SG_E_clIS8_S8_S9_S9_EESD_ST_SE_SF_SG_EUlST_E0_NS1_11comp_targetILNS1_3genE10ELNS1_11target_archE1201ELNS1_3gpuE5ELNS1_3repE0EEENS1_38merge_mergepath_config_static_selectorELNS0_4arch9wavefront6targetE1EEEvSF_
		.amdhsa_group_segment_fixed_size 0
		.amdhsa_private_segment_fixed_size 0
		.amdhsa_kernarg_size 64
		.amdhsa_user_sgpr_count 6
		.amdhsa_user_sgpr_private_segment_buffer 1
		.amdhsa_user_sgpr_dispatch_ptr 0
		.amdhsa_user_sgpr_queue_ptr 0
		.amdhsa_user_sgpr_kernarg_segment_ptr 1
		.amdhsa_user_sgpr_dispatch_id 0
		.amdhsa_user_sgpr_flat_scratch_init 0
		.amdhsa_user_sgpr_kernarg_preload_length 0
		.amdhsa_user_sgpr_kernarg_preload_offset 0
		.amdhsa_user_sgpr_private_segment_size 0
		.amdhsa_uses_dynamic_stack 0
		.amdhsa_system_sgpr_private_segment_wavefront_offset 0
		.amdhsa_system_sgpr_workgroup_id_x 1
		.amdhsa_system_sgpr_workgroup_id_y 0
		.amdhsa_system_sgpr_workgroup_id_z 0
		.amdhsa_system_sgpr_workgroup_info 0
		.amdhsa_system_vgpr_workitem_id 0
		.amdhsa_next_free_vgpr 1
		.amdhsa_next_free_sgpr 0
		.amdhsa_accum_offset 4
		.amdhsa_reserve_vcc 0
		.amdhsa_reserve_flat_scratch 0
		.amdhsa_float_round_mode_32 0
		.amdhsa_float_round_mode_16_64 0
		.amdhsa_float_denorm_mode_32 3
		.amdhsa_float_denorm_mode_16_64 3
		.amdhsa_dx10_clamp 1
		.amdhsa_ieee_mode 1
		.amdhsa_fp16_overflow 0
		.amdhsa_tg_split 0
		.amdhsa_exception_fp_ieee_invalid_op 0
		.amdhsa_exception_fp_denorm_src 0
		.amdhsa_exception_fp_ieee_div_zero 0
		.amdhsa_exception_fp_ieee_overflow 0
		.amdhsa_exception_fp_ieee_underflow 0
		.amdhsa_exception_fp_ieee_inexact 0
		.amdhsa_exception_int_div_zero 0
	.end_amdhsa_kernel
	.section	.text._ZN7rocprim17ROCPRIM_400000_NS6detail17trampoline_kernelINS0_14default_configENS1_38merge_sort_block_merge_config_selectorIxNS0_10empty_typeEEEZZNS1_27merge_sort_block_merge_implIS3_PxPS5_jNS1_19radix_merge_compareILb1ELb0ExNS0_19identity_decomposerEEEEE10hipError_tT0_T1_T2_jT3_P12ihipStream_tbPNSt15iterator_traitsISE_E10value_typeEPNSK_ISF_E10value_typeEPSG_NS1_7vsmem_tEENKUlT_SE_SF_SG_E_clIS8_S8_S9_S9_EESD_ST_SE_SF_SG_EUlST_E0_NS1_11comp_targetILNS1_3genE10ELNS1_11target_archE1201ELNS1_3gpuE5ELNS1_3repE0EEENS1_38merge_mergepath_config_static_selectorELNS0_4arch9wavefront6targetE1EEEvSF_,"axG",@progbits,_ZN7rocprim17ROCPRIM_400000_NS6detail17trampoline_kernelINS0_14default_configENS1_38merge_sort_block_merge_config_selectorIxNS0_10empty_typeEEEZZNS1_27merge_sort_block_merge_implIS3_PxPS5_jNS1_19radix_merge_compareILb1ELb0ExNS0_19identity_decomposerEEEEE10hipError_tT0_T1_T2_jT3_P12ihipStream_tbPNSt15iterator_traitsISE_E10value_typeEPNSK_ISF_E10value_typeEPSG_NS1_7vsmem_tEENKUlT_SE_SF_SG_E_clIS8_S8_S9_S9_EESD_ST_SE_SF_SG_EUlST_E0_NS1_11comp_targetILNS1_3genE10ELNS1_11target_archE1201ELNS1_3gpuE5ELNS1_3repE0EEENS1_38merge_mergepath_config_static_selectorELNS0_4arch9wavefront6targetE1EEEvSF_,comdat
.Lfunc_end2327:
	.size	_ZN7rocprim17ROCPRIM_400000_NS6detail17trampoline_kernelINS0_14default_configENS1_38merge_sort_block_merge_config_selectorIxNS0_10empty_typeEEEZZNS1_27merge_sort_block_merge_implIS3_PxPS5_jNS1_19radix_merge_compareILb1ELb0ExNS0_19identity_decomposerEEEEE10hipError_tT0_T1_T2_jT3_P12ihipStream_tbPNSt15iterator_traitsISE_E10value_typeEPNSK_ISF_E10value_typeEPSG_NS1_7vsmem_tEENKUlT_SE_SF_SG_E_clIS8_S8_S9_S9_EESD_ST_SE_SF_SG_EUlST_E0_NS1_11comp_targetILNS1_3genE10ELNS1_11target_archE1201ELNS1_3gpuE5ELNS1_3repE0EEENS1_38merge_mergepath_config_static_selectorELNS0_4arch9wavefront6targetE1EEEvSF_, .Lfunc_end2327-_ZN7rocprim17ROCPRIM_400000_NS6detail17trampoline_kernelINS0_14default_configENS1_38merge_sort_block_merge_config_selectorIxNS0_10empty_typeEEEZZNS1_27merge_sort_block_merge_implIS3_PxPS5_jNS1_19radix_merge_compareILb1ELb0ExNS0_19identity_decomposerEEEEE10hipError_tT0_T1_T2_jT3_P12ihipStream_tbPNSt15iterator_traitsISE_E10value_typeEPNSK_ISF_E10value_typeEPSG_NS1_7vsmem_tEENKUlT_SE_SF_SG_E_clIS8_S8_S9_S9_EESD_ST_SE_SF_SG_EUlST_E0_NS1_11comp_targetILNS1_3genE10ELNS1_11target_archE1201ELNS1_3gpuE5ELNS1_3repE0EEENS1_38merge_mergepath_config_static_selectorELNS0_4arch9wavefront6targetE1EEEvSF_
                                        ; -- End function
	.section	.AMDGPU.csdata,"",@progbits
; Kernel info:
; codeLenInByte = 0
; NumSgprs: 4
; NumVgprs: 0
; NumAgprs: 0
; TotalNumVgprs: 0
; ScratchSize: 0
; MemoryBound: 0
; FloatMode: 240
; IeeeMode: 1
; LDSByteSize: 0 bytes/workgroup (compile time only)
; SGPRBlocks: 0
; VGPRBlocks: 0
; NumSGPRsForWavesPerEU: 4
; NumVGPRsForWavesPerEU: 1
; AccumOffset: 4
; Occupancy: 8
; WaveLimiterHint : 0
; COMPUTE_PGM_RSRC2:SCRATCH_EN: 0
; COMPUTE_PGM_RSRC2:USER_SGPR: 6
; COMPUTE_PGM_RSRC2:TRAP_HANDLER: 0
; COMPUTE_PGM_RSRC2:TGID_X_EN: 1
; COMPUTE_PGM_RSRC2:TGID_Y_EN: 0
; COMPUTE_PGM_RSRC2:TGID_Z_EN: 0
; COMPUTE_PGM_RSRC2:TIDIG_COMP_CNT: 0
; COMPUTE_PGM_RSRC3_GFX90A:ACCUM_OFFSET: 0
; COMPUTE_PGM_RSRC3_GFX90A:TG_SPLIT: 0
	.section	.text._ZN7rocprim17ROCPRIM_400000_NS6detail17trampoline_kernelINS0_14default_configENS1_38merge_sort_block_merge_config_selectorIxNS0_10empty_typeEEEZZNS1_27merge_sort_block_merge_implIS3_PxPS5_jNS1_19radix_merge_compareILb1ELb0ExNS0_19identity_decomposerEEEEE10hipError_tT0_T1_T2_jT3_P12ihipStream_tbPNSt15iterator_traitsISE_E10value_typeEPNSK_ISF_E10value_typeEPSG_NS1_7vsmem_tEENKUlT_SE_SF_SG_E_clIS8_S8_S9_S9_EESD_ST_SE_SF_SG_EUlST_E0_NS1_11comp_targetILNS1_3genE5ELNS1_11target_archE942ELNS1_3gpuE9ELNS1_3repE0EEENS1_38merge_mergepath_config_static_selectorELNS0_4arch9wavefront6targetE1EEEvSF_,"axG",@progbits,_ZN7rocprim17ROCPRIM_400000_NS6detail17trampoline_kernelINS0_14default_configENS1_38merge_sort_block_merge_config_selectorIxNS0_10empty_typeEEEZZNS1_27merge_sort_block_merge_implIS3_PxPS5_jNS1_19radix_merge_compareILb1ELb0ExNS0_19identity_decomposerEEEEE10hipError_tT0_T1_T2_jT3_P12ihipStream_tbPNSt15iterator_traitsISE_E10value_typeEPNSK_ISF_E10value_typeEPSG_NS1_7vsmem_tEENKUlT_SE_SF_SG_E_clIS8_S8_S9_S9_EESD_ST_SE_SF_SG_EUlST_E0_NS1_11comp_targetILNS1_3genE5ELNS1_11target_archE942ELNS1_3gpuE9ELNS1_3repE0EEENS1_38merge_mergepath_config_static_selectorELNS0_4arch9wavefront6targetE1EEEvSF_,comdat
	.protected	_ZN7rocprim17ROCPRIM_400000_NS6detail17trampoline_kernelINS0_14default_configENS1_38merge_sort_block_merge_config_selectorIxNS0_10empty_typeEEEZZNS1_27merge_sort_block_merge_implIS3_PxPS5_jNS1_19radix_merge_compareILb1ELb0ExNS0_19identity_decomposerEEEEE10hipError_tT0_T1_T2_jT3_P12ihipStream_tbPNSt15iterator_traitsISE_E10value_typeEPNSK_ISF_E10value_typeEPSG_NS1_7vsmem_tEENKUlT_SE_SF_SG_E_clIS8_S8_S9_S9_EESD_ST_SE_SF_SG_EUlST_E0_NS1_11comp_targetILNS1_3genE5ELNS1_11target_archE942ELNS1_3gpuE9ELNS1_3repE0EEENS1_38merge_mergepath_config_static_selectorELNS0_4arch9wavefront6targetE1EEEvSF_ ; -- Begin function _ZN7rocprim17ROCPRIM_400000_NS6detail17trampoline_kernelINS0_14default_configENS1_38merge_sort_block_merge_config_selectorIxNS0_10empty_typeEEEZZNS1_27merge_sort_block_merge_implIS3_PxPS5_jNS1_19radix_merge_compareILb1ELb0ExNS0_19identity_decomposerEEEEE10hipError_tT0_T1_T2_jT3_P12ihipStream_tbPNSt15iterator_traitsISE_E10value_typeEPNSK_ISF_E10value_typeEPSG_NS1_7vsmem_tEENKUlT_SE_SF_SG_E_clIS8_S8_S9_S9_EESD_ST_SE_SF_SG_EUlST_E0_NS1_11comp_targetILNS1_3genE5ELNS1_11target_archE942ELNS1_3gpuE9ELNS1_3repE0EEENS1_38merge_mergepath_config_static_selectorELNS0_4arch9wavefront6targetE1EEEvSF_
	.globl	_ZN7rocprim17ROCPRIM_400000_NS6detail17trampoline_kernelINS0_14default_configENS1_38merge_sort_block_merge_config_selectorIxNS0_10empty_typeEEEZZNS1_27merge_sort_block_merge_implIS3_PxPS5_jNS1_19radix_merge_compareILb1ELb0ExNS0_19identity_decomposerEEEEE10hipError_tT0_T1_T2_jT3_P12ihipStream_tbPNSt15iterator_traitsISE_E10value_typeEPNSK_ISF_E10value_typeEPSG_NS1_7vsmem_tEENKUlT_SE_SF_SG_E_clIS8_S8_S9_S9_EESD_ST_SE_SF_SG_EUlST_E0_NS1_11comp_targetILNS1_3genE5ELNS1_11target_archE942ELNS1_3gpuE9ELNS1_3repE0EEENS1_38merge_mergepath_config_static_selectorELNS0_4arch9wavefront6targetE1EEEvSF_
	.p2align	8
	.type	_ZN7rocprim17ROCPRIM_400000_NS6detail17trampoline_kernelINS0_14default_configENS1_38merge_sort_block_merge_config_selectorIxNS0_10empty_typeEEEZZNS1_27merge_sort_block_merge_implIS3_PxPS5_jNS1_19radix_merge_compareILb1ELb0ExNS0_19identity_decomposerEEEEE10hipError_tT0_T1_T2_jT3_P12ihipStream_tbPNSt15iterator_traitsISE_E10value_typeEPNSK_ISF_E10value_typeEPSG_NS1_7vsmem_tEENKUlT_SE_SF_SG_E_clIS8_S8_S9_S9_EESD_ST_SE_SF_SG_EUlST_E0_NS1_11comp_targetILNS1_3genE5ELNS1_11target_archE942ELNS1_3gpuE9ELNS1_3repE0EEENS1_38merge_mergepath_config_static_selectorELNS0_4arch9wavefront6targetE1EEEvSF_,@function
_ZN7rocprim17ROCPRIM_400000_NS6detail17trampoline_kernelINS0_14default_configENS1_38merge_sort_block_merge_config_selectorIxNS0_10empty_typeEEEZZNS1_27merge_sort_block_merge_implIS3_PxPS5_jNS1_19radix_merge_compareILb1ELb0ExNS0_19identity_decomposerEEEEE10hipError_tT0_T1_T2_jT3_P12ihipStream_tbPNSt15iterator_traitsISE_E10value_typeEPNSK_ISF_E10value_typeEPSG_NS1_7vsmem_tEENKUlT_SE_SF_SG_E_clIS8_S8_S9_S9_EESD_ST_SE_SF_SG_EUlST_E0_NS1_11comp_targetILNS1_3genE5ELNS1_11target_archE942ELNS1_3gpuE9ELNS1_3repE0EEENS1_38merge_mergepath_config_static_selectorELNS0_4arch9wavefront6targetE1EEEvSF_: ; @_ZN7rocprim17ROCPRIM_400000_NS6detail17trampoline_kernelINS0_14default_configENS1_38merge_sort_block_merge_config_selectorIxNS0_10empty_typeEEEZZNS1_27merge_sort_block_merge_implIS3_PxPS5_jNS1_19radix_merge_compareILb1ELb0ExNS0_19identity_decomposerEEEEE10hipError_tT0_T1_T2_jT3_P12ihipStream_tbPNSt15iterator_traitsISE_E10value_typeEPNSK_ISF_E10value_typeEPSG_NS1_7vsmem_tEENKUlT_SE_SF_SG_E_clIS8_S8_S9_S9_EESD_ST_SE_SF_SG_EUlST_E0_NS1_11comp_targetILNS1_3genE5ELNS1_11target_archE942ELNS1_3gpuE9ELNS1_3repE0EEENS1_38merge_mergepath_config_static_selectorELNS0_4arch9wavefront6targetE1EEEvSF_
; %bb.0:
	.section	.rodata,"a",@progbits
	.p2align	6, 0x0
	.amdhsa_kernel _ZN7rocprim17ROCPRIM_400000_NS6detail17trampoline_kernelINS0_14default_configENS1_38merge_sort_block_merge_config_selectorIxNS0_10empty_typeEEEZZNS1_27merge_sort_block_merge_implIS3_PxPS5_jNS1_19radix_merge_compareILb1ELb0ExNS0_19identity_decomposerEEEEE10hipError_tT0_T1_T2_jT3_P12ihipStream_tbPNSt15iterator_traitsISE_E10value_typeEPNSK_ISF_E10value_typeEPSG_NS1_7vsmem_tEENKUlT_SE_SF_SG_E_clIS8_S8_S9_S9_EESD_ST_SE_SF_SG_EUlST_E0_NS1_11comp_targetILNS1_3genE5ELNS1_11target_archE942ELNS1_3gpuE9ELNS1_3repE0EEENS1_38merge_mergepath_config_static_selectorELNS0_4arch9wavefront6targetE1EEEvSF_
		.amdhsa_group_segment_fixed_size 0
		.amdhsa_private_segment_fixed_size 0
		.amdhsa_kernarg_size 64
		.amdhsa_user_sgpr_count 6
		.amdhsa_user_sgpr_private_segment_buffer 1
		.amdhsa_user_sgpr_dispatch_ptr 0
		.amdhsa_user_sgpr_queue_ptr 0
		.amdhsa_user_sgpr_kernarg_segment_ptr 1
		.amdhsa_user_sgpr_dispatch_id 0
		.amdhsa_user_sgpr_flat_scratch_init 0
		.amdhsa_user_sgpr_kernarg_preload_length 0
		.amdhsa_user_sgpr_kernarg_preload_offset 0
		.amdhsa_user_sgpr_private_segment_size 0
		.amdhsa_uses_dynamic_stack 0
		.amdhsa_system_sgpr_private_segment_wavefront_offset 0
		.amdhsa_system_sgpr_workgroup_id_x 1
		.amdhsa_system_sgpr_workgroup_id_y 0
		.amdhsa_system_sgpr_workgroup_id_z 0
		.amdhsa_system_sgpr_workgroup_info 0
		.amdhsa_system_vgpr_workitem_id 0
		.amdhsa_next_free_vgpr 1
		.amdhsa_next_free_sgpr 0
		.amdhsa_accum_offset 4
		.amdhsa_reserve_vcc 0
		.amdhsa_reserve_flat_scratch 0
		.amdhsa_float_round_mode_32 0
		.amdhsa_float_round_mode_16_64 0
		.amdhsa_float_denorm_mode_32 3
		.amdhsa_float_denorm_mode_16_64 3
		.amdhsa_dx10_clamp 1
		.amdhsa_ieee_mode 1
		.amdhsa_fp16_overflow 0
		.amdhsa_tg_split 0
		.amdhsa_exception_fp_ieee_invalid_op 0
		.amdhsa_exception_fp_denorm_src 0
		.amdhsa_exception_fp_ieee_div_zero 0
		.amdhsa_exception_fp_ieee_overflow 0
		.amdhsa_exception_fp_ieee_underflow 0
		.amdhsa_exception_fp_ieee_inexact 0
		.amdhsa_exception_int_div_zero 0
	.end_amdhsa_kernel
	.section	.text._ZN7rocprim17ROCPRIM_400000_NS6detail17trampoline_kernelINS0_14default_configENS1_38merge_sort_block_merge_config_selectorIxNS0_10empty_typeEEEZZNS1_27merge_sort_block_merge_implIS3_PxPS5_jNS1_19radix_merge_compareILb1ELb0ExNS0_19identity_decomposerEEEEE10hipError_tT0_T1_T2_jT3_P12ihipStream_tbPNSt15iterator_traitsISE_E10value_typeEPNSK_ISF_E10value_typeEPSG_NS1_7vsmem_tEENKUlT_SE_SF_SG_E_clIS8_S8_S9_S9_EESD_ST_SE_SF_SG_EUlST_E0_NS1_11comp_targetILNS1_3genE5ELNS1_11target_archE942ELNS1_3gpuE9ELNS1_3repE0EEENS1_38merge_mergepath_config_static_selectorELNS0_4arch9wavefront6targetE1EEEvSF_,"axG",@progbits,_ZN7rocprim17ROCPRIM_400000_NS6detail17trampoline_kernelINS0_14default_configENS1_38merge_sort_block_merge_config_selectorIxNS0_10empty_typeEEEZZNS1_27merge_sort_block_merge_implIS3_PxPS5_jNS1_19radix_merge_compareILb1ELb0ExNS0_19identity_decomposerEEEEE10hipError_tT0_T1_T2_jT3_P12ihipStream_tbPNSt15iterator_traitsISE_E10value_typeEPNSK_ISF_E10value_typeEPSG_NS1_7vsmem_tEENKUlT_SE_SF_SG_E_clIS8_S8_S9_S9_EESD_ST_SE_SF_SG_EUlST_E0_NS1_11comp_targetILNS1_3genE5ELNS1_11target_archE942ELNS1_3gpuE9ELNS1_3repE0EEENS1_38merge_mergepath_config_static_selectorELNS0_4arch9wavefront6targetE1EEEvSF_,comdat
.Lfunc_end2328:
	.size	_ZN7rocprim17ROCPRIM_400000_NS6detail17trampoline_kernelINS0_14default_configENS1_38merge_sort_block_merge_config_selectorIxNS0_10empty_typeEEEZZNS1_27merge_sort_block_merge_implIS3_PxPS5_jNS1_19radix_merge_compareILb1ELb0ExNS0_19identity_decomposerEEEEE10hipError_tT0_T1_T2_jT3_P12ihipStream_tbPNSt15iterator_traitsISE_E10value_typeEPNSK_ISF_E10value_typeEPSG_NS1_7vsmem_tEENKUlT_SE_SF_SG_E_clIS8_S8_S9_S9_EESD_ST_SE_SF_SG_EUlST_E0_NS1_11comp_targetILNS1_3genE5ELNS1_11target_archE942ELNS1_3gpuE9ELNS1_3repE0EEENS1_38merge_mergepath_config_static_selectorELNS0_4arch9wavefront6targetE1EEEvSF_, .Lfunc_end2328-_ZN7rocprim17ROCPRIM_400000_NS6detail17trampoline_kernelINS0_14default_configENS1_38merge_sort_block_merge_config_selectorIxNS0_10empty_typeEEEZZNS1_27merge_sort_block_merge_implIS3_PxPS5_jNS1_19radix_merge_compareILb1ELb0ExNS0_19identity_decomposerEEEEE10hipError_tT0_T1_T2_jT3_P12ihipStream_tbPNSt15iterator_traitsISE_E10value_typeEPNSK_ISF_E10value_typeEPSG_NS1_7vsmem_tEENKUlT_SE_SF_SG_E_clIS8_S8_S9_S9_EESD_ST_SE_SF_SG_EUlST_E0_NS1_11comp_targetILNS1_3genE5ELNS1_11target_archE942ELNS1_3gpuE9ELNS1_3repE0EEENS1_38merge_mergepath_config_static_selectorELNS0_4arch9wavefront6targetE1EEEvSF_
                                        ; -- End function
	.section	.AMDGPU.csdata,"",@progbits
; Kernel info:
; codeLenInByte = 0
; NumSgprs: 4
; NumVgprs: 0
; NumAgprs: 0
; TotalNumVgprs: 0
; ScratchSize: 0
; MemoryBound: 0
; FloatMode: 240
; IeeeMode: 1
; LDSByteSize: 0 bytes/workgroup (compile time only)
; SGPRBlocks: 0
; VGPRBlocks: 0
; NumSGPRsForWavesPerEU: 4
; NumVGPRsForWavesPerEU: 1
; AccumOffset: 4
; Occupancy: 8
; WaveLimiterHint : 0
; COMPUTE_PGM_RSRC2:SCRATCH_EN: 0
; COMPUTE_PGM_RSRC2:USER_SGPR: 6
; COMPUTE_PGM_RSRC2:TRAP_HANDLER: 0
; COMPUTE_PGM_RSRC2:TGID_X_EN: 1
; COMPUTE_PGM_RSRC2:TGID_Y_EN: 0
; COMPUTE_PGM_RSRC2:TGID_Z_EN: 0
; COMPUTE_PGM_RSRC2:TIDIG_COMP_CNT: 0
; COMPUTE_PGM_RSRC3_GFX90A:ACCUM_OFFSET: 0
; COMPUTE_PGM_RSRC3_GFX90A:TG_SPLIT: 0
	.section	.text._ZN7rocprim17ROCPRIM_400000_NS6detail17trampoline_kernelINS0_14default_configENS1_38merge_sort_block_merge_config_selectorIxNS0_10empty_typeEEEZZNS1_27merge_sort_block_merge_implIS3_PxPS5_jNS1_19radix_merge_compareILb1ELb0ExNS0_19identity_decomposerEEEEE10hipError_tT0_T1_T2_jT3_P12ihipStream_tbPNSt15iterator_traitsISE_E10value_typeEPNSK_ISF_E10value_typeEPSG_NS1_7vsmem_tEENKUlT_SE_SF_SG_E_clIS8_S8_S9_S9_EESD_ST_SE_SF_SG_EUlST_E0_NS1_11comp_targetILNS1_3genE4ELNS1_11target_archE910ELNS1_3gpuE8ELNS1_3repE0EEENS1_38merge_mergepath_config_static_selectorELNS0_4arch9wavefront6targetE1EEEvSF_,"axG",@progbits,_ZN7rocprim17ROCPRIM_400000_NS6detail17trampoline_kernelINS0_14default_configENS1_38merge_sort_block_merge_config_selectorIxNS0_10empty_typeEEEZZNS1_27merge_sort_block_merge_implIS3_PxPS5_jNS1_19radix_merge_compareILb1ELb0ExNS0_19identity_decomposerEEEEE10hipError_tT0_T1_T2_jT3_P12ihipStream_tbPNSt15iterator_traitsISE_E10value_typeEPNSK_ISF_E10value_typeEPSG_NS1_7vsmem_tEENKUlT_SE_SF_SG_E_clIS8_S8_S9_S9_EESD_ST_SE_SF_SG_EUlST_E0_NS1_11comp_targetILNS1_3genE4ELNS1_11target_archE910ELNS1_3gpuE8ELNS1_3repE0EEENS1_38merge_mergepath_config_static_selectorELNS0_4arch9wavefront6targetE1EEEvSF_,comdat
	.protected	_ZN7rocprim17ROCPRIM_400000_NS6detail17trampoline_kernelINS0_14default_configENS1_38merge_sort_block_merge_config_selectorIxNS0_10empty_typeEEEZZNS1_27merge_sort_block_merge_implIS3_PxPS5_jNS1_19radix_merge_compareILb1ELb0ExNS0_19identity_decomposerEEEEE10hipError_tT0_T1_T2_jT3_P12ihipStream_tbPNSt15iterator_traitsISE_E10value_typeEPNSK_ISF_E10value_typeEPSG_NS1_7vsmem_tEENKUlT_SE_SF_SG_E_clIS8_S8_S9_S9_EESD_ST_SE_SF_SG_EUlST_E0_NS1_11comp_targetILNS1_3genE4ELNS1_11target_archE910ELNS1_3gpuE8ELNS1_3repE0EEENS1_38merge_mergepath_config_static_selectorELNS0_4arch9wavefront6targetE1EEEvSF_ ; -- Begin function _ZN7rocprim17ROCPRIM_400000_NS6detail17trampoline_kernelINS0_14default_configENS1_38merge_sort_block_merge_config_selectorIxNS0_10empty_typeEEEZZNS1_27merge_sort_block_merge_implIS3_PxPS5_jNS1_19radix_merge_compareILb1ELb0ExNS0_19identity_decomposerEEEEE10hipError_tT0_T1_T2_jT3_P12ihipStream_tbPNSt15iterator_traitsISE_E10value_typeEPNSK_ISF_E10value_typeEPSG_NS1_7vsmem_tEENKUlT_SE_SF_SG_E_clIS8_S8_S9_S9_EESD_ST_SE_SF_SG_EUlST_E0_NS1_11comp_targetILNS1_3genE4ELNS1_11target_archE910ELNS1_3gpuE8ELNS1_3repE0EEENS1_38merge_mergepath_config_static_selectorELNS0_4arch9wavefront6targetE1EEEvSF_
	.globl	_ZN7rocprim17ROCPRIM_400000_NS6detail17trampoline_kernelINS0_14default_configENS1_38merge_sort_block_merge_config_selectorIxNS0_10empty_typeEEEZZNS1_27merge_sort_block_merge_implIS3_PxPS5_jNS1_19radix_merge_compareILb1ELb0ExNS0_19identity_decomposerEEEEE10hipError_tT0_T1_T2_jT3_P12ihipStream_tbPNSt15iterator_traitsISE_E10value_typeEPNSK_ISF_E10value_typeEPSG_NS1_7vsmem_tEENKUlT_SE_SF_SG_E_clIS8_S8_S9_S9_EESD_ST_SE_SF_SG_EUlST_E0_NS1_11comp_targetILNS1_3genE4ELNS1_11target_archE910ELNS1_3gpuE8ELNS1_3repE0EEENS1_38merge_mergepath_config_static_selectorELNS0_4arch9wavefront6targetE1EEEvSF_
	.p2align	8
	.type	_ZN7rocprim17ROCPRIM_400000_NS6detail17trampoline_kernelINS0_14default_configENS1_38merge_sort_block_merge_config_selectorIxNS0_10empty_typeEEEZZNS1_27merge_sort_block_merge_implIS3_PxPS5_jNS1_19radix_merge_compareILb1ELb0ExNS0_19identity_decomposerEEEEE10hipError_tT0_T1_T2_jT3_P12ihipStream_tbPNSt15iterator_traitsISE_E10value_typeEPNSK_ISF_E10value_typeEPSG_NS1_7vsmem_tEENKUlT_SE_SF_SG_E_clIS8_S8_S9_S9_EESD_ST_SE_SF_SG_EUlST_E0_NS1_11comp_targetILNS1_3genE4ELNS1_11target_archE910ELNS1_3gpuE8ELNS1_3repE0EEENS1_38merge_mergepath_config_static_selectorELNS0_4arch9wavefront6targetE1EEEvSF_,@function
_ZN7rocprim17ROCPRIM_400000_NS6detail17trampoline_kernelINS0_14default_configENS1_38merge_sort_block_merge_config_selectorIxNS0_10empty_typeEEEZZNS1_27merge_sort_block_merge_implIS3_PxPS5_jNS1_19radix_merge_compareILb1ELb0ExNS0_19identity_decomposerEEEEE10hipError_tT0_T1_T2_jT3_P12ihipStream_tbPNSt15iterator_traitsISE_E10value_typeEPNSK_ISF_E10value_typeEPSG_NS1_7vsmem_tEENKUlT_SE_SF_SG_E_clIS8_S8_S9_S9_EESD_ST_SE_SF_SG_EUlST_E0_NS1_11comp_targetILNS1_3genE4ELNS1_11target_archE910ELNS1_3gpuE8ELNS1_3repE0EEENS1_38merge_mergepath_config_static_selectorELNS0_4arch9wavefront6targetE1EEEvSF_: ; @_ZN7rocprim17ROCPRIM_400000_NS6detail17trampoline_kernelINS0_14default_configENS1_38merge_sort_block_merge_config_selectorIxNS0_10empty_typeEEEZZNS1_27merge_sort_block_merge_implIS3_PxPS5_jNS1_19radix_merge_compareILb1ELb0ExNS0_19identity_decomposerEEEEE10hipError_tT0_T1_T2_jT3_P12ihipStream_tbPNSt15iterator_traitsISE_E10value_typeEPNSK_ISF_E10value_typeEPSG_NS1_7vsmem_tEENKUlT_SE_SF_SG_E_clIS8_S8_S9_S9_EESD_ST_SE_SF_SG_EUlST_E0_NS1_11comp_targetILNS1_3genE4ELNS1_11target_archE910ELNS1_3gpuE8ELNS1_3repE0EEENS1_38merge_mergepath_config_static_selectorELNS0_4arch9wavefront6targetE1EEEvSF_
; %bb.0:
	s_load_dwordx2 s[14:15], s[4:5], 0x40
	s_load_dword s3, s[4:5], 0x30
	s_add_u32 s0, s4, 64
	s_addc_u32 s1, s5, 0
	s_waitcnt lgkmcnt(0)
	s_mul_i32 s2, s15, s8
	s_add_i32 s2, s2, s7
	s_mul_i32 s2, s2, s14
	s_add_i32 s2, s2, s6
	s_cmp_ge_u32 s2, s3
	s_cbranch_scc1 .LBB2329_31
; %bb.1:
	s_load_dwordx2 s[8:9], s[4:5], 0x28
	s_load_dwordx2 s[10:11], s[4:5], 0x38
	;; [unrolled: 1-line block ×3, first 2 shown]
	s_mov_b32 s3, 0
	v_mov_b32_e32 v9, 0
	s_waitcnt lgkmcnt(0)
	s_lshr_b32 s7, s8, 10
	s_cmp_lg_u32 s2, s7
	s_cselect_b64 s[12:13], -1, 0
	s_lshl_b64 s[18:19], s[2:3], 2
	s_add_u32 s10, s10, s18
	s_addc_u32 s11, s11, s19
	s_load_dwordx2 s[18:19], s[10:11], 0x0
	s_lshr_b32 s10, s9, 9
	s_and_b32 s10, s10, 0x7ffffe
	s_sub_i32 s11, 0, s10
	s_and_b32 s15, s2, s11
	s_lshl_b32 s21, s15, 10
	s_lshl_b32 s10, s2, 10
	;; [unrolled: 1-line block ×3, first 2 shown]
	s_sub_i32 s20, s10, s21
	s_add_i32 s15, s15, s9
	s_add_i32 s22, s15, s20
	s_waitcnt lgkmcnt(0)
	s_sub_i32 s20, s22, s18
	s_sub_i32 s22, s22, s19
	s_sub_i32 s15, s15, s21
	s_min_u32 s20, s8, s20
	s_addk_i32 s22, 0x400
	s_or_b32 s11, s2, s11
	s_min_u32 s21, s8, s15
	s_add_i32 s15, s15, s9
	s_cmp_eq_u32 s11, -1
	s_cselect_b32 s9, s15, s22
	s_cselect_b32 s11, s21, s19
	s_min_u32 s15, s9, s8
	s_mov_b32 s19, s3
	s_sub_i32 s9, s11, s18
	s_sub_i32 s15, s15, s20
	s_lshl_b64 s[18:19], s[18:19], 3
	s_add_u32 s18, s16, s18
	s_mov_b32 s21, s3
	s_addc_u32 s19, s17, s19
	s_lshl_b64 s[20:21], s[20:21], 3
	s_add_u32 s16, s16, s20
	s_addc_u32 s17, s17, s21
	s_cmp_lt_u32 s6, s14
	s_cselect_b32 s3, 12, 18
	global_load_dword v1, v9, s[0:1] offset:14
	s_add_u32 s0, s0, s3
	s_addc_u32 s1, s1, 0
	global_load_ushort v2, v9, s[0:1]
	s_cmp_eq_u32 s2, s7
	s_waitcnt vmcnt(1)
	v_lshrrev_b32_e32 v3, 16, v1
	v_and_b32_e32 v1, 0xffff, v1
	v_mul_lo_u32 v1, v1, v3
	s_waitcnt vmcnt(0)
	v_mul_lo_u32 v14, v1, v2
	v_add_u32_e32 v12, v14, v0
	v_lshlrev_b32_e32 v1, 3, v0
	v_add_u32_e32 v10, v12, v14
	s_cbranch_scc1 .LBB2329_3
; %bb.2:
	v_mov_b32_e32 v2, s19
	v_add_co_u32_e32 v4, vcc, s18, v1
	v_subrev_u32_e32 v8, s9, v0
	v_addc_co_u32_e32 v5, vcc, 0, v2, vcc
	v_lshlrev_b64 v[2:3], 3, v[8:9]
	v_mov_b32_e32 v6, s17
	v_add_co_u32_e32 v2, vcc, s16, v2
	v_addc_co_u32_e32 v3, vcc, v6, v3, vcc
	v_cmp_gt_u32_e32 vcc, s9, v0
	v_mov_b32_e32 v13, v9
	v_cndmask_b32_e32 v3, v3, v5, vcc
	v_cndmask_b32_e32 v2, v2, v4, vcc
	v_lshlrev_b64 v[4:5], 3, v[12:13]
	v_mov_b32_e32 v6, s19
	v_add_co_u32_e32 v7, vcc, s18, v4
	v_subrev_u32_e32 v8, s9, v12
	v_addc_co_u32_e32 v6, vcc, v6, v5, vcc
	v_lshlrev_b64 v[4:5], 3, v[8:9]
	v_mov_b32_e32 v8, s17
	v_add_co_u32_e32 v4, vcc, s16, v4
	v_addc_co_u32_e32 v5, vcc, v8, v5, vcc
	v_cmp_gt_u32_e32 vcc, s9, v12
	v_mov_b32_e32 v11, v9
	v_cndmask_b32_e32 v5, v5, v6, vcc
	v_cndmask_b32_e32 v4, v4, v7, vcc
	v_lshlrev_b64 v[6:7], 3, v[10:11]
	v_mov_b32_e32 v8, s19
	v_add_co_u32_e32 v11, vcc, s18, v6
	v_addc_co_u32_e32 v13, vcc, v8, v7, vcc
	v_subrev_u32_e32 v8, s9, v10
	v_lshlrev_b64 v[6:7], 3, v[8:9]
	v_mov_b32_e32 v8, s17
	v_add_co_u32_e32 v6, vcc, s16, v6
	v_addc_co_u32_e32 v7, vcc, v8, v7, vcc
	v_add_u32_e32 v8, v10, v14
	v_cmp_gt_u32_e32 vcc, s9, v10
	v_lshlrev_b64 v[16:17], 3, v[8:9]
	v_cndmask_b32_e32 v7, v7, v13, vcc
	v_cndmask_b32_e32 v6, v6, v11, vcc
	v_mov_b32_e32 v11, s19
	v_add_co_u32_e32 v13, vcc, s18, v16
	v_addc_co_u32_e32 v11, vcc, v11, v17, vcc
	v_cmp_gt_u32_e32 vcc, s9, v8
	v_subrev_u32_e32 v8, s9, v8
	v_lshlrev_b64 v[8:9], 3, v[8:9]
	v_mov_b32_e32 v15, s17
	v_add_co_u32_e64 v8, s[0:1], s16, v8
	v_addc_co_u32_e64 v9, s[0:1], v15, v9, s[0:1]
	v_cndmask_b32_e32 v9, v9, v11, vcc
	v_cndmask_b32_e32 v8, v8, v13, vcc
	global_load_dwordx2 v[2:3], v[2:3], off
	s_add_i32 s11, s15, s9
	global_load_dwordx2 v[4:5], v[4:5], off
	s_nop 0
	global_load_dwordx2 v[6:7], v[6:7], off
	s_nop 0
	global_load_dwordx2 v[8:9], v[8:9], off
	s_load_dwordx2 s[6:7], s[4:5], 0x10
	s_cbranch_execz .LBB2329_4
	s_branch .LBB2329_11
.LBB2329_3:
                                        ; implicit-def: $vgpr2_vgpr3_vgpr4_vgpr5_vgpr6_vgpr7_vgpr8_vgpr9
                                        ; implicit-def: $sgpr11
	s_load_dwordx2 s[6:7], s[4:5], 0x10
.LBB2329_4:
	s_add_i32 s11, s15, s9
	v_cmp_gt_u32_e32 vcc, s11, v0
                                        ; implicit-def: $vgpr2_vgpr3_vgpr4_vgpr5_vgpr6_vgpr7_vgpr8_vgpr9
	s_and_saveexec_b64 s[0:1], vcc
	s_cbranch_execnz .LBB2329_32
; %bb.5:
	s_or_b64 exec, exec, s[0:1]
	v_cmp_gt_u32_e32 vcc, s11, v12
	s_and_saveexec_b64 s[2:3], vcc
	s_cbranch_execnz .LBB2329_33
.LBB2329_6:
	s_or_b64 exec, exec, s[2:3]
	v_cmp_gt_u32_e32 vcc, s11, v10
	s_and_saveexec_b64 s[0:1], vcc
	s_cbranch_execz .LBB2329_8
.LBB2329_7:
	v_mov_b32_e32 v11, 0
	s_waitcnt vmcnt(1)
	v_lshlrev_b64 v[6:7], 3, v[10:11]
	v_mov_b32_e32 v12, s19
	v_add_co_u32_e32 v13, vcc, s18, v6
	v_addc_co_u32_e32 v12, vcc, v12, v7, vcc
	v_subrev_u32_e32 v6, s9, v10
	v_mov_b32_e32 v7, v11
	v_lshlrev_b64 v[6:7], 3, v[6:7]
	v_mov_b32_e32 v11, s17
	v_add_co_u32_e32 v6, vcc, s16, v6
	v_addc_co_u32_e32 v7, vcc, v11, v7, vcc
	v_cmp_gt_u32_e32 vcc, s9, v10
	v_cndmask_b32_e32 v7, v7, v12, vcc
	v_cndmask_b32_e32 v6, v6, v13, vcc
	global_load_dwordx2 v[6:7], v[6:7], off
.LBB2329_8:
	s_or_b64 exec, exec, s[0:1]
	v_add_u32_e32 v10, v10, v14
	v_cmp_gt_u32_e32 vcc, s11, v10
	s_and_saveexec_b64 s[2:3], vcc
	s_cbranch_execz .LBB2329_10
; %bb.9:
	v_mov_b32_e32 v11, 0
	s_waitcnt vmcnt(0)
	v_lshlrev_b64 v[8:9], 3, v[10:11]
	v_mov_b32_e32 v12, s19
	v_add_co_u32_e32 v13, vcc, s18, v8
	v_addc_co_u32_e32 v12, vcc, v12, v9, vcc
	v_cmp_gt_u32_e32 vcc, s9, v10
	v_subrev_u32_e32 v10, s9, v10
	v_lshlrev_b64 v[8:9], 3, v[10:11]
	v_mov_b32_e32 v10, s17
	v_add_co_u32_e64 v8, s[0:1], s16, v8
	v_addc_co_u32_e64 v9, s[0:1], v10, v9, s[0:1]
	v_cndmask_b32_e32 v9, v9, v12, vcc
	v_cndmask_b32_e32 v8, v8, v13, vcc
	global_load_dwordx2 v[8:9], v[8:9], off
.LBB2329_10:
	s_or_b64 exec, exec, s[2:3]
.LBB2329_11:
	v_lshlrev_b32_e32 v10, 2, v0
	v_min_u32_e32 v12, s11, v10
	v_sub_u32_e64 v11, v12, s15 clamp
	v_min_u32_e32 v13, s9, v12
	v_cmp_lt_u32_e32 vcc, v11, v13
	s_waitcnt vmcnt(0)
	ds_write2st64_b64 v1, v[2:3], v[4:5] offset1:4
	ds_write2st64_b64 v1, v[6:7], v[8:9] offset0:8 offset1:12
	s_waitcnt lgkmcnt(0)
	s_barrier
	s_and_saveexec_b64 s[0:1], vcc
	s_cbranch_execz .LBB2329_15
; %bb.12:
	v_lshlrev_b32_e32 v14, 3, v12
	v_lshl_add_u32 v14, s9, 3, v14
	s_mov_b64 s[2:3], 0
.LBB2329_13:                            ; =>This Inner Loop Header: Depth=1
	v_add_u32_e32 v15, v13, v11
	v_lshrrev_b32_e32 v15, 1, v15
	v_not_b32_e32 v16, v15
	v_lshlrev_b32_e32 v17, 3, v15
	v_lshl_add_u32 v18, v16, 3, v14
	ds_read_b64 v[16:17], v17
	ds_read_b64 v[18:19], v18
	v_add_u32_e32 v20, 1, v15
	s_waitcnt lgkmcnt(0)
	v_cmp_gt_i64_e32 vcc, v[18:19], v[16:17]
	v_cndmask_b32_e32 v13, v13, v15, vcc
	v_cndmask_b32_e32 v11, v20, v11, vcc
	v_cmp_ge_u32_e32 vcc, v11, v13
	s_or_b64 s[2:3], vcc, s[2:3]
	s_andn2_b64 exec, exec, s[2:3]
	s_cbranch_execnz .LBB2329_13
; %bb.14:
	s_or_b64 exec, exec, s[2:3]
.LBB2329_15:
	s_or_b64 exec, exec, s[0:1]
	v_sub_u32_e32 v12, v12, v11
	v_add_u32_e32 v12, s9, v12
	v_cmp_ge_u32_e32 vcc, s9, v11
	v_cmp_ge_u32_e64 s[0:1], s11, v12
	s_or_b64 s[0:1], vcc, s[0:1]
	s_and_saveexec_b64 s[14:15], s[0:1]
	s_cbranch_execz .LBB2329_21
; %bb.16:
	v_cmp_gt_u32_e32 vcc, s9, v11
                                        ; implicit-def: $vgpr2_vgpr3
	s_and_saveexec_b64 s[0:1], vcc
	s_cbranch_execz .LBB2329_18
; %bb.17:
	v_lshlrev_b32_e32 v2, 3, v11
	ds_read_b64 v[2:3], v2
.LBB2329_18:
	s_or_b64 exec, exec, s[0:1]
	v_cmp_le_u32_e64 s[0:1], s11, v12
	v_cmp_gt_u32_e64 s[2:3], s11, v12
                                        ; implicit-def: $vgpr4_vgpr5
	s_and_saveexec_b64 s[4:5], s[2:3]
	s_cbranch_execz .LBB2329_20
; %bb.19:
	v_lshlrev_b32_e32 v4, 3, v12
	ds_read_b64 v[4:5], v4
.LBB2329_20:
	s_or_b64 exec, exec, s[4:5]
	s_waitcnt lgkmcnt(0)
	v_cmp_le_i64_e64 s[2:3], v[4:5], v[2:3]
	s_and_b64 s[2:3], vcc, s[2:3]
	s_or_b64 vcc, s[0:1], s[2:3]
	v_mov_b32_e32 v16, s11
	v_mov_b32_e32 v17, s9
	v_cndmask_b32_e32 v6, v12, v11, vcc
	v_cndmask_b32_e32 v7, v16, v17, vcc
	v_add_u32_e32 v13, 1, v6
	v_add_u32_e32 v6, -1, v7
	v_min_u32_e32 v6, v13, v6
	v_lshlrev_b32_e32 v6, 3, v6
	ds_read_b64 v[6:7], v6
	v_cndmask_b32_e32 v11, v11, v13, vcc
	v_cndmask_b32_e32 v18, v13, v12, vcc
	v_cmp_gt_u32_e64 s[2:3], s9, v11
	v_cmp_le_u32_e64 s[0:1], s11, v18
	s_waitcnt lgkmcnt(0)
	v_cndmask_b32_e32 v9, v7, v5, vcc
	v_cndmask_b32_e32 v8, v6, v4, vcc
	;; [unrolled: 1-line block ×4, first 2 shown]
	v_cmp_le_i64_e64 s[4:5], v[8:9], v[6:7]
	s_and_b64 s[2:3], s[2:3], s[4:5]
	s_or_b64 s[0:1], s[0:1], s[2:3]
	v_cndmask_b32_e64 v12, v18, v11, s[0:1]
	v_cndmask_b32_e64 v13, v16, v17, s[0:1]
	v_add_u32_e32 v19, 1, v12
	v_add_u32_e32 v12, -1, v13
	v_min_u32_e32 v12, v19, v12
	v_lshlrev_b32_e32 v12, 3, v12
	ds_read_b64 v[12:13], v12
	v_cndmask_b32_e64 v11, v11, v19, s[0:1]
	v_cndmask_b32_e64 v18, v19, v18, s[0:1]
	v_cmp_gt_u32_e64 s[2:3], s9, v11
	v_cndmask_b32_e32 v3, v5, v3, vcc
	s_waitcnt lgkmcnt(0)
	v_cndmask_b32_e64 v15, v13, v9, s[0:1]
	v_cndmask_b32_e64 v14, v12, v8, s[0:1]
	;; [unrolled: 1-line block ×4, first 2 shown]
	v_cmp_le_i64_e64 s[4:5], v[14:15], v[12:13]
	v_cndmask_b32_e32 v2, v4, v2, vcc
	v_cmp_le_u32_e32 vcc, s11, v18
	s_and_b64 s[2:3], s[2:3], s[4:5]
	s_or_b64 vcc, vcc, s[2:3]
	v_cndmask_b32_e32 v4, v18, v11, vcc
	v_cndmask_b32_e32 v5, v16, v17, vcc
	v_add_u32_e32 v19, 1, v4
	v_add_u32_e32 v4, -1, v5
	v_min_u32_e32 v4, v19, v4
	v_lshlrev_b32_e32 v4, 3, v4
	ds_read_b64 v[16:17], v4
	v_cndmask_b32_e64 v5, v9, v7, s[0:1]
	v_cndmask_b32_e64 v4, v8, v6, s[0:1]
	v_cndmask_b32_e32 v7, v15, v13, vcc
	v_cndmask_b32_e32 v6, v14, v12, vcc
	s_waitcnt lgkmcnt(0)
	v_cndmask_b32_e32 v9, v17, v15, vcc
	v_cndmask_b32_e32 v8, v16, v14, vcc
	;; [unrolled: 1-line block ×6, first 2 shown]
	v_cmp_gt_u32_e64 s[0:1], s9, v11
	v_cmp_le_i64_e64 s[2:3], v[8:9], v[12:13]
	v_cmp_le_u32_e32 vcc, s11, v14
	s_and_b64 s[0:1], s[0:1], s[2:3]
	s_or_b64 vcc, vcc, s[0:1]
	v_cndmask_b32_e32 v9, v9, v13, vcc
	v_cndmask_b32_e32 v8, v8, v12, vcc
.LBB2329_21:
	s_or_b64 exec, exec, s[14:15]
	v_and_b32_e32 v11, 0xf8, v0
	v_lshl_add_u32 v10, v10, 3, v11
	s_barrier
	s_barrier
	ds_write2_b64 v10, v[2:3], v[4:5] offset1:1
	ds_write2_b64 v10, v[6:7], v[8:9] offset0:2 offset1:3
	v_lshrrev_b32_e32 v2, 2, v0
	v_and_b32_e32 v2, 56, v2
	v_or_b32_e32 v12, 0x100, v0
	v_add_u32_e32 v13, v1, v2
	v_lshrrev_b32_e32 v2, 2, v12
	v_and_b32_e32 v2, 0x78, v2
	v_or_b32_e32 v11, 0x200, v0
	s_mov_b32 s11, 0
	v_add_u32_e32 v6, v1, v2
	v_lshrrev_b32_e32 v2, 2, v11
	s_lshl_b64 s[0:1], s[10:11], 3
	v_and_b32_e32 v2, 0xb8, v2
	v_or_b32_e32 v10, 0x300, v0
	s_add_u32 s0, s6, s0
	v_add_u32_e32 v7, v1, v2
	v_lshrrev_b32_e32 v2, 2, v10
	s_addc_u32 s1, s7, s1
	v_and_b32_e32 v2, 0xf8, v2
	v_add_u32_e32 v14, v1, v2
	v_mov_b32_e32 v3, s1
	v_add_co_u32_e32 v2, vcc, s0, v1
	v_addc_co_u32_e32 v3, vcc, 0, v3, vcc
	s_and_b64 vcc, exec, s[12:13]
	s_waitcnt lgkmcnt(0)
	s_cbranch_vccz .LBB2329_23
; %bb.22:
	s_barrier
	ds_read_b64 v[8:9], v13
	ds_read_b64 v[16:17], v6 offset:2048
	ds_read_b64 v[18:19], v7 offset:4096
	;; [unrolled: 1-line block ×3, first 2 shown]
	s_waitcnt lgkmcnt(3)
	global_store_dwordx2 v[2:3], v[8:9], off
	s_waitcnt lgkmcnt(2)
	global_store_dwordx2 v[2:3], v[16:17], off offset:2048
	v_add_co_u32_e32 v8, vcc, 0x1000, v2
	v_addc_co_u32_e32 v9, vcc, 0, v3, vcc
	s_waitcnt lgkmcnt(1)
	global_store_dwordx2 v[8:9], v[18:19], off
	s_mov_b64 s[0:1], -1
	s_cbranch_execz .LBB2329_24
	s_branch .LBB2329_29
.LBB2329_23:
	s_mov_b64 s[0:1], 0
                                        ; implicit-def: $vgpr4_vgpr5
.LBB2329_24:
	s_barrier
	s_waitcnt lgkmcnt(0)
	ds_read_b64 v[8:9], v6 offset:2048
	ds_read_b64 v[6:7], v7 offset:4096
	;; [unrolled: 1-line block ×3, first 2 shown]
	s_sub_i32 s2, s8, s10
	v_cmp_gt_u32_e32 vcc, s2, v0
	s_and_saveexec_b64 s[0:1], vcc
	s_cbranch_execnz .LBB2329_34
; %bb.25:
	s_or_b64 exec, exec, s[0:1]
	v_cmp_gt_u32_e32 vcc, s2, v12
	s_and_saveexec_b64 s[0:1], vcc
	s_cbranch_execnz .LBB2329_35
.LBB2329_26:
	s_or_b64 exec, exec, s[0:1]
	v_cmp_gt_u32_e32 vcc, s2, v11
	s_and_saveexec_b64 s[0:1], vcc
	s_cbranch_execz .LBB2329_28
.LBB2329_27:
	v_add_co_u32_e32 v0, vcc, 0x1000, v2
	v_addc_co_u32_e32 v1, vcc, 0, v3, vcc
	s_waitcnt lgkmcnt(1)
	global_store_dwordx2 v[0:1], v[6:7], off
.LBB2329_28:
	s_or_b64 exec, exec, s[0:1]
	v_cmp_gt_u32_e64 s[0:1], s2, v10
.LBB2329_29:
	s_and_saveexec_b64 s[2:3], s[0:1]
	s_cbranch_execz .LBB2329_31
; %bb.30:
	v_add_co_u32_e32 v0, vcc, 0x1000, v2
	v_addc_co_u32_e32 v1, vcc, 0, v3, vcc
	s_waitcnt lgkmcnt(0)
	global_store_dwordx2 v[0:1], v[4:5], off offset:2048
.LBB2329_31:
	s_endpgm
.LBB2329_32:
	s_waitcnt vmcnt(3)
	v_mov_b32_e32 v2, s19
	s_waitcnt vmcnt(2)
	v_add_co_u32_e32 v4, vcc, s18, v1
	v_mov_b32_e32 v3, 0
	v_addc_co_u32_e32 v5, vcc, 0, v2, vcc
	v_subrev_u32_e32 v2, s9, v0
	v_lshlrev_b64 v[2:3], 3, v[2:3]
	s_waitcnt vmcnt(1)
	v_mov_b32_e32 v6, s17
	v_add_co_u32_e32 v2, vcc, s16, v2
	v_addc_co_u32_e32 v3, vcc, v6, v3, vcc
	v_cmp_gt_u32_e32 vcc, s9, v0
	v_cndmask_b32_e32 v3, v3, v5, vcc
	v_cndmask_b32_e32 v2, v2, v4, vcc
	global_load_dwordx2 v[2:3], v[2:3], off
	s_or_b64 exec, exec, s[0:1]
	v_cmp_gt_u32_e32 vcc, s11, v12
	s_and_saveexec_b64 s[2:3], vcc
	s_cbranch_execz .LBB2329_6
.LBB2329_33:
	v_mov_b32_e32 v13, 0
	s_waitcnt vmcnt(2)
	v_lshlrev_b64 v[4:5], 3, v[12:13]
	v_mov_b32_e32 v11, s19
	v_add_co_u32_e32 v15, vcc, s18, v4
	v_addc_co_u32_e32 v11, vcc, v11, v5, vcc
	v_cmp_gt_u32_e32 vcc, s9, v12
	v_subrev_u32_e32 v12, s9, v12
	v_lshlrev_b64 v[4:5], 3, v[12:13]
	v_mov_b32_e32 v12, s17
	v_add_co_u32_e64 v4, s[0:1], s16, v4
	v_addc_co_u32_e64 v5, s[0:1], v12, v5, s[0:1]
	v_cndmask_b32_e32 v5, v5, v11, vcc
	v_cndmask_b32_e32 v4, v4, v15, vcc
	global_load_dwordx2 v[4:5], v[4:5], off
	s_or_b64 exec, exec, s[2:3]
	v_cmp_gt_u32_e32 vcc, s11, v10
	s_and_saveexec_b64 s[0:1], vcc
	s_cbranch_execnz .LBB2329_7
	s_branch .LBB2329_8
.LBB2329_34:
	ds_read_b64 v[0:1], v13
	s_waitcnt lgkmcnt(0)
	global_store_dwordx2 v[2:3], v[0:1], off
	s_or_b64 exec, exec, s[0:1]
	v_cmp_gt_u32_e32 vcc, s2, v12
	s_and_saveexec_b64 s[0:1], vcc
	s_cbranch_execz .LBB2329_26
.LBB2329_35:
	s_waitcnt lgkmcnt(2)
	global_store_dwordx2 v[2:3], v[8:9], off offset:2048
	s_or_b64 exec, exec, s[0:1]
	v_cmp_gt_u32_e32 vcc, s2, v11
	s_and_saveexec_b64 s[0:1], vcc
	s_cbranch_execnz .LBB2329_27
	s_branch .LBB2329_28
	.section	.rodata,"a",@progbits
	.p2align	6, 0x0
	.amdhsa_kernel _ZN7rocprim17ROCPRIM_400000_NS6detail17trampoline_kernelINS0_14default_configENS1_38merge_sort_block_merge_config_selectorIxNS0_10empty_typeEEEZZNS1_27merge_sort_block_merge_implIS3_PxPS5_jNS1_19radix_merge_compareILb1ELb0ExNS0_19identity_decomposerEEEEE10hipError_tT0_T1_T2_jT3_P12ihipStream_tbPNSt15iterator_traitsISE_E10value_typeEPNSK_ISF_E10value_typeEPSG_NS1_7vsmem_tEENKUlT_SE_SF_SG_E_clIS8_S8_S9_S9_EESD_ST_SE_SF_SG_EUlST_E0_NS1_11comp_targetILNS1_3genE4ELNS1_11target_archE910ELNS1_3gpuE8ELNS1_3repE0EEENS1_38merge_mergepath_config_static_selectorELNS0_4arch9wavefront6targetE1EEEvSF_
		.amdhsa_group_segment_fixed_size 8448
		.amdhsa_private_segment_fixed_size 0
		.amdhsa_kernarg_size 320
		.amdhsa_user_sgpr_count 6
		.amdhsa_user_sgpr_private_segment_buffer 1
		.amdhsa_user_sgpr_dispatch_ptr 0
		.amdhsa_user_sgpr_queue_ptr 0
		.amdhsa_user_sgpr_kernarg_segment_ptr 1
		.amdhsa_user_sgpr_dispatch_id 0
		.amdhsa_user_sgpr_flat_scratch_init 0
		.amdhsa_user_sgpr_kernarg_preload_length 0
		.amdhsa_user_sgpr_kernarg_preload_offset 0
		.amdhsa_user_sgpr_private_segment_size 0
		.amdhsa_uses_dynamic_stack 0
		.amdhsa_system_sgpr_private_segment_wavefront_offset 0
		.amdhsa_system_sgpr_workgroup_id_x 1
		.amdhsa_system_sgpr_workgroup_id_y 1
		.amdhsa_system_sgpr_workgroup_id_z 1
		.amdhsa_system_sgpr_workgroup_info 0
		.amdhsa_system_vgpr_workitem_id 0
		.amdhsa_next_free_vgpr 21
		.amdhsa_next_free_sgpr 23
		.amdhsa_accum_offset 24
		.amdhsa_reserve_vcc 1
		.amdhsa_reserve_flat_scratch 0
		.amdhsa_float_round_mode_32 0
		.amdhsa_float_round_mode_16_64 0
		.amdhsa_float_denorm_mode_32 3
		.amdhsa_float_denorm_mode_16_64 3
		.amdhsa_dx10_clamp 1
		.amdhsa_ieee_mode 1
		.amdhsa_fp16_overflow 0
		.amdhsa_tg_split 0
		.amdhsa_exception_fp_ieee_invalid_op 0
		.amdhsa_exception_fp_denorm_src 0
		.amdhsa_exception_fp_ieee_div_zero 0
		.amdhsa_exception_fp_ieee_overflow 0
		.amdhsa_exception_fp_ieee_underflow 0
		.amdhsa_exception_fp_ieee_inexact 0
		.amdhsa_exception_int_div_zero 0
	.end_amdhsa_kernel
	.section	.text._ZN7rocprim17ROCPRIM_400000_NS6detail17trampoline_kernelINS0_14default_configENS1_38merge_sort_block_merge_config_selectorIxNS0_10empty_typeEEEZZNS1_27merge_sort_block_merge_implIS3_PxPS5_jNS1_19radix_merge_compareILb1ELb0ExNS0_19identity_decomposerEEEEE10hipError_tT0_T1_T2_jT3_P12ihipStream_tbPNSt15iterator_traitsISE_E10value_typeEPNSK_ISF_E10value_typeEPSG_NS1_7vsmem_tEENKUlT_SE_SF_SG_E_clIS8_S8_S9_S9_EESD_ST_SE_SF_SG_EUlST_E0_NS1_11comp_targetILNS1_3genE4ELNS1_11target_archE910ELNS1_3gpuE8ELNS1_3repE0EEENS1_38merge_mergepath_config_static_selectorELNS0_4arch9wavefront6targetE1EEEvSF_,"axG",@progbits,_ZN7rocprim17ROCPRIM_400000_NS6detail17trampoline_kernelINS0_14default_configENS1_38merge_sort_block_merge_config_selectorIxNS0_10empty_typeEEEZZNS1_27merge_sort_block_merge_implIS3_PxPS5_jNS1_19radix_merge_compareILb1ELb0ExNS0_19identity_decomposerEEEEE10hipError_tT0_T1_T2_jT3_P12ihipStream_tbPNSt15iterator_traitsISE_E10value_typeEPNSK_ISF_E10value_typeEPSG_NS1_7vsmem_tEENKUlT_SE_SF_SG_E_clIS8_S8_S9_S9_EESD_ST_SE_SF_SG_EUlST_E0_NS1_11comp_targetILNS1_3genE4ELNS1_11target_archE910ELNS1_3gpuE8ELNS1_3repE0EEENS1_38merge_mergepath_config_static_selectorELNS0_4arch9wavefront6targetE1EEEvSF_,comdat
.Lfunc_end2329:
	.size	_ZN7rocprim17ROCPRIM_400000_NS6detail17trampoline_kernelINS0_14default_configENS1_38merge_sort_block_merge_config_selectorIxNS0_10empty_typeEEEZZNS1_27merge_sort_block_merge_implIS3_PxPS5_jNS1_19radix_merge_compareILb1ELb0ExNS0_19identity_decomposerEEEEE10hipError_tT0_T1_T2_jT3_P12ihipStream_tbPNSt15iterator_traitsISE_E10value_typeEPNSK_ISF_E10value_typeEPSG_NS1_7vsmem_tEENKUlT_SE_SF_SG_E_clIS8_S8_S9_S9_EESD_ST_SE_SF_SG_EUlST_E0_NS1_11comp_targetILNS1_3genE4ELNS1_11target_archE910ELNS1_3gpuE8ELNS1_3repE0EEENS1_38merge_mergepath_config_static_selectorELNS0_4arch9wavefront6targetE1EEEvSF_, .Lfunc_end2329-_ZN7rocprim17ROCPRIM_400000_NS6detail17trampoline_kernelINS0_14default_configENS1_38merge_sort_block_merge_config_selectorIxNS0_10empty_typeEEEZZNS1_27merge_sort_block_merge_implIS3_PxPS5_jNS1_19radix_merge_compareILb1ELb0ExNS0_19identity_decomposerEEEEE10hipError_tT0_T1_T2_jT3_P12ihipStream_tbPNSt15iterator_traitsISE_E10value_typeEPNSK_ISF_E10value_typeEPSG_NS1_7vsmem_tEENKUlT_SE_SF_SG_E_clIS8_S8_S9_S9_EESD_ST_SE_SF_SG_EUlST_E0_NS1_11comp_targetILNS1_3genE4ELNS1_11target_archE910ELNS1_3gpuE8ELNS1_3repE0EEENS1_38merge_mergepath_config_static_selectorELNS0_4arch9wavefront6targetE1EEEvSF_
                                        ; -- End function
	.section	.AMDGPU.csdata,"",@progbits
; Kernel info:
; codeLenInByte = 2180
; NumSgprs: 27
; NumVgprs: 21
; NumAgprs: 0
; TotalNumVgprs: 21
; ScratchSize: 0
; MemoryBound: 0
; FloatMode: 240
; IeeeMode: 1
; LDSByteSize: 8448 bytes/workgroup (compile time only)
; SGPRBlocks: 3
; VGPRBlocks: 2
; NumSGPRsForWavesPerEU: 27
; NumVGPRsForWavesPerEU: 21
; AccumOffset: 24
; Occupancy: 7
; WaveLimiterHint : 1
; COMPUTE_PGM_RSRC2:SCRATCH_EN: 0
; COMPUTE_PGM_RSRC2:USER_SGPR: 6
; COMPUTE_PGM_RSRC2:TRAP_HANDLER: 0
; COMPUTE_PGM_RSRC2:TGID_X_EN: 1
; COMPUTE_PGM_RSRC2:TGID_Y_EN: 1
; COMPUTE_PGM_RSRC2:TGID_Z_EN: 1
; COMPUTE_PGM_RSRC2:TIDIG_COMP_CNT: 0
; COMPUTE_PGM_RSRC3_GFX90A:ACCUM_OFFSET: 5
; COMPUTE_PGM_RSRC3_GFX90A:TG_SPLIT: 0
	.section	.text._ZN7rocprim17ROCPRIM_400000_NS6detail17trampoline_kernelINS0_14default_configENS1_38merge_sort_block_merge_config_selectorIxNS0_10empty_typeEEEZZNS1_27merge_sort_block_merge_implIS3_PxPS5_jNS1_19radix_merge_compareILb1ELb0ExNS0_19identity_decomposerEEEEE10hipError_tT0_T1_T2_jT3_P12ihipStream_tbPNSt15iterator_traitsISE_E10value_typeEPNSK_ISF_E10value_typeEPSG_NS1_7vsmem_tEENKUlT_SE_SF_SG_E_clIS8_S8_S9_S9_EESD_ST_SE_SF_SG_EUlST_E0_NS1_11comp_targetILNS1_3genE3ELNS1_11target_archE908ELNS1_3gpuE7ELNS1_3repE0EEENS1_38merge_mergepath_config_static_selectorELNS0_4arch9wavefront6targetE1EEEvSF_,"axG",@progbits,_ZN7rocprim17ROCPRIM_400000_NS6detail17trampoline_kernelINS0_14default_configENS1_38merge_sort_block_merge_config_selectorIxNS0_10empty_typeEEEZZNS1_27merge_sort_block_merge_implIS3_PxPS5_jNS1_19radix_merge_compareILb1ELb0ExNS0_19identity_decomposerEEEEE10hipError_tT0_T1_T2_jT3_P12ihipStream_tbPNSt15iterator_traitsISE_E10value_typeEPNSK_ISF_E10value_typeEPSG_NS1_7vsmem_tEENKUlT_SE_SF_SG_E_clIS8_S8_S9_S9_EESD_ST_SE_SF_SG_EUlST_E0_NS1_11comp_targetILNS1_3genE3ELNS1_11target_archE908ELNS1_3gpuE7ELNS1_3repE0EEENS1_38merge_mergepath_config_static_selectorELNS0_4arch9wavefront6targetE1EEEvSF_,comdat
	.protected	_ZN7rocprim17ROCPRIM_400000_NS6detail17trampoline_kernelINS0_14default_configENS1_38merge_sort_block_merge_config_selectorIxNS0_10empty_typeEEEZZNS1_27merge_sort_block_merge_implIS3_PxPS5_jNS1_19radix_merge_compareILb1ELb0ExNS0_19identity_decomposerEEEEE10hipError_tT0_T1_T2_jT3_P12ihipStream_tbPNSt15iterator_traitsISE_E10value_typeEPNSK_ISF_E10value_typeEPSG_NS1_7vsmem_tEENKUlT_SE_SF_SG_E_clIS8_S8_S9_S9_EESD_ST_SE_SF_SG_EUlST_E0_NS1_11comp_targetILNS1_3genE3ELNS1_11target_archE908ELNS1_3gpuE7ELNS1_3repE0EEENS1_38merge_mergepath_config_static_selectorELNS0_4arch9wavefront6targetE1EEEvSF_ ; -- Begin function _ZN7rocprim17ROCPRIM_400000_NS6detail17trampoline_kernelINS0_14default_configENS1_38merge_sort_block_merge_config_selectorIxNS0_10empty_typeEEEZZNS1_27merge_sort_block_merge_implIS3_PxPS5_jNS1_19radix_merge_compareILb1ELb0ExNS0_19identity_decomposerEEEEE10hipError_tT0_T1_T2_jT3_P12ihipStream_tbPNSt15iterator_traitsISE_E10value_typeEPNSK_ISF_E10value_typeEPSG_NS1_7vsmem_tEENKUlT_SE_SF_SG_E_clIS8_S8_S9_S9_EESD_ST_SE_SF_SG_EUlST_E0_NS1_11comp_targetILNS1_3genE3ELNS1_11target_archE908ELNS1_3gpuE7ELNS1_3repE0EEENS1_38merge_mergepath_config_static_selectorELNS0_4arch9wavefront6targetE1EEEvSF_
	.globl	_ZN7rocprim17ROCPRIM_400000_NS6detail17trampoline_kernelINS0_14default_configENS1_38merge_sort_block_merge_config_selectorIxNS0_10empty_typeEEEZZNS1_27merge_sort_block_merge_implIS3_PxPS5_jNS1_19radix_merge_compareILb1ELb0ExNS0_19identity_decomposerEEEEE10hipError_tT0_T1_T2_jT3_P12ihipStream_tbPNSt15iterator_traitsISE_E10value_typeEPNSK_ISF_E10value_typeEPSG_NS1_7vsmem_tEENKUlT_SE_SF_SG_E_clIS8_S8_S9_S9_EESD_ST_SE_SF_SG_EUlST_E0_NS1_11comp_targetILNS1_3genE3ELNS1_11target_archE908ELNS1_3gpuE7ELNS1_3repE0EEENS1_38merge_mergepath_config_static_selectorELNS0_4arch9wavefront6targetE1EEEvSF_
	.p2align	8
	.type	_ZN7rocprim17ROCPRIM_400000_NS6detail17trampoline_kernelINS0_14default_configENS1_38merge_sort_block_merge_config_selectorIxNS0_10empty_typeEEEZZNS1_27merge_sort_block_merge_implIS3_PxPS5_jNS1_19radix_merge_compareILb1ELb0ExNS0_19identity_decomposerEEEEE10hipError_tT0_T1_T2_jT3_P12ihipStream_tbPNSt15iterator_traitsISE_E10value_typeEPNSK_ISF_E10value_typeEPSG_NS1_7vsmem_tEENKUlT_SE_SF_SG_E_clIS8_S8_S9_S9_EESD_ST_SE_SF_SG_EUlST_E0_NS1_11comp_targetILNS1_3genE3ELNS1_11target_archE908ELNS1_3gpuE7ELNS1_3repE0EEENS1_38merge_mergepath_config_static_selectorELNS0_4arch9wavefront6targetE1EEEvSF_,@function
_ZN7rocprim17ROCPRIM_400000_NS6detail17trampoline_kernelINS0_14default_configENS1_38merge_sort_block_merge_config_selectorIxNS0_10empty_typeEEEZZNS1_27merge_sort_block_merge_implIS3_PxPS5_jNS1_19radix_merge_compareILb1ELb0ExNS0_19identity_decomposerEEEEE10hipError_tT0_T1_T2_jT3_P12ihipStream_tbPNSt15iterator_traitsISE_E10value_typeEPNSK_ISF_E10value_typeEPSG_NS1_7vsmem_tEENKUlT_SE_SF_SG_E_clIS8_S8_S9_S9_EESD_ST_SE_SF_SG_EUlST_E0_NS1_11comp_targetILNS1_3genE3ELNS1_11target_archE908ELNS1_3gpuE7ELNS1_3repE0EEENS1_38merge_mergepath_config_static_selectorELNS0_4arch9wavefront6targetE1EEEvSF_: ; @_ZN7rocprim17ROCPRIM_400000_NS6detail17trampoline_kernelINS0_14default_configENS1_38merge_sort_block_merge_config_selectorIxNS0_10empty_typeEEEZZNS1_27merge_sort_block_merge_implIS3_PxPS5_jNS1_19radix_merge_compareILb1ELb0ExNS0_19identity_decomposerEEEEE10hipError_tT0_T1_T2_jT3_P12ihipStream_tbPNSt15iterator_traitsISE_E10value_typeEPNSK_ISF_E10value_typeEPSG_NS1_7vsmem_tEENKUlT_SE_SF_SG_E_clIS8_S8_S9_S9_EESD_ST_SE_SF_SG_EUlST_E0_NS1_11comp_targetILNS1_3genE3ELNS1_11target_archE908ELNS1_3gpuE7ELNS1_3repE0EEENS1_38merge_mergepath_config_static_selectorELNS0_4arch9wavefront6targetE1EEEvSF_
; %bb.0:
	.section	.rodata,"a",@progbits
	.p2align	6, 0x0
	.amdhsa_kernel _ZN7rocprim17ROCPRIM_400000_NS6detail17trampoline_kernelINS0_14default_configENS1_38merge_sort_block_merge_config_selectorIxNS0_10empty_typeEEEZZNS1_27merge_sort_block_merge_implIS3_PxPS5_jNS1_19radix_merge_compareILb1ELb0ExNS0_19identity_decomposerEEEEE10hipError_tT0_T1_T2_jT3_P12ihipStream_tbPNSt15iterator_traitsISE_E10value_typeEPNSK_ISF_E10value_typeEPSG_NS1_7vsmem_tEENKUlT_SE_SF_SG_E_clIS8_S8_S9_S9_EESD_ST_SE_SF_SG_EUlST_E0_NS1_11comp_targetILNS1_3genE3ELNS1_11target_archE908ELNS1_3gpuE7ELNS1_3repE0EEENS1_38merge_mergepath_config_static_selectorELNS0_4arch9wavefront6targetE1EEEvSF_
		.amdhsa_group_segment_fixed_size 0
		.amdhsa_private_segment_fixed_size 0
		.amdhsa_kernarg_size 64
		.amdhsa_user_sgpr_count 6
		.amdhsa_user_sgpr_private_segment_buffer 1
		.amdhsa_user_sgpr_dispatch_ptr 0
		.amdhsa_user_sgpr_queue_ptr 0
		.amdhsa_user_sgpr_kernarg_segment_ptr 1
		.amdhsa_user_sgpr_dispatch_id 0
		.amdhsa_user_sgpr_flat_scratch_init 0
		.amdhsa_user_sgpr_kernarg_preload_length 0
		.amdhsa_user_sgpr_kernarg_preload_offset 0
		.amdhsa_user_sgpr_private_segment_size 0
		.amdhsa_uses_dynamic_stack 0
		.amdhsa_system_sgpr_private_segment_wavefront_offset 0
		.amdhsa_system_sgpr_workgroup_id_x 1
		.amdhsa_system_sgpr_workgroup_id_y 0
		.amdhsa_system_sgpr_workgroup_id_z 0
		.amdhsa_system_sgpr_workgroup_info 0
		.amdhsa_system_vgpr_workitem_id 0
		.amdhsa_next_free_vgpr 1
		.amdhsa_next_free_sgpr 0
		.amdhsa_accum_offset 4
		.amdhsa_reserve_vcc 0
		.amdhsa_reserve_flat_scratch 0
		.amdhsa_float_round_mode_32 0
		.amdhsa_float_round_mode_16_64 0
		.amdhsa_float_denorm_mode_32 3
		.amdhsa_float_denorm_mode_16_64 3
		.amdhsa_dx10_clamp 1
		.amdhsa_ieee_mode 1
		.amdhsa_fp16_overflow 0
		.amdhsa_tg_split 0
		.amdhsa_exception_fp_ieee_invalid_op 0
		.amdhsa_exception_fp_denorm_src 0
		.amdhsa_exception_fp_ieee_div_zero 0
		.amdhsa_exception_fp_ieee_overflow 0
		.amdhsa_exception_fp_ieee_underflow 0
		.amdhsa_exception_fp_ieee_inexact 0
		.amdhsa_exception_int_div_zero 0
	.end_amdhsa_kernel
	.section	.text._ZN7rocprim17ROCPRIM_400000_NS6detail17trampoline_kernelINS0_14default_configENS1_38merge_sort_block_merge_config_selectorIxNS0_10empty_typeEEEZZNS1_27merge_sort_block_merge_implIS3_PxPS5_jNS1_19radix_merge_compareILb1ELb0ExNS0_19identity_decomposerEEEEE10hipError_tT0_T1_T2_jT3_P12ihipStream_tbPNSt15iterator_traitsISE_E10value_typeEPNSK_ISF_E10value_typeEPSG_NS1_7vsmem_tEENKUlT_SE_SF_SG_E_clIS8_S8_S9_S9_EESD_ST_SE_SF_SG_EUlST_E0_NS1_11comp_targetILNS1_3genE3ELNS1_11target_archE908ELNS1_3gpuE7ELNS1_3repE0EEENS1_38merge_mergepath_config_static_selectorELNS0_4arch9wavefront6targetE1EEEvSF_,"axG",@progbits,_ZN7rocprim17ROCPRIM_400000_NS6detail17trampoline_kernelINS0_14default_configENS1_38merge_sort_block_merge_config_selectorIxNS0_10empty_typeEEEZZNS1_27merge_sort_block_merge_implIS3_PxPS5_jNS1_19radix_merge_compareILb1ELb0ExNS0_19identity_decomposerEEEEE10hipError_tT0_T1_T2_jT3_P12ihipStream_tbPNSt15iterator_traitsISE_E10value_typeEPNSK_ISF_E10value_typeEPSG_NS1_7vsmem_tEENKUlT_SE_SF_SG_E_clIS8_S8_S9_S9_EESD_ST_SE_SF_SG_EUlST_E0_NS1_11comp_targetILNS1_3genE3ELNS1_11target_archE908ELNS1_3gpuE7ELNS1_3repE0EEENS1_38merge_mergepath_config_static_selectorELNS0_4arch9wavefront6targetE1EEEvSF_,comdat
.Lfunc_end2330:
	.size	_ZN7rocprim17ROCPRIM_400000_NS6detail17trampoline_kernelINS0_14default_configENS1_38merge_sort_block_merge_config_selectorIxNS0_10empty_typeEEEZZNS1_27merge_sort_block_merge_implIS3_PxPS5_jNS1_19radix_merge_compareILb1ELb0ExNS0_19identity_decomposerEEEEE10hipError_tT0_T1_T2_jT3_P12ihipStream_tbPNSt15iterator_traitsISE_E10value_typeEPNSK_ISF_E10value_typeEPSG_NS1_7vsmem_tEENKUlT_SE_SF_SG_E_clIS8_S8_S9_S9_EESD_ST_SE_SF_SG_EUlST_E0_NS1_11comp_targetILNS1_3genE3ELNS1_11target_archE908ELNS1_3gpuE7ELNS1_3repE0EEENS1_38merge_mergepath_config_static_selectorELNS0_4arch9wavefront6targetE1EEEvSF_, .Lfunc_end2330-_ZN7rocprim17ROCPRIM_400000_NS6detail17trampoline_kernelINS0_14default_configENS1_38merge_sort_block_merge_config_selectorIxNS0_10empty_typeEEEZZNS1_27merge_sort_block_merge_implIS3_PxPS5_jNS1_19radix_merge_compareILb1ELb0ExNS0_19identity_decomposerEEEEE10hipError_tT0_T1_T2_jT3_P12ihipStream_tbPNSt15iterator_traitsISE_E10value_typeEPNSK_ISF_E10value_typeEPSG_NS1_7vsmem_tEENKUlT_SE_SF_SG_E_clIS8_S8_S9_S9_EESD_ST_SE_SF_SG_EUlST_E0_NS1_11comp_targetILNS1_3genE3ELNS1_11target_archE908ELNS1_3gpuE7ELNS1_3repE0EEENS1_38merge_mergepath_config_static_selectorELNS0_4arch9wavefront6targetE1EEEvSF_
                                        ; -- End function
	.section	.AMDGPU.csdata,"",@progbits
; Kernel info:
; codeLenInByte = 0
; NumSgprs: 4
; NumVgprs: 0
; NumAgprs: 0
; TotalNumVgprs: 0
; ScratchSize: 0
; MemoryBound: 0
; FloatMode: 240
; IeeeMode: 1
; LDSByteSize: 0 bytes/workgroup (compile time only)
; SGPRBlocks: 0
; VGPRBlocks: 0
; NumSGPRsForWavesPerEU: 4
; NumVGPRsForWavesPerEU: 1
; AccumOffset: 4
; Occupancy: 8
; WaveLimiterHint : 0
; COMPUTE_PGM_RSRC2:SCRATCH_EN: 0
; COMPUTE_PGM_RSRC2:USER_SGPR: 6
; COMPUTE_PGM_RSRC2:TRAP_HANDLER: 0
; COMPUTE_PGM_RSRC2:TGID_X_EN: 1
; COMPUTE_PGM_RSRC2:TGID_Y_EN: 0
; COMPUTE_PGM_RSRC2:TGID_Z_EN: 0
; COMPUTE_PGM_RSRC2:TIDIG_COMP_CNT: 0
; COMPUTE_PGM_RSRC3_GFX90A:ACCUM_OFFSET: 0
; COMPUTE_PGM_RSRC3_GFX90A:TG_SPLIT: 0
	.section	.text._ZN7rocprim17ROCPRIM_400000_NS6detail17trampoline_kernelINS0_14default_configENS1_38merge_sort_block_merge_config_selectorIxNS0_10empty_typeEEEZZNS1_27merge_sort_block_merge_implIS3_PxPS5_jNS1_19radix_merge_compareILb1ELb0ExNS0_19identity_decomposerEEEEE10hipError_tT0_T1_T2_jT3_P12ihipStream_tbPNSt15iterator_traitsISE_E10value_typeEPNSK_ISF_E10value_typeEPSG_NS1_7vsmem_tEENKUlT_SE_SF_SG_E_clIS8_S8_S9_S9_EESD_ST_SE_SF_SG_EUlST_E0_NS1_11comp_targetILNS1_3genE2ELNS1_11target_archE906ELNS1_3gpuE6ELNS1_3repE0EEENS1_38merge_mergepath_config_static_selectorELNS0_4arch9wavefront6targetE1EEEvSF_,"axG",@progbits,_ZN7rocprim17ROCPRIM_400000_NS6detail17trampoline_kernelINS0_14default_configENS1_38merge_sort_block_merge_config_selectorIxNS0_10empty_typeEEEZZNS1_27merge_sort_block_merge_implIS3_PxPS5_jNS1_19radix_merge_compareILb1ELb0ExNS0_19identity_decomposerEEEEE10hipError_tT0_T1_T2_jT3_P12ihipStream_tbPNSt15iterator_traitsISE_E10value_typeEPNSK_ISF_E10value_typeEPSG_NS1_7vsmem_tEENKUlT_SE_SF_SG_E_clIS8_S8_S9_S9_EESD_ST_SE_SF_SG_EUlST_E0_NS1_11comp_targetILNS1_3genE2ELNS1_11target_archE906ELNS1_3gpuE6ELNS1_3repE0EEENS1_38merge_mergepath_config_static_selectorELNS0_4arch9wavefront6targetE1EEEvSF_,comdat
	.protected	_ZN7rocprim17ROCPRIM_400000_NS6detail17trampoline_kernelINS0_14default_configENS1_38merge_sort_block_merge_config_selectorIxNS0_10empty_typeEEEZZNS1_27merge_sort_block_merge_implIS3_PxPS5_jNS1_19radix_merge_compareILb1ELb0ExNS0_19identity_decomposerEEEEE10hipError_tT0_T1_T2_jT3_P12ihipStream_tbPNSt15iterator_traitsISE_E10value_typeEPNSK_ISF_E10value_typeEPSG_NS1_7vsmem_tEENKUlT_SE_SF_SG_E_clIS8_S8_S9_S9_EESD_ST_SE_SF_SG_EUlST_E0_NS1_11comp_targetILNS1_3genE2ELNS1_11target_archE906ELNS1_3gpuE6ELNS1_3repE0EEENS1_38merge_mergepath_config_static_selectorELNS0_4arch9wavefront6targetE1EEEvSF_ ; -- Begin function _ZN7rocprim17ROCPRIM_400000_NS6detail17trampoline_kernelINS0_14default_configENS1_38merge_sort_block_merge_config_selectorIxNS0_10empty_typeEEEZZNS1_27merge_sort_block_merge_implIS3_PxPS5_jNS1_19radix_merge_compareILb1ELb0ExNS0_19identity_decomposerEEEEE10hipError_tT0_T1_T2_jT3_P12ihipStream_tbPNSt15iterator_traitsISE_E10value_typeEPNSK_ISF_E10value_typeEPSG_NS1_7vsmem_tEENKUlT_SE_SF_SG_E_clIS8_S8_S9_S9_EESD_ST_SE_SF_SG_EUlST_E0_NS1_11comp_targetILNS1_3genE2ELNS1_11target_archE906ELNS1_3gpuE6ELNS1_3repE0EEENS1_38merge_mergepath_config_static_selectorELNS0_4arch9wavefront6targetE1EEEvSF_
	.globl	_ZN7rocprim17ROCPRIM_400000_NS6detail17trampoline_kernelINS0_14default_configENS1_38merge_sort_block_merge_config_selectorIxNS0_10empty_typeEEEZZNS1_27merge_sort_block_merge_implIS3_PxPS5_jNS1_19radix_merge_compareILb1ELb0ExNS0_19identity_decomposerEEEEE10hipError_tT0_T1_T2_jT3_P12ihipStream_tbPNSt15iterator_traitsISE_E10value_typeEPNSK_ISF_E10value_typeEPSG_NS1_7vsmem_tEENKUlT_SE_SF_SG_E_clIS8_S8_S9_S9_EESD_ST_SE_SF_SG_EUlST_E0_NS1_11comp_targetILNS1_3genE2ELNS1_11target_archE906ELNS1_3gpuE6ELNS1_3repE0EEENS1_38merge_mergepath_config_static_selectorELNS0_4arch9wavefront6targetE1EEEvSF_
	.p2align	8
	.type	_ZN7rocprim17ROCPRIM_400000_NS6detail17trampoline_kernelINS0_14default_configENS1_38merge_sort_block_merge_config_selectorIxNS0_10empty_typeEEEZZNS1_27merge_sort_block_merge_implIS3_PxPS5_jNS1_19radix_merge_compareILb1ELb0ExNS0_19identity_decomposerEEEEE10hipError_tT0_T1_T2_jT3_P12ihipStream_tbPNSt15iterator_traitsISE_E10value_typeEPNSK_ISF_E10value_typeEPSG_NS1_7vsmem_tEENKUlT_SE_SF_SG_E_clIS8_S8_S9_S9_EESD_ST_SE_SF_SG_EUlST_E0_NS1_11comp_targetILNS1_3genE2ELNS1_11target_archE906ELNS1_3gpuE6ELNS1_3repE0EEENS1_38merge_mergepath_config_static_selectorELNS0_4arch9wavefront6targetE1EEEvSF_,@function
_ZN7rocprim17ROCPRIM_400000_NS6detail17trampoline_kernelINS0_14default_configENS1_38merge_sort_block_merge_config_selectorIxNS0_10empty_typeEEEZZNS1_27merge_sort_block_merge_implIS3_PxPS5_jNS1_19radix_merge_compareILb1ELb0ExNS0_19identity_decomposerEEEEE10hipError_tT0_T1_T2_jT3_P12ihipStream_tbPNSt15iterator_traitsISE_E10value_typeEPNSK_ISF_E10value_typeEPSG_NS1_7vsmem_tEENKUlT_SE_SF_SG_E_clIS8_S8_S9_S9_EESD_ST_SE_SF_SG_EUlST_E0_NS1_11comp_targetILNS1_3genE2ELNS1_11target_archE906ELNS1_3gpuE6ELNS1_3repE0EEENS1_38merge_mergepath_config_static_selectorELNS0_4arch9wavefront6targetE1EEEvSF_: ; @_ZN7rocprim17ROCPRIM_400000_NS6detail17trampoline_kernelINS0_14default_configENS1_38merge_sort_block_merge_config_selectorIxNS0_10empty_typeEEEZZNS1_27merge_sort_block_merge_implIS3_PxPS5_jNS1_19radix_merge_compareILb1ELb0ExNS0_19identity_decomposerEEEEE10hipError_tT0_T1_T2_jT3_P12ihipStream_tbPNSt15iterator_traitsISE_E10value_typeEPNSK_ISF_E10value_typeEPSG_NS1_7vsmem_tEENKUlT_SE_SF_SG_E_clIS8_S8_S9_S9_EESD_ST_SE_SF_SG_EUlST_E0_NS1_11comp_targetILNS1_3genE2ELNS1_11target_archE906ELNS1_3gpuE6ELNS1_3repE0EEENS1_38merge_mergepath_config_static_selectorELNS0_4arch9wavefront6targetE1EEEvSF_
; %bb.0:
	.section	.rodata,"a",@progbits
	.p2align	6, 0x0
	.amdhsa_kernel _ZN7rocprim17ROCPRIM_400000_NS6detail17trampoline_kernelINS0_14default_configENS1_38merge_sort_block_merge_config_selectorIxNS0_10empty_typeEEEZZNS1_27merge_sort_block_merge_implIS3_PxPS5_jNS1_19radix_merge_compareILb1ELb0ExNS0_19identity_decomposerEEEEE10hipError_tT0_T1_T2_jT3_P12ihipStream_tbPNSt15iterator_traitsISE_E10value_typeEPNSK_ISF_E10value_typeEPSG_NS1_7vsmem_tEENKUlT_SE_SF_SG_E_clIS8_S8_S9_S9_EESD_ST_SE_SF_SG_EUlST_E0_NS1_11comp_targetILNS1_3genE2ELNS1_11target_archE906ELNS1_3gpuE6ELNS1_3repE0EEENS1_38merge_mergepath_config_static_selectorELNS0_4arch9wavefront6targetE1EEEvSF_
		.amdhsa_group_segment_fixed_size 0
		.amdhsa_private_segment_fixed_size 0
		.amdhsa_kernarg_size 64
		.amdhsa_user_sgpr_count 6
		.amdhsa_user_sgpr_private_segment_buffer 1
		.amdhsa_user_sgpr_dispatch_ptr 0
		.amdhsa_user_sgpr_queue_ptr 0
		.amdhsa_user_sgpr_kernarg_segment_ptr 1
		.amdhsa_user_sgpr_dispatch_id 0
		.amdhsa_user_sgpr_flat_scratch_init 0
		.amdhsa_user_sgpr_kernarg_preload_length 0
		.amdhsa_user_sgpr_kernarg_preload_offset 0
		.amdhsa_user_sgpr_private_segment_size 0
		.amdhsa_uses_dynamic_stack 0
		.amdhsa_system_sgpr_private_segment_wavefront_offset 0
		.amdhsa_system_sgpr_workgroup_id_x 1
		.amdhsa_system_sgpr_workgroup_id_y 0
		.amdhsa_system_sgpr_workgroup_id_z 0
		.amdhsa_system_sgpr_workgroup_info 0
		.amdhsa_system_vgpr_workitem_id 0
		.amdhsa_next_free_vgpr 1
		.amdhsa_next_free_sgpr 0
		.amdhsa_accum_offset 4
		.amdhsa_reserve_vcc 0
		.amdhsa_reserve_flat_scratch 0
		.amdhsa_float_round_mode_32 0
		.amdhsa_float_round_mode_16_64 0
		.amdhsa_float_denorm_mode_32 3
		.amdhsa_float_denorm_mode_16_64 3
		.amdhsa_dx10_clamp 1
		.amdhsa_ieee_mode 1
		.amdhsa_fp16_overflow 0
		.amdhsa_tg_split 0
		.amdhsa_exception_fp_ieee_invalid_op 0
		.amdhsa_exception_fp_denorm_src 0
		.amdhsa_exception_fp_ieee_div_zero 0
		.amdhsa_exception_fp_ieee_overflow 0
		.amdhsa_exception_fp_ieee_underflow 0
		.amdhsa_exception_fp_ieee_inexact 0
		.amdhsa_exception_int_div_zero 0
	.end_amdhsa_kernel
	.section	.text._ZN7rocprim17ROCPRIM_400000_NS6detail17trampoline_kernelINS0_14default_configENS1_38merge_sort_block_merge_config_selectorIxNS0_10empty_typeEEEZZNS1_27merge_sort_block_merge_implIS3_PxPS5_jNS1_19radix_merge_compareILb1ELb0ExNS0_19identity_decomposerEEEEE10hipError_tT0_T1_T2_jT3_P12ihipStream_tbPNSt15iterator_traitsISE_E10value_typeEPNSK_ISF_E10value_typeEPSG_NS1_7vsmem_tEENKUlT_SE_SF_SG_E_clIS8_S8_S9_S9_EESD_ST_SE_SF_SG_EUlST_E0_NS1_11comp_targetILNS1_3genE2ELNS1_11target_archE906ELNS1_3gpuE6ELNS1_3repE0EEENS1_38merge_mergepath_config_static_selectorELNS0_4arch9wavefront6targetE1EEEvSF_,"axG",@progbits,_ZN7rocprim17ROCPRIM_400000_NS6detail17trampoline_kernelINS0_14default_configENS1_38merge_sort_block_merge_config_selectorIxNS0_10empty_typeEEEZZNS1_27merge_sort_block_merge_implIS3_PxPS5_jNS1_19radix_merge_compareILb1ELb0ExNS0_19identity_decomposerEEEEE10hipError_tT0_T1_T2_jT3_P12ihipStream_tbPNSt15iterator_traitsISE_E10value_typeEPNSK_ISF_E10value_typeEPSG_NS1_7vsmem_tEENKUlT_SE_SF_SG_E_clIS8_S8_S9_S9_EESD_ST_SE_SF_SG_EUlST_E0_NS1_11comp_targetILNS1_3genE2ELNS1_11target_archE906ELNS1_3gpuE6ELNS1_3repE0EEENS1_38merge_mergepath_config_static_selectorELNS0_4arch9wavefront6targetE1EEEvSF_,comdat
.Lfunc_end2331:
	.size	_ZN7rocprim17ROCPRIM_400000_NS6detail17trampoline_kernelINS0_14default_configENS1_38merge_sort_block_merge_config_selectorIxNS0_10empty_typeEEEZZNS1_27merge_sort_block_merge_implIS3_PxPS5_jNS1_19radix_merge_compareILb1ELb0ExNS0_19identity_decomposerEEEEE10hipError_tT0_T1_T2_jT3_P12ihipStream_tbPNSt15iterator_traitsISE_E10value_typeEPNSK_ISF_E10value_typeEPSG_NS1_7vsmem_tEENKUlT_SE_SF_SG_E_clIS8_S8_S9_S9_EESD_ST_SE_SF_SG_EUlST_E0_NS1_11comp_targetILNS1_3genE2ELNS1_11target_archE906ELNS1_3gpuE6ELNS1_3repE0EEENS1_38merge_mergepath_config_static_selectorELNS0_4arch9wavefront6targetE1EEEvSF_, .Lfunc_end2331-_ZN7rocprim17ROCPRIM_400000_NS6detail17trampoline_kernelINS0_14default_configENS1_38merge_sort_block_merge_config_selectorIxNS0_10empty_typeEEEZZNS1_27merge_sort_block_merge_implIS3_PxPS5_jNS1_19radix_merge_compareILb1ELb0ExNS0_19identity_decomposerEEEEE10hipError_tT0_T1_T2_jT3_P12ihipStream_tbPNSt15iterator_traitsISE_E10value_typeEPNSK_ISF_E10value_typeEPSG_NS1_7vsmem_tEENKUlT_SE_SF_SG_E_clIS8_S8_S9_S9_EESD_ST_SE_SF_SG_EUlST_E0_NS1_11comp_targetILNS1_3genE2ELNS1_11target_archE906ELNS1_3gpuE6ELNS1_3repE0EEENS1_38merge_mergepath_config_static_selectorELNS0_4arch9wavefront6targetE1EEEvSF_
                                        ; -- End function
	.section	.AMDGPU.csdata,"",@progbits
; Kernel info:
; codeLenInByte = 0
; NumSgprs: 4
; NumVgprs: 0
; NumAgprs: 0
; TotalNumVgprs: 0
; ScratchSize: 0
; MemoryBound: 0
; FloatMode: 240
; IeeeMode: 1
; LDSByteSize: 0 bytes/workgroup (compile time only)
; SGPRBlocks: 0
; VGPRBlocks: 0
; NumSGPRsForWavesPerEU: 4
; NumVGPRsForWavesPerEU: 1
; AccumOffset: 4
; Occupancy: 8
; WaveLimiterHint : 0
; COMPUTE_PGM_RSRC2:SCRATCH_EN: 0
; COMPUTE_PGM_RSRC2:USER_SGPR: 6
; COMPUTE_PGM_RSRC2:TRAP_HANDLER: 0
; COMPUTE_PGM_RSRC2:TGID_X_EN: 1
; COMPUTE_PGM_RSRC2:TGID_Y_EN: 0
; COMPUTE_PGM_RSRC2:TGID_Z_EN: 0
; COMPUTE_PGM_RSRC2:TIDIG_COMP_CNT: 0
; COMPUTE_PGM_RSRC3_GFX90A:ACCUM_OFFSET: 0
; COMPUTE_PGM_RSRC3_GFX90A:TG_SPLIT: 0
	.section	.text._ZN7rocprim17ROCPRIM_400000_NS6detail17trampoline_kernelINS0_14default_configENS1_38merge_sort_block_merge_config_selectorIxNS0_10empty_typeEEEZZNS1_27merge_sort_block_merge_implIS3_PxPS5_jNS1_19radix_merge_compareILb1ELb0ExNS0_19identity_decomposerEEEEE10hipError_tT0_T1_T2_jT3_P12ihipStream_tbPNSt15iterator_traitsISE_E10value_typeEPNSK_ISF_E10value_typeEPSG_NS1_7vsmem_tEENKUlT_SE_SF_SG_E_clIS8_S8_S9_S9_EESD_ST_SE_SF_SG_EUlST_E0_NS1_11comp_targetILNS1_3genE9ELNS1_11target_archE1100ELNS1_3gpuE3ELNS1_3repE0EEENS1_38merge_mergepath_config_static_selectorELNS0_4arch9wavefront6targetE1EEEvSF_,"axG",@progbits,_ZN7rocprim17ROCPRIM_400000_NS6detail17trampoline_kernelINS0_14default_configENS1_38merge_sort_block_merge_config_selectorIxNS0_10empty_typeEEEZZNS1_27merge_sort_block_merge_implIS3_PxPS5_jNS1_19radix_merge_compareILb1ELb0ExNS0_19identity_decomposerEEEEE10hipError_tT0_T1_T2_jT3_P12ihipStream_tbPNSt15iterator_traitsISE_E10value_typeEPNSK_ISF_E10value_typeEPSG_NS1_7vsmem_tEENKUlT_SE_SF_SG_E_clIS8_S8_S9_S9_EESD_ST_SE_SF_SG_EUlST_E0_NS1_11comp_targetILNS1_3genE9ELNS1_11target_archE1100ELNS1_3gpuE3ELNS1_3repE0EEENS1_38merge_mergepath_config_static_selectorELNS0_4arch9wavefront6targetE1EEEvSF_,comdat
	.protected	_ZN7rocprim17ROCPRIM_400000_NS6detail17trampoline_kernelINS0_14default_configENS1_38merge_sort_block_merge_config_selectorIxNS0_10empty_typeEEEZZNS1_27merge_sort_block_merge_implIS3_PxPS5_jNS1_19radix_merge_compareILb1ELb0ExNS0_19identity_decomposerEEEEE10hipError_tT0_T1_T2_jT3_P12ihipStream_tbPNSt15iterator_traitsISE_E10value_typeEPNSK_ISF_E10value_typeEPSG_NS1_7vsmem_tEENKUlT_SE_SF_SG_E_clIS8_S8_S9_S9_EESD_ST_SE_SF_SG_EUlST_E0_NS1_11comp_targetILNS1_3genE9ELNS1_11target_archE1100ELNS1_3gpuE3ELNS1_3repE0EEENS1_38merge_mergepath_config_static_selectorELNS0_4arch9wavefront6targetE1EEEvSF_ ; -- Begin function _ZN7rocprim17ROCPRIM_400000_NS6detail17trampoline_kernelINS0_14default_configENS1_38merge_sort_block_merge_config_selectorIxNS0_10empty_typeEEEZZNS1_27merge_sort_block_merge_implIS3_PxPS5_jNS1_19radix_merge_compareILb1ELb0ExNS0_19identity_decomposerEEEEE10hipError_tT0_T1_T2_jT3_P12ihipStream_tbPNSt15iterator_traitsISE_E10value_typeEPNSK_ISF_E10value_typeEPSG_NS1_7vsmem_tEENKUlT_SE_SF_SG_E_clIS8_S8_S9_S9_EESD_ST_SE_SF_SG_EUlST_E0_NS1_11comp_targetILNS1_3genE9ELNS1_11target_archE1100ELNS1_3gpuE3ELNS1_3repE0EEENS1_38merge_mergepath_config_static_selectorELNS0_4arch9wavefront6targetE1EEEvSF_
	.globl	_ZN7rocprim17ROCPRIM_400000_NS6detail17trampoline_kernelINS0_14default_configENS1_38merge_sort_block_merge_config_selectorIxNS0_10empty_typeEEEZZNS1_27merge_sort_block_merge_implIS3_PxPS5_jNS1_19radix_merge_compareILb1ELb0ExNS0_19identity_decomposerEEEEE10hipError_tT0_T1_T2_jT3_P12ihipStream_tbPNSt15iterator_traitsISE_E10value_typeEPNSK_ISF_E10value_typeEPSG_NS1_7vsmem_tEENKUlT_SE_SF_SG_E_clIS8_S8_S9_S9_EESD_ST_SE_SF_SG_EUlST_E0_NS1_11comp_targetILNS1_3genE9ELNS1_11target_archE1100ELNS1_3gpuE3ELNS1_3repE0EEENS1_38merge_mergepath_config_static_selectorELNS0_4arch9wavefront6targetE1EEEvSF_
	.p2align	8
	.type	_ZN7rocprim17ROCPRIM_400000_NS6detail17trampoline_kernelINS0_14default_configENS1_38merge_sort_block_merge_config_selectorIxNS0_10empty_typeEEEZZNS1_27merge_sort_block_merge_implIS3_PxPS5_jNS1_19radix_merge_compareILb1ELb0ExNS0_19identity_decomposerEEEEE10hipError_tT0_T1_T2_jT3_P12ihipStream_tbPNSt15iterator_traitsISE_E10value_typeEPNSK_ISF_E10value_typeEPSG_NS1_7vsmem_tEENKUlT_SE_SF_SG_E_clIS8_S8_S9_S9_EESD_ST_SE_SF_SG_EUlST_E0_NS1_11comp_targetILNS1_3genE9ELNS1_11target_archE1100ELNS1_3gpuE3ELNS1_3repE0EEENS1_38merge_mergepath_config_static_selectorELNS0_4arch9wavefront6targetE1EEEvSF_,@function
_ZN7rocprim17ROCPRIM_400000_NS6detail17trampoline_kernelINS0_14default_configENS1_38merge_sort_block_merge_config_selectorIxNS0_10empty_typeEEEZZNS1_27merge_sort_block_merge_implIS3_PxPS5_jNS1_19radix_merge_compareILb1ELb0ExNS0_19identity_decomposerEEEEE10hipError_tT0_T1_T2_jT3_P12ihipStream_tbPNSt15iterator_traitsISE_E10value_typeEPNSK_ISF_E10value_typeEPSG_NS1_7vsmem_tEENKUlT_SE_SF_SG_E_clIS8_S8_S9_S9_EESD_ST_SE_SF_SG_EUlST_E0_NS1_11comp_targetILNS1_3genE9ELNS1_11target_archE1100ELNS1_3gpuE3ELNS1_3repE0EEENS1_38merge_mergepath_config_static_selectorELNS0_4arch9wavefront6targetE1EEEvSF_: ; @_ZN7rocprim17ROCPRIM_400000_NS6detail17trampoline_kernelINS0_14default_configENS1_38merge_sort_block_merge_config_selectorIxNS0_10empty_typeEEEZZNS1_27merge_sort_block_merge_implIS3_PxPS5_jNS1_19radix_merge_compareILb1ELb0ExNS0_19identity_decomposerEEEEE10hipError_tT0_T1_T2_jT3_P12ihipStream_tbPNSt15iterator_traitsISE_E10value_typeEPNSK_ISF_E10value_typeEPSG_NS1_7vsmem_tEENKUlT_SE_SF_SG_E_clIS8_S8_S9_S9_EESD_ST_SE_SF_SG_EUlST_E0_NS1_11comp_targetILNS1_3genE9ELNS1_11target_archE1100ELNS1_3gpuE3ELNS1_3repE0EEENS1_38merge_mergepath_config_static_selectorELNS0_4arch9wavefront6targetE1EEEvSF_
; %bb.0:
	.section	.rodata,"a",@progbits
	.p2align	6, 0x0
	.amdhsa_kernel _ZN7rocprim17ROCPRIM_400000_NS6detail17trampoline_kernelINS0_14default_configENS1_38merge_sort_block_merge_config_selectorIxNS0_10empty_typeEEEZZNS1_27merge_sort_block_merge_implIS3_PxPS5_jNS1_19radix_merge_compareILb1ELb0ExNS0_19identity_decomposerEEEEE10hipError_tT0_T1_T2_jT3_P12ihipStream_tbPNSt15iterator_traitsISE_E10value_typeEPNSK_ISF_E10value_typeEPSG_NS1_7vsmem_tEENKUlT_SE_SF_SG_E_clIS8_S8_S9_S9_EESD_ST_SE_SF_SG_EUlST_E0_NS1_11comp_targetILNS1_3genE9ELNS1_11target_archE1100ELNS1_3gpuE3ELNS1_3repE0EEENS1_38merge_mergepath_config_static_selectorELNS0_4arch9wavefront6targetE1EEEvSF_
		.amdhsa_group_segment_fixed_size 0
		.amdhsa_private_segment_fixed_size 0
		.amdhsa_kernarg_size 64
		.amdhsa_user_sgpr_count 6
		.amdhsa_user_sgpr_private_segment_buffer 1
		.amdhsa_user_sgpr_dispatch_ptr 0
		.amdhsa_user_sgpr_queue_ptr 0
		.amdhsa_user_sgpr_kernarg_segment_ptr 1
		.amdhsa_user_sgpr_dispatch_id 0
		.amdhsa_user_sgpr_flat_scratch_init 0
		.amdhsa_user_sgpr_kernarg_preload_length 0
		.amdhsa_user_sgpr_kernarg_preload_offset 0
		.amdhsa_user_sgpr_private_segment_size 0
		.amdhsa_uses_dynamic_stack 0
		.amdhsa_system_sgpr_private_segment_wavefront_offset 0
		.amdhsa_system_sgpr_workgroup_id_x 1
		.amdhsa_system_sgpr_workgroup_id_y 0
		.amdhsa_system_sgpr_workgroup_id_z 0
		.amdhsa_system_sgpr_workgroup_info 0
		.amdhsa_system_vgpr_workitem_id 0
		.amdhsa_next_free_vgpr 1
		.amdhsa_next_free_sgpr 0
		.amdhsa_accum_offset 4
		.amdhsa_reserve_vcc 0
		.amdhsa_reserve_flat_scratch 0
		.amdhsa_float_round_mode_32 0
		.amdhsa_float_round_mode_16_64 0
		.amdhsa_float_denorm_mode_32 3
		.amdhsa_float_denorm_mode_16_64 3
		.amdhsa_dx10_clamp 1
		.amdhsa_ieee_mode 1
		.amdhsa_fp16_overflow 0
		.amdhsa_tg_split 0
		.amdhsa_exception_fp_ieee_invalid_op 0
		.amdhsa_exception_fp_denorm_src 0
		.amdhsa_exception_fp_ieee_div_zero 0
		.amdhsa_exception_fp_ieee_overflow 0
		.amdhsa_exception_fp_ieee_underflow 0
		.amdhsa_exception_fp_ieee_inexact 0
		.amdhsa_exception_int_div_zero 0
	.end_amdhsa_kernel
	.section	.text._ZN7rocprim17ROCPRIM_400000_NS6detail17trampoline_kernelINS0_14default_configENS1_38merge_sort_block_merge_config_selectorIxNS0_10empty_typeEEEZZNS1_27merge_sort_block_merge_implIS3_PxPS5_jNS1_19radix_merge_compareILb1ELb0ExNS0_19identity_decomposerEEEEE10hipError_tT0_T1_T2_jT3_P12ihipStream_tbPNSt15iterator_traitsISE_E10value_typeEPNSK_ISF_E10value_typeEPSG_NS1_7vsmem_tEENKUlT_SE_SF_SG_E_clIS8_S8_S9_S9_EESD_ST_SE_SF_SG_EUlST_E0_NS1_11comp_targetILNS1_3genE9ELNS1_11target_archE1100ELNS1_3gpuE3ELNS1_3repE0EEENS1_38merge_mergepath_config_static_selectorELNS0_4arch9wavefront6targetE1EEEvSF_,"axG",@progbits,_ZN7rocprim17ROCPRIM_400000_NS6detail17trampoline_kernelINS0_14default_configENS1_38merge_sort_block_merge_config_selectorIxNS0_10empty_typeEEEZZNS1_27merge_sort_block_merge_implIS3_PxPS5_jNS1_19radix_merge_compareILb1ELb0ExNS0_19identity_decomposerEEEEE10hipError_tT0_T1_T2_jT3_P12ihipStream_tbPNSt15iterator_traitsISE_E10value_typeEPNSK_ISF_E10value_typeEPSG_NS1_7vsmem_tEENKUlT_SE_SF_SG_E_clIS8_S8_S9_S9_EESD_ST_SE_SF_SG_EUlST_E0_NS1_11comp_targetILNS1_3genE9ELNS1_11target_archE1100ELNS1_3gpuE3ELNS1_3repE0EEENS1_38merge_mergepath_config_static_selectorELNS0_4arch9wavefront6targetE1EEEvSF_,comdat
.Lfunc_end2332:
	.size	_ZN7rocprim17ROCPRIM_400000_NS6detail17trampoline_kernelINS0_14default_configENS1_38merge_sort_block_merge_config_selectorIxNS0_10empty_typeEEEZZNS1_27merge_sort_block_merge_implIS3_PxPS5_jNS1_19radix_merge_compareILb1ELb0ExNS0_19identity_decomposerEEEEE10hipError_tT0_T1_T2_jT3_P12ihipStream_tbPNSt15iterator_traitsISE_E10value_typeEPNSK_ISF_E10value_typeEPSG_NS1_7vsmem_tEENKUlT_SE_SF_SG_E_clIS8_S8_S9_S9_EESD_ST_SE_SF_SG_EUlST_E0_NS1_11comp_targetILNS1_3genE9ELNS1_11target_archE1100ELNS1_3gpuE3ELNS1_3repE0EEENS1_38merge_mergepath_config_static_selectorELNS0_4arch9wavefront6targetE1EEEvSF_, .Lfunc_end2332-_ZN7rocprim17ROCPRIM_400000_NS6detail17trampoline_kernelINS0_14default_configENS1_38merge_sort_block_merge_config_selectorIxNS0_10empty_typeEEEZZNS1_27merge_sort_block_merge_implIS3_PxPS5_jNS1_19radix_merge_compareILb1ELb0ExNS0_19identity_decomposerEEEEE10hipError_tT0_T1_T2_jT3_P12ihipStream_tbPNSt15iterator_traitsISE_E10value_typeEPNSK_ISF_E10value_typeEPSG_NS1_7vsmem_tEENKUlT_SE_SF_SG_E_clIS8_S8_S9_S9_EESD_ST_SE_SF_SG_EUlST_E0_NS1_11comp_targetILNS1_3genE9ELNS1_11target_archE1100ELNS1_3gpuE3ELNS1_3repE0EEENS1_38merge_mergepath_config_static_selectorELNS0_4arch9wavefront6targetE1EEEvSF_
                                        ; -- End function
	.section	.AMDGPU.csdata,"",@progbits
; Kernel info:
; codeLenInByte = 0
; NumSgprs: 4
; NumVgprs: 0
; NumAgprs: 0
; TotalNumVgprs: 0
; ScratchSize: 0
; MemoryBound: 0
; FloatMode: 240
; IeeeMode: 1
; LDSByteSize: 0 bytes/workgroup (compile time only)
; SGPRBlocks: 0
; VGPRBlocks: 0
; NumSGPRsForWavesPerEU: 4
; NumVGPRsForWavesPerEU: 1
; AccumOffset: 4
; Occupancy: 8
; WaveLimiterHint : 0
; COMPUTE_PGM_RSRC2:SCRATCH_EN: 0
; COMPUTE_PGM_RSRC2:USER_SGPR: 6
; COMPUTE_PGM_RSRC2:TRAP_HANDLER: 0
; COMPUTE_PGM_RSRC2:TGID_X_EN: 1
; COMPUTE_PGM_RSRC2:TGID_Y_EN: 0
; COMPUTE_PGM_RSRC2:TGID_Z_EN: 0
; COMPUTE_PGM_RSRC2:TIDIG_COMP_CNT: 0
; COMPUTE_PGM_RSRC3_GFX90A:ACCUM_OFFSET: 0
; COMPUTE_PGM_RSRC3_GFX90A:TG_SPLIT: 0
	.section	.text._ZN7rocprim17ROCPRIM_400000_NS6detail17trampoline_kernelINS0_14default_configENS1_38merge_sort_block_merge_config_selectorIxNS0_10empty_typeEEEZZNS1_27merge_sort_block_merge_implIS3_PxPS5_jNS1_19radix_merge_compareILb1ELb0ExNS0_19identity_decomposerEEEEE10hipError_tT0_T1_T2_jT3_P12ihipStream_tbPNSt15iterator_traitsISE_E10value_typeEPNSK_ISF_E10value_typeEPSG_NS1_7vsmem_tEENKUlT_SE_SF_SG_E_clIS8_S8_S9_S9_EESD_ST_SE_SF_SG_EUlST_E0_NS1_11comp_targetILNS1_3genE8ELNS1_11target_archE1030ELNS1_3gpuE2ELNS1_3repE0EEENS1_38merge_mergepath_config_static_selectorELNS0_4arch9wavefront6targetE1EEEvSF_,"axG",@progbits,_ZN7rocprim17ROCPRIM_400000_NS6detail17trampoline_kernelINS0_14default_configENS1_38merge_sort_block_merge_config_selectorIxNS0_10empty_typeEEEZZNS1_27merge_sort_block_merge_implIS3_PxPS5_jNS1_19radix_merge_compareILb1ELb0ExNS0_19identity_decomposerEEEEE10hipError_tT0_T1_T2_jT3_P12ihipStream_tbPNSt15iterator_traitsISE_E10value_typeEPNSK_ISF_E10value_typeEPSG_NS1_7vsmem_tEENKUlT_SE_SF_SG_E_clIS8_S8_S9_S9_EESD_ST_SE_SF_SG_EUlST_E0_NS1_11comp_targetILNS1_3genE8ELNS1_11target_archE1030ELNS1_3gpuE2ELNS1_3repE0EEENS1_38merge_mergepath_config_static_selectorELNS0_4arch9wavefront6targetE1EEEvSF_,comdat
	.protected	_ZN7rocprim17ROCPRIM_400000_NS6detail17trampoline_kernelINS0_14default_configENS1_38merge_sort_block_merge_config_selectorIxNS0_10empty_typeEEEZZNS1_27merge_sort_block_merge_implIS3_PxPS5_jNS1_19radix_merge_compareILb1ELb0ExNS0_19identity_decomposerEEEEE10hipError_tT0_T1_T2_jT3_P12ihipStream_tbPNSt15iterator_traitsISE_E10value_typeEPNSK_ISF_E10value_typeEPSG_NS1_7vsmem_tEENKUlT_SE_SF_SG_E_clIS8_S8_S9_S9_EESD_ST_SE_SF_SG_EUlST_E0_NS1_11comp_targetILNS1_3genE8ELNS1_11target_archE1030ELNS1_3gpuE2ELNS1_3repE0EEENS1_38merge_mergepath_config_static_selectorELNS0_4arch9wavefront6targetE1EEEvSF_ ; -- Begin function _ZN7rocprim17ROCPRIM_400000_NS6detail17trampoline_kernelINS0_14default_configENS1_38merge_sort_block_merge_config_selectorIxNS0_10empty_typeEEEZZNS1_27merge_sort_block_merge_implIS3_PxPS5_jNS1_19radix_merge_compareILb1ELb0ExNS0_19identity_decomposerEEEEE10hipError_tT0_T1_T2_jT3_P12ihipStream_tbPNSt15iterator_traitsISE_E10value_typeEPNSK_ISF_E10value_typeEPSG_NS1_7vsmem_tEENKUlT_SE_SF_SG_E_clIS8_S8_S9_S9_EESD_ST_SE_SF_SG_EUlST_E0_NS1_11comp_targetILNS1_3genE8ELNS1_11target_archE1030ELNS1_3gpuE2ELNS1_3repE0EEENS1_38merge_mergepath_config_static_selectorELNS0_4arch9wavefront6targetE1EEEvSF_
	.globl	_ZN7rocprim17ROCPRIM_400000_NS6detail17trampoline_kernelINS0_14default_configENS1_38merge_sort_block_merge_config_selectorIxNS0_10empty_typeEEEZZNS1_27merge_sort_block_merge_implIS3_PxPS5_jNS1_19radix_merge_compareILb1ELb0ExNS0_19identity_decomposerEEEEE10hipError_tT0_T1_T2_jT3_P12ihipStream_tbPNSt15iterator_traitsISE_E10value_typeEPNSK_ISF_E10value_typeEPSG_NS1_7vsmem_tEENKUlT_SE_SF_SG_E_clIS8_S8_S9_S9_EESD_ST_SE_SF_SG_EUlST_E0_NS1_11comp_targetILNS1_3genE8ELNS1_11target_archE1030ELNS1_3gpuE2ELNS1_3repE0EEENS1_38merge_mergepath_config_static_selectorELNS0_4arch9wavefront6targetE1EEEvSF_
	.p2align	8
	.type	_ZN7rocprim17ROCPRIM_400000_NS6detail17trampoline_kernelINS0_14default_configENS1_38merge_sort_block_merge_config_selectorIxNS0_10empty_typeEEEZZNS1_27merge_sort_block_merge_implIS3_PxPS5_jNS1_19radix_merge_compareILb1ELb0ExNS0_19identity_decomposerEEEEE10hipError_tT0_T1_T2_jT3_P12ihipStream_tbPNSt15iterator_traitsISE_E10value_typeEPNSK_ISF_E10value_typeEPSG_NS1_7vsmem_tEENKUlT_SE_SF_SG_E_clIS8_S8_S9_S9_EESD_ST_SE_SF_SG_EUlST_E0_NS1_11comp_targetILNS1_3genE8ELNS1_11target_archE1030ELNS1_3gpuE2ELNS1_3repE0EEENS1_38merge_mergepath_config_static_selectorELNS0_4arch9wavefront6targetE1EEEvSF_,@function
_ZN7rocprim17ROCPRIM_400000_NS6detail17trampoline_kernelINS0_14default_configENS1_38merge_sort_block_merge_config_selectorIxNS0_10empty_typeEEEZZNS1_27merge_sort_block_merge_implIS3_PxPS5_jNS1_19radix_merge_compareILb1ELb0ExNS0_19identity_decomposerEEEEE10hipError_tT0_T1_T2_jT3_P12ihipStream_tbPNSt15iterator_traitsISE_E10value_typeEPNSK_ISF_E10value_typeEPSG_NS1_7vsmem_tEENKUlT_SE_SF_SG_E_clIS8_S8_S9_S9_EESD_ST_SE_SF_SG_EUlST_E0_NS1_11comp_targetILNS1_3genE8ELNS1_11target_archE1030ELNS1_3gpuE2ELNS1_3repE0EEENS1_38merge_mergepath_config_static_selectorELNS0_4arch9wavefront6targetE1EEEvSF_: ; @_ZN7rocprim17ROCPRIM_400000_NS6detail17trampoline_kernelINS0_14default_configENS1_38merge_sort_block_merge_config_selectorIxNS0_10empty_typeEEEZZNS1_27merge_sort_block_merge_implIS3_PxPS5_jNS1_19radix_merge_compareILb1ELb0ExNS0_19identity_decomposerEEEEE10hipError_tT0_T1_T2_jT3_P12ihipStream_tbPNSt15iterator_traitsISE_E10value_typeEPNSK_ISF_E10value_typeEPSG_NS1_7vsmem_tEENKUlT_SE_SF_SG_E_clIS8_S8_S9_S9_EESD_ST_SE_SF_SG_EUlST_E0_NS1_11comp_targetILNS1_3genE8ELNS1_11target_archE1030ELNS1_3gpuE2ELNS1_3repE0EEENS1_38merge_mergepath_config_static_selectorELNS0_4arch9wavefront6targetE1EEEvSF_
; %bb.0:
	.section	.rodata,"a",@progbits
	.p2align	6, 0x0
	.amdhsa_kernel _ZN7rocprim17ROCPRIM_400000_NS6detail17trampoline_kernelINS0_14default_configENS1_38merge_sort_block_merge_config_selectorIxNS0_10empty_typeEEEZZNS1_27merge_sort_block_merge_implIS3_PxPS5_jNS1_19radix_merge_compareILb1ELb0ExNS0_19identity_decomposerEEEEE10hipError_tT0_T1_T2_jT3_P12ihipStream_tbPNSt15iterator_traitsISE_E10value_typeEPNSK_ISF_E10value_typeEPSG_NS1_7vsmem_tEENKUlT_SE_SF_SG_E_clIS8_S8_S9_S9_EESD_ST_SE_SF_SG_EUlST_E0_NS1_11comp_targetILNS1_3genE8ELNS1_11target_archE1030ELNS1_3gpuE2ELNS1_3repE0EEENS1_38merge_mergepath_config_static_selectorELNS0_4arch9wavefront6targetE1EEEvSF_
		.amdhsa_group_segment_fixed_size 0
		.amdhsa_private_segment_fixed_size 0
		.amdhsa_kernarg_size 64
		.amdhsa_user_sgpr_count 6
		.amdhsa_user_sgpr_private_segment_buffer 1
		.amdhsa_user_sgpr_dispatch_ptr 0
		.amdhsa_user_sgpr_queue_ptr 0
		.amdhsa_user_sgpr_kernarg_segment_ptr 1
		.amdhsa_user_sgpr_dispatch_id 0
		.amdhsa_user_sgpr_flat_scratch_init 0
		.amdhsa_user_sgpr_kernarg_preload_length 0
		.amdhsa_user_sgpr_kernarg_preload_offset 0
		.amdhsa_user_sgpr_private_segment_size 0
		.amdhsa_uses_dynamic_stack 0
		.amdhsa_system_sgpr_private_segment_wavefront_offset 0
		.amdhsa_system_sgpr_workgroup_id_x 1
		.amdhsa_system_sgpr_workgroup_id_y 0
		.amdhsa_system_sgpr_workgroup_id_z 0
		.amdhsa_system_sgpr_workgroup_info 0
		.amdhsa_system_vgpr_workitem_id 0
		.amdhsa_next_free_vgpr 1
		.amdhsa_next_free_sgpr 0
		.amdhsa_accum_offset 4
		.amdhsa_reserve_vcc 0
		.amdhsa_reserve_flat_scratch 0
		.amdhsa_float_round_mode_32 0
		.amdhsa_float_round_mode_16_64 0
		.amdhsa_float_denorm_mode_32 3
		.amdhsa_float_denorm_mode_16_64 3
		.amdhsa_dx10_clamp 1
		.amdhsa_ieee_mode 1
		.amdhsa_fp16_overflow 0
		.amdhsa_tg_split 0
		.amdhsa_exception_fp_ieee_invalid_op 0
		.amdhsa_exception_fp_denorm_src 0
		.amdhsa_exception_fp_ieee_div_zero 0
		.amdhsa_exception_fp_ieee_overflow 0
		.amdhsa_exception_fp_ieee_underflow 0
		.amdhsa_exception_fp_ieee_inexact 0
		.amdhsa_exception_int_div_zero 0
	.end_amdhsa_kernel
	.section	.text._ZN7rocprim17ROCPRIM_400000_NS6detail17trampoline_kernelINS0_14default_configENS1_38merge_sort_block_merge_config_selectorIxNS0_10empty_typeEEEZZNS1_27merge_sort_block_merge_implIS3_PxPS5_jNS1_19radix_merge_compareILb1ELb0ExNS0_19identity_decomposerEEEEE10hipError_tT0_T1_T2_jT3_P12ihipStream_tbPNSt15iterator_traitsISE_E10value_typeEPNSK_ISF_E10value_typeEPSG_NS1_7vsmem_tEENKUlT_SE_SF_SG_E_clIS8_S8_S9_S9_EESD_ST_SE_SF_SG_EUlST_E0_NS1_11comp_targetILNS1_3genE8ELNS1_11target_archE1030ELNS1_3gpuE2ELNS1_3repE0EEENS1_38merge_mergepath_config_static_selectorELNS0_4arch9wavefront6targetE1EEEvSF_,"axG",@progbits,_ZN7rocprim17ROCPRIM_400000_NS6detail17trampoline_kernelINS0_14default_configENS1_38merge_sort_block_merge_config_selectorIxNS0_10empty_typeEEEZZNS1_27merge_sort_block_merge_implIS3_PxPS5_jNS1_19radix_merge_compareILb1ELb0ExNS0_19identity_decomposerEEEEE10hipError_tT0_T1_T2_jT3_P12ihipStream_tbPNSt15iterator_traitsISE_E10value_typeEPNSK_ISF_E10value_typeEPSG_NS1_7vsmem_tEENKUlT_SE_SF_SG_E_clIS8_S8_S9_S9_EESD_ST_SE_SF_SG_EUlST_E0_NS1_11comp_targetILNS1_3genE8ELNS1_11target_archE1030ELNS1_3gpuE2ELNS1_3repE0EEENS1_38merge_mergepath_config_static_selectorELNS0_4arch9wavefront6targetE1EEEvSF_,comdat
.Lfunc_end2333:
	.size	_ZN7rocprim17ROCPRIM_400000_NS6detail17trampoline_kernelINS0_14default_configENS1_38merge_sort_block_merge_config_selectorIxNS0_10empty_typeEEEZZNS1_27merge_sort_block_merge_implIS3_PxPS5_jNS1_19radix_merge_compareILb1ELb0ExNS0_19identity_decomposerEEEEE10hipError_tT0_T1_T2_jT3_P12ihipStream_tbPNSt15iterator_traitsISE_E10value_typeEPNSK_ISF_E10value_typeEPSG_NS1_7vsmem_tEENKUlT_SE_SF_SG_E_clIS8_S8_S9_S9_EESD_ST_SE_SF_SG_EUlST_E0_NS1_11comp_targetILNS1_3genE8ELNS1_11target_archE1030ELNS1_3gpuE2ELNS1_3repE0EEENS1_38merge_mergepath_config_static_selectorELNS0_4arch9wavefront6targetE1EEEvSF_, .Lfunc_end2333-_ZN7rocprim17ROCPRIM_400000_NS6detail17trampoline_kernelINS0_14default_configENS1_38merge_sort_block_merge_config_selectorIxNS0_10empty_typeEEEZZNS1_27merge_sort_block_merge_implIS3_PxPS5_jNS1_19radix_merge_compareILb1ELb0ExNS0_19identity_decomposerEEEEE10hipError_tT0_T1_T2_jT3_P12ihipStream_tbPNSt15iterator_traitsISE_E10value_typeEPNSK_ISF_E10value_typeEPSG_NS1_7vsmem_tEENKUlT_SE_SF_SG_E_clIS8_S8_S9_S9_EESD_ST_SE_SF_SG_EUlST_E0_NS1_11comp_targetILNS1_3genE8ELNS1_11target_archE1030ELNS1_3gpuE2ELNS1_3repE0EEENS1_38merge_mergepath_config_static_selectorELNS0_4arch9wavefront6targetE1EEEvSF_
                                        ; -- End function
	.section	.AMDGPU.csdata,"",@progbits
; Kernel info:
; codeLenInByte = 0
; NumSgprs: 4
; NumVgprs: 0
; NumAgprs: 0
; TotalNumVgprs: 0
; ScratchSize: 0
; MemoryBound: 0
; FloatMode: 240
; IeeeMode: 1
; LDSByteSize: 0 bytes/workgroup (compile time only)
; SGPRBlocks: 0
; VGPRBlocks: 0
; NumSGPRsForWavesPerEU: 4
; NumVGPRsForWavesPerEU: 1
; AccumOffset: 4
; Occupancy: 8
; WaveLimiterHint : 0
; COMPUTE_PGM_RSRC2:SCRATCH_EN: 0
; COMPUTE_PGM_RSRC2:USER_SGPR: 6
; COMPUTE_PGM_RSRC2:TRAP_HANDLER: 0
; COMPUTE_PGM_RSRC2:TGID_X_EN: 1
; COMPUTE_PGM_RSRC2:TGID_Y_EN: 0
; COMPUTE_PGM_RSRC2:TGID_Z_EN: 0
; COMPUTE_PGM_RSRC2:TIDIG_COMP_CNT: 0
; COMPUTE_PGM_RSRC3_GFX90A:ACCUM_OFFSET: 0
; COMPUTE_PGM_RSRC3_GFX90A:TG_SPLIT: 0
	.section	.text._ZN7rocprim17ROCPRIM_400000_NS6detail17trampoline_kernelINS0_14default_configENS1_38merge_sort_block_merge_config_selectorIxNS0_10empty_typeEEEZZNS1_27merge_sort_block_merge_implIS3_PxPS5_jNS1_19radix_merge_compareILb1ELb0ExNS0_19identity_decomposerEEEEE10hipError_tT0_T1_T2_jT3_P12ihipStream_tbPNSt15iterator_traitsISE_E10value_typeEPNSK_ISF_E10value_typeEPSG_NS1_7vsmem_tEENKUlT_SE_SF_SG_E_clIS8_S8_S9_S9_EESD_ST_SE_SF_SG_EUlST_E1_NS1_11comp_targetILNS1_3genE0ELNS1_11target_archE4294967295ELNS1_3gpuE0ELNS1_3repE0EEENS1_36merge_oddeven_config_static_selectorELNS0_4arch9wavefront6targetE1EEEvSF_,"axG",@progbits,_ZN7rocprim17ROCPRIM_400000_NS6detail17trampoline_kernelINS0_14default_configENS1_38merge_sort_block_merge_config_selectorIxNS0_10empty_typeEEEZZNS1_27merge_sort_block_merge_implIS3_PxPS5_jNS1_19radix_merge_compareILb1ELb0ExNS0_19identity_decomposerEEEEE10hipError_tT0_T1_T2_jT3_P12ihipStream_tbPNSt15iterator_traitsISE_E10value_typeEPNSK_ISF_E10value_typeEPSG_NS1_7vsmem_tEENKUlT_SE_SF_SG_E_clIS8_S8_S9_S9_EESD_ST_SE_SF_SG_EUlST_E1_NS1_11comp_targetILNS1_3genE0ELNS1_11target_archE4294967295ELNS1_3gpuE0ELNS1_3repE0EEENS1_36merge_oddeven_config_static_selectorELNS0_4arch9wavefront6targetE1EEEvSF_,comdat
	.protected	_ZN7rocprim17ROCPRIM_400000_NS6detail17trampoline_kernelINS0_14default_configENS1_38merge_sort_block_merge_config_selectorIxNS0_10empty_typeEEEZZNS1_27merge_sort_block_merge_implIS3_PxPS5_jNS1_19radix_merge_compareILb1ELb0ExNS0_19identity_decomposerEEEEE10hipError_tT0_T1_T2_jT3_P12ihipStream_tbPNSt15iterator_traitsISE_E10value_typeEPNSK_ISF_E10value_typeEPSG_NS1_7vsmem_tEENKUlT_SE_SF_SG_E_clIS8_S8_S9_S9_EESD_ST_SE_SF_SG_EUlST_E1_NS1_11comp_targetILNS1_3genE0ELNS1_11target_archE4294967295ELNS1_3gpuE0ELNS1_3repE0EEENS1_36merge_oddeven_config_static_selectorELNS0_4arch9wavefront6targetE1EEEvSF_ ; -- Begin function _ZN7rocprim17ROCPRIM_400000_NS6detail17trampoline_kernelINS0_14default_configENS1_38merge_sort_block_merge_config_selectorIxNS0_10empty_typeEEEZZNS1_27merge_sort_block_merge_implIS3_PxPS5_jNS1_19radix_merge_compareILb1ELb0ExNS0_19identity_decomposerEEEEE10hipError_tT0_T1_T2_jT3_P12ihipStream_tbPNSt15iterator_traitsISE_E10value_typeEPNSK_ISF_E10value_typeEPSG_NS1_7vsmem_tEENKUlT_SE_SF_SG_E_clIS8_S8_S9_S9_EESD_ST_SE_SF_SG_EUlST_E1_NS1_11comp_targetILNS1_3genE0ELNS1_11target_archE4294967295ELNS1_3gpuE0ELNS1_3repE0EEENS1_36merge_oddeven_config_static_selectorELNS0_4arch9wavefront6targetE1EEEvSF_
	.globl	_ZN7rocprim17ROCPRIM_400000_NS6detail17trampoline_kernelINS0_14default_configENS1_38merge_sort_block_merge_config_selectorIxNS0_10empty_typeEEEZZNS1_27merge_sort_block_merge_implIS3_PxPS5_jNS1_19radix_merge_compareILb1ELb0ExNS0_19identity_decomposerEEEEE10hipError_tT0_T1_T2_jT3_P12ihipStream_tbPNSt15iterator_traitsISE_E10value_typeEPNSK_ISF_E10value_typeEPSG_NS1_7vsmem_tEENKUlT_SE_SF_SG_E_clIS8_S8_S9_S9_EESD_ST_SE_SF_SG_EUlST_E1_NS1_11comp_targetILNS1_3genE0ELNS1_11target_archE4294967295ELNS1_3gpuE0ELNS1_3repE0EEENS1_36merge_oddeven_config_static_selectorELNS0_4arch9wavefront6targetE1EEEvSF_
	.p2align	8
	.type	_ZN7rocprim17ROCPRIM_400000_NS6detail17trampoline_kernelINS0_14default_configENS1_38merge_sort_block_merge_config_selectorIxNS0_10empty_typeEEEZZNS1_27merge_sort_block_merge_implIS3_PxPS5_jNS1_19radix_merge_compareILb1ELb0ExNS0_19identity_decomposerEEEEE10hipError_tT0_T1_T2_jT3_P12ihipStream_tbPNSt15iterator_traitsISE_E10value_typeEPNSK_ISF_E10value_typeEPSG_NS1_7vsmem_tEENKUlT_SE_SF_SG_E_clIS8_S8_S9_S9_EESD_ST_SE_SF_SG_EUlST_E1_NS1_11comp_targetILNS1_3genE0ELNS1_11target_archE4294967295ELNS1_3gpuE0ELNS1_3repE0EEENS1_36merge_oddeven_config_static_selectorELNS0_4arch9wavefront6targetE1EEEvSF_,@function
_ZN7rocprim17ROCPRIM_400000_NS6detail17trampoline_kernelINS0_14default_configENS1_38merge_sort_block_merge_config_selectorIxNS0_10empty_typeEEEZZNS1_27merge_sort_block_merge_implIS3_PxPS5_jNS1_19radix_merge_compareILb1ELb0ExNS0_19identity_decomposerEEEEE10hipError_tT0_T1_T2_jT3_P12ihipStream_tbPNSt15iterator_traitsISE_E10value_typeEPNSK_ISF_E10value_typeEPSG_NS1_7vsmem_tEENKUlT_SE_SF_SG_E_clIS8_S8_S9_S9_EESD_ST_SE_SF_SG_EUlST_E1_NS1_11comp_targetILNS1_3genE0ELNS1_11target_archE4294967295ELNS1_3gpuE0ELNS1_3repE0EEENS1_36merge_oddeven_config_static_selectorELNS0_4arch9wavefront6targetE1EEEvSF_: ; @_ZN7rocprim17ROCPRIM_400000_NS6detail17trampoline_kernelINS0_14default_configENS1_38merge_sort_block_merge_config_selectorIxNS0_10empty_typeEEEZZNS1_27merge_sort_block_merge_implIS3_PxPS5_jNS1_19radix_merge_compareILb1ELb0ExNS0_19identity_decomposerEEEEE10hipError_tT0_T1_T2_jT3_P12ihipStream_tbPNSt15iterator_traitsISE_E10value_typeEPNSK_ISF_E10value_typeEPSG_NS1_7vsmem_tEENKUlT_SE_SF_SG_E_clIS8_S8_S9_S9_EESD_ST_SE_SF_SG_EUlST_E1_NS1_11comp_targetILNS1_3genE0ELNS1_11target_archE4294967295ELNS1_3gpuE0ELNS1_3repE0EEENS1_36merge_oddeven_config_static_selectorELNS0_4arch9wavefront6targetE1EEEvSF_
; %bb.0:
	.section	.rodata,"a",@progbits
	.p2align	6, 0x0
	.amdhsa_kernel _ZN7rocprim17ROCPRIM_400000_NS6detail17trampoline_kernelINS0_14default_configENS1_38merge_sort_block_merge_config_selectorIxNS0_10empty_typeEEEZZNS1_27merge_sort_block_merge_implIS3_PxPS5_jNS1_19radix_merge_compareILb1ELb0ExNS0_19identity_decomposerEEEEE10hipError_tT0_T1_T2_jT3_P12ihipStream_tbPNSt15iterator_traitsISE_E10value_typeEPNSK_ISF_E10value_typeEPSG_NS1_7vsmem_tEENKUlT_SE_SF_SG_E_clIS8_S8_S9_S9_EESD_ST_SE_SF_SG_EUlST_E1_NS1_11comp_targetILNS1_3genE0ELNS1_11target_archE4294967295ELNS1_3gpuE0ELNS1_3repE0EEENS1_36merge_oddeven_config_static_selectorELNS0_4arch9wavefront6targetE1EEEvSF_
		.amdhsa_group_segment_fixed_size 0
		.amdhsa_private_segment_fixed_size 0
		.amdhsa_kernarg_size 48
		.amdhsa_user_sgpr_count 6
		.amdhsa_user_sgpr_private_segment_buffer 1
		.amdhsa_user_sgpr_dispatch_ptr 0
		.amdhsa_user_sgpr_queue_ptr 0
		.amdhsa_user_sgpr_kernarg_segment_ptr 1
		.amdhsa_user_sgpr_dispatch_id 0
		.amdhsa_user_sgpr_flat_scratch_init 0
		.amdhsa_user_sgpr_kernarg_preload_length 0
		.amdhsa_user_sgpr_kernarg_preload_offset 0
		.amdhsa_user_sgpr_private_segment_size 0
		.amdhsa_uses_dynamic_stack 0
		.amdhsa_system_sgpr_private_segment_wavefront_offset 0
		.amdhsa_system_sgpr_workgroup_id_x 1
		.amdhsa_system_sgpr_workgroup_id_y 0
		.amdhsa_system_sgpr_workgroup_id_z 0
		.amdhsa_system_sgpr_workgroup_info 0
		.amdhsa_system_vgpr_workitem_id 0
		.amdhsa_next_free_vgpr 1
		.amdhsa_next_free_sgpr 0
		.amdhsa_accum_offset 4
		.amdhsa_reserve_vcc 0
		.amdhsa_reserve_flat_scratch 0
		.amdhsa_float_round_mode_32 0
		.amdhsa_float_round_mode_16_64 0
		.amdhsa_float_denorm_mode_32 3
		.amdhsa_float_denorm_mode_16_64 3
		.amdhsa_dx10_clamp 1
		.amdhsa_ieee_mode 1
		.amdhsa_fp16_overflow 0
		.amdhsa_tg_split 0
		.amdhsa_exception_fp_ieee_invalid_op 0
		.amdhsa_exception_fp_denorm_src 0
		.amdhsa_exception_fp_ieee_div_zero 0
		.amdhsa_exception_fp_ieee_overflow 0
		.amdhsa_exception_fp_ieee_underflow 0
		.amdhsa_exception_fp_ieee_inexact 0
		.amdhsa_exception_int_div_zero 0
	.end_amdhsa_kernel
	.section	.text._ZN7rocprim17ROCPRIM_400000_NS6detail17trampoline_kernelINS0_14default_configENS1_38merge_sort_block_merge_config_selectorIxNS0_10empty_typeEEEZZNS1_27merge_sort_block_merge_implIS3_PxPS5_jNS1_19radix_merge_compareILb1ELb0ExNS0_19identity_decomposerEEEEE10hipError_tT0_T1_T2_jT3_P12ihipStream_tbPNSt15iterator_traitsISE_E10value_typeEPNSK_ISF_E10value_typeEPSG_NS1_7vsmem_tEENKUlT_SE_SF_SG_E_clIS8_S8_S9_S9_EESD_ST_SE_SF_SG_EUlST_E1_NS1_11comp_targetILNS1_3genE0ELNS1_11target_archE4294967295ELNS1_3gpuE0ELNS1_3repE0EEENS1_36merge_oddeven_config_static_selectorELNS0_4arch9wavefront6targetE1EEEvSF_,"axG",@progbits,_ZN7rocprim17ROCPRIM_400000_NS6detail17trampoline_kernelINS0_14default_configENS1_38merge_sort_block_merge_config_selectorIxNS0_10empty_typeEEEZZNS1_27merge_sort_block_merge_implIS3_PxPS5_jNS1_19radix_merge_compareILb1ELb0ExNS0_19identity_decomposerEEEEE10hipError_tT0_T1_T2_jT3_P12ihipStream_tbPNSt15iterator_traitsISE_E10value_typeEPNSK_ISF_E10value_typeEPSG_NS1_7vsmem_tEENKUlT_SE_SF_SG_E_clIS8_S8_S9_S9_EESD_ST_SE_SF_SG_EUlST_E1_NS1_11comp_targetILNS1_3genE0ELNS1_11target_archE4294967295ELNS1_3gpuE0ELNS1_3repE0EEENS1_36merge_oddeven_config_static_selectorELNS0_4arch9wavefront6targetE1EEEvSF_,comdat
.Lfunc_end2334:
	.size	_ZN7rocprim17ROCPRIM_400000_NS6detail17trampoline_kernelINS0_14default_configENS1_38merge_sort_block_merge_config_selectorIxNS0_10empty_typeEEEZZNS1_27merge_sort_block_merge_implIS3_PxPS5_jNS1_19radix_merge_compareILb1ELb0ExNS0_19identity_decomposerEEEEE10hipError_tT0_T1_T2_jT3_P12ihipStream_tbPNSt15iterator_traitsISE_E10value_typeEPNSK_ISF_E10value_typeEPSG_NS1_7vsmem_tEENKUlT_SE_SF_SG_E_clIS8_S8_S9_S9_EESD_ST_SE_SF_SG_EUlST_E1_NS1_11comp_targetILNS1_3genE0ELNS1_11target_archE4294967295ELNS1_3gpuE0ELNS1_3repE0EEENS1_36merge_oddeven_config_static_selectorELNS0_4arch9wavefront6targetE1EEEvSF_, .Lfunc_end2334-_ZN7rocprim17ROCPRIM_400000_NS6detail17trampoline_kernelINS0_14default_configENS1_38merge_sort_block_merge_config_selectorIxNS0_10empty_typeEEEZZNS1_27merge_sort_block_merge_implIS3_PxPS5_jNS1_19radix_merge_compareILb1ELb0ExNS0_19identity_decomposerEEEEE10hipError_tT0_T1_T2_jT3_P12ihipStream_tbPNSt15iterator_traitsISE_E10value_typeEPNSK_ISF_E10value_typeEPSG_NS1_7vsmem_tEENKUlT_SE_SF_SG_E_clIS8_S8_S9_S9_EESD_ST_SE_SF_SG_EUlST_E1_NS1_11comp_targetILNS1_3genE0ELNS1_11target_archE4294967295ELNS1_3gpuE0ELNS1_3repE0EEENS1_36merge_oddeven_config_static_selectorELNS0_4arch9wavefront6targetE1EEEvSF_
                                        ; -- End function
	.section	.AMDGPU.csdata,"",@progbits
; Kernel info:
; codeLenInByte = 0
; NumSgprs: 4
; NumVgprs: 0
; NumAgprs: 0
; TotalNumVgprs: 0
; ScratchSize: 0
; MemoryBound: 0
; FloatMode: 240
; IeeeMode: 1
; LDSByteSize: 0 bytes/workgroup (compile time only)
; SGPRBlocks: 0
; VGPRBlocks: 0
; NumSGPRsForWavesPerEU: 4
; NumVGPRsForWavesPerEU: 1
; AccumOffset: 4
; Occupancy: 8
; WaveLimiterHint : 0
; COMPUTE_PGM_RSRC2:SCRATCH_EN: 0
; COMPUTE_PGM_RSRC2:USER_SGPR: 6
; COMPUTE_PGM_RSRC2:TRAP_HANDLER: 0
; COMPUTE_PGM_RSRC2:TGID_X_EN: 1
; COMPUTE_PGM_RSRC2:TGID_Y_EN: 0
; COMPUTE_PGM_RSRC2:TGID_Z_EN: 0
; COMPUTE_PGM_RSRC2:TIDIG_COMP_CNT: 0
; COMPUTE_PGM_RSRC3_GFX90A:ACCUM_OFFSET: 0
; COMPUTE_PGM_RSRC3_GFX90A:TG_SPLIT: 0
	.section	.text._ZN7rocprim17ROCPRIM_400000_NS6detail17trampoline_kernelINS0_14default_configENS1_38merge_sort_block_merge_config_selectorIxNS0_10empty_typeEEEZZNS1_27merge_sort_block_merge_implIS3_PxPS5_jNS1_19radix_merge_compareILb1ELb0ExNS0_19identity_decomposerEEEEE10hipError_tT0_T1_T2_jT3_P12ihipStream_tbPNSt15iterator_traitsISE_E10value_typeEPNSK_ISF_E10value_typeEPSG_NS1_7vsmem_tEENKUlT_SE_SF_SG_E_clIS8_S8_S9_S9_EESD_ST_SE_SF_SG_EUlST_E1_NS1_11comp_targetILNS1_3genE10ELNS1_11target_archE1201ELNS1_3gpuE5ELNS1_3repE0EEENS1_36merge_oddeven_config_static_selectorELNS0_4arch9wavefront6targetE1EEEvSF_,"axG",@progbits,_ZN7rocprim17ROCPRIM_400000_NS6detail17trampoline_kernelINS0_14default_configENS1_38merge_sort_block_merge_config_selectorIxNS0_10empty_typeEEEZZNS1_27merge_sort_block_merge_implIS3_PxPS5_jNS1_19radix_merge_compareILb1ELb0ExNS0_19identity_decomposerEEEEE10hipError_tT0_T1_T2_jT3_P12ihipStream_tbPNSt15iterator_traitsISE_E10value_typeEPNSK_ISF_E10value_typeEPSG_NS1_7vsmem_tEENKUlT_SE_SF_SG_E_clIS8_S8_S9_S9_EESD_ST_SE_SF_SG_EUlST_E1_NS1_11comp_targetILNS1_3genE10ELNS1_11target_archE1201ELNS1_3gpuE5ELNS1_3repE0EEENS1_36merge_oddeven_config_static_selectorELNS0_4arch9wavefront6targetE1EEEvSF_,comdat
	.protected	_ZN7rocprim17ROCPRIM_400000_NS6detail17trampoline_kernelINS0_14default_configENS1_38merge_sort_block_merge_config_selectorIxNS0_10empty_typeEEEZZNS1_27merge_sort_block_merge_implIS3_PxPS5_jNS1_19radix_merge_compareILb1ELb0ExNS0_19identity_decomposerEEEEE10hipError_tT0_T1_T2_jT3_P12ihipStream_tbPNSt15iterator_traitsISE_E10value_typeEPNSK_ISF_E10value_typeEPSG_NS1_7vsmem_tEENKUlT_SE_SF_SG_E_clIS8_S8_S9_S9_EESD_ST_SE_SF_SG_EUlST_E1_NS1_11comp_targetILNS1_3genE10ELNS1_11target_archE1201ELNS1_3gpuE5ELNS1_3repE0EEENS1_36merge_oddeven_config_static_selectorELNS0_4arch9wavefront6targetE1EEEvSF_ ; -- Begin function _ZN7rocprim17ROCPRIM_400000_NS6detail17trampoline_kernelINS0_14default_configENS1_38merge_sort_block_merge_config_selectorIxNS0_10empty_typeEEEZZNS1_27merge_sort_block_merge_implIS3_PxPS5_jNS1_19radix_merge_compareILb1ELb0ExNS0_19identity_decomposerEEEEE10hipError_tT0_T1_T2_jT3_P12ihipStream_tbPNSt15iterator_traitsISE_E10value_typeEPNSK_ISF_E10value_typeEPSG_NS1_7vsmem_tEENKUlT_SE_SF_SG_E_clIS8_S8_S9_S9_EESD_ST_SE_SF_SG_EUlST_E1_NS1_11comp_targetILNS1_3genE10ELNS1_11target_archE1201ELNS1_3gpuE5ELNS1_3repE0EEENS1_36merge_oddeven_config_static_selectorELNS0_4arch9wavefront6targetE1EEEvSF_
	.globl	_ZN7rocprim17ROCPRIM_400000_NS6detail17trampoline_kernelINS0_14default_configENS1_38merge_sort_block_merge_config_selectorIxNS0_10empty_typeEEEZZNS1_27merge_sort_block_merge_implIS3_PxPS5_jNS1_19radix_merge_compareILb1ELb0ExNS0_19identity_decomposerEEEEE10hipError_tT0_T1_T2_jT3_P12ihipStream_tbPNSt15iterator_traitsISE_E10value_typeEPNSK_ISF_E10value_typeEPSG_NS1_7vsmem_tEENKUlT_SE_SF_SG_E_clIS8_S8_S9_S9_EESD_ST_SE_SF_SG_EUlST_E1_NS1_11comp_targetILNS1_3genE10ELNS1_11target_archE1201ELNS1_3gpuE5ELNS1_3repE0EEENS1_36merge_oddeven_config_static_selectorELNS0_4arch9wavefront6targetE1EEEvSF_
	.p2align	8
	.type	_ZN7rocprim17ROCPRIM_400000_NS6detail17trampoline_kernelINS0_14default_configENS1_38merge_sort_block_merge_config_selectorIxNS0_10empty_typeEEEZZNS1_27merge_sort_block_merge_implIS3_PxPS5_jNS1_19radix_merge_compareILb1ELb0ExNS0_19identity_decomposerEEEEE10hipError_tT0_T1_T2_jT3_P12ihipStream_tbPNSt15iterator_traitsISE_E10value_typeEPNSK_ISF_E10value_typeEPSG_NS1_7vsmem_tEENKUlT_SE_SF_SG_E_clIS8_S8_S9_S9_EESD_ST_SE_SF_SG_EUlST_E1_NS1_11comp_targetILNS1_3genE10ELNS1_11target_archE1201ELNS1_3gpuE5ELNS1_3repE0EEENS1_36merge_oddeven_config_static_selectorELNS0_4arch9wavefront6targetE1EEEvSF_,@function
_ZN7rocprim17ROCPRIM_400000_NS6detail17trampoline_kernelINS0_14default_configENS1_38merge_sort_block_merge_config_selectorIxNS0_10empty_typeEEEZZNS1_27merge_sort_block_merge_implIS3_PxPS5_jNS1_19radix_merge_compareILb1ELb0ExNS0_19identity_decomposerEEEEE10hipError_tT0_T1_T2_jT3_P12ihipStream_tbPNSt15iterator_traitsISE_E10value_typeEPNSK_ISF_E10value_typeEPSG_NS1_7vsmem_tEENKUlT_SE_SF_SG_E_clIS8_S8_S9_S9_EESD_ST_SE_SF_SG_EUlST_E1_NS1_11comp_targetILNS1_3genE10ELNS1_11target_archE1201ELNS1_3gpuE5ELNS1_3repE0EEENS1_36merge_oddeven_config_static_selectorELNS0_4arch9wavefront6targetE1EEEvSF_: ; @_ZN7rocprim17ROCPRIM_400000_NS6detail17trampoline_kernelINS0_14default_configENS1_38merge_sort_block_merge_config_selectorIxNS0_10empty_typeEEEZZNS1_27merge_sort_block_merge_implIS3_PxPS5_jNS1_19radix_merge_compareILb1ELb0ExNS0_19identity_decomposerEEEEE10hipError_tT0_T1_T2_jT3_P12ihipStream_tbPNSt15iterator_traitsISE_E10value_typeEPNSK_ISF_E10value_typeEPSG_NS1_7vsmem_tEENKUlT_SE_SF_SG_E_clIS8_S8_S9_S9_EESD_ST_SE_SF_SG_EUlST_E1_NS1_11comp_targetILNS1_3genE10ELNS1_11target_archE1201ELNS1_3gpuE5ELNS1_3repE0EEENS1_36merge_oddeven_config_static_selectorELNS0_4arch9wavefront6targetE1EEEvSF_
; %bb.0:
	.section	.rodata,"a",@progbits
	.p2align	6, 0x0
	.amdhsa_kernel _ZN7rocprim17ROCPRIM_400000_NS6detail17trampoline_kernelINS0_14default_configENS1_38merge_sort_block_merge_config_selectorIxNS0_10empty_typeEEEZZNS1_27merge_sort_block_merge_implIS3_PxPS5_jNS1_19radix_merge_compareILb1ELb0ExNS0_19identity_decomposerEEEEE10hipError_tT0_T1_T2_jT3_P12ihipStream_tbPNSt15iterator_traitsISE_E10value_typeEPNSK_ISF_E10value_typeEPSG_NS1_7vsmem_tEENKUlT_SE_SF_SG_E_clIS8_S8_S9_S9_EESD_ST_SE_SF_SG_EUlST_E1_NS1_11comp_targetILNS1_3genE10ELNS1_11target_archE1201ELNS1_3gpuE5ELNS1_3repE0EEENS1_36merge_oddeven_config_static_selectorELNS0_4arch9wavefront6targetE1EEEvSF_
		.amdhsa_group_segment_fixed_size 0
		.amdhsa_private_segment_fixed_size 0
		.amdhsa_kernarg_size 48
		.amdhsa_user_sgpr_count 6
		.amdhsa_user_sgpr_private_segment_buffer 1
		.amdhsa_user_sgpr_dispatch_ptr 0
		.amdhsa_user_sgpr_queue_ptr 0
		.amdhsa_user_sgpr_kernarg_segment_ptr 1
		.amdhsa_user_sgpr_dispatch_id 0
		.amdhsa_user_sgpr_flat_scratch_init 0
		.amdhsa_user_sgpr_kernarg_preload_length 0
		.amdhsa_user_sgpr_kernarg_preload_offset 0
		.amdhsa_user_sgpr_private_segment_size 0
		.amdhsa_uses_dynamic_stack 0
		.amdhsa_system_sgpr_private_segment_wavefront_offset 0
		.amdhsa_system_sgpr_workgroup_id_x 1
		.amdhsa_system_sgpr_workgroup_id_y 0
		.amdhsa_system_sgpr_workgroup_id_z 0
		.amdhsa_system_sgpr_workgroup_info 0
		.amdhsa_system_vgpr_workitem_id 0
		.amdhsa_next_free_vgpr 1
		.amdhsa_next_free_sgpr 0
		.amdhsa_accum_offset 4
		.amdhsa_reserve_vcc 0
		.amdhsa_reserve_flat_scratch 0
		.amdhsa_float_round_mode_32 0
		.amdhsa_float_round_mode_16_64 0
		.amdhsa_float_denorm_mode_32 3
		.amdhsa_float_denorm_mode_16_64 3
		.amdhsa_dx10_clamp 1
		.amdhsa_ieee_mode 1
		.amdhsa_fp16_overflow 0
		.amdhsa_tg_split 0
		.amdhsa_exception_fp_ieee_invalid_op 0
		.amdhsa_exception_fp_denorm_src 0
		.amdhsa_exception_fp_ieee_div_zero 0
		.amdhsa_exception_fp_ieee_overflow 0
		.amdhsa_exception_fp_ieee_underflow 0
		.amdhsa_exception_fp_ieee_inexact 0
		.amdhsa_exception_int_div_zero 0
	.end_amdhsa_kernel
	.section	.text._ZN7rocprim17ROCPRIM_400000_NS6detail17trampoline_kernelINS0_14default_configENS1_38merge_sort_block_merge_config_selectorIxNS0_10empty_typeEEEZZNS1_27merge_sort_block_merge_implIS3_PxPS5_jNS1_19radix_merge_compareILb1ELb0ExNS0_19identity_decomposerEEEEE10hipError_tT0_T1_T2_jT3_P12ihipStream_tbPNSt15iterator_traitsISE_E10value_typeEPNSK_ISF_E10value_typeEPSG_NS1_7vsmem_tEENKUlT_SE_SF_SG_E_clIS8_S8_S9_S9_EESD_ST_SE_SF_SG_EUlST_E1_NS1_11comp_targetILNS1_3genE10ELNS1_11target_archE1201ELNS1_3gpuE5ELNS1_3repE0EEENS1_36merge_oddeven_config_static_selectorELNS0_4arch9wavefront6targetE1EEEvSF_,"axG",@progbits,_ZN7rocprim17ROCPRIM_400000_NS6detail17trampoline_kernelINS0_14default_configENS1_38merge_sort_block_merge_config_selectorIxNS0_10empty_typeEEEZZNS1_27merge_sort_block_merge_implIS3_PxPS5_jNS1_19radix_merge_compareILb1ELb0ExNS0_19identity_decomposerEEEEE10hipError_tT0_T1_T2_jT3_P12ihipStream_tbPNSt15iterator_traitsISE_E10value_typeEPNSK_ISF_E10value_typeEPSG_NS1_7vsmem_tEENKUlT_SE_SF_SG_E_clIS8_S8_S9_S9_EESD_ST_SE_SF_SG_EUlST_E1_NS1_11comp_targetILNS1_3genE10ELNS1_11target_archE1201ELNS1_3gpuE5ELNS1_3repE0EEENS1_36merge_oddeven_config_static_selectorELNS0_4arch9wavefront6targetE1EEEvSF_,comdat
.Lfunc_end2335:
	.size	_ZN7rocprim17ROCPRIM_400000_NS6detail17trampoline_kernelINS0_14default_configENS1_38merge_sort_block_merge_config_selectorIxNS0_10empty_typeEEEZZNS1_27merge_sort_block_merge_implIS3_PxPS5_jNS1_19radix_merge_compareILb1ELb0ExNS0_19identity_decomposerEEEEE10hipError_tT0_T1_T2_jT3_P12ihipStream_tbPNSt15iterator_traitsISE_E10value_typeEPNSK_ISF_E10value_typeEPSG_NS1_7vsmem_tEENKUlT_SE_SF_SG_E_clIS8_S8_S9_S9_EESD_ST_SE_SF_SG_EUlST_E1_NS1_11comp_targetILNS1_3genE10ELNS1_11target_archE1201ELNS1_3gpuE5ELNS1_3repE0EEENS1_36merge_oddeven_config_static_selectorELNS0_4arch9wavefront6targetE1EEEvSF_, .Lfunc_end2335-_ZN7rocprim17ROCPRIM_400000_NS6detail17trampoline_kernelINS0_14default_configENS1_38merge_sort_block_merge_config_selectorIxNS0_10empty_typeEEEZZNS1_27merge_sort_block_merge_implIS3_PxPS5_jNS1_19radix_merge_compareILb1ELb0ExNS0_19identity_decomposerEEEEE10hipError_tT0_T1_T2_jT3_P12ihipStream_tbPNSt15iterator_traitsISE_E10value_typeEPNSK_ISF_E10value_typeEPSG_NS1_7vsmem_tEENKUlT_SE_SF_SG_E_clIS8_S8_S9_S9_EESD_ST_SE_SF_SG_EUlST_E1_NS1_11comp_targetILNS1_3genE10ELNS1_11target_archE1201ELNS1_3gpuE5ELNS1_3repE0EEENS1_36merge_oddeven_config_static_selectorELNS0_4arch9wavefront6targetE1EEEvSF_
                                        ; -- End function
	.section	.AMDGPU.csdata,"",@progbits
; Kernel info:
; codeLenInByte = 0
; NumSgprs: 4
; NumVgprs: 0
; NumAgprs: 0
; TotalNumVgprs: 0
; ScratchSize: 0
; MemoryBound: 0
; FloatMode: 240
; IeeeMode: 1
; LDSByteSize: 0 bytes/workgroup (compile time only)
; SGPRBlocks: 0
; VGPRBlocks: 0
; NumSGPRsForWavesPerEU: 4
; NumVGPRsForWavesPerEU: 1
; AccumOffset: 4
; Occupancy: 8
; WaveLimiterHint : 0
; COMPUTE_PGM_RSRC2:SCRATCH_EN: 0
; COMPUTE_PGM_RSRC2:USER_SGPR: 6
; COMPUTE_PGM_RSRC2:TRAP_HANDLER: 0
; COMPUTE_PGM_RSRC2:TGID_X_EN: 1
; COMPUTE_PGM_RSRC2:TGID_Y_EN: 0
; COMPUTE_PGM_RSRC2:TGID_Z_EN: 0
; COMPUTE_PGM_RSRC2:TIDIG_COMP_CNT: 0
; COMPUTE_PGM_RSRC3_GFX90A:ACCUM_OFFSET: 0
; COMPUTE_PGM_RSRC3_GFX90A:TG_SPLIT: 0
	.section	.text._ZN7rocprim17ROCPRIM_400000_NS6detail17trampoline_kernelINS0_14default_configENS1_38merge_sort_block_merge_config_selectorIxNS0_10empty_typeEEEZZNS1_27merge_sort_block_merge_implIS3_PxPS5_jNS1_19radix_merge_compareILb1ELb0ExNS0_19identity_decomposerEEEEE10hipError_tT0_T1_T2_jT3_P12ihipStream_tbPNSt15iterator_traitsISE_E10value_typeEPNSK_ISF_E10value_typeEPSG_NS1_7vsmem_tEENKUlT_SE_SF_SG_E_clIS8_S8_S9_S9_EESD_ST_SE_SF_SG_EUlST_E1_NS1_11comp_targetILNS1_3genE5ELNS1_11target_archE942ELNS1_3gpuE9ELNS1_3repE0EEENS1_36merge_oddeven_config_static_selectorELNS0_4arch9wavefront6targetE1EEEvSF_,"axG",@progbits,_ZN7rocprim17ROCPRIM_400000_NS6detail17trampoline_kernelINS0_14default_configENS1_38merge_sort_block_merge_config_selectorIxNS0_10empty_typeEEEZZNS1_27merge_sort_block_merge_implIS3_PxPS5_jNS1_19radix_merge_compareILb1ELb0ExNS0_19identity_decomposerEEEEE10hipError_tT0_T1_T2_jT3_P12ihipStream_tbPNSt15iterator_traitsISE_E10value_typeEPNSK_ISF_E10value_typeEPSG_NS1_7vsmem_tEENKUlT_SE_SF_SG_E_clIS8_S8_S9_S9_EESD_ST_SE_SF_SG_EUlST_E1_NS1_11comp_targetILNS1_3genE5ELNS1_11target_archE942ELNS1_3gpuE9ELNS1_3repE0EEENS1_36merge_oddeven_config_static_selectorELNS0_4arch9wavefront6targetE1EEEvSF_,comdat
	.protected	_ZN7rocprim17ROCPRIM_400000_NS6detail17trampoline_kernelINS0_14default_configENS1_38merge_sort_block_merge_config_selectorIxNS0_10empty_typeEEEZZNS1_27merge_sort_block_merge_implIS3_PxPS5_jNS1_19radix_merge_compareILb1ELb0ExNS0_19identity_decomposerEEEEE10hipError_tT0_T1_T2_jT3_P12ihipStream_tbPNSt15iterator_traitsISE_E10value_typeEPNSK_ISF_E10value_typeEPSG_NS1_7vsmem_tEENKUlT_SE_SF_SG_E_clIS8_S8_S9_S9_EESD_ST_SE_SF_SG_EUlST_E1_NS1_11comp_targetILNS1_3genE5ELNS1_11target_archE942ELNS1_3gpuE9ELNS1_3repE0EEENS1_36merge_oddeven_config_static_selectorELNS0_4arch9wavefront6targetE1EEEvSF_ ; -- Begin function _ZN7rocprim17ROCPRIM_400000_NS6detail17trampoline_kernelINS0_14default_configENS1_38merge_sort_block_merge_config_selectorIxNS0_10empty_typeEEEZZNS1_27merge_sort_block_merge_implIS3_PxPS5_jNS1_19radix_merge_compareILb1ELb0ExNS0_19identity_decomposerEEEEE10hipError_tT0_T1_T2_jT3_P12ihipStream_tbPNSt15iterator_traitsISE_E10value_typeEPNSK_ISF_E10value_typeEPSG_NS1_7vsmem_tEENKUlT_SE_SF_SG_E_clIS8_S8_S9_S9_EESD_ST_SE_SF_SG_EUlST_E1_NS1_11comp_targetILNS1_3genE5ELNS1_11target_archE942ELNS1_3gpuE9ELNS1_3repE0EEENS1_36merge_oddeven_config_static_selectorELNS0_4arch9wavefront6targetE1EEEvSF_
	.globl	_ZN7rocprim17ROCPRIM_400000_NS6detail17trampoline_kernelINS0_14default_configENS1_38merge_sort_block_merge_config_selectorIxNS0_10empty_typeEEEZZNS1_27merge_sort_block_merge_implIS3_PxPS5_jNS1_19radix_merge_compareILb1ELb0ExNS0_19identity_decomposerEEEEE10hipError_tT0_T1_T2_jT3_P12ihipStream_tbPNSt15iterator_traitsISE_E10value_typeEPNSK_ISF_E10value_typeEPSG_NS1_7vsmem_tEENKUlT_SE_SF_SG_E_clIS8_S8_S9_S9_EESD_ST_SE_SF_SG_EUlST_E1_NS1_11comp_targetILNS1_3genE5ELNS1_11target_archE942ELNS1_3gpuE9ELNS1_3repE0EEENS1_36merge_oddeven_config_static_selectorELNS0_4arch9wavefront6targetE1EEEvSF_
	.p2align	8
	.type	_ZN7rocprim17ROCPRIM_400000_NS6detail17trampoline_kernelINS0_14default_configENS1_38merge_sort_block_merge_config_selectorIxNS0_10empty_typeEEEZZNS1_27merge_sort_block_merge_implIS3_PxPS5_jNS1_19radix_merge_compareILb1ELb0ExNS0_19identity_decomposerEEEEE10hipError_tT0_T1_T2_jT3_P12ihipStream_tbPNSt15iterator_traitsISE_E10value_typeEPNSK_ISF_E10value_typeEPSG_NS1_7vsmem_tEENKUlT_SE_SF_SG_E_clIS8_S8_S9_S9_EESD_ST_SE_SF_SG_EUlST_E1_NS1_11comp_targetILNS1_3genE5ELNS1_11target_archE942ELNS1_3gpuE9ELNS1_3repE0EEENS1_36merge_oddeven_config_static_selectorELNS0_4arch9wavefront6targetE1EEEvSF_,@function
_ZN7rocprim17ROCPRIM_400000_NS6detail17trampoline_kernelINS0_14default_configENS1_38merge_sort_block_merge_config_selectorIxNS0_10empty_typeEEEZZNS1_27merge_sort_block_merge_implIS3_PxPS5_jNS1_19radix_merge_compareILb1ELb0ExNS0_19identity_decomposerEEEEE10hipError_tT0_T1_T2_jT3_P12ihipStream_tbPNSt15iterator_traitsISE_E10value_typeEPNSK_ISF_E10value_typeEPSG_NS1_7vsmem_tEENKUlT_SE_SF_SG_E_clIS8_S8_S9_S9_EESD_ST_SE_SF_SG_EUlST_E1_NS1_11comp_targetILNS1_3genE5ELNS1_11target_archE942ELNS1_3gpuE9ELNS1_3repE0EEENS1_36merge_oddeven_config_static_selectorELNS0_4arch9wavefront6targetE1EEEvSF_: ; @_ZN7rocprim17ROCPRIM_400000_NS6detail17trampoline_kernelINS0_14default_configENS1_38merge_sort_block_merge_config_selectorIxNS0_10empty_typeEEEZZNS1_27merge_sort_block_merge_implIS3_PxPS5_jNS1_19radix_merge_compareILb1ELb0ExNS0_19identity_decomposerEEEEE10hipError_tT0_T1_T2_jT3_P12ihipStream_tbPNSt15iterator_traitsISE_E10value_typeEPNSK_ISF_E10value_typeEPSG_NS1_7vsmem_tEENKUlT_SE_SF_SG_E_clIS8_S8_S9_S9_EESD_ST_SE_SF_SG_EUlST_E1_NS1_11comp_targetILNS1_3genE5ELNS1_11target_archE942ELNS1_3gpuE9ELNS1_3repE0EEENS1_36merge_oddeven_config_static_selectorELNS0_4arch9wavefront6targetE1EEEvSF_
; %bb.0:
	.section	.rodata,"a",@progbits
	.p2align	6, 0x0
	.amdhsa_kernel _ZN7rocprim17ROCPRIM_400000_NS6detail17trampoline_kernelINS0_14default_configENS1_38merge_sort_block_merge_config_selectorIxNS0_10empty_typeEEEZZNS1_27merge_sort_block_merge_implIS3_PxPS5_jNS1_19radix_merge_compareILb1ELb0ExNS0_19identity_decomposerEEEEE10hipError_tT0_T1_T2_jT3_P12ihipStream_tbPNSt15iterator_traitsISE_E10value_typeEPNSK_ISF_E10value_typeEPSG_NS1_7vsmem_tEENKUlT_SE_SF_SG_E_clIS8_S8_S9_S9_EESD_ST_SE_SF_SG_EUlST_E1_NS1_11comp_targetILNS1_3genE5ELNS1_11target_archE942ELNS1_3gpuE9ELNS1_3repE0EEENS1_36merge_oddeven_config_static_selectorELNS0_4arch9wavefront6targetE1EEEvSF_
		.amdhsa_group_segment_fixed_size 0
		.amdhsa_private_segment_fixed_size 0
		.amdhsa_kernarg_size 48
		.amdhsa_user_sgpr_count 6
		.amdhsa_user_sgpr_private_segment_buffer 1
		.amdhsa_user_sgpr_dispatch_ptr 0
		.amdhsa_user_sgpr_queue_ptr 0
		.amdhsa_user_sgpr_kernarg_segment_ptr 1
		.amdhsa_user_sgpr_dispatch_id 0
		.amdhsa_user_sgpr_flat_scratch_init 0
		.amdhsa_user_sgpr_kernarg_preload_length 0
		.amdhsa_user_sgpr_kernarg_preload_offset 0
		.amdhsa_user_sgpr_private_segment_size 0
		.amdhsa_uses_dynamic_stack 0
		.amdhsa_system_sgpr_private_segment_wavefront_offset 0
		.amdhsa_system_sgpr_workgroup_id_x 1
		.amdhsa_system_sgpr_workgroup_id_y 0
		.amdhsa_system_sgpr_workgroup_id_z 0
		.amdhsa_system_sgpr_workgroup_info 0
		.amdhsa_system_vgpr_workitem_id 0
		.amdhsa_next_free_vgpr 1
		.amdhsa_next_free_sgpr 0
		.amdhsa_accum_offset 4
		.amdhsa_reserve_vcc 0
		.amdhsa_reserve_flat_scratch 0
		.amdhsa_float_round_mode_32 0
		.amdhsa_float_round_mode_16_64 0
		.amdhsa_float_denorm_mode_32 3
		.amdhsa_float_denorm_mode_16_64 3
		.amdhsa_dx10_clamp 1
		.amdhsa_ieee_mode 1
		.amdhsa_fp16_overflow 0
		.amdhsa_tg_split 0
		.amdhsa_exception_fp_ieee_invalid_op 0
		.amdhsa_exception_fp_denorm_src 0
		.amdhsa_exception_fp_ieee_div_zero 0
		.amdhsa_exception_fp_ieee_overflow 0
		.amdhsa_exception_fp_ieee_underflow 0
		.amdhsa_exception_fp_ieee_inexact 0
		.amdhsa_exception_int_div_zero 0
	.end_amdhsa_kernel
	.section	.text._ZN7rocprim17ROCPRIM_400000_NS6detail17trampoline_kernelINS0_14default_configENS1_38merge_sort_block_merge_config_selectorIxNS0_10empty_typeEEEZZNS1_27merge_sort_block_merge_implIS3_PxPS5_jNS1_19radix_merge_compareILb1ELb0ExNS0_19identity_decomposerEEEEE10hipError_tT0_T1_T2_jT3_P12ihipStream_tbPNSt15iterator_traitsISE_E10value_typeEPNSK_ISF_E10value_typeEPSG_NS1_7vsmem_tEENKUlT_SE_SF_SG_E_clIS8_S8_S9_S9_EESD_ST_SE_SF_SG_EUlST_E1_NS1_11comp_targetILNS1_3genE5ELNS1_11target_archE942ELNS1_3gpuE9ELNS1_3repE0EEENS1_36merge_oddeven_config_static_selectorELNS0_4arch9wavefront6targetE1EEEvSF_,"axG",@progbits,_ZN7rocprim17ROCPRIM_400000_NS6detail17trampoline_kernelINS0_14default_configENS1_38merge_sort_block_merge_config_selectorIxNS0_10empty_typeEEEZZNS1_27merge_sort_block_merge_implIS3_PxPS5_jNS1_19radix_merge_compareILb1ELb0ExNS0_19identity_decomposerEEEEE10hipError_tT0_T1_T2_jT3_P12ihipStream_tbPNSt15iterator_traitsISE_E10value_typeEPNSK_ISF_E10value_typeEPSG_NS1_7vsmem_tEENKUlT_SE_SF_SG_E_clIS8_S8_S9_S9_EESD_ST_SE_SF_SG_EUlST_E1_NS1_11comp_targetILNS1_3genE5ELNS1_11target_archE942ELNS1_3gpuE9ELNS1_3repE0EEENS1_36merge_oddeven_config_static_selectorELNS0_4arch9wavefront6targetE1EEEvSF_,comdat
.Lfunc_end2336:
	.size	_ZN7rocprim17ROCPRIM_400000_NS6detail17trampoline_kernelINS0_14default_configENS1_38merge_sort_block_merge_config_selectorIxNS0_10empty_typeEEEZZNS1_27merge_sort_block_merge_implIS3_PxPS5_jNS1_19radix_merge_compareILb1ELb0ExNS0_19identity_decomposerEEEEE10hipError_tT0_T1_T2_jT3_P12ihipStream_tbPNSt15iterator_traitsISE_E10value_typeEPNSK_ISF_E10value_typeEPSG_NS1_7vsmem_tEENKUlT_SE_SF_SG_E_clIS8_S8_S9_S9_EESD_ST_SE_SF_SG_EUlST_E1_NS1_11comp_targetILNS1_3genE5ELNS1_11target_archE942ELNS1_3gpuE9ELNS1_3repE0EEENS1_36merge_oddeven_config_static_selectorELNS0_4arch9wavefront6targetE1EEEvSF_, .Lfunc_end2336-_ZN7rocprim17ROCPRIM_400000_NS6detail17trampoline_kernelINS0_14default_configENS1_38merge_sort_block_merge_config_selectorIxNS0_10empty_typeEEEZZNS1_27merge_sort_block_merge_implIS3_PxPS5_jNS1_19radix_merge_compareILb1ELb0ExNS0_19identity_decomposerEEEEE10hipError_tT0_T1_T2_jT3_P12ihipStream_tbPNSt15iterator_traitsISE_E10value_typeEPNSK_ISF_E10value_typeEPSG_NS1_7vsmem_tEENKUlT_SE_SF_SG_E_clIS8_S8_S9_S9_EESD_ST_SE_SF_SG_EUlST_E1_NS1_11comp_targetILNS1_3genE5ELNS1_11target_archE942ELNS1_3gpuE9ELNS1_3repE0EEENS1_36merge_oddeven_config_static_selectorELNS0_4arch9wavefront6targetE1EEEvSF_
                                        ; -- End function
	.section	.AMDGPU.csdata,"",@progbits
; Kernel info:
; codeLenInByte = 0
; NumSgprs: 4
; NumVgprs: 0
; NumAgprs: 0
; TotalNumVgprs: 0
; ScratchSize: 0
; MemoryBound: 0
; FloatMode: 240
; IeeeMode: 1
; LDSByteSize: 0 bytes/workgroup (compile time only)
; SGPRBlocks: 0
; VGPRBlocks: 0
; NumSGPRsForWavesPerEU: 4
; NumVGPRsForWavesPerEU: 1
; AccumOffset: 4
; Occupancy: 8
; WaveLimiterHint : 0
; COMPUTE_PGM_RSRC2:SCRATCH_EN: 0
; COMPUTE_PGM_RSRC2:USER_SGPR: 6
; COMPUTE_PGM_RSRC2:TRAP_HANDLER: 0
; COMPUTE_PGM_RSRC2:TGID_X_EN: 1
; COMPUTE_PGM_RSRC2:TGID_Y_EN: 0
; COMPUTE_PGM_RSRC2:TGID_Z_EN: 0
; COMPUTE_PGM_RSRC2:TIDIG_COMP_CNT: 0
; COMPUTE_PGM_RSRC3_GFX90A:ACCUM_OFFSET: 0
; COMPUTE_PGM_RSRC3_GFX90A:TG_SPLIT: 0
	.section	.text._ZN7rocprim17ROCPRIM_400000_NS6detail17trampoline_kernelINS0_14default_configENS1_38merge_sort_block_merge_config_selectorIxNS0_10empty_typeEEEZZNS1_27merge_sort_block_merge_implIS3_PxPS5_jNS1_19radix_merge_compareILb1ELb0ExNS0_19identity_decomposerEEEEE10hipError_tT0_T1_T2_jT3_P12ihipStream_tbPNSt15iterator_traitsISE_E10value_typeEPNSK_ISF_E10value_typeEPSG_NS1_7vsmem_tEENKUlT_SE_SF_SG_E_clIS8_S8_S9_S9_EESD_ST_SE_SF_SG_EUlST_E1_NS1_11comp_targetILNS1_3genE4ELNS1_11target_archE910ELNS1_3gpuE8ELNS1_3repE0EEENS1_36merge_oddeven_config_static_selectorELNS0_4arch9wavefront6targetE1EEEvSF_,"axG",@progbits,_ZN7rocprim17ROCPRIM_400000_NS6detail17trampoline_kernelINS0_14default_configENS1_38merge_sort_block_merge_config_selectorIxNS0_10empty_typeEEEZZNS1_27merge_sort_block_merge_implIS3_PxPS5_jNS1_19radix_merge_compareILb1ELb0ExNS0_19identity_decomposerEEEEE10hipError_tT0_T1_T2_jT3_P12ihipStream_tbPNSt15iterator_traitsISE_E10value_typeEPNSK_ISF_E10value_typeEPSG_NS1_7vsmem_tEENKUlT_SE_SF_SG_E_clIS8_S8_S9_S9_EESD_ST_SE_SF_SG_EUlST_E1_NS1_11comp_targetILNS1_3genE4ELNS1_11target_archE910ELNS1_3gpuE8ELNS1_3repE0EEENS1_36merge_oddeven_config_static_selectorELNS0_4arch9wavefront6targetE1EEEvSF_,comdat
	.protected	_ZN7rocprim17ROCPRIM_400000_NS6detail17trampoline_kernelINS0_14default_configENS1_38merge_sort_block_merge_config_selectorIxNS0_10empty_typeEEEZZNS1_27merge_sort_block_merge_implIS3_PxPS5_jNS1_19radix_merge_compareILb1ELb0ExNS0_19identity_decomposerEEEEE10hipError_tT0_T1_T2_jT3_P12ihipStream_tbPNSt15iterator_traitsISE_E10value_typeEPNSK_ISF_E10value_typeEPSG_NS1_7vsmem_tEENKUlT_SE_SF_SG_E_clIS8_S8_S9_S9_EESD_ST_SE_SF_SG_EUlST_E1_NS1_11comp_targetILNS1_3genE4ELNS1_11target_archE910ELNS1_3gpuE8ELNS1_3repE0EEENS1_36merge_oddeven_config_static_selectorELNS0_4arch9wavefront6targetE1EEEvSF_ ; -- Begin function _ZN7rocprim17ROCPRIM_400000_NS6detail17trampoline_kernelINS0_14default_configENS1_38merge_sort_block_merge_config_selectorIxNS0_10empty_typeEEEZZNS1_27merge_sort_block_merge_implIS3_PxPS5_jNS1_19radix_merge_compareILb1ELb0ExNS0_19identity_decomposerEEEEE10hipError_tT0_T1_T2_jT3_P12ihipStream_tbPNSt15iterator_traitsISE_E10value_typeEPNSK_ISF_E10value_typeEPSG_NS1_7vsmem_tEENKUlT_SE_SF_SG_E_clIS8_S8_S9_S9_EESD_ST_SE_SF_SG_EUlST_E1_NS1_11comp_targetILNS1_3genE4ELNS1_11target_archE910ELNS1_3gpuE8ELNS1_3repE0EEENS1_36merge_oddeven_config_static_selectorELNS0_4arch9wavefront6targetE1EEEvSF_
	.globl	_ZN7rocprim17ROCPRIM_400000_NS6detail17trampoline_kernelINS0_14default_configENS1_38merge_sort_block_merge_config_selectorIxNS0_10empty_typeEEEZZNS1_27merge_sort_block_merge_implIS3_PxPS5_jNS1_19radix_merge_compareILb1ELb0ExNS0_19identity_decomposerEEEEE10hipError_tT0_T1_T2_jT3_P12ihipStream_tbPNSt15iterator_traitsISE_E10value_typeEPNSK_ISF_E10value_typeEPSG_NS1_7vsmem_tEENKUlT_SE_SF_SG_E_clIS8_S8_S9_S9_EESD_ST_SE_SF_SG_EUlST_E1_NS1_11comp_targetILNS1_3genE4ELNS1_11target_archE910ELNS1_3gpuE8ELNS1_3repE0EEENS1_36merge_oddeven_config_static_selectorELNS0_4arch9wavefront6targetE1EEEvSF_
	.p2align	8
	.type	_ZN7rocprim17ROCPRIM_400000_NS6detail17trampoline_kernelINS0_14default_configENS1_38merge_sort_block_merge_config_selectorIxNS0_10empty_typeEEEZZNS1_27merge_sort_block_merge_implIS3_PxPS5_jNS1_19radix_merge_compareILb1ELb0ExNS0_19identity_decomposerEEEEE10hipError_tT0_T1_T2_jT3_P12ihipStream_tbPNSt15iterator_traitsISE_E10value_typeEPNSK_ISF_E10value_typeEPSG_NS1_7vsmem_tEENKUlT_SE_SF_SG_E_clIS8_S8_S9_S9_EESD_ST_SE_SF_SG_EUlST_E1_NS1_11comp_targetILNS1_3genE4ELNS1_11target_archE910ELNS1_3gpuE8ELNS1_3repE0EEENS1_36merge_oddeven_config_static_selectorELNS0_4arch9wavefront6targetE1EEEvSF_,@function
_ZN7rocprim17ROCPRIM_400000_NS6detail17trampoline_kernelINS0_14default_configENS1_38merge_sort_block_merge_config_selectorIxNS0_10empty_typeEEEZZNS1_27merge_sort_block_merge_implIS3_PxPS5_jNS1_19radix_merge_compareILb1ELb0ExNS0_19identity_decomposerEEEEE10hipError_tT0_T1_T2_jT3_P12ihipStream_tbPNSt15iterator_traitsISE_E10value_typeEPNSK_ISF_E10value_typeEPSG_NS1_7vsmem_tEENKUlT_SE_SF_SG_E_clIS8_S8_S9_S9_EESD_ST_SE_SF_SG_EUlST_E1_NS1_11comp_targetILNS1_3genE4ELNS1_11target_archE910ELNS1_3gpuE8ELNS1_3repE0EEENS1_36merge_oddeven_config_static_selectorELNS0_4arch9wavefront6targetE1EEEvSF_: ; @_ZN7rocprim17ROCPRIM_400000_NS6detail17trampoline_kernelINS0_14default_configENS1_38merge_sort_block_merge_config_selectorIxNS0_10empty_typeEEEZZNS1_27merge_sort_block_merge_implIS3_PxPS5_jNS1_19radix_merge_compareILb1ELb0ExNS0_19identity_decomposerEEEEE10hipError_tT0_T1_T2_jT3_P12ihipStream_tbPNSt15iterator_traitsISE_E10value_typeEPNSK_ISF_E10value_typeEPSG_NS1_7vsmem_tEENKUlT_SE_SF_SG_E_clIS8_S8_S9_S9_EESD_ST_SE_SF_SG_EUlST_E1_NS1_11comp_targetILNS1_3genE4ELNS1_11target_archE910ELNS1_3gpuE8ELNS1_3repE0EEENS1_36merge_oddeven_config_static_selectorELNS0_4arch9wavefront6targetE1EEEvSF_
; %bb.0:
	s_load_dword s18, s[4:5], 0x20
	s_waitcnt lgkmcnt(0)
	s_lshr_b32 s0, s18, 8
	s_cmp_lg_u32 s6, s0
	s_cselect_b64 s[14:15], -1, 0
	s_cmp_eq_u32 s6, s0
	s_cselect_b64 s[12:13], -1, 0
	s_lshl_b32 s16, s6, 8
	s_sub_i32 s0, s18, s16
	v_cmp_gt_u32_e64 s[2:3], s0, v0
	s_or_b64 s[0:1], s[14:15], s[2:3]
	s_and_saveexec_b64 s[8:9], s[0:1]
	s_cbranch_execz .LBB2337_20
; %bb.1:
	s_load_dwordx4 s[8:11], s[4:5], 0x0
	s_load_dword s19, s[4:5], 0x24
	s_mov_b32 s17, 0
	s_lshl_b64 s[0:1], s[16:17], 3
	v_lshlrev_b32_e32 v1, 3, v0
	s_waitcnt lgkmcnt(0)
	s_add_u32 s0, s8, s0
	s_addc_u32 s1, s9, s1
	global_load_dwordx2 v[2:3], v1, s[0:1]
	s_lshr_b32 s0, s19, 8
	s_sub_i32 s1, 0, s0
	s_and_b32 s1, s6, s1
	s_and_b32 s0, s1, s0
	s_lshl_b32 s20, s1, 8
	s_sub_i32 s6, 0, s19
	s_cmp_eq_u32 s0, 0
	s_cselect_b64 s[0:1], -1, 0
	s_and_b64 s[4:5], s[0:1], exec
	s_cselect_b32 s17, s19, s6
	s_add_i32 s17, s17, s20
	s_cmp_lt_u32 s17, s18
	v_add_u32_e32 v0, s16, v0
	s_cbranch_scc1 .LBB2337_3
; %bb.2:
	v_cmp_gt_u32_e32 vcc, s18, v0
	s_or_b64 s[4:5], vcc, s[14:15]
	s_and_b64 s[4:5], s[4:5], exec
	s_cbranch_execz .LBB2337_4
	s_branch .LBB2337_18
.LBB2337_3:
	s_mov_b64 s[4:5], 0
.LBB2337_4:
	s_min_u32 s14, s17, s18
	s_add_i32 s6, s14, s19
	s_min_u32 s15, s6, s18
	s_min_u32 s6, s20, s14
	s_add_i32 s20, s20, s14
	v_subrev_u32_e32 v0, s20, v0
	v_add_u32_e32 v4, s6, v0
	s_and_b64 vcc, exec, s[12:13]
	s_cbranch_vccz .LBB2337_12
; %bb.5:
                                        ; implicit-def: $vgpr0
	s_and_saveexec_b64 s[6:7], s[2:3]
	s_cbranch_execz .LBB2337_11
; %bb.6:
	s_cmp_ge_u32 s17, s15
	v_mov_b32_e32 v5, s14
	s_cbranch_scc1 .LBB2337_10
; %bb.7:
	s_mov_b64 s[2:3], 0
	v_mov_b32_e32 v6, s15
	v_mov_b32_e32 v5, s14
	;; [unrolled: 1-line block ×4, first 2 shown]
.LBB2337_8:                             ; =>This Inner Loop Header: Depth=1
	v_add_u32_e32 v0, v5, v6
	v_lshrrev_b32_e32 v0, 1, v0
	v_lshlrev_b64 v[8:9], 3, v[0:1]
	v_add_co_u32_e32 v8, vcc, s8, v8
	v_addc_co_u32_e32 v9, vcc, v7, v9, vcc
	global_load_dwordx2 v[8:9], v[8:9], off
	v_add_u32_e32 v10, 1, v0
	s_waitcnt vmcnt(0)
	v_cmp_gt_i64_e32 vcc, v[8:9], v[2:3]
	v_cndmask_b32_e64 v11, 0, 1, vcc
	v_cmp_le_i64_e32 vcc, v[2:3], v[8:9]
	v_cndmask_b32_e64 v8, 0, 1, vcc
	v_cndmask_b32_e64 v8, v8, v11, s[0:1]
	v_and_b32_e32 v8, 1, v8
	v_cmp_eq_u32_e32 vcc, 1, v8
	v_cndmask_b32_e32 v6, v0, v6, vcc
	v_cndmask_b32_e32 v5, v5, v10, vcc
	v_cmp_ge_u32_e32 vcc, v5, v6
	s_or_b64 s[2:3], vcc, s[2:3]
	s_andn2_b64 exec, exec, s[2:3]
	s_cbranch_execnz .LBB2337_8
; %bb.9:
	s_or_b64 exec, exec, s[2:3]
.LBB2337_10:
	v_add_u32_e32 v0, v5, v4
	s_or_b64 s[4:5], s[4:5], exec
.LBB2337_11:
	s_or_b64 exec, exec, s[6:7]
	s_branch .LBB2337_18
.LBB2337_12:
                                        ; implicit-def: $vgpr0
	s_cbranch_execz .LBB2337_18
; %bb.13:
	s_cmp_ge_u32 s17, s15
	v_mov_b32_e32 v5, s14
	s_cbranch_scc1 .LBB2337_17
; %bb.14:
	s_mov_b64 s[2:3], 0
	v_mov_b32_e32 v6, s15
	v_mov_b32_e32 v5, s14
	;; [unrolled: 1-line block ×4, first 2 shown]
.LBB2337_15:                            ; =>This Inner Loop Header: Depth=1
	v_add_u32_e32 v0, v5, v6
	v_lshrrev_b32_e32 v0, 1, v0
	v_lshlrev_b64 v[8:9], 3, v[0:1]
	v_add_co_u32_e32 v8, vcc, s8, v8
	v_addc_co_u32_e32 v9, vcc, v7, v9, vcc
	global_load_dwordx2 v[8:9], v[8:9], off
	v_add_u32_e32 v10, 1, v0
	s_waitcnt vmcnt(0)
	v_cmp_gt_i64_e32 vcc, v[8:9], v[2:3]
	v_cndmask_b32_e64 v11, 0, 1, vcc
	v_cmp_le_i64_e32 vcc, v[2:3], v[8:9]
	v_cndmask_b32_e64 v8, 0, 1, vcc
	v_cndmask_b32_e64 v8, v8, v11, s[0:1]
	v_and_b32_e32 v8, 1, v8
	v_cmp_eq_u32_e32 vcc, 1, v8
	v_cndmask_b32_e32 v6, v0, v6, vcc
	v_cndmask_b32_e32 v5, v5, v10, vcc
	v_cmp_ge_u32_e32 vcc, v5, v6
	s_or_b64 s[2:3], vcc, s[2:3]
	s_andn2_b64 exec, exec, s[2:3]
	s_cbranch_execnz .LBB2337_15
; %bb.16:
	s_or_b64 exec, exec, s[2:3]
.LBB2337_17:
	v_add_u32_e32 v0, v5, v4
	s_mov_b64 s[4:5], -1
.LBB2337_18:
	s_and_b64 exec, exec, s[4:5]
	s_cbranch_execz .LBB2337_20
; %bb.19:
	v_mov_b32_e32 v1, 0
	v_lshlrev_b64 v[0:1], 3, v[0:1]
	v_mov_b32_e32 v4, s11
	v_add_co_u32_e32 v0, vcc, s10, v0
	v_addc_co_u32_e32 v1, vcc, v4, v1, vcc
	s_waitcnt vmcnt(0)
	global_store_dwordx2 v[0:1], v[2:3], off
.LBB2337_20:
	s_endpgm
	.section	.rodata,"a",@progbits
	.p2align	6, 0x0
	.amdhsa_kernel _ZN7rocprim17ROCPRIM_400000_NS6detail17trampoline_kernelINS0_14default_configENS1_38merge_sort_block_merge_config_selectorIxNS0_10empty_typeEEEZZNS1_27merge_sort_block_merge_implIS3_PxPS5_jNS1_19radix_merge_compareILb1ELb0ExNS0_19identity_decomposerEEEEE10hipError_tT0_T1_T2_jT3_P12ihipStream_tbPNSt15iterator_traitsISE_E10value_typeEPNSK_ISF_E10value_typeEPSG_NS1_7vsmem_tEENKUlT_SE_SF_SG_E_clIS8_S8_S9_S9_EESD_ST_SE_SF_SG_EUlST_E1_NS1_11comp_targetILNS1_3genE4ELNS1_11target_archE910ELNS1_3gpuE8ELNS1_3repE0EEENS1_36merge_oddeven_config_static_selectorELNS0_4arch9wavefront6targetE1EEEvSF_
		.amdhsa_group_segment_fixed_size 0
		.amdhsa_private_segment_fixed_size 0
		.amdhsa_kernarg_size 48
		.amdhsa_user_sgpr_count 6
		.amdhsa_user_sgpr_private_segment_buffer 1
		.amdhsa_user_sgpr_dispatch_ptr 0
		.amdhsa_user_sgpr_queue_ptr 0
		.amdhsa_user_sgpr_kernarg_segment_ptr 1
		.amdhsa_user_sgpr_dispatch_id 0
		.amdhsa_user_sgpr_flat_scratch_init 0
		.amdhsa_user_sgpr_kernarg_preload_length 0
		.amdhsa_user_sgpr_kernarg_preload_offset 0
		.amdhsa_user_sgpr_private_segment_size 0
		.amdhsa_uses_dynamic_stack 0
		.amdhsa_system_sgpr_private_segment_wavefront_offset 0
		.amdhsa_system_sgpr_workgroup_id_x 1
		.amdhsa_system_sgpr_workgroup_id_y 0
		.amdhsa_system_sgpr_workgroup_id_z 0
		.amdhsa_system_sgpr_workgroup_info 0
		.amdhsa_system_vgpr_workitem_id 0
		.amdhsa_next_free_vgpr 12
		.amdhsa_next_free_sgpr 21
		.amdhsa_accum_offset 12
		.amdhsa_reserve_vcc 1
		.amdhsa_reserve_flat_scratch 0
		.amdhsa_float_round_mode_32 0
		.amdhsa_float_round_mode_16_64 0
		.amdhsa_float_denorm_mode_32 3
		.amdhsa_float_denorm_mode_16_64 3
		.amdhsa_dx10_clamp 1
		.amdhsa_ieee_mode 1
		.amdhsa_fp16_overflow 0
		.amdhsa_tg_split 0
		.amdhsa_exception_fp_ieee_invalid_op 0
		.amdhsa_exception_fp_denorm_src 0
		.amdhsa_exception_fp_ieee_div_zero 0
		.amdhsa_exception_fp_ieee_overflow 0
		.amdhsa_exception_fp_ieee_underflow 0
		.amdhsa_exception_fp_ieee_inexact 0
		.amdhsa_exception_int_div_zero 0
	.end_amdhsa_kernel
	.section	.text._ZN7rocprim17ROCPRIM_400000_NS6detail17trampoline_kernelINS0_14default_configENS1_38merge_sort_block_merge_config_selectorIxNS0_10empty_typeEEEZZNS1_27merge_sort_block_merge_implIS3_PxPS5_jNS1_19radix_merge_compareILb1ELb0ExNS0_19identity_decomposerEEEEE10hipError_tT0_T1_T2_jT3_P12ihipStream_tbPNSt15iterator_traitsISE_E10value_typeEPNSK_ISF_E10value_typeEPSG_NS1_7vsmem_tEENKUlT_SE_SF_SG_E_clIS8_S8_S9_S9_EESD_ST_SE_SF_SG_EUlST_E1_NS1_11comp_targetILNS1_3genE4ELNS1_11target_archE910ELNS1_3gpuE8ELNS1_3repE0EEENS1_36merge_oddeven_config_static_selectorELNS0_4arch9wavefront6targetE1EEEvSF_,"axG",@progbits,_ZN7rocprim17ROCPRIM_400000_NS6detail17trampoline_kernelINS0_14default_configENS1_38merge_sort_block_merge_config_selectorIxNS0_10empty_typeEEEZZNS1_27merge_sort_block_merge_implIS3_PxPS5_jNS1_19radix_merge_compareILb1ELb0ExNS0_19identity_decomposerEEEEE10hipError_tT0_T1_T2_jT3_P12ihipStream_tbPNSt15iterator_traitsISE_E10value_typeEPNSK_ISF_E10value_typeEPSG_NS1_7vsmem_tEENKUlT_SE_SF_SG_E_clIS8_S8_S9_S9_EESD_ST_SE_SF_SG_EUlST_E1_NS1_11comp_targetILNS1_3genE4ELNS1_11target_archE910ELNS1_3gpuE8ELNS1_3repE0EEENS1_36merge_oddeven_config_static_selectorELNS0_4arch9wavefront6targetE1EEEvSF_,comdat
.Lfunc_end2337:
	.size	_ZN7rocprim17ROCPRIM_400000_NS6detail17trampoline_kernelINS0_14default_configENS1_38merge_sort_block_merge_config_selectorIxNS0_10empty_typeEEEZZNS1_27merge_sort_block_merge_implIS3_PxPS5_jNS1_19radix_merge_compareILb1ELb0ExNS0_19identity_decomposerEEEEE10hipError_tT0_T1_T2_jT3_P12ihipStream_tbPNSt15iterator_traitsISE_E10value_typeEPNSK_ISF_E10value_typeEPSG_NS1_7vsmem_tEENKUlT_SE_SF_SG_E_clIS8_S8_S9_S9_EESD_ST_SE_SF_SG_EUlST_E1_NS1_11comp_targetILNS1_3genE4ELNS1_11target_archE910ELNS1_3gpuE8ELNS1_3repE0EEENS1_36merge_oddeven_config_static_selectorELNS0_4arch9wavefront6targetE1EEEvSF_, .Lfunc_end2337-_ZN7rocprim17ROCPRIM_400000_NS6detail17trampoline_kernelINS0_14default_configENS1_38merge_sort_block_merge_config_selectorIxNS0_10empty_typeEEEZZNS1_27merge_sort_block_merge_implIS3_PxPS5_jNS1_19radix_merge_compareILb1ELb0ExNS0_19identity_decomposerEEEEE10hipError_tT0_T1_T2_jT3_P12ihipStream_tbPNSt15iterator_traitsISE_E10value_typeEPNSK_ISF_E10value_typeEPSG_NS1_7vsmem_tEENKUlT_SE_SF_SG_E_clIS8_S8_S9_S9_EESD_ST_SE_SF_SG_EUlST_E1_NS1_11comp_targetILNS1_3genE4ELNS1_11target_archE910ELNS1_3gpuE8ELNS1_3repE0EEENS1_36merge_oddeven_config_static_selectorELNS0_4arch9wavefront6targetE1EEEvSF_
                                        ; -- End function
	.section	.AMDGPU.csdata,"",@progbits
; Kernel info:
; codeLenInByte = 588
; NumSgprs: 25
; NumVgprs: 12
; NumAgprs: 0
; TotalNumVgprs: 12
; ScratchSize: 0
; MemoryBound: 0
; FloatMode: 240
; IeeeMode: 1
; LDSByteSize: 0 bytes/workgroup (compile time only)
; SGPRBlocks: 3
; VGPRBlocks: 1
; NumSGPRsForWavesPerEU: 25
; NumVGPRsForWavesPerEU: 12
; AccumOffset: 12
; Occupancy: 8
; WaveLimiterHint : 0
; COMPUTE_PGM_RSRC2:SCRATCH_EN: 0
; COMPUTE_PGM_RSRC2:USER_SGPR: 6
; COMPUTE_PGM_RSRC2:TRAP_HANDLER: 0
; COMPUTE_PGM_RSRC2:TGID_X_EN: 1
; COMPUTE_PGM_RSRC2:TGID_Y_EN: 0
; COMPUTE_PGM_RSRC2:TGID_Z_EN: 0
; COMPUTE_PGM_RSRC2:TIDIG_COMP_CNT: 0
; COMPUTE_PGM_RSRC3_GFX90A:ACCUM_OFFSET: 2
; COMPUTE_PGM_RSRC3_GFX90A:TG_SPLIT: 0
	.section	.text._ZN7rocprim17ROCPRIM_400000_NS6detail17trampoline_kernelINS0_14default_configENS1_38merge_sort_block_merge_config_selectorIxNS0_10empty_typeEEEZZNS1_27merge_sort_block_merge_implIS3_PxPS5_jNS1_19radix_merge_compareILb1ELb0ExNS0_19identity_decomposerEEEEE10hipError_tT0_T1_T2_jT3_P12ihipStream_tbPNSt15iterator_traitsISE_E10value_typeEPNSK_ISF_E10value_typeEPSG_NS1_7vsmem_tEENKUlT_SE_SF_SG_E_clIS8_S8_S9_S9_EESD_ST_SE_SF_SG_EUlST_E1_NS1_11comp_targetILNS1_3genE3ELNS1_11target_archE908ELNS1_3gpuE7ELNS1_3repE0EEENS1_36merge_oddeven_config_static_selectorELNS0_4arch9wavefront6targetE1EEEvSF_,"axG",@progbits,_ZN7rocprim17ROCPRIM_400000_NS6detail17trampoline_kernelINS0_14default_configENS1_38merge_sort_block_merge_config_selectorIxNS0_10empty_typeEEEZZNS1_27merge_sort_block_merge_implIS3_PxPS5_jNS1_19radix_merge_compareILb1ELb0ExNS0_19identity_decomposerEEEEE10hipError_tT0_T1_T2_jT3_P12ihipStream_tbPNSt15iterator_traitsISE_E10value_typeEPNSK_ISF_E10value_typeEPSG_NS1_7vsmem_tEENKUlT_SE_SF_SG_E_clIS8_S8_S9_S9_EESD_ST_SE_SF_SG_EUlST_E1_NS1_11comp_targetILNS1_3genE3ELNS1_11target_archE908ELNS1_3gpuE7ELNS1_3repE0EEENS1_36merge_oddeven_config_static_selectorELNS0_4arch9wavefront6targetE1EEEvSF_,comdat
	.protected	_ZN7rocprim17ROCPRIM_400000_NS6detail17trampoline_kernelINS0_14default_configENS1_38merge_sort_block_merge_config_selectorIxNS0_10empty_typeEEEZZNS1_27merge_sort_block_merge_implIS3_PxPS5_jNS1_19radix_merge_compareILb1ELb0ExNS0_19identity_decomposerEEEEE10hipError_tT0_T1_T2_jT3_P12ihipStream_tbPNSt15iterator_traitsISE_E10value_typeEPNSK_ISF_E10value_typeEPSG_NS1_7vsmem_tEENKUlT_SE_SF_SG_E_clIS8_S8_S9_S9_EESD_ST_SE_SF_SG_EUlST_E1_NS1_11comp_targetILNS1_3genE3ELNS1_11target_archE908ELNS1_3gpuE7ELNS1_3repE0EEENS1_36merge_oddeven_config_static_selectorELNS0_4arch9wavefront6targetE1EEEvSF_ ; -- Begin function _ZN7rocprim17ROCPRIM_400000_NS6detail17trampoline_kernelINS0_14default_configENS1_38merge_sort_block_merge_config_selectorIxNS0_10empty_typeEEEZZNS1_27merge_sort_block_merge_implIS3_PxPS5_jNS1_19radix_merge_compareILb1ELb0ExNS0_19identity_decomposerEEEEE10hipError_tT0_T1_T2_jT3_P12ihipStream_tbPNSt15iterator_traitsISE_E10value_typeEPNSK_ISF_E10value_typeEPSG_NS1_7vsmem_tEENKUlT_SE_SF_SG_E_clIS8_S8_S9_S9_EESD_ST_SE_SF_SG_EUlST_E1_NS1_11comp_targetILNS1_3genE3ELNS1_11target_archE908ELNS1_3gpuE7ELNS1_3repE0EEENS1_36merge_oddeven_config_static_selectorELNS0_4arch9wavefront6targetE1EEEvSF_
	.globl	_ZN7rocprim17ROCPRIM_400000_NS6detail17trampoline_kernelINS0_14default_configENS1_38merge_sort_block_merge_config_selectorIxNS0_10empty_typeEEEZZNS1_27merge_sort_block_merge_implIS3_PxPS5_jNS1_19radix_merge_compareILb1ELb0ExNS0_19identity_decomposerEEEEE10hipError_tT0_T1_T2_jT3_P12ihipStream_tbPNSt15iterator_traitsISE_E10value_typeEPNSK_ISF_E10value_typeEPSG_NS1_7vsmem_tEENKUlT_SE_SF_SG_E_clIS8_S8_S9_S9_EESD_ST_SE_SF_SG_EUlST_E1_NS1_11comp_targetILNS1_3genE3ELNS1_11target_archE908ELNS1_3gpuE7ELNS1_3repE0EEENS1_36merge_oddeven_config_static_selectorELNS0_4arch9wavefront6targetE1EEEvSF_
	.p2align	8
	.type	_ZN7rocprim17ROCPRIM_400000_NS6detail17trampoline_kernelINS0_14default_configENS1_38merge_sort_block_merge_config_selectorIxNS0_10empty_typeEEEZZNS1_27merge_sort_block_merge_implIS3_PxPS5_jNS1_19radix_merge_compareILb1ELb0ExNS0_19identity_decomposerEEEEE10hipError_tT0_T1_T2_jT3_P12ihipStream_tbPNSt15iterator_traitsISE_E10value_typeEPNSK_ISF_E10value_typeEPSG_NS1_7vsmem_tEENKUlT_SE_SF_SG_E_clIS8_S8_S9_S9_EESD_ST_SE_SF_SG_EUlST_E1_NS1_11comp_targetILNS1_3genE3ELNS1_11target_archE908ELNS1_3gpuE7ELNS1_3repE0EEENS1_36merge_oddeven_config_static_selectorELNS0_4arch9wavefront6targetE1EEEvSF_,@function
_ZN7rocprim17ROCPRIM_400000_NS6detail17trampoline_kernelINS0_14default_configENS1_38merge_sort_block_merge_config_selectorIxNS0_10empty_typeEEEZZNS1_27merge_sort_block_merge_implIS3_PxPS5_jNS1_19radix_merge_compareILb1ELb0ExNS0_19identity_decomposerEEEEE10hipError_tT0_T1_T2_jT3_P12ihipStream_tbPNSt15iterator_traitsISE_E10value_typeEPNSK_ISF_E10value_typeEPSG_NS1_7vsmem_tEENKUlT_SE_SF_SG_E_clIS8_S8_S9_S9_EESD_ST_SE_SF_SG_EUlST_E1_NS1_11comp_targetILNS1_3genE3ELNS1_11target_archE908ELNS1_3gpuE7ELNS1_3repE0EEENS1_36merge_oddeven_config_static_selectorELNS0_4arch9wavefront6targetE1EEEvSF_: ; @_ZN7rocprim17ROCPRIM_400000_NS6detail17trampoline_kernelINS0_14default_configENS1_38merge_sort_block_merge_config_selectorIxNS0_10empty_typeEEEZZNS1_27merge_sort_block_merge_implIS3_PxPS5_jNS1_19radix_merge_compareILb1ELb0ExNS0_19identity_decomposerEEEEE10hipError_tT0_T1_T2_jT3_P12ihipStream_tbPNSt15iterator_traitsISE_E10value_typeEPNSK_ISF_E10value_typeEPSG_NS1_7vsmem_tEENKUlT_SE_SF_SG_E_clIS8_S8_S9_S9_EESD_ST_SE_SF_SG_EUlST_E1_NS1_11comp_targetILNS1_3genE3ELNS1_11target_archE908ELNS1_3gpuE7ELNS1_3repE0EEENS1_36merge_oddeven_config_static_selectorELNS0_4arch9wavefront6targetE1EEEvSF_
; %bb.0:
	.section	.rodata,"a",@progbits
	.p2align	6, 0x0
	.amdhsa_kernel _ZN7rocprim17ROCPRIM_400000_NS6detail17trampoline_kernelINS0_14default_configENS1_38merge_sort_block_merge_config_selectorIxNS0_10empty_typeEEEZZNS1_27merge_sort_block_merge_implIS3_PxPS5_jNS1_19radix_merge_compareILb1ELb0ExNS0_19identity_decomposerEEEEE10hipError_tT0_T1_T2_jT3_P12ihipStream_tbPNSt15iterator_traitsISE_E10value_typeEPNSK_ISF_E10value_typeEPSG_NS1_7vsmem_tEENKUlT_SE_SF_SG_E_clIS8_S8_S9_S9_EESD_ST_SE_SF_SG_EUlST_E1_NS1_11comp_targetILNS1_3genE3ELNS1_11target_archE908ELNS1_3gpuE7ELNS1_3repE0EEENS1_36merge_oddeven_config_static_selectorELNS0_4arch9wavefront6targetE1EEEvSF_
		.amdhsa_group_segment_fixed_size 0
		.amdhsa_private_segment_fixed_size 0
		.amdhsa_kernarg_size 48
		.amdhsa_user_sgpr_count 6
		.amdhsa_user_sgpr_private_segment_buffer 1
		.amdhsa_user_sgpr_dispatch_ptr 0
		.amdhsa_user_sgpr_queue_ptr 0
		.amdhsa_user_sgpr_kernarg_segment_ptr 1
		.amdhsa_user_sgpr_dispatch_id 0
		.amdhsa_user_sgpr_flat_scratch_init 0
		.amdhsa_user_sgpr_kernarg_preload_length 0
		.amdhsa_user_sgpr_kernarg_preload_offset 0
		.amdhsa_user_sgpr_private_segment_size 0
		.amdhsa_uses_dynamic_stack 0
		.amdhsa_system_sgpr_private_segment_wavefront_offset 0
		.amdhsa_system_sgpr_workgroup_id_x 1
		.amdhsa_system_sgpr_workgroup_id_y 0
		.amdhsa_system_sgpr_workgroup_id_z 0
		.amdhsa_system_sgpr_workgroup_info 0
		.amdhsa_system_vgpr_workitem_id 0
		.amdhsa_next_free_vgpr 1
		.amdhsa_next_free_sgpr 0
		.amdhsa_accum_offset 4
		.amdhsa_reserve_vcc 0
		.amdhsa_reserve_flat_scratch 0
		.amdhsa_float_round_mode_32 0
		.amdhsa_float_round_mode_16_64 0
		.amdhsa_float_denorm_mode_32 3
		.amdhsa_float_denorm_mode_16_64 3
		.amdhsa_dx10_clamp 1
		.amdhsa_ieee_mode 1
		.amdhsa_fp16_overflow 0
		.amdhsa_tg_split 0
		.amdhsa_exception_fp_ieee_invalid_op 0
		.amdhsa_exception_fp_denorm_src 0
		.amdhsa_exception_fp_ieee_div_zero 0
		.amdhsa_exception_fp_ieee_overflow 0
		.amdhsa_exception_fp_ieee_underflow 0
		.amdhsa_exception_fp_ieee_inexact 0
		.amdhsa_exception_int_div_zero 0
	.end_amdhsa_kernel
	.section	.text._ZN7rocprim17ROCPRIM_400000_NS6detail17trampoline_kernelINS0_14default_configENS1_38merge_sort_block_merge_config_selectorIxNS0_10empty_typeEEEZZNS1_27merge_sort_block_merge_implIS3_PxPS5_jNS1_19radix_merge_compareILb1ELb0ExNS0_19identity_decomposerEEEEE10hipError_tT0_T1_T2_jT3_P12ihipStream_tbPNSt15iterator_traitsISE_E10value_typeEPNSK_ISF_E10value_typeEPSG_NS1_7vsmem_tEENKUlT_SE_SF_SG_E_clIS8_S8_S9_S9_EESD_ST_SE_SF_SG_EUlST_E1_NS1_11comp_targetILNS1_3genE3ELNS1_11target_archE908ELNS1_3gpuE7ELNS1_3repE0EEENS1_36merge_oddeven_config_static_selectorELNS0_4arch9wavefront6targetE1EEEvSF_,"axG",@progbits,_ZN7rocprim17ROCPRIM_400000_NS6detail17trampoline_kernelINS0_14default_configENS1_38merge_sort_block_merge_config_selectorIxNS0_10empty_typeEEEZZNS1_27merge_sort_block_merge_implIS3_PxPS5_jNS1_19radix_merge_compareILb1ELb0ExNS0_19identity_decomposerEEEEE10hipError_tT0_T1_T2_jT3_P12ihipStream_tbPNSt15iterator_traitsISE_E10value_typeEPNSK_ISF_E10value_typeEPSG_NS1_7vsmem_tEENKUlT_SE_SF_SG_E_clIS8_S8_S9_S9_EESD_ST_SE_SF_SG_EUlST_E1_NS1_11comp_targetILNS1_3genE3ELNS1_11target_archE908ELNS1_3gpuE7ELNS1_3repE0EEENS1_36merge_oddeven_config_static_selectorELNS0_4arch9wavefront6targetE1EEEvSF_,comdat
.Lfunc_end2338:
	.size	_ZN7rocprim17ROCPRIM_400000_NS6detail17trampoline_kernelINS0_14default_configENS1_38merge_sort_block_merge_config_selectorIxNS0_10empty_typeEEEZZNS1_27merge_sort_block_merge_implIS3_PxPS5_jNS1_19radix_merge_compareILb1ELb0ExNS0_19identity_decomposerEEEEE10hipError_tT0_T1_T2_jT3_P12ihipStream_tbPNSt15iterator_traitsISE_E10value_typeEPNSK_ISF_E10value_typeEPSG_NS1_7vsmem_tEENKUlT_SE_SF_SG_E_clIS8_S8_S9_S9_EESD_ST_SE_SF_SG_EUlST_E1_NS1_11comp_targetILNS1_3genE3ELNS1_11target_archE908ELNS1_3gpuE7ELNS1_3repE0EEENS1_36merge_oddeven_config_static_selectorELNS0_4arch9wavefront6targetE1EEEvSF_, .Lfunc_end2338-_ZN7rocprim17ROCPRIM_400000_NS6detail17trampoline_kernelINS0_14default_configENS1_38merge_sort_block_merge_config_selectorIxNS0_10empty_typeEEEZZNS1_27merge_sort_block_merge_implIS3_PxPS5_jNS1_19radix_merge_compareILb1ELb0ExNS0_19identity_decomposerEEEEE10hipError_tT0_T1_T2_jT3_P12ihipStream_tbPNSt15iterator_traitsISE_E10value_typeEPNSK_ISF_E10value_typeEPSG_NS1_7vsmem_tEENKUlT_SE_SF_SG_E_clIS8_S8_S9_S9_EESD_ST_SE_SF_SG_EUlST_E1_NS1_11comp_targetILNS1_3genE3ELNS1_11target_archE908ELNS1_3gpuE7ELNS1_3repE0EEENS1_36merge_oddeven_config_static_selectorELNS0_4arch9wavefront6targetE1EEEvSF_
                                        ; -- End function
	.section	.AMDGPU.csdata,"",@progbits
; Kernel info:
; codeLenInByte = 0
; NumSgprs: 4
; NumVgprs: 0
; NumAgprs: 0
; TotalNumVgprs: 0
; ScratchSize: 0
; MemoryBound: 0
; FloatMode: 240
; IeeeMode: 1
; LDSByteSize: 0 bytes/workgroup (compile time only)
; SGPRBlocks: 0
; VGPRBlocks: 0
; NumSGPRsForWavesPerEU: 4
; NumVGPRsForWavesPerEU: 1
; AccumOffset: 4
; Occupancy: 8
; WaveLimiterHint : 0
; COMPUTE_PGM_RSRC2:SCRATCH_EN: 0
; COMPUTE_PGM_RSRC2:USER_SGPR: 6
; COMPUTE_PGM_RSRC2:TRAP_HANDLER: 0
; COMPUTE_PGM_RSRC2:TGID_X_EN: 1
; COMPUTE_PGM_RSRC2:TGID_Y_EN: 0
; COMPUTE_PGM_RSRC2:TGID_Z_EN: 0
; COMPUTE_PGM_RSRC2:TIDIG_COMP_CNT: 0
; COMPUTE_PGM_RSRC3_GFX90A:ACCUM_OFFSET: 0
; COMPUTE_PGM_RSRC3_GFX90A:TG_SPLIT: 0
	.section	.text._ZN7rocprim17ROCPRIM_400000_NS6detail17trampoline_kernelINS0_14default_configENS1_38merge_sort_block_merge_config_selectorIxNS0_10empty_typeEEEZZNS1_27merge_sort_block_merge_implIS3_PxPS5_jNS1_19radix_merge_compareILb1ELb0ExNS0_19identity_decomposerEEEEE10hipError_tT0_T1_T2_jT3_P12ihipStream_tbPNSt15iterator_traitsISE_E10value_typeEPNSK_ISF_E10value_typeEPSG_NS1_7vsmem_tEENKUlT_SE_SF_SG_E_clIS8_S8_S9_S9_EESD_ST_SE_SF_SG_EUlST_E1_NS1_11comp_targetILNS1_3genE2ELNS1_11target_archE906ELNS1_3gpuE6ELNS1_3repE0EEENS1_36merge_oddeven_config_static_selectorELNS0_4arch9wavefront6targetE1EEEvSF_,"axG",@progbits,_ZN7rocprim17ROCPRIM_400000_NS6detail17trampoline_kernelINS0_14default_configENS1_38merge_sort_block_merge_config_selectorIxNS0_10empty_typeEEEZZNS1_27merge_sort_block_merge_implIS3_PxPS5_jNS1_19radix_merge_compareILb1ELb0ExNS0_19identity_decomposerEEEEE10hipError_tT0_T1_T2_jT3_P12ihipStream_tbPNSt15iterator_traitsISE_E10value_typeEPNSK_ISF_E10value_typeEPSG_NS1_7vsmem_tEENKUlT_SE_SF_SG_E_clIS8_S8_S9_S9_EESD_ST_SE_SF_SG_EUlST_E1_NS1_11comp_targetILNS1_3genE2ELNS1_11target_archE906ELNS1_3gpuE6ELNS1_3repE0EEENS1_36merge_oddeven_config_static_selectorELNS0_4arch9wavefront6targetE1EEEvSF_,comdat
	.protected	_ZN7rocprim17ROCPRIM_400000_NS6detail17trampoline_kernelINS0_14default_configENS1_38merge_sort_block_merge_config_selectorIxNS0_10empty_typeEEEZZNS1_27merge_sort_block_merge_implIS3_PxPS5_jNS1_19radix_merge_compareILb1ELb0ExNS0_19identity_decomposerEEEEE10hipError_tT0_T1_T2_jT3_P12ihipStream_tbPNSt15iterator_traitsISE_E10value_typeEPNSK_ISF_E10value_typeEPSG_NS1_7vsmem_tEENKUlT_SE_SF_SG_E_clIS8_S8_S9_S9_EESD_ST_SE_SF_SG_EUlST_E1_NS1_11comp_targetILNS1_3genE2ELNS1_11target_archE906ELNS1_3gpuE6ELNS1_3repE0EEENS1_36merge_oddeven_config_static_selectorELNS0_4arch9wavefront6targetE1EEEvSF_ ; -- Begin function _ZN7rocprim17ROCPRIM_400000_NS6detail17trampoline_kernelINS0_14default_configENS1_38merge_sort_block_merge_config_selectorIxNS0_10empty_typeEEEZZNS1_27merge_sort_block_merge_implIS3_PxPS5_jNS1_19radix_merge_compareILb1ELb0ExNS0_19identity_decomposerEEEEE10hipError_tT0_T1_T2_jT3_P12ihipStream_tbPNSt15iterator_traitsISE_E10value_typeEPNSK_ISF_E10value_typeEPSG_NS1_7vsmem_tEENKUlT_SE_SF_SG_E_clIS8_S8_S9_S9_EESD_ST_SE_SF_SG_EUlST_E1_NS1_11comp_targetILNS1_3genE2ELNS1_11target_archE906ELNS1_3gpuE6ELNS1_3repE0EEENS1_36merge_oddeven_config_static_selectorELNS0_4arch9wavefront6targetE1EEEvSF_
	.globl	_ZN7rocprim17ROCPRIM_400000_NS6detail17trampoline_kernelINS0_14default_configENS1_38merge_sort_block_merge_config_selectorIxNS0_10empty_typeEEEZZNS1_27merge_sort_block_merge_implIS3_PxPS5_jNS1_19radix_merge_compareILb1ELb0ExNS0_19identity_decomposerEEEEE10hipError_tT0_T1_T2_jT3_P12ihipStream_tbPNSt15iterator_traitsISE_E10value_typeEPNSK_ISF_E10value_typeEPSG_NS1_7vsmem_tEENKUlT_SE_SF_SG_E_clIS8_S8_S9_S9_EESD_ST_SE_SF_SG_EUlST_E1_NS1_11comp_targetILNS1_3genE2ELNS1_11target_archE906ELNS1_3gpuE6ELNS1_3repE0EEENS1_36merge_oddeven_config_static_selectorELNS0_4arch9wavefront6targetE1EEEvSF_
	.p2align	8
	.type	_ZN7rocprim17ROCPRIM_400000_NS6detail17trampoline_kernelINS0_14default_configENS1_38merge_sort_block_merge_config_selectorIxNS0_10empty_typeEEEZZNS1_27merge_sort_block_merge_implIS3_PxPS5_jNS1_19radix_merge_compareILb1ELb0ExNS0_19identity_decomposerEEEEE10hipError_tT0_T1_T2_jT3_P12ihipStream_tbPNSt15iterator_traitsISE_E10value_typeEPNSK_ISF_E10value_typeEPSG_NS1_7vsmem_tEENKUlT_SE_SF_SG_E_clIS8_S8_S9_S9_EESD_ST_SE_SF_SG_EUlST_E1_NS1_11comp_targetILNS1_3genE2ELNS1_11target_archE906ELNS1_3gpuE6ELNS1_3repE0EEENS1_36merge_oddeven_config_static_selectorELNS0_4arch9wavefront6targetE1EEEvSF_,@function
_ZN7rocprim17ROCPRIM_400000_NS6detail17trampoline_kernelINS0_14default_configENS1_38merge_sort_block_merge_config_selectorIxNS0_10empty_typeEEEZZNS1_27merge_sort_block_merge_implIS3_PxPS5_jNS1_19radix_merge_compareILb1ELb0ExNS0_19identity_decomposerEEEEE10hipError_tT0_T1_T2_jT3_P12ihipStream_tbPNSt15iterator_traitsISE_E10value_typeEPNSK_ISF_E10value_typeEPSG_NS1_7vsmem_tEENKUlT_SE_SF_SG_E_clIS8_S8_S9_S9_EESD_ST_SE_SF_SG_EUlST_E1_NS1_11comp_targetILNS1_3genE2ELNS1_11target_archE906ELNS1_3gpuE6ELNS1_3repE0EEENS1_36merge_oddeven_config_static_selectorELNS0_4arch9wavefront6targetE1EEEvSF_: ; @_ZN7rocprim17ROCPRIM_400000_NS6detail17trampoline_kernelINS0_14default_configENS1_38merge_sort_block_merge_config_selectorIxNS0_10empty_typeEEEZZNS1_27merge_sort_block_merge_implIS3_PxPS5_jNS1_19radix_merge_compareILb1ELb0ExNS0_19identity_decomposerEEEEE10hipError_tT0_T1_T2_jT3_P12ihipStream_tbPNSt15iterator_traitsISE_E10value_typeEPNSK_ISF_E10value_typeEPSG_NS1_7vsmem_tEENKUlT_SE_SF_SG_E_clIS8_S8_S9_S9_EESD_ST_SE_SF_SG_EUlST_E1_NS1_11comp_targetILNS1_3genE2ELNS1_11target_archE906ELNS1_3gpuE6ELNS1_3repE0EEENS1_36merge_oddeven_config_static_selectorELNS0_4arch9wavefront6targetE1EEEvSF_
; %bb.0:
	.section	.rodata,"a",@progbits
	.p2align	6, 0x0
	.amdhsa_kernel _ZN7rocprim17ROCPRIM_400000_NS6detail17trampoline_kernelINS0_14default_configENS1_38merge_sort_block_merge_config_selectorIxNS0_10empty_typeEEEZZNS1_27merge_sort_block_merge_implIS3_PxPS5_jNS1_19radix_merge_compareILb1ELb0ExNS0_19identity_decomposerEEEEE10hipError_tT0_T1_T2_jT3_P12ihipStream_tbPNSt15iterator_traitsISE_E10value_typeEPNSK_ISF_E10value_typeEPSG_NS1_7vsmem_tEENKUlT_SE_SF_SG_E_clIS8_S8_S9_S9_EESD_ST_SE_SF_SG_EUlST_E1_NS1_11comp_targetILNS1_3genE2ELNS1_11target_archE906ELNS1_3gpuE6ELNS1_3repE0EEENS1_36merge_oddeven_config_static_selectorELNS0_4arch9wavefront6targetE1EEEvSF_
		.amdhsa_group_segment_fixed_size 0
		.amdhsa_private_segment_fixed_size 0
		.amdhsa_kernarg_size 48
		.amdhsa_user_sgpr_count 6
		.amdhsa_user_sgpr_private_segment_buffer 1
		.amdhsa_user_sgpr_dispatch_ptr 0
		.amdhsa_user_sgpr_queue_ptr 0
		.amdhsa_user_sgpr_kernarg_segment_ptr 1
		.amdhsa_user_sgpr_dispatch_id 0
		.amdhsa_user_sgpr_flat_scratch_init 0
		.amdhsa_user_sgpr_kernarg_preload_length 0
		.amdhsa_user_sgpr_kernarg_preload_offset 0
		.amdhsa_user_sgpr_private_segment_size 0
		.amdhsa_uses_dynamic_stack 0
		.amdhsa_system_sgpr_private_segment_wavefront_offset 0
		.amdhsa_system_sgpr_workgroup_id_x 1
		.amdhsa_system_sgpr_workgroup_id_y 0
		.amdhsa_system_sgpr_workgroup_id_z 0
		.amdhsa_system_sgpr_workgroup_info 0
		.amdhsa_system_vgpr_workitem_id 0
		.amdhsa_next_free_vgpr 1
		.amdhsa_next_free_sgpr 0
		.amdhsa_accum_offset 4
		.amdhsa_reserve_vcc 0
		.amdhsa_reserve_flat_scratch 0
		.amdhsa_float_round_mode_32 0
		.amdhsa_float_round_mode_16_64 0
		.amdhsa_float_denorm_mode_32 3
		.amdhsa_float_denorm_mode_16_64 3
		.amdhsa_dx10_clamp 1
		.amdhsa_ieee_mode 1
		.amdhsa_fp16_overflow 0
		.amdhsa_tg_split 0
		.amdhsa_exception_fp_ieee_invalid_op 0
		.amdhsa_exception_fp_denorm_src 0
		.amdhsa_exception_fp_ieee_div_zero 0
		.amdhsa_exception_fp_ieee_overflow 0
		.amdhsa_exception_fp_ieee_underflow 0
		.amdhsa_exception_fp_ieee_inexact 0
		.amdhsa_exception_int_div_zero 0
	.end_amdhsa_kernel
	.section	.text._ZN7rocprim17ROCPRIM_400000_NS6detail17trampoline_kernelINS0_14default_configENS1_38merge_sort_block_merge_config_selectorIxNS0_10empty_typeEEEZZNS1_27merge_sort_block_merge_implIS3_PxPS5_jNS1_19radix_merge_compareILb1ELb0ExNS0_19identity_decomposerEEEEE10hipError_tT0_T1_T2_jT3_P12ihipStream_tbPNSt15iterator_traitsISE_E10value_typeEPNSK_ISF_E10value_typeEPSG_NS1_7vsmem_tEENKUlT_SE_SF_SG_E_clIS8_S8_S9_S9_EESD_ST_SE_SF_SG_EUlST_E1_NS1_11comp_targetILNS1_3genE2ELNS1_11target_archE906ELNS1_3gpuE6ELNS1_3repE0EEENS1_36merge_oddeven_config_static_selectorELNS0_4arch9wavefront6targetE1EEEvSF_,"axG",@progbits,_ZN7rocprim17ROCPRIM_400000_NS6detail17trampoline_kernelINS0_14default_configENS1_38merge_sort_block_merge_config_selectorIxNS0_10empty_typeEEEZZNS1_27merge_sort_block_merge_implIS3_PxPS5_jNS1_19radix_merge_compareILb1ELb0ExNS0_19identity_decomposerEEEEE10hipError_tT0_T1_T2_jT3_P12ihipStream_tbPNSt15iterator_traitsISE_E10value_typeEPNSK_ISF_E10value_typeEPSG_NS1_7vsmem_tEENKUlT_SE_SF_SG_E_clIS8_S8_S9_S9_EESD_ST_SE_SF_SG_EUlST_E1_NS1_11comp_targetILNS1_3genE2ELNS1_11target_archE906ELNS1_3gpuE6ELNS1_3repE0EEENS1_36merge_oddeven_config_static_selectorELNS0_4arch9wavefront6targetE1EEEvSF_,comdat
.Lfunc_end2339:
	.size	_ZN7rocprim17ROCPRIM_400000_NS6detail17trampoline_kernelINS0_14default_configENS1_38merge_sort_block_merge_config_selectorIxNS0_10empty_typeEEEZZNS1_27merge_sort_block_merge_implIS3_PxPS5_jNS1_19radix_merge_compareILb1ELb0ExNS0_19identity_decomposerEEEEE10hipError_tT0_T1_T2_jT3_P12ihipStream_tbPNSt15iterator_traitsISE_E10value_typeEPNSK_ISF_E10value_typeEPSG_NS1_7vsmem_tEENKUlT_SE_SF_SG_E_clIS8_S8_S9_S9_EESD_ST_SE_SF_SG_EUlST_E1_NS1_11comp_targetILNS1_3genE2ELNS1_11target_archE906ELNS1_3gpuE6ELNS1_3repE0EEENS1_36merge_oddeven_config_static_selectorELNS0_4arch9wavefront6targetE1EEEvSF_, .Lfunc_end2339-_ZN7rocprim17ROCPRIM_400000_NS6detail17trampoline_kernelINS0_14default_configENS1_38merge_sort_block_merge_config_selectorIxNS0_10empty_typeEEEZZNS1_27merge_sort_block_merge_implIS3_PxPS5_jNS1_19radix_merge_compareILb1ELb0ExNS0_19identity_decomposerEEEEE10hipError_tT0_T1_T2_jT3_P12ihipStream_tbPNSt15iterator_traitsISE_E10value_typeEPNSK_ISF_E10value_typeEPSG_NS1_7vsmem_tEENKUlT_SE_SF_SG_E_clIS8_S8_S9_S9_EESD_ST_SE_SF_SG_EUlST_E1_NS1_11comp_targetILNS1_3genE2ELNS1_11target_archE906ELNS1_3gpuE6ELNS1_3repE0EEENS1_36merge_oddeven_config_static_selectorELNS0_4arch9wavefront6targetE1EEEvSF_
                                        ; -- End function
	.section	.AMDGPU.csdata,"",@progbits
; Kernel info:
; codeLenInByte = 0
; NumSgprs: 4
; NumVgprs: 0
; NumAgprs: 0
; TotalNumVgprs: 0
; ScratchSize: 0
; MemoryBound: 0
; FloatMode: 240
; IeeeMode: 1
; LDSByteSize: 0 bytes/workgroup (compile time only)
; SGPRBlocks: 0
; VGPRBlocks: 0
; NumSGPRsForWavesPerEU: 4
; NumVGPRsForWavesPerEU: 1
; AccumOffset: 4
; Occupancy: 8
; WaveLimiterHint : 0
; COMPUTE_PGM_RSRC2:SCRATCH_EN: 0
; COMPUTE_PGM_RSRC2:USER_SGPR: 6
; COMPUTE_PGM_RSRC2:TRAP_HANDLER: 0
; COMPUTE_PGM_RSRC2:TGID_X_EN: 1
; COMPUTE_PGM_RSRC2:TGID_Y_EN: 0
; COMPUTE_PGM_RSRC2:TGID_Z_EN: 0
; COMPUTE_PGM_RSRC2:TIDIG_COMP_CNT: 0
; COMPUTE_PGM_RSRC3_GFX90A:ACCUM_OFFSET: 0
; COMPUTE_PGM_RSRC3_GFX90A:TG_SPLIT: 0
	.section	.text._ZN7rocprim17ROCPRIM_400000_NS6detail17trampoline_kernelINS0_14default_configENS1_38merge_sort_block_merge_config_selectorIxNS0_10empty_typeEEEZZNS1_27merge_sort_block_merge_implIS3_PxPS5_jNS1_19radix_merge_compareILb1ELb0ExNS0_19identity_decomposerEEEEE10hipError_tT0_T1_T2_jT3_P12ihipStream_tbPNSt15iterator_traitsISE_E10value_typeEPNSK_ISF_E10value_typeEPSG_NS1_7vsmem_tEENKUlT_SE_SF_SG_E_clIS8_S8_S9_S9_EESD_ST_SE_SF_SG_EUlST_E1_NS1_11comp_targetILNS1_3genE9ELNS1_11target_archE1100ELNS1_3gpuE3ELNS1_3repE0EEENS1_36merge_oddeven_config_static_selectorELNS0_4arch9wavefront6targetE1EEEvSF_,"axG",@progbits,_ZN7rocprim17ROCPRIM_400000_NS6detail17trampoline_kernelINS0_14default_configENS1_38merge_sort_block_merge_config_selectorIxNS0_10empty_typeEEEZZNS1_27merge_sort_block_merge_implIS3_PxPS5_jNS1_19radix_merge_compareILb1ELb0ExNS0_19identity_decomposerEEEEE10hipError_tT0_T1_T2_jT3_P12ihipStream_tbPNSt15iterator_traitsISE_E10value_typeEPNSK_ISF_E10value_typeEPSG_NS1_7vsmem_tEENKUlT_SE_SF_SG_E_clIS8_S8_S9_S9_EESD_ST_SE_SF_SG_EUlST_E1_NS1_11comp_targetILNS1_3genE9ELNS1_11target_archE1100ELNS1_3gpuE3ELNS1_3repE0EEENS1_36merge_oddeven_config_static_selectorELNS0_4arch9wavefront6targetE1EEEvSF_,comdat
	.protected	_ZN7rocprim17ROCPRIM_400000_NS6detail17trampoline_kernelINS0_14default_configENS1_38merge_sort_block_merge_config_selectorIxNS0_10empty_typeEEEZZNS1_27merge_sort_block_merge_implIS3_PxPS5_jNS1_19radix_merge_compareILb1ELb0ExNS0_19identity_decomposerEEEEE10hipError_tT0_T1_T2_jT3_P12ihipStream_tbPNSt15iterator_traitsISE_E10value_typeEPNSK_ISF_E10value_typeEPSG_NS1_7vsmem_tEENKUlT_SE_SF_SG_E_clIS8_S8_S9_S9_EESD_ST_SE_SF_SG_EUlST_E1_NS1_11comp_targetILNS1_3genE9ELNS1_11target_archE1100ELNS1_3gpuE3ELNS1_3repE0EEENS1_36merge_oddeven_config_static_selectorELNS0_4arch9wavefront6targetE1EEEvSF_ ; -- Begin function _ZN7rocprim17ROCPRIM_400000_NS6detail17trampoline_kernelINS0_14default_configENS1_38merge_sort_block_merge_config_selectorIxNS0_10empty_typeEEEZZNS1_27merge_sort_block_merge_implIS3_PxPS5_jNS1_19radix_merge_compareILb1ELb0ExNS0_19identity_decomposerEEEEE10hipError_tT0_T1_T2_jT3_P12ihipStream_tbPNSt15iterator_traitsISE_E10value_typeEPNSK_ISF_E10value_typeEPSG_NS1_7vsmem_tEENKUlT_SE_SF_SG_E_clIS8_S8_S9_S9_EESD_ST_SE_SF_SG_EUlST_E1_NS1_11comp_targetILNS1_3genE9ELNS1_11target_archE1100ELNS1_3gpuE3ELNS1_3repE0EEENS1_36merge_oddeven_config_static_selectorELNS0_4arch9wavefront6targetE1EEEvSF_
	.globl	_ZN7rocprim17ROCPRIM_400000_NS6detail17trampoline_kernelINS0_14default_configENS1_38merge_sort_block_merge_config_selectorIxNS0_10empty_typeEEEZZNS1_27merge_sort_block_merge_implIS3_PxPS5_jNS1_19radix_merge_compareILb1ELb0ExNS0_19identity_decomposerEEEEE10hipError_tT0_T1_T2_jT3_P12ihipStream_tbPNSt15iterator_traitsISE_E10value_typeEPNSK_ISF_E10value_typeEPSG_NS1_7vsmem_tEENKUlT_SE_SF_SG_E_clIS8_S8_S9_S9_EESD_ST_SE_SF_SG_EUlST_E1_NS1_11comp_targetILNS1_3genE9ELNS1_11target_archE1100ELNS1_3gpuE3ELNS1_3repE0EEENS1_36merge_oddeven_config_static_selectorELNS0_4arch9wavefront6targetE1EEEvSF_
	.p2align	8
	.type	_ZN7rocprim17ROCPRIM_400000_NS6detail17trampoline_kernelINS0_14default_configENS1_38merge_sort_block_merge_config_selectorIxNS0_10empty_typeEEEZZNS1_27merge_sort_block_merge_implIS3_PxPS5_jNS1_19radix_merge_compareILb1ELb0ExNS0_19identity_decomposerEEEEE10hipError_tT0_T1_T2_jT3_P12ihipStream_tbPNSt15iterator_traitsISE_E10value_typeEPNSK_ISF_E10value_typeEPSG_NS1_7vsmem_tEENKUlT_SE_SF_SG_E_clIS8_S8_S9_S9_EESD_ST_SE_SF_SG_EUlST_E1_NS1_11comp_targetILNS1_3genE9ELNS1_11target_archE1100ELNS1_3gpuE3ELNS1_3repE0EEENS1_36merge_oddeven_config_static_selectorELNS0_4arch9wavefront6targetE1EEEvSF_,@function
_ZN7rocprim17ROCPRIM_400000_NS6detail17trampoline_kernelINS0_14default_configENS1_38merge_sort_block_merge_config_selectorIxNS0_10empty_typeEEEZZNS1_27merge_sort_block_merge_implIS3_PxPS5_jNS1_19radix_merge_compareILb1ELb0ExNS0_19identity_decomposerEEEEE10hipError_tT0_T1_T2_jT3_P12ihipStream_tbPNSt15iterator_traitsISE_E10value_typeEPNSK_ISF_E10value_typeEPSG_NS1_7vsmem_tEENKUlT_SE_SF_SG_E_clIS8_S8_S9_S9_EESD_ST_SE_SF_SG_EUlST_E1_NS1_11comp_targetILNS1_3genE9ELNS1_11target_archE1100ELNS1_3gpuE3ELNS1_3repE0EEENS1_36merge_oddeven_config_static_selectorELNS0_4arch9wavefront6targetE1EEEvSF_: ; @_ZN7rocprim17ROCPRIM_400000_NS6detail17trampoline_kernelINS0_14default_configENS1_38merge_sort_block_merge_config_selectorIxNS0_10empty_typeEEEZZNS1_27merge_sort_block_merge_implIS3_PxPS5_jNS1_19radix_merge_compareILb1ELb0ExNS0_19identity_decomposerEEEEE10hipError_tT0_T1_T2_jT3_P12ihipStream_tbPNSt15iterator_traitsISE_E10value_typeEPNSK_ISF_E10value_typeEPSG_NS1_7vsmem_tEENKUlT_SE_SF_SG_E_clIS8_S8_S9_S9_EESD_ST_SE_SF_SG_EUlST_E1_NS1_11comp_targetILNS1_3genE9ELNS1_11target_archE1100ELNS1_3gpuE3ELNS1_3repE0EEENS1_36merge_oddeven_config_static_selectorELNS0_4arch9wavefront6targetE1EEEvSF_
; %bb.0:
	.section	.rodata,"a",@progbits
	.p2align	6, 0x0
	.amdhsa_kernel _ZN7rocprim17ROCPRIM_400000_NS6detail17trampoline_kernelINS0_14default_configENS1_38merge_sort_block_merge_config_selectorIxNS0_10empty_typeEEEZZNS1_27merge_sort_block_merge_implIS3_PxPS5_jNS1_19radix_merge_compareILb1ELb0ExNS0_19identity_decomposerEEEEE10hipError_tT0_T1_T2_jT3_P12ihipStream_tbPNSt15iterator_traitsISE_E10value_typeEPNSK_ISF_E10value_typeEPSG_NS1_7vsmem_tEENKUlT_SE_SF_SG_E_clIS8_S8_S9_S9_EESD_ST_SE_SF_SG_EUlST_E1_NS1_11comp_targetILNS1_3genE9ELNS1_11target_archE1100ELNS1_3gpuE3ELNS1_3repE0EEENS1_36merge_oddeven_config_static_selectorELNS0_4arch9wavefront6targetE1EEEvSF_
		.amdhsa_group_segment_fixed_size 0
		.amdhsa_private_segment_fixed_size 0
		.amdhsa_kernarg_size 48
		.amdhsa_user_sgpr_count 6
		.amdhsa_user_sgpr_private_segment_buffer 1
		.amdhsa_user_sgpr_dispatch_ptr 0
		.amdhsa_user_sgpr_queue_ptr 0
		.amdhsa_user_sgpr_kernarg_segment_ptr 1
		.amdhsa_user_sgpr_dispatch_id 0
		.amdhsa_user_sgpr_flat_scratch_init 0
		.amdhsa_user_sgpr_kernarg_preload_length 0
		.amdhsa_user_sgpr_kernarg_preload_offset 0
		.amdhsa_user_sgpr_private_segment_size 0
		.amdhsa_uses_dynamic_stack 0
		.amdhsa_system_sgpr_private_segment_wavefront_offset 0
		.amdhsa_system_sgpr_workgroup_id_x 1
		.amdhsa_system_sgpr_workgroup_id_y 0
		.amdhsa_system_sgpr_workgroup_id_z 0
		.amdhsa_system_sgpr_workgroup_info 0
		.amdhsa_system_vgpr_workitem_id 0
		.amdhsa_next_free_vgpr 1
		.amdhsa_next_free_sgpr 0
		.amdhsa_accum_offset 4
		.amdhsa_reserve_vcc 0
		.amdhsa_reserve_flat_scratch 0
		.amdhsa_float_round_mode_32 0
		.amdhsa_float_round_mode_16_64 0
		.amdhsa_float_denorm_mode_32 3
		.amdhsa_float_denorm_mode_16_64 3
		.amdhsa_dx10_clamp 1
		.amdhsa_ieee_mode 1
		.amdhsa_fp16_overflow 0
		.amdhsa_tg_split 0
		.amdhsa_exception_fp_ieee_invalid_op 0
		.amdhsa_exception_fp_denorm_src 0
		.amdhsa_exception_fp_ieee_div_zero 0
		.amdhsa_exception_fp_ieee_overflow 0
		.amdhsa_exception_fp_ieee_underflow 0
		.amdhsa_exception_fp_ieee_inexact 0
		.amdhsa_exception_int_div_zero 0
	.end_amdhsa_kernel
	.section	.text._ZN7rocprim17ROCPRIM_400000_NS6detail17trampoline_kernelINS0_14default_configENS1_38merge_sort_block_merge_config_selectorIxNS0_10empty_typeEEEZZNS1_27merge_sort_block_merge_implIS3_PxPS5_jNS1_19radix_merge_compareILb1ELb0ExNS0_19identity_decomposerEEEEE10hipError_tT0_T1_T2_jT3_P12ihipStream_tbPNSt15iterator_traitsISE_E10value_typeEPNSK_ISF_E10value_typeEPSG_NS1_7vsmem_tEENKUlT_SE_SF_SG_E_clIS8_S8_S9_S9_EESD_ST_SE_SF_SG_EUlST_E1_NS1_11comp_targetILNS1_3genE9ELNS1_11target_archE1100ELNS1_3gpuE3ELNS1_3repE0EEENS1_36merge_oddeven_config_static_selectorELNS0_4arch9wavefront6targetE1EEEvSF_,"axG",@progbits,_ZN7rocprim17ROCPRIM_400000_NS6detail17trampoline_kernelINS0_14default_configENS1_38merge_sort_block_merge_config_selectorIxNS0_10empty_typeEEEZZNS1_27merge_sort_block_merge_implIS3_PxPS5_jNS1_19radix_merge_compareILb1ELb0ExNS0_19identity_decomposerEEEEE10hipError_tT0_T1_T2_jT3_P12ihipStream_tbPNSt15iterator_traitsISE_E10value_typeEPNSK_ISF_E10value_typeEPSG_NS1_7vsmem_tEENKUlT_SE_SF_SG_E_clIS8_S8_S9_S9_EESD_ST_SE_SF_SG_EUlST_E1_NS1_11comp_targetILNS1_3genE9ELNS1_11target_archE1100ELNS1_3gpuE3ELNS1_3repE0EEENS1_36merge_oddeven_config_static_selectorELNS0_4arch9wavefront6targetE1EEEvSF_,comdat
.Lfunc_end2340:
	.size	_ZN7rocprim17ROCPRIM_400000_NS6detail17trampoline_kernelINS0_14default_configENS1_38merge_sort_block_merge_config_selectorIxNS0_10empty_typeEEEZZNS1_27merge_sort_block_merge_implIS3_PxPS5_jNS1_19radix_merge_compareILb1ELb0ExNS0_19identity_decomposerEEEEE10hipError_tT0_T1_T2_jT3_P12ihipStream_tbPNSt15iterator_traitsISE_E10value_typeEPNSK_ISF_E10value_typeEPSG_NS1_7vsmem_tEENKUlT_SE_SF_SG_E_clIS8_S8_S9_S9_EESD_ST_SE_SF_SG_EUlST_E1_NS1_11comp_targetILNS1_3genE9ELNS1_11target_archE1100ELNS1_3gpuE3ELNS1_3repE0EEENS1_36merge_oddeven_config_static_selectorELNS0_4arch9wavefront6targetE1EEEvSF_, .Lfunc_end2340-_ZN7rocprim17ROCPRIM_400000_NS6detail17trampoline_kernelINS0_14default_configENS1_38merge_sort_block_merge_config_selectorIxNS0_10empty_typeEEEZZNS1_27merge_sort_block_merge_implIS3_PxPS5_jNS1_19radix_merge_compareILb1ELb0ExNS0_19identity_decomposerEEEEE10hipError_tT0_T1_T2_jT3_P12ihipStream_tbPNSt15iterator_traitsISE_E10value_typeEPNSK_ISF_E10value_typeEPSG_NS1_7vsmem_tEENKUlT_SE_SF_SG_E_clIS8_S8_S9_S9_EESD_ST_SE_SF_SG_EUlST_E1_NS1_11comp_targetILNS1_3genE9ELNS1_11target_archE1100ELNS1_3gpuE3ELNS1_3repE0EEENS1_36merge_oddeven_config_static_selectorELNS0_4arch9wavefront6targetE1EEEvSF_
                                        ; -- End function
	.section	.AMDGPU.csdata,"",@progbits
; Kernel info:
; codeLenInByte = 0
; NumSgprs: 4
; NumVgprs: 0
; NumAgprs: 0
; TotalNumVgprs: 0
; ScratchSize: 0
; MemoryBound: 0
; FloatMode: 240
; IeeeMode: 1
; LDSByteSize: 0 bytes/workgroup (compile time only)
; SGPRBlocks: 0
; VGPRBlocks: 0
; NumSGPRsForWavesPerEU: 4
; NumVGPRsForWavesPerEU: 1
; AccumOffset: 4
; Occupancy: 8
; WaveLimiterHint : 0
; COMPUTE_PGM_RSRC2:SCRATCH_EN: 0
; COMPUTE_PGM_RSRC2:USER_SGPR: 6
; COMPUTE_PGM_RSRC2:TRAP_HANDLER: 0
; COMPUTE_PGM_RSRC2:TGID_X_EN: 1
; COMPUTE_PGM_RSRC2:TGID_Y_EN: 0
; COMPUTE_PGM_RSRC2:TGID_Z_EN: 0
; COMPUTE_PGM_RSRC2:TIDIG_COMP_CNT: 0
; COMPUTE_PGM_RSRC3_GFX90A:ACCUM_OFFSET: 0
; COMPUTE_PGM_RSRC3_GFX90A:TG_SPLIT: 0
	.section	.text._ZN7rocprim17ROCPRIM_400000_NS6detail17trampoline_kernelINS0_14default_configENS1_38merge_sort_block_merge_config_selectorIxNS0_10empty_typeEEEZZNS1_27merge_sort_block_merge_implIS3_PxPS5_jNS1_19radix_merge_compareILb1ELb0ExNS0_19identity_decomposerEEEEE10hipError_tT0_T1_T2_jT3_P12ihipStream_tbPNSt15iterator_traitsISE_E10value_typeEPNSK_ISF_E10value_typeEPSG_NS1_7vsmem_tEENKUlT_SE_SF_SG_E_clIS8_S8_S9_S9_EESD_ST_SE_SF_SG_EUlST_E1_NS1_11comp_targetILNS1_3genE8ELNS1_11target_archE1030ELNS1_3gpuE2ELNS1_3repE0EEENS1_36merge_oddeven_config_static_selectorELNS0_4arch9wavefront6targetE1EEEvSF_,"axG",@progbits,_ZN7rocprim17ROCPRIM_400000_NS6detail17trampoline_kernelINS0_14default_configENS1_38merge_sort_block_merge_config_selectorIxNS0_10empty_typeEEEZZNS1_27merge_sort_block_merge_implIS3_PxPS5_jNS1_19radix_merge_compareILb1ELb0ExNS0_19identity_decomposerEEEEE10hipError_tT0_T1_T2_jT3_P12ihipStream_tbPNSt15iterator_traitsISE_E10value_typeEPNSK_ISF_E10value_typeEPSG_NS1_7vsmem_tEENKUlT_SE_SF_SG_E_clIS8_S8_S9_S9_EESD_ST_SE_SF_SG_EUlST_E1_NS1_11comp_targetILNS1_3genE8ELNS1_11target_archE1030ELNS1_3gpuE2ELNS1_3repE0EEENS1_36merge_oddeven_config_static_selectorELNS0_4arch9wavefront6targetE1EEEvSF_,comdat
	.protected	_ZN7rocprim17ROCPRIM_400000_NS6detail17trampoline_kernelINS0_14default_configENS1_38merge_sort_block_merge_config_selectorIxNS0_10empty_typeEEEZZNS1_27merge_sort_block_merge_implIS3_PxPS5_jNS1_19radix_merge_compareILb1ELb0ExNS0_19identity_decomposerEEEEE10hipError_tT0_T1_T2_jT3_P12ihipStream_tbPNSt15iterator_traitsISE_E10value_typeEPNSK_ISF_E10value_typeEPSG_NS1_7vsmem_tEENKUlT_SE_SF_SG_E_clIS8_S8_S9_S9_EESD_ST_SE_SF_SG_EUlST_E1_NS1_11comp_targetILNS1_3genE8ELNS1_11target_archE1030ELNS1_3gpuE2ELNS1_3repE0EEENS1_36merge_oddeven_config_static_selectorELNS0_4arch9wavefront6targetE1EEEvSF_ ; -- Begin function _ZN7rocprim17ROCPRIM_400000_NS6detail17trampoline_kernelINS0_14default_configENS1_38merge_sort_block_merge_config_selectorIxNS0_10empty_typeEEEZZNS1_27merge_sort_block_merge_implIS3_PxPS5_jNS1_19radix_merge_compareILb1ELb0ExNS0_19identity_decomposerEEEEE10hipError_tT0_T1_T2_jT3_P12ihipStream_tbPNSt15iterator_traitsISE_E10value_typeEPNSK_ISF_E10value_typeEPSG_NS1_7vsmem_tEENKUlT_SE_SF_SG_E_clIS8_S8_S9_S9_EESD_ST_SE_SF_SG_EUlST_E1_NS1_11comp_targetILNS1_3genE8ELNS1_11target_archE1030ELNS1_3gpuE2ELNS1_3repE0EEENS1_36merge_oddeven_config_static_selectorELNS0_4arch9wavefront6targetE1EEEvSF_
	.globl	_ZN7rocprim17ROCPRIM_400000_NS6detail17trampoline_kernelINS0_14default_configENS1_38merge_sort_block_merge_config_selectorIxNS0_10empty_typeEEEZZNS1_27merge_sort_block_merge_implIS3_PxPS5_jNS1_19radix_merge_compareILb1ELb0ExNS0_19identity_decomposerEEEEE10hipError_tT0_T1_T2_jT3_P12ihipStream_tbPNSt15iterator_traitsISE_E10value_typeEPNSK_ISF_E10value_typeEPSG_NS1_7vsmem_tEENKUlT_SE_SF_SG_E_clIS8_S8_S9_S9_EESD_ST_SE_SF_SG_EUlST_E1_NS1_11comp_targetILNS1_3genE8ELNS1_11target_archE1030ELNS1_3gpuE2ELNS1_3repE0EEENS1_36merge_oddeven_config_static_selectorELNS0_4arch9wavefront6targetE1EEEvSF_
	.p2align	8
	.type	_ZN7rocprim17ROCPRIM_400000_NS6detail17trampoline_kernelINS0_14default_configENS1_38merge_sort_block_merge_config_selectorIxNS0_10empty_typeEEEZZNS1_27merge_sort_block_merge_implIS3_PxPS5_jNS1_19radix_merge_compareILb1ELb0ExNS0_19identity_decomposerEEEEE10hipError_tT0_T1_T2_jT3_P12ihipStream_tbPNSt15iterator_traitsISE_E10value_typeEPNSK_ISF_E10value_typeEPSG_NS1_7vsmem_tEENKUlT_SE_SF_SG_E_clIS8_S8_S9_S9_EESD_ST_SE_SF_SG_EUlST_E1_NS1_11comp_targetILNS1_3genE8ELNS1_11target_archE1030ELNS1_3gpuE2ELNS1_3repE0EEENS1_36merge_oddeven_config_static_selectorELNS0_4arch9wavefront6targetE1EEEvSF_,@function
_ZN7rocprim17ROCPRIM_400000_NS6detail17trampoline_kernelINS0_14default_configENS1_38merge_sort_block_merge_config_selectorIxNS0_10empty_typeEEEZZNS1_27merge_sort_block_merge_implIS3_PxPS5_jNS1_19radix_merge_compareILb1ELb0ExNS0_19identity_decomposerEEEEE10hipError_tT0_T1_T2_jT3_P12ihipStream_tbPNSt15iterator_traitsISE_E10value_typeEPNSK_ISF_E10value_typeEPSG_NS1_7vsmem_tEENKUlT_SE_SF_SG_E_clIS8_S8_S9_S9_EESD_ST_SE_SF_SG_EUlST_E1_NS1_11comp_targetILNS1_3genE8ELNS1_11target_archE1030ELNS1_3gpuE2ELNS1_3repE0EEENS1_36merge_oddeven_config_static_selectorELNS0_4arch9wavefront6targetE1EEEvSF_: ; @_ZN7rocprim17ROCPRIM_400000_NS6detail17trampoline_kernelINS0_14default_configENS1_38merge_sort_block_merge_config_selectorIxNS0_10empty_typeEEEZZNS1_27merge_sort_block_merge_implIS3_PxPS5_jNS1_19radix_merge_compareILb1ELb0ExNS0_19identity_decomposerEEEEE10hipError_tT0_T1_T2_jT3_P12ihipStream_tbPNSt15iterator_traitsISE_E10value_typeEPNSK_ISF_E10value_typeEPSG_NS1_7vsmem_tEENKUlT_SE_SF_SG_E_clIS8_S8_S9_S9_EESD_ST_SE_SF_SG_EUlST_E1_NS1_11comp_targetILNS1_3genE8ELNS1_11target_archE1030ELNS1_3gpuE2ELNS1_3repE0EEENS1_36merge_oddeven_config_static_selectorELNS0_4arch9wavefront6targetE1EEEvSF_
; %bb.0:
	.section	.rodata,"a",@progbits
	.p2align	6, 0x0
	.amdhsa_kernel _ZN7rocprim17ROCPRIM_400000_NS6detail17trampoline_kernelINS0_14default_configENS1_38merge_sort_block_merge_config_selectorIxNS0_10empty_typeEEEZZNS1_27merge_sort_block_merge_implIS3_PxPS5_jNS1_19radix_merge_compareILb1ELb0ExNS0_19identity_decomposerEEEEE10hipError_tT0_T1_T2_jT3_P12ihipStream_tbPNSt15iterator_traitsISE_E10value_typeEPNSK_ISF_E10value_typeEPSG_NS1_7vsmem_tEENKUlT_SE_SF_SG_E_clIS8_S8_S9_S9_EESD_ST_SE_SF_SG_EUlST_E1_NS1_11comp_targetILNS1_3genE8ELNS1_11target_archE1030ELNS1_3gpuE2ELNS1_3repE0EEENS1_36merge_oddeven_config_static_selectorELNS0_4arch9wavefront6targetE1EEEvSF_
		.amdhsa_group_segment_fixed_size 0
		.amdhsa_private_segment_fixed_size 0
		.amdhsa_kernarg_size 48
		.amdhsa_user_sgpr_count 6
		.amdhsa_user_sgpr_private_segment_buffer 1
		.amdhsa_user_sgpr_dispatch_ptr 0
		.amdhsa_user_sgpr_queue_ptr 0
		.amdhsa_user_sgpr_kernarg_segment_ptr 1
		.amdhsa_user_sgpr_dispatch_id 0
		.amdhsa_user_sgpr_flat_scratch_init 0
		.amdhsa_user_sgpr_kernarg_preload_length 0
		.amdhsa_user_sgpr_kernarg_preload_offset 0
		.amdhsa_user_sgpr_private_segment_size 0
		.amdhsa_uses_dynamic_stack 0
		.amdhsa_system_sgpr_private_segment_wavefront_offset 0
		.amdhsa_system_sgpr_workgroup_id_x 1
		.amdhsa_system_sgpr_workgroup_id_y 0
		.amdhsa_system_sgpr_workgroup_id_z 0
		.amdhsa_system_sgpr_workgroup_info 0
		.amdhsa_system_vgpr_workitem_id 0
		.amdhsa_next_free_vgpr 1
		.amdhsa_next_free_sgpr 0
		.amdhsa_accum_offset 4
		.amdhsa_reserve_vcc 0
		.amdhsa_reserve_flat_scratch 0
		.amdhsa_float_round_mode_32 0
		.amdhsa_float_round_mode_16_64 0
		.amdhsa_float_denorm_mode_32 3
		.amdhsa_float_denorm_mode_16_64 3
		.amdhsa_dx10_clamp 1
		.amdhsa_ieee_mode 1
		.amdhsa_fp16_overflow 0
		.amdhsa_tg_split 0
		.amdhsa_exception_fp_ieee_invalid_op 0
		.amdhsa_exception_fp_denorm_src 0
		.amdhsa_exception_fp_ieee_div_zero 0
		.amdhsa_exception_fp_ieee_overflow 0
		.amdhsa_exception_fp_ieee_underflow 0
		.amdhsa_exception_fp_ieee_inexact 0
		.amdhsa_exception_int_div_zero 0
	.end_amdhsa_kernel
	.section	.text._ZN7rocprim17ROCPRIM_400000_NS6detail17trampoline_kernelINS0_14default_configENS1_38merge_sort_block_merge_config_selectorIxNS0_10empty_typeEEEZZNS1_27merge_sort_block_merge_implIS3_PxPS5_jNS1_19radix_merge_compareILb1ELb0ExNS0_19identity_decomposerEEEEE10hipError_tT0_T1_T2_jT3_P12ihipStream_tbPNSt15iterator_traitsISE_E10value_typeEPNSK_ISF_E10value_typeEPSG_NS1_7vsmem_tEENKUlT_SE_SF_SG_E_clIS8_S8_S9_S9_EESD_ST_SE_SF_SG_EUlST_E1_NS1_11comp_targetILNS1_3genE8ELNS1_11target_archE1030ELNS1_3gpuE2ELNS1_3repE0EEENS1_36merge_oddeven_config_static_selectorELNS0_4arch9wavefront6targetE1EEEvSF_,"axG",@progbits,_ZN7rocprim17ROCPRIM_400000_NS6detail17trampoline_kernelINS0_14default_configENS1_38merge_sort_block_merge_config_selectorIxNS0_10empty_typeEEEZZNS1_27merge_sort_block_merge_implIS3_PxPS5_jNS1_19radix_merge_compareILb1ELb0ExNS0_19identity_decomposerEEEEE10hipError_tT0_T1_T2_jT3_P12ihipStream_tbPNSt15iterator_traitsISE_E10value_typeEPNSK_ISF_E10value_typeEPSG_NS1_7vsmem_tEENKUlT_SE_SF_SG_E_clIS8_S8_S9_S9_EESD_ST_SE_SF_SG_EUlST_E1_NS1_11comp_targetILNS1_3genE8ELNS1_11target_archE1030ELNS1_3gpuE2ELNS1_3repE0EEENS1_36merge_oddeven_config_static_selectorELNS0_4arch9wavefront6targetE1EEEvSF_,comdat
.Lfunc_end2341:
	.size	_ZN7rocprim17ROCPRIM_400000_NS6detail17trampoline_kernelINS0_14default_configENS1_38merge_sort_block_merge_config_selectorIxNS0_10empty_typeEEEZZNS1_27merge_sort_block_merge_implIS3_PxPS5_jNS1_19radix_merge_compareILb1ELb0ExNS0_19identity_decomposerEEEEE10hipError_tT0_T1_T2_jT3_P12ihipStream_tbPNSt15iterator_traitsISE_E10value_typeEPNSK_ISF_E10value_typeEPSG_NS1_7vsmem_tEENKUlT_SE_SF_SG_E_clIS8_S8_S9_S9_EESD_ST_SE_SF_SG_EUlST_E1_NS1_11comp_targetILNS1_3genE8ELNS1_11target_archE1030ELNS1_3gpuE2ELNS1_3repE0EEENS1_36merge_oddeven_config_static_selectorELNS0_4arch9wavefront6targetE1EEEvSF_, .Lfunc_end2341-_ZN7rocprim17ROCPRIM_400000_NS6detail17trampoline_kernelINS0_14default_configENS1_38merge_sort_block_merge_config_selectorIxNS0_10empty_typeEEEZZNS1_27merge_sort_block_merge_implIS3_PxPS5_jNS1_19radix_merge_compareILb1ELb0ExNS0_19identity_decomposerEEEEE10hipError_tT0_T1_T2_jT3_P12ihipStream_tbPNSt15iterator_traitsISE_E10value_typeEPNSK_ISF_E10value_typeEPSG_NS1_7vsmem_tEENKUlT_SE_SF_SG_E_clIS8_S8_S9_S9_EESD_ST_SE_SF_SG_EUlST_E1_NS1_11comp_targetILNS1_3genE8ELNS1_11target_archE1030ELNS1_3gpuE2ELNS1_3repE0EEENS1_36merge_oddeven_config_static_selectorELNS0_4arch9wavefront6targetE1EEEvSF_
                                        ; -- End function
	.section	.AMDGPU.csdata,"",@progbits
; Kernel info:
; codeLenInByte = 0
; NumSgprs: 4
; NumVgprs: 0
; NumAgprs: 0
; TotalNumVgprs: 0
; ScratchSize: 0
; MemoryBound: 0
; FloatMode: 240
; IeeeMode: 1
; LDSByteSize: 0 bytes/workgroup (compile time only)
; SGPRBlocks: 0
; VGPRBlocks: 0
; NumSGPRsForWavesPerEU: 4
; NumVGPRsForWavesPerEU: 1
; AccumOffset: 4
; Occupancy: 8
; WaveLimiterHint : 0
; COMPUTE_PGM_RSRC2:SCRATCH_EN: 0
; COMPUTE_PGM_RSRC2:USER_SGPR: 6
; COMPUTE_PGM_RSRC2:TRAP_HANDLER: 0
; COMPUTE_PGM_RSRC2:TGID_X_EN: 1
; COMPUTE_PGM_RSRC2:TGID_Y_EN: 0
; COMPUTE_PGM_RSRC2:TGID_Z_EN: 0
; COMPUTE_PGM_RSRC2:TIDIG_COMP_CNT: 0
; COMPUTE_PGM_RSRC3_GFX90A:ACCUM_OFFSET: 0
; COMPUTE_PGM_RSRC3_GFX90A:TG_SPLIT: 0
	.section	.text._ZN7rocprim17ROCPRIM_400000_NS6detail17trampoline_kernelINS0_14default_configENS1_38merge_sort_block_merge_config_selectorIxNS0_10empty_typeEEEZZNS1_27merge_sort_block_merge_implIS3_PxPS5_jNS1_19radix_merge_compareILb1ELb1ExNS0_19identity_decomposerEEEEE10hipError_tT0_T1_T2_jT3_P12ihipStream_tbPNSt15iterator_traitsISE_E10value_typeEPNSK_ISF_E10value_typeEPSG_NS1_7vsmem_tEENKUlT_SE_SF_SG_E_clIS8_S8_S9_S9_EESD_ST_SE_SF_SG_EUlST_E_NS1_11comp_targetILNS1_3genE0ELNS1_11target_archE4294967295ELNS1_3gpuE0ELNS1_3repE0EEENS1_48merge_mergepath_partition_config_static_selectorELNS0_4arch9wavefront6targetE1EEEvSF_,"axG",@progbits,_ZN7rocprim17ROCPRIM_400000_NS6detail17trampoline_kernelINS0_14default_configENS1_38merge_sort_block_merge_config_selectorIxNS0_10empty_typeEEEZZNS1_27merge_sort_block_merge_implIS3_PxPS5_jNS1_19radix_merge_compareILb1ELb1ExNS0_19identity_decomposerEEEEE10hipError_tT0_T1_T2_jT3_P12ihipStream_tbPNSt15iterator_traitsISE_E10value_typeEPNSK_ISF_E10value_typeEPSG_NS1_7vsmem_tEENKUlT_SE_SF_SG_E_clIS8_S8_S9_S9_EESD_ST_SE_SF_SG_EUlST_E_NS1_11comp_targetILNS1_3genE0ELNS1_11target_archE4294967295ELNS1_3gpuE0ELNS1_3repE0EEENS1_48merge_mergepath_partition_config_static_selectorELNS0_4arch9wavefront6targetE1EEEvSF_,comdat
	.protected	_ZN7rocprim17ROCPRIM_400000_NS6detail17trampoline_kernelINS0_14default_configENS1_38merge_sort_block_merge_config_selectorIxNS0_10empty_typeEEEZZNS1_27merge_sort_block_merge_implIS3_PxPS5_jNS1_19radix_merge_compareILb1ELb1ExNS0_19identity_decomposerEEEEE10hipError_tT0_T1_T2_jT3_P12ihipStream_tbPNSt15iterator_traitsISE_E10value_typeEPNSK_ISF_E10value_typeEPSG_NS1_7vsmem_tEENKUlT_SE_SF_SG_E_clIS8_S8_S9_S9_EESD_ST_SE_SF_SG_EUlST_E_NS1_11comp_targetILNS1_3genE0ELNS1_11target_archE4294967295ELNS1_3gpuE0ELNS1_3repE0EEENS1_48merge_mergepath_partition_config_static_selectorELNS0_4arch9wavefront6targetE1EEEvSF_ ; -- Begin function _ZN7rocprim17ROCPRIM_400000_NS6detail17trampoline_kernelINS0_14default_configENS1_38merge_sort_block_merge_config_selectorIxNS0_10empty_typeEEEZZNS1_27merge_sort_block_merge_implIS3_PxPS5_jNS1_19radix_merge_compareILb1ELb1ExNS0_19identity_decomposerEEEEE10hipError_tT0_T1_T2_jT3_P12ihipStream_tbPNSt15iterator_traitsISE_E10value_typeEPNSK_ISF_E10value_typeEPSG_NS1_7vsmem_tEENKUlT_SE_SF_SG_E_clIS8_S8_S9_S9_EESD_ST_SE_SF_SG_EUlST_E_NS1_11comp_targetILNS1_3genE0ELNS1_11target_archE4294967295ELNS1_3gpuE0ELNS1_3repE0EEENS1_48merge_mergepath_partition_config_static_selectorELNS0_4arch9wavefront6targetE1EEEvSF_
	.globl	_ZN7rocprim17ROCPRIM_400000_NS6detail17trampoline_kernelINS0_14default_configENS1_38merge_sort_block_merge_config_selectorIxNS0_10empty_typeEEEZZNS1_27merge_sort_block_merge_implIS3_PxPS5_jNS1_19radix_merge_compareILb1ELb1ExNS0_19identity_decomposerEEEEE10hipError_tT0_T1_T2_jT3_P12ihipStream_tbPNSt15iterator_traitsISE_E10value_typeEPNSK_ISF_E10value_typeEPSG_NS1_7vsmem_tEENKUlT_SE_SF_SG_E_clIS8_S8_S9_S9_EESD_ST_SE_SF_SG_EUlST_E_NS1_11comp_targetILNS1_3genE0ELNS1_11target_archE4294967295ELNS1_3gpuE0ELNS1_3repE0EEENS1_48merge_mergepath_partition_config_static_selectorELNS0_4arch9wavefront6targetE1EEEvSF_
	.p2align	8
	.type	_ZN7rocprim17ROCPRIM_400000_NS6detail17trampoline_kernelINS0_14default_configENS1_38merge_sort_block_merge_config_selectorIxNS0_10empty_typeEEEZZNS1_27merge_sort_block_merge_implIS3_PxPS5_jNS1_19radix_merge_compareILb1ELb1ExNS0_19identity_decomposerEEEEE10hipError_tT0_T1_T2_jT3_P12ihipStream_tbPNSt15iterator_traitsISE_E10value_typeEPNSK_ISF_E10value_typeEPSG_NS1_7vsmem_tEENKUlT_SE_SF_SG_E_clIS8_S8_S9_S9_EESD_ST_SE_SF_SG_EUlST_E_NS1_11comp_targetILNS1_3genE0ELNS1_11target_archE4294967295ELNS1_3gpuE0ELNS1_3repE0EEENS1_48merge_mergepath_partition_config_static_selectorELNS0_4arch9wavefront6targetE1EEEvSF_,@function
_ZN7rocprim17ROCPRIM_400000_NS6detail17trampoline_kernelINS0_14default_configENS1_38merge_sort_block_merge_config_selectorIxNS0_10empty_typeEEEZZNS1_27merge_sort_block_merge_implIS3_PxPS5_jNS1_19radix_merge_compareILb1ELb1ExNS0_19identity_decomposerEEEEE10hipError_tT0_T1_T2_jT3_P12ihipStream_tbPNSt15iterator_traitsISE_E10value_typeEPNSK_ISF_E10value_typeEPSG_NS1_7vsmem_tEENKUlT_SE_SF_SG_E_clIS8_S8_S9_S9_EESD_ST_SE_SF_SG_EUlST_E_NS1_11comp_targetILNS1_3genE0ELNS1_11target_archE4294967295ELNS1_3gpuE0ELNS1_3repE0EEENS1_48merge_mergepath_partition_config_static_selectorELNS0_4arch9wavefront6targetE1EEEvSF_: ; @_ZN7rocprim17ROCPRIM_400000_NS6detail17trampoline_kernelINS0_14default_configENS1_38merge_sort_block_merge_config_selectorIxNS0_10empty_typeEEEZZNS1_27merge_sort_block_merge_implIS3_PxPS5_jNS1_19radix_merge_compareILb1ELb1ExNS0_19identity_decomposerEEEEE10hipError_tT0_T1_T2_jT3_P12ihipStream_tbPNSt15iterator_traitsISE_E10value_typeEPNSK_ISF_E10value_typeEPSG_NS1_7vsmem_tEENKUlT_SE_SF_SG_E_clIS8_S8_S9_S9_EESD_ST_SE_SF_SG_EUlST_E_NS1_11comp_targetILNS1_3genE0ELNS1_11target_archE4294967295ELNS1_3gpuE0ELNS1_3repE0EEENS1_48merge_mergepath_partition_config_static_selectorELNS0_4arch9wavefront6targetE1EEEvSF_
; %bb.0:
	.section	.rodata,"a",@progbits
	.p2align	6, 0x0
	.amdhsa_kernel _ZN7rocprim17ROCPRIM_400000_NS6detail17trampoline_kernelINS0_14default_configENS1_38merge_sort_block_merge_config_selectorIxNS0_10empty_typeEEEZZNS1_27merge_sort_block_merge_implIS3_PxPS5_jNS1_19radix_merge_compareILb1ELb1ExNS0_19identity_decomposerEEEEE10hipError_tT0_T1_T2_jT3_P12ihipStream_tbPNSt15iterator_traitsISE_E10value_typeEPNSK_ISF_E10value_typeEPSG_NS1_7vsmem_tEENKUlT_SE_SF_SG_E_clIS8_S8_S9_S9_EESD_ST_SE_SF_SG_EUlST_E_NS1_11comp_targetILNS1_3genE0ELNS1_11target_archE4294967295ELNS1_3gpuE0ELNS1_3repE0EEENS1_48merge_mergepath_partition_config_static_selectorELNS0_4arch9wavefront6targetE1EEEvSF_
		.amdhsa_group_segment_fixed_size 0
		.amdhsa_private_segment_fixed_size 0
		.amdhsa_kernarg_size 40
		.amdhsa_user_sgpr_count 6
		.amdhsa_user_sgpr_private_segment_buffer 1
		.amdhsa_user_sgpr_dispatch_ptr 0
		.amdhsa_user_sgpr_queue_ptr 0
		.amdhsa_user_sgpr_kernarg_segment_ptr 1
		.amdhsa_user_sgpr_dispatch_id 0
		.amdhsa_user_sgpr_flat_scratch_init 0
		.amdhsa_user_sgpr_kernarg_preload_length 0
		.amdhsa_user_sgpr_kernarg_preload_offset 0
		.amdhsa_user_sgpr_private_segment_size 0
		.amdhsa_uses_dynamic_stack 0
		.amdhsa_system_sgpr_private_segment_wavefront_offset 0
		.amdhsa_system_sgpr_workgroup_id_x 1
		.amdhsa_system_sgpr_workgroup_id_y 0
		.amdhsa_system_sgpr_workgroup_id_z 0
		.amdhsa_system_sgpr_workgroup_info 0
		.amdhsa_system_vgpr_workitem_id 0
		.amdhsa_next_free_vgpr 1
		.amdhsa_next_free_sgpr 0
		.amdhsa_accum_offset 4
		.amdhsa_reserve_vcc 0
		.amdhsa_reserve_flat_scratch 0
		.amdhsa_float_round_mode_32 0
		.amdhsa_float_round_mode_16_64 0
		.amdhsa_float_denorm_mode_32 3
		.amdhsa_float_denorm_mode_16_64 3
		.amdhsa_dx10_clamp 1
		.amdhsa_ieee_mode 1
		.amdhsa_fp16_overflow 0
		.amdhsa_tg_split 0
		.amdhsa_exception_fp_ieee_invalid_op 0
		.amdhsa_exception_fp_denorm_src 0
		.amdhsa_exception_fp_ieee_div_zero 0
		.amdhsa_exception_fp_ieee_overflow 0
		.amdhsa_exception_fp_ieee_underflow 0
		.amdhsa_exception_fp_ieee_inexact 0
		.amdhsa_exception_int_div_zero 0
	.end_amdhsa_kernel
	.section	.text._ZN7rocprim17ROCPRIM_400000_NS6detail17trampoline_kernelINS0_14default_configENS1_38merge_sort_block_merge_config_selectorIxNS0_10empty_typeEEEZZNS1_27merge_sort_block_merge_implIS3_PxPS5_jNS1_19radix_merge_compareILb1ELb1ExNS0_19identity_decomposerEEEEE10hipError_tT0_T1_T2_jT3_P12ihipStream_tbPNSt15iterator_traitsISE_E10value_typeEPNSK_ISF_E10value_typeEPSG_NS1_7vsmem_tEENKUlT_SE_SF_SG_E_clIS8_S8_S9_S9_EESD_ST_SE_SF_SG_EUlST_E_NS1_11comp_targetILNS1_3genE0ELNS1_11target_archE4294967295ELNS1_3gpuE0ELNS1_3repE0EEENS1_48merge_mergepath_partition_config_static_selectorELNS0_4arch9wavefront6targetE1EEEvSF_,"axG",@progbits,_ZN7rocprim17ROCPRIM_400000_NS6detail17trampoline_kernelINS0_14default_configENS1_38merge_sort_block_merge_config_selectorIxNS0_10empty_typeEEEZZNS1_27merge_sort_block_merge_implIS3_PxPS5_jNS1_19radix_merge_compareILb1ELb1ExNS0_19identity_decomposerEEEEE10hipError_tT0_T1_T2_jT3_P12ihipStream_tbPNSt15iterator_traitsISE_E10value_typeEPNSK_ISF_E10value_typeEPSG_NS1_7vsmem_tEENKUlT_SE_SF_SG_E_clIS8_S8_S9_S9_EESD_ST_SE_SF_SG_EUlST_E_NS1_11comp_targetILNS1_3genE0ELNS1_11target_archE4294967295ELNS1_3gpuE0ELNS1_3repE0EEENS1_48merge_mergepath_partition_config_static_selectorELNS0_4arch9wavefront6targetE1EEEvSF_,comdat
.Lfunc_end2342:
	.size	_ZN7rocprim17ROCPRIM_400000_NS6detail17trampoline_kernelINS0_14default_configENS1_38merge_sort_block_merge_config_selectorIxNS0_10empty_typeEEEZZNS1_27merge_sort_block_merge_implIS3_PxPS5_jNS1_19radix_merge_compareILb1ELb1ExNS0_19identity_decomposerEEEEE10hipError_tT0_T1_T2_jT3_P12ihipStream_tbPNSt15iterator_traitsISE_E10value_typeEPNSK_ISF_E10value_typeEPSG_NS1_7vsmem_tEENKUlT_SE_SF_SG_E_clIS8_S8_S9_S9_EESD_ST_SE_SF_SG_EUlST_E_NS1_11comp_targetILNS1_3genE0ELNS1_11target_archE4294967295ELNS1_3gpuE0ELNS1_3repE0EEENS1_48merge_mergepath_partition_config_static_selectorELNS0_4arch9wavefront6targetE1EEEvSF_, .Lfunc_end2342-_ZN7rocprim17ROCPRIM_400000_NS6detail17trampoline_kernelINS0_14default_configENS1_38merge_sort_block_merge_config_selectorIxNS0_10empty_typeEEEZZNS1_27merge_sort_block_merge_implIS3_PxPS5_jNS1_19radix_merge_compareILb1ELb1ExNS0_19identity_decomposerEEEEE10hipError_tT0_T1_T2_jT3_P12ihipStream_tbPNSt15iterator_traitsISE_E10value_typeEPNSK_ISF_E10value_typeEPSG_NS1_7vsmem_tEENKUlT_SE_SF_SG_E_clIS8_S8_S9_S9_EESD_ST_SE_SF_SG_EUlST_E_NS1_11comp_targetILNS1_3genE0ELNS1_11target_archE4294967295ELNS1_3gpuE0ELNS1_3repE0EEENS1_48merge_mergepath_partition_config_static_selectorELNS0_4arch9wavefront6targetE1EEEvSF_
                                        ; -- End function
	.section	.AMDGPU.csdata,"",@progbits
; Kernel info:
; codeLenInByte = 0
; NumSgprs: 4
; NumVgprs: 0
; NumAgprs: 0
; TotalNumVgprs: 0
; ScratchSize: 0
; MemoryBound: 0
; FloatMode: 240
; IeeeMode: 1
; LDSByteSize: 0 bytes/workgroup (compile time only)
; SGPRBlocks: 0
; VGPRBlocks: 0
; NumSGPRsForWavesPerEU: 4
; NumVGPRsForWavesPerEU: 1
; AccumOffset: 4
; Occupancy: 8
; WaveLimiterHint : 0
; COMPUTE_PGM_RSRC2:SCRATCH_EN: 0
; COMPUTE_PGM_RSRC2:USER_SGPR: 6
; COMPUTE_PGM_RSRC2:TRAP_HANDLER: 0
; COMPUTE_PGM_RSRC2:TGID_X_EN: 1
; COMPUTE_PGM_RSRC2:TGID_Y_EN: 0
; COMPUTE_PGM_RSRC2:TGID_Z_EN: 0
; COMPUTE_PGM_RSRC2:TIDIG_COMP_CNT: 0
; COMPUTE_PGM_RSRC3_GFX90A:ACCUM_OFFSET: 0
; COMPUTE_PGM_RSRC3_GFX90A:TG_SPLIT: 0
	.section	.text._ZN7rocprim17ROCPRIM_400000_NS6detail17trampoline_kernelINS0_14default_configENS1_38merge_sort_block_merge_config_selectorIxNS0_10empty_typeEEEZZNS1_27merge_sort_block_merge_implIS3_PxPS5_jNS1_19radix_merge_compareILb1ELb1ExNS0_19identity_decomposerEEEEE10hipError_tT0_T1_T2_jT3_P12ihipStream_tbPNSt15iterator_traitsISE_E10value_typeEPNSK_ISF_E10value_typeEPSG_NS1_7vsmem_tEENKUlT_SE_SF_SG_E_clIS8_S8_S9_S9_EESD_ST_SE_SF_SG_EUlST_E_NS1_11comp_targetILNS1_3genE10ELNS1_11target_archE1201ELNS1_3gpuE5ELNS1_3repE0EEENS1_48merge_mergepath_partition_config_static_selectorELNS0_4arch9wavefront6targetE1EEEvSF_,"axG",@progbits,_ZN7rocprim17ROCPRIM_400000_NS6detail17trampoline_kernelINS0_14default_configENS1_38merge_sort_block_merge_config_selectorIxNS0_10empty_typeEEEZZNS1_27merge_sort_block_merge_implIS3_PxPS5_jNS1_19radix_merge_compareILb1ELb1ExNS0_19identity_decomposerEEEEE10hipError_tT0_T1_T2_jT3_P12ihipStream_tbPNSt15iterator_traitsISE_E10value_typeEPNSK_ISF_E10value_typeEPSG_NS1_7vsmem_tEENKUlT_SE_SF_SG_E_clIS8_S8_S9_S9_EESD_ST_SE_SF_SG_EUlST_E_NS1_11comp_targetILNS1_3genE10ELNS1_11target_archE1201ELNS1_3gpuE5ELNS1_3repE0EEENS1_48merge_mergepath_partition_config_static_selectorELNS0_4arch9wavefront6targetE1EEEvSF_,comdat
	.protected	_ZN7rocprim17ROCPRIM_400000_NS6detail17trampoline_kernelINS0_14default_configENS1_38merge_sort_block_merge_config_selectorIxNS0_10empty_typeEEEZZNS1_27merge_sort_block_merge_implIS3_PxPS5_jNS1_19radix_merge_compareILb1ELb1ExNS0_19identity_decomposerEEEEE10hipError_tT0_T1_T2_jT3_P12ihipStream_tbPNSt15iterator_traitsISE_E10value_typeEPNSK_ISF_E10value_typeEPSG_NS1_7vsmem_tEENKUlT_SE_SF_SG_E_clIS8_S8_S9_S9_EESD_ST_SE_SF_SG_EUlST_E_NS1_11comp_targetILNS1_3genE10ELNS1_11target_archE1201ELNS1_3gpuE5ELNS1_3repE0EEENS1_48merge_mergepath_partition_config_static_selectorELNS0_4arch9wavefront6targetE1EEEvSF_ ; -- Begin function _ZN7rocprim17ROCPRIM_400000_NS6detail17trampoline_kernelINS0_14default_configENS1_38merge_sort_block_merge_config_selectorIxNS0_10empty_typeEEEZZNS1_27merge_sort_block_merge_implIS3_PxPS5_jNS1_19radix_merge_compareILb1ELb1ExNS0_19identity_decomposerEEEEE10hipError_tT0_T1_T2_jT3_P12ihipStream_tbPNSt15iterator_traitsISE_E10value_typeEPNSK_ISF_E10value_typeEPSG_NS1_7vsmem_tEENKUlT_SE_SF_SG_E_clIS8_S8_S9_S9_EESD_ST_SE_SF_SG_EUlST_E_NS1_11comp_targetILNS1_3genE10ELNS1_11target_archE1201ELNS1_3gpuE5ELNS1_3repE0EEENS1_48merge_mergepath_partition_config_static_selectorELNS0_4arch9wavefront6targetE1EEEvSF_
	.globl	_ZN7rocprim17ROCPRIM_400000_NS6detail17trampoline_kernelINS0_14default_configENS1_38merge_sort_block_merge_config_selectorIxNS0_10empty_typeEEEZZNS1_27merge_sort_block_merge_implIS3_PxPS5_jNS1_19radix_merge_compareILb1ELb1ExNS0_19identity_decomposerEEEEE10hipError_tT0_T1_T2_jT3_P12ihipStream_tbPNSt15iterator_traitsISE_E10value_typeEPNSK_ISF_E10value_typeEPSG_NS1_7vsmem_tEENKUlT_SE_SF_SG_E_clIS8_S8_S9_S9_EESD_ST_SE_SF_SG_EUlST_E_NS1_11comp_targetILNS1_3genE10ELNS1_11target_archE1201ELNS1_3gpuE5ELNS1_3repE0EEENS1_48merge_mergepath_partition_config_static_selectorELNS0_4arch9wavefront6targetE1EEEvSF_
	.p2align	8
	.type	_ZN7rocprim17ROCPRIM_400000_NS6detail17trampoline_kernelINS0_14default_configENS1_38merge_sort_block_merge_config_selectorIxNS0_10empty_typeEEEZZNS1_27merge_sort_block_merge_implIS3_PxPS5_jNS1_19radix_merge_compareILb1ELb1ExNS0_19identity_decomposerEEEEE10hipError_tT0_T1_T2_jT3_P12ihipStream_tbPNSt15iterator_traitsISE_E10value_typeEPNSK_ISF_E10value_typeEPSG_NS1_7vsmem_tEENKUlT_SE_SF_SG_E_clIS8_S8_S9_S9_EESD_ST_SE_SF_SG_EUlST_E_NS1_11comp_targetILNS1_3genE10ELNS1_11target_archE1201ELNS1_3gpuE5ELNS1_3repE0EEENS1_48merge_mergepath_partition_config_static_selectorELNS0_4arch9wavefront6targetE1EEEvSF_,@function
_ZN7rocprim17ROCPRIM_400000_NS6detail17trampoline_kernelINS0_14default_configENS1_38merge_sort_block_merge_config_selectorIxNS0_10empty_typeEEEZZNS1_27merge_sort_block_merge_implIS3_PxPS5_jNS1_19radix_merge_compareILb1ELb1ExNS0_19identity_decomposerEEEEE10hipError_tT0_T1_T2_jT3_P12ihipStream_tbPNSt15iterator_traitsISE_E10value_typeEPNSK_ISF_E10value_typeEPSG_NS1_7vsmem_tEENKUlT_SE_SF_SG_E_clIS8_S8_S9_S9_EESD_ST_SE_SF_SG_EUlST_E_NS1_11comp_targetILNS1_3genE10ELNS1_11target_archE1201ELNS1_3gpuE5ELNS1_3repE0EEENS1_48merge_mergepath_partition_config_static_selectorELNS0_4arch9wavefront6targetE1EEEvSF_: ; @_ZN7rocprim17ROCPRIM_400000_NS6detail17trampoline_kernelINS0_14default_configENS1_38merge_sort_block_merge_config_selectorIxNS0_10empty_typeEEEZZNS1_27merge_sort_block_merge_implIS3_PxPS5_jNS1_19radix_merge_compareILb1ELb1ExNS0_19identity_decomposerEEEEE10hipError_tT0_T1_T2_jT3_P12ihipStream_tbPNSt15iterator_traitsISE_E10value_typeEPNSK_ISF_E10value_typeEPSG_NS1_7vsmem_tEENKUlT_SE_SF_SG_E_clIS8_S8_S9_S9_EESD_ST_SE_SF_SG_EUlST_E_NS1_11comp_targetILNS1_3genE10ELNS1_11target_archE1201ELNS1_3gpuE5ELNS1_3repE0EEENS1_48merge_mergepath_partition_config_static_selectorELNS0_4arch9wavefront6targetE1EEEvSF_
; %bb.0:
	.section	.rodata,"a",@progbits
	.p2align	6, 0x0
	.amdhsa_kernel _ZN7rocprim17ROCPRIM_400000_NS6detail17trampoline_kernelINS0_14default_configENS1_38merge_sort_block_merge_config_selectorIxNS0_10empty_typeEEEZZNS1_27merge_sort_block_merge_implIS3_PxPS5_jNS1_19radix_merge_compareILb1ELb1ExNS0_19identity_decomposerEEEEE10hipError_tT0_T1_T2_jT3_P12ihipStream_tbPNSt15iterator_traitsISE_E10value_typeEPNSK_ISF_E10value_typeEPSG_NS1_7vsmem_tEENKUlT_SE_SF_SG_E_clIS8_S8_S9_S9_EESD_ST_SE_SF_SG_EUlST_E_NS1_11comp_targetILNS1_3genE10ELNS1_11target_archE1201ELNS1_3gpuE5ELNS1_3repE0EEENS1_48merge_mergepath_partition_config_static_selectorELNS0_4arch9wavefront6targetE1EEEvSF_
		.amdhsa_group_segment_fixed_size 0
		.amdhsa_private_segment_fixed_size 0
		.amdhsa_kernarg_size 40
		.amdhsa_user_sgpr_count 6
		.amdhsa_user_sgpr_private_segment_buffer 1
		.amdhsa_user_sgpr_dispatch_ptr 0
		.amdhsa_user_sgpr_queue_ptr 0
		.amdhsa_user_sgpr_kernarg_segment_ptr 1
		.amdhsa_user_sgpr_dispatch_id 0
		.amdhsa_user_sgpr_flat_scratch_init 0
		.amdhsa_user_sgpr_kernarg_preload_length 0
		.amdhsa_user_sgpr_kernarg_preload_offset 0
		.amdhsa_user_sgpr_private_segment_size 0
		.amdhsa_uses_dynamic_stack 0
		.amdhsa_system_sgpr_private_segment_wavefront_offset 0
		.amdhsa_system_sgpr_workgroup_id_x 1
		.amdhsa_system_sgpr_workgroup_id_y 0
		.amdhsa_system_sgpr_workgroup_id_z 0
		.amdhsa_system_sgpr_workgroup_info 0
		.amdhsa_system_vgpr_workitem_id 0
		.amdhsa_next_free_vgpr 1
		.amdhsa_next_free_sgpr 0
		.amdhsa_accum_offset 4
		.amdhsa_reserve_vcc 0
		.amdhsa_reserve_flat_scratch 0
		.amdhsa_float_round_mode_32 0
		.amdhsa_float_round_mode_16_64 0
		.amdhsa_float_denorm_mode_32 3
		.amdhsa_float_denorm_mode_16_64 3
		.amdhsa_dx10_clamp 1
		.amdhsa_ieee_mode 1
		.amdhsa_fp16_overflow 0
		.amdhsa_tg_split 0
		.amdhsa_exception_fp_ieee_invalid_op 0
		.amdhsa_exception_fp_denorm_src 0
		.amdhsa_exception_fp_ieee_div_zero 0
		.amdhsa_exception_fp_ieee_overflow 0
		.amdhsa_exception_fp_ieee_underflow 0
		.amdhsa_exception_fp_ieee_inexact 0
		.amdhsa_exception_int_div_zero 0
	.end_amdhsa_kernel
	.section	.text._ZN7rocprim17ROCPRIM_400000_NS6detail17trampoline_kernelINS0_14default_configENS1_38merge_sort_block_merge_config_selectorIxNS0_10empty_typeEEEZZNS1_27merge_sort_block_merge_implIS3_PxPS5_jNS1_19radix_merge_compareILb1ELb1ExNS0_19identity_decomposerEEEEE10hipError_tT0_T1_T2_jT3_P12ihipStream_tbPNSt15iterator_traitsISE_E10value_typeEPNSK_ISF_E10value_typeEPSG_NS1_7vsmem_tEENKUlT_SE_SF_SG_E_clIS8_S8_S9_S9_EESD_ST_SE_SF_SG_EUlST_E_NS1_11comp_targetILNS1_3genE10ELNS1_11target_archE1201ELNS1_3gpuE5ELNS1_3repE0EEENS1_48merge_mergepath_partition_config_static_selectorELNS0_4arch9wavefront6targetE1EEEvSF_,"axG",@progbits,_ZN7rocprim17ROCPRIM_400000_NS6detail17trampoline_kernelINS0_14default_configENS1_38merge_sort_block_merge_config_selectorIxNS0_10empty_typeEEEZZNS1_27merge_sort_block_merge_implIS3_PxPS5_jNS1_19radix_merge_compareILb1ELb1ExNS0_19identity_decomposerEEEEE10hipError_tT0_T1_T2_jT3_P12ihipStream_tbPNSt15iterator_traitsISE_E10value_typeEPNSK_ISF_E10value_typeEPSG_NS1_7vsmem_tEENKUlT_SE_SF_SG_E_clIS8_S8_S9_S9_EESD_ST_SE_SF_SG_EUlST_E_NS1_11comp_targetILNS1_3genE10ELNS1_11target_archE1201ELNS1_3gpuE5ELNS1_3repE0EEENS1_48merge_mergepath_partition_config_static_selectorELNS0_4arch9wavefront6targetE1EEEvSF_,comdat
.Lfunc_end2343:
	.size	_ZN7rocprim17ROCPRIM_400000_NS6detail17trampoline_kernelINS0_14default_configENS1_38merge_sort_block_merge_config_selectorIxNS0_10empty_typeEEEZZNS1_27merge_sort_block_merge_implIS3_PxPS5_jNS1_19radix_merge_compareILb1ELb1ExNS0_19identity_decomposerEEEEE10hipError_tT0_T1_T2_jT3_P12ihipStream_tbPNSt15iterator_traitsISE_E10value_typeEPNSK_ISF_E10value_typeEPSG_NS1_7vsmem_tEENKUlT_SE_SF_SG_E_clIS8_S8_S9_S9_EESD_ST_SE_SF_SG_EUlST_E_NS1_11comp_targetILNS1_3genE10ELNS1_11target_archE1201ELNS1_3gpuE5ELNS1_3repE0EEENS1_48merge_mergepath_partition_config_static_selectorELNS0_4arch9wavefront6targetE1EEEvSF_, .Lfunc_end2343-_ZN7rocprim17ROCPRIM_400000_NS6detail17trampoline_kernelINS0_14default_configENS1_38merge_sort_block_merge_config_selectorIxNS0_10empty_typeEEEZZNS1_27merge_sort_block_merge_implIS3_PxPS5_jNS1_19radix_merge_compareILb1ELb1ExNS0_19identity_decomposerEEEEE10hipError_tT0_T1_T2_jT3_P12ihipStream_tbPNSt15iterator_traitsISE_E10value_typeEPNSK_ISF_E10value_typeEPSG_NS1_7vsmem_tEENKUlT_SE_SF_SG_E_clIS8_S8_S9_S9_EESD_ST_SE_SF_SG_EUlST_E_NS1_11comp_targetILNS1_3genE10ELNS1_11target_archE1201ELNS1_3gpuE5ELNS1_3repE0EEENS1_48merge_mergepath_partition_config_static_selectorELNS0_4arch9wavefront6targetE1EEEvSF_
                                        ; -- End function
	.section	.AMDGPU.csdata,"",@progbits
; Kernel info:
; codeLenInByte = 0
; NumSgprs: 4
; NumVgprs: 0
; NumAgprs: 0
; TotalNumVgprs: 0
; ScratchSize: 0
; MemoryBound: 0
; FloatMode: 240
; IeeeMode: 1
; LDSByteSize: 0 bytes/workgroup (compile time only)
; SGPRBlocks: 0
; VGPRBlocks: 0
; NumSGPRsForWavesPerEU: 4
; NumVGPRsForWavesPerEU: 1
; AccumOffset: 4
; Occupancy: 8
; WaveLimiterHint : 0
; COMPUTE_PGM_RSRC2:SCRATCH_EN: 0
; COMPUTE_PGM_RSRC2:USER_SGPR: 6
; COMPUTE_PGM_RSRC2:TRAP_HANDLER: 0
; COMPUTE_PGM_RSRC2:TGID_X_EN: 1
; COMPUTE_PGM_RSRC2:TGID_Y_EN: 0
; COMPUTE_PGM_RSRC2:TGID_Z_EN: 0
; COMPUTE_PGM_RSRC2:TIDIG_COMP_CNT: 0
; COMPUTE_PGM_RSRC3_GFX90A:ACCUM_OFFSET: 0
; COMPUTE_PGM_RSRC3_GFX90A:TG_SPLIT: 0
	.section	.text._ZN7rocprim17ROCPRIM_400000_NS6detail17trampoline_kernelINS0_14default_configENS1_38merge_sort_block_merge_config_selectorIxNS0_10empty_typeEEEZZNS1_27merge_sort_block_merge_implIS3_PxPS5_jNS1_19radix_merge_compareILb1ELb1ExNS0_19identity_decomposerEEEEE10hipError_tT0_T1_T2_jT3_P12ihipStream_tbPNSt15iterator_traitsISE_E10value_typeEPNSK_ISF_E10value_typeEPSG_NS1_7vsmem_tEENKUlT_SE_SF_SG_E_clIS8_S8_S9_S9_EESD_ST_SE_SF_SG_EUlST_E_NS1_11comp_targetILNS1_3genE5ELNS1_11target_archE942ELNS1_3gpuE9ELNS1_3repE0EEENS1_48merge_mergepath_partition_config_static_selectorELNS0_4arch9wavefront6targetE1EEEvSF_,"axG",@progbits,_ZN7rocprim17ROCPRIM_400000_NS6detail17trampoline_kernelINS0_14default_configENS1_38merge_sort_block_merge_config_selectorIxNS0_10empty_typeEEEZZNS1_27merge_sort_block_merge_implIS3_PxPS5_jNS1_19radix_merge_compareILb1ELb1ExNS0_19identity_decomposerEEEEE10hipError_tT0_T1_T2_jT3_P12ihipStream_tbPNSt15iterator_traitsISE_E10value_typeEPNSK_ISF_E10value_typeEPSG_NS1_7vsmem_tEENKUlT_SE_SF_SG_E_clIS8_S8_S9_S9_EESD_ST_SE_SF_SG_EUlST_E_NS1_11comp_targetILNS1_3genE5ELNS1_11target_archE942ELNS1_3gpuE9ELNS1_3repE0EEENS1_48merge_mergepath_partition_config_static_selectorELNS0_4arch9wavefront6targetE1EEEvSF_,comdat
	.protected	_ZN7rocprim17ROCPRIM_400000_NS6detail17trampoline_kernelINS0_14default_configENS1_38merge_sort_block_merge_config_selectorIxNS0_10empty_typeEEEZZNS1_27merge_sort_block_merge_implIS3_PxPS5_jNS1_19radix_merge_compareILb1ELb1ExNS0_19identity_decomposerEEEEE10hipError_tT0_T1_T2_jT3_P12ihipStream_tbPNSt15iterator_traitsISE_E10value_typeEPNSK_ISF_E10value_typeEPSG_NS1_7vsmem_tEENKUlT_SE_SF_SG_E_clIS8_S8_S9_S9_EESD_ST_SE_SF_SG_EUlST_E_NS1_11comp_targetILNS1_3genE5ELNS1_11target_archE942ELNS1_3gpuE9ELNS1_3repE0EEENS1_48merge_mergepath_partition_config_static_selectorELNS0_4arch9wavefront6targetE1EEEvSF_ ; -- Begin function _ZN7rocprim17ROCPRIM_400000_NS6detail17trampoline_kernelINS0_14default_configENS1_38merge_sort_block_merge_config_selectorIxNS0_10empty_typeEEEZZNS1_27merge_sort_block_merge_implIS3_PxPS5_jNS1_19radix_merge_compareILb1ELb1ExNS0_19identity_decomposerEEEEE10hipError_tT0_T1_T2_jT3_P12ihipStream_tbPNSt15iterator_traitsISE_E10value_typeEPNSK_ISF_E10value_typeEPSG_NS1_7vsmem_tEENKUlT_SE_SF_SG_E_clIS8_S8_S9_S9_EESD_ST_SE_SF_SG_EUlST_E_NS1_11comp_targetILNS1_3genE5ELNS1_11target_archE942ELNS1_3gpuE9ELNS1_3repE0EEENS1_48merge_mergepath_partition_config_static_selectorELNS0_4arch9wavefront6targetE1EEEvSF_
	.globl	_ZN7rocprim17ROCPRIM_400000_NS6detail17trampoline_kernelINS0_14default_configENS1_38merge_sort_block_merge_config_selectorIxNS0_10empty_typeEEEZZNS1_27merge_sort_block_merge_implIS3_PxPS5_jNS1_19radix_merge_compareILb1ELb1ExNS0_19identity_decomposerEEEEE10hipError_tT0_T1_T2_jT3_P12ihipStream_tbPNSt15iterator_traitsISE_E10value_typeEPNSK_ISF_E10value_typeEPSG_NS1_7vsmem_tEENKUlT_SE_SF_SG_E_clIS8_S8_S9_S9_EESD_ST_SE_SF_SG_EUlST_E_NS1_11comp_targetILNS1_3genE5ELNS1_11target_archE942ELNS1_3gpuE9ELNS1_3repE0EEENS1_48merge_mergepath_partition_config_static_selectorELNS0_4arch9wavefront6targetE1EEEvSF_
	.p2align	8
	.type	_ZN7rocprim17ROCPRIM_400000_NS6detail17trampoline_kernelINS0_14default_configENS1_38merge_sort_block_merge_config_selectorIxNS0_10empty_typeEEEZZNS1_27merge_sort_block_merge_implIS3_PxPS5_jNS1_19radix_merge_compareILb1ELb1ExNS0_19identity_decomposerEEEEE10hipError_tT0_T1_T2_jT3_P12ihipStream_tbPNSt15iterator_traitsISE_E10value_typeEPNSK_ISF_E10value_typeEPSG_NS1_7vsmem_tEENKUlT_SE_SF_SG_E_clIS8_S8_S9_S9_EESD_ST_SE_SF_SG_EUlST_E_NS1_11comp_targetILNS1_3genE5ELNS1_11target_archE942ELNS1_3gpuE9ELNS1_3repE0EEENS1_48merge_mergepath_partition_config_static_selectorELNS0_4arch9wavefront6targetE1EEEvSF_,@function
_ZN7rocprim17ROCPRIM_400000_NS6detail17trampoline_kernelINS0_14default_configENS1_38merge_sort_block_merge_config_selectorIxNS0_10empty_typeEEEZZNS1_27merge_sort_block_merge_implIS3_PxPS5_jNS1_19radix_merge_compareILb1ELb1ExNS0_19identity_decomposerEEEEE10hipError_tT0_T1_T2_jT3_P12ihipStream_tbPNSt15iterator_traitsISE_E10value_typeEPNSK_ISF_E10value_typeEPSG_NS1_7vsmem_tEENKUlT_SE_SF_SG_E_clIS8_S8_S9_S9_EESD_ST_SE_SF_SG_EUlST_E_NS1_11comp_targetILNS1_3genE5ELNS1_11target_archE942ELNS1_3gpuE9ELNS1_3repE0EEENS1_48merge_mergepath_partition_config_static_selectorELNS0_4arch9wavefront6targetE1EEEvSF_: ; @_ZN7rocprim17ROCPRIM_400000_NS6detail17trampoline_kernelINS0_14default_configENS1_38merge_sort_block_merge_config_selectorIxNS0_10empty_typeEEEZZNS1_27merge_sort_block_merge_implIS3_PxPS5_jNS1_19radix_merge_compareILb1ELb1ExNS0_19identity_decomposerEEEEE10hipError_tT0_T1_T2_jT3_P12ihipStream_tbPNSt15iterator_traitsISE_E10value_typeEPNSK_ISF_E10value_typeEPSG_NS1_7vsmem_tEENKUlT_SE_SF_SG_E_clIS8_S8_S9_S9_EESD_ST_SE_SF_SG_EUlST_E_NS1_11comp_targetILNS1_3genE5ELNS1_11target_archE942ELNS1_3gpuE9ELNS1_3repE0EEENS1_48merge_mergepath_partition_config_static_selectorELNS0_4arch9wavefront6targetE1EEEvSF_
; %bb.0:
	.section	.rodata,"a",@progbits
	.p2align	6, 0x0
	.amdhsa_kernel _ZN7rocprim17ROCPRIM_400000_NS6detail17trampoline_kernelINS0_14default_configENS1_38merge_sort_block_merge_config_selectorIxNS0_10empty_typeEEEZZNS1_27merge_sort_block_merge_implIS3_PxPS5_jNS1_19radix_merge_compareILb1ELb1ExNS0_19identity_decomposerEEEEE10hipError_tT0_T1_T2_jT3_P12ihipStream_tbPNSt15iterator_traitsISE_E10value_typeEPNSK_ISF_E10value_typeEPSG_NS1_7vsmem_tEENKUlT_SE_SF_SG_E_clIS8_S8_S9_S9_EESD_ST_SE_SF_SG_EUlST_E_NS1_11comp_targetILNS1_3genE5ELNS1_11target_archE942ELNS1_3gpuE9ELNS1_3repE0EEENS1_48merge_mergepath_partition_config_static_selectorELNS0_4arch9wavefront6targetE1EEEvSF_
		.amdhsa_group_segment_fixed_size 0
		.amdhsa_private_segment_fixed_size 0
		.amdhsa_kernarg_size 40
		.amdhsa_user_sgpr_count 6
		.amdhsa_user_sgpr_private_segment_buffer 1
		.amdhsa_user_sgpr_dispatch_ptr 0
		.amdhsa_user_sgpr_queue_ptr 0
		.amdhsa_user_sgpr_kernarg_segment_ptr 1
		.amdhsa_user_sgpr_dispatch_id 0
		.amdhsa_user_sgpr_flat_scratch_init 0
		.amdhsa_user_sgpr_kernarg_preload_length 0
		.amdhsa_user_sgpr_kernarg_preload_offset 0
		.amdhsa_user_sgpr_private_segment_size 0
		.amdhsa_uses_dynamic_stack 0
		.amdhsa_system_sgpr_private_segment_wavefront_offset 0
		.amdhsa_system_sgpr_workgroup_id_x 1
		.amdhsa_system_sgpr_workgroup_id_y 0
		.amdhsa_system_sgpr_workgroup_id_z 0
		.amdhsa_system_sgpr_workgroup_info 0
		.amdhsa_system_vgpr_workitem_id 0
		.amdhsa_next_free_vgpr 1
		.amdhsa_next_free_sgpr 0
		.amdhsa_accum_offset 4
		.amdhsa_reserve_vcc 0
		.amdhsa_reserve_flat_scratch 0
		.amdhsa_float_round_mode_32 0
		.amdhsa_float_round_mode_16_64 0
		.amdhsa_float_denorm_mode_32 3
		.amdhsa_float_denorm_mode_16_64 3
		.amdhsa_dx10_clamp 1
		.amdhsa_ieee_mode 1
		.amdhsa_fp16_overflow 0
		.amdhsa_tg_split 0
		.amdhsa_exception_fp_ieee_invalid_op 0
		.amdhsa_exception_fp_denorm_src 0
		.amdhsa_exception_fp_ieee_div_zero 0
		.amdhsa_exception_fp_ieee_overflow 0
		.amdhsa_exception_fp_ieee_underflow 0
		.amdhsa_exception_fp_ieee_inexact 0
		.amdhsa_exception_int_div_zero 0
	.end_amdhsa_kernel
	.section	.text._ZN7rocprim17ROCPRIM_400000_NS6detail17trampoline_kernelINS0_14default_configENS1_38merge_sort_block_merge_config_selectorIxNS0_10empty_typeEEEZZNS1_27merge_sort_block_merge_implIS3_PxPS5_jNS1_19radix_merge_compareILb1ELb1ExNS0_19identity_decomposerEEEEE10hipError_tT0_T1_T2_jT3_P12ihipStream_tbPNSt15iterator_traitsISE_E10value_typeEPNSK_ISF_E10value_typeEPSG_NS1_7vsmem_tEENKUlT_SE_SF_SG_E_clIS8_S8_S9_S9_EESD_ST_SE_SF_SG_EUlST_E_NS1_11comp_targetILNS1_3genE5ELNS1_11target_archE942ELNS1_3gpuE9ELNS1_3repE0EEENS1_48merge_mergepath_partition_config_static_selectorELNS0_4arch9wavefront6targetE1EEEvSF_,"axG",@progbits,_ZN7rocprim17ROCPRIM_400000_NS6detail17trampoline_kernelINS0_14default_configENS1_38merge_sort_block_merge_config_selectorIxNS0_10empty_typeEEEZZNS1_27merge_sort_block_merge_implIS3_PxPS5_jNS1_19radix_merge_compareILb1ELb1ExNS0_19identity_decomposerEEEEE10hipError_tT0_T1_T2_jT3_P12ihipStream_tbPNSt15iterator_traitsISE_E10value_typeEPNSK_ISF_E10value_typeEPSG_NS1_7vsmem_tEENKUlT_SE_SF_SG_E_clIS8_S8_S9_S9_EESD_ST_SE_SF_SG_EUlST_E_NS1_11comp_targetILNS1_3genE5ELNS1_11target_archE942ELNS1_3gpuE9ELNS1_3repE0EEENS1_48merge_mergepath_partition_config_static_selectorELNS0_4arch9wavefront6targetE1EEEvSF_,comdat
.Lfunc_end2344:
	.size	_ZN7rocprim17ROCPRIM_400000_NS6detail17trampoline_kernelINS0_14default_configENS1_38merge_sort_block_merge_config_selectorIxNS0_10empty_typeEEEZZNS1_27merge_sort_block_merge_implIS3_PxPS5_jNS1_19radix_merge_compareILb1ELb1ExNS0_19identity_decomposerEEEEE10hipError_tT0_T1_T2_jT3_P12ihipStream_tbPNSt15iterator_traitsISE_E10value_typeEPNSK_ISF_E10value_typeEPSG_NS1_7vsmem_tEENKUlT_SE_SF_SG_E_clIS8_S8_S9_S9_EESD_ST_SE_SF_SG_EUlST_E_NS1_11comp_targetILNS1_3genE5ELNS1_11target_archE942ELNS1_3gpuE9ELNS1_3repE0EEENS1_48merge_mergepath_partition_config_static_selectorELNS0_4arch9wavefront6targetE1EEEvSF_, .Lfunc_end2344-_ZN7rocprim17ROCPRIM_400000_NS6detail17trampoline_kernelINS0_14default_configENS1_38merge_sort_block_merge_config_selectorIxNS0_10empty_typeEEEZZNS1_27merge_sort_block_merge_implIS3_PxPS5_jNS1_19radix_merge_compareILb1ELb1ExNS0_19identity_decomposerEEEEE10hipError_tT0_T1_T2_jT3_P12ihipStream_tbPNSt15iterator_traitsISE_E10value_typeEPNSK_ISF_E10value_typeEPSG_NS1_7vsmem_tEENKUlT_SE_SF_SG_E_clIS8_S8_S9_S9_EESD_ST_SE_SF_SG_EUlST_E_NS1_11comp_targetILNS1_3genE5ELNS1_11target_archE942ELNS1_3gpuE9ELNS1_3repE0EEENS1_48merge_mergepath_partition_config_static_selectorELNS0_4arch9wavefront6targetE1EEEvSF_
                                        ; -- End function
	.section	.AMDGPU.csdata,"",@progbits
; Kernel info:
; codeLenInByte = 0
; NumSgprs: 4
; NumVgprs: 0
; NumAgprs: 0
; TotalNumVgprs: 0
; ScratchSize: 0
; MemoryBound: 0
; FloatMode: 240
; IeeeMode: 1
; LDSByteSize: 0 bytes/workgroup (compile time only)
; SGPRBlocks: 0
; VGPRBlocks: 0
; NumSGPRsForWavesPerEU: 4
; NumVGPRsForWavesPerEU: 1
; AccumOffset: 4
; Occupancy: 8
; WaveLimiterHint : 0
; COMPUTE_PGM_RSRC2:SCRATCH_EN: 0
; COMPUTE_PGM_RSRC2:USER_SGPR: 6
; COMPUTE_PGM_RSRC2:TRAP_HANDLER: 0
; COMPUTE_PGM_RSRC2:TGID_X_EN: 1
; COMPUTE_PGM_RSRC2:TGID_Y_EN: 0
; COMPUTE_PGM_RSRC2:TGID_Z_EN: 0
; COMPUTE_PGM_RSRC2:TIDIG_COMP_CNT: 0
; COMPUTE_PGM_RSRC3_GFX90A:ACCUM_OFFSET: 0
; COMPUTE_PGM_RSRC3_GFX90A:TG_SPLIT: 0
	.section	.text._ZN7rocprim17ROCPRIM_400000_NS6detail17trampoline_kernelINS0_14default_configENS1_38merge_sort_block_merge_config_selectorIxNS0_10empty_typeEEEZZNS1_27merge_sort_block_merge_implIS3_PxPS5_jNS1_19radix_merge_compareILb1ELb1ExNS0_19identity_decomposerEEEEE10hipError_tT0_T1_T2_jT3_P12ihipStream_tbPNSt15iterator_traitsISE_E10value_typeEPNSK_ISF_E10value_typeEPSG_NS1_7vsmem_tEENKUlT_SE_SF_SG_E_clIS8_S8_S9_S9_EESD_ST_SE_SF_SG_EUlST_E_NS1_11comp_targetILNS1_3genE4ELNS1_11target_archE910ELNS1_3gpuE8ELNS1_3repE0EEENS1_48merge_mergepath_partition_config_static_selectorELNS0_4arch9wavefront6targetE1EEEvSF_,"axG",@progbits,_ZN7rocprim17ROCPRIM_400000_NS6detail17trampoline_kernelINS0_14default_configENS1_38merge_sort_block_merge_config_selectorIxNS0_10empty_typeEEEZZNS1_27merge_sort_block_merge_implIS3_PxPS5_jNS1_19radix_merge_compareILb1ELb1ExNS0_19identity_decomposerEEEEE10hipError_tT0_T1_T2_jT3_P12ihipStream_tbPNSt15iterator_traitsISE_E10value_typeEPNSK_ISF_E10value_typeEPSG_NS1_7vsmem_tEENKUlT_SE_SF_SG_E_clIS8_S8_S9_S9_EESD_ST_SE_SF_SG_EUlST_E_NS1_11comp_targetILNS1_3genE4ELNS1_11target_archE910ELNS1_3gpuE8ELNS1_3repE0EEENS1_48merge_mergepath_partition_config_static_selectorELNS0_4arch9wavefront6targetE1EEEvSF_,comdat
	.protected	_ZN7rocprim17ROCPRIM_400000_NS6detail17trampoline_kernelINS0_14default_configENS1_38merge_sort_block_merge_config_selectorIxNS0_10empty_typeEEEZZNS1_27merge_sort_block_merge_implIS3_PxPS5_jNS1_19radix_merge_compareILb1ELb1ExNS0_19identity_decomposerEEEEE10hipError_tT0_T1_T2_jT3_P12ihipStream_tbPNSt15iterator_traitsISE_E10value_typeEPNSK_ISF_E10value_typeEPSG_NS1_7vsmem_tEENKUlT_SE_SF_SG_E_clIS8_S8_S9_S9_EESD_ST_SE_SF_SG_EUlST_E_NS1_11comp_targetILNS1_3genE4ELNS1_11target_archE910ELNS1_3gpuE8ELNS1_3repE0EEENS1_48merge_mergepath_partition_config_static_selectorELNS0_4arch9wavefront6targetE1EEEvSF_ ; -- Begin function _ZN7rocprim17ROCPRIM_400000_NS6detail17trampoline_kernelINS0_14default_configENS1_38merge_sort_block_merge_config_selectorIxNS0_10empty_typeEEEZZNS1_27merge_sort_block_merge_implIS3_PxPS5_jNS1_19radix_merge_compareILb1ELb1ExNS0_19identity_decomposerEEEEE10hipError_tT0_T1_T2_jT3_P12ihipStream_tbPNSt15iterator_traitsISE_E10value_typeEPNSK_ISF_E10value_typeEPSG_NS1_7vsmem_tEENKUlT_SE_SF_SG_E_clIS8_S8_S9_S9_EESD_ST_SE_SF_SG_EUlST_E_NS1_11comp_targetILNS1_3genE4ELNS1_11target_archE910ELNS1_3gpuE8ELNS1_3repE0EEENS1_48merge_mergepath_partition_config_static_selectorELNS0_4arch9wavefront6targetE1EEEvSF_
	.globl	_ZN7rocprim17ROCPRIM_400000_NS6detail17trampoline_kernelINS0_14default_configENS1_38merge_sort_block_merge_config_selectorIxNS0_10empty_typeEEEZZNS1_27merge_sort_block_merge_implIS3_PxPS5_jNS1_19radix_merge_compareILb1ELb1ExNS0_19identity_decomposerEEEEE10hipError_tT0_T1_T2_jT3_P12ihipStream_tbPNSt15iterator_traitsISE_E10value_typeEPNSK_ISF_E10value_typeEPSG_NS1_7vsmem_tEENKUlT_SE_SF_SG_E_clIS8_S8_S9_S9_EESD_ST_SE_SF_SG_EUlST_E_NS1_11comp_targetILNS1_3genE4ELNS1_11target_archE910ELNS1_3gpuE8ELNS1_3repE0EEENS1_48merge_mergepath_partition_config_static_selectorELNS0_4arch9wavefront6targetE1EEEvSF_
	.p2align	8
	.type	_ZN7rocprim17ROCPRIM_400000_NS6detail17trampoline_kernelINS0_14default_configENS1_38merge_sort_block_merge_config_selectorIxNS0_10empty_typeEEEZZNS1_27merge_sort_block_merge_implIS3_PxPS5_jNS1_19radix_merge_compareILb1ELb1ExNS0_19identity_decomposerEEEEE10hipError_tT0_T1_T2_jT3_P12ihipStream_tbPNSt15iterator_traitsISE_E10value_typeEPNSK_ISF_E10value_typeEPSG_NS1_7vsmem_tEENKUlT_SE_SF_SG_E_clIS8_S8_S9_S9_EESD_ST_SE_SF_SG_EUlST_E_NS1_11comp_targetILNS1_3genE4ELNS1_11target_archE910ELNS1_3gpuE8ELNS1_3repE0EEENS1_48merge_mergepath_partition_config_static_selectorELNS0_4arch9wavefront6targetE1EEEvSF_,@function
_ZN7rocprim17ROCPRIM_400000_NS6detail17trampoline_kernelINS0_14default_configENS1_38merge_sort_block_merge_config_selectorIxNS0_10empty_typeEEEZZNS1_27merge_sort_block_merge_implIS3_PxPS5_jNS1_19radix_merge_compareILb1ELb1ExNS0_19identity_decomposerEEEEE10hipError_tT0_T1_T2_jT3_P12ihipStream_tbPNSt15iterator_traitsISE_E10value_typeEPNSK_ISF_E10value_typeEPSG_NS1_7vsmem_tEENKUlT_SE_SF_SG_E_clIS8_S8_S9_S9_EESD_ST_SE_SF_SG_EUlST_E_NS1_11comp_targetILNS1_3genE4ELNS1_11target_archE910ELNS1_3gpuE8ELNS1_3repE0EEENS1_48merge_mergepath_partition_config_static_selectorELNS0_4arch9wavefront6targetE1EEEvSF_: ; @_ZN7rocprim17ROCPRIM_400000_NS6detail17trampoline_kernelINS0_14default_configENS1_38merge_sort_block_merge_config_selectorIxNS0_10empty_typeEEEZZNS1_27merge_sort_block_merge_implIS3_PxPS5_jNS1_19radix_merge_compareILb1ELb1ExNS0_19identity_decomposerEEEEE10hipError_tT0_T1_T2_jT3_P12ihipStream_tbPNSt15iterator_traitsISE_E10value_typeEPNSK_ISF_E10value_typeEPSG_NS1_7vsmem_tEENKUlT_SE_SF_SG_E_clIS8_S8_S9_S9_EESD_ST_SE_SF_SG_EUlST_E_NS1_11comp_targetILNS1_3genE4ELNS1_11target_archE910ELNS1_3gpuE8ELNS1_3repE0EEENS1_48merge_mergepath_partition_config_static_selectorELNS0_4arch9wavefront6targetE1EEEvSF_
; %bb.0:
	s_load_dword s0, s[4:5], 0x0
	v_lshl_or_b32 v0, s6, 7, v0
	s_waitcnt lgkmcnt(0)
	v_cmp_gt_u32_e32 vcc, s0, v0
	s_and_saveexec_b64 s[0:1], vcc
	s_cbranch_execz .LBB2345_6
; %bb.1:
	s_load_dwordx2 s[6:7], s[4:5], 0x4
	s_load_dwordx4 s[0:3], s[4:5], 0x18
	s_waitcnt lgkmcnt(0)
	s_lshr_b32 s8, s6, 9
	s_and_b32 s8, s8, 0x7ffffe
	s_add_i32 s9, s8, -1
	s_sub_i32 s8, 0, s8
	v_and_b32_e32 v1, s8, v0
	v_lshlrev_b32_e32 v1, 10, v1
	v_min_u32_e32 v2, s7, v1
	v_add_u32_e32 v1, s6, v1
	v_min_u32_e32 v4, s7, v1
	v_add_u32_e32 v1, s6, v4
	v_and_b32_e32 v3, s9, v0
	v_min_u32_e32 v1, s7, v1
	v_sub_u32_e32 v5, v1, v2
	v_lshlrev_b32_e32 v3, 10, v3
	v_min_u32_e32 v6, v5, v3
	v_sub_u32_e32 v3, v4, v2
	v_sub_u32_e32 v1, v1, v4
	v_sub_u32_e64 v1, v6, v1 clamp
	v_min_u32_e32 v7, v6, v3
	v_cmp_lt_u32_e32 vcc, v1, v7
	s_and_saveexec_b64 s[6:7], vcc
	s_cbranch_execz .LBB2345_5
; %bb.2:
	s_load_dwordx2 s[4:5], s[4:5], 0x10
	v_mov_b32_e32 v5, 0
	v_mov_b32_e32 v3, v5
	v_lshlrev_b64 v[8:9], 3, v[2:3]
	v_lshlrev_b64 v[10:11], 3, v[4:5]
	s_waitcnt lgkmcnt(0)
	v_mov_b32_e32 v12, s5
	v_add_co_u32_e32 v3, vcc, s4, v8
	v_addc_co_u32_e32 v8, vcc, v12, v9, vcc
	v_add_co_u32_e32 v9, vcc, s4, v10
	v_addc_co_u32_e32 v10, vcc, v12, v11, vcc
	s_mov_b64 s[4:5], 0
.LBB2345_3:                             ; =>This Inner Loop Header: Depth=1
	v_add_u32_e32 v4, v7, v1
	v_lshrrev_b32_e32 v4, 1, v4
	v_lshlrev_b64 v[14:15], 3, v[4:5]
	v_mov_b32_e32 v13, v5
	v_xad_u32 v12, v4, -1, v6
	v_add_co_u32_e32 v14, vcc, v3, v14
	v_addc_co_u32_e32 v15, vcc, v8, v15, vcc
	v_lshlrev_b64 v[12:13], 3, v[12:13]
	v_add_co_u32_e32 v12, vcc, v9, v12
	v_addc_co_u32_e32 v13, vcc, v10, v13, vcc
	global_load_dwordx2 v[14:15], v[14:15], off
	v_add_u32_e32 v11, 1, v4
	global_load_dwordx2 v[12:13], v[12:13], off
	s_waitcnt vmcnt(1)
	v_and_b32_e32 v15, s1, v15
	v_and_b32_e32 v14, s0, v14
	s_waitcnt vmcnt(0)
	v_and_b32_e32 v13, s1, v13
	v_and_b32_e32 v12, s0, v12
	v_cmp_gt_i64_e32 vcc, v[12:13], v[14:15]
	v_cndmask_b32_e32 v7, v7, v4, vcc
	v_cndmask_b32_e32 v1, v11, v1, vcc
	v_cmp_ge_u32_e32 vcc, v1, v7
	s_or_b64 s[4:5], vcc, s[4:5]
	s_andn2_b64 exec, exec, s[4:5]
	s_cbranch_execnz .LBB2345_3
; %bb.4:
	s_or_b64 exec, exec, s[4:5]
.LBB2345_5:
	s_or_b64 exec, exec, s[6:7]
	v_add_u32_e32 v2, v1, v2
	v_mov_b32_e32 v1, 0
	v_lshlrev_b64 v[0:1], 2, v[0:1]
	v_mov_b32_e32 v3, s3
	v_add_co_u32_e32 v0, vcc, s2, v0
	v_addc_co_u32_e32 v1, vcc, v3, v1, vcc
	global_store_dword v[0:1], v2, off
.LBB2345_6:
	s_endpgm
	.section	.rodata,"a",@progbits
	.p2align	6, 0x0
	.amdhsa_kernel _ZN7rocprim17ROCPRIM_400000_NS6detail17trampoline_kernelINS0_14default_configENS1_38merge_sort_block_merge_config_selectorIxNS0_10empty_typeEEEZZNS1_27merge_sort_block_merge_implIS3_PxPS5_jNS1_19radix_merge_compareILb1ELb1ExNS0_19identity_decomposerEEEEE10hipError_tT0_T1_T2_jT3_P12ihipStream_tbPNSt15iterator_traitsISE_E10value_typeEPNSK_ISF_E10value_typeEPSG_NS1_7vsmem_tEENKUlT_SE_SF_SG_E_clIS8_S8_S9_S9_EESD_ST_SE_SF_SG_EUlST_E_NS1_11comp_targetILNS1_3genE4ELNS1_11target_archE910ELNS1_3gpuE8ELNS1_3repE0EEENS1_48merge_mergepath_partition_config_static_selectorELNS0_4arch9wavefront6targetE1EEEvSF_
		.amdhsa_group_segment_fixed_size 0
		.amdhsa_private_segment_fixed_size 0
		.amdhsa_kernarg_size 40
		.amdhsa_user_sgpr_count 6
		.amdhsa_user_sgpr_private_segment_buffer 1
		.amdhsa_user_sgpr_dispatch_ptr 0
		.amdhsa_user_sgpr_queue_ptr 0
		.amdhsa_user_sgpr_kernarg_segment_ptr 1
		.amdhsa_user_sgpr_dispatch_id 0
		.amdhsa_user_sgpr_flat_scratch_init 0
		.amdhsa_user_sgpr_kernarg_preload_length 0
		.amdhsa_user_sgpr_kernarg_preload_offset 0
		.amdhsa_user_sgpr_private_segment_size 0
		.amdhsa_uses_dynamic_stack 0
		.amdhsa_system_sgpr_private_segment_wavefront_offset 0
		.amdhsa_system_sgpr_workgroup_id_x 1
		.amdhsa_system_sgpr_workgroup_id_y 0
		.amdhsa_system_sgpr_workgroup_id_z 0
		.amdhsa_system_sgpr_workgroup_info 0
		.amdhsa_system_vgpr_workitem_id 0
		.amdhsa_next_free_vgpr 16
		.amdhsa_next_free_sgpr 10
		.amdhsa_accum_offset 16
		.amdhsa_reserve_vcc 1
		.amdhsa_reserve_flat_scratch 0
		.amdhsa_float_round_mode_32 0
		.amdhsa_float_round_mode_16_64 0
		.amdhsa_float_denorm_mode_32 3
		.amdhsa_float_denorm_mode_16_64 3
		.amdhsa_dx10_clamp 1
		.amdhsa_ieee_mode 1
		.amdhsa_fp16_overflow 0
		.amdhsa_tg_split 0
		.amdhsa_exception_fp_ieee_invalid_op 0
		.amdhsa_exception_fp_denorm_src 0
		.amdhsa_exception_fp_ieee_div_zero 0
		.amdhsa_exception_fp_ieee_overflow 0
		.amdhsa_exception_fp_ieee_underflow 0
		.amdhsa_exception_fp_ieee_inexact 0
		.amdhsa_exception_int_div_zero 0
	.end_amdhsa_kernel
	.section	.text._ZN7rocprim17ROCPRIM_400000_NS6detail17trampoline_kernelINS0_14default_configENS1_38merge_sort_block_merge_config_selectorIxNS0_10empty_typeEEEZZNS1_27merge_sort_block_merge_implIS3_PxPS5_jNS1_19radix_merge_compareILb1ELb1ExNS0_19identity_decomposerEEEEE10hipError_tT0_T1_T2_jT3_P12ihipStream_tbPNSt15iterator_traitsISE_E10value_typeEPNSK_ISF_E10value_typeEPSG_NS1_7vsmem_tEENKUlT_SE_SF_SG_E_clIS8_S8_S9_S9_EESD_ST_SE_SF_SG_EUlST_E_NS1_11comp_targetILNS1_3genE4ELNS1_11target_archE910ELNS1_3gpuE8ELNS1_3repE0EEENS1_48merge_mergepath_partition_config_static_selectorELNS0_4arch9wavefront6targetE1EEEvSF_,"axG",@progbits,_ZN7rocprim17ROCPRIM_400000_NS6detail17trampoline_kernelINS0_14default_configENS1_38merge_sort_block_merge_config_selectorIxNS0_10empty_typeEEEZZNS1_27merge_sort_block_merge_implIS3_PxPS5_jNS1_19radix_merge_compareILb1ELb1ExNS0_19identity_decomposerEEEEE10hipError_tT0_T1_T2_jT3_P12ihipStream_tbPNSt15iterator_traitsISE_E10value_typeEPNSK_ISF_E10value_typeEPSG_NS1_7vsmem_tEENKUlT_SE_SF_SG_E_clIS8_S8_S9_S9_EESD_ST_SE_SF_SG_EUlST_E_NS1_11comp_targetILNS1_3genE4ELNS1_11target_archE910ELNS1_3gpuE8ELNS1_3repE0EEENS1_48merge_mergepath_partition_config_static_selectorELNS0_4arch9wavefront6targetE1EEEvSF_,comdat
.Lfunc_end2345:
	.size	_ZN7rocprim17ROCPRIM_400000_NS6detail17trampoline_kernelINS0_14default_configENS1_38merge_sort_block_merge_config_selectorIxNS0_10empty_typeEEEZZNS1_27merge_sort_block_merge_implIS3_PxPS5_jNS1_19radix_merge_compareILb1ELb1ExNS0_19identity_decomposerEEEEE10hipError_tT0_T1_T2_jT3_P12ihipStream_tbPNSt15iterator_traitsISE_E10value_typeEPNSK_ISF_E10value_typeEPSG_NS1_7vsmem_tEENKUlT_SE_SF_SG_E_clIS8_S8_S9_S9_EESD_ST_SE_SF_SG_EUlST_E_NS1_11comp_targetILNS1_3genE4ELNS1_11target_archE910ELNS1_3gpuE8ELNS1_3repE0EEENS1_48merge_mergepath_partition_config_static_selectorELNS0_4arch9wavefront6targetE1EEEvSF_, .Lfunc_end2345-_ZN7rocprim17ROCPRIM_400000_NS6detail17trampoline_kernelINS0_14default_configENS1_38merge_sort_block_merge_config_selectorIxNS0_10empty_typeEEEZZNS1_27merge_sort_block_merge_implIS3_PxPS5_jNS1_19radix_merge_compareILb1ELb1ExNS0_19identity_decomposerEEEEE10hipError_tT0_T1_T2_jT3_P12ihipStream_tbPNSt15iterator_traitsISE_E10value_typeEPNSK_ISF_E10value_typeEPSG_NS1_7vsmem_tEENKUlT_SE_SF_SG_E_clIS8_S8_S9_S9_EESD_ST_SE_SF_SG_EUlST_E_NS1_11comp_targetILNS1_3genE4ELNS1_11target_archE910ELNS1_3gpuE8ELNS1_3repE0EEENS1_48merge_mergepath_partition_config_static_selectorELNS0_4arch9wavefront6targetE1EEEvSF_
                                        ; -- End function
	.section	.AMDGPU.csdata,"",@progbits
; Kernel info:
; codeLenInByte = 380
; NumSgprs: 14
; NumVgprs: 16
; NumAgprs: 0
; TotalNumVgprs: 16
; ScratchSize: 0
; MemoryBound: 0
; FloatMode: 240
; IeeeMode: 1
; LDSByteSize: 0 bytes/workgroup (compile time only)
; SGPRBlocks: 1
; VGPRBlocks: 1
; NumSGPRsForWavesPerEU: 14
; NumVGPRsForWavesPerEU: 16
; AccumOffset: 16
; Occupancy: 8
; WaveLimiterHint : 0
; COMPUTE_PGM_RSRC2:SCRATCH_EN: 0
; COMPUTE_PGM_RSRC2:USER_SGPR: 6
; COMPUTE_PGM_RSRC2:TRAP_HANDLER: 0
; COMPUTE_PGM_RSRC2:TGID_X_EN: 1
; COMPUTE_PGM_RSRC2:TGID_Y_EN: 0
; COMPUTE_PGM_RSRC2:TGID_Z_EN: 0
; COMPUTE_PGM_RSRC2:TIDIG_COMP_CNT: 0
; COMPUTE_PGM_RSRC3_GFX90A:ACCUM_OFFSET: 3
; COMPUTE_PGM_RSRC3_GFX90A:TG_SPLIT: 0
	.section	.text._ZN7rocprim17ROCPRIM_400000_NS6detail17trampoline_kernelINS0_14default_configENS1_38merge_sort_block_merge_config_selectorIxNS0_10empty_typeEEEZZNS1_27merge_sort_block_merge_implIS3_PxPS5_jNS1_19radix_merge_compareILb1ELb1ExNS0_19identity_decomposerEEEEE10hipError_tT0_T1_T2_jT3_P12ihipStream_tbPNSt15iterator_traitsISE_E10value_typeEPNSK_ISF_E10value_typeEPSG_NS1_7vsmem_tEENKUlT_SE_SF_SG_E_clIS8_S8_S9_S9_EESD_ST_SE_SF_SG_EUlST_E_NS1_11comp_targetILNS1_3genE3ELNS1_11target_archE908ELNS1_3gpuE7ELNS1_3repE0EEENS1_48merge_mergepath_partition_config_static_selectorELNS0_4arch9wavefront6targetE1EEEvSF_,"axG",@progbits,_ZN7rocprim17ROCPRIM_400000_NS6detail17trampoline_kernelINS0_14default_configENS1_38merge_sort_block_merge_config_selectorIxNS0_10empty_typeEEEZZNS1_27merge_sort_block_merge_implIS3_PxPS5_jNS1_19radix_merge_compareILb1ELb1ExNS0_19identity_decomposerEEEEE10hipError_tT0_T1_T2_jT3_P12ihipStream_tbPNSt15iterator_traitsISE_E10value_typeEPNSK_ISF_E10value_typeEPSG_NS1_7vsmem_tEENKUlT_SE_SF_SG_E_clIS8_S8_S9_S9_EESD_ST_SE_SF_SG_EUlST_E_NS1_11comp_targetILNS1_3genE3ELNS1_11target_archE908ELNS1_3gpuE7ELNS1_3repE0EEENS1_48merge_mergepath_partition_config_static_selectorELNS0_4arch9wavefront6targetE1EEEvSF_,comdat
	.protected	_ZN7rocprim17ROCPRIM_400000_NS6detail17trampoline_kernelINS0_14default_configENS1_38merge_sort_block_merge_config_selectorIxNS0_10empty_typeEEEZZNS1_27merge_sort_block_merge_implIS3_PxPS5_jNS1_19radix_merge_compareILb1ELb1ExNS0_19identity_decomposerEEEEE10hipError_tT0_T1_T2_jT3_P12ihipStream_tbPNSt15iterator_traitsISE_E10value_typeEPNSK_ISF_E10value_typeEPSG_NS1_7vsmem_tEENKUlT_SE_SF_SG_E_clIS8_S8_S9_S9_EESD_ST_SE_SF_SG_EUlST_E_NS1_11comp_targetILNS1_3genE3ELNS1_11target_archE908ELNS1_3gpuE7ELNS1_3repE0EEENS1_48merge_mergepath_partition_config_static_selectorELNS0_4arch9wavefront6targetE1EEEvSF_ ; -- Begin function _ZN7rocprim17ROCPRIM_400000_NS6detail17trampoline_kernelINS0_14default_configENS1_38merge_sort_block_merge_config_selectorIxNS0_10empty_typeEEEZZNS1_27merge_sort_block_merge_implIS3_PxPS5_jNS1_19radix_merge_compareILb1ELb1ExNS0_19identity_decomposerEEEEE10hipError_tT0_T1_T2_jT3_P12ihipStream_tbPNSt15iterator_traitsISE_E10value_typeEPNSK_ISF_E10value_typeEPSG_NS1_7vsmem_tEENKUlT_SE_SF_SG_E_clIS8_S8_S9_S9_EESD_ST_SE_SF_SG_EUlST_E_NS1_11comp_targetILNS1_3genE3ELNS1_11target_archE908ELNS1_3gpuE7ELNS1_3repE0EEENS1_48merge_mergepath_partition_config_static_selectorELNS0_4arch9wavefront6targetE1EEEvSF_
	.globl	_ZN7rocprim17ROCPRIM_400000_NS6detail17trampoline_kernelINS0_14default_configENS1_38merge_sort_block_merge_config_selectorIxNS0_10empty_typeEEEZZNS1_27merge_sort_block_merge_implIS3_PxPS5_jNS1_19radix_merge_compareILb1ELb1ExNS0_19identity_decomposerEEEEE10hipError_tT0_T1_T2_jT3_P12ihipStream_tbPNSt15iterator_traitsISE_E10value_typeEPNSK_ISF_E10value_typeEPSG_NS1_7vsmem_tEENKUlT_SE_SF_SG_E_clIS8_S8_S9_S9_EESD_ST_SE_SF_SG_EUlST_E_NS1_11comp_targetILNS1_3genE3ELNS1_11target_archE908ELNS1_3gpuE7ELNS1_3repE0EEENS1_48merge_mergepath_partition_config_static_selectorELNS0_4arch9wavefront6targetE1EEEvSF_
	.p2align	8
	.type	_ZN7rocprim17ROCPRIM_400000_NS6detail17trampoline_kernelINS0_14default_configENS1_38merge_sort_block_merge_config_selectorIxNS0_10empty_typeEEEZZNS1_27merge_sort_block_merge_implIS3_PxPS5_jNS1_19radix_merge_compareILb1ELb1ExNS0_19identity_decomposerEEEEE10hipError_tT0_T1_T2_jT3_P12ihipStream_tbPNSt15iterator_traitsISE_E10value_typeEPNSK_ISF_E10value_typeEPSG_NS1_7vsmem_tEENKUlT_SE_SF_SG_E_clIS8_S8_S9_S9_EESD_ST_SE_SF_SG_EUlST_E_NS1_11comp_targetILNS1_3genE3ELNS1_11target_archE908ELNS1_3gpuE7ELNS1_3repE0EEENS1_48merge_mergepath_partition_config_static_selectorELNS0_4arch9wavefront6targetE1EEEvSF_,@function
_ZN7rocprim17ROCPRIM_400000_NS6detail17trampoline_kernelINS0_14default_configENS1_38merge_sort_block_merge_config_selectorIxNS0_10empty_typeEEEZZNS1_27merge_sort_block_merge_implIS3_PxPS5_jNS1_19radix_merge_compareILb1ELb1ExNS0_19identity_decomposerEEEEE10hipError_tT0_T1_T2_jT3_P12ihipStream_tbPNSt15iterator_traitsISE_E10value_typeEPNSK_ISF_E10value_typeEPSG_NS1_7vsmem_tEENKUlT_SE_SF_SG_E_clIS8_S8_S9_S9_EESD_ST_SE_SF_SG_EUlST_E_NS1_11comp_targetILNS1_3genE3ELNS1_11target_archE908ELNS1_3gpuE7ELNS1_3repE0EEENS1_48merge_mergepath_partition_config_static_selectorELNS0_4arch9wavefront6targetE1EEEvSF_: ; @_ZN7rocprim17ROCPRIM_400000_NS6detail17trampoline_kernelINS0_14default_configENS1_38merge_sort_block_merge_config_selectorIxNS0_10empty_typeEEEZZNS1_27merge_sort_block_merge_implIS3_PxPS5_jNS1_19radix_merge_compareILb1ELb1ExNS0_19identity_decomposerEEEEE10hipError_tT0_T1_T2_jT3_P12ihipStream_tbPNSt15iterator_traitsISE_E10value_typeEPNSK_ISF_E10value_typeEPSG_NS1_7vsmem_tEENKUlT_SE_SF_SG_E_clIS8_S8_S9_S9_EESD_ST_SE_SF_SG_EUlST_E_NS1_11comp_targetILNS1_3genE3ELNS1_11target_archE908ELNS1_3gpuE7ELNS1_3repE0EEENS1_48merge_mergepath_partition_config_static_selectorELNS0_4arch9wavefront6targetE1EEEvSF_
; %bb.0:
	.section	.rodata,"a",@progbits
	.p2align	6, 0x0
	.amdhsa_kernel _ZN7rocprim17ROCPRIM_400000_NS6detail17trampoline_kernelINS0_14default_configENS1_38merge_sort_block_merge_config_selectorIxNS0_10empty_typeEEEZZNS1_27merge_sort_block_merge_implIS3_PxPS5_jNS1_19radix_merge_compareILb1ELb1ExNS0_19identity_decomposerEEEEE10hipError_tT0_T1_T2_jT3_P12ihipStream_tbPNSt15iterator_traitsISE_E10value_typeEPNSK_ISF_E10value_typeEPSG_NS1_7vsmem_tEENKUlT_SE_SF_SG_E_clIS8_S8_S9_S9_EESD_ST_SE_SF_SG_EUlST_E_NS1_11comp_targetILNS1_3genE3ELNS1_11target_archE908ELNS1_3gpuE7ELNS1_3repE0EEENS1_48merge_mergepath_partition_config_static_selectorELNS0_4arch9wavefront6targetE1EEEvSF_
		.amdhsa_group_segment_fixed_size 0
		.amdhsa_private_segment_fixed_size 0
		.amdhsa_kernarg_size 40
		.amdhsa_user_sgpr_count 6
		.amdhsa_user_sgpr_private_segment_buffer 1
		.amdhsa_user_sgpr_dispatch_ptr 0
		.amdhsa_user_sgpr_queue_ptr 0
		.amdhsa_user_sgpr_kernarg_segment_ptr 1
		.amdhsa_user_sgpr_dispatch_id 0
		.amdhsa_user_sgpr_flat_scratch_init 0
		.amdhsa_user_sgpr_kernarg_preload_length 0
		.amdhsa_user_sgpr_kernarg_preload_offset 0
		.amdhsa_user_sgpr_private_segment_size 0
		.amdhsa_uses_dynamic_stack 0
		.amdhsa_system_sgpr_private_segment_wavefront_offset 0
		.amdhsa_system_sgpr_workgroup_id_x 1
		.amdhsa_system_sgpr_workgroup_id_y 0
		.amdhsa_system_sgpr_workgroup_id_z 0
		.amdhsa_system_sgpr_workgroup_info 0
		.amdhsa_system_vgpr_workitem_id 0
		.amdhsa_next_free_vgpr 1
		.amdhsa_next_free_sgpr 0
		.amdhsa_accum_offset 4
		.amdhsa_reserve_vcc 0
		.amdhsa_reserve_flat_scratch 0
		.amdhsa_float_round_mode_32 0
		.amdhsa_float_round_mode_16_64 0
		.amdhsa_float_denorm_mode_32 3
		.amdhsa_float_denorm_mode_16_64 3
		.amdhsa_dx10_clamp 1
		.amdhsa_ieee_mode 1
		.amdhsa_fp16_overflow 0
		.amdhsa_tg_split 0
		.amdhsa_exception_fp_ieee_invalid_op 0
		.amdhsa_exception_fp_denorm_src 0
		.amdhsa_exception_fp_ieee_div_zero 0
		.amdhsa_exception_fp_ieee_overflow 0
		.amdhsa_exception_fp_ieee_underflow 0
		.amdhsa_exception_fp_ieee_inexact 0
		.amdhsa_exception_int_div_zero 0
	.end_amdhsa_kernel
	.section	.text._ZN7rocprim17ROCPRIM_400000_NS6detail17trampoline_kernelINS0_14default_configENS1_38merge_sort_block_merge_config_selectorIxNS0_10empty_typeEEEZZNS1_27merge_sort_block_merge_implIS3_PxPS5_jNS1_19radix_merge_compareILb1ELb1ExNS0_19identity_decomposerEEEEE10hipError_tT0_T1_T2_jT3_P12ihipStream_tbPNSt15iterator_traitsISE_E10value_typeEPNSK_ISF_E10value_typeEPSG_NS1_7vsmem_tEENKUlT_SE_SF_SG_E_clIS8_S8_S9_S9_EESD_ST_SE_SF_SG_EUlST_E_NS1_11comp_targetILNS1_3genE3ELNS1_11target_archE908ELNS1_3gpuE7ELNS1_3repE0EEENS1_48merge_mergepath_partition_config_static_selectorELNS0_4arch9wavefront6targetE1EEEvSF_,"axG",@progbits,_ZN7rocprim17ROCPRIM_400000_NS6detail17trampoline_kernelINS0_14default_configENS1_38merge_sort_block_merge_config_selectorIxNS0_10empty_typeEEEZZNS1_27merge_sort_block_merge_implIS3_PxPS5_jNS1_19radix_merge_compareILb1ELb1ExNS0_19identity_decomposerEEEEE10hipError_tT0_T1_T2_jT3_P12ihipStream_tbPNSt15iterator_traitsISE_E10value_typeEPNSK_ISF_E10value_typeEPSG_NS1_7vsmem_tEENKUlT_SE_SF_SG_E_clIS8_S8_S9_S9_EESD_ST_SE_SF_SG_EUlST_E_NS1_11comp_targetILNS1_3genE3ELNS1_11target_archE908ELNS1_3gpuE7ELNS1_3repE0EEENS1_48merge_mergepath_partition_config_static_selectorELNS0_4arch9wavefront6targetE1EEEvSF_,comdat
.Lfunc_end2346:
	.size	_ZN7rocprim17ROCPRIM_400000_NS6detail17trampoline_kernelINS0_14default_configENS1_38merge_sort_block_merge_config_selectorIxNS0_10empty_typeEEEZZNS1_27merge_sort_block_merge_implIS3_PxPS5_jNS1_19radix_merge_compareILb1ELb1ExNS0_19identity_decomposerEEEEE10hipError_tT0_T1_T2_jT3_P12ihipStream_tbPNSt15iterator_traitsISE_E10value_typeEPNSK_ISF_E10value_typeEPSG_NS1_7vsmem_tEENKUlT_SE_SF_SG_E_clIS8_S8_S9_S9_EESD_ST_SE_SF_SG_EUlST_E_NS1_11comp_targetILNS1_3genE3ELNS1_11target_archE908ELNS1_3gpuE7ELNS1_3repE0EEENS1_48merge_mergepath_partition_config_static_selectorELNS0_4arch9wavefront6targetE1EEEvSF_, .Lfunc_end2346-_ZN7rocprim17ROCPRIM_400000_NS6detail17trampoline_kernelINS0_14default_configENS1_38merge_sort_block_merge_config_selectorIxNS0_10empty_typeEEEZZNS1_27merge_sort_block_merge_implIS3_PxPS5_jNS1_19radix_merge_compareILb1ELb1ExNS0_19identity_decomposerEEEEE10hipError_tT0_T1_T2_jT3_P12ihipStream_tbPNSt15iterator_traitsISE_E10value_typeEPNSK_ISF_E10value_typeEPSG_NS1_7vsmem_tEENKUlT_SE_SF_SG_E_clIS8_S8_S9_S9_EESD_ST_SE_SF_SG_EUlST_E_NS1_11comp_targetILNS1_3genE3ELNS1_11target_archE908ELNS1_3gpuE7ELNS1_3repE0EEENS1_48merge_mergepath_partition_config_static_selectorELNS0_4arch9wavefront6targetE1EEEvSF_
                                        ; -- End function
	.section	.AMDGPU.csdata,"",@progbits
; Kernel info:
; codeLenInByte = 0
; NumSgprs: 4
; NumVgprs: 0
; NumAgprs: 0
; TotalNumVgprs: 0
; ScratchSize: 0
; MemoryBound: 0
; FloatMode: 240
; IeeeMode: 1
; LDSByteSize: 0 bytes/workgroup (compile time only)
; SGPRBlocks: 0
; VGPRBlocks: 0
; NumSGPRsForWavesPerEU: 4
; NumVGPRsForWavesPerEU: 1
; AccumOffset: 4
; Occupancy: 8
; WaveLimiterHint : 0
; COMPUTE_PGM_RSRC2:SCRATCH_EN: 0
; COMPUTE_PGM_RSRC2:USER_SGPR: 6
; COMPUTE_PGM_RSRC2:TRAP_HANDLER: 0
; COMPUTE_PGM_RSRC2:TGID_X_EN: 1
; COMPUTE_PGM_RSRC2:TGID_Y_EN: 0
; COMPUTE_PGM_RSRC2:TGID_Z_EN: 0
; COMPUTE_PGM_RSRC2:TIDIG_COMP_CNT: 0
; COMPUTE_PGM_RSRC3_GFX90A:ACCUM_OFFSET: 0
; COMPUTE_PGM_RSRC3_GFX90A:TG_SPLIT: 0
	.section	.text._ZN7rocprim17ROCPRIM_400000_NS6detail17trampoline_kernelINS0_14default_configENS1_38merge_sort_block_merge_config_selectorIxNS0_10empty_typeEEEZZNS1_27merge_sort_block_merge_implIS3_PxPS5_jNS1_19radix_merge_compareILb1ELb1ExNS0_19identity_decomposerEEEEE10hipError_tT0_T1_T2_jT3_P12ihipStream_tbPNSt15iterator_traitsISE_E10value_typeEPNSK_ISF_E10value_typeEPSG_NS1_7vsmem_tEENKUlT_SE_SF_SG_E_clIS8_S8_S9_S9_EESD_ST_SE_SF_SG_EUlST_E_NS1_11comp_targetILNS1_3genE2ELNS1_11target_archE906ELNS1_3gpuE6ELNS1_3repE0EEENS1_48merge_mergepath_partition_config_static_selectorELNS0_4arch9wavefront6targetE1EEEvSF_,"axG",@progbits,_ZN7rocprim17ROCPRIM_400000_NS6detail17trampoline_kernelINS0_14default_configENS1_38merge_sort_block_merge_config_selectorIxNS0_10empty_typeEEEZZNS1_27merge_sort_block_merge_implIS3_PxPS5_jNS1_19radix_merge_compareILb1ELb1ExNS0_19identity_decomposerEEEEE10hipError_tT0_T1_T2_jT3_P12ihipStream_tbPNSt15iterator_traitsISE_E10value_typeEPNSK_ISF_E10value_typeEPSG_NS1_7vsmem_tEENKUlT_SE_SF_SG_E_clIS8_S8_S9_S9_EESD_ST_SE_SF_SG_EUlST_E_NS1_11comp_targetILNS1_3genE2ELNS1_11target_archE906ELNS1_3gpuE6ELNS1_3repE0EEENS1_48merge_mergepath_partition_config_static_selectorELNS0_4arch9wavefront6targetE1EEEvSF_,comdat
	.protected	_ZN7rocprim17ROCPRIM_400000_NS6detail17trampoline_kernelINS0_14default_configENS1_38merge_sort_block_merge_config_selectorIxNS0_10empty_typeEEEZZNS1_27merge_sort_block_merge_implIS3_PxPS5_jNS1_19radix_merge_compareILb1ELb1ExNS0_19identity_decomposerEEEEE10hipError_tT0_T1_T2_jT3_P12ihipStream_tbPNSt15iterator_traitsISE_E10value_typeEPNSK_ISF_E10value_typeEPSG_NS1_7vsmem_tEENKUlT_SE_SF_SG_E_clIS8_S8_S9_S9_EESD_ST_SE_SF_SG_EUlST_E_NS1_11comp_targetILNS1_3genE2ELNS1_11target_archE906ELNS1_3gpuE6ELNS1_3repE0EEENS1_48merge_mergepath_partition_config_static_selectorELNS0_4arch9wavefront6targetE1EEEvSF_ ; -- Begin function _ZN7rocprim17ROCPRIM_400000_NS6detail17trampoline_kernelINS0_14default_configENS1_38merge_sort_block_merge_config_selectorIxNS0_10empty_typeEEEZZNS1_27merge_sort_block_merge_implIS3_PxPS5_jNS1_19radix_merge_compareILb1ELb1ExNS0_19identity_decomposerEEEEE10hipError_tT0_T1_T2_jT3_P12ihipStream_tbPNSt15iterator_traitsISE_E10value_typeEPNSK_ISF_E10value_typeEPSG_NS1_7vsmem_tEENKUlT_SE_SF_SG_E_clIS8_S8_S9_S9_EESD_ST_SE_SF_SG_EUlST_E_NS1_11comp_targetILNS1_3genE2ELNS1_11target_archE906ELNS1_3gpuE6ELNS1_3repE0EEENS1_48merge_mergepath_partition_config_static_selectorELNS0_4arch9wavefront6targetE1EEEvSF_
	.globl	_ZN7rocprim17ROCPRIM_400000_NS6detail17trampoline_kernelINS0_14default_configENS1_38merge_sort_block_merge_config_selectorIxNS0_10empty_typeEEEZZNS1_27merge_sort_block_merge_implIS3_PxPS5_jNS1_19radix_merge_compareILb1ELb1ExNS0_19identity_decomposerEEEEE10hipError_tT0_T1_T2_jT3_P12ihipStream_tbPNSt15iterator_traitsISE_E10value_typeEPNSK_ISF_E10value_typeEPSG_NS1_7vsmem_tEENKUlT_SE_SF_SG_E_clIS8_S8_S9_S9_EESD_ST_SE_SF_SG_EUlST_E_NS1_11comp_targetILNS1_3genE2ELNS1_11target_archE906ELNS1_3gpuE6ELNS1_3repE0EEENS1_48merge_mergepath_partition_config_static_selectorELNS0_4arch9wavefront6targetE1EEEvSF_
	.p2align	8
	.type	_ZN7rocprim17ROCPRIM_400000_NS6detail17trampoline_kernelINS0_14default_configENS1_38merge_sort_block_merge_config_selectorIxNS0_10empty_typeEEEZZNS1_27merge_sort_block_merge_implIS3_PxPS5_jNS1_19radix_merge_compareILb1ELb1ExNS0_19identity_decomposerEEEEE10hipError_tT0_T1_T2_jT3_P12ihipStream_tbPNSt15iterator_traitsISE_E10value_typeEPNSK_ISF_E10value_typeEPSG_NS1_7vsmem_tEENKUlT_SE_SF_SG_E_clIS8_S8_S9_S9_EESD_ST_SE_SF_SG_EUlST_E_NS1_11comp_targetILNS1_3genE2ELNS1_11target_archE906ELNS1_3gpuE6ELNS1_3repE0EEENS1_48merge_mergepath_partition_config_static_selectorELNS0_4arch9wavefront6targetE1EEEvSF_,@function
_ZN7rocprim17ROCPRIM_400000_NS6detail17trampoline_kernelINS0_14default_configENS1_38merge_sort_block_merge_config_selectorIxNS0_10empty_typeEEEZZNS1_27merge_sort_block_merge_implIS3_PxPS5_jNS1_19radix_merge_compareILb1ELb1ExNS0_19identity_decomposerEEEEE10hipError_tT0_T1_T2_jT3_P12ihipStream_tbPNSt15iterator_traitsISE_E10value_typeEPNSK_ISF_E10value_typeEPSG_NS1_7vsmem_tEENKUlT_SE_SF_SG_E_clIS8_S8_S9_S9_EESD_ST_SE_SF_SG_EUlST_E_NS1_11comp_targetILNS1_3genE2ELNS1_11target_archE906ELNS1_3gpuE6ELNS1_3repE0EEENS1_48merge_mergepath_partition_config_static_selectorELNS0_4arch9wavefront6targetE1EEEvSF_: ; @_ZN7rocprim17ROCPRIM_400000_NS6detail17trampoline_kernelINS0_14default_configENS1_38merge_sort_block_merge_config_selectorIxNS0_10empty_typeEEEZZNS1_27merge_sort_block_merge_implIS3_PxPS5_jNS1_19radix_merge_compareILb1ELb1ExNS0_19identity_decomposerEEEEE10hipError_tT0_T1_T2_jT3_P12ihipStream_tbPNSt15iterator_traitsISE_E10value_typeEPNSK_ISF_E10value_typeEPSG_NS1_7vsmem_tEENKUlT_SE_SF_SG_E_clIS8_S8_S9_S9_EESD_ST_SE_SF_SG_EUlST_E_NS1_11comp_targetILNS1_3genE2ELNS1_11target_archE906ELNS1_3gpuE6ELNS1_3repE0EEENS1_48merge_mergepath_partition_config_static_selectorELNS0_4arch9wavefront6targetE1EEEvSF_
; %bb.0:
	.section	.rodata,"a",@progbits
	.p2align	6, 0x0
	.amdhsa_kernel _ZN7rocprim17ROCPRIM_400000_NS6detail17trampoline_kernelINS0_14default_configENS1_38merge_sort_block_merge_config_selectorIxNS0_10empty_typeEEEZZNS1_27merge_sort_block_merge_implIS3_PxPS5_jNS1_19radix_merge_compareILb1ELb1ExNS0_19identity_decomposerEEEEE10hipError_tT0_T1_T2_jT3_P12ihipStream_tbPNSt15iterator_traitsISE_E10value_typeEPNSK_ISF_E10value_typeEPSG_NS1_7vsmem_tEENKUlT_SE_SF_SG_E_clIS8_S8_S9_S9_EESD_ST_SE_SF_SG_EUlST_E_NS1_11comp_targetILNS1_3genE2ELNS1_11target_archE906ELNS1_3gpuE6ELNS1_3repE0EEENS1_48merge_mergepath_partition_config_static_selectorELNS0_4arch9wavefront6targetE1EEEvSF_
		.amdhsa_group_segment_fixed_size 0
		.amdhsa_private_segment_fixed_size 0
		.amdhsa_kernarg_size 40
		.amdhsa_user_sgpr_count 6
		.amdhsa_user_sgpr_private_segment_buffer 1
		.amdhsa_user_sgpr_dispatch_ptr 0
		.amdhsa_user_sgpr_queue_ptr 0
		.amdhsa_user_sgpr_kernarg_segment_ptr 1
		.amdhsa_user_sgpr_dispatch_id 0
		.amdhsa_user_sgpr_flat_scratch_init 0
		.amdhsa_user_sgpr_kernarg_preload_length 0
		.amdhsa_user_sgpr_kernarg_preload_offset 0
		.amdhsa_user_sgpr_private_segment_size 0
		.amdhsa_uses_dynamic_stack 0
		.amdhsa_system_sgpr_private_segment_wavefront_offset 0
		.amdhsa_system_sgpr_workgroup_id_x 1
		.amdhsa_system_sgpr_workgroup_id_y 0
		.amdhsa_system_sgpr_workgroup_id_z 0
		.amdhsa_system_sgpr_workgroup_info 0
		.amdhsa_system_vgpr_workitem_id 0
		.amdhsa_next_free_vgpr 1
		.amdhsa_next_free_sgpr 0
		.amdhsa_accum_offset 4
		.amdhsa_reserve_vcc 0
		.amdhsa_reserve_flat_scratch 0
		.amdhsa_float_round_mode_32 0
		.amdhsa_float_round_mode_16_64 0
		.amdhsa_float_denorm_mode_32 3
		.amdhsa_float_denorm_mode_16_64 3
		.amdhsa_dx10_clamp 1
		.amdhsa_ieee_mode 1
		.amdhsa_fp16_overflow 0
		.amdhsa_tg_split 0
		.amdhsa_exception_fp_ieee_invalid_op 0
		.amdhsa_exception_fp_denorm_src 0
		.amdhsa_exception_fp_ieee_div_zero 0
		.amdhsa_exception_fp_ieee_overflow 0
		.amdhsa_exception_fp_ieee_underflow 0
		.amdhsa_exception_fp_ieee_inexact 0
		.amdhsa_exception_int_div_zero 0
	.end_amdhsa_kernel
	.section	.text._ZN7rocprim17ROCPRIM_400000_NS6detail17trampoline_kernelINS0_14default_configENS1_38merge_sort_block_merge_config_selectorIxNS0_10empty_typeEEEZZNS1_27merge_sort_block_merge_implIS3_PxPS5_jNS1_19radix_merge_compareILb1ELb1ExNS0_19identity_decomposerEEEEE10hipError_tT0_T1_T2_jT3_P12ihipStream_tbPNSt15iterator_traitsISE_E10value_typeEPNSK_ISF_E10value_typeEPSG_NS1_7vsmem_tEENKUlT_SE_SF_SG_E_clIS8_S8_S9_S9_EESD_ST_SE_SF_SG_EUlST_E_NS1_11comp_targetILNS1_3genE2ELNS1_11target_archE906ELNS1_3gpuE6ELNS1_3repE0EEENS1_48merge_mergepath_partition_config_static_selectorELNS0_4arch9wavefront6targetE1EEEvSF_,"axG",@progbits,_ZN7rocprim17ROCPRIM_400000_NS6detail17trampoline_kernelINS0_14default_configENS1_38merge_sort_block_merge_config_selectorIxNS0_10empty_typeEEEZZNS1_27merge_sort_block_merge_implIS3_PxPS5_jNS1_19radix_merge_compareILb1ELb1ExNS0_19identity_decomposerEEEEE10hipError_tT0_T1_T2_jT3_P12ihipStream_tbPNSt15iterator_traitsISE_E10value_typeEPNSK_ISF_E10value_typeEPSG_NS1_7vsmem_tEENKUlT_SE_SF_SG_E_clIS8_S8_S9_S9_EESD_ST_SE_SF_SG_EUlST_E_NS1_11comp_targetILNS1_3genE2ELNS1_11target_archE906ELNS1_3gpuE6ELNS1_3repE0EEENS1_48merge_mergepath_partition_config_static_selectorELNS0_4arch9wavefront6targetE1EEEvSF_,comdat
.Lfunc_end2347:
	.size	_ZN7rocprim17ROCPRIM_400000_NS6detail17trampoline_kernelINS0_14default_configENS1_38merge_sort_block_merge_config_selectorIxNS0_10empty_typeEEEZZNS1_27merge_sort_block_merge_implIS3_PxPS5_jNS1_19radix_merge_compareILb1ELb1ExNS0_19identity_decomposerEEEEE10hipError_tT0_T1_T2_jT3_P12ihipStream_tbPNSt15iterator_traitsISE_E10value_typeEPNSK_ISF_E10value_typeEPSG_NS1_7vsmem_tEENKUlT_SE_SF_SG_E_clIS8_S8_S9_S9_EESD_ST_SE_SF_SG_EUlST_E_NS1_11comp_targetILNS1_3genE2ELNS1_11target_archE906ELNS1_3gpuE6ELNS1_3repE0EEENS1_48merge_mergepath_partition_config_static_selectorELNS0_4arch9wavefront6targetE1EEEvSF_, .Lfunc_end2347-_ZN7rocprim17ROCPRIM_400000_NS6detail17trampoline_kernelINS0_14default_configENS1_38merge_sort_block_merge_config_selectorIxNS0_10empty_typeEEEZZNS1_27merge_sort_block_merge_implIS3_PxPS5_jNS1_19radix_merge_compareILb1ELb1ExNS0_19identity_decomposerEEEEE10hipError_tT0_T1_T2_jT3_P12ihipStream_tbPNSt15iterator_traitsISE_E10value_typeEPNSK_ISF_E10value_typeEPSG_NS1_7vsmem_tEENKUlT_SE_SF_SG_E_clIS8_S8_S9_S9_EESD_ST_SE_SF_SG_EUlST_E_NS1_11comp_targetILNS1_3genE2ELNS1_11target_archE906ELNS1_3gpuE6ELNS1_3repE0EEENS1_48merge_mergepath_partition_config_static_selectorELNS0_4arch9wavefront6targetE1EEEvSF_
                                        ; -- End function
	.section	.AMDGPU.csdata,"",@progbits
; Kernel info:
; codeLenInByte = 0
; NumSgprs: 4
; NumVgprs: 0
; NumAgprs: 0
; TotalNumVgprs: 0
; ScratchSize: 0
; MemoryBound: 0
; FloatMode: 240
; IeeeMode: 1
; LDSByteSize: 0 bytes/workgroup (compile time only)
; SGPRBlocks: 0
; VGPRBlocks: 0
; NumSGPRsForWavesPerEU: 4
; NumVGPRsForWavesPerEU: 1
; AccumOffset: 4
; Occupancy: 8
; WaveLimiterHint : 0
; COMPUTE_PGM_RSRC2:SCRATCH_EN: 0
; COMPUTE_PGM_RSRC2:USER_SGPR: 6
; COMPUTE_PGM_RSRC2:TRAP_HANDLER: 0
; COMPUTE_PGM_RSRC2:TGID_X_EN: 1
; COMPUTE_PGM_RSRC2:TGID_Y_EN: 0
; COMPUTE_PGM_RSRC2:TGID_Z_EN: 0
; COMPUTE_PGM_RSRC2:TIDIG_COMP_CNT: 0
; COMPUTE_PGM_RSRC3_GFX90A:ACCUM_OFFSET: 0
; COMPUTE_PGM_RSRC3_GFX90A:TG_SPLIT: 0
	.section	.text._ZN7rocprim17ROCPRIM_400000_NS6detail17trampoline_kernelINS0_14default_configENS1_38merge_sort_block_merge_config_selectorIxNS0_10empty_typeEEEZZNS1_27merge_sort_block_merge_implIS3_PxPS5_jNS1_19radix_merge_compareILb1ELb1ExNS0_19identity_decomposerEEEEE10hipError_tT0_T1_T2_jT3_P12ihipStream_tbPNSt15iterator_traitsISE_E10value_typeEPNSK_ISF_E10value_typeEPSG_NS1_7vsmem_tEENKUlT_SE_SF_SG_E_clIS8_S8_S9_S9_EESD_ST_SE_SF_SG_EUlST_E_NS1_11comp_targetILNS1_3genE9ELNS1_11target_archE1100ELNS1_3gpuE3ELNS1_3repE0EEENS1_48merge_mergepath_partition_config_static_selectorELNS0_4arch9wavefront6targetE1EEEvSF_,"axG",@progbits,_ZN7rocprim17ROCPRIM_400000_NS6detail17trampoline_kernelINS0_14default_configENS1_38merge_sort_block_merge_config_selectorIxNS0_10empty_typeEEEZZNS1_27merge_sort_block_merge_implIS3_PxPS5_jNS1_19radix_merge_compareILb1ELb1ExNS0_19identity_decomposerEEEEE10hipError_tT0_T1_T2_jT3_P12ihipStream_tbPNSt15iterator_traitsISE_E10value_typeEPNSK_ISF_E10value_typeEPSG_NS1_7vsmem_tEENKUlT_SE_SF_SG_E_clIS8_S8_S9_S9_EESD_ST_SE_SF_SG_EUlST_E_NS1_11comp_targetILNS1_3genE9ELNS1_11target_archE1100ELNS1_3gpuE3ELNS1_3repE0EEENS1_48merge_mergepath_partition_config_static_selectorELNS0_4arch9wavefront6targetE1EEEvSF_,comdat
	.protected	_ZN7rocprim17ROCPRIM_400000_NS6detail17trampoline_kernelINS0_14default_configENS1_38merge_sort_block_merge_config_selectorIxNS0_10empty_typeEEEZZNS1_27merge_sort_block_merge_implIS3_PxPS5_jNS1_19radix_merge_compareILb1ELb1ExNS0_19identity_decomposerEEEEE10hipError_tT0_T1_T2_jT3_P12ihipStream_tbPNSt15iterator_traitsISE_E10value_typeEPNSK_ISF_E10value_typeEPSG_NS1_7vsmem_tEENKUlT_SE_SF_SG_E_clIS8_S8_S9_S9_EESD_ST_SE_SF_SG_EUlST_E_NS1_11comp_targetILNS1_3genE9ELNS1_11target_archE1100ELNS1_3gpuE3ELNS1_3repE0EEENS1_48merge_mergepath_partition_config_static_selectorELNS0_4arch9wavefront6targetE1EEEvSF_ ; -- Begin function _ZN7rocprim17ROCPRIM_400000_NS6detail17trampoline_kernelINS0_14default_configENS1_38merge_sort_block_merge_config_selectorIxNS0_10empty_typeEEEZZNS1_27merge_sort_block_merge_implIS3_PxPS5_jNS1_19radix_merge_compareILb1ELb1ExNS0_19identity_decomposerEEEEE10hipError_tT0_T1_T2_jT3_P12ihipStream_tbPNSt15iterator_traitsISE_E10value_typeEPNSK_ISF_E10value_typeEPSG_NS1_7vsmem_tEENKUlT_SE_SF_SG_E_clIS8_S8_S9_S9_EESD_ST_SE_SF_SG_EUlST_E_NS1_11comp_targetILNS1_3genE9ELNS1_11target_archE1100ELNS1_3gpuE3ELNS1_3repE0EEENS1_48merge_mergepath_partition_config_static_selectorELNS0_4arch9wavefront6targetE1EEEvSF_
	.globl	_ZN7rocprim17ROCPRIM_400000_NS6detail17trampoline_kernelINS0_14default_configENS1_38merge_sort_block_merge_config_selectorIxNS0_10empty_typeEEEZZNS1_27merge_sort_block_merge_implIS3_PxPS5_jNS1_19radix_merge_compareILb1ELb1ExNS0_19identity_decomposerEEEEE10hipError_tT0_T1_T2_jT3_P12ihipStream_tbPNSt15iterator_traitsISE_E10value_typeEPNSK_ISF_E10value_typeEPSG_NS1_7vsmem_tEENKUlT_SE_SF_SG_E_clIS8_S8_S9_S9_EESD_ST_SE_SF_SG_EUlST_E_NS1_11comp_targetILNS1_3genE9ELNS1_11target_archE1100ELNS1_3gpuE3ELNS1_3repE0EEENS1_48merge_mergepath_partition_config_static_selectorELNS0_4arch9wavefront6targetE1EEEvSF_
	.p2align	8
	.type	_ZN7rocprim17ROCPRIM_400000_NS6detail17trampoline_kernelINS0_14default_configENS1_38merge_sort_block_merge_config_selectorIxNS0_10empty_typeEEEZZNS1_27merge_sort_block_merge_implIS3_PxPS5_jNS1_19radix_merge_compareILb1ELb1ExNS0_19identity_decomposerEEEEE10hipError_tT0_T1_T2_jT3_P12ihipStream_tbPNSt15iterator_traitsISE_E10value_typeEPNSK_ISF_E10value_typeEPSG_NS1_7vsmem_tEENKUlT_SE_SF_SG_E_clIS8_S8_S9_S9_EESD_ST_SE_SF_SG_EUlST_E_NS1_11comp_targetILNS1_3genE9ELNS1_11target_archE1100ELNS1_3gpuE3ELNS1_3repE0EEENS1_48merge_mergepath_partition_config_static_selectorELNS0_4arch9wavefront6targetE1EEEvSF_,@function
_ZN7rocprim17ROCPRIM_400000_NS6detail17trampoline_kernelINS0_14default_configENS1_38merge_sort_block_merge_config_selectorIxNS0_10empty_typeEEEZZNS1_27merge_sort_block_merge_implIS3_PxPS5_jNS1_19radix_merge_compareILb1ELb1ExNS0_19identity_decomposerEEEEE10hipError_tT0_T1_T2_jT3_P12ihipStream_tbPNSt15iterator_traitsISE_E10value_typeEPNSK_ISF_E10value_typeEPSG_NS1_7vsmem_tEENKUlT_SE_SF_SG_E_clIS8_S8_S9_S9_EESD_ST_SE_SF_SG_EUlST_E_NS1_11comp_targetILNS1_3genE9ELNS1_11target_archE1100ELNS1_3gpuE3ELNS1_3repE0EEENS1_48merge_mergepath_partition_config_static_selectorELNS0_4arch9wavefront6targetE1EEEvSF_: ; @_ZN7rocprim17ROCPRIM_400000_NS6detail17trampoline_kernelINS0_14default_configENS1_38merge_sort_block_merge_config_selectorIxNS0_10empty_typeEEEZZNS1_27merge_sort_block_merge_implIS3_PxPS5_jNS1_19radix_merge_compareILb1ELb1ExNS0_19identity_decomposerEEEEE10hipError_tT0_T1_T2_jT3_P12ihipStream_tbPNSt15iterator_traitsISE_E10value_typeEPNSK_ISF_E10value_typeEPSG_NS1_7vsmem_tEENKUlT_SE_SF_SG_E_clIS8_S8_S9_S9_EESD_ST_SE_SF_SG_EUlST_E_NS1_11comp_targetILNS1_3genE9ELNS1_11target_archE1100ELNS1_3gpuE3ELNS1_3repE0EEENS1_48merge_mergepath_partition_config_static_selectorELNS0_4arch9wavefront6targetE1EEEvSF_
; %bb.0:
	.section	.rodata,"a",@progbits
	.p2align	6, 0x0
	.amdhsa_kernel _ZN7rocprim17ROCPRIM_400000_NS6detail17trampoline_kernelINS0_14default_configENS1_38merge_sort_block_merge_config_selectorIxNS0_10empty_typeEEEZZNS1_27merge_sort_block_merge_implIS3_PxPS5_jNS1_19radix_merge_compareILb1ELb1ExNS0_19identity_decomposerEEEEE10hipError_tT0_T1_T2_jT3_P12ihipStream_tbPNSt15iterator_traitsISE_E10value_typeEPNSK_ISF_E10value_typeEPSG_NS1_7vsmem_tEENKUlT_SE_SF_SG_E_clIS8_S8_S9_S9_EESD_ST_SE_SF_SG_EUlST_E_NS1_11comp_targetILNS1_3genE9ELNS1_11target_archE1100ELNS1_3gpuE3ELNS1_3repE0EEENS1_48merge_mergepath_partition_config_static_selectorELNS0_4arch9wavefront6targetE1EEEvSF_
		.amdhsa_group_segment_fixed_size 0
		.amdhsa_private_segment_fixed_size 0
		.amdhsa_kernarg_size 40
		.amdhsa_user_sgpr_count 6
		.amdhsa_user_sgpr_private_segment_buffer 1
		.amdhsa_user_sgpr_dispatch_ptr 0
		.amdhsa_user_sgpr_queue_ptr 0
		.amdhsa_user_sgpr_kernarg_segment_ptr 1
		.amdhsa_user_sgpr_dispatch_id 0
		.amdhsa_user_sgpr_flat_scratch_init 0
		.amdhsa_user_sgpr_kernarg_preload_length 0
		.amdhsa_user_sgpr_kernarg_preload_offset 0
		.amdhsa_user_sgpr_private_segment_size 0
		.amdhsa_uses_dynamic_stack 0
		.amdhsa_system_sgpr_private_segment_wavefront_offset 0
		.amdhsa_system_sgpr_workgroup_id_x 1
		.amdhsa_system_sgpr_workgroup_id_y 0
		.amdhsa_system_sgpr_workgroup_id_z 0
		.amdhsa_system_sgpr_workgroup_info 0
		.amdhsa_system_vgpr_workitem_id 0
		.amdhsa_next_free_vgpr 1
		.amdhsa_next_free_sgpr 0
		.amdhsa_accum_offset 4
		.amdhsa_reserve_vcc 0
		.amdhsa_reserve_flat_scratch 0
		.amdhsa_float_round_mode_32 0
		.amdhsa_float_round_mode_16_64 0
		.amdhsa_float_denorm_mode_32 3
		.amdhsa_float_denorm_mode_16_64 3
		.amdhsa_dx10_clamp 1
		.amdhsa_ieee_mode 1
		.amdhsa_fp16_overflow 0
		.amdhsa_tg_split 0
		.amdhsa_exception_fp_ieee_invalid_op 0
		.amdhsa_exception_fp_denorm_src 0
		.amdhsa_exception_fp_ieee_div_zero 0
		.amdhsa_exception_fp_ieee_overflow 0
		.amdhsa_exception_fp_ieee_underflow 0
		.amdhsa_exception_fp_ieee_inexact 0
		.amdhsa_exception_int_div_zero 0
	.end_amdhsa_kernel
	.section	.text._ZN7rocprim17ROCPRIM_400000_NS6detail17trampoline_kernelINS0_14default_configENS1_38merge_sort_block_merge_config_selectorIxNS0_10empty_typeEEEZZNS1_27merge_sort_block_merge_implIS3_PxPS5_jNS1_19radix_merge_compareILb1ELb1ExNS0_19identity_decomposerEEEEE10hipError_tT0_T1_T2_jT3_P12ihipStream_tbPNSt15iterator_traitsISE_E10value_typeEPNSK_ISF_E10value_typeEPSG_NS1_7vsmem_tEENKUlT_SE_SF_SG_E_clIS8_S8_S9_S9_EESD_ST_SE_SF_SG_EUlST_E_NS1_11comp_targetILNS1_3genE9ELNS1_11target_archE1100ELNS1_3gpuE3ELNS1_3repE0EEENS1_48merge_mergepath_partition_config_static_selectorELNS0_4arch9wavefront6targetE1EEEvSF_,"axG",@progbits,_ZN7rocprim17ROCPRIM_400000_NS6detail17trampoline_kernelINS0_14default_configENS1_38merge_sort_block_merge_config_selectorIxNS0_10empty_typeEEEZZNS1_27merge_sort_block_merge_implIS3_PxPS5_jNS1_19radix_merge_compareILb1ELb1ExNS0_19identity_decomposerEEEEE10hipError_tT0_T1_T2_jT3_P12ihipStream_tbPNSt15iterator_traitsISE_E10value_typeEPNSK_ISF_E10value_typeEPSG_NS1_7vsmem_tEENKUlT_SE_SF_SG_E_clIS8_S8_S9_S9_EESD_ST_SE_SF_SG_EUlST_E_NS1_11comp_targetILNS1_3genE9ELNS1_11target_archE1100ELNS1_3gpuE3ELNS1_3repE0EEENS1_48merge_mergepath_partition_config_static_selectorELNS0_4arch9wavefront6targetE1EEEvSF_,comdat
.Lfunc_end2348:
	.size	_ZN7rocprim17ROCPRIM_400000_NS6detail17trampoline_kernelINS0_14default_configENS1_38merge_sort_block_merge_config_selectorIxNS0_10empty_typeEEEZZNS1_27merge_sort_block_merge_implIS3_PxPS5_jNS1_19radix_merge_compareILb1ELb1ExNS0_19identity_decomposerEEEEE10hipError_tT0_T1_T2_jT3_P12ihipStream_tbPNSt15iterator_traitsISE_E10value_typeEPNSK_ISF_E10value_typeEPSG_NS1_7vsmem_tEENKUlT_SE_SF_SG_E_clIS8_S8_S9_S9_EESD_ST_SE_SF_SG_EUlST_E_NS1_11comp_targetILNS1_3genE9ELNS1_11target_archE1100ELNS1_3gpuE3ELNS1_3repE0EEENS1_48merge_mergepath_partition_config_static_selectorELNS0_4arch9wavefront6targetE1EEEvSF_, .Lfunc_end2348-_ZN7rocprim17ROCPRIM_400000_NS6detail17trampoline_kernelINS0_14default_configENS1_38merge_sort_block_merge_config_selectorIxNS0_10empty_typeEEEZZNS1_27merge_sort_block_merge_implIS3_PxPS5_jNS1_19radix_merge_compareILb1ELb1ExNS0_19identity_decomposerEEEEE10hipError_tT0_T1_T2_jT3_P12ihipStream_tbPNSt15iterator_traitsISE_E10value_typeEPNSK_ISF_E10value_typeEPSG_NS1_7vsmem_tEENKUlT_SE_SF_SG_E_clIS8_S8_S9_S9_EESD_ST_SE_SF_SG_EUlST_E_NS1_11comp_targetILNS1_3genE9ELNS1_11target_archE1100ELNS1_3gpuE3ELNS1_3repE0EEENS1_48merge_mergepath_partition_config_static_selectorELNS0_4arch9wavefront6targetE1EEEvSF_
                                        ; -- End function
	.section	.AMDGPU.csdata,"",@progbits
; Kernel info:
; codeLenInByte = 0
; NumSgprs: 4
; NumVgprs: 0
; NumAgprs: 0
; TotalNumVgprs: 0
; ScratchSize: 0
; MemoryBound: 0
; FloatMode: 240
; IeeeMode: 1
; LDSByteSize: 0 bytes/workgroup (compile time only)
; SGPRBlocks: 0
; VGPRBlocks: 0
; NumSGPRsForWavesPerEU: 4
; NumVGPRsForWavesPerEU: 1
; AccumOffset: 4
; Occupancy: 8
; WaveLimiterHint : 0
; COMPUTE_PGM_RSRC2:SCRATCH_EN: 0
; COMPUTE_PGM_RSRC2:USER_SGPR: 6
; COMPUTE_PGM_RSRC2:TRAP_HANDLER: 0
; COMPUTE_PGM_RSRC2:TGID_X_EN: 1
; COMPUTE_PGM_RSRC2:TGID_Y_EN: 0
; COMPUTE_PGM_RSRC2:TGID_Z_EN: 0
; COMPUTE_PGM_RSRC2:TIDIG_COMP_CNT: 0
; COMPUTE_PGM_RSRC3_GFX90A:ACCUM_OFFSET: 0
; COMPUTE_PGM_RSRC3_GFX90A:TG_SPLIT: 0
	.section	.text._ZN7rocprim17ROCPRIM_400000_NS6detail17trampoline_kernelINS0_14default_configENS1_38merge_sort_block_merge_config_selectorIxNS0_10empty_typeEEEZZNS1_27merge_sort_block_merge_implIS3_PxPS5_jNS1_19radix_merge_compareILb1ELb1ExNS0_19identity_decomposerEEEEE10hipError_tT0_T1_T2_jT3_P12ihipStream_tbPNSt15iterator_traitsISE_E10value_typeEPNSK_ISF_E10value_typeEPSG_NS1_7vsmem_tEENKUlT_SE_SF_SG_E_clIS8_S8_S9_S9_EESD_ST_SE_SF_SG_EUlST_E_NS1_11comp_targetILNS1_3genE8ELNS1_11target_archE1030ELNS1_3gpuE2ELNS1_3repE0EEENS1_48merge_mergepath_partition_config_static_selectorELNS0_4arch9wavefront6targetE1EEEvSF_,"axG",@progbits,_ZN7rocprim17ROCPRIM_400000_NS6detail17trampoline_kernelINS0_14default_configENS1_38merge_sort_block_merge_config_selectorIxNS0_10empty_typeEEEZZNS1_27merge_sort_block_merge_implIS3_PxPS5_jNS1_19radix_merge_compareILb1ELb1ExNS0_19identity_decomposerEEEEE10hipError_tT0_T1_T2_jT3_P12ihipStream_tbPNSt15iterator_traitsISE_E10value_typeEPNSK_ISF_E10value_typeEPSG_NS1_7vsmem_tEENKUlT_SE_SF_SG_E_clIS8_S8_S9_S9_EESD_ST_SE_SF_SG_EUlST_E_NS1_11comp_targetILNS1_3genE8ELNS1_11target_archE1030ELNS1_3gpuE2ELNS1_3repE0EEENS1_48merge_mergepath_partition_config_static_selectorELNS0_4arch9wavefront6targetE1EEEvSF_,comdat
	.protected	_ZN7rocprim17ROCPRIM_400000_NS6detail17trampoline_kernelINS0_14default_configENS1_38merge_sort_block_merge_config_selectorIxNS0_10empty_typeEEEZZNS1_27merge_sort_block_merge_implIS3_PxPS5_jNS1_19radix_merge_compareILb1ELb1ExNS0_19identity_decomposerEEEEE10hipError_tT0_T1_T2_jT3_P12ihipStream_tbPNSt15iterator_traitsISE_E10value_typeEPNSK_ISF_E10value_typeEPSG_NS1_7vsmem_tEENKUlT_SE_SF_SG_E_clIS8_S8_S9_S9_EESD_ST_SE_SF_SG_EUlST_E_NS1_11comp_targetILNS1_3genE8ELNS1_11target_archE1030ELNS1_3gpuE2ELNS1_3repE0EEENS1_48merge_mergepath_partition_config_static_selectorELNS0_4arch9wavefront6targetE1EEEvSF_ ; -- Begin function _ZN7rocprim17ROCPRIM_400000_NS6detail17trampoline_kernelINS0_14default_configENS1_38merge_sort_block_merge_config_selectorIxNS0_10empty_typeEEEZZNS1_27merge_sort_block_merge_implIS3_PxPS5_jNS1_19radix_merge_compareILb1ELb1ExNS0_19identity_decomposerEEEEE10hipError_tT0_T1_T2_jT3_P12ihipStream_tbPNSt15iterator_traitsISE_E10value_typeEPNSK_ISF_E10value_typeEPSG_NS1_7vsmem_tEENKUlT_SE_SF_SG_E_clIS8_S8_S9_S9_EESD_ST_SE_SF_SG_EUlST_E_NS1_11comp_targetILNS1_3genE8ELNS1_11target_archE1030ELNS1_3gpuE2ELNS1_3repE0EEENS1_48merge_mergepath_partition_config_static_selectorELNS0_4arch9wavefront6targetE1EEEvSF_
	.globl	_ZN7rocprim17ROCPRIM_400000_NS6detail17trampoline_kernelINS0_14default_configENS1_38merge_sort_block_merge_config_selectorIxNS0_10empty_typeEEEZZNS1_27merge_sort_block_merge_implIS3_PxPS5_jNS1_19radix_merge_compareILb1ELb1ExNS0_19identity_decomposerEEEEE10hipError_tT0_T1_T2_jT3_P12ihipStream_tbPNSt15iterator_traitsISE_E10value_typeEPNSK_ISF_E10value_typeEPSG_NS1_7vsmem_tEENKUlT_SE_SF_SG_E_clIS8_S8_S9_S9_EESD_ST_SE_SF_SG_EUlST_E_NS1_11comp_targetILNS1_3genE8ELNS1_11target_archE1030ELNS1_3gpuE2ELNS1_3repE0EEENS1_48merge_mergepath_partition_config_static_selectorELNS0_4arch9wavefront6targetE1EEEvSF_
	.p2align	8
	.type	_ZN7rocprim17ROCPRIM_400000_NS6detail17trampoline_kernelINS0_14default_configENS1_38merge_sort_block_merge_config_selectorIxNS0_10empty_typeEEEZZNS1_27merge_sort_block_merge_implIS3_PxPS5_jNS1_19radix_merge_compareILb1ELb1ExNS0_19identity_decomposerEEEEE10hipError_tT0_T1_T2_jT3_P12ihipStream_tbPNSt15iterator_traitsISE_E10value_typeEPNSK_ISF_E10value_typeEPSG_NS1_7vsmem_tEENKUlT_SE_SF_SG_E_clIS8_S8_S9_S9_EESD_ST_SE_SF_SG_EUlST_E_NS1_11comp_targetILNS1_3genE8ELNS1_11target_archE1030ELNS1_3gpuE2ELNS1_3repE0EEENS1_48merge_mergepath_partition_config_static_selectorELNS0_4arch9wavefront6targetE1EEEvSF_,@function
_ZN7rocprim17ROCPRIM_400000_NS6detail17trampoline_kernelINS0_14default_configENS1_38merge_sort_block_merge_config_selectorIxNS0_10empty_typeEEEZZNS1_27merge_sort_block_merge_implIS3_PxPS5_jNS1_19radix_merge_compareILb1ELb1ExNS0_19identity_decomposerEEEEE10hipError_tT0_T1_T2_jT3_P12ihipStream_tbPNSt15iterator_traitsISE_E10value_typeEPNSK_ISF_E10value_typeEPSG_NS1_7vsmem_tEENKUlT_SE_SF_SG_E_clIS8_S8_S9_S9_EESD_ST_SE_SF_SG_EUlST_E_NS1_11comp_targetILNS1_3genE8ELNS1_11target_archE1030ELNS1_3gpuE2ELNS1_3repE0EEENS1_48merge_mergepath_partition_config_static_selectorELNS0_4arch9wavefront6targetE1EEEvSF_: ; @_ZN7rocprim17ROCPRIM_400000_NS6detail17trampoline_kernelINS0_14default_configENS1_38merge_sort_block_merge_config_selectorIxNS0_10empty_typeEEEZZNS1_27merge_sort_block_merge_implIS3_PxPS5_jNS1_19radix_merge_compareILb1ELb1ExNS0_19identity_decomposerEEEEE10hipError_tT0_T1_T2_jT3_P12ihipStream_tbPNSt15iterator_traitsISE_E10value_typeEPNSK_ISF_E10value_typeEPSG_NS1_7vsmem_tEENKUlT_SE_SF_SG_E_clIS8_S8_S9_S9_EESD_ST_SE_SF_SG_EUlST_E_NS1_11comp_targetILNS1_3genE8ELNS1_11target_archE1030ELNS1_3gpuE2ELNS1_3repE0EEENS1_48merge_mergepath_partition_config_static_selectorELNS0_4arch9wavefront6targetE1EEEvSF_
; %bb.0:
	.section	.rodata,"a",@progbits
	.p2align	6, 0x0
	.amdhsa_kernel _ZN7rocprim17ROCPRIM_400000_NS6detail17trampoline_kernelINS0_14default_configENS1_38merge_sort_block_merge_config_selectorIxNS0_10empty_typeEEEZZNS1_27merge_sort_block_merge_implIS3_PxPS5_jNS1_19radix_merge_compareILb1ELb1ExNS0_19identity_decomposerEEEEE10hipError_tT0_T1_T2_jT3_P12ihipStream_tbPNSt15iterator_traitsISE_E10value_typeEPNSK_ISF_E10value_typeEPSG_NS1_7vsmem_tEENKUlT_SE_SF_SG_E_clIS8_S8_S9_S9_EESD_ST_SE_SF_SG_EUlST_E_NS1_11comp_targetILNS1_3genE8ELNS1_11target_archE1030ELNS1_3gpuE2ELNS1_3repE0EEENS1_48merge_mergepath_partition_config_static_selectorELNS0_4arch9wavefront6targetE1EEEvSF_
		.amdhsa_group_segment_fixed_size 0
		.amdhsa_private_segment_fixed_size 0
		.amdhsa_kernarg_size 40
		.amdhsa_user_sgpr_count 6
		.amdhsa_user_sgpr_private_segment_buffer 1
		.amdhsa_user_sgpr_dispatch_ptr 0
		.amdhsa_user_sgpr_queue_ptr 0
		.amdhsa_user_sgpr_kernarg_segment_ptr 1
		.amdhsa_user_sgpr_dispatch_id 0
		.amdhsa_user_sgpr_flat_scratch_init 0
		.amdhsa_user_sgpr_kernarg_preload_length 0
		.amdhsa_user_sgpr_kernarg_preload_offset 0
		.amdhsa_user_sgpr_private_segment_size 0
		.amdhsa_uses_dynamic_stack 0
		.amdhsa_system_sgpr_private_segment_wavefront_offset 0
		.amdhsa_system_sgpr_workgroup_id_x 1
		.amdhsa_system_sgpr_workgroup_id_y 0
		.amdhsa_system_sgpr_workgroup_id_z 0
		.amdhsa_system_sgpr_workgroup_info 0
		.amdhsa_system_vgpr_workitem_id 0
		.amdhsa_next_free_vgpr 1
		.amdhsa_next_free_sgpr 0
		.amdhsa_accum_offset 4
		.amdhsa_reserve_vcc 0
		.amdhsa_reserve_flat_scratch 0
		.amdhsa_float_round_mode_32 0
		.amdhsa_float_round_mode_16_64 0
		.amdhsa_float_denorm_mode_32 3
		.amdhsa_float_denorm_mode_16_64 3
		.amdhsa_dx10_clamp 1
		.amdhsa_ieee_mode 1
		.amdhsa_fp16_overflow 0
		.amdhsa_tg_split 0
		.amdhsa_exception_fp_ieee_invalid_op 0
		.amdhsa_exception_fp_denorm_src 0
		.amdhsa_exception_fp_ieee_div_zero 0
		.amdhsa_exception_fp_ieee_overflow 0
		.amdhsa_exception_fp_ieee_underflow 0
		.amdhsa_exception_fp_ieee_inexact 0
		.amdhsa_exception_int_div_zero 0
	.end_amdhsa_kernel
	.section	.text._ZN7rocprim17ROCPRIM_400000_NS6detail17trampoline_kernelINS0_14default_configENS1_38merge_sort_block_merge_config_selectorIxNS0_10empty_typeEEEZZNS1_27merge_sort_block_merge_implIS3_PxPS5_jNS1_19radix_merge_compareILb1ELb1ExNS0_19identity_decomposerEEEEE10hipError_tT0_T1_T2_jT3_P12ihipStream_tbPNSt15iterator_traitsISE_E10value_typeEPNSK_ISF_E10value_typeEPSG_NS1_7vsmem_tEENKUlT_SE_SF_SG_E_clIS8_S8_S9_S9_EESD_ST_SE_SF_SG_EUlST_E_NS1_11comp_targetILNS1_3genE8ELNS1_11target_archE1030ELNS1_3gpuE2ELNS1_3repE0EEENS1_48merge_mergepath_partition_config_static_selectorELNS0_4arch9wavefront6targetE1EEEvSF_,"axG",@progbits,_ZN7rocprim17ROCPRIM_400000_NS6detail17trampoline_kernelINS0_14default_configENS1_38merge_sort_block_merge_config_selectorIxNS0_10empty_typeEEEZZNS1_27merge_sort_block_merge_implIS3_PxPS5_jNS1_19radix_merge_compareILb1ELb1ExNS0_19identity_decomposerEEEEE10hipError_tT0_T1_T2_jT3_P12ihipStream_tbPNSt15iterator_traitsISE_E10value_typeEPNSK_ISF_E10value_typeEPSG_NS1_7vsmem_tEENKUlT_SE_SF_SG_E_clIS8_S8_S9_S9_EESD_ST_SE_SF_SG_EUlST_E_NS1_11comp_targetILNS1_3genE8ELNS1_11target_archE1030ELNS1_3gpuE2ELNS1_3repE0EEENS1_48merge_mergepath_partition_config_static_selectorELNS0_4arch9wavefront6targetE1EEEvSF_,comdat
.Lfunc_end2349:
	.size	_ZN7rocprim17ROCPRIM_400000_NS6detail17trampoline_kernelINS0_14default_configENS1_38merge_sort_block_merge_config_selectorIxNS0_10empty_typeEEEZZNS1_27merge_sort_block_merge_implIS3_PxPS5_jNS1_19radix_merge_compareILb1ELb1ExNS0_19identity_decomposerEEEEE10hipError_tT0_T1_T2_jT3_P12ihipStream_tbPNSt15iterator_traitsISE_E10value_typeEPNSK_ISF_E10value_typeEPSG_NS1_7vsmem_tEENKUlT_SE_SF_SG_E_clIS8_S8_S9_S9_EESD_ST_SE_SF_SG_EUlST_E_NS1_11comp_targetILNS1_3genE8ELNS1_11target_archE1030ELNS1_3gpuE2ELNS1_3repE0EEENS1_48merge_mergepath_partition_config_static_selectorELNS0_4arch9wavefront6targetE1EEEvSF_, .Lfunc_end2349-_ZN7rocprim17ROCPRIM_400000_NS6detail17trampoline_kernelINS0_14default_configENS1_38merge_sort_block_merge_config_selectorIxNS0_10empty_typeEEEZZNS1_27merge_sort_block_merge_implIS3_PxPS5_jNS1_19radix_merge_compareILb1ELb1ExNS0_19identity_decomposerEEEEE10hipError_tT0_T1_T2_jT3_P12ihipStream_tbPNSt15iterator_traitsISE_E10value_typeEPNSK_ISF_E10value_typeEPSG_NS1_7vsmem_tEENKUlT_SE_SF_SG_E_clIS8_S8_S9_S9_EESD_ST_SE_SF_SG_EUlST_E_NS1_11comp_targetILNS1_3genE8ELNS1_11target_archE1030ELNS1_3gpuE2ELNS1_3repE0EEENS1_48merge_mergepath_partition_config_static_selectorELNS0_4arch9wavefront6targetE1EEEvSF_
                                        ; -- End function
	.section	.AMDGPU.csdata,"",@progbits
; Kernel info:
; codeLenInByte = 0
; NumSgprs: 4
; NumVgprs: 0
; NumAgprs: 0
; TotalNumVgprs: 0
; ScratchSize: 0
; MemoryBound: 0
; FloatMode: 240
; IeeeMode: 1
; LDSByteSize: 0 bytes/workgroup (compile time only)
; SGPRBlocks: 0
; VGPRBlocks: 0
; NumSGPRsForWavesPerEU: 4
; NumVGPRsForWavesPerEU: 1
; AccumOffset: 4
; Occupancy: 8
; WaveLimiterHint : 0
; COMPUTE_PGM_RSRC2:SCRATCH_EN: 0
; COMPUTE_PGM_RSRC2:USER_SGPR: 6
; COMPUTE_PGM_RSRC2:TRAP_HANDLER: 0
; COMPUTE_PGM_RSRC2:TGID_X_EN: 1
; COMPUTE_PGM_RSRC2:TGID_Y_EN: 0
; COMPUTE_PGM_RSRC2:TGID_Z_EN: 0
; COMPUTE_PGM_RSRC2:TIDIG_COMP_CNT: 0
; COMPUTE_PGM_RSRC3_GFX90A:ACCUM_OFFSET: 0
; COMPUTE_PGM_RSRC3_GFX90A:TG_SPLIT: 0
	.section	.text._ZN7rocprim17ROCPRIM_400000_NS6detail17trampoline_kernelINS0_14default_configENS1_38merge_sort_block_merge_config_selectorIxNS0_10empty_typeEEEZZNS1_27merge_sort_block_merge_implIS3_PxPS5_jNS1_19radix_merge_compareILb1ELb1ExNS0_19identity_decomposerEEEEE10hipError_tT0_T1_T2_jT3_P12ihipStream_tbPNSt15iterator_traitsISE_E10value_typeEPNSK_ISF_E10value_typeEPSG_NS1_7vsmem_tEENKUlT_SE_SF_SG_E_clIS8_S8_S9_S9_EESD_ST_SE_SF_SG_EUlST_E0_NS1_11comp_targetILNS1_3genE0ELNS1_11target_archE4294967295ELNS1_3gpuE0ELNS1_3repE0EEENS1_38merge_mergepath_config_static_selectorELNS0_4arch9wavefront6targetE1EEEvSF_,"axG",@progbits,_ZN7rocprim17ROCPRIM_400000_NS6detail17trampoline_kernelINS0_14default_configENS1_38merge_sort_block_merge_config_selectorIxNS0_10empty_typeEEEZZNS1_27merge_sort_block_merge_implIS3_PxPS5_jNS1_19radix_merge_compareILb1ELb1ExNS0_19identity_decomposerEEEEE10hipError_tT0_T1_T2_jT3_P12ihipStream_tbPNSt15iterator_traitsISE_E10value_typeEPNSK_ISF_E10value_typeEPSG_NS1_7vsmem_tEENKUlT_SE_SF_SG_E_clIS8_S8_S9_S9_EESD_ST_SE_SF_SG_EUlST_E0_NS1_11comp_targetILNS1_3genE0ELNS1_11target_archE4294967295ELNS1_3gpuE0ELNS1_3repE0EEENS1_38merge_mergepath_config_static_selectorELNS0_4arch9wavefront6targetE1EEEvSF_,comdat
	.protected	_ZN7rocprim17ROCPRIM_400000_NS6detail17trampoline_kernelINS0_14default_configENS1_38merge_sort_block_merge_config_selectorIxNS0_10empty_typeEEEZZNS1_27merge_sort_block_merge_implIS3_PxPS5_jNS1_19radix_merge_compareILb1ELb1ExNS0_19identity_decomposerEEEEE10hipError_tT0_T1_T2_jT3_P12ihipStream_tbPNSt15iterator_traitsISE_E10value_typeEPNSK_ISF_E10value_typeEPSG_NS1_7vsmem_tEENKUlT_SE_SF_SG_E_clIS8_S8_S9_S9_EESD_ST_SE_SF_SG_EUlST_E0_NS1_11comp_targetILNS1_3genE0ELNS1_11target_archE4294967295ELNS1_3gpuE0ELNS1_3repE0EEENS1_38merge_mergepath_config_static_selectorELNS0_4arch9wavefront6targetE1EEEvSF_ ; -- Begin function _ZN7rocprim17ROCPRIM_400000_NS6detail17trampoline_kernelINS0_14default_configENS1_38merge_sort_block_merge_config_selectorIxNS0_10empty_typeEEEZZNS1_27merge_sort_block_merge_implIS3_PxPS5_jNS1_19radix_merge_compareILb1ELb1ExNS0_19identity_decomposerEEEEE10hipError_tT0_T1_T2_jT3_P12ihipStream_tbPNSt15iterator_traitsISE_E10value_typeEPNSK_ISF_E10value_typeEPSG_NS1_7vsmem_tEENKUlT_SE_SF_SG_E_clIS8_S8_S9_S9_EESD_ST_SE_SF_SG_EUlST_E0_NS1_11comp_targetILNS1_3genE0ELNS1_11target_archE4294967295ELNS1_3gpuE0ELNS1_3repE0EEENS1_38merge_mergepath_config_static_selectorELNS0_4arch9wavefront6targetE1EEEvSF_
	.globl	_ZN7rocprim17ROCPRIM_400000_NS6detail17trampoline_kernelINS0_14default_configENS1_38merge_sort_block_merge_config_selectorIxNS0_10empty_typeEEEZZNS1_27merge_sort_block_merge_implIS3_PxPS5_jNS1_19radix_merge_compareILb1ELb1ExNS0_19identity_decomposerEEEEE10hipError_tT0_T1_T2_jT3_P12ihipStream_tbPNSt15iterator_traitsISE_E10value_typeEPNSK_ISF_E10value_typeEPSG_NS1_7vsmem_tEENKUlT_SE_SF_SG_E_clIS8_S8_S9_S9_EESD_ST_SE_SF_SG_EUlST_E0_NS1_11comp_targetILNS1_3genE0ELNS1_11target_archE4294967295ELNS1_3gpuE0ELNS1_3repE0EEENS1_38merge_mergepath_config_static_selectorELNS0_4arch9wavefront6targetE1EEEvSF_
	.p2align	8
	.type	_ZN7rocprim17ROCPRIM_400000_NS6detail17trampoline_kernelINS0_14default_configENS1_38merge_sort_block_merge_config_selectorIxNS0_10empty_typeEEEZZNS1_27merge_sort_block_merge_implIS3_PxPS5_jNS1_19radix_merge_compareILb1ELb1ExNS0_19identity_decomposerEEEEE10hipError_tT0_T1_T2_jT3_P12ihipStream_tbPNSt15iterator_traitsISE_E10value_typeEPNSK_ISF_E10value_typeEPSG_NS1_7vsmem_tEENKUlT_SE_SF_SG_E_clIS8_S8_S9_S9_EESD_ST_SE_SF_SG_EUlST_E0_NS1_11comp_targetILNS1_3genE0ELNS1_11target_archE4294967295ELNS1_3gpuE0ELNS1_3repE0EEENS1_38merge_mergepath_config_static_selectorELNS0_4arch9wavefront6targetE1EEEvSF_,@function
_ZN7rocprim17ROCPRIM_400000_NS6detail17trampoline_kernelINS0_14default_configENS1_38merge_sort_block_merge_config_selectorIxNS0_10empty_typeEEEZZNS1_27merge_sort_block_merge_implIS3_PxPS5_jNS1_19radix_merge_compareILb1ELb1ExNS0_19identity_decomposerEEEEE10hipError_tT0_T1_T2_jT3_P12ihipStream_tbPNSt15iterator_traitsISE_E10value_typeEPNSK_ISF_E10value_typeEPSG_NS1_7vsmem_tEENKUlT_SE_SF_SG_E_clIS8_S8_S9_S9_EESD_ST_SE_SF_SG_EUlST_E0_NS1_11comp_targetILNS1_3genE0ELNS1_11target_archE4294967295ELNS1_3gpuE0ELNS1_3repE0EEENS1_38merge_mergepath_config_static_selectorELNS0_4arch9wavefront6targetE1EEEvSF_: ; @_ZN7rocprim17ROCPRIM_400000_NS6detail17trampoline_kernelINS0_14default_configENS1_38merge_sort_block_merge_config_selectorIxNS0_10empty_typeEEEZZNS1_27merge_sort_block_merge_implIS3_PxPS5_jNS1_19radix_merge_compareILb1ELb1ExNS0_19identity_decomposerEEEEE10hipError_tT0_T1_T2_jT3_P12ihipStream_tbPNSt15iterator_traitsISE_E10value_typeEPNSK_ISF_E10value_typeEPSG_NS1_7vsmem_tEENKUlT_SE_SF_SG_E_clIS8_S8_S9_S9_EESD_ST_SE_SF_SG_EUlST_E0_NS1_11comp_targetILNS1_3genE0ELNS1_11target_archE4294967295ELNS1_3gpuE0ELNS1_3repE0EEENS1_38merge_mergepath_config_static_selectorELNS0_4arch9wavefront6targetE1EEEvSF_
; %bb.0:
	.section	.rodata,"a",@progbits
	.p2align	6, 0x0
	.amdhsa_kernel _ZN7rocprim17ROCPRIM_400000_NS6detail17trampoline_kernelINS0_14default_configENS1_38merge_sort_block_merge_config_selectorIxNS0_10empty_typeEEEZZNS1_27merge_sort_block_merge_implIS3_PxPS5_jNS1_19radix_merge_compareILb1ELb1ExNS0_19identity_decomposerEEEEE10hipError_tT0_T1_T2_jT3_P12ihipStream_tbPNSt15iterator_traitsISE_E10value_typeEPNSK_ISF_E10value_typeEPSG_NS1_7vsmem_tEENKUlT_SE_SF_SG_E_clIS8_S8_S9_S9_EESD_ST_SE_SF_SG_EUlST_E0_NS1_11comp_targetILNS1_3genE0ELNS1_11target_archE4294967295ELNS1_3gpuE0ELNS1_3repE0EEENS1_38merge_mergepath_config_static_selectorELNS0_4arch9wavefront6targetE1EEEvSF_
		.amdhsa_group_segment_fixed_size 0
		.amdhsa_private_segment_fixed_size 0
		.amdhsa_kernarg_size 72
		.amdhsa_user_sgpr_count 6
		.amdhsa_user_sgpr_private_segment_buffer 1
		.amdhsa_user_sgpr_dispatch_ptr 0
		.amdhsa_user_sgpr_queue_ptr 0
		.amdhsa_user_sgpr_kernarg_segment_ptr 1
		.amdhsa_user_sgpr_dispatch_id 0
		.amdhsa_user_sgpr_flat_scratch_init 0
		.amdhsa_user_sgpr_kernarg_preload_length 0
		.amdhsa_user_sgpr_kernarg_preload_offset 0
		.amdhsa_user_sgpr_private_segment_size 0
		.amdhsa_uses_dynamic_stack 0
		.amdhsa_system_sgpr_private_segment_wavefront_offset 0
		.amdhsa_system_sgpr_workgroup_id_x 1
		.amdhsa_system_sgpr_workgroup_id_y 0
		.amdhsa_system_sgpr_workgroup_id_z 0
		.amdhsa_system_sgpr_workgroup_info 0
		.amdhsa_system_vgpr_workitem_id 0
		.amdhsa_next_free_vgpr 1
		.amdhsa_next_free_sgpr 0
		.amdhsa_accum_offset 4
		.amdhsa_reserve_vcc 0
		.amdhsa_reserve_flat_scratch 0
		.amdhsa_float_round_mode_32 0
		.amdhsa_float_round_mode_16_64 0
		.amdhsa_float_denorm_mode_32 3
		.amdhsa_float_denorm_mode_16_64 3
		.amdhsa_dx10_clamp 1
		.amdhsa_ieee_mode 1
		.amdhsa_fp16_overflow 0
		.amdhsa_tg_split 0
		.amdhsa_exception_fp_ieee_invalid_op 0
		.amdhsa_exception_fp_denorm_src 0
		.amdhsa_exception_fp_ieee_div_zero 0
		.amdhsa_exception_fp_ieee_overflow 0
		.amdhsa_exception_fp_ieee_underflow 0
		.amdhsa_exception_fp_ieee_inexact 0
		.amdhsa_exception_int_div_zero 0
	.end_amdhsa_kernel
	.section	.text._ZN7rocprim17ROCPRIM_400000_NS6detail17trampoline_kernelINS0_14default_configENS1_38merge_sort_block_merge_config_selectorIxNS0_10empty_typeEEEZZNS1_27merge_sort_block_merge_implIS3_PxPS5_jNS1_19radix_merge_compareILb1ELb1ExNS0_19identity_decomposerEEEEE10hipError_tT0_T1_T2_jT3_P12ihipStream_tbPNSt15iterator_traitsISE_E10value_typeEPNSK_ISF_E10value_typeEPSG_NS1_7vsmem_tEENKUlT_SE_SF_SG_E_clIS8_S8_S9_S9_EESD_ST_SE_SF_SG_EUlST_E0_NS1_11comp_targetILNS1_3genE0ELNS1_11target_archE4294967295ELNS1_3gpuE0ELNS1_3repE0EEENS1_38merge_mergepath_config_static_selectorELNS0_4arch9wavefront6targetE1EEEvSF_,"axG",@progbits,_ZN7rocprim17ROCPRIM_400000_NS6detail17trampoline_kernelINS0_14default_configENS1_38merge_sort_block_merge_config_selectorIxNS0_10empty_typeEEEZZNS1_27merge_sort_block_merge_implIS3_PxPS5_jNS1_19radix_merge_compareILb1ELb1ExNS0_19identity_decomposerEEEEE10hipError_tT0_T1_T2_jT3_P12ihipStream_tbPNSt15iterator_traitsISE_E10value_typeEPNSK_ISF_E10value_typeEPSG_NS1_7vsmem_tEENKUlT_SE_SF_SG_E_clIS8_S8_S9_S9_EESD_ST_SE_SF_SG_EUlST_E0_NS1_11comp_targetILNS1_3genE0ELNS1_11target_archE4294967295ELNS1_3gpuE0ELNS1_3repE0EEENS1_38merge_mergepath_config_static_selectorELNS0_4arch9wavefront6targetE1EEEvSF_,comdat
.Lfunc_end2350:
	.size	_ZN7rocprim17ROCPRIM_400000_NS6detail17trampoline_kernelINS0_14default_configENS1_38merge_sort_block_merge_config_selectorIxNS0_10empty_typeEEEZZNS1_27merge_sort_block_merge_implIS3_PxPS5_jNS1_19radix_merge_compareILb1ELb1ExNS0_19identity_decomposerEEEEE10hipError_tT0_T1_T2_jT3_P12ihipStream_tbPNSt15iterator_traitsISE_E10value_typeEPNSK_ISF_E10value_typeEPSG_NS1_7vsmem_tEENKUlT_SE_SF_SG_E_clIS8_S8_S9_S9_EESD_ST_SE_SF_SG_EUlST_E0_NS1_11comp_targetILNS1_3genE0ELNS1_11target_archE4294967295ELNS1_3gpuE0ELNS1_3repE0EEENS1_38merge_mergepath_config_static_selectorELNS0_4arch9wavefront6targetE1EEEvSF_, .Lfunc_end2350-_ZN7rocprim17ROCPRIM_400000_NS6detail17trampoline_kernelINS0_14default_configENS1_38merge_sort_block_merge_config_selectorIxNS0_10empty_typeEEEZZNS1_27merge_sort_block_merge_implIS3_PxPS5_jNS1_19radix_merge_compareILb1ELb1ExNS0_19identity_decomposerEEEEE10hipError_tT0_T1_T2_jT3_P12ihipStream_tbPNSt15iterator_traitsISE_E10value_typeEPNSK_ISF_E10value_typeEPSG_NS1_7vsmem_tEENKUlT_SE_SF_SG_E_clIS8_S8_S9_S9_EESD_ST_SE_SF_SG_EUlST_E0_NS1_11comp_targetILNS1_3genE0ELNS1_11target_archE4294967295ELNS1_3gpuE0ELNS1_3repE0EEENS1_38merge_mergepath_config_static_selectorELNS0_4arch9wavefront6targetE1EEEvSF_
                                        ; -- End function
	.section	.AMDGPU.csdata,"",@progbits
; Kernel info:
; codeLenInByte = 0
; NumSgprs: 4
; NumVgprs: 0
; NumAgprs: 0
; TotalNumVgprs: 0
; ScratchSize: 0
; MemoryBound: 0
; FloatMode: 240
; IeeeMode: 1
; LDSByteSize: 0 bytes/workgroup (compile time only)
; SGPRBlocks: 0
; VGPRBlocks: 0
; NumSGPRsForWavesPerEU: 4
; NumVGPRsForWavesPerEU: 1
; AccumOffset: 4
; Occupancy: 8
; WaveLimiterHint : 0
; COMPUTE_PGM_RSRC2:SCRATCH_EN: 0
; COMPUTE_PGM_RSRC2:USER_SGPR: 6
; COMPUTE_PGM_RSRC2:TRAP_HANDLER: 0
; COMPUTE_PGM_RSRC2:TGID_X_EN: 1
; COMPUTE_PGM_RSRC2:TGID_Y_EN: 0
; COMPUTE_PGM_RSRC2:TGID_Z_EN: 0
; COMPUTE_PGM_RSRC2:TIDIG_COMP_CNT: 0
; COMPUTE_PGM_RSRC3_GFX90A:ACCUM_OFFSET: 0
; COMPUTE_PGM_RSRC3_GFX90A:TG_SPLIT: 0
	.section	.text._ZN7rocprim17ROCPRIM_400000_NS6detail17trampoline_kernelINS0_14default_configENS1_38merge_sort_block_merge_config_selectorIxNS0_10empty_typeEEEZZNS1_27merge_sort_block_merge_implIS3_PxPS5_jNS1_19radix_merge_compareILb1ELb1ExNS0_19identity_decomposerEEEEE10hipError_tT0_T1_T2_jT3_P12ihipStream_tbPNSt15iterator_traitsISE_E10value_typeEPNSK_ISF_E10value_typeEPSG_NS1_7vsmem_tEENKUlT_SE_SF_SG_E_clIS8_S8_S9_S9_EESD_ST_SE_SF_SG_EUlST_E0_NS1_11comp_targetILNS1_3genE10ELNS1_11target_archE1201ELNS1_3gpuE5ELNS1_3repE0EEENS1_38merge_mergepath_config_static_selectorELNS0_4arch9wavefront6targetE1EEEvSF_,"axG",@progbits,_ZN7rocprim17ROCPRIM_400000_NS6detail17trampoline_kernelINS0_14default_configENS1_38merge_sort_block_merge_config_selectorIxNS0_10empty_typeEEEZZNS1_27merge_sort_block_merge_implIS3_PxPS5_jNS1_19radix_merge_compareILb1ELb1ExNS0_19identity_decomposerEEEEE10hipError_tT0_T1_T2_jT3_P12ihipStream_tbPNSt15iterator_traitsISE_E10value_typeEPNSK_ISF_E10value_typeEPSG_NS1_7vsmem_tEENKUlT_SE_SF_SG_E_clIS8_S8_S9_S9_EESD_ST_SE_SF_SG_EUlST_E0_NS1_11comp_targetILNS1_3genE10ELNS1_11target_archE1201ELNS1_3gpuE5ELNS1_3repE0EEENS1_38merge_mergepath_config_static_selectorELNS0_4arch9wavefront6targetE1EEEvSF_,comdat
	.protected	_ZN7rocprim17ROCPRIM_400000_NS6detail17trampoline_kernelINS0_14default_configENS1_38merge_sort_block_merge_config_selectorIxNS0_10empty_typeEEEZZNS1_27merge_sort_block_merge_implIS3_PxPS5_jNS1_19radix_merge_compareILb1ELb1ExNS0_19identity_decomposerEEEEE10hipError_tT0_T1_T2_jT3_P12ihipStream_tbPNSt15iterator_traitsISE_E10value_typeEPNSK_ISF_E10value_typeEPSG_NS1_7vsmem_tEENKUlT_SE_SF_SG_E_clIS8_S8_S9_S9_EESD_ST_SE_SF_SG_EUlST_E0_NS1_11comp_targetILNS1_3genE10ELNS1_11target_archE1201ELNS1_3gpuE5ELNS1_3repE0EEENS1_38merge_mergepath_config_static_selectorELNS0_4arch9wavefront6targetE1EEEvSF_ ; -- Begin function _ZN7rocprim17ROCPRIM_400000_NS6detail17trampoline_kernelINS0_14default_configENS1_38merge_sort_block_merge_config_selectorIxNS0_10empty_typeEEEZZNS1_27merge_sort_block_merge_implIS3_PxPS5_jNS1_19radix_merge_compareILb1ELb1ExNS0_19identity_decomposerEEEEE10hipError_tT0_T1_T2_jT3_P12ihipStream_tbPNSt15iterator_traitsISE_E10value_typeEPNSK_ISF_E10value_typeEPSG_NS1_7vsmem_tEENKUlT_SE_SF_SG_E_clIS8_S8_S9_S9_EESD_ST_SE_SF_SG_EUlST_E0_NS1_11comp_targetILNS1_3genE10ELNS1_11target_archE1201ELNS1_3gpuE5ELNS1_3repE0EEENS1_38merge_mergepath_config_static_selectorELNS0_4arch9wavefront6targetE1EEEvSF_
	.globl	_ZN7rocprim17ROCPRIM_400000_NS6detail17trampoline_kernelINS0_14default_configENS1_38merge_sort_block_merge_config_selectorIxNS0_10empty_typeEEEZZNS1_27merge_sort_block_merge_implIS3_PxPS5_jNS1_19radix_merge_compareILb1ELb1ExNS0_19identity_decomposerEEEEE10hipError_tT0_T1_T2_jT3_P12ihipStream_tbPNSt15iterator_traitsISE_E10value_typeEPNSK_ISF_E10value_typeEPSG_NS1_7vsmem_tEENKUlT_SE_SF_SG_E_clIS8_S8_S9_S9_EESD_ST_SE_SF_SG_EUlST_E0_NS1_11comp_targetILNS1_3genE10ELNS1_11target_archE1201ELNS1_3gpuE5ELNS1_3repE0EEENS1_38merge_mergepath_config_static_selectorELNS0_4arch9wavefront6targetE1EEEvSF_
	.p2align	8
	.type	_ZN7rocprim17ROCPRIM_400000_NS6detail17trampoline_kernelINS0_14default_configENS1_38merge_sort_block_merge_config_selectorIxNS0_10empty_typeEEEZZNS1_27merge_sort_block_merge_implIS3_PxPS5_jNS1_19radix_merge_compareILb1ELb1ExNS0_19identity_decomposerEEEEE10hipError_tT0_T1_T2_jT3_P12ihipStream_tbPNSt15iterator_traitsISE_E10value_typeEPNSK_ISF_E10value_typeEPSG_NS1_7vsmem_tEENKUlT_SE_SF_SG_E_clIS8_S8_S9_S9_EESD_ST_SE_SF_SG_EUlST_E0_NS1_11comp_targetILNS1_3genE10ELNS1_11target_archE1201ELNS1_3gpuE5ELNS1_3repE0EEENS1_38merge_mergepath_config_static_selectorELNS0_4arch9wavefront6targetE1EEEvSF_,@function
_ZN7rocprim17ROCPRIM_400000_NS6detail17trampoline_kernelINS0_14default_configENS1_38merge_sort_block_merge_config_selectorIxNS0_10empty_typeEEEZZNS1_27merge_sort_block_merge_implIS3_PxPS5_jNS1_19radix_merge_compareILb1ELb1ExNS0_19identity_decomposerEEEEE10hipError_tT0_T1_T2_jT3_P12ihipStream_tbPNSt15iterator_traitsISE_E10value_typeEPNSK_ISF_E10value_typeEPSG_NS1_7vsmem_tEENKUlT_SE_SF_SG_E_clIS8_S8_S9_S9_EESD_ST_SE_SF_SG_EUlST_E0_NS1_11comp_targetILNS1_3genE10ELNS1_11target_archE1201ELNS1_3gpuE5ELNS1_3repE0EEENS1_38merge_mergepath_config_static_selectorELNS0_4arch9wavefront6targetE1EEEvSF_: ; @_ZN7rocprim17ROCPRIM_400000_NS6detail17trampoline_kernelINS0_14default_configENS1_38merge_sort_block_merge_config_selectorIxNS0_10empty_typeEEEZZNS1_27merge_sort_block_merge_implIS3_PxPS5_jNS1_19radix_merge_compareILb1ELb1ExNS0_19identity_decomposerEEEEE10hipError_tT0_T1_T2_jT3_P12ihipStream_tbPNSt15iterator_traitsISE_E10value_typeEPNSK_ISF_E10value_typeEPSG_NS1_7vsmem_tEENKUlT_SE_SF_SG_E_clIS8_S8_S9_S9_EESD_ST_SE_SF_SG_EUlST_E0_NS1_11comp_targetILNS1_3genE10ELNS1_11target_archE1201ELNS1_3gpuE5ELNS1_3repE0EEENS1_38merge_mergepath_config_static_selectorELNS0_4arch9wavefront6targetE1EEEvSF_
; %bb.0:
	.section	.rodata,"a",@progbits
	.p2align	6, 0x0
	.amdhsa_kernel _ZN7rocprim17ROCPRIM_400000_NS6detail17trampoline_kernelINS0_14default_configENS1_38merge_sort_block_merge_config_selectorIxNS0_10empty_typeEEEZZNS1_27merge_sort_block_merge_implIS3_PxPS5_jNS1_19radix_merge_compareILb1ELb1ExNS0_19identity_decomposerEEEEE10hipError_tT0_T1_T2_jT3_P12ihipStream_tbPNSt15iterator_traitsISE_E10value_typeEPNSK_ISF_E10value_typeEPSG_NS1_7vsmem_tEENKUlT_SE_SF_SG_E_clIS8_S8_S9_S9_EESD_ST_SE_SF_SG_EUlST_E0_NS1_11comp_targetILNS1_3genE10ELNS1_11target_archE1201ELNS1_3gpuE5ELNS1_3repE0EEENS1_38merge_mergepath_config_static_selectorELNS0_4arch9wavefront6targetE1EEEvSF_
		.amdhsa_group_segment_fixed_size 0
		.amdhsa_private_segment_fixed_size 0
		.amdhsa_kernarg_size 72
		.amdhsa_user_sgpr_count 6
		.amdhsa_user_sgpr_private_segment_buffer 1
		.amdhsa_user_sgpr_dispatch_ptr 0
		.amdhsa_user_sgpr_queue_ptr 0
		.amdhsa_user_sgpr_kernarg_segment_ptr 1
		.amdhsa_user_sgpr_dispatch_id 0
		.amdhsa_user_sgpr_flat_scratch_init 0
		.amdhsa_user_sgpr_kernarg_preload_length 0
		.amdhsa_user_sgpr_kernarg_preload_offset 0
		.amdhsa_user_sgpr_private_segment_size 0
		.amdhsa_uses_dynamic_stack 0
		.amdhsa_system_sgpr_private_segment_wavefront_offset 0
		.amdhsa_system_sgpr_workgroup_id_x 1
		.amdhsa_system_sgpr_workgroup_id_y 0
		.amdhsa_system_sgpr_workgroup_id_z 0
		.amdhsa_system_sgpr_workgroup_info 0
		.amdhsa_system_vgpr_workitem_id 0
		.amdhsa_next_free_vgpr 1
		.amdhsa_next_free_sgpr 0
		.amdhsa_accum_offset 4
		.amdhsa_reserve_vcc 0
		.amdhsa_reserve_flat_scratch 0
		.amdhsa_float_round_mode_32 0
		.amdhsa_float_round_mode_16_64 0
		.amdhsa_float_denorm_mode_32 3
		.amdhsa_float_denorm_mode_16_64 3
		.amdhsa_dx10_clamp 1
		.amdhsa_ieee_mode 1
		.amdhsa_fp16_overflow 0
		.amdhsa_tg_split 0
		.amdhsa_exception_fp_ieee_invalid_op 0
		.amdhsa_exception_fp_denorm_src 0
		.amdhsa_exception_fp_ieee_div_zero 0
		.amdhsa_exception_fp_ieee_overflow 0
		.amdhsa_exception_fp_ieee_underflow 0
		.amdhsa_exception_fp_ieee_inexact 0
		.amdhsa_exception_int_div_zero 0
	.end_amdhsa_kernel
	.section	.text._ZN7rocprim17ROCPRIM_400000_NS6detail17trampoline_kernelINS0_14default_configENS1_38merge_sort_block_merge_config_selectorIxNS0_10empty_typeEEEZZNS1_27merge_sort_block_merge_implIS3_PxPS5_jNS1_19radix_merge_compareILb1ELb1ExNS0_19identity_decomposerEEEEE10hipError_tT0_T1_T2_jT3_P12ihipStream_tbPNSt15iterator_traitsISE_E10value_typeEPNSK_ISF_E10value_typeEPSG_NS1_7vsmem_tEENKUlT_SE_SF_SG_E_clIS8_S8_S9_S9_EESD_ST_SE_SF_SG_EUlST_E0_NS1_11comp_targetILNS1_3genE10ELNS1_11target_archE1201ELNS1_3gpuE5ELNS1_3repE0EEENS1_38merge_mergepath_config_static_selectorELNS0_4arch9wavefront6targetE1EEEvSF_,"axG",@progbits,_ZN7rocprim17ROCPRIM_400000_NS6detail17trampoline_kernelINS0_14default_configENS1_38merge_sort_block_merge_config_selectorIxNS0_10empty_typeEEEZZNS1_27merge_sort_block_merge_implIS3_PxPS5_jNS1_19radix_merge_compareILb1ELb1ExNS0_19identity_decomposerEEEEE10hipError_tT0_T1_T2_jT3_P12ihipStream_tbPNSt15iterator_traitsISE_E10value_typeEPNSK_ISF_E10value_typeEPSG_NS1_7vsmem_tEENKUlT_SE_SF_SG_E_clIS8_S8_S9_S9_EESD_ST_SE_SF_SG_EUlST_E0_NS1_11comp_targetILNS1_3genE10ELNS1_11target_archE1201ELNS1_3gpuE5ELNS1_3repE0EEENS1_38merge_mergepath_config_static_selectorELNS0_4arch9wavefront6targetE1EEEvSF_,comdat
.Lfunc_end2351:
	.size	_ZN7rocprim17ROCPRIM_400000_NS6detail17trampoline_kernelINS0_14default_configENS1_38merge_sort_block_merge_config_selectorIxNS0_10empty_typeEEEZZNS1_27merge_sort_block_merge_implIS3_PxPS5_jNS1_19radix_merge_compareILb1ELb1ExNS0_19identity_decomposerEEEEE10hipError_tT0_T1_T2_jT3_P12ihipStream_tbPNSt15iterator_traitsISE_E10value_typeEPNSK_ISF_E10value_typeEPSG_NS1_7vsmem_tEENKUlT_SE_SF_SG_E_clIS8_S8_S9_S9_EESD_ST_SE_SF_SG_EUlST_E0_NS1_11comp_targetILNS1_3genE10ELNS1_11target_archE1201ELNS1_3gpuE5ELNS1_3repE0EEENS1_38merge_mergepath_config_static_selectorELNS0_4arch9wavefront6targetE1EEEvSF_, .Lfunc_end2351-_ZN7rocprim17ROCPRIM_400000_NS6detail17trampoline_kernelINS0_14default_configENS1_38merge_sort_block_merge_config_selectorIxNS0_10empty_typeEEEZZNS1_27merge_sort_block_merge_implIS3_PxPS5_jNS1_19radix_merge_compareILb1ELb1ExNS0_19identity_decomposerEEEEE10hipError_tT0_T1_T2_jT3_P12ihipStream_tbPNSt15iterator_traitsISE_E10value_typeEPNSK_ISF_E10value_typeEPSG_NS1_7vsmem_tEENKUlT_SE_SF_SG_E_clIS8_S8_S9_S9_EESD_ST_SE_SF_SG_EUlST_E0_NS1_11comp_targetILNS1_3genE10ELNS1_11target_archE1201ELNS1_3gpuE5ELNS1_3repE0EEENS1_38merge_mergepath_config_static_selectorELNS0_4arch9wavefront6targetE1EEEvSF_
                                        ; -- End function
	.section	.AMDGPU.csdata,"",@progbits
; Kernel info:
; codeLenInByte = 0
; NumSgprs: 4
; NumVgprs: 0
; NumAgprs: 0
; TotalNumVgprs: 0
; ScratchSize: 0
; MemoryBound: 0
; FloatMode: 240
; IeeeMode: 1
; LDSByteSize: 0 bytes/workgroup (compile time only)
; SGPRBlocks: 0
; VGPRBlocks: 0
; NumSGPRsForWavesPerEU: 4
; NumVGPRsForWavesPerEU: 1
; AccumOffset: 4
; Occupancy: 8
; WaveLimiterHint : 0
; COMPUTE_PGM_RSRC2:SCRATCH_EN: 0
; COMPUTE_PGM_RSRC2:USER_SGPR: 6
; COMPUTE_PGM_RSRC2:TRAP_HANDLER: 0
; COMPUTE_PGM_RSRC2:TGID_X_EN: 1
; COMPUTE_PGM_RSRC2:TGID_Y_EN: 0
; COMPUTE_PGM_RSRC2:TGID_Z_EN: 0
; COMPUTE_PGM_RSRC2:TIDIG_COMP_CNT: 0
; COMPUTE_PGM_RSRC3_GFX90A:ACCUM_OFFSET: 0
; COMPUTE_PGM_RSRC3_GFX90A:TG_SPLIT: 0
	.section	.text._ZN7rocprim17ROCPRIM_400000_NS6detail17trampoline_kernelINS0_14default_configENS1_38merge_sort_block_merge_config_selectorIxNS0_10empty_typeEEEZZNS1_27merge_sort_block_merge_implIS3_PxPS5_jNS1_19radix_merge_compareILb1ELb1ExNS0_19identity_decomposerEEEEE10hipError_tT0_T1_T2_jT3_P12ihipStream_tbPNSt15iterator_traitsISE_E10value_typeEPNSK_ISF_E10value_typeEPSG_NS1_7vsmem_tEENKUlT_SE_SF_SG_E_clIS8_S8_S9_S9_EESD_ST_SE_SF_SG_EUlST_E0_NS1_11comp_targetILNS1_3genE5ELNS1_11target_archE942ELNS1_3gpuE9ELNS1_3repE0EEENS1_38merge_mergepath_config_static_selectorELNS0_4arch9wavefront6targetE1EEEvSF_,"axG",@progbits,_ZN7rocprim17ROCPRIM_400000_NS6detail17trampoline_kernelINS0_14default_configENS1_38merge_sort_block_merge_config_selectorIxNS0_10empty_typeEEEZZNS1_27merge_sort_block_merge_implIS3_PxPS5_jNS1_19radix_merge_compareILb1ELb1ExNS0_19identity_decomposerEEEEE10hipError_tT0_T1_T2_jT3_P12ihipStream_tbPNSt15iterator_traitsISE_E10value_typeEPNSK_ISF_E10value_typeEPSG_NS1_7vsmem_tEENKUlT_SE_SF_SG_E_clIS8_S8_S9_S9_EESD_ST_SE_SF_SG_EUlST_E0_NS1_11comp_targetILNS1_3genE5ELNS1_11target_archE942ELNS1_3gpuE9ELNS1_3repE0EEENS1_38merge_mergepath_config_static_selectorELNS0_4arch9wavefront6targetE1EEEvSF_,comdat
	.protected	_ZN7rocprim17ROCPRIM_400000_NS6detail17trampoline_kernelINS0_14default_configENS1_38merge_sort_block_merge_config_selectorIxNS0_10empty_typeEEEZZNS1_27merge_sort_block_merge_implIS3_PxPS5_jNS1_19radix_merge_compareILb1ELb1ExNS0_19identity_decomposerEEEEE10hipError_tT0_T1_T2_jT3_P12ihipStream_tbPNSt15iterator_traitsISE_E10value_typeEPNSK_ISF_E10value_typeEPSG_NS1_7vsmem_tEENKUlT_SE_SF_SG_E_clIS8_S8_S9_S9_EESD_ST_SE_SF_SG_EUlST_E0_NS1_11comp_targetILNS1_3genE5ELNS1_11target_archE942ELNS1_3gpuE9ELNS1_3repE0EEENS1_38merge_mergepath_config_static_selectorELNS0_4arch9wavefront6targetE1EEEvSF_ ; -- Begin function _ZN7rocprim17ROCPRIM_400000_NS6detail17trampoline_kernelINS0_14default_configENS1_38merge_sort_block_merge_config_selectorIxNS0_10empty_typeEEEZZNS1_27merge_sort_block_merge_implIS3_PxPS5_jNS1_19radix_merge_compareILb1ELb1ExNS0_19identity_decomposerEEEEE10hipError_tT0_T1_T2_jT3_P12ihipStream_tbPNSt15iterator_traitsISE_E10value_typeEPNSK_ISF_E10value_typeEPSG_NS1_7vsmem_tEENKUlT_SE_SF_SG_E_clIS8_S8_S9_S9_EESD_ST_SE_SF_SG_EUlST_E0_NS1_11comp_targetILNS1_3genE5ELNS1_11target_archE942ELNS1_3gpuE9ELNS1_3repE0EEENS1_38merge_mergepath_config_static_selectorELNS0_4arch9wavefront6targetE1EEEvSF_
	.globl	_ZN7rocprim17ROCPRIM_400000_NS6detail17trampoline_kernelINS0_14default_configENS1_38merge_sort_block_merge_config_selectorIxNS0_10empty_typeEEEZZNS1_27merge_sort_block_merge_implIS3_PxPS5_jNS1_19radix_merge_compareILb1ELb1ExNS0_19identity_decomposerEEEEE10hipError_tT0_T1_T2_jT3_P12ihipStream_tbPNSt15iterator_traitsISE_E10value_typeEPNSK_ISF_E10value_typeEPSG_NS1_7vsmem_tEENKUlT_SE_SF_SG_E_clIS8_S8_S9_S9_EESD_ST_SE_SF_SG_EUlST_E0_NS1_11comp_targetILNS1_3genE5ELNS1_11target_archE942ELNS1_3gpuE9ELNS1_3repE0EEENS1_38merge_mergepath_config_static_selectorELNS0_4arch9wavefront6targetE1EEEvSF_
	.p2align	8
	.type	_ZN7rocprim17ROCPRIM_400000_NS6detail17trampoline_kernelINS0_14default_configENS1_38merge_sort_block_merge_config_selectorIxNS0_10empty_typeEEEZZNS1_27merge_sort_block_merge_implIS3_PxPS5_jNS1_19radix_merge_compareILb1ELb1ExNS0_19identity_decomposerEEEEE10hipError_tT0_T1_T2_jT3_P12ihipStream_tbPNSt15iterator_traitsISE_E10value_typeEPNSK_ISF_E10value_typeEPSG_NS1_7vsmem_tEENKUlT_SE_SF_SG_E_clIS8_S8_S9_S9_EESD_ST_SE_SF_SG_EUlST_E0_NS1_11comp_targetILNS1_3genE5ELNS1_11target_archE942ELNS1_3gpuE9ELNS1_3repE0EEENS1_38merge_mergepath_config_static_selectorELNS0_4arch9wavefront6targetE1EEEvSF_,@function
_ZN7rocprim17ROCPRIM_400000_NS6detail17trampoline_kernelINS0_14default_configENS1_38merge_sort_block_merge_config_selectorIxNS0_10empty_typeEEEZZNS1_27merge_sort_block_merge_implIS3_PxPS5_jNS1_19radix_merge_compareILb1ELb1ExNS0_19identity_decomposerEEEEE10hipError_tT0_T1_T2_jT3_P12ihipStream_tbPNSt15iterator_traitsISE_E10value_typeEPNSK_ISF_E10value_typeEPSG_NS1_7vsmem_tEENKUlT_SE_SF_SG_E_clIS8_S8_S9_S9_EESD_ST_SE_SF_SG_EUlST_E0_NS1_11comp_targetILNS1_3genE5ELNS1_11target_archE942ELNS1_3gpuE9ELNS1_3repE0EEENS1_38merge_mergepath_config_static_selectorELNS0_4arch9wavefront6targetE1EEEvSF_: ; @_ZN7rocprim17ROCPRIM_400000_NS6detail17trampoline_kernelINS0_14default_configENS1_38merge_sort_block_merge_config_selectorIxNS0_10empty_typeEEEZZNS1_27merge_sort_block_merge_implIS3_PxPS5_jNS1_19radix_merge_compareILb1ELb1ExNS0_19identity_decomposerEEEEE10hipError_tT0_T1_T2_jT3_P12ihipStream_tbPNSt15iterator_traitsISE_E10value_typeEPNSK_ISF_E10value_typeEPSG_NS1_7vsmem_tEENKUlT_SE_SF_SG_E_clIS8_S8_S9_S9_EESD_ST_SE_SF_SG_EUlST_E0_NS1_11comp_targetILNS1_3genE5ELNS1_11target_archE942ELNS1_3gpuE9ELNS1_3repE0EEENS1_38merge_mergepath_config_static_selectorELNS0_4arch9wavefront6targetE1EEEvSF_
; %bb.0:
	.section	.rodata,"a",@progbits
	.p2align	6, 0x0
	.amdhsa_kernel _ZN7rocprim17ROCPRIM_400000_NS6detail17trampoline_kernelINS0_14default_configENS1_38merge_sort_block_merge_config_selectorIxNS0_10empty_typeEEEZZNS1_27merge_sort_block_merge_implIS3_PxPS5_jNS1_19radix_merge_compareILb1ELb1ExNS0_19identity_decomposerEEEEE10hipError_tT0_T1_T2_jT3_P12ihipStream_tbPNSt15iterator_traitsISE_E10value_typeEPNSK_ISF_E10value_typeEPSG_NS1_7vsmem_tEENKUlT_SE_SF_SG_E_clIS8_S8_S9_S9_EESD_ST_SE_SF_SG_EUlST_E0_NS1_11comp_targetILNS1_3genE5ELNS1_11target_archE942ELNS1_3gpuE9ELNS1_3repE0EEENS1_38merge_mergepath_config_static_selectorELNS0_4arch9wavefront6targetE1EEEvSF_
		.amdhsa_group_segment_fixed_size 0
		.amdhsa_private_segment_fixed_size 0
		.amdhsa_kernarg_size 72
		.amdhsa_user_sgpr_count 6
		.amdhsa_user_sgpr_private_segment_buffer 1
		.amdhsa_user_sgpr_dispatch_ptr 0
		.amdhsa_user_sgpr_queue_ptr 0
		.amdhsa_user_sgpr_kernarg_segment_ptr 1
		.amdhsa_user_sgpr_dispatch_id 0
		.amdhsa_user_sgpr_flat_scratch_init 0
		.amdhsa_user_sgpr_kernarg_preload_length 0
		.amdhsa_user_sgpr_kernarg_preload_offset 0
		.amdhsa_user_sgpr_private_segment_size 0
		.amdhsa_uses_dynamic_stack 0
		.amdhsa_system_sgpr_private_segment_wavefront_offset 0
		.amdhsa_system_sgpr_workgroup_id_x 1
		.amdhsa_system_sgpr_workgroup_id_y 0
		.amdhsa_system_sgpr_workgroup_id_z 0
		.amdhsa_system_sgpr_workgroup_info 0
		.amdhsa_system_vgpr_workitem_id 0
		.amdhsa_next_free_vgpr 1
		.amdhsa_next_free_sgpr 0
		.amdhsa_accum_offset 4
		.amdhsa_reserve_vcc 0
		.amdhsa_reserve_flat_scratch 0
		.amdhsa_float_round_mode_32 0
		.amdhsa_float_round_mode_16_64 0
		.amdhsa_float_denorm_mode_32 3
		.amdhsa_float_denorm_mode_16_64 3
		.amdhsa_dx10_clamp 1
		.amdhsa_ieee_mode 1
		.amdhsa_fp16_overflow 0
		.amdhsa_tg_split 0
		.amdhsa_exception_fp_ieee_invalid_op 0
		.amdhsa_exception_fp_denorm_src 0
		.amdhsa_exception_fp_ieee_div_zero 0
		.amdhsa_exception_fp_ieee_overflow 0
		.amdhsa_exception_fp_ieee_underflow 0
		.amdhsa_exception_fp_ieee_inexact 0
		.amdhsa_exception_int_div_zero 0
	.end_amdhsa_kernel
	.section	.text._ZN7rocprim17ROCPRIM_400000_NS6detail17trampoline_kernelINS0_14default_configENS1_38merge_sort_block_merge_config_selectorIxNS0_10empty_typeEEEZZNS1_27merge_sort_block_merge_implIS3_PxPS5_jNS1_19radix_merge_compareILb1ELb1ExNS0_19identity_decomposerEEEEE10hipError_tT0_T1_T2_jT3_P12ihipStream_tbPNSt15iterator_traitsISE_E10value_typeEPNSK_ISF_E10value_typeEPSG_NS1_7vsmem_tEENKUlT_SE_SF_SG_E_clIS8_S8_S9_S9_EESD_ST_SE_SF_SG_EUlST_E0_NS1_11comp_targetILNS1_3genE5ELNS1_11target_archE942ELNS1_3gpuE9ELNS1_3repE0EEENS1_38merge_mergepath_config_static_selectorELNS0_4arch9wavefront6targetE1EEEvSF_,"axG",@progbits,_ZN7rocprim17ROCPRIM_400000_NS6detail17trampoline_kernelINS0_14default_configENS1_38merge_sort_block_merge_config_selectorIxNS0_10empty_typeEEEZZNS1_27merge_sort_block_merge_implIS3_PxPS5_jNS1_19radix_merge_compareILb1ELb1ExNS0_19identity_decomposerEEEEE10hipError_tT0_T1_T2_jT3_P12ihipStream_tbPNSt15iterator_traitsISE_E10value_typeEPNSK_ISF_E10value_typeEPSG_NS1_7vsmem_tEENKUlT_SE_SF_SG_E_clIS8_S8_S9_S9_EESD_ST_SE_SF_SG_EUlST_E0_NS1_11comp_targetILNS1_3genE5ELNS1_11target_archE942ELNS1_3gpuE9ELNS1_3repE0EEENS1_38merge_mergepath_config_static_selectorELNS0_4arch9wavefront6targetE1EEEvSF_,comdat
.Lfunc_end2352:
	.size	_ZN7rocprim17ROCPRIM_400000_NS6detail17trampoline_kernelINS0_14default_configENS1_38merge_sort_block_merge_config_selectorIxNS0_10empty_typeEEEZZNS1_27merge_sort_block_merge_implIS3_PxPS5_jNS1_19radix_merge_compareILb1ELb1ExNS0_19identity_decomposerEEEEE10hipError_tT0_T1_T2_jT3_P12ihipStream_tbPNSt15iterator_traitsISE_E10value_typeEPNSK_ISF_E10value_typeEPSG_NS1_7vsmem_tEENKUlT_SE_SF_SG_E_clIS8_S8_S9_S9_EESD_ST_SE_SF_SG_EUlST_E0_NS1_11comp_targetILNS1_3genE5ELNS1_11target_archE942ELNS1_3gpuE9ELNS1_3repE0EEENS1_38merge_mergepath_config_static_selectorELNS0_4arch9wavefront6targetE1EEEvSF_, .Lfunc_end2352-_ZN7rocprim17ROCPRIM_400000_NS6detail17trampoline_kernelINS0_14default_configENS1_38merge_sort_block_merge_config_selectorIxNS0_10empty_typeEEEZZNS1_27merge_sort_block_merge_implIS3_PxPS5_jNS1_19radix_merge_compareILb1ELb1ExNS0_19identity_decomposerEEEEE10hipError_tT0_T1_T2_jT3_P12ihipStream_tbPNSt15iterator_traitsISE_E10value_typeEPNSK_ISF_E10value_typeEPSG_NS1_7vsmem_tEENKUlT_SE_SF_SG_E_clIS8_S8_S9_S9_EESD_ST_SE_SF_SG_EUlST_E0_NS1_11comp_targetILNS1_3genE5ELNS1_11target_archE942ELNS1_3gpuE9ELNS1_3repE0EEENS1_38merge_mergepath_config_static_selectorELNS0_4arch9wavefront6targetE1EEEvSF_
                                        ; -- End function
	.section	.AMDGPU.csdata,"",@progbits
; Kernel info:
; codeLenInByte = 0
; NumSgprs: 4
; NumVgprs: 0
; NumAgprs: 0
; TotalNumVgprs: 0
; ScratchSize: 0
; MemoryBound: 0
; FloatMode: 240
; IeeeMode: 1
; LDSByteSize: 0 bytes/workgroup (compile time only)
; SGPRBlocks: 0
; VGPRBlocks: 0
; NumSGPRsForWavesPerEU: 4
; NumVGPRsForWavesPerEU: 1
; AccumOffset: 4
; Occupancy: 8
; WaveLimiterHint : 0
; COMPUTE_PGM_RSRC2:SCRATCH_EN: 0
; COMPUTE_PGM_RSRC2:USER_SGPR: 6
; COMPUTE_PGM_RSRC2:TRAP_HANDLER: 0
; COMPUTE_PGM_RSRC2:TGID_X_EN: 1
; COMPUTE_PGM_RSRC2:TGID_Y_EN: 0
; COMPUTE_PGM_RSRC2:TGID_Z_EN: 0
; COMPUTE_PGM_RSRC2:TIDIG_COMP_CNT: 0
; COMPUTE_PGM_RSRC3_GFX90A:ACCUM_OFFSET: 0
; COMPUTE_PGM_RSRC3_GFX90A:TG_SPLIT: 0
	.section	.text._ZN7rocprim17ROCPRIM_400000_NS6detail17trampoline_kernelINS0_14default_configENS1_38merge_sort_block_merge_config_selectorIxNS0_10empty_typeEEEZZNS1_27merge_sort_block_merge_implIS3_PxPS5_jNS1_19radix_merge_compareILb1ELb1ExNS0_19identity_decomposerEEEEE10hipError_tT0_T1_T2_jT3_P12ihipStream_tbPNSt15iterator_traitsISE_E10value_typeEPNSK_ISF_E10value_typeEPSG_NS1_7vsmem_tEENKUlT_SE_SF_SG_E_clIS8_S8_S9_S9_EESD_ST_SE_SF_SG_EUlST_E0_NS1_11comp_targetILNS1_3genE4ELNS1_11target_archE910ELNS1_3gpuE8ELNS1_3repE0EEENS1_38merge_mergepath_config_static_selectorELNS0_4arch9wavefront6targetE1EEEvSF_,"axG",@progbits,_ZN7rocprim17ROCPRIM_400000_NS6detail17trampoline_kernelINS0_14default_configENS1_38merge_sort_block_merge_config_selectorIxNS0_10empty_typeEEEZZNS1_27merge_sort_block_merge_implIS3_PxPS5_jNS1_19radix_merge_compareILb1ELb1ExNS0_19identity_decomposerEEEEE10hipError_tT0_T1_T2_jT3_P12ihipStream_tbPNSt15iterator_traitsISE_E10value_typeEPNSK_ISF_E10value_typeEPSG_NS1_7vsmem_tEENKUlT_SE_SF_SG_E_clIS8_S8_S9_S9_EESD_ST_SE_SF_SG_EUlST_E0_NS1_11comp_targetILNS1_3genE4ELNS1_11target_archE910ELNS1_3gpuE8ELNS1_3repE0EEENS1_38merge_mergepath_config_static_selectorELNS0_4arch9wavefront6targetE1EEEvSF_,comdat
	.protected	_ZN7rocprim17ROCPRIM_400000_NS6detail17trampoline_kernelINS0_14default_configENS1_38merge_sort_block_merge_config_selectorIxNS0_10empty_typeEEEZZNS1_27merge_sort_block_merge_implIS3_PxPS5_jNS1_19radix_merge_compareILb1ELb1ExNS0_19identity_decomposerEEEEE10hipError_tT0_T1_T2_jT3_P12ihipStream_tbPNSt15iterator_traitsISE_E10value_typeEPNSK_ISF_E10value_typeEPSG_NS1_7vsmem_tEENKUlT_SE_SF_SG_E_clIS8_S8_S9_S9_EESD_ST_SE_SF_SG_EUlST_E0_NS1_11comp_targetILNS1_3genE4ELNS1_11target_archE910ELNS1_3gpuE8ELNS1_3repE0EEENS1_38merge_mergepath_config_static_selectorELNS0_4arch9wavefront6targetE1EEEvSF_ ; -- Begin function _ZN7rocprim17ROCPRIM_400000_NS6detail17trampoline_kernelINS0_14default_configENS1_38merge_sort_block_merge_config_selectorIxNS0_10empty_typeEEEZZNS1_27merge_sort_block_merge_implIS3_PxPS5_jNS1_19radix_merge_compareILb1ELb1ExNS0_19identity_decomposerEEEEE10hipError_tT0_T1_T2_jT3_P12ihipStream_tbPNSt15iterator_traitsISE_E10value_typeEPNSK_ISF_E10value_typeEPSG_NS1_7vsmem_tEENKUlT_SE_SF_SG_E_clIS8_S8_S9_S9_EESD_ST_SE_SF_SG_EUlST_E0_NS1_11comp_targetILNS1_3genE4ELNS1_11target_archE910ELNS1_3gpuE8ELNS1_3repE0EEENS1_38merge_mergepath_config_static_selectorELNS0_4arch9wavefront6targetE1EEEvSF_
	.globl	_ZN7rocprim17ROCPRIM_400000_NS6detail17trampoline_kernelINS0_14default_configENS1_38merge_sort_block_merge_config_selectorIxNS0_10empty_typeEEEZZNS1_27merge_sort_block_merge_implIS3_PxPS5_jNS1_19radix_merge_compareILb1ELb1ExNS0_19identity_decomposerEEEEE10hipError_tT0_T1_T2_jT3_P12ihipStream_tbPNSt15iterator_traitsISE_E10value_typeEPNSK_ISF_E10value_typeEPSG_NS1_7vsmem_tEENKUlT_SE_SF_SG_E_clIS8_S8_S9_S9_EESD_ST_SE_SF_SG_EUlST_E0_NS1_11comp_targetILNS1_3genE4ELNS1_11target_archE910ELNS1_3gpuE8ELNS1_3repE0EEENS1_38merge_mergepath_config_static_selectorELNS0_4arch9wavefront6targetE1EEEvSF_
	.p2align	8
	.type	_ZN7rocprim17ROCPRIM_400000_NS6detail17trampoline_kernelINS0_14default_configENS1_38merge_sort_block_merge_config_selectorIxNS0_10empty_typeEEEZZNS1_27merge_sort_block_merge_implIS3_PxPS5_jNS1_19radix_merge_compareILb1ELb1ExNS0_19identity_decomposerEEEEE10hipError_tT0_T1_T2_jT3_P12ihipStream_tbPNSt15iterator_traitsISE_E10value_typeEPNSK_ISF_E10value_typeEPSG_NS1_7vsmem_tEENKUlT_SE_SF_SG_E_clIS8_S8_S9_S9_EESD_ST_SE_SF_SG_EUlST_E0_NS1_11comp_targetILNS1_3genE4ELNS1_11target_archE910ELNS1_3gpuE8ELNS1_3repE0EEENS1_38merge_mergepath_config_static_selectorELNS0_4arch9wavefront6targetE1EEEvSF_,@function
_ZN7rocprim17ROCPRIM_400000_NS6detail17trampoline_kernelINS0_14default_configENS1_38merge_sort_block_merge_config_selectorIxNS0_10empty_typeEEEZZNS1_27merge_sort_block_merge_implIS3_PxPS5_jNS1_19radix_merge_compareILb1ELb1ExNS0_19identity_decomposerEEEEE10hipError_tT0_T1_T2_jT3_P12ihipStream_tbPNSt15iterator_traitsISE_E10value_typeEPNSK_ISF_E10value_typeEPSG_NS1_7vsmem_tEENKUlT_SE_SF_SG_E_clIS8_S8_S9_S9_EESD_ST_SE_SF_SG_EUlST_E0_NS1_11comp_targetILNS1_3genE4ELNS1_11target_archE910ELNS1_3gpuE8ELNS1_3repE0EEENS1_38merge_mergepath_config_static_selectorELNS0_4arch9wavefront6targetE1EEEvSF_: ; @_ZN7rocprim17ROCPRIM_400000_NS6detail17trampoline_kernelINS0_14default_configENS1_38merge_sort_block_merge_config_selectorIxNS0_10empty_typeEEEZZNS1_27merge_sort_block_merge_implIS3_PxPS5_jNS1_19radix_merge_compareILb1ELb1ExNS0_19identity_decomposerEEEEE10hipError_tT0_T1_T2_jT3_P12ihipStream_tbPNSt15iterator_traitsISE_E10value_typeEPNSK_ISF_E10value_typeEPSG_NS1_7vsmem_tEENKUlT_SE_SF_SG_E_clIS8_S8_S9_S9_EESD_ST_SE_SF_SG_EUlST_E0_NS1_11comp_targetILNS1_3genE4ELNS1_11target_archE910ELNS1_3gpuE8ELNS1_3repE0EEENS1_38merge_mergepath_config_static_selectorELNS0_4arch9wavefront6targetE1EEEvSF_
; %bb.0:
	s_load_dwordx2 s[14:15], s[4:5], 0x48
	s_load_dword s3, s[4:5], 0x30
	s_add_u32 s0, s4, 0x48
	s_addc_u32 s1, s5, 0
	s_waitcnt lgkmcnt(0)
	s_mul_i32 s2, s15, s8
	s_add_i32 s2, s2, s7
	s_mul_i32 s2, s2, s14
	s_add_i32 s2, s2, s6
	s_cmp_ge_u32 s2, s3
	s_cbranch_scc1 .LBB2353_31
; %bb.1:
	s_load_dwordx2 s[8:9], s[4:5], 0x28
	s_load_dwordx2 s[10:11], s[4:5], 0x40
	;; [unrolled: 1-line block ×3, first 2 shown]
	s_mov_b32 s3, 0
	s_mov_b32 s25, s3
	s_waitcnt lgkmcnt(0)
	s_lshr_b32 s7, s8, 10
	s_cmp_lg_u32 s2, s7
	s_cselect_b64 s[12:13], -1, 0
	s_lshl_b64 s[16:17], s[2:3], 2
	s_add_u32 s10, s10, s16
	s_addc_u32 s11, s11, s17
	s_load_dwordx2 s[18:19], s[10:11], 0x0
	s_lshr_b32 s10, s9, 9
	s_and_b32 s10, s10, 0x7ffffe
	s_sub_i32 s11, 0, s10
	s_and_b32 s15, s2, s11
	s_lshl_b32 s16, s15, 10
	s_lshl_b32 s10, s2, 10
	;; [unrolled: 1-line block ×3, first 2 shown]
	s_sub_i32 s17, s10, s16
	s_add_i32 s15, s15, s9
	s_add_i32 s17, s15, s17
	s_waitcnt lgkmcnt(0)
	s_sub_i32 s20, s17, s18
	s_sub_i32 s17, s17, s19
	;; [unrolled: 1-line block ×3, first 2 shown]
	s_min_u32 s24, s8, s20
	s_addk_i32 s17, 0x400
	s_or_b32 s11, s2, s11
	s_min_u32 s16, s8, s15
	s_add_i32 s15, s15, s9
	s_cmp_eq_u32 s11, -1
	s_cselect_b32 s9, s15, s17
	s_cselect_b32 s11, s16, s19
	s_min_u32 s15, s9, s8
	s_mov_b32 s19, s3
	s_sub_i32 s9, s11, s18
	s_sub_i32 s16, s15, s24
	s_lshl_b64 s[20:21], s[18:19], 3
	s_add_u32 s19, s22, s20
	s_addc_u32 s20, s23, s21
	s_lshl_b64 s[24:25], s[24:25], 3
	s_add_u32 s17, s22, s24
	s_addc_u32 s18, s23, s25
	s_cmp_lt_u32 s6, s14
	v_mov_b32_e32 v9, 0
	s_cselect_b32 s3, 12, 18
	global_load_dword v1, v9, s[0:1] offset:14
	s_add_u32 s0, s0, s3
	s_addc_u32 s1, s1, 0
	global_load_ushort v2, v9, s[0:1]
	s_cmp_eq_u32 s2, s7
	s_waitcnt vmcnt(1)
	v_lshrrev_b32_e32 v3, 16, v1
	v_and_b32_e32 v1, 0xffff, v1
	v_mul_lo_u32 v1, v1, v3
	s_waitcnt vmcnt(0)
	v_mul_lo_u32 v14, v1, v2
	v_add_u32_e32 v12, v14, v0
	v_lshlrev_b32_e32 v1, 3, v0
	v_add_u32_e32 v10, v12, v14
	s_cbranch_scc1 .LBB2353_3
; %bb.2:
	v_mov_b32_e32 v2, s20
	v_add_co_u32_e32 v4, vcc, s19, v1
	v_subrev_u32_e32 v8, s9, v0
	v_addc_co_u32_e32 v5, vcc, 0, v2, vcc
	v_lshlrev_b64 v[2:3], 3, v[8:9]
	v_mov_b32_e32 v6, s18
	v_add_co_u32_e32 v2, vcc, s17, v2
	v_addc_co_u32_e32 v3, vcc, v6, v3, vcc
	v_cmp_gt_u32_e32 vcc, s9, v0
	v_mov_b32_e32 v13, v9
	v_cndmask_b32_e32 v3, v3, v5, vcc
	v_cndmask_b32_e32 v2, v2, v4, vcc
	v_lshlrev_b64 v[4:5], 3, v[12:13]
	v_mov_b32_e32 v6, s20
	v_add_co_u32_e32 v7, vcc, s19, v4
	v_subrev_u32_e32 v8, s9, v12
	v_addc_co_u32_e32 v6, vcc, v6, v5, vcc
	v_lshlrev_b64 v[4:5], 3, v[8:9]
	v_mov_b32_e32 v8, s18
	v_add_co_u32_e32 v4, vcc, s17, v4
	v_addc_co_u32_e32 v5, vcc, v8, v5, vcc
	v_cmp_gt_u32_e32 vcc, s9, v12
	v_mov_b32_e32 v11, v9
	v_cndmask_b32_e32 v5, v5, v6, vcc
	v_cndmask_b32_e32 v4, v4, v7, vcc
	v_lshlrev_b64 v[6:7], 3, v[10:11]
	v_mov_b32_e32 v8, s20
	v_add_co_u32_e32 v11, vcc, s19, v6
	v_addc_co_u32_e32 v13, vcc, v8, v7, vcc
	v_subrev_u32_e32 v8, s9, v10
	v_lshlrev_b64 v[6:7], 3, v[8:9]
	v_mov_b32_e32 v8, s18
	v_add_co_u32_e32 v6, vcc, s17, v6
	v_addc_co_u32_e32 v7, vcc, v8, v7, vcc
	v_add_u32_e32 v8, v10, v14
	v_cmp_gt_u32_e32 vcc, s9, v10
	v_lshlrev_b64 v[16:17], 3, v[8:9]
	v_cndmask_b32_e32 v7, v7, v13, vcc
	v_cndmask_b32_e32 v6, v6, v11, vcc
	v_mov_b32_e32 v11, s20
	v_add_co_u32_e32 v13, vcc, s19, v16
	v_addc_co_u32_e32 v11, vcc, v11, v17, vcc
	v_cmp_gt_u32_e32 vcc, s9, v8
	v_subrev_u32_e32 v8, s9, v8
	v_lshlrev_b64 v[8:9], 3, v[8:9]
	v_mov_b32_e32 v15, s18
	v_add_co_u32_e64 v8, s[0:1], s17, v8
	v_addc_co_u32_e64 v9, s[0:1], v15, v9, s[0:1]
	v_cndmask_b32_e32 v9, v9, v11, vcc
	v_cndmask_b32_e32 v8, v8, v13, vcc
	global_load_dwordx2 v[2:3], v[2:3], off
	s_add_i32 s11, s16, s9
	global_load_dwordx2 v[4:5], v[4:5], off
	s_nop 0
	global_load_dwordx2 v[6:7], v[6:7], off
	s_nop 0
	global_load_dwordx2 v[8:9], v[8:9], off
	s_load_dwordx2 s[6:7], s[4:5], 0x10
	s_load_dwordx2 s[14:15], s[4:5], 0x38
	s_cbranch_execz .LBB2353_4
	s_branch .LBB2353_11
.LBB2353_3:
                                        ; implicit-def: $vgpr2_vgpr3_vgpr4_vgpr5_vgpr6_vgpr7_vgpr8_vgpr9
                                        ; implicit-def: $sgpr11
	s_load_dwordx2 s[6:7], s[4:5], 0x10
	s_load_dwordx2 s[14:15], s[4:5], 0x38
.LBB2353_4:
	s_add_i32 s11, s16, s9
	v_cmp_gt_u32_e32 vcc, s11, v0
                                        ; implicit-def: $vgpr2_vgpr3_vgpr4_vgpr5_vgpr6_vgpr7_vgpr8_vgpr9
	s_and_saveexec_b64 s[0:1], vcc
	s_cbranch_execnz .LBB2353_32
; %bb.5:
	s_or_b64 exec, exec, s[0:1]
	v_cmp_gt_u32_e32 vcc, s11, v12
	s_and_saveexec_b64 s[2:3], vcc
	s_cbranch_execnz .LBB2353_33
.LBB2353_6:
	s_or_b64 exec, exec, s[2:3]
	v_cmp_gt_u32_e32 vcc, s11, v10
	s_and_saveexec_b64 s[0:1], vcc
	s_cbranch_execz .LBB2353_8
.LBB2353_7:
	v_mov_b32_e32 v11, 0
	s_waitcnt vmcnt(1)
	v_lshlrev_b64 v[6:7], 3, v[10:11]
	v_mov_b32_e32 v12, s20
	v_add_co_u32_e32 v13, vcc, s19, v6
	v_addc_co_u32_e32 v12, vcc, v12, v7, vcc
	v_subrev_u32_e32 v6, s9, v10
	v_mov_b32_e32 v7, v11
	v_lshlrev_b64 v[6:7], 3, v[6:7]
	v_mov_b32_e32 v11, s18
	v_add_co_u32_e32 v6, vcc, s17, v6
	v_addc_co_u32_e32 v7, vcc, v11, v7, vcc
	v_cmp_gt_u32_e32 vcc, s9, v10
	v_cndmask_b32_e32 v7, v7, v12, vcc
	v_cndmask_b32_e32 v6, v6, v13, vcc
	global_load_dwordx2 v[6:7], v[6:7], off
.LBB2353_8:
	s_or_b64 exec, exec, s[0:1]
	v_add_u32_e32 v10, v10, v14
	v_cmp_gt_u32_e32 vcc, s11, v10
	s_and_saveexec_b64 s[2:3], vcc
	s_cbranch_execz .LBB2353_10
; %bb.9:
	v_mov_b32_e32 v11, 0
	s_waitcnt vmcnt(0)
	v_lshlrev_b64 v[8:9], 3, v[10:11]
	v_mov_b32_e32 v12, s20
	v_add_co_u32_e32 v13, vcc, s19, v8
	v_addc_co_u32_e32 v12, vcc, v12, v9, vcc
	v_cmp_gt_u32_e32 vcc, s9, v10
	v_subrev_u32_e32 v10, s9, v10
	v_lshlrev_b64 v[8:9], 3, v[10:11]
	v_mov_b32_e32 v10, s18
	v_add_co_u32_e64 v8, s[0:1], s17, v8
	v_addc_co_u32_e64 v9, s[0:1], v10, v9, s[0:1]
	v_cndmask_b32_e32 v9, v9, v12, vcc
	v_cndmask_b32_e32 v8, v8, v13, vcc
	global_load_dwordx2 v[8:9], v[8:9], off
.LBB2353_10:
	s_or_b64 exec, exec, s[2:3]
.LBB2353_11:
	v_lshlrev_b32_e32 v10, 2, v0
	v_min_u32_e32 v12, s11, v10
	v_sub_u32_e64 v11, v12, s16 clamp
	v_min_u32_e32 v13, s9, v12
	v_cmp_lt_u32_e32 vcc, v11, v13
	s_waitcnt vmcnt(0)
	ds_write2st64_b64 v1, v[2:3], v[4:5] offset1:4
	ds_write2st64_b64 v1, v[6:7], v[8:9] offset0:8 offset1:12
	s_waitcnt lgkmcnt(0)
	s_barrier
	s_and_saveexec_b64 s[0:1], vcc
	s_cbranch_execz .LBB2353_15
; %bb.12:
	v_lshlrev_b32_e32 v14, 3, v12
	v_lshl_add_u32 v14, s9, 3, v14
	s_mov_b64 s[2:3], 0
.LBB2353_13:                            ; =>This Inner Loop Header: Depth=1
	v_add_u32_e32 v15, v13, v11
	v_lshrrev_b32_e32 v15, 1, v15
	v_not_b32_e32 v18, v15
	v_lshlrev_b32_e32 v16, 3, v15
	v_lshl_add_u32 v18, v18, 3, v14
	ds_read_b64 v[16:17], v16
	ds_read_b64 v[18:19], v18
	v_add_u32_e32 v20, 1, v15
	s_waitcnt lgkmcnt(1)
	v_and_b32_e32 v17, s15, v17
	v_and_b32_e32 v16, s14, v16
	s_waitcnt lgkmcnt(0)
	v_and_b32_e32 v19, s15, v19
	v_and_b32_e32 v18, s14, v18
	v_cmp_gt_i64_e32 vcc, v[18:19], v[16:17]
	v_cndmask_b32_e32 v13, v13, v15, vcc
	v_cndmask_b32_e32 v11, v20, v11, vcc
	v_cmp_ge_u32_e32 vcc, v11, v13
	s_or_b64 s[2:3], vcc, s[2:3]
	s_andn2_b64 exec, exec, s[2:3]
	s_cbranch_execnz .LBB2353_13
; %bb.14:
	s_or_b64 exec, exec, s[2:3]
.LBB2353_15:
	s_or_b64 exec, exec, s[0:1]
	v_sub_u32_e32 v12, v12, v11
	v_add_u32_e32 v12, s9, v12
	v_cmp_ge_u32_e32 vcc, s9, v11
	v_cmp_ge_u32_e64 s[0:1], s11, v12
	s_or_b64 s[0:1], vcc, s[0:1]
	s_and_saveexec_b64 s[16:17], s[0:1]
	s_cbranch_execz .LBB2353_21
; %bb.16:
	v_cmp_gt_u32_e32 vcc, s9, v11
                                        ; implicit-def: $vgpr2_vgpr3
	s_and_saveexec_b64 s[0:1], vcc
	s_cbranch_execz .LBB2353_18
; %bb.17:
	v_lshlrev_b32_e32 v2, 3, v11
	ds_read_b64 v[2:3], v2
.LBB2353_18:
	s_or_b64 exec, exec, s[0:1]
	v_cmp_le_u32_e64 s[0:1], s11, v12
	v_cmp_gt_u32_e64 s[2:3], s11, v12
                                        ; implicit-def: $vgpr4_vgpr5
	s_and_saveexec_b64 s[4:5], s[2:3]
	s_cbranch_execz .LBB2353_20
; %bb.19:
	v_lshlrev_b32_e32 v4, 3, v12
	ds_read_b64 v[4:5], v4
.LBB2353_20:
	s_or_b64 exec, exec, s[4:5]
	s_waitcnt lgkmcnt(0)
	v_and_b32_e32 v7, s15, v5
	v_and_b32_e32 v6, s14, v4
	;; [unrolled: 1-line block ×4, first 2 shown]
	v_cmp_le_i64_e64 s[2:3], v[6:7], v[8:9]
	s_and_b64 s[2:3], vcc, s[2:3]
	s_or_b64 vcc, s[0:1], s[2:3]
	v_mov_b32_e32 v13, s11
	v_mov_b32_e32 v14, s9
	v_cndmask_b32_e32 v6, v12, v11, vcc
	v_cndmask_b32_e32 v7, v13, v14, vcc
	v_add_u32_e32 v8, 1, v6
	v_add_u32_e32 v6, -1, v7
	v_min_u32_e32 v6, v8, v6
	v_lshlrev_b32_e32 v6, 3, v6
	ds_read_b64 v[6:7], v6
	v_cndmask_b32_e32 v12, v8, v12, vcc
	v_cndmask_b32_e32 v11, v11, v8, vcc
	v_cmp_gt_u32_e64 s[2:3], s9, v11
	v_cmp_le_u32_e64 s[0:1], s11, v12
	s_waitcnt lgkmcnt(0)
	v_cndmask_b32_e32 v15, v7, v5, vcc
	v_cndmask_b32_e32 v16, v6, v4, vcc
	;; [unrolled: 1-line block ×4, first 2 shown]
	v_and_b32_e32 v7, s15, v15
	v_and_b32_e32 v6, s14, v16
	;; [unrolled: 1-line block ×4, first 2 shown]
	v_cmp_le_i64_e64 s[4:5], v[6:7], v[8:9]
	s_and_b64 s[2:3], s[2:3], s[4:5]
	s_or_b64 s[0:1], s[0:1], s[2:3]
	v_cndmask_b32_e64 v6, v12, v11, s[0:1]
	v_cndmask_b32_e64 v7, v13, v14, s[0:1]
	v_add_u32_e32 v8, 1, v6
	v_add_u32_e32 v6, -1, v7
	v_min_u32_e32 v6, v8, v6
	v_lshlrev_b32_e32 v6, 3, v6
	ds_read_b64 v[6:7], v6
	v_cndmask_b32_e32 v3, v5, v3, vcc
	v_cndmask_b32_e32 v2, v4, v2, vcc
	v_cndmask_b32_e64 v11, v11, v8, s[0:1]
	v_cndmask_b32_e64 v12, v8, v12, s[0:1]
	s_waitcnt lgkmcnt(0)
	v_cndmask_b32_e64 v19, v7, v15, s[0:1]
	v_cndmask_b32_e64 v20, v6, v16, s[0:1]
	;; [unrolled: 1-line block ×4, first 2 shown]
	v_and_b32_e32 v5, s15, v19
	v_and_b32_e32 v4, s14, v20
	;; [unrolled: 1-line block ×4, first 2 shown]
	v_cmp_gt_u32_e64 s[2:3], s9, v11
	v_cmp_le_i64_e64 s[4:5], v[4:5], v[6:7]
	v_cmp_le_u32_e32 vcc, s11, v12
	s_and_b64 s[2:3], s[2:3], s[4:5]
	s_or_b64 vcc, vcc, s[2:3]
	v_cndmask_b32_e32 v4, v12, v11, vcc
	v_cndmask_b32_e32 v5, v13, v14, vcc
	v_add_u32_e32 v13, 1, v4
	v_add_u32_e32 v4, -1, v5
	v_min_u32_e32 v4, v13, v4
	v_lshlrev_b32_e32 v4, 3, v4
	ds_read_b64 v[8:9], v4
	v_cndmask_b32_e64 v5, v15, v17, s[0:1]
	v_cndmask_b32_e64 v4, v16, v18, s[0:1]
	v_cndmask_b32_e32 v7, v19, v21, vcc
	v_cndmask_b32_e32 v6, v20, v22, vcc
	s_waitcnt lgkmcnt(0)
	v_cndmask_b32_e32 v14, v9, v19, vcc
	v_cndmask_b32_e32 v15, v8, v20, vcc
	;; [unrolled: 1-line block ×6, first 2 shown]
	v_cmp_le_u32_e32 vcc, s11, v8
	v_cmp_gt_u32_e64 s[0:1], s9, v9
	v_and_b32_e32 v9, s15, v14
	v_and_b32_e32 v8, s14, v15
	;; [unrolled: 1-line block ×4, first 2 shown]
	v_cmp_le_i64_e64 s[2:3], v[8:9], v[12:13]
	s_and_b64 s[0:1], s[0:1], s[2:3]
	s_or_b64 vcc, vcc, s[0:1]
	v_cndmask_b32_e32 v9, v14, v16, vcc
	v_cndmask_b32_e32 v8, v15, v17, vcc
.LBB2353_21:
	s_or_b64 exec, exec, s[16:17]
	v_and_b32_e32 v11, 0xf8, v0
	v_lshl_add_u32 v10, v10, 3, v11
	s_barrier
	s_barrier
	ds_write2_b64 v10, v[2:3], v[4:5] offset1:1
	ds_write2_b64 v10, v[6:7], v[8:9] offset0:2 offset1:3
	v_lshrrev_b32_e32 v2, 2, v0
	v_and_b32_e32 v2, 56, v2
	v_or_b32_e32 v12, 0x100, v0
	v_add_u32_e32 v13, v1, v2
	v_lshrrev_b32_e32 v2, 2, v12
	v_and_b32_e32 v2, 0x78, v2
	v_or_b32_e32 v11, 0x200, v0
	s_mov_b32 s11, 0
	v_add_u32_e32 v6, v1, v2
	v_lshrrev_b32_e32 v2, 2, v11
	s_lshl_b64 s[0:1], s[10:11], 3
	v_and_b32_e32 v2, 0xb8, v2
	v_or_b32_e32 v10, 0x300, v0
	s_add_u32 s0, s6, s0
	v_add_u32_e32 v7, v1, v2
	v_lshrrev_b32_e32 v2, 2, v10
	s_addc_u32 s1, s7, s1
	v_and_b32_e32 v2, 0xf8, v2
	v_add_u32_e32 v14, v1, v2
	v_mov_b32_e32 v3, s1
	v_add_co_u32_e32 v2, vcc, s0, v1
	v_addc_co_u32_e32 v3, vcc, 0, v3, vcc
	s_and_b64 vcc, exec, s[12:13]
	s_waitcnt lgkmcnt(0)
	s_cbranch_vccz .LBB2353_23
; %bb.22:
	s_barrier
	ds_read_b64 v[8:9], v13
	ds_read_b64 v[16:17], v6 offset:2048
	ds_read_b64 v[18:19], v7 offset:4096
	ds_read_b64 v[4:5], v14 offset:6144
	s_waitcnt lgkmcnt(3)
	global_store_dwordx2 v[2:3], v[8:9], off
	s_waitcnt lgkmcnt(2)
	global_store_dwordx2 v[2:3], v[16:17], off offset:2048
	v_add_co_u32_e32 v8, vcc, 0x1000, v2
	v_addc_co_u32_e32 v9, vcc, 0, v3, vcc
	s_waitcnt lgkmcnt(1)
	global_store_dwordx2 v[8:9], v[18:19], off
	s_mov_b64 s[0:1], -1
	s_cbranch_execz .LBB2353_24
	s_branch .LBB2353_29
.LBB2353_23:
	s_mov_b64 s[0:1], 0
                                        ; implicit-def: $vgpr4_vgpr5
.LBB2353_24:
	s_barrier
	s_waitcnt lgkmcnt(0)
	ds_read_b64 v[8:9], v6 offset:2048
	ds_read_b64 v[6:7], v7 offset:4096
	;; [unrolled: 1-line block ×3, first 2 shown]
	s_sub_i32 s2, s8, s10
	v_cmp_gt_u32_e32 vcc, s2, v0
	s_and_saveexec_b64 s[0:1], vcc
	s_cbranch_execnz .LBB2353_34
; %bb.25:
	s_or_b64 exec, exec, s[0:1]
	v_cmp_gt_u32_e32 vcc, s2, v12
	s_and_saveexec_b64 s[0:1], vcc
	s_cbranch_execnz .LBB2353_35
.LBB2353_26:
	s_or_b64 exec, exec, s[0:1]
	v_cmp_gt_u32_e32 vcc, s2, v11
	s_and_saveexec_b64 s[0:1], vcc
	s_cbranch_execz .LBB2353_28
.LBB2353_27:
	v_add_co_u32_e32 v0, vcc, 0x1000, v2
	v_addc_co_u32_e32 v1, vcc, 0, v3, vcc
	s_waitcnt lgkmcnt(1)
	global_store_dwordx2 v[0:1], v[6:7], off
.LBB2353_28:
	s_or_b64 exec, exec, s[0:1]
	v_cmp_gt_u32_e64 s[0:1], s2, v10
.LBB2353_29:
	s_and_saveexec_b64 s[2:3], s[0:1]
	s_cbranch_execz .LBB2353_31
; %bb.30:
	v_add_co_u32_e32 v0, vcc, 0x1000, v2
	v_addc_co_u32_e32 v1, vcc, 0, v3, vcc
	s_waitcnt lgkmcnt(0)
	global_store_dwordx2 v[0:1], v[4:5], off offset:2048
.LBB2353_31:
	s_endpgm
.LBB2353_32:
	s_waitcnt vmcnt(3)
	v_mov_b32_e32 v2, s20
	s_waitcnt vmcnt(2)
	v_add_co_u32_e32 v4, vcc, s19, v1
	v_mov_b32_e32 v3, 0
	v_addc_co_u32_e32 v5, vcc, 0, v2, vcc
	v_subrev_u32_e32 v2, s9, v0
	v_lshlrev_b64 v[2:3], 3, v[2:3]
	s_waitcnt vmcnt(1)
	v_mov_b32_e32 v6, s18
	v_add_co_u32_e32 v2, vcc, s17, v2
	v_addc_co_u32_e32 v3, vcc, v6, v3, vcc
	v_cmp_gt_u32_e32 vcc, s9, v0
	v_cndmask_b32_e32 v3, v3, v5, vcc
	v_cndmask_b32_e32 v2, v2, v4, vcc
	global_load_dwordx2 v[2:3], v[2:3], off
	s_or_b64 exec, exec, s[0:1]
	v_cmp_gt_u32_e32 vcc, s11, v12
	s_and_saveexec_b64 s[2:3], vcc
	s_cbranch_execz .LBB2353_6
.LBB2353_33:
	v_mov_b32_e32 v13, 0
	s_waitcnt vmcnt(2)
	v_lshlrev_b64 v[4:5], 3, v[12:13]
	v_mov_b32_e32 v11, s20
	v_add_co_u32_e32 v15, vcc, s19, v4
	v_addc_co_u32_e32 v11, vcc, v11, v5, vcc
	v_cmp_gt_u32_e32 vcc, s9, v12
	v_subrev_u32_e32 v12, s9, v12
	v_lshlrev_b64 v[4:5], 3, v[12:13]
	v_mov_b32_e32 v12, s18
	v_add_co_u32_e64 v4, s[0:1], s17, v4
	v_addc_co_u32_e64 v5, s[0:1], v12, v5, s[0:1]
	v_cndmask_b32_e32 v5, v5, v11, vcc
	v_cndmask_b32_e32 v4, v4, v15, vcc
	global_load_dwordx2 v[4:5], v[4:5], off
	s_or_b64 exec, exec, s[2:3]
	v_cmp_gt_u32_e32 vcc, s11, v10
	s_and_saveexec_b64 s[0:1], vcc
	s_cbranch_execnz .LBB2353_7
	s_branch .LBB2353_8
.LBB2353_34:
	ds_read_b64 v[0:1], v13
	s_waitcnt lgkmcnt(0)
	global_store_dwordx2 v[2:3], v[0:1], off
	s_or_b64 exec, exec, s[0:1]
	v_cmp_gt_u32_e32 vcc, s2, v12
	s_and_saveexec_b64 s[0:1], vcc
	s_cbranch_execz .LBB2353_26
.LBB2353_35:
	s_waitcnt lgkmcnt(2)
	global_store_dwordx2 v[2:3], v[8:9], off offset:2048
	s_or_b64 exec, exec, s[0:1]
	v_cmp_gt_u32_e32 vcc, s2, v11
	s_and_saveexec_b64 s[0:1], vcc
	s_cbranch_execnz .LBB2353_27
	s_branch .LBB2353_28
	.section	.rodata,"a",@progbits
	.p2align	6, 0x0
	.amdhsa_kernel _ZN7rocprim17ROCPRIM_400000_NS6detail17trampoline_kernelINS0_14default_configENS1_38merge_sort_block_merge_config_selectorIxNS0_10empty_typeEEEZZNS1_27merge_sort_block_merge_implIS3_PxPS5_jNS1_19radix_merge_compareILb1ELb1ExNS0_19identity_decomposerEEEEE10hipError_tT0_T1_T2_jT3_P12ihipStream_tbPNSt15iterator_traitsISE_E10value_typeEPNSK_ISF_E10value_typeEPSG_NS1_7vsmem_tEENKUlT_SE_SF_SG_E_clIS8_S8_S9_S9_EESD_ST_SE_SF_SG_EUlST_E0_NS1_11comp_targetILNS1_3genE4ELNS1_11target_archE910ELNS1_3gpuE8ELNS1_3repE0EEENS1_38merge_mergepath_config_static_selectorELNS0_4arch9wavefront6targetE1EEEvSF_
		.amdhsa_group_segment_fixed_size 8448
		.amdhsa_private_segment_fixed_size 0
		.amdhsa_kernarg_size 328
		.amdhsa_user_sgpr_count 6
		.amdhsa_user_sgpr_private_segment_buffer 1
		.amdhsa_user_sgpr_dispatch_ptr 0
		.amdhsa_user_sgpr_queue_ptr 0
		.amdhsa_user_sgpr_kernarg_segment_ptr 1
		.amdhsa_user_sgpr_dispatch_id 0
		.amdhsa_user_sgpr_flat_scratch_init 0
		.amdhsa_user_sgpr_kernarg_preload_length 0
		.amdhsa_user_sgpr_kernarg_preload_offset 0
		.amdhsa_user_sgpr_private_segment_size 0
		.amdhsa_uses_dynamic_stack 0
		.amdhsa_system_sgpr_private_segment_wavefront_offset 0
		.amdhsa_system_sgpr_workgroup_id_x 1
		.amdhsa_system_sgpr_workgroup_id_y 1
		.amdhsa_system_sgpr_workgroup_id_z 1
		.amdhsa_system_sgpr_workgroup_info 0
		.amdhsa_system_vgpr_workitem_id 0
		.amdhsa_next_free_vgpr 23
		.amdhsa_next_free_sgpr 26
		.amdhsa_accum_offset 24
		.amdhsa_reserve_vcc 1
		.amdhsa_reserve_flat_scratch 0
		.amdhsa_float_round_mode_32 0
		.amdhsa_float_round_mode_16_64 0
		.amdhsa_float_denorm_mode_32 3
		.amdhsa_float_denorm_mode_16_64 3
		.amdhsa_dx10_clamp 1
		.amdhsa_ieee_mode 1
		.amdhsa_fp16_overflow 0
		.amdhsa_tg_split 0
		.amdhsa_exception_fp_ieee_invalid_op 0
		.amdhsa_exception_fp_denorm_src 0
		.amdhsa_exception_fp_ieee_div_zero 0
		.amdhsa_exception_fp_ieee_overflow 0
		.amdhsa_exception_fp_ieee_underflow 0
		.amdhsa_exception_fp_ieee_inexact 0
		.amdhsa_exception_int_div_zero 0
	.end_amdhsa_kernel
	.section	.text._ZN7rocprim17ROCPRIM_400000_NS6detail17trampoline_kernelINS0_14default_configENS1_38merge_sort_block_merge_config_selectorIxNS0_10empty_typeEEEZZNS1_27merge_sort_block_merge_implIS3_PxPS5_jNS1_19radix_merge_compareILb1ELb1ExNS0_19identity_decomposerEEEEE10hipError_tT0_T1_T2_jT3_P12ihipStream_tbPNSt15iterator_traitsISE_E10value_typeEPNSK_ISF_E10value_typeEPSG_NS1_7vsmem_tEENKUlT_SE_SF_SG_E_clIS8_S8_S9_S9_EESD_ST_SE_SF_SG_EUlST_E0_NS1_11comp_targetILNS1_3genE4ELNS1_11target_archE910ELNS1_3gpuE8ELNS1_3repE0EEENS1_38merge_mergepath_config_static_selectorELNS0_4arch9wavefront6targetE1EEEvSF_,"axG",@progbits,_ZN7rocprim17ROCPRIM_400000_NS6detail17trampoline_kernelINS0_14default_configENS1_38merge_sort_block_merge_config_selectorIxNS0_10empty_typeEEEZZNS1_27merge_sort_block_merge_implIS3_PxPS5_jNS1_19radix_merge_compareILb1ELb1ExNS0_19identity_decomposerEEEEE10hipError_tT0_T1_T2_jT3_P12ihipStream_tbPNSt15iterator_traitsISE_E10value_typeEPNSK_ISF_E10value_typeEPSG_NS1_7vsmem_tEENKUlT_SE_SF_SG_E_clIS8_S8_S9_S9_EESD_ST_SE_SF_SG_EUlST_E0_NS1_11comp_targetILNS1_3genE4ELNS1_11target_archE910ELNS1_3gpuE8ELNS1_3repE0EEENS1_38merge_mergepath_config_static_selectorELNS0_4arch9wavefront6targetE1EEEvSF_,comdat
.Lfunc_end2353:
	.size	_ZN7rocprim17ROCPRIM_400000_NS6detail17trampoline_kernelINS0_14default_configENS1_38merge_sort_block_merge_config_selectorIxNS0_10empty_typeEEEZZNS1_27merge_sort_block_merge_implIS3_PxPS5_jNS1_19radix_merge_compareILb1ELb1ExNS0_19identity_decomposerEEEEE10hipError_tT0_T1_T2_jT3_P12ihipStream_tbPNSt15iterator_traitsISE_E10value_typeEPNSK_ISF_E10value_typeEPSG_NS1_7vsmem_tEENKUlT_SE_SF_SG_E_clIS8_S8_S9_S9_EESD_ST_SE_SF_SG_EUlST_E0_NS1_11comp_targetILNS1_3genE4ELNS1_11target_archE910ELNS1_3gpuE8ELNS1_3repE0EEENS1_38merge_mergepath_config_static_selectorELNS0_4arch9wavefront6targetE1EEEvSF_, .Lfunc_end2353-_ZN7rocprim17ROCPRIM_400000_NS6detail17trampoline_kernelINS0_14default_configENS1_38merge_sort_block_merge_config_selectorIxNS0_10empty_typeEEEZZNS1_27merge_sort_block_merge_implIS3_PxPS5_jNS1_19radix_merge_compareILb1ELb1ExNS0_19identity_decomposerEEEEE10hipError_tT0_T1_T2_jT3_P12ihipStream_tbPNSt15iterator_traitsISE_E10value_typeEPNSK_ISF_E10value_typeEPSG_NS1_7vsmem_tEENKUlT_SE_SF_SG_E_clIS8_S8_S9_S9_EESD_ST_SE_SF_SG_EUlST_E0_NS1_11comp_targetILNS1_3genE4ELNS1_11target_archE910ELNS1_3gpuE8ELNS1_3repE0EEENS1_38merge_mergepath_config_static_selectorELNS0_4arch9wavefront6targetE1EEEvSF_
                                        ; -- End function
	.section	.AMDGPU.csdata,"",@progbits
; Kernel info:
; codeLenInByte = 2284
; NumSgprs: 30
; NumVgprs: 23
; NumAgprs: 0
; TotalNumVgprs: 23
; ScratchSize: 0
; MemoryBound: 0
; FloatMode: 240
; IeeeMode: 1
; LDSByteSize: 8448 bytes/workgroup (compile time only)
; SGPRBlocks: 3
; VGPRBlocks: 2
; NumSGPRsForWavesPerEU: 30
; NumVGPRsForWavesPerEU: 23
; AccumOffset: 24
; Occupancy: 7
; WaveLimiterHint : 1
; COMPUTE_PGM_RSRC2:SCRATCH_EN: 0
; COMPUTE_PGM_RSRC2:USER_SGPR: 6
; COMPUTE_PGM_RSRC2:TRAP_HANDLER: 0
; COMPUTE_PGM_RSRC2:TGID_X_EN: 1
; COMPUTE_PGM_RSRC2:TGID_Y_EN: 1
; COMPUTE_PGM_RSRC2:TGID_Z_EN: 1
; COMPUTE_PGM_RSRC2:TIDIG_COMP_CNT: 0
; COMPUTE_PGM_RSRC3_GFX90A:ACCUM_OFFSET: 5
; COMPUTE_PGM_RSRC3_GFX90A:TG_SPLIT: 0
	.section	.text._ZN7rocprim17ROCPRIM_400000_NS6detail17trampoline_kernelINS0_14default_configENS1_38merge_sort_block_merge_config_selectorIxNS0_10empty_typeEEEZZNS1_27merge_sort_block_merge_implIS3_PxPS5_jNS1_19radix_merge_compareILb1ELb1ExNS0_19identity_decomposerEEEEE10hipError_tT0_T1_T2_jT3_P12ihipStream_tbPNSt15iterator_traitsISE_E10value_typeEPNSK_ISF_E10value_typeEPSG_NS1_7vsmem_tEENKUlT_SE_SF_SG_E_clIS8_S8_S9_S9_EESD_ST_SE_SF_SG_EUlST_E0_NS1_11comp_targetILNS1_3genE3ELNS1_11target_archE908ELNS1_3gpuE7ELNS1_3repE0EEENS1_38merge_mergepath_config_static_selectorELNS0_4arch9wavefront6targetE1EEEvSF_,"axG",@progbits,_ZN7rocprim17ROCPRIM_400000_NS6detail17trampoline_kernelINS0_14default_configENS1_38merge_sort_block_merge_config_selectorIxNS0_10empty_typeEEEZZNS1_27merge_sort_block_merge_implIS3_PxPS5_jNS1_19radix_merge_compareILb1ELb1ExNS0_19identity_decomposerEEEEE10hipError_tT0_T1_T2_jT3_P12ihipStream_tbPNSt15iterator_traitsISE_E10value_typeEPNSK_ISF_E10value_typeEPSG_NS1_7vsmem_tEENKUlT_SE_SF_SG_E_clIS8_S8_S9_S9_EESD_ST_SE_SF_SG_EUlST_E0_NS1_11comp_targetILNS1_3genE3ELNS1_11target_archE908ELNS1_3gpuE7ELNS1_3repE0EEENS1_38merge_mergepath_config_static_selectorELNS0_4arch9wavefront6targetE1EEEvSF_,comdat
	.protected	_ZN7rocprim17ROCPRIM_400000_NS6detail17trampoline_kernelINS0_14default_configENS1_38merge_sort_block_merge_config_selectorIxNS0_10empty_typeEEEZZNS1_27merge_sort_block_merge_implIS3_PxPS5_jNS1_19radix_merge_compareILb1ELb1ExNS0_19identity_decomposerEEEEE10hipError_tT0_T1_T2_jT3_P12ihipStream_tbPNSt15iterator_traitsISE_E10value_typeEPNSK_ISF_E10value_typeEPSG_NS1_7vsmem_tEENKUlT_SE_SF_SG_E_clIS8_S8_S9_S9_EESD_ST_SE_SF_SG_EUlST_E0_NS1_11comp_targetILNS1_3genE3ELNS1_11target_archE908ELNS1_3gpuE7ELNS1_3repE0EEENS1_38merge_mergepath_config_static_selectorELNS0_4arch9wavefront6targetE1EEEvSF_ ; -- Begin function _ZN7rocprim17ROCPRIM_400000_NS6detail17trampoline_kernelINS0_14default_configENS1_38merge_sort_block_merge_config_selectorIxNS0_10empty_typeEEEZZNS1_27merge_sort_block_merge_implIS3_PxPS5_jNS1_19radix_merge_compareILb1ELb1ExNS0_19identity_decomposerEEEEE10hipError_tT0_T1_T2_jT3_P12ihipStream_tbPNSt15iterator_traitsISE_E10value_typeEPNSK_ISF_E10value_typeEPSG_NS1_7vsmem_tEENKUlT_SE_SF_SG_E_clIS8_S8_S9_S9_EESD_ST_SE_SF_SG_EUlST_E0_NS1_11comp_targetILNS1_3genE3ELNS1_11target_archE908ELNS1_3gpuE7ELNS1_3repE0EEENS1_38merge_mergepath_config_static_selectorELNS0_4arch9wavefront6targetE1EEEvSF_
	.globl	_ZN7rocprim17ROCPRIM_400000_NS6detail17trampoline_kernelINS0_14default_configENS1_38merge_sort_block_merge_config_selectorIxNS0_10empty_typeEEEZZNS1_27merge_sort_block_merge_implIS3_PxPS5_jNS1_19radix_merge_compareILb1ELb1ExNS0_19identity_decomposerEEEEE10hipError_tT0_T1_T2_jT3_P12ihipStream_tbPNSt15iterator_traitsISE_E10value_typeEPNSK_ISF_E10value_typeEPSG_NS1_7vsmem_tEENKUlT_SE_SF_SG_E_clIS8_S8_S9_S9_EESD_ST_SE_SF_SG_EUlST_E0_NS1_11comp_targetILNS1_3genE3ELNS1_11target_archE908ELNS1_3gpuE7ELNS1_3repE0EEENS1_38merge_mergepath_config_static_selectorELNS0_4arch9wavefront6targetE1EEEvSF_
	.p2align	8
	.type	_ZN7rocprim17ROCPRIM_400000_NS6detail17trampoline_kernelINS0_14default_configENS1_38merge_sort_block_merge_config_selectorIxNS0_10empty_typeEEEZZNS1_27merge_sort_block_merge_implIS3_PxPS5_jNS1_19radix_merge_compareILb1ELb1ExNS0_19identity_decomposerEEEEE10hipError_tT0_T1_T2_jT3_P12ihipStream_tbPNSt15iterator_traitsISE_E10value_typeEPNSK_ISF_E10value_typeEPSG_NS1_7vsmem_tEENKUlT_SE_SF_SG_E_clIS8_S8_S9_S9_EESD_ST_SE_SF_SG_EUlST_E0_NS1_11comp_targetILNS1_3genE3ELNS1_11target_archE908ELNS1_3gpuE7ELNS1_3repE0EEENS1_38merge_mergepath_config_static_selectorELNS0_4arch9wavefront6targetE1EEEvSF_,@function
_ZN7rocprim17ROCPRIM_400000_NS6detail17trampoline_kernelINS0_14default_configENS1_38merge_sort_block_merge_config_selectorIxNS0_10empty_typeEEEZZNS1_27merge_sort_block_merge_implIS3_PxPS5_jNS1_19radix_merge_compareILb1ELb1ExNS0_19identity_decomposerEEEEE10hipError_tT0_T1_T2_jT3_P12ihipStream_tbPNSt15iterator_traitsISE_E10value_typeEPNSK_ISF_E10value_typeEPSG_NS1_7vsmem_tEENKUlT_SE_SF_SG_E_clIS8_S8_S9_S9_EESD_ST_SE_SF_SG_EUlST_E0_NS1_11comp_targetILNS1_3genE3ELNS1_11target_archE908ELNS1_3gpuE7ELNS1_3repE0EEENS1_38merge_mergepath_config_static_selectorELNS0_4arch9wavefront6targetE1EEEvSF_: ; @_ZN7rocprim17ROCPRIM_400000_NS6detail17trampoline_kernelINS0_14default_configENS1_38merge_sort_block_merge_config_selectorIxNS0_10empty_typeEEEZZNS1_27merge_sort_block_merge_implIS3_PxPS5_jNS1_19radix_merge_compareILb1ELb1ExNS0_19identity_decomposerEEEEE10hipError_tT0_T1_T2_jT3_P12ihipStream_tbPNSt15iterator_traitsISE_E10value_typeEPNSK_ISF_E10value_typeEPSG_NS1_7vsmem_tEENKUlT_SE_SF_SG_E_clIS8_S8_S9_S9_EESD_ST_SE_SF_SG_EUlST_E0_NS1_11comp_targetILNS1_3genE3ELNS1_11target_archE908ELNS1_3gpuE7ELNS1_3repE0EEENS1_38merge_mergepath_config_static_selectorELNS0_4arch9wavefront6targetE1EEEvSF_
; %bb.0:
	.section	.rodata,"a",@progbits
	.p2align	6, 0x0
	.amdhsa_kernel _ZN7rocprim17ROCPRIM_400000_NS6detail17trampoline_kernelINS0_14default_configENS1_38merge_sort_block_merge_config_selectorIxNS0_10empty_typeEEEZZNS1_27merge_sort_block_merge_implIS3_PxPS5_jNS1_19radix_merge_compareILb1ELb1ExNS0_19identity_decomposerEEEEE10hipError_tT0_T1_T2_jT3_P12ihipStream_tbPNSt15iterator_traitsISE_E10value_typeEPNSK_ISF_E10value_typeEPSG_NS1_7vsmem_tEENKUlT_SE_SF_SG_E_clIS8_S8_S9_S9_EESD_ST_SE_SF_SG_EUlST_E0_NS1_11comp_targetILNS1_3genE3ELNS1_11target_archE908ELNS1_3gpuE7ELNS1_3repE0EEENS1_38merge_mergepath_config_static_selectorELNS0_4arch9wavefront6targetE1EEEvSF_
		.amdhsa_group_segment_fixed_size 0
		.amdhsa_private_segment_fixed_size 0
		.amdhsa_kernarg_size 72
		.amdhsa_user_sgpr_count 6
		.amdhsa_user_sgpr_private_segment_buffer 1
		.amdhsa_user_sgpr_dispatch_ptr 0
		.amdhsa_user_sgpr_queue_ptr 0
		.amdhsa_user_sgpr_kernarg_segment_ptr 1
		.amdhsa_user_sgpr_dispatch_id 0
		.amdhsa_user_sgpr_flat_scratch_init 0
		.amdhsa_user_sgpr_kernarg_preload_length 0
		.amdhsa_user_sgpr_kernarg_preload_offset 0
		.amdhsa_user_sgpr_private_segment_size 0
		.amdhsa_uses_dynamic_stack 0
		.amdhsa_system_sgpr_private_segment_wavefront_offset 0
		.amdhsa_system_sgpr_workgroup_id_x 1
		.amdhsa_system_sgpr_workgroup_id_y 0
		.amdhsa_system_sgpr_workgroup_id_z 0
		.amdhsa_system_sgpr_workgroup_info 0
		.amdhsa_system_vgpr_workitem_id 0
		.amdhsa_next_free_vgpr 1
		.amdhsa_next_free_sgpr 0
		.amdhsa_accum_offset 4
		.amdhsa_reserve_vcc 0
		.amdhsa_reserve_flat_scratch 0
		.amdhsa_float_round_mode_32 0
		.amdhsa_float_round_mode_16_64 0
		.amdhsa_float_denorm_mode_32 3
		.amdhsa_float_denorm_mode_16_64 3
		.amdhsa_dx10_clamp 1
		.amdhsa_ieee_mode 1
		.amdhsa_fp16_overflow 0
		.amdhsa_tg_split 0
		.amdhsa_exception_fp_ieee_invalid_op 0
		.amdhsa_exception_fp_denorm_src 0
		.amdhsa_exception_fp_ieee_div_zero 0
		.amdhsa_exception_fp_ieee_overflow 0
		.amdhsa_exception_fp_ieee_underflow 0
		.amdhsa_exception_fp_ieee_inexact 0
		.amdhsa_exception_int_div_zero 0
	.end_amdhsa_kernel
	.section	.text._ZN7rocprim17ROCPRIM_400000_NS6detail17trampoline_kernelINS0_14default_configENS1_38merge_sort_block_merge_config_selectorIxNS0_10empty_typeEEEZZNS1_27merge_sort_block_merge_implIS3_PxPS5_jNS1_19radix_merge_compareILb1ELb1ExNS0_19identity_decomposerEEEEE10hipError_tT0_T1_T2_jT3_P12ihipStream_tbPNSt15iterator_traitsISE_E10value_typeEPNSK_ISF_E10value_typeEPSG_NS1_7vsmem_tEENKUlT_SE_SF_SG_E_clIS8_S8_S9_S9_EESD_ST_SE_SF_SG_EUlST_E0_NS1_11comp_targetILNS1_3genE3ELNS1_11target_archE908ELNS1_3gpuE7ELNS1_3repE0EEENS1_38merge_mergepath_config_static_selectorELNS0_4arch9wavefront6targetE1EEEvSF_,"axG",@progbits,_ZN7rocprim17ROCPRIM_400000_NS6detail17trampoline_kernelINS0_14default_configENS1_38merge_sort_block_merge_config_selectorIxNS0_10empty_typeEEEZZNS1_27merge_sort_block_merge_implIS3_PxPS5_jNS1_19radix_merge_compareILb1ELb1ExNS0_19identity_decomposerEEEEE10hipError_tT0_T1_T2_jT3_P12ihipStream_tbPNSt15iterator_traitsISE_E10value_typeEPNSK_ISF_E10value_typeEPSG_NS1_7vsmem_tEENKUlT_SE_SF_SG_E_clIS8_S8_S9_S9_EESD_ST_SE_SF_SG_EUlST_E0_NS1_11comp_targetILNS1_3genE3ELNS1_11target_archE908ELNS1_3gpuE7ELNS1_3repE0EEENS1_38merge_mergepath_config_static_selectorELNS0_4arch9wavefront6targetE1EEEvSF_,comdat
.Lfunc_end2354:
	.size	_ZN7rocprim17ROCPRIM_400000_NS6detail17trampoline_kernelINS0_14default_configENS1_38merge_sort_block_merge_config_selectorIxNS0_10empty_typeEEEZZNS1_27merge_sort_block_merge_implIS3_PxPS5_jNS1_19radix_merge_compareILb1ELb1ExNS0_19identity_decomposerEEEEE10hipError_tT0_T1_T2_jT3_P12ihipStream_tbPNSt15iterator_traitsISE_E10value_typeEPNSK_ISF_E10value_typeEPSG_NS1_7vsmem_tEENKUlT_SE_SF_SG_E_clIS8_S8_S9_S9_EESD_ST_SE_SF_SG_EUlST_E0_NS1_11comp_targetILNS1_3genE3ELNS1_11target_archE908ELNS1_3gpuE7ELNS1_3repE0EEENS1_38merge_mergepath_config_static_selectorELNS0_4arch9wavefront6targetE1EEEvSF_, .Lfunc_end2354-_ZN7rocprim17ROCPRIM_400000_NS6detail17trampoline_kernelINS0_14default_configENS1_38merge_sort_block_merge_config_selectorIxNS0_10empty_typeEEEZZNS1_27merge_sort_block_merge_implIS3_PxPS5_jNS1_19radix_merge_compareILb1ELb1ExNS0_19identity_decomposerEEEEE10hipError_tT0_T1_T2_jT3_P12ihipStream_tbPNSt15iterator_traitsISE_E10value_typeEPNSK_ISF_E10value_typeEPSG_NS1_7vsmem_tEENKUlT_SE_SF_SG_E_clIS8_S8_S9_S9_EESD_ST_SE_SF_SG_EUlST_E0_NS1_11comp_targetILNS1_3genE3ELNS1_11target_archE908ELNS1_3gpuE7ELNS1_3repE0EEENS1_38merge_mergepath_config_static_selectorELNS0_4arch9wavefront6targetE1EEEvSF_
                                        ; -- End function
	.section	.AMDGPU.csdata,"",@progbits
; Kernel info:
; codeLenInByte = 0
; NumSgprs: 4
; NumVgprs: 0
; NumAgprs: 0
; TotalNumVgprs: 0
; ScratchSize: 0
; MemoryBound: 0
; FloatMode: 240
; IeeeMode: 1
; LDSByteSize: 0 bytes/workgroup (compile time only)
; SGPRBlocks: 0
; VGPRBlocks: 0
; NumSGPRsForWavesPerEU: 4
; NumVGPRsForWavesPerEU: 1
; AccumOffset: 4
; Occupancy: 8
; WaveLimiterHint : 0
; COMPUTE_PGM_RSRC2:SCRATCH_EN: 0
; COMPUTE_PGM_RSRC2:USER_SGPR: 6
; COMPUTE_PGM_RSRC2:TRAP_HANDLER: 0
; COMPUTE_PGM_RSRC2:TGID_X_EN: 1
; COMPUTE_PGM_RSRC2:TGID_Y_EN: 0
; COMPUTE_PGM_RSRC2:TGID_Z_EN: 0
; COMPUTE_PGM_RSRC2:TIDIG_COMP_CNT: 0
; COMPUTE_PGM_RSRC3_GFX90A:ACCUM_OFFSET: 0
; COMPUTE_PGM_RSRC3_GFX90A:TG_SPLIT: 0
	.section	.text._ZN7rocprim17ROCPRIM_400000_NS6detail17trampoline_kernelINS0_14default_configENS1_38merge_sort_block_merge_config_selectorIxNS0_10empty_typeEEEZZNS1_27merge_sort_block_merge_implIS3_PxPS5_jNS1_19radix_merge_compareILb1ELb1ExNS0_19identity_decomposerEEEEE10hipError_tT0_T1_T2_jT3_P12ihipStream_tbPNSt15iterator_traitsISE_E10value_typeEPNSK_ISF_E10value_typeEPSG_NS1_7vsmem_tEENKUlT_SE_SF_SG_E_clIS8_S8_S9_S9_EESD_ST_SE_SF_SG_EUlST_E0_NS1_11comp_targetILNS1_3genE2ELNS1_11target_archE906ELNS1_3gpuE6ELNS1_3repE0EEENS1_38merge_mergepath_config_static_selectorELNS0_4arch9wavefront6targetE1EEEvSF_,"axG",@progbits,_ZN7rocprim17ROCPRIM_400000_NS6detail17trampoline_kernelINS0_14default_configENS1_38merge_sort_block_merge_config_selectorIxNS0_10empty_typeEEEZZNS1_27merge_sort_block_merge_implIS3_PxPS5_jNS1_19radix_merge_compareILb1ELb1ExNS0_19identity_decomposerEEEEE10hipError_tT0_T1_T2_jT3_P12ihipStream_tbPNSt15iterator_traitsISE_E10value_typeEPNSK_ISF_E10value_typeEPSG_NS1_7vsmem_tEENKUlT_SE_SF_SG_E_clIS8_S8_S9_S9_EESD_ST_SE_SF_SG_EUlST_E0_NS1_11comp_targetILNS1_3genE2ELNS1_11target_archE906ELNS1_3gpuE6ELNS1_3repE0EEENS1_38merge_mergepath_config_static_selectorELNS0_4arch9wavefront6targetE1EEEvSF_,comdat
	.protected	_ZN7rocprim17ROCPRIM_400000_NS6detail17trampoline_kernelINS0_14default_configENS1_38merge_sort_block_merge_config_selectorIxNS0_10empty_typeEEEZZNS1_27merge_sort_block_merge_implIS3_PxPS5_jNS1_19radix_merge_compareILb1ELb1ExNS0_19identity_decomposerEEEEE10hipError_tT0_T1_T2_jT3_P12ihipStream_tbPNSt15iterator_traitsISE_E10value_typeEPNSK_ISF_E10value_typeEPSG_NS1_7vsmem_tEENKUlT_SE_SF_SG_E_clIS8_S8_S9_S9_EESD_ST_SE_SF_SG_EUlST_E0_NS1_11comp_targetILNS1_3genE2ELNS1_11target_archE906ELNS1_3gpuE6ELNS1_3repE0EEENS1_38merge_mergepath_config_static_selectorELNS0_4arch9wavefront6targetE1EEEvSF_ ; -- Begin function _ZN7rocprim17ROCPRIM_400000_NS6detail17trampoline_kernelINS0_14default_configENS1_38merge_sort_block_merge_config_selectorIxNS0_10empty_typeEEEZZNS1_27merge_sort_block_merge_implIS3_PxPS5_jNS1_19radix_merge_compareILb1ELb1ExNS0_19identity_decomposerEEEEE10hipError_tT0_T1_T2_jT3_P12ihipStream_tbPNSt15iterator_traitsISE_E10value_typeEPNSK_ISF_E10value_typeEPSG_NS1_7vsmem_tEENKUlT_SE_SF_SG_E_clIS8_S8_S9_S9_EESD_ST_SE_SF_SG_EUlST_E0_NS1_11comp_targetILNS1_3genE2ELNS1_11target_archE906ELNS1_3gpuE6ELNS1_3repE0EEENS1_38merge_mergepath_config_static_selectorELNS0_4arch9wavefront6targetE1EEEvSF_
	.globl	_ZN7rocprim17ROCPRIM_400000_NS6detail17trampoline_kernelINS0_14default_configENS1_38merge_sort_block_merge_config_selectorIxNS0_10empty_typeEEEZZNS1_27merge_sort_block_merge_implIS3_PxPS5_jNS1_19radix_merge_compareILb1ELb1ExNS0_19identity_decomposerEEEEE10hipError_tT0_T1_T2_jT3_P12ihipStream_tbPNSt15iterator_traitsISE_E10value_typeEPNSK_ISF_E10value_typeEPSG_NS1_7vsmem_tEENKUlT_SE_SF_SG_E_clIS8_S8_S9_S9_EESD_ST_SE_SF_SG_EUlST_E0_NS1_11comp_targetILNS1_3genE2ELNS1_11target_archE906ELNS1_3gpuE6ELNS1_3repE0EEENS1_38merge_mergepath_config_static_selectorELNS0_4arch9wavefront6targetE1EEEvSF_
	.p2align	8
	.type	_ZN7rocprim17ROCPRIM_400000_NS6detail17trampoline_kernelINS0_14default_configENS1_38merge_sort_block_merge_config_selectorIxNS0_10empty_typeEEEZZNS1_27merge_sort_block_merge_implIS3_PxPS5_jNS1_19radix_merge_compareILb1ELb1ExNS0_19identity_decomposerEEEEE10hipError_tT0_T1_T2_jT3_P12ihipStream_tbPNSt15iterator_traitsISE_E10value_typeEPNSK_ISF_E10value_typeEPSG_NS1_7vsmem_tEENKUlT_SE_SF_SG_E_clIS8_S8_S9_S9_EESD_ST_SE_SF_SG_EUlST_E0_NS1_11comp_targetILNS1_3genE2ELNS1_11target_archE906ELNS1_3gpuE6ELNS1_3repE0EEENS1_38merge_mergepath_config_static_selectorELNS0_4arch9wavefront6targetE1EEEvSF_,@function
_ZN7rocprim17ROCPRIM_400000_NS6detail17trampoline_kernelINS0_14default_configENS1_38merge_sort_block_merge_config_selectorIxNS0_10empty_typeEEEZZNS1_27merge_sort_block_merge_implIS3_PxPS5_jNS1_19radix_merge_compareILb1ELb1ExNS0_19identity_decomposerEEEEE10hipError_tT0_T1_T2_jT3_P12ihipStream_tbPNSt15iterator_traitsISE_E10value_typeEPNSK_ISF_E10value_typeEPSG_NS1_7vsmem_tEENKUlT_SE_SF_SG_E_clIS8_S8_S9_S9_EESD_ST_SE_SF_SG_EUlST_E0_NS1_11comp_targetILNS1_3genE2ELNS1_11target_archE906ELNS1_3gpuE6ELNS1_3repE0EEENS1_38merge_mergepath_config_static_selectorELNS0_4arch9wavefront6targetE1EEEvSF_: ; @_ZN7rocprim17ROCPRIM_400000_NS6detail17trampoline_kernelINS0_14default_configENS1_38merge_sort_block_merge_config_selectorIxNS0_10empty_typeEEEZZNS1_27merge_sort_block_merge_implIS3_PxPS5_jNS1_19radix_merge_compareILb1ELb1ExNS0_19identity_decomposerEEEEE10hipError_tT0_T1_T2_jT3_P12ihipStream_tbPNSt15iterator_traitsISE_E10value_typeEPNSK_ISF_E10value_typeEPSG_NS1_7vsmem_tEENKUlT_SE_SF_SG_E_clIS8_S8_S9_S9_EESD_ST_SE_SF_SG_EUlST_E0_NS1_11comp_targetILNS1_3genE2ELNS1_11target_archE906ELNS1_3gpuE6ELNS1_3repE0EEENS1_38merge_mergepath_config_static_selectorELNS0_4arch9wavefront6targetE1EEEvSF_
; %bb.0:
	.section	.rodata,"a",@progbits
	.p2align	6, 0x0
	.amdhsa_kernel _ZN7rocprim17ROCPRIM_400000_NS6detail17trampoline_kernelINS0_14default_configENS1_38merge_sort_block_merge_config_selectorIxNS0_10empty_typeEEEZZNS1_27merge_sort_block_merge_implIS3_PxPS5_jNS1_19radix_merge_compareILb1ELb1ExNS0_19identity_decomposerEEEEE10hipError_tT0_T1_T2_jT3_P12ihipStream_tbPNSt15iterator_traitsISE_E10value_typeEPNSK_ISF_E10value_typeEPSG_NS1_7vsmem_tEENKUlT_SE_SF_SG_E_clIS8_S8_S9_S9_EESD_ST_SE_SF_SG_EUlST_E0_NS1_11comp_targetILNS1_3genE2ELNS1_11target_archE906ELNS1_3gpuE6ELNS1_3repE0EEENS1_38merge_mergepath_config_static_selectorELNS0_4arch9wavefront6targetE1EEEvSF_
		.amdhsa_group_segment_fixed_size 0
		.amdhsa_private_segment_fixed_size 0
		.amdhsa_kernarg_size 72
		.amdhsa_user_sgpr_count 6
		.amdhsa_user_sgpr_private_segment_buffer 1
		.amdhsa_user_sgpr_dispatch_ptr 0
		.amdhsa_user_sgpr_queue_ptr 0
		.amdhsa_user_sgpr_kernarg_segment_ptr 1
		.amdhsa_user_sgpr_dispatch_id 0
		.amdhsa_user_sgpr_flat_scratch_init 0
		.amdhsa_user_sgpr_kernarg_preload_length 0
		.amdhsa_user_sgpr_kernarg_preload_offset 0
		.amdhsa_user_sgpr_private_segment_size 0
		.amdhsa_uses_dynamic_stack 0
		.amdhsa_system_sgpr_private_segment_wavefront_offset 0
		.amdhsa_system_sgpr_workgroup_id_x 1
		.amdhsa_system_sgpr_workgroup_id_y 0
		.amdhsa_system_sgpr_workgroup_id_z 0
		.amdhsa_system_sgpr_workgroup_info 0
		.amdhsa_system_vgpr_workitem_id 0
		.amdhsa_next_free_vgpr 1
		.amdhsa_next_free_sgpr 0
		.amdhsa_accum_offset 4
		.amdhsa_reserve_vcc 0
		.amdhsa_reserve_flat_scratch 0
		.amdhsa_float_round_mode_32 0
		.amdhsa_float_round_mode_16_64 0
		.amdhsa_float_denorm_mode_32 3
		.amdhsa_float_denorm_mode_16_64 3
		.amdhsa_dx10_clamp 1
		.amdhsa_ieee_mode 1
		.amdhsa_fp16_overflow 0
		.amdhsa_tg_split 0
		.amdhsa_exception_fp_ieee_invalid_op 0
		.amdhsa_exception_fp_denorm_src 0
		.amdhsa_exception_fp_ieee_div_zero 0
		.amdhsa_exception_fp_ieee_overflow 0
		.amdhsa_exception_fp_ieee_underflow 0
		.amdhsa_exception_fp_ieee_inexact 0
		.amdhsa_exception_int_div_zero 0
	.end_amdhsa_kernel
	.section	.text._ZN7rocprim17ROCPRIM_400000_NS6detail17trampoline_kernelINS0_14default_configENS1_38merge_sort_block_merge_config_selectorIxNS0_10empty_typeEEEZZNS1_27merge_sort_block_merge_implIS3_PxPS5_jNS1_19radix_merge_compareILb1ELb1ExNS0_19identity_decomposerEEEEE10hipError_tT0_T1_T2_jT3_P12ihipStream_tbPNSt15iterator_traitsISE_E10value_typeEPNSK_ISF_E10value_typeEPSG_NS1_7vsmem_tEENKUlT_SE_SF_SG_E_clIS8_S8_S9_S9_EESD_ST_SE_SF_SG_EUlST_E0_NS1_11comp_targetILNS1_3genE2ELNS1_11target_archE906ELNS1_3gpuE6ELNS1_3repE0EEENS1_38merge_mergepath_config_static_selectorELNS0_4arch9wavefront6targetE1EEEvSF_,"axG",@progbits,_ZN7rocprim17ROCPRIM_400000_NS6detail17trampoline_kernelINS0_14default_configENS1_38merge_sort_block_merge_config_selectorIxNS0_10empty_typeEEEZZNS1_27merge_sort_block_merge_implIS3_PxPS5_jNS1_19radix_merge_compareILb1ELb1ExNS0_19identity_decomposerEEEEE10hipError_tT0_T1_T2_jT3_P12ihipStream_tbPNSt15iterator_traitsISE_E10value_typeEPNSK_ISF_E10value_typeEPSG_NS1_7vsmem_tEENKUlT_SE_SF_SG_E_clIS8_S8_S9_S9_EESD_ST_SE_SF_SG_EUlST_E0_NS1_11comp_targetILNS1_3genE2ELNS1_11target_archE906ELNS1_3gpuE6ELNS1_3repE0EEENS1_38merge_mergepath_config_static_selectorELNS0_4arch9wavefront6targetE1EEEvSF_,comdat
.Lfunc_end2355:
	.size	_ZN7rocprim17ROCPRIM_400000_NS6detail17trampoline_kernelINS0_14default_configENS1_38merge_sort_block_merge_config_selectorIxNS0_10empty_typeEEEZZNS1_27merge_sort_block_merge_implIS3_PxPS5_jNS1_19radix_merge_compareILb1ELb1ExNS0_19identity_decomposerEEEEE10hipError_tT0_T1_T2_jT3_P12ihipStream_tbPNSt15iterator_traitsISE_E10value_typeEPNSK_ISF_E10value_typeEPSG_NS1_7vsmem_tEENKUlT_SE_SF_SG_E_clIS8_S8_S9_S9_EESD_ST_SE_SF_SG_EUlST_E0_NS1_11comp_targetILNS1_3genE2ELNS1_11target_archE906ELNS1_3gpuE6ELNS1_3repE0EEENS1_38merge_mergepath_config_static_selectorELNS0_4arch9wavefront6targetE1EEEvSF_, .Lfunc_end2355-_ZN7rocprim17ROCPRIM_400000_NS6detail17trampoline_kernelINS0_14default_configENS1_38merge_sort_block_merge_config_selectorIxNS0_10empty_typeEEEZZNS1_27merge_sort_block_merge_implIS3_PxPS5_jNS1_19radix_merge_compareILb1ELb1ExNS0_19identity_decomposerEEEEE10hipError_tT0_T1_T2_jT3_P12ihipStream_tbPNSt15iterator_traitsISE_E10value_typeEPNSK_ISF_E10value_typeEPSG_NS1_7vsmem_tEENKUlT_SE_SF_SG_E_clIS8_S8_S9_S9_EESD_ST_SE_SF_SG_EUlST_E0_NS1_11comp_targetILNS1_3genE2ELNS1_11target_archE906ELNS1_3gpuE6ELNS1_3repE0EEENS1_38merge_mergepath_config_static_selectorELNS0_4arch9wavefront6targetE1EEEvSF_
                                        ; -- End function
	.section	.AMDGPU.csdata,"",@progbits
; Kernel info:
; codeLenInByte = 0
; NumSgprs: 4
; NumVgprs: 0
; NumAgprs: 0
; TotalNumVgprs: 0
; ScratchSize: 0
; MemoryBound: 0
; FloatMode: 240
; IeeeMode: 1
; LDSByteSize: 0 bytes/workgroup (compile time only)
; SGPRBlocks: 0
; VGPRBlocks: 0
; NumSGPRsForWavesPerEU: 4
; NumVGPRsForWavesPerEU: 1
; AccumOffset: 4
; Occupancy: 8
; WaveLimiterHint : 0
; COMPUTE_PGM_RSRC2:SCRATCH_EN: 0
; COMPUTE_PGM_RSRC2:USER_SGPR: 6
; COMPUTE_PGM_RSRC2:TRAP_HANDLER: 0
; COMPUTE_PGM_RSRC2:TGID_X_EN: 1
; COMPUTE_PGM_RSRC2:TGID_Y_EN: 0
; COMPUTE_PGM_RSRC2:TGID_Z_EN: 0
; COMPUTE_PGM_RSRC2:TIDIG_COMP_CNT: 0
; COMPUTE_PGM_RSRC3_GFX90A:ACCUM_OFFSET: 0
; COMPUTE_PGM_RSRC3_GFX90A:TG_SPLIT: 0
	.section	.text._ZN7rocprim17ROCPRIM_400000_NS6detail17trampoline_kernelINS0_14default_configENS1_38merge_sort_block_merge_config_selectorIxNS0_10empty_typeEEEZZNS1_27merge_sort_block_merge_implIS3_PxPS5_jNS1_19radix_merge_compareILb1ELb1ExNS0_19identity_decomposerEEEEE10hipError_tT0_T1_T2_jT3_P12ihipStream_tbPNSt15iterator_traitsISE_E10value_typeEPNSK_ISF_E10value_typeEPSG_NS1_7vsmem_tEENKUlT_SE_SF_SG_E_clIS8_S8_S9_S9_EESD_ST_SE_SF_SG_EUlST_E0_NS1_11comp_targetILNS1_3genE9ELNS1_11target_archE1100ELNS1_3gpuE3ELNS1_3repE0EEENS1_38merge_mergepath_config_static_selectorELNS0_4arch9wavefront6targetE1EEEvSF_,"axG",@progbits,_ZN7rocprim17ROCPRIM_400000_NS6detail17trampoline_kernelINS0_14default_configENS1_38merge_sort_block_merge_config_selectorIxNS0_10empty_typeEEEZZNS1_27merge_sort_block_merge_implIS3_PxPS5_jNS1_19radix_merge_compareILb1ELb1ExNS0_19identity_decomposerEEEEE10hipError_tT0_T1_T2_jT3_P12ihipStream_tbPNSt15iterator_traitsISE_E10value_typeEPNSK_ISF_E10value_typeEPSG_NS1_7vsmem_tEENKUlT_SE_SF_SG_E_clIS8_S8_S9_S9_EESD_ST_SE_SF_SG_EUlST_E0_NS1_11comp_targetILNS1_3genE9ELNS1_11target_archE1100ELNS1_3gpuE3ELNS1_3repE0EEENS1_38merge_mergepath_config_static_selectorELNS0_4arch9wavefront6targetE1EEEvSF_,comdat
	.protected	_ZN7rocprim17ROCPRIM_400000_NS6detail17trampoline_kernelINS0_14default_configENS1_38merge_sort_block_merge_config_selectorIxNS0_10empty_typeEEEZZNS1_27merge_sort_block_merge_implIS3_PxPS5_jNS1_19radix_merge_compareILb1ELb1ExNS0_19identity_decomposerEEEEE10hipError_tT0_T1_T2_jT3_P12ihipStream_tbPNSt15iterator_traitsISE_E10value_typeEPNSK_ISF_E10value_typeEPSG_NS1_7vsmem_tEENKUlT_SE_SF_SG_E_clIS8_S8_S9_S9_EESD_ST_SE_SF_SG_EUlST_E0_NS1_11comp_targetILNS1_3genE9ELNS1_11target_archE1100ELNS1_3gpuE3ELNS1_3repE0EEENS1_38merge_mergepath_config_static_selectorELNS0_4arch9wavefront6targetE1EEEvSF_ ; -- Begin function _ZN7rocprim17ROCPRIM_400000_NS6detail17trampoline_kernelINS0_14default_configENS1_38merge_sort_block_merge_config_selectorIxNS0_10empty_typeEEEZZNS1_27merge_sort_block_merge_implIS3_PxPS5_jNS1_19radix_merge_compareILb1ELb1ExNS0_19identity_decomposerEEEEE10hipError_tT0_T1_T2_jT3_P12ihipStream_tbPNSt15iterator_traitsISE_E10value_typeEPNSK_ISF_E10value_typeEPSG_NS1_7vsmem_tEENKUlT_SE_SF_SG_E_clIS8_S8_S9_S9_EESD_ST_SE_SF_SG_EUlST_E0_NS1_11comp_targetILNS1_3genE9ELNS1_11target_archE1100ELNS1_3gpuE3ELNS1_3repE0EEENS1_38merge_mergepath_config_static_selectorELNS0_4arch9wavefront6targetE1EEEvSF_
	.globl	_ZN7rocprim17ROCPRIM_400000_NS6detail17trampoline_kernelINS0_14default_configENS1_38merge_sort_block_merge_config_selectorIxNS0_10empty_typeEEEZZNS1_27merge_sort_block_merge_implIS3_PxPS5_jNS1_19radix_merge_compareILb1ELb1ExNS0_19identity_decomposerEEEEE10hipError_tT0_T1_T2_jT3_P12ihipStream_tbPNSt15iterator_traitsISE_E10value_typeEPNSK_ISF_E10value_typeEPSG_NS1_7vsmem_tEENKUlT_SE_SF_SG_E_clIS8_S8_S9_S9_EESD_ST_SE_SF_SG_EUlST_E0_NS1_11comp_targetILNS1_3genE9ELNS1_11target_archE1100ELNS1_3gpuE3ELNS1_3repE0EEENS1_38merge_mergepath_config_static_selectorELNS0_4arch9wavefront6targetE1EEEvSF_
	.p2align	8
	.type	_ZN7rocprim17ROCPRIM_400000_NS6detail17trampoline_kernelINS0_14default_configENS1_38merge_sort_block_merge_config_selectorIxNS0_10empty_typeEEEZZNS1_27merge_sort_block_merge_implIS3_PxPS5_jNS1_19radix_merge_compareILb1ELb1ExNS0_19identity_decomposerEEEEE10hipError_tT0_T1_T2_jT3_P12ihipStream_tbPNSt15iterator_traitsISE_E10value_typeEPNSK_ISF_E10value_typeEPSG_NS1_7vsmem_tEENKUlT_SE_SF_SG_E_clIS8_S8_S9_S9_EESD_ST_SE_SF_SG_EUlST_E0_NS1_11comp_targetILNS1_3genE9ELNS1_11target_archE1100ELNS1_3gpuE3ELNS1_3repE0EEENS1_38merge_mergepath_config_static_selectorELNS0_4arch9wavefront6targetE1EEEvSF_,@function
_ZN7rocprim17ROCPRIM_400000_NS6detail17trampoline_kernelINS0_14default_configENS1_38merge_sort_block_merge_config_selectorIxNS0_10empty_typeEEEZZNS1_27merge_sort_block_merge_implIS3_PxPS5_jNS1_19radix_merge_compareILb1ELb1ExNS0_19identity_decomposerEEEEE10hipError_tT0_T1_T2_jT3_P12ihipStream_tbPNSt15iterator_traitsISE_E10value_typeEPNSK_ISF_E10value_typeEPSG_NS1_7vsmem_tEENKUlT_SE_SF_SG_E_clIS8_S8_S9_S9_EESD_ST_SE_SF_SG_EUlST_E0_NS1_11comp_targetILNS1_3genE9ELNS1_11target_archE1100ELNS1_3gpuE3ELNS1_3repE0EEENS1_38merge_mergepath_config_static_selectorELNS0_4arch9wavefront6targetE1EEEvSF_: ; @_ZN7rocprim17ROCPRIM_400000_NS6detail17trampoline_kernelINS0_14default_configENS1_38merge_sort_block_merge_config_selectorIxNS0_10empty_typeEEEZZNS1_27merge_sort_block_merge_implIS3_PxPS5_jNS1_19radix_merge_compareILb1ELb1ExNS0_19identity_decomposerEEEEE10hipError_tT0_T1_T2_jT3_P12ihipStream_tbPNSt15iterator_traitsISE_E10value_typeEPNSK_ISF_E10value_typeEPSG_NS1_7vsmem_tEENKUlT_SE_SF_SG_E_clIS8_S8_S9_S9_EESD_ST_SE_SF_SG_EUlST_E0_NS1_11comp_targetILNS1_3genE9ELNS1_11target_archE1100ELNS1_3gpuE3ELNS1_3repE0EEENS1_38merge_mergepath_config_static_selectorELNS0_4arch9wavefront6targetE1EEEvSF_
; %bb.0:
	.section	.rodata,"a",@progbits
	.p2align	6, 0x0
	.amdhsa_kernel _ZN7rocprim17ROCPRIM_400000_NS6detail17trampoline_kernelINS0_14default_configENS1_38merge_sort_block_merge_config_selectorIxNS0_10empty_typeEEEZZNS1_27merge_sort_block_merge_implIS3_PxPS5_jNS1_19radix_merge_compareILb1ELb1ExNS0_19identity_decomposerEEEEE10hipError_tT0_T1_T2_jT3_P12ihipStream_tbPNSt15iterator_traitsISE_E10value_typeEPNSK_ISF_E10value_typeEPSG_NS1_7vsmem_tEENKUlT_SE_SF_SG_E_clIS8_S8_S9_S9_EESD_ST_SE_SF_SG_EUlST_E0_NS1_11comp_targetILNS1_3genE9ELNS1_11target_archE1100ELNS1_3gpuE3ELNS1_3repE0EEENS1_38merge_mergepath_config_static_selectorELNS0_4arch9wavefront6targetE1EEEvSF_
		.amdhsa_group_segment_fixed_size 0
		.amdhsa_private_segment_fixed_size 0
		.amdhsa_kernarg_size 72
		.amdhsa_user_sgpr_count 6
		.amdhsa_user_sgpr_private_segment_buffer 1
		.amdhsa_user_sgpr_dispatch_ptr 0
		.amdhsa_user_sgpr_queue_ptr 0
		.amdhsa_user_sgpr_kernarg_segment_ptr 1
		.amdhsa_user_sgpr_dispatch_id 0
		.amdhsa_user_sgpr_flat_scratch_init 0
		.amdhsa_user_sgpr_kernarg_preload_length 0
		.amdhsa_user_sgpr_kernarg_preload_offset 0
		.amdhsa_user_sgpr_private_segment_size 0
		.amdhsa_uses_dynamic_stack 0
		.amdhsa_system_sgpr_private_segment_wavefront_offset 0
		.amdhsa_system_sgpr_workgroup_id_x 1
		.amdhsa_system_sgpr_workgroup_id_y 0
		.amdhsa_system_sgpr_workgroup_id_z 0
		.amdhsa_system_sgpr_workgroup_info 0
		.amdhsa_system_vgpr_workitem_id 0
		.amdhsa_next_free_vgpr 1
		.amdhsa_next_free_sgpr 0
		.amdhsa_accum_offset 4
		.amdhsa_reserve_vcc 0
		.amdhsa_reserve_flat_scratch 0
		.amdhsa_float_round_mode_32 0
		.amdhsa_float_round_mode_16_64 0
		.amdhsa_float_denorm_mode_32 3
		.amdhsa_float_denorm_mode_16_64 3
		.amdhsa_dx10_clamp 1
		.amdhsa_ieee_mode 1
		.amdhsa_fp16_overflow 0
		.amdhsa_tg_split 0
		.amdhsa_exception_fp_ieee_invalid_op 0
		.amdhsa_exception_fp_denorm_src 0
		.amdhsa_exception_fp_ieee_div_zero 0
		.amdhsa_exception_fp_ieee_overflow 0
		.amdhsa_exception_fp_ieee_underflow 0
		.amdhsa_exception_fp_ieee_inexact 0
		.amdhsa_exception_int_div_zero 0
	.end_amdhsa_kernel
	.section	.text._ZN7rocprim17ROCPRIM_400000_NS6detail17trampoline_kernelINS0_14default_configENS1_38merge_sort_block_merge_config_selectorIxNS0_10empty_typeEEEZZNS1_27merge_sort_block_merge_implIS3_PxPS5_jNS1_19radix_merge_compareILb1ELb1ExNS0_19identity_decomposerEEEEE10hipError_tT0_T1_T2_jT3_P12ihipStream_tbPNSt15iterator_traitsISE_E10value_typeEPNSK_ISF_E10value_typeEPSG_NS1_7vsmem_tEENKUlT_SE_SF_SG_E_clIS8_S8_S9_S9_EESD_ST_SE_SF_SG_EUlST_E0_NS1_11comp_targetILNS1_3genE9ELNS1_11target_archE1100ELNS1_3gpuE3ELNS1_3repE0EEENS1_38merge_mergepath_config_static_selectorELNS0_4arch9wavefront6targetE1EEEvSF_,"axG",@progbits,_ZN7rocprim17ROCPRIM_400000_NS6detail17trampoline_kernelINS0_14default_configENS1_38merge_sort_block_merge_config_selectorIxNS0_10empty_typeEEEZZNS1_27merge_sort_block_merge_implIS3_PxPS5_jNS1_19radix_merge_compareILb1ELb1ExNS0_19identity_decomposerEEEEE10hipError_tT0_T1_T2_jT3_P12ihipStream_tbPNSt15iterator_traitsISE_E10value_typeEPNSK_ISF_E10value_typeEPSG_NS1_7vsmem_tEENKUlT_SE_SF_SG_E_clIS8_S8_S9_S9_EESD_ST_SE_SF_SG_EUlST_E0_NS1_11comp_targetILNS1_3genE9ELNS1_11target_archE1100ELNS1_3gpuE3ELNS1_3repE0EEENS1_38merge_mergepath_config_static_selectorELNS0_4arch9wavefront6targetE1EEEvSF_,comdat
.Lfunc_end2356:
	.size	_ZN7rocprim17ROCPRIM_400000_NS6detail17trampoline_kernelINS0_14default_configENS1_38merge_sort_block_merge_config_selectorIxNS0_10empty_typeEEEZZNS1_27merge_sort_block_merge_implIS3_PxPS5_jNS1_19radix_merge_compareILb1ELb1ExNS0_19identity_decomposerEEEEE10hipError_tT0_T1_T2_jT3_P12ihipStream_tbPNSt15iterator_traitsISE_E10value_typeEPNSK_ISF_E10value_typeEPSG_NS1_7vsmem_tEENKUlT_SE_SF_SG_E_clIS8_S8_S9_S9_EESD_ST_SE_SF_SG_EUlST_E0_NS1_11comp_targetILNS1_3genE9ELNS1_11target_archE1100ELNS1_3gpuE3ELNS1_3repE0EEENS1_38merge_mergepath_config_static_selectorELNS0_4arch9wavefront6targetE1EEEvSF_, .Lfunc_end2356-_ZN7rocprim17ROCPRIM_400000_NS6detail17trampoline_kernelINS0_14default_configENS1_38merge_sort_block_merge_config_selectorIxNS0_10empty_typeEEEZZNS1_27merge_sort_block_merge_implIS3_PxPS5_jNS1_19radix_merge_compareILb1ELb1ExNS0_19identity_decomposerEEEEE10hipError_tT0_T1_T2_jT3_P12ihipStream_tbPNSt15iterator_traitsISE_E10value_typeEPNSK_ISF_E10value_typeEPSG_NS1_7vsmem_tEENKUlT_SE_SF_SG_E_clIS8_S8_S9_S9_EESD_ST_SE_SF_SG_EUlST_E0_NS1_11comp_targetILNS1_3genE9ELNS1_11target_archE1100ELNS1_3gpuE3ELNS1_3repE0EEENS1_38merge_mergepath_config_static_selectorELNS0_4arch9wavefront6targetE1EEEvSF_
                                        ; -- End function
	.section	.AMDGPU.csdata,"",@progbits
; Kernel info:
; codeLenInByte = 0
; NumSgprs: 4
; NumVgprs: 0
; NumAgprs: 0
; TotalNumVgprs: 0
; ScratchSize: 0
; MemoryBound: 0
; FloatMode: 240
; IeeeMode: 1
; LDSByteSize: 0 bytes/workgroup (compile time only)
; SGPRBlocks: 0
; VGPRBlocks: 0
; NumSGPRsForWavesPerEU: 4
; NumVGPRsForWavesPerEU: 1
; AccumOffset: 4
; Occupancy: 8
; WaveLimiterHint : 0
; COMPUTE_PGM_RSRC2:SCRATCH_EN: 0
; COMPUTE_PGM_RSRC2:USER_SGPR: 6
; COMPUTE_PGM_RSRC2:TRAP_HANDLER: 0
; COMPUTE_PGM_RSRC2:TGID_X_EN: 1
; COMPUTE_PGM_RSRC2:TGID_Y_EN: 0
; COMPUTE_PGM_RSRC2:TGID_Z_EN: 0
; COMPUTE_PGM_RSRC2:TIDIG_COMP_CNT: 0
; COMPUTE_PGM_RSRC3_GFX90A:ACCUM_OFFSET: 0
; COMPUTE_PGM_RSRC3_GFX90A:TG_SPLIT: 0
	.section	.text._ZN7rocprim17ROCPRIM_400000_NS6detail17trampoline_kernelINS0_14default_configENS1_38merge_sort_block_merge_config_selectorIxNS0_10empty_typeEEEZZNS1_27merge_sort_block_merge_implIS3_PxPS5_jNS1_19radix_merge_compareILb1ELb1ExNS0_19identity_decomposerEEEEE10hipError_tT0_T1_T2_jT3_P12ihipStream_tbPNSt15iterator_traitsISE_E10value_typeEPNSK_ISF_E10value_typeEPSG_NS1_7vsmem_tEENKUlT_SE_SF_SG_E_clIS8_S8_S9_S9_EESD_ST_SE_SF_SG_EUlST_E0_NS1_11comp_targetILNS1_3genE8ELNS1_11target_archE1030ELNS1_3gpuE2ELNS1_3repE0EEENS1_38merge_mergepath_config_static_selectorELNS0_4arch9wavefront6targetE1EEEvSF_,"axG",@progbits,_ZN7rocprim17ROCPRIM_400000_NS6detail17trampoline_kernelINS0_14default_configENS1_38merge_sort_block_merge_config_selectorIxNS0_10empty_typeEEEZZNS1_27merge_sort_block_merge_implIS3_PxPS5_jNS1_19radix_merge_compareILb1ELb1ExNS0_19identity_decomposerEEEEE10hipError_tT0_T1_T2_jT3_P12ihipStream_tbPNSt15iterator_traitsISE_E10value_typeEPNSK_ISF_E10value_typeEPSG_NS1_7vsmem_tEENKUlT_SE_SF_SG_E_clIS8_S8_S9_S9_EESD_ST_SE_SF_SG_EUlST_E0_NS1_11comp_targetILNS1_3genE8ELNS1_11target_archE1030ELNS1_3gpuE2ELNS1_3repE0EEENS1_38merge_mergepath_config_static_selectorELNS0_4arch9wavefront6targetE1EEEvSF_,comdat
	.protected	_ZN7rocprim17ROCPRIM_400000_NS6detail17trampoline_kernelINS0_14default_configENS1_38merge_sort_block_merge_config_selectorIxNS0_10empty_typeEEEZZNS1_27merge_sort_block_merge_implIS3_PxPS5_jNS1_19radix_merge_compareILb1ELb1ExNS0_19identity_decomposerEEEEE10hipError_tT0_T1_T2_jT3_P12ihipStream_tbPNSt15iterator_traitsISE_E10value_typeEPNSK_ISF_E10value_typeEPSG_NS1_7vsmem_tEENKUlT_SE_SF_SG_E_clIS8_S8_S9_S9_EESD_ST_SE_SF_SG_EUlST_E0_NS1_11comp_targetILNS1_3genE8ELNS1_11target_archE1030ELNS1_3gpuE2ELNS1_3repE0EEENS1_38merge_mergepath_config_static_selectorELNS0_4arch9wavefront6targetE1EEEvSF_ ; -- Begin function _ZN7rocprim17ROCPRIM_400000_NS6detail17trampoline_kernelINS0_14default_configENS1_38merge_sort_block_merge_config_selectorIxNS0_10empty_typeEEEZZNS1_27merge_sort_block_merge_implIS3_PxPS5_jNS1_19radix_merge_compareILb1ELb1ExNS0_19identity_decomposerEEEEE10hipError_tT0_T1_T2_jT3_P12ihipStream_tbPNSt15iterator_traitsISE_E10value_typeEPNSK_ISF_E10value_typeEPSG_NS1_7vsmem_tEENKUlT_SE_SF_SG_E_clIS8_S8_S9_S9_EESD_ST_SE_SF_SG_EUlST_E0_NS1_11comp_targetILNS1_3genE8ELNS1_11target_archE1030ELNS1_3gpuE2ELNS1_3repE0EEENS1_38merge_mergepath_config_static_selectorELNS0_4arch9wavefront6targetE1EEEvSF_
	.globl	_ZN7rocprim17ROCPRIM_400000_NS6detail17trampoline_kernelINS0_14default_configENS1_38merge_sort_block_merge_config_selectorIxNS0_10empty_typeEEEZZNS1_27merge_sort_block_merge_implIS3_PxPS5_jNS1_19radix_merge_compareILb1ELb1ExNS0_19identity_decomposerEEEEE10hipError_tT0_T1_T2_jT3_P12ihipStream_tbPNSt15iterator_traitsISE_E10value_typeEPNSK_ISF_E10value_typeEPSG_NS1_7vsmem_tEENKUlT_SE_SF_SG_E_clIS8_S8_S9_S9_EESD_ST_SE_SF_SG_EUlST_E0_NS1_11comp_targetILNS1_3genE8ELNS1_11target_archE1030ELNS1_3gpuE2ELNS1_3repE0EEENS1_38merge_mergepath_config_static_selectorELNS0_4arch9wavefront6targetE1EEEvSF_
	.p2align	8
	.type	_ZN7rocprim17ROCPRIM_400000_NS6detail17trampoline_kernelINS0_14default_configENS1_38merge_sort_block_merge_config_selectorIxNS0_10empty_typeEEEZZNS1_27merge_sort_block_merge_implIS3_PxPS5_jNS1_19radix_merge_compareILb1ELb1ExNS0_19identity_decomposerEEEEE10hipError_tT0_T1_T2_jT3_P12ihipStream_tbPNSt15iterator_traitsISE_E10value_typeEPNSK_ISF_E10value_typeEPSG_NS1_7vsmem_tEENKUlT_SE_SF_SG_E_clIS8_S8_S9_S9_EESD_ST_SE_SF_SG_EUlST_E0_NS1_11comp_targetILNS1_3genE8ELNS1_11target_archE1030ELNS1_3gpuE2ELNS1_3repE0EEENS1_38merge_mergepath_config_static_selectorELNS0_4arch9wavefront6targetE1EEEvSF_,@function
_ZN7rocprim17ROCPRIM_400000_NS6detail17trampoline_kernelINS0_14default_configENS1_38merge_sort_block_merge_config_selectorIxNS0_10empty_typeEEEZZNS1_27merge_sort_block_merge_implIS3_PxPS5_jNS1_19radix_merge_compareILb1ELb1ExNS0_19identity_decomposerEEEEE10hipError_tT0_T1_T2_jT3_P12ihipStream_tbPNSt15iterator_traitsISE_E10value_typeEPNSK_ISF_E10value_typeEPSG_NS1_7vsmem_tEENKUlT_SE_SF_SG_E_clIS8_S8_S9_S9_EESD_ST_SE_SF_SG_EUlST_E0_NS1_11comp_targetILNS1_3genE8ELNS1_11target_archE1030ELNS1_3gpuE2ELNS1_3repE0EEENS1_38merge_mergepath_config_static_selectorELNS0_4arch9wavefront6targetE1EEEvSF_: ; @_ZN7rocprim17ROCPRIM_400000_NS6detail17trampoline_kernelINS0_14default_configENS1_38merge_sort_block_merge_config_selectorIxNS0_10empty_typeEEEZZNS1_27merge_sort_block_merge_implIS3_PxPS5_jNS1_19radix_merge_compareILb1ELb1ExNS0_19identity_decomposerEEEEE10hipError_tT0_T1_T2_jT3_P12ihipStream_tbPNSt15iterator_traitsISE_E10value_typeEPNSK_ISF_E10value_typeEPSG_NS1_7vsmem_tEENKUlT_SE_SF_SG_E_clIS8_S8_S9_S9_EESD_ST_SE_SF_SG_EUlST_E0_NS1_11comp_targetILNS1_3genE8ELNS1_11target_archE1030ELNS1_3gpuE2ELNS1_3repE0EEENS1_38merge_mergepath_config_static_selectorELNS0_4arch9wavefront6targetE1EEEvSF_
; %bb.0:
	.section	.rodata,"a",@progbits
	.p2align	6, 0x0
	.amdhsa_kernel _ZN7rocprim17ROCPRIM_400000_NS6detail17trampoline_kernelINS0_14default_configENS1_38merge_sort_block_merge_config_selectorIxNS0_10empty_typeEEEZZNS1_27merge_sort_block_merge_implIS3_PxPS5_jNS1_19radix_merge_compareILb1ELb1ExNS0_19identity_decomposerEEEEE10hipError_tT0_T1_T2_jT3_P12ihipStream_tbPNSt15iterator_traitsISE_E10value_typeEPNSK_ISF_E10value_typeEPSG_NS1_7vsmem_tEENKUlT_SE_SF_SG_E_clIS8_S8_S9_S9_EESD_ST_SE_SF_SG_EUlST_E0_NS1_11comp_targetILNS1_3genE8ELNS1_11target_archE1030ELNS1_3gpuE2ELNS1_3repE0EEENS1_38merge_mergepath_config_static_selectorELNS0_4arch9wavefront6targetE1EEEvSF_
		.amdhsa_group_segment_fixed_size 0
		.amdhsa_private_segment_fixed_size 0
		.amdhsa_kernarg_size 72
		.amdhsa_user_sgpr_count 6
		.amdhsa_user_sgpr_private_segment_buffer 1
		.amdhsa_user_sgpr_dispatch_ptr 0
		.amdhsa_user_sgpr_queue_ptr 0
		.amdhsa_user_sgpr_kernarg_segment_ptr 1
		.amdhsa_user_sgpr_dispatch_id 0
		.amdhsa_user_sgpr_flat_scratch_init 0
		.amdhsa_user_sgpr_kernarg_preload_length 0
		.amdhsa_user_sgpr_kernarg_preload_offset 0
		.amdhsa_user_sgpr_private_segment_size 0
		.amdhsa_uses_dynamic_stack 0
		.amdhsa_system_sgpr_private_segment_wavefront_offset 0
		.amdhsa_system_sgpr_workgroup_id_x 1
		.amdhsa_system_sgpr_workgroup_id_y 0
		.amdhsa_system_sgpr_workgroup_id_z 0
		.amdhsa_system_sgpr_workgroup_info 0
		.amdhsa_system_vgpr_workitem_id 0
		.amdhsa_next_free_vgpr 1
		.amdhsa_next_free_sgpr 0
		.amdhsa_accum_offset 4
		.amdhsa_reserve_vcc 0
		.amdhsa_reserve_flat_scratch 0
		.amdhsa_float_round_mode_32 0
		.amdhsa_float_round_mode_16_64 0
		.amdhsa_float_denorm_mode_32 3
		.amdhsa_float_denorm_mode_16_64 3
		.amdhsa_dx10_clamp 1
		.amdhsa_ieee_mode 1
		.amdhsa_fp16_overflow 0
		.amdhsa_tg_split 0
		.amdhsa_exception_fp_ieee_invalid_op 0
		.amdhsa_exception_fp_denorm_src 0
		.amdhsa_exception_fp_ieee_div_zero 0
		.amdhsa_exception_fp_ieee_overflow 0
		.amdhsa_exception_fp_ieee_underflow 0
		.amdhsa_exception_fp_ieee_inexact 0
		.amdhsa_exception_int_div_zero 0
	.end_amdhsa_kernel
	.section	.text._ZN7rocprim17ROCPRIM_400000_NS6detail17trampoline_kernelINS0_14default_configENS1_38merge_sort_block_merge_config_selectorIxNS0_10empty_typeEEEZZNS1_27merge_sort_block_merge_implIS3_PxPS5_jNS1_19radix_merge_compareILb1ELb1ExNS0_19identity_decomposerEEEEE10hipError_tT0_T1_T2_jT3_P12ihipStream_tbPNSt15iterator_traitsISE_E10value_typeEPNSK_ISF_E10value_typeEPSG_NS1_7vsmem_tEENKUlT_SE_SF_SG_E_clIS8_S8_S9_S9_EESD_ST_SE_SF_SG_EUlST_E0_NS1_11comp_targetILNS1_3genE8ELNS1_11target_archE1030ELNS1_3gpuE2ELNS1_3repE0EEENS1_38merge_mergepath_config_static_selectorELNS0_4arch9wavefront6targetE1EEEvSF_,"axG",@progbits,_ZN7rocprim17ROCPRIM_400000_NS6detail17trampoline_kernelINS0_14default_configENS1_38merge_sort_block_merge_config_selectorIxNS0_10empty_typeEEEZZNS1_27merge_sort_block_merge_implIS3_PxPS5_jNS1_19radix_merge_compareILb1ELb1ExNS0_19identity_decomposerEEEEE10hipError_tT0_T1_T2_jT3_P12ihipStream_tbPNSt15iterator_traitsISE_E10value_typeEPNSK_ISF_E10value_typeEPSG_NS1_7vsmem_tEENKUlT_SE_SF_SG_E_clIS8_S8_S9_S9_EESD_ST_SE_SF_SG_EUlST_E0_NS1_11comp_targetILNS1_3genE8ELNS1_11target_archE1030ELNS1_3gpuE2ELNS1_3repE0EEENS1_38merge_mergepath_config_static_selectorELNS0_4arch9wavefront6targetE1EEEvSF_,comdat
.Lfunc_end2357:
	.size	_ZN7rocprim17ROCPRIM_400000_NS6detail17trampoline_kernelINS0_14default_configENS1_38merge_sort_block_merge_config_selectorIxNS0_10empty_typeEEEZZNS1_27merge_sort_block_merge_implIS3_PxPS5_jNS1_19radix_merge_compareILb1ELb1ExNS0_19identity_decomposerEEEEE10hipError_tT0_T1_T2_jT3_P12ihipStream_tbPNSt15iterator_traitsISE_E10value_typeEPNSK_ISF_E10value_typeEPSG_NS1_7vsmem_tEENKUlT_SE_SF_SG_E_clIS8_S8_S9_S9_EESD_ST_SE_SF_SG_EUlST_E0_NS1_11comp_targetILNS1_3genE8ELNS1_11target_archE1030ELNS1_3gpuE2ELNS1_3repE0EEENS1_38merge_mergepath_config_static_selectorELNS0_4arch9wavefront6targetE1EEEvSF_, .Lfunc_end2357-_ZN7rocprim17ROCPRIM_400000_NS6detail17trampoline_kernelINS0_14default_configENS1_38merge_sort_block_merge_config_selectorIxNS0_10empty_typeEEEZZNS1_27merge_sort_block_merge_implIS3_PxPS5_jNS1_19radix_merge_compareILb1ELb1ExNS0_19identity_decomposerEEEEE10hipError_tT0_T1_T2_jT3_P12ihipStream_tbPNSt15iterator_traitsISE_E10value_typeEPNSK_ISF_E10value_typeEPSG_NS1_7vsmem_tEENKUlT_SE_SF_SG_E_clIS8_S8_S9_S9_EESD_ST_SE_SF_SG_EUlST_E0_NS1_11comp_targetILNS1_3genE8ELNS1_11target_archE1030ELNS1_3gpuE2ELNS1_3repE0EEENS1_38merge_mergepath_config_static_selectorELNS0_4arch9wavefront6targetE1EEEvSF_
                                        ; -- End function
	.section	.AMDGPU.csdata,"",@progbits
; Kernel info:
; codeLenInByte = 0
; NumSgprs: 4
; NumVgprs: 0
; NumAgprs: 0
; TotalNumVgprs: 0
; ScratchSize: 0
; MemoryBound: 0
; FloatMode: 240
; IeeeMode: 1
; LDSByteSize: 0 bytes/workgroup (compile time only)
; SGPRBlocks: 0
; VGPRBlocks: 0
; NumSGPRsForWavesPerEU: 4
; NumVGPRsForWavesPerEU: 1
; AccumOffset: 4
; Occupancy: 8
; WaveLimiterHint : 0
; COMPUTE_PGM_RSRC2:SCRATCH_EN: 0
; COMPUTE_PGM_RSRC2:USER_SGPR: 6
; COMPUTE_PGM_RSRC2:TRAP_HANDLER: 0
; COMPUTE_PGM_RSRC2:TGID_X_EN: 1
; COMPUTE_PGM_RSRC2:TGID_Y_EN: 0
; COMPUTE_PGM_RSRC2:TGID_Z_EN: 0
; COMPUTE_PGM_RSRC2:TIDIG_COMP_CNT: 0
; COMPUTE_PGM_RSRC3_GFX90A:ACCUM_OFFSET: 0
; COMPUTE_PGM_RSRC3_GFX90A:TG_SPLIT: 0
	.section	.text._ZN7rocprim17ROCPRIM_400000_NS6detail17trampoline_kernelINS0_14default_configENS1_38merge_sort_block_merge_config_selectorIxNS0_10empty_typeEEEZZNS1_27merge_sort_block_merge_implIS3_PxPS5_jNS1_19radix_merge_compareILb1ELb1ExNS0_19identity_decomposerEEEEE10hipError_tT0_T1_T2_jT3_P12ihipStream_tbPNSt15iterator_traitsISE_E10value_typeEPNSK_ISF_E10value_typeEPSG_NS1_7vsmem_tEENKUlT_SE_SF_SG_E_clIS8_S8_S9_S9_EESD_ST_SE_SF_SG_EUlST_E1_NS1_11comp_targetILNS1_3genE0ELNS1_11target_archE4294967295ELNS1_3gpuE0ELNS1_3repE0EEENS1_36merge_oddeven_config_static_selectorELNS0_4arch9wavefront6targetE1EEEvSF_,"axG",@progbits,_ZN7rocprim17ROCPRIM_400000_NS6detail17trampoline_kernelINS0_14default_configENS1_38merge_sort_block_merge_config_selectorIxNS0_10empty_typeEEEZZNS1_27merge_sort_block_merge_implIS3_PxPS5_jNS1_19radix_merge_compareILb1ELb1ExNS0_19identity_decomposerEEEEE10hipError_tT0_T1_T2_jT3_P12ihipStream_tbPNSt15iterator_traitsISE_E10value_typeEPNSK_ISF_E10value_typeEPSG_NS1_7vsmem_tEENKUlT_SE_SF_SG_E_clIS8_S8_S9_S9_EESD_ST_SE_SF_SG_EUlST_E1_NS1_11comp_targetILNS1_3genE0ELNS1_11target_archE4294967295ELNS1_3gpuE0ELNS1_3repE0EEENS1_36merge_oddeven_config_static_selectorELNS0_4arch9wavefront6targetE1EEEvSF_,comdat
	.protected	_ZN7rocprim17ROCPRIM_400000_NS6detail17trampoline_kernelINS0_14default_configENS1_38merge_sort_block_merge_config_selectorIxNS0_10empty_typeEEEZZNS1_27merge_sort_block_merge_implIS3_PxPS5_jNS1_19radix_merge_compareILb1ELb1ExNS0_19identity_decomposerEEEEE10hipError_tT0_T1_T2_jT3_P12ihipStream_tbPNSt15iterator_traitsISE_E10value_typeEPNSK_ISF_E10value_typeEPSG_NS1_7vsmem_tEENKUlT_SE_SF_SG_E_clIS8_S8_S9_S9_EESD_ST_SE_SF_SG_EUlST_E1_NS1_11comp_targetILNS1_3genE0ELNS1_11target_archE4294967295ELNS1_3gpuE0ELNS1_3repE0EEENS1_36merge_oddeven_config_static_selectorELNS0_4arch9wavefront6targetE1EEEvSF_ ; -- Begin function _ZN7rocprim17ROCPRIM_400000_NS6detail17trampoline_kernelINS0_14default_configENS1_38merge_sort_block_merge_config_selectorIxNS0_10empty_typeEEEZZNS1_27merge_sort_block_merge_implIS3_PxPS5_jNS1_19radix_merge_compareILb1ELb1ExNS0_19identity_decomposerEEEEE10hipError_tT0_T1_T2_jT3_P12ihipStream_tbPNSt15iterator_traitsISE_E10value_typeEPNSK_ISF_E10value_typeEPSG_NS1_7vsmem_tEENKUlT_SE_SF_SG_E_clIS8_S8_S9_S9_EESD_ST_SE_SF_SG_EUlST_E1_NS1_11comp_targetILNS1_3genE0ELNS1_11target_archE4294967295ELNS1_3gpuE0ELNS1_3repE0EEENS1_36merge_oddeven_config_static_selectorELNS0_4arch9wavefront6targetE1EEEvSF_
	.globl	_ZN7rocprim17ROCPRIM_400000_NS6detail17trampoline_kernelINS0_14default_configENS1_38merge_sort_block_merge_config_selectorIxNS0_10empty_typeEEEZZNS1_27merge_sort_block_merge_implIS3_PxPS5_jNS1_19radix_merge_compareILb1ELb1ExNS0_19identity_decomposerEEEEE10hipError_tT0_T1_T2_jT3_P12ihipStream_tbPNSt15iterator_traitsISE_E10value_typeEPNSK_ISF_E10value_typeEPSG_NS1_7vsmem_tEENKUlT_SE_SF_SG_E_clIS8_S8_S9_S9_EESD_ST_SE_SF_SG_EUlST_E1_NS1_11comp_targetILNS1_3genE0ELNS1_11target_archE4294967295ELNS1_3gpuE0ELNS1_3repE0EEENS1_36merge_oddeven_config_static_selectorELNS0_4arch9wavefront6targetE1EEEvSF_
	.p2align	8
	.type	_ZN7rocprim17ROCPRIM_400000_NS6detail17trampoline_kernelINS0_14default_configENS1_38merge_sort_block_merge_config_selectorIxNS0_10empty_typeEEEZZNS1_27merge_sort_block_merge_implIS3_PxPS5_jNS1_19radix_merge_compareILb1ELb1ExNS0_19identity_decomposerEEEEE10hipError_tT0_T1_T2_jT3_P12ihipStream_tbPNSt15iterator_traitsISE_E10value_typeEPNSK_ISF_E10value_typeEPSG_NS1_7vsmem_tEENKUlT_SE_SF_SG_E_clIS8_S8_S9_S9_EESD_ST_SE_SF_SG_EUlST_E1_NS1_11comp_targetILNS1_3genE0ELNS1_11target_archE4294967295ELNS1_3gpuE0ELNS1_3repE0EEENS1_36merge_oddeven_config_static_selectorELNS0_4arch9wavefront6targetE1EEEvSF_,@function
_ZN7rocprim17ROCPRIM_400000_NS6detail17trampoline_kernelINS0_14default_configENS1_38merge_sort_block_merge_config_selectorIxNS0_10empty_typeEEEZZNS1_27merge_sort_block_merge_implIS3_PxPS5_jNS1_19radix_merge_compareILb1ELb1ExNS0_19identity_decomposerEEEEE10hipError_tT0_T1_T2_jT3_P12ihipStream_tbPNSt15iterator_traitsISE_E10value_typeEPNSK_ISF_E10value_typeEPSG_NS1_7vsmem_tEENKUlT_SE_SF_SG_E_clIS8_S8_S9_S9_EESD_ST_SE_SF_SG_EUlST_E1_NS1_11comp_targetILNS1_3genE0ELNS1_11target_archE4294967295ELNS1_3gpuE0ELNS1_3repE0EEENS1_36merge_oddeven_config_static_selectorELNS0_4arch9wavefront6targetE1EEEvSF_: ; @_ZN7rocprim17ROCPRIM_400000_NS6detail17trampoline_kernelINS0_14default_configENS1_38merge_sort_block_merge_config_selectorIxNS0_10empty_typeEEEZZNS1_27merge_sort_block_merge_implIS3_PxPS5_jNS1_19radix_merge_compareILb1ELb1ExNS0_19identity_decomposerEEEEE10hipError_tT0_T1_T2_jT3_P12ihipStream_tbPNSt15iterator_traitsISE_E10value_typeEPNSK_ISF_E10value_typeEPSG_NS1_7vsmem_tEENKUlT_SE_SF_SG_E_clIS8_S8_S9_S9_EESD_ST_SE_SF_SG_EUlST_E1_NS1_11comp_targetILNS1_3genE0ELNS1_11target_archE4294967295ELNS1_3gpuE0ELNS1_3repE0EEENS1_36merge_oddeven_config_static_selectorELNS0_4arch9wavefront6targetE1EEEvSF_
; %bb.0:
	.section	.rodata,"a",@progbits
	.p2align	6, 0x0
	.amdhsa_kernel _ZN7rocprim17ROCPRIM_400000_NS6detail17trampoline_kernelINS0_14default_configENS1_38merge_sort_block_merge_config_selectorIxNS0_10empty_typeEEEZZNS1_27merge_sort_block_merge_implIS3_PxPS5_jNS1_19radix_merge_compareILb1ELb1ExNS0_19identity_decomposerEEEEE10hipError_tT0_T1_T2_jT3_P12ihipStream_tbPNSt15iterator_traitsISE_E10value_typeEPNSK_ISF_E10value_typeEPSG_NS1_7vsmem_tEENKUlT_SE_SF_SG_E_clIS8_S8_S9_S9_EESD_ST_SE_SF_SG_EUlST_E1_NS1_11comp_targetILNS1_3genE0ELNS1_11target_archE4294967295ELNS1_3gpuE0ELNS1_3repE0EEENS1_36merge_oddeven_config_static_selectorELNS0_4arch9wavefront6targetE1EEEvSF_
		.amdhsa_group_segment_fixed_size 0
		.amdhsa_private_segment_fixed_size 0
		.amdhsa_kernarg_size 48
		.amdhsa_user_sgpr_count 6
		.amdhsa_user_sgpr_private_segment_buffer 1
		.amdhsa_user_sgpr_dispatch_ptr 0
		.amdhsa_user_sgpr_queue_ptr 0
		.amdhsa_user_sgpr_kernarg_segment_ptr 1
		.amdhsa_user_sgpr_dispatch_id 0
		.amdhsa_user_sgpr_flat_scratch_init 0
		.amdhsa_user_sgpr_kernarg_preload_length 0
		.amdhsa_user_sgpr_kernarg_preload_offset 0
		.amdhsa_user_sgpr_private_segment_size 0
		.amdhsa_uses_dynamic_stack 0
		.amdhsa_system_sgpr_private_segment_wavefront_offset 0
		.amdhsa_system_sgpr_workgroup_id_x 1
		.amdhsa_system_sgpr_workgroup_id_y 0
		.amdhsa_system_sgpr_workgroup_id_z 0
		.amdhsa_system_sgpr_workgroup_info 0
		.amdhsa_system_vgpr_workitem_id 0
		.amdhsa_next_free_vgpr 1
		.amdhsa_next_free_sgpr 0
		.amdhsa_accum_offset 4
		.amdhsa_reserve_vcc 0
		.amdhsa_reserve_flat_scratch 0
		.amdhsa_float_round_mode_32 0
		.amdhsa_float_round_mode_16_64 0
		.amdhsa_float_denorm_mode_32 3
		.amdhsa_float_denorm_mode_16_64 3
		.amdhsa_dx10_clamp 1
		.amdhsa_ieee_mode 1
		.amdhsa_fp16_overflow 0
		.amdhsa_tg_split 0
		.amdhsa_exception_fp_ieee_invalid_op 0
		.amdhsa_exception_fp_denorm_src 0
		.amdhsa_exception_fp_ieee_div_zero 0
		.amdhsa_exception_fp_ieee_overflow 0
		.amdhsa_exception_fp_ieee_underflow 0
		.amdhsa_exception_fp_ieee_inexact 0
		.amdhsa_exception_int_div_zero 0
	.end_amdhsa_kernel
	.section	.text._ZN7rocprim17ROCPRIM_400000_NS6detail17trampoline_kernelINS0_14default_configENS1_38merge_sort_block_merge_config_selectorIxNS0_10empty_typeEEEZZNS1_27merge_sort_block_merge_implIS3_PxPS5_jNS1_19radix_merge_compareILb1ELb1ExNS0_19identity_decomposerEEEEE10hipError_tT0_T1_T2_jT3_P12ihipStream_tbPNSt15iterator_traitsISE_E10value_typeEPNSK_ISF_E10value_typeEPSG_NS1_7vsmem_tEENKUlT_SE_SF_SG_E_clIS8_S8_S9_S9_EESD_ST_SE_SF_SG_EUlST_E1_NS1_11comp_targetILNS1_3genE0ELNS1_11target_archE4294967295ELNS1_3gpuE0ELNS1_3repE0EEENS1_36merge_oddeven_config_static_selectorELNS0_4arch9wavefront6targetE1EEEvSF_,"axG",@progbits,_ZN7rocprim17ROCPRIM_400000_NS6detail17trampoline_kernelINS0_14default_configENS1_38merge_sort_block_merge_config_selectorIxNS0_10empty_typeEEEZZNS1_27merge_sort_block_merge_implIS3_PxPS5_jNS1_19radix_merge_compareILb1ELb1ExNS0_19identity_decomposerEEEEE10hipError_tT0_T1_T2_jT3_P12ihipStream_tbPNSt15iterator_traitsISE_E10value_typeEPNSK_ISF_E10value_typeEPSG_NS1_7vsmem_tEENKUlT_SE_SF_SG_E_clIS8_S8_S9_S9_EESD_ST_SE_SF_SG_EUlST_E1_NS1_11comp_targetILNS1_3genE0ELNS1_11target_archE4294967295ELNS1_3gpuE0ELNS1_3repE0EEENS1_36merge_oddeven_config_static_selectorELNS0_4arch9wavefront6targetE1EEEvSF_,comdat
.Lfunc_end2358:
	.size	_ZN7rocprim17ROCPRIM_400000_NS6detail17trampoline_kernelINS0_14default_configENS1_38merge_sort_block_merge_config_selectorIxNS0_10empty_typeEEEZZNS1_27merge_sort_block_merge_implIS3_PxPS5_jNS1_19radix_merge_compareILb1ELb1ExNS0_19identity_decomposerEEEEE10hipError_tT0_T1_T2_jT3_P12ihipStream_tbPNSt15iterator_traitsISE_E10value_typeEPNSK_ISF_E10value_typeEPSG_NS1_7vsmem_tEENKUlT_SE_SF_SG_E_clIS8_S8_S9_S9_EESD_ST_SE_SF_SG_EUlST_E1_NS1_11comp_targetILNS1_3genE0ELNS1_11target_archE4294967295ELNS1_3gpuE0ELNS1_3repE0EEENS1_36merge_oddeven_config_static_selectorELNS0_4arch9wavefront6targetE1EEEvSF_, .Lfunc_end2358-_ZN7rocprim17ROCPRIM_400000_NS6detail17trampoline_kernelINS0_14default_configENS1_38merge_sort_block_merge_config_selectorIxNS0_10empty_typeEEEZZNS1_27merge_sort_block_merge_implIS3_PxPS5_jNS1_19radix_merge_compareILb1ELb1ExNS0_19identity_decomposerEEEEE10hipError_tT0_T1_T2_jT3_P12ihipStream_tbPNSt15iterator_traitsISE_E10value_typeEPNSK_ISF_E10value_typeEPSG_NS1_7vsmem_tEENKUlT_SE_SF_SG_E_clIS8_S8_S9_S9_EESD_ST_SE_SF_SG_EUlST_E1_NS1_11comp_targetILNS1_3genE0ELNS1_11target_archE4294967295ELNS1_3gpuE0ELNS1_3repE0EEENS1_36merge_oddeven_config_static_selectorELNS0_4arch9wavefront6targetE1EEEvSF_
                                        ; -- End function
	.section	.AMDGPU.csdata,"",@progbits
; Kernel info:
; codeLenInByte = 0
; NumSgprs: 4
; NumVgprs: 0
; NumAgprs: 0
; TotalNumVgprs: 0
; ScratchSize: 0
; MemoryBound: 0
; FloatMode: 240
; IeeeMode: 1
; LDSByteSize: 0 bytes/workgroup (compile time only)
; SGPRBlocks: 0
; VGPRBlocks: 0
; NumSGPRsForWavesPerEU: 4
; NumVGPRsForWavesPerEU: 1
; AccumOffset: 4
; Occupancy: 8
; WaveLimiterHint : 0
; COMPUTE_PGM_RSRC2:SCRATCH_EN: 0
; COMPUTE_PGM_RSRC2:USER_SGPR: 6
; COMPUTE_PGM_RSRC2:TRAP_HANDLER: 0
; COMPUTE_PGM_RSRC2:TGID_X_EN: 1
; COMPUTE_PGM_RSRC2:TGID_Y_EN: 0
; COMPUTE_PGM_RSRC2:TGID_Z_EN: 0
; COMPUTE_PGM_RSRC2:TIDIG_COMP_CNT: 0
; COMPUTE_PGM_RSRC3_GFX90A:ACCUM_OFFSET: 0
; COMPUTE_PGM_RSRC3_GFX90A:TG_SPLIT: 0
	.section	.text._ZN7rocprim17ROCPRIM_400000_NS6detail17trampoline_kernelINS0_14default_configENS1_38merge_sort_block_merge_config_selectorIxNS0_10empty_typeEEEZZNS1_27merge_sort_block_merge_implIS3_PxPS5_jNS1_19radix_merge_compareILb1ELb1ExNS0_19identity_decomposerEEEEE10hipError_tT0_T1_T2_jT3_P12ihipStream_tbPNSt15iterator_traitsISE_E10value_typeEPNSK_ISF_E10value_typeEPSG_NS1_7vsmem_tEENKUlT_SE_SF_SG_E_clIS8_S8_S9_S9_EESD_ST_SE_SF_SG_EUlST_E1_NS1_11comp_targetILNS1_3genE10ELNS1_11target_archE1201ELNS1_3gpuE5ELNS1_3repE0EEENS1_36merge_oddeven_config_static_selectorELNS0_4arch9wavefront6targetE1EEEvSF_,"axG",@progbits,_ZN7rocprim17ROCPRIM_400000_NS6detail17trampoline_kernelINS0_14default_configENS1_38merge_sort_block_merge_config_selectorIxNS0_10empty_typeEEEZZNS1_27merge_sort_block_merge_implIS3_PxPS5_jNS1_19radix_merge_compareILb1ELb1ExNS0_19identity_decomposerEEEEE10hipError_tT0_T1_T2_jT3_P12ihipStream_tbPNSt15iterator_traitsISE_E10value_typeEPNSK_ISF_E10value_typeEPSG_NS1_7vsmem_tEENKUlT_SE_SF_SG_E_clIS8_S8_S9_S9_EESD_ST_SE_SF_SG_EUlST_E1_NS1_11comp_targetILNS1_3genE10ELNS1_11target_archE1201ELNS1_3gpuE5ELNS1_3repE0EEENS1_36merge_oddeven_config_static_selectorELNS0_4arch9wavefront6targetE1EEEvSF_,comdat
	.protected	_ZN7rocprim17ROCPRIM_400000_NS6detail17trampoline_kernelINS0_14default_configENS1_38merge_sort_block_merge_config_selectorIxNS0_10empty_typeEEEZZNS1_27merge_sort_block_merge_implIS3_PxPS5_jNS1_19radix_merge_compareILb1ELb1ExNS0_19identity_decomposerEEEEE10hipError_tT0_T1_T2_jT3_P12ihipStream_tbPNSt15iterator_traitsISE_E10value_typeEPNSK_ISF_E10value_typeEPSG_NS1_7vsmem_tEENKUlT_SE_SF_SG_E_clIS8_S8_S9_S9_EESD_ST_SE_SF_SG_EUlST_E1_NS1_11comp_targetILNS1_3genE10ELNS1_11target_archE1201ELNS1_3gpuE5ELNS1_3repE0EEENS1_36merge_oddeven_config_static_selectorELNS0_4arch9wavefront6targetE1EEEvSF_ ; -- Begin function _ZN7rocprim17ROCPRIM_400000_NS6detail17trampoline_kernelINS0_14default_configENS1_38merge_sort_block_merge_config_selectorIxNS0_10empty_typeEEEZZNS1_27merge_sort_block_merge_implIS3_PxPS5_jNS1_19radix_merge_compareILb1ELb1ExNS0_19identity_decomposerEEEEE10hipError_tT0_T1_T2_jT3_P12ihipStream_tbPNSt15iterator_traitsISE_E10value_typeEPNSK_ISF_E10value_typeEPSG_NS1_7vsmem_tEENKUlT_SE_SF_SG_E_clIS8_S8_S9_S9_EESD_ST_SE_SF_SG_EUlST_E1_NS1_11comp_targetILNS1_3genE10ELNS1_11target_archE1201ELNS1_3gpuE5ELNS1_3repE0EEENS1_36merge_oddeven_config_static_selectorELNS0_4arch9wavefront6targetE1EEEvSF_
	.globl	_ZN7rocprim17ROCPRIM_400000_NS6detail17trampoline_kernelINS0_14default_configENS1_38merge_sort_block_merge_config_selectorIxNS0_10empty_typeEEEZZNS1_27merge_sort_block_merge_implIS3_PxPS5_jNS1_19radix_merge_compareILb1ELb1ExNS0_19identity_decomposerEEEEE10hipError_tT0_T1_T2_jT3_P12ihipStream_tbPNSt15iterator_traitsISE_E10value_typeEPNSK_ISF_E10value_typeEPSG_NS1_7vsmem_tEENKUlT_SE_SF_SG_E_clIS8_S8_S9_S9_EESD_ST_SE_SF_SG_EUlST_E1_NS1_11comp_targetILNS1_3genE10ELNS1_11target_archE1201ELNS1_3gpuE5ELNS1_3repE0EEENS1_36merge_oddeven_config_static_selectorELNS0_4arch9wavefront6targetE1EEEvSF_
	.p2align	8
	.type	_ZN7rocprim17ROCPRIM_400000_NS6detail17trampoline_kernelINS0_14default_configENS1_38merge_sort_block_merge_config_selectorIxNS0_10empty_typeEEEZZNS1_27merge_sort_block_merge_implIS3_PxPS5_jNS1_19radix_merge_compareILb1ELb1ExNS0_19identity_decomposerEEEEE10hipError_tT0_T1_T2_jT3_P12ihipStream_tbPNSt15iterator_traitsISE_E10value_typeEPNSK_ISF_E10value_typeEPSG_NS1_7vsmem_tEENKUlT_SE_SF_SG_E_clIS8_S8_S9_S9_EESD_ST_SE_SF_SG_EUlST_E1_NS1_11comp_targetILNS1_3genE10ELNS1_11target_archE1201ELNS1_3gpuE5ELNS1_3repE0EEENS1_36merge_oddeven_config_static_selectorELNS0_4arch9wavefront6targetE1EEEvSF_,@function
_ZN7rocprim17ROCPRIM_400000_NS6detail17trampoline_kernelINS0_14default_configENS1_38merge_sort_block_merge_config_selectorIxNS0_10empty_typeEEEZZNS1_27merge_sort_block_merge_implIS3_PxPS5_jNS1_19radix_merge_compareILb1ELb1ExNS0_19identity_decomposerEEEEE10hipError_tT0_T1_T2_jT3_P12ihipStream_tbPNSt15iterator_traitsISE_E10value_typeEPNSK_ISF_E10value_typeEPSG_NS1_7vsmem_tEENKUlT_SE_SF_SG_E_clIS8_S8_S9_S9_EESD_ST_SE_SF_SG_EUlST_E1_NS1_11comp_targetILNS1_3genE10ELNS1_11target_archE1201ELNS1_3gpuE5ELNS1_3repE0EEENS1_36merge_oddeven_config_static_selectorELNS0_4arch9wavefront6targetE1EEEvSF_: ; @_ZN7rocprim17ROCPRIM_400000_NS6detail17trampoline_kernelINS0_14default_configENS1_38merge_sort_block_merge_config_selectorIxNS0_10empty_typeEEEZZNS1_27merge_sort_block_merge_implIS3_PxPS5_jNS1_19radix_merge_compareILb1ELb1ExNS0_19identity_decomposerEEEEE10hipError_tT0_T1_T2_jT3_P12ihipStream_tbPNSt15iterator_traitsISE_E10value_typeEPNSK_ISF_E10value_typeEPSG_NS1_7vsmem_tEENKUlT_SE_SF_SG_E_clIS8_S8_S9_S9_EESD_ST_SE_SF_SG_EUlST_E1_NS1_11comp_targetILNS1_3genE10ELNS1_11target_archE1201ELNS1_3gpuE5ELNS1_3repE0EEENS1_36merge_oddeven_config_static_selectorELNS0_4arch9wavefront6targetE1EEEvSF_
; %bb.0:
	.section	.rodata,"a",@progbits
	.p2align	6, 0x0
	.amdhsa_kernel _ZN7rocprim17ROCPRIM_400000_NS6detail17trampoline_kernelINS0_14default_configENS1_38merge_sort_block_merge_config_selectorIxNS0_10empty_typeEEEZZNS1_27merge_sort_block_merge_implIS3_PxPS5_jNS1_19radix_merge_compareILb1ELb1ExNS0_19identity_decomposerEEEEE10hipError_tT0_T1_T2_jT3_P12ihipStream_tbPNSt15iterator_traitsISE_E10value_typeEPNSK_ISF_E10value_typeEPSG_NS1_7vsmem_tEENKUlT_SE_SF_SG_E_clIS8_S8_S9_S9_EESD_ST_SE_SF_SG_EUlST_E1_NS1_11comp_targetILNS1_3genE10ELNS1_11target_archE1201ELNS1_3gpuE5ELNS1_3repE0EEENS1_36merge_oddeven_config_static_selectorELNS0_4arch9wavefront6targetE1EEEvSF_
		.amdhsa_group_segment_fixed_size 0
		.amdhsa_private_segment_fixed_size 0
		.amdhsa_kernarg_size 48
		.amdhsa_user_sgpr_count 6
		.amdhsa_user_sgpr_private_segment_buffer 1
		.amdhsa_user_sgpr_dispatch_ptr 0
		.amdhsa_user_sgpr_queue_ptr 0
		.amdhsa_user_sgpr_kernarg_segment_ptr 1
		.amdhsa_user_sgpr_dispatch_id 0
		.amdhsa_user_sgpr_flat_scratch_init 0
		.amdhsa_user_sgpr_kernarg_preload_length 0
		.amdhsa_user_sgpr_kernarg_preload_offset 0
		.amdhsa_user_sgpr_private_segment_size 0
		.amdhsa_uses_dynamic_stack 0
		.amdhsa_system_sgpr_private_segment_wavefront_offset 0
		.amdhsa_system_sgpr_workgroup_id_x 1
		.amdhsa_system_sgpr_workgroup_id_y 0
		.amdhsa_system_sgpr_workgroup_id_z 0
		.amdhsa_system_sgpr_workgroup_info 0
		.amdhsa_system_vgpr_workitem_id 0
		.amdhsa_next_free_vgpr 1
		.amdhsa_next_free_sgpr 0
		.amdhsa_accum_offset 4
		.amdhsa_reserve_vcc 0
		.amdhsa_reserve_flat_scratch 0
		.amdhsa_float_round_mode_32 0
		.amdhsa_float_round_mode_16_64 0
		.amdhsa_float_denorm_mode_32 3
		.amdhsa_float_denorm_mode_16_64 3
		.amdhsa_dx10_clamp 1
		.amdhsa_ieee_mode 1
		.amdhsa_fp16_overflow 0
		.amdhsa_tg_split 0
		.amdhsa_exception_fp_ieee_invalid_op 0
		.amdhsa_exception_fp_denorm_src 0
		.amdhsa_exception_fp_ieee_div_zero 0
		.amdhsa_exception_fp_ieee_overflow 0
		.amdhsa_exception_fp_ieee_underflow 0
		.amdhsa_exception_fp_ieee_inexact 0
		.amdhsa_exception_int_div_zero 0
	.end_amdhsa_kernel
	.section	.text._ZN7rocprim17ROCPRIM_400000_NS6detail17trampoline_kernelINS0_14default_configENS1_38merge_sort_block_merge_config_selectorIxNS0_10empty_typeEEEZZNS1_27merge_sort_block_merge_implIS3_PxPS5_jNS1_19radix_merge_compareILb1ELb1ExNS0_19identity_decomposerEEEEE10hipError_tT0_T1_T2_jT3_P12ihipStream_tbPNSt15iterator_traitsISE_E10value_typeEPNSK_ISF_E10value_typeEPSG_NS1_7vsmem_tEENKUlT_SE_SF_SG_E_clIS8_S8_S9_S9_EESD_ST_SE_SF_SG_EUlST_E1_NS1_11comp_targetILNS1_3genE10ELNS1_11target_archE1201ELNS1_3gpuE5ELNS1_3repE0EEENS1_36merge_oddeven_config_static_selectorELNS0_4arch9wavefront6targetE1EEEvSF_,"axG",@progbits,_ZN7rocprim17ROCPRIM_400000_NS6detail17trampoline_kernelINS0_14default_configENS1_38merge_sort_block_merge_config_selectorIxNS0_10empty_typeEEEZZNS1_27merge_sort_block_merge_implIS3_PxPS5_jNS1_19radix_merge_compareILb1ELb1ExNS0_19identity_decomposerEEEEE10hipError_tT0_T1_T2_jT3_P12ihipStream_tbPNSt15iterator_traitsISE_E10value_typeEPNSK_ISF_E10value_typeEPSG_NS1_7vsmem_tEENKUlT_SE_SF_SG_E_clIS8_S8_S9_S9_EESD_ST_SE_SF_SG_EUlST_E1_NS1_11comp_targetILNS1_3genE10ELNS1_11target_archE1201ELNS1_3gpuE5ELNS1_3repE0EEENS1_36merge_oddeven_config_static_selectorELNS0_4arch9wavefront6targetE1EEEvSF_,comdat
.Lfunc_end2359:
	.size	_ZN7rocprim17ROCPRIM_400000_NS6detail17trampoline_kernelINS0_14default_configENS1_38merge_sort_block_merge_config_selectorIxNS0_10empty_typeEEEZZNS1_27merge_sort_block_merge_implIS3_PxPS5_jNS1_19radix_merge_compareILb1ELb1ExNS0_19identity_decomposerEEEEE10hipError_tT0_T1_T2_jT3_P12ihipStream_tbPNSt15iterator_traitsISE_E10value_typeEPNSK_ISF_E10value_typeEPSG_NS1_7vsmem_tEENKUlT_SE_SF_SG_E_clIS8_S8_S9_S9_EESD_ST_SE_SF_SG_EUlST_E1_NS1_11comp_targetILNS1_3genE10ELNS1_11target_archE1201ELNS1_3gpuE5ELNS1_3repE0EEENS1_36merge_oddeven_config_static_selectorELNS0_4arch9wavefront6targetE1EEEvSF_, .Lfunc_end2359-_ZN7rocprim17ROCPRIM_400000_NS6detail17trampoline_kernelINS0_14default_configENS1_38merge_sort_block_merge_config_selectorIxNS0_10empty_typeEEEZZNS1_27merge_sort_block_merge_implIS3_PxPS5_jNS1_19radix_merge_compareILb1ELb1ExNS0_19identity_decomposerEEEEE10hipError_tT0_T1_T2_jT3_P12ihipStream_tbPNSt15iterator_traitsISE_E10value_typeEPNSK_ISF_E10value_typeEPSG_NS1_7vsmem_tEENKUlT_SE_SF_SG_E_clIS8_S8_S9_S9_EESD_ST_SE_SF_SG_EUlST_E1_NS1_11comp_targetILNS1_3genE10ELNS1_11target_archE1201ELNS1_3gpuE5ELNS1_3repE0EEENS1_36merge_oddeven_config_static_selectorELNS0_4arch9wavefront6targetE1EEEvSF_
                                        ; -- End function
	.section	.AMDGPU.csdata,"",@progbits
; Kernel info:
; codeLenInByte = 0
; NumSgprs: 4
; NumVgprs: 0
; NumAgprs: 0
; TotalNumVgprs: 0
; ScratchSize: 0
; MemoryBound: 0
; FloatMode: 240
; IeeeMode: 1
; LDSByteSize: 0 bytes/workgroup (compile time only)
; SGPRBlocks: 0
; VGPRBlocks: 0
; NumSGPRsForWavesPerEU: 4
; NumVGPRsForWavesPerEU: 1
; AccumOffset: 4
; Occupancy: 8
; WaveLimiterHint : 0
; COMPUTE_PGM_RSRC2:SCRATCH_EN: 0
; COMPUTE_PGM_RSRC2:USER_SGPR: 6
; COMPUTE_PGM_RSRC2:TRAP_HANDLER: 0
; COMPUTE_PGM_RSRC2:TGID_X_EN: 1
; COMPUTE_PGM_RSRC2:TGID_Y_EN: 0
; COMPUTE_PGM_RSRC2:TGID_Z_EN: 0
; COMPUTE_PGM_RSRC2:TIDIG_COMP_CNT: 0
; COMPUTE_PGM_RSRC3_GFX90A:ACCUM_OFFSET: 0
; COMPUTE_PGM_RSRC3_GFX90A:TG_SPLIT: 0
	.section	.text._ZN7rocprim17ROCPRIM_400000_NS6detail17trampoline_kernelINS0_14default_configENS1_38merge_sort_block_merge_config_selectorIxNS0_10empty_typeEEEZZNS1_27merge_sort_block_merge_implIS3_PxPS5_jNS1_19radix_merge_compareILb1ELb1ExNS0_19identity_decomposerEEEEE10hipError_tT0_T1_T2_jT3_P12ihipStream_tbPNSt15iterator_traitsISE_E10value_typeEPNSK_ISF_E10value_typeEPSG_NS1_7vsmem_tEENKUlT_SE_SF_SG_E_clIS8_S8_S9_S9_EESD_ST_SE_SF_SG_EUlST_E1_NS1_11comp_targetILNS1_3genE5ELNS1_11target_archE942ELNS1_3gpuE9ELNS1_3repE0EEENS1_36merge_oddeven_config_static_selectorELNS0_4arch9wavefront6targetE1EEEvSF_,"axG",@progbits,_ZN7rocprim17ROCPRIM_400000_NS6detail17trampoline_kernelINS0_14default_configENS1_38merge_sort_block_merge_config_selectorIxNS0_10empty_typeEEEZZNS1_27merge_sort_block_merge_implIS3_PxPS5_jNS1_19radix_merge_compareILb1ELb1ExNS0_19identity_decomposerEEEEE10hipError_tT0_T1_T2_jT3_P12ihipStream_tbPNSt15iterator_traitsISE_E10value_typeEPNSK_ISF_E10value_typeEPSG_NS1_7vsmem_tEENKUlT_SE_SF_SG_E_clIS8_S8_S9_S9_EESD_ST_SE_SF_SG_EUlST_E1_NS1_11comp_targetILNS1_3genE5ELNS1_11target_archE942ELNS1_3gpuE9ELNS1_3repE0EEENS1_36merge_oddeven_config_static_selectorELNS0_4arch9wavefront6targetE1EEEvSF_,comdat
	.protected	_ZN7rocprim17ROCPRIM_400000_NS6detail17trampoline_kernelINS0_14default_configENS1_38merge_sort_block_merge_config_selectorIxNS0_10empty_typeEEEZZNS1_27merge_sort_block_merge_implIS3_PxPS5_jNS1_19radix_merge_compareILb1ELb1ExNS0_19identity_decomposerEEEEE10hipError_tT0_T1_T2_jT3_P12ihipStream_tbPNSt15iterator_traitsISE_E10value_typeEPNSK_ISF_E10value_typeEPSG_NS1_7vsmem_tEENKUlT_SE_SF_SG_E_clIS8_S8_S9_S9_EESD_ST_SE_SF_SG_EUlST_E1_NS1_11comp_targetILNS1_3genE5ELNS1_11target_archE942ELNS1_3gpuE9ELNS1_3repE0EEENS1_36merge_oddeven_config_static_selectorELNS0_4arch9wavefront6targetE1EEEvSF_ ; -- Begin function _ZN7rocprim17ROCPRIM_400000_NS6detail17trampoline_kernelINS0_14default_configENS1_38merge_sort_block_merge_config_selectorIxNS0_10empty_typeEEEZZNS1_27merge_sort_block_merge_implIS3_PxPS5_jNS1_19radix_merge_compareILb1ELb1ExNS0_19identity_decomposerEEEEE10hipError_tT0_T1_T2_jT3_P12ihipStream_tbPNSt15iterator_traitsISE_E10value_typeEPNSK_ISF_E10value_typeEPSG_NS1_7vsmem_tEENKUlT_SE_SF_SG_E_clIS8_S8_S9_S9_EESD_ST_SE_SF_SG_EUlST_E1_NS1_11comp_targetILNS1_3genE5ELNS1_11target_archE942ELNS1_3gpuE9ELNS1_3repE0EEENS1_36merge_oddeven_config_static_selectorELNS0_4arch9wavefront6targetE1EEEvSF_
	.globl	_ZN7rocprim17ROCPRIM_400000_NS6detail17trampoline_kernelINS0_14default_configENS1_38merge_sort_block_merge_config_selectorIxNS0_10empty_typeEEEZZNS1_27merge_sort_block_merge_implIS3_PxPS5_jNS1_19radix_merge_compareILb1ELb1ExNS0_19identity_decomposerEEEEE10hipError_tT0_T1_T2_jT3_P12ihipStream_tbPNSt15iterator_traitsISE_E10value_typeEPNSK_ISF_E10value_typeEPSG_NS1_7vsmem_tEENKUlT_SE_SF_SG_E_clIS8_S8_S9_S9_EESD_ST_SE_SF_SG_EUlST_E1_NS1_11comp_targetILNS1_3genE5ELNS1_11target_archE942ELNS1_3gpuE9ELNS1_3repE0EEENS1_36merge_oddeven_config_static_selectorELNS0_4arch9wavefront6targetE1EEEvSF_
	.p2align	8
	.type	_ZN7rocprim17ROCPRIM_400000_NS6detail17trampoline_kernelINS0_14default_configENS1_38merge_sort_block_merge_config_selectorIxNS0_10empty_typeEEEZZNS1_27merge_sort_block_merge_implIS3_PxPS5_jNS1_19radix_merge_compareILb1ELb1ExNS0_19identity_decomposerEEEEE10hipError_tT0_T1_T2_jT3_P12ihipStream_tbPNSt15iterator_traitsISE_E10value_typeEPNSK_ISF_E10value_typeEPSG_NS1_7vsmem_tEENKUlT_SE_SF_SG_E_clIS8_S8_S9_S9_EESD_ST_SE_SF_SG_EUlST_E1_NS1_11comp_targetILNS1_3genE5ELNS1_11target_archE942ELNS1_3gpuE9ELNS1_3repE0EEENS1_36merge_oddeven_config_static_selectorELNS0_4arch9wavefront6targetE1EEEvSF_,@function
_ZN7rocprim17ROCPRIM_400000_NS6detail17trampoline_kernelINS0_14default_configENS1_38merge_sort_block_merge_config_selectorIxNS0_10empty_typeEEEZZNS1_27merge_sort_block_merge_implIS3_PxPS5_jNS1_19radix_merge_compareILb1ELb1ExNS0_19identity_decomposerEEEEE10hipError_tT0_T1_T2_jT3_P12ihipStream_tbPNSt15iterator_traitsISE_E10value_typeEPNSK_ISF_E10value_typeEPSG_NS1_7vsmem_tEENKUlT_SE_SF_SG_E_clIS8_S8_S9_S9_EESD_ST_SE_SF_SG_EUlST_E1_NS1_11comp_targetILNS1_3genE5ELNS1_11target_archE942ELNS1_3gpuE9ELNS1_3repE0EEENS1_36merge_oddeven_config_static_selectorELNS0_4arch9wavefront6targetE1EEEvSF_: ; @_ZN7rocprim17ROCPRIM_400000_NS6detail17trampoline_kernelINS0_14default_configENS1_38merge_sort_block_merge_config_selectorIxNS0_10empty_typeEEEZZNS1_27merge_sort_block_merge_implIS3_PxPS5_jNS1_19radix_merge_compareILb1ELb1ExNS0_19identity_decomposerEEEEE10hipError_tT0_T1_T2_jT3_P12ihipStream_tbPNSt15iterator_traitsISE_E10value_typeEPNSK_ISF_E10value_typeEPSG_NS1_7vsmem_tEENKUlT_SE_SF_SG_E_clIS8_S8_S9_S9_EESD_ST_SE_SF_SG_EUlST_E1_NS1_11comp_targetILNS1_3genE5ELNS1_11target_archE942ELNS1_3gpuE9ELNS1_3repE0EEENS1_36merge_oddeven_config_static_selectorELNS0_4arch9wavefront6targetE1EEEvSF_
; %bb.0:
	.section	.rodata,"a",@progbits
	.p2align	6, 0x0
	.amdhsa_kernel _ZN7rocprim17ROCPRIM_400000_NS6detail17trampoline_kernelINS0_14default_configENS1_38merge_sort_block_merge_config_selectorIxNS0_10empty_typeEEEZZNS1_27merge_sort_block_merge_implIS3_PxPS5_jNS1_19radix_merge_compareILb1ELb1ExNS0_19identity_decomposerEEEEE10hipError_tT0_T1_T2_jT3_P12ihipStream_tbPNSt15iterator_traitsISE_E10value_typeEPNSK_ISF_E10value_typeEPSG_NS1_7vsmem_tEENKUlT_SE_SF_SG_E_clIS8_S8_S9_S9_EESD_ST_SE_SF_SG_EUlST_E1_NS1_11comp_targetILNS1_3genE5ELNS1_11target_archE942ELNS1_3gpuE9ELNS1_3repE0EEENS1_36merge_oddeven_config_static_selectorELNS0_4arch9wavefront6targetE1EEEvSF_
		.amdhsa_group_segment_fixed_size 0
		.amdhsa_private_segment_fixed_size 0
		.amdhsa_kernarg_size 48
		.amdhsa_user_sgpr_count 6
		.amdhsa_user_sgpr_private_segment_buffer 1
		.amdhsa_user_sgpr_dispatch_ptr 0
		.amdhsa_user_sgpr_queue_ptr 0
		.amdhsa_user_sgpr_kernarg_segment_ptr 1
		.amdhsa_user_sgpr_dispatch_id 0
		.amdhsa_user_sgpr_flat_scratch_init 0
		.amdhsa_user_sgpr_kernarg_preload_length 0
		.amdhsa_user_sgpr_kernarg_preload_offset 0
		.amdhsa_user_sgpr_private_segment_size 0
		.amdhsa_uses_dynamic_stack 0
		.amdhsa_system_sgpr_private_segment_wavefront_offset 0
		.amdhsa_system_sgpr_workgroup_id_x 1
		.amdhsa_system_sgpr_workgroup_id_y 0
		.amdhsa_system_sgpr_workgroup_id_z 0
		.amdhsa_system_sgpr_workgroup_info 0
		.amdhsa_system_vgpr_workitem_id 0
		.amdhsa_next_free_vgpr 1
		.amdhsa_next_free_sgpr 0
		.amdhsa_accum_offset 4
		.amdhsa_reserve_vcc 0
		.amdhsa_reserve_flat_scratch 0
		.amdhsa_float_round_mode_32 0
		.amdhsa_float_round_mode_16_64 0
		.amdhsa_float_denorm_mode_32 3
		.amdhsa_float_denorm_mode_16_64 3
		.amdhsa_dx10_clamp 1
		.amdhsa_ieee_mode 1
		.amdhsa_fp16_overflow 0
		.amdhsa_tg_split 0
		.amdhsa_exception_fp_ieee_invalid_op 0
		.amdhsa_exception_fp_denorm_src 0
		.amdhsa_exception_fp_ieee_div_zero 0
		.amdhsa_exception_fp_ieee_overflow 0
		.amdhsa_exception_fp_ieee_underflow 0
		.amdhsa_exception_fp_ieee_inexact 0
		.amdhsa_exception_int_div_zero 0
	.end_amdhsa_kernel
	.section	.text._ZN7rocprim17ROCPRIM_400000_NS6detail17trampoline_kernelINS0_14default_configENS1_38merge_sort_block_merge_config_selectorIxNS0_10empty_typeEEEZZNS1_27merge_sort_block_merge_implIS3_PxPS5_jNS1_19radix_merge_compareILb1ELb1ExNS0_19identity_decomposerEEEEE10hipError_tT0_T1_T2_jT3_P12ihipStream_tbPNSt15iterator_traitsISE_E10value_typeEPNSK_ISF_E10value_typeEPSG_NS1_7vsmem_tEENKUlT_SE_SF_SG_E_clIS8_S8_S9_S9_EESD_ST_SE_SF_SG_EUlST_E1_NS1_11comp_targetILNS1_3genE5ELNS1_11target_archE942ELNS1_3gpuE9ELNS1_3repE0EEENS1_36merge_oddeven_config_static_selectorELNS0_4arch9wavefront6targetE1EEEvSF_,"axG",@progbits,_ZN7rocprim17ROCPRIM_400000_NS6detail17trampoline_kernelINS0_14default_configENS1_38merge_sort_block_merge_config_selectorIxNS0_10empty_typeEEEZZNS1_27merge_sort_block_merge_implIS3_PxPS5_jNS1_19radix_merge_compareILb1ELb1ExNS0_19identity_decomposerEEEEE10hipError_tT0_T1_T2_jT3_P12ihipStream_tbPNSt15iterator_traitsISE_E10value_typeEPNSK_ISF_E10value_typeEPSG_NS1_7vsmem_tEENKUlT_SE_SF_SG_E_clIS8_S8_S9_S9_EESD_ST_SE_SF_SG_EUlST_E1_NS1_11comp_targetILNS1_3genE5ELNS1_11target_archE942ELNS1_3gpuE9ELNS1_3repE0EEENS1_36merge_oddeven_config_static_selectorELNS0_4arch9wavefront6targetE1EEEvSF_,comdat
.Lfunc_end2360:
	.size	_ZN7rocprim17ROCPRIM_400000_NS6detail17trampoline_kernelINS0_14default_configENS1_38merge_sort_block_merge_config_selectorIxNS0_10empty_typeEEEZZNS1_27merge_sort_block_merge_implIS3_PxPS5_jNS1_19radix_merge_compareILb1ELb1ExNS0_19identity_decomposerEEEEE10hipError_tT0_T1_T2_jT3_P12ihipStream_tbPNSt15iterator_traitsISE_E10value_typeEPNSK_ISF_E10value_typeEPSG_NS1_7vsmem_tEENKUlT_SE_SF_SG_E_clIS8_S8_S9_S9_EESD_ST_SE_SF_SG_EUlST_E1_NS1_11comp_targetILNS1_3genE5ELNS1_11target_archE942ELNS1_3gpuE9ELNS1_3repE0EEENS1_36merge_oddeven_config_static_selectorELNS0_4arch9wavefront6targetE1EEEvSF_, .Lfunc_end2360-_ZN7rocprim17ROCPRIM_400000_NS6detail17trampoline_kernelINS0_14default_configENS1_38merge_sort_block_merge_config_selectorIxNS0_10empty_typeEEEZZNS1_27merge_sort_block_merge_implIS3_PxPS5_jNS1_19radix_merge_compareILb1ELb1ExNS0_19identity_decomposerEEEEE10hipError_tT0_T1_T2_jT3_P12ihipStream_tbPNSt15iterator_traitsISE_E10value_typeEPNSK_ISF_E10value_typeEPSG_NS1_7vsmem_tEENKUlT_SE_SF_SG_E_clIS8_S8_S9_S9_EESD_ST_SE_SF_SG_EUlST_E1_NS1_11comp_targetILNS1_3genE5ELNS1_11target_archE942ELNS1_3gpuE9ELNS1_3repE0EEENS1_36merge_oddeven_config_static_selectorELNS0_4arch9wavefront6targetE1EEEvSF_
                                        ; -- End function
	.section	.AMDGPU.csdata,"",@progbits
; Kernel info:
; codeLenInByte = 0
; NumSgprs: 4
; NumVgprs: 0
; NumAgprs: 0
; TotalNumVgprs: 0
; ScratchSize: 0
; MemoryBound: 0
; FloatMode: 240
; IeeeMode: 1
; LDSByteSize: 0 bytes/workgroup (compile time only)
; SGPRBlocks: 0
; VGPRBlocks: 0
; NumSGPRsForWavesPerEU: 4
; NumVGPRsForWavesPerEU: 1
; AccumOffset: 4
; Occupancy: 8
; WaveLimiterHint : 0
; COMPUTE_PGM_RSRC2:SCRATCH_EN: 0
; COMPUTE_PGM_RSRC2:USER_SGPR: 6
; COMPUTE_PGM_RSRC2:TRAP_HANDLER: 0
; COMPUTE_PGM_RSRC2:TGID_X_EN: 1
; COMPUTE_PGM_RSRC2:TGID_Y_EN: 0
; COMPUTE_PGM_RSRC2:TGID_Z_EN: 0
; COMPUTE_PGM_RSRC2:TIDIG_COMP_CNT: 0
; COMPUTE_PGM_RSRC3_GFX90A:ACCUM_OFFSET: 0
; COMPUTE_PGM_RSRC3_GFX90A:TG_SPLIT: 0
	.section	.text._ZN7rocprim17ROCPRIM_400000_NS6detail17trampoline_kernelINS0_14default_configENS1_38merge_sort_block_merge_config_selectorIxNS0_10empty_typeEEEZZNS1_27merge_sort_block_merge_implIS3_PxPS5_jNS1_19radix_merge_compareILb1ELb1ExNS0_19identity_decomposerEEEEE10hipError_tT0_T1_T2_jT3_P12ihipStream_tbPNSt15iterator_traitsISE_E10value_typeEPNSK_ISF_E10value_typeEPSG_NS1_7vsmem_tEENKUlT_SE_SF_SG_E_clIS8_S8_S9_S9_EESD_ST_SE_SF_SG_EUlST_E1_NS1_11comp_targetILNS1_3genE4ELNS1_11target_archE910ELNS1_3gpuE8ELNS1_3repE0EEENS1_36merge_oddeven_config_static_selectorELNS0_4arch9wavefront6targetE1EEEvSF_,"axG",@progbits,_ZN7rocprim17ROCPRIM_400000_NS6detail17trampoline_kernelINS0_14default_configENS1_38merge_sort_block_merge_config_selectorIxNS0_10empty_typeEEEZZNS1_27merge_sort_block_merge_implIS3_PxPS5_jNS1_19radix_merge_compareILb1ELb1ExNS0_19identity_decomposerEEEEE10hipError_tT0_T1_T2_jT3_P12ihipStream_tbPNSt15iterator_traitsISE_E10value_typeEPNSK_ISF_E10value_typeEPSG_NS1_7vsmem_tEENKUlT_SE_SF_SG_E_clIS8_S8_S9_S9_EESD_ST_SE_SF_SG_EUlST_E1_NS1_11comp_targetILNS1_3genE4ELNS1_11target_archE910ELNS1_3gpuE8ELNS1_3repE0EEENS1_36merge_oddeven_config_static_selectorELNS0_4arch9wavefront6targetE1EEEvSF_,comdat
	.protected	_ZN7rocprim17ROCPRIM_400000_NS6detail17trampoline_kernelINS0_14default_configENS1_38merge_sort_block_merge_config_selectorIxNS0_10empty_typeEEEZZNS1_27merge_sort_block_merge_implIS3_PxPS5_jNS1_19radix_merge_compareILb1ELb1ExNS0_19identity_decomposerEEEEE10hipError_tT0_T1_T2_jT3_P12ihipStream_tbPNSt15iterator_traitsISE_E10value_typeEPNSK_ISF_E10value_typeEPSG_NS1_7vsmem_tEENKUlT_SE_SF_SG_E_clIS8_S8_S9_S9_EESD_ST_SE_SF_SG_EUlST_E1_NS1_11comp_targetILNS1_3genE4ELNS1_11target_archE910ELNS1_3gpuE8ELNS1_3repE0EEENS1_36merge_oddeven_config_static_selectorELNS0_4arch9wavefront6targetE1EEEvSF_ ; -- Begin function _ZN7rocprim17ROCPRIM_400000_NS6detail17trampoline_kernelINS0_14default_configENS1_38merge_sort_block_merge_config_selectorIxNS0_10empty_typeEEEZZNS1_27merge_sort_block_merge_implIS3_PxPS5_jNS1_19radix_merge_compareILb1ELb1ExNS0_19identity_decomposerEEEEE10hipError_tT0_T1_T2_jT3_P12ihipStream_tbPNSt15iterator_traitsISE_E10value_typeEPNSK_ISF_E10value_typeEPSG_NS1_7vsmem_tEENKUlT_SE_SF_SG_E_clIS8_S8_S9_S9_EESD_ST_SE_SF_SG_EUlST_E1_NS1_11comp_targetILNS1_3genE4ELNS1_11target_archE910ELNS1_3gpuE8ELNS1_3repE0EEENS1_36merge_oddeven_config_static_selectorELNS0_4arch9wavefront6targetE1EEEvSF_
	.globl	_ZN7rocprim17ROCPRIM_400000_NS6detail17trampoline_kernelINS0_14default_configENS1_38merge_sort_block_merge_config_selectorIxNS0_10empty_typeEEEZZNS1_27merge_sort_block_merge_implIS3_PxPS5_jNS1_19radix_merge_compareILb1ELb1ExNS0_19identity_decomposerEEEEE10hipError_tT0_T1_T2_jT3_P12ihipStream_tbPNSt15iterator_traitsISE_E10value_typeEPNSK_ISF_E10value_typeEPSG_NS1_7vsmem_tEENKUlT_SE_SF_SG_E_clIS8_S8_S9_S9_EESD_ST_SE_SF_SG_EUlST_E1_NS1_11comp_targetILNS1_3genE4ELNS1_11target_archE910ELNS1_3gpuE8ELNS1_3repE0EEENS1_36merge_oddeven_config_static_selectorELNS0_4arch9wavefront6targetE1EEEvSF_
	.p2align	8
	.type	_ZN7rocprim17ROCPRIM_400000_NS6detail17trampoline_kernelINS0_14default_configENS1_38merge_sort_block_merge_config_selectorIxNS0_10empty_typeEEEZZNS1_27merge_sort_block_merge_implIS3_PxPS5_jNS1_19radix_merge_compareILb1ELb1ExNS0_19identity_decomposerEEEEE10hipError_tT0_T1_T2_jT3_P12ihipStream_tbPNSt15iterator_traitsISE_E10value_typeEPNSK_ISF_E10value_typeEPSG_NS1_7vsmem_tEENKUlT_SE_SF_SG_E_clIS8_S8_S9_S9_EESD_ST_SE_SF_SG_EUlST_E1_NS1_11comp_targetILNS1_3genE4ELNS1_11target_archE910ELNS1_3gpuE8ELNS1_3repE0EEENS1_36merge_oddeven_config_static_selectorELNS0_4arch9wavefront6targetE1EEEvSF_,@function
_ZN7rocprim17ROCPRIM_400000_NS6detail17trampoline_kernelINS0_14default_configENS1_38merge_sort_block_merge_config_selectorIxNS0_10empty_typeEEEZZNS1_27merge_sort_block_merge_implIS3_PxPS5_jNS1_19radix_merge_compareILb1ELb1ExNS0_19identity_decomposerEEEEE10hipError_tT0_T1_T2_jT3_P12ihipStream_tbPNSt15iterator_traitsISE_E10value_typeEPNSK_ISF_E10value_typeEPSG_NS1_7vsmem_tEENKUlT_SE_SF_SG_E_clIS8_S8_S9_S9_EESD_ST_SE_SF_SG_EUlST_E1_NS1_11comp_targetILNS1_3genE4ELNS1_11target_archE910ELNS1_3gpuE8ELNS1_3repE0EEENS1_36merge_oddeven_config_static_selectorELNS0_4arch9wavefront6targetE1EEEvSF_: ; @_ZN7rocprim17ROCPRIM_400000_NS6detail17trampoline_kernelINS0_14default_configENS1_38merge_sort_block_merge_config_selectorIxNS0_10empty_typeEEEZZNS1_27merge_sort_block_merge_implIS3_PxPS5_jNS1_19radix_merge_compareILb1ELb1ExNS0_19identity_decomposerEEEEE10hipError_tT0_T1_T2_jT3_P12ihipStream_tbPNSt15iterator_traitsISE_E10value_typeEPNSK_ISF_E10value_typeEPSG_NS1_7vsmem_tEENKUlT_SE_SF_SG_E_clIS8_S8_S9_S9_EESD_ST_SE_SF_SG_EUlST_E1_NS1_11comp_targetILNS1_3genE4ELNS1_11target_archE910ELNS1_3gpuE8ELNS1_3repE0EEENS1_36merge_oddeven_config_static_selectorELNS0_4arch9wavefront6targetE1EEEvSF_
; %bb.0:
	s_load_dword s18, s[4:5], 0x20
	s_waitcnt lgkmcnt(0)
	s_lshr_b32 s0, s18, 8
	s_cmp_lg_u32 s6, s0
	s_cselect_b64 s[14:15], -1, 0
	s_cmp_eq_u32 s6, s0
	s_cselect_b64 s[12:13], -1, 0
	s_lshl_b32 s16, s6, 8
	s_sub_i32 s0, s18, s16
	v_cmp_gt_u32_e64 s[2:3], s0, v0
	s_or_b64 s[0:1], s[14:15], s[2:3]
	s_and_saveexec_b64 s[8:9], s[0:1]
	s_cbranch_execz .LBB2361_20
; %bb.1:
	s_load_dwordx4 s[8:11], s[4:5], 0x0
	s_load_dword s19, s[4:5], 0x24
	s_mov_b32 s17, 0
	s_lshl_b64 s[0:1], s[16:17], 3
	v_lshlrev_b32_e32 v1, 3, v0
	s_waitcnt lgkmcnt(0)
	s_add_u32 s0, s8, s0
	s_addc_u32 s1, s9, s1
	global_load_dwordx2 v[2:3], v1, s[0:1]
	s_lshr_b32 s0, s19, 8
	s_sub_i32 s1, 0, s0
	s_and_b32 s1, s6, s1
	s_and_b32 s0, s1, s0
	s_lshl_b32 s20, s1, 8
	s_sub_i32 s17, 0, s19
	s_cmp_eq_u32 s0, 0
	s_cselect_b64 s[0:1], -1, 0
	s_and_b64 s[6:7], s[0:1], exec
	s_cselect_b32 s17, s19, s17
	s_add_i32 s17, s17, s20
	s_cmp_lt_u32 s17, s18
	v_add_u32_e32 v0, s16, v0
	s_cbranch_scc1 .LBB2361_3
; %bb.2:
	v_cmp_gt_u32_e32 vcc, s18, v0
	s_or_b64 s[6:7], vcc, s[14:15]
	s_and_b64 s[6:7], s[6:7], exec
	s_cbranch_execz .LBB2361_4
	s_branch .LBB2361_18
.LBB2361_3:
	s_mov_b64 s[6:7], 0
.LBB2361_4:
	s_load_dwordx2 s[4:5], s[4:5], 0x28
	s_min_u32 s14, s17, s18
	s_min_u32 s16, s20, s14
	s_add_i32 s20, s20, s14
	s_add_i32 s15, s14, s19
	v_subrev_u32_e32 v0, s20, v0
	s_min_u32 s15, s15, s18
	v_add_u32_e32 v6, s16, v0
	s_and_b64 vcc, exec, s[12:13]
	s_cbranch_vccz .LBB2361_12
; %bb.5:
                                        ; implicit-def: $vgpr0
	s_and_saveexec_b64 s[12:13], s[2:3]
	s_cbranch_execz .LBB2361_11
; %bb.6:
	s_cmp_ge_u32 s17, s15
	v_mov_b32_e32 v7, s14
	s_cbranch_scc1 .LBB2361_10
; %bb.7:
	s_waitcnt vmcnt(0) lgkmcnt(0)
	v_and_b32_e32 v1, s5, v3
	v_and_b32_e32 v0, s4, v2
	s_mov_b64 s[2:3], 0
	v_mov_b32_e32 v8, s15
	v_mov_b32_e32 v7, s14
	;; [unrolled: 1-line block ×4, first 2 shown]
.LBB2361_8:                             ; =>This Inner Loop Header: Depth=1
	v_add_u32_e32 v4, v7, v8
	v_lshrrev_b32_e32 v4, 1, v4
	v_lshlrev_b64 v[10:11], 3, v[4:5]
	v_add_co_u32_e32 v10, vcc, s8, v10
	v_addc_co_u32_e32 v11, vcc, v9, v11, vcc
	global_load_dwordx2 v[10:11], v[10:11], off
	v_add_u32_e32 v12, 1, v4
	s_waitcnt vmcnt(0)
	v_and_b32_e32 v11, s5, v11
	v_and_b32_e32 v10, s4, v10
	v_cmp_gt_i64_e32 vcc, v[10:11], v[0:1]
	v_cndmask_b32_e64 v13, 0, 1, vcc
	v_cmp_le_i64_e32 vcc, v[0:1], v[10:11]
	v_cndmask_b32_e64 v10, 0, 1, vcc
	v_cndmask_b32_e64 v10, v10, v13, s[0:1]
	v_and_b32_e32 v10, 1, v10
	v_cmp_eq_u32_e32 vcc, 1, v10
	v_cndmask_b32_e32 v8, v4, v8, vcc
	v_cndmask_b32_e32 v7, v7, v12, vcc
	v_cmp_ge_u32_e32 vcc, v7, v8
	s_or_b64 s[2:3], vcc, s[2:3]
	s_andn2_b64 exec, exec, s[2:3]
	s_cbranch_execnz .LBB2361_8
; %bb.9:
	s_or_b64 exec, exec, s[2:3]
.LBB2361_10:
	v_add_u32_e32 v0, v7, v6
	s_or_b64 s[6:7], s[6:7], exec
.LBB2361_11:
	s_or_b64 exec, exec, s[12:13]
	s_branch .LBB2361_18
.LBB2361_12:
                                        ; implicit-def: $vgpr0
	s_cbranch_execz .LBB2361_18
; %bb.13:
	s_cmp_ge_u32 s17, s15
	v_mov_b32_e32 v7, s14
	s_cbranch_scc1 .LBB2361_17
; %bb.14:
	s_waitcnt vmcnt(0) lgkmcnt(0)
	v_and_b32_e32 v1, s5, v3
	v_and_b32_e32 v0, s4, v2
	s_mov_b64 s[2:3], 0
	v_mov_b32_e32 v8, s15
	v_mov_b32_e32 v7, s14
	;; [unrolled: 1-line block ×4, first 2 shown]
.LBB2361_15:                            ; =>This Inner Loop Header: Depth=1
	v_add_u32_e32 v4, v7, v8
	v_lshrrev_b32_e32 v4, 1, v4
	v_lshlrev_b64 v[10:11], 3, v[4:5]
	v_add_co_u32_e32 v10, vcc, s8, v10
	v_addc_co_u32_e32 v11, vcc, v9, v11, vcc
	global_load_dwordx2 v[10:11], v[10:11], off
	v_add_u32_e32 v12, 1, v4
	s_waitcnt vmcnt(0)
	v_and_b32_e32 v11, s5, v11
	v_and_b32_e32 v10, s4, v10
	v_cmp_gt_i64_e32 vcc, v[10:11], v[0:1]
	v_cndmask_b32_e64 v13, 0, 1, vcc
	v_cmp_le_i64_e32 vcc, v[0:1], v[10:11]
	v_cndmask_b32_e64 v10, 0, 1, vcc
	v_cndmask_b32_e64 v10, v10, v13, s[0:1]
	v_and_b32_e32 v10, 1, v10
	v_cmp_eq_u32_e32 vcc, 1, v10
	v_cndmask_b32_e32 v8, v4, v8, vcc
	v_cndmask_b32_e32 v7, v7, v12, vcc
	v_cmp_ge_u32_e32 vcc, v7, v8
	s_or_b64 s[2:3], vcc, s[2:3]
	s_andn2_b64 exec, exec, s[2:3]
	s_cbranch_execnz .LBB2361_15
; %bb.16:
	s_or_b64 exec, exec, s[2:3]
.LBB2361_17:
	v_add_u32_e32 v0, v7, v6
	s_mov_b64 s[6:7], -1
.LBB2361_18:
	s_and_b64 exec, exec, s[6:7]
	s_cbranch_execz .LBB2361_20
; %bb.19:
	v_mov_b32_e32 v1, 0
	v_lshlrev_b64 v[0:1], 3, v[0:1]
	v_mov_b32_e32 v4, s11
	v_add_co_u32_e32 v0, vcc, s10, v0
	v_addc_co_u32_e32 v1, vcc, v4, v1, vcc
	s_waitcnt vmcnt(0)
	global_store_dwordx2 v[0:1], v[2:3], off
.LBB2361_20:
	s_endpgm
	.section	.rodata,"a",@progbits
	.p2align	6, 0x0
	.amdhsa_kernel _ZN7rocprim17ROCPRIM_400000_NS6detail17trampoline_kernelINS0_14default_configENS1_38merge_sort_block_merge_config_selectorIxNS0_10empty_typeEEEZZNS1_27merge_sort_block_merge_implIS3_PxPS5_jNS1_19radix_merge_compareILb1ELb1ExNS0_19identity_decomposerEEEEE10hipError_tT0_T1_T2_jT3_P12ihipStream_tbPNSt15iterator_traitsISE_E10value_typeEPNSK_ISF_E10value_typeEPSG_NS1_7vsmem_tEENKUlT_SE_SF_SG_E_clIS8_S8_S9_S9_EESD_ST_SE_SF_SG_EUlST_E1_NS1_11comp_targetILNS1_3genE4ELNS1_11target_archE910ELNS1_3gpuE8ELNS1_3repE0EEENS1_36merge_oddeven_config_static_selectorELNS0_4arch9wavefront6targetE1EEEvSF_
		.amdhsa_group_segment_fixed_size 0
		.amdhsa_private_segment_fixed_size 0
		.amdhsa_kernarg_size 48
		.amdhsa_user_sgpr_count 6
		.amdhsa_user_sgpr_private_segment_buffer 1
		.amdhsa_user_sgpr_dispatch_ptr 0
		.amdhsa_user_sgpr_queue_ptr 0
		.amdhsa_user_sgpr_kernarg_segment_ptr 1
		.amdhsa_user_sgpr_dispatch_id 0
		.amdhsa_user_sgpr_flat_scratch_init 0
		.amdhsa_user_sgpr_kernarg_preload_length 0
		.amdhsa_user_sgpr_kernarg_preload_offset 0
		.amdhsa_user_sgpr_private_segment_size 0
		.amdhsa_uses_dynamic_stack 0
		.amdhsa_system_sgpr_private_segment_wavefront_offset 0
		.amdhsa_system_sgpr_workgroup_id_x 1
		.amdhsa_system_sgpr_workgroup_id_y 0
		.amdhsa_system_sgpr_workgroup_id_z 0
		.amdhsa_system_sgpr_workgroup_info 0
		.amdhsa_system_vgpr_workitem_id 0
		.amdhsa_next_free_vgpr 14
		.amdhsa_next_free_sgpr 21
		.amdhsa_accum_offset 16
		.amdhsa_reserve_vcc 1
		.amdhsa_reserve_flat_scratch 0
		.amdhsa_float_round_mode_32 0
		.amdhsa_float_round_mode_16_64 0
		.amdhsa_float_denorm_mode_32 3
		.amdhsa_float_denorm_mode_16_64 3
		.amdhsa_dx10_clamp 1
		.amdhsa_ieee_mode 1
		.amdhsa_fp16_overflow 0
		.amdhsa_tg_split 0
		.amdhsa_exception_fp_ieee_invalid_op 0
		.amdhsa_exception_fp_denorm_src 0
		.amdhsa_exception_fp_ieee_div_zero 0
		.amdhsa_exception_fp_ieee_overflow 0
		.amdhsa_exception_fp_ieee_underflow 0
		.amdhsa_exception_fp_ieee_inexact 0
		.amdhsa_exception_int_div_zero 0
	.end_amdhsa_kernel
	.section	.text._ZN7rocprim17ROCPRIM_400000_NS6detail17trampoline_kernelINS0_14default_configENS1_38merge_sort_block_merge_config_selectorIxNS0_10empty_typeEEEZZNS1_27merge_sort_block_merge_implIS3_PxPS5_jNS1_19radix_merge_compareILb1ELb1ExNS0_19identity_decomposerEEEEE10hipError_tT0_T1_T2_jT3_P12ihipStream_tbPNSt15iterator_traitsISE_E10value_typeEPNSK_ISF_E10value_typeEPSG_NS1_7vsmem_tEENKUlT_SE_SF_SG_E_clIS8_S8_S9_S9_EESD_ST_SE_SF_SG_EUlST_E1_NS1_11comp_targetILNS1_3genE4ELNS1_11target_archE910ELNS1_3gpuE8ELNS1_3repE0EEENS1_36merge_oddeven_config_static_selectorELNS0_4arch9wavefront6targetE1EEEvSF_,"axG",@progbits,_ZN7rocprim17ROCPRIM_400000_NS6detail17trampoline_kernelINS0_14default_configENS1_38merge_sort_block_merge_config_selectorIxNS0_10empty_typeEEEZZNS1_27merge_sort_block_merge_implIS3_PxPS5_jNS1_19radix_merge_compareILb1ELb1ExNS0_19identity_decomposerEEEEE10hipError_tT0_T1_T2_jT3_P12ihipStream_tbPNSt15iterator_traitsISE_E10value_typeEPNSK_ISF_E10value_typeEPSG_NS1_7vsmem_tEENKUlT_SE_SF_SG_E_clIS8_S8_S9_S9_EESD_ST_SE_SF_SG_EUlST_E1_NS1_11comp_targetILNS1_3genE4ELNS1_11target_archE910ELNS1_3gpuE8ELNS1_3repE0EEENS1_36merge_oddeven_config_static_selectorELNS0_4arch9wavefront6targetE1EEEvSF_,comdat
.Lfunc_end2361:
	.size	_ZN7rocprim17ROCPRIM_400000_NS6detail17trampoline_kernelINS0_14default_configENS1_38merge_sort_block_merge_config_selectorIxNS0_10empty_typeEEEZZNS1_27merge_sort_block_merge_implIS3_PxPS5_jNS1_19radix_merge_compareILb1ELb1ExNS0_19identity_decomposerEEEEE10hipError_tT0_T1_T2_jT3_P12ihipStream_tbPNSt15iterator_traitsISE_E10value_typeEPNSK_ISF_E10value_typeEPSG_NS1_7vsmem_tEENKUlT_SE_SF_SG_E_clIS8_S8_S9_S9_EESD_ST_SE_SF_SG_EUlST_E1_NS1_11comp_targetILNS1_3genE4ELNS1_11target_archE910ELNS1_3gpuE8ELNS1_3repE0EEENS1_36merge_oddeven_config_static_selectorELNS0_4arch9wavefront6targetE1EEEvSF_, .Lfunc_end2361-_ZN7rocprim17ROCPRIM_400000_NS6detail17trampoline_kernelINS0_14default_configENS1_38merge_sort_block_merge_config_selectorIxNS0_10empty_typeEEEZZNS1_27merge_sort_block_merge_implIS3_PxPS5_jNS1_19radix_merge_compareILb1ELb1ExNS0_19identity_decomposerEEEEE10hipError_tT0_T1_T2_jT3_P12ihipStream_tbPNSt15iterator_traitsISE_E10value_typeEPNSK_ISF_E10value_typeEPSG_NS1_7vsmem_tEENKUlT_SE_SF_SG_E_clIS8_S8_S9_S9_EESD_ST_SE_SF_SG_EUlST_E1_NS1_11comp_targetILNS1_3genE4ELNS1_11target_archE910ELNS1_3gpuE8ELNS1_3repE0EEENS1_36merge_oddeven_config_static_selectorELNS0_4arch9wavefront6targetE1EEEvSF_
                                        ; -- End function
	.section	.AMDGPU.csdata,"",@progbits
; Kernel info:
; codeLenInByte = 636
; NumSgprs: 25
; NumVgprs: 14
; NumAgprs: 0
; TotalNumVgprs: 14
; ScratchSize: 0
; MemoryBound: 0
; FloatMode: 240
; IeeeMode: 1
; LDSByteSize: 0 bytes/workgroup (compile time only)
; SGPRBlocks: 3
; VGPRBlocks: 1
; NumSGPRsForWavesPerEU: 25
; NumVGPRsForWavesPerEU: 14
; AccumOffset: 16
; Occupancy: 8
; WaveLimiterHint : 0
; COMPUTE_PGM_RSRC2:SCRATCH_EN: 0
; COMPUTE_PGM_RSRC2:USER_SGPR: 6
; COMPUTE_PGM_RSRC2:TRAP_HANDLER: 0
; COMPUTE_PGM_RSRC2:TGID_X_EN: 1
; COMPUTE_PGM_RSRC2:TGID_Y_EN: 0
; COMPUTE_PGM_RSRC2:TGID_Z_EN: 0
; COMPUTE_PGM_RSRC2:TIDIG_COMP_CNT: 0
; COMPUTE_PGM_RSRC3_GFX90A:ACCUM_OFFSET: 3
; COMPUTE_PGM_RSRC3_GFX90A:TG_SPLIT: 0
	.section	.text._ZN7rocprim17ROCPRIM_400000_NS6detail17trampoline_kernelINS0_14default_configENS1_38merge_sort_block_merge_config_selectorIxNS0_10empty_typeEEEZZNS1_27merge_sort_block_merge_implIS3_PxPS5_jNS1_19radix_merge_compareILb1ELb1ExNS0_19identity_decomposerEEEEE10hipError_tT0_T1_T2_jT3_P12ihipStream_tbPNSt15iterator_traitsISE_E10value_typeEPNSK_ISF_E10value_typeEPSG_NS1_7vsmem_tEENKUlT_SE_SF_SG_E_clIS8_S8_S9_S9_EESD_ST_SE_SF_SG_EUlST_E1_NS1_11comp_targetILNS1_3genE3ELNS1_11target_archE908ELNS1_3gpuE7ELNS1_3repE0EEENS1_36merge_oddeven_config_static_selectorELNS0_4arch9wavefront6targetE1EEEvSF_,"axG",@progbits,_ZN7rocprim17ROCPRIM_400000_NS6detail17trampoline_kernelINS0_14default_configENS1_38merge_sort_block_merge_config_selectorIxNS0_10empty_typeEEEZZNS1_27merge_sort_block_merge_implIS3_PxPS5_jNS1_19radix_merge_compareILb1ELb1ExNS0_19identity_decomposerEEEEE10hipError_tT0_T1_T2_jT3_P12ihipStream_tbPNSt15iterator_traitsISE_E10value_typeEPNSK_ISF_E10value_typeEPSG_NS1_7vsmem_tEENKUlT_SE_SF_SG_E_clIS8_S8_S9_S9_EESD_ST_SE_SF_SG_EUlST_E1_NS1_11comp_targetILNS1_3genE3ELNS1_11target_archE908ELNS1_3gpuE7ELNS1_3repE0EEENS1_36merge_oddeven_config_static_selectorELNS0_4arch9wavefront6targetE1EEEvSF_,comdat
	.protected	_ZN7rocprim17ROCPRIM_400000_NS6detail17trampoline_kernelINS0_14default_configENS1_38merge_sort_block_merge_config_selectorIxNS0_10empty_typeEEEZZNS1_27merge_sort_block_merge_implIS3_PxPS5_jNS1_19radix_merge_compareILb1ELb1ExNS0_19identity_decomposerEEEEE10hipError_tT0_T1_T2_jT3_P12ihipStream_tbPNSt15iterator_traitsISE_E10value_typeEPNSK_ISF_E10value_typeEPSG_NS1_7vsmem_tEENKUlT_SE_SF_SG_E_clIS8_S8_S9_S9_EESD_ST_SE_SF_SG_EUlST_E1_NS1_11comp_targetILNS1_3genE3ELNS1_11target_archE908ELNS1_3gpuE7ELNS1_3repE0EEENS1_36merge_oddeven_config_static_selectorELNS0_4arch9wavefront6targetE1EEEvSF_ ; -- Begin function _ZN7rocprim17ROCPRIM_400000_NS6detail17trampoline_kernelINS0_14default_configENS1_38merge_sort_block_merge_config_selectorIxNS0_10empty_typeEEEZZNS1_27merge_sort_block_merge_implIS3_PxPS5_jNS1_19radix_merge_compareILb1ELb1ExNS0_19identity_decomposerEEEEE10hipError_tT0_T1_T2_jT3_P12ihipStream_tbPNSt15iterator_traitsISE_E10value_typeEPNSK_ISF_E10value_typeEPSG_NS1_7vsmem_tEENKUlT_SE_SF_SG_E_clIS8_S8_S9_S9_EESD_ST_SE_SF_SG_EUlST_E1_NS1_11comp_targetILNS1_3genE3ELNS1_11target_archE908ELNS1_3gpuE7ELNS1_3repE0EEENS1_36merge_oddeven_config_static_selectorELNS0_4arch9wavefront6targetE1EEEvSF_
	.globl	_ZN7rocprim17ROCPRIM_400000_NS6detail17trampoline_kernelINS0_14default_configENS1_38merge_sort_block_merge_config_selectorIxNS0_10empty_typeEEEZZNS1_27merge_sort_block_merge_implIS3_PxPS5_jNS1_19radix_merge_compareILb1ELb1ExNS0_19identity_decomposerEEEEE10hipError_tT0_T1_T2_jT3_P12ihipStream_tbPNSt15iterator_traitsISE_E10value_typeEPNSK_ISF_E10value_typeEPSG_NS1_7vsmem_tEENKUlT_SE_SF_SG_E_clIS8_S8_S9_S9_EESD_ST_SE_SF_SG_EUlST_E1_NS1_11comp_targetILNS1_3genE3ELNS1_11target_archE908ELNS1_3gpuE7ELNS1_3repE0EEENS1_36merge_oddeven_config_static_selectorELNS0_4arch9wavefront6targetE1EEEvSF_
	.p2align	8
	.type	_ZN7rocprim17ROCPRIM_400000_NS6detail17trampoline_kernelINS0_14default_configENS1_38merge_sort_block_merge_config_selectorIxNS0_10empty_typeEEEZZNS1_27merge_sort_block_merge_implIS3_PxPS5_jNS1_19radix_merge_compareILb1ELb1ExNS0_19identity_decomposerEEEEE10hipError_tT0_T1_T2_jT3_P12ihipStream_tbPNSt15iterator_traitsISE_E10value_typeEPNSK_ISF_E10value_typeEPSG_NS1_7vsmem_tEENKUlT_SE_SF_SG_E_clIS8_S8_S9_S9_EESD_ST_SE_SF_SG_EUlST_E1_NS1_11comp_targetILNS1_3genE3ELNS1_11target_archE908ELNS1_3gpuE7ELNS1_3repE0EEENS1_36merge_oddeven_config_static_selectorELNS0_4arch9wavefront6targetE1EEEvSF_,@function
_ZN7rocprim17ROCPRIM_400000_NS6detail17trampoline_kernelINS0_14default_configENS1_38merge_sort_block_merge_config_selectorIxNS0_10empty_typeEEEZZNS1_27merge_sort_block_merge_implIS3_PxPS5_jNS1_19radix_merge_compareILb1ELb1ExNS0_19identity_decomposerEEEEE10hipError_tT0_T1_T2_jT3_P12ihipStream_tbPNSt15iterator_traitsISE_E10value_typeEPNSK_ISF_E10value_typeEPSG_NS1_7vsmem_tEENKUlT_SE_SF_SG_E_clIS8_S8_S9_S9_EESD_ST_SE_SF_SG_EUlST_E1_NS1_11comp_targetILNS1_3genE3ELNS1_11target_archE908ELNS1_3gpuE7ELNS1_3repE0EEENS1_36merge_oddeven_config_static_selectorELNS0_4arch9wavefront6targetE1EEEvSF_: ; @_ZN7rocprim17ROCPRIM_400000_NS6detail17trampoline_kernelINS0_14default_configENS1_38merge_sort_block_merge_config_selectorIxNS0_10empty_typeEEEZZNS1_27merge_sort_block_merge_implIS3_PxPS5_jNS1_19radix_merge_compareILb1ELb1ExNS0_19identity_decomposerEEEEE10hipError_tT0_T1_T2_jT3_P12ihipStream_tbPNSt15iterator_traitsISE_E10value_typeEPNSK_ISF_E10value_typeEPSG_NS1_7vsmem_tEENKUlT_SE_SF_SG_E_clIS8_S8_S9_S9_EESD_ST_SE_SF_SG_EUlST_E1_NS1_11comp_targetILNS1_3genE3ELNS1_11target_archE908ELNS1_3gpuE7ELNS1_3repE0EEENS1_36merge_oddeven_config_static_selectorELNS0_4arch9wavefront6targetE1EEEvSF_
; %bb.0:
	.section	.rodata,"a",@progbits
	.p2align	6, 0x0
	.amdhsa_kernel _ZN7rocprim17ROCPRIM_400000_NS6detail17trampoline_kernelINS0_14default_configENS1_38merge_sort_block_merge_config_selectorIxNS0_10empty_typeEEEZZNS1_27merge_sort_block_merge_implIS3_PxPS5_jNS1_19radix_merge_compareILb1ELb1ExNS0_19identity_decomposerEEEEE10hipError_tT0_T1_T2_jT3_P12ihipStream_tbPNSt15iterator_traitsISE_E10value_typeEPNSK_ISF_E10value_typeEPSG_NS1_7vsmem_tEENKUlT_SE_SF_SG_E_clIS8_S8_S9_S9_EESD_ST_SE_SF_SG_EUlST_E1_NS1_11comp_targetILNS1_3genE3ELNS1_11target_archE908ELNS1_3gpuE7ELNS1_3repE0EEENS1_36merge_oddeven_config_static_selectorELNS0_4arch9wavefront6targetE1EEEvSF_
		.amdhsa_group_segment_fixed_size 0
		.amdhsa_private_segment_fixed_size 0
		.amdhsa_kernarg_size 48
		.amdhsa_user_sgpr_count 6
		.amdhsa_user_sgpr_private_segment_buffer 1
		.amdhsa_user_sgpr_dispatch_ptr 0
		.amdhsa_user_sgpr_queue_ptr 0
		.amdhsa_user_sgpr_kernarg_segment_ptr 1
		.amdhsa_user_sgpr_dispatch_id 0
		.amdhsa_user_sgpr_flat_scratch_init 0
		.amdhsa_user_sgpr_kernarg_preload_length 0
		.amdhsa_user_sgpr_kernarg_preload_offset 0
		.amdhsa_user_sgpr_private_segment_size 0
		.amdhsa_uses_dynamic_stack 0
		.amdhsa_system_sgpr_private_segment_wavefront_offset 0
		.amdhsa_system_sgpr_workgroup_id_x 1
		.amdhsa_system_sgpr_workgroup_id_y 0
		.amdhsa_system_sgpr_workgroup_id_z 0
		.amdhsa_system_sgpr_workgroup_info 0
		.amdhsa_system_vgpr_workitem_id 0
		.amdhsa_next_free_vgpr 1
		.amdhsa_next_free_sgpr 0
		.amdhsa_accum_offset 4
		.amdhsa_reserve_vcc 0
		.amdhsa_reserve_flat_scratch 0
		.amdhsa_float_round_mode_32 0
		.amdhsa_float_round_mode_16_64 0
		.amdhsa_float_denorm_mode_32 3
		.amdhsa_float_denorm_mode_16_64 3
		.amdhsa_dx10_clamp 1
		.amdhsa_ieee_mode 1
		.amdhsa_fp16_overflow 0
		.amdhsa_tg_split 0
		.amdhsa_exception_fp_ieee_invalid_op 0
		.amdhsa_exception_fp_denorm_src 0
		.amdhsa_exception_fp_ieee_div_zero 0
		.amdhsa_exception_fp_ieee_overflow 0
		.amdhsa_exception_fp_ieee_underflow 0
		.amdhsa_exception_fp_ieee_inexact 0
		.amdhsa_exception_int_div_zero 0
	.end_amdhsa_kernel
	.section	.text._ZN7rocprim17ROCPRIM_400000_NS6detail17trampoline_kernelINS0_14default_configENS1_38merge_sort_block_merge_config_selectorIxNS0_10empty_typeEEEZZNS1_27merge_sort_block_merge_implIS3_PxPS5_jNS1_19radix_merge_compareILb1ELb1ExNS0_19identity_decomposerEEEEE10hipError_tT0_T1_T2_jT3_P12ihipStream_tbPNSt15iterator_traitsISE_E10value_typeEPNSK_ISF_E10value_typeEPSG_NS1_7vsmem_tEENKUlT_SE_SF_SG_E_clIS8_S8_S9_S9_EESD_ST_SE_SF_SG_EUlST_E1_NS1_11comp_targetILNS1_3genE3ELNS1_11target_archE908ELNS1_3gpuE7ELNS1_3repE0EEENS1_36merge_oddeven_config_static_selectorELNS0_4arch9wavefront6targetE1EEEvSF_,"axG",@progbits,_ZN7rocprim17ROCPRIM_400000_NS6detail17trampoline_kernelINS0_14default_configENS1_38merge_sort_block_merge_config_selectorIxNS0_10empty_typeEEEZZNS1_27merge_sort_block_merge_implIS3_PxPS5_jNS1_19radix_merge_compareILb1ELb1ExNS0_19identity_decomposerEEEEE10hipError_tT0_T1_T2_jT3_P12ihipStream_tbPNSt15iterator_traitsISE_E10value_typeEPNSK_ISF_E10value_typeEPSG_NS1_7vsmem_tEENKUlT_SE_SF_SG_E_clIS8_S8_S9_S9_EESD_ST_SE_SF_SG_EUlST_E1_NS1_11comp_targetILNS1_3genE3ELNS1_11target_archE908ELNS1_3gpuE7ELNS1_3repE0EEENS1_36merge_oddeven_config_static_selectorELNS0_4arch9wavefront6targetE1EEEvSF_,comdat
.Lfunc_end2362:
	.size	_ZN7rocprim17ROCPRIM_400000_NS6detail17trampoline_kernelINS0_14default_configENS1_38merge_sort_block_merge_config_selectorIxNS0_10empty_typeEEEZZNS1_27merge_sort_block_merge_implIS3_PxPS5_jNS1_19radix_merge_compareILb1ELb1ExNS0_19identity_decomposerEEEEE10hipError_tT0_T1_T2_jT3_P12ihipStream_tbPNSt15iterator_traitsISE_E10value_typeEPNSK_ISF_E10value_typeEPSG_NS1_7vsmem_tEENKUlT_SE_SF_SG_E_clIS8_S8_S9_S9_EESD_ST_SE_SF_SG_EUlST_E1_NS1_11comp_targetILNS1_3genE3ELNS1_11target_archE908ELNS1_3gpuE7ELNS1_3repE0EEENS1_36merge_oddeven_config_static_selectorELNS0_4arch9wavefront6targetE1EEEvSF_, .Lfunc_end2362-_ZN7rocprim17ROCPRIM_400000_NS6detail17trampoline_kernelINS0_14default_configENS1_38merge_sort_block_merge_config_selectorIxNS0_10empty_typeEEEZZNS1_27merge_sort_block_merge_implIS3_PxPS5_jNS1_19radix_merge_compareILb1ELb1ExNS0_19identity_decomposerEEEEE10hipError_tT0_T1_T2_jT3_P12ihipStream_tbPNSt15iterator_traitsISE_E10value_typeEPNSK_ISF_E10value_typeEPSG_NS1_7vsmem_tEENKUlT_SE_SF_SG_E_clIS8_S8_S9_S9_EESD_ST_SE_SF_SG_EUlST_E1_NS1_11comp_targetILNS1_3genE3ELNS1_11target_archE908ELNS1_3gpuE7ELNS1_3repE0EEENS1_36merge_oddeven_config_static_selectorELNS0_4arch9wavefront6targetE1EEEvSF_
                                        ; -- End function
	.section	.AMDGPU.csdata,"",@progbits
; Kernel info:
; codeLenInByte = 0
; NumSgprs: 4
; NumVgprs: 0
; NumAgprs: 0
; TotalNumVgprs: 0
; ScratchSize: 0
; MemoryBound: 0
; FloatMode: 240
; IeeeMode: 1
; LDSByteSize: 0 bytes/workgroup (compile time only)
; SGPRBlocks: 0
; VGPRBlocks: 0
; NumSGPRsForWavesPerEU: 4
; NumVGPRsForWavesPerEU: 1
; AccumOffset: 4
; Occupancy: 8
; WaveLimiterHint : 0
; COMPUTE_PGM_RSRC2:SCRATCH_EN: 0
; COMPUTE_PGM_RSRC2:USER_SGPR: 6
; COMPUTE_PGM_RSRC2:TRAP_HANDLER: 0
; COMPUTE_PGM_RSRC2:TGID_X_EN: 1
; COMPUTE_PGM_RSRC2:TGID_Y_EN: 0
; COMPUTE_PGM_RSRC2:TGID_Z_EN: 0
; COMPUTE_PGM_RSRC2:TIDIG_COMP_CNT: 0
; COMPUTE_PGM_RSRC3_GFX90A:ACCUM_OFFSET: 0
; COMPUTE_PGM_RSRC3_GFX90A:TG_SPLIT: 0
	.section	.text._ZN7rocprim17ROCPRIM_400000_NS6detail17trampoline_kernelINS0_14default_configENS1_38merge_sort_block_merge_config_selectorIxNS0_10empty_typeEEEZZNS1_27merge_sort_block_merge_implIS3_PxPS5_jNS1_19radix_merge_compareILb1ELb1ExNS0_19identity_decomposerEEEEE10hipError_tT0_T1_T2_jT3_P12ihipStream_tbPNSt15iterator_traitsISE_E10value_typeEPNSK_ISF_E10value_typeEPSG_NS1_7vsmem_tEENKUlT_SE_SF_SG_E_clIS8_S8_S9_S9_EESD_ST_SE_SF_SG_EUlST_E1_NS1_11comp_targetILNS1_3genE2ELNS1_11target_archE906ELNS1_3gpuE6ELNS1_3repE0EEENS1_36merge_oddeven_config_static_selectorELNS0_4arch9wavefront6targetE1EEEvSF_,"axG",@progbits,_ZN7rocprim17ROCPRIM_400000_NS6detail17trampoline_kernelINS0_14default_configENS1_38merge_sort_block_merge_config_selectorIxNS0_10empty_typeEEEZZNS1_27merge_sort_block_merge_implIS3_PxPS5_jNS1_19radix_merge_compareILb1ELb1ExNS0_19identity_decomposerEEEEE10hipError_tT0_T1_T2_jT3_P12ihipStream_tbPNSt15iterator_traitsISE_E10value_typeEPNSK_ISF_E10value_typeEPSG_NS1_7vsmem_tEENKUlT_SE_SF_SG_E_clIS8_S8_S9_S9_EESD_ST_SE_SF_SG_EUlST_E1_NS1_11comp_targetILNS1_3genE2ELNS1_11target_archE906ELNS1_3gpuE6ELNS1_3repE0EEENS1_36merge_oddeven_config_static_selectorELNS0_4arch9wavefront6targetE1EEEvSF_,comdat
	.protected	_ZN7rocprim17ROCPRIM_400000_NS6detail17trampoline_kernelINS0_14default_configENS1_38merge_sort_block_merge_config_selectorIxNS0_10empty_typeEEEZZNS1_27merge_sort_block_merge_implIS3_PxPS5_jNS1_19radix_merge_compareILb1ELb1ExNS0_19identity_decomposerEEEEE10hipError_tT0_T1_T2_jT3_P12ihipStream_tbPNSt15iterator_traitsISE_E10value_typeEPNSK_ISF_E10value_typeEPSG_NS1_7vsmem_tEENKUlT_SE_SF_SG_E_clIS8_S8_S9_S9_EESD_ST_SE_SF_SG_EUlST_E1_NS1_11comp_targetILNS1_3genE2ELNS1_11target_archE906ELNS1_3gpuE6ELNS1_3repE0EEENS1_36merge_oddeven_config_static_selectorELNS0_4arch9wavefront6targetE1EEEvSF_ ; -- Begin function _ZN7rocprim17ROCPRIM_400000_NS6detail17trampoline_kernelINS0_14default_configENS1_38merge_sort_block_merge_config_selectorIxNS0_10empty_typeEEEZZNS1_27merge_sort_block_merge_implIS3_PxPS5_jNS1_19radix_merge_compareILb1ELb1ExNS0_19identity_decomposerEEEEE10hipError_tT0_T1_T2_jT3_P12ihipStream_tbPNSt15iterator_traitsISE_E10value_typeEPNSK_ISF_E10value_typeEPSG_NS1_7vsmem_tEENKUlT_SE_SF_SG_E_clIS8_S8_S9_S9_EESD_ST_SE_SF_SG_EUlST_E1_NS1_11comp_targetILNS1_3genE2ELNS1_11target_archE906ELNS1_3gpuE6ELNS1_3repE0EEENS1_36merge_oddeven_config_static_selectorELNS0_4arch9wavefront6targetE1EEEvSF_
	.globl	_ZN7rocprim17ROCPRIM_400000_NS6detail17trampoline_kernelINS0_14default_configENS1_38merge_sort_block_merge_config_selectorIxNS0_10empty_typeEEEZZNS1_27merge_sort_block_merge_implIS3_PxPS5_jNS1_19radix_merge_compareILb1ELb1ExNS0_19identity_decomposerEEEEE10hipError_tT0_T1_T2_jT3_P12ihipStream_tbPNSt15iterator_traitsISE_E10value_typeEPNSK_ISF_E10value_typeEPSG_NS1_7vsmem_tEENKUlT_SE_SF_SG_E_clIS8_S8_S9_S9_EESD_ST_SE_SF_SG_EUlST_E1_NS1_11comp_targetILNS1_3genE2ELNS1_11target_archE906ELNS1_3gpuE6ELNS1_3repE0EEENS1_36merge_oddeven_config_static_selectorELNS0_4arch9wavefront6targetE1EEEvSF_
	.p2align	8
	.type	_ZN7rocprim17ROCPRIM_400000_NS6detail17trampoline_kernelINS0_14default_configENS1_38merge_sort_block_merge_config_selectorIxNS0_10empty_typeEEEZZNS1_27merge_sort_block_merge_implIS3_PxPS5_jNS1_19radix_merge_compareILb1ELb1ExNS0_19identity_decomposerEEEEE10hipError_tT0_T1_T2_jT3_P12ihipStream_tbPNSt15iterator_traitsISE_E10value_typeEPNSK_ISF_E10value_typeEPSG_NS1_7vsmem_tEENKUlT_SE_SF_SG_E_clIS8_S8_S9_S9_EESD_ST_SE_SF_SG_EUlST_E1_NS1_11comp_targetILNS1_3genE2ELNS1_11target_archE906ELNS1_3gpuE6ELNS1_3repE0EEENS1_36merge_oddeven_config_static_selectorELNS0_4arch9wavefront6targetE1EEEvSF_,@function
_ZN7rocprim17ROCPRIM_400000_NS6detail17trampoline_kernelINS0_14default_configENS1_38merge_sort_block_merge_config_selectorIxNS0_10empty_typeEEEZZNS1_27merge_sort_block_merge_implIS3_PxPS5_jNS1_19radix_merge_compareILb1ELb1ExNS0_19identity_decomposerEEEEE10hipError_tT0_T1_T2_jT3_P12ihipStream_tbPNSt15iterator_traitsISE_E10value_typeEPNSK_ISF_E10value_typeEPSG_NS1_7vsmem_tEENKUlT_SE_SF_SG_E_clIS8_S8_S9_S9_EESD_ST_SE_SF_SG_EUlST_E1_NS1_11comp_targetILNS1_3genE2ELNS1_11target_archE906ELNS1_3gpuE6ELNS1_3repE0EEENS1_36merge_oddeven_config_static_selectorELNS0_4arch9wavefront6targetE1EEEvSF_: ; @_ZN7rocprim17ROCPRIM_400000_NS6detail17trampoline_kernelINS0_14default_configENS1_38merge_sort_block_merge_config_selectorIxNS0_10empty_typeEEEZZNS1_27merge_sort_block_merge_implIS3_PxPS5_jNS1_19radix_merge_compareILb1ELb1ExNS0_19identity_decomposerEEEEE10hipError_tT0_T1_T2_jT3_P12ihipStream_tbPNSt15iterator_traitsISE_E10value_typeEPNSK_ISF_E10value_typeEPSG_NS1_7vsmem_tEENKUlT_SE_SF_SG_E_clIS8_S8_S9_S9_EESD_ST_SE_SF_SG_EUlST_E1_NS1_11comp_targetILNS1_3genE2ELNS1_11target_archE906ELNS1_3gpuE6ELNS1_3repE0EEENS1_36merge_oddeven_config_static_selectorELNS0_4arch9wavefront6targetE1EEEvSF_
; %bb.0:
	.section	.rodata,"a",@progbits
	.p2align	6, 0x0
	.amdhsa_kernel _ZN7rocprim17ROCPRIM_400000_NS6detail17trampoline_kernelINS0_14default_configENS1_38merge_sort_block_merge_config_selectorIxNS0_10empty_typeEEEZZNS1_27merge_sort_block_merge_implIS3_PxPS5_jNS1_19radix_merge_compareILb1ELb1ExNS0_19identity_decomposerEEEEE10hipError_tT0_T1_T2_jT3_P12ihipStream_tbPNSt15iterator_traitsISE_E10value_typeEPNSK_ISF_E10value_typeEPSG_NS1_7vsmem_tEENKUlT_SE_SF_SG_E_clIS8_S8_S9_S9_EESD_ST_SE_SF_SG_EUlST_E1_NS1_11comp_targetILNS1_3genE2ELNS1_11target_archE906ELNS1_3gpuE6ELNS1_3repE0EEENS1_36merge_oddeven_config_static_selectorELNS0_4arch9wavefront6targetE1EEEvSF_
		.amdhsa_group_segment_fixed_size 0
		.amdhsa_private_segment_fixed_size 0
		.amdhsa_kernarg_size 48
		.amdhsa_user_sgpr_count 6
		.amdhsa_user_sgpr_private_segment_buffer 1
		.amdhsa_user_sgpr_dispatch_ptr 0
		.amdhsa_user_sgpr_queue_ptr 0
		.amdhsa_user_sgpr_kernarg_segment_ptr 1
		.amdhsa_user_sgpr_dispatch_id 0
		.amdhsa_user_sgpr_flat_scratch_init 0
		.amdhsa_user_sgpr_kernarg_preload_length 0
		.amdhsa_user_sgpr_kernarg_preload_offset 0
		.amdhsa_user_sgpr_private_segment_size 0
		.amdhsa_uses_dynamic_stack 0
		.amdhsa_system_sgpr_private_segment_wavefront_offset 0
		.amdhsa_system_sgpr_workgroup_id_x 1
		.amdhsa_system_sgpr_workgroup_id_y 0
		.amdhsa_system_sgpr_workgroup_id_z 0
		.amdhsa_system_sgpr_workgroup_info 0
		.amdhsa_system_vgpr_workitem_id 0
		.amdhsa_next_free_vgpr 1
		.amdhsa_next_free_sgpr 0
		.amdhsa_accum_offset 4
		.amdhsa_reserve_vcc 0
		.amdhsa_reserve_flat_scratch 0
		.amdhsa_float_round_mode_32 0
		.amdhsa_float_round_mode_16_64 0
		.amdhsa_float_denorm_mode_32 3
		.amdhsa_float_denorm_mode_16_64 3
		.amdhsa_dx10_clamp 1
		.amdhsa_ieee_mode 1
		.amdhsa_fp16_overflow 0
		.amdhsa_tg_split 0
		.amdhsa_exception_fp_ieee_invalid_op 0
		.amdhsa_exception_fp_denorm_src 0
		.amdhsa_exception_fp_ieee_div_zero 0
		.amdhsa_exception_fp_ieee_overflow 0
		.amdhsa_exception_fp_ieee_underflow 0
		.amdhsa_exception_fp_ieee_inexact 0
		.amdhsa_exception_int_div_zero 0
	.end_amdhsa_kernel
	.section	.text._ZN7rocprim17ROCPRIM_400000_NS6detail17trampoline_kernelINS0_14default_configENS1_38merge_sort_block_merge_config_selectorIxNS0_10empty_typeEEEZZNS1_27merge_sort_block_merge_implIS3_PxPS5_jNS1_19radix_merge_compareILb1ELb1ExNS0_19identity_decomposerEEEEE10hipError_tT0_T1_T2_jT3_P12ihipStream_tbPNSt15iterator_traitsISE_E10value_typeEPNSK_ISF_E10value_typeEPSG_NS1_7vsmem_tEENKUlT_SE_SF_SG_E_clIS8_S8_S9_S9_EESD_ST_SE_SF_SG_EUlST_E1_NS1_11comp_targetILNS1_3genE2ELNS1_11target_archE906ELNS1_3gpuE6ELNS1_3repE0EEENS1_36merge_oddeven_config_static_selectorELNS0_4arch9wavefront6targetE1EEEvSF_,"axG",@progbits,_ZN7rocprim17ROCPRIM_400000_NS6detail17trampoline_kernelINS0_14default_configENS1_38merge_sort_block_merge_config_selectorIxNS0_10empty_typeEEEZZNS1_27merge_sort_block_merge_implIS3_PxPS5_jNS1_19radix_merge_compareILb1ELb1ExNS0_19identity_decomposerEEEEE10hipError_tT0_T1_T2_jT3_P12ihipStream_tbPNSt15iterator_traitsISE_E10value_typeEPNSK_ISF_E10value_typeEPSG_NS1_7vsmem_tEENKUlT_SE_SF_SG_E_clIS8_S8_S9_S9_EESD_ST_SE_SF_SG_EUlST_E1_NS1_11comp_targetILNS1_3genE2ELNS1_11target_archE906ELNS1_3gpuE6ELNS1_3repE0EEENS1_36merge_oddeven_config_static_selectorELNS0_4arch9wavefront6targetE1EEEvSF_,comdat
.Lfunc_end2363:
	.size	_ZN7rocprim17ROCPRIM_400000_NS6detail17trampoline_kernelINS0_14default_configENS1_38merge_sort_block_merge_config_selectorIxNS0_10empty_typeEEEZZNS1_27merge_sort_block_merge_implIS3_PxPS5_jNS1_19radix_merge_compareILb1ELb1ExNS0_19identity_decomposerEEEEE10hipError_tT0_T1_T2_jT3_P12ihipStream_tbPNSt15iterator_traitsISE_E10value_typeEPNSK_ISF_E10value_typeEPSG_NS1_7vsmem_tEENKUlT_SE_SF_SG_E_clIS8_S8_S9_S9_EESD_ST_SE_SF_SG_EUlST_E1_NS1_11comp_targetILNS1_3genE2ELNS1_11target_archE906ELNS1_3gpuE6ELNS1_3repE0EEENS1_36merge_oddeven_config_static_selectorELNS0_4arch9wavefront6targetE1EEEvSF_, .Lfunc_end2363-_ZN7rocprim17ROCPRIM_400000_NS6detail17trampoline_kernelINS0_14default_configENS1_38merge_sort_block_merge_config_selectorIxNS0_10empty_typeEEEZZNS1_27merge_sort_block_merge_implIS3_PxPS5_jNS1_19radix_merge_compareILb1ELb1ExNS0_19identity_decomposerEEEEE10hipError_tT0_T1_T2_jT3_P12ihipStream_tbPNSt15iterator_traitsISE_E10value_typeEPNSK_ISF_E10value_typeEPSG_NS1_7vsmem_tEENKUlT_SE_SF_SG_E_clIS8_S8_S9_S9_EESD_ST_SE_SF_SG_EUlST_E1_NS1_11comp_targetILNS1_3genE2ELNS1_11target_archE906ELNS1_3gpuE6ELNS1_3repE0EEENS1_36merge_oddeven_config_static_selectorELNS0_4arch9wavefront6targetE1EEEvSF_
                                        ; -- End function
	.section	.AMDGPU.csdata,"",@progbits
; Kernel info:
; codeLenInByte = 0
; NumSgprs: 4
; NumVgprs: 0
; NumAgprs: 0
; TotalNumVgprs: 0
; ScratchSize: 0
; MemoryBound: 0
; FloatMode: 240
; IeeeMode: 1
; LDSByteSize: 0 bytes/workgroup (compile time only)
; SGPRBlocks: 0
; VGPRBlocks: 0
; NumSGPRsForWavesPerEU: 4
; NumVGPRsForWavesPerEU: 1
; AccumOffset: 4
; Occupancy: 8
; WaveLimiterHint : 0
; COMPUTE_PGM_RSRC2:SCRATCH_EN: 0
; COMPUTE_PGM_RSRC2:USER_SGPR: 6
; COMPUTE_PGM_RSRC2:TRAP_HANDLER: 0
; COMPUTE_PGM_RSRC2:TGID_X_EN: 1
; COMPUTE_PGM_RSRC2:TGID_Y_EN: 0
; COMPUTE_PGM_RSRC2:TGID_Z_EN: 0
; COMPUTE_PGM_RSRC2:TIDIG_COMP_CNT: 0
; COMPUTE_PGM_RSRC3_GFX90A:ACCUM_OFFSET: 0
; COMPUTE_PGM_RSRC3_GFX90A:TG_SPLIT: 0
	.section	.text._ZN7rocprim17ROCPRIM_400000_NS6detail17trampoline_kernelINS0_14default_configENS1_38merge_sort_block_merge_config_selectorIxNS0_10empty_typeEEEZZNS1_27merge_sort_block_merge_implIS3_PxPS5_jNS1_19radix_merge_compareILb1ELb1ExNS0_19identity_decomposerEEEEE10hipError_tT0_T1_T2_jT3_P12ihipStream_tbPNSt15iterator_traitsISE_E10value_typeEPNSK_ISF_E10value_typeEPSG_NS1_7vsmem_tEENKUlT_SE_SF_SG_E_clIS8_S8_S9_S9_EESD_ST_SE_SF_SG_EUlST_E1_NS1_11comp_targetILNS1_3genE9ELNS1_11target_archE1100ELNS1_3gpuE3ELNS1_3repE0EEENS1_36merge_oddeven_config_static_selectorELNS0_4arch9wavefront6targetE1EEEvSF_,"axG",@progbits,_ZN7rocprim17ROCPRIM_400000_NS6detail17trampoline_kernelINS0_14default_configENS1_38merge_sort_block_merge_config_selectorIxNS0_10empty_typeEEEZZNS1_27merge_sort_block_merge_implIS3_PxPS5_jNS1_19radix_merge_compareILb1ELb1ExNS0_19identity_decomposerEEEEE10hipError_tT0_T1_T2_jT3_P12ihipStream_tbPNSt15iterator_traitsISE_E10value_typeEPNSK_ISF_E10value_typeEPSG_NS1_7vsmem_tEENKUlT_SE_SF_SG_E_clIS8_S8_S9_S9_EESD_ST_SE_SF_SG_EUlST_E1_NS1_11comp_targetILNS1_3genE9ELNS1_11target_archE1100ELNS1_3gpuE3ELNS1_3repE0EEENS1_36merge_oddeven_config_static_selectorELNS0_4arch9wavefront6targetE1EEEvSF_,comdat
	.protected	_ZN7rocprim17ROCPRIM_400000_NS6detail17trampoline_kernelINS0_14default_configENS1_38merge_sort_block_merge_config_selectorIxNS0_10empty_typeEEEZZNS1_27merge_sort_block_merge_implIS3_PxPS5_jNS1_19radix_merge_compareILb1ELb1ExNS0_19identity_decomposerEEEEE10hipError_tT0_T1_T2_jT3_P12ihipStream_tbPNSt15iterator_traitsISE_E10value_typeEPNSK_ISF_E10value_typeEPSG_NS1_7vsmem_tEENKUlT_SE_SF_SG_E_clIS8_S8_S9_S9_EESD_ST_SE_SF_SG_EUlST_E1_NS1_11comp_targetILNS1_3genE9ELNS1_11target_archE1100ELNS1_3gpuE3ELNS1_3repE0EEENS1_36merge_oddeven_config_static_selectorELNS0_4arch9wavefront6targetE1EEEvSF_ ; -- Begin function _ZN7rocprim17ROCPRIM_400000_NS6detail17trampoline_kernelINS0_14default_configENS1_38merge_sort_block_merge_config_selectorIxNS0_10empty_typeEEEZZNS1_27merge_sort_block_merge_implIS3_PxPS5_jNS1_19radix_merge_compareILb1ELb1ExNS0_19identity_decomposerEEEEE10hipError_tT0_T1_T2_jT3_P12ihipStream_tbPNSt15iterator_traitsISE_E10value_typeEPNSK_ISF_E10value_typeEPSG_NS1_7vsmem_tEENKUlT_SE_SF_SG_E_clIS8_S8_S9_S9_EESD_ST_SE_SF_SG_EUlST_E1_NS1_11comp_targetILNS1_3genE9ELNS1_11target_archE1100ELNS1_3gpuE3ELNS1_3repE0EEENS1_36merge_oddeven_config_static_selectorELNS0_4arch9wavefront6targetE1EEEvSF_
	.globl	_ZN7rocprim17ROCPRIM_400000_NS6detail17trampoline_kernelINS0_14default_configENS1_38merge_sort_block_merge_config_selectorIxNS0_10empty_typeEEEZZNS1_27merge_sort_block_merge_implIS3_PxPS5_jNS1_19radix_merge_compareILb1ELb1ExNS0_19identity_decomposerEEEEE10hipError_tT0_T1_T2_jT3_P12ihipStream_tbPNSt15iterator_traitsISE_E10value_typeEPNSK_ISF_E10value_typeEPSG_NS1_7vsmem_tEENKUlT_SE_SF_SG_E_clIS8_S8_S9_S9_EESD_ST_SE_SF_SG_EUlST_E1_NS1_11comp_targetILNS1_3genE9ELNS1_11target_archE1100ELNS1_3gpuE3ELNS1_3repE0EEENS1_36merge_oddeven_config_static_selectorELNS0_4arch9wavefront6targetE1EEEvSF_
	.p2align	8
	.type	_ZN7rocprim17ROCPRIM_400000_NS6detail17trampoline_kernelINS0_14default_configENS1_38merge_sort_block_merge_config_selectorIxNS0_10empty_typeEEEZZNS1_27merge_sort_block_merge_implIS3_PxPS5_jNS1_19radix_merge_compareILb1ELb1ExNS0_19identity_decomposerEEEEE10hipError_tT0_T1_T2_jT3_P12ihipStream_tbPNSt15iterator_traitsISE_E10value_typeEPNSK_ISF_E10value_typeEPSG_NS1_7vsmem_tEENKUlT_SE_SF_SG_E_clIS8_S8_S9_S9_EESD_ST_SE_SF_SG_EUlST_E1_NS1_11comp_targetILNS1_3genE9ELNS1_11target_archE1100ELNS1_3gpuE3ELNS1_3repE0EEENS1_36merge_oddeven_config_static_selectorELNS0_4arch9wavefront6targetE1EEEvSF_,@function
_ZN7rocprim17ROCPRIM_400000_NS6detail17trampoline_kernelINS0_14default_configENS1_38merge_sort_block_merge_config_selectorIxNS0_10empty_typeEEEZZNS1_27merge_sort_block_merge_implIS3_PxPS5_jNS1_19radix_merge_compareILb1ELb1ExNS0_19identity_decomposerEEEEE10hipError_tT0_T1_T2_jT3_P12ihipStream_tbPNSt15iterator_traitsISE_E10value_typeEPNSK_ISF_E10value_typeEPSG_NS1_7vsmem_tEENKUlT_SE_SF_SG_E_clIS8_S8_S9_S9_EESD_ST_SE_SF_SG_EUlST_E1_NS1_11comp_targetILNS1_3genE9ELNS1_11target_archE1100ELNS1_3gpuE3ELNS1_3repE0EEENS1_36merge_oddeven_config_static_selectorELNS0_4arch9wavefront6targetE1EEEvSF_: ; @_ZN7rocprim17ROCPRIM_400000_NS6detail17trampoline_kernelINS0_14default_configENS1_38merge_sort_block_merge_config_selectorIxNS0_10empty_typeEEEZZNS1_27merge_sort_block_merge_implIS3_PxPS5_jNS1_19radix_merge_compareILb1ELb1ExNS0_19identity_decomposerEEEEE10hipError_tT0_T1_T2_jT3_P12ihipStream_tbPNSt15iterator_traitsISE_E10value_typeEPNSK_ISF_E10value_typeEPSG_NS1_7vsmem_tEENKUlT_SE_SF_SG_E_clIS8_S8_S9_S9_EESD_ST_SE_SF_SG_EUlST_E1_NS1_11comp_targetILNS1_3genE9ELNS1_11target_archE1100ELNS1_3gpuE3ELNS1_3repE0EEENS1_36merge_oddeven_config_static_selectorELNS0_4arch9wavefront6targetE1EEEvSF_
; %bb.0:
	.section	.rodata,"a",@progbits
	.p2align	6, 0x0
	.amdhsa_kernel _ZN7rocprim17ROCPRIM_400000_NS6detail17trampoline_kernelINS0_14default_configENS1_38merge_sort_block_merge_config_selectorIxNS0_10empty_typeEEEZZNS1_27merge_sort_block_merge_implIS3_PxPS5_jNS1_19radix_merge_compareILb1ELb1ExNS0_19identity_decomposerEEEEE10hipError_tT0_T1_T2_jT3_P12ihipStream_tbPNSt15iterator_traitsISE_E10value_typeEPNSK_ISF_E10value_typeEPSG_NS1_7vsmem_tEENKUlT_SE_SF_SG_E_clIS8_S8_S9_S9_EESD_ST_SE_SF_SG_EUlST_E1_NS1_11comp_targetILNS1_3genE9ELNS1_11target_archE1100ELNS1_3gpuE3ELNS1_3repE0EEENS1_36merge_oddeven_config_static_selectorELNS0_4arch9wavefront6targetE1EEEvSF_
		.amdhsa_group_segment_fixed_size 0
		.amdhsa_private_segment_fixed_size 0
		.amdhsa_kernarg_size 48
		.amdhsa_user_sgpr_count 6
		.amdhsa_user_sgpr_private_segment_buffer 1
		.amdhsa_user_sgpr_dispatch_ptr 0
		.amdhsa_user_sgpr_queue_ptr 0
		.amdhsa_user_sgpr_kernarg_segment_ptr 1
		.amdhsa_user_sgpr_dispatch_id 0
		.amdhsa_user_sgpr_flat_scratch_init 0
		.amdhsa_user_sgpr_kernarg_preload_length 0
		.amdhsa_user_sgpr_kernarg_preload_offset 0
		.amdhsa_user_sgpr_private_segment_size 0
		.amdhsa_uses_dynamic_stack 0
		.amdhsa_system_sgpr_private_segment_wavefront_offset 0
		.amdhsa_system_sgpr_workgroup_id_x 1
		.amdhsa_system_sgpr_workgroup_id_y 0
		.amdhsa_system_sgpr_workgroup_id_z 0
		.amdhsa_system_sgpr_workgroup_info 0
		.amdhsa_system_vgpr_workitem_id 0
		.amdhsa_next_free_vgpr 1
		.amdhsa_next_free_sgpr 0
		.amdhsa_accum_offset 4
		.amdhsa_reserve_vcc 0
		.amdhsa_reserve_flat_scratch 0
		.amdhsa_float_round_mode_32 0
		.amdhsa_float_round_mode_16_64 0
		.amdhsa_float_denorm_mode_32 3
		.amdhsa_float_denorm_mode_16_64 3
		.amdhsa_dx10_clamp 1
		.amdhsa_ieee_mode 1
		.amdhsa_fp16_overflow 0
		.amdhsa_tg_split 0
		.amdhsa_exception_fp_ieee_invalid_op 0
		.amdhsa_exception_fp_denorm_src 0
		.amdhsa_exception_fp_ieee_div_zero 0
		.amdhsa_exception_fp_ieee_overflow 0
		.amdhsa_exception_fp_ieee_underflow 0
		.amdhsa_exception_fp_ieee_inexact 0
		.amdhsa_exception_int_div_zero 0
	.end_amdhsa_kernel
	.section	.text._ZN7rocprim17ROCPRIM_400000_NS6detail17trampoline_kernelINS0_14default_configENS1_38merge_sort_block_merge_config_selectorIxNS0_10empty_typeEEEZZNS1_27merge_sort_block_merge_implIS3_PxPS5_jNS1_19radix_merge_compareILb1ELb1ExNS0_19identity_decomposerEEEEE10hipError_tT0_T1_T2_jT3_P12ihipStream_tbPNSt15iterator_traitsISE_E10value_typeEPNSK_ISF_E10value_typeEPSG_NS1_7vsmem_tEENKUlT_SE_SF_SG_E_clIS8_S8_S9_S9_EESD_ST_SE_SF_SG_EUlST_E1_NS1_11comp_targetILNS1_3genE9ELNS1_11target_archE1100ELNS1_3gpuE3ELNS1_3repE0EEENS1_36merge_oddeven_config_static_selectorELNS0_4arch9wavefront6targetE1EEEvSF_,"axG",@progbits,_ZN7rocprim17ROCPRIM_400000_NS6detail17trampoline_kernelINS0_14default_configENS1_38merge_sort_block_merge_config_selectorIxNS0_10empty_typeEEEZZNS1_27merge_sort_block_merge_implIS3_PxPS5_jNS1_19radix_merge_compareILb1ELb1ExNS0_19identity_decomposerEEEEE10hipError_tT0_T1_T2_jT3_P12ihipStream_tbPNSt15iterator_traitsISE_E10value_typeEPNSK_ISF_E10value_typeEPSG_NS1_7vsmem_tEENKUlT_SE_SF_SG_E_clIS8_S8_S9_S9_EESD_ST_SE_SF_SG_EUlST_E1_NS1_11comp_targetILNS1_3genE9ELNS1_11target_archE1100ELNS1_3gpuE3ELNS1_3repE0EEENS1_36merge_oddeven_config_static_selectorELNS0_4arch9wavefront6targetE1EEEvSF_,comdat
.Lfunc_end2364:
	.size	_ZN7rocprim17ROCPRIM_400000_NS6detail17trampoline_kernelINS0_14default_configENS1_38merge_sort_block_merge_config_selectorIxNS0_10empty_typeEEEZZNS1_27merge_sort_block_merge_implIS3_PxPS5_jNS1_19radix_merge_compareILb1ELb1ExNS0_19identity_decomposerEEEEE10hipError_tT0_T1_T2_jT3_P12ihipStream_tbPNSt15iterator_traitsISE_E10value_typeEPNSK_ISF_E10value_typeEPSG_NS1_7vsmem_tEENKUlT_SE_SF_SG_E_clIS8_S8_S9_S9_EESD_ST_SE_SF_SG_EUlST_E1_NS1_11comp_targetILNS1_3genE9ELNS1_11target_archE1100ELNS1_3gpuE3ELNS1_3repE0EEENS1_36merge_oddeven_config_static_selectorELNS0_4arch9wavefront6targetE1EEEvSF_, .Lfunc_end2364-_ZN7rocprim17ROCPRIM_400000_NS6detail17trampoline_kernelINS0_14default_configENS1_38merge_sort_block_merge_config_selectorIxNS0_10empty_typeEEEZZNS1_27merge_sort_block_merge_implIS3_PxPS5_jNS1_19radix_merge_compareILb1ELb1ExNS0_19identity_decomposerEEEEE10hipError_tT0_T1_T2_jT3_P12ihipStream_tbPNSt15iterator_traitsISE_E10value_typeEPNSK_ISF_E10value_typeEPSG_NS1_7vsmem_tEENKUlT_SE_SF_SG_E_clIS8_S8_S9_S9_EESD_ST_SE_SF_SG_EUlST_E1_NS1_11comp_targetILNS1_3genE9ELNS1_11target_archE1100ELNS1_3gpuE3ELNS1_3repE0EEENS1_36merge_oddeven_config_static_selectorELNS0_4arch9wavefront6targetE1EEEvSF_
                                        ; -- End function
	.section	.AMDGPU.csdata,"",@progbits
; Kernel info:
; codeLenInByte = 0
; NumSgprs: 4
; NumVgprs: 0
; NumAgprs: 0
; TotalNumVgprs: 0
; ScratchSize: 0
; MemoryBound: 0
; FloatMode: 240
; IeeeMode: 1
; LDSByteSize: 0 bytes/workgroup (compile time only)
; SGPRBlocks: 0
; VGPRBlocks: 0
; NumSGPRsForWavesPerEU: 4
; NumVGPRsForWavesPerEU: 1
; AccumOffset: 4
; Occupancy: 8
; WaveLimiterHint : 0
; COMPUTE_PGM_RSRC2:SCRATCH_EN: 0
; COMPUTE_PGM_RSRC2:USER_SGPR: 6
; COMPUTE_PGM_RSRC2:TRAP_HANDLER: 0
; COMPUTE_PGM_RSRC2:TGID_X_EN: 1
; COMPUTE_PGM_RSRC2:TGID_Y_EN: 0
; COMPUTE_PGM_RSRC2:TGID_Z_EN: 0
; COMPUTE_PGM_RSRC2:TIDIG_COMP_CNT: 0
; COMPUTE_PGM_RSRC3_GFX90A:ACCUM_OFFSET: 0
; COMPUTE_PGM_RSRC3_GFX90A:TG_SPLIT: 0
	.section	.text._ZN7rocprim17ROCPRIM_400000_NS6detail17trampoline_kernelINS0_14default_configENS1_38merge_sort_block_merge_config_selectorIxNS0_10empty_typeEEEZZNS1_27merge_sort_block_merge_implIS3_PxPS5_jNS1_19radix_merge_compareILb1ELb1ExNS0_19identity_decomposerEEEEE10hipError_tT0_T1_T2_jT3_P12ihipStream_tbPNSt15iterator_traitsISE_E10value_typeEPNSK_ISF_E10value_typeEPSG_NS1_7vsmem_tEENKUlT_SE_SF_SG_E_clIS8_S8_S9_S9_EESD_ST_SE_SF_SG_EUlST_E1_NS1_11comp_targetILNS1_3genE8ELNS1_11target_archE1030ELNS1_3gpuE2ELNS1_3repE0EEENS1_36merge_oddeven_config_static_selectorELNS0_4arch9wavefront6targetE1EEEvSF_,"axG",@progbits,_ZN7rocprim17ROCPRIM_400000_NS6detail17trampoline_kernelINS0_14default_configENS1_38merge_sort_block_merge_config_selectorIxNS0_10empty_typeEEEZZNS1_27merge_sort_block_merge_implIS3_PxPS5_jNS1_19radix_merge_compareILb1ELb1ExNS0_19identity_decomposerEEEEE10hipError_tT0_T1_T2_jT3_P12ihipStream_tbPNSt15iterator_traitsISE_E10value_typeEPNSK_ISF_E10value_typeEPSG_NS1_7vsmem_tEENKUlT_SE_SF_SG_E_clIS8_S8_S9_S9_EESD_ST_SE_SF_SG_EUlST_E1_NS1_11comp_targetILNS1_3genE8ELNS1_11target_archE1030ELNS1_3gpuE2ELNS1_3repE0EEENS1_36merge_oddeven_config_static_selectorELNS0_4arch9wavefront6targetE1EEEvSF_,comdat
	.protected	_ZN7rocprim17ROCPRIM_400000_NS6detail17trampoline_kernelINS0_14default_configENS1_38merge_sort_block_merge_config_selectorIxNS0_10empty_typeEEEZZNS1_27merge_sort_block_merge_implIS3_PxPS5_jNS1_19radix_merge_compareILb1ELb1ExNS0_19identity_decomposerEEEEE10hipError_tT0_T1_T2_jT3_P12ihipStream_tbPNSt15iterator_traitsISE_E10value_typeEPNSK_ISF_E10value_typeEPSG_NS1_7vsmem_tEENKUlT_SE_SF_SG_E_clIS8_S8_S9_S9_EESD_ST_SE_SF_SG_EUlST_E1_NS1_11comp_targetILNS1_3genE8ELNS1_11target_archE1030ELNS1_3gpuE2ELNS1_3repE0EEENS1_36merge_oddeven_config_static_selectorELNS0_4arch9wavefront6targetE1EEEvSF_ ; -- Begin function _ZN7rocprim17ROCPRIM_400000_NS6detail17trampoline_kernelINS0_14default_configENS1_38merge_sort_block_merge_config_selectorIxNS0_10empty_typeEEEZZNS1_27merge_sort_block_merge_implIS3_PxPS5_jNS1_19radix_merge_compareILb1ELb1ExNS0_19identity_decomposerEEEEE10hipError_tT0_T1_T2_jT3_P12ihipStream_tbPNSt15iterator_traitsISE_E10value_typeEPNSK_ISF_E10value_typeEPSG_NS1_7vsmem_tEENKUlT_SE_SF_SG_E_clIS8_S8_S9_S9_EESD_ST_SE_SF_SG_EUlST_E1_NS1_11comp_targetILNS1_3genE8ELNS1_11target_archE1030ELNS1_3gpuE2ELNS1_3repE0EEENS1_36merge_oddeven_config_static_selectorELNS0_4arch9wavefront6targetE1EEEvSF_
	.globl	_ZN7rocprim17ROCPRIM_400000_NS6detail17trampoline_kernelINS0_14default_configENS1_38merge_sort_block_merge_config_selectorIxNS0_10empty_typeEEEZZNS1_27merge_sort_block_merge_implIS3_PxPS5_jNS1_19radix_merge_compareILb1ELb1ExNS0_19identity_decomposerEEEEE10hipError_tT0_T1_T2_jT3_P12ihipStream_tbPNSt15iterator_traitsISE_E10value_typeEPNSK_ISF_E10value_typeEPSG_NS1_7vsmem_tEENKUlT_SE_SF_SG_E_clIS8_S8_S9_S9_EESD_ST_SE_SF_SG_EUlST_E1_NS1_11comp_targetILNS1_3genE8ELNS1_11target_archE1030ELNS1_3gpuE2ELNS1_3repE0EEENS1_36merge_oddeven_config_static_selectorELNS0_4arch9wavefront6targetE1EEEvSF_
	.p2align	8
	.type	_ZN7rocprim17ROCPRIM_400000_NS6detail17trampoline_kernelINS0_14default_configENS1_38merge_sort_block_merge_config_selectorIxNS0_10empty_typeEEEZZNS1_27merge_sort_block_merge_implIS3_PxPS5_jNS1_19radix_merge_compareILb1ELb1ExNS0_19identity_decomposerEEEEE10hipError_tT0_T1_T2_jT3_P12ihipStream_tbPNSt15iterator_traitsISE_E10value_typeEPNSK_ISF_E10value_typeEPSG_NS1_7vsmem_tEENKUlT_SE_SF_SG_E_clIS8_S8_S9_S9_EESD_ST_SE_SF_SG_EUlST_E1_NS1_11comp_targetILNS1_3genE8ELNS1_11target_archE1030ELNS1_3gpuE2ELNS1_3repE0EEENS1_36merge_oddeven_config_static_selectorELNS0_4arch9wavefront6targetE1EEEvSF_,@function
_ZN7rocprim17ROCPRIM_400000_NS6detail17trampoline_kernelINS0_14default_configENS1_38merge_sort_block_merge_config_selectorIxNS0_10empty_typeEEEZZNS1_27merge_sort_block_merge_implIS3_PxPS5_jNS1_19radix_merge_compareILb1ELb1ExNS0_19identity_decomposerEEEEE10hipError_tT0_T1_T2_jT3_P12ihipStream_tbPNSt15iterator_traitsISE_E10value_typeEPNSK_ISF_E10value_typeEPSG_NS1_7vsmem_tEENKUlT_SE_SF_SG_E_clIS8_S8_S9_S9_EESD_ST_SE_SF_SG_EUlST_E1_NS1_11comp_targetILNS1_3genE8ELNS1_11target_archE1030ELNS1_3gpuE2ELNS1_3repE0EEENS1_36merge_oddeven_config_static_selectorELNS0_4arch9wavefront6targetE1EEEvSF_: ; @_ZN7rocprim17ROCPRIM_400000_NS6detail17trampoline_kernelINS0_14default_configENS1_38merge_sort_block_merge_config_selectorIxNS0_10empty_typeEEEZZNS1_27merge_sort_block_merge_implIS3_PxPS5_jNS1_19radix_merge_compareILb1ELb1ExNS0_19identity_decomposerEEEEE10hipError_tT0_T1_T2_jT3_P12ihipStream_tbPNSt15iterator_traitsISE_E10value_typeEPNSK_ISF_E10value_typeEPSG_NS1_7vsmem_tEENKUlT_SE_SF_SG_E_clIS8_S8_S9_S9_EESD_ST_SE_SF_SG_EUlST_E1_NS1_11comp_targetILNS1_3genE8ELNS1_11target_archE1030ELNS1_3gpuE2ELNS1_3repE0EEENS1_36merge_oddeven_config_static_selectorELNS0_4arch9wavefront6targetE1EEEvSF_
; %bb.0:
	.section	.rodata,"a",@progbits
	.p2align	6, 0x0
	.amdhsa_kernel _ZN7rocprim17ROCPRIM_400000_NS6detail17trampoline_kernelINS0_14default_configENS1_38merge_sort_block_merge_config_selectorIxNS0_10empty_typeEEEZZNS1_27merge_sort_block_merge_implIS3_PxPS5_jNS1_19radix_merge_compareILb1ELb1ExNS0_19identity_decomposerEEEEE10hipError_tT0_T1_T2_jT3_P12ihipStream_tbPNSt15iterator_traitsISE_E10value_typeEPNSK_ISF_E10value_typeEPSG_NS1_7vsmem_tEENKUlT_SE_SF_SG_E_clIS8_S8_S9_S9_EESD_ST_SE_SF_SG_EUlST_E1_NS1_11comp_targetILNS1_3genE8ELNS1_11target_archE1030ELNS1_3gpuE2ELNS1_3repE0EEENS1_36merge_oddeven_config_static_selectorELNS0_4arch9wavefront6targetE1EEEvSF_
		.amdhsa_group_segment_fixed_size 0
		.amdhsa_private_segment_fixed_size 0
		.amdhsa_kernarg_size 48
		.amdhsa_user_sgpr_count 6
		.amdhsa_user_sgpr_private_segment_buffer 1
		.amdhsa_user_sgpr_dispatch_ptr 0
		.amdhsa_user_sgpr_queue_ptr 0
		.amdhsa_user_sgpr_kernarg_segment_ptr 1
		.amdhsa_user_sgpr_dispatch_id 0
		.amdhsa_user_sgpr_flat_scratch_init 0
		.amdhsa_user_sgpr_kernarg_preload_length 0
		.amdhsa_user_sgpr_kernarg_preload_offset 0
		.amdhsa_user_sgpr_private_segment_size 0
		.amdhsa_uses_dynamic_stack 0
		.amdhsa_system_sgpr_private_segment_wavefront_offset 0
		.amdhsa_system_sgpr_workgroup_id_x 1
		.amdhsa_system_sgpr_workgroup_id_y 0
		.amdhsa_system_sgpr_workgroup_id_z 0
		.amdhsa_system_sgpr_workgroup_info 0
		.amdhsa_system_vgpr_workitem_id 0
		.amdhsa_next_free_vgpr 1
		.amdhsa_next_free_sgpr 0
		.amdhsa_accum_offset 4
		.amdhsa_reserve_vcc 0
		.amdhsa_reserve_flat_scratch 0
		.amdhsa_float_round_mode_32 0
		.amdhsa_float_round_mode_16_64 0
		.amdhsa_float_denorm_mode_32 3
		.amdhsa_float_denorm_mode_16_64 3
		.amdhsa_dx10_clamp 1
		.amdhsa_ieee_mode 1
		.amdhsa_fp16_overflow 0
		.amdhsa_tg_split 0
		.amdhsa_exception_fp_ieee_invalid_op 0
		.amdhsa_exception_fp_denorm_src 0
		.amdhsa_exception_fp_ieee_div_zero 0
		.amdhsa_exception_fp_ieee_overflow 0
		.amdhsa_exception_fp_ieee_underflow 0
		.amdhsa_exception_fp_ieee_inexact 0
		.amdhsa_exception_int_div_zero 0
	.end_amdhsa_kernel
	.section	.text._ZN7rocprim17ROCPRIM_400000_NS6detail17trampoline_kernelINS0_14default_configENS1_38merge_sort_block_merge_config_selectorIxNS0_10empty_typeEEEZZNS1_27merge_sort_block_merge_implIS3_PxPS5_jNS1_19radix_merge_compareILb1ELb1ExNS0_19identity_decomposerEEEEE10hipError_tT0_T1_T2_jT3_P12ihipStream_tbPNSt15iterator_traitsISE_E10value_typeEPNSK_ISF_E10value_typeEPSG_NS1_7vsmem_tEENKUlT_SE_SF_SG_E_clIS8_S8_S9_S9_EESD_ST_SE_SF_SG_EUlST_E1_NS1_11comp_targetILNS1_3genE8ELNS1_11target_archE1030ELNS1_3gpuE2ELNS1_3repE0EEENS1_36merge_oddeven_config_static_selectorELNS0_4arch9wavefront6targetE1EEEvSF_,"axG",@progbits,_ZN7rocprim17ROCPRIM_400000_NS6detail17trampoline_kernelINS0_14default_configENS1_38merge_sort_block_merge_config_selectorIxNS0_10empty_typeEEEZZNS1_27merge_sort_block_merge_implIS3_PxPS5_jNS1_19radix_merge_compareILb1ELb1ExNS0_19identity_decomposerEEEEE10hipError_tT0_T1_T2_jT3_P12ihipStream_tbPNSt15iterator_traitsISE_E10value_typeEPNSK_ISF_E10value_typeEPSG_NS1_7vsmem_tEENKUlT_SE_SF_SG_E_clIS8_S8_S9_S9_EESD_ST_SE_SF_SG_EUlST_E1_NS1_11comp_targetILNS1_3genE8ELNS1_11target_archE1030ELNS1_3gpuE2ELNS1_3repE0EEENS1_36merge_oddeven_config_static_selectorELNS0_4arch9wavefront6targetE1EEEvSF_,comdat
.Lfunc_end2365:
	.size	_ZN7rocprim17ROCPRIM_400000_NS6detail17trampoline_kernelINS0_14default_configENS1_38merge_sort_block_merge_config_selectorIxNS0_10empty_typeEEEZZNS1_27merge_sort_block_merge_implIS3_PxPS5_jNS1_19radix_merge_compareILb1ELb1ExNS0_19identity_decomposerEEEEE10hipError_tT0_T1_T2_jT3_P12ihipStream_tbPNSt15iterator_traitsISE_E10value_typeEPNSK_ISF_E10value_typeEPSG_NS1_7vsmem_tEENKUlT_SE_SF_SG_E_clIS8_S8_S9_S9_EESD_ST_SE_SF_SG_EUlST_E1_NS1_11comp_targetILNS1_3genE8ELNS1_11target_archE1030ELNS1_3gpuE2ELNS1_3repE0EEENS1_36merge_oddeven_config_static_selectorELNS0_4arch9wavefront6targetE1EEEvSF_, .Lfunc_end2365-_ZN7rocprim17ROCPRIM_400000_NS6detail17trampoline_kernelINS0_14default_configENS1_38merge_sort_block_merge_config_selectorIxNS0_10empty_typeEEEZZNS1_27merge_sort_block_merge_implIS3_PxPS5_jNS1_19radix_merge_compareILb1ELb1ExNS0_19identity_decomposerEEEEE10hipError_tT0_T1_T2_jT3_P12ihipStream_tbPNSt15iterator_traitsISE_E10value_typeEPNSK_ISF_E10value_typeEPSG_NS1_7vsmem_tEENKUlT_SE_SF_SG_E_clIS8_S8_S9_S9_EESD_ST_SE_SF_SG_EUlST_E1_NS1_11comp_targetILNS1_3genE8ELNS1_11target_archE1030ELNS1_3gpuE2ELNS1_3repE0EEENS1_36merge_oddeven_config_static_selectorELNS0_4arch9wavefront6targetE1EEEvSF_
                                        ; -- End function
	.section	.AMDGPU.csdata,"",@progbits
; Kernel info:
; codeLenInByte = 0
; NumSgprs: 4
; NumVgprs: 0
; NumAgprs: 0
; TotalNumVgprs: 0
; ScratchSize: 0
; MemoryBound: 0
; FloatMode: 240
; IeeeMode: 1
; LDSByteSize: 0 bytes/workgroup (compile time only)
; SGPRBlocks: 0
; VGPRBlocks: 0
; NumSGPRsForWavesPerEU: 4
; NumVGPRsForWavesPerEU: 1
; AccumOffset: 4
; Occupancy: 8
; WaveLimiterHint : 0
; COMPUTE_PGM_RSRC2:SCRATCH_EN: 0
; COMPUTE_PGM_RSRC2:USER_SGPR: 6
; COMPUTE_PGM_RSRC2:TRAP_HANDLER: 0
; COMPUTE_PGM_RSRC2:TGID_X_EN: 1
; COMPUTE_PGM_RSRC2:TGID_Y_EN: 0
; COMPUTE_PGM_RSRC2:TGID_Z_EN: 0
; COMPUTE_PGM_RSRC2:TIDIG_COMP_CNT: 0
; COMPUTE_PGM_RSRC3_GFX90A:ACCUM_OFFSET: 0
; COMPUTE_PGM_RSRC3_GFX90A:TG_SPLIT: 0
	.section	.text._ZN7rocprim17ROCPRIM_400000_NS6detail17trampoline_kernelINS0_14default_configENS1_35radix_sort_onesweep_config_selectorIxNS0_10empty_typeEEEZNS1_34radix_sort_onesweep_global_offsetsIS3_Lb1EPxPS5_mNS0_19identity_decomposerEEE10hipError_tT1_T2_PT3_SE_jT4_jjP12ihipStream_tbEUlT_E_NS1_11comp_targetILNS1_3genE0ELNS1_11target_archE4294967295ELNS1_3gpuE0ELNS1_3repE0EEENS1_52radix_sort_onesweep_histogram_config_static_selectorELNS0_4arch9wavefront6targetE1EEEvSC_,"axG",@progbits,_ZN7rocprim17ROCPRIM_400000_NS6detail17trampoline_kernelINS0_14default_configENS1_35radix_sort_onesweep_config_selectorIxNS0_10empty_typeEEEZNS1_34radix_sort_onesweep_global_offsetsIS3_Lb1EPxPS5_mNS0_19identity_decomposerEEE10hipError_tT1_T2_PT3_SE_jT4_jjP12ihipStream_tbEUlT_E_NS1_11comp_targetILNS1_3genE0ELNS1_11target_archE4294967295ELNS1_3gpuE0ELNS1_3repE0EEENS1_52radix_sort_onesweep_histogram_config_static_selectorELNS0_4arch9wavefront6targetE1EEEvSC_,comdat
	.protected	_ZN7rocprim17ROCPRIM_400000_NS6detail17trampoline_kernelINS0_14default_configENS1_35radix_sort_onesweep_config_selectorIxNS0_10empty_typeEEEZNS1_34radix_sort_onesweep_global_offsetsIS3_Lb1EPxPS5_mNS0_19identity_decomposerEEE10hipError_tT1_T2_PT3_SE_jT4_jjP12ihipStream_tbEUlT_E_NS1_11comp_targetILNS1_3genE0ELNS1_11target_archE4294967295ELNS1_3gpuE0ELNS1_3repE0EEENS1_52radix_sort_onesweep_histogram_config_static_selectorELNS0_4arch9wavefront6targetE1EEEvSC_ ; -- Begin function _ZN7rocprim17ROCPRIM_400000_NS6detail17trampoline_kernelINS0_14default_configENS1_35radix_sort_onesweep_config_selectorIxNS0_10empty_typeEEEZNS1_34radix_sort_onesweep_global_offsetsIS3_Lb1EPxPS5_mNS0_19identity_decomposerEEE10hipError_tT1_T2_PT3_SE_jT4_jjP12ihipStream_tbEUlT_E_NS1_11comp_targetILNS1_3genE0ELNS1_11target_archE4294967295ELNS1_3gpuE0ELNS1_3repE0EEENS1_52radix_sort_onesweep_histogram_config_static_selectorELNS0_4arch9wavefront6targetE1EEEvSC_
	.globl	_ZN7rocprim17ROCPRIM_400000_NS6detail17trampoline_kernelINS0_14default_configENS1_35radix_sort_onesweep_config_selectorIxNS0_10empty_typeEEEZNS1_34radix_sort_onesweep_global_offsetsIS3_Lb1EPxPS5_mNS0_19identity_decomposerEEE10hipError_tT1_T2_PT3_SE_jT4_jjP12ihipStream_tbEUlT_E_NS1_11comp_targetILNS1_3genE0ELNS1_11target_archE4294967295ELNS1_3gpuE0ELNS1_3repE0EEENS1_52radix_sort_onesweep_histogram_config_static_selectorELNS0_4arch9wavefront6targetE1EEEvSC_
	.p2align	8
	.type	_ZN7rocprim17ROCPRIM_400000_NS6detail17trampoline_kernelINS0_14default_configENS1_35radix_sort_onesweep_config_selectorIxNS0_10empty_typeEEEZNS1_34radix_sort_onesweep_global_offsetsIS3_Lb1EPxPS5_mNS0_19identity_decomposerEEE10hipError_tT1_T2_PT3_SE_jT4_jjP12ihipStream_tbEUlT_E_NS1_11comp_targetILNS1_3genE0ELNS1_11target_archE4294967295ELNS1_3gpuE0ELNS1_3repE0EEENS1_52radix_sort_onesweep_histogram_config_static_selectorELNS0_4arch9wavefront6targetE1EEEvSC_,@function
_ZN7rocprim17ROCPRIM_400000_NS6detail17trampoline_kernelINS0_14default_configENS1_35radix_sort_onesweep_config_selectorIxNS0_10empty_typeEEEZNS1_34radix_sort_onesweep_global_offsetsIS3_Lb1EPxPS5_mNS0_19identity_decomposerEEE10hipError_tT1_T2_PT3_SE_jT4_jjP12ihipStream_tbEUlT_E_NS1_11comp_targetILNS1_3genE0ELNS1_11target_archE4294967295ELNS1_3gpuE0ELNS1_3repE0EEENS1_52radix_sort_onesweep_histogram_config_static_selectorELNS0_4arch9wavefront6targetE1EEEvSC_: ; @_ZN7rocprim17ROCPRIM_400000_NS6detail17trampoline_kernelINS0_14default_configENS1_35radix_sort_onesweep_config_selectorIxNS0_10empty_typeEEEZNS1_34radix_sort_onesweep_global_offsetsIS3_Lb1EPxPS5_mNS0_19identity_decomposerEEE10hipError_tT1_T2_PT3_SE_jT4_jjP12ihipStream_tbEUlT_E_NS1_11comp_targetILNS1_3genE0ELNS1_11target_archE4294967295ELNS1_3gpuE0ELNS1_3repE0EEENS1_52radix_sort_onesweep_histogram_config_static_selectorELNS0_4arch9wavefront6targetE1EEEvSC_
; %bb.0:
	.section	.rodata,"a",@progbits
	.p2align	6, 0x0
	.amdhsa_kernel _ZN7rocprim17ROCPRIM_400000_NS6detail17trampoline_kernelINS0_14default_configENS1_35radix_sort_onesweep_config_selectorIxNS0_10empty_typeEEEZNS1_34radix_sort_onesweep_global_offsetsIS3_Lb1EPxPS5_mNS0_19identity_decomposerEEE10hipError_tT1_T2_PT3_SE_jT4_jjP12ihipStream_tbEUlT_E_NS1_11comp_targetILNS1_3genE0ELNS1_11target_archE4294967295ELNS1_3gpuE0ELNS1_3repE0EEENS1_52radix_sort_onesweep_histogram_config_static_selectorELNS0_4arch9wavefront6targetE1EEEvSC_
		.amdhsa_group_segment_fixed_size 0
		.amdhsa_private_segment_fixed_size 0
		.amdhsa_kernarg_size 48
		.amdhsa_user_sgpr_count 6
		.amdhsa_user_sgpr_private_segment_buffer 1
		.amdhsa_user_sgpr_dispatch_ptr 0
		.amdhsa_user_sgpr_queue_ptr 0
		.amdhsa_user_sgpr_kernarg_segment_ptr 1
		.amdhsa_user_sgpr_dispatch_id 0
		.amdhsa_user_sgpr_flat_scratch_init 0
		.amdhsa_user_sgpr_kernarg_preload_length 0
		.amdhsa_user_sgpr_kernarg_preload_offset 0
		.amdhsa_user_sgpr_private_segment_size 0
		.amdhsa_uses_dynamic_stack 0
		.amdhsa_system_sgpr_private_segment_wavefront_offset 0
		.amdhsa_system_sgpr_workgroup_id_x 1
		.amdhsa_system_sgpr_workgroup_id_y 0
		.amdhsa_system_sgpr_workgroup_id_z 0
		.amdhsa_system_sgpr_workgroup_info 0
		.amdhsa_system_vgpr_workitem_id 0
		.amdhsa_next_free_vgpr 1
		.amdhsa_next_free_sgpr 0
		.amdhsa_accum_offset 4
		.amdhsa_reserve_vcc 0
		.amdhsa_reserve_flat_scratch 0
		.amdhsa_float_round_mode_32 0
		.amdhsa_float_round_mode_16_64 0
		.amdhsa_float_denorm_mode_32 3
		.amdhsa_float_denorm_mode_16_64 3
		.amdhsa_dx10_clamp 1
		.amdhsa_ieee_mode 1
		.amdhsa_fp16_overflow 0
		.amdhsa_tg_split 0
		.amdhsa_exception_fp_ieee_invalid_op 0
		.amdhsa_exception_fp_denorm_src 0
		.amdhsa_exception_fp_ieee_div_zero 0
		.amdhsa_exception_fp_ieee_overflow 0
		.amdhsa_exception_fp_ieee_underflow 0
		.amdhsa_exception_fp_ieee_inexact 0
		.amdhsa_exception_int_div_zero 0
	.end_amdhsa_kernel
	.section	.text._ZN7rocprim17ROCPRIM_400000_NS6detail17trampoline_kernelINS0_14default_configENS1_35radix_sort_onesweep_config_selectorIxNS0_10empty_typeEEEZNS1_34radix_sort_onesweep_global_offsetsIS3_Lb1EPxPS5_mNS0_19identity_decomposerEEE10hipError_tT1_T2_PT3_SE_jT4_jjP12ihipStream_tbEUlT_E_NS1_11comp_targetILNS1_3genE0ELNS1_11target_archE4294967295ELNS1_3gpuE0ELNS1_3repE0EEENS1_52radix_sort_onesweep_histogram_config_static_selectorELNS0_4arch9wavefront6targetE1EEEvSC_,"axG",@progbits,_ZN7rocprim17ROCPRIM_400000_NS6detail17trampoline_kernelINS0_14default_configENS1_35radix_sort_onesweep_config_selectorIxNS0_10empty_typeEEEZNS1_34radix_sort_onesweep_global_offsetsIS3_Lb1EPxPS5_mNS0_19identity_decomposerEEE10hipError_tT1_T2_PT3_SE_jT4_jjP12ihipStream_tbEUlT_E_NS1_11comp_targetILNS1_3genE0ELNS1_11target_archE4294967295ELNS1_3gpuE0ELNS1_3repE0EEENS1_52radix_sort_onesweep_histogram_config_static_selectorELNS0_4arch9wavefront6targetE1EEEvSC_,comdat
.Lfunc_end2366:
	.size	_ZN7rocprim17ROCPRIM_400000_NS6detail17trampoline_kernelINS0_14default_configENS1_35radix_sort_onesweep_config_selectorIxNS0_10empty_typeEEEZNS1_34radix_sort_onesweep_global_offsetsIS3_Lb1EPxPS5_mNS0_19identity_decomposerEEE10hipError_tT1_T2_PT3_SE_jT4_jjP12ihipStream_tbEUlT_E_NS1_11comp_targetILNS1_3genE0ELNS1_11target_archE4294967295ELNS1_3gpuE0ELNS1_3repE0EEENS1_52radix_sort_onesweep_histogram_config_static_selectorELNS0_4arch9wavefront6targetE1EEEvSC_, .Lfunc_end2366-_ZN7rocprim17ROCPRIM_400000_NS6detail17trampoline_kernelINS0_14default_configENS1_35radix_sort_onesweep_config_selectorIxNS0_10empty_typeEEEZNS1_34radix_sort_onesweep_global_offsetsIS3_Lb1EPxPS5_mNS0_19identity_decomposerEEE10hipError_tT1_T2_PT3_SE_jT4_jjP12ihipStream_tbEUlT_E_NS1_11comp_targetILNS1_3genE0ELNS1_11target_archE4294967295ELNS1_3gpuE0ELNS1_3repE0EEENS1_52radix_sort_onesweep_histogram_config_static_selectorELNS0_4arch9wavefront6targetE1EEEvSC_
                                        ; -- End function
	.section	.AMDGPU.csdata,"",@progbits
; Kernel info:
; codeLenInByte = 0
; NumSgprs: 4
; NumVgprs: 0
; NumAgprs: 0
; TotalNumVgprs: 0
; ScratchSize: 0
; MemoryBound: 0
; FloatMode: 240
; IeeeMode: 1
; LDSByteSize: 0 bytes/workgroup (compile time only)
; SGPRBlocks: 0
; VGPRBlocks: 0
; NumSGPRsForWavesPerEU: 4
; NumVGPRsForWavesPerEU: 1
; AccumOffset: 4
; Occupancy: 8
; WaveLimiterHint : 0
; COMPUTE_PGM_RSRC2:SCRATCH_EN: 0
; COMPUTE_PGM_RSRC2:USER_SGPR: 6
; COMPUTE_PGM_RSRC2:TRAP_HANDLER: 0
; COMPUTE_PGM_RSRC2:TGID_X_EN: 1
; COMPUTE_PGM_RSRC2:TGID_Y_EN: 0
; COMPUTE_PGM_RSRC2:TGID_Z_EN: 0
; COMPUTE_PGM_RSRC2:TIDIG_COMP_CNT: 0
; COMPUTE_PGM_RSRC3_GFX90A:ACCUM_OFFSET: 0
; COMPUTE_PGM_RSRC3_GFX90A:TG_SPLIT: 0
	.section	.text._ZN7rocprim17ROCPRIM_400000_NS6detail17trampoline_kernelINS0_14default_configENS1_35radix_sort_onesweep_config_selectorIxNS0_10empty_typeEEEZNS1_34radix_sort_onesweep_global_offsetsIS3_Lb1EPxPS5_mNS0_19identity_decomposerEEE10hipError_tT1_T2_PT3_SE_jT4_jjP12ihipStream_tbEUlT_E_NS1_11comp_targetILNS1_3genE6ELNS1_11target_archE950ELNS1_3gpuE13ELNS1_3repE0EEENS1_52radix_sort_onesweep_histogram_config_static_selectorELNS0_4arch9wavefront6targetE1EEEvSC_,"axG",@progbits,_ZN7rocprim17ROCPRIM_400000_NS6detail17trampoline_kernelINS0_14default_configENS1_35radix_sort_onesweep_config_selectorIxNS0_10empty_typeEEEZNS1_34radix_sort_onesweep_global_offsetsIS3_Lb1EPxPS5_mNS0_19identity_decomposerEEE10hipError_tT1_T2_PT3_SE_jT4_jjP12ihipStream_tbEUlT_E_NS1_11comp_targetILNS1_3genE6ELNS1_11target_archE950ELNS1_3gpuE13ELNS1_3repE0EEENS1_52radix_sort_onesweep_histogram_config_static_selectorELNS0_4arch9wavefront6targetE1EEEvSC_,comdat
	.protected	_ZN7rocprim17ROCPRIM_400000_NS6detail17trampoline_kernelINS0_14default_configENS1_35radix_sort_onesweep_config_selectorIxNS0_10empty_typeEEEZNS1_34radix_sort_onesweep_global_offsetsIS3_Lb1EPxPS5_mNS0_19identity_decomposerEEE10hipError_tT1_T2_PT3_SE_jT4_jjP12ihipStream_tbEUlT_E_NS1_11comp_targetILNS1_3genE6ELNS1_11target_archE950ELNS1_3gpuE13ELNS1_3repE0EEENS1_52radix_sort_onesweep_histogram_config_static_selectorELNS0_4arch9wavefront6targetE1EEEvSC_ ; -- Begin function _ZN7rocprim17ROCPRIM_400000_NS6detail17trampoline_kernelINS0_14default_configENS1_35radix_sort_onesweep_config_selectorIxNS0_10empty_typeEEEZNS1_34radix_sort_onesweep_global_offsetsIS3_Lb1EPxPS5_mNS0_19identity_decomposerEEE10hipError_tT1_T2_PT3_SE_jT4_jjP12ihipStream_tbEUlT_E_NS1_11comp_targetILNS1_3genE6ELNS1_11target_archE950ELNS1_3gpuE13ELNS1_3repE0EEENS1_52radix_sort_onesweep_histogram_config_static_selectorELNS0_4arch9wavefront6targetE1EEEvSC_
	.globl	_ZN7rocprim17ROCPRIM_400000_NS6detail17trampoline_kernelINS0_14default_configENS1_35radix_sort_onesweep_config_selectorIxNS0_10empty_typeEEEZNS1_34radix_sort_onesweep_global_offsetsIS3_Lb1EPxPS5_mNS0_19identity_decomposerEEE10hipError_tT1_T2_PT3_SE_jT4_jjP12ihipStream_tbEUlT_E_NS1_11comp_targetILNS1_3genE6ELNS1_11target_archE950ELNS1_3gpuE13ELNS1_3repE0EEENS1_52radix_sort_onesweep_histogram_config_static_selectorELNS0_4arch9wavefront6targetE1EEEvSC_
	.p2align	8
	.type	_ZN7rocprim17ROCPRIM_400000_NS6detail17trampoline_kernelINS0_14default_configENS1_35radix_sort_onesweep_config_selectorIxNS0_10empty_typeEEEZNS1_34radix_sort_onesweep_global_offsetsIS3_Lb1EPxPS5_mNS0_19identity_decomposerEEE10hipError_tT1_T2_PT3_SE_jT4_jjP12ihipStream_tbEUlT_E_NS1_11comp_targetILNS1_3genE6ELNS1_11target_archE950ELNS1_3gpuE13ELNS1_3repE0EEENS1_52radix_sort_onesweep_histogram_config_static_selectorELNS0_4arch9wavefront6targetE1EEEvSC_,@function
_ZN7rocprim17ROCPRIM_400000_NS6detail17trampoline_kernelINS0_14default_configENS1_35radix_sort_onesweep_config_selectorIxNS0_10empty_typeEEEZNS1_34radix_sort_onesweep_global_offsetsIS3_Lb1EPxPS5_mNS0_19identity_decomposerEEE10hipError_tT1_T2_PT3_SE_jT4_jjP12ihipStream_tbEUlT_E_NS1_11comp_targetILNS1_3genE6ELNS1_11target_archE950ELNS1_3gpuE13ELNS1_3repE0EEENS1_52radix_sort_onesweep_histogram_config_static_selectorELNS0_4arch9wavefront6targetE1EEEvSC_: ; @_ZN7rocprim17ROCPRIM_400000_NS6detail17trampoline_kernelINS0_14default_configENS1_35radix_sort_onesweep_config_selectorIxNS0_10empty_typeEEEZNS1_34radix_sort_onesweep_global_offsetsIS3_Lb1EPxPS5_mNS0_19identity_decomposerEEE10hipError_tT1_T2_PT3_SE_jT4_jjP12ihipStream_tbEUlT_E_NS1_11comp_targetILNS1_3genE6ELNS1_11target_archE950ELNS1_3gpuE13ELNS1_3repE0EEENS1_52radix_sort_onesweep_histogram_config_static_selectorELNS0_4arch9wavefront6targetE1EEEvSC_
; %bb.0:
	.section	.rodata,"a",@progbits
	.p2align	6, 0x0
	.amdhsa_kernel _ZN7rocprim17ROCPRIM_400000_NS6detail17trampoline_kernelINS0_14default_configENS1_35radix_sort_onesweep_config_selectorIxNS0_10empty_typeEEEZNS1_34radix_sort_onesweep_global_offsetsIS3_Lb1EPxPS5_mNS0_19identity_decomposerEEE10hipError_tT1_T2_PT3_SE_jT4_jjP12ihipStream_tbEUlT_E_NS1_11comp_targetILNS1_3genE6ELNS1_11target_archE950ELNS1_3gpuE13ELNS1_3repE0EEENS1_52radix_sort_onesweep_histogram_config_static_selectorELNS0_4arch9wavefront6targetE1EEEvSC_
		.amdhsa_group_segment_fixed_size 0
		.amdhsa_private_segment_fixed_size 0
		.amdhsa_kernarg_size 48
		.amdhsa_user_sgpr_count 6
		.amdhsa_user_sgpr_private_segment_buffer 1
		.amdhsa_user_sgpr_dispatch_ptr 0
		.amdhsa_user_sgpr_queue_ptr 0
		.amdhsa_user_sgpr_kernarg_segment_ptr 1
		.amdhsa_user_sgpr_dispatch_id 0
		.amdhsa_user_sgpr_flat_scratch_init 0
		.amdhsa_user_sgpr_kernarg_preload_length 0
		.amdhsa_user_sgpr_kernarg_preload_offset 0
		.amdhsa_user_sgpr_private_segment_size 0
		.amdhsa_uses_dynamic_stack 0
		.amdhsa_system_sgpr_private_segment_wavefront_offset 0
		.amdhsa_system_sgpr_workgroup_id_x 1
		.amdhsa_system_sgpr_workgroup_id_y 0
		.amdhsa_system_sgpr_workgroup_id_z 0
		.amdhsa_system_sgpr_workgroup_info 0
		.amdhsa_system_vgpr_workitem_id 0
		.amdhsa_next_free_vgpr 1
		.amdhsa_next_free_sgpr 0
		.amdhsa_accum_offset 4
		.amdhsa_reserve_vcc 0
		.amdhsa_reserve_flat_scratch 0
		.amdhsa_float_round_mode_32 0
		.amdhsa_float_round_mode_16_64 0
		.amdhsa_float_denorm_mode_32 3
		.amdhsa_float_denorm_mode_16_64 3
		.amdhsa_dx10_clamp 1
		.amdhsa_ieee_mode 1
		.amdhsa_fp16_overflow 0
		.amdhsa_tg_split 0
		.amdhsa_exception_fp_ieee_invalid_op 0
		.amdhsa_exception_fp_denorm_src 0
		.amdhsa_exception_fp_ieee_div_zero 0
		.amdhsa_exception_fp_ieee_overflow 0
		.amdhsa_exception_fp_ieee_underflow 0
		.amdhsa_exception_fp_ieee_inexact 0
		.amdhsa_exception_int_div_zero 0
	.end_amdhsa_kernel
	.section	.text._ZN7rocprim17ROCPRIM_400000_NS6detail17trampoline_kernelINS0_14default_configENS1_35radix_sort_onesweep_config_selectorIxNS0_10empty_typeEEEZNS1_34radix_sort_onesweep_global_offsetsIS3_Lb1EPxPS5_mNS0_19identity_decomposerEEE10hipError_tT1_T2_PT3_SE_jT4_jjP12ihipStream_tbEUlT_E_NS1_11comp_targetILNS1_3genE6ELNS1_11target_archE950ELNS1_3gpuE13ELNS1_3repE0EEENS1_52radix_sort_onesweep_histogram_config_static_selectorELNS0_4arch9wavefront6targetE1EEEvSC_,"axG",@progbits,_ZN7rocprim17ROCPRIM_400000_NS6detail17trampoline_kernelINS0_14default_configENS1_35radix_sort_onesweep_config_selectorIxNS0_10empty_typeEEEZNS1_34radix_sort_onesweep_global_offsetsIS3_Lb1EPxPS5_mNS0_19identity_decomposerEEE10hipError_tT1_T2_PT3_SE_jT4_jjP12ihipStream_tbEUlT_E_NS1_11comp_targetILNS1_3genE6ELNS1_11target_archE950ELNS1_3gpuE13ELNS1_3repE0EEENS1_52radix_sort_onesweep_histogram_config_static_selectorELNS0_4arch9wavefront6targetE1EEEvSC_,comdat
.Lfunc_end2367:
	.size	_ZN7rocprim17ROCPRIM_400000_NS6detail17trampoline_kernelINS0_14default_configENS1_35radix_sort_onesweep_config_selectorIxNS0_10empty_typeEEEZNS1_34radix_sort_onesweep_global_offsetsIS3_Lb1EPxPS5_mNS0_19identity_decomposerEEE10hipError_tT1_T2_PT3_SE_jT4_jjP12ihipStream_tbEUlT_E_NS1_11comp_targetILNS1_3genE6ELNS1_11target_archE950ELNS1_3gpuE13ELNS1_3repE0EEENS1_52radix_sort_onesweep_histogram_config_static_selectorELNS0_4arch9wavefront6targetE1EEEvSC_, .Lfunc_end2367-_ZN7rocprim17ROCPRIM_400000_NS6detail17trampoline_kernelINS0_14default_configENS1_35radix_sort_onesweep_config_selectorIxNS0_10empty_typeEEEZNS1_34radix_sort_onesweep_global_offsetsIS3_Lb1EPxPS5_mNS0_19identity_decomposerEEE10hipError_tT1_T2_PT3_SE_jT4_jjP12ihipStream_tbEUlT_E_NS1_11comp_targetILNS1_3genE6ELNS1_11target_archE950ELNS1_3gpuE13ELNS1_3repE0EEENS1_52radix_sort_onesweep_histogram_config_static_selectorELNS0_4arch9wavefront6targetE1EEEvSC_
                                        ; -- End function
	.section	.AMDGPU.csdata,"",@progbits
; Kernel info:
; codeLenInByte = 0
; NumSgprs: 4
; NumVgprs: 0
; NumAgprs: 0
; TotalNumVgprs: 0
; ScratchSize: 0
; MemoryBound: 0
; FloatMode: 240
; IeeeMode: 1
; LDSByteSize: 0 bytes/workgroup (compile time only)
; SGPRBlocks: 0
; VGPRBlocks: 0
; NumSGPRsForWavesPerEU: 4
; NumVGPRsForWavesPerEU: 1
; AccumOffset: 4
; Occupancy: 8
; WaveLimiterHint : 0
; COMPUTE_PGM_RSRC2:SCRATCH_EN: 0
; COMPUTE_PGM_RSRC2:USER_SGPR: 6
; COMPUTE_PGM_RSRC2:TRAP_HANDLER: 0
; COMPUTE_PGM_RSRC2:TGID_X_EN: 1
; COMPUTE_PGM_RSRC2:TGID_Y_EN: 0
; COMPUTE_PGM_RSRC2:TGID_Z_EN: 0
; COMPUTE_PGM_RSRC2:TIDIG_COMP_CNT: 0
; COMPUTE_PGM_RSRC3_GFX90A:ACCUM_OFFSET: 0
; COMPUTE_PGM_RSRC3_GFX90A:TG_SPLIT: 0
	.section	.text._ZN7rocprim17ROCPRIM_400000_NS6detail17trampoline_kernelINS0_14default_configENS1_35radix_sort_onesweep_config_selectorIxNS0_10empty_typeEEEZNS1_34radix_sort_onesweep_global_offsetsIS3_Lb1EPxPS5_mNS0_19identity_decomposerEEE10hipError_tT1_T2_PT3_SE_jT4_jjP12ihipStream_tbEUlT_E_NS1_11comp_targetILNS1_3genE5ELNS1_11target_archE942ELNS1_3gpuE9ELNS1_3repE0EEENS1_52radix_sort_onesweep_histogram_config_static_selectorELNS0_4arch9wavefront6targetE1EEEvSC_,"axG",@progbits,_ZN7rocprim17ROCPRIM_400000_NS6detail17trampoline_kernelINS0_14default_configENS1_35radix_sort_onesweep_config_selectorIxNS0_10empty_typeEEEZNS1_34radix_sort_onesweep_global_offsetsIS3_Lb1EPxPS5_mNS0_19identity_decomposerEEE10hipError_tT1_T2_PT3_SE_jT4_jjP12ihipStream_tbEUlT_E_NS1_11comp_targetILNS1_3genE5ELNS1_11target_archE942ELNS1_3gpuE9ELNS1_3repE0EEENS1_52radix_sort_onesweep_histogram_config_static_selectorELNS0_4arch9wavefront6targetE1EEEvSC_,comdat
	.protected	_ZN7rocprim17ROCPRIM_400000_NS6detail17trampoline_kernelINS0_14default_configENS1_35radix_sort_onesweep_config_selectorIxNS0_10empty_typeEEEZNS1_34radix_sort_onesweep_global_offsetsIS3_Lb1EPxPS5_mNS0_19identity_decomposerEEE10hipError_tT1_T2_PT3_SE_jT4_jjP12ihipStream_tbEUlT_E_NS1_11comp_targetILNS1_3genE5ELNS1_11target_archE942ELNS1_3gpuE9ELNS1_3repE0EEENS1_52radix_sort_onesweep_histogram_config_static_selectorELNS0_4arch9wavefront6targetE1EEEvSC_ ; -- Begin function _ZN7rocprim17ROCPRIM_400000_NS6detail17trampoline_kernelINS0_14default_configENS1_35radix_sort_onesweep_config_selectorIxNS0_10empty_typeEEEZNS1_34radix_sort_onesweep_global_offsetsIS3_Lb1EPxPS5_mNS0_19identity_decomposerEEE10hipError_tT1_T2_PT3_SE_jT4_jjP12ihipStream_tbEUlT_E_NS1_11comp_targetILNS1_3genE5ELNS1_11target_archE942ELNS1_3gpuE9ELNS1_3repE0EEENS1_52radix_sort_onesweep_histogram_config_static_selectorELNS0_4arch9wavefront6targetE1EEEvSC_
	.globl	_ZN7rocprim17ROCPRIM_400000_NS6detail17trampoline_kernelINS0_14default_configENS1_35radix_sort_onesweep_config_selectorIxNS0_10empty_typeEEEZNS1_34radix_sort_onesweep_global_offsetsIS3_Lb1EPxPS5_mNS0_19identity_decomposerEEE10hipError_tT1_T2_PT3_SE_jT4_jjP12ihipStream_tbEUlT_E_NS1_11comp_targetILNS1_3genE5ELNS1_11target_archE942ELNS1_3gpuE9ELNS1_3repE0EEENS1_52radix_sort_onesweep_histogram_config_static_selectorELNS0_4arch9wavefront6targetE1EEEvSC_
	.p2align	8
	.type	_ZN7rocprim17ROCPRIM_400000_NS6detail17trampoline_kernelINS0_14default_configENS1_35radix_sort_onesweep_config_selectorIxNS0_10empty_typeEEEZNS1_34radix_sort_onesweep_global_offsetsIS3_Lb1EPxPS5_mNS0_19identity_decomposerEEE10hipError_tT1_T2_PT3_SE_jT4_jjP12ihipStream_tbEUlT_E_NS1_11comp_targetILNS1_3genE5ELNS1_11target_archE942ELNS1_3gpuE9ELNS1_3repE0EEENS1_52radix_sort_onesweep_histogram_config_static_selectorELNS0_4arch9wavefront6targetE1EEEvSC_,@function
_ZN7rocprim17ROCPRIM_400000_NS6detail17trampoline_kernelINS0_14default_configENS1_35radix_sort_onesweep_config_selectorIxNS0_10empty_typeEEEZNS1_34radix_sort_onesweep_global_offsetsIS3_Lb1EPxPS5_mNS0_19identity_decomposerEEE10hipError_tT1_T2_PT3_SE_jT4_jjP12ihipStream_tbEUlT_E_NS1_11comp_targetILNS1_3genE5ELNS1_11target_archE942ELNS1_3gpuE9ELNS1_3repE0EEENS1_52radix_sort_onesweep_histogram_config_static_selectorELNS0_4arch9wavefront6targetE1EEEvSC_: ; @_ZN7rocprim17ROCPRIM_400000_NS6detail17trampoline_kernelINS0_14default_configENS1_35radix_sort_onesweep_config_selectorIxNS0_10empty_typeEEEZNS1_34radix_sort_onesweep_global_offsetsIS3_Lb1EPxPS5_mNS0_19identity_decomposerEEE10hipError_tT1_T2_PT3_SE_jT4_jjP12ihipStream_tbEUlT_E_NS1_11comp_targetILNS1_3genE5ELNS1_11target_archE942ELNS1_3gpuE9ELNS1_3repE0EEENS1_52radix_sort_onesweep_histogram_config_static_selectorELNS0_4arch9wavefront6targetE1EEEvSC_
; %bb.0:
	.section	.rodata,"a",@progbits
	.p2align	6, 0x0
	.amdhsa_kernel _ZN7rocprim17ROCPRIM_400000_NS6detail17trampoline_kernelINS0_14default_configENS1_35radix_sort_onesweep_config_selectorIxNS0_10empty_typeEEEZNS1_34radix_sort_onesweep_global_offsetsIS3_Lb1EPxPS5_mNS0_19identity_decomposerEEE10hipError_tT1_T2_PT3_SE_jT4_jjP12ihipStream_tbEUlT_E_NS1_11comp_targetILNS1_3genE5ELNS1_11target_archE942ELNS1_3gpuE9ELNS1_3repE0EEENS1_52radix_sort_onesweep_histogram_config_static_selectorELNS0_4arch9wavefront6targetE1EEEvSC_
		.amdhsa_group_segment_fixed_size 0
		.amdhsa_private_segment_fixed_size 0
		.amdhsa_kernarg_size 48
		.amdhsa_user_sgpr_count 6
		.amdhsa_user_sgpr_private_segment_buffer 1
		.amdhsa_user_sgpr_dispatch_ptr 0
		.amdhsa_user_sgpr_queue_ptr 0
		.amdhsa_user_sgpr_kernarg_segment_ptr 1
		.amdhsa_user_sgpr_dispatch_id 0
		.amdhsa_user_sgpr_flat_scratch_init 0
		.amdhsa_user_sgpr_kernarg_preload_length 0
		.amdhsa_user_sgpr_kernarg_preload_offset 0
		.amdhsa_user_sgpr_private_segment_size 0
		.amdhsa_uses_dynamic_stack 0
		.amdhsa_system_sgpr_private_segment_wavefront_offset 0
		.amdhsa_system_sgpr_workgroup_id_x 1
		.amdhsa_system_sgpr_workgroup_id_y 0
		.amdhsa_system_sgpr_workgroup_id_z 0
		.amdhsa_system_sgpr_workgroup_info 0
		.amdhsa_system_vgpr_workitem_id 0
		.amdhsa_next_free_vgpr 1
		.amdhsa_next_free_sgpr 0
		.amdhsa_accum_offset 4
		.amdhsa_reserve_vcc 0
		.amdhsa_reserve_flat_scratch 0
		.amdhsa_float_round_mode_32 0
		.amdhsa_float_round_mode_16_64 0
		.amdhsa_float_denorm_mode_32 3
		.amdhsa_float_denorm_mode_16_64 3
		.amdhsa_dx10_clamp 1
		.amdhsa_ieee_mode 1
		.amdhsa_fp16_overflow 0
		.amdhsa_tg_split 0
		.amdhsa_exception_fp_ieee_invalid_op 0
		.amdhsa_exception_fp_denorm_src 0
		.amdhsa_exception_fp_ieee_div_zero 0
		.amdhsa_exception_fp_ieee_overflow 0
		.amdhsa_exception_fp_ieee_underflow 0
		.amdhsa_exception_fp_ieee_inexact 0
		.amdhsa_exception_int_div_zero 0
	.end_amdhsa_kernel
	.section	.text._ZN7rocprim17ROCPRIM_400000_NS6detail17trampoline_kernelINS0_14default_configENS1_35radix_sort_onesweep_config_selectorIxNS0_10empty_typeEEEZNS1_34radix_sort_onesweep_global_offsetsIS3_Lb1EPxPS5_mNS0_19identity_decomposerEEE10hipError_tT1_T2_PT3_SE_jT4_jjP12ihipStream_tbEUlT_E_NS1_11comp_targetILNS1_3genE5ELNS1_11target_archE942ELNS1_3gpuE9ELNS1_3repE0EEENS1_52radix_sort_onesweep_histogram_config_static_selectorELNS0_4arch9wavefront6targetE1EEEvSC_,"axG",@progbits,_ZN7rocprim17ROCPRIM_400000_NS6detail17trampoline_kernelINS0_14default_configENS1_35radix_sort_onesweep_config_selectorIxNS0_10empty_typeEEEZNS1_34radix_sort_onesweep_global_offsetsIS3_Lb1EPxPS5_mNS0_19identity_decomposerEEE10hipError_tT1_T2_PT3_SE_jT4_jjP12ihipStream_tbEUlT_E_NS1_11comp_targetILNS1_3genE5ELNS1_11target_archE942ELNS1_3gpuE9ELNS1_3repE0EEENS1_52radix_sort_onesweep_histogram_config_static_selectorELNS0_4arch9wavefront6targetE1EEEvSC_,comdat
.Lfunc_end2368:
	.size	_ZN7rocprim17ROCPRIM_400000_NS6detail17trampoline_kernelINS0_14default_configENS1_35radix_sort_onesweep_config_selectorIxNS0_10empty_typeEEEZNS1_34radix_sort_onesweep_global_offsetsIS3_Lb1EPxPS5_mNS0_19identity_decomposerEEE10hipError_tT1_T2_PT3_SE_jT4_jjP12ihipStream_tbEUlT_E_NS1_11comp_targetILNS1_3genE5ELNS1_11target_archE942ELNS1_3gpuE9ELNS1_3repE0EEENS1_52radix_sort_onesweep_histogram_config_static_selectorELNS0_4arch9wavefront6targetE1EEEvSC_, .Lfunc_end2368-_ZN7rocprim17ROCPRIM_400000_NS6detail17trampoline_kernelINS0_14default_configENS1_35radix_sort_onesweep_config_selectorIxNS0_10empty_typeEEEZNS1_34radix_sort_onesweep_global_offsetsIS3_Lb1EPxPS5_mNS0_19identity_decomposerEEE10hipError_tT1_T2_PT3_SE_jT4_jjP12ihipStream_tbEUlT_E_NS1_11comp_targetILNS1_3genE5ELNS1_11target_archE942ELNS1_3gpuE9ELNS1_3repE0EEENS1_52radix_sort_onesweep_histogram_config_static_selectorELNS0_4arch9wavefront6targetE1EEEvSC_
                                        ; -- End function
	.section	.AMDGPU.csdata,"",@progbits
; Kernel info:
; codeLenInByte = 0
; NumSgprs: 4
; NumVgprs: 0
; NumAgprs: 0
; TotalNumVgprs: 0
; ScratchSize: 0
; MemoryBound: 0
; FloatMode: 240
; IeeeMode: 1
; LDSByteSize: 0 bytes/workgroup (compile time only)
; SGPRBlocks: 0
; VGPRBlocks: 0
; NumSGPRsForWavesPerEU: 4
; NumVGPRsForWavesPerEU: 1
; AccumOffset: 4
; Occupancy: 8
; WaveLimiterHint : 0
; COMPUTE_PGM_RSRC2:SCRATCH_EN: 0
; COMPUTE_PGM_RSRC2:USER_SGPR: 6
; COMPUTE_PGM_RSRC2:TRAP_HANDLER: 0
; COMPUTE_PGM_RSRC2:TGID_X_EN: 1
; COMPUTE_PGM_RSRC2:TGID_Y_EN: 0
; COMPUTE_PGM_RSRC2:TGID_Z_EN: 0
; COMPUTE_PGM_RSRC2:TIDIG_COMP_CNT: 0
; COMPUTE_PGM_RSRC3_GFX90A:ACCUM_OFFSET: 0
; COMPUTE_PGM_RSRC3_GFX90A:TG_SPLIT: 0
	.section	.text._ZN7rocprim17ROCPRIM_400000_NS6detail17trampoline_kernelINS0_14default_configENS1_35radix_sort_onesweep_config_selectorIxNS0_10empty_typeEEEZNS1_34radix_sort_onesweep_global_offsetsIS3_Lb1EPxPS5_mNS0_19identity_decomposerEEE10hipError_tT1_T2_PT3_SE_jT4_jjP12ihipStream_tbEUlT_E_NS1_11comp_targetILNS1_3genE2ELNS1_11target_archE906ELNS1_3gpuE6ELNS1_3repE0EEENS1_52radix_sort_onesweep_histogram_config_static_selectorELNS0_4arch9wavefront6targetE1EEEvSC_,"axG",@progbits,_ZN7rocprim17ROCPRIM_400000_NS6detail17trampoline_kernelINS0_14default_configENS1_35radix_sort_onesweep_config_selectorIxNS0_10empty_typeEEEZNS1_34radix_sort_onesweep_global_offsetsIS3_Lb1EPxPS5_mNS0_19identity_decomposerEEE10hipError_tT1_T2_PT3_SE_jT4_jjP12ihipStream_tbEUlT_E_NS1_11comp_targetILNS1_3genE2ELNS1_11target_archE906ELNS1_3gpuE6ELNS1_3repE0EEENS1_52radix_sort_onesweep_histogram_config_static_selectorELNS0_4arch9wavefront6targetE1EEEvSC_,comdat
	.protected	_ZN7rocprim17ROCPRIM_400000_NS6detail17trampoline_kernelINS0_14default_configENS1_35radix_sort_onesweep_config_selectorIxNS0_10empty_typeEEEZNS1_34radix_sort_onesweep_global_offsetsIS3_Lb1EPxPS5_mNS0_19identity_decomposerEEE10hipError_tT1_T2_PT3_SE_jT4_jjP12ihipStream_tbEUlT_E_NS1_11comp_targetILNS1_3genE2ELNS1_11target_archE906ELNS1_3gpuE6ELNS1_3repE0EEENS1_52radix_sort_onesweep_histogram_config_static_selectorELNS0_4arch9wavefront6targetE1EEEvSC_ ; -- Begin function _ZN7rocprim17ROCPRIM_400000_NS6detail17trampoline_kernelINS0_14default_configENS1_35radix_sort_onesweep_config_selectorIxNS0_10empty_typeEEEZNS1_34radix_sort_onesweep_global_offsetsIS3_Lb1EPxPS5_mNS0_19identity_decomposerEEE10hipError_tT1_T2_PT3_SE_jT4_jjP12ihipStream_tbEUlT_E_NS1_11comp_targetILNS1_3genE2ELNS1_11target_archE906ELNS1_3gpuE6ELNS1_3repE0EEENS1_52radix_sort_onesweep_histogram_config_static_selectorELNS0_4arch9wavefront6targetE1EEEvSC_
	.globl	_ZN7rocprim17ROCPRIM_400000_NS6detail17trampoline_kernelINS0_14default_configENS1_35radix_sort_onesweep_config_selectorIxNS0_10empty_typeEEEZNS1_34radix_sort_onesweep_global_offsetsIS3_Lb1EPxPS5_mNS0_19identity_decomposerEEE10hipError_tT1_T2_PT3_SE_jT4_jjP12ihipStream_tbEUlT_E_NS1_11comp_targetILNS1_3genE2ELNS1_11target_archE906ELNS1_3gpuE6ELNS1_3repE0EEENS1_52radix_sort_onesweep_histogram_config_static_selectorELNS0_4arch9wavefront6targetE1EEEvSC_
	.p2align	8
	.type	_ZN7rocprim17ROCPRIM_400000_NS6detail17trampoline_kernelINS0_14default_configENS1_35radix_sort_onesweep_config_selectorIxNS0_10empty_typeEEEZNS1_34radix_sort_onesweep_global_offsetsIS3_Lb1EPxPS5_mNS0_19identity_decomposerEEE10hipError_tT1_T2_PT3_SE_jT4_jjP12ihipStream_tbEUlT_E_NS1_11comp_targetILNS1_3genE2ELNS1_11target_archE906ELNS1_3gpuE6ELNS1_3repE0EEENS1_52radix_sort_onesweep_histogram_config_static_selectorELNS0_4arch9wavefront6targetE1EEEvSC_,@function
_ZN7rocprim17ROCPRIM_400000_NS6detail17trampoline_kernelINS0_14default_configENS1_35radix_sort_onesweep_config_selectorIxNS0_10empty_typeEEEZNS1_34radix_sort_onesweep_global_offsetsIS3_Lb1EPxPS5_mNS0_19identity_decomposerEEE10hipError_tT1_T2_PT3_SE_jT4_jjP12ihipStream_tbEUlT_E_NS1_11comp_targetILNS1_3genE2ELNS1_11target_archE906ELNS1_3gpuE6ELNS1_3repE0EEENS1_52radix_sort_onesweep_histogram_config_static_selectorELNS0_4arch9wavefront6targetE1EEEvSC_: ; @_ZN7rocprim17ROCPRIM_400000_NS6detail17trampoline_kernelINS0_14default_configENS1_35radix_sort_onesweep_config_selectorIxNS0_10empty_typeEEEZNS1_34radix_sort_onesweep_global_offsetsIS3_Lb1EPxPS5_mNS0_19identity_decomposerEEE10hipError_tT1_T2_PT3_SE_jT4_jjP12ihipStream_tbEUlT_E_NS1_11comp_targetILNS1_3genE2ELNS1_11target_archE906ELNS1_3gpuE6ELNS1_3repE0EEENS1_52radix_sort_onesweep_histogram_config_static_selectorELNS0_4arch9wavefront6targetE1EEEvSC_
; %bb.0:
	.section	.rodata,"a",@progbits
	.p2align	6, 0x0
	.amdhsa_kernel _ZN7rocprim17ROCPRIM_400000_NS6detail17trampoline_kernelINS0_14default_configENS1_35radix_sort_onesweep_config_selectorIxNS0_10empty_typeEEEZNS1_34radix_sort_onesweep_global_offsetsIS3_Lb1EPxPS5_mNS0_19identity_decomposerEEE10hipError_tT1_T2_PT3_SE_jT4_jjP12ihipStream_tbEUlT_E_NS1_11comp_targetILNS1_3genE2ELNS1_11target_archE906ELNS1_3gpuE6ELNS1_3repE0EEENS1_52radix_sort_onesweep_histogram_config_static_selectorELNS0_4arch9wavefront6targetE1EEEvSC_
		.amdhsa_group_segment_fixed_size 0
		.amdhsa_private_segment_fixed_size 0
		.amdhsa_kernarg_size 48
		.amdhsa_user_sgpr_count 6
		.amdhsa_user_sgpr_private_segment_buffer 1
		.amdhsa_user_sgpr_dispatch_ptr 0
		.amdhsa_user_sgpr_queue_ptr 0
		.amdhsa_user_sgpr_kernarg_segment_ptr 1
		.amdhsa_user_sgpr_dispatch_id 0
		.amdhsa_user_sgpr_flat_scratch_init 0
		.amdhsa_user_sgpr_kernarg_preload_length 0
		.amdhsa_user_sgpr_kernarg_preload_offset 0
		.amdhsa_user_sgpr_private_segment_size 0
		.amdhsa_uses_dynamic_stack 0
		.amdhsa_system_sgpr_private_segment_wavefront_offset 0
		.amdhsa_system_sgpr_workgroup_id_x 1
		.amdhsa_system_sgpr_workgroup_id_y 0
		.amdhsa_system_sgpr_workgroup_id_z 0
		.amdhsa_system_sgpr_workgroup_info 0
		.amdhsa_system_vgpr_workitem_id 0
		.amdhsa_next_free_vgpr 1
		.amdhsa_next_free_sgpr 0
		.amdhsa_accum_offset 4
		.amdhsa_reserve_vcc 0
		.amdhsa_reserve_flat_scratch 0
		.amdhsa_float_round_mode_32 0
		.amdhsa_float_round_mode_16_64 0
		.amdhsa_float_denorm_mode_32 3
		.amdhsa_float_denorm_mode_16_64 3
		.amdhsa_dx10_clamp 1
		.amdhsa_ieee_mode 1
		.amdhsa_fp16_overflow 0
		.amdhsa_tg_split 0
		.amdhsa_exception_fp_ieee_invalid_op 0
		.amdhsa_exception_fp_denorm_src 0
		.amdhsa_exception_fp_ieee_div_zero 0
		.amdhsa_exception_fp_ieee_overflow 0
		.amdhsa_exception_fp_ieee_underflow 0
		.amdhsa_exception_fp_ieee_inexact 0
		.amdhsa_exception_int_div_zero 0
	.end_amdhsa_kernel
	.section	.text._ZN7rocprim17ROCPRIM_400000_NS6detail17trampoline_kernelINS0_14default_configENS1_35radix_sort_onesweep_config_selectorIxNS0_10empty_typeEEEZNS1_34radix_sort_onesweep_global_offsetsIS3_Lb1EPxPS5_mNS0_19identity_decomposerEEE10hipError_tT1_T2_PT3_SE_jT4_jjP12ihipStream_tbEUlT_E_NS1_11comp_targetILNS1_3genE2ELNS1_11target_archE906ELNS1_3gpuE6ELNS1_3repE0EEENS1_52radix_sort_onesweep_histogram_config_static_selectorELNS0_4arch9wavefront6targetE1EEEvSC_,"axG",@progbits,_ZN7rocprim17ROCPRIM_400000_NS6detail17trampoline_kernelINS0_14default_configENS1_35radix_sort_onesweep_config_selectorIxNS0_10empty_typeEEEZNS1_34radix_sort_onesweep_global_offsetsIS3_Lb1EPxPS5_mNS0_19identity_decomposerEEE10hipError_tT1_T2_PT3_SE_jT4_jjP12ihipStream_tbEUlT_E_NS1_11comp_targetILNS1_3genE2ELNS1_11target_archE906ELNS1_3gpuE6ELNS1_3repE0EEENS1_52radix_sort_onesweep_histogram_config_static_selectorELNS0_4arch9wavefront6targetE1EEEvSC_,comdat
.Lfunc_end2369:
	.size	_ZN7rocprim17ROCPRIM_400000_NS6detail17trampoline_kernelINS0_14default_configENS1_35radix_sort_onesweep_config_selectorIxNS0_10empty_typeEEEZNS1_34radix_sort_onesweep_global_offsetsIS3_Lb1EPxPS5_mNS0_19identity_decomposerEEE10hipError_tT1_T2_PT3_SE_jT4_jjP12ihipStream_tbEUlT_E_NS1_11comp_targetILNS1_3genE2ELNS1_11target_archE906ELNS1_3gpuE6ELNS1_3repE0EEENS1_52radix_sort_onesweep_histogram_config_static_selectorELNS0_4arch9wavefront6targetE1EEEvSC_, .Lfunc_end2369-_ZN7rocprim17ROCPRIM_400000_NS6detail17trampoline_kernelINS0_14default_configENS1_35radix_sort_onesweep_config_selectorIxNS0_10empty_typeEEEZNS1_34radix_sort_onesweep_global_offsetsIS3_Lb1EPxPS5_mNS0_19identity_decomposerEEE10hipError_tT1_T2_PT3_SE_jT4_jjP12ihipStream_tbEUlT_E_NS1_11comp_targetILNS1_3genE2ELNS1_11target_archE906ELNS1_3gpuE6ELNS1_3repE0EEENS1_52radix_sort_onesweep_histogram_config_static_selectorELNS0_4arch9wavefront6targetE1EEEvSC_
                                        ; -- End function
	.section	.AMDGPU.csdata,"",@progbits
; Kernel info:
; codeLenInByte = 0
; NumSgprs: 4
; NumVgprs: 0
; NumAgprs: 0
; TotalNumVgprs: 0
; ScratchSize: 0
; MemoryBound: 0
; FloatMode: 240
; IeeeMode: 1
; LDSByteSize: 0 bytes/workgroup (compile time only)
; SGPRBlocks: 0
; VGPRBlocks: 0
; NumSGPRsForWavesPerEU: 4
; NumVGPRsForWavesPerEU: 1
; AccumOffset: 4
; Occupancy: 8
; WaveLimiterHint : 0
; COMPUTE_PGM_RSRC2:SCRATCH_EN: 0
; COMPUTE_PGM_RSRC2:USER_SGPR: 6
; COMPUTE_PGM_RSRC2:TRAP_HANDLER: 0
; COMPUTE_PGM_RSRC2:TGID_X_EN: 1
; COMPUTE_PGM_RSRC2:TGID_Y_EN: 0
; COMPUTE_PGM_RSRC2:TGID_Z_EN: 0
; COMPUTE_PGM_RSRC2:TIDIG_COMP_CNT: 0
; COMPUTE_PGM_RSRC3_GFX90A:ACCUM_OFFSET: 0
; COMPUTE_PGM_RSRC3_GFX90A:TG_SPLIT: 0
	.section	.text._ZN7rocprim17ROCPRIM_400000_NS6detail17trampoline_kernelINS0_14default_configENS1_35radix_sort_onesweep_config_selectorIxNS0_10empty_typeEEEZNS1_34radix_sort_onesweep_global_offsetsIS3_Lb1EPxPS5_mNS0_19identity_decomposerEEE10hipError_tT1_T2_PT3_SE_jT4_jjP12ihipStream_tbEUlT_E_NS1_11comp_targetILNS1_3genE4ELNS1_11target_archE910ELNS1_3gpuE8ELNS1_3repE0EEENS1_52radix_sort_onesweep_histogram_config_static_selectorELNS0_4arch9wavefront6targetE1EEEvSC_,"axG",@progbits,_ZN7rocprim17ROCPRIM_400000_NS6detail17trampoline_kernelINS0_14default_configENS1_35radix_sort_onesweep_config_selectorIxNS0_10empty_typeEEEZNS1_34radix_sort_onesweep_global_offsetsIS3_Lb1EPxPS5_mNS0_19identity_decomposerEEE10hipError_tT1_T2_PT3_SE_jT4_jjP12ihipStream_tbEUlT_E_NS1_11comp_targetILNS1_3genE4ELNS1_11target_archE910ELNS1_3gpuE8ELNS1_3repE0EEENS1_52radix_sort_onesweep_histogram_config_static_selectorELNS0_4arch9wavefront6targetE1EEEvSC_,comdat
	.protected	_ZN7rocprim17ROCPRIM_400000_NS6detail17trampoline_kernelINS0_14default_configENS1_35radix_sort_onesweep_config_selectorIxNS0_10empty_typeEEEZNS1_34radix_sort_onesweep_global_offsetsIS3_Lb1EPxPS5_mNS0_19identity_decomposerEEE10hipError_tT1_T2_PT3_SE_jT4_jjP12ihipStream_tbEUlT_E_NS1_11comp_targetILNS1_3genE4ELNS1_11target_archE910ELNS1_3gpuE8ELNS1_3repE0EEENS1_52radix_sort_onesweep_histogram_config_static_selectorELNS0_4arch9wavefront6targetE1EEEvSC_ ; -- Begin function _ZN7rocprim17ROCPRIM_400000_NS6detail17trampoline_kernelINS0_14default_configENS1_35radix_sort_onesweep_config_selectorIxNS0_10empty_typeEEEZNS1_34radix_sort_onesweep_global_offsetsIS3_Lb1EPxPS5_mNS0_19identity_decomposerEEE10hipError_tT1_T2_PT3_SE_jT4_jjP12ihipStream_tbEUlT_E_NS1_11comp_targetILNS1_3genE4ELNS1_11target_archE910ELNS1_3gpuE8ELNS1_3repE0EEENS1_52radix_sort_onesweep_histogram_config_static_selectorELNS0_4arch9wavefront6targetE1EEEvSC_
	.globl	_ZN7rocprim17ROCPRIM_400000_NS6detail17trampoline_kernelINS0_14default_configENS1_35radix_sort_onesweep_config_selectorIxNS0_10empty_typeEEEZNS1_34radix_sort_onesweep_global_offsetsIS3_Lb1EPxPS5_mNS0_19identity_decomposerEEE10hipError_tT1_T2_PT3_SE_jT4_jjP12ihipStream_tbEUlT_E_NS1_11comp_targetILNS1_3genE4ELNS1_11target_archE910ELNS1_3gpuE8ELNS1_3repE0EEENS1_52radix_sort_onesweep_histogram_config_static_selectorELNS0_4arch9wavefront6targetE1EEEvSC_
	.p2align	8
	.type	_ZN7rocprim17ROCPRIM_400000_NS6detail17trampoline_kernelINS0_14default_configENS1_35radix_sort_onesweep_config_selectorIxNS0_10empty_typeEEEZNS1_34radix_sort_onesweep_global_offsetsIS3_Lb1EPxPS5_mNS0_19identity_decomposerEEE10hipError_tT1_T2_PT3_SE_jT4_jjP12ihipStream_tbEUlT_E_NS1_11comp_targetILNS1_3genE4ELNS1_11target_archE910ELNS1_3gpuE8ELNS1_3repE0EEENS1_52radix_sort_onesweep_histogram_config_static_selectorELNS0_4arch9wavefront6targetE1EEEvSC_,@function
_ZN7rocprim17ROCPRIM_400000_NS6detail17trampoline_kernelINS0_14default_configENS1_35radix_sort_onesweep_config_selectorIxNS0_10empty_typeEEEZNS1_34radix_sort_onesweep_global_offsetsIS3_Lb1EPxPS5_mNS0_19identity_decomposerEEE10hipError_tT1_T2_PT3_SE_jT4_jjP12ihipStream_tbEUlT_E_NS1_11comp_targetILNS1_3genE4ELNS1_11target_archE910ELNS1_3gpuE8ELNS1_3repE0EEENS1_52radix_sort_onesweep_histogram_config_static_selectorELNS0_4arch9wavefront6targetE1EEEvSC_: ; @_ZN7rocprim17ROCPRIM_400000_NS6detail17trampoline_kernelINS0_14default_configENS1_35radix_sort_onesweep_config_selectorIxNS0_10empty_typeEEEZNS1_34radix_sort_onesweep_global_offsetsIS3_Lb1EPxPS5_mNS0_19identity_decomposerEEE10hipError_tT1_T2_PT3_SE_jT4_jjP12ihipStream_tbEUlT_E_NS1_11comp_targetILNS1_3genE4ELNS1_11target_archE910ELNS1_3gpuE8ELNS1_3repE0EEENS1_52radix_sort_onesweep_histogram_config_static_selectorELNS0_4arch9wavefront6targetE1EEEvSC_
; %bb.0:
	s_load_dwordx2 s[10:11], s[4:5], 0x18
	s_load_dwordx4 s[0:3], s[4:5], 0x0
	s_load_dwordx2 s[8:9], s[4:5], 0x24
	s_mov_b32 s7, 0
	v_pk_mov_b32 v[2:3], s[6:7], s[6:7] op_sel:[0,1]
	s_lshl_b64 s[6:7], s[6:7], 16
	s_waitcnt lgkmcnt(0)
	v_cmp_le_u64_e32 vcc, s[10:11], v[2:3]
	s_add_u32 s6, s0, s6
	s_addc_u32 s7, s1, s7
	s_mov_b64 s[0:1], -1
	s_cbranch_vccz .LBB2370_319
; %bb.1:
	s_load_dword s0, s[4:5], 0x10
	s_lshl_b32 s1, s10, 13
                                        ; implicit-def: $vgpr16_vgpr17
	s_waitcnt lgkmcnt(0)
	s_sub_i32 s16, s0, s1
	v_cmp_gt_u32_e32 vcc, s16, v0
	s_and_saveexec_b64 s[0:1], vcc
	s_cbranch_execz .LBB2370_3
; %bb.2:
	v_lshlrev_b32_e32 v1, 3, v0
	global_load_dwordx2 v[16:17], v1, s[6:7]
.LBB2370_3:
	s_or_b64 exec, exec, s[0:1]
	v_or_b32_e32 v24, 0x400, v0
	v_cmp_gt_u32_e32 vcc, s16, v24
                                        ; implicit-def: $vgpr14_vgpr15
	s_and_saveexec_b64 s[0:1], vcc
	s_cbranch_execz .LBB2370_5
; %bb.4:
	v_lshlrev_b32_e32 v1, 3, v24
	global_load_dwordx2 v[14:15], v1, s[6:7]
.LBB2370_5:
	s_or_b64 exec, exec, s[0:1]
	v_or_b32_e32 v23, 0x800, v0
	v_cmp_gt_u32_e32 vcc, s16, v23
                                        ; implicit-def: $vgpr12_vgpr13
	s_and_saveexec_b64 s[0:1], vcc
	s_cbranch_execz .LBB2370_7
; %bb.6:
	v_lshlrev_b32_e32 v1, 3, v23
	global_load_dwordx2 v[12:13], v1, s[6:7]
.LBB2370_7:
	s_or_b64 exec, exec, s[0:1]
	v_or_b32_e32 v22, 0xc00, v0
	v_cmp_gt_u32_e32 vcc, s16, v22
                                        ; implicit-def: $vgpr10_vgpr11
	s_and_saveexec_b64 s[0:1], vcc
	s_cbranch_execz .LBB2370_9
; %bb.8:
	v_lshlrev_b32_e32 v1, 3, v22
	global_load_dwordx2 v[10:11], v1, s[6:7]
.LBB2370_9:
	s_or_b64 exec, exec, s[0:1]
	v_or_b32_e32 v21, 0x1000, v0
	v_cmp_gt_u32_e32 vcc, s16, v21
                                        ; implicit-def: $vgpr8_vgpr9
	s_and_saveexec_b64 s[0:1], vcc
	s_cbranch_execz .LBB2370_11
; %bb.10:
	v_lshlrev_b32_e32 v1, 3, v21
	global_load_dwordx2 v[8:9], v1, s[6:7]
.LBB2370_11:
	s_or_b64 exec, exec, s[0:1]
	v_or_b32_e32 v20, 0x1400, v0
	v_cmp_gt_u32_e32 vcc, s16, v20
                                        ; implicit-def: $vgpr6_vgpr7
	s_and_saveexec_b64 s[0:1], vcc
	s_cbranch_execz .LBB2370_13
; %bb.12:
	v_lshlrev_b32_e32 v1, 3, v20
	global_load_dwordx2 v[6:7], v1, s[6:7]
.LBB2370_13:
	s_or_b64 exec, exec, s[0:1]
	v_or_b32_e32 v19, 0x1800, v0
	v_cmp_gt_u32_e32 vcc, s16, v19
                                        ; implicit-def: $vgpr4_vgpr5
	s_and_saveexec_b64 s[0:1], vcc
	s_cbranch_execz .LBB2370_15
; %bb.14:
	v_lshlrev_b32_e32 v1, 3, v19
	global_load_dwordx2 v[4:5], v1, s[6:7]
.LBB2370_15:
	s_or_b64 exec, exec, s[0:1]
	v_or_b32_e32 v18, 0x1c00, v0
	v_cmp_gt_u32_e32 vcc, s16, v18
                                        ; implicit-def: $vgpr2_vgpr3
	s_and_saveexec_b64 s[0:1], vcc
	s_cbranch_execz .LBB2370_17
; %bb.16:
	v_lshlrev_b32_e32 v1, 3, v18
	global_load_dwordx2 v[2:3], v1, s[6:7]
.LBB2370_17:
	s_or_b64 exec, exec, s[0:1]
	s_cmp_le_u32 s9, s8
	s_cselect_b64 s[4:5], -1, 0
	v_cmp_le_u32_e32 vcc, s16, v0
	s_and_b64 s[0:1], s[4:5], exec
	v_lshlrev_b32_e32 v25, 2, v0
	v_mov_b32_e32 v26, 0
	s_cselect_b32 s17, 8, 10
	s_or_b64 s[0:1], s[4:5], vcc
	v_and_b32_e32 v1, 3, v0
	ds_write2st64_b32 v25, v26, v26 offset1:16
	ds_write2st64_b32 v25, v26, v26 offset0:32 offset1:48
	ds_write2st64_b32 v25, v26, v26 offset0:64 offset1:80
	;; [unrolled: 1-line block ×3, first 2 shown]
	s_waitcnt vmcnt(0)
	v_xor_b32_e32 v17, 0x7fffffff, v17
	v_not_b32_e32 v16, v16
	s_xor_b64 s[10:11], s[0:1], -1
	v_mov_b32_e32 v25, s17
	s_waitcnt lgkmcnt(0)
	s_barrier
	s_and_saveexec_b64 s[0:1], s[10:11]
	s_cbranch_execz .LBB2370_19
; %bb.18:
	s_sub_i32 s10, s9, s8
	s_min_u32 s10, s10, 8
	v_lshrrev_b64 v[26:27], s8, v[16:17]
	v_bfe_u32 v25, v26, 0, s10
	v_lshlrev_b32_e32 v26, 2, v1
	v_lshl_or_b32 v25, v25, 4, v26
	v_mov_b32_e32 v26, 1
	ds_add_u32 v25, v26
	v_mov_b32_e32 v25, 0
.LBB2370_19:
	s_or_b64 exec, exec, s[0:1]
	v_cmp_gt_i32_e64 s[0:1], 10, v25
	s_mov_b64 s[12:13], -1
	s_and_saveexec_b64 s[10:11], s[0:1]
; %bb.20:
	v_cmp_eq_u32_e64 s[0:1], 0, v25
	s_orn2_b64 s[12:13], s[0:1], exec
; %bb.21:
	s_or_b64 exec, exec, s[10:11]
	s_and_saveexec_b64 s[10:11], s[12:13]
	s_cbranch_execz .LBB2370_54
; %bb.22:
	s_add_i32 s12, s8, 8
	s_cmp_le_u32 s9, s12
	s_cselect_b64 s[0:1], -1, 0
	s_and_b64 s[14:15], s[0:1], exec
	s_cselect_b32 s13, 8, 10
	s_or_b64 s[0:1], s[0:1], vcc
	s_xor_b64 s[14:15], s[0:1], -1
	v_mov_b32_e32 v25, s13
	s_and_saveexec_b64 s[0:1], s[14:15]
	s_cbranch_execz .LBB2370_24
; %bb.23:
	s_sub_i32 s13, s9, s12
	s_min_u32 s13, s13, 8
	v_lshrrev_b64 v[26:27], s12, v[16:17]
	v_bfe_u32 v25, v26, 0, s13
	v_lshlrev_b32_e32 v26, 2, v1
	v_lshl_or_b32 v25, v25, 4, v26
	v_mov_b32_e32 v26, 1
	ds_add_u32 v25, v26 offset:4096
	v_mov_b32_e32 v25, 0
.LBB2370_24:
	s_or_b64 exec, exec, s[0:1]
	v_cmp_gt_i32_e64 s[0:1], 10, v25
	s_mov_b64 s[12:13], -1
	s_and_saveexec_b64 s[14:15], s[0:1]
; %bb.25:
	v_cmp_eq_u32_e64 s[0:1], 0, v25
	s_orn2_b64 s[12:13], s[0:1], exec
; %bb.26:
	s_or_b64 exec, exec, s[14:15]
	s_and_b64 exec, exec, s[12:13]
	s_cbranch_execz .LBB2370_54
; %bb.27:
	s_add_i32 s12, s8, 16
	s_cmp_le_u32 s9, s12
	s_cselect_b64 s[0:1], -1, 0
	s_and_b64 s[14:15], s[0:1], exec
	s_cselect_b32 s13, 8, 10
	s_or_b64 s[0:1], s[0:1], vcc
	s_xor_b64 s[14:15], s[0:1], -1
	v_mov_b32_e32 v25, s13
	s_and_saveexec_b64 s[0:1], s[14:15]
	s_cbranch_execz .LBB2370_29
; %bb.28:
	s_sub_i32 s13, s9, s12
	s_min_u32 s13, s13, 8
	v_lshrrev_b64 v[26:27], s12, v[16:17]
	v_bfe_u32 v25, v26, 0, s13
	v_lshlrev_b32_e32 v26, 2, v1
	v_lshl_or_b32 v25, v25, 4, v26
	v_mov_b32_e32 v26, 1
	ds_add_u32 v25, v26 offset:8192
	v_mov_b32_e32 v25, 0
.LBB2370_29:
	s_or_b64 exec, exec, s[0:1]
	v_cmp_gt_i32_e64 s[0:1], 10, v25
	s_mov_b64 s[12:13], -1
	s_and_saveexec_b64 s[14:15], s[0:1]
; %bb.30:
	v_cmp_eq_u32_e64 s[0:1], 0, v25
	s_orn2_b64 s[12:13], s[0:1], exec
; %bb.31:
	s_or_b64 exec, exec, s[14:15]
	s_and_b64 exec, exec, s[12:13]
	;; [unrolled: 33-line block ×6, first 2 shown]
	s_cbranch_execz .LBB2370_54
; %bb.52:
	s_add_i32 s0, s8, 56
	s_cmp_gt_u32 s9, s0
	s_cselect_b64 s[12:13], -1, 0
	s_xor_b64 s[14:15], vcc, -1
	s_and_b64 s[12:13], s[12:13], s[14:15]
	s_and_b64 exec, exec, s[12:13]
	s_cbranch_execz .LBB2370_54
; %bb.53:
	s_sub_i32 s1, s9, s0
	s_min_u32 s1, s1, 8
	v_lshrrev_b64 v[16:17], s0, v[16:17]
	v_bfe_u32 v16, v16, 0, s1
	v_lshlrev_b32_e32 v17, 2, v1
	v_lshl_or_b32 v16, v16, 4, v17
	v_mov_b32_e32 v17, 1
	ds_add_u32 v16, v17 offset:28672
.LBB2370_54:
	s_or_b64 exec, exec, s[10:11]
	v_cmp_le_u32_e32 vcc, s16, v24
	s_or_b64 s[0:1], s[4:5], vcc
	v_xor_b32_e32 v15, 0x7fffffff, v15
	v_not_b32_e32 v14, v14
	s_xor_b64 s[10:11], s[0:1], -1
	v_mov_b32_e32 v16, s17
	s_and_saveexec_b64 s[0:1], s[10:11]
	s_cbranch_execz .LBB2370_56
; %bb.55:
	s_sub_i32 s10, s9, s8
	s_min_u32 s10, s10, 8
	v_lshrrev_b64 v[16:17], s8, v[14:15]
	v_bfe_u32 v16, v16, 0, s10
	v_lshlrev_b32_e32 v17, 2, v1
	v_lshl_or_b32 v16, v16, 4, v17
	v_mov_b32_e32 v17, 1
	ds_add_u32 v16, v17
	v_mov_b32_e32 v16, 0
.LBB2370_56:
	s_or_b64 exec, exec, s[0:1]
	v_cmp_gt_i32_e64 s[0:1], 10, v16
	s_mov_b64 s[12:13], -1
	s_and_saveexec_b64 s[10:11], s[0:1]
; %bb.57:
	v_cmp_eq_u32_e64 s[0:1], 0, v16
	s_orn2_b64 s[12:13], s[0:1], exec
; %bb.58:
	s_or_b64 exec, exec, s[10:11]
	s_and_saveexec_b64 s[10:11], s[12:13]
	s_cbranch_execz .LBB2370_91
; %bb.59:
	s_add_i32 s12, s8, 8
	s_cmp_le_u32 s9, s12
	s_cselect_b64 s[0:1], -1, 0
	s_and_b64 s[14:15], s[0:1], exec
	s_cselect_b32 s13, 8, 10
	s_or_b64 s[0:1], s[0:1], vcc
	s_xor_b64 s[14:15], s[0:1], -1
	v_mov_b32_e32 v16, s13
	s_and_saveexec_b64 s[0:1], s[14:15]
	s_cbranch_execz .LBB2370_61
; %bb.60:
	s_sub_i32 s13, s9, s12
	s_min_u32 s13, s13, 8
	v_lshrrev_b64 v[16:17], s12, v[14:15]
	v_bfe_u32 v16, v16, 0, s13
	v_lshlrev_b32_e32 v17, 2, v1
	v_lshl_or_b32 v16, v16, 4, v17
	v_mov_b32_e32 v17, 1
	ds_add_u32 v16, v17 offset:4096
	v_mov_b32_e32 v16, 0
.LBB2370_61:
	s_or_b64 exec, exec, s[0:1]
	v_cmp_gt_i32_e64 s[0:1], 10, v16
	s_mov_b64 s[12:13], -1
	s_and_saveexec_b64 s[14:15], s[0:1]
; %bb.62:
	v_cmp_eq_u32_e64 s[0:1], 0, v16
	s_orn2_b64 s[12:13], s[0:1], exec
; %bb.63:
	s_or_b64 exec, exec, s[14:15]
	s_and_b64 exec, exec, s[12:13]
	s_cbranch_execz .LBB2370_91
; %bb.64:
	s_add_i32 s12, s8, 16
	s_cmp_le_u32 s9, s12
	s_cselect_b64 s[0:1], -1, 0
	s_and_b64 s[14:15], s[0:1], exec
	s_cselect_b32 s13, 8, 10
	s_or_b64 s[0:1], s[0:1], vcc
	s_xor_b64 s[14:15], s[0:1], -1
	v_mov_b32_e32 v16, s13
	s_and_saveexec_b64 s[0:1], s[14:15]
	s_cbranch_execz .LBB2370_66
; %bb.65:
	s_sub_i32 s13, s9, s12
	s_min_u32 s13, s13, 8
	v_lshrrev_b64 v[16:17], s12, v[14:15]
	v_bfe_u32 v16, v16, 0, s13
	v_lshlrev_b32_e32 v17, 2, v1
	v_lshl_or_b32 v16, v16, 4, v17
	v_mov_b32_e32 v17, 1
	ds_add_u32 v16, v17 offset:8192
	v_mov_b32_e32 v16, 0
.LBB2370_66:
	s_or_b64 exec, exec, s[0:1]
	v_cmp_gt_i32_e64 s[0:1], 10, v16
	s_mov_b64 s[12:13], -1
	s_and_saveexec_b64 s[14:15], s[0:1]
; %bb.67:
	v_cmp_eq_u32_e64 s[0:1], 0, v16
	s_orn2_b64 s[12:13], s[0:1], exec
; %bb.68:
	s_or_b64 exec, exec, s[14:15]
	s_and_b64 exec, exec, s[12:13]
	;; [unrolled: 33-line block ×6, first 2 shown]
	s_cbranch_execz .LBB2370_91
; %bb.89:
	s_add_i32 s0, s8, 56
	s_cmp_gt_u32 s9, s0
	s_cselect_b64 s[12:13], -1, 0
	s_xor_b64 s[14:15], vcc, -1
	s_and_b64 s[12:13], s[12:13], s[14:15]
	s_and_b64 exec, exec, s[12:13]
	s_cbranch_execz .LBB2370_91
; %bb.90:
	s_sub_i32 s1, s9, s0
	s_min_u32 s1, s1, 8
	v_lshrrev_b64 v[14:15], s0, v[14:15]
	v_bfe_u32 v14, v14, 0, s1
	v_lshlrev_b32_e32 v15, 2, v1
	v_lshl_or_b32 v14, v14, 4, v15
	v_mov_b32_e32 v15, 1
	ds_add_u32 v14, v15 offset:28672
.LBB2370_91:
	s_or_b64 exec, exec, s[10:11]
	v_cmp_le_u32_e32 vcc, s16, v23
	s_or_b64 s[0:1], s[4:5], vcc
	v_xor_b32_e32 v13, 0x7fffffff, v13
	v_not_b32_e32 v12, v12
	s_xor_b64 s[10:11], s[0:1], -1
	v_mov_b32_e32 v14, s17
	s_and_saveexec_b64 s[0:1], s[10:11]
	s_cbranch_execz .LBB2370_93
; %bb.92:
	s_sub_i32 s10, s9, s8
	s_min_u32 s10, s10, 8
	v_lshrrev_b64 v[14:15], s8, v[12:13]
	v_bfe_u32 v14, v14, 0, s10
	v_lshlrev_b32_e32 v15, 2, v1
	v_lshl_or_b32 v14, v14, 4, v15
	v_mov_b32_e32 v15, 1
	ds_add_u32 v14, v15
	v_mov_b32_e32 v14, 0
.LBB2370_93:
	s_or_b64 exec, exec, s[0:1]
	v_cmp_gt_i32_e64 s[0:1], 10, v14
	s_mov_b64 s[12:13], -1
	s_and_saveexec_b64 s[10:11], s[0:1]
; %bb.94:
	v_cmp_eq_u32_e64 s[0:1], 0, v14
	s_orn2_b64 s[12:13], s[0:1], exec
; %bb.95:
	s_or_b64 exec, exec, s[10:11]
	s_and_saveexec_b64 s[10:11], s[12:13]
	s_cbranch_execz .LBB2370_128
; %bb.96:
	s_add_i32 s12, s8, 8
	s_cmp_le_u32 s9, s12
	s_cselect_b64 s[0:1], -1, 0
	s_and_b64 s[14:15], s[0:1], exec
	s_cselect_b32 s13, 8, 10
	s_or_b64 s[0:1], s[0:1], vcc
	s_xor_b64 s[14:15], s[0:1], -1
	v_mov_b32_e32 v14, s13
	s_and_saveexec_b64 s[0:1], s[14:15]
	s_cbranch_execz .LBB2370_98
; %bb.97:
	s_sub_i32 s13, s9, s12
	s_min_u32 s13, s13, 8
	v_lshrrev_b64 v[14:15], s12, v[12:13]
	v_bfe_u32 v14, v14, 0, s13
	v_lshlrev_b32_e32 v15, 2, v1
	v_lshl_or_b32 v14, v14, 4, v15
	v_mov_b32_e32 v15, 1
	ds_add_u32 v14, v15 offset:4096
	v_mov_b32_e32 v14, 0
.LBB2370_98:
	s_or_b64 exec, exec, s[0:1]
	v_cmp_gt_i32_e64 s[0:1], 10, v14
	s_mov_b64 s[12:13], -1
	s_and_saveexec_b64 s[14:15], s[0:1]
; %bb.99:
	v_cmp_eq_u32_e64 s[0:1], 0, v14
	s_orn2_b64 s[12:13], s[0:1], exec
; %bb.100:
	s_or_b64 exec, exec, s[14:15]
	s_and_b64 exec, exec, s[12:13]
	s_cbranch_execz .LBB2370_128
; %bb.101:
	s_add_i32 s12, s8, 16
	s_cmp_le_u32 s9, s12
	s_cselect_b64 s[0:1], -1, 0
	s_and_b64 s[14:15], s[0:1], exec
	s_cselect_b32 s13, 8, 10
	s_or_b64 s[0:1], s[0:1], vcc
	s_xor_b64 s[14:15], s[0:1], -1
	v_mov_b32_e32 v14, s13
	s_and_saveexec_b64 s[0:1], s[14:15]
	s_cbranch_execz .LBB2370_103
; %bb.102:
	s_sub_i32 s13, s9, s12
	s_min_u32 s13, s13, 8
	v_lshrrev_b64 v[14:15], s12, v[12:13]
	v_bfe_u32 v14, v14, 0, s13
	v_lshlrev_b32_e32 v15, 2, v1
	v_lshl_or_b32 v14, v14, 4, v15
	v_mov_b32_e32 v15, 1
	ds_add_u32 v14, v15 offset:8192
	v_mov_b32_e32 v14, 0
.LBB2370_103:
	s_or_b64 exec, exec, s[0:1]
	v_cmp_gt_i32_e64 s[0:1], 10, v14
	s_mov_b64 s[12:13], -1
	s_and_saveexec_b64 s[14:15], s[0:1]
; %bb.104:
	v_cmp_eq_u32_e64 s[0:1], 0, v14
	s_orn2_b64 s[12:13], s[0:1], exec
; %bb.105:
	s_or_b64 exec, exec, s[14:15]
	s_and_b64 exec, exec, s[12:13]
	;; [unrolled: 33-line block ×6, first 2 shown]
	s_cbranch_execz .LBB2370_128
; %bb.126:
	s_add_i32 s0, s8, 56
	s_cmp_gt_u32 s9, s0
	s_cselect_b64 s[12:13], -1, 0
	s_xor_b64 s[14:15], vcc, -1
	s_and_b64 s[12:13], s[12:13], s[14:15]
	s_and_b64 exec, exec, s[12:13]
	s_cbranch_execz .LBB2370_128
; %bb.127:
	s_sub_i32 s1, s9, s0
	s_min_u32 s1, s1, 8
	v_lshrrev_b64 v[12:13], s0, v[12:13]
	v_bfe_u32 v12, v12, 0, s1
	v_lshlrev_b32_e32 v13, 2, v1
	v_lshl_or_b32 v12, v12, 4, v13
	v_mov_b32_e32 v13, 1
	ds_add_u32 v12, v13 offset:28672
.LBB2370_128:
	s_or_b64 exec, exec, s[10:11]
	v_cmp_le_u32_e32 vcc, s16, v22
	s_or_b64 s[0:1], s[4:5], vcc
	v_xor_b32_e32 v11, 0x7fffffff, v11
	v_not_b32_e32 v10, v10
	s_xor_b64 s[10:11], s[0:1], -1
	v_mov_b32_e32 v12, s17
	s_and_saveexec_b64 s[0:1], s[10:11]
	s_cbranch_execz .LBB2370_130
; %bb.129:
	s_sub_i32 s10, s9, s8
	s_min_u32 s10, s10, 8
	v_lshrrev_b64 v[12:13], s8, v[10:11]
	v_bfe_u32 v12, v12, 0, s10
	v_lshlrev_b32_e32 v13, 2, v1
	v_lshl_or_b32 v12, v12, 4, v13
	v_mov_b32_e32 v13, 1
	ds_add_u32 v12, v13
	v_mov_b32_e32 v12, 0
.LBB2370_130:
	s_or_b64 exec, exec, s[0:1]
	v_cmp_gt_i32_e64 s[0:1], 10, v12
	s_mov_b64 s[12:13], -1
	s_and_saveexec_b64 s[10:11], s[0:1]
; %bb.131:
	v_cmp_eq_u32_e64 s[0:1], 0, v12
	s_orn2_b64 s[12:13], s[0:1], exec
; %bb.132:
	s_or_b64 exec, exec, s[10:11]
	s_and_saveexec_b64 s[10:11], s[12:13]
	s_cbranch_execz .LBB2370_165
; %bb.133:
	s_add_i32 s12, s8, 8
	s_cmp_le_u32 s9, s12
	s_cselect_b64 s[0:1], -1, 0
	s_and_b64 s[14:15], s[0:1], exec
	s_cselect_b32 s13, 8, 10
	s_or_b64 s[0:1], s[0:1], vcc
	s_xor_b64 s[14:15], s[0:1], -1
	v_mov_b32_e32 v12, s13
	s_and_saveexec_b64 s[0:1], s[14:15]
	s_cbranch_execz .LBB2370_135
; %bb.134:
	s_sub_i32 s13, s9, s12
	s_min_u32 s13, s13, 8
	v_lshrrev_b64 v[12:13], s12, v[10:11]
	v_bfe_u32 v12, v12, 0, s13
	v_lshlrev_b32_e32 v13, 2, v1
	v_lshl_or_b32 v12, v12, 4, v13
	v_mov_b32_e32 v13, 1
	ds_add_u32 v12, v13 offset:4096
	v_mov_b32_e32 v12, 0
.LBB2370_135:
	s_or_b64 exec, exec, s[0:1]
	v_cmp_gt_i32_e64 s[0:1], 10, v12
	s_mov_b64 s[12:13], -1
	s_and_saveexec_b64 s[14:15], s[0:1]
; %bb.136:
	v_cmp_eq_u32_e64 s[0:1], 0, v12
	s_orn2_b64 s[12:13], s[0:1], exec
; %bb.137:
	s_or_b64 exec, exec, s[14:15]
	s_and_b64 exec, exec, s[12:13]
	s_cbranch_execz .LBB2370_165
; %bb.138:
	s_add_i32 s12, s8, 16
	s_cmp_le_u32 s9, s12
	s_cselect_b64 s[0:1], -1, 0
	s_and_b64 s[14:15], s[0:1], exec
	s_cselect_b32 s13, 8, 10
	s_or_b64 s[0:1], s[0:1], vcc
	s_xor_b64 s[14:15], s[0:1], -1
	v_mov_b32_e32 v12, s13
	s_and_saveexec_b64 s[0:1], s[14:15]
	s_cbranch_execz .LBB2370_140
; %bb.139:
	s_sub_i32 s13, s9, s12
	s_min_u32 s13, s13, 8
	v_lshrrev_b64 v[12:13], s12, v[10:11]
	v_bfe_u32 v12, v12, 0, s13
	v_lshlrev_b32_e32 v13, 2, v1
	v_lshl_or_b32 v12, v12, 4, v13
	v_mov_b32_e32 v13, 1
	ds_add_u32 v12, v13 offset:8192
	v_mov_b32_e32 v12, 0
.LBB2370_140:
	s_or_b64 exec, exec, s[0:1]
	v_cmp_gt_i32_e64 s[0:1], 10, v12
	s_mov_b64 s[12:13], -1
	s_and_saveexec_b64 s[14:15], s[0:1]
; %bb.141:
	v_cmp_eq_u32_e64 s[0:1], 0, v12
	s_orn2_b64 s[12:13], s[0:1], exec
; %bb.142:
	s_or_b64 exec, exec, s[14:15]
	s_and_b64 exec, exec, s[12:13]
	;; [unrolled: 33-line block ×6, first 2 shown]
	s_cbranch_execz .LBB2370_165
; %bb.163:
	s_add_i32 s0, s8, 56
	s_cmp_gt_u32 s9, s0
	s_cselect_b64 s[12:13], -1, 0
	s_xor_b64 s[14:15], vcc, -1
	s_and_b64 s[12:13], s[12:13], s[14:15]
	s_and_b64 exec, exec, s[12:13]
	s_cbranch_execz .LBB2370_165
; %bb.164:
	s_sub_i32 s1, s9, s0
	s_min_u32 s1, s1, 8
	v_lshrrev_b64 v[10:11], s0, v[10:11]
	v_bfe_u32 v10, v10, 0, s1
	v_lshlrev_b32_e32 v11, 2, v1
	v_lshl_or_b32 v10, v10, 4, v11
	v_mov_b32_e32 v11, 1
	ds_add_u32 v10, v11 offset:28672
.LBB2370_165:
	s_or_b64 exec, exec, s[10:11]
	v_cmp_le_u32_e32 vcc, s16, v21
	s_or_b64 s[0:1], s[4:5], vcc
	v_xor_b32_e32 v9, 0x7fffffff, v9
	v_not_b32_e32 v8, v8
	s_xor_b64 s[10:11], s[0:1], -1
	v_mov_b32_e32 v10, s17
	s_and_saveexec_b64 s[0:1], s[10:11]
	s_cbranch_execz .LBB2370_167
; %bb.166:
	s_sub_i32 s10, s9, s8
	s_min_u32 s10, s10, 8
	v_lshrrev_b64 v[10:11], s8, v[8:9]
	v_bfe_u32 v10, v10, 0, s10
	v_lshlrev_b32_e32 v11, 2, v1
	v_lshl_or_b32 v10, v10, 4, v11
	v_mov_b32_e32 v11, 1
	ds_add_u32 v10, v11
	v_mov_b32_e32 v10, 0
.LBB2370_167:
	s_or_b64 exec, exec, s[0:1]
	v_cmp_gt_i32_e64 s[0:1], 10, v10
	s_mov_b64 s[12:13], -1
	s_and_saveexec_b64 s[10:11], s[0:1]
; %bb.168:
	v_cmp_eq_u32_e64 s[0:1], 0, v10
	s_orn2_b64 s[12:13], s[0:1], exec
; %bb.169:
	s_or_b64 exec, exec, s[10:11]
	s_and_saveexec_b64 s[10:11], s[12:13]
	s_cbranch_execz .LBB2370_202
; %bb.170:
	s_add_i32 s12, s8, 8
	s_cmp_le_u32 s9, s12
	s_cselect_b64 s[0:1], -1, 0
	s_and_b64 s[14:15], s[0:1], exec
	s_cselect_b32 s13, 8, 10
	s_or_b64 s[0:1], s[0:1], vcc
	s_xor_b64 s[14:15], s[0:1], -1
	v_mov_b32_e32 v10, s13
	s_and_saveexec_b64 s[0:1], s[14:15]
	s_cbranch_execz .LBB2370_172
; %bb.171:
	s_sub_i32 s13, s9, s12
	s_min_u32 s13, s13, 8
	v_lshrrev_b64 v[10:11], s12, v[8:9]
	v_bfe_u32 v10, v10, 0, s13
	v_lshlrev_b32_e32 v11, 2, v1
	v_lshl_or_b32 v10, v10, 4, v11
	v_mov_b32_e32 v11, 1
	ds_add_u32 v10, v11 offset:4096
	v_mov_b32_e32 v10, 0
.LBB2370_172:
	s_or_b64 exec, exec, s[0:1]
	v_cmp_gt_i32_e64 s[0:1], 10, v10
	s_mov_b64 s[12:13], -1
	s_and_saveexec_b64 s[14:15], s[0:1]
; %bb.173:
	v_cmp_eq_u32_e64 s[0:1], 0, v10
	s_orn2_b64 s[12:13], s[0:1], exec
; %bb.174:
	s_or_b64 exec, exec, s[14:15]
	s_and_b64 exec, exec, s[12:13]
	s_cbranch_execz .LBB2370_202
; %bb.175:
	s_add_i32 s12, s8, 16
	s_cmp_le_u32 s9, s12
	s_cselect_b64 s[0:1], -1, 0
	s_and_b64 s[14:15], s[0:1], exec
	s_cselect_b32 s13, 8, 10
	s_or_b64 s[0:1], s[0:1], vcc
	s_xor_b64 s[14:15], s[0:1], -1
	v_mov_b32_e32 v10, s13
	s_and_saveexec_b64 s[0:1], s[14:15]
	s_cbranch_execz .LBB2370_177
; %bb.176:
	s_sub_i32 s13, s9, s12
	s_min_u32 s13, s13, 8
	v_lshrrev_b64 v[10:11], s12, v[8:9]
	v_bfe_u32 v10, v10, 0, s13
	v_lshlrev_b32_e32 v11, 2, v1
	v_lshl_or_b32 v10, v10, 4, v11
	v_mov_b32_e32 v11, 1
	ds_add_u32 v10, v11 offset:8192
	v_mov_b32_e32 v10, 0
.LBB2370_177:
	s_or_b64 exec, exec, s[0:1]
	v_cmp_gt_i32_e64 s[0:1], 10, v10
	s_mov_b64 s[12:13], -1
	s_and_saveexec_b64 s[14:15], s[0:1]
; %bb.178:
	v_cmp_eq_u32_e64 s[0:1], 0, v10
	s_orn2_b64 s[12:13], s[0:1], exec
; %bb.179:
	s_or_b64 exec, exec, s[14:15]
	s_and_b64 exec, exec, s[12:13]
	;; [unrolled: 33-line block ×6, first 2 shown]
	s_cbranch_execz .LBB2370_202
; %bb.200:
	s_add_i32 s0, s8, 56
	s_cmp_gt_u32 s9, s0
	s_cselect_b64 s[12:13], -1, 0
	s_xor_b64 s[14:15], vcc, -1
	s_and_b64 s[12:13], s[12:13], s[14:15]
	s_and_b64 exec, exec, s[12:13]
	s_cbranch_execz .LBB2370_202
; %bb.201:
	s_sub_i32 s1, s9, s0
	s_min_u32 s1, s1, 8
	v_lshrrev_b64 v[8:9], s0, v[8:9]
	v_bfe_u32 v8, v8, 0, s1
	v_lshlrev_b32_e32 v9, 2, v1
	v_lshl_or_b32 v8, v8, 4, v9
	v_mov_b32_e32 v9, 1
	ds_add_u32 v8, v9 offset:28672
.LBB2370_202:
	s_or_b64 exec, exec, s[10:11]
	v_cmp_le_u32_e32 vcc, s16, v20
	s_or_b64 s[0:1], s[4:5], vcc
	v_xor_b32_e32 v7, 0x7fffffff, v7
	v_not_b32_e32 v6, v6
	s_xor_b64 s[10:11], s[0:1], -1
	v_mov_b32_e32 v8, s17
	s_and_saveexec_b64 s[0:1], s[10:11]
	s_cbranch_execz .LBB2370_204
; %bb.203:
	s_sub_i32 s10, s9, s8
	s_min_u32 s10, s10, 8
	v_lshrrev_b64 v[8:9], s8, v[6:7]
	v_bfe_u32 v8, v8, 0, s10
	v_lshlrev_b32_e32 v9, 2, v1
	v_lshl_or_b32 v8, v8, 4, v9
	v_mov_b32_e32 v9, 1
	ds_add_u32 v8, v9
	v_mov_b32_e32 v8, 0
.LBB2370_204:
	s_or_b64 exec, exec, s[0:1]
	v_cmp_gt_i32_e64 s[0:1], 10, v8
	s_mov_b64 s[12:13], -1
	s_and_saveexec_b64 s[10:11], s[0:1]
; %bb.205:
	v_cmp_eq_u32_e64 s[0:1], 0, v8
	s_orn2_b64 s[12:13], s[0:1], exec
; %bb.206:
	s_or_b64 exec, exec, s[10:11]
	s_and_saveexec_b64 s[10:11], s[12:13]
	s_cbranch_execz .LBB2370_239
; %bb.207:
	s_add_i32 s12, s8, 8
	s_cmp_le_u32 s9, s12
	s_cselect_b64 s[0:1], -1, 0
	s_and_b64 s[14:15], s[0:1], exec
	s_cselect_b32 s13, 8, 10
	s_or_b64 s[0:1], s[0:1], vcc
	s_xor_b64 s[14:15], s[0:1], -1
	v_mov_b32_e32 v8, s13
	s_and_saveexec_b64 s[0:1], s[14:15]
	s_cbranch_execz .LBB2370_209
; %bb.208:
	s_sub_i32 s13, s9, s12
	s_min_u32 s13, s13, 8
	v_lshrrev_b64 v[8:9], s12, v[6:7]
	v_bfe_u32 v8, v8, 0, s13
	v_lshlrev_b32_e32 v9, 2, v1
	v_lshl_or_b32 v8, v8, 4, v9
	v_mov_b32_e32 v9, 1
	ds_add_u32 v8, v9 offset:4096
	v_mov_b32_e32 v8, 0
.LBB2370_209:
	s_or_b64 exec, exec, s[0:1]
	v_cmp_gt_i32_e64 s[0:1], 10, v8
	s_mov_b64 s[12:13], -1
	s_and_saveexec_b64 s[14:15], s[0:1]
; %bb.210:
	v_cmp_eq_u32_e64 s[0:1], 0, v8
	s_orn2_b64 s[12:13], s[0:1], exec
; %bb.211:
	s_or_b64 exec, exec, s[14:15]
	s_and_b64 exec, exec, s[12:13]
	s_cbranch_execz .LBB2370_239
; %bb.212:
	s_add_i32 s12, s8, 16
	s_cmp_le_u32 s9, s12
	s_cselect_b64 s[0:1], -1, 0
	s_and_b64 s[14:15], s[0:1], exec
	s_cselect_b32 s13, 8, 10
	s_or_b64 s[0:1], s[0:1], vcc
	s_xor_b64 s[14:15], s[0:1], -1
	v_mov_b32_e32 v8, s13
	s_and_saveexec_b64 s[0:1], s[14:15]
	s_cbranch_execz .LBB2370_214
; %bb.213:
	s_sub_i32 s13, s9, s12
	s_min_u32 s13, s13, 8
	v_lshrrev_b64 v[8:9], s12, v[6:7]
	v_bfe_u32 v8, v8, 0, s13
	v_lshlrev_b32_e32 v9, 2, v1
	v_lshl_or_b32 v8, v8, 4, v9
	v_mov_b32_e32 v9, 1
	ds_add_u32 v8, v9 offset:8192
	v_mov_b32_e32 v8, 0
.LBB2370_214:
	s_or_b64 exec, exec, s[0:1]
	v_cmp_gt_i32_e64 s[0:1], 10, v8
	s_mov_b64 s[12:13], -1
	s_and_saveexec_b64 s[14:15], s[0:1]
; %bb.215:
	v_cmp_eq_u32_e64 s[0:1], 0, v8
	s_orn2_b64 s[12:13], s[0:1], exec
; %bb.216:
	s_or_b64 exec, exec, s[14:15]
	s_and_b64 exec, exec, s[12:13]
	;; [unrolled: 33-line block ×6, first 2 shown]
	s_cbranch_execz .LBB2370_239
; %bb.237:
	s_add_i32 s0, s8, 56
	s_cmp_gt_u32 s9, s0
	s_cselect_b64 s[12:13], -1, 0
	s_xor_b64 s[14:15], vcc, -1
	s_and_b64 s[12:13], s[12:13], s[14:15]
	s_and_b64 exec, exec, s[12:13]
	s_cbranch_execz .LBB2370_239
; %bb.238:
	s_sub_i32 s1, s9, s0
	s_min_u32 s1, s1, 8
	v_lshrrev_b64 v[6:7], s0, v[6:7]
	v_bfe_u32 v6, v6, 0, s1
	v_lshlrev_b32_e32 v7, 2, v1
	v_lshl_or_b32 v6, v6, 4, v7
	v_mov_b32_e32 v7, 1
	ds_add_u32 v6, v7 offset:28672
.LBB2370_239:
	s_or_b64 exec, exec, s[10:11]
	v_cmp_le_u32_e32 vcc, s16, v19
	s_or_b64 s[0:1], s[4:5], vcc
	v_xor_b32_e32 v5, 0x7fffffff, v5
	v_not_b32_e32 v4, v4
	s_xor_b64 s[10:11], s[0:1], -1
	v_mov_b32_e32 v6, s17
	s_and_saveexec_b64 s[0:1], s[10:11]
	s_cbranch_execz .LBB2370_241
; %bb.240:
	s_sub_i32 s10, s9, s8
	s_min_u32 s10, s10, 8
	v_lshrrev_b64 v[6:7], s8, v[4:5]
	v_bfe_u32 v6, v6, 0, s10
	v_lshlrev_b32_e32 v7, 2, v1
	v_lshl_or_b32 v6, v6, 4, v7
	v_mov_b32_e32 v7, 1
	ds_add_u32 v6, v7
	v_mov_b32_e32 v6, 0
.LBB2370_241:
	s_or_b64 exec, exec, s[0:1]
	v_cmp_gt_i32_e64 s[0:1], 10, v6
	s_mov_b64 s[12:13], -1
	s_and_saveexec_b64 s[10:11], s[0:1]
; %bb.242:
	v_cmp_eq_u32_e64 s[0:1], 0, v6
	s_orn2_b64 s[12:13], s[0:1], exec
; %bb.243:
	s_or_b64 exec, exec, s[10:11]
	s_and_saveexec_b64 s[10:11], s[12:13]
	s_cbranch_execz .LBB2370_276
; %bb.244:
	s_add_i32 s12, s8, 8
	s_cmp_le_u32 s9, s12
	s_cselect_b64 s[0:1], -1, 0
	s_and_b64 s[14:15], s[0:1], exec
	s_cselect_b32 s13, 8, 10
	s_or_b64 s[0:1], s[0:1], vcc
	s_xor_b64 s[14:15], s[0:1], -1
	v_mov_b32_e32 v6, s13
	s_and_saveexec_b64 s[0:1], s[14:15]
	s_cbranch_execz .LBB2370_246
; %bb.245:
	s_sub_i32 s13, s9, s12
	s_min_u32 s13, s13, 8
	v_lshrrev_b64 v[6:7], s12, v[4:5]
	v_bfe_u32 v6, v6, 0, s13
	v_lshlrev_b32_e32 v7, 2, v1
	v_lshl_or_b32 v6, v6, 4, v7
	v_mov_b32_e32 v7, 1
	ds_add_u32 v6, v7 offset:4096
	v_mov_b32_e32 v6, 0
.LBB2370_246:
	s_or_b64 exec, exec, s[0:1]
	v_cmp_gt_i32_e64 s[0:1], 10, v6
	s_mov_b64 s[12:13], -1
	s_and_saveexec_b64 s[14:15], s[0:1]
; %bb.247:
	v_cmp_eq_u32_e64 s[0:1], 0, v6
	s_orn2_b64 s[12:13], s[0:1], exec
; %bb.248:
	s_or_b64 exec, exec, s[14:15]
	s_and_b64 exec, exec, s[12:13]
	s_cbranch_execz .LBB2370_276
; %bb.249:
	s_add_i32 s12, s8, 16
	s_cmp_le_u32 s9, s12
	s_cselect_b64 s[0:1], -1, 0
	s_and_b64 s[14:15], s[0:1], exec
	s_cselect_b32 s13, 8, 10
	s_or_b64 s[0:1], s[0:1], vcc
	s_xor_b64 s[14:15], s[0:1], -1
	v_mov_b32_e32 v6, s13
	s_and_saveexec_b64 s[0:1], s[14:15]
	s_cbranch_execz .LBB2370_251
; %bb.250:
	s_sub_i32 s13, s9, s12
	s_min_u32 s13, s13, 8
	v_lshrrev_b64 v[6:7], s12, v[4:5]
	v_bfe_u32 v6, v6, 0, s13
	v_lshlrev_b32_e32 v7, 2, v1
	v_lshl_or_b32 v6, v6, 4, v7
	v_mov_b32_e32 v7, 1
	ds_add_u32 v6, v7 offset:8192
	v_mov_b32_e32 v6, 0
.LBB2370_251:
	s_or_b64 exec, exec, s[0:1]
	v_cmp_gt_i32_e64 s[0:1], 10, v6
	s_mov_b64 s[12:13], -1
	s_and_saveexec_b64 s[14:15], s[0:1]
; %bb.252:
	v_cmp_eq_u32_e64 s[0:1], 0, v6
	s_orn2_b64 s[12:13], s[0:1], exec
; %bb.253:
	s_or_b64 exec, exec, s[14:15]
	s_and_b64 exec, exec, s[12:13]
	;; [unrolled: 33-line block ×6, first 2 shown]
	s_cbranch_execz .LBB2370_276
; %bb.274:
	s_add_i32 s0, s8, 56
	s_cmp_gt_u32 s9, s0
	s_cselect_b64 s[12:13], -1, 0
	s_xor_b64 s[14:15], vcc, -1
	s_and_b64 s[12:13], s[12:13], s[14:15]
	s_and_b64 exec, exec, s[12:13]
	s_cbranch_execz .LBB2370_276
; %bb.275:
	s_sub_i32 s1, s9, s0
	s_min_u32 s1, s1, 8
	v_lshrrev_b64 v[4:5], s0, v[4:5]
	v_bfe_u32 v4, v4, 0, s1
	v_lshlrev_b32_e32 v5, 2, v1
	v_lshl_or_b32 v4, v4, 4, v5
	v_mov_b32_e32 v5, 1
	ds_add_u32 v4, v5 offset:28672
.LBB2370_276:
	s_or_b64 exec, exec, s[10:11]
	v_cmp_le_u32_e32 vcc, s16, v18
	s_or_b64 s[0:1], s[4:5], vcc
	v_xor_b32_e32 v3, 0x7fffffff, v3
	v_not_b32_e32 v2, v2
	s_xor_b64 s[4:5], s[0:1], -1
	v_mov_b32_e32 v4, s17
	s_and_saveexec_b64 s[0:1], s[4:5]
	s_cbranch_execz .LBB2370_278
; %bb.277:
	s_sub_i32 s4, s9, s8
	s_min_u32 s4, s4, 8
	v_lshrrev_b64 v[4:5], s8, v[2:3]
	v_bfe_u32 v4, v4, 0, s4
	v_lshlrev_b32_e32 v5, 2, v1
	v_lshl_or_b32 v4, v4, 4, v5
	v_mov_b32_e32 v5, 1
	ds_add_u32 v4, v5
	v_mov_b32_e32 v4, 0
.LBB2370_278:
	s_or_b64 exec, exec, s[0:1]
	v_cmp_gt_i32_e64 s[0:1], 10, v4
	s_mov_b64 s[10:11], -1
	s_and_saveexec_b64 s[4:5], s[0:1]
; %bb.279:
	v_cmp_eq_u32_e64 s[0:1], 0, v4
	s_orn2_b64 s[10:11], s[0:1], exec
; %bb.280:
	s_or_b64 exec, exec, s[4:5]
	s_and_saveexec_b64 s[4:5], s[10:11]
	s_cbranch_execz .LBB2370_313
; %bb.281:
	s_add_i32 s10, s8, 8
	s_cmp_le_u32 s9, s10
	s_cselect_b64 s[0:1], -1, 0
	s_and_b64 s[12:13], s[0:1], exec
	s_cselect_b32 s11, 8, 10
	s_or_b64 s[0:1], s[0:1], vcc
	s_xor_b64 s[12:13], s[0:1], -1
	v_mov_b32_e32 v4, s11
	s_and_saveexec_b64 s[0:1], s[12:13]
	s_cbranch_execz .LBB2370_283
; %bb.282:
	s_sub_i32 s11, s9, s10
	s_min_u32 s11, s11, 8
	v_lshrrev_b64 v[4:5], s10, v[2:3]
	v_bfe_u32 v4, v4, 0, s11
	v_lshlrev_b32_e32 v5, 2, v1
	v_lshl_or_b32 v4, v4, 4, v5
	v_mov_b32_e32 v5, 1
	ds_add_u32 v4, v5 offset:4096
	v_mov_b32_e32 v4, 0
.LBB2370_283:
	s_or_b64 exec, exec, s[0:1]
	v_cmp_gt_i32_e64 s[0:1], 10, v4
	s_mov_b64 s[10:11], -1
	s_and_saveexec_b64 s[12:13], s[0:1]
; %bb.284:
	v_cmp_eq_u32_e64 s[0:1], 0, v4
	s_orn2_b64 s[10:11], s[0:1], exec
; %bb.285:
	s_or_b64 exec, exec, s[12:13]
	s_and_b64 exec, exec, s[10:11]
	s_cbranch_execz .LBB2370_313
; %bb.286:
	s_add_i32 s10, s8, 16
	s_cmp_le_u32 s9, s10
	s_cselect_b64 s[0:1], -1, 0
	s_and_b64 s[12:13], s[0:1], exec
	s_cselect_b32 s11, 8, 10
	s_or_b64 s[0:1], s[0:1], vcc
	s_xor_b64 s[12:13], s[0:1], -1
	v_mov_b32_e32 v4, s11
	s_and_saveexec_b64 s[0:1], s[12:13]
	s_cbranch_execz .LBB2370_288
; %bb.287:
	s_sub_i32 s11, s9, s10
	s_min_u32 s11, s11, 8
	v_lshrrev_b64 v[4:5], s10, v[2:3]
	v_bfe_u32 v4, v4, 0, s11
	v_lshlrev_b32_e32 v5, 2, v1
	v_lshl_or_b32 v4, v4, 4, v5
	v_mov_b32_e32 v5, 1
	ds_add_u32 v4, v5 offset:8192
	v_mov_b32_e32 v4, 0
.LBB2370_288:
	s_or_b64 exec, exec, s[0:1]
	v_cmp_gt_i32_e64 s[0:1], 10, v4
	s_mov_b64 s[10:11], -1
	s_and_saveexec_b64 s[12:13], s[0:1]
; %bb.289:
	v_cmp_eq_u32_e64 s[0:1], 0, v4
	s_orn2_b64 s[10:11], s[0:1], exec
; %bb.290:
	s_or_b64 exec, exec, s[12:13]
	s_and_b64 exec, exec, s[10:11]
	s_cbranch_execz .LBB2370_313
; %bb.291:
	s_add_i32 s10, s8, 24
	s_cmp_le_u32 s9, s10
	s_cselect_b64 s[0:1], -1, 0
	s_and_b64 s[12:13], s[0:1], exec
	s_cselect_b32 s11, 8, 10
	s_or_b64 s[0:1], s[0:1], vcc
	s_xor_b64 s[12:13], s[0:1], -1
	v_mov_b32_e32 v4, s11
	s_and_saveexec_b64 s[0:1], s[12:13]
	s_cbranch_execz .LBB2370_293
; %bb.292:
	s_sub_i32 s11, s9, s10
	s_min_u32 s11, s11, 8
	v_lshrrev_b64 v[4:5], s10, v[2:3]
	v_bfe_u32 v4, v4, 0, s11
	v_lshlrev_b32_e32 v5, 2, v1
	v_lshl_or_b32 v4, v4, 4, v5
	v_mov_b32_e32 v5, 1
	ds_add_u32 v4, v5 offset:12288
	v_mov_b32_e32 v4, 0
.LBB2370_293:
	s_or_b64 exec, exec, s[0:1]
	v_cmp_gt_i32_e64 s[0:1], 10, v4
	s_mov_b64 s[10:11], -1
	s_and_saveexec_b64 s[12:13], s[0:1]
; %bb.294:
	v_cmp_eq_u32_e64 s[0:1], 0, v4
	s_orn2_b64 s[10:11], s[0:1], exec
; %bb.295:
	s_or_b64 exec, exec, s[12:13]
	s_and_b64 exec, exec, s[10:11]
	s_cbranch_execz .LBB2370_313
; %bb.296:
	s_add_i32 s10, s8, 32
	s_cmp_le_u32 s9, s10
	s_cselect_b64 s[0:1], -1, 0
	s_and_b64 s[12:13], s[0:1], exec
	s_cselect_b32 s11, 8, 10
	s_or_b64 s[0:1], s[0:1], vcc
	s_xor_b64 s[12:13], s[0:1], -1
	v_mov_b32_e32 v4, s11
	s_and_saveexec_b64 s[0:1], s[12:13]
	s_cbranch_execz .LBB2370_298
; %bb.297:
	s_sub_i32 s11, s9, s10
	s_min_u32 s11, s11, 8
	v_lshrrev_b64 v[4:5], s10, v[2:3]
	v_bfe_u32 v4, v4, 0, s11
	v_lshlrev_b32_e32 v5, 2, v1
	v_lshl_or_b32 v4, v4, 4, v5
	v_mov_b32_e32 v5, 1
	ds_add_u32 v4, v5 offset:16384
	v_mov_b32_e32 v4, 0
.LBB2370_298:
	s_or_b64 exec, exec, s[0:1]
	v_cmp_gt_i32_e64 s[0:1], 10, v4
	s_mov_b64 s[10:11], -1
	s_and_saveexec_b64 s[12:13], s[0:1]
; %bb.299:
	v_cmp_eq_u32_e64 s[0:1], 0, v4
	s_orn2_b64 s[10:11], s[0:1], exec
; %bb.300:
	s_or_b64 exec, exec, s[12:13]
	s_and_b64 exec, exec, s[10:11]
	s_cbranch_execz .LBB2370_313
; %bb.301:
	s_add_i32 s10, s8, 40
	s_cmp_le_u32 s9, s10
	s_cselect_b64 s[0:1], -1, 0
	s_and_b64 s[12:13], s[0:1], exec
	s_cselect_b32 s11, 8, 10
	s_or_b64 s[0:1], s[0:1], vcc
	s_xor_b64 s[12:13], s[0:1], -1
	v_mov_b32_e32 v4, s11
	s_and_saveexec_b64 s[0:1], s[12:13]
	s_cbranch_execz .LBB2370_303
; %bb.302:
	s_sub_i32 s11, s9, s10
	s_min_u32 s11, s11, 8
	v_lshrrev_b64 v[4:5], s10, v[2:3]
	v_bfe_u32 v4, v4, 0, s11
	v_lshlrev_b32_e32 v5, 2, v1
	v_lshl_or_b32 v4, v4, 4, v5
	v_mov_b32_e32 v5, 1
	ds_add_u32 v4, v5 offset:20480
	v_mov_b32_e32 v4, 0
.LBB2370_303:
	s_or_b64 exec, exec, s[0:1]
	v_cmp_gt_i32_e64 s[0:1], 10, v4
	s_mov_b64 s[10:11], -1
	s_and_saveexec_b64 s[12:13], s[0:1]
; %bb.304:
	v_cmp_eq_u32_e64 s[0:1], 0, v4
	s_orn2_b64 s[10:11], s[0:1], exec
; %bb.305:
	s_or_b64 exec, exec, s[12:13]
	s_and_b64 exec, exec, s[10:11]
	s_cbranch_execz .LBB2370_313
; %bb.306:
	s_add_i32 s10, s8, 48
	s_cmp_le_u32 s9, s10
	s_cselect_b64 s[0:1], -1, 0
	s_and_b64 s[12:13], s[0:1], exec
	s_cselect_b32 s11, 8, 10
	s_or_b64 s[0:1], s[0:1], vcc
	s_xor_b64 s[12:13], s[0:1], -1
	v_mov_b32_e32 v4, s11
	s_and_saveexec_b64 s[0:1], s[12:13]
	s_cbranch_execz .LBB2370_308
; %bb.307:
	s_sub_i32 s11, s9, s10
	s_min_u32 s11, s11, 8
	v_lshrrev_b64 v[4:5], s10, v[2:3]
	v_bfe_u32 v4, v4, 0, s11
	v_lshlrev_b32_e32 v5, 2, v1
	v_lshl_or_b32 v4, v4, 4, v5
	v_mov_b32_e32 v5, 1
	ds_add_u32 v4, v5 offset:24576
	v_mov_b32_e32 v4, 0
.LBB2370_308:
	s_or_b64 exec, exec, s[0:1]
	v_cmp_gt_i32_e64 s[0:1], 10, v4
	s_mov_b64 s[10:11], -1
	s_and_saveexec_b64 s[12:13], s[0:1]
; %bb.309:
	v_cmp_eq_u32_e64 s[0:1], 0, v4
	s_orn2_b64 s[10:11], s[0:1], exec
; %bb.310:
	s_or_b64 exec, exec, s[12:13]
	s_and_b64 exec, exec, s[10:11]
	s_cbranch_execz .LBB2370_313
; %bb.311:
	s_add_i32 s0, s8, 56
	s_cmp_gt_u32 s9, s0
	s_cselect_b64 s[10:11], -1, 0
	s_xor_b64 s[12:13], vcc, -1
	s_and_b64 s[10:11], s[10:11], s[12:13]
	s_and_b64 exec, exec, s[10:11]
	s_cbranch_execz .LBB2370_313
; %bb.312:
	s_sub_i32 s1, s9, s0
	s_min_u32 s1, s1, 8
	v_lshrrev_b64 v[2:3], s0, v[2:3]
	v_bfe_u32 v2, v2, 0, s1
	v_lshlrev_b32_e32 v1, 2, v1
	v_lshl_or_b32 v1, v2, 4, v1
	v_mov_b32_e32 v2, 1
	ds_add_u32 v1, v2 offset:28672
.LBB2370_313:
	s_or_b64 exec, exec, s[4:5]
	s_cmp_gt_u32 s9, s8
	s_waitcnt lgkmcnt(0)
	s_barrier
	s_cbranch_scc0 .LBB2370_318
; %bb.314:
	s_movk_i32 s0, 0x100
	v_cmp_gt_u32_e32 vcc, s0, v0
	v_lshlrev_b32_e32 v1, 4, v0
	v_mov_b32_e32 v3, 0
	v_mov_b32_e32 v2, v0
	s_mov_b32 s10, s8
	s_branch .LBB2370_316
.LBB2370_315:                           ;   in Loop: Header=BB2370_316 Depth=1
	s_or_b64 exec, exec, s[4:5]
	s_add_i32 s10, s10, 8
	v_add_u32_e32 v2, 0x100, v2
	s_cmp_lt_u32 s10, s9
	v_add_u32_e32 v1, 0x1000, v1
	s_cbranch_scc0 .LBB2370_318
.LBB2370_316:                           ; =>This Inner Loop Header: Depth=1
	s_and_saveexec_b64 s[4:5], vcc
	s_cbranch_execz .LBB2370_315
; %bb.317:                              ;   in Loop: Header=BB2370_316 Depth=1
	ds_read2_b32 v[4:5], v1 offset1:1
	ds_read2_b32 v[6:7], v1 offset0:2 offset1:3
	v_lshlrev_b64 v[8:9], 3, v[2:3]
	v_mov_b32_e32 v10, s3
	s_waitcnt lgkmcnt(1)
	v_add_u32_e32 v4, v5, v4
	s_waitcnt lgkmcnt(0)
	v_add3_u32 v4, v4, v6, v7
	v_add_co_u32_e64 v6, s[0:1], s2, v8
	v_addc_co_u32_e64 v7, s[0:1], v10, v9, s[0:1]
	v_mov_b32_e32 v5, v3
	global_atomic_add_x2 v[6:7], v[4:5], off
	s_branch .LBB2370_315
.LBB2370_318:
	s_mov_b64 s[0:1], 0
.LBB2370_319:
	s_and_b64 vcc, exec, s[0:1]
	s_cbranch_vccz .LBB2370_411
; %bb.320:
	v_lshlrev_b32_e32 v24, 3, v0
	v_mov_b32_e32 v1, s7
	v_add_co_u32_e32 v16, vcc, s6, v24
	v_addc_co_u32_e32 v1, vcc, 0, v1, vcc
	v_add_co_u32_e32 v10, vcc, 0x2000, v16
	v_addc_co_u32_e32 v11, vcc, 0, v1, vcc
	;; [unrolled: 2-line block ×7, first 2 shown]
	v_add_co_u32_e32 v26, vcc, 0xe000, v16
	global_load_dwordx2 v[8:9], v24, s[6:7]
	global_load_dwordx2 v[4:5], v[10:11], off
	global_load_dwordx2 v[2:3], v[12:13], off
	;; [unrolled: 1-line block ×3, first 2 shown]
	v_addc_co_u32_e32 v27, vcc, 0, v1, vcc
	global_load_dwordx2 v[16:17], v[18:19], off
	global_load_dwordx2 v[12:13], v[20:21], off
	global_load_dwordx2 v[10:11], v[22:23], off
	global_load_dwordx2 v[14:15], v[26:27], off
	s_cmp_eq_u32 s8, 0
	s_cselect_b64 s[0:1], -1, 0
	s_cmp_eq_u32 s9, 64
	s_cselect_b64 s[4:5], -1, 0
	s_and_b64 s[4:5], s[0:1], s[4:5]
	s_mov_b64 s[0:1], -1
	s_and_b64 vcc, exec, s[4:5]
	v_lshlrev_b32_e32 v25, 2, v0
	s_cbranch_vccnz .LBB2370_408
; %bb.321:
	s_cmp_gt_u32 s9, s8
	s_cselect_b64 s[0:1], -1, 0
	v_mov_b32_e32 v1, 0
	s_and_b64 vcc, exec, s[0:1]
	ds_write2st64_b32 v25, v1, v1 offset1:16
	ds_write2st64_b32 v25, v1, v1 offset0:32 offset1:48
	ds_write2st64_b32 v25, v1, v1 offset0:64 offset1:80
	ds_write2st64_b32 v25, v1, v1 offset0:96 offset1:112
	s_waitcnt lgkmcnt(0)
	s_barrier
	s_cbranch_vccz .LBB2370_402
; %bb.322:
	s_sub_i32 s4, s9, s8
	s_min_u32 s4, s4, 8
	s_waitcnt vmcnt(7)
	v_xor_b32_e32 v21, 0x7fffffff, v9
	v_xor_b32_e32 v20, -1, v8
	s_lshl_b32 s4, -1, s4
	v_and_b32_e32 v1, 3, v0
	s_not_b32 s12, s4
	v_lshrrev_b64 v[22:23], s8, v[20:21]
	v_and_b32_e32 v22, s12, v22
	v_lshlrev_b32_e32 v26, 2, v1
	v_lshl_or_b32 v22, v22, 4, v26
	v_mov_b32_e32 v23, 1
	ds_add_u32 v22, v23
	s_add_i32 s13, s8, 8
	s_cmp_le_u32 s9, s13
	s_waitcnt vmcnt(6)
	v_xor_b32_e32 v19, 0x7fffffff, v5
	v_xor_b32_e32 v18, -1, v4
	s_cselect_b64 s[4:5], -1, 0
	s_and_b64 vcc, exec, s[4:5]
	v_lshrrev_b64 v[22:23], s8, v[18:19]
	s_cbranch_vccz .LBB2370_324
; %bb.323:
	v_and_b32_e32 v23, s12, v22
	v_lshl_or_b32 v23, v23, 2, v1
	s_mov_b64 s[6:7], -1
	s_cbranch_execz .LBB2370_325
	s_branch .LBB2370_340
.LBB2370_324:
	s_mov_b64 s[6:7], 0
                                        ; implicit-def: $vgpr23
.LBB2370_325:
	s_sub_i32 s10, s9, s13
	s_min_u32 s10, s10, 8
	s_lshl_b32 s10, -1, s10
	s_not_b32 s15, s10
	v_lshrrev_b64 v[28:29], s13, v[20:21]
	v_and_b32_e32 v23, s15, v28
	v_lshl_or_b32 v27, v23, 4, v26
	v_mov_b32_e32 v23, 1
	ds_add_u32 v27, v23 offset:4096
	s_add_i32 s14, s8, 16
	s_cmp_gt_u32 s9, s14
	s_cselect_b64 s[10:11], -1, 0
	s_cmp_le_u32 s9, s14
	s_cbranch_scc1 .LBB2370_332
; %bb.326:
	s_sub_i32 s16, s9, s14
	s_min_u32 s16, s16, 8
	v_lshrrev_b64 v[28:29], s14, v[20:21]
	v_bfe_u32 v27, v28, 0, s16
	v_lshl_or_b32 v27, v27, 4, v26
	ds_add_u32 v27, v23 offset:8192
	s_add_i32 s16, s8, 24
	s_cmp_le_u32 s9, s16
	s_cbranch_scc1 .LBB2370_332
; %bb.327:
	s_sub_i32 s17, s9, s16
	s_min_u32 s17, s17, 8
	v_lshrrev_b64 v[28:29], s16, v[20:21]
	v_bfe_u32 v27, v28, 0, s17
	v_lshl_or_b32 v28, v27, 4, v26
	v_mov_b32_e32 v27, 1
	ds_add_u32 v28, v27 offset:12288
	s_add_i32 s16, s8, 32
	s_cmp_le_u32 s9, s16
	s_cbranch_scc1 .LBB2370_332
; %bb.328:
	s_sub_i32 s17, s9, s16
	s_min_u32 s17, s17, 8
	v_lshrrev_b64 v[28:29], s16, v[20:21]
	v_bfe_u32 v28, v28, 0, s17
	v_lshl_or_b32 v28, v28, 4, v26
	ds_add_u32 v28, v27 offset:16384
	s_add_i32 s16, s8, 40
	s_cmp_le_u32 s9, s16
	s_cbranch_scc1 .LBB2370_332
; %bb.329:
	s_sub_i32 s17, s9, s16
	s_min_u32 s17, s17, 8
	v_lshrrev_b64 v[28:29], s16, v[20:21]
	v_bfe_u32 v27, v28, 0, s17
	v_lshl_or_b32 v28, v27, 4, v26
	v_mov_b32_e32 v27, 1
	ds_add_u32 v28, v27 offset:20480
	s_add_i32 s16, s8, 48
	s_cmp_le_u32 s9, s16
	s_cbranch_scc1 .LBB2370_332
; %bb.330:
	s_sub_i32 s17, s9, s16
	s_min_u32 s17, s17, 8
	v_lshrrev_b64 v[28:29], s16, v[20:21]
	v_bfe_u32 v28, v28, 0, s17
	v_lshl_or_b32 v28, v28, 4, v26
	ds_add_u32 v28, v27 offset:24576
	s_add_i32 s16, s8, 56
	s_cmp_le_u32 s9, s16
	s_cbranch_scc1 .LBB2370_332
; %bb.331:
	s_sub_i32 s17, s9, s16
	s_min_u32 s17, s17, 8
	v_lshrrev_b64 v[20:21], s16, v[20:21]
	v_bfe_u32 v20, v20, 0, s17
	v_lshl_or_b32 v20, v20, 4, v26
	v_mov_b32_e32 v21, 1
	ds_add_u32 v20, v21 offset:28672
.LBB2370_332:
	v_and_b32_e32 v20, s12, v22
	v_lshl_or_b32 v20, v20, 4, v26
	ds_add_u32 v20, v23
	v_lshrrev_b64 v[20:21], s13, v[18:19]
	v_and_b32_e32 v20, s15, v20
	v_lshl_or_b32 v20, v20, 4, v26
	ds_add_u32 v20, v23 offset:4096
	s_andn2_b64 vcc, exec, s[10:11]
	s_cbranch_vccnz .LBB2370_339
; %bb.333:
	s_sub_i32 s10, s9, s14
	s_min_u32 s10, s10, 8
	v_lshrrev_b64 v[20:21], s14, v[18:19]
	v_bfe_u32 v20, v20, 0, s10
	v_lshl_or_b32 v21, v20, 4, v26
	v_mov_b32_e32 v20, 1
	ds_add_u32 v21, v20 offset:8192
	s_add_i32 s10, s8, 24
	s_cmp_gt_u32 s9, s10
	s_cbranch_scc0 .LBB2370_339
; %bb.334:
	s_sub_i32 s11, s9, s10
	s_min_u32 s11, s11, 8
	v_lshrrev_b64 v[22:23], s10, v[18:19]
	v_bfe_u32 v21, v22, 0, s11
	v_lshl_or_b32 v21, v21, 4, v26
	ds_add_u32 v21, v20 offset:12288
	s_add_i32 s10, s8, 32
	s_cmp_gt_u32 s9, s10
	s_cbranch_scc0 .LBB2370_339
; %bb.335:
	s_sub_i32 s11, s9, s10
	s_min_u32 s11, s11, 8
	v_lshrrev_b64 v[20:21], s10, v[18:19]
	v_bfe_u32 v20, v20, 0, s11
	v_lshl_or_b32 v21, v20, 4, v26
	v_mov_b32_e32 v20, 1
	ds_add_u32 v21, v20 offset:16384
	s_add_i32 s10, s8, 40
	s_cmp_gt_u32 s9, s10
	s_cbranch_scc0 .LBB2370_339
; %bb.336:
	s_sub_i32 s11, s9, s10
	s_min_u32 s11, s11, 8
	v_lshrrev_b64 v[22:23], s10, v[18:19]
	v_bfe_u32 v21, v22, 0, s11
	v_lshl_or_b32 v21, v21, 4, v26
	ds_add_u32 v21, v20 offset:20480
	s_add_i32 s10, s8, 48
	s_cmp_gt_u32 s9, s10
	s_cbranch_scc0 .LBB2370_339
; %bb.337:
	s_sub_i32 s11, s9, s10
	s_min_u32 s11, s11, 8
	v_lshrrev_b64 v[20:21], s10, v[18:19]
	v_bfe_u32 v20, v20, 0, s11
	v_lshl_or_b32 v20, v20, 4, v26
	v_mov_b32_e32 v21, 1
	ds_add_u32 v20, v21 offset:24576
	s_add_i32 s10, s8, 56
	s_cmp_gt_u32 s9, s10
	s_cbranch_scc0 .LBB2370_339
; %bb.338:
	s_sub_i32 s6, s9, s10
	s_min_u32 s6, s6, 8
	v_lshrrev_b64 v[18:19], s10, v[18:19]
	v_bfe_u32 v18, v18, 0, s6
	v_lshl_or_b32 v18, v18, 2, v1
	v_add_u32_e32 v23, 0x1c00, v18
	s_mov_b64 s[6:7], -1
	s_branch .LBB2370_340
.LBB2370_339:
                                        ; implicit-def: $vgpr23
.LBB2370_340:
	s_and_b64 vcc, exec, s[6:7]
	s_cbranch_vccz .LBB2370_342
; %bb.341:
	v_lshlrev_b32_e32 v18, 2, v23
	v_mov_b32_e32 v19, 1
	ds_add_u32 v18, v19
.LBB2370_342:
	s_waitcnt vmcnt(5)
	v_xor_b32_e32 v21, 0x7fffffff, v3
	v_xor_b32_e32 v20, -1, v2
	v_lshrrev_b64 v[22:23], s8, v[20:21]
	v_and_b32_e32 v22, s12, v22
	v_lshl_or_b32 v22, v22, 4, v26
	v_mov_b32_e32 v23, 1
	ds_add_u32 v22, v23
	s_waitcnt vmcnt(4)
	v_xor_b32_e32 v19, 0x7fffffff, v7
	v_xor_b32_e32 v18, -1, v6
	s_and_b64 vcc, exec, s[4:5]
	v_lshrrev_b64 v[22:23], s8, v[18:19]
	s_cbranch_vccz .LBB2370_344
; %bb.343:
	v_and_b32_e32 v23, s12, v22
	v_lshl_or_b32 v23, v23, 2, v1
	s_mov_b64 s[6:7], -1
	s_cbranch_execz .LBB2370_345
	s_branch .LBB2370_360
.LBB2370_344:
	s_mov_b64 s[6:7], 0
                                        ; implicit-def: $vgpr23
.LBB2370_345:
	s_sub_i32 s10, s9, s13
	s_min_u32 s10, s10, 8
	s_lshl_b32 s10, -1, s10
	s_not_b32 s15, s10
	v_lshrrev_b64 v[28:29], s13, v[20:21]
	v_and_b32_e32 v23, s15, v28
	v_lshl_or_b32 v27, v23, 4, v26
	v_mov_b32_e32 v23, 1
	ds_add_u32 v27, v23 offset:4096
	s_add_i32 s14, s8, 16
	s_cmp_gt_u32 s9, s14
	s_cselect_b64 s[10:11], -1, 0
	s_cmp_le_u32 s9, s14
	s_cbranch_scc1 .LBB2370_352
; %bb.346:
	s_sub_i32 s16, s9, s14
	s_min_u32 s16, s16, 8
	v_lshrrev_b64 v[28:29], s14, v[20:21]
	v_bfe_u32 v27, v28, 0, s16
	v_lshl_or_b32 v27, v27, 4, v26
	ds_add_u32 v27, v23 offset:8192
	s_add_i32 s16, s8, 24
	s_cmp_le_u32 s9, s16
	s_cbranch_scc1 .LBB2370_352
; %bb.347:
	s_sub_i32 s17, s9, s16
	s_min_u32 s17, s17, 8
	v_lshrrev_b64 v[28:29], s16, v[20:21]
	v_bfe_u32 v27, v28, 0, s17
	v_lshl_or_b32 v28, v27, 4, v26
	v_mov_b32_e32 v27, 1
	ds_add_u32 v28, v27 offset:12288
	s_add_i32 s16, s8, 32
	s_cmp_le_u32 s9, s16
	s_cbranch_scc1 .LBB2370_352
; %bb.348:
	s_sub_i32 s17, s9, s16
	s_min_u32 s17, s17, 8
	v_lshrrev_b64 v[28:29], s16, v[20:21]
	v_bfe_u32 v28, v28, 0, s17
	v_lshl_or_b32 v28, v28, 4, v26
	ds_add_u32 v28, v27 offset:16384
	s_add_i32 s16, s8, 40
	s_cmp_le_u32 s9, s16
	s_cbranch_scc1 .LBB2370_352
; %bb.349:
	s_sub_i32 s17, s9, s16
	s_min_u32 s17, s17, 8
	v_lshrrev_b64 v[28:29], s16, v[20:21]
	v_bfe_u32 v27, v28, 0, s17
	v_lshl_or_b32 v28, v27, 4, v26
	v_mov_b32_e32 v27, 1
	ds_add_u32 v28, v27 offset:20480
	s_add_i32 s16, s8, 48
	s_cmp_le_u32 s9, s16
	s_cbranch_scc1 .LBB2370_352
; %bb.350:
	s_sub_i32 s17, s9, s16
	s_min_u32 s17, s17, 8
	v_lshrrev_b64 v[28:29], s16, v[20:21]
	v_bfe_u32 v28, v28, 0, s17
	v_lshl_or_b32 v28, v28, 4, v26
	ds_add_u32 v28, v27 offset:24576
	s_add_i32 s16, s8, 56
	s_cmp_le_u32 s9, s16
	s_cbranch_scc1 .LBB2370_352
; %bb.351:
	s_sub_i32 s17, s9, s16
	s_min_u32 s17, s17, 8
	v_lshrrev_b64 v[20:21], s16, v[20:21]
	v_bfe_u32 v20, v20, 0, s17
	v_lshl_or_b32 v20, v20, 4, v26
	v_mov_b32_e32 v21, 1
	ds_add_u32 v20, v21 offset:28672
.LBB2370_352:
	v_and_b32_e32 v20, s12, v22
	v_lshl_or_b32 v20, v20, 4, v26
	ds_add_u32 v20, v23
	v_lshrrev_b64 v[20:21], s13, v[18:19]
	v_and_b32_e32 v20, s15, v20
	v_lshl_or_b32 v20, v20, 4, v26
	ds_add_u32 v20, v23 offset:4096
	s_andn2_b64 vcc, exec, s[10:11]
	s_cbranch_vccnz .LBB2370_359
; %bb.353:
	s_sub_i32 s10, s9, s14
	s_min_u32 s10, s10, 8
	v_lshrrev_b64 v[20:21], s14, v[18:19]
	v_bfe_u32 v20, v20, 0, s10
	v_lshl_or_b32 v21, v20, 4, v26
	v_mov_b32_e32 v20, 1
	ds_add_u32 v21, v20 offset:8192
	s_add_i32 s10, s8, 24
	s_cmp_gt_u32 s9, s10
	s_cbranch_scc0 .LBB2370_359
; %bb.354:
	s_sub_i32 s11, s9, s10
	s_min_u32 s11, s11, 8
	v_lshrrev_b64 v[22:23], s10, v[18:19]
	v_bfe_u32 v21, v22, 0, s11
	v_lshl_or_b32 v21, v21, 4, v26
	ds_add_u32 v21, v20 offset:12288
	s_add_i32 s10, s8, 32
	s_cmp_gt_u32 s9, s10
	s_cbranch_scc0 .LBB2370_359
; %bb.355:
	s_sub_i32 s11, s9, s10
	s_min_u32 s11, s11, 8
	v_lshrrev_b64 v[20:21], s10, v[18:19]
	v_bfe_u32 v20, v20, 0, s11
	v_lshl_or_b32 v21, v20, 4, v26
	v_mov_b32_e32 v20, 1
	ds_add_u32 v21, v20 offset:16384
	s_add_i32 s10, s8, 40
	s_cmp_gt_u32 s9, s10
	s_cbranch_scc0 .LBB2370_359
; %bb.356:
	s_sub_i32 s11, s9, s10
	s_min_u32 s11, s11, 8
	v_lshrrev_b64 v[22:23], s10, v[18:19]
	v_bfe_u32 v21, v22, 0, s11
	v_lshl_or_b32 v21, v21, 4, v26
	ds_add_u32 v21, v20 offset:20480
	s_add_i32 s10, s8, 48
	s_cmp_gt_u32 s9, s10
	s_cbranch_scc0 .LBB2370_359
; %bb.357:
	s_sub_i32 s11, s9, s10
	s_min_u32 s11, s11, 8
	v_lshrrev_b64 v[20:21], s10, v[18:19]
	v_bfe_u32 v20, v20, 0, s11
	v_lshl_or_b32 v20, v20, 4, v26
	v_mov_b32_e32 v21, 1
	ds_add_u32 v20, v21 offset:24576
	s_add_i32 s10, s8, 56
	s_cmp_gt_u32 s9, s10
	s_cbranch_scc0 .LBB2370_359
; %bb.358:
	s_sub_i32 s6, s9, s10
	s_min_u32 s6, s6, 8
	v_lshrrev_b64 v[18:19], s10, v[18:19]
	v_bfe_u32 v18, v18, 0, s6
	v_lshl_or_b32 v18, v18, 2, v1
	v_add_u32_e32 v23, 0x1c00, v18
	s_mov_b64 s[6:7], -1
	s_branch .LBB2370_360
.LBB2370_359:
                                        ; implicit-def: $vgpr23
.LBB2370_360:
	s_and_b64 vcc, exec, s[6:7]
	s_cbranch_vccz .LBB2370_362
; %bb.361:
	v_lshlrev_b32_e32 v18, 2, v23
	v_mov_b32_e32 v19, 1
	ds_add_u32 v18, v19
.LBB2370_362:
	s_waitcnt vmcnt(3)
	v_xor_b32_e32 v21, 0x7fffffff, v17
	v_xor_b32_e32 v20, -1, v16
	v_lshrrev_b64 v[22:23], s8, v[20:21]
	v_and_b32_e32 v22, s12, v22
	v_lshl_or_b32 v22, v22, 4, v26
	v_mov_b32_e32 v23, 1
	ds_add_u32 v22, v23
	s_waitcnt vmcnt(2)
	v_xor_b32_e32 v19, 0x7fffffff, v13
	v_xor_b32_e32 v18, -1, v12
	s_and_b64 vcc, exec, s[4:5]
	v_lshrrev_b64 v[22:23], s8, v[18:19]
	s_cbranch_vccz .LBB2370_364
; %bb.363:
	v_and_b32_e32 v23, s12, v22
	v_lshl_or_b32 v23, v23, 2, v1
	s_mov_b64 s[6:7], -1
	s_cbranch_execz .LBB2370_365
	s_branch .LBB2370_380
.LBB2370_364:
	s_mov_b64 s[6:7], 0
                                        ; implicit-def: $vgpr23
.LBB2370_365:
	s_sub_i32 s10, s9, s13
	s_min_u32 s10, s10, 8
	s_lshl_b32 s10, -1, s10
	s_not_b32 s15, s10
	v_lshrrev_b64 v[28:29], s13, v[20:21]
	v_and_b32_e32 v23, s15, v28
	v_lshl_or_b32 v27, v23, 4, v26
	v_mov_b32_e32 v23, 1
	ds_add_u32 v27, v23 offset:4096
	s_add_i32 s14, s8, 16
	s_cmp_gt_u32 s9, s14
	s_cselect_b64 s[10:11], -1, 0
	s_cmp_le_u32 s9, s14
	s_cbranch_scc1 .LBB2370_372
; %bb.366:
	s_sub_i32 s16, s9, s14
	s_min_u32 s16, s16, 8
	v_lshrrev_b64 v[28:29], s14, v[20:21]
	v_bfe_u32 v27, v28, 0, s16
	v_lshl_or_b32 v27, v27, 4, v26
	ds_add_u32 v27, v23 offset:8192
	s_add_i32 s16, s8, 24
	s_cmp_le_u32 s9, s16
	s_cbranch_scc1 .LBB2370_372
; %bb.367:
	s_sub_i32 s17, s9, s16
	s_min_u32 s17, s17, 8
	v_lshrrev_b64 v[28:29], s16, v[20:21]
	v_bfe_u32 v27, v28, 0, s17
	v_lshl_or_b32 v28, v27, 4, v26
	v_mov_b32_e32 v27, 1
	ds_add_u32 v28, v27 offset:12288
	s_add_i32 s16, s8, 32
	s_cmp_le_u32 s9, s16
	s_cbranch_scc1 .LBB2370_372
; %bb.368:
	s_sub_i32 s17, s9, s16
	s_min_u32 s17, s17, 8
	v_lshrrev_b64 v[28:29], s16, v[20:21]
	v_bfe_u32 v28, v28, 0, s17
	v_lshl_or_b32 v28, v28, 4, v26
	ds_add_u32 v28, v27 offset:16384
	s_add_i32 s16, s8, 40
	s_cmp_le_u32 s9, s16
	s_cbranch_scc1 .LBB2370_372
; %bb.369:
	s_sub_i32 s17, s9, s16
	s_min_u32 s17, s17, 8
	v_lshrrev_b64 v[28:29], s16, v[20:21]
	v_bfe_u32 v27, v28, 0, s17
	v_lshl_or_b32 v28, v27, 4, v26
	v_mov_b32_e32 v27, 1
	ds_add_u32 v28, v27 offset:20480
	s_add_i32 s16, s8, 48
	s_cmp_le_u32 s9, s16
	s_cbranch_scc1 .LBB2370_372
; %bb.370:
	s_sub_i32 s17, s9, s16
	s_min_u32 s17, s17, 8
	v_lshrrev_b64 v[28:29], s16, v[20:21]
	v_bfe_u32 v28, v28, 0, s17
	v_lshl_or_b32 v28, v28, 4, v26
	ds_add_u32 v28, v27 offset:24576
	s_add_i32 s16, s8, 56
	s_cmp_le_u32 s9, s16
	s_cbranch_scc1 .LBB2370_372
; %bb.371:
	s_sub_i32 s17, s9, s16
	s_min_u32 s17, s17, 8
	v_lshrrev_b64 v[20:21], s16, v[20:21]
	v_bfe_u32 v20, v20, 0, s17
	v_lshl_or_b32 v20, v20, 4, v26
	v_mov_b32_e32 v21, 1
	ds_add_u32 v20, v21 offset:28672
.LBB2370_372:
	v_and_b32_e32 v20, s12, v22
	v_lshl_or_b32 v20, v20, 4, v26
	ds_add_u32 v20, v23
	v_lshrrev_b64 v[20:21], s13, v[18:19]
	v_and_b32_e32 v20, s15, v20
	v_lshl_or_b32 v20, v20, 4, v26
	ds_add_u32 v20, v23 offset:4096
	s_andn2_b64 vcc, exec, s[10:11]
	s_cbranch_vccnz .LBB2370_379
; %bb.373:
	s_sub_i32 s10, s9, s14
	s_min_u32 s10, s10, 8
	v_lshrrev_b64 v[20:21], s14, v[18:19]
	v_bfe_u32 v20, v20, 0, s10
	v_lshl_or_b32 v21, v20, 4, v26
	v_mov_b32_e32 v20, 1
	ds_add_u32 v21, v20 offset:8192
	s_add_i32 s10, s8, 24
	s_cmp_gt_u32 s9, s10
	s_cbranch_scc0 .LBB2370_379
; %bb.374:
	s_sub_i32 s11, s9, s10
	s_min_u32 s11, s11, 8
	v_lshrrev_b64 v[22:23], s10, v[18:19]
	v_bfe_u32 v21, v22, 0, s11
	v_lshl_or_b32 v21, v21, 4, v26
	ds_add_u32 v21, v20 offset:12288
	s_add_i32 s10, s8, 32
	s_cmp_gt_u32 s9, s10
	s_cbranch_scc0 .LBB2370_379
; %bb.375:
	s_sub_i32 s11, s9, s10
	s_min_u32 s11, s11, 8
	v_lshrrev_b64 v[20:21], s10, v[18:19]
	v_bfe_u32 v20, v20, 0, s11
	v_lshl_or_b32 v21, v20, 4, v26
	v_mov_b32_e32 v20, 1
	ds_add_u32 v21, v20 offset:16384
	s_add_i32 s10, s8, 40
	s_cmp_gt_u32 s9, s10
	s_cbranch_scc0 .LBB2370_379
; %bb.376:
	s_sub_i32 s11, s9, s10
	s_min_u32 s11, s11, 8
	v_lshrrev_b64 v[22:23], s10, v[18:19]
	v_bfe_u32 v21, v22, 0, s11
	v_lshl_or_b32 v21, v21, 4, v26
	ds_add_u32 v21, v20 offset:20480
	s_add_i32 s10, s8, 48
	s_cmp_gt_u32 s9, s10
	s_cbranch_scc0 .LBB2370_379
; %bb.377:
	s_sub_i32 s11, s9, s10
	s_min_u32 s11, s11, 8
	v_lshrrev_b64 v[20:21], s10, v[18:19]
	v_bfe_u32 v20, v20, 0, s11
	v_lshl_or_b32 v20, v20, 4, v26
	v_mov_b32_e32 v21, 1
	ds_add_u32 v20, v21 offset:24576
	s_add_i32 s10, s8, 56
	s_cmp_gt_u32 s9, s10
	s_cbranch_scc0 .LBB2370_379
; %bb.378:
	s_sub_i32 s6, s9, s10
	s_min_u32 s6, s6, 8
	v_lshrrev_b64 v[18:19], s10, v[18:19]
	v_bfe_u32 v18, v18, 0, s6
	v_lshl_or_b32 v18, v18, 2, v1
	v_add_u32_e32 v23, 0x1c00, v18
	s_mov_b64 s[6:7], -1
	s_branch .LBB2370_380
.LBB2370_379:
                                        ; implicit-def: $vgpr23
.LBB2370_380:
	s_and_b64 vcc, exec, s[6:7]
	s_cbranch_vccz .LBB2370_382
; %bb.381:
	v_lshlrev_b32_e32 v18, 2, v23
	v_mov_b32_e32 v19, 1
	ds_add_u32 v18, v19
.LBB2370_382:
	s_waitcnt vmcnt(1)
	v_xor_b32_e32 v21, 0x7fffffff, v11
	v_xor_b32_e32 v20, -1, v10
	v_lshrrev_b64 v[22:23], s8, v[20:21]
	v_and_b32_e32 v22, s12, v22
	v_lshl_or_b32 v22, v22, 4, v26
	v_mov_b32_e32 v23, 1
	ds_add_u32 v22, v23
	s_waitcnt vmcnt(0)
	v_xor_b32_e32 v19, 0x7fffffff, v15
	v_xor_b32_e32 v18, -1, v14
	s_and_b64 vcc, exec, s[4:5]
	v_lshrrev_b64 v[22:23], s8, v[18:19]
	s_cbranch_vccz .LBB2370_384
; %bb.383:
	v_and_b32_e32 v23, s12, v22
	v_lshl_or_b32 v23, v23, 2, v1
	s_mov_b64 s[4:5], -1
	s_cbranch_execz .LBB2370_385
	s_branch .LBB2370_400
.LBB2370_384:
	s_mov_b64 s[4:5], 0
                                        ; implicit-def: $vgpr23
.LBB2370_385:
	s_sub_i32 s6, s9, s13
	s_min_u32 s6, s6, 8
	s_lshl_b32 s6, -1, s6
	s_not_b32 s11, s6
	v_lshrrev_b64 v[28:29], s13, v[20:21]
	v_and_b32_e32 v23, s11, v28
	v_lshl_or_b32 v27, v23, 4, v26
	v_mov_b32_e32 v23, 1
	ds_add_u32 v27, v23 offset:4096
	s_add_i32 s10, s8, 16
	s_cmp_gt_u32 s9, s10
	s_cselect_b64 s[6:7], -1, 0
	s_cmp_le_u32 s9, s10
	s_cbranch_scc1 .LBB2370_392
; %bb.386:
	s_sub_i32 s14, s9, s10
	s_min_u32 s14, s14, 8
	v_lshrrev_b64 v[28:29], s10, v[20:21]
	v_bfe_u32 v27, v28, 0, s14
	v_lshl_or_b32 v27, v27, 4, v26
	ds_add_u32 v27, v23 offset:8192
	s_add_i32 s14, s8, 24
	s_cmp_le_u32 s9, s14
	s_cbranch_scc1 .LBB2370_392
; %bb.387:
	s_sub_i32 s15, s9, s14
	s_min_u32 s15, s15, 8
	v_lshrrev_b64 v[28:29], s14, v[20:21]
	v_bfe_u32 v27, v28, 0, s15
	v_lshl_or_b32 v28, v27, 4, v26
	v_mov_b32_e32 v27, 1
	ds_add_u32 v28, v27 offset:12288
	s_add_i32 s14, s8, 32
	s_cmp_le_u32 s9, s14
	s_cbranch_scc1 .LBB2370_392
; %bb.388:
	s_sub_i32 s15, s9, s14
	s_min_u32 s15, s15, 8
	v_lshrrev_b64 v[28:29], s14, v[20:21]
	v_bfe_u32 v28, v28, 0, s15
	v_lshl_or_b32 v28, v28, 4, v26
	ds_add_u32 v28, v27 offset:16384
	s_add_i32 s14, s8, 40
	s_cmp_le_u32 s9, s14
	s_cbranch_scc1 .LBB2370_392
; %bb.389:
	s_sub_i32 s15, s9, s14
	s_min_u32 s15, s15, 8
	v_lshrrev_b64 v[28:29], s14, v[20:21]
	v_bfe_u32 v27, v28, 0, s15
	v_lshl_or_b32 v28, v27, 4, v26
	v_mov_b32_e32 v27, 1
	ds_add_u32 v28, v27 offset:20480
	s_add_i32 s14, s8, 48
	s_cmp_le_u32 s9, s14
	s_cbranch_scc1 .LBB2370_392
; %bb.390:
	s_sub_i32 s15, s9, s14
	s_min_u32 s15, s15, 8
	v_lshrrev_b64 v[28:29], s14, v[20:21]
	v_bfe_u32 v28, v28, 0, s15
	v_lshl_or_b32 v28, v28, 4, v26
	ds_add_u32 v28, v27 offset:24576
	s_add_i32 s14, s8, 56
	s_cmp_le_u32 s9, s14
	s_cbranch_scc1 .LBB2370_392
; %bb.391:
	s_sub_i32 s15, s9, s14
	s_min_u32 s15, s15, 8
	v_lshrrev_b64 v[20:21], s14, v[20:21]
	v_bfe_u32 v20, v20, 0, s15
	v_lshl_or_b32 v20, v20, 4, v26
	v_mov_b32_e32 v21, 1
	ds_add_u32 v20, v21 offset:28672
.LBB2370_392:
	v_and_b32_e32 v20, s12, v22
	v_lshl_or_b32 v20, v20, 4, v26
	ds_add_u32 v20, v23
	v_lshrrev_b64 v[20:21], s13, v[18:19]
	v_and_b32_e32 v20, s11, v20
	v_lshl_or_b32 v20, v20, 4, v26
	ds_add_u32 v20, v23 offset:4096
	s_andn2_b64 vcc, exec, s[6:7]
	s_cbranch_vccnz .LBB2370_399
; %bb.393:
	s_sub_i32 s6, s9, s10
	s_min_u32 s6, s6, 8
	v_lshrrev_b64 v[20:21], s10, v[18:19]
	v_bfe_u32 v20, v20, 0, s6
	v_lshl_or_b32 v21, v20, 4, v26
	v_mov_b32_e32 v20, 1
	ds_add_u32 v21, v20 offset:8192
	s_add_i32 s6, s8, 24
	s_cmp_gt_u32 s9, s6
	s_cbranch_scc0 .LBB2370_399
; %bb.394:
	s_sub_i32 s7, s9, s6
	s_min_u32 s7, s7, 8
	v_lshrrev_b64 v[22:23], s6, v[18:19]
	v_bfe_u32 v21, v22, 0, s7
	v_lshl_or_b32 v21, v21, 4, v26
	ds_add_u32 v21, v20 offset:12288
	s_add_i32 s6, s8, 32
	s_cmp_gt_u32 s9, s6
	s_cbranch_scc0 .LBB2370_399
; %bb.395:
	s_sub_i32 s7, s9, s6
	s_min_u32 s7, s7, 8
	v_lshrrev_b64 v[20:21], s6, v[18:19]
	v_bfe_u32 v20, v20, 0, s7
	v_lshl_or_b32 v21, v20, 4, v26
	v_mov_b32_e32 v20, 1
	ds_add_u32 v21, v20 offset:16384
	s_add_i32 s6, s8, 40
	s_cmp_gt_u32 s9, s6
	s_cbranch_scc0 .LBB2370_399
; %bb.396:
	s_sub_i32 s7, s9, s6
	s_min_u32 s7, s7, 8
	v_lshrrev_b64 v[22:23], s6, v[18:19]
	v_bfe_u32 v21, v22, 0, s7
	v_lshl_or_b32 v21, v21, 4, v26
	ds_add_u32 v21, v20 offset:20480
	s_add_i32 s6, s8, 48
	s_cmp_gt_u32 s9, s6
	s_cbranch_scc0 .LBB2370_399
; %bb.397:
	s_sub_i32 s7, s9, s6
	s_min_u32 s7, s7, 8
	v_lshrrev_b64 v[20:21], s6, v[18:19]
	v_bfe_u32 v20, v20, 0, s7
	v_lshl_or_b32 v20, v20, 4, v26
	v_mov_b32_e32 v21, 1
	ds_add_u32 v20, v21 offset:24576
	s_add_i32 s6, s8, 56
	s_cmp_gt_u32 s9, s6
	s_cbranch_scc0 .LBB2370_399
; %bb.398:
	s_sub_i32 s4, s9, s6
	s_min_u32 s4, s4, 8
	v_lshrrev_b64 v[18:19], s6, v[18:19]
	v_bfe_u32 v18, v18, 0, s4
	v_lshl_or_b32 v1, v18, 2, v1
	v_add_u32_e32 v23, 0x1c00, v1
	s_mov_b64 s[4:5], -1
	s_branch .LBB2370_400
.LBB2370_399:
                                        ; implicit-def: $vgpr23
.LBB2370_400:
	s_and_b64 vcc, exec, s[4:5]
	s_cbranch_vccz .LBB2370_402
; %bb.401:
	v_lshlrev_b32_e32 v1, 2, v23
	v_mov_b32_e32 v18, 1
	ds_add_u32 v1, v18
.LBB2370_402:
	s_and_b64 vcc, exec, s[0:1]
	s_waitcnt lgkmcnt(0)
	s_barrier
	s_cbranch_vccz .LBB2370_407
; %bb.403:
	s_movk_i32 s0, 0x100
	v_cmp_gt_u32_e32 vcc, s0, v0
	v_lshlrev_b32_e32 v1, 4, v0
	v_mov_b32_e32 v19, 0
	v_mov_b32_e32 v18, v0
	s_branch .LBB2370_405
.LBB2370_404:                           ;   in Loop: Header=BB2370_405 Depth=1
	s_or_b64 exec, exec, s[4:5]
	s_add_i32 s8, s8, 8
	v_add_u32_e32 v18, 0x100, v18
	s_cmp_ge_u32 s8, s9
	v_add_u32_e32 v1, 0x1000, v1
	s_cbranch_scc1 .LBB2370_407
.LBB2370_405:                           ; =>This Inner Loop Header: Depth=1
	s_and_saveexec_b64 s[4:5], vcc
	s_cbranch_execz .LBB2370_404
; %bb.406:                              ;   in Loop: Header=BB2370_405 Depth=1
	ds_read2_b32 v[20:21], v1 offset1:1
	ds_read2_b32 v[22:23], v1 offset0:2 offset1:3
	v_lshlrev_b64 v[26:27], 3, v[18:19]
	v_mov_b32_e32 v28, s3
	s_waitcnt lgkmcnt(1)
	v_add_u32_e32 v20, v21, v20
	s_waitcnt lgkmcnt(0)
	v_add3_u32 v20, v20, v22, v23
	v_add_co_u32_e64 v22, s[0:1], s2, v26
	v_addc_co_u32_e64 v23, s[0:1], v28, v27, s[0:1]
	v_mov_b32_e32 v21, v19
	global_atomic_add_x2 v[22:23], v[20:21], off
	s_branch .LBB2370_404
.LBB2370_407:
	s_mov_b64 s[0:1], 0
.LBB2370_408:
	s_and_b64 vcc, exec, s[0:1]
	s_cbranch_vccz .LBB2370_411
; %bb.409:
	s_waitcnt vmcnt(7)
	v_xor_b32_e32 v8, -1, v8
	s_waitcnt vmcnt(5)
	v_xor_b32_e32 v18, -1, v2
	s_waitcnt vmcnt(0)
	v_xor_b32_e32 v2, 0x7fffffff, v15
	v_and_b32_e32 v15, 3, v0
	v_lshlrev_b32_e32 v19, 2, v8
	s_movk_i32 s0, 0x3fc
	v_and_or_b32 v19, v19, s0, v15
	v_mov_b32_e32 v1, 0
	v_lshlrev_b32_e32 v19, 2, v19
	v_mov_b32_e32 v20, 1
	ds_write2st64_b32 v25, v1, v1 offset1:16
	ds_write2st64_b32 v25, v1, v1 offset0:32 offset1:48
	ds_write2st64_b32 v25, v1, v1 offset0:64 offset1:80
	;; [unrolled: 1-line block ×3, first 2 shown]
	s_waitcnt lgkmcnt(0)
	s_barrier
	ds_add_u32 v19, v20
	v_bfe_u32 v19, v8, 8, 8
	v_lshl_or_b32 v19, v19, 2, v15
	v_lshlrev_b32_e32 v19, 2, v19
	ds_add_u32 v19, v20 offset:4096
	v_bfe_u32 v19, v8, 16, 8
	v_lshl_or_b32 v19, v19, 2, v15
	v_lshlrev_b32_e32 v19, 2, v19
	v_xor_b32_e32 v9, 0x7fffffff, v9
	ds_add_u32 v19, v20 offset:8192
	v_lshrrev_b32_e32 v19, 24, v8
	v_lshl_or_b32 v19, v19, 2, v15
	v_alignbit_b32 v8, v9, v8, 30
	v_lshlrev_b32_e32 v19, 2, v19
	v_and_or_b32 v8, v8, s0, v15
	ds_add_u32 v19, v20 offset:12288
	v_lshlrev_b32_e32 v8, 2, v8
	ds_add_u32 v8, v20 offset:16384
	v_bfe_u32 v8, v9, 8, 8
	v_lshl_or_b32 v8, v8, 2, v15
	v_lshlrev_b32_e32 v8, 2, v8
	ds_add_u32 v8, v20 offset:20480
	v_bfe_u32 v8, v9, 16, 8
	v_lshl_or_b32 v8, v8, 2, v15
	v_lshlrev_b32_e32 v8, 2, v8
	ds_add_u32 v8, v20 offset:24576
	v_lshrrev_b32_e32 v8, 24, v9
	v_lshl_or_b32 v8, v8, 2, v15
	v_xor_b32_e32 v4, -1, v4
	v_lshlrev_b32_e32 v8, 2, v8
	ds_add_u32 v8, v20 offset:28672
	v_lshlrev_b32_e32 v8, 2, v4
	v_and_or_b32 v8, v8, s0, v15
	v_lshlrev_b32_e32 v8, 2, v8
	ds_add_u32 v8, v20
	v_bfe_u32 v8, v4, 8, 8
	v_lshl_or_b32 v8, v8, 2, v15
	v_lshlrev_b32_e32 v8, 2, v8
	ds_add_u32 v8, v20 offset:4096
	v_bfe_u32 v8, v4, 16, 8
	v_lshl_or_b32 v8, v8, 2, v15
	v_lshlrev_b32_e32 v8, 2, v8
	v_xor_b32_e32 v5, 0x7fffffff, v5
	ds_add_u32 v8, v20 offset:8192
	v_lshrrev_b32_e32 v8, 24, v4
	v_lshl_or_b32 v8, v8, 2, v15
	v_alignbit_b32 v4, v5, v4, 30
	v_lshlrev_b32_e32 v8, 2, v8
	v_and_or_b32 v4, v4, s0, v15
	ds_add_u32 v8, v20 offset:12288
	v_lshlrev_b32_e32 v4, 2, v4
	ds_add_u32 v4, v20 offset:16384
	v_bfe_u32 v4, v5, 8, 8
	v_lshl_or_b32 v4, v4, 2, v15
	v_lshlrev_b32_e32 v4, 2, v4
	ds_add_u32 v4, v20 offset:20480
	v_bfe_u32 v4, v5, 16, 8
	v_lshl_or_b32 v4, v4, 2, v15
	v_lshlrev_b32_e32 v4, 2, v4
	ds_add_u32 v4, v20 offset:24576
	v_lshrrev_b32_e32 v4, 24, v5
	v_lshl_or_b32 v4, v4, 2, v15
	v_lshlrev_b32_e32 v4, 2, v4
	ds_add_u32 v4, v20 offset:28672
	v_lshlrev_b32_e32 v4, 2, v18
	v_and_or_b32 v4, v4, s0, v15
	v_lshlrev_b32_e32 v4, 2, v4
	ds_add_u32 v4, v20
	v_bfe_u32 v4, v18, 8, 8
	v_lshl_or_b32 v4, v4, 2, v15
	v_lshlrev_b32_e32 v4, 2, v4
	ds_add_u32 v4, v20 offset:4096
	v_bfe_u32 v4, v18, 16, 8
	v_lshl_or_b32 v4, v4, 2, v15
	v_lshlrev_b32_e32 v4, 2, v4
	ds_add_u32 v4, v20 offset:8192
	v_lshrrev_b32_e32 v4, 24, v18
	v_lshl_or_b32 v4, v4, 2, v15
	v_xor_b32_e32 v3, 0x7fffffff, v3
	v_lshlrev_b32_e32 v4, 2, v4
	ds_add_u32 v4, v20 offset:12288
	v_alignbit_b32 v4, v3, v18, 30
	v_and_or_b32 v4, v4, s0, v15
	v_lshlrev_b32_e32 v4, 2, v4
	ds_add_u32 v4, v20 offset:16384
	v_bfe_u32 v4, v3, 8, 8
	v_lshl_or_b32 v4, v4, 2, v15
	v_lshlrev_b32_e32 v4, 2, v4
	ds_add_u32 v4, v20 offset:20480
	v_bfe_u32 v4, v3, 16, 8
	v_lshl_or_b32 v4, v4, 2, v15
	v_lshrrev_b32_e32 v3, 24, v3
	v_lshlrev_b32_e32 v4, 2, v4
	v_lshl_or_b32 v3, v3, 2, v15
	v_xor_b32_e32 v6, -1, v6
	ds_add_u32 v4, v20 offset:24576
	v_lshlrev_b32_e32 v3, 2, v3
	ds_add_u32 v3, v20 offset:28672
	v_lshlrev_b32_e32 v3, 2, v6
	v_and_or_b32 v3, v3, s0, v15
	v_lshlrev_b32_e32 v3, 2, v3
	ds_add_u32 v3, v20
	v_bfe_u32 v3, v6, 8, 8
	v_lshl_or_b32 v3, v3, 2, v15
	v_lshlrev_b32_e32 v3, 2, v3
	ds_add_u32 v3, v20 offset:4096
	v_bfe_u32 v3, v6, 16, 8
	v_lshl_or_b32 v3, v3, 2, v15
	v_lshlrev_b32_e32 v3, 2, v3
	ds_add_u32 v3, v20 offset:8192
	v_lshrrev_b32_e32 v3, 24, v6
	v_lshl_or_b32 v3, v3, 2, v15
	v_xor_b32_e32 v7, 0x7fffffff, v7
	v_lshlrev_b32_e32 v3, 2, v3
	ds_add_u32 v3, v20 offset:12288
	v_alignbit_b32 v3, v7, v6, 30
	v_and_or_b32 v3, v3, s0, v15
	v_lshlrev_b32_e32 v3, 2, v3
	ds_add_u32 v3, v20 offset:16384
	v_bfe_u32 v3, v7, 8, 8
	v_lshl_or_b32 v3, v3, 2, v15
	v_lshlrev_b32_e32 v3, 2, v3
	ds_add_u32 v3, v20 offset:20480
	v_bfe_u32 v3, v7, 16, 8
	v_lshl_or_b32 v3, v3, 2, v15
	v_lshlrev_b32_e32 v3, 2, v3
	ds_add_u32 v3, v20 offset:24576
	v_lshrrev_b32_e32 v3, 24, v7
	v_lshl_or_b32 v3, v3, 2, v15
	v_xor_b32_e32 v16, -1, v16
	v_lshlrev_b32_e32 v3, 2, v3
	ds_add_u32 v3, v20 offset:28672
	v_lshlrev_b32_e32 v3, 2, v16
	v_and_or_b32 v3, v3, s0, v15
	v_lshlrev_b32_e32 v3, 2, v3
	ds_add_u32 v3, v20
	v_bfe_u32 v3, v16, 8, 8
	v_lshl_or_b32 v3, v3, 2, v15
	v_lshlrev_b32_e32 v3, 2, v3
	ds_add_u32 v3, v20 offset:4096
	v_bfe_u32 v3, v16, 16, 8
	v_lshl_or_b32 v3, v3, 2, v15
	v_lshlrev_b32_e32 v3, 2, v3
	ds_add_u32 v3, v20 offset:8192
	v_lshrrev_b32_e32 v3, 24, v16
	v_lshl_or_b32 v3, v3, 2, v15
	v_xor_b32_e32 v17, 0x7fffffff, v17
	v_lshlrev_b32_e32 v3, 2, v3
	ds_add_u32 v3, v20 offset:12288
	v_alignbit_b32 v3, v17, v16, 30
	v_and_or_b32 v3, v3, s0, v15
	v_lshlrev_b32_e32 v3, 2, v3
	ds_add_u32 v3, v20 offset:16384
	v_bfe_u32 v3, v17, 8, 8
	v_lshl_or_b32 v3, v3, 2, v15
	v_lshlrev_b32_e32 v3, 2, v3
	ds_add_u32 v3, v20 offset:20480
	v_bfe_u32 v3, v17, 16, 8
	v_lshl_or_b32 v3, v3, 2, v15
	v_lshlrev_b32_e32 v3, 2, v3
	ds_add_u32 v3, v20 offset:24576
	v_lshrrev_b32_e32 v3, 24, v17
	v_lshl_or_b32 v3, v3, 2, v15
	v_xor_b32_e32 v12, -1, v12
	;; [unrolled: 34-line block ×4, first 2 shown]
	v_lshlrev_b32_e32 v3, 2, v3
	ds_add_u32 v3, v20 offset:28672
	v_lshlrev_b32_e32 v3, 2, v14
	v_and_or_b32 v3, v3, s0, v15
	v_lshlrev_b32_e32 v3, 2, v3
	ds_add_u32 v3, v20
	v_bfe_u32 v3, v14, 8, 8
	v_lshl_or_b32 v3, v3, 2, v15
	v_lshlrev_b32_e32 v3, 2, v3
	ds_add_u32 v3, v20 offset:4096
	v_bfe_u32 v3, v14, 16, 8
	v_lshl_or_b32 v3, v3, 2, v15
	v_lshlrev_b32_e32 v3, 2, v3
	ds_add_u32 v3, v20 offset:8192
	v_lshrrev_b32_e32 v3, 24, v14
	v_lshl_or_b32 v3, v3, 2, v15
	v_lshlrev_b32_e32 v3, 2, v3
	ds_add_u32 v3, v20 offset:12288
	v_alignbit_b32 v3, v2, v14, 30
	v_and_or_b32 v3, v3, s0, v15
	v_lshlrev_b32_e32 v3, 2, v3
	ds_add_u32 v3, v20 offset:16384
	v_bfe_u32 v3, v2, 8, 8
	v_lshl_or_b32 v3, v3, 2, v15
	v_lshlrev_b32_e32 v3, 2, v3
	ds_add_u32 v3, v20 offset:20480
	v_bfe_u32 v3, v2, 16, 8
	v_lshl_or_b32 v3, v3, 2, v15
	v_lshrrev_b32_e32 v2, 24, v2
	v_lshlrev_b32_e32 v3, 2, v3
	v_lshl_or_b32 v2, v2, 2, v15
	ds_add_u32 v3, v20 offset:24576
	v_lshlrev_b32_e32 v2, 2, v2
	ds_add_u32 v2, v20 offset:28672
	s_movk_i32 s0, 0x100
	v_cmp_gt_u32_e32 vcc, s0, v0
	s_waitcnt lgkmcnt(0)
	s_barrier
	s_and_saveexec_b64 s[0:1], vcc
	s_cbranch_execz .LBB2370_411
; %bb.410:
	v_lshlrev_b32_e32 v6, 4, v0
	ds_read2_b32 v[2:3], v6 offset1:1
	ds_read2_b32 v[4:5], v6 offset0:2 offset1:3
	v_add_u32_e32 v7, 0x1000, v6
	v_add_u32_e32 v8, 0x1008, v6
	;; [unrolled: 1-line block ×3, first 2 shown]
	s_waitcnt lgkmcnt(1)
	v_add_u32_e32 v0, v3, v2
	s_waitcnt lgkmcnt(0)
	v_add3_u32 v0, v0, v4, v5
	global_atomic_add_x2 v24, v[0:1], s[2:3]
	ds_read2_b32 v[2:3], v7 offset1:1
	ds_read2_b32 v[4:5], v8 offset1:1
	v_add_u32_e32 v7, 0x2000, v6
	v_add_u32_e32 v8, 0x2008, v6
	s_waitcnt lgkmcnt(1)
	v_add_u32_e32 v0, v3, v2
	s_waitcnt lgkmcnt(0)
	v_add3_u32 v0, v0, v4, v5
	global_atomic_add_x2 v24, v[0:1], s[2:3] offset:2048
	ds_read2_b32 v[2:3], v7 offset1:1
	ds_read2_b32 v[4:5], v8 offset1:1
	v_or_b32_e32 v7, 0x1000, v24
	v_add_u32_e32 v8, 0x3000, v6
	s_waitcnt lgkmcnt(1)
	v_add_u32_e32 v0, v3, v2
	s_waitcnt lgkmcnt(0)
	v_add3_u32 v0, v0, v4, v5
	global_atomic_add_x2 v7, v[0:1], s[2:3]
	ds_read2_b32 v[2:3], v8 offset1:1
	ds_read2_b32 v[4:5], v9 offset1:1
	v_or_b32_e32 v7, 0x1800, v24
	v_or_b32_e32 v8, 0x4000, v6
	;; [unrolled: 1-line block ×3, first 2 shown]
	s_waitcnt lgkmcnt(1)
	v_add_u32_e32 v0, v3, v2
	s_waitcnt lgkmcnt(0)
	v_add3_u32 v0, v0, v4, v5
	global_atomic_add_x2 v7, v[0:1], s[2:3]
	ds_read2_b32 v[2:3], v8 offset1:1
	ds_read2_b32 v[4:5], v9 offset1:1
	v_or_b32_e32 v7, 0x2000, v24
	v_add_u32_e32 v8, 0x5000, v6
	v_add_u32_e32 v9, 0x5008, v6
	s_waitcnt lgkmcnt(1)
	v_add_u32_e32 v0, v3, v2
	s_waitcnt lgkmcnt(0)
	v_add3_u32 v0, v0, v4, v5
	global_atomic_add_x2 v7, v[0:1], s[2:3]
	ds_read2_b32 v[2:3], v8 offset1:1
	ds_read2_b32 v[4:5], v9 offset1:1
	v_or_b32_e32 v7, 0x2800, v24
	v_add_u32_e32 v8, 0x6000, v6
	v_add_u32_e32 v9, 0x6008, v6
	;; [unrolled: 10-line block ×3, first 2 shown]
	s_waitcnt lgkmcnt(1)
	v_add_u32_e32 v0, v3, v2
	s_waitcnt lgkmcnt(0)
	v_add3_u32 v0, v0, v4, v5
	global_atomic_add_x2 v7, v[0:1], s[2:3]
	ds_read2_b32 v[2:3], v8 offset1:1
	ds_read2_b32 v[4:5], v6 offset1:1
	s_waitcnt lgkmcnt(1)
	v_add_u32_e32 v0, v3, v2
	s_waitcnt lgkmcnt(0)
	v_add3_u32 v0, v0, v4, v5
	v_or_b32_e32 v2, 0x3800, v24
	global_atomic_add_x2 v2, v[0:1], s[2:3]
.LBB2370_411:
	s_endpgm
	.section	.rodata,"a",@progbits
	.p2align	6, 0x0
	.amdhsa_kernel _ZN7rocprim17ROCPRIM_400000_NS6detail17trampoline_kernelINS0_14default_configENS1_35radix_sort_onesweep_config_selectorIxNS0_10empty_typeEEEZNS1_34radix_sort_onesweep_global_offsetsIS3_Lb1EPxPS5_mNS0_19identity_decomposerEEE10hipError_tT1_T2_PT3_SE_jT4_jjP12ihipStream_tbEUlT_E_NS1_11comp_targetILNS1_3genE4ELNS1_11target_archE910ELNS1_3gpuE8ELNS1_3repE0EEENS1_52radix_sort_onesweep_histogram_config_static_selectorELNS0_4arch9wavefront6targetE1EEEvSC_
		.amdhsa_group_segment_fixed_size 32768
		.amdhsa_private_segment_fixed_size 0
		.amdhsa_kernarg_size 48
		.amdhsa_user_sgpr_count 6
		.amdhsa_user_sgpr_private_segment_buffer 1
		.amdhsa_user_sgpr_dispatch_ptr 0
		.amdhsa_user_sgpr_queue_ptr 0
		.amdhsa_user_sgpr_kernarg_segment_ptr 1
		.amdhsa_user_sgpr_dispatch_id 0
		.amdhsa_user_sgpr_flat_scratch_init 0
		.amdhsa_user_sgpr_kernarg_preload_length 0
		.amdhsa_user_sgpr_kernarg_preload_offset 0
		.amdhsa_user_sgpr_private_segment_size 0
		.amdhsa_uses_dynamic_stack 0
		.amdhsa_system_sgpr_private_segment_wavefront_offset 0
		.amdhsa_system_sgpr_workgroup_id_x 1
		.amdhsa_system_sgpr_workgroup_id_y 0
		.amdhsa_system_sgpr_workgroup_id_z 0
		.amdhsa_system_sgpr_workgroup_info 0
		.amdhsa_system_vgpr_workitem_id 0
		.amdhsa_next_free_vgpr 30
		.amdhsa_next_free_sgpr 18
		.amdhsa_accum_offset 32
		.amdhsa_reserve_vcc 1
		.amdhsa_reserve_flat_scratch 0
		.amdhsa_float_round_mode_32 0
		.amdhsa_float_round_mode_16_64 0
		.amdhsa_float_denorm_mode_32 3
		.amdhsa_float_denorm_mode_16_64 3
		.amdhsa_dx10_clamp 1
		.amdhsa_ieee_mode 1
		.amdhsa_fp16_overflow 0
		.amdhsa_tg_split 0
		.amdhsa_exception_fp_ieee_invalid_op 0
		.amdhsa_exception_fp_denorm_src 0
		.amdhsa_exception_fp_ieee_div_zero 0
		.amdhsa_exception_fp_ieee_overflow 0
		.amdhsa_exception_fp_ieee_underflow 0
		.amdhsa_exception_fp_ieee_inexact 0
		.amdhsa_exception_int_div_zero 0
	.end_amdhsa_kernel
	.section	.text._ZN7rocprim17ROCPRIM_400000_NS6detail17trampoline_kernelINS0_14default_configENS1_35radix_sort_onesweep_config_selectorIxNS0_10empty_typeEEEZNS1_34radix_sort_onesweep_global_offsetsIS3_Lb1EPxPS5_mNS0_19identity_decomposerEEE10hipError_tT1_T2_PT3_SE_jT4_jjP12ihipStream_tbEUlT_E_NS1_11comp_targetILNS1_3genE4ELNS1_11target_archE910ELNS1_3gpuE8ELNS1_3repE0EEENS1_52radix_sort_onesweep_histogram_config_static_selectorELNS0_4arch9wavefront6targetE1EEEvSC_,"axG",@progbits,_ZN7rocprim17ROCPRIM_400000_NS6detail17trampoline_kernelINS0_14default_configENS1_35radix_sort_onesweep_config_selectorIxNS0_10empty_typeEEEZNS1_34radix_sort_onesweep_global_offsetsIS3_Lb1EPxPS5_mNS0_19identity_decomposerEEE10hipError_tT1_T2_PT3_SE_jT4_jjP12ihipStream_tbEUlT_E_NS1_11comp_targetILNS1_3genE4ELNS1_11target_archE910ELNS1_3gpuE8ELNS1_3repE0EEENS1_52radix_sort_onesweep_histogram_config_static_selectorELNS0_4arch9wavefront6targetE1EEEvSC_,comdat
.Lfunc_end2370:
	.size	_ZN7rocprim17ROCPRIM_400000_NS6detail17trampoline_kernelINS0_14default_configENS1_35radix_sort_onesweep_config_selectorIxNS0_10empty_typeEEEZNS1_34radix_sort_onesweep_global_offsetsIS3_Lb1EPxPS5_mNS0_19identity_decomposerEEE10hipError_tT1_T2_PT3_SE_jT4_jjP12ihipStream_tbEUlT_E_NS1_11comp_targetILNS1_3genE4ELNS1_11target_archE910ELNS1_3gpuE8ELNS1_3repE0EEENS1_52radix_sort_onesweep_histogram_config_static_selectorELNS0_4arch9wavefront6targetE1EEEvSC_, .Lfunc_end2370-_ZN7rocprim17ROCPRIM_400000_NS6detail17trampoline_kernelINS0_14default_configENS1_35radix_sort_onesweep_config_selectorIxNS0_10empty_typeEEEZNS1_34radix_sort_onesweep_global_offsetsIS3_Lb1EPxPS5_mNS0_19identity_decomposerEEE10hipError_tT1_T2_PT3_SE_jT4_jjP12ihipStream_tbEUlT_E_NS1_11comp_targetILNS1_3genE4ELNS1_11target_archE910ELNS1_3gpuE8ELNS1_3repE0EEENS1_52radix_sort_onesweep_histogram_config_static_selectorELNS0_4arch9wavefront6targetE1EEEvSC_
                                        ; -- End function
	.section	.AMDGPU.csdata,"",@progbits
; Kernel info:
; codeLenInByte = 15260
; NumSgprs: 22
; NumVgprs: 30
; NumAgprs: 0
; TotalNumVgprs: 30
; ScratchSize: 0
; MemoryBound: 0
; FloatMode: 240
; IeeeMode: 1
; LDSByteSize: 32768 bytes/workgroup (compile time only)
; SGPRBlocks: 2
; VGPRBlocks: 3
; NumSGPRsForWavesPerEU: 22
; NumVGPRsForWavesPerEU: 30
; AccumOffset: 32
; Occupancy: 8
; WaveLimiterHint : 1
; COMPUTE_PGM_RSRC2:SCRATCH_EN: 0
; COMPUTE_PGM_RSRC2:USER_SGPR: 6
; COMPUTE_PGM_RSRC2:TRAP_HANDLER: 0
; COMPUTE_PGM_RSRC2:TGID_X_EN: 1
; COMPUTE_PGM_RSRC2:TGID_Y_EN: 0
; COMPUTE_PGM_RSRC2:TGID_Z_EN: 0
; COMPUTE_PGM_RSRC2:TIDIG_COMP_CNT: 0
; COMPUTE_PGM_RSRC3_GFX90A:ACCUM_OFFSET: 7
; COMPUTE_PGM_RSRC3_GFX90A:TG_SPLIT: 0
	.section	.text._ZN7rocprim17ROCPRIM_400000_NS6detail17trampoline_kernelINS0_14default_configENS1_35radix_sort_onesweep_config_selectorIxNS0_10empty_typeEEEZNS1_34radix_sort_onesweep_global_offsetsIS3_Lb1EPxPS5_mNS0_19identity_decomposerEEE10hipError_tT1_T2_PT3_SE_jT4_jjP12ihipStream_tbEUlT_E_NS1_11comp_targetILNS1_3genE3ELNS1_11target_archE908ELNS1_3gpuE7ELNS1_3repE0EEENS1_52radix_sort_onesweep_histogram_config_static_selectorELNS0_4arch9wavefront6targetE1EEEvSC_,"axG",@progbits,_ZN7rocprim17ROCPRIM_400000_NS6detail17trampoline_kernelINS0_14default_configENS1_35radix_sort_onesweep_config_selectorIxNS0_10empty_typeEEEZNS1_34radix_sort_onesweep_global_offsetsIS3_Lb1EPxPS5_mNS0_19identity_decomposerEEE10hipError_tT1_T2_PT3_SE_jT4_jjP12ihipStream_tbEUlT_E_NS1_11comp_targetILNS1_3genE3ELNS1_11target_archE908ELNS1_3gpuE7ELNS1_3repE0EEENS1_52radix_sort_onesweep_histogram_config_static_selectorELNS0_4arch9wavefront6targetE1EEEvSC_,comdat
	.protected	_ZN7rocprim17ROCPRIM_400000_NS6detail17trampoline_kernelINS0_14default_configENS1_35radix_sort_onesweep_config_selectorIxNS0_10empty_typeEEEZNS1_34radix_sort_onesweep_global_offsetsIS3_Lb1EPxPS5_mNS0_19identity_decomposerEEE10hipError_tT1_T2_PT3_SE_jT4_jjP12ihipStream_tbEUlT_E_NS1_11comp_targetILNS1_3genE3ELNS1_11target_archE908ELNS1_3gpuE7ELNS1_3repE0EEENS1_52radix_sort_onesweep_histogram_config_static_selectorELNS0_4arch9wavefront6targetE1EEEvSC_ ; -- Begin function _ZN7rocprim17ROCPRIM_400000_NS6detail17trampoline_kernelINS0_14default_configENS1_35radix_sort_onesweep_config_selectorIxNS0_10empty_typeEEEZNS1_34radix_sort_onesweep_global_offsetsIS3_Lb1EPxPS5_mNS0_19identity_decomposerEEE10hipError_tT1_T2_PT3_SE_jT4_jjP12ihipStream_tbEUlT_E_NS1_11comp_targetILNS1_3genE3ELNS1_11target_archE908ELNS1_3gpuE7ELNS1_3repE0EEENS1_52radix_sort_onesweep_histogram_config_static_selectorELNS0_4arch9wavefront6targetE1EEEvSC_
	.globl	_ZN7rocprim17ROCPRIM_400000_NS6detail17trampoline_kernelINS0_14default_configENS1_35radix_sort_onesweep_config_selectorIxNS0_10empty_typeEEEZNS1_34radix_sort_onesweep_global_offsetsIS3_Lb1EPxPS5_mNS0_19identity_decomposerEEE10hipError_tT1_T2_PT3_SE_jT4_jjP12ihipStream_tbEUlT_E_NS1_11comp_targetILNS1_3genE3ELNS1_11target_archE908ELNS1_3gpuE7ELNS1_3repE0EEENS1_52radix_sort_onesweep_histogram_config_static_selectorELNS0_4arch9wavefront6targetE1EEEvSC_
	.p2align	8
	.type	_ZN7rocprim17ROCPRIM_400000_NS6detail17trampoline_kernelINS0_14default_configENS1_35radix_sort_onesweep_config_selectorIxNS0_10empty_typeEEEZNS1_34radix_sort_onesweep_global_offsetsIS3_Lb1EPxPS5_mNS0_19identity_decomposerEEE10hipError_tT1_T2_PT3_SE_jT4_jjP12ihipStream_tbEUlT_E_NS1_11comp_targetILNS1_3genE3ELNS1_11target_archE908ELNS1_3gpuE7ELNS1_3repE0EEENS1_52radix_sort_onesweep_histogram_config_static_selectorELNS0_4arch9wavefront6targetE1EEEvSC_,@function
_ZN7rocprim17ROCPRIM_400000_NS6detail17trampoline_kernelINS0_14default_configENS1_35radix_sort_onesweep_config_selectorIxNS0_10empty_typeEEEZNS1_34radix_sort_onesweep_global_offsetsIS3_Lb1EPxPS5_mNS0_19identity_decomposerEEE10hipError_tT1_T2_PT3_SE_jT4_jjP12ihipStream_tbEUlT_E_NS1_11comp_targetILNS1_3genE3ELNS1_11target_archE908ELNS1_3gpuE7ELNS1_3repE0EEENS1_52radix_sort_onesweep_histogram_config_static_selectorELNS0_4arch9wavefront6targetE1EEEvSC_: ; @_ZN7rocprim17ROCPRIM_400000_NS6detail17trampoline_kernelINS0_14default_configENS1_35radix_sort_onesweep_config_selectorIxNS0_10empty_typeEEEZNS1_34radix_sort_onesweep_global_offsetsIS3_Lb1EPxPS5_mNS0_19identity_decomposerEEE10hipError_tT1_T2_PT3_SE_jT4_jjP12ihipStream_tbEUlT_E_NS1_11comp_targetILNS1_3genE3ELNS1_11target_archE908ELNS1_3gpuE7ELNS1_3repE0EEENS1_52radix_sort_onesweep_histogram_config_static_selectorELNS0_4arch9wavefront6targetE1EEEvSC_
; %bb.0:
	.section	.rodata,"a",@progbits
	.p2align	6, 0x0
	.amdhsa_kernel _ZN7rocprim17ROCPRIM_400000_NS6detail17trampoline_kernelINS0_14default_configENS1_35radix_sort_onesweep_config_selectorIxNS0_10empty_typeEEEZNS1_34radix_sort_onesweep_global_offsetsIS3_Lb1EPxPS5_mNS0_19identity_decomposerEEE10hipError_tT1_T2_PT3_SE_jT4_jjP12ihipStream_tbEUlT_E_NS1_11comp_targetILNS1_3genE3ELNS1_11target_archE908ELNS1_3gpuE7ELNS1_3repE0EEENS1_52radix_sort_onesweep_histogram_config_static_selectorELNS0_4arch9wavefront6targetE1EEEvSC_
		.amdhsa_group_segment_fixed_size 0
		.amdhsa_private_segment_fixed_size 0
		.amdhsa_kernarg_size 48
		.amdhsa_user_sgpr_count 6
		.amdhsa_user_sgpr_private_segment_buffer 1
		.amdhsa_user_sgpr_dispatch_ptr 0
		.amdhsa_user_sgpr_queue_ptr 0
		.amdhsa_user_sgpr_kernarg_segment_ptr 1
		.amdhsa_user_sgpr_dispatch_id 0
		.amdhsa_user_sgpr_flat_scratch_init 0
		.amdhsa_user_sgpr_kernarg_preload_length 0
		.amdhsa_user_sgpr_kernarg_preload_offset 0
		.amdhsa_user_sgpr_private_segment_size 0
		.amdhsa_uses_dynamic_stack 0
		.amdhsa_system_sgpr_private_segment_wavefront_offset 0
		.amdhsa_system_sgpr_workgroup_id_x 1
		.amdhsa_system_sgpr_workgroup_id_y 0
		.amdhsa_system_sgpr_workgroup_id_z 0
		.amdhsa_system_sgpr_workgroup_info 0
		.amdhsa_system_vgpr_workitem_id 0
		.amdhsa_next_free_vgpr 1
		.amdhsa_next_free_sgpr 0
		.amdhsa_accum_offset 4
		.amdhsa_reserve_vcc 0
		.amdhsa_reserve_flat_scratch 0
		.amdhsa_float_round_mode_32 0
		.amdhsa_float_round_mode_16_64 0
		.amdhsa_float_denorm_mode_32 3
		.amdhsa_float_denorm_mode_16_64 3
		.amdhsa_dx10_clamp 1
		.amdhsa_ieee_mode 1
		.amdhsa_fp16_overflow 0
		.amdhsa_tg_split 0
		.amdhsa_exception_fp_ieee_invalid_op 0
		.amdhsa_exception_fp_denorm_src 0
		.amdhsa_exception_fp_ieee_div_zero 0
		.amdhsa_exception_fp_ieee_overflow 0
		.amdhsa_exception_fp_ieee_underflow 0
		.amdhsa_exception_fp_ieee_inexact 0
		.amdhsa_exception_int_div_zero 0
	.end_amdhsa_kernel
	.section	.text._ZN7rocprim17ROCPRIM_400000_NS6detail17trampoline_kernelINS0_14default_configENS1_35radix_sort_onesweep_config_selectorIxNS0_10empty_typeEEEZNS1_34radix_sort_onesweep_global_offsetsIS3_Lb1EPxPS5_mNS0_19identity_decomposerEEE10hipError_tT1_T2_PT3_SE_jT4_jjP12ihipStream_tbEUlT_E_NS1_11comp_targetILNS1_3genE3ELNS1_11target_archE908ELNS1_3gpuE7ELNS1_3repE0EEENS1_52radix_sort_onesweep_histogram_config_static_selectorELNS0_4arch9wavefront6targetE1EEEvSC_,"axG",@progbits,_ZN7rocprim17ROCPRIM_400000_NS6detail17trampoline_kernelINS0_14default_configENS1_35radix_sort_onesweep_config_selectorIxNS0_10empty_typeEEEZNS1_34radix_sort_onesweep_global_offsetsIS3_Lb1EPxPS5_mNS0_19identity_decomposerEEE10hipError_tT1_T2_PT3_SE_jT4_jjP12ihipStream_tbEUlT_E_NS1_11comp_targetILNS1_3genE3ELNS1_11target_archE908ELNS1_3gpuE7ELNS1_3repE0EEENS1_52radix_sort_onesweep_histogram_config_static_selectorELNS0_4arch9wavefront6targetE1EEEvSC_,comdat
.Lfunc_end2371:
	.size	_ZN7rocprim17ROCPRIM_400000_NS6detail17trampoline_kernelINS0_14default_configENS1_35radix_sort_onesweep_config_selectorIxNS0_10empty_typeEEEZNS1_34radix_sort_onesweep_global_offsetsIS3_Lb1EPxPS5_mNS0_19identity_decomposerEEE10hipError_tT1_T2_PT3_SE_jT4_jjP12ihipStream_tbEUlT_E_NS1_11comp_targetILNS1_3genE3ELNS1_11target_archE908ELNS1_3gpuE7ELNS1_3repE0EEENS1_52radix_sort_onesweep_histogram_config_static_selectorELNS0_4arch9wavefront6targetE1EEEvSC_, .Lfunc_end2371-_ZN7rocprim17ROCPRIM_400000_NS6detail17trampoline_kernelINS0_14default_configENS1_35radix_sort_onesweep_config_selectorIxNS0_10empty_typeEEEZNS1_34radix_sort_onesweep_global_offsetsIS3_Lb1EPxPS5_mNS0_19identity_decomposerEEE10hipError_tT1_T2_PT3_SE_jT4_jjP12ihipStream_tbEUlT_E_NS1_11comp_targetILNS1_3genE3ELNS1_11target_archE908ELNS1_3gpuE7ELNS1_3repE0EEENS1_52radix_sort_onesweep_histogram_config_static_selectorELNS0_4arch9wavefront6targetE1EEEvSC_
                                        ; -- End function
	.section	.AMDGPU.csdata,"",@progbits
; Kernel info:
; codeLenInByte = 0
; NumSgprs: 4
; NumVgprs: 0
; NumAgprs: 0
; TotalNumVgprs: 0
; ScratchSize: 0
; MemoryBound: 0
; FloatMode: 240
; IeeeMode: 1
; LDSByteSize: 0 bytes/workgroup (compile time only)
; SGPRBlocks: 0
; VGPRBlocks: 0
; NumSGPRsForWavesPerEU: 4
; NumVGPRsForWavesPerEU: 1
; AccumOffset: 4
; Occupancy: 8
; WaveLimiterHint : 0
; COMPUTE_PGM_RSRC2:SCRATCH_EN: 0
; COMPUTE_PGM_RSRC2:USER_SGPR: 6
; COMPUTE_PGM_RSRC2:TRAP_HANDLER: 0
; COMPUTE_PGM_RSRC2:TGID_X_EN: 1
; COMPUTE_PGM_RSRC2:TGID_Y_EN: 0
; COMPUTE_PGM_RSRC2:TGID_Z_EN: 0
; COMPUTE_PGM_RSRC2:TIDIG_COMP_CNT: 0
; COMPUTE_PGM_RSRC3_GFX90A:ACCUM_OFFSET: 0
; COMPUTE_PGM_RSRC3_GFX90A:TG_SPLIT: 0
	.section	.text._ZN7rocprim17ROCPRIM_400000_NS6detail17trampoline_kernelINS0_14default_configENS1_35radix_sort_onesweep_config_selectorIxNS0_10empty_typeEEEZNS1_34radix_sort_onesweep_global_offsetsIS3_Lb1EPxPS5_mNS0_19identity_decomposerEEE10hipError_tT1_T2_PT3_SE_jT4_jjP12ihipStream_tbEUlT_E_NS1_11comp_targetILNS1_3genE10ELNS1_11target_archE1201ELNS1_3gpuE5ELNS1_3repE0EEENS1_52radix_sort_onesweep_histogram_config_static_selectorELNS0_4arch9wavefront6targetE1EEEvSC_,"axG",@progbits,_ZN7rocprim17ROCPRIM_400000_NS6detail17trampoline_kernelINS0_14default_configENS1_35radix_sort_onesweep_config_selectorIxNS0_10empty_typeEEEZNS1_34radix_sort_onesweep_global_offsetsIS3_Lb1EPxPS5_mNS0_19identity_decomposerEEE10hipError_tT1_T2_PT3_SE_jT4_jjP12ihipStream_tbEUlT_E_NS1_11comp_targetILNS1_3genE10ELNS1_11target_archE1201ELNS1_3gpuE5ELNS1_3repE0EEENS1_52radix_sort_onesweep_histogram_config_static_selectorELNS0_4arch9wavefront6targetE1EEEvSC_,comdat
	.protected	_ZN7rocprim17ROCPRIM_400000_NS6detail17trampoline_kernelINS0_14default_configENS1_35radix_sort_onesweep_config_selectorIxNS0_10empty_typeEEEZNS1_34radix_sort_onesweep_global_offsetsIS3_Lb1EPxPS5_mNS0_19identity_decomposerEEE10hipError_tT1_T2_PT3_SE_jT4_jjP12ihipStream_tbEUlT_E_NS1_11comp_targetILNS1_3genE10ELNS1_11target_archE1201ELNS1_3gpuE5ELNS1_3repE0EEENS1_52radix_sort_onesweep_histogram_config_static_selectorELNS0_4arch9wavefront6targetE1EEEvSC_ ; -- Begin function _ZN7rocprim17ROCPRIM_400000_NS6detail17trampoline_kernelINS0_14default_configENS1_35radix_sort_onesweep_config_selectorIxNS0_10empty_typeEEEZNS1_34radix_sort_onesweep_global_offsetsIS3_Lb1EPxPS5_mNS0_19identity_decomposerEEE10hipError_tT1_T2_PT3_SE_jT4_jjP12ihipStream_tbEUlT_E_NS1_11comp_targetILNS1_3genE10ELNS1_11target_archE1201ELNS1_3gpuE5ELNS1_3repE0EEENS1_52radix_sort_onesweep_histogram_config_static_selectorELNS0_4arch9wavefront6targetE1EEEvSC_
	.globl	_ZN7rocprim17ROCPRIM_400000_NS6detail17trampoline_kernelINS0_14default_configENS1_35radix_sort_onesweep_config_selectorIxNS0_10empty_typeEEEZNS1_34radix_sort_onesweep_global_offsetsIS3_Lb1EPxPS5_mNS0_19identity_decomposerEEE10hipError_tT1_T2_PT3_SE_jT4_jjP12ihipStream_tbEUlT_E_NS1_11comp_targetILNS1_3genE10ELNS1_11target_archE1201ELNS1_3gpuE5ELNS1_3repE0EEENS1_52radix_sort_onesweep_histogram_config_static_selectorELNS0_4arch9wavefront6targetE1EEEvSC_
	.p2align	8
	.type	_ZN7rocprim17ROCPRIM_400000_NS6detail17trampoline_kernelINS0_14default_configENS1_35radix_sort_onesweep_config_selectorIxNS0_10empty_typeEEEZNS1_34radix_sort_onesweep_global_offsetsIS3_Lb1EPxPS5_mNS0_19identity_decomposerEEE10hipError_tT1_T2_PT3_SE_jT4_jjP12ihipStream_tbEUlT_E_NS1_11comp_targetILNS1_3genE10ELNS1_11target_archE1201ELNS1_3gpuE5ELNS1_3repE0EEENS1_52radix_sort_onesweep_histogram_config_static_selectorELNS0_4arch9wavefront6targetE1EEEvSC_,@function
_ZN7rocprim17ROCPRIM_400000_NS6detail17trampoline_kernelINS0_14default_configENS1_35radix_sort_onesweep_config_selectorIxNS0_10empty_typeEEEZNS1_34radix_sort_onesweep_global_offsetsIS3_Lb1EPxPS5_mNS0_19identity_decomposerEEE10hipError_tT1_T2_PT3_SE_jT4_jjP12ihipStream_tbEUlT_E_NS1_11comp_targetILNS1_3genE10ELNS1_11target_archE1201ELNS1_3gpuE5ELNS1_3repE0EEENS1_52radix_sort_onesweep_histogram_config_static_selectorELNS0_4arch9wavefront6targetE1EEEvSC_: ; @_ZN7rocprim17ROCPRIM_400000_NS6detail17trampoline_kernelINS0_14default_configENS1_35radix_sort_onesweep_config_selectorIxNS0_10empty_typeEEEZNS1_34radix_sort_onesweep_global_offsetsIS3_Lb1EPxPS5_mNS0_19identity_decomposerEEE10hipError_tT1_T2_PT3_SE_jT4_jjP12ihipStream_tbEUlT_E_NS1_11comp_targetILNS1_3genE10ELNS1_11target_archE1201ELNS1_3gpuE5ELNS1_3repE0EEENS1_52radix_sort_onesweep_histogram_config_static_selectorELNS0_4arch9wavefront6targetE1EEEvSC_
; %bb.0:
	.section	.rodata,"a",@progbits
	.p2align	6, 0x0
	.amdhsa_kernel _ZN7rocprim17ROCPRIM_400000_NS6detail17trampoline_kernelINS0_14default_configENS1_35radix_sort_onesweep_config_selectorIxNS0_10empty_typeEEEZNS1_34radix_sort_onesweep_global_offsetsIS3_Lb1EPxPS5_mNS0_19identity_decomposerEEE10hipError_tT1_T2_PT3_SE_jT4_jjP12ihipStream_tbEUlT_E_NS1_11comp_targetILNS1_3genE10ELNS1_11target_archE1201ELNS1_3gpuE5ELNS1_3repE0EEENS1_52radix_sort_onesweep_histogram_config_static_selectorELNS0_4arch9wavefront6targetE1EEEvSC_
		.amdhsa_group_segment_fixed_size 0
		.amdhsa_private_segment_fixed_size 0
		.amdhsa_kernarg_size 48
		.amdhsa_user_sgpr_count 6
		.amdhsa_user_sgpr_private_segment_buffer 1
		.amdhsa_user_sgpr_dispatch_ptr 0
		.amdhsa_user_sgpr_queue_ptr 0
		.amdhsa_user_sgpr_kernarg_segment_ptr 1
		.amdhsa_user_sgpr_dispatch_id 0
		.amdhsa_user_sgpr_flat_scratch_init 0
		.amdhsa_user_sgpr_kernarg_preload_length 0
		.amdhsa_user_sgpr_kernarg_preload_offset 0
		.amdhsa_user_sgpr_private_segment_size 0
		.amdhsa_uses_dynamic_stack 0
		.amdhsa_system_sgpr_private_segment_wavefront_offset 0
		.amdhsa_system_sgpr_workgroup_id_x 1
		.amdhsa_system_sgpr_workgroup_id_y 0
		.amdhsa_system_sgpr_workgroup_id_z 0
		.amdhsa_system_sgpr_workgroup_info 0
		.amdhsa_system_vgpr_workitem_id 0
		.amdhsa_next_free_vgpr 1
		.amdhsa_next_free_sgpr 0
		.amdhsa_accum_offset 4
		.amdhsa_reserve_vcc 0
		.amdhsa_reserve_flat_scratch 0
		.amdhsa_float_round_mode_32 0
		.amdhsa_float_round_mode_16_64 0
		.amdhsa_float_denorm_mode_32 3
		.amdhsa_float_denorm_mode_16_64 3
		.amdhsa_dx10_clamp 1
		.amdhsa_ieee_mode 1
		.amdhsa_fp16_overflow 0
		.amdhsa_tg_split 0
		.amdhsa_exception_fp_ieee_invalid_op 0
		.amdhsa_exception_fp_denorm_src 0
		.amdhsa_exception_fp_ieee_div_zero 0
		.amdhsa_exception_fp_ieee_overflow 0
		.amdhsa_exception_fp_ieee_underflow 0
		.amdhsa_exception_fp_ieee_inexact 0
		.amdhsa_exception_int_div_zero 0
	.end_amdhsa_kernel
	.section	.text._ZN7rocprim17ROCPRIM_400000_NS6detail17trampoline_kernelINS0_14default_configENS1_35radix_sort_onesweep_config_selectorIxNS0_10empty_typeEEEZNS1_34radix_sort_onesweep_global_offsetsIS3_Lb1EPxPS5_mNS0_19identity_decomposerEEE10hipError_tT1_T2_PT3_SE_jT4_jjP12ihipStream_tbEUlT_E_NS1_11comp_targetILNS1_3genE10ELNS1_11target_archE1201ELNS1_3gpuE5ELNS1_3repE0EEENS1_52radix_sort_onesweep_histogram_config_static_selectorELNS0_4arch9wavefront6targetE1EEEvSC_,"axG",@progbits,_ZN7rocprim17ROCPRIM_400000_NS6detail17trampoline_kernelINS0_14default_configENS1_35radix_sort_onesweep_config_selectorIxNS0_10empty_typeEEEZNS1_34radix_sort_onesweep_global_offsetsIS3_Lb1EPxPS5_mNS0_19identity_decomposerEEE10hipError_tT1_T2_PT3_SE_jT4_jjP12ihipStream_tbEUlT_E_NS1_11comp_targetILNS1_3genE10ELNS1_11target_archE1201ELNS1_3gpuE5ELNS1_3repE0EEENS1_52radix_sort_onesweep_histogram_config_static_selectorELNS0_4arch9wavefront6targetE1EEEvSC_,comdat
.Lfunc_end2372:
	.size	_ZN7rocprim17ROCPRIM_400000_NS6detail17trampoline_kernelINS0_14default_configENS1_35radix_sort_onesweep_config_selectorIxNS0_10empty_typeEEEZNS1_34radix_sort_onesweep_global_offsetsIS3_Lb1EPxPS5_mNS0_19identity_decomposerEEE10hipError_tT1_T2_PT3_SE_jT4_jjP12ihipStream_tbEUlT_E_NS1_11comp_targetILNS1_3genE10ELNS1_11target_archE1201ELNS1_3gpuE5ELNS1_3repE0EEENS1_52radix_sort_onesweep_histogram_config_static_selectorELNS0_4arch9wavefront6targetE1EEEvSC_, .Lfunc_end2372-_ZN7rocprim17ROCPRIM_400000_NS6detail17trampoline_kernelINS0_14default_configENS1_35radix_sort_onesweep_config_selectorIxNS0_10empty_typeEEEZNS1_34radix_sort_onesweep_global_offsetsIS3_Lb1EPxPS5_mNS0_19identity_decomposerEEE10hipError_tT1_T2_PT3_SE_jT4_jjP12ihipStream_tbEUlT_E_NS1_11comp_targetILNS1_3genE10ELNS1_11target_archE1201ELNS1_3gpuE5ELNS1_3repE0EEENS1_52radix_sort_onesweep_histogram_config_static_selectorELNS0_4arch9wavefront6targetE1EEEvSC_
                                        ; -- End function
	.section	.AMDGPU.csdata,"",@progbits
; Kernel info:
; codeLenInByte = 0
; NumSgprs: 4
; NumVgprs: 0
; NumAgprs: 0
; TotalNumVgprs: 0
; ScratchSize: 0
; MemoryBound: 0
; FloatMode: 240
; IeeeMode: 1
; LDSByteSize: 0 bytes/workgroup (compile time only)
; SGPRBlocks: 0
; VGPRBlocks: 0
; NumSGPRsForWavesPerEU: 4
; NumVGPRsForWavesPerEU: 1
; AccumOffset: 4
; Occupancy: 8
; WaveLimiterHint : 0
; COMPUTE_PGM_RSRC2:SCRATCH_EN: 0
; COMPUTE_PGM_RSRC2:USER_SGPR: 6
; COMPUTE_PGM_RSRC2:TRAP_HANDLER: 0
; COMPUTE_PGM_RSRC2:TGID_X_EN: 1
; COMPUTE_PGM_RSRC2:TGID_Y_EN: 0
; COMPUTE_PGM_RSRC2:TGID_Z_EN: 0
; COMPUTE_PGM_RSRC2:TIDIG_COMP_CNT: 0
; COMPUTE_PGM_RSRC3_GFX90A:ACCUM_OFFSET: 0
; COMPUTE_PGM_RSRC3_GFX90A:TG_SPLIT: 0
	.section	.text._ZN7rocprim17ROCPRIM_400000_NS6detail17trampoline_kernelINS0_14default_configENS1_35radix_sort_onesweep_config_selectorIxNS0_10empty_typeEEEZNS1_34radix_sort_onesweep_global_offsetsIS3_Lb1EPxPS5_mNS0_19identity_decomposerEEE10hipError_tT1_T2_PT3_SE_jT4_jjP12ihipStream_tbEUlT_E_NS1_11comp_targetILNS1_3genE9ELNS1_11target_archE1100ELNS1_3gpuE3ELNS1_3repE0EEENS1_52radix_sort_onesweep_histogram_config_static_selectorELNS0_4arch9wavefront6targetE1EEEvSC_,"axG",@progbits,_ZN7rocprim17ROCPRIM_400000_NS6detail17trampoline_kernelINS0_14default_configENS1_35radix_sort_onesweep_config_selectorIxNS0_10empty_typeEEEZNS1_34radix_sort_onesweep_global_offsetsIS3_Lb1EPxPS5_mNS0_19identity_decomposerEEE10hipError_tT1_T2_PT3_SE_jT4_jjP12ihipStream_tbEUlT_E_NS1_11comp_targetILNS1_3genE9ELNS1_11target_archE1100ELNS1_3gpuE3ELNS1_3repE0EEENS1_52radix_sort_onesweep_histogram_config_static_selectorELNS0_4arch9wavefront6targetE1EEEvSC_,comdat
	.protected	_ZN7rocprim17ROCPRIM_400000_NS6detail17trampoline_kernelINS0_14default_configENS1_35radix_sort_onesweep_config_selectorIxNS0_10empty_typeEEEZNS1_34radix_sort_onesweep_global_offsetsIS3_Lb1EPxPS5_mNS0_19identity_decomposerEEE10hipError_tT1_T2_PT3_SE_jT4_jjP12ihipStream_tbEUlT_E_NS1_11comp_targetILNS1_3genE9ELNS1_11target_archE1100ELNS1_3gpuE3ELNS1_3repE0EEENS1_52radix_sort_onesweep_histogram_config_static_selectorELNS0_4arch9wavefront6targetE1EEEvSC_ ; -- Begin function _ZN7rocprim17ROCPRIM_400000_NS6detail17trampoline_kernelINS0_14default_configENS1_35radix_sort_onesweep_config_selectorIxNS0_10empty_typeEEEZNS1_34radix_sort_onesweep_global_offsetsIS3_Lb1EPxPS5_mNS0_19identity_decomposerEEE10hipError_tT1_T2_PT3_SE_jT4_jjP12ihipStream_tbEUlT_E_NS1_11comp_targetILNS1_3genE9ELNS1_11target_archE1100ELNS1_3gpuE3ELNS1_3repE0EEENS1_52radix_sort_onesweep_histogram_config_static_selectorELNS0_4arch9wavefront6targetE1EEEvSC_
	.globl	_ZN7rocprim17ROCPRIM_400000_NS6detail17trampoline_kernelINS0_14default_configENS1_35radix_sort_onesweep_config_selectorIxNS0_10empty_typeEEEZNS1_34radix_sort_onesweep_global_offsetsIS3_Lb1EPxPS5_mNS0_19identity_decomposerEEE10hipError_tT1_T2_PT3_SE_jT4_jjP12ihipStream_tbEUlT_E_NS1_11comp_targetILNS1_3genE9ELNS1_11target_archE1100ELNS1_3gpuE3ELNS1_3repE0EEENS1_52radix_sort_onesweep_histogram_config_static_selectorELNS0_4arch9wavefront6targetE1EEEvSC_
	.p2align	8
	.type	_ZN7rocprim17ROCPRIM_400000_NS6detail17trampoline_kernelINS0_14default_configENS1_35radix_sort_onesweep_config_selectorIxNS0_10empty_typeEEEZNS1_34radix_sort_onesweep_global_offsetsIS3_Lb1EPxPS5_mNS0_19identity_decomposerEEE10hipError_tT1_T2_PT3_SE_jT4_jjP12ihipStream_tbEUlT_E_NS1_11comp_targetILNS1_3genE9ELNS1_11target_archE1100ELNS1_3gpuE3ELNS1_3repE0EEENS1_52radix_sort_onesweep_histogram_config_static_selectorELNS0_4arch9wavefront6targetE1EEEvSC_,@function
_ZN7rocprim17ROCPRIM_400000_NS6detail17trampoline_kernelINS0_14default_configENS1_35radix_sort_onesweep_config_selectorIxNS0_10empty_typeEEEZNS1_34radix_sort_onesweep_global_offsetsIS3_Lb1EPxPS5_mNS0_19identity_decomposerEEE10hipError_tT1_T2_PT3_SE_jT4_jjP12ihipStream_tbEUlT_E_NS1_11comp_targetILNS1_3genE9ELNS1_11target_archE1100ELNS1_3gpuE3ELNS1_3repE0EEENS1_52radix_sort_onesweep_histogram_config_static_selectorELNS0_4arch9wavefront6targetE1EEEvSC_: ; @_ZN7rocprim17ROCPRIM_400000_NS6detail17trampoline_kernelINS0_14default_configENS1_35radix_sort_onesweep_config_selectorIxNS0_10empty_typeEEEZNS1_34radix_sort_onesweep_global_offsetsIS3_Lb1EPxPS5_mNS0_19identity_decomposerEEE10hipError_tT1_T2_PT3_SE_jT4_jjP12ihipStream_tbEUlT_E_NS1_11comp_targetILNS1_3genE9ELNS1_11target_archE1100ELNS1_3gpuE3ELNS1_3repE0EEENS1_52radix_sort_onesweep_histogram_config_static_selectorELNS0_4arch9wavefront6targetE1EEEvSC_
; %bb.0:
	.section	.rodata,"a",@progbits
	.p2align	6, 0x0
	.amdhsa_kernel _ZN7rocprim17ROCPRIM_400000_NS6detail17trampoline_kernelINS0_14default_configENS1_35radix_sort_onesweep_config_selectorIxNS0_10empty_typeEEEZNS1_34radix_sort_onesweep_global_offsetsIS3_Lb1EPxPS5_mNS0_19identity_decomposerEEE10hipError_tT1_T2_PT3_SE_jT4_jjP12ihipStream_tbEUlT_E_NS1_11comp_targetILNS1_3genE9ELNS1_11target_archE1100ELNS1_3gpuE3ELNS1_3repE0EEENS1_52radix_sort_onesweep_histogram_config_static_selectorELNS0_4arch9wavefront6targetE1EEEvSC_
		.amdhsa_group_segment_fixed_size 0
		.amdhsa_private_segment_fixed_size 0
		.amdhsa_kernarg_size 48
		.amdhsa_user_sgpr_count 6
		.amdhsa_user_sgpr_private_segment_buffer 1
		.amdhsa_user_sgpr_dispatch_ptr 0
		.amdhsa_user_sgpr_queue_ptr 0
		.amdhsa_user_sgpr_kernarg_segment_ptr 1
		.amdhsa_user_sgpr_dispatch_id 0
		.amdhsa_user_sgpr_flat_scratch_init 0
		.amdhsa_user_sgpr_kernarg_preload_length 0
		.amdhsa_user_sgpr_kernarg_preload_offset 0
		.amdhsa_user_sgpr_private_segment_size 0
		.amdhsa_uses_dynamic_stack 0
		.amdhsa_system_sgpr_private_segment_wavefront_offset 0
		.amdhsa_system_sgpr_workgroup_id_x 1
		.amdhsa_system_sgpr_workgroup_id_y 0
		.amdhsa_system_sgpr_workgroup_id_z 0
		.amdhsa_system_sgpr_workgroup_info 0
		.amdhsa_system_vgpr_workitem_id 0
		.amdhsa_next_free_vgpr 1
		.amdhsa_next_free_sgpr 0
		.amdhsa_accum_offset 4
		.amdhsa_reserve_vcc 0
		.amdhsa_reserve_flat_scratch 0
		.amdhsa_float_round_mode_32 0
		.amdhsa_float_round_mode_16_64 0
		.amdhsa_float_denorm_mode_32 3
		.amdhsa_float_denorm_mode_16_64 3
		.amdhsa_dx10_clamp 1
		.amdhsa_ieee_mode 1
		.amdhsa_fp16_overflow 0
		.amdhsa_tg_split 0
		.amdhsa_exception_fp_ieee_invalid_op 0
		.amdhsa_exception_fp_denorm_src 0
		.amdhsa_exception_fp_ieee_div_zero 0
		.amdhsa_exception_fp_ieee_overflow 0
		.amdhsa_exception_fp_ieee_underflow 0
		.amdhsa_exception_fp_ieee_inexact 0
		.amdhsa_exception_int_div_zero 0
	.end_amdhsa_kernel
	.section	.text._ZN7rocprim17ROCPRIM_400000_NS6detail17trampoline_kernelINS0_14default_configENS1_35radix_sort_onesweep_config_selectorIxNS0_10empty_typeEEEZNS1_34radix_sort_onesweep_global_offsetsIS3_Lb1EPxPS5_mNS0_19identity_decomposerEEE10hipError_tT1_T2_PT3_SE_jT4_jjP12ihipStream_tbEUlT_E_NS1_11comp_targetILNS1_3genE9ELNS1_11target_archE1100ELNS1_3gpuE3ELNS1_3repE0EEENS1_52radix_sort_onesweep_histogram_config_static_selectorELNS0_4arch9wavefront6targetE1EEEvSC_,"axG",@progbits,_ZN7rocprim17ROCPRIM_400000_NS6detail17trampoline_kernelINS0_14default_configENS1_35radix_sort_onesweep_config_selectorIxNS0_10empty_typeEEEZNS1_34radix_sort_onesweep_global_offsetsIS3_Lb1EPxPS5_mNS0_19identity_decomposerEEE10hipError_tT1_T2_PT3_SE_jT4_jjP12ihipStream_tbEUlT_E_NS1_11comp_targetILNS1_3genE9ELNS1_11target_archE1100ELNS1_3gpuE3ELNS1_3repE0EEENS1_52radix_sort_onesweep_histogram_config_static_selectorELNS0_4arch9wavefront6targetE1EEEvSC_,comdat
.Lfunc_end2373:
	.size	_ZN7rocprim17ROCPRIM_400000_NS6detail17trampoline_kernelINS0_14default_configENS1_35radix_sort_onesweep_config_selectorIxNS0_10empty_typeEEEZNS1_34radix_sort_onesweep_global_offsetsIS3_Lb1EPxPS5_mNS0_19identity_decomposerEEE10hipError_tT1_T2_PT3_SE_jT4_jjP12ihipStream_tbEUlT_E_NS1_11comp_targetILNS1_3genE9ELNS1_11target_archE1100ELNS1_3gpuE3ELNS1_3repE0EEENS1_52radix_sort_onesweep_histogram_config_static_selectorELNS0_4arch9wavefront6targetE1EEEvSC_, .Lfunc_end2373-_ZN7rocprim17ROCPRIM_400000_NS6detail17trampoline_kernelINS0_14default_configENS1_35radix_sort_onesweep_config_selectorIxNS0_10empty_typeEEEZNS1_34radix_sort_onesweep_global_offsetsIS3_Lb1EPxPS5_mNS0_19identity_decomposerEEE10hipError_tT1_T2_PT3_SE_jT4_jjP12ihipStream_tbEUlT_E_NS1_11comp_targetILNS1_3genE9ELNS1_11target_archE1100ELNS1_3gpuE3ELNS1_3repE0EEENS1_52radix_sort_onesweep_histogram_config_static_selectorELNS0_4arch9wavefront6targetE1EEEvSC_
                                        ; -- End function
	.section	.AMDGPU.csdata,"",@progbits
; Kernel info:
; codeLenInByte = 0
; NumSgprs: 4
; NumVgprs: 0
; NumAgprs: 0
; TotalNumVgprs: 0
; ScratchSize: 0
; MemoryBound: 0
; FloatMode: 240
; IeeeMode: 1
; LDSByteSize: 0 bytes/workgroup (compile time only)
; SGPRBlocks: 0
; VGPRBlocks: 0
; NumSGPRsForWavesPerEU: 4
; NumVGPRsForWavesPerEU: 1
; AccumOffset: 4
; Occupancy: 8
; WaveLimiterHint : 0
; COMPUTE_PGM_RSRC2:SCRATCH_EN: 0
; COMPUTE_PGM_RSRC2:USER_SGPR: 6
; COMPUTE_PGM_RSRC2:TRAP_HANDLER: 0
; COMPUTE_PGM_RSRC2:TGID_X_EN: 1
; COMPUTE_PGM_RSRC2:TGID_Y_EN: 0
; COMPUTE_PGM_RSRC2:TGID_Z_EN: 0
; COMPUTE_PGM_RSRC2:TIDIG_COMP_CNT: 0
; COMPUTE_PGM_RSRC3_GFX90A:ACCUM_OFFSET: 0
; COMPUTE_PGM_RSRC3_GFX90A:TG_SPLIT: 0
	.section	.text._ZN7rocprim17ROCPRIM_400000_NS6detail17trampoline_kernelINS0_14default_configENS1_35radix_sort_onesweep_config_selectorIxNS0_10empty_typeEEEZNS1_34radix_sort_onesweep_global_offsetsIS3_Lb1EPxPS5_mNS0_19identity_decomposerEEE10hipError_tT1_T2_PT3_SE_jT4_jjP12ihipStream_tbEUlT_E_NS1_11comp_targetILNS1_3genE8ELNS1_11target_archE1030ELNS1_3gpuE2ELNS1_3repE0EEENS1_52radix_sort_onesweep_histogram_config_static_selectorELNS0_4arch9wavefront6targetE1EEEvSC_,"axG",@progbits,_ZN7rocprim17ROCPRIM_400000_NS6detail17trampoline_kernelINS0_14default_configENS1_35radix_sort_onesweep_config_selectorIxNS0_10empty_typeEEEZNS1_34radix_sort_onesweep_global_offsetsIS3_Lb1EPxPS5_mNS0_19identity_decomposerEEE10hipError_tT1_T2_PT3_SE_jT4_jjP12ihipStream_tbEUlT_E_NS1_11comp_targetILNS1_3genE8ELNS1_11target_archE1030ELNS1_3gpuE2ELNS1_3repE0EEENS1_52radix_sort_onesweep_histogram_config_static_selectorELNS0_4arch9wavefront6targetE1EEEvSC_,comdat
	.protected	_ZN7rocprim17ROCPRIM_400000_NS6detail17trampoline_kernelINS0_14default_configENS1_35radix_sort_onesweep_config_selectorIxNS0_10empty_typeEEEZNS1_34radix_sort_onesweep_global_offsetsIS3_Lb1EPxPS5_mNS0_19identity_decomposerEEE10hipError_tT1_T2_PT3_SE_jT4_jjP12ihipStream_tbEUlT_E_NS1_11comp_targetILNS1_3genE8ELNS1_11target_archE1030ELNS1_3gpuE2ELNS1_3repE0EEENS1_52radix_sort_onesweep_histogram_config_static_selectorELNS0_4arch9wavefront6targetE1EEEvSC_ ; -- Begin function _ZN7rocprim17ROCPRIM_400000_NS6detail17trampoline_kernelINS0_14default_configENS1_35radix_sort_onesweep_config_selectorIxNS0_10empty_typeEEEZNS1_34radix_sort_onesweep_global_offsetsIS3_Lb1EPxPS5_mNS0_19identity_decomposerEEE10hipError_tT1_T2_PT3_SE_jT4_jjP12ihipStream_tbEUlT_E_NS1_11comp_targetILNS1_3genE8ELNS1_11target_archE1030ELNS1_3gpuE2ELNS1_3repE0EEENS1_52radix_sort_onesweep_histogram_config_static_selectorELNS0_4arch9wavefront6targetE1EEEvSC_
	.globl	_ZN7rocprim17ROCPRIM_400000_NS6detail17trampoline_kernelINS0_14default_configENS1_35radix_sort_onesweep_config_selectorIxNS0_10empty_typeEEEZNS1_34radix_sort_onesweep_global_offsetsIS3_Lb1EPxPS5_mNS0_19identity_decomposerEEE10hipError_tT1_T2_PT3_SE_jT4_jjP12ihipStream_tbEUlT_E_NS1_11comp_targetILNS1_3genE8ELNS1_11target_archE1030ELNS1_3gpuE2ELNS1_3repE0EEENS1_52radix_sort_onesweep_histogram_config_static_selectorELNS0_4arch9wavefront6targetE1EEEvSC_
	.p2align	8
	.type	_ZN7rocprim17ROCPRIM_400000_NS6detail17trampoline_kernelINS0_14default_configENS1_35radix_sort_onesweep_config_selectorIxNS0_10empty_typeEEEZNS1_34radix_sort_onesweep_global_offsetsIS3_Lb1EPxPS5_mNS0_19identity_decomposerEEE10hipError_tT1_T2_PT3_SE_jT4_jjP12ihipStream_tbEUlT_E_NS1_11comp_targetILNS1_3genE8ELNS1_11target_archE1030ELNS1_3gpuE2ELNS1_3repE0EEENS1_52radix_sort_onesweep_histogram_config_static_selectorELNS0_4arch9wavefront6targetE1EEEvSC_,@function
_ZN7rocprim17ROCPRIM_400000_NS6detail17trampoline_kernelINS0_14default_configENS1_35radix_sort_onesweep_config_selectorIxNS0_10empty_typeEEEZNS1_34radix_sort_onesweep_global_offsetsIS3_Lb1EPxPS5_mNS0_19identity_decomposerEEE10hipError_tT1_T2_PT3_SE_jT4_jjP12ihipStream_tbEUlT_E_NS1_11comp_targetILNS1_3genE8ELNS1_11target_archE1030ELNS1_3gpuE2ELNS1_3repE0EEENS1_52radix_sort_onesweep_histogram_config_static_selectorELNS0_4arch9wavefront6targetE1EEEvSC_: ; @_ZN7rocprim17ROCPRIM_400000_NS6detail17trampoline_kernelINS0_14default_configENS1_35radix_sort_onesweep_config_selectorIxNS0_10empty_typeEEEZNS1_34radix_sort_onesweep_global_offsetsIS3_Lb1EPxPS5_mNS0_19identity_decomposerEEE10hipError_tT1_T2_PT3_SE_jT4_jjP12ihipStream_tbEUlT_E_NS1_11comp_targetILNS1_3genE8ELNS1_11target_archE1030ELNS1_3gpuE2ELNS1_3repE0EEENS1_52radix_sort_onesweep_histogram_config_static_selectorELNS0_4arch9wavefront6targetE1EEEvSC_
; %bb.0:
	.section	.rodata,"a",@progbits
	.p2align	6, 0x0
	.amdhsa_kernel _ZN7rocprim17ROCPRIM_400000_NS6detail17trampoline_kernelINS0_14default_configENS1_35radix_sort_onesweep_config_selectorIxNS0_10empty_typeEEEZNS1_34radix_sort_onesweep_global_offsetsIS3_Lb1EPxPS5_mNS0_19identity_decomposerEEE10hipError_tT1_T2_PT3_SE_jT4_jjP12ihipStream_tbEUlT_E_NS1_11comp_targetILNS1_3genE8ELNS1_11target_archE1030ELNS1_3gpuE2ELNS1_3repE0EEENS1_52radix_sort_onesweep_histogram_config_static_selectorELNS0_4arch9wavefront6targetE1EEEvSC_
		.amdhsa_group_segment_fixed_size 0
		.amdhsa_private_segment_fixed_size 0
		.amdhsa_kernarg_size 48
		.amdhsa_user_sgpr_count 6
		.amdhsa_user_sgpr_private_segment_buffer 1
		.amdhsa_user_sgpr_dispatch_ptr 0
		.amdhsa_user_sgpr_queue_ptr 0
		.amdhsa_user_sgpr_kernarg_segment_ptr 1
		.amdhsa_user_sgpr_dispatch_id 0
		.amdhsa_user_sgpr_flat_scratch_init 0
		.amdhsa_user_sgpr_kernarg_preload_length 0
		.amdhsa_user_sgpr_kernarg_preload_offset 0
		.amdhsa_user_sgpr_private_segment_size 0
		.amdhsa_uses_dynamic_stack 0
		.amdhsa_system_sgpr_private_segment_wavefront_offset 0
		.amdhsa_system_sgpr_workgroup_id_x 1
		.amdhsa_system_sgpr_workgroup_id_y 0
		.amdhsa_system_sgpr_workgroup_id_z 0
		.amdhsa_system_sgpr_workgroup_info 0
		.amdhsa_system_vgpr_workitem_id 0
		.amdhsa_next_free_vgpr 1
		.amdhsa_next_free_sgpr 0
		.amdhsa_accum_offset 4
		.amdhsa_reserve_vcc 0
		.amdhsa_reserve_flat_scratch 0
		.amdhsa_float_round_mode_32 0
		.amdhsa_float_round_mode_16_64 0
		.amdhsa_float_denorm_mode_32 3
		.amdhsa_float_denorm_mode_16_64 3
		.amdhsa_dx10_clamp 1
		.amdhsa_ieee_mode 1
		.amdhsa_fp16_overflow 0
		.amdhsa_tg_split 0
		.amdhsa_exception_fp_ieee_invalid_op 0
		.amdhsa_exception_fp_denorm_src 0
		.amdhsa_exception_fp_ieee_div_zero 0
		.amdhsa_exception_fp_ieee_overflow 0
		.amdhsa_exception_fp_ieee_underflow 0
		.amdhsa_exception_fp_ieee_inexact 0
		.amdhsa_exception_int_div_zero 0
	.end_amdhsa_kernel
	.section	.text._ZN7rocprim17ROCPRIM_400000_NS6detail17trampoline_kernelINS0_14default_configENS1_35radix_sort_onesweep_config_selectorIxNS0_10empty_typeEEEZNS1_34radix_sort_onesweep_global_offsetsIS3_Lb1EPxPS5_mNS0_19identity_decomposerEEE10hipError_tT1_T2_PT3_SE_jT4_jjP12ihipStream_tbEUlT_E_NS1_11comp_targetILNS1_3genE8ELNS1_11target_archE1030ELNS1_3gpuE2ELNS1_3repE0EEENS1_52radix_sort_onesweep_histogram_config_static_selectorELNS0_4arch9wavefront6targetE1EEEvSC_,"axG",@progbits,_ZN7rocprim17ROCPRIM_400000_NS6detail17trampoline_kernelINS0_14default_configENS1_35radix_sort_onesweep_config_selectorIxNS0_10empty_typeEEEZNS1_34radix_sort_onesweep_global_offsetsIS3_Lb1EPxPS5_mNS0_19identity_decomposerEEE10hipError_tT1_T2_PT3_SE_jT4_jjP12ihipStream_tbEUlT_E_NS1_11comp_targetILNS1_3genE8ELNS1_11target_archE1030ELNS1_3gpuE2ELNS1_3repE0EEENS1_52radix_sort_onesweep_histogram_config_static_selectorELNS0_4arch9wavefront6targetE1EEEvSC_,comdat
.Lfunc_end2374:
	.size	_ZN7rocprim17ROCPRIM_400000_NS6detail17trampoline_kernelINS0_14default_configENS1_35radix_sort_onesweep_config_selectorIxNS0_10empty_typeEEEZNS1_34radix_sort_onesweep_global_offsetsIS3_Lb1EPxPS5_mNS0_19identity_decomposerEEE10hipError_tT1_T2_PT3_SE_jT4_jjP12ihipStream_tbEUlT_E_NS1_11comp_targetILNS1_3genE8ELNS1_11target_archE1030ELNS1_3gpuE2ELNS1_3repE0EEENS1_52radix_sort_onesweep_histogram_config_static_selectorELNS0_4arch9wavefront6targetE1EEEvSC_, .Lfunc_end2374-_ZN7rocprim17ROCPRIM_400000_NS6detail17trampoline_kernelINS0_14default_configENS1_35radix_sort_onesweep_config_selectorIxNS0_10empty_typeEEEZNS1_34radix_sort_onesweep_global_offsetsIS3_Lb1EPxPS5_mNS0_19identity_decomposerEEE10hipError_tT1_T2_PT3_SE_jT4_jjP12ihipStream_tbEUlT_E_NS1_11comp_targetILNS1_3genE8ELNS1_11target_archE1030ELNS1_3gpuE2ELNS1_3repE0EEENS1_52radix_sort_onesweep_histogram_config_static_selectorELNS0_4arch9wavefront6targetE1EEEvSC_
                                        ; -- End function
	.section	.AMDGPU.csdata,"",@progbits
; Kernel info:
; codeLenInByte = 0
; NumSgprs: 4
; NumVgprs: 0
; NumAgprs: 0
; TotalNumVgprs: 0
; ScratchSize: 0
; MemoryBound: 0
; FloatMode: 240
; IeeeMode: 1
; LDSByteSize: 0 bytes/workgroup (compile time only)
; SGPRBlocks: 0
; VGPRBlocks: 0
; NumSGPRsForWavesPerEU: 4
; NumVGPRsForWavesPerEU: 1
; AccumOffset: 4
; Occupancy: 8
; WaveLimiterHint : 0
; COMPUTE_PGM_RSRC2:SCRATCH_EN: 0
; COMPUTE_PGM_RSRC2:USER_SGPR: 6
; COMPUTE_PGM_RSRC2:TRAP_HANDLER: 0
; COMPUTE_PGM_RSRC2:TGID_X_EN: 1
; COMPUTE_PGM_RSRC2:TGID_Y_EN: 0
; COMPUTE_PGM_RSRC2:TGID_Z_EN: 0
; COMPUTE_PGM_RSRC2:TIDIG_COMP_CNT: 0
; COMPUTE_PGM_RSRC3_GFX90A:ACCUM_OFFSET: 0
; COMPUTE_PGM_RSRC3_GFX90A:TG_SPLIT: 0
	.section	.text._ZN7rocprim17ROCPRIM_400000_NS6detail17trampoline_kernelINS0_14default_configENS1_35radix_sort_onesweep_config_selectorIxNS0_10empty_typeEEEZNS1_34radix_sort_onesweep_global_offsetsIS3_Lb1EPxPS5_mNS0_19identity_decomposerEEE10hipError_tT1_T2_PT3_SE_jT4_jjP12ihipStream_tbEUlT_E0_NS1_11comp_targetILNS1_3genE0ELNS1_11target_archE4294967295ELNS1_3gpuE0ELNS1_3repE0EEENS1_52radix_sort_onesweep_histogram_config_static_selectorELNS0_4arch9wavefront6targetE1EEEvSC_,"axG",@progbits,_ZN7rocprim17ROCPRIM_400000_NS6detail17trampoline_kernelINS0_14default_configENS1_35radix_sort_onesweep_config_selectorIxNS0_10empty_typeEEEZNS1_34radix_sort_onesweep_global_offsetsIS3_Lb1EPxPS5_mNS0_19identity_decomposerEEE10hipError_tT1_T2_PT3_SE_jT4_jjP12ihipStream_tbEUlT_E0_NS1_11comp_targetILNS1_3genE0ELNS1_11target_archE4294967295ELNS1_3gpuE0ELNS1_3repE0EEENS1_52radix_sort_onesweep_histogram_config_static_selectorELNS0_4arch9wavefront6targetE1EEEvSC_,comdat
	.protected	_ZN7rocprim17ROCPRIM_400000_NS6detail17trampoline_kernelINS0_14default_configENS1_35radix_sort_onesweep_config_selectorIxNS0_10empty_typeEEEZNS1_34radix_sort_onesweep_global_offsetsIS3_Lb1EPxPS5_mNS0_19identity_decomposerEEE10hipError_tT1_T2_PT3_SE_jT4_jjP12ihipStream_tbEUlT_E0_NS1_11comp_targetILNS1_3genE0ELNS1_11target_archE4294967295ELNS1_3gpuE0ELNS1_3repE0EEENS1_52radix_sort_onesweep_histogram_config_static_selectorELNS0_4arch9wavefront6targetE1EEEvSC_ ; -- Begin function _ZN7rocprim17ROCPRIM_400000_NS6detail17trampoline_kernelINS0_14default_configENS1_35radix_sort_onesweep_config_selectorIxNS0_10empty_typeEEEZNS1_34radix_sort_onesweep_global_offsetsIS3_Lb1EPxPS5_mNS0_19identity_decomposerEEE10hipError_tT1_T2_PT3_SE_jT4_jjP12ihipStream_tbEUlT_E0_NS1_11comp_targetILNS1_3genE0ELNS1_11target_archE4294967295ELNS1_3gpuE0ELNS1_3repE0EEENS1_52radix_sort_onesweep_histogram_config_static_selectorELNS0_4arch9wavefront6targetE1EEEvSC_
	.globl	_ZN7rocprim17ROCPRIM_400000_NS6detail17trampoline_kernelINS0_14default_configENS1_35radix_sort_onesweep_config_selectorIxNS0_10empty_typeEEEZNS1_34radix_sort_onesweep_global_offsetsIS3_Lb1EPxPS5_mNS0_19identity_decomposerEEE10hipError_tT1_T2_PT3_SE_jT4_jjP12ihipStream_tbEUlT_E0_NS1_11comp_targetILNS1_3genE0ELNS1_11target_archE4294967295ELNS1_3gpuE0ELNS1_3repE0EEENS1_52radix_sort_onesweep_histogram_config_static_selectorELNS0_4arch9wavefront6targetE1EEEvSC_
	.p2align	8
	.type	_ZN7rocprim17ROCPRIM_400000_NS6detail17trampoline_kernelINS0_14default_configENS1_35radix_sort_onesweep_config_selectorIxNS0_10empty_typeEEEZNS1_34radix_sort_onesweep_global_offsetsIS3_Lb1EPxPS5_mNS0_19identity_decomposerEEE10hipError_tT1_T2_PT3_SE_jT4_jjP12ihipStream_tbEUlT_E0_NS1_11comp_targetILNS1_3genE0ELNS1_11target_archE4294967295ELNS1_3gpuE0ELNS1_3repE0EEENS1_52radix_sort_onesweep_histogram_config_static_selectorELNS0_4arch9wavefront6targetE1EEEvSC_,@function
_ZN7rocprim17ROCPRIM_400000_NS6detail17trampoline_kernelINS0_14default_configENS1_35radix_sort_onesweep_config_selectorIxNS0_10empty_typeEEEZNS1_34radix_sort_onesweep_global_offsetsIS3_Lb1EPxPS5_mNS0_19identity_decomposerEEE10hipError_tT1_T2_PT3_SE_jT4_jjP12ihipStream_tbEUlT_E0_NS1_11comp_targetILNS1_3genE0ELNS1_11target_archE4294967295ELNS1_3gpuE0ELNS1_3repE0EEENS1_52radix_sort_onesweep_histogram_config_static_selectorELNS0_4arch9wavefront6targetE1EEEvSC_: ; @_ZN7rocprim17ROCPRIM_400000_NS6detail17trampoline_kernelINS0_14default_configENS1_35radix_sort_onesweep_config_selectorIxNS0_10empty_typeEEEZNS1_34radix_sort_onesweep_global_offsetsIS3_Lb1EPxPS5_mNS0_19identity_decomposerEEE10hipError_tT1_T2_PT3_SE_jT4_jjP12ihipStream_tbEUlT_E0_NS1_11comp_targetILNS1_3genE0ELNS1_11target_archE4294967295ELNS1_3gpuE0ELNS1_3repE0EEENS1_52radix_sort_onesweep_histogram_config_static_selectorELNS0_4arch9wavefront6targetE1EEEvSC_
; %bb.0:
	.section	.rodata,"a",@progbits
	.p2align	6, 0x0
	.amdhsa_kernel _ZN7rocprim17ROCPRIM_400000_NS6detail17trampoline_kernelINS0_14default_configENS1_35radix_sort_onesweep_config_selectorIxNS0_10empty_typeEEEZNS1_34radix_sort_onesweep_global_offsetsIS3_Lb1EPxPS5_mNS0_19identity_decomposerEEE10hipError_tT1_T2_PT3_SE_jT4_jjP12ihipStream_tbEUlT_E0_NS1_11comp_targetILNS1_3genE0ELNS1_11target_archE4294967295ELNS1_3gpuE0ELNS1_3repE0EEENS1_52radix_sort_onesweep_histogram_config_static_selectorELNS0_4arch9wavefront6targetE1EEEvSC_
		.amdhsa_group_segment_fixed_size 0
		.amdhsa_private_segment_fixed_size 0
		.amdhsa_kernarg_size 8
		.amdhsa_user_sgpr_count 6
		.amdhsa_user_sgpr_private_segment_buffer 1
		.amdhsa_user_sgpr_dispatch_ptr 0
		.amdhsa_user_sgpr_queue_ptr 0
		.amdhsa_user_sgpr_kernarg_segment_ptr 1
		.amdhsa_user_sgpr_dispatch_id 0
		.amdhsa_user_sgpr_flat_scratch_init 0
		.amdhsa_user_sgpr_kernarg_preload_length 0
		.amdhsa_user_sgpr_kernarg_preload_offset 0
		.amdhsa_user_sgpr_private_segment_size 0
		.amdhsa_uses_dynamic_stack 0
		.amdhsa_system_sgpr_private_segment_wavefront_offset 0
		.amdhsa_system_sgpr_workgroup_id_x 1
		.amdhsa_system_sgpr_workgroup_id_y 0
		.amdhsa_system_sgpr_workgroup_id_z 0
		.amdhsa_system_sgpr_workgroup_info 0
		.amdhsa_system_vgpr_workitem_id 0
		.amdhsa_next_free_vgpr 1
		.amdhsa_next_free_sgpr 0
		.amdhsa_accum_offset 4
		.amdhsa_reserve_vcc 0
		.amdhsa_reserve_flat_scratch 0
		.amdhsa_float_round_mode_32 0
		.amdhsa_float_round_mode_16_64 0
		.amdhsa_float_denorm_mode_32 3
		.amdhsa_float_denorm_mode_16_64 3
		.amdhsa_dx10_clamp 1
		.amdhsa_ieee_mode 1
		.amdhsa_fp16_overflow 0
		.amdhsa_tg_split 0
		.amdhsa_exception_fp_ieee_invalid_op 0
		.amdhsa_exception_fp_denorm_src 0
		.amdhsa_exception_fp_ieee_div_zero 0
		.amdhsa_exception_fp_ieee_overflow 0
		.amdhsa_exception_fp_ieee_underflow 0
		.amdhsa_exception_fp_ieee_inexact 0
		.amdhsa_exception_int_div_zero 0
	.end_amdhsa_kernel
	.section	.text._ZN7rocprim17ROCPRIM_400000_NS6detail17trampoline_kernelINS0_14default_configENS1_35radix_sort_onesweep_config_selectorIxNS0_10empty_typeEEEZNS1_34radix_sort_onesweep_global_offsetsIS3_Lb1EPxPS5_mNS0_19identity_decomposerEEE10hipError_tT1_T2_PT3_SE_jT4_jjP12ihipStream_tbEUlT_E0_NS1_11comp_targetILNS1_3genE0ELNS1_11target_archE4294967295ELNS1_3gpuE0ELNS1_3repE0EEENS1_52radix_sort_onesweep_histogram_config_static_selectorELNS0_4arch9wavefront6targetE1EEEvSC_,"axG",@progbits,_ZN7rocprim17ROCPRIM_400000_NS6detail17trampoline_kernelINS0_14default_configENS1_35radix_sort_onesweep_config_selectorIxNS0_10empty_typeEEEZNS1_34radix_sort_onesweep_global_offsetsIS3_Lb1EPxPS5_mNS0_19identity_decomposerEEE10hipError_tT1_T2_PT3_SE_jT4_jjP12ihipStream_tbEUlT_E0_NS1_11comp_targetILNS1_3genE0ELNS1_11target_archE4294967295ELNS1_3gpuE0ELNS1_3repE0EEENS1_52radix_sort_onesweep_histogram_config_static_selectorELNS0_4arch9wavefront6targetE1EEEvSC_,comdat
.Lfunc_end2375:
	.size	_ZN7rocprim17ROCPRIM_400000_NS6detail17trampoline_kernelINS0_14default_configENS1_35radix_sort_onesweep_config_selectorIxNS0_10empty_typeEEEZNS1_34radix_sort_onesweep_global_offsetsIS3_Lb1EPxPS5_mNS0_19identity_decomposerEEE10hipError_tT1_T2_PT3_SE_jT4_jjP12ihipStream_tbEUlT_E0_NS1_11comp_targetILNS1_3genE0ELNS1_11target_archE4294967295ELNS1_3gpuE0ELNS1_3repE0EEENS1_52radix_sort_onesweep_histogram_config_static_selectorELNS0_4arch9wavefront6targetE1EEEvSC_, .Lfunc_end2375-_ZN7rocprim17ROCPRIM_400000_NS6detail17trampoline_kernelINS0_14default_configENS1_35radix_sort_onesweep_config_selectorIxNS0_10empty_typeEEEZNS1_34radix_sort_onesweep_global_offsetsIS3_Lb1EPxPS5_mNS0_19identity_decomposerEEE10hipError_tT1_T2_PT3_SE_jT4_jjP12ihipStream_tbEUlT_E0_NS1_11comp_targetILNS1_3genE0ELNS1_11target_archE4294967295ELNS1_3gpuE0ELNS1_3repE0EEENS1_52radix_sort_onesweep_histogram_config_static_selectorELNS0_4arch9wavefront6targetE1EEEvSC_
                                        ; -- End function
	.section	.AMDGPU.csdata,"",@progbits
; Kernel info:
; codeLenInByte = 0
; NumSgprs: 4
; NumVgprs: 0
; NumAgprs: 0
; TotalNumVgprs: 0
; ScratchSize: 0
; MemoryBound: 0
; FloatMode: 240
; IeeeMode: 1
; LDSByteSize: 0 bytes/workgroup (compile time only)
; SGPRBlocks: 0
; VGPRBlocks: 0
; NumSGPRsForWavesPerEU: 4
; NumVGPRsForWavesPerEU: 1
; AccumOffset: 4
; Occupancy: 8
; WaveLimiterHint : 0
; COMPUTE_PGM_RSRC2:SCRATCH_EN: 0
; COMPUTE_PGM_RSRC2:USER_SGPR: 6
; COMPUTE_PGM_RSRC2:TRAP_HANDLER: 0
; COMPUTE_PGM_RSRC2:TGID_X_EN: 1
; COMPUTE_PGM_RSRC2:TGID_Y_EN: 0
; COMPUTE_PGM_RSRC2:TGID_Z_EN: 0
; COMPUTE_PGM_RSRC2:TIDIG_COMP_CNT: 0
; COMPUTE_PGM_RSRC3_GFX90A:ACCUM_OFFSET: 0
; COMPUTE_PGM_RSRC3_GFX90A:TG_SPLIT: 0
	.section	.text._ZN7rocprim17ROCPRIM_400000_NS6detail17trampoline_kernelINS0_14default_configENS1_35radix_sort_onesweep_config_selectorIxNS0_10empty_typeEEEZNS1_34radix_sort_onesweep_global_offsetsIS3_Lb1EPxPS5_mNS0_19identity_decomposerEEE10hipError_tT1_T2_PT3_SE_jT4_jjP12ihipStream_tbEUlT_E0_NS1_11comp_targetILNS1_3genE6ELNS1_11target_archE950ELNS1_3gpuE13ELNS1_3repE0EEENS1_52radix_sort_onesweep_histogram_config_static_selectorELNS0_4arch9wavefront6targetE1EEEvSC_,"axG",@progbits,_ZN7rocprim17ROCPRIM_400000_NS6detail17trampoline_kernelINS0_14default_configENS1_35radix_sort_onesweep_config_selectorIxNS0_10empty_typeEEEZNS1_34radix_sort_onesweep_global_offsetsIS3_Lb1EPxPS5_mNS0_19identity_decomposerEEE10hipError_tT1_T2_PT3_SE_jT4_jjP12ihipStream_tbEUlT_E0_NS1_11comp_targetILNS1_3genE6ELNS1_11target_archE950ELNS1_3gpuE13ELNS1_3repE0EEENS1_52radix_sort_onesweep_histogram_config_static_selectorELNS0_4arch9wavefront6targetE1EEEvSC_,comdat
	.protected	_ZN7rocprim17ROCPRIM_400000_NS6detail17trampoline_kernelINS0_14default_configENS1_35radix_sort_onesweep_config_selectorIxNS0_10empty_typeEEEZNS1_34radix_sort_onesweep_global_offsetsIS3_Lb1EPxPS5_mNS0_19identity_decomposerEEE10hipError_tT1_T2_PT3_SE_jT4_jjP12ihipStream_tbEUlT_E0_NS1_11comp_targetILNS1_3genE6ELNS1_11target_archE950ELNS1_3gpuE13ELNS1_3repE0EEENS1_52radix_sort_onesweep_histogram_config_static_selectorELNS0_4arch9wavefront6targetE1EEEvSC_ ; -- Begin function _ZN7rocprim17ROCPRIM_400000_NS6detail17trampoline_kernelINS0_14default_configENS1_35radix_sort_onesweep_config_selectorIxNS0_10empty_typeEEEZNS1_34radix_sort_onesweep_global_offsetsIS3_Lb1EPxPS5_mNS0_19identity_decomposerEEE10hipError_tT1_T2_PT3_SE_jT4_jjP12ihipStream_tbEUlT_E0_NS1_11comp_targetILNS1_3genE6ELNS1_11target_archE950ELNS1_3gpuE13ELNS1_3repE0EEENS1_52radix_sort_onesweep_histogram_config_static_selectorELNS0_4arch9wavefront6targetE1EEEvSC_
	.globl	_ZN7rocprim17ROCPRIM_400000_NS6detail17trampoline_kernelINS0_14default_configENS1_35radix_sort_onesweep_config_selectorIxNS0_10empty_typeEEEZNS1_34radix_sort_onesweep_global_offsetsIS3_Lb1EPxPS5_mNS0_19identity_decomposerEEE10hipError_tT1_T2_PT3_SE_jT4_jjP12ihipStream_tbEUlT_E0_NS1_11comp_targetILNS1_3genE6ELNS1_11target_archE950ELNS1_3gpuE13ELNS1_3repE0EEENS1_52radix_sort_onesweep_histogram_config_static_selectorELNS0_4arch9wavefront6targetE1EEEvSC_
	.p2align	8
	.type	_ZN7rocprim17ROCPRIM_400000_NS6detail17trampoline_kernelINS0_14default_configENS1_35radix_sort_onesweep_config_selectorIxNS0_10empty_typeEEEZNS1_34radix_sort_onesweep_global_offsetsIS3_Lb1EPxPS5_mNS0_19identity_decomposerEEE10hipError_tT1_T2_PT3_SE_jT4_jjP12ihipStream_tbEUlT_E0_NS1_11comp_targetILNS1_3genE6ELNS1_11target_archE950ELNS1_3gpuE13ELNS1_3repE0EEENS1_52radix_sort_onesweep_histogram_config_static_selectorELNS0_4arch9wavefront6targetE1EEEvSC_,@function
_ZN7rocprim17ROCPRIM_400000_NS6detail17trampoline_kernelINS0_14default_configENS1_35radix_sort_onesweep_config_selectorIxNS0_10empty_typeEEEZNS1_34radix_sort_onesweep_global_offsetsIS3_Lb1EPxPS5_mNS0_19identity_decomposerEEE10hipError_tT1_T2_PT3_SE_jT4_jjP12ihipStream_tbEUlT_E0_NS1_11comp_targetILNS1_3genE6ELNS1_11target_archE950ELNS1_3gpuE13ELNS1_3repE0EEENS1_52radix_sort_onesweep_histogram_config_static_selectorELNS0_4arch9wavefront6targetE1EEEvSC_: ; @_ZN7rocprim17ROCPRIM_400000_NS6detail17trampoline_kernelINS0_14default_configENS1_35radix_sort_onesweep_config_selectorIxNS0_10empty_typeEEEZNS1_34radix_sort_onesweep_global_offsetsIS3_Lb1EPxPS5_mNS0_19identity_decomposerEEE10hipError_tT1_T2_PT3_SE_jT4_jjP12ihipStream_tbEUlT_E0_NS1_11comp_targetILNS1_3genE6ELNS1_11target_archE950ELNS1_3gpuE13ELNS1_3repE0EEENS1_52radix_sort_onesweep_histogram_config_static_selectorELNS0_4arch9wavefront6targetE1EEEvSC_
; %bb.0:
	.section	.rodata,"a",@progbits
	.p2align	6, 0x0
	.amdhsa_kernel _ZN7rocprim17ROCPRIM_400000_NS6detail17trampoline_kernelINS0_14default_configENS1_35radix_sort_onesweep_config_selectorIxNS0_10empty_typeEEEZNS1_34radix_sort_onesweep_global_offsetsIS3_Lb1EPxPS5_mNS0_19identity_decomposerEEE10hipError_tT1_T2_PT3_SE_jT4_jjP12ihipStream_tbEUlT_E0_NS1_11comp_targetILNS1_3genE6ELNS1_11target_archE950ELNS1_3gpuE13ELNS1_3repE0EEENS1_52radix_sort_onesweep_histogram_config_static_selectorELNS0_4arch9wavefront6targetE1EEEvSC_
		.amdhsa_group_segment_fixed_size 0
		.amdhsa_private_segment_fixed_size 0
		.amdhsa_kernarg_size 8
		.amdhsa_user_sgpr_count 6
		.amdhsa_user_sgpr_private_segment_buffer 1
		.amdhsa_user_sgpr_dispatch_ptr 0
		.amdhsa_user_sgpr_queue_ptr 0
		.amdhsa_user_sgpr_kernarg_segment_ptr 1
		.amdhsa_user_sgpr_dispatch_id 0
		.amdhsa_user_sgpr_flat_scratch_init 0
		.amdhsa_user_sgpr_kernarg_preload_length 0
		.amdhsa_user_sgpr_kernarg_preload_offset 0
		.amdhsa_user_sgpr_private_segment_size 0
		.amdhsa_uses_dynamic_stack 0
		.amdhsa_system_sgpr_private_segment_wavefront_offset 0
		.amdhsa_system_sgpr_workgroup_id_x 1
		.amdhsa_system_sgpr_workgroup_id_y 0
		.amdhsa_system_sgpr_workgroup_id_z 0
		.amdhsa_system_sgpr_workgroup_info 0
		.amdhsa_system_vgpr_workitem_id 0
		.amdhsa_next_free_vgpr 1
		.amdhsa_next_free_sgpr 0
		.amdhsa_accum_offset 4
		.amdhsa_reserve_vcc 0
		.amdhsa_reserve_flat_scratch 0
		.amdhsa_float_round_mode_32 0
		.amdhsa_float_round_mode_16_64 0
		.amdhsa_float_denorm_mode_32 3
		.amdhsa_float_denorm_mode_16_64 3
		.amdhsa_dx10_clamp 1
		.amdhsa_ieee_mode 1
		.amdhsa_fp16_overflow 0
		.amdhsa_tg_split 0
		.amdhsa_exception_fp_ieee_invalid_op 0
		.amdhsa_exception_fp_denorm_src 0
		.amdhsa_exception_fp_ieee_div_zero 0
		.amdhsa_exception_fp_ieee_overflow 0
		.amdhsa_exception_fp_ieee_underflow 0
		.amdhsa_exception_fp_ieee_inexact 0
		.amdhsa_exception_int_div_zero 0
	.end_amdhsa_kernel
	.section	.text._ZN7rocprim17ROCPRIM_400000_NS6detail17trampoline_kernelINS0_14default_configENS1_35radix_sort_onesweep_config_selectorIxNS0_10empty_typeEEEZNS1_34radix_sort_onesweep_global_offsetsIS3_Lb1EPxPS5_mNS0_19identity_decomposerEEE10hipError_tT1_T2_PT3_SE_jT4_jjP12ihipStream_tbEUlT_E0_NS1_11comp_targetILNS1_3genE6ELNS1_11target_archE950ELNS1_3gpuE13ELNS1_3repE0EEENS1_52radix_sort_onesweep_histogram_config_static_selectorELNS0_4arch9wavefront6targetE1EEEvSC_,"axG",@progbits,_ZN7rocprim17ROCPRIM_400000_NS6detail17trampoline_kernelINS0_14default_configENS1_35radix_sort_onesweep_config_selectorIxNS0_10empty_typeEEEZNS1_34radix_sort_onesweep_global_offsetsIS3_Lb1EPxPS5_mNS0_19identity_decomposerEEE10hipError_tT1_T2_PT3_SE_jT4_jjP12ihipStream_tbEUlT_E0_NS1_11comp_targetILNS1_3genE6ELNS1_11target_archE950ELNS1_3gpuE13ELNS1_3repE0EEENS1_52radix_sort_onesweep_histogram_config_static_selectorELNS0_4arch9wavefront6targetE1EEEvSC_,comdat
.Lfunc_end2376:
	.size	_ZN7rocprim17ROCPRIM_400000_NS6detail17trampoline_kernelINS0_14default_configENS1_35radix_sort_onesweep_config_selectorIxNS0_10empty_typeEEEZNS1_34radix_sort_onesweep_global_offsetsIS3_Lb1EPxPS5_mNS0_19identity_decomposerEEE10hipError_tT1_T2_PT3_SE_jT4_jjP12ihipStream_tbEUlT_E0_NS1_11comp_targetILNS1_3genE6ELNS1_11target_archE950ELNS1_3gpuE13ELNS1_3repE0EEENS1_52radix_sort_onesweep_histogram_config_static_selectorELNS0_4arch9wavefront6targetE1EEEvSC_, .Lfunc_end2376-_ZN7rocprim17ROCPRIM_400000_NS6detail17trampoline_kernelINS0_14default_configENS1_35radix_sort_onesweep_config_selectorIxNS0_10empty_typeEEEZNS1_34radix_sort_onesweep_global_offsetsIS3_Lb1EPxPS5_mNS0_19identity_decomposerEEE10hipError_tT1_T2_PT3_SE_jT4_jjP12ihipStream_tbEUlT_E0_NS1_11comp_targetILNS1_3genE6ELNS1_11target_archE950ELNS1_3gpuE13ELNS1_3repE0EEENS1_52radix_sort_onesweep_histogram_config_static_selectorELNS0_4arch9wavefront6targetE1EEEvSC_
                                        ; -- End function
	.section	.AMDGPU.csdata,"",@progbits
; Kernel info:
; codeLenInByte = 0
; NumSgprs: 4
; NumVgprs: 0
; NumAgprs: 0
; TotalNumVgprs: 0
; ScratchSize: 0
; MemoryBound: 0
; FloatMode: 240
; IeeeMode: 1
; LDSByteSize: 0 bytes/workgroup (compile time only)
; SGPRBlocks: 0
; VGPRBlocks: 0
; NumSGPRsForWavesPerEU: 4
; NumVGPRsForWavesPerEU: 1
; AccumOffset: 4
; Occupancy: 8
; WaveLimiterHint : 0
; COMPUTE_PGM_RSRC2:SCRATCH_EN: 0
; COMPUTE_PGM_RSRC2:USER_SGPR: 6
; COMPUTE_PGM_RSRC2:TRAP_HANDLER: 0
; COMPUTE_PGM_RSRC2:TGID_X_EN: 1
; COMPUTE_PGM_RSRC2:TGID_Y_EN: 0
; COMPUTE_PGM_RSRC2:TGID_Z_EN: 0
; COMPUTE_PGM_RSRC2:TIDIG_COMP_CNT: 0
; COMPUTE_PGM_RSRC3_GFX90A:ACCUM_OFFSET: 0
; COMPUTE_PGM_RSRC3_GFX90A:TG_SPLIT: 0
	.section	.text._ZN7rocprim17ROCPRIM_400000_NS6detail17trampoline_kernelINS0_14default_configENS1_35radix_sort_onesweep_config_selectorIxNS0_10empty_typeEEEZNS1_34radix_sort_onesweep_global_offsetsIS3_Lb1EPxPS5_mNS0_19identity_decomposerEEE10hipError_tT1_T2_PT3_SE_jT4_jjP12ihipStream_tbEUlT_E0_NS1_11comp_targetILNS1_3genE5ELNS1_11target_archE942ELNS1_3gpuE9ELNS1_3repE0EEENS1_52radix_sort_onesweep_histogram_config_static_selectorELNS0_4arch9wavefront6targetE1EEEvSC_,"axG",@progbits,_ZN7rocprim17ROCPRIM_400000_NS6detail17trampoline_kernelINS0_14default_configENS1_35radix_sort_onesweep_config_selectorIxNS0_10empty_typeEEEZNS1_34radix_sort_onesweep_global_offsetsIS3_Lb1EPxPS5_mNS0_19identity_decomposerEEE10hipError_tT1_T2_PT3_SE_jT4_jjP12ihipStream_tbEUlT_E0_NS1_11comp_targetILNS1_3genE5ELNS1_11target_archE942ELNS1_3gpuE9ELNS1_3repE0EEENS1_52radix_sort_onesweep_histogram_config_static_selectorELNS0_4arch9wavefront6targetE1EEEvSC_,comdat
	.protected	_ZN7rocprim17ROCPRIM_400000_NS6detail17trampoline_kernelINS0_14default_configENS1_35radix_sort_onesweep_config_selectorIxNS0_10empty_typeEEEZNS1_34radix_sort_onesweep_global_offsetsIS3_Lb1EPxPS5_mNS0_19identity_decomposerEEE10hipError_tT1_T2_PT3_SE_jT4_jjP12ihipStream_tbEUlT_E0_NS1_11comp_targetILNS1_3genE5ELNS1_11target_archE942ELNS1_3gpuE9ELNS1_3repE0EEENS1_52radix_sort_onesweep_histogram_config_static_selectorELNS0_4arch9wavefront6targetE1EEEvSC_ ; -- Begin function _ZN7rocprim17ROCPRIM_400000_NS6detail17trampoline_kernelINS0_14default_configENS1_35radix_sort_onesweep_config_selectorIxNS0_10empty_typeEEEZNS1_34radix_sort_onesweep_global_offsetsIS3_Lb1EPxPS5_mNS0_19identity_decomposerEEE10hipError_tT1_T2_PT3_SE_jT4_jjP12ihipStream_tbEUlT_E0_NS1_11comp_targetILNS1_3genE5ELNS1_11target_archE942ELNS1_3gpuE9ELNS1_3repE0EEENS1_52radix_sort_onesweep_histogram_config_static_selectorELNS0_4arch9wavefront6targetE1EEEvSC_
	.globl	_ZN7rocprim17ROCPRIM_400000_NS6detail17trampoline_kernelINS0_14default_configENS1_35radix_sort_onesweep_config_selectorIxNS0_10empty_typeEEEZNS1_34radix_sort_onesweep_global_offsetsIS3_Lb1EPxPS5_mNS0_19identity_decomposerEEE10hipError_tT1_T2_PT3_SE_jT4_jjP12ihipStream_tbEUlT_E0_NS1_11comp_targetILNS1_3genE5ELNS1_11target_archE942ELNS1_3gpuE9ELNS1_3repE0EEENS1_52radix_sort_onesweep_histogram_config_static_selectorELNS0_4arch9wavefront6targetE1EEEvSC_
	.p2align	8
	.type	_ZN7rocprim17ROCPRIM_400000_NS6detail17trampoline_kernelINS0_14default_configENS1_35radix_sort_onesweep_config_selectorIxNS0_10empty_typeEEEZNS1_34radix_sort_onesweep_global_offsetsIS3_Lb1EPxPS5_mNS0_19identity_decomposerEEE10hipError_tT1_T2_PT3_SE_jT4_jjP12ihipStream_tbEUlT_E0_NS1_11comp_targetILNS1_3genE5ELNS1_11target_archE942ELNS1_3gpuE9ELNS1_3repE0EEENS1_52radix_sort_onesweep_histogram_config_static_selectorELNS0_4arch9wavefront6targetE1EEEvSC_,@function
_ZN7rocprim17ROCPRIM_400000_NS6detail17trampoline_kernelINS0_14default_configENS1_35radix_sort_onesweep_config_selectorIxNS0_10empty_typeEEEZNS1_34radix_sort_onesweep_global_offsetsIS3_Lb1EPxPS5_mNS0_19identity_decomposerEEE10hipError_tT1_T2_PT3_SE_jT4_jjP12ihipStream_tbEUlT_E0_NS1_11comp_targetILNS1_3genE5ELNS1_11target_archE942ELNS1_3gpuE9ELNS1_3repE0EEENS1_52radix_sort_onesweep_histogram_config_static_selectorELNS0_4arch9wavefront6targetE1EEEvSC_: ; @_ZN7rocprim17ROCPRIM_400000_NS6detail17trampoline_kernelINS0_14default_configENS1_35radix_sort_onesweep_config_selectorIxNS0_10empty_typeEEEZNS1_34radix_sort_onesweep_global_offsetsIS3_Lb1EPxPS5_mNS0_19identity_decomposerEEE10hipError_tT1_T2_PT3_SE_jT4_jjP12ihipStream_tbEUlT_E0_NS1_11comp_targetILNS1_3genE5ELNS1_11target_archE942ELNS1_3gpuE9ELNS1_3repE0EEENS1_52radix_sort_onesweep_histogram_config_static_selectorELNS0_4arch9wavefront6targetE1EEEvSC_
; %bb.0:
	.section	.rodata,"a",@progbits
	.p2align	6, 0x0
	.amdhsa_kernel _ZN7rocprim17ROCPRIM_400000_NS6detail17trampoline_kernelINS0_14default_configENS1_35radix_sort_onesweep_config_selectorIxNS0_10empty_typeEEEZNS1_34radix_sort_onesweep_global_offsetsIS3_Lb1EPxPS5_mNS0_19identity_decomposerEEE10hipError_tT1_T2_PT3_SE_jT4_jjP12ihipStream_tbEUlT_E0_NS1_11comp_targetILNS1_3genE5ELNS1_11target_archE942ELNS1_3gpuE9ELNS1_3repE0EEENS1_52radix_sort_onesweep_histogram_config_static_selectorELNS0_4arch9wavefront6targetE1EEEvSC_
		.amdhsa_group_segment_fixed_size 0
		.amdhsa_private_segment_fixed_size 0
		.amdhsa_kernarg_size 8
		.amdhsa_user_sgpr_count 6
		.amdhsa_user_sgpr_private_segment_buffer 1
		.amdhsa_user_sgpr_dispatch_ptr 0
		.amdhsa_user_sgpr_queue_ptr 0
		.amdhsa_user_sgpr_kernarg_segment_ptr 1
		.amdhsa_user_sgpr_dispatch_id 0
		.amdhsa_user_sgpr_flat_scratch_init 0
		.amdhsa_user_sgpr_kernarg_preload_length 0
		.amdhsa_user_sgpr_kernarg_preload_offset 0
		.amdhsa_user_sgpr_private_segment_size 0
		.amdhsa_uses_dynamic_stack 0
		.amdhsa_system_sgpr_private_segment_wavefront_offset 0
		.amdhsa_system_sgpr_workgroup_id_x 1
		.amdhsa_system_sgpr_workgroup_id_y 0
		.amdhsa_system_sgpr_workgroup_id_z 0
		.amdhsa_system_sgpr_workgroup_info 0
		.amdhsa_system_vgpr_workitem_id 0
		.amdhsa_next_free_vgpr 1
		.amdhsa_next_free_sgpr 0
		.amdhsa_accum_offset 4
		.amdhsa_reserve_vcc 0
		.amdhsa_reserve_flat_scratch 0
		.amdhsa_float_round_mode_32 0
		.amdhsa_float_round_mode_16_64 0
		.amdhsa_float_denorm_mode_32 3
		.amdhsa_float_denorm_mode_16_64 3
		.amdhsa_dx10_clamp 1
		.amdhsa_ieee_mode 1
		.amdhsa_fp16_overflow 0
		.amdhsa_tg_split 0
		.amdhsa_exception_fp_ieee_invalid_op 0
		.amdhsa_exception_fp_denorm_src 0
		.amdhsa_exception_fp_ieee_div_zero 0
		.amdhsa_exception_fp_ieee_overflow 0
		.amdhsa_exception_fp_ieee_underflow 0
		.amdhsa_exception_fp_ieee_inexact 0
		.amdhsa_exception_int_div_zero 0
	.end_amdhsa_kernel
	.section	.text._ZN7rocprim17ROCPRIM_400000_NS6detail17trampoline_kernelINS0_14default_configENS1_35radix_sort_onesweep_config_selectorIxNS0_10empty_typeEEEZNS1_34radix_sort_onesweep_global_offsetsIS3_Lb1EPxPS5_mNS0_19identity_decomposerEEE10hipError_tT1_T2_PT3_SE_jT4_jjP12ihipStream_tbEUlT_E0_NS1_11comp_targetILNS1_3genE5ELNS1_11target_archE942ELNS1_3gpuE9ELNS1_3repE0EEENS1_52radix_sort_onesweep_histogram_config_static_selectorELNS0_4arch9wavefront6targetE1EEEvSC_,"axG",@progbits,_ZN7rocprim17ROCPRIM_400000_NS6detail17trampoline_kernelINS0_14default_configENS1_35radix_sort_onesweep_config_selectorIxNS0_10empty_typeEEEZNS1_34radix_sort_onesweep_global_offsetsIS3_Lb1EPxPS5_mNS0_19identity_decomposerEEE10hipError_tT1_T2_PT3_SE_jT4_jjP12ihipStream_tbEUlT_E0_NS1_11comp_targetILNS1_3genE5ELNS1_11target_archE942ELNS1_3gpuE9ELNS1_3repE0EEENS1_52radix_sort_onesweep_histogram_config_static_selectorELNS0_4arch9wavefront6targetE1EEEvSC_,comdat
.Lfunc_end2377:
	.size	_ZN7rocprim17ROCPRIM_400000_NS6detail17trampoline_kernelINS0_14default_configENS1_35radix_sort_onesweep_config_selectorIxNS0_10empty_typeEEEZNS1_34radix_sort_onesweep_global_offsetsIS3_Lb1EPxPS5_mNS0_19identity_decomposerEEE10hipError_tT1_T2_PT3_SE_jT4_jjP12ihipStream_tbEUlT_E0_NS1_11comp_targetILNS1_3genE5ELNS1_11target_archE942ELNS1_3gpuE9ELNS1_3repE0EEENS1_52radix_sort_onesweep_histogram_config_static_selectorELNS0_4arch9wavefront6targetE1EEEvSC_, .Lfunc_end2377-_ZN7rocprim17ROCPRIM_400000_NS6detail17trampoline_kernelINS0_14default_configENS1_35radix_sort_onesweep_config_selectorIxNS0_10empty_typeEEEZNS1_34radix_sort_onesweep_global_offsetsIS3_Lb1EPxPS5_mNS0_19identity_decomposerEEE10hipError_tT1_T2_PT3_SE_jT4_jjP12ihipStream_tbEUlT_E0_NS1_11comp_targetILNS1_3genE5ELNS1_11target_archE942ELNS1_3gpuE9ELNS1_3repE0EEENS1_52radix_sort_onesweep_histogram_config_static_selectorELNS0_4arch9wavefront6targetE1EEEvSC_
                                        ; -- End function
	.section	.AMDGPU.csdata,"",@progbits
; Kernel info:
; codeLenInByte = 0
; NumSgprs: 4
; NumVgprs: 0
; NumAgprs: 0
; TotalNumVgprs: 0
; ScratchSize: 0
; MemoryBound: 0
; FloatMode: 240
; IeeeMode: 1
; LDSByteSize: 0 bytes/workgroup (compile time only)
; SGPRBlocks: 0
; VGPRBlocks: 0
; NumSGPRsForWavesPerEU: 4
; NumVGPRsForWavesPerEU: 1
; AccumOffset: 4
; Occupancy: 8
; WaveLimiterHint : 0
; COMPUTE_PGM_RSRC2:SCRATCH_EN: 0
; COMPUTE_PGM_RSRC2:USER_SGPR: 6
; COMPUTE_PGM_RSRC2:TRAP_HANDLER: 0
; COMPUTE_PGM_RSRC2:TGID_X_EN: 1
; COMPUTE_PGM_RSRC2:TGID_Y_EN: 0
; COMPUTE_PGM_RSRC2:TGID_Z_EN: 0
; COMPUTE_PGM_RSRC2:TIDIG_COMP_CNT: 0
; COMPUTE_PGM_RSRC3_GFX90A:ACCUM_OFFSET: 0
; COMPUTE_PGM_RSRC3_GFX90A:TG_SPLIT: 0
	.section	.text._ZN7rocprim17ROCPRIM_400000_NS6detail17trampoline_kernelINS0_14default_configENS1_35radix_sort_onesweep_config_selectorIxNS0_10empty_typeEEEZNS1_34radix_sort_onesweep_global_offsetsIS3_Lb1EPxPS5_mNS0_19identity_decomposerEEE10hipError_tT1_T2_PT3_SE_jT4_jjP12ihipStream_tbEUlT_E0_NS1_11comp_targetILNS1_3genE2ELNS1_11target_archE906ELNS1_3gpuE6ELNS1_3repE0EEENS1_52radix_sort_onesweep_histogram_config_static_selectorELNS0_4arch9wavefront6targetE1EEEvSC_,"axG",@progbits,_ZN7rocprim17ROCPRIM_400000_NS6detail17trampoline_kernelINS0_14default_configENS1_35radix_sort_onesweep_config_selectorIxNS0_10empty_typeEEEZNS1_34radix_sort_onesweep_global_offsetsIS3_Lb1EPxPS5_mNS0_19identity_decomposerEEE10hipError_tT1_T2_PT3_SE_jT4_jjP12ihipStream_tbEUlT_E0_NS1_11comp_targetILNS1_3genE2ELNS1_11target_archE906ELNS1_3gpuE6ELNS1_3repE0EEENS1_52radix_sort_onesweep_histogram_config_static_selectorELNS0_4arch9wavefront6targetE1EEEvSC_,comdat
	.protected	_ZN7rocprim17ROCPRIM_400000_NS6detail17trampoline_kernelINS0_14default_configENS1_35radix_sort_onesweep_config_selectorIxNS0_10empty_typeEEEZNS1_34radix_sort_onesweep_global_offsetsIS3_Lb1EPxPS5_mNS0_19identity_decomposerEEE10hipError_tT1_T2_PT3_SE_jT4_jjP12ihipStream_tbEUlT_E0_NS1_11comp_targetILNS1_3genE2ELNS1_11target_archE906ELNS1_3gpuE6ELNS1_3repE0EEENS1_52radix_sort_onesweep_histogram_config_static_selectorELNS0_4arch9wavefront6targetE1EEEvSC_ ; -- Begin function _ZN7rocprim17ROCPRIM_400000_NS6detail17trampoline_kernelINS0_14default_configENS1_35radix_sort_onesweep_config_selectorIxNS0_10empty_typeEEEZNS1_34radix_sort_onesweep_global_offsetsIS3_Lb1EPxPS5_mNS0_19identity_decomposerEEE10hipError_tT1_T2_PT3_SE_jT4_jjP12ihipStream_tbEUlT_E0_NS1_11comp_targetILNS1_3genE2ELNS1_11target_archE906ELNS1_3gpuE6ELNS1_3repE0EEENS1_52radix_sort_onesweep_histogram_config_static_selectorELNS0_4arch9wavefront6targetE1EEEvSC_
	.globl	_ZN7rocprim17ROCPRIM_400000_NS6detail17trampoline_kernelINS0_14default_configENS1_35radix_sort_onesweep_config_selectorIxNS0_10empty_typeEEEZNS1_34radix_sort_onesweep_global_offsetsIS3_Lb1EPxPS5_mNS0_19identity_decomposerEEE10hipError_tT1_T2_PT3_SE_jT4_jjP12ihipStream_tbEUlT_E0_NS1_11comp_targetILNS1_3genE2ELNS1_11target_archE906ELNS1_3gpuE6ELNS1_3repE0EEENS1_52radix_sort_onesweep_histogram_config_static_selectorELNS0_4arch9wavefront6targetE1EEEvSC_
	.p2align	8
	.type	_ZN7rocprim17ROCPRIM_400000_NS6detail17trampoline_kernelINS0_14default_configENS1_35radix_sort_onesweep_config_selectorIxNS0_10empty_typeEEEZNS1_34radix_sort_onesweep_global_offsetsIS3_Lb1EPxPS5_mNS0_19identity_decomposerEEE10hipError_tT1_T2_PT3_SE_jT4_jjP12ihipStream_tbEUlT_E0_NS1_11comp_targetILNS1_3genE2ELNS1_11target_archE906ELNS1_3gpuE6ELNS1_3repE0EEENS1_52radix_sort_onesweep_histogram_config_static_selectorELNS0_4arch9wavefront6targetE1EEEvSC_,@function
_ZN7rocprim17ROCPRIM_400000_NS6detail17trampoline_kernelINS0_14default_configENS1_35radix_sort_onesweep_config_selectorIxNS0_10empty_typeEEEZNS1_34radix_sort_onesweep_global_offsetsIS3_Lb1EPxPS5_mNS0_19identity_decomposerEEE10hipError_tT1_T2_PT3_SE_jT4_jjP12ihipStream_tbEUlT_E0_NS1_11comp_targetILNS1_3genE2ELNS1_11target_archE906ELNS1_3gpuE6ELNS1_3repE0EEENS1_52radix_sort_onesweep_histogram_config_static_selectorELNS0_4arch9wavefront6targetE1EEEvSC_: ; @_ZN7rocprim17ROCPRIM_400000_NS6detail17trampoline_kernelINS0_14default_configENS1_35radix_sort_onesweep_config_selectorIxNS0_10empty_typeEEEZNS1_34radix_sort_onesweep_global_offsetsIS3_Lb1EPxPS5_mNS0_19identity_decomposerEEE10hipError_tT1_T2_PT3_SE_jT4_jjP12ihipStream_tbEUlT_E0_NS1_11comp_targetILNS1_3genE2ELNS1_11target_archE906ELNS1_3gpuE6ELNS1_3repE0EEENS1_52radix_sort_onesweep_histogram_config_static_selectorELNS0_4arch9wavefront6targetE1EEEvSC_
; %bb.0:
	.section	.rodata,"a",@progbits
	.p2align	6, 0x0
	.amdhsa_kernel _ZN7rocprim17ROCPRIM_400000_NS6detail17trampoline_kernelINS0_14default_configENS1_35radix_sort_onesweep_config_selectorIxNS0_10empty_typeEEEZNS1_34radix_sort_onesweep_global_offsetsIS3_Lb1EPxPS5_mNS0_19identity_decomposerEEE10hipError_tT1_T2_PT3_SE_jT4_jjP12ihipStream_tbEUlT_E0_NS1_11comp_targetILNS1_3genE2ELNS1_11target_archE906ELNS1_3gpuE6ELNS1_3repE0EEENS1_52radix_sort_onesweep_histogram_config_static_selectorELNS0_4arch9wavefront6targetE1EEEvSC_
		.amdhsa_group_segment_fixed_size 0
		.amdhsa_private_segment_fixed_size 0
		.amdhsa_kernarg_size 8
		.amdhsa_user_sgpr_count 6
		.amdhsa_user_sgpr_private_segment_buffer 1
		.amdhsa_user_sgpr_dispatch_ptr 0
		.amdhsa_user_sgpr_queue_ptr 0
		.amdhsa_user_sgpr_kernarg_segment_ptr 1
		.amdhsa_user_sgpr_dispatch_id 0
		.amdhsa_user_sgpr_flat_scratch_init 0
		.amdhsa_user_sgpr_kernarg_preload_length 0
		.amdhsa_user_sgpr_kernarg_preload_offset 0
		.amdhsa_user_sgpr_private_segment_size 0
		.amdhsa_uses_dynamic_stack 0
		.amdhsa_system_sgpr_private_segment_wavefront_offset 0
		.amdhsa_system_sgpr_workgroup_id_x 1
		.amdhsa_system_sgpr_workgroup_id_y 0
		.amdhsa_system_sgpr_workgroup_id_z 0
		.amdhsa_system_sgpr_workgroup_info 0
		.amdhsa_system_vgpr_workitem_id 0
		.amdhsa_next_free_vgpr 1
		.amdhsa_next_free_sgpr 0
		.amdhsa_accum_offset 4
		.amdhsa_reserve_vcc 0
		.amdhsa_reserve_flat_scratch 0
		.amdhsa_float_round_mode_32 0
		.amdhsa_float_round_mode_16_64 0
		.amdhsa_float_denorm_mode_32 3
		.amdhsa_float_denorm_mode_16_64 3
		.amdhsa_dx10_clamp 1
		.amdhsa_ieee_mode 1
		.amdhsa_fp16_overflow 0
		.amdhsa_tg_split 0
		.amdhsa_exception_fp_ieee_invalid_op 0
		.amdhsa_exception_fp_denorm_src 0
		.amdhsa_exception_fp_ieee_div_zero 0
		.amdhsa_exception_fp_ieee_overflow 0
		.amdhsa_exception_fp_ieee_underflow 0
		.amdhsa_exception_fp_ieee_inexact 0
		.amdhsa_exception_int_div_zero 0
	.end_amdhsa_kernel
	.section	.text._ZN7rocprim17ROCPRIM_400000_NS6detail17trampoline_kernelINS0_14default_configENS1_35radix_sort_onesweep_config_selectorIxNS0_10empty_typeEEEZNS1_34radix_sort_onesweep_global_offsetsIS3_Lb1EPxPS5_mNS0_19identity_decomposerEEE10hipError_tT1_T2_PT3_SE_jT4_jjP12ihipStream_tbEUlT_E0_NS1_11comp_targetILNS1_3genE2ELNS1_11target_archE906ELNS1_3gpuE6ELNS1_3repE0EEENS1_52radix_sort_onesweep_histogram_config_static_selectorELNS0_4arch9wavefront6targetE1EEEvSC_,"axG",@progbits,_ZN7rocprim17ROCPRIM_400000_NS6detail17trampoline_kernelINS0_14default_configENS1_35radix_sort_onesweep_config_selectorIxNS0_10empty_typeEEEZNS1_34radix_sort_onesweep_global_offsetsIS3_Lb1EPxPS5_mNS0_19identity_decomposerEEE10hipError_tT1_T2_PT3_SE_jT4_jjP12ihipStream_tbEUlT_E0_NS1_11comp_targetILNS1_3genE2ELNS1_11target_archE906ELNS1_3gpuE6ELNS1_3repE0EEENS1_52radix_sort_onesweep_histogram_config_static_selectorELNS0_4arch9wavefront6targetE1EEEvSC_,comdat
.Lfunc_end2378:
	.size	_ZN7rocprim17ROCPRIM_400000_NS6detail17trampoline_kernelINS0_14default_configENS1_35radix_sort_onesweep_config_selectorIxNS0_10empty_typeEEEZNS1_34radix_sort_onesweep_global_offsetsIS3_Lb1EPxPS5_mNS0_19identity_decomposerEEE10hipError_tT1_T2_PT3_SE_jT4_jjP12ihipStream_tbEUlT_E0_NS1_11comp_targetILNS1_3genE2ELNS1_11target_archE906ELNS1_3gpuE6ELNS1_3repE0EEENS1_52radix_sort_onesweep_histogram_config_static_selectorELNS0_4arch9wavefront6targetE1EEEvSC_, .Lfunc_end2378-_ZN7rocprim17ROCPRIM_400000_NS6detail17trampoline_kernelINS0_14default_configENS1_35radix_sort_onesweep_config_selectorIxNS0_10empty_typeEEEZNS1_34radix_sort_onesweep_global_offsetsIS3_Lb1EPxPS5_mNS0_19identity_decomposerEEE10hipError_tT1_T2_PT3_SE_jT4_jjP12ihipStream_tbEUlT_E0_NS1_11comp_targetILNS1_3genE2ELNS1_11target_archE906ELNS1_3gpuE6ELNS1_3repE0EEENS1_52radix_sort_onesweep_histogram_config_static_selectorELNS0_4arch9wavefront6targetE1EEEvSC_
                                        ; -- End function
	.section	.AMDGPU.csdata,"",@progbits
; Kernel info:
; codeLenInByte = 0
; NumSgprs: 4
; NumVgprs: 0
; NumAgprs: 0
; TotalNumVgprs: 0
; ScratchSize: 0
; MemoryBound: 0
; FloatMode: 240
; IeeeMode: 1
; LDSByteSize: 0 bytes/workgroup (compile time only)
; SGPRBlocks: 0
; VGPRBlocks: 0
; NumSGPRsForWavesPerEU: 4
; NumVGPRsForWavesPerEU: 1
; AccumOffset: 4
; Occupancy: 8
; WaveLimiterHint : 0
; COMPUTE_PGM_RSRC2:SCRATCH_EN: 0
; COMPUTE_PGM_RSRC2:USER_SGPR: 6
; COMPUTE_PGM_RSRC2:TRAP_HANDLER: 0
; COMPUTE_PGM_RSRC2:TGID_X_EN: 1
; COMPUTE_PGM_RSRC2:TGID_Y_EN: 0
; COMPUTE_PGM_RSRC2:TGID_Z_EN: 0
; COMPUTE_PGM_RSRC2:TIDIG_COMP_CNT: 0
; COMPUTE_PGM_RSRC3_GFX90A:ACCUM_OFFSET: 0
; COMPUTE_PGM_RSRC3_GFX90A:TG_SPLIT: 0
	.section	.text._ZN7rocprim17ROCPRIM_400000_NS6detail17trampoline_kernelINS0_14default_configENS1_35radix_sort_onesweep_config_selectorIxNS0_10empty_typeEEEZNS1_34radix_sort_onesweep_global_offsetsIS3_Lb1EPxPS5_mNS0_19identity_decomposerEEE10hipError_tT1_T2_PT3_SE_jT4_jjP12ihipStream_tbEUlT_E0_NS1_11comp_targetILNS1_3genE4ELNS1_11target_archE910ELNS1_3gpuE8ELNS1_3repE0EEENS1_52radix_sort_onesweep_histogram_config_static_selectorELNS0_4arch9wavefront6targetE1EEEvSC_,"axG",@progbits,_ZN7rocprim17ROCPRIM_400000_NS6detail17trampoline_kernelINS0_14default_configENS1_35radix_sort_onesweep_config_selectorIxNS0_10empty_typeEEEZNS1_34radix_sort_onesweep_global_offsetsIS3_Lb1EPxPS5_mNS0_19identity_decomposerEEE10hipError_tT1_T2_PT3_SE_jT4_jjP12ihipStream_tbEUlT_E0_NS1_11comp_targetILNS1_3genE4ELNS1_11target_archE910ELNS1_3gpuE8ELNS1_3repE0EEENS1_52radix_sort_onesweep_histogram_config_static_selectorELNS0_4arch9wavefront6targetE1EEEvSC_,comdat
	.protected	_ZN7rocprim17ROCPRIM_400000_NS6detail17trampoline_kernelINS0_14default_configENS1_35radix_sort_onesweep_config_selectorIxNS0_10empty_typeEEEZNS1_34radix_sort_onesweep_global_offsetsIS3_Lb1EPxPS5_mNS0_19identity_decomposerEEE10hipError_tT1_T2_PT3_SE_jT4_jjP12ihipStream_tbEUlT_E0_NS1_11comp_targetILNS1_3genE4ELNS1_11target_archE910ELNS1_3gpuE8ELNS1_3repE0EEENS1_52radix_sort_onesweep_histogram_config_static_selectorELNS0_4arch9wavefront6targetE1EEEvSC_ ; -- Begin function _ZN7rocprim17ROCPRIM_400000_NS6detail17trampoline_kernelINS0_14default_configENS1_35radix_sort_onesweep_config_selectorIxNS0_10empty_typeEEEZNS1_34radix_sort_onesweep_global_offsetsIS3_Lb1EPxPS5_mNS0_19identity_decomposerEEE10hipError_tT1_T2_PT3_SE_jT4_jjP12ihipStream_tbEUlT_E0_NS1_11comp_targetILNS1_3genE4ELNS1_11target_archE910ELNS1_3gpuE8ELNS1_3repE0EEENS1_52radix_sort_onesweep_histogram_config_static_selectorELNS0_4arch9wavefront6targetE1EEEvSC_
	.globl	_ZN7rocprim17ROCPRIM_400000_NS6detail17trampoline_kernelINS0_14default_configENS1_35radix_sort_onesweep_config_selectorIxNS0_10empty_typeEEEZNS1_34radix_sort_onesweep_global_offsetsIS3_Lb1EPxPS5_mNS0_19identity_decomposerEEE10hipError_tT1_T2_PT3_SE_jT4_jjP12ihipStream_tbEUlT_E0_NS1_11comp_targetILNS1_3genE4ELNS1_11target_archE910ELNS1_3gpuE8ELNS1_3repE0EEENS1_52radix_sort_onesweep_histogram_config_static_selectorELNS0_4arch9wavefront6targetE1EEEvSC_
	.p2align	8
	.type	_ZN7rocprim17ROCPRIM_400000_NS6detail17trampoline_kernelINS0_14default_configENS1_35radix_sort_onesweep_config_selectorIxNS0_10empty_typeEEEZNS1_34radix_sort_onesweep_global_offsetsIS3_Lb1EPxPS5_mNS0_19identity_decomposerEEE10hipError_tT1_T2_PT3_SE_jT4_jjP12ihipStream_tbEUlT_E0_NS1_11comp_targetILNS1_3genE4ELNS1_11target_archE910ELNS1_3gpuE8ELNS1_3repE0EEENS1_52radix_sort_onesweep_histogram_config_static_selectorELNS0_4arch9wavefront6targetE1EEEvSC_,@function
_ZN7rocprim17ROCPRIM_400000_NS6detail17trampoline_kernelINS0_14default_configENS1_35radix_sort_onesweep_config_selectorIxNS0_10empty_typeEEEZNS1_34radix_sort_onesweep_global_offsetsIS3_Lb1EPxPS5_mNS0_19identity_decomposerEEE10hipError_tT1_T2_PT3_SE_jT4_jjP12ihipStream_tbEUlT_E0_NS1_11comp_targetILNS1_3genE4ELNS1_11target_archE910ELNS1_3gpuE8ELNS1_3repE0EEENS1_52radix_sort_onesweep_histogram_config_static_selectorELNS0_4arch9wavefront6targetE1EEEvSC_: ; @_ZN7rocprim17ROCPRIM_400000_NS6detail17trampoline_kernelINS0_14default_configENS1_35radix_sort_onesweep_config_selectorIxNS0_10empty_typeEEEZNS1_34radix_sort_onesweep_global_offsetsIS3_Lb1EPxPS5_mNS0_19identity_decomposerEEE10hipError_tT1_T2_PT3_SE_jT4_jjP12ihipStream_tbEUlT_E0_NS1_11comp_targetILNS1_3genE4ELNS1_11target_archE910ELNS1_3gpuE8ELNS1_3repE0EEENS1_52radix_sort_onesweep_histogram_config_static_selectorELNS0_4arch9wavefront6targetE1EEEvSC_
; %bb.0:
	s_load_dwordx2 s[0:1], s[4:5], 0x0
	s_lshl_b32 s2, s6, 8
	s_mov_b32 s3, 0
	s_lshl_b64 s[2:3], s[2:3], 3
	v_lshlrev_b32_e32 v5, 3, v0
	s_waitcnt lgkmcnt(0)
	s_add_u32 s14, s0, s2
	s_movk_i32 s0, 0x100
	s_addc_u32 s15, s1, s3
	v_cmp_gt_u32_e32 vcc, s0, v0
                                        ; implicit-def: $vgpr2_vgpr3
	s_and_saveexec_b64 s[0:1], vcc
	s_cbranch_execz .LBB2379_2
; %bb.1:
	global_load_dwordx2 v[2:3], v5, s[14:15]
.LBB2379_2:
	s_or_b64 exec, exec, s[0:1]
	s_waitcnt vmcnt(0)
	v_mov_b32_dpp v4, v2 row_shr:1 row_mask:0xf bank_mask:0xf
	v_add_co_u32_e64 v4, s[0:1], v2, v4
	v_mbcnt_lo_u32_b32 v1, -1, 0
	v_addc_co_u32_e64 v8, s[0:1], 0, v3, s[0:1]
	v_mbcnt_hi_u32_b32 v6, -1, v1
	v_mov_b32_dpp v7, v3 row_shr:1 row_mask:0xf bank_mask:0xf
	v_add_co_u32_e64 v9, s[0:1], 0, v4
	v_and_b32_e32 v1, 15, v6
	v_addc_co_u32_e64 v7, s[0:1], v7, v8, s[0:1]
	v_cmp_eq_u32_e64 s[0:1], 0, v1
	v_cndmask_b32_e64 v4, v4, v2, s[0:1]
	v_cndmask_b32_e64 v7, v7, v3, s[0:1]
	v_cndmask_b32_e64 v8, v9, v2, s[0:1]
	v_mov_b32_dpp v9, v4 row_shr:2 row_mask:0xf bank_mask:0xf
	v_mov_b32_dpp v10, v7 row_shr:2 row_mask:0xf bank_mask:0xf
	v_add_co_u32_e64 v9, s[2:3], v9, v8
	v_cmp_lt_u32_e64 s[4:5], 1, v1
	v_addc_co_u32_e64 v10, s[2:3], v10, v7, s[2:3]
	v_cndmask_b32_e64 v4, v4, v9, s[4:5]
	v_cndmask_b32_e64 v7, v7, v10, s[4:5]
	v_cndmask_b32_e64 v8, v8, v9, s[4:5]
	v_mov_b32_dpp v9, v4 row_shr:4 row_mask:0xf bank_mask:0xf
	v_mov_b32_dpp v10, v7 row_shr:4 row_mask:0xf bank_mask:0xf
	v_add_co_u32_e64 v9, s[2:3], v9, v8
	v_cmp_lt_u32_e64 s[6:7], 3, v1
	v_addc_co_u32_e64 v10, s[2:3], v10, v7, s[2:3]
	v_cndmask_b32_e64 v4, v4, v9, s[6:7]
	v_cndmask_b32_e64 v7, v7, v10, s[6:7]
	v_cndmask_b32_e64 v8, v8, v9, s[6:7]
	v_mov_b32_dpp v9, v4 row_shr:8 row_mask:0xf bank_mask:0xf
	v_mov_b32_dpp v10, v7 row_shr:8 row_mask:0xf bank_mask:0xf
	v_add_co_u32_e64 v9, s[2:3], v9, v8
	v_cmp_lt_u32_e64 s[8:9], 7, v1
	v_addc_co_u32_e64 v10, s[2:3], v10, v7, s[2:3]
	v_cndmask_b32_e64 v11, v4, v9, s[8:9]
	v_cndmask_b32_e64 v1, v7, v10, s[8:9]
	;; [unrolled: 1-line block ×3, first 2 shown]
	v_mov_b32_dpp v7, v11 row_bcast:15 row_mask:0xf bank_mask:0xf
	v_mov_b32_dpp v8, v1 row_bcast:15 row_mask:0xf bank_mask:0xf
	v_and_b32_e32 v10, 16, v6
	v_add_co_u32_e64 v7, s[2:3], v7, v4
	v_addc_co_u32_e64 v9, s[2:3], v8, v1, s[2:3]
	v_cmp_eq_u32_e64 s[10:11], 0, v10
	v_cndmask_b32_e64 v10, v9, v1, s[10:11]
	v_cndmask_b32_e64 v8, v7, v11, s[10:11]
	v_cmp_eq_u32_e64 s[2:3], 0, v6
	v_mov_b32_dpp v10, v10 row_bcast:31 row_mask:0xf bank_mask:0xf
	v_mov_b32_dpp v8, v8 row_bcast:31 row_mask:0xf bank_mask:0xf
	v_cmp_ne_u32_e64 s[12:13], 0, v6
	s_and_saveexec_b64 s[16:17], s[12:13]
; %bb.3:
	v_cndmask_b32_e64 v1, v9, v1, s[10:11]
	v_cndmask_b32_e64 v2, v7, v4, s[10:11]
	v_cmp_lt_u32_e64 s[10:11], 31, v6
	v_cndmask_b32_e64 v4, 0, v8, s[10:11]
	v_cndmask_b32_e64 v3, 0, v10, s[10:11]
	v_add_co_u32_e64 v2, s[10:11], v4, v2
	v_addc_co_u32_e64 v3, s[10:11], v3, v1, s[10:11]
; %bb.4:
	s_or_b64 exec, exec, s[16:17]
	v_and_b32_e32 v1, 63, v0
	v_lshrrev_b32_e32 v4, 6, v0
	v_cmp_eq_u32_e64 s[10:11], 63, v1
	s_and_saveexec_b64 s[12:13], s[10:11]
	s_cbranch_execz .LBB2379_6
; %bb.5:
	v_lshlrev_b32_e32 v1, 3, v4
	ds_write_b64 v1, v[2:3]
.LBB2379_6:
	s_or_b64 exec, exec, s[12:13]
	v_cmp_gt_u32_e64 s[10:11], 16, v0
	s_waitcnt lgkmcnt(0)
	s_barrier
	s_and_saveexec_b64 s[12:13], s[10:11]
	s_cbranch_execz .LBB2379_8
; %bb.7:
	ds_read_b64 v[8:9], v5
	s_waitcnt lgkmcnt(0)
	s_nop 0
	v_mov_b32_dpp v1, v8 row_shr:1 row_mask:0xf bank_mask:0xf
	v_add_co_u32_e64 v1, s[10:11], v8, v1
	v_addc_co_u32_e64 v10, s[10:11], 0, v9, s[10:11]
	v_mov_b32_dpp v7, v9 row_shr:1 row_mask:0xf bank_mask:0xf
	v_add_co_u32_e64 v11, s[10:11], 0, v1
	v_addc_co_u32_e64 v7, s[10:11], v7, v10, s[10:11]
	v_cndmask_b32_e64 v1, v1, v8, s[0:1]
	v_cndmask_b32_e64 v7, v7, v9, s[0:1]
	v_cndmask_b32_e64 v10, v11, v8, s[0:1]
	v_mov_b32_dpp v11, v1 row_shr:2 row_mask:0xf bank_mask:0xf
	v_mov_b32_dpp v12, v7 row_shr:2 row_mask:0xf bank_mask:0xf
	v_add_co_u32_e64 v11, s[10:11], v11, v10
	v_addc_co_u32_e64 v12, s[10:11], v12, v7, s[10:11]
	v_cndmask_b32_e64 v1, v1, v11, s[4:5]
	v_cndmask_b32_e64 v7, v7, v12, s[4:5]
	v_cndmask_b32_e64 v10, v10, v11, s[4:5]
	v_mov_b32_dpp v11, v1 row_shr:4 row_mask:0xf bank_mask:0xf
	;; [unrolled: 7-line block ×3, first 2 shown]
	v_mov_b32_dpp v12, v7 row_shr:8 row_mask:0xf bank_mask:0xf
	v_cndmask_b32_e64 v1, 0, v1, s[8:9]
	v_cndmask_b32_e64 v11, 0, v12, s[8:9]
	v_add_co_u32_e64 v1, s[4:5], v1, v10
	v_addc_co_u32_e64 v7, s[4:5], v11, v7, s[4:5]
	v_cndmask_b32_e64 v9, v7, v9, s[0:1]
	v_cndmask_b32_e64 v8, v1, v8, s[0:1]
	ds_write_b64 v5, v[8:9]
.LBB2379_8:
	s_or_b64 exec, exec, s[12:13]
	v_cmp_lt_u32_e64 s[0:1], 63, v0
	v_pk_mov_b32 v[0:1], 0, 0
	s_waitcnt lgkmcnt(0)
	s_barrier
	s_and_saveexec_b64 s[4:5], s[0:1]
	s_cbranch_execz .LBB2379_10
; %bb.9:
	v_lshl_add_u32 v0, v4, 3, -8
	ds_read_b64 v[0:1], v0
.LBB2379_10:
	s_or_b64 exec, exec, s[4:5]
	s_waitcnt lgkmcnt(0)
	v_add_co_u32_e64 v2, s[0:1], v0, v2
	v_addc_co_u32_e64 v3, s[0:1], v1, v3, s[0:1]
	v_add_u32_e32 v4, -1, v6
	v_and_b32_e32 v7, 64, v6
	v_cmp_lt_i32_e64 s[0:1], v4, v7
	v_cndmask_b32_e64 v4, v4, v6, s[0:1]
	v_lshlrev_b32_e32 v4, 2, v4
	ds_bpermute_b32 v2, v4, v2
	ds_bpermute_b32 v3, v4, v3
	s_and_saveexec_b64 s[0:1], vcc
	s_cbranch_execz .LBB2379_12
; %bb.11:
	s_waitcnt lgkmcnt(0)
	v_cndmask_b32_e64 v1, v3, v1, s[2:3]
	v_cndmask_b32_e64 v0, v2, v0, s[2:3]
	global_store_dwordx2 v5, v[0:1], s[14:15]
.LBB2379_12:
	s_endpgm
	.section	.rodata,"a",@progbits
	.p2align	6, 0x0
	.amdhsa_kernel _ZN7rocprim17ROCPRIM_400000_NS6detail17trampoline_kernelINS0_14default_configENS1_35radix_sort_onesweep_config_selectorIxNS0_10empty_typeEEEZNS1_34radix_sort_onesweep_global_offsetsIS3_Lb1EPxPS5_mNS0_19identity_decomposerEEE10hipError_tT1_T2_PT3_SE_jT4_jjP12ihipStream_tbEUlT_E0_NS1_11comp_targetILNS1_3genE4ELNS1_11target_archE910ELNS1_3gpuE8ELNS1_3repE0EEENS1_52radix_sort_onesweep_histogram_config_static_selectorELNS0_4arch9wavefront6targetE1EEEvSC_
		.amdhsa_group_segment_fixed_size 128
		.amdhsa_private_segment_fixed_size 0
		.amdhsa_kernarg_size 8
		.amdhsa_user_sgpr_count 6
		.amdhsa_user_sgpr_private_segment_buffer 1
		.amdhsa_user_sgpr_dispatch_ptr 0
		.amdhsa_user_sgpr_queue_ptr 0
		.amdhsa_user_sgpr_kernarg_segment_ptr 1
		.amdhsa_user_sgpr_dispatch_id 0
		.amdhsa_user_sgpr_flat_scratch_init 0
		.amdhsa_user_sgpr_kernarg_preload_length 0
		.amdhsa_user_sgpr_kernarg_preload_offset 0
		.amdhsa_user_sgpr_private_segment_size 0
		.amdhsa_uses_dynamic_stack 0
		.amdhsa_system_sgpr_private_segment_wavefront_offset 0
		.amdhsa_system_sgpr_workgroup_id_x 1
		.amdhsa_system_sgpr_workgroup_id_y 0
		.amdhsa_system_sgpr_workgroup_id_z 0
		.amdhsa_system_sgpr_workgroup_info 0
		.amdhsa_system_vgpr_workitem_id 0
		.amdhsa_next_free_vgpr 13
		.amdhsa_next_free_sgpr 18
		.amdhsa_accum_offset 16
		.amdhsa_reserve_vcc 1
		.amdhsa_reserve_flat_scratch 0
		.amdhsa_float_round_mode_32 0
		.amdhsa_float_round_mode_16_64 0
		.amdhsa_float_denorm_mode_32 3
		.amdhsa_float_denorm_mode_16_64 3
		.amdhsa_dx10_clamp 1
		.amdhsa_ieee_mode 1
		.amdhsa_fp16_overflow 0
		.amdhsa_tg_split 0
		.amdhsa_exception_fp_ieee_invalid_op 0
		.amdhsa_exception_fp_denorm_src 0
		.amdhsa_exception_fp_ieee_div_zero 0
		.amdhsa_exception_fp_ieee_overflow 0
		.amdhsa_exception_fp_ieee_underflow 0
		.amdhsa_exception_fp_ieee_inexact 0
		.amdhsa_exception_int_div_zero 0
	.end_amdhsa_kernel
	.section	.text._ZN7rocprim17ROCPRIM_400000_NS6detail17trampoline_kernelINS0_14default_configENS1_35radix_sort_onesweep_config_selectorIxNS0_10empty_typeEEEZNS1_34radix_sort_onesweep_global_offsetsIS3_Lb1EPxPS5_mNS0_19identity_decomposerEEE10hipError_tT1_T2_PT3_SE_jT4_jjP12ihipStream_tbEUlT_E0_NS1_11comp_targetILNS1_3genE4ELNS1_11target_archE910ELNS1_3gpuE8ELNS1_3repE0EEENS1_52radix_sort_onesweep_histogram_config_static_selectorELNS0_4arch9wavefront6targetE1EEEvSC_,"axG",@progbits,_ZN7rocprim17ROCPRIM_400000_NS6detail17trampoline_kernelINS0_14default_configENS1_35radix_sort_onesweep_config_selectorIxNS0_10empty_typeEEEZNS1_34radix_sort_onesweep_global_offsetsIS3_Lb1EPxPS5_mNS0_19identity_decomposerEEE10hipError_tT1_T2_PT3_SE_jT4_jjP12ihipStream_tbEUlT_E0_NS1_11comp_targetILNS1_3genE4ELNS1_11target_archE910ELNS1_3gpuE8ELNS1_3repE0EEENS1_52radix_sort_onesweep_histogram_config_static_selectorELNS0_4arch9wavefront6targetE1EEEvSC_,comdat
.Lfunc_end2379:
	.size	_ZN7rocprim17ROCPRIM_400000_NS6detail17trampoline_kernelINS0_14default_configENS1_35radix_sort_onesweep_config_selectorIxNS0_10empty_typeEEEZNS1_34radix_sort_onesweep_global_offsetsIS3_Lb1EPxPS5_mNS0_19identity_decomposerEEE10hipError_tT1_T2_PT3_SE_jT4_jjP12ihipStream_tbEUlT_E0_NS1_11comp_targetILNS1_3genE4ELNS1_11target_archE910ELNS1_3gpuE8ELNS1_3repE0EEENS1_52radix_sort_onesweep_histogram_config_static_selectorELNS0_4arch9wavefront6targetE1EEEvSC_, .Lfunc_end2379-_ZN7rocprim17ROCPRIM_400000_NS6detail17trampoline_kernelINS0_14default_configENS1_35radix_sort_onesweep_config_selectorIxNS0_10empty_typeEEEZNS1_34radix_sort_onesweep_global_offsetsIS3_Lb1EPxPS5_mNS0_19identity_decomposerEEE10hipError_tT1_T2_PT3_SE_jT4_jjP12ihipStream_tbEUlT_E0_NS1_11comp_targetILNS1_3genE4ELNS1_11target_archE910ELNS1_3gpuE8ELNS1_3repE0EEENS1_52radix_sort_onesweep_histogram_config_static_selectorELNS0_4arch9wavefront6targetE1EEEvSC_
                                        ; -- End function
	.section	.AMDGPU.csdata,"",@progbits
; Kernel info:
; codeLenInByte = 1012
; NumSgprs: 22
; NumVgprs: 13
; NumAgprs: 0
; TotalNumVgprs: 13
; ScratchSize: 0
; MemoryBound: 0
; FloatMode: 240
; IeeeMode: 1
; LDSByteSize: 128 bytes/workgroup (compile time only)
; SGPRBlocks: 2
; VGPRBlocks: 1
; NumSGPRsForWavesPerEU: 22
; NumVGPRsForWavesPerEU: 13
; AccumOffset: 16
; Occupancy: 8
; WaveLimiterHint : 0
; COMPUTE_PGM_RSRC2:SCRATCH_EN: 0
; COMPUTE_PGM_RSRC2:USER_SGPR: 6
; COMPUTE_PGM_RSRC2:TRAP_HANDLER: 0
; COMPUTE_PGM_RSRC2:TGID_X_EN: 1
; COMPUTE_PGM_RSRC2:TGID_Y_EN: 0
; COMPUTE_PGM_RSRC2:TGID_Z_EN: 0
; COMPUTE_PGM_RSRC2:TIDIG_COMP_CNT: 0
; COMPUTE_PGM_RSRC3_GFX90A:ACCUM_OFFSET: 3
; COMPUTE_PGM_RSRC3_GFX90A:TG_SPLIT: 0
	.section	.text._ZN7rocprim17ROCPRIM_400000_NS6detail17trampoline_kernelINS0_14default_configENS1_35radix_sort_onesweep_config_selectorIxNS0_10empty_typeEEEZNS1_34radix_sort_onesweep_global_offsetsIS3_Lb1EPxPS5_mNS0_19identity_decomposerEEE10hipError_tT1_T2_PT3_SE_jT4_jjP12ihipStream_tbEUlT_E0_NS1_11comp_targetILNS1_3genE3ELNS1_11target_archE908ELNS1_3gpuE7ELNS1_3repE0EEENS1_52radix_sort_onesweep_histogram_config_static_selectorELNS0_4arch9wavefront6targetE1EEEvSC_,"axG",@progbits,_ZN7rocprim17ROCPRIM_400000_NS6detail17trampoline_kernelINS0_14default_configENS1_35radix_sort_onesweep_config_selectorIxNS0_10empty_typeEEEZNS1_34radix_sort_onesweep_global_offsetsIS3_Lb1EPxPS5_mNS0_19identity_decomposerEEE10hipError_tT1_T2_PT3_SE_jT4_jjP12ihipStream_tbEUlT_E0_NS1_11comp_targetILNS1_3genE3ELNS1_11target_archE908ELNS1_3gpuE7ELNS1_3repE0EEENS1_52radix_sort_onesweep_histogram_config_static_selectorELNS0_4arch9wavefront6targetE1EEEvSC_,comdat
	.protected	_ZN7rocprim17ROCPRIM_400000_NS6detail17trampoline_kernelINS0_14default_configENS1_35radix_sort_onesweep_config_selectorIxNS0_10empty_typeEEEZNS1_34radix_sort_onesweep_global_offsetsIS3_Lb1EPxPS5_mNS0_19identity_decomposerEEE10hipError_tT1_T2_PT3_SE_jT4_jjP12ihipStream_tbEUlT_E0_NS1_11comp_targetILNS1_3genE3ELNS1_11target_archE908ELNS1_3gpuE7ELNS1_3repE0EEENS1_52radix_sort_onesweep_histogram_config_static_selectorELNS0_4arch9wavefront6targetE1EEEvSC_ ; -- Begin function _ZN7rocprim17ROCPRIM_400000_NS6detail17trampoline_kernelINS0_14default_configENS1_35radix_sort_onesweep_config_selectorIxNS0_10empty_typeEEEZNS1_34radix_sort_onesweep_global_offsetsIS3_Lb1EPxPS5_mNS0_19identity_decomposerEEE10hipError_tT1_T2_PT3_SE_jT4_jjP12ihipStream_tbEUlT_E0_NS1_11comp_targetILNS1_3genE3ELNS1_11target_archE908ELNS1_3gpuE7ELNS1_3repE0EEENS1_52radix_sort_onesweep_histogram_config_static_selectorELNS0_4arch9wavefront6targetE1EEEvSC_
	.globl	_ZN7rocprim17ROCPRIM_400000_NS6detail17trampoline_kernelINS0_14default_configENS1_35radix_sort_onesweep_config_selectorIxNS0_10empty_typeEEEZNS1_34radix_sort_onesweep_global_offsetsIS3_Lb1EPxPS5_mNS0_19identity_decomposerEEE10hipError_tT1_T2_PT3_SE_jT4_jjP12ihipStream_tbEUlT_E0_NS1_11comp_targetILNS1_3genE3ELNS1_11target_archE908ELNS1_3gpuE7ELNS1_3repE0EEENS1_52radix_sort_onesweep_histogram_config_static_selectorELNS0_4arch9wavefront6targetE1EEEvSC_
	.p2align	8
	.type	_ZN7rocprim17ROCPRIM_400000_NS6detail17trampoline_kernelINS0_14default_configENS1_35radix_sort_onesweep_config_selectorIxNS0_10empty_typeEEEZNS1_34radix_sort_onesweep_global_offsetsIS3_Lb1EPxPS5_mNS0_19identity_decomposerEEE10hipError_tT1_T2_PT3_SE_jT4_jjP12ihipStream_tbEUlT_E0_NS1_11comp_targetILNS1_3genE3ELNS1_11target_archE908ELNS1_3gpuE7ELNS1_3repE0EEENS1_52radix_sort_onesweep_histogram_config_static_selectorELNS0_4arch9wavefront6targetE1EEEvSC_,@function
_ZN7rocprim17ROCPRIM_400000_NS6detail17trampoline_kernelINS0_14default_configENS1_35radix_sort_onesweep_config_selectorIxNS0_10empty_typeEEEZNS1_34radix_sort_onesweep_global_offsetsIS3_Lb1EPxPS5_mNS0_19identity_decomposerEEE10hipError_tT1_T2_PT3_SE_jT4_jjP12ihipStream_tbEUlT_E0_NS1_11comp_targetILNS1_3genE3ELNS1_11target_archE908ELNS1_3gpuE7ELNS1_3repE0EEENS1_52radix_sort_onesweep_histogram_config_static_selectorELNS0_4arch9wavefront6targetE1EEEvSC_: ; @_ZN7rocprim17ROCPRIM_400000_NS6detail17trampoline_kernelINS0_14default_configENS1_35radix_sort_onesweep_config_selectorIxNS0_10empty_typeEEEZNS1_34radix_sort_onesweep_global_offsetsIS3_Lb1EPxPS5_mNS0_19identity_decomposerEEE10hipError_tT1_T2_PT3_SE_jT4_jjP12ihipStream_tbEUlT_E0_NS1_11comp_targetILNS1_3genE3ELNS1_11target_archE908ELNS1_3gpuE7ELNS1_3repE0EEENS1_52radix_sort_onesweep_histogram_config_static_selectorELNS0_4arch9wavefront6targetE1EEEvSC_
; %bb.0:
	.section	.rodata,"a",@progbits
	.p2align	6, 0x0
	.amdhsa_kernel _ZN7rocprim17ROCPRIM_400000_NS6detail17trampoline_kernelINS0_14default_configENS1_35radix_sort_onesweep_config_selectorIxNS0_10empty_typeEEEZNS1_34radix_sort_onesweep_global_offsetsIS3_Lb1EPxPS5_mNS0_19identity_decomposerEEE10hipError_tT1_T2_PT3_SE_jT4_jjP12ihipStream_tbEUlT_E0_NS1_11comp_targetILNS1_3genE3ELNS1_11target_archE908ELNS1_3gpuE7ELNS1_3repE0EEENS1_52radix_sort_onesweep_histogram_config_static_selectorELNS0_4arch9wavefront6targetE1EEEvSC_
		.amdhsa_group_segment_fixed_size 0
		.amdhsa_private_segment_fixed_size 0
		.amdhsa_kernarg_size 8
		.amdhsa_user_sgpr_count 6
		.amdhsa_user_sgpr_private_segment_buffer 1
		.amdhsa_user_sgpr_dispatch_ptr 0
		.amdhsa_user_sgpr_queue_ptr 0
		.amdhsa_user_sgpr_kernarg_segment_ptr 1
		.amdhsa_user_sgpr_dispatch_id 0
		.amdhsa_user_sgpr_flat_scratch_init 0
		.amdhsa_user_sgpr_kernarg_preload_length 0
		.amdhsa_user_sgpr_kernarg_preload_offset 0
		.amdhsa_user_sgpr_private_segment_size 0
		.amdhsa_uses_dynamic_stack 0
		.amdhsa_system_sgpr_private_segment_wavefront_offset 0
		.amdhsa_system_sgpr_workgroup_id_x 1
		.amdhsa_system_sgpr_workgroup_id_y 0
		.amdhsa_system_sgpr_workgroup_id_z 0
		.amdhsa_system_sgpr_workgroup_info 0
		.amdhsa_system_vgpr_workitem_id 0
		.amdhsa_next_free_vgpr 1
		.amdhsa_next_free_sgpr 0
		.amdhsa_accum_offset 4
		.amdhsa_reserve_vcc 0
		.amdhsa_reserve_flat_scratch 0
		.amdhsa_float_round_mode_32 0
		.amdhsa_float_round_mode_16_64 0
		.amdhsa_float_denorm_mode_32 3
		.amdhsa_float_denorm_mode_16_64 3
		.amdhsa_dx10_clamp 1
		.amdhsa_ieee_mode 1
		.amdhsa_fp16_overflow 0
		.amdhsa_tg_split 0
		.amdhsa_exception_fp_ieee_invalid_op 0
		.amdhsa_exception_fp_denorm_src 0
		.amdhsa_exception_fp_ieee_div_zero 0
		.amdhsa_exception_fp_ieee_overflow 0
		.amdhsa_exception_fp_ieee_underflow 0
		.amdhsa_exception_fp_ieee_inexact 0
		.amdhsa_exception_int_div_zero 0
	.end_amdhsa_kernel
	.section	.text._ZN7rocprim17ROCPRIM_400000_NS6detail17trampoline_kernelINS0_14default_configENS1_35radix_sort_onesweep_config_selectorIxNS0_10empty_typeEEEZNS1_34radix_sort_onesweep_global_offsetsIS3_Lb1EPxPS5_mNS0_19identity_decomposerEEE10hipError_tT1_T2_PT3_SE_jT4_jjP12ihipStream_tbEUlT_E0_NS1_11comp_targetILNS1_3genE3ELNS1_11target_archE908ELNS1_3gpuE7ELNS1_3repE0EEENS1_52radix_sort_onesweep_histogram_config_static_selectorELNS0_4arch9wavefront6targetE1EEEvSC_,"axG",@progbits,_ZN7rocprim17ROCPRIM_400000_NS6detail17trampoline_kernelINS0_14default_configENS1_35radix_sort_onesweep_config_selectorIxNS0_10empty_typeEEEZNS1_34radix_sort_onesweep_global_offsetsIS3_Lb1EPxPS5_mNS0_19identity_decomposerEEE10hipError_tT1_T2_PT3_SE_jT4_jjP12ihipStream_tbEUlT_E0_NS1_11comp_targetILNS1_3genE3ELNS1_11target_archE908ELNS1_3gpuE7ELNS1_3repE0EEENS1_52radix_sort_onesweep_histogram_config_static_selectorELNS0_4arch9wavefront6targetE1EEEvSC_,comdat
.Lfunc_end2380:
	.size	_ZN7rocprim17ROCPRIM_400000_NS6detail17trampoline_kernelINS0_14default_configENS1_35radix_sort_onesweep_config_selectorIxNS0_10empty_typeEEEZNS1_34radix_sort_onesweep_global_offsetsIS3_Lb1EPxPS5_mNS0_19identity_decomposerEEE10hipError_tT1_T2_PT3_SE_jT4_jjP12ihipStream_tbEUlT_E0_NS1_11comp_targetILNS1_3genE3ELNS1_11target_archE908ELNS1_3gpuE7ELNS1_3repE0EEENS1_52radix_sort_onesweep_histogram_config_static_selectorELNS0_4arch9wavefront6targetE1EEEvSC_, .Lfunc_end2380-_ZN7rocprim17ROCPRIM_400000_NS6detail17trampoline_kernelINS0_14default_configENS1_35radix_sort_onesweep_config_selectorIxNS0_10empty_typeEEEZNS1_34radix_sort_onesweep_global_offsetsIS3_Lb1EPxPS5_mNS0_19identity_decomposerEEE10hipError_tT1_T2_PT3_SE_jT4_jjP12ihipStream_tbEUlT_E0_NS1_11comp_targetILNS1_3genE3ELNS1_11target_archE908ELNS1_3gpuE7ELNS1_3repE0EEENS1_52radix_sort_onesweep_histogram_config_static_selectorELNS0_4arch9wavefront6targetE1EEEvSC_
                                        ; -- End function
	.section	.AMDGPU.csdata,"",@progbits
; Kernel info:
; codeLenInByte = 0
; NumSgprs: 4
; NumVgprs: 0
; NumAgprs: 0
; TotalNumVgprs: 0
; ScratchSize: 0
; MemoryBound: 0
; FloatMode: 240
; IeeeMode: 1
; LDSByteSize: 0 bytes/workgroup (compile time only)
; SGPRBlocks: 0
; VGPRBlocks: 0
; NumSGPRsForWavesPerEU: 4
; NumVGPRsForWavesPerEU: 1
; AccumOffset: 4
; Occupancy: 8
; WaveLimiterHint : 0
; COMPUTE_PGM_RSRC2:SCRATCH_EN: 0
; COMPUTE_PGM_RSRC2:USER_SGPR: 6
; COMPUTE_PGM_RSRC2:TRAP_HANDLER: 0
; COMPUTE_PGM_RSRC2:TGID_X_EN: 1
; COMPUTE_PGM_RSRC2:TGID_Y_EN: 0
; COMPUTE_PGM_RSRC2:TGID_Z_EN: 0
; COMPUTE_PGM_RSRC2:TIDIG_COMP_CNT: 0
; COMPUTE_PGM_RSRC3_GFX90A:ACCUM_OFFSET: 0
; COMPUTE_PGM_RSRC3_GFX90A:TG_SPLIT: 0
	.section	.text._ZN7rocprim17ROCPRIM_400000_NS6detail17trampoline_kernelINS0_14default_configENS1_35radix_sort_onesweep_config_selectorIxNS0_10empty_typeEEEZNS1_34radix_sort_onesweep_global_offsetsIS3_Lb1EPxPS5_mNS0_19identity_decomposerEEE10hipError_tT1_T2_PT3_SE_jT4_jjP12ihipStream_tbEUlT_E0_NS1_11comp_targetILNS1_3genE10ELNS1_11target_archE1201ELNS1_3gpuE5ELNS1_3repE0EEENS1_52radix_sort_onesweep_histogram_config_static_selectorELNS0_4arch9wavefront6targetE1EEEvSC_,"axG",@progbits,_ZN7rocprim17ROCPRIM_400000_NS6detail17trampoline_kernelINS0_14default_configENS1_35radix_sort_onesweep_config_selectorIxNS0_10empty_typeEEEZNS1_34radix_sort_onesweep_global_offsetsIS3_Lb1EPxPS5_mNS0_19identity_decomposerEEE10hipError_tT1_T2_PT3_SE_jT4_jjP12ihipStream_tbEUlT_E0_NS1_11comp_targetILNS1_3genE10ELNS1_11target_archE1201ELNS1_3gpuE5ELNS1_3repE0EEENS1_52radix_sort_onesweep_histogram_config_static_selectorELNS0_4arch9wavefront6targetE1EEEvSC_,comdat
	.protected	_ZN7rocprim17ROCPRIM_400000_NS6detail17trampoline_kernelINS0_14default_configENS1_35radix_sort_onesweep_config_selectorIxNS0_10empty_typeEEEZNS1_34radix_sort_onesweep_global_offsetsIS3_Lb1EPxPS5_mNS0_19identity_decomposerEEE10hipError_tT1_T2_PT3_SE_jT4_jjP12ihipStream_tbEUlT_E0_NS1_11comp_targetILNS1_3genE10ELNS1_11target_archE1201ELNS1_3gpuE5ELNS1_3repE0EEENS1_52radix_sort_onesweep_histogram_config_static_selectorELNS0_4arch9wavefront6targetE1EEEvSC_ ; -- Begin function _ZN7rocprim17ROCPRIM_400000_NS6detail17trampoline_kernelINS0_14default_configENS1_35radix_sort_onesweep_config_selectorIxNS0_10empty_typeEEEZNS1_34radix_sort_onesweep_global_offsetsIS3_Lb1EPxPS5_mNS0_19identity_decomposerEEE10hipError_tT1_T2_PT3_SE_jT4_jjP12ihipStream_tbEUlT_E0_NS1_11comp_targetILNS1_3genE10ELNS1_11target_archE1201ELNS1_3gpuE5ELNS1_3repE0EEENS1_52radix_sort_onesweep_histogram_config_static_selectorELNS0_4arch9wavefront6targetE1EEEvSC_
	.globl	_ZN7rocprim17ROCPRIM_400000_NS6detail17trampoline_kernelINS0_14default_configENS1_35radix_sort_onesweep_config_selectorIxNS0_10empty_typeEEEZNS1_34radix_sort_onesweep_global_offsetsIS3_Lb1EPxPS5_mNS0_19identity_decomposerEEE10hipError_tT1_T2_PT3_SE_jT4_jjP12ihipStream_tbEUlT_E0_NS1_11comp_targetILNS1_3genE10ELNS1_11target_archE1201ELNS1_3gpuE5ELNS1_3repE0EEENS1_52radix_sort_onesweep_histogram_config_static_selectorELNS0_4arch9wavefront6targetE1EEEvSC_
	.p2align	8
	.type	_ZN7rocprim17ROCPRIM_400000_NS6detail17trampoline_kernelINS0_14default_configENS1_35radix_sort_onesweep_config_selectorIxNS0_10empty_typeEEEZNS1_34radix_sort_onesweep_global_offsetsIS3_Lb1EPxPS5_mNS0_19identity_decomposerEEE10hipError_tT1_T2_PT3_SE_jT4_jjP12ihipStream_tbEUlT_E0_NS1_11comp_targetILNS1_3genE10ELNS1_11target_archE1201ELNS1_3gpuE5ELNS1_3repE0EEENS1_52radix_sort_onesweep_histogram_config_static_selectorELNS0_4arch9wavefront6targetE1EEEvSC_,@function
_ZN7rocprim17ROCPRIM_400000_NS6detail17trampoline_kernelINS0_14default_configENS1_35radix_sort_onesweep_config_selectorIxNS0_10empty_typeEEEZNS1_34radix_sort_onesweep_global_offsetsIS3_Lb1EPxPS5_mNS0_19identity_decomposerEEE10hipError_tT1_T2_PT3_SE_jT4_jjP12ihipStream_tbEUlT_E0_NS1_11comp_targetILNS1_3genE10ELNS1_11target_archE1201ELNS1_3gpuE5ELNS1_3repE0EEENS1_52radix_sort_onesweep_histogram_config_static_selectorELNS0_4arch9wavefront6targetE1EEEvSC_: ; @_ZN7rocprim17ROCPRIM_400000_NS6detail17trampoline_kernelINS0_14default_configENS1_35radix_sort_onesweep_config_selectorIxNS0_10empty_typeEEEZNS1_34radix_sort_onesweep_global_offsetsIS3_Lb1EPxPS5_mNS0_19identity_decomposerEEE10hipError_tT1_T2_PT3_SE_jT4_jjP12ihipStream_tbEUlT_E0_NS1_11comp_targetILNS1_3genE10ELNS1_11target_archE1201ELNS1_3gpuE5ELNS1_3repE0EEENS1_52radix_sort_onesweep_histogram_config_static_selectorELNS0_4arch9wavefront6targetE1EEEvSC_
; %bb.0:
	.section	.rodata,"a",@progbits
	.p2align	6, 0x0
	.amdhsa_kernel _ZN7rocprim17ROCPRIM_400000_NS6detail17trampoline_kernelINS0_14default_configENS1_35radix_sort_onesweep_config_selectorIxNS0_10empty_typeEEEZNS1_34radix_sort_onesweep_global_offsetsIS3_Lb1EPxPS5_mNS0_19identity_decomposerEEE10hipError_tT1_T2_PT3_SE_jT4_jjP12ihipStream_tbEUlT_E0_NS1_11comp_targetILNS1_3genE10ELNS1_11target_archE1201ELNS1_3gpuE5ELNS1_3repE0EEENS1_52radix_sort_onesweep_histogram_config_static_selectorELNS0_4arch9wavefront6targetE1EEEvSC_
		.amdhsa_group_segment_fixed_size 0
		.amdhsa_private_segment_fixed_size 0
		.amdhsa_kernarg_size 8
		.amdhsa_user_sgpr_count 6
		.amdhsa_user_sgpr_private_segment_buffer 1
		.amdhsa_user_sgpr_dispatch_ptr 0
		.amdhsa_user_sgpr_queue_ptr 0
		.amdhsa_user_sgpr_kernarg_segment_ptr 1
		.amdhsa_user_sgpr_dispatch_id 0
		.amdhsa_user_sgpr_flat_scratch_init 0
		.amdhsa_user_sgpr_kernarg_preload_length 0
		.amdhsa_user_sgpr_kernarg_preload_offset 0
		.amdhsa_user_sgpr_private_segment_size 0
		.amdhsa_uses_dynamic_stack 0
		.amdhsa_system_sgpr_private_segment_wavefront_offset 0
		.amdhsa_system_sgpr_workgroup_id_x 1
		.amdhsa_system_sgpr_workgroup_id_y 0
		.amdhsa_system_sgpr_workgroup_id_z 0
		.amdhsa_system_sgpr_workgroup_info 0
		.amdhsa_system_vgpr_workitem_id 0
		.amdhsa_next_free_vgpr 1
		.amdhsa_next_free_sgpr 0
		.amdhsa_accum_offset 4
		.amdhsa_reserve_vcc 0
		.amdhsa_reserve_flat_scratch 0
		.amdhsa_float_round_mode_32 0
		.amdhsa_float_round_mode_16_64 0
		.amdhsa_float_denorm_mode_32 3
		.amdhsa_float_denorm_mode_16_64 3
		.amdhsa_dx10_clamp 1
		.amdhsa_ieee_mode 1
		.amdhsa_fp16_overflow 0
		.amdhsa_tg_split 0
		.amdhsa_exception_fp_ieee_invalid_op 0
		.amdhsa_exception_fp_denorm_src 0
		.amdhsa_exception_fp_ieee_div_zero 0
		.amdhsa_exception_fp_ieee_overflow 0
		.amdhsa_exception_fp_ieee_underflow 0
		.amdhsa_exception_fp_ieee_inexact 0
		.amdhsa_exception_int_div_zero 0
	.end_amdhsa_kernel
	.section	.text._ZN7rocprim17ROCPRIM_400000_NS6detail17trampoline_kernelINS0_14default_configENS1_35radix_sort_onesweep_config_selectorIxNS0_10empty_typeEEEZNS1_34radix_sort_onesweep_global_offsetsIS3_Lb1EPxPS5_mNS0_19identity_decomposerEEE10hipError_tT1_T2_PT3_SE_jT4_jjP12ihipStream_tbEUlT_E0_NS1_11comp_targetILNS1_3genE10ELNS1_11target_archE1201ELNS1_3gpuE5ELNS1_3repE0EEENS1_52radix_sort_onesweep_histogram_config_static_selectorELNS0_4arch9wavefront6targetE1EEEvSC_,"axG",@progbits,_ZN7rocprim17ROCPRIM_400000_NS6detail17trampoline_kernelINS0_14default_configENS1_35radix_sort_onesweep_config_selectorIxNS0_10empty_typeEEEZNS1_34radix_sort_onesweep_global_offsetsIS3_Lb1EPxPS5_mNS0_19identity_decomposerEEE10hipError_tT1_T2_PT3_SE_jT4_jjP12ihipStream_tbEUlT_E0_NS1_11comp_targetILNS1_3genE10ELNS1_11target_archE1201ELNS1_3gpuE5ELNS1_3repE0EEENS1_52radix_sort_onesweep_histogram_config_static_selectorELNS0_4arch9wavefront6targetE1EEEvSC_,comdat
.Lfunc_end2381:
	.size	_ZN7rocprim17ROCPRIM_400000_NS6detail17trampoline_kernelINS0_14default_configENS1_35radix_sort_onesweep_config_selectorIxNS0_10empty_typeEEEZNS1_34radix_sort_onesweep_global_offsetsIS3_Lb1EPxPS5_mNS0_19identity_decomposerEEE10hipError_tT1_T2_PT3_SE_jT4_jjP12ihipStream_tbEUlT_E0_NS1_11comp_targetILNS1_3genE10ELNS1_11target_archE1201ELNS1_3gpuE5ELNS1_3repE0EEENS1_52radix_sort_onesweep_histogram_config_static_selectorELNS0_4arch9wavefront6targetE1EEEvSC_, .Lfunc_end2381-_ZN7rocprim17ROCPRIM_400000_NS6detail17trampoline_kernelINS0_14default_configENS1_35radix_sort_onesweep_config_selectorIxNS0_10empty_typeEEEZNS1_34radix_sort_onesweep_global_offsetsIS3_Lb1EPxPS5_mNS0_19identity_decomposerEEE10hipError_tT1_T2_PT3_SE_jT4_jjP12ihipStream_tbEUlT_E0_NS1_11comp_targetILNS1_3genE10ELNS1_11target_archE1201ELNS1_3gpuE5ELNS1_3repE0EEENS1_52radix_sort_onesweep_histogram_config_static_selectorELNS0_4arch9wavefront6targetE1EEEvSC_
                                        ; -- End function
	.section	.AMDGPU.csdata,"",@progbits
; Kernel info:
; codeLenInByte = 0
; NumSgprs: 4
; NumVgprs: 0
; NumAgprs: 0
; TotalNumVgprs: 0
; ScratchSize: 0
; MemoryBound: 0
; FloatMode: 240
; IeeeMode: 1
; LDSByteSize: 0 bytes/workgroup (compile time only)
; SGPRBlocks: 0
; VGPRBlocks: 0
; NumSGPRsForWavesPerEU: 4
; NumVGPRsForWavesPerEU: 1
; AccumOffset: 4
; Occupancy: 8
; WaveLimiterHint : 0
; COMPUTE_PGM_RSRC2:SCRATCH_EN: 0
; COMPUTE_PGM_RSRC2:USER_SGPR: 6
; COMPUTE_PGM_RSRC2:TRAP_HANDLER: 0
; COMPUTE_PGM_RSRC2:TGID_X_EN: 1
; COMPUTE_PGM_RSRC2:TGID_Y_EN: 0
; COMPUTE_PGM_RSRC2:TGID_Z_EN: 0
; COMPUTE_PGM_RSRC2:TIDIG_COMP_CNT: 0
; COMPUTE_PGM_RSRC3_GFX90A:ACCUM_OFFSET: 0
; COMPUTE_PGM_RSRC3_GFX90A:TG_SPLIT: 0
	.section	.text._ZN7rocprim17ROCPRIM_400000_NS6detail17trampoline_kernelINS0_14default_configENS1_35radix_sort_onesweep_config_selectorIxNS0_10empty_typeEEEZNS1_34radix_sort_onesweep_global_offsetsIS3_Lb1EPxPS5_mNS0_19identity_decomposerEEE10hipError_tT1_T2_PT3_SE_jT4_jjP12ihipStream_tbEUlT_E0_NS1_11comp_targetILNS1_3genE9ELNS1_11target_archE1100ELNS1_3gpuE3ELNS1_3repE0EEENS1_52radix_sort_onesweep_histogram_config_static_selectorELNS0_4arch9wavefront6targetE1EEEvSC_,"axG",@progbits,_ZN7rocprim17ROCPRIM_400000_NS6detail17trampoline_kernelINS0_14default_configENS1_35radix_sort_onesweep_config_selectorIxNS0_10empty_typeEEEZNS1_34radix_sort_onesweep_global_offsetsIS3_Lb1EPxPS5_mNS0_19identity_decomposerEEE10hipError_tT1_T2_PT3_SE_jT4_jjP12ihipStream_tbEUlT_E0_NS1_11comp_targetILNS1_3genE9ELNS1_11target_archE1100ELNS1_3gpuE3ELNS1_3repE0EEENS1_52radix_sort_onesweep_histogram_config_static_selectorELNS0_4arch9wavefront6targetE1EEEvSC_,comdat
	.protected	_ZN7rocprim17ROCPRIM_400000_NS6detail17trampoline_kernelINS0_14default_configENS1_35radix_sort_onesweep_config_selectorIxNS0_10empty_typeEEEZNS1_34radix_sort_onesweep_global_offsetsIS3_Lb1EPxPS5_mNS0_19identity_decomposerEEE10hipError_tT1_T2_PT3_SE_jT4_jjP12ihipStream_tbEUlT_E0_NS1_11comp_targetILNS1_3genE9ELNS1_11target_archE1100ELNS1_3gpuE3ELNS1_3repE0EEENS1_52radix_sort_onesweep_histogram_config_static_selectorELNS0_4arch9wavefront6targetE1EEEvSC_ ; -- Begin function _ZN7rocprim17ROCPRIM_400000_NS6detail17trampoline_kernelINS0_14default_configENS1_35radix_sort_onesweep_config_selectorIxNS0_10empty_typeEEEZNS1_34radix_sort_onesweep_global_offsetsIS3_Lb1EPxPS5_mNS0_19identity_decomposerEEE10hipError_tT1_T2_PT3_SE_jT4_jjP12ihipStream_tbEUlT_E0_NS1_11comp_targetILNS1_3genE9ELNS1_11target_archE1100ELNS1_3gpuE3ELNS1_3repE0EEENS1_52radix_sort_onesweep_histogram_config_static_selectorELNS0_4arch9wavefront6targetE1EEEvSC_
	.globl	_ZN7rocprim17ROCPRIM_400000_NS6detail17trampoline_kernelINS0_14default_configENS1_35radix_sort_onesweep_config_selectorIxNS0_10empty_typeEEEZNS1_34radix_sort_onesweep_global_offsetsIS3_Lb1EPxPS5_mNS0_19identity_decomposerEEE10hipError_tT1_T2_PT3_SE_jT4_jjP12ihipStream_tbEUlT_E0_NS1_11comp_targetILNS1_3genE9ELNS1_11target_archE1100ELNS1_3gpuE3ELNS1_3repE0EEENS1_52radix_sort_onesweep_histogram_config_static_selectorELNS0_4arch9wavefront6targetE1EEEvSC_
	.p2align	8
	.type	_ZN7rocprim17ROCPRIM_400000_NS6detail17trampoline_kernelINS0_14default_configENS1_35radix_sort_onesweep_config_selectorIxNS0_10empty_typeEEEZNS1_34radix_sort_onesweep_global_offsetsIS3_Lb1EPxPS5_mNS0_19identity_decomposerEEE10hipError_tT1_T2_PT3_SE_jT4_jjP12ihipStream_tbEUlT_E0_NS1_11comp_targetILNS1_3genE9ELNS1_11target_archE1100ELNS1_3gpuE3ELNS1_3repE0EEENS1_52radix_sort_onesweep_histogram_config_static_selectorELNS0_4arch9wavefront6targetE1EEEvSC_,@function
_ZN7rocprim17ROCPRIM_400000_NS6detail17trampoline_kernelINS0_14default_configENS1_35radix_sort_onesweep_config_selectorIxNS0_10empty_typeEEEZNS1_34radix_sort_onesweep_global_offsetsIS3_Lb1EPxPS5_mNS0_19identity_decomposerEEE10hipError_tT1_T2_PT3_SE_jT4_jjP12ihipStream_tbEUlT_E0_NS1_11comp_targetILNS1_3genE9ELNS1_11target_archE1100ELNS1_3gpuE3ELNS1_3repE0EEENS1_52radix_sort_onesweep_histogram_config_static_selectorELNS0_4arch9wavefront6targetE1EEEvSC_: ; @_ZN7rocprim17ROCPRIM_400000_NS6detail17trampoline_kernelINS0_14default_configENS1_35radix_sort_onesweep_config_selectorIxNS0_10empty_typeEEEZNS1_34radix_sort_onesweep_global_offsetsIS3_Lb1EPxPS5_mNS0_19identity_decomposerEEE10hipError_tT1_T2_PT3_SE_jT4_jjP12ihipStream_tbEUlT_E0_NS1_11comp_targetILNS1_3genE9ELNS1_11target_archE1100ELNS1_3gpuE3ELNS1_3repE0EEENS1_52radix_sort_onesweep_histogram_config_static_selectorELNS0_4arch9wavefront6targetE1EEEvSC_
; %bb.0:
	.section	.rodata,"a",@progbits
	.p2align	6, 0x0
	.amdhsa_kernel _ZN7rocprim17ROCPRIM_400000_NS6detail17trampoline_kernelINS0_14default_configENS1_35radix_sort_onesweep_config_selectorIxNS0_10empty_typeEEEZNS1_34radix_sort_onesweep_global_offsetsIS3_Lb1EPxPS5_mNS0_19identity_decomposerEEE10hipError_tT1_T2_PT3_SE_jT4_jjP12ihipStream_tbEUlT_E0_NS1_11comp_targetILNS1_3genE9ELNS1_11target_archE1100ELNS1_3gpuE3ELNS1_3repE0EEENS1_52radix_sort_onesweep_histogram_config_static_selectorELNS0_4arch9wavefront6targetE1EEEvSC_
		.amdhsa_group_segment_fixed_size 0
		.amdhsa_private_segment_fixed_size 0
		.amdhsa_kernarg_size 8
		.amdhsa_user_sgpr_count 6
		.amdhsa_user_sgpr_private_segment_buffer 1
		.amdhsa_user_sgpr_dispatch_ptr 0
		.amdhsa_user_sgpr_queue_ptr 0
		.amdhsa_user_sgpr_kernarg_segment_ptr 1
		.amdhsa_user_sgpr_dispatch_id 0
		.amdhsa_user_sgpr_flat_scratch_init 0
		.amdhsa_user_sgpr_kernarg_preload_length 0
		.amdhsa_user_sgpr_kernarg_preload_offset 0
		.amdhsa_user_sgpr_private_segment_size 0
		.amdhsa_uses_dynamic_stack 0
		.amdhsa_system_sgpr_private_segment_wavefront_offset 0
		.amdhsa_system_sgpr_workgroup_id_x 1
		.amdhsa_system_sgpr_workgroup_id_y 0
		.amdhsa_system_sgpr_workgroup_id_z 0
		.amdhsa_system_sgpr_workgroup_info 0
		.amdhsa_system_vgpr_workitem_id 0
		.amdhsa_next_free_vgpr 1
		.amdhsa_next_free_sgpr 0
		.amdhsa_accum_offset 4
		.amdhsa_reserve_vcc 0
		.amdhsa_reserve_flat_scratch 0
		.amdhsa_float_round_mode_32 0
		.amdhsa_float_round_mode_16_64 0
		.amdhsa_float_denorm_mode_32 3
		.amdhsa_float_denorm_mode_16_64 3
		.amdhsa_dx10_clamp 1
		.amdhsa_ieee_mode 1
		.amdhsa_fp16_overflow 0
		.amdhsa_tg_split 0
		.amdhsa_exception_fp_ieee_invalid_op 0
		.amdhsa_exception_fp_denorm_src 0
		.amdhsa_exception_fp_ieee_div_zero 0
		.amdhsa_exception_fp_ieee_overflow 0
		.amdhsa_exception_fp_ieee_underflow 0
		.amdhsa_exception_fp_ieee_inexact 0
		.amdhsa_exception_int_div_zero 0
	.end_amdhsa_kernel
	.section	.text._ZN7rocprim17ROCPRIM_400000_NS6detail17trampoline_kernelINS0_14default_configENS1_35radix_sort_onesweep_config_selectorIxNS0_10empty_typeEEEZNS1_34radix_sort_onesweep_global_offsetsIS3_Lb1EPxPS5_mNS0_19identity_decomposerEEE10hipError_tT1_T2_PT3_SE_jT4_jjP12ihipStream_tbEUlT_E0_NS1_11comp_targetILNS1_3genE9ELNS1_11target_archE1100ELNS1_3gpuE3ELNS1_3repE0EEENS1_52radix_sort_onesweep_histogram_config_static_selectorELNS0_4arch9wavefront6targetE1EEEvSC_,"axG",@progbits,_ZN7rocprim17ROCPRIM_400000_NS6detail17trampoline_kernelINS0_14default_configENS1_35radix_sort_onesweep_config_selectorIxNS0_10empty_typeEEEZNS1_34radix_sort_onesweep_global_offsetsIS3_Lb1EPxPS5_mNS0_19identity_decomposerEEE10hipError_tT1_T2_PT3_SE_jT4_jjP12ihipStream_tbEUlT_E0_NS1_11comp_targetILNS1_3genE9ELNS1_11target_archE1100ELNS1_3gpuE3ELNS1_3repE0EEENS1_52radix_sort_onesweep_histogram_config_static_selectorELNS0_4arch9wavefront6targetE1EEEvSC_,comdat
.Lfunc_end2382:
	.size	_ZN7rocprim17ROCPRIM_400000_NS6detail17trampoline_kernelINS0_14default_configENS1_35radix_sort_onesweep_config_selectorIxNS0_10empty_typeEEEZNS1_34radix_sort_onesweep_global_offsetsIS3_Lb1EPxPS5_mNS0_19identity_decomposerEEE10hipError_tT1_T2_PT3_SE_jT4_jjP12ihipStream_tbEUlT_E0_NS1_11comp_targetILNS1_3genE9ELNS1_11target_archE1100ELNS1_3gpuE3ELNS1_3repE0EEENS1_52radix_sort_onesweep_histogram_config_static_selectorELNS0_4arch9wavefront6targetE1EEEvSC_, .Lfunc_end2382-_ZN7rocprim17ROCPRIM_400000_NS6detail17trampoline_kernelINS0_14default_configENS1_35radix_sort_onesweep_config_selectorIxNS0_10empty_typeEEEZNS1_34radix_sort_onesweep_global_offsetsIS3_Lb1EPxPS5_mNS0_19identity_decomposerEEE10hipError_tT1_T2_PT3_SE_jT4_jjP12ihipStream_tbEUlT_E0_NS1_11comp_targetILNS1_3genE9ELNS1_11target_archE1100ELNS1_3gpuE3ELNS1_3repE0EEENS1_52radix_sort_onesweep_histogram_config_static_selectorELNS0_4arch9wavefront6targetE1EEEvSC_
                                        ; -- End function
	.section	.AMDGPU.csdata,"",@progbits
; Kernel info:
; codeLenInByte = 0
; NumSgprs: 4
; NumVgprs: 0
; NumAgprs: 0
; TotalNumVgprs: 0
; ScratchSize: 0
; MemoryBound: 0
; FloatMode: 240
; IeeeMode: 1
; LDSByteSize: 0 bytes/workgroup (compile time only)
; SGPRBlocks: 0
; VGPRBlocks: 0
; NumSGPRsForWavesPerEU: 4
; NumVGPRsForWavesPerEU: 1
; AccumOffset: 4
; Occupancy: 8
; WaveLimiterHint : 0
; COMPUTE_PGM_RSRC2:SCRATCH_EN: 0
; COMPUTE_PGM_RSRC2:USER_SGPR: 6
; COMPUTE_PGM_RSRC2:TRAP_HANDLER: 0
; COMPUTE_PGM_RSRC2:TGID_X_EN: 1
; COMPUTE_PGM_RSRC2:TGID_Y_EN: 0
; COMPUTE_PGM_RSRC2:TGID_Z_EN: 0
; COMPUTE_PGM_RSRC2:TIDIG_COMP_CNT: 0
; COMPUTE_PGM_RSRC3_GFX90A:ACCUM_OFFSET: 0
; COMPUTE_PGM_RSRC3_GFX90A:TG_SPLIT: 0
	.section	.text._ZN7rocprim17ROCPRIM_400000_NS6detail17trampoline_kernelINS0_14default_configENS1_35radix_sort_onesweep_config_selectorIxNS0_10empty_typeEEEZNS1_34radix_sort_onesweep_global_offsetsIS3_Lb1EPxPS5_mNS0_19identity_decomposerEEE10hipError_tT1_T2_PT3_SE_jT4_jjP12ihipStream_tbEUlT_E0_NS1_11comp_targetILNS1_3genE8ELNS1_11target_archE1030ELNS1_3gpuE2ELNS1_3repE0EEENS1_52radix_sort_onesweep_histogram_config_static_selectorELNS0_4arch9wavefront6targetE1EEEvSC_,"axG",@progbits,_ZN7rocprim17ROCPRIM_400000_NS6detail17trampoline_kernelINS0_14default_configENS1_35radix_sort_onesweep_config_selectorIxNS0_10empty_typeEEEZNS1_34radix_sort_onesweep_global_offsetsIS3_Lb1EPxPS5_mNS0_19identity_decomposerEEE10hipError_tT1_T2_PT3_SE_jT4_jjP12ihipStream_tbEUlT_E0_NS1_11comp_targetILNS1_3genE8ELNS1_11target_archE1030ELNS1_3gpuE2ELNS1_3repE0EEENS1_52radix_sort_onesweep_histogram_config_static_selectorELNS0_4arch9wavefront6targetE1EEEvSC_,comdat
	.protected	_ZN7rocprim17ROCPRIM_400000_NS6detail17trampoline_kernelINS0_14default_configENS1_35radix_sort_onesweep_config_selectorIxNS0_10empty_typeEEEZNS1_34radix_sort_onesweep_global_offsetsIS3_Lb1EPxPS5_mNS0_19identity_decomposerEEE10hipError_tT1_T2_PT3_SE_jT4_jjP12ihipStream_tbEUlT_E0_NS1_11comp_targetILNS1_3genE8ELNS1_11target_archE1030ELNS1_3gpuE2ELNS1_3repE0EEENS1_52radix_sort_onesweep_histogram_config_static_selectorELNS0_4arch9wavefront6targetE1EEEvSC_ ; -- Begin function _ZN7rocprim17ROCPRIM_400000_NS6detail17trampoline_kernelINS0_14default_configENS1_35radix_sort_onesweep_config_selectorIxNS0_10empty_typeEEEZNS1_34radix_sort_onesweep_global_offsetsIS3_Lb1EPxPS5_mNS0_19identity_decomposerEEE10hipError_tT1_T2_PT3_SE_jT4_jjP12ihipStream_tbEUlT_E0_NS1_11comp_targetILNS1_3genE8ELNS1_11target_archE1030ELNS1_3gpuE2ELNS1_3repE0EEENS1_52radix_sort_onesweep_histogram_config_static_selectorELNS0_4arch9wavefront6targetE1EEEvSC_
	.globl	_ZN7rocprim17ROCPRIM_400000_NS6detail17trampoline_kernelINS0_14default_configENS1_35radix_sort_onesweep_config_selectorIxNS0_10empty_typeEEEZNS1_34radix_sort_onesweep_global_offsetsIS3_Lb1EPxPS5_mNS0_19identity_decomposerEEE10hipError_tT1_T2_PT3_SE_jT4_jjP12ihipStream_tbEUlT_E0_NS1_11comp_targetILNS1_3genE8ELNS1_11target_archE1030ELNS1_3gpuE2ELNS1_3repE0EEENS1_52radix_sort_onesweep_histogram_config_static_selectorELNS0_4arch9wavefront6targetE1EEEvSC_
	.p2align	8
	.type	_ZN7rocprim17ROCPRIM_400000_NS6detail17trampoline_kernelINS0_14default_configENS1_35radix_sort_onesweep_config_selectorIxNS0_10empty_typeEEEZNS1_34radix_sort_onesweep_global_offsetsIS3_Lb1EPxPS5_mNS0_19identity_decomposerEEE10hipError_tT1_T2_PT3_SE_jT4_jjP12ihipStream_tbEUlT_E0_NS1_11comp_targetILNS1_3genE8ELNS1_11target_archE1030ELNS1_3gpuE2ELNS1_3repE0EEENS1_52radix_sort_onesweep_histogram_config_static_selectorELNS0_4arch9wavefront6targetE1EEEvSC_,@function
_ZN7rocprim17ROCPRIM_400000_NS6detail17trampoline_kernelINS0_14default_configENS1_35radix_sort_onesweep_config_selectorIxNS0_10empty_typeEEEZNS1_34radix_sort_onesweep_global_offsetsIS3_Lb1EPxPS5_mNS0_19identity_decomposerEEE10hipError_tT1_T2_PT3_SE_jT4_jjP12ihipStream_tbEUlT_E0_NS1_11comp_targetILNS1_3genE8ELNS1_11target_archE1030ELNS1_3gpuE2ELNS1_3repE0EEENS1_52radix_sort_onesweep_histogram_config_static_selectorELNS0_4arch9wavefront6targetE1EEEvSC_: ; @_ZN7rocprim17ROCPRIM_400000_NS6detail17trampoline_kernelINS0_14default_configENS1_35radix_sort_onesweep_config_selectorIxNS0_10empty_typeEEEZNS1_34radix_sort_onesweep_global_offsetsIS3_Lb1EPxPS5_mNS0_19identity_decomposerEEE10hipError_tT1_T2_PT3_SE_jT4_jjP12ihipStream_tbEUlT_E0_NS1_11comp_targetILNS1_3genE8ELNS1_11target_archE1030ELNS1_3gpuE2ELNS1_3repE0EEENS1_52radix_sort_onesweep_histogram_config_static_selectorELNS0_4arch9wavefront6targetE1EEEvSC_
; %bb.0:
	.section	.rodata,"a",@progbits
	.p2align	6, 0x0
	.amdhsa_kernel _ZN7rocprim17ROCPRIM_400000_NS6detail17trampoline_kernelINS0_14default_configENS1_35radix_sort_onesweep_config_selectorIxNS0_10empty_typeEEEZNS1_34radix_sort_onesweep_global_offsetsIS3_Lb1EPxPS5_mNS0_19identity_decomposerEEE10hipError_tT1_T2_PT3_SE_jT4_jjP12ihipStream_tbEUlT_E0_NS1_11comp_targetILNS1_3genE8ELNS1_11target_archE1030ELNS1_3gpuE2ELNS1_3repE0EEENS1_52radix_sort_onesweep_histogram_config_static_selectorELNS0_4arch9wavefront6targetE1EEEvSC_
		.amdhsa_group_segment_fixed_size 0
		.amdhsa_private_segment_fixed_size 0
		.amdhsa_kernarg_size 8
		.amdhsa_user_sgpr_count 6
		.amdhsa_user_sgpr_private_segment_buffer 1
		.amdhsa_user_sgpr_dispatch_ptr 0
		.amdhsa_user_sgpr_queue_ptr 0
		.amdhsa_user_sgpr_kernarg_segment_ptr 1
		.amdhsa_user_sgpr_dispatch_id 0
		.amdhsa_user_sgpr_flat_scratch_init 0
		.amdhsa_user_sgpr_kernarg_preload_length 0
		.amdhsa_user_sgpr_kernarg_preload_offset 0
		.amdhsa_user_sgpr_private_segment_size 0
		.amdhsa_uses_dynamic_stack 0
		.amdhsa_system_sgpr_private_segment_wavefront_offset 0
		.amdhsa_system_sgpr_workgroup_id_x 1
		.amdhsa_system_sgpr_workgroup_id_y 0
		.amdhsa_system_sgpr_workgroup_id_z 0
		.amdhsa_system_sgpr_workgroup_info 0
		.amdhsa_system_vgpr_workitem_id 0
		.amdhsa_next_free_vgpr 1
		.amdhsa_next_free_sgpr 0
		.amdhsa_accum_offset 4
		.amdhsa_reserve_vcc 0
		.amdhsa_reserve_flat_scratch 0
		.amdhsa_float_round_mode_32 0
		.amdhsa_float_round_mode_16_64 0
		.amdhsa_float_denorm_mode_32 3
		.amdhsa_float_denorm_mode_16_64 3
		.amdhsa_dx10_clamp 1
		.amdhsa_ieee_mode 1
		.amdhsa_fp16_overflow 0
		.amdhsa_tg_split 0
		.amdhsa_exception_fp_ieee_invalid_op 0
		.amdhsa_exception_fp_denorm_src 0
		.amdhsa_exception_fp_ieee_div_zero 0
		.amdhsa_exception_fp_ieee_overflow 0
		.amdhsa_exception_fp_ieee_underflow 0
		.amdhsa_exception_fp_ieee_inexact 0
		.amdhsa_exception_int_div_zero 0
	.end_amdhsa_kernel
	.section	.text._ZN7rocprim17ROCPRIM_400000_NS6detail17trampoline_kernelINS0_14default_configENS1_35radix_sort_onesweep_config_selectorIxNS0_10empty_typeEEEZNS1_34radix_sort_onesweep_global_offsetsIS3_Lb1EPxPS5_mNS0_19identity_decomposerEEE10hipError_tT1_T2_PT3_SE_jT4_jjP12ihipStream_tbEUlT_E0_NS1_11comp_targetILNS1_3genE8ELNS1_11target_archE1030ELNS1_3gpuE2ELNS1_3repE0EEENS1_52radix_sort_onesweep_histogram_config_static_selectorELNS0_4arch9wavefront6targetE1EEEvSC_,"axG",@progbits,_ZN7rocprim17ROCPRIM_400000_NS6detail17trampoline_kernelINS0_14default_configENS1_35radix_sort_onesweep_config_selectorIxNS0_10empty_typeEEEZNS1_34radix_sort_onesweep_global_offsetsIS3_Lb1EPxPS5_mNS0_19identity_decomposerEEE10hipError_tT1_T2_PT3_SE_jT4_jjP12ihipStream_tbEUlT_E0_NS1_11comp_targetILNS1_3genE8ELNS1_11target_archE1030ELNS1_3gpuE2ELNS1_3repE0EEENS1_52radix_sort_onesweep_histogram_config_static_selectorELNS0_4arch9wavefront6targetE1EEEvSC_,comdat
.Lfunc_end2383:
	.size	_ZN7rocprim17ROCPRIM_400000_NS6detail17trampoline_kernelINS0_14default_configENS1_35radix_sort_onesweep_config_selectorIxNS0_10empty_typeEEEZNS1_34radix_sort_onesweep_global_offsetsIS3_Lb1EPxPS5_mNS0_19identity_decomposerEEE10hipError_tT1_T2_PT3_SE_jT4_jjP12ihipStream_tbEUlT_E0_NS1_11comp_targetILNS1_3genE8ELNS1_11target_archE1030ELNS1_3gpuE2ELNS1_3repE0EEENS1_52radix_sort_onesweep_histogram_config_static_selectorELNS0_4arch9wavefront6targetE1EEEvSC_, .Lfunc_end2383-_ZN7rocprim17ROCPRIM_400000_NS6detail17trampoline_kernelINS0_14default_configENS1_35radix_sort_onesweep_config_selectorIxNS0_10empty_typeEEEZNS1_34radix_sort_onesweep_global_offsetsIS3_Lb1EPxPS5_mNS0_19identity_decomposerEEE10hipError_tT1_T2_PT3_SE_jT4_jjP12ihipStream_tbEUlT_E0_NS1_11comp_targetILNS1_3genE8ELNS1_11target_archE1030ELNS1_3gpuE2ELNS1_3repE0EEENS1_52radix_sort_onesweep_histogram_config_static_selectorELNS0_4arch9wavefront6targetE1EEEvSC_
                                        ; -- End function
	.section	.AMDGPU.csdata,"",@progbits
; Kernel info:
; codeLenInByte = 0
; NumSgprs: 4
; NumVgprs: 0
; NumAgprs: 0
; TotalNumVgprs: 0
; ScratchSize: 0
; MemoryBound: 0
; FloatMode: 240
; IeeeMode: 1
; LDSByteSize: 0 bytes/workgroup (compile time only)
; SGPRBlocks: 0
; VGPRBlocks: 0
; NumSGPRsForWavesPerEU: 4
; NumVGPRsForWavesPerEU: 1
; AccumOffset: 4
; Occupancy: 8
; WaveLimiterHint : 0
; COMPUTE_PGM_RSRC2:SCRATCH_EN: 0
; COMPUTE_PGM_RSRC2:USER_SGPR: 6
; COMPUTE_PGM_RSRC2:TRAP_HANDLER: 0
; COMPUTE_PGM_RSRC2:TGID_X_EN: 1
; COMPUTE_PGM_RSRC2:TGID_Y_EN: 0
; COMPUTE_PGM_RSRC2:TGID_Z_EN: 0
; COMPUTE_PGM_RSRC2:TIDIG_COMP_CNT: 0
; COMPUTE_PGM_RSRC3_GFX90A:ACCUM_OFFSET: 0
; COMPUTE_PGM_RSRC3_GFX90A:TG_SPLIT: 0
	.section	.text._ZN7rocprim17ROCPRIM_400000_NS6detail17trampoline_kernelINS0_14default_configENS1_35radix_sort_onesweep_config_selectorIxNS0_10empty_typeEEEZZNS1_29radix_sort_onesweep_iterationIS3_Lb1EPxS8_PS5_S9_mNS0_19identity_decomposerENS1_16block_id_wrapperIjLb1EEEEE10hipError_tT1_PNSt15iterator_traitsISE_E10value_typeET2_T3_PNSF_ISK_E10value_typeET4_T5_PSP_SQ_PNS1_23onesweep_lookback_stateEbbT6_jjT7_P12ihipStream_tbENKUlT_T0_SE_SJ_E_clIS8_S8_S9_S9_EEDaSX_SY_SE_SJ_EUlSX_E_NS1_11comp_targetILNS1_3genE0ELNS1_11target_archE4294967295ELNS1_3gpuE0ELNS1_3repE0EEENS1_47radix_sort_onesweep_sort_config_static_selectorELNS0_4arch9wavefront6targetE1EEEvSE_,"axG",@progbits,_ZN7rocprim17ROCPRIM_400000_NS6detail17trampoline_kernelINS0_14default_configENS1_35radix_sort_onesweep_config_selectorIxNS0_10empty_typeEEEZZNS1_29radix_sort_onesweep_iterationIS3_Lb1EPxS8_PS5_S9_mNS0_19identity_decomposerENS1_16block_id_wrapperIjLb1EEEEE10hipError_tT1_PNSt15iterator_traitsISE_E10value_typeET2_T3_PNSF_ISK_E10value_typeET4_T5_PSP_SQ_PNS1_23onesweep_lookback_stateEbbT6_jjT7_P12ihipStream_tbENKUlT_T0_SE_SJ_E_clIS8_S8_S9_S9_EEDaSX_SY_SE_SJ_EUlSX_E_NS1_11comp_targetILNS1_3genE0ELNS1_11target_archE4294967295ELNS1_3gpuE0ELNS1_3repE0EEENS1_47radix_sort_onesweep_sort_config_static_selectorELNS0_4arch9wavefront6targetE1EEEvSE_,comdat
	.protected	_ZN7rocprim17ROCPRIM_400000_NS6detail17trampoline_kernelINS0_14default_configENS1_35radix_sort_onesweep_config_selectorIxNS0_10empty_typeEEEZZNS1_29radix_sort_onesweep_iterationIS3_Lb1EPxS8_PS5_S9_mNS0_19identity_decomposerENS1_16block_id_wrapperIjLb1EEEEE10hipError_tT1_PNSt15iterator_traitsISE_E10value_typeET2_T3_PNSF_ISK_E10value_typeET4_T5_PSP_SQ_PNS1_23onesweep_lookback_stateEbbT6_jjT7_P12ihipStream_tbENKUlT_T0_SE_SJ_E_clIS8_S8_S9_S9_EEDaSX_SY_SE_SJ_EUlSX_E_NS1_11comp_targetILNS1_3genE0ELNS1_11target_archE4294967295ELNS1_3gpuE0ELNS1_3repE0EEENS1_47radix_sort_onesweep_sort_config_static_selectorELNS0_4arch9wavefront6targetE1EEEvSE_ ; -- Begin function _ZN7rocprim17ROCPRIM_400000_NS6detail17trampoline_kernelINS0_14default_configENS1_35radix_sort_onesweep_config_selectorIxNS0_10empty_typeEEEZZNS1_29radix_sort_onesweep_iterationIS3_Lb1EPxS8_PS5_S9_mNS0_19identity_decomposerENS1_16block_id_wrapperIjLb1EEEEE10hipError_tT1_PNSt15iterator_traitsISE_E10value_typeET2_T3_PNSF_ISK_E10value_typeET4_T5_PSP_SQ_PNS1_23onesweep_lookback_stateEbbT6_jjT7_P12ihipStream_tbENKUlT_T0_SE_SJ_E_clIS8_S8_S9_S9_EEDaSX_SY_SE_SJ_EUlSX_E_NS1_11comp_targetILNS1_3genE0ELNS1_11target_archE4294967295ELNS1_3gpuE0ELNS1_3repE0EEENS1_47radix_sort_onesweep_sort_config_static_selectorELNS0_4arch9wavefront6targetE1EEEvSE_
	.globl	_ZN7rocprim17ROCPRIM_400000_NS6detail17trampoline_kernelINS0_14default_configENS1_35radix_sort_onesweep_config_selectorIxNS0_10empty_typeEEEZZNS1_29radix_sort_onesweep_iterationIS3_Lb1EPxS8_PS5_S9_mNS0_19identity_decomposerENS1_16block_id_wrapperIjLb1EEEEE10hipError_tT1_PNSt15iterator_traitsISE_E10value_typeET2_T3_PNSF_ISK_E10value_typeET4_T5_PSP_SQ_PNS1_23onesweep_lookback_stateEbbT6_jjT7_P12ihipStream_tbENKUlT_T0_SE_SJ_E_clIS8_S8_S9_S9_EEDaSX_SY_SE_SJ_EUlSX_E_NS1_11comp_targetILNS1_3genE0ELNS1_11target_archE4294967295ELNS1_3gpuE0ELNS1_3repE0EEENS1_47radix_sort_onesweep_sort_config_static_selectorELNS0_4arch9wavefront6targetE1EEEvSE_
	.p2align	8
	.type	_ZN7rocprim17ROCPRIM_400000_NS6detail17trampoline_kernelINS0_14default_configENS1_35radix_sort_onesweep_config_selectorIxNS0_10empty_typeEEEZZNS1_29radix_sort_onesweep_iterationIS3_Lb1EPxS8_PS5_S9_mNS0_19identity_decomposerENS1_16block_id_wrapperIjLb1EEEEE10hipError_tT1_PNSt15iterator_traitsISE_E10value_typeET2_T3_PNSF_ISK_E10value_typeET4_T5_PSP_SQ_PNS1_23onesweep_lookback_stateEbbT6_jjT7_P12ihipStream_tbENKUlT_T0_SE_SJ_E_clIS8_S8_S9_S9_EEDaSX_SY_SE_SJ_EUlSX_E_NS1_11comp_targetILNS1_3genE0ELNS1_11target_archE4294967295ELNS1_3gpuE0ELNS1_3repE0EEENS1_47radix_sort_onesweep_sort_config_static_selectorELNS0_4arch9wavefront6targetE1EEEvSE_,@function
_ZN7rocprim17ROCPRIM_400000_NS6detail17trampoline_kernelINS0_14default_configENS1_35radix_sort_onesweep_config_selectorIxNS0_10empty_typeEEEZZNS1_29radix_sort_onesweep_iterationIS3_Lb1EPxS8_PS5_S9_mNS0_19identity_decomposerENS1_16block_id_wrapperIjLb1EEEEE10hipError_tT1_PNSt15iterator_traitsISE_E10value_typeET2_T3_PNSF_ISK_E10value_typeET4_T5_PSP_SQ_PNS1_23onesweep_lookback_stateEbbT6_jjT7_P12ihipStream_tbENKUlT_T0_SE_SJ_E_clIS8_S8_S9_S9_EEDaSX_SY_SE_SJ_EUlSX_E_NS1_11comp_targetILNS1_3genE0ELNS1_11target_archE4294967295ELNS1_3gpuE0ELNS1_3repE0EEENS1_47radix_sort_onesweep_sort_config_static_selectorELNS0_4arch9wavefront6targetE1EEEvSE_: ; @_ZN7rocprim17ROCPRIM_400000_NS6detail17trampoline_kernelINS0_14default_configENS1_35radix_sort_onesweep_config_selectorIxNS0_10empty_typeEEEZZNS1_29radix_sort_onesweep_iterationIS3_Lb1EPxS8_PS5_S9_mNS0_19identity_decomposerENS1_16block_id_wrapperIjLb1EEEEE10hipError_tT1_PNSt15iterator_traitsISE_E10value_typeET2_T3_PNSF_ISK_E10value_typeET4_T5_PSP_SQ_PNS1_23onesweep_lookback_stateEbbT6_jjT7_P12ihipStream_tbENKUlT_T0_SE_SJ_E_clIS8_S8_S9_S9_EEDaSX_SY_SE_SJ_EUlSX_E_NS1_11comp_targetILNS1_3genE0ELNS1_11target_archE4294967295ELNS1_3gpuE0ELNS1_3repE0EEENS1_47radix_sort_onesweep_sort_config_static_selectorELNS0_4arch9wavefront6targetE1EEEvSE_
; %bb.0:
	.section	.rodata,"a",@progbits
	.p2align	6, 0x0
	.amdhsa_kernel _ZN7rocprim17ROCPRIM_400000_NS6detail17trampoline_kernelINS0_14default_configENS1_35radix_sort_onesweep_config_selectorIxNS0_10empty_typeEEEZZNS1_29radix_sort_onesweep_iterationIS3_Lb1EPxS8_PS5_S9_mNS0_19identity_decomposerENS1_16block_id_wrapperIjLb1EEEEE10hipError_tT1_PNSt15iterator_traitsISE_E10value_typeET2_T3_PNSF_ISK_E10value_typeET4_T5_PSP_SQ_PNS1_23onesweep_lookback_stateEbbT6_jjT7_P12ihipStream_tbENKUlT_T0_SE_SJ_E_clIS8_S8_S9_S9_EEDaSX_SY_SE_SJ_EUlSX_E_NS1_11comp_targetILNS1_3genE0ELNS1_11target_archE4294967295ELNS1_3gpuE0ELNS1_3repE0EEENS1_47radix_sort_onesweep_sort_config_static_selectorELNS0_4arch9wavefront6targetE1EEEvSE_
		.amdhsa_group_segment_fixed_size 0
		.amdhsa_private_segment_fixed_size 0
		.amdhsa_kernarg_size 88
		.amdhsa_user_sgpr_count 6
		.amdhsa_user_sgpr_private_segment_buffer 1
		.amdhsa_user_sgpr_dispatch_ptr 0
		.amdhsa_user_sgpr_queue_ptr 0
		.amdhsa_user_sgpr_kernarg_segment_ptr 1
		.amdhsa_user_sgpr_dispatch_id 0
		.amdhsa_user_sgpr_flat_scratch_init 0
		.amdhsa_user_sgpr_kernarg_preload_length 0
		.amdhsa_user_sgpr_kernarg_preload_offset 0
		.amdhsa_user_sgpr_private_segment_size 0
		.amdhsa_uses_dynamic_stack 0
		.amdhsa_system_sgpr_private_segment_wavefront_offset 0
		.amdhsa_system_sgpr_workgroup_id_x 1
		.amdhsa_system_sgpr_workgroup_id_y 0
		.amdhsa_system_sgpr_workgroup_id_z 0
		.amdhsa_system_sgpr_workgroup_info 0
		.amdhsa_system_vgpr_workitem_id 0
		.amdhsa_next_free_vgpr 1
		.amdhsa_next_free_sgpr 0
		.amdhsa_accum_offset 4
		.amdhsa_reserve_vcc 0
		.amdhsa_reserve_flat_scratch 0
		.amdhsa_float_round_mode_32 0
		.amdhsa_float_round_mode_16_64 0
		.amdhsa_float_denorm_mode_32 3
		.amdhsa_float_denorm_mode_16_64 3
		.amdhsa_dx10_clamp 1
		.amdhsa_ieee_mode 1
		.amdhsa_fp16_overflow 0
		.amdhsa_tg_split 0
		.amdhsa_exception_fp_ieee_invalid_op 0
		.amdhsa_exception_fp_denorm_src 0
		.amdhsa_exception_fp_ieee_div_zero 0
		.amdhsa_exception_fp_ieee_overflow 0
		.amdhsa_exception_fp_ieee_underflow 0
		.amdhsa_exception_fp_ieee_inexact 0
		.amdhsa_exception_int_div_zero 0
	.end_amdhsa_kernel
	.section	.text._ZN7rocprim17ROCPRIM_400000_NS6detail17trampoline_kernelINS0_14default_configENS1_35radix_sort_onesweep_config_selectorIxNS0_10empty_typeEEEZZNS1_29radix_sort_onesweep_iterationIS3_Lb1EPxS8_PS5_S9_mNS0_19identity_decomposerENS1_16block_id_wrapperIjLb1EEEEE10hipError_tT1_PNSt15iterator_traitsISE_E10value_typeET2_T3_PNSF_ISK_E10value_typeET4_T5_PSP_SQ_PNS1_23onesweep_lookback_stateEbbT6_jjT7_P12ihipStream_tbENKUlT_T0_SE_SJ_E_clIS8_S8_S9_S9_EEDaSX_SY_SE_SJ_EUlSX_E_NS1_11comp_targetILNS1_3genE0ELNS1_11target_archE4294967295ELNS1_3gpuE0ELNS1_3repE0EEENS1_47radix_sort_onesweep_sort_config_static_selectorELNS0_4arch9wavefront6targetE1EEEvSE_,"axG",@progbits,_ZN7rocprim17ROCPRIM_400000_NS6detail17trampoline_kernelINS0_14default_configENS1_35radix_sort_onesweep_config_selectorIxNS0_10empty_typeEEEZZNS1_29radix_sort_onesweep_iterationIS3_Lb1EPxS8_PS5_S9_mNS0_19identity_decomposerENS1_16block_id_wrapperIjLb1EEEEE10hipError_tT1_PNSt15iterator_traitsISE_E10value_typeET2_T3_PNSF_ISK_E10value_typeET4_T5_PSP_SQ_PNS1_23onesweep_lookback_stateEbbT6_jjT7_P12ihipStream_tbENKUlT_T0_SE_SJ_E_clIS8_S8_S9_S9_EEDaSX_SY_SE_SJ_EUlSX_E_NS1_11comp_targetILNS1_3genE0ELNS1_11target_archE4294967295ELNS1_3gpuE0ELNS1_3repE0EEENS1_47radix_sort_onesweep_sort_config_static_selectorELNS0_4arch9wavefront6targetE1EEEvSE_,comdat
.Lfunc_end2384:
	.size	_ZN7rocprim17ROCPRIM_400000_NS6detail17trampoline_kernelINS0_14default_configENS1_35radix_sort_onesweep_config_selectorIxNS0_10empty_typeEEEZZNS1_29radix_sort_onesweep_iterationIS3_Lb1EPxS8_PS5_S9_mNS0_19identity_decomposerENS1_16block_id_wrapperIjLb1EEEEE10hipError_tT1_PNSt15iterator_traitsISE_E10value_typeET2_T3_PNSF_ISK_E10value_typeET4_T5_PSP_SQ_PNS1_23onesweep_lookback_stateEbbT6_jjT7_P12ihipStream_tbENKUlT_T0_SE_SJ_E_clIS8_S8_S9_S9_EEDaSX_SY_SE_SJ_EUlSX_E_NS1_11comp_targetILNS1_3genE0ELNS1_11target_archE4294967295ELNS1_3gpuE0ELNS1_3repE0EEENS1_47radix_sort_onesweep_sort_config_static_selectorELNS0_4arch9wavefront6targetE1EEEvSE_, .Lfunc_end2384-_ZN7rocprim17ROCPRIM_400000_NS6detail17trampoline_kernelINS0_14default_configENS1_35radix_sort_onesweep_config_selectorIxNS0_10empty_typeEEEZZNS1_29radix_sort_onesweep_iterationIS3_Lb1EPxS8_PS5_S9_mNS0_19identity_decomposerENS1_16block_id_wrapperIjLb1EEEEE10hipError_tT1_PNSt15iterator_traitsISE_E10value_typeET2_T3_PNSF_ISK_E10value_typeET4_T5_PSP_SQ_PNS1_23onesweep_lookback_stateEbbT6_jjT7_P12ihipStream_tbENKUlT_T0_SE_SJ_E_clIS8_S8_S9_S9_EEDaSX_SY_SE_SJ_EUlSX_E_NS1_11comp_targetILNS1_3genE0ELNS1_11target_archE4294967295ELNS1_3gpuE0ELNS1_3repE0EEENS1_47radix_sort_onesweep_sort_config_static_selectorELNS0_4arch9wavefront6targetE1EEEvSE_
                                        ; -- End function
	.section	.AMDGPU.csdata,"",@progbits
; Kernel info:
; codeLenInByte = 0
; NumSgprs: 4
; NumVgprs: 0
; NumAgprs: 0
; TotalNumVgprs: 0
; ScratchSize: 0
; MemoryBound: 0
; FloatMode: 240
; IeeeMode: 1
; LDSByteSize: 0 bytes/workgroup (compile time only)
; SGPRBlocks: 0
; VGPRBlocks: 0
; NumSGPRsForWavesPerEU: 4
; NumVGPRsForWavesPerEU: 1
; AccumOffset: 4
; Occupancy: 8
; WaveLimiterHint : 0
; COMPUTE_PGM_RSRC2:SCRATCH_EN: 0
; COMPUTE_PGM_RSRC2:USER_SGPR: 6
; COMPUTE_PGM_RSRC2:TRAP_HANDLER: 0
; COMPUTE_PGM_RSRC2:TGID_X_EN: 1
; COMPUTE_PGM_RSRC2:TGID_Y_EN: 0
; COMPUTE_PGM_RSRC2:TGID_Z_EN: 0
; COMPUTE_PGM_RSRC2:TIDIG_COMP_CNT: 0
; COMPUTE_PGM_RSRC3_GFX90A:ACCUM_OFFSET: 0
; COMPUTE_PGM_RSRC3_GFX90A:TG_SPLIT: 0
	.section	.text._ZN7rocprim17ROCPRIM_400000_NS6detail17trampoline_kernelINS0_14default_configENS1_35radix_sort_onesweep_config_selectorIxNS0_10empty_typeEEEZZNS1_29radix_sort_onesweep_iterationIS3_Lb1EPxS8_PS5_S9_mNS0_19identity_decomposerENS1_16block_id_wrapperIjLb1EEEEE10hipError_tT1_PNSt15iterator_traitsISE_E10value_typeET2_T3_PNSF_ISK_E10value_typeET4_T5_PSP_SQ_PNS1_23onesweep_lookback_stateEbbT6_jjT7_P12ihipStream_tbENKUlT_T0_SE_SJ_E_clIS8_S8_S9_S9_EEDaSX_SY_SE_SJ_EUlSX_E_NS1_11comp_targetILNS1_3genE6ELNS1_11target_archE950ELNS1_3gpuE13ELNS1_3repE0EEENS1_47radix_sort_onesweep_sort_config_static_selectorELNS0_4arch9wavefront6targetE1EEEvSE_,"axG",@progbits,_ZN7rocprim17ROCPRIM_400000_NS6detail17trampoline_kernelINS0_14default_configENS1_35radix_sort_onesweep_config_selectorIxNS0_10empty_typeEEEZZNS1_29radix_sort_onesweep_iterationIS3_Lb1EPxS8_PS5_S9_mNS0_19identity_decomposerENS1_16block_id_wrapperIjLb1EEEEE10hipError_tT1_PNSt15iterator_traitsISE_E10value_typeET2_T3_PNSF_ISK_E10value_typeET4_T5_PSP_SQ_PNS1_23onesweep_lookback_stateEbbT6_jjT7_P12ihipStream_tbENKUlT_T0_SE_SJ_E_clIS8_S8_S9_S9_EEDaSX_SY_SE_SJ_EUlSX_E_NS1_11comp_targetILNS1_3genE6ELNS1_11target_archE950ELNS1_3gpuE13ELNS1_3repE0EEENS1_47radix_sort_onesweep_sort_config_static_selectorELNS0_4arch9wavefront6targetE1EEEvSE_,comdat
	.protected	_ZN7rocprim17ROCPRIM_400000_NS6detail17trampoline_kernelINS0_14default_configENS1_35radix_sort_onesweep_config_selectorIxNS0_10empty_typeEEEZZNS1_29radix_sort_onesweep_iterationIS3_Lb1EPxS8_PS5_S9_mNS0_19identity_decomposerENS1_16block_id_wrapperIjLb1EEEEE10hipError_tT1_PNSt15iterator_traitsISE_E10value_typeET2_T3_PNSF_ISK_E10value_typeET4_T5_PSP_SQ_PNS1_23onesweep_lookback_stateEbbT6_jjT7_P12ihipStream_tbENKUlT_T0_SE_SJ_E_clIS8_S8_S9_S9_EEDaSX_SY_SE_SJ_EUlSX_E_NS1_11comp_targetILNS1_3genE6ELNS1_11target_archE950ELNS1_3gpuE13ELNS1_3repE0EEENS1_47radix_sort_onesweep_sort_config_static_selectorELNS0_4arch9wavefront6targetE1EEEvSE_ ; -- Begin function _ZN7rocprim17ROCPRIM_400000_NS6detail17trampoline_kernelINS0_14default_configENS1_35radix_sort_onesweep_config_selectorIxNS0_10empty_typeEEEZZNS1_29radix_sort_onesweep_iterationIS3_Lb1EPxS8_PS5_S9_mNS0_19identity_decomposerENS1_16block_id_wrapperIjLb1EEEEE10hipError_tT1_PNSt15iterator_traitsISE_E10value_typeET2_T3_PNSF_ISK_E10value_typeET4_T5_PSP_SQ_PNS1_23onesweep_lookback_stateEbbT6_jjT7_P12ihipStream_tbENKUlT_T0_SE_SJ_E_clIS8_S8_S9_S9_EEDaSX_SY_SE_SJ_EUlSX_E_NS1_11comp_targetILNS1_3genE6ELNS1_11target_archE950ELNS1_3gpuE13ELNS1_3repE0EEENS1_47radix_sort_onesweep_sort_config_static_selectorELNS0_4arch9wavefront6targetE1EEEvSE_
	.globl	_ZN7rocprim17ROCPRIM_400000_NS6detail17trampoline_kernelINS0_14default_configENS1_35radix_sort_onesweep_config_selectorIxNS0_10empty_typeEEEZZNS1_29radix_sort_onesweep_iterationIS3_Lb1EPxS8_PS5_S9_mNS0_19identity_decomposerENS1_16block_id_wrapperIjLb1EEEEE10hipError_tT1_PNSt15iterator_traitsISE_E10value_typeET2_T3_PNSF_ISK_E10value_typeET4_T5_PSP_SQ_PNS1_23onesweep_lookback_stateEbbT6_jjT7_P12ihipStream_tbENKUlT_T0_SE_SJ_E_clIS8_S8_S9_S9_EEDaSX_SY_SE_SJ_EUlSX_E_NS1_11comp_targetILNS1_3genE6ELNS1_11target_archE950ELNS1_3gpuE13ELNS1_3repE0EEENS1_47radix_sort_onesweep_sort_config_static_selectorELNS0_4arch9wavefront6targetE1EEEvSE_
	.p2align	8
	.type	_ZN7rocprim17ROCPRIM_400000_NS6detail17trampoline_kernelINS0_14default_configENS1_35radix_sort_onesweep_config_selectorIxNS0_10empty_typeEEEZZNS1_29radix_sort_onesweep_iterationIS3_Lb1EPxS8_PS5_S9_mNS0_19identity_decomposerENS1_16block_id_wrapperIjLb1EEEEE10hipError_tT1_PNSt15iterator_traitsISE_E10value_typeET2_T3_PNSF_ISK_E10value_typeET4_T5_PSP_SQ_PNS1_23onesweep_lookback_stateEbbT6_jjT7_P12ihipStream_tbENKUlT_T0_SE_SJ_E_clIS8_S8_S9_S9_EEDaSX_SY_SE_SJ_EUlSX_E_NS1_11comp_targetILNS1_3genE6ELNS1_11target_archE950ELNS1_3gpuE13ELNS1_3repE0EEENS1_47radix_sort_onesweep_sort_config_static_selectorELNS0_4arch9wavefront6targetE1EEEvSE_,@function
_ZN7rocprim17ROCPRIM_400000_NS6detail17trampoline_kernelINS0_14default_configENS1_35radix_sort_onesweep_config_selectorIxNS0_10empty_typeEEEZZNS1_29radix_sort_onesweep_iterationIS3_Lb1EPxS8_PS5_S9_mNS0_19identity_decomposerENS1_16block_id_wrapperIjLb1EEEEE10hipError_tT1_PNSt15iterator_traitsISE_E10value_typeET2_T3_PNSF_ISK_E10value_typeET4_T5_PSP_SQ_PNS1_23onesweep_lookback_stateEbbT6_jjT7_P12ihipStream_tbENKUlT_T0_SE_SJ_E_clIS8_S8_S9_S9_EEDaSX_SY_SE_SJ_EUlSX_E_NS1_11comp_targetILNS1_3genE6ELNS1_11target_archE950ELNS1_3gpuE13ELNS1_3repE0EEENS1_47radix_sort_onesweep_sort_config_static_selectorELNS0_4arch9wavefront6targetE1EEEvSE_: ; @_ZN7rocprim17ROCPRIM_400000_NS6detail17trampoline_kernelINS0_14default_configENS1_35radix_sort_onesweep_config_selectorIxNS0_10empty_typeEEEZZNS1_29radix_sort_onesweep_iterationIS3_Lb1EPxS8_PS5_S9_mNS0_19identity_decomposerENS1_16block_id_wrapperIjLb1EEEEE10hipError_tT1_PNSt15iterator_traitsISE_E10value_typeET2_T3_PNSF_ISK_E10value_typeET4_T5_PSP_SQ_PNS1_23onesweep_lookback_stateEbbT6_jjT7_P12ihipStream_tbENKUlT_T0_SE_SJ_E_clIS8_S8_S9_S9_EEDaSX_SY_SE_SJ_EUlSX_E_NS1_11comp_targetILNS1_3genE6ELNS1_11target_archE950ELNS1_3gpuE13ELNS1_3repE0EEENS1_47radix_sort_onesweep_sort_config_static_selectorELNS0_4arch9wavefront6targetE1EEEvSE_
; %bb.0:
	.section	.rodata,"a",@progbits
	.p2align	6, 0x0
	.amdhsa_kernel _ZN7rocprim17ROCPRIM_400000_NS6detail17trampoline_kernelINS0_14default_configENS1_35radix_sort_onesweep_config_selectorIxNS0_10empty_typeEEEZZNS1_29radix_sort_onesweep_iterationIS3_Lb1EPxS8_PS5_S9_mNS0_19identity_decomposerENS1_16block_id_wrapperIjLb1EEEEE10hipError_tT1_PNSt15iterator_traitsISE_E10value_typeET2_T3_PNSF_ISK_E10value_typeET4_T5_PSP_SQ_PNS1_23onesweep_lookback_stateEbbT6_jjT7_P12ihipStream_tbENKUlT_T0_SE_SJ_E_clIS8_S8_S9_S9_EEDaSX_SY_SE_SJ_EUlSX_E_NS1_11comp_targetILNS1_3genE6ELNS1_11target_archE950ELNS1_3gpuE13ELNS1_3repE0EEENS1_47radix_sort_onesweep_sort_config_static_selectorELNS0_4arch9wavefront6targetE1EEEvSE_
		.amdhsa_group_segment_fixed_size 0
		.amdhsa_private_segment_fixed_size 0
		.amdhsa_kernarg_size 88
		.amdhsa_user_sgpr_count 6
		.amdhsa_user_sgpr_private_segment_buffer 1
		.amdhsa_user_sgpr_dispatch_ptr 0
		.amdhsa_user_sgpr_queue_ptr 0
		.amdhsa_user_sgpr_kernarg_segment_ptr 1
		.amdhsa_user_sgpr_dispatch_id 0
		.amdhsa_user_sgpr_flat_scratch_init 0
		.amdhsa_user_sgpr_kernarg_preload_length 0
		.amdhsa_user_sgpr_kernarg_preload_offset 0
		.amdhsa_user_sgpr_private_segment_size 0
		.amdhsa_uses_dynamic_stack 0
		.amdhsa_system_sgpr_private_segment_wavefront_offset 0
		.amdhsa_system_sgpr_workgroup_id_x 1
		.amdhsa_system_sgpr_workgroup_id_y 0
		.amdhsa_system_sgpr_workgroup_id_z 0
		.amdhsa_system_sgpr_workgroup_info 0
		.amdhsa_system_vgpr_workitem_id 0
		.amdhsa_next_free_vgpr 1
		.amdhsa_next_free_sgpr 0
		.amdhsa_accum_offset 4
		.amdhsa_reserve_vcc 0
		.amdhsa_reserve_flat_scratch 0
		.amdhsa_float_round_mode_32 0
		.amdhsa_float_round_mode_16_64 0
		.amdhsa_float_denorm_mode_32 3
		.amdhsa_float_denorm_mode_16_64 3
		.amdhsa_dx10_clamp 1
		.amdhsa_ieee_mode 1
		.amdhsa_fp16_overflow 0
		.amdhsa_tg_split 0
		.amdhsa_exception_fp_ieee_invalid_op 0
		.amdhsa_exception_fp_denorm_src 0
		.amdhsa_exception_fp_ieee_div_zero 0
		.amdhsa_exception_fp_ieee_overflow 0
		.amdhsa_exception_fp_ieee_underflow 0
		.amdhsa_exception_fp_ieee_inexact 0
		.amdhsa_exception_int_div_zero 0
	.end_amdhsa_kernel
	.section	.text._ZN7rocprim17ROCPRIM_400000_NS6detail17trampoline_kernelINS0_14default_configENS1_35radix_sort_onesweep_config_selectorIxNS0_10empty_typeEEEZZNS1_29radix_sort_onesweep_iterationIS3_Lb1EPxS8_PS5_S9_mNS0_19identity_decomposerENS1_16block_id_wrapperIjLb1EEEEE10hipError_tT1_PNSt15iterator_traitsISE_E10value_typeET2_T3_PNSF_ISK_E10value_typeET4_T5_PSP_SQ_PNS1_23onesweep_lookback_stateEbbT6_jjT7_P12ihipStream_tbENKUlT_T0_SE_SJ_E_clIS8_S8_S9_S9_EEDaSX_SY_SE_SJ_EUlSX_E_NS1_11comp_targetILNS1_3genE6ELNS1_11target_archE950ELNS1_3gpuE13ELNS1_3repE0EEENS1_47radix_sort_onesweep_sort_config_static_selectorELNS0_4arch9wavefront6targetE1EEEvSE_,"axG",@progbits,_ZN7rocprim17ROCPRIM_400000_NS6detail17trampoline_kernelINS0_14default_configENS1_35radix_sort_onesweep_config_selectorIxNS0_10empty_typeEEEZZNS1_29radix_sort_onesweep_iterationIS3_Lb1EPxS8_PS5_S9_mNS0_19identity_decomposerENS1_16block_id_wrapperIjLb1EEEEE10hipError_tT1_PNSt15iterator_traitsISE_E10value_typeET2_T3_PNSF_ISK_E10value_typeET4_T5_PSP_SQ_PNS1_23onesweep_lookback_stateEbbT6_jjT7_P12ihipStream_tbENKUlT_T0_SE_SJ_E_clIS8_S8_S9_S9_EEDaSX_SY_SE_SJ_EUlSX_E_NS1_11comp_targetILNS1_3genE6ELNS1_11target_archE950ELNS1_3gpuE13ELNS1_3repE0EEENS1_47radix_sort_onesweep_sort_config_static_selectorELNS0_4arch9wavefront6targetE1EEEvSE_,comdat
.Lfunc_end2385:
	.size	_ZN7rocprim17ROCPRIM_400000_NS6detail17trampoline_kernelINS0_14default_configENS1_35radix_sort_onesweep_config_selectorIxNS0_10empty_typeEEEZZNS1_29radix_sort_onesweep_iterationIS3_Lb1EPxS8_PS5_S9_mNS0_19identity_decomposerENS1_16block_id_wrapperIjLb1EEEEE10hipError_tT1_PNSt15iterator_traitsISE_E10value_typeET2_T3_PNSF_ISK_E10value_typeET4_T5_PSP_SQ_PNS1_23onesweep_lookback_stateEbbT6_jjT7_P12ihipStream_tbENKUlT_T0_SE_SJ_E_clIS8_S8_S9_S9_EEDaSX_SY_SE_SJ_EUlSX_E_NS1_11comp_targetILNS1_3genE6ELNS1_11target_archE950ELNS1_3gpuE13ELNS1_3repE0EEENS1_47radix_sort_onesweep_sort_config_static_selectorELNS0_4arch9wavefront6targetE1EEEvSE_, .Lfunc_end2385-_ZN7rocprim17ROCPRIM_400000_NS6detail17trampoline_kernelINS0_14default_configENS1_35radix_sort_onesweep_config_selectorIxNS0_10empty_typeEEEZZNS1_29radix_sort_onesweep_iterationIS3_Lb1EPxS8_PS5_S9_mNS0_19identity_decomposerENS1_16block_id_wrapperIjLb1EEEEE10hipError_tT1_PNSt15iterator_traitsISE_E10value_typeET2_T3_PNSF_ISK_E10value_typeET4_T5_PSP_SQ_PNS1_23onesweep_lookback_stateEbbT6_jjT7_P12ihipStream_tbENKUlT_T0_SE_SJ_E_clIS8_S8_S9_S9_EEDaSX_SY_SE_SJ_EUlSX_E_NS1_11comp_targetILNS1_3genE6ELNS1_11target_archE950ELNS1_3gpuE13ELNS1_3repE0EEENS1_47radix_sort_onesweep_sort_config_static_selectorELNS0_4arch9wavefront6targetE1EEEvSE_
                                        ; -- End function
	.section	.AMDGPU.csdata,"",@progbits
; Kernel info:
; codeLenInByte = 0
; NumSgprs: 4
; NumVgprs: 0
; NumAgprs: 0
; TotalNumVgprs: 0
; ScratchSize: 0
; MemoryBound: 0
; FloatMode: 240
; IeeeMode: 1
; LDSByteSize: 0 bytes/workgroup (compile time only)
; SGPRBlocks: 0
; VGPRBlocks: 0
; NumSGPRsForWavesPerEU: 4
; NumVGPRsForWavesPerEU: 1
; AccumOffset: 4
; Occupancy: 8
; WaveLimiterHint : 0
; COMPUTE_PGM_RSRC2:SCRATCH_EN: 0
; COMPUTE_PGM_RSRC2:USER_SGPR: 6
; COMPUTE_PGM_RSRC2:TRAP_HANDLER: 0
; COMPUTE_PGM_RSRC2:TGID_X_EN: 1
; COMPUTE_PGM_RSRC2:TGID_Y_EN: 0
; COMPUTE_PGM_RSRC2:TGID_Z_EN: 0
; COMPUTE_PGM_RSRC2:TIDIG_COMP_CNT: 0
; COMPUTE_PGM_RSRC3_GFX90A:ACCUM_OFFSET: 0
; COMPUTE_PGM_RSRC3_GFX90A:TG_SPLIT: 0
	.section	.text._ZN7rocprim17ROCPRIM_400000_NS6detail17trampoline_kernelINS0_14default_configENS1_35radix_sort_onesweep_config_selectorIxNS0_10empty_typeEEEZZNS1_29radix_sort_onesweep_iterationIS3_Lb1EPxS8_PS5_S9_mNS0_19identity_decomposerENS1_16block_id_wrapperIjLb1EEEEE10hipError_tT1_PNSt15iterator_traitsISE_E10value_typeET2_T3_PNSF_ISK_E10value_typeET4_T5_PSP_SQ_PNS1_23onesweep_lookback_stateEbbT6_jjT7_P12ihipStream_tbENKUlT_T0_SE_SJ_E_clIS8_S8_S9_S9_EEDaSX_SY_SE_SJ_EUlSX_E_NS1_11comp_targetILNS1_3genE5ELNS1_11target_archE942ELNS1_3gpuE9ELNS1_3repE0EEENS1_47radix_sort_onesweep_sort_config_static_selectorELNS0_4arch9wavefront6targetE1EEEvSE_,"axG",@progbits,_ZN7rocprim17ROCPRIM_400000_NS6detail17trampoline_kernelINS0_14default_configENS1_35radix_sort_onesweep_config_selectorIxNS0_10empty_typeEEEZZNS1_29radix_sort_onesweep_iterationIS3_Lb1EPxS8_PS5_S9_mNS0_19identity_decomposerENS1_16block_id_wrapperIjLb1EEEEE10hipError_tT1_PNSt15iterator_traitsISE_E10value_typeET2_T3_PNSF_ISK_E10value_typeET4_T5_PSP_SQ_PNS1_23onesweep_lookback_stateEbbT6_jjT7_P12ihipStream_tbENKUlT_T0_SE_SJ_E_clIS8_S8_S9_S9_EEDaSX_SY_SE_SJ_EUlSX_E_NS1_11comp_targetILNS1_3genE5ELNS1_11target_archE942ELNS1_3gpuE9ELNS1_3repE0EEENS1_47radix_sort_onesweep_sort_config_static_selectorELNS0_4arch9wavefront6targetE1EEEvSE_,comdat
	.protected	_ZN7rocprim17ROCPRIM_400000_NS6detail17trampoline_kernelINS0_14default_configENS1_35radix_sort_onesweep_config_selectorIxNS0_10empty_typeEEEZZNS1_29radix_sort_onesweep_iterationIS3_Lb1EPxS8_PS5_S9_mNS0_19identity_decomposerENS1_16block_id_wrapperIjLb1EEEEE10hipError_tT1_PNSt15iterator_traitsISE_E10value_typeET2_T3_PNSF_ISK_E10value_typeET4_T5_PSP_SQ_PNS1_23onesweep_lookback_stateEbbT6_jjT7_P12ihipStream_tbENKUlT_T0_SE_SJ_E_clIS8_S8_S9_S9_EEDaSX_SY_SE_SJ_EUlSX_E_NS1_11comp_targetILNS1_3genE5ELNS1_11target_archE942ELNS1_3gpuE9ELNS1_3repE0EEENS1_47radix_sort_onesweep_sort_config_static_selectorELNS0_4arch9wavefront6targetE1EEEvSE_ ; -- Begin function _ZN7rocprim17ROCPRIM_400000_NS6detail17trampoline_kernelINS0_14default_configENS1_35radix_sort_onesweep_config_selectorIxNS0_10empty_typeEEEZZNS1_29radix_sort_onesweep_iterationIS3_Lb1EPxS8_PS5_S9_mNS0_19identity_decomposerENS1_16block_id_wrapperIjLb1EEEEE10hipError_tT1_PNSt15iterator_traitsISE_E10value_typeET2_T3_PNSF_ISK_E10value_typeET4_T5_PSP_SQ_PNS1_23onesweep_lookback_stateEbbT6_jjT7_P12ihipStream_tbENKUlT_T0_SE_SJ_E_clIS8_S8_S9_S9_EEDaSX_SY_SE_SJ_EUlSX_E_NS1_11comp_targetILNS1_3genE5ELNS1_11target_archE942ELNS1_3gpuE9ELNS1_3repE0EEENS1_47radix_sort_onesweep_sort_config_static_selectorELNS0_4arch9wavefront6targetE1EEEvSE_
	.globl	_ZN7rocprim17ROCPRIM_400000_NS6detail17trampoline_kernelINS0_14default_configENS1_35radix_sort_onesweep_config_selectorIxNS0_10empty_typeEEEZZNS1_29radix_sort_onesweep_iterationIS3_Lb1EPxS8_PS5_S9_mNS0_19identity_decomposerENS1_16block_id_wrapperIjLb1EEEEE10hipError_tT1_PNSt15iterator_traitsISE_E10value_typeET2_T3_PNSF_ISK_E10value_typeET4_T5_PSP_SQ_PNS1_23onesweep_lookback_stateEbbT6_jjT7_P12ihipStream_tbENKUlT_T0_SE_SJ_E_clIS8_S8_S9_S9_EEDaSX_SY_SE_SJ_EUlSX_E_NS1_11comp_targetILNS1_3genE5ELNS1_11target_archE942ELNS1_3gpuE9ELNS1_3repE0EEENS1_47radix_sort_onesweep_sort_config_static_selectorELNS0_4arch9wavefront6targetE1EEEvSE_
	.p2align	8
	.type	_ZN7rocprim17ROCPRIM_400000_NS6detail17trampoline_kernelINS0_14default_configENS1_35radix_sort_onesweep_config_selectorIxNS0_10empty_typeEEEZZNS1_29radix_sort_onesweep_iterationIS3_Lb1EPxS8_PS5_S9_mNS0_19identity_decomposerENS1_16block_id_wrapperIjLb1EEEEE10hipError_tT1_PNSt15iterator_traitsISE_E10value_typeET2_T3_PNSF_ISK_E10value_typeET4_T5_PSP_SQ_PNS1_23onesweep_lookback_stateEbbT6_jjT7_P12ihipStream_tbENKUlT_T0_SE_SJ_E_clIS8_S8_S9_S9_EEDaSX_SY_SE_SJ_EUlSX_E_NS1_11comp_targetILNS1_3genE5ELNS1_11target_archE942ELNS1_3gpuE9ELNS1_3repE0EEENS1_47radix_sort_onesweep_sort_config_static_selectorELNS0_4arch9wavefront6targetE1EEEvSE_,@function
_ZN7rocprim17ROCPRIM_400000_NS6detail17trampoline_kernelINS0_14default_configENS1_35radix_sort_onesweep_config_selectorIxNS0_10empty_typeEEEZZNS1_29radix_sort_onesweep_iterationIS3_Lb1EPxS8_PS5_S9_mNS0_19identity_decomposerENS1_16block_id_wrapperIjLb1EEEEE10hipError_tT1_PNSt15iterator_traitsISE_E10value_typeET2_T3_PNSF_ISK_E10value_typeET4_T5_PSP_SQ_PNS1_23onesweep_lookback_stateEbbT6_jjT7_P12ihipStream_tbENKUlT_T0_SE_SJ_E_clIS8_S8_S9_S9_EEDaSX_SY_SE_SJ_EUlSX_E_NS1_11comp_targetILNS1_3genE5ELNS1_11target_archE942ELNS1_3gpuE9ELNS1_3repE0EEENS1_47radix_sort_onesweep_sort_config_static_selectorELNS0_4arch9wavefront6targetE1EEEvSE_: ; @_ZN7rocprim17ROCPRIM_400000_NS6detail17trampoline_kernelINS0_14default_configENS1_35radix_sort_onesweep_config_selectorIxNS0_10empty_typeEEEZZNS1_29radix_sort_onesweep_iterationIS3_Lb1EPxS8_PS5_S9_mNS0_19identity_decomposerENS1_16block_id_wrapperIjLb1EEEEE10hipError_tT1_PNSt15iterator_traitsISE_E10value_typeET2_T3_PNSF_ISK_E10value_typeET4_T5_PSP_SQ_PNS1_23onesweep_lookback_stateEbbT6_jjT7_P12ihipStream_tbENKUlT_T0_SE_SJ_E_clIS8_S8_S9_S9_EEDaSX_SY_SE_SJ_EUlSX_E_NS1_11comp_targetILNS1_3genE5ELNS1_11target_archE942ELNS1_3gpuE9ELNS1_3repE0EEENS1_47radix_sort_onesweep_sort_config_static_selectorELNS0_4arch9wavefront6targetE1EEEvSE_
; %bb.0:
	.section	.rodata,"a",@progbits
	.p2align	6, 0x0
	.amdhsa_kernel _ZN7rocprim17ROCPRIM_400000_NS6detail17trampoline_kernelINS0_14default_configENS1_35radix_sort_onesweep_config_selectorIxNS0_10empty_typeEEEZZNS1_29radix_sort_onesweep_iterationIS3_Lb1EPxS8_PS5_S9_mNS0_19identity_decomposerENS1_16block_id_wrapperIjLb1EEEEE10hipError_tT1_PNSt15iterator_traitsISE_E10value_typeET2_T3_PNSF_ISK_E10value_typeET4_T5_PSP_SQ_PNS1_23onesweep_lookback_stateEbbT6_jjT7_P12ihipStream_tbENKUlT_T0_SE_SJ_E_clIS8_S8_S9_S9_EEDaSX_SY_SE_SJ_EUlSX_E_NS1_11comp_targetILNS1_3genE5ELNS1_11target_archE942ELNS1_3gpuE9ELNS1_3repE0EEENS1_47radix_sort_onesweep_sort_config_static_selectorELNS0_4arch9wavefront6targetE1EEEvSE_
		.amdhsa_group_segment_fixed_size 0
		.amdhsa_private_segment_fixed_size 0
		.amdhsa_kernarg_size 88
		.amdhsa_user_sgpr_count 6
		.amdhsa_user_sgpr_private_segment_buffer 1
		.amdhsa_user_sgpr_dispatch_ptr 0
		.amdhsa_user_sgpr_queue_ptr 0
		.amdhsa_user_sgpr_kernarg_segment_ptr 1
		.amdhsa_user_sgpr_dispatch_id 0
		.amdhsa_user_sgpr_flat_scratch_init 0
		.amdhsa_user_sgpr_kernarg_preload_length 0
		.amdhsa_user_sgpr_kernarg_preload_offset 0
		.amdhsa_user_sgpr_private_segment_size 0
		.amdhsa_uses_dynamic_stack 0
		.amdhsa_system_sgpr_private_segment_wavefront_offset 0
		.amdhsa_system_sgpr_workgroup_id_x 1
		.amdhsa_system_sgpr_workgroup_id_y 0
		.amdhsa_system_sgpr_workgroup_id_z 0
		.amdhsa_system_sgpr_workgroup_info 0
		.amdhsa_system_vgpr_workitem_id 0
		.amdhsa_next_free_vgpr 1
		.amdhsa_next_free_sgpr 0
		.amdhsa_accum_offset 4
		.amdhsa_reserve_vcc 0
		.amdhsa_reserve_flat_scratch 0
		.amdhsa_float_round_mode_32 0
		.amdhsa_float_round_mode_16_64 0
		.amdhsa_float_denorm_mode_32 3
		.amdhsa_float_denorm_mode_16_64 3
		.amdhsa_dx10_clamp 1
		.amdhsa_ieee_mode 1
		.amdhsa_fp16_overflow 0
		.amdhsa_tg_split 0
		.amdhsa_exception_fp_ieee_invalid_op 0
		.amdhsa_exception_fp_denorm_src 0
		.amdhsa_exception_fp_ieee_div_zero 0
		.amdhsa_exception_fp_ieee_overflow 0
		.amdhsa_exception_fp_ieee_underflow 0
		.amdhsa_exception_fp_ieee_inexact 0
		.amdhsa_exception_int_div_zero 0
	.end_amdhsa_kernel
	.section	.text._ZN7rocprim17ROCPRIM_400000_NS6detail17trampoline_kernelINS0_14default_configENS1_35radix_sort_onesweep_config_selectorIxNS0_10empty_typeEEEZZNS1_29radix_sort_onesweep_iterationIS3_Lb1EPxS8_PS5_S9_mNS0_19identity_decomposerENS1_16block_id_wrapperIjLb1EEEEE10hipError_tT1_PNSt15iterator_traitsISE_E10value_typeET2_T3_PNSF_ISK_E10value_typeET4_T5_PSP_SQ_PNS1_23onesweep_lookback_stateEbbT6_jjT7_P12ihipStream_tbENKUlT_T0_SE_SJ_E_clIS8_S8_S9_S9_EEDaSX_SY_SE_SJ_EUlSX_E_NS1_11comp_targetILNS1_3genE5ELNS1_11target_archE942ELNS1_3gpuE9ELNS1_3repE0EEENS1_47radix_sort_onesweep_sort_config_static_selectorELNS0_4arch9wavefront6targetE1EEEvSE_,"axG",@progbits,_ZN7rocprim17ROCPRIM_400000_NS6detail17trampoline_kernelINS0_14default_configENS1_35radix_sort_onesweep_config_selectorIxNS0_10empty_typeEEEZZNS1_29radix_sort_onesweep_iterationIS3_Lb1EPxS8_PS5_S9_mNS0_19identity_decomposerENS1_16block_id_wrapperIjLb1EEEEE10hipError_tT1_PNSt15iterator_traitsISE_E10value_typeET2_T3_PNSF_ISK_E10value_typeET4_T5_PSP_SQ_PNS1_23onesweep_lookback_stateEbbT6_jjT7_P12ihipStream_tbENKUlT_T0_SE_SJ_E_clIS8_S8_S9_S9_EEDaSX_SY_SE_SJ_EUlSX_E_NS1_11comp_targetILNS1_3genE5ELNS1_11target_archE942ELNS1_3gpuE9ELNS1_3repE0EEENS1_47radix_sort_onesweep_sort_config_static_selectorELNS0_4arch9wavefront6targetE1EEEvSE_,comdat
.Lfunc_end2386:
	.size	_ZN7rocprim17ROCPRIM_400000_NS6detail17trampoline_kernelINS0_14default_configENS1_35radix_sort_onesweep_config_selectorIxNS0_10empty_typeEEEZZNS1_29radix_sort_onesweep_iterationIS3_Lb1EPxS8_PS5_S9_mNS0_19identity_decomposerENS1_16block_id_wrapperIjLb1EEEEE10hipError_tT1_PNSt15iterator_traitsISE_E10value_typeET2_T3_PNSF_ISK_E10value_typeET4_T5_PSP_SQ_PNS1_23onesweep_lookback_stateEbbT6_jjT7_P12ihipStream_tbENKUlT_T0_SE_SJ_E_clIS8_S8_S9_S9_EEDaSX_SY_SE_SJ_EUlSX_E_NS1_11comp_targetILNS1_3genE5ELNS1_11target_archE942ELNS1_3gpuE9ELNS1_3repE0EEENS1_47radix_sort_onesweep_sort_config_static_selectorELNS0_4arch9wavefront6targetE1EEEvSE_, .Lfunc_end2386-_ZN7rocprim17ROCPRIM_400000_NS6detail17trampoline_kernelINS0_14default_configENS1_35radix_sort_onesweep_config_selectorIxNS0_10empty_typeEEEZZNS1_29radix_sort_onesweep_iterationIS3_Lb1EPxS8_PS5_S9_mNS0_19identity_decomposerENS1_16block_id_wrapperIjLb1EEEEE10hipError_tT1_PNSt15iterator_traitsISE_E10value_typeET2_T3_PNSF_ISK_E10value_typeET4_T5_PSP_SQ_PNS1_23onesweep_lookback_stateEbbT6_jjT7_P12ihipStream_tbENKUlT_T0_SE_SJ_E_clIS8_S8_S9_S9_EEDaSX_SY_SE_SJ_EUlSX_E_NS1_11comp_targetILNS1_3genE5ELNS1_11target_archE942ELNS1_3gpuE9ELNS1_3repE0EEENS1_47radix_sort_onesweep_sort_config_static_selectorELNS0_4arch9wavefront6targetE1EEEvSE_
                                        ; -- End function
	.section	.AMDGPU.csdata,"",@progbits
; Kernel info:
; codeLenInByte = 0
; NumSgprs: 4
; NumVgprs: 0
; NumAgprs: 0
; TotalNumVgprs: 0
; ScratchSize: 0
; MemoryBound: 0
; FloatMode: 240
; IeeeMode: 1
; LDSByteSize: 0 bytes/workgroup (compile time only)
; SGPRBlocks: 0
; VGPRBlocks: 0
; NumSGPRsForWavesPerEU: 4
; NumVGPRsForWavesPerEU: 1
; AccumOffset: 4
; Occupancy: 8
; WaveLimiterHint : 0
; COMPUTE_PGM_RSRC2:SCRATCH_EN: 0
; COMPUTE_PGM_RSRC2:USER_SGPR: 6
; COMPUTE_PGM_RSRC2:TRAP_HANDLER: 0
; COMPUTE_PGM_RSRC2:TGID_X_EN: 1
; COMPUTE_PGM_RSRC2:TGID_Y_EN: 0
; COMPUTE_PGM_RSRC2:TGID_Z_EN: 0
; COMPUTE_PGM_RSRC2:TIDIG_COMP_CNT: 0
; COMPUTE_PGM_RSRC3_GFX90A:ACCUM_OFFSET: 0
; COMPUTE_PGM_RSRC3_GFX90A:TG_SPLIT: 0
	.section	.text._ZN7rocprim17ROCPRIM_400000_NS6detail17trampoline_kernelINS0_14default_configENS1_35radix_sort_onesweep_config_selectorIxNS0_10empty_typeEEEZZNS1_29radix_sort_onesweep_iterationIS3_Lb1EPxS8_PS5_S9_mNS0_19identity_decomposerENS1_16block_id_wrapperIjLb1EEEEE10hipError_tT1_PNSt15iterator_traitsISE_E10value_typeET2_T3_PNSF_ISK_E10value_typeET4_T5_PSP_SQ_PNS1_23onesweep_lookback_stateEbbT6_jjT7_P12ihipStream_tbENKUlT_T0_SE_SJ_E_clIS8_S8_S9_S9_EEDaSX_SY_SE_SJ_EUlSX_E_NS1_11comp_targetILNS1_3genE2ELNS1_11target_archE906ELNS1_3gpuE6ELNS1_3repE0EEENS1_47radix_sort_onesweep_sort_config_static_selectorELNS0_4arch9wavefront6targetE1EEEvSE_,"axG",@progbits,_ZN7rocprim17ROCPRIM_400000_NS6detail17trampoline_kernelINS0_14default_configENS1_35radix_sort_onesweep_config_selectorIxNS0_10empty_typeEEEZZNS1_29radix_sort_onesweep_iterationIS3_Lb1EPxS8_PS5_S9_mNS0_19identity_decomposerENS1_16block_id_wrapperIjLb1EEEEE10hipError_tT1_PNSt15iterator_traitsISE_E10value_typeET2_T3_PNSF_ISK_E10value_typeET4_T5_PSP_SQ_PNS1_23onesweep_lookback_stateEbbT6_jjT7_P12ihipStream_tbENKUlT_T0_SE_SJ_E_clIS8_S8_S9_S9_EEDaSX_SY_SE_SJ_EUlSX_E_NS1_11comp_targetILNS1_3genE2ELNS1_11target_archE906ELNS1_3gpuE6ELNS1_3repE0EEENS1_47radix_sort_onesweep_sort_config_static_selectorELNS0_4arch9wavefront6targetE1EEEvSE_,comdat
	.protected	_ZN7rocprim17ROCPRIM_400000_NS6detail17trampoline_kernelINS0_14default_configENS1_35radix_sort_onesweep_config_selectorIxNS0_10empty_typeEEEZZNS1_29radix_sort_onesweep_iterationIS3_Lb1EPxS8_PS5_S9_mNS0_19identity_decomposerENS1_16block_id_wrapperIjLb1EEEEE10hipError_tT1_PNSt15iterator_traitsISE_E10value_typeET2_T3_PNSF_ISK_E10value_typeET4_T5_PSP_SQ_PNS1_23onesweep_lookback_stateEbbT6_jjT7_P12ihipStream_tbENKUlT_T0_SE_SJ_E_clIS8_S8_S9_S9_EEDaSX_SY_SE_SJ_EUlSX_E_NS1_11comp_targetILNS1_3genE2ELNS1_11target_archE906ELNS1_3gpuE6ELNS1_3repE0EEENS1_47radix_sort_onesweep_sort_config_static_selectorELNS0_4arch9wavefront6targetE1EEEvSE_ ; -- Begin function _ZN7rocprim17ROCPRIM_400000_NS6detail17trampoline_kernelINS0_14default_configENS1_35radix_sort_onesweep_config_selectorIxNS0_10empty_typeEEEZZNS1_29radix_sort_onesweep_iterationIS3_Lb1EPxS8_PS5_S9_mNS0_19identity_decomposerENS1_16block_id_wrapperIjLb1EEEEE10hipError_tT1_PNSt15iterator_traitsISE_E10value_typeET2_T3_PNSF_ISK_E10value_typeET4_T5_PSP_SQ_PNS1_23onesweep_lookback_stateEbbT6_jjT7_P12ihipStream_tbENKUlT_T0_SE_SJ_E_clIS8_S8_S9_S9_EEDaSX_SY_SE_SJ_EUlSX_E_NS1_11comp_targetILNS1_3genE2ELNS1_11target_archE906ELNS1_3gpuE6ELNS1_3repE0EEENS1_47radix_sort_onesweep_sort_config_static_selectorELNS0_4arch9wavefront6targetE1EEEvSE_
	.globl	_ZN7rocprim17ROCPRIM_400000_NS6detail17trampoline_kernelINS0_14default_configENS1_35radix_sort_onesweep_config_selectorIxNS0_10empty_typeEEEZZNS1_29radix_sort_onesweep_iterationIS3_Lb1EPxS8_PS5_S9_mNS0_19identity_decomposerENS1_16block_id_wrapperIjLb1EEEEE10hipError_tT1_PNSt15iterator_traitsISE_E10value_typeET2_T3_PNSF_ISK_E10value_typeET4_T5_PSP_SQ_PNS1_23onesweep_lookback_stateEbbT6_jjT7_P12ihipStream_tbENKUlT_T0_SE_SJ_E_clIS8_S8_S9_S9_EEDaSX_SY_SE_SJ_EUlSX_E_NS1_11comp_targetILNS1_3genE2ELNS1_11target_archE906ELNS1_3gpuE6ELNS1_3repE0EEENS1_47radix_sort_onesweep_sort_config_static_selectorELNS0_4arch9wavefront6targetE1EEEvSE_
	.p2align	8
	.type	_ZN7rocprim17ROCPRIM_400000_NS6detail17trampoline_kernelINS0_14default_configENS1_35radix_sort_onesweep_config_selectorIxNS0_10empty_typeEEEZZNS1_29radix_sort_onesweep_iterationIS3_Lb1EPxS8_PS5_S9_mNS0_19identity_decomposerENS1_16block_id_wrapperIjLb1EEEEE10hipError_tT1_PNSt15iterator_traitsISE_E10value_typeET2_T3_PNSF_ISK_E10value_typeET4_T5_PSP_SQ_PNS1_23onesweep_lookback_stateEbbT6_jjT7_P12ihipStream_tbENKUlT_T0_SE_SJ_E_clIS8_S8_S9_S9_EEDaSX_SY_SE_SJ_EUlSX_E_NS1_11comp_targetILNS1_3genE2ELNS1_11target_archE906ELNS1_3gpuE6ELNS1_3repE0EEENS1_47radix_sort_onesweep_sort_config_static_selectorELNS0_4arch9wavefront6targetE1EEEvSE_,@function
_ZN7rocprim17ROCPRIM_400000_NS6detail17trampoline_kernelINS0_14default_configENS1_35radix_sort_onesweep_config_selectorIxNS0_10empty_typeEEEZZNS1_29radix_sort_onesweep_iterationIS3_Lb1EPxS8_PS5_S9_mNS0_19identity_decomposerENS1_16block_id_wrapperIjLb1EEEEE10hipError_tT1_PNSt15iterator_traitsISE_E10value_typeET2_T3_PNSF_ISK_E10value_typeET4_T5_PSP_SQ_PNS1_23onesweep_lookback_stateEbbT6_jjT7_P12ihipStream_tbENKUlT_T0_SE_SJ_E_clIS8_S8_S9_S9_EEDaSX_SY_SE_SJ_EUlSX_E_NS1_11comp_targetILNS1_3genE2ELNS1_11target_archE906ELNS1_3gpuE6ELNS1_3repE0EEENS1_47radix_sort_onesweep_sort_config_static_selectorELNS0_4arch9wavefront6targetE1EEEvSE_: ; @_ZN7rocprim17ROCPRIM_400000_NS6detail17trampoline_kernelINS0_14default_configENS1_35radix_sort_onesweep_config_selectorIxNS0_10empty_typeEEEZZNS1_29radix_sort_onesweep_iterationIS3_Lb1EPxS8_PS5_S9_mNS0_19identity_decomposerENS1_16block_id_wrapperIjLb1EEEEE10hipError_tT1_PNSt15iterator_traitsISE_E10value_typeET2_T3_PNSF_ISK_E10value_typeET4_T5_PSP_SQ_PNS1_23onesweep_lookback_stateEbbT6_jjT7_P12ihipStream_tbENKUlT_T0_SE_SJ_E_clIS8_S8_S9_S9_EEDaSX_SY_SE_SJ_EUlSX_E_NS1_11comp_targetILNS1_3genE2ELNS1_11target_archE906ELNS1_3gpuE6ELNS1_3repE0EEENS1_47radix_sort_onesweep_sort_config_static_selectorELNS0_4arch9wavefront6targetE1EEEvSE_
; %bb.0:
	.section	.rodata,"a",@progbits
	.p2align	6, 0x0
	.amdhsa_kernel _ZN7rocprim17ROCPRIM_400000_NS6detail17trampoline_kernelINS0_14default_configENS1_35radix_sort_onesweep_config_selectorIxNS0_10empty_typeEEEZZNS1_29radix_sort_onesweep_iterationIS3_Lb1EPxS8_PS5_S9_mNS0_19identity_decomposerENS1_16block_id_wrapperIjLb1EEEEE10hipError_tT1_PNSt15iterator_traitsISE_E10value_typeET2_T3_PNSF_ISK_E10value_typeET4_T5_PSP_SQ_PNS1_23onesweep_lookback_stateEbbT6_jjT7_P12ihipStream_tbENKUlT_T0_SE_SJ_E_clIS8_S8_S9_S9_EEDaSX_SY_SE_SJ_EUlSX_E_NS1_11comp_targetILNS1_3genE2ELNS1_11target_archE906ELNS1_3gpuE6ELNS1_3repE0EEENS1_47radix_sort_onesweep_sort_config_static_selectorELNS0_4arch9wavefront6targetE1EEEvSE_
		.amdhsa_group_segment_fixed_size 0
		.amdhsa_private_segment_fixed_size 0
		.amdhsa_kernarg_size 88
		.amdhsa_user_sgpr_count 6
		.amdhsa_user_sgpr_private_segment_buffer 1
		.amdhsa_user_sgpr_dispatch_ptr 0
		.amdhsa_user_sgpr_queue_ptr 0
		.amdhsa_user_sgpr_kernarg_segment_ptr 1
		.amdhsa_user_sgpr_dispatch_id 0
		.amdhsa_user_sgpr_flat_scratch_init 0
		.amdhsa_user_sgpr_kernarg_preload_length 0
		.amdhsa_user_sgpr_kernarg_preload_offset 0
		.amdhsa_user_sgpr_private_segment_size 0
		.amdhsa_uses_dynamic_stack 0
		.amdhsa_system_sgpr_private_segment_wavefront_offset 0
		.amdhsa_system_sgpr_workgroup_id_x 1
		.amdhsa_system_sgpr_workgroup_id_y 0
		.amdhsa_system_sgpr_workgroup_id_z 0
		.amdhsa_system_sgpr_workgroup_info 0
		.amdhsa_system_vgpr_workitem_id 0
		.amdhsa_next_free_vgpr 1
		.amdhsa_next_free_sgpr 0
		.amdhsa_accum_offset 4
		.amdhsa_reserve_vcc 0
		.amdhsa_reserve_flat_scratch 0
		.amdhsa_float_round_mode_32 0
		.amdhsa_float_round_mode_16_64 0
		.amdhsa_float_denorm_mode_32 3
		.amdhsa_float_denorm_mode_16_64 3
		.amdhsa_dx10_clamp 1
		.amdhsa_ieee_mode 1
		.amdhsa_fp16_overflow 0
		.amdhsa_tg_split 0
		.amdhsa_exception_fp_ieee_invalid_op 0
		.amdhsa_exception_fp_denorm_src 0
		.amdhsa_exception_fp_ieee_div_zero 0
		.amdhsa_exception_fp_ieee_overflow 0
		.amdhsa_exception_fp_ieee_underflow 0
		.amdhsa_exception_fp_ieee_inexact 0
		.amdhsa_exception_int_div_zero 0
	.end_amdhsa_kernel
	.section	.text._ZN7rocprim17ROCPRIM_400000_NS6detail17trampoline_kernelINS0_14default_configENS1_35radix_sort_onesweep_config_selectorIxNS0_10empty_typeEEEZZNS1_29radix_sort_onesweep_iterationIS3_Lb1EPxS8_PS5_S9_mNS0_19identity_decomposerENS1_16block_id_wrapperIjLb1EEEEE10hipError_tT1_PNSt15iterator_traitsISE_E10value_typeET2_T3_PNSF_ISK_E10value_typeET4_T5_PSP_SQ_PNS1_23onesweep_lookback_stateEbbT6_jjT7_P12ihipStream_tbENKUlT_T0_SE_SJ_E_clIS8_S8_S9_S9_EEDaSX_SY_SE_SJ_EUlSX_E_NS1_11comp_targetILNS1_3genE2ELNS1_11target_archE906ELNS1_3gpuE6ELNS1_3repE0EEENS1_47radix_sort_onesweep_sort_config_static_selectorELNS0_4arch9wavefront6targetE1EEEvSE_,"axG",@progbits,_ZN7rocprim17ROCPRIM_400000_NS6detail17trampoline_kernelINS0_14default_configENS1_35radix_sort_onesweep_config_selectorIxNS0_10empty_typeEEEZZNS1_29radix_sort_onesweep_iterationIS3_Lb1EPxS8_PS5_S9_mNS0_19identity_decomposerENS1_16block_id_wrapperIjLb1EEEEE10hipError_tT1_PNSt15iterator_traitsISE_E10value_typeET2_T3_PNSF_ISK_E10value_typeET4_T5_PSP_SQ_PNS1_23onesweep_lookback_stateEbbT6_jjT7_P12ihipStream_tbENKUlT_T0_SE_SJ_E_clIS8_S8_S9_S9_EEDaSX_SY_SE_SJ_EUlSX_E_NS1_11comp_targetILNS1_3genE2ELNS1_11target_archE906ELNS1_3gpuE6ELNS1_3repE0EEENS1_47radix_sort_onesweep_sort_config_static_selectorELNS0_4arch9wavefront6targetE1EEEvSE_,comdat
.Lfunc_end2387:
	.size	_ZN7rocprim17ROCPRIM_400000_NS6detail17trampoline_kernelINS0_14default_configENS1_35radix_sort_onesweep_config_selectorIxNS0_10empty_typeEEEZZNS1_29radix_sort_onesweep_iterationIS3_Lb1EPxS8_PS5_S9_mNS0_19identity_decomposerENS1_16block_id_wrapperIjLb1EEEEE10hipError_tT1_PNSt15iterator_traitsISE_E10value_typeET2_T3_PNSF_ISK_E10value_typeET4_T5_PSP_SQ_PNS1_23onesweep_lookback_stateEbbT6_jjT7_P12ihipStream_tbENKUlT_T0_SE_SJ_E_clIS8_S8_S9_S9_EEDaSX_SY_SE_SJ_EUlSX_E_NS1_11comp_targetILNS1_3genE2ELNS1_11target_archE906ELNS1_3gpuE6ELNS1_3repE0EEENS1_47radix_sort_onesweep_sort_config_static_selectorELNS0_4arch9wavefront6targetE1EEEvSE_, .Lfunc_end2387-_ZN7rocprim17ROCPRIM_400000_NS6detail17trampoline_kernelINS0_14default_configENS1_35radix_sort_onesweep_config_selectorIxNS0_10empty_typeEEEZZNS1_29radix_sort_onesweep_iterationIS3_Lb1EPxS8_PS5_S9_mNS0_19identity_decomposerENS1_16block_id_wrapperIjLb1EEEEE10hipError_tT1_PNSt15iterator_traitsISE_E10value_typeET2_T3_PNSF_ISK_E10value_typeET4_T5_PSP_SQ_PNS1_23onesweep_lookback_stateEbbT6_jjT7_P12ihipStream_tbENKUlT_T0_SE_SJ_E_clIS8_S8_S9_S9_EEDaSX_SY_SE_SJ_EUlSX_E_NS1_11comp_targetILNS1_3genE2ELNS1_11target_archE906ELNS1_3gpuE6ELNS1_3repE0EEENS1_47radix_sort_onesweep_sort_config_static_selectorELNS0_4arch9wavefront6targetE1EEEvSE_
                                        ; -- End function
	.section	.AMDGPU.csdata,"",@progbits
; Kernel info:
; codeLenInByte = 0
; NumSgprs: 4
; NumVgprs: 0
; NumAgprs: 0
; TotalNumVgprs: 0
; ScratchSize: 0
; MemoryBound: 0
; FloatMode: 240
; IeeeMode: 1
; LDSByteSize: 0 bytes/workgroup (compile time only)
; SGPRBlocks: 0
; VGPRBlocks: 0
; NumSGPRsForWavesPerEU: 4
; NumVGPRsForWavesPerEU: 1
; AccumOffset: 4
; Occupancy: 8
; WaveLimiterHint : 0
; COMPUTE_PGM_RSRC2:SCRATCH_EN: 0
; COMPUTE_PGM_RSRC2:USER_SGPR: 6
; COMPUTE_PGM_RSRC2:TRAP_HANDLER: 0
; COMPUTE_PGM_RSRC2:TGID_X_EN: 1
; COMPUTE_PGM_RSRC2:TGID_Y_EN: 0
; COMPUTE_PGM_RSRC2:TGID_Z_EN: 0
; COMPUTE_PGM_RSRC2:TIDIG_COMP_CNT: 0
; COMPUTE_PGM_RSRC3_GFX90A:ACCUM_OFFSET: 0
; COMPUTE_PGM_RSRC3_GFX90A:TG_SPLIT: 0
	.section	.text._ZN7rocprim17ROCPRIM_400000_NS6detail17trampoline_kernelINS0_14default_configENS1_35radix_sort_onesweep_config_selectorIxNS0_10empty_typeEEEZZNS1_29radix_sort_onesweep_iterationIS3_Lb1EPxS8_PS5_S9_mNS0_19identity_decomposerENS1_16block_id_wrapperIjLb1EEEEE10hipError_tT1_PNSt15iterator_traitsISE_E10value_typeET2_T3_PNSF_ISK_E10value_typeET4_T5_PSP_SQ_PNS1_23onesweep_lookback_stateEbbT6_jjT7_P12ihipStream_tbENKUlT_T0_SE_SJ_E_clIS8_S8_S9_S9_EEDaSX_SY_SE_SJ_EUlSX_E_NS1_11comp_targetILNS1_3genE4ELNS1_11target_archE910ELNS1_3gpuE8ELNS1_3repE0EEENS1_47radix_sort_onesweep_sort_config_static_selectorELNS0_4arch9wavefront6targetE1EEEvSE_,"axG",@progbits,_ZN7rocprim17ROCPRIM_400000_NS6detail17trampoline_kernelINS0_14default_configENS1_35radix_sort_onesweep_config_selectorIxNS0_10empty_typeEEEZZNS1_29radix_sort_onesweep_iterationIS3_Lb1EPxS8_PS5_S9_mNS0_19identity_decomposerENS1_16block_id_wrapperIjLb1EEEEE10hipError_tT1_PNSt15iterator_traitsISE_E10value_typeET2_T3_PNSF_ISK_E10value_typeET4_T5_PSP_SQ_PNS1_23onesweep_lookback_stateEbbT6_jjT7_P12ihipStream_tbENKUlT_T0_SE_SJ_E_clIS8_S8_S9_S9_EEDaSX_SY_SE_SJ_EUlSX_E_NS1_11comp_targetILNS1_3genE4ELNS1_11target_archE910ELNS1_3gpuE8ELNS1_3repE0EEENS1_47radix_sort_onesweep_sort_config_static_selectorELNS0_4arch9wavefront6targetE1EEEvSE_,comdat
	.protected	_ZN7rocprim17ROCPRIM_400000_NS6detail17trampoline_kernelINS0_14default_configENS1_35radix_sort_onesweep_config_selectorIxNS0_10empty_typeEEEZZNS1_29radix_sort_onesweep_iterationIS3_Lb1EPxS8_PS5_S9_mNS0_19identity_decomposerENS1_16block_id_wrapperIjLb1EEEEE10hipError_tT1_PNSt15iterator_traitsISE_E10value_typeET2_T3_PNSF_ISK_E10value_typeET4_T5_PSP_SQ_PNS1_23onesweep_lookback_stateEbbT6_jjT7_P12ihipStream_tbENKUlT_T0_SE_SJ_E_clIS8_S8_S9_S9_EEDaSX_SY_SE_SJ_EUlSX_E_NS1_11comp_targetILNS1_3genE4ELNS1_11target_archE910ELNS1_3gpuE8ELNS1_3repE0EEENS1_47radix_sort_onesweep_sort_config_static_selectorELNS0_4arch9wavefront6targetE1EEEvSE_ ; -- Begin function _ZN7rocprim17ROCPRIM_400000_NS6detail17trampoline_kernelINS0_14default_configENS1_35radix_sort_onesweep_config_selectorIxNS0_10empty_typeEEEZZNS1_29radix_sort_onesweep_iterationIS3_Lb1EPxS8_PS5_S9_mNS0_19identity_decomposerENS1_16block_id_wrapperIjLb1EEEEE10hipError_tT1_PNSt15iterator_traitsISE_E10value_typeET2_T3_PNSF_ISK_E10value_typeET4_T5_PSP_SQ_PNS1_23onesweep_lookback_stateEbbT6_jjT7_P12ihipStream_tbENKUlT_T0_SE_SJ_E_clIS8_S8_S9_S9_EEDaSX_SY_SE_SJ_EUlSX_E_NS1_11comp_targetILNS1_3genE4ELNS1_11target_archE910ELNS1_3gpuE8ELNS1_3repE0EEENS1_47radix_sort_onesweep_sort_config_static_selectorELNS0_4arch9wavefront6targetE1EEEvSE_
	.globl	_ZN7rocprim17ROCPRIM_400000_NS6detail17trampoline_kernelINS0_14default_configENS1_35radix_sort_onesweep_config_selectorIxNS0_10empty_typeEEEZZNS1_29radix_sort_onesweep_iterationIS3_Lb1EPxS8_PS5_S9_mNS0_19identity_decomposerENS1_16block_id_wrapperIjLb1EEEEE10hipError_tT1_PNSt15iterator_traitsISE_E10value_typeET2_T3_PNSF_ISK_E10value_typeET4_T5_PSP_SQ_PNS1_23onesweep_lookback_stateEbbT6_jjT7_P12ihipStream_tbENKUlT_T0_SE_SJ_E_clIS8_S8_S9_S9_EEDaSX_SY_SE_SJ_EUlSX_E_NS1_11comp_targetILNS1_3genE4ELNS1_11target_archE910ELNS1_3gpuE8ELNS1_3repE0EEENS1_47radix_sort_onesweep_sort_config_static_selectorELNS0_4arch9wavefront6targetE1EEEvSE_
	.p2align	8
	.type	_ZN7rocprim17ROCPRIM_400000_NS6detail17trampoline_kernelINS0_14default_configENS1_35radix_sort_onesweep_config_selectorIxNS0_10empty_typeEEEZZNS1_29radix_sort_onesweep_iterationIS3_Lb1EPxS8_PS5_S9_mNS0_19identity_decomposerENS1_16block_id_wrapperIjLb1EEEEE10hipError_tT1_PNSt15iterator_traitsISE_E10value_typeET2_T3_PNSF_ISK_E10value_typeET4_T5_PSP_SQ_PNS1_23onesweep_lookback_stateEbbT6_jjT7_P12ihipStream_tbENKUlT_T0_SE_SJ_E_clIS8_S8_S9_S9_EEDaSX_SY_SE_SJ_EUlSX_E_NS1_11comp_targetILNS1_3genE4ELNS1_11target_archE910ELNS1_3gpuE8ELNS1_3repE0EEENS1_47radix_sort_onesweep_sort_config_static_selectorELNS0_4arch9wavefront6targetE1EEEvSE_,@function
_ZN7rocprim17ROCPRIM_400000_NS6detail17trampoline_kernelINS0_14default_configENS1_35radix_sort_onesweep_config_selectorIxNS0_10empty_typeEEEZZNS1_29radix_sort_onesweep_iterationIS3_Lb1EPxS8_PS5_S9_mNS0_19identity_decomposerENS1_16block_id_wrapperIjLb1EEEEE10hipError_tT1_PNSt15iterator_traitsISE_E10value_typeET2_T3_PNSF_ISK_E10value_typeET4_T5_PSP_SQ_PNS1_23onesweep_lookback_stateEbbT6_jjT7_P12ihipStream_tbENKUlT_T0_SE_SJ_E_clIS8_S8_S9_S9_EEDaSX_SY_SE_SJ_EUlSX_E_NS1_11comp_targetILNS1_3genE4ELNS1_11target_archE910ELNS1_3gpuE8ELNS1_3repE0EEENS1_47radix_sort_onesweep_sort_config_static_selectorELNS0_4arch9wavefront6targetE1EEEvSE_: ; @_ZN7rocprim17ROCPRIM_400000_NS6detail17trampoline_kernelINS0_14default_configENS1_35radix_sort_onesweep_config_selectorIxNS0_10empty_typeEEEZZNS1_29radix_sort_onesweep_iterationIS3_Lb1EPxS8_PS5_S9_mNS0_19identity_decomposerENS1_16block_id_wrapperIjLb1EEEEE10hipError_tT1_PNSt15iterator_traitsISE_E10value_typeET2_T3_PNSF_ISK_E10value_typeET4_T5_PSP_SQ_PNS1_23onesweep_lookback_stateEbbT6_jjT7_P12ihipStream_tbENKUlT_T0_SE_SJ_E_clIS8_S8_S9_S9_EEDaSX_SY_SE_SJ_EUlSX_E_NS1_11comp_targetILNS1_3genE4ELNS1_11target_archE910ELNS1_3gpuE8ELNS1_3repE0EEENS1_47radix_sort_onesweep_sort_config_static_selectorELNS0_4arch9wavefront6targetE1EEEvSE_
; %bb.0:
	s_load_dwordx4 s[16:19], s[4:5], 0x28
	s_load_dwordx2 s[14:15], s[4:5], 0x38
	s_load_dwordx4 s[20:23], s[4:5], 0x44
	v_and_b32_e32 v2, 0x3ff, v0
	v_cmp_eq_u32_e64 s[0:1], 0, v2
	s_and_saveexec_b64 s[2:3], s[0:1]
	s_cbranch_execz .LBB2388_4
; %bb.1:
	s_mov_b64 s[10:11], exec
	v_mbcnt_lo_u32_b32 v1, s10, 0
	v_mbcnt_hi_u32_b32 v1, s11, v1
	v_cmp_eq_u32_e32 vcc, 0, v1
                                        ; implicit-def: $vgpr3
	s_and_saveexec_b64 s[8:9], vcc
	s_cbranch_execz .LBB2388_3
; %bb.2:
	s_load_dwordx2 s[12:13], s[4:5], 0x50
	s_bcnt1_i32_b64 s7, s[10:11]
	v_mov_b32_e32 v3, 0
	v_mov_b32_e32 v4, s7
	s_waitcnt lgkmcnt(0)
	global_atomic_add v3, v3, v4, s[12:13] glc
.LBB2388_3:
	s_or_b64 exec, exec, s[8:9]
	s_waitcnt vmcnt(0)
	v_readfirstlane_b32 s7, v3
	v_add_u32_e32 v1, s7, v1
	v_mov_b32_e32 v3, 0
	ds_write_b32 v3, v1 offset:20544
.LBB2388_4:
	s_or_b64 exec, exec, s[2:3]
	v_mov_b32_e32 v1, 0
	s_load_dwordx4 s[24:27], s[4:5], 0x0
	s_load_dword s2, s[4:5], 0x20
	s_waitcnt lgkmcnt(0)
	s_barrier
	ds_read_b32 v1, v1 offset:20544
	v_mbcnt_lo_u32_b32 v29, -1, 0
	v_lshlrev_b32_e32 v28, 3, v2
	s_waitcnt lgkmcnt(0)
	s_barrier
	v_cmp_le_u32_e32 vcc, s22, v1
	v_readfirstlane_b32 s28, v1
	s_cbranch_vccz .LBB2388_65
; %bb.5:
	s_lshl_b32 s3, s22, 13
	s_lshl_b32 s8, s28, 13
	s_mov_b32 s9, 0
	s_sub_i32 s7, s2, s3
	s_lshl_b64 s[2:3], s[8:9], 3
	v_mbcnt_hi_u32_b32 v1, -1, v29
	s_add_u32 s2, s24, s2
	v_and_b32_e32 v3, 63, v1
	s_addc_u32 s3, s25, s3
	v_lshlrev_b32_e32 v5, 3, v3
	v_and_b32_e32 v4, 0x1e00, v28
	v_mov_b32_e32 v6, s3
	v_add_co_u32_e32 v5, vcc, s2, v5
	v_addc_co_u32_e32 v6, vcc, 0, v6, vcc
	v_lshlrev_b32_e32 v7, 3, v4
	v_add_co_u32_e32 v20, vcc, v5, v7
	v_addc_co_u32_e32 v21, vcc, 0, v6, vcc
	v_or_b32_e32 v3, v3, v4
	s_brev_b32 s3, 1
	s_mov_b32 s2, s9
	v_cmp_gt_u32_e32 vcc, s7, v3
	v_pk_mov_b32 v[4:5], s[2:3], s[2:3] op_sel:[0,1]
	s_and_saveexec_b64 s[8:9], vcc
	s_cbranch_execz .LBB2388_7
; %bb.6:
	global_load_dwordx2 v[4:5], v[20:21], off
.LBB2388_7:
	s_or_b64 exec, exec, s[8:9]
	v_or_b32_e32 v6, 64, v3
	v_cmp_gt_u32_e32 vcc, s7, v6
	v_pk_mov_b32 v[6:7], s[2:3], s[2:3] op_sel:[0,1]
	s_and_saveexec_b64 s[2:3], vcc
	s_cbranch_execz .LBB2388_9
; %bb.8:
	global_load_dwordx2 v[6:7], v[20:21], off offset:512
.LBB2388_9:
	s_or_b64 exec, exec, s[2:3]
	s_mov_b32 s2, 0
	v_or_b32_e32 v8, 0x80, v3
	s_brev_b32 s3, 1
	v_cmp_gt_u32_e32 vcc, s7, v8
	v_pk_mov_b32 v[8:9], s[2:3], s[2:3] op_sel:[0,1]
	s_and_saveexec_b64 s[8:9], vcc
	s_cbranch_execz .LBB2388_11
; %bb.10:
	global_load_dwordx2 v[8:9], v[20:21], off offset:1024
.LBB2388_11:
	s_or_b64 exec, exec, s[8:9]
	v_or_b32_e32 v10, 0xc0, v3
	v_cmp_gt_u32_e32 vcc, s7, v10
	v_pk_mov_b32 v[10:11], s[2:3], s[2:3] op_sel:[0,1]
	s_and_saveexec_b64 s[2:3], vcc
	s_cbranch_execz .LBB2388_13
; %bb.12:
	global_load_dwordx2 v[10:11], v[20:21], off offset:1536
.LBB2388_13:
	s_or_b64 exec, exec, s[2:3]
	s_mov_b32 s2, 0
	v_or_b32_e32 v12, 0x100, v3
	s_brev_b32 s3, 1
	v_cmp_gt_u32_e32 vcc, s7, v12
	v_pk_mov_b32 v[12:13], s[2:3], s[2:3] op_sel:[0,1]
	s_and_saveexec_b64 s[8:9], vcc
	s_cbranch_execz .LBB2388_15
; %bb.14:
	global_load_dwordx2 v[12:13], v[20:21], off offset:2048
.LBB2388_15:
	;; [unrolled: 20-line block ×3, first 2 shown]
	s_or_b64 exec, exec, s[8:9]
	v_or_b32_e32 v3, 0x1c0, v3
	v_cmp_gt_u32_e32 vcc, s7, v3
	v_pk_mov_b32 v[14:15], s[2:3], s[2:3] op_sel:[0,1]
	s_and_saveexec_b64 s[2:3], vcc
	s_cbranch_execz .LBB2388_21
; %bb.20:
	global_load_dwordx2 v[14:15], v[20:21], off offset:3584
.LBB2388_21:
	s_or_b64 exec, exec, s[2:3]
	s_load_dword s2, s[4:5], 0x64
	s_load_dword s29, s[4:5], 0x58
	s_add_u32 s3, s4, 0x58
	s_addc_u32 s8, s5, 0
	v_mov_b32_e32 v20, 0
	s_waitcnt lgkmcnt(0)
	s_lshr_b32 s9, s2, 16
	s_cmp_lt_u32 s6, s29
	s_cselect_b32 s2, 12, 18
	s_add_u32 s2, s3, s2
	s_addc_u32 s3, s8, 0
	global_load_ushort v24, v20, s[2:3]
	s_waitcnt vmcnt(1)
	v_xor_b32_e32 v5, 0x7fffffff, v5
	v_not_b32_e32 v4, v4
	s_lshl_b32 s2, -1, s21
	v_lshrrev_b64 v[22:23], s20, v[4:5]
	s_not_b32 s30, s2
	v_and_b32_e32 v22, s30, v22
	v_and_b32_e32 v26, 1, v22
	v_bfe_u32 v21, v0, 10, 10
	v_bfe_u32 v25, v0, 20, 10
	v_add_co_u32_e32 v27, vcc, -1, v26
	v_mad_u32_u24 v23, v25, s9, v21
	v_lshlrev_b32_e32 v21, 30, v22
	v_addc_co_u32_e64 v30, s[2:3], 0, -1, vcc
	v_cmp_ne_u32_e32 vcc, 0, v26
	v_cmp_gt_i64_e64 s[2:3], 0, v[20:21]
	v_not_b32_e32 v26, v21
	v_lshlrev_b32_e32 v21, 29, v22
	v_xor_b32_e32 v30, vcc_hi, v30
	v_xor_b32_e32 v27, vcc_lo, v27
	v_ashrrev_i32_e32 v26, 31, v26
	v_cmp_gt_i64_e32 vcc, 0, v[20:21]
	v_not_b32_e32 v31, v21
	v_lshlrev_b32_e32 v21, 28, v22
	v_and_b32_e32 v30, exec_hi, v30
	v_and_b32_e32 v27, exec_lo, v27
	v_xor_b32_e32 v32, s3, v26
	v_xor_b32_e32 v26, s2, v26
	v_ashrrev_i32_e32 v31, 31, v31
	v_cmp_gt_i64_e64 s[2:3], 0, v[20:21]
	v_not_b32_e32 v33, v21
	v_lshlrev_b32_e32 v21, 27, v22
	v_and_b32_e32 v30, v30, v32
	v_and_b32_e32 v26, v27, v26
	v_xor_b32_e32 v27, vcc_hi, v31
	v_xor_b32_e32 v31, vcc_lo, v31
	v_ashrrev_i32_e32 v32, 31, v33
	v_cmp_gt_i64_e32 vcc, 0, v[20:21]
	v_not_b32_e32 v33, v21
	v_lshlrev_b32_e32 v21, 26, v22
	v_and_b32_e32 v27, v30, v27
	v_and_b32_e32 v26, v26, v31
	v_xor_b32_e32 v30, s3, v32
	v_xor_b32_e32 v31, s2, v32
	v_ashrrev_i32_e32 v32, 31, v33
	v_cmp_gt_i64_e64 s[2:3], 0, v[20:21]
	v_not_b32_e32 v33, v21
	v_lshlrev_b32_e32 v21, 25, v22
	v_and_b32_e32 v27, v27, v30
	v_and_b32_e32 v26, v26, v31
	v_xor_b32_e32 v30, vcc_hi, v32
	v_xor_b32_e32 v31, vcc_lo, v32
	v_ashrrev_i32_e32 v32, 31, v33
	v_not_b32_e32 v33, v21
	v_mul_u32_u24_e32 v3, 5, v2
	v_lshl_add_u32 v25, v22, 4, v22
	v_cmp_gt_i64_e32 vcc, 0, v[20:21]
	v_lshlrev_b32_e32 v21, 24, v22
	v_and_b32_e32 v22, v27, v30
	v_and_b32_e32 v26, v26, v31
	v_xor_b32_e32 v27, s3, v32
	v_ashrrev_i32_e32 v31, 31, v33
	v_lshlrev_b32_e32 v3, 2, v3
	v_xor_b32_e32 v30, s2, v32
	v_cmp_gt_i64_e64 s[2:3], 0, v[20:21]
	v_and_b32_e32 v22, v22, v27
	v_xor_b32_e32 v27, vcc_hi, v31
	v_not_b32_e32 v21, v21
	v_and_b32_e32 v26, v26, v30
	v_xor_b32_e32 v30, vcc_lo, v31
	v_and_b32_e32 v31, v22, v27
	v_ashrrev_i32_e32 v21, 31, v21
	v_and_b32_e32 v26, v26, v30
	ds_write2_b32 v3, v20, v20 offset0:16 offset1:17
	ds_write2_b32 v3, v20, v20 offset0:18 offset1:19
	ds_write_b32 v3, v20 offset:80
	s_waitcnt lgkmcnt(0)
	s_barrier
	s_waitcnt vmcnt(0)
	v_mad_u64_u32 v[22:23], s[8:9], v23, v24, v[2:3]
	v_lshrrev_b32_e32 v27, 6, v22
	v_xor_b32_e32 v22, s3, v21
	v_xor_b32_e32 v21, s2, v21
	v_and_b32_e32 v23, v31, v22
	v_and_b32_e32 v22, v26, v21
	v_mbcnt_lo_u32_b32 v21, v22, 0
	v_mbcnt_hi_u32_b32 v30, v23, v21
	v_cmp_eq_u32_e32 vcc, 0, v30
	v_cmp_ne_u64_e64 s[2:3], 0, v[22:23]
	v_add_lshl_u32 v24, v27, v25, 2
	s_and_b64 s[8:9], s[2:3], vcc
	; wave barrier
	s_and_saveexec_b64 s[2:3], s[8:9]
	s_cbranch_execz .LBB2388_23
; %bb.22:
	v_bcnt_u32_b32 v21, v22, 0
	v_bcnt_u32_b32 v21, v23, v21
	ds_write_b32 v24, v21 offset:64
.LBB2388_23:
	s_or_b64 exec, exec, s[2:3]
	v_xor_b32_e32 v7, 0x7fffffff, v7
	v_not_b32_e32 v6, v6
	v_lshrrev_b64 v[22:23], s20, v[6:7]
	v_and_b32_e32 v22, s30, v22
	v_lshl_add_u32 v21, v22, 4, v22
	v_add_lshl_u32 v25, v27, v21, 2
	v_and_b32_e32 v21, 1, v22
	v_add_co_u32_e32 v23, vcc, -1, v21
	v_addc_co_u32_e64 v26, s[2:3], 0, -1, vcc
	v_cmp_ne_u32_e32 vcc, 0, v21
	v_xor_b32_e32 v21, vcc_hi, v26
	v_and_b32_e32 v26, exec_hi, v21
	v_lshlrev_b32_e32 v21, 30, v22
	v_xor_b32_e32 v23, vcc_lo, v23
	v_cmp_gt_i64_e32 vcc, 0, v[20:21]
	v_not_b32_e32 v21, v21
	v_ashrrev_i32_e32 v21, 31, v21
	v_and_b32_e32 v23, exec_lo, v23
	v_xor_b32_e32 v32, vcc_hi, v21
	v_xor_b32_e32 v21, vcc_lo, v21
	v_and_b32_e32 v23, v23, v21
	v_lshlrev_b32_e32 v21, 29, v22
	v_cmp_gt_i64_e32 vcc, 0, v[20:21]
	v_not_b32_e32 v21, v21
	v_ashrrev_i32_e32 v21, 31, v21
	v_and_b32_e32 v26, v26, v32
	v_xor_b32_e32 v32, vcc_hi, v21
	v_xor_b32_e32 v21, vcc_lo, v21
	v_and_b32_e32 v23, v23, v21
	v_lshlrev_b32_e32 v21, 28, v22
	v_cmp_gt_i64_e32 vcc, 0, v[20:21]
	v_not_b32_e32 v21, v21
	v_ashrrev_i32_e32 v21, 31, v21
	v_and_b32_e32 v26, v26, v32
	;; [unrolled: 8-line block ×5, first 2 shown]
	v_xor_b32_e32 v32, vcc_hi, v21
	v_xor_b32_e32 v21, vcc_lo, v21
	v_and_b32_e32 v23, v23, v21
	v_lshlrev_b32_e32 v21, 24, v22
	v_cmp_gt_i64_e32 vcc, 0, v[20:21]
	v_not_b32_e32 v20, v21
	v_ashrrev_i32_e32 v20, 31, v20
	v_xor_b32_e32 v21, vcc_hi, v20
	v_xor_b32_e32 v20, vcc_lo, v20
	; wave barrier
	ds_read_b32 v31, v25 offset:64
	v_and_b32_e32 v26, v26, v32
	v_and_b32_e32 v20, v23, v20
	;; [unrolled: 1-line block ×3, first 2 shown]
	v_mbcnt_lo_u32_b32 v22, v20, 0
	v_mbcnt_hi_u32_b32 v32, v21, v22
	v_cmp_eq_u32_e32 vcc, 0, v32
	v_cmp_ne_u64_e64 s[2:3], 0, v[20:21]
	s_and_b64 s[8:9], s[2:3], vcc
	; wave barrier
	s_and_saveexec_b64 s[2:3], s[8:9]
	s_cbranch_execz .LBB2388_25
; %bb.24:
	v_bcnt_u32_b32 v20, v20, 0
	v_bcnt_u32_b32 v20, v21, v20
	s_waitcnt lgkmcnt(0)
	v_add_u32_e32 v20, v31, v20
	ds_write_b32 v25, v20 offset:64
.LBB2388_25:
	s_or_b64 exec, exec, s[2:3]
	v_xor_b32_e32 v9, 0x7fffffff, v9
	v_not_b32_e32 v8, v8
	v_lshrrev_b64 v[20:21], s20, v[8:9]
	v_and_b32_e32 v22, s30, v20
	v_and_b32_e32 v21, 1, v22
	v_add_co_u32_e32 v23, vcc, -1, v21
	v_addc_co_u32_e64 v34, s[2:3], 0, -1, vcc
	v_cmp_ne_u32_e32 vcc, 0, v21
	v_lshl_add_u32 v20, v22, 4, v22
	v_xor_b32_e32 v21, vcc_hi, v34
	v_add_lshl_u32 v26, v27, v20, 2
	v_mov_b32_e32 v20, 0
	v_and_b32_e32 v34, exec_hi, v21
	v_lshlrev_b32_e32 v21, 30, v22
	v_xor_b32_e32 v23, vcc_lo, v23
	v_cmp_gt_i64_e32 vcc, 0, v[20:21]
	v_not_b32_e32 v21, v21
	v_ashrrev_i32_e32 v21, 31, v21
	v_and_b32_e32 v23, exec_lo, v23
	v_xor_b32_e32 v35, vcc_hi, v21
	v_xor_b32_e32 v21, vcc_lo, v21
	v_and_b32_e32 v23, v23, v21
	v_lshlrev_b32_e32 v21, 29, v22
	v_cmp_gt_i64_e32 vcc, 0, v[20:21]
	v_not_b32_e32 v21, v21
	v_ashrrev_i32_e32 v21, 31, v21
	v_and_b32_e32 v34, v34, v35
	v_xor_b32_e32 v35, vcc_hi, v21
	v_xor_b32_e32 v21, vcc_lo, v21
	v_and_b32_e32 v23, v23, v21
	v_lshlrev_b32_e32 v21, 28, v22
	v_cmp_gt_i64_e32 vcc, 0, v[20:21]
	v_not_b32_e32 v21, v21
	v_ashrrev_i32_e32 v21, 31, v21
	v_and_b32_e32 v34, v34, v35
	;; [unrolled: 8-line block ×5, first 2 shown]
	v_xor_b32_e32 v35, vcc_hi, v21
	v_xor_b32_e32 v21, vcc_lo, v21
	v_and_b32_e32 v34, v34, v35
	v_and_b32_e32 v35, v23, v21
	v_lshlrev_b32_e32 v21, 24, v22
	v_cmp_gt_i64_e32 vcc, 0, v[20:21]
	v_not_b32_e32 v21, v21
	v_ashrrev_i32_e32 v21, 31, v21
	v_xor_b32_e32 v22, vcc_hi, v21
	v_xor_b32_e32 v21, vcc_lo, v21
	; wave barrier
	ds_read_b32 v33, v26 offset:64
	v_and_b32_e32 v23, v34, v22
	v_and_b32_e32 v22, v35, v21
	v_mbcnt_lo_u32_b32 v21, v22, 0
	v_mbcnt_hi_u32_b32 v34, v23, v21
	v_cmp_eq_u32_e32 vcc, 0, v34
	v_cmp_ne_u64_e64 s[2:3], 0, v[22:23]
	s_and_b64 s[8:9], s[2:3], vcc
	; wave barrier
	s_and_saveexec_b64 s[2:3], s[8:9]
	s_cbranch_execz .LBB2388_27
; %bb.26:
	v_bcnt_u32_b32 v21, v22, 0
	v_bcnt_u32_b32 v21, v23, v21
	s_waitcnt lgkmcnt(0)
	v_add_u32_e32 v21, v33, v21
	ds_write_b32 v26, v21 offset:64
.LBB2388_27:
	s_or_b64 exec, exec, s[2:3]
	v_xor_b32_e32 v11, 0x7fffffff, v11
	v_not_b32_e32 v10, v10
	v_lshrrev_b64 v[22:23], s20, v[10:11]
	v_and_b32_e32 v22, s30, v22
	v_lshl_add_u32 v21, v22, 4, v22
	v_add_lshl_u32 v38, v27, v21, 2
	v_and_b32_e32 v21, 1, v22
	v_add_co_u32_e32 v23, vcc, -1, v21
	v_addc_co_u32_e64 v36, s[2:3], 0, -1, vcc
	v_cmp_ne_u32_e32 vcc, 0, v21
	v_xor_b32_e32 v21, vcc_hi, v36
	v_and_b32_e32 v36, exec_hi, v21
	v_lshlrev_b32_e32 v21, 30, v22
	v_xor_b32_e32 v23, vcc_lo, v23
	v_cmp_gt_i64_e32 vcc, 0, v[20:21]
	v_not_b32_e32 v21, v21
	v_ashrrev_i32_e32 v21, 31, v21
	v_and_b32_e32 v23, exec_lo, v23
	v_xor_b32_e32 v37, vcc_hi, v21
	v_xor_b32_e32 v21, vcc_lo, v21
	v_and_b32_e32 v23, v23, v21
	v_lshlrev_b32_e32 v21, 29, v22
	v_cmp_gt_i64_e32 vcc, 0, v[20:21]
	v_not_b32_e32 v21, v21
	v_ashrrev_i32_e32 v21, 31, v21
	v_and_b32_e32 v36, v36, v37
	v_xor_b32_e32 v37, vcc_hi, v21
	v_xor_b32_e32 v21, vcc_lo, v21
	v_and_b32_e32 v23, v23, v21
	v_lshlrev_b32_e32 v21, 28, v22
	v_cmp_gt_i64_e32 vcc, 0, v[20:21]
	v_not_b32_e32 v21, v21
	v_ashrrev_i32_e32 v21, 31, v21
	v_and_b32_e32 v36, v36, v37
	v_xor_b32_e32 v37, vcc_hi, v21
	v_xor_b32_e32 v21, vcc_lo, v21
	v_and_b32_e32 v23, v23, v21
	v_lshlrev_b32_e32 v21, 27, v22
	v_cmp_gt_i64_e32 vcc, 0, v[20:21]
	v_not_b32_e32 v21, v21
	v_ashrrev_i32_e32 v21, 31, v21
	v_and_b32_e32 v36, v36, v37
	v_xor_b32_e32 v37, vcc_hi, v21
	v_xor_b32_e32 v21, vcc_lo, v21
	v_and_b32_e32 v23, v23, v21
	v_lshlrev_b32_e32 v21, 26, v22
	v_cmp_gt_i64_e32 vcc, 0, v[20:21]
	v_not_b32_e32 v21, v21
	v_ashrrev_i32_e32 v21, 31, v21
	v_and_b32_e32 v36, v36, v37
	v_xor_b32_e32 v37, vcc_hi, v21
	v_xor_b32_e32 v21, vcc_lo, v21
	v_and_b32_e32 v23, v23, v21
	v_lshlrev_b32_e32 v21, 25, v22
	v_cmp_gt_i64_e32 vcc, 0, v[20:21]
	v_not_b32_e32 v21, v21
	v_ashrrev_i32_e32 v21, 31, v21
	v_and_b32_e32 v36, v36, v37
	v_xor_b32_e32 v37, vcc_hi, v21
	v_xor_b32_e32 v21, vcc_lo, v21
	v_and_b32_e32 v23, v23, v21
	v_lshlrev_b32_e32 v21, 24, v22
	v_cmp_gt_i64_e32 vcc, 0, v[20:21]
	v_not_b32_e32 v20, v21
	v_ashrrev_i32_e32 v20, 31, v20
	v_xor_b32_e32 v21, vcc_hi, v20
	v_xor_b32_e32 v20, vcc_lo, v20
	; wave barrier
	ds_read_b32 v35, v38 offset:64
	v_and_b32_e32 v36, v36, v37
	v_and_b32_e32 v20, v23, v20
	;; [unrolled: 1-line block ×3, first 2 shown]
	v_mbcnt_lo_u32_b32 v22, v20, 0
	v_mbcnt_hi_u32_b32 v36, v21, v22
	v_cmp_eq_u32_e32 vcc, 0, v36
	v_cmp_ne_u64_e64 s[2:3], 0, v[20:21]
	s_and_b64 s[8:9], s[2:3], vcc
	; wave barrier
	s_and_saveexec_b64 s[2:3], s[8:9]
	s_cbranch_execz .LBB2388_29
; %bb.28:
	v_bcnt_u32_b32 v20, v20, 0
	v_bcnt_u32_b32 v20, v21, v20
	s_waitcnt lgkmcnt(0)
	v_add_u32_e32 v20, v35, v20
	ds_write_b32 v38, v20 offset:64
.LBB2388_29:
	s_or_b64 exec, exec, s[2:3]
	v_xor_b32_e32 v13, 0x7fffffff, v13
	v_not_b32_e32 v12, v12
	v_lshrrev_b64 v[20:21], s20, v[12:13]
	v_and_b32_e32 v22, s30, v20
	v_and_b32_e32 v21, 1, v22
	v_add_co_u32_e32 v23, vcc, -1, v21
	v_addc_co_u32_e64 v39, s[2:3], 0, -1, vcc
	v_cmp_ne_u32_e32 vcc, 0, v21
	v_lshl_add_u32 v20, v22, 4, v22
	v_xor_b32_e32 v21, vcc_hi, v39
	v_add_lshl_u32 v42, v27, v20, 2
	v_mov_b32_e32 v20, 0
	v_and_b32_e32 v39, exec_hi, v21
	v_lshlrev_b32_e32 v21, 30, v22
	v_xor_b32_e32 v23, vcc_lo, v23
	v_cmp_gt_i64_e32 vcc, 0, v[20:21]
	v_not_b32_e32 v21, v21
	v_ashrrev_i32_e32 v21, 31, v21
	v_and_b32_e32 v23, exec_lo, v23
	v_xor_b32_e32 v40, vcc_hi, v21
	v_xor_b32_e32 v21, vcc_lo, v21
	v_and_b32_e32 v23, v23, v21
	v_lshlrev_b32_e32 v21, 29, v22
	v_cmp_gt_i64_e32 vcc, 0, v[20:21]
	v_not_b32_e32 v21, v21
	v_ashrrev_i32_e32 v21, 31, v21
	v_and_b32_e32 v39, v39, v40
	v_xor_b32_e32 v40, vcc_hi, v21
	v_xor_b32_e32 v21, vcc_lo, v21
	v_and_b32_e32 v23, v23, v21
	v_lshlrev_b32_e32 v21, 28, v22
	v_cmp_gt_i64_e32 vcc, 0, v[20:21]
	v_not_b32_e32 v21, v21
	v_ashrrev_i32_e32 v21, 31, v21
	v_and_b32_e32 v39, v39, v40
	v_xor_b32_e32 v40, vcc_hi, v21
	v_xor_b32_e32 v21, vcc_lo, v21
	v_and_b32_e32 v23, v23, v21
	v_lshlrev_b32_e32 v21, 27, v22
	v_cmp_gt_i64_e32 vcc, 0, v[20:21]
	v_not_b32_e32 v21, v21
	v_ashrrev_i32_e32 v21, 31, v21
	v_and_b32_e32 v39, v39, v40
	v_xor_b32_e32 v40, vcc_hi, v21
	v_xor_b32_e32 v21, vcc_lo, v21
	v_and_b32_e32 v23, v23, v21
	v_lshlrev_b32_e32 v21, 26, v22
	v_cmp_gt_i64_e32 vcc, 0, v[20:21]
	v_not_b32_e32 v21, v21
	v_ashrrev_i32_e32 v21, 31, v21
	v_and_b32_e32 v39, v39, v40
	v_xor_b32_e32 v40, vcc_hi, v21
	v_xor_b32_e32 v21, vcc_lo, v21
	v_and_b32_e32 v23, v23, v21
	v_lshlrev_b32_e32 v21, 25, v22
	v_cmp_gt_i64_e32 vcc, 0, v[20:21]
	v_not_b32_e32 v21, v21
	v_ashrrev_i32_e32 v21, 31, v21
	v_and_b32_e32 v39, v39, v40
	v_xor_b32_e32 v40, vcc_hi, v21
	v_xor_b32_e32 v21, vcc_lo, v21
	v_and_b32_e32 v39, v39, v40
	v_and_b32_e32 v40, v23, v21
	v_lshlrev_b32_e32 v21, 24, v22
	v_cmp_gt_i64_e32 vcc, 0, v[20:21]
	v_not_b32_e32 v21, v21
	v_ashrrev_i32_e32 v21, 31, v21
	v_xor_b32_e32 v22, vcc_hi, v21
	v_xor_b32_e32 v21, vcc_lo, v21
	; wave barrier
	ds_read_b32 v37, v42 offset:64
	v_and_b32_e32 v23, v39, v22
	v_and_b32_e32 v22, v40, v21
	v_mbcnt_lo_u32_b32 v21, v22, 0
	v_mbcnt_hi_u32_b32 v39, v23, v21
	v_cmp_eq_u32_e32 vcc, 0, v39
	v_cmp_ne_u64_e64 s[2:3], 0, v[22:23]
	s_and_b64 s[8:9], s[2:3], vcc
	; wave barrier
	s_and_saveexec_b64 s[2:3], s[8:9]
	s_cbranch_execz .LBB2388_31
; %bb.30:
	v_bcnt_u32_b32 v21, v22, 0
	v_bcnt_u32_b32 v21, v23, v21
	s_waitcnt lgkmcnt(0)
	v_add_u32_e32 v21, v37, v21
	ds_write_b32 v42, v21 offset:64
.LBB2388_31:
	s_or_b64 exec, exec, s[2:3]
	v_xor_b32_e32 v17, 0x7fffffff, v17
	v_not_b32_e32 v16, v16
	v_lshrrev_b64 v[22:23], s20, v[16:17]
	v_and_b32_e32 v22, s30, v22
	v_lshl_add_u32 v21, v22, 4, v22
	v_add_lshl_u32 v45, v27, v21, 2
	v_and_b32_e32 v21, 1, v22
	v_add_co_u32_e32 v23, vcc, -1, v21
	v_addc_co_u32_e64 v41, s[2:3], 0, -1, vcc
	v_cmp_ne_u32_e32 vcc, 0, v21
	v_xor_b32_e32 v21, vcc_hi, v41
	v_and_b32_e32 v41, exec_hi, v21
	v_lshlrev_b32_e32 v21, 30, v22
	v_xor_b32_e32 v23, vcc_lo, v23
	v_cmp_gt_i64_e32 vcc, 0, v[20:21]
	v_not_b32_e32 v21, v21
	v_ashrrev_i32_e32 v21, 31, v21
	v_and_b32_e32 v23, exec_lo, v23
	v_xor_b32_e32 v43, vcc_hi, v21
	v_xor_b32_e32 v21, vcc_lo, v21
	v_and_b32_e32 v23, v23, v21
	v_lshlrev_b32_e32 v21, 29, v22
	v_cmp_gt_i64_e32 vcc, 0, v[20:21]
	v_not_b32_e32 v21, v21
	v_ashrrev_i32_e32 v21, 31, v21
	v_and_b32_e32 v41, v41, v43
	v_xor_b32_e32 v43, vcc_hi, v21
	v_xor_b32_e32 v21, vcc_lo, v21
	v_and_b32_e32 v23, v23, v21
	v_lshlrev_b32_e32 v21, 28, v22
	v_cmp_gt_i64_e32 vcc, 0, v[20:21]
	v_not_b32_e32 v21, v21
	v_ashrrev_i32_e32 v21, 31, v21
	v_and_b32_e32 v41, v41, v43
	;; [unrolled: 8-line block ×5, first 2 shown]
	v_xor_b32_e32 v43, vcc_hi, v21
	v_xor_b32_e32 v21, vcc_lo, v21
	v_and_b32_e32 v23, v23, v21
	v_lshlrev_b32_e32 v21, 24, v22
	v_cmp_gt_i64_e32 vcc, 0, v[20:21]
	v_not_b32_e32 v20, v21
	v_ashrrev_i32_e32 v20, 31, v20
	v_xor_b32_e32 v21, vcc_hi, v20
	v_xor_b32_e32 v20, vcc_lo, v20
	; wave barrier
	ds_read_b32 v40, v45 offset:64
	v_and_b32_e32 v41, v41, v43
	v_and_b32_e32 v20, v23, v20
	;; [unrolled: 1-line block ×3, first 2 shown]
	v_mbcnt_lo_u32_b32 v22, v20, 0
	v_mbcnt_hi_u32_b32 v41, v21, v22
	v_cmp_eq_u32_e32 vcc, 0, v41
	v_cmp_ne_u64_e64 s[2:3], 0, v[20:21]
	s_and_b64 s[8:9], s[2:3], vcc
	; wave barrier
	s_and_saveexec_b64 s[2:3], s[8:9]
	s_cbranch_execz .LBB2388_33
; %bb.32:
	v_bcnt_u32_b32 v20, v20, 0
	v_bcnt_u32_b32 v20, v21, v20
	s_waitcnt lgkmcnt(0)
	v_add_u32_e32 v20, v40, v20
	ds_write_b32 v45, v20 offset:64
.LBB2388_33:
	s_or_b64 exec, exec, s[2:3]
	v_xor_b32_e32 v21, 0x7fffffff, v19
	v_not_b32_e32 v20, v18
	v_lshrrev_b64 v[18:19], s20, v[20:21]
	v_and_b32_e32 v22, s30, v18
	v_and_b32_e32 v19, 1, v22
	v_add_co_u32_e32 v23, vcc, -1, v19
	v_addc_co_u32_e64 v44, s[2:3], 0, -1, vcc
	v_cmp_ne_u32_e32 vcc, 0, v19
	v_lshl_add_u32 v18, v22, 4, v22
	v_xor_b32_e32 v19, vcc_hi, v44
	v_add_lshl_u32 v47, v27, v18, 2
	v_mov_b32_e32 v18, 0
	v_and_b32_e32 v44, exec_hi, v19
	v_lshlrev_b32_e32 v19, 30, v22
	v_xor_b32_e32 v23, vcc_lo, v23
	v_cmp_gt_i64_e32 vcc, 0, v[18:19]
	v_not_b32_e32 v19, v19
	v_ashrrev_i32_e32 v19, 31, v19
	v_and_b32_e32 v23, exec_lo, v23
	v_xor_b32_e32 v46, vcc_hi, v19
	v_xor_b32_e32 v19, vcc_lo, v19
	v_and_b32_e32 v23, v23, v19
	v_lshlrev_b32_e32 v19, 29, v22
	v_cmp_gt_i64_e32 vcc, 0, v[18:19]
	v_not_b32_e32 v19, v19
	v_ashrrev_i32_e32 v19, 31, v19
	v_and_b32_e32 v44, v44, v46
	v_xor_b32_e32 v46, vcc_hi, v19
	v_xor_b32_e32 v19, vcc_lo, v19
	v_and_b32_e32 v23, v23, v19
	v_lshlrev_b32_e32 v19, 28, v22
	v_cmp_gt_i64_e32 vcc, 0, v[18:19]
	v_not_b32_e32 v19, v19
	v_ashrrev_i32_e32 v19, 31, v19
	v_and_b32_e32 v44, v44, v46
	;; [unrolled: 8-line block ×5, first 2 shown]
	v_xor_b32_e32 v46, vcc_hi, v19
	v_xor_b32_e32 v19, vcc_lo, v19
	v_and_b32_e32 v44, v44, v46
	v_and_b32_e32 v46, v23, v19
	v_lshlrev_b32_e32 v19, 24, v22
	v_cmp_gt_i64_e32 vcc, 0, v[18:19]
	v_not_b32_e32 v19, v19
	v_ashrrev_i32_e32 v19, 31, v19
	v_xor_b32_e32 v22, vcc_hi, v19
	v_xor_b32_e32 v19, vcc_lo, v19
	; wave barrier
	ds_read_b32 v43, v47 offset:64
	v_and_b32_e32 v23, v44, v22
	v_and_b32_e32 v22, v46, v19
	v_mbcnt_lo_u32_b32 v19, v22, 0
	v_mbcnt_hi_u32_b32 v44, v23, v19
	v_cmp_eq_u32_e32 vcc, 0, v44
	v_cmp_ne_u64_e64 s[2:3], 0, v[22:23]
	s_and_b64 s[8:9], s[2:3], vcc
	; wave barrier
	s_and_saveexec_b64 s[2:3], s[8:9]
	s_cbranch_execz .LBB2388_35
; %bb.34:
	v_bcnt_u32_b32 v19, v22, 0
	v_bcnt_u32_b32 v19, v23, v19
	s_waitcnt lgkmcnt(0)
	v_add_u32_e32 v19, v43, v19
	ds_write_b32 v47, v19 offset:64
.LBB2388_35:
	s_or_b64 exec, exec, s[2:3]
	v_xor_b32_e32 v15, 0x7fffffff, v15
	v_not_b32_e32 v14, v14
	v_lshrrev_b64 v[22:23], s20, v[14:15]
	v_and_b32_e32 v22, s30, v22
	v_lshl_add_u32 v19, v22, 4, v22
	v_add_lshl_u32 v27, v27, v19, 2
	v_and_b32_e32 v19, 1, v22
	v_add_co_u32_e32 v23, vcc, -1, v19
	v_addc_co_u32_e64 v48, s[2:3], 0, -1, vcc
	v_cmp_ne_u32_e32 vcc, 0, v19
	v_xor_b32_e32 v19, vcc_hi, v48
	v_and_b32_e32 v48, exec_hi, v19
	v_lshlrev_b32_e32 v19, 30, v22
	v_xor_b32_e32 v23, vcc_lo, v23
	v_cmp_gt_i64_e32 vcc, 0, v[18:19]
	v_not_b32_e32 v19, v19
	v_ashrrev_i32_e32 v19, 31, v19
	v_and_b32_e32 v23, exec_lo, v23
	v_xor_b32_e32 v50, vcc_hi, v19
	v_xor_b32_e32 v19, vcc_lo, v19
	v_and_b32_e32 v23, v23, v19
	v_lshlrev_b32_e32 v19, 29, v22
	v_cmp_gt_i64_e32 vcc, 0, v[18:19]
	v_not_b32_e32 v19, v19
	v_ashrrev_i32_e32 v19, 31, v19
	v_and_b32_e32 v48, v48, v50
	v_xor_b32_e32 v50, vcc_hi, v19
	v_xor_b32_e32 v19, vcc_lo, v19
	v_and_b32_e32 v23, v23, v19
	v_lshlrev_b32_e32 v19, 28, v22
	v_cmp_gt_i64_e32 vcc, 0, v[18:19]
	v_not_b32_e32 v19, v19
	v_ashrrev_i32_e32 v19, 31, v19
	v_and_b32_e32 v48, v48, v50
	;; [unrolled: 8-line block ×5, first 2 shown]
	v_xor_b32_e32 v50, vcc_hi, v19
	v_xor_b32_e32 v19, vcc_lo, v19
	v_and_b32_e32 v23, v23, v19
	v_lshlrev_b32_e32 v19, 24, v22
	v_cmp_gt_i64_e32 vcc, 0, v[18:19]
	v_not_b32_e32 v18, v19
	v_ashrrev_i32_e32 v18, 31, v18
	v_xor_b32_e32 v19, vcc_hi, v18
	v_xor_b32_e32 v18, vcc_lo, v18
	; wave barrier
	ds_read_b32 v46, v27 offset:64
	v_and_b32_e32 v48, v48, v50
	v_and_b32_e32 v18, v23, v18
	;; [unrolled: 1-line block ×3, first 2 shown]
	v_mbcnt_lo_u32_b32 v22, v18, 0
	v_mbcnt_hi_u32_b32 v48, v19, v22
	v_cmp_eq_u32_e32 vcc, 0, v48
	v_cmp_ne_u64_e64 s[2:3], 0, v[18:19]
	v_add_u32_e32 v49, 64, v3
	s_and_b64 s[8:9], s[2:3], vcc
	; wave barrier
	s_and_saveexec_b64 s[2:3], s[8:9]
	s_cbranch_execz .LBB2388_37
; %bb.36:
	v_bcnt_u32_b32 v18, v18, 0
	v_bcnt_u32_b32 v18, v19, v18
	s_waitcnt lgkmcnt(0)
	v_add_u32_e32 v18, v46, v18
	ds_write_b32 v27, v18 offset:64
.LBB2388_37:
	s_or_b64 exec, exec, s[2:3]
	; wave barrier
	s_waitcnt lgkmcnt(0)
	s_barrier
	ds_read2_b32 v[22:23], v3 offset0:16 offset1:17
	ds_read2_b32 v[18:19], v49 offset0:2 offset1:3
	ds_read_b32 v50, v49 offset:16
	v_cmp_lt_u32_e64 s[12:13], 31, v1
	s_waitcnt lgkmcnt(1)
	v_add3_u32 v51, v23, v22, v18
	s_waitcnt lgkmcnt(0)
	v_add3_u32 v50, v51, v19, v50
	v_and_b32_e32 v51, 15, v1
	v_cmp_eq_u32_e32 vcc, 0, v51
	v_mov_b32_dpp v52, v50 row_shr:1 row_mask:0xf bank_mask:0xf
	v_cndmask_b32_e64 v52, v52, 0, vcc
	v_add_u32_e32 v50, v52, v50
	v_cmp_lt_u32_e64 s[2:3], 1, v51
	v_cmp_lt_u32_e64 s[10:11], 3, v51
	v_mov_b32_dpp v52, v50 row_shr:2 row_mask:0xf bank_mask:0xf
	v_cndmask_b32_e64 v52, 0, v52, s[2:3]
	v_add_u32_e32 v50, v50, v52
	v_cmp_lt_u32_e64 s[8:9], 7, v51
	s_nop 0
	v_mov_b32_dpp v52, v50 row_shr:4 row_mask:0xf bank_mask:0xf
	v_cndmask_b32_e64 v52, 0, v52, s[10:11]
	v_add_u32_e32 v50, v50, v52
	s_nop 1
	v_mov_b32_dpp v52, v50 row_shr:8 row_mask:0xf bank_mask:0xf
	v_cndmask_b32_e64 v51, 0, v52, s[8:9]
	v_add_u32_e32 v50, v50, v51
	v_bfe_i32 v52, v1, 4, 1
	s_nop 0
	v_mov_b32_dpp v51, v50 row_bcast:15 row_mask:0xf bank_mask:0xf
	v_and_b32_e32 v51, v52, v51
	v_add_u32_e32 v50, v50, v51
	v_and_b32_e32 v52, 63, v2
	s_nop 0
	v_mov_b32_dpp v51, v50 row_bcast:31 row_mask:0xf bank_mask:0xf
	v_cndmask_b32_e64 v51, 0, v51, s[12:13]
	v_add_u32_e32 v50, v50, v51
	v_lshrrev_b32_e32 v51, 6, v2
	v_cmp_eq_u32_e64 s[12:13], 63, v52
	s_and_saveexec_b64 s[22:23], s[12:13]
	s_cbranch_execz .LBB2388_39
; %bb.38:
	v_lshlrev_b32_e32 v52, 2, v51
	ds_write_b32 v52, v50
.LBB2388_39:
	s_or_b64 exec, exec, s[22:23]
	v_cmp_gt_u32_e64 s[12:13], 16, v2
	s_waitcnt lgkmcnt(0)
	s_barrier
	s_and_saveexec_b64 s[22:23], s[12:13]
	s_cbranch_execz .LBB2388_41
; %bb.40:
	v_lshlrev_b32_e32 v52, 2, v2
	ds_read_b32 v53, v52
	s_waitcnt lgkmcnt(0)
	s_nop 0
	v_mov_b32_dpp v54, v53 row_shr:1 row_mask:0xf bank_mask:0xf
	v_cndmask_b32_e64 v54, v54, 0, vcc
	v_add_u32_e32 v53, v54, v53
	s_nop 1
	v_mov_b32_dpp v54, v53 row_shr:2 row_mask:0xf bank_mask:0xf
	v_cndmask_b32_e64 v54, 0, v54, s[2:3]
	v_add_u32_e32 v53, v53, v54
	s_nop 1
	v_mov_b32_dpp v54, v53 row_shr:4 row_mask:0xf bank_mask:0xf
	v_cndmask_b32_e64 v54, 0, v54, s[10:11]
	v_add_u32_e32 v53, v53, v54
	s_nop 1
	v_mov_b32_dpp v54, v53 row_shr:8 row_mask:0xf bank_mask:0xf
	v_cndmask_b32_e64 v54, 0, v54, s[8:9]
	v_add_u32_e32 v53, v53, v54
	ds_write_b32 v52, v53
.LBB2388_41:
	s_or_b64 exec, exec, s[22:23]
	v_cmp_lt_u32_e32 vcc, 63, v2
	v_mov_b32_e32 v52, 0
	s_waitcnt lgkmcnt(0)
	s_barrier
	s_and_saveexec_b64 s[2:3], vcc
	s_cbranch_execz .LBB2388_43
; %bb.42:
	v_lshl_add_u32 v51, v51, 2, -4
	ds_read_b32 v52, v51
.LBB2388_43:
	s_or_b64 exec, exec, s[2:3]
	v_add_u32_e32 v51, -1, v1
	v_and_b32_e32 v53, 64, v1
	v_cmp_lt_i32_e32 vcc, v51, v53
	v_cndmask_b32_e32 v51, v51, v1, vcc
	s_waitcnt lgkmcnt(0)
	v_add_u32_e32 v50, v52, v50
	v_lshlrev_b32_e32 v51, 2, v51
	ds_bpermute_b32 v50, v51, v50
	v_cmp_eq_u32_e32 vcc, 0, v1
	s_movk_i32 s8, 0xff
	s_movk_i32 s2, 0x100
	v_cmp_gt_u32_e64 s[2:3], s2, v2
	s_waitcnt lgkmcnt(0)
	v_cndmask_b32_e32 v1, v50, v52, vcc
	v_cndmask_b32_e64 v1, v1, 0, s[0:1]
	v_add_u32_e32 v22, v1, v22
	v_add_u32_e32 v23, v22, v23
	;; [unrolled: 1-line block ×4, first 2 shown]
	ds_write2_b32 v3, v1, v22 offset0:16 offset1:17
	ds_write2_b32 v49, v23, v18 offset0:2 offset1:3
	ds_write_b32 v49, v19 offset:16
	s_waitcnt lgkmcnt(0)
	s_barrier
	ds_read_b32 v51, v24 offset:64
	ds_read_b32 v1, v25 offset:64
	ds_read_b32 v49, v26 offset:64
	ds_read_b32 v50, v38 offset:64
	ds_read_b32 v42, v42 offset:64
	ds_read_b32 v45, v45 offset:64
	ds_read_b32 v47, v47 offset:64
	ds_read_b32 v52, v27 offset:64
	v_cmp_lt_u32_e32 vcc, s8, v2
	v_pk_mov_b32 v[18:19], 0, 0
                                        ; implicit-def: $vgpr38
	s_and_saveexec_b64 s[10:11], s[2:3]
	s_cbranch_execz .LBB2388_47
; %bb.44:
	v_mul_u32_u24_e32 v3, 17, v2
	v_lshlrev_b32_e32 v19, 2, v3
	ds_read_b32 v18, v19 offset:64
	v_cmp_ne_u32_e64 s[8:9], s8, v2
	v_mov_b32_e32 v3, 0x2000
	s_and_saveexec_b64 s[12:13], s[8:9]
	s_cbranch_execz .LBB2388_46
; %bb.45:
	ds_read_b32 v3, v19 offset:132
.LBB2388_46:
	s_or_b64 exec, exec, s[12:13]
	s_waitcnt lgkmcnt(0)
	v_sub_u32_e32 v38, v3, v18
	v_mov_b32_e32 v19, 0
.LBB2388_47:
	s_or_b64 exec, exec, s[10:11]
	s_waitcnt lgkmcnt(0)
	s_barrier
	s_and_saveexec_b64 s[8:9], vcc
	s_xor_b64 s[8:9], exec, s[8:9]
; %bb.48:
	v_mov_b32_e32 v3, 0
; %bb.49:
	s_andn2_saveexec_b64 s[8:9], s[8:9]
	s_cbranch_execz .LBB2388_59
; %bb.50:
	v_lshl_or_b32 v22, s28, 8, v2
	v_mov_b32_e32 v23, 0
	v_lshlrev_b64 v[24:25], 2, v[22:23]
	v_mov_b32_e32 v3, s15
	v_add_co_u32_e32 v24, vcc, s14, v24
	v_addc_co_u32_e32 v25, vcc, v3, v25, vcc
	v_or_b32_e32 v22, 2.0, v38
	s_mov_b64 s[10:11], 0
	s_brev_b32 s31, 1
	s_mov_b32 s33, s28
	v_mov_b32_e32 v53, 0
	global_store_dword v[24:25], v22, off
                                        ; implicit-def: $sgpr12_sgpr13
	s_branch .LBB2388_52
.LBB2388_51:                            ;   in Loop: Header=BB2388_52 Depth=1
	s_or_b64 exec, exec, s[12:13]
	v_and_b32_e32 v26, 0x3fffffff, v54
	v_add_u32_e32 v53, v26, v53
	v_cmp_eq_u32_e64 s[12:13], s31, v22
	s_and_b64 s[22:23], exec, s[12:13]
	s_or_b64 s[10:11], s[22:23], s[10:11]
	s_andn2_b64 exec, exec, s[10:11]
	s_cbranch_execz .LBB2388_58
.LBB2388_52:                            ; =>This Loop Header: Depth=1
                                        ;     Child Loop BB2388_55 Depth 2
	s_or_b64 s[12:13], s[12:13], exec
	s_cmp_eq_u32 s33, 0
	s_cbranch_scc1 .LBB2388_57
; %bb.53:                               ;   in Loop: Header=BB2388_52 Depth=1
	s_add_i32 s33, s33, -1
	v_lshl_or_b32 v22, s33, 8, v2
	v_lshlrev_b64 v[26:27], 2, v[22:23]
	v_add_co_u32_e32 v26, vcc, s14, v26
	v_addc_co_u32_e32 v27, vcc, v3, v27, vcc
	global_load_dword v54, v[26:27], off glc
	s_waitcnt vmcnt(0)
	v_and_b32_e32 v22, -2.0, v54
	v_cmp_eq_u32_e32 vcc, 0, v22
	s_and_saveexec_b64 s[12:13], vcc
	s_cbranch_execz .LBB2388_51
; %bb.54:                               ;   in Loop: Header=BB2388_52 Depth=1
	s_mov_b64 s[22:23], 0
.LBB2388_55:                            ;   Parent Loop BB2388_52 Depth=1
                                        ; =>  This Inner Loop Header: Depth=2
	global_load_dword v54, v[26:27], off glc
	s_waitcnt vmcnt(0)
	v_and_b32_e32 v22, -2.0, v54
	v_cmp_ne_u32_e32 vcc, 0, v22
	s_or_b64 s[22:23], vcc, s[22:23]
	s_andn2_b64 exec, exec, s[22:23]
	s_cbranch_execnz .LBB2388_55
; %bb.56:                               ;   in Loop: Header=BB2388_52 Depth=1
	s_or_b64 exec, exec, s[22:23]
	s_branch .LBB2388_51
.LBB2388_57:                            ;   in Loop: Header=BB2388_52 Depth=1
                                        ; implicit-def: $sgpr33
	s_and_b64 s[22:23], exec, s[12:13]
	s_or_b64 s[10:11], s[22:23], s[10:11]
	s_andn2_b64 exec, exec, s[10:11]
	s_cbranch_execnz .LBB2388_52
.LBB2388_58:
	s_or_b64 exec, exec, s[10:11]
	v_add_u32_e32 v3, v53, v38
	v_or_b32_e32 v3, 0x80000000, v3
	global_store_dword v[24:25], v3, off
	global_load_dwordx2 v[22:23], v28, s[16:17]
	v_sub_co_u32_e32 v24, vcc, v53, v18
	v_subb_co_u32_e32 v25, vcc, 0, v19, vcc
	v_mov_b32_e32 v3, 0
	s_waitcnt vmcnt(0)
	v_add_co_u32_e32 v22, vcc, v24, v22
	v_addc_co_u32_e32 v23, vcc, v25, v23, vcc
	ds_write_b64 v28, v[22:23]
.LBB2388_59:
	s_or_b64 exec, exec, s[8:9]
	v_add_u32_e32 v23, v51, v30
	v_add3_u32 v30, v39, v42, v37
	v_add3_u32 v35, v36, v50, v35
	v_lshlrev_b64 v[36:37], 3, v[2:3]
	v_add3_u32 v31, v32, v1, v31
	v_mov_b32_e32 v1, s27
	v_add_co_u32_e32 v22, vcc, s26, v36
	v_add_u32_e32 v24, 0x800, v28
	v_add3_u32 v25, v48, v52, v46
	v_add3_u32 v26, v44, v47, v43
	;; [unrolled: 1-line block ×4, first 2 shown]
	v_addc_co_u32_e32 v1, vcc, v1, v37, vcc
	s_mov_b32 s10, 0
	v_mov_b32_e32 v32, v2
	s_branch .LBB2388_61
.LBB2388_60:                            ;   in Loop: Header=BB2388_61 Depth=1
	s_or_b64 exec, exec, s[8:9]
	s_addk_i32 s10, 0xf800
	v_add_co_u32_e32 v22, vcc, 0x4000, v22
	v_addc_co_u32_e32 v1, vcc, 0, v1, vcc
	s_cmpk_eq_i32 s10, 0xe000
	v_add_u32_e32 v32, 0x800, v32
	s_barrier
	s_cbranch_scc1 .LBB2388_66
.LBB2388_61:                            ; =>This Inner Loop Header: Depth=1
	v_add_u32_e32 v34, s10, v23
	v_min_u32_e32 v34, 0x800, v34
	v_lshlrev_b32_e32 v34, 3, v34
	ds_write_b64 v34, v[4:5] offset:2048
	v_add_u32_e32 v34, s10, v31
	v_min_u32_e32 v34, 0x800, v34
	v_lshlrev_b32_e32 v34, 3, v34
	ds_write_b64 v34, v[6:7] offset:2048
	;; [unrolled: 4-line block ×7, first 2 shown]
	v_add_u32_e32 v34, s10, v25
	v_min_u32_e32 v34, 0x800, v34
	v_lshlrev_b32_e32 v34, 3, v34
	v_cmp_gt_u32_e32 vcc, s7, v32
	ds_write_b64 v34, v[14:15] offset:2048
	s_waitcnt lgkmcnt(0)
	s_barrier
	s_and_saveexec_b64 s[8:9], vcc
	s_cbranch_execz .LBB2388_63
; %bb.62:                               ;   in Loop: Header=BB2388_61 Depth=1
	ds_read_b64 v[36:37], v28 offset:2048
	s_waitcnt lgkmcnt(0)
	v_lshrrev_b64 v[40:41], s20, v[36:37]
	v_and_b32_e32 v34, s30, v40
	v_lshlrev_b32_e32 v34, 3, v34
	ds_read_b64 v[40:41], v34
	v_xor_b32_e32 v37, 0x7fffffff, v37
	v_not_b32_e32 v36, v36
	s_waitcnt lgkmcnt(0)
	v_lshlrev_b64 v[40:41], 3, v[40:41]
	v_add_co_u32_e32 v40, vcc, v22, v40
	v_addc_co_u32_e32 v41, vcc, v1, v41, vcc
	global_store_dwordx2 v[40:41], v[36:37], off
.LBB2388_63:                            ;   in Loop: Header=BB2388_61 Depth=1
	s_or_b64 exec, exec, s[8:9]
	v_add_u32_e32 v34, 0x400, v32
	v_cmp_gt_u32_e32 vcc, s7, v34
	s_and_saveexec_b64 s[8:9], vcc
	s_cbranch_execz .LBB2388_60
; %bb.64:                               ;   in Loop: Header=BB2388_61 Depth=1
	ds_read_b64 v[36:37], v24 offset:8192
	s_waitcnt lgkmcnt(0)
	v_lshrrev_b64 v[40:41], s20, v[36:37]
	v_and_b32_e32 v34, s30, v40
	v_lshlrev_b32_e32 v34, 3, v34
	ds_read_b64 v[40:41], v34
	v_xor_b32_e32 v37, 0x7fffffff, v37
	v_not_b32_e32 v36, v36
	s_waitcnt lgkmcnt(0)
	v_lshlrev_b64 v[40:41], 3, v[40:41]
	v_add_co_u32_e32 v34, vcc, v22, v40
	v_addc_co_u32_e32 v39, vcc, v1, v41, vcc
	v_add_co_u32_e32 v40, vcc, 0x2000, v34
	v_addc_co_u32_e32 v41, vcc, 0, v39, vcc
	global_store_dwordx2 v[40:41], v[36:37], off
	s_branch .LBB2388_60
.LBB2388_65:
	s_mov_b64 s[2:3], 0
                                        ; implicit-def: $vgpr18_vgpr19
                                        ; implicit-def: $vgpr38
	s_cbranch_execnz .LBB2388_67
	s_branch .LBB2388_108
.LBB2388_66:
	s_add_i32 s29, s29, -1
	s_cmp_eq_u32 s29, s28
	s_cselect_b64 s[8:9], -1, 0
	s_and_b64 s[2:3], s[2:3], s[8:9]
	s_branch .LBB2388_108
.LBB2388_67:
	s_lshl_b32 s2, s28, 13
	s_mov_b32 s3, 0
	v_mbcnt_hi_u32_b32 v3, -1, v29
	s_lshl_b64 s[2:3], s[2:3], 3
	v_and_b32_e32 v1, 63, v3
	s_add_u32 s2, s24, s2
	v_lshlrev_b32_e32 v1, 3, v1
	v_add_co_u32_e32 v1, vcc, s2, v1
	s_load_dword s12, s[4:5], 0x58
	s_load_dword s2, s[4:5], 0x64
	s_addc_u32 s3, s25, s3
	v_mov_b32_e32 v4, s3
	v_lshlrev_b32_e32 v5, 6, v2
	v_addc_co_u32_e32 v4, vcc, 0, v4, vcc
	v_and_b32_e32 v5, 0xf000, v5
	s_add_u32 s3, s4, 0x58
	v_add_co_u32_e32 v20, vcc, v1, v5
	s_addc_u32 s4, s5, 0
	s_waitcnt lgkmcnt(0)
	s_lshr_b32 s5, s2, 16
	v_addc_co_u32_e32 v21, vcc, 0, v4, vcc
	s_cmp_lt_u32 s6, s12
	global_load_dwordx2 v[24:25], v[20:21], off
	s_cselect_b32 s2, 12, 18
	s_add_u32 s2, s3, s2
	v_mov_b32_e32 v6, 0
	s_addc_u32 s3, s4, 0
	global_load_ushort v7, v6, s[2:3]
	v_mul_u32_u24_e32 v4, 5, v2
	v_lshlrev_b32_e32 v22, 2, v4
	ds_write2_b32 v22, v6, v6 offset0:16 offset1:17
	ds_write2_b32 v22, v6, v6 offset0:18 offset1:19
	ds_write_b32 v22, v6 offset:80
	global_load_dwordx2 v[4:5], v[20:21], off offset:512
	global_load_dwordx2 v[18:19], v[20:21], off offset:1024
	;; [unrolled: 1-line block ×7, first 2 shown]
	v_bfe_u32 v1, v0, 10, 10
	v_bfe_u32 v0, v0, 20, 10
	v_mad_u32_u24 v23, v0, s5, v1
	s_lshl_b32 s2, -1, s21
	s_not_b32 s13, s2
	s_waitcnt lgkmcnt(0)
	s_barrier
	s_waitcnt lgkmcnt(0)
	; wave barrier
	s_waitcnt vmcnt(8)
	v_xor_b32_e32 v1, 0x7fffffff, v25
	v_not_b32_e32 v0, v24
	v_lshrrev_b64 v[20:21], s20, v[0:1]
	v_and_b32_e32 v24, s13, v20
	s_waitcnt vmcnt(7)
	v_mad_u64_u32 v[20:21], s[2:3], v23, v7, v[2:3]
	v_and_b32_e32 v23, 1, v24
	v_lshrrev_b32_e32 v25, 6, v20
	v_add_co_u32_e32 v20, vcc, -1, v23
	v_lshlrev_b32_e32 v7, 30, v24
	v_addc_co_u32_e64 v26, s[2:3], 0, -1, vcc
	v_lshl_add_u32 v21, v24, 4, v24
	v_cmp_ne_u32_e32 vcc, 0, v23
	v_cmp_gt_i64_e64 s[2:3], 0, v[6:7]
	v_not_b32_e32 v27, v7
	v_lshlrev_b32_e32 v7, 29, v24
	v_add_lshl_u32 v23, v25, v21, 2
	v_xor_b32_e32 v21, vcc_hi, v26
	v_xor_b32_e32 v20, vcc_lo, v20
	v_ashrrev_i32_e32 v26, 31, v27
	v_cmp_gt_i64_e32 vcc, 0, v[6:7]
	v_not_b32_e32 v27, v7
	v_lshlrev_b32_e32 v7, 28, v24
	v_and_b32_e32 v21, exec_hi, v21
	v_and_b32_e32 v20, exec_lo, v20
	v_xor_b32_e32 v29, s3, v26
	v_xor_b32_e32 v26, s2, v26
	v_ashrrev_i32_e32 v27, 31, v27
	v_cmp_gt_i64_e64 s[2:3], 0, v[6:7]
	v_not_b32_e32 v30, v7
	v_lshlrev_b32_e32 v7, 27, v24
	v_and_b32_e32 v21, v21, v29
	v_and_b32_e32 v20, v20, v26
	v_xor_b32_e32 v26, vcc_hi, v27
	v_xor_b32_e32 v27, vcc_lo, v27
	v_ashrrev_i32_e32 v29, 31, v30
	v_cmp_gt_i64_e32 vcc, 0, v[6:7]
	v_not_b32_e32 v7, v7
	v_and_b32_e32 v21, v21, v26
	v_and_b32_e32 v20, v20, v27
	v_xor_b32_e32 v26, s3, v29
	v_xor_b32_e32 v27, s2, v29
	v_ashrrev_i32_e32 v7, 31, v7
	v_and_b32_e32 v21, v21, v26
	v_and_b32_e32 v20, v20, v27
	v_xor_b32_e32 v26, vcc_hi, v7
	v_xor_b32_e32 v7, vcc_lo, v7
	v_and_b32_e32 v20, v20, v7
	v_lshlrev_b32_e32 v7, 26, v24
	v_cmp_gt_i64_e32 vcc, 0, v[6:7]
	v_not_b32_e32 v7, v7
	v_ashrrev_i32_e32 v7, 31, v7
	v_and_b32_e32 v21, v21, v26
	v_xor_b32_e32 v26, vcc_hi, v7
	v_xor_b32_e32 v7, vcc_lo, v7
	v_and_b32_e32 v20, v20, v7
	v_lshlrev_b32_e32 v7, 25, v24
	v_cmp_gt_i64_e32 vcc, 0, v[6:7]
	v_not_b32_e32 v7, v7
	v_ashrrev_i32_e32 v7, 31, v7
	;; [unrolled: 8-line block ×3, first 2 shown]
	v_xor_b32_e32 v24, vcc_hi, v7
	v_xor_b32_e32 v7, vcc_lo, v7
	v_and_b32_e32 v21, v21, v26
	v_and_b32_e32 v20, v20, v7
	v_and_b32_e32 v21, v21, v24
	v_mbcnt_lo_u32_b32 v7, v20, 0
	v_mbcnt_hi_u32_b32 v26, v21, v7
	v_cmp_eq_u32_e32 vcc, 0, v26
	v_cmp_ne_u64_e64 s[2:3], 0, v[20:21]
	s_and_b64 s[4:5], s[2:3], vcc
	s_and_saveexec_b64 s[2:3], s[4:5]
	s_cbranch_execz .LBB2388_69
; %bb.68:
	v_bcnt_u32_b32 v7, v20, 0
	v_bcnt_u32_b32 v7, v21, v7
	ds_write_b32 v23, v7 offset:64
.LBB2388_69:
	s_or_b64 exec, exec, s[2:3]
	s_waitcnt vmcnt(6)
	v_xor_b32_e32 v5, 0x7fffffff, v5
	v_not_b32_e32 v4, v4
	v_lshrrev_b64 v[20:21], s20, v[4:5]
	v_and_b32_e32 v20, s13, v20
	v_lshl_add_u32 v7, v20, 4, v20
	v_add_lshl_u32 v24, v25, v7, 2
	v_and_b32_e32 v7, 1, v20
	v_add_co_u32_e32 v21, vcc, -1, v7
	v_addc_co_u32_e64 v29, s[2:3], 0, -1, vcc
	v_cmp_ne_u32_e32 vcc, 0, v7
	v_xor_b32_e32 v7, vcc_hi, v29
	v_and_b32_e32 v29, exec_hi, v7
	v_lshlrev_b32_e32 v7, 30, v20
	v_xor_b32_e32 v21, vcc_lo, v21
	v_cmp_gt_i64_e32 vcc, 0, v[6:7]
	v_not_b32_e32 v7, v7
	v_ashrrev_i32_e32 v7, 31, v7
	v_and_b32_e32 v21, exec_lo, v21
	v_xor_b32_e32 v30, vcc_hi, v7
	v_xor_b32_e32 v7, vcc_lo, v7
	v_and_b32_e32 v21, v21, v7
	v_lshlrev_b32_e32 v7, 29, v20
	v_cmp_gt_i64_e32 vcc, 0, v[6:7]
	v_not_b32_e32 v7, v7
	v_ashrrev_i32_e32 v7, 31, v7
	v_and_b32_e32 v29, v29, v30
	v_xor_b32_e32 v30, vcc_hi, v7
	v_xor_b32_e32 v7, vcc_lo, v7
	v_and_b32_e32 v21, v21, v7
	v_lshlrev_b32_e32 v7, 28, v20
	v_cmp_gt_i64_e32 vcc, 0, v[6:7]
	v_not_b32_e32 v7, v7
	v_ashrrev_i32_e32 v7, 31, v7
	v_and_b32_e32 v29, v29, v30
	;; [unrolled: 8-line block ×5, first 2 shown]
	v_xor_b32_e32 v30, vcc_hi, v7
	v_xor_b32_e32 v7, vcc_lo, v7
	v_and_b32_e32 v21, v21, v7
	v_lshlrev_b32_e32 v7, 24, v20
	v_cmp_gt_i64_e32 vcc, 0, v[6:7]
	v_not_b32_e32 v6, v7
	v_ashrrev_i32_e32 v6, 31, v6
	v_xor_b32_e32 v7, vcc_hi, v6
	v_xor_b32_e32 v6, vcc_lo, v6
	; wave barrier
	ds_read_b32 v27, v24 offset:64
	v_and_b32_e32 v29, v29, v30
	v_and_b32_e32 v6, v21, v6
	;; [unrolled: 1-line block ×3, first 2 shown]
	v_mbcnt_lo_u32_b32 v20, v6, 0
	v_mbcnt_hi_u32_b32 v29, v7, v20
	v_cmp_eq_u32_e32 vcc, 0, v29
	v_cmp_ne_u64_e64 s[2:3], 0, v[6:7]
	s_and_b64 s[4:5], s[2:3], vcc
	; wave barrier
	s_and_saveexec_b64 s[2:3], s[4:5]
	s_cbranch_execz .LBB2388_71
; %bb.70:
	v_bcnt_u32_b32 v6, v6, 0
	v_bcnt_u32_b32 v6, v7, v6
	s_waitcnt lgkmcnt(0)
	v_add_u32_e32 v6, v27, v6
	ds_write_b32 v24, v6 offset:64
.LBB2388_71:
	s_or_b64 exec, exec, s[2:3]
	s_waitcnt vmcnt(5)
	v_xor_b32_e32 v7, 0x7fffffff, v19
	v_not_b32_e32 v6, v18
	v_lshrrev_b64 v[18:19], s20, v[6:7]
	v_and_b32_e32 v20, s13, v18
	v_and_b32_e32 v19, 1, v20
	v_add_co_u32_e32 v21, vcc, -1, v19
	v_addc_co_u32_e64 v31, s[2:3], 0, -1, vcc
	v_cmp_ne_u32_e32 vcc, 0, v19
	v_lshl_add_u32 v18, v20, 4, v20
	v_xor_b32_e32 v19, vcc_hi, v31
	v_add_lshl_u32 v34, v25, v18, 2
	v_mov_b32_e32 v18, 0
	v_and_b32_e32 v31, exec_hi, v19
	v_lshlrev_b32_e32 v19, 30, v20
	v_xor_b32_e32 v21, vcc_lo, v21
	v_cmp_gt_i64_e32 vcc, 0, v[18:19]
	v_not_b32_e32 v19, v19
	v_ashrrev_i32_e32 v19, 31, v19
	v_and_b32_e32 v21, exec_lo, v21
	v_xor_b32_e32 v32, vcc_hi, v19
	v_xor_b32_e32 v19, vcc_lo, v19
	v_and_b32_e32 v21, v21, v19
	v_lshlrev_b32_e32 v19, 29, v20
	v_cmp_gt_i64_e32 vcc, 0, v[18:19]
	v_not_b32_e32 v19, v19
	v_ashrrev_i32_e32 v19, 31, v19
	v_and_b32_e32 v31, v31, v32
	v_xor_b32_e32 v32, vcc_hi, v19
	v_xor_b32_e32 v19, vcc_lo, v19
	v_and_b32_e32 v21, v21, v19
	v_lshlrev_b32_e32 v19, 28, v20
	v_cmp_gt_i64_e32 vcc, 0, v[18:19]
	v_not_b32_e32 v19, v19
	v_ashrrev_i32_e32 v19, 31, v19
	v_and_b32_e32 v31, v31, v32
	;; [unrolled: 8-line block ×5, first 2 shown]
	v_xor_b32_e32 v32, vcc_hi, v19
	v_xor_b32_e32 v19, vcc_lo, v19
	v_and_b32_e32 v31, v31, v32
	v_and_b32_e32 v32, v21, v19
	v_lshlrev_b32_e32 v19, 24, v20
	v_cmp_gt_i64_e32 vcc, 0, v[18:19]
	v_not_b32_e32 v19, v19
	v_ashrrev_i32_e32 v19, 31, v19
	v_xor_b32_e32 v20, vcc_hi, v19
	v_xor_b32_e32 v19, vcc_lo, v19
	; wave barrier
	ds_read_b32 v30, v34 offset:64
	v_and_b32_e32 v21, v31, v20
	v_and_b32_e32 v20, v32, v19
	v_mbcnt_lo_u32_b32 v19, v20, 0
	v_mbcnt_hi_u32_b32 v31, v21, v19
	v_cmp_eq_u32_e32 vcc, 0, v31
	v_cmp_ne_u64_e64 s[2:3], 0, v[20:21]
	s_and_b64 s[4:5], s[2:3], vcc
	; wave barrier
	s_and_saveexec_b64 s[2:3], s[4:5]
	s_cbranch_execz .LBB2388_73
; %bb.72:
	v_bcnt_u32_b32 v19, v20, 0
	v_bcnt_u32_b32 v19, v21, v19
	s_waitcnt lgkmcnt(0)
	v_add_u32_e32 v19, v30, v19
	ds_write_b32 v34, v19 offset:64
.LBB2388_73:
	s_or_b64 exec, exec, s[2:3]
	s_waitcnt vmcnt(4)
	v_xor_b32_e32 v9, 0x7fffffff, v9
	v_not_b32_e32 v8, v8
	v_lshrrev_b64 v[20:21], s20, v[8:9]
	v_and_b32_e32 v20, s13, v20
	v_lshl_add_u32 v19, v20, 4, v20
	v_add_lshl_u32 v37, v25, v19, 2
	v_and_b32_e32 v19, 1, v20
	v_add_co_u32_e32 v21, vcc, -1, v19
	v_addc_co_u32_e64 v33, s[2:3], 0, -1, vcc
	v_cmp_ne_u32_e32 vcc, 0, v19
	v_xor_b32_e32 v19, vcc_hi, v33
	v_and_b32_e32 v33, exec_hi, v19
	v_lshlrev_b32_e32 v19, 30, v20
	v_xor_b32_e32 v21, vcc_lo, v21
	v_cmp_gt_i64_e32 vcc, 0, v[18:19]
	v_not_b32_e32 v19, v19
	v_ashrrev_i32_e32 v19, 31, v19
	v_and_b32_e32 v21, exec_lo, v21
	v_xor_b32_e32 v35, vcc_hi, v19
	v_xor_b32_e32 v19, vcc_lo, v19
	v_and_b32_e32 v21, v21, v19
	v_lshlrev_b32_e32 v19, 29, v20
	v_cmp_gt_i64_e32 vcc, 0, v[18:19]
	v_not_b32_e32 v19, v19
	v_ashrrev_i32_e32 v19, 31, v19
	v_and_b32_e32 v33, v33, v35
	v_xor_b32_e32 v35, vcc_hi, v19
	v_xor_b32_e32 v19, vcc_lo, v19
	v_and_b32_e32 v21, v21, v19
	v_lshlrev_b32_e32 v19, 28, v20
	v_cmp_gt_i64_e32 vcc, 0, v[18:19]
	v_not_b32_e32 v19, v19
	v_ashrrev_i32_e32 v19, 31, v19
	v_and_b32_e32 v33, v33, v35
	;; [unrolled: 8-line block ×5, first 2 shown]
	v_xor_b32_e32 v35, vcc_hi, v19
	v_xor_b32_e32 v19, vcc_lo, v19
	v_and_b32_e32 v21, v21, v19
	v_lshlrev_b32_e32 v19, 24, v20
	v_cmp_gt_i64_e32 vcc, 0, v[18:19]
	v_not_b32_e32 v18, v19
	v_ashrrev_i32_e32 v18, 31, v18
	v_xor_b32_e32 v19, vcc_hi, v18
	v_xor_b32_e32 v18, vcc_lo, v18
	; wave barrier
	ds_read_b32 v32, v37 offset:64
	v_and_b32_e32 v33, v33, v35
	v_and_b32_e32 v18, v21, v18
	;; [unrolled: 1-line block ×3, first 2 shown]
	v_mbcnt_lo_u32_b32 v20, v18, 0
	v_mbcnt_hi_u32_b32 v33, v19, v20
	v_cmp_eq_u32_e32 vcc, 0, v33
	v_cmp_ne_u64_e64 s[2:3], 0, v[18:19]
	s_and_b64 s[4:5], s[2:3], vcc
	; wave barrier
	s_and_saveexec_b64 s[2:3], s[4:5]
	s_cbranch_execz .LBB2388_75
; %bb.74:
	v_bcnt_u32_b32 v18, v18, 0
	v_bcnt_u32_b32 v18, v19, v18
	s_waitcnt lgkmcnt(0)
	v_add_u32_e32 v18, v32, v18
	ds_write_b32 v37, v18 offset:64
.LBB2388_75:
	s_or_b64 exec, exec, s[2:3]
	s_waitcnt vmcnt(3)
	v_xor_b32_e32 v11, 0x7fffffff, v11
	v_not_b32_e32 v10, v10
	v_lshrrev_b64 v[18:19], s20, v[10:11]
	v_and_b32_e32 v20, s13, v18
	v_and_b32_e32 v19, 1, v20
	v_add_co_u32_e32 v21, vcc, -1, v19
	v_addc_co_u32_e64 v36, s[2:3], 0, -1, vcc
	v_cmp_ne_u32_e32 vcc, 0, v19
	v_lshl_add_u32 v18, v20, 4, v20
	v_xor_b32_e32 v19, vcc_hi, v36
	v_add_lshl_u32 v38, v25, v18, 2
	v_mov_b32_e32 v18, 0
	v_and_b32_e32 v36, exec_hi, v19
	v_lshlrev_b32_e32 v19, 30, v20
	v_xor_b32_e32 v21, vcc_lo, v21
	v_cmp_gt_i64_e32 vcc, 0, v[18:19]
	v_not_b32_e32 v19, v19
	v_ashrrev_i32_e32 v19, 31, v19
	v_and_b32_e32 v21, exec_lo, v21
	v_xor_b32_e32 v39, vcc_hi, v19
	v_xor_b32_e32 v19, vcc_lo, v19
	v_and_b32_e32 v21, v21, v19
	v_lshlrev_b32_e32 v19, 29, v20
	v_cmp_gt_i64_e32 vcc, 0, v[18:19]
	v_not_b32_e32 v19, v19
	v_ashrrev_i32_e32 v19, 31, v19
	v_and_b32_e32 v36, v36, v39
	v_xor_b32_e32 v39, vcc_hi, v19
	v_xor_b32_e32 v19, vcc_lo, v19
	v_and_b32_e32 v21, v21, v19
	v_lshlrev_b32_e32 v19, 28, v20
	v_cmp_gt_i64_e32 vcc, 0, v[18:19]
	v_not_b32_e32 v19, v19
	v_ashrrev_i32_e32 v19, 31, v19
	v_and_b32_e32 v36, v36, v39
	;; [unrolled: 8-line block ×5, first 2 shown]
	v_xor_b32_e32 v39, vcc_hi, v19
	v_xor_b32_e32 v19, vcc_lo, v19
	v_and_b32_e32 v36, v36, v39
	v_and_b32_e32 v39, v21, v19
	v_lshlrev_b32_e32 v19, 24, v20
	v_cmp_gt_i64_e32 vcc, 0, v[18:19]
	v_not_b32_e32 v19, v19
	v_ashrrev_i32_e32 v19, 31, v19
	v_xor_b32_e32 v20, vcc_hi, v19
	v_xor_b32_e32 v19, vcc_lo, v19
	; wave barrier
	ds_read_b32 v35, v38 offset:64
	v_and_b32_e32 v21, v36, v20
	v_and_b32_e32 v20, v39, v19
	v_mbcnt_lo_u32_b32 v19, v20, 0
	v_mbcnt_hi_u32_b32 v36, v21, v19
	v_cmp_eq_u32_e32 vcc, 0, v36
	v_cmp_ne_u64_e64 s[2:3], 0, v[20:21]
	s_and_b64 s[4:5], s[2:3], vcc
	; wave barrier
	s_and_saveexec_b64 s[2:3], s[4:5]
	s_cbranch_execz .LBB2388_77
; %bb.76:
	v_bcnt_u32_b32 v19, v20, 0
	v_bcnt_u32_b32 v19, v21, v19
	s_waitcnt lgkmcnt(0)
	v_add_u32_e32 v19, v35, v19
	ds_write_b32 v38, v19 offset:64
.LBB2388_77:
	s_or_b64 exec, exec, s[2:3]
	s_waitcnt vmcnt(2)
	v_xor_b32_e32 v15, 0x7fffffff, v15
	v_not_b32_e32 v14, v14
	v_lshrrev_b64 v[20:21], s20, v[14:15]
	v_and_b32_e32 v20, s13, v20
	v_lshl_add_u32 v19, v20, 4, v20
	v_add_lshl_u32 v43, v25, v19, 2
	v_and_b32_e32 v19, 1, v20
	v_add_co_u32_e32 v21, vcc, -1, v19
	v_addc_co_u32_e64 v40, s[2:3], 0, -1, vcc
	v_cmp_ne_u32_e32 vcc, 0, v19
	v_xor_b32_e32 v19, vcc_hi, v40
	v_and_b32_e32 v40, exec_hi, v19
	v_lshlrev_b32_e32 v19, 30, v20
	v_xor_b32_e32 v21, vcc_lo, v21
	v_cmp_gt_i64_e32 vcc, 0, v[18:19]
	v_not_b32_e32 v19, v19
	v_ashrrev_i32_e32 v19, 31, v19
	v_and_b32_e32 v21, exec_lo, v21
	v_xor_b32_e32 v41, vcc_hi, v19
	v_xor_b32_e32 v19, vcc_lo, v19
	v_and_b32_e32 v21, v21, v19
	v_lshlrev_b32_e32 v19, 29, v20
	v_cmp_gt_i64_e32 vcc, 0, v[18:19]
	v_not_b32_e32 v19, v19
	v_ashrrev_i32_e32 v19, 31, v19
	v_and_b32_e32 v40, v40, v41
	v_xor_b32_e32 v41, vcc_hi, v19
	v_xor_b32_e32 v19, vcc_lo, v19
	v_and_b32_e32 v21, v21, v19
	v_lshlrev_b32_e32 v19, 28, v20
	v_cmp_gt_i64_e32 vcc, 0, v[18:19]
	v_not_b32_e32 v19, v19
	v_ashrrev_i32_e32 v19, 31, v19
	v_and_b32_e32 v40, v40, v41
	;; [unrolled: 8-line block ×5, first 2 shown]
	v_xor_b32_e32 v41, vcc_hi, v19
	v_xor_b32_e32 v19, vcc_lo, v19
	v_and_b32_e32 v21, v21, v19
	v_lshlrev_b32_e32 v19, 24, v20
	v_cmp_gt_i64_e32 vcc, 0, v[18:19]
	v_not_b32_e32 v18, v19
	v_ashrrev_i32_e32 v18, 31, v18
	v_xor_b32_e32 v19, vcc_hi, v18
	v_xor_b32_e32 v18, vcc_lo, v18
	; wave barrier
	ds_read_b32 v39, v43 offset:64
	v_and_b32_e32 v40, v40, v41
	v_and_b32_e32 v18, v21, v18
	;; [unrolled: 1-line block ×3, first 2 shown]
	v_mbcnt_lo_u32_b32 v20, v18, 0
	v_mbcnt_hi_u32_b32 v40, v19, v20
	v_cmp_eq_u32_e32 vcc, 0, v40
	v_cmp_ne_u64_e64 s[2:3], 0, v[18:19]
	s_and_b64 s[4:5], s[2:3], vcc
	; wave barrier
	s_and_saveexec_b64 s[2:3], s[4:5]
	s_cbranch_execz .LBB2388_79
; %bb.78:
	v_bcnt_u32_b32 v18, v18, 0
	v_bcnt_u32_b32 v18, v19, v18
	s_waitcnt lgkmcnt(0)
	v_add_u32_e32 v18, v39, v18
	ds_write_b32 v43, v18 offset:64
.LBB2388_79:
	s_or_b64 exec, exec, s[2:3]
	s_waitcnt vmcnt(1)
	v_xor_b32_e32 v17, 0x7fffffff, v17
	v_not_b32_e32 v16, v16
	v_lshrrev_b64 v[18:19], s20, v[16:17]
	v_and_b32_e32 v20, s13, v18
	v_and_b32_e32 v19, 1, v20
	v_add_co_u32_e32 v21, vcc, -1, v19
	v_addc_co_u32_e64 v42, s[2:3], 0, -1, vcc
	v_cmp_ne_u32_e32 vcc, 0, v19
	v_lshl_add_u32 v18, v20, 4, v20
	v_xor_b32_e32 v19, vcc_hi, v42
	v_add_lshl_u32 v46, v25, v18, 2
	v_mov_b32_e32 v18, 0
	v_and_b32_e32 v42, exec_hi, v19
	v_lshlrev_b32_e32 v19, 30, v20
	v_xor_b32_e32 v21, vcc_lo, v21
	v_cmp_gt_i64_e32 vcc, 0, v[18:19]
	v_not_b32_e32 v19, v19
	v_ashrrev_i32_e32 v19, 31, v19
	v_and_b32_e32 v21, exec_lo, v21
	v_xor_b32_e32 v44, vcc_hi, v19
	v_xor_b32_e32 v19, vcc_lo, v19
	v_and_b32_e32 v21, v21, v19
	v_lshlrev_b32_e32 v19, 29, v20
	v_cmp_gt_i64_e32 vcc, 0, v[18:19]
	v_not_b32_e32 v19, v19
	v_ashrrev_i32_e32 v19, 31, v19
	v_and_b32_e32 v42, v42, v44
	v_xor_b32_e32 v44, vcc_hi, v19
	v_xor_b32_e32 v19, vcc_lo, v19
	v_and_b32_e32 v21, v21, v19
	v_lshlrev_b32_e32 v19, 28, v20
	v_cmp_gt_i64_e32 vcc, 0, v[18:19]
	v_not_b32_e32 v19, v19
	v_ashrrev_i32_e32 v19, 31, v19
	v_and_b32_e32 v42, v42, v44
	;; [unrolled: 8-line block ×5, first 2 shown]
	v_xor_b32_e32 v44, vcc_hi, v19
	v_xor_b32_e32 v19, vcc_lo, v19
	v_and_b32_e32 v42, v42, v44
	v_and_b32_e32 v44, v21, v19
	v_lshlrev_b32_e32 v19, 24, v20
	v_cmp_gt_i64_e32 vcc, 0, v[18:19]
	v_not_b32_e32 v19, v19
	v_ashrrev_i32_e32 v19, 31, v19
	v_xor_b32_e32 v20, vcc_hi, v19
	v_xor_b32_e32 v19, vcc_lo, v19
	; wave barrier
	ds_read_b32 v41, v46 offset:64
	v_and_b32_e32 v21, v42, v20
	v_and_b32_e32 v20, v44, v19
	v_mbcnt_lo_u32_b32 v19, v20, 0
	v_mbcnt_hi_u32_b32 v42, v21, v19
	v_cmp_eq_u32_e32 vcc, 0, v42
	v_cmp_ne_u64_e64 s[2:3], 0, v[20:21]
	s_and_b64 s[4:5], s[2:3], vcc
	; wave barrier
	s_and_saveexec_b64 s[2:3], s[4:5]
	s_cbranch_execz .LBB2388_81
; %bb.80:
	v_bcnt_u32_b32 v19, v20, 0
	v_bcnt_u32_b32 v19, v21, v19
	s_waitcnt lgkmcnt(0)
	v_add_u32_e32 v19, v41, v19
	ds_write_b32 v46, v19 offset:64
.LBB2388_81:
	s_or_b64 exec, exec, s[2:3]
	s_waitcnt vmcnt(0)
	v_xor_b32_e32 v13, 0x7fffffff, v13
	v_not_b32_e32 v12, v12
	v_lshrrev_b64 v[20:21], s20, v[12:13]
	v_and_b32_e32 v20, s13, v20
	v_lshl_add_u32 v19, v20, 4, v20
	v_add_lshl_u32 v25, v25, v19, 2
	v_and_b32_e32 v19, 1, v20
	v_add_co_u32_e32 v21, vcc, -1, v19
	v_addc_co_u32_e64 v45, s[2:3], 0, -1, vcc
	v_cmp_ne_u32_e32 vcc, 0, v19
	v_xor_b32_e32 v19, vcc_hi, v45
	v_and_b32_e32 v45, exec_hi, v19
	v_lshlrev_b32_e32 v19, 30, v20
	v_xor_b32_e32 v21, vcc_lo, v21
	v_cmp_gt_i64_e32 vcc, 0, v[18:19]
	v_not_b32_e32 v19, v19
	v_ashrrev_i32_e32 v19, 31, v19
	v_and_b32_e32 v21, exec_lo, v21
	v_xor_b32_e32 v48, vcc_hi, v19
	v_xor_b32_e32 v19, vcc_lo, v19
	v_and_b32_e32 v21, v21, v19
	v_lshlrev_b32_e32 v19, 29, v20
	v_cmp_gt_i64_e32 vcc, 0, v[18:19]
	v_not_b32_e32 v19, v19
	v_ashrrev_i32_e32 v19, 31, v19
	v_and_b32_e32 v45, v45, v48
	v_xor_b32_e32 v48, vcc_hi, v19
	v_xor_b32_e32 v19, vcc_lo, v19
	v_and_b32_e32 v21, v21, v19
	v_lshlrev_b32_e32 v19, 28, v20
	v_cmp_gt_i64_e32 vcc, 0, v[18:19]
	v_not_b32_e32 v19, v19
	v_ashrrev_i32_e32 v19, 31, v19
	v_and_b32_e32 v45, v45, v48
	;; [unrolled: 8-line block ×5, first 2 shown]
	v_xor_b32_e32 v48, vcc_hi, v19
	v_xor_b32_e32 v19, vcc_lo, v19
	v_and_b32_e32 v21, v21, v19
	v_lshlrev_b32_e32 v19, 24, v20
	v_cmp_gt_i64_e32 vcc, 0, v[18:19]
	v_not_b32_e32 v18, v19
	v_ashrrev_i32_e32 v18, 31, v18
	v_xor_b32_e32 v19, vcc_hi, v18
	v_xor_b32_e32 v18, vcc_lo, v18
	; wave barrier
	ds_read_b32 v44, v25 offset:64
	v_and_b32_e32 v45, v45, v48
	v_and_b32_e32 v18, v21, v18
	;; [unrolled: 1-line block ×3, first 2 shown]
	v_mbcnt_lo_u32_b32 v20, v18, 0
	v_mbcnt_hi_u32_b32 v45, v19, v20
	v_cmp_eq_u32_e32 vcc, 0, v45
	v_cmp_ne_u64_e64 s[2:3], 0, v[18:19]
	v_add_u32_e32 v47, 64, v22
	s_and_b64 s[4:5], s[2:3], vcc
	; wave barrier
	s_and_saveexec_b64 s[2:3], s[4:5]
	s_cbranch_execz .LBB2388_83
; %bb.82:
	v_bcnt_u32_b32 v18, v18, 0
	v_bcnt_u32_b32 v18, v19, v18
	s_waitcnt lgkmcnt(0)
	v_add_u32_e32 v18, v44, v18
	ds_write_b32 v25, v18 offset:64
.LBB2388_83:
	s_or_b64 exec, exec, s[2:3]
	; wave barrier
	s_waitcnt lgkmcnt(0)
	s_barrier
	ds_read2_b32 v[20:21], v22 offset0:16 offset1:17
	ds_read2_b32 v[18:19], v47 offset0:2 offset1:3
	ds_read_b32 v48, v47 offset:16
	v_cmp_lt_u32_e64 s[8:9], 31, v3
	s_waitcnt lgkmcnt(1)
	v_add3_u32 v49, v21, v20, v18
	s_waitcnt lgkmcnt(0)
	v_add3_u32 v48, v49, v19, v48
	v_and_b32_e32 v49, 15, v3
	v_cmp_eq_u32_e32 vcc, 0, v49
	v_mov_b32_dpp v50, v48 row_shr:1 row_mask:0xf bank_mask:0xf
	v_cndmask_b32_e64 v50, v50, 0, vcc
	v_add_u32_e32 v48, v50, v48
	v_cmp_lt_u32_e64 s[2:3], 1, v49
	v_cmp_lt_u32_e64 s[4:5], 3, v49
	v_mov_b32_dpp v50, v48 row_shr:2 row_mask:0xf bank_mask:0xf
	v_cndmask_b32_e64 v50, 0, v50, s[2:3]
	v_add_u32_e32 v48, v48, v50
	v_cmp_lt_u32_e64 s[6:7], 7, v49
	s_nop 0
	v_mov_b32_dpp v50, v48 row_shr:4 row_mask:0xf bank_mask:0xf
	v_cndmask_b32_e64 v50, 0, v50, s[4:5]
	v_add_u32_e32 v48, v48, v50
	s_nop 1
	v_mov_b32_dpp v50, v48 row_shr:8 row_mask:0xf bank_mask:0xf
	v_cndmask_b32_e64 v49, 0, v50, s[6:7]
	v_add_u32_e32 v48, v48, v49
	v_bfe_i32 v50, v3, 4, 1
	s_nop 0
	v_mov_b32_dpp v49, v48 row_bcast:15 row_mask:0xf bank_mask:0xf
	v_and_b32_e32 v49, v50, v49
	v_add_u32_e32 v48, v48, v49
	v_and_b32_e32 v50, 63, v2
	s_nop 0
	v_mov_b32_dpp v49, v48 row_bcast:31 row_mask:0xf bank_mask:0xf
	v_cndmask_b32_e64 v49, 0, v49, s[8:9]
	v_add_u32_e32 v48, v48, v49
	v_lshrrev_b32_e32 v49, 6, v2
	v_cmp_eq_u32_e64 s[8:9], 63, v50
	s_and_saveexec_b64 s[10:11], s[8:9]
	s_cbranch_execz .LBB2388_85
; %bb.84:
	v_lshlrev_b32_e32 v50, 2, v49
	ds_write_b32 v50, v48
.LBB2388_85:
	s_or_b64 exec, exec, s[10:11]
	v_cmp_gt_u32_e64 s[8:9], 16, v2
	s_waitcnt lgkmcnt(0)
	s_barrier
	s_and_saveexec_b64 s[10:11], s[8:9]
	s_cbranch_execz .LBB2388_87
; %bb.86:
	v_lshlrev_b32_e32 v50, 2, v2
	ds_read_b32 v51, v50
	s_waitcnt lgkmcnt(0)
	s_nop 0
	v_mov_b32_dpp v52, v51 row_shr:1 row_mask:0xf bank_mask:0xf
	v_cndmask_b32_e64 v52, v52, 0, vcc
	v_add_u32_e32 v51, v52, v51
	s_nop 1
	v_mov_b32_dpp v52, v51 row_shr:2 row_mask:0xf bank_mask:0xf
	v_cndmask_b32_e64 v52, 0, v52, s[2:3]
	v_add_u32_e32 v51, v51, v52
	s_nop 1
	v_mov_b32_dpp v52, v51 row_shr:4 row_mask:0xf bank_mask:0xf
	v_cndmask_b32_e64 v52, 0, v52, s[4:5]
	;; [unrolled: 4-line block ×3, first 2 shown]
	v_add_u32_e32 v51, v51, v52
	ds_write_b32 v50, v51
.LBB2388_87:
	s_or_b64 exec, exec, s[10:11]
	v_cmp_lt_u32_e32 vcc, 63, v2
	v_mov_b32_e32 v50, 0
	s_waitcnt lgkmcnt(0)
	s_barrier
	s_and_saveexec_b64 s[2:3], vcc
	s_cbranch_execz .LBB2388_89
; %bb.88:
	v_lshl_add_u32 v49, v49, 2, -4
	ds_read_b32 v50, v49
.LBB2388_89:
	s_or_b64 exec, exec, s[2:3]
	v_add_u32_e32 v49, -1, v3
	v_and_b32_e32 v51, 64, v3
	v_cmp_lt_i32_e32 vcc, v49, v51
	v_cndmask_b32_e32 v49, v49, v3, vcc
	s_waitcnt lgkmcnt(0)
	v_add_u32_e32 v48, v50, v48
	v_lshlrev_b32_e32 v49, 2, v49
	ds_bpermute_b32 v48, v49, v48
	v_cmp_eq_u32_e32 vcc, 0, v3
	s_movk_i32 s2, 0xff
	s_waitcnt lgkmcnt(0)
	v_cndmask_b32_e32 v3, v48, v50, vcc
	v_cndmask_b32_e64 v3, v3, 0, s[0:1]
	v_add_u32_e32 v20, v3, v20
	v_add_u32_e32 v21, v20, v21
	v_add_u32_e32 v18, v21, v18
	v_add_u32_e32 v19, v18, v19
	ds_write2_b32 v22, v3, v20 offset0:16 offset1:17
	ds_write2_b32 v47, v21, v18 offset0:2 offset1:3
	ds_write_b32 v47, v19 offset:16
	s_waitcnt lgkmcnt(0)
	s_barrier
	ds_read_b32 v49, v23 offset:64
	ds_read_b32 v47, v24 offset:64
	;; [unrolled: 1-line block ×8, first 2 shown]
	s_movk_i32 s0, 0x100
	v_cmp_lt_u32_e32 vcc, s2, v2
	v_cmp_gt_u32_e64 s[0:1], s0, v2
	v_pk_mov_b32 v[18:19], 0, 0
                                        ; implicit-def: $vgpr38
	s_and_saveexec_b64 s[4:5], s[0:1]
	s_cbranch_execz .LBB2388_93
; %bb.90:
	v_mul_u32_u24_e32 v3, 17, v2
	v_lshlrev_b32_e32 v19, 2, v3
	ds_read_b32 v18, v19 offset:64
	v_cmp_ne_u32_e64 s[2:3], s2, v2
	v_mov_b32_e32 v3, 0x2000
	s_and_saveexec_b64 s[6:7], s[2:3]
	s_cbranch_execz .LBB2388_92
; %bb.91:
	ds_read_b32 v3, v19 offset:132
.LBB2388_92:
	s_or_b64 exec, exec, s[6:7]
	s_waitcnt lgkmcnt(0)
	v_sub_u32_e32 v38, v3, v18
	v_mov_b32_e32 v19, 0
.LBB2388_93:
	s_or_b64 exec, exec, s[4:5]
	s_waitcnt lgkmcnt(0)
	s_barrier
	s_and_saveexec_b64 s[2:3], vcc
	s_xor_b64 s[2:3], exec, s[2:3]
; %bb.94:
	v_mov_b32_e32 v3, 0
; %bb.95:
	s_andn2_saveexec_b64 s[2:3], s[2:3]
	s_cbranch_execz .LBB2388_105
; %bb.96:
	v_lshl_or_b32 v20, s28, 8, v2
	v_mov_b32_e32 v21, 0
	v_lshlrev_b64 v[22:23], 2, v[20:21]
	v_mov_b32_e32 v3, s15
	v_add_co_u32_e32 v22, vcc, s14, v22
	v_addc_co_u32_e32 v23, vcc, v3, v23, vcc
	v_or_b32_e32 v20, 2.0, v38
	s_mov_b64 s[4:5], 0
	s_brev_b32 s10, 1
	s_mov_b32 s11, s28
	v_mov_b32_e32 v51, 0
	global_store_dword v[22:23], v20, off
                                        ; implicit-def: $sgpr6_sgpr7
	s_branch .LBB2388_99
.LBB2388_97:                            ;   in Loop: Header=BB2388_99 Depth=1
	s_or_b64 exec, exec, s[8:9]
.LBB2388_98:                            ;   in Loop: Header=BB2388_99 Depth=1
	s_or_b64 exec, exec, s[6:7]
	v_and_b32_e32 v24, 0x3fffffff, v52
	v_add_u32_e32 v51, v24, v51
	v_cmp_eq_u32_e64 s[6:7], s10, v20
	s_and_b64 s[8:9], exec, s[6:7]
	s_or_b64 s[4:5], s[8:9], s[4:5]
	s_andn2_b64 exec, exec, s[4:5]
	s_cbranch_execz .LBB2388_104
.LBB2388_99:                            ; =>This Loop Header: Depth=1
                                        ;     Child Loop BB2388_102 Depth 2
	s_or_b64 s[6:7], s[6:7], exec
	s_cmp_eq_u32 s11, 0
	s_cbranch_scc1 .LBB2388_103
; %bb.100:                              ;   in Loop: Header=BB2388_99 Depth=1
	s_add_i32 s11, s11, -1
	v_lshl_or_b32 v20, s11, 8, v2
	v_lshlrev_b64 v[24:25], 2, v[20:21]
	v_add_co_u32_e32 v24, vcc, s14, v24
	v_addc_co_u32_e32 v25, vcc, v3, v25, vcc
	global_load_dword v52, v[24:25], off glc
	s_waitcnt vmcnt(0)
	v_and_b32_e32 v20, -2.0, v52
	v_cmp_eq_u32_e32 vcc, 0, v20
	s_and_saveexec_b64 s[6:7], vcc
	s_cbranch_execz .LBB2388_98
; %bb.101:                              ;   in Loop: Header=BB2388_99 Depth=1
	s_mov_b64 s[8:9], 0
.LBB2388_102:                           ;   Parent Loop BB2388_99 Depth=1
                                        ; =>  This Inner Loop Header: Depth=2
	global_load_dword v52, v[24:25], off glc
	s_waitcnt vmcnt(0)
	v_and_b32_e32 v20, -2.0, v52
	v_cmp_ne_u32_e32 vcc, 0, v20
	s_or_b64 s[8:9], vcc, s[8:9]
	s_andn2_b64 exec, exec, s[8:9]
	s_cbranch_execnz .LBB2388_102
	s_branch .LBB2388_97
.LBB2388_103:                           ;   in Loop: Header=BB2388_99 Depth=1
                                        ; implicit-def: $sgpr11
	s_and_b64 s[8:9], exec, s[6:7]
	s_or_b64 s[4:5], s[8:9], s[4:5]
	s_andn2_b64 exec, exec, s[4:5]
	s_cbranch_execnz .LBB2388_99
.LBB2388_104:
	s_or_b64 exec, exec, s[4:5]
	v_add_u32_e32 v3, v51, v38
	v_or_b32_e32 v3, 0x80000000, v3
	global_store_dword v[22:23], v3, off
	global_load_dwordx2 v[20:21], v28, s[16:17]
	v_sub_co_u32_e32 v22, vcc, v51, v18
	v_subb_co_u32_e32 v23, vcc, 0, v19, vcc
	v_mov_b32_e32 v3, 0
	s_waitcnt vmcnt(0)
	v_add_co_u32_e32 v20, vcc, v22, v20
	v_addc_co_u32_e32 v21, vcc, v23, v21, vcc
	ds_write_b64 v28, v[20:21]
.LBB2388_105:
	s_or_b64 exec, exec, s[2:3]
	v_lshlrev_b64 v[20:21], 3, v[2:3]
	v_add3_u32 v27, v29, v47, v27
	v_mov_b32_e32 v29, s27
	v_add_co_u32_e32 v20, vcc, s26, v20
	v_add_u32_e32 v22, v49, v26
	v_add_u32_e32 v23, 0x800, v28
	v_add3_u32 v24, v45, v50, v44
	v_add3_u32 v25, v42, v46, v41
	v_add3_u32 v26, v40, v43, v39
	v_add3_u32 v35, v36, v48, v35
	v_add3_u32 v32, v33, v37, v32
	v_add3_u32 v30, v31, v34, v30
	v_addc_co_u32_e32 v21, vcc, v29, v21, vcc
	s_mov_b32 s2, 0
.LBB2388_106:                           ; =>This Inner Loop Header: Depth=1
	v_add_u32_e32 v29, s2, v22
	v_add_u32_e32 v36, s2, v35
	;; [unrolled: 1-line block ×8, first 2 shown]
	v_min_u32_e32 v29, 0x800, v29
	v_min_u32_e32 v36, 0x800, v36
	;; [unrolled: 1-line block ×8, first 2 shown]
	v_lshlrev_b32_e32 v29, 3, v29
	v_lshlrev_b32_e32 v36, 3, v36
	v_lshlrev_b32_e32 v37, 3, v37
	v_lshlrev_b32_e32 v31, 3, v31
	v_lshlrev_b32_e32 v33, 3, v33
	v_lshlrev_b32_e32 v34, 3, v34
	v_lshlrev_b32_e32 v39, 3, v39
	v_lshlrev_b32_e32 v40, 3, v40
	ds_write_b64 v29, v[0:1] offset:2048
	ds_write_b64 v31, v[4:5] offset:2048
	;; [unrolled: 1-line block ×8, first 2 shown]
	s_waitcnt lgkmcnt(0)
	s_barrier
	ds_read_b64 v[36:37], v28 offset:2048
	s_addk_i32 s2, 0xf800
	s_cmpk_lg_i32 s2, 0xe000
	s_waitcnt lgkmcnt(0)
	v_lshrrev_b64 v[40:41], s20, v[36:37]
	v_and_b32_e32 v29, s13, v40
	v_lshlrev_b32_e32 v29, 3, v29
	ds_read_b64 v[40:41], v29
	ds_read_b64 v[42:43], v23 offset:8192
	v_xor_b32_e32 v37, 0x7fffffff, v37
	v_xor_b32_e32 v36, -1, v36
	s_waitcnt lgkmcnt(1)
	v_lshlrev_b64 v[40:41], 3, v[40:41]
	s_waitcnt lgkmcnt(0)
	v_lshrrev_b64 v[44:45], s20, v[42:43]
	v_add_co_u32_e32 v40, vcc, v20, v40
	v_and_b32_e32 v29, s13, v44
	v_addc_co_u32_e32 v41, vcc, v21, v41, vcc
	v_lshlrev_b32_e32 v29, 3, v29
	global_store_dwordx2 v[40:41], v[36:37], off
	ds_read_b64 v[36:37], v29
	v_xor_b32_e32 v43, 0x7fffffff, v43
	v_xor_b32_e32 v42, -1, v42
	s_waitcnt lgkmcnt(0)
	v_lshlrev_b64 v[36:37], 3, v[36:37]
	v_add_co_u32_e32 v29, vcc, v20, v36
	v_addc_co_u32_e32 v31, vcc, v21, v37, vcc
	v_add_co_u32_e32 v36, vcc, 0x2000, v29
	v_addc_co_u32_e32 v37, vcc, 0, v31, vcc
	;; [unrolled: 2-line block ×3, first 2 shown]
	global_store_dwordx2 v[36:37], v[42:43], off
	s_barrier
	s_cbranch_scc1 .LBB2388_106
; %bb.107:
	s_add_i32 s12, s12, -1
	s_cmp_eq_u32 s12, s28
	s_cselect_b64 s[2:3], -1, 0
	s_and_b64 s[2:3], s[0:1], s[2:3]
.LBB2388_108:
	s_and_saveexec_b64 s[0:1], s[2:3]
	s_cbranch_execnz .LBB2388_110
; %bb.109:
	s_endpgm
.LBB2388_110:
	v_lshlrev_b64 v[0:1], 3, v[2:3]
	ds_read_b64 v[2:3], v28
	v_add_co_u32_e32 v4, vcc, v18, v38
	v_addc_co_u32_e32 v5, vcc, 0, v19, vcc
	v_mov_b32_e32 v6, s19
	v_add_co_u32_e32 v0, vcc, s18, v0
	v_addc_co_u32_e32 v1, vcc, v6, v1, vcc
	s_waitcnt lgkmcnt(0)
	v_add_co_u32_e32 v2, vcc, v4, v2
	v_addc_co_u32_e32 v3, vcc, v5, v3, vcc
	global_store_dwordx2 v[0:1], v[2:3], off
	s_endpgm
	.section	.rodata,"a",@progbits
	.p2align	6, 0x0
	.amdhsa_kernel _ZN7rocprim17ROCPRIM_400000_NS6detail17trampoline_kernelINS0_14default_configENS1_35radix_sort_onesweep_config_selectorIxNS0_10empty_typeEEEZZNS1_29radix_sort_onesweep_iterationIS3_Lb1EPxS8_PS5_S9_mNS0_19identity_decomposerENS1_16block_id_wrapperIjLb1EEEEE10hipError_tT1_PNSt15iterator_traitsISE_E10value_typeET2_T3_PNSF_ISK_E10value_typeET4_T5_PSP_SQ_PNS1_23onesweep_lookback_stateEbbT6_jjT7_P12ihipStream_tbENKUlT_T0_SE_SJ_E_clIS8_S8_S9_S9_EEDaSX_SY_SE_SJ_EUlSX_E_NS1_11comp_targetILNS1_3genE4ELNS1_11target_archE910ELNS1_3gpuE8ELNS1_3repE0EEENS1_47radix_sort_onesweep_sort_config_static_selectorELNS0_4arch9wavefront6targetE1EEEvSE_
		.amdhsa_group_segment_fixed_size 20552
		.amdhsa_private_segment_fixed_size 0
		.amdhsa_kernarg_size 344
		.amdhsa_user_sgpr_count 6
		.amdhsa_user_sgpr_private_segment_buffer 1
		.amdhsa_user_sgpr_dispatch_ptr 0
		.amdhsa_user_sgpr_queue_ptr 0
		.amdhsa_user_sgpr_kernarg_segment_ptr 1
		.amdhsa_user_sgpr_dispatch_id 0
		.amdhsa_user_sgpr_flat_scratch_init 0
		.amdhsa_user_sgpr_kernarg_preload_length 0
		.amdhsa_user_sgpr_kernarg_preload_offset 0
		.amdhsa_user_sgpr_private_segment_size 0
		.amdhsa_uses_dynamic_stack 0
		.amdhsa_system_sgpr_private_segment_wavefront_offset 0
		.amdhsa_system_sgpr_workgroup_id_x 1
		.amdhsa_system_sgpr_workgroup_id_y 0
		.amdhsa_system_sgpr_workgroup_id_z 0
		.amdhsa_system_sgpr_workgroup_info 0
		.amdhsa_system_vgpr_workitem_id 2
		.amdhsa_next_free_vgpr 55
		.amdhsa_next_free_sgpr 34
		.amdhsa_accum_offset 56
		.amdhsa_reserve_vcc 1
		.amdhsa_reserve_flat_scratch 0
		.amdhsa_float_round_mode_32 0
		.amdhsa_float_round_mode_16_64 0
		.amdhsa_float_denorm_mode_32 3
		.amdhsa_float_denorm_mode_16_64 3
		.amdhsa_dx10_clamp 1
		.amdhsa_ieee_mode 1
		.amdhsa_fp16_overflow 0
		.amdhsa_tg_split 0
		.amdhsa_exception_fp_ieee_invalid_op 0
		.amdhsa_exception_fp_denorm_src 0
		.amdhsa_exception_fp_ieee_div_zero 0
		.amdhsa_exception_fp_ieee_overflow 0
		.amdhsa_exception_fp_ieee_underflow 0
		.amdhsa_exception_fp_ieee_inexact 0
		.amdhsa_exception_int_div_zero 0
	.end_amdhsa_kernel
	.section	.text._ZN7rocprim17ROCPRIM_400000_NS6detail17trampoline_kernelINS0_14default_configENS1_35radix_sort_onesweep_config_selectorIxNS0_10empty_typeEEEZZNS1_29radix_sort_onesweep_iterationIS3_Lb1EPxS8_PS5_S9_mNS0_19identity_decomposerENS1_16block_id_wrapperIjLb1EEEEE10hipError_tT1_PNSt15iterator_traitsISE_E10value_typeET2_T3_PNSF_ISK_E10value_typeET4_T5_PSP_SQ_PNS1_23onesweep_lookback_stateEbbT6_jjT7_P12ihipStream_tbENKUlT_T0_SE_SJ_E_clIS8_S8_S9_S9_EEDaSX_SY_SE_SJ_EUlSX_E_NS1_11comp_targetILNS1_3genE4ELNS1_11target_archE910ELNS1_3gpuE8ELNS1_3repE0EEENS1_47radix_sort_onesweep_sort_config_static_selectorELNS0_4arch9wavefront6targetE1EEEvSE_,"axG",@progbits,_ZN7rocprim17ROCPRIM_400000_NS6detail17trampoline_kernelINS0_14default_configENS1_35radix_sort_onesweep_config_selectorIxNS0_10empty_typeEEEZZNS1_29radix_sort_onesweep_iterationIS3_Lb1EPxS8_PS5_S9_mNS0_19identity_decomposerENS1_16block_id_wrapperIjLb1EEEEE10hipError_tT1_PNSt15iterator_traitsISE_E10value_typeET2_T3_PNSF_ISK_E10value_typeET4_T5_PSP_SQ_PNS1_23onesweep_lookback_stateEbbT6_jjT7_P12ihipStream_tbENKUlT_T0_SE_SJ_E_clIS8_S8_S9_S9_EEDaSX_SY_SE_SJ_EUlSX_E_NS1_11comp_targetILNS1_3genE4ELNS1_11target_archE910ELNS1_3gpuE8ELNS1_3repE0EEENS1_47radix_sort_onesweep_sort_config_static_selectorELNS0_4arch9wavefront6targetE1EEEvSE_,comdat
.Lfunc_end2388:
	.size	_ZN7rocprim17ROCPRIM_400000_NS6detail17trampoline_kernelINS0_14default_configENS1_35radix_sort_onesweep_config_selectorIxNS0_10empty_typeEEEZZNS1_29radix_sort_onesweep_iterationIS3_Lb1EPxS8_PS5_S9_mNS0_19identity_decomposerENS1_16block_id_wrapperIjLb1EEEEE10hipError_tT1_PNSt15iterator_traitsISE_E10value_typeET2_T3_PNSF_ISK_E10value_typeET4_T5_PSP_SQ_PNS1_23onesweep_lookback_stateEbbT6_jjT7_P12ihipStream_tbENKUlT_T0_SE_SJ_E_clIS8_S8_S9_S9_EEDaSX_SY_SE_SJ_EUlSX_E_NS1_11comp_targetILNS1_3genE4ELNS1_11target_archE910ELNS1_3gpuE8ELNS1_3repE0EEENS1_47radix_sort_onesweep_sort_config_static_selectorELNS0_4arch9wavefront6targetE1EEEvSE_, .Lfunc_end2388-_ZN7rocprim17ROCPRIM_400000_NS6detail17trampoline_kernelINS0_14default_configENS1_35radix_sort_onesweep_config_selectorIxNS0_10empty_typeEEEZZNS1_29radix_sort_onesweep_iterationIS3_Lb1EPxS8_PS5_S9_mNS0_19identity_decomposerENS1_16block_id_wrapperIjLb1EEEEE10hipError_tT1_PNSt15iterator_traitsISE_E10value_typeET2_T3_PNSF_ISK_E10value_typeET4_T5_PSP_SQ_PNS1_23onesweep_lookback_stateEbbT6_jjT7_P12ihipStream_tbENKUlT_T0_SE_SJ_E_clIS8_S8_S9_S9_EEDaSX_SY_SE_SJ_EUlSX_E_NS1_11comp_targetILNS1_3genE4ELNS1_11target_archE910ELNS1_3gpuE8ELNS1_3repE0EEENS1_47radix_sort_onesweep_sort_config_static_selectorELNS0_4arch9wavefront6targetE1EEEvSE_
                                        ; -- End function
	.section	.AMDGPU.csdata,"",@progbits
; Kernel info:
; codeLenInByte = 10560
; NumSgprs: 38
; NumVgprs: 55
; NumAgprs: 0
; TotalNumVgprs: 55
; ScratchSize: 0
; MemoryBound: 0
; FloatMode: 240
; IeeeMode: 1
; LDSByteSize: 20552 bytes/workgroup (compile time only)
; SGPRBlocks: 4
; VGPRBlocks: 6
; NumSGPRsForWavesPerEU: 38
; NumVGPRsForWavesPerEU: 55
; AccumOffset: 56
; Occupancy: 8
; WaveLimiterHint : 1
; COMPUTE_PGM_RSRC2:SCRATCH_EN: 0
; COMPUTE_PGM_RSRC2:USER_SGPR: 6
; COMPUTE_PGM_RSRC2:TRAP_HANDLER: 0
; COMPUTE_PGM_RSRC2:TGID_X_EN: 1
; COMPUTE_PGM_RSRC2:TGID_Y_EN: 0
; COMPUTE_PGM_RSRC2:TGID_Z_EN: 0
; COMPUTE_PGM_RSRC2:TIDIG_COMP_CNT: 2
; COMPUTE_PGM_RSRC3_GFX90A:ACCUM_OFFSET: 13
; COMPUTE_PGM_RSRC3_GFX90A:TG_SPLIT: 0
	.section	.text._ZN7rocprim17ROCPRIM_400000_NS6detail17trampoline_kernelINS0_14default_configENS1_35radix_sort_onesweep_config_selectorIxNS0_10empty_typeEEEZZNS1_29radix_sort_onesweep_iterationIS3_Lb1EPxS8_PS5_S9_mNS0_19identity_decomposerENS1_16block_id_wrapperIjLb1EEEEE10hipError_tT1_PNSt15iterator_traitsISE_E10value_typeET2_T3_PNSF_ISK_E10value_typeET4_T5_PSP_SQ_PNS1_23onesweep_lookback_stateEbbT6_jjT7_P12ihipStream_tbENKUlT_T0_SE_SJ_E_clIS8_S8_S9_S9_EEDaSX_SY_SE_SJ_EUlSX_E_NS1_11comp_targetILNS1_3genE3ELNS1_11target_archE908ELNS1_3gpuE7ELNS1_3repE0EEENS1_47radix_sort_onesweep_sort_config_static_selectorELNS0_4arch9wavefront6targetE1EEEvSE_,"axG",@progbits,_ZN7rocprim17ROCPRIM_400000_NS6detail17trampoline_kernelINS0_14default_configENS1_35radix_sort_onesweep_config_selectorIxNS0_10empty_typeEEEZZNS1_29radix_sort_onesweep_iterationIS3_Lb1EPxS8_PS5_S9_mNS0_19identity_decomposerENS1_16block_id_wrapperIjLb1EEEEE10hipError_tT1_PNSt15iterator_traitsISE_E10value_typeET2_T3_PNSF_ISK_E10value_typeET4_T5_PSP_SQ_PNS1_23onesweep_lookback_stateEbbT6_jjT7_P12ihipStream_tbENKUlT_T0_SE_SJ_E_clIS8_S8_S9_S9_EEDaSX_SY_SE_SJ_EUlSX_E_NS1_11comp_targetILNS1_3genE3ELNS1_11target_archE908ELNS1_3gpuE7ELNS1_3repE0EEENS1_47radix_sort_onesweep_sort_config_static_selectorELNS0_4arch9wavefront6targetE1EEEvSE_,comdat
	.protected	_ZN7rocprim17ROCPRIM_400000_NS6detail17trampoline_kernelINS0_14default_configENS1_35radix_sort_onesweep_config_selectorIxNS0_10empty_typeEEEZZNS1_29radix_sort_onesweep_iterationIS3_Lb1EPxS8_PS5_S9_mNS0_19identity_decomposerENS1_16block_id_wrapperIjLb1EEEEE10hipError_tT1_PNSt15iterator_traitsISE_E10value_typeET2_T3_PNSF_ISK_E10value_typeET4_T5_PSP_SQ_PNS1_23onesweep_lookback_stateEbbT6_jjT7_P12ihipStream_tbENKUlT_T0_SE_SJ_E_clIS8_S8_S9_S9_EEDaSX_SY_SE_SJ_EUlSX_E_NS1_11comp_targetILNS1_3genE3ELNS1_11target_archE908ELNS1_3gpuE7ELNS1_3repE0EEENS1_47radix_sort_onesweep_sort_config_static_selectorELNS0_4arch9wavefront6targetE1EEEvSE_ ; -- Begin function _ZN7rocprim17ROCPRIM_400000_NS6detail17trampoline_kernelINS0_14default_configENS1_35radix_sort_onesweep_config_selectorIxNS0_10empty_typeEEEZZNS1_29radix_sort_onesweep_iterationIS3_Lb1EPxS8_PS5_S9_mNS0_19identity_decomposerENS1_16block_id_wrapperIjLb1EEEEE10hipError_tT1_PNSt15iterator_traitsISE_E10value_typeET2_T3_PNSF_ISK_E10value_typeET4_T5_PSP_SQ_PNS1_23onesweep_lookback_stateEbbT6_jjT7_P12ihipStream_tbENKUlT_T0_SE_SJ_E_clIS8_S8_S9_S9_EEDaSX_SY_SE_SJ_EUlSX_E_NS1_11comp_targetILNS1_3genE3ELNS1_11target_archE908ELNS1_3gpuE7ELNS1_3repE0EEENS1_47radix_sort_onesweep_sort_config_static_selectorELNS0_4arch9wavefront6targetE1EEEvSE_
	.globl	_ZN7rocprim17ROCPRIM_400000_NS6detail17trampoline_kernelINS0_14default_configENS1_35radix_sort_onesweep_config_selectorIxNS0_10empty_typeEEEZZNS1_29radix_sort_onesweep_iterationIS3_Lb1EPxS8_PS5_S9_mNS0_19identity_decomposerENS1_16block_id_wrapperIjLb1EEEEE10hipError_tT1_PNSt15iterator_traitsISE_E10value_typeET2_T3_PNSF_ISK_E10value_typeET4_T5_PSP_SQ_PNS1_23onesweep_lookback_stateEbbT6_jjT7_P12ihipStream_tbENKUlT_T0_SE_SJ_E_clIS8_S8_S9_S9_EEDaSX_SY_SE_SJ_EUlSX_E_NS1_11comp_targetILNS1_3genE3ELNS1_11target_archE908ELNS1_3gpuE7ELNS1_3repE0EEENS1_47radix_sort_onesweep_sort_config_static_selectorELNS0_4arch9wavefront6targetE1EEEvSE_
	.p2align	8
	.type	_ZN7rocprim17ROCPRIM_400000_NS6detail17trampoline_kernelINS0_14default_configENS1_35radix_sort_onesweep_config_selectorIxNS0_10empty_typeEEEZZNS1_29radix_sort_onesweep_iterationIS3_Lb1EPxS8_PS5_S9_mNS0_19identity_decomposerENS1_16block_id_wrapperIjLb1EEEEE10hipError_tT1_PNSt15iterator_traitsISE_E10value_typeET2_T3_PNSF_ISK_E10value_typeET4_T5_PSP_SQ_PNS1_23onesweep_lookback_stateEbbT6_jjT7_P12ihipStream_tbENKUlT_T0_SE_SJ_E_clIS8_S8_S9_S9_EEDaSX_SY_SE_SJ_EUlSX_E_NS1_11comp_targetILNS1_3genE3ELNS1_11target_archE908ELNS1_3gpuE7ELNS1_3repE0EEENS1_47radix_sort_onesweep_sort_config_static_selectorELNS0_4arch9wavefront6targetE1EEEvSE_,@function
_ZN7rocprim17ROCPRIM_400000_NS6detail17trampoline_kernelINS0_14default_configENS1_35radix_sort_onesweep_config_selectorIxNS0_10empty_typeEEEZZNS1_29radix_sort_onesweep_iterationIS3_Lb1EPxS8_PS5_S9_mNS0_19identity_decomposerENS1_16block_id_wrapperIjLb1EEEEE10hipError_tT1_PNSt15iterator_traitsISE_E10value_typeET2_T3_PNSF_ISK_E10value_typeET4_T5_PSP_SQ_PNS1_23onesweep_lookback_stateEbbT6_jjT7_P12ihipStream_tbENKUlT_T0_SE_SJ_E_clIS8_S8_S9_S9_EEDaSX_SY_SE_SJ_EUlSX_E_NS1_11comp_targetILNS1_3genE3ELNS1_11target_archE908ELNS1_3gpuE7ELNS1_3repE0EEENS1_47radix_sort_onesweep_sort_config_static_selectorELNS0_4arch9wavefront6targetE1EEEvSE_: ; @_ZN7rocprim17ROCPRIM_400000_NS6detail17trampoline_kernelINS0_14default_configENS1_35radix_sort_onesweep_config_selectorIxNS0_10empty_typeEEEZZNS1_29radix_sort_onesweep_iterationIS3_Lb1EPxS8_PS5_S9_mNS0_19identity_decomposerENS1_16block_id_wrapperIjLb1EEEEE10hipError_tT1_PNSt15iterator_traitsISE_E10value_typeET2_T3_PNSF_ISK_E10value_typeET4_T5_PSP_SQ_PNS1_23onesweep_lookback_stateEbbT6_jjT7_P12ihipStream_tbENKUlT_T0_SE_SJ_E_clIS8_S8_S9_S9_EEDaSX_SY_SE_SJ_EUlSX_E_NS1_11comp_targetILNS1_3genE3ELNS1_11target_archE908ELNS1_3gpuE7ELNS1_3repE0EEENS1_47radix_sort_onesweep_sort_config_static_selectorELNS0_4arch9wavefront6targetE1EEEvSE_
; %bb.0:
	.section	.rodata,"a",@progbits
	.p2align	6, 0x0
	.amdhsa_kernel _ZN7rocprim17ROCPRIM_400000_NS6detail17trampoline_kernelINS0_14default_configENS1_35radix_sort_onesweep_config_selectorIxNS0_10empty_typeEEEZZNS1_29radix_sort_onesweep_iterationIS3_Lb1EPxS8_PS5_S9_mNS0_19identity_decomposerENS1_16block_id_wrapperIjLb1EEEEE10hipError_tT1_PNSt15iterator_traitsISE_E10value_typeET2_T3_PNSF_ISK_E10value_typeET4_T5_PSP_SQ_PNS1_23onesweep_lookback_stateEbbT6_jjT7_P12ihipStream_tbENKUlT_T0_SE_SJ_E_clIS8_S8_S9_S9_EEDaSX_SY_SE_SJ_EUlSX_E_NS1_11comp_targetILNS1_3genE3ELNS1_11target_archE908ELNS1_3gpuE7ELNS1_3repE0EEENS1_47radix_sort_onesweep_sort_config_static_selectorELNS0_4arch9wavefront6targetE1EEEvSE_
		.amdhsa_group_segment_fixed_size 0
		.amdhsa_private_segment_fixed_size 0
		.amdhsa_kernarg_size 88
		.amdhsa_user_sgpr_count 6
		.amdhsa_user_sgpr_private_segment_buffer 1
		.amdhsa_user_sgpr_dispatch_ptr 0
		.amdhsa_user_sgpr_queue_ptr 0
		.amdhsa_user_sgpr_kernarg_segment_ptr 1
		.amdhsa_user_sgpr_dispatch_id 0
		.amdhsa_user_sgpr_flat_scratch_init 0
		.amdhsa_user_sgpr_kernarg_preload_length 0
		.amdhsa_user_sgpr_kernarg_preload_offset 0
		.amdhsa_user_sgpr_private_segment_size 0
		.amdhsa_uses_dynamic_stack 0
		.amdhsa_system_sgpr_private_segment_wavefront_offset 0
		.amdhsa_system_sgpr_workgroup_id_x 1
		.amdhsa_system_sgpr_workgroup_id_y 0
		.amdhsa_system_sgpr_workgroup_id_z 0
		.amdhsa_system_sgpr_workgroup_info 0
		.amdhsa_system_vgpr_workitem_id 0
		.amdhsa_next_free_vgpr 1
		.amdhsa_next_free_sgpr 0
		.amdhsa_accum_offset 4
		.amdhsa_reserve_vcc 0
		.amdhsa_reserve_flat_scratch 0
		.amdhsa_float_round_mode_32 0
		.amdhsa_float_round_mode_16_64 0
		.amdhsa_float_denorm_mode_32 3
		.amdhsa_float_denorm_mode_16_64 3
		.amdhsa_dx10_clamp 1
		.amdhsa_ieee_mode 1
		.amdhsa_fp16_overflow 0
		.amdhsa_tg_split 0
		.amdhsa_exception_fp_ieee_invalid_op 0
		.amdhsa_exception_fp_denorm_src 0
		.amdhsa_exception_fp_ieee_div_zero 0
		.amdhsa_exception_fp_ieee_overflow 0
		.amdhsa_exception_fp_ieee_underflow 0
		.amdhsa_exception_fp_ieee_inexact 0
		.amdhsa_exception_int_div_zero 0
	.end_amdhsa_kernel
	.section	.text._ZN7rocprim17ROCPRIM_400000_NS6detail17trampoline_kernelINS0_14default_configENS1_35radix_sort_onesweep_config_selectorIxNS0_10empty_typeEEEZZNS1_29radix_sort_onesweep_iterationIS3_Lb1EPxS8_PS5_S9_mNS0_19identity_decomposerENS1_16block_id_wrapperIjLb1EEEEE10hipError_tT1_PNSt15iterator_traitsISE_E10value_typeET2_T3_PNSF_ISK_E10value_typeET4_T5_PSP_SQ_PNS1_23onesweep_lookback_stateEbbT6_jjT7_P12ihipStream_tbENKUlT_T0_SE_SJ_E_clIS8_S8_S9_S9_EEDaSX_SY_SE_SJ_EUlSX_E_NS1_11comp_targetILNS1_3genE3ELNS1_11target_archE908ELNS1_3gpuE7ELNS1_3repE0EEENS1_47radix_sort_onesweep_sort_config_static_selectorELNS0_4arch9wavefront6targetE1EEEvSE_,"axG",@progbits,_ZN7rocprim17ROCPRIM_400000_NS6detail17trampoline_kernelINS0_14default_configENS1_35radix_sort_onesweep_config_selectorIxNS0_10empty_typeEEEZZNS1_29radix_sort_onesweep_iterationIS3_Lb1EPxS8_PS5_S9_mNS0_19identity_decomposerENS1_16block_id_wrapperIjLb1EEEEE10hipError_tT1_PNSt15iterator_traitsISE_E10value_typeET2_T3_PNSF_ISK_E10value_typeET4_T5_PSP_SQ_PNS1_23onesweep_lookback_stateEbbT6_jjT7_P12ihipStream_tbENKUlT_T0_SE_SJ_E_clIS8_S8_S9_S9_EEDaSX_SY_SE_SJ_EUlSX_E_NS1_11comp_targetILNS1_3genE3ELNS1_11target_archE908ELNS1_3gpuE7ELNS1_3repE0EEENS1_47radix_sort_onesweep_sort_config_static_selectorELNS0_4arch9wavefront6targetE1EEEvSE_,comdat
.Lfunc_end2389:
	.size	_ZN7rocprim17ROCPRIM_400000_NS6detail17trampoline_kernelINS0_14default_configENS1_35radix_sort_onesweep_config_selectorIxNS0_10empty_typeEEEZZNS1_29radix_sort_onesweep_iterationIS3_Lb1EPxS8_PS5_S9_mNS0_19identity_decomposerENS1_16block_id_wrapperIjLb1EEEEE10hipError_tT1_PNSt15iterator_traitsISE_E10value_typeET2_T3_PNSF_ISK_E10value_typeET4_T5_PSP_SQ_PNS1_23onesweep_lookback_stateEbbT6_jjT7_P12ihipStream_tbENKUlT_T0_SE_SJ_E_clIS8_S8_S9_S9_EEDaSX_SY_SE_SJ_EUlSX_E_NS1_11comp_targetILNS1_3genE3ELNS1_11target_archE908ELNS1_3gpuE7ELNS1_3repE0EEENS1_47radix_sort_onesweep_sort_config_static_selectorELNS0_4arch9wavefront6targetE1EEEvSE_, .Lfunc_end2389-_ZN7rocprim17ROCPRIM_400000_NS6detail17trampoline_kernelINS0_14default_configENS1_35radix_sort_onesweep_config_selectorIxNS0_10empty_typeEEEZZNS1_29radix_sort_onesweep_iterationIS3_Lb1EPxS8_PS5_S9_mNS0_19identity_decomposerENS1_16block_id_wrapperIjLb1EEEEE10hipError_tT1_PNSt15iterator_traitsISE_E10value_typeET2_T3_PNSF_ISK_E10value_typeET4_T5_PSP_SQ_PNS1_23onesweep_lookback_stateEbbT6_jjT7_P12ihipStream_tbENKUlT_T0_SE_SJ_E_clIS8_S8_S9_S9_EEDaSX_SY_SE_SJ_EUlSX_E_NS1_11comp_targetILNS1_3genE3ELNS1_11target_archE908ELNS1_3gpuE7ELNS1_3repE0EEENS1_47radix_sort_onesweep_sort_config_static_selectorELNS0_4arch9wavefront6targetE1EEEvSE_
                                        ; -- End function
	.section	.AMDGPU.csdata,"",@progbits
; Kernel info:
; codeLenInByte = 0
; NumSgprs: 4
; NumVgprs: 0
; NumAgprs: 0
; TotalNumVgprs: 0
; ScratchSize: 0
; MemoryBound: 0
; FloatMode: 240
; IeeeMode: 1
; LDSByteSize: 0 bytes/workgroup (compile time only)
; SGPRBlocks: 0
; VGPRBlocks: 0
; NumSGPRsForWavesPerEU: 4
; NumVGPRsForWavesPerEU: 1
; AccumOffset: 4
; Occupancy: 8
; WaveLimiterHint : 0
; COMPUTE_PGM_RSRC2:SCRATCH_EN: 0
; COMPUTE_PGM_RSRC2:USER_SGPR: 6
; COMPUTE_PGM_RSRC2:TRAP_HANDLER: 0
; COMPUTE_PGM_RSRC2:TGID_X_EN: 1
; COMPUTE_PGM_RSRC2:TGID_Y_EN: 0
; COMPUTE_PGM_RSRC2:TGID_Z_EN: 0
; COMPUTE_PGM_RSRC2:TIDIG_COMP_CNT: 0
; COMPUTE_PGM_RSRC3_GFX90A:ACCUM_OFFSET: 0
; COMPUTE_PGM_RSRC3_GFX90A:TG_SPLIT: 0
	.section	.text._ZN7rocprim17ROCPRIM_400000_NS6detail17trampoline_kernelINS0_14default_configENS1_35radix_sort_onesweep_config_selectorIxNS0_10empty_typeEEEZZNS1_29radix_sort_onesweep_iterationIS3_Lb1EPxS8_PS5_S9_mNS0_19identity_decomposerENS1_16block_id_wrapperIjLb1EEEEE10hipError_tT1_PNSt15iterator_traitsISE_E10value_typeET2_T3_PNSF_ISK_E10value_typeET4_T5_PSP_SQ_PNS1_23onesweep_lookback_stateEbbT6_jjT7_P12ihipStream_tbENKUlT_T0_SE_SJ_E_clIS8_S8_S9_S9_EEDaSX_SY_SE_SJ_EUlSX_E_NS1_11comp_targetILNS1_3genE10ELNS1_11target_archE1201ELNS1_3gpuE5ELNS1_3repE0EEENS1_47radix_sort_onesweep_sort_config_static_selectorELNS0_4arch9wavefront6targetE1EEEvSE_,"axG",@progbits,_ZN7rocprim17ROCPRIM_400000_NS6detail17trampoline_kernelINS0_14default_configENS1_35radix_sort_onesweep_config_selectorIxNS0_10empty_typeEEEZZNS1_29radix_sort_onesweep_iterationIS3_Lb1EPxS8_PS5_S9_mNS0_19identity_decomposerENS1_16block_id_wrapperIjLb1EEEEE10hipError_tT1_PNSt15iterator_traitsISE_E10value_typeET2_T3_PNSF_ISK_E10value_typeET4_T5_PSP_SQ_PNS1_23onesweep_lookback_stateEbbT6_jjT7_P12ihipStream_tbENKUlT_T0_SE_SJ_E_clIS8_S8_S9_S9_EEDaSX_SY_SE_SJ_EUlSX_E_NS1_11comp_targetILNS1_3genE10ELNS1_11target_archE1201ELNS1_3gpuE5ELNS1_3repE0EEENS1_47radix_sort_onesweep_sort_config_static_selectorELNS0_4arch9wavefront6targetE1EEEvSE_,comdat
	.protected	_ZN7rocprim17ROCPRIM_400000_NS6detail17trampoline_kernelINS0_14default_configENS1_35radix_sort_onesweep_config_selectorIxNS0_10empty_typeEEEZZNS1_29radix_sort_onesweep_iterationIS3_Lb1EPxS8_PS5_S9_mNS0_19identity_decomposerENS1_16block_id_wrapperIjLb1EEEEE10hipError_tT1_PNSt15iterator_traitsISE_E10value_typeET2_T3_PNSF_ISK_E10value_typeET4_T5_PSP_SQ_PNS1_23onesweep_lookback_stateEbbT6_jjT7_P12ihipStream_tbENKUlT_T0_SE_SJ_E_clIS8_S8_S9_S9_EEDaSX_SY_SE_SJ_EUlSX_E_NS1_11comp_targetILNS1_3genE10ELNS1_11target_archE1201ELNS1_3gpuE5ELNS1_3repE0EEENS1_47radix_sort_onesweep_sort_config_static_selectorELNS0_4arch9wavefront6targetE1EEEvSE_ ; -- Begin function _ZN7rocprim17ROCPRIM_400000_NS6detail17trampoline_kernelINS0_14default_configENS1_35radix_sort_onesweep_config_selectorIxNS0_10empty_typeEEEZZNS1_29radix_sort_onesweep_iterationIS3_Lb1EPxS8_PS5_S9_mNS0_19identity_decomposerENS1_16block_id_wrapperIjLb1EEEEE10hipError_tT1_PNSt15iterator_traitsISE_E10value_typeET2_T3_PNSF_ISK_E10value_typeET4_T5_PSP_SQ_PNS1_23onesweep_lookback_stateEbbT6_jjT7_P12ihipStream_tbENKUlT_T0_SE_SJ_E_clIS8_S8_S9_S9_EEDaSX_SY_SE_SJ_EUlSX_E_NS1_11comp_targetILNS1_3genE10ELNS1_11target_archE1201ELNS1_3gpuE5ELNS1_3repE0EEENS1_47radix_sort_onesweep_sort_config_static_selectorELNS0_4arch9wavefront6targetE1EEEvSE_
	.globl	_ZN7rocprim17ROCPRIM_400000_NS6detail17trampoline_kernelINS0_14default_configENS1_35radix_sort_onesweep_config_selectorIxNS0_10empty_typeEEEZZNS1_29radix_sort_onesweep_iterationIS3_Lb1EPxS8_PS5_S9_mNS0_19identity_decomposerENS1_16block_id_wrapperIjLb1EEEEE10hipError_tT1_PNSt15iterator_traitsISE_E10value_typeET2_T3_PNSF_ISK_E10value_typeET4_T5_PSP_SQ_PNS1_23onesweep_lookback_stateEbbT6_jjT7_P12ihipStream_tbENKUlT_T0_SE_SJ_E_clIS8_S8_S9_S9_EEDaSX_SY_SE_SJ_EUlSX_E_NS1_11comp_targetILNS1_3genE10ELNS1_11target_archE1201ELNS1_3gpuE5ELNS1_3repE0EEENS1_47radix_sort_onesweep_sort_config_static_selectorELNS0_4arch9wavefront6targetE1EEEvSE_
	.p2align	8
	.type	_ZN7rocprim17ROCPRIM_400000_NS6detail17trampoline_kernelINS0_14default_configENS1_35radix_sort_onesweep_config_selectorIxNS0_10empty_typeEEEZZNS1_29radix_sort_onesweep_iterationIS3_Lb1EPxS8_PS5_S9_mNS0_19identity_decomposerENS1_16block_id_wrapperIjLb1EEEEE10hipError_tT1_PNSt15iterator_traitsISE_E10value_typeET2_T3_PNSF_ISK_E10value_typeET4_T5_PSP_SQ_PNS1_23onesweep_lookback_stateEbbT6_jjT7_P12ihipStream_tbENKUlT_T0_SE_SJ_E_clIS8_S8_S9_S9_EEDaSX_SY_SE_SJ_EUlSX_E_NS1_11comp_targetILNS1_3genE10ELNS1_11target_archE1201ELNS1_3gpuE5ELNS1_3repE0EEENS1_47radix_sort_onesweep_sort_config_static_selectorELNS0_4arch9wavefront6targetE1EEEvSE_,@function
_ZN7rocprim17ROCPRIM_400000_NS6detail17trampoline_kernelINS0_14default_configENS1_35radix_sort_onesweep_config_selectorIxNS0_10empty_typeEEEZZNS1_29radix_sort_onesweep_iterationIS3_Lb1EPxS8_PS5_S9_mNS0_19identity_decomposerENS1_16block_id_wrapperIjLb1EEEEE10hipError_tT1_PNSt15iterator_traitsISE_E10value_typeET2_T3_PNSF_ISK_E10value_typeET4_T5_PSP_SQ_PNS1_23onesweep_lookback_stateEbbT6_jjT7_P12ihipStream_tbENKUlT_T0_SE_SJ_E_clIS8_S8_S9_S9_EEDaSX_SY_SE_SJ_EUlSX_E_NS1_11comp_targetILNS1_3genE10ELNS1_11target_archE1201ELNS1_3gpuE5ELNS1_3repE0EEENS1_47radix_sort_onesweep_sort_config_static_selectorELNS0_4arch9wavefront6targetE1EEEvSE_: ; @_ZN7rocprim17ROCPRIM_400000_NS6detail17trampoline_kernelINS0_14default_configENS1_35radix_sort_onesweep_config_selectorIxNS0_10empty_typeEEEZZNS1_29radix_sort_onesweep_iterationIS3_Lb1EPxS8_PS5_S9_mNS0_19identity_decomposerENS1_16block_id_wrapperIjLb1EEEEE10hipError_tT1_PNSt15iterator_traitsISE_E10value_typeET2_T3_PNSF_ISK_E10value_typeET4_T5_PSP_SQ_PNS1_23onesweep_lookback_stateEbbT6_jjT7_P12ihipStream_tbENKUlT_T0_SE_SJ_E_clIS8_S8_S9_S9_EEDaSX_SY_SE_SJ_EUlSX_E_NS1_11comp_targetILNS1_3genE10ELNS1_11target_archE1201ELNS1_3gpuE5ELNS1_3repE0EEENS1_47radix_sort_onesweep_sort_config_static_selectorELNS0_4arch9wavefront6targetE1EEEvSE_
; %bb.0:
	.section	.rodata,"a",@progbits
	.p2align	6, 0x0
	.amdhsa_kernel _ZN7rocprim17ROCPRIM_400000_NS6detail17trampoline_kernelINS0_14default_configENS1_35radix_sort_onesweep_config_selectorIxNS0_10empty_typeEEEZZNS1_29radix_sort_onesweep_iterationIS3_Lb1EPxS8_PS5_S9_mNS0_19identity_decomposerENS1_16block_id_wrapperIjLb1EEEEE10hipError_tT1_PNSt15iterator_traitsISE_E10value_typeET2_T3_PNSF_ISK_E10value_typeET4_T5_PSP_SQ_PNS1_23onesweep_lookback_stateEbbT6_jjT7_P12ihipStream_tbENKUlT_T0_SE_SJ_E_clIS8_S8_S9_S9_EEDaSX_SY_SE_SJ_EUlSX_E_NS1_11comp_targetILNS1_3genE10ELNS1_11target_archE1201ELNS1_3gpuE5ELNS1_3repE0EEENS1_47radix_sort_onesweep_sort_config_static_selectorELNS0_4arch9wavefront6targetE1EEEvSE_
		.amdhsa_group_segment_fixed_size 0
		.amdhsa_private_segment_fixed_size 0
		.amdhsa_kernarg_size 88
		.amdhsa_user_sgpr_count 6
		.amdhsa_user_sgpr_private_segment_buffer 1
		.amdhsa_user_sgpr_dispatch_ptr 0
		.amdhsa_user_sgpr_queue_ptr 0
		.amdhsa_user_sgpr_kernarg_segment_ptr 1
		.amdhsa_user_sgpr_dispatch_id 0
		.amdhsa_user_sgpr_flat_scratch_init 0
		.amdhsa_user_sgpr_kernarg_preload_length 0
		.amdhsa_user_sgpr_kernarg_preload_offset 0
		.amdhsa_user_sgpr_private_segment_size 0
		.amdhsa_uses_dynamic_stack 0
		.amdhsa_system_sgpr_private_segment_wavefront_offset 0
		.amdhsa_system_sgpr_workgroup_id_x 1
		.amdhsa_system_sgpr_workgroup_id_y 0
		.amdhsa_system_sgpr_workgroup_id_z 0
		.amdhsa_system_sgpr_workgroup_info 0
		.amdhsa_system_vgpr_workitem_id 0
		.amdhsa_next_free_vgpr 1
		.amdhsa_next_free_sgpr 0
		.amdhsa_accum_offset 4
		.amdhsa_reserve_vcc 0
		.amdhsa_reserve_flat_scratch 0
		.amdhsa_float_round_mode_32 0
		.amdhsa_float_round_mode_16_64 0
		.amdhsa_float_denorm_mode_32 3
		.amdhsa_float_denorm_mode_16_64 3
		.amdhsa_dx10_clamp 1
		.amdhsa_ieee_mode 1
		.amdhsa_fp16_overflow 0
		.amdhsa_tg_split 0
		.amdhsa_exception_fp_ieee_invalid_op 0
		.amdhsa_exception_fp_denorm_src 0
		.amdhsa_exception_fp_ieee_div_zero 0
		.amdhsa_exception_fp_ieee_overflow 0
		.amdhsa_exception_fp_ieee_underflow 0
		.amdhsa_exception_fp_ieee_inexact 0
		.amdhsa_exception_int_div_zero 0
	.end_amdhsa_kernel
	.section	.text._ZN7rocprim17ROCPRIM_400000_NS6detail17trampoline_kernelINS0_14default_configENS1_35radix_sort_onesweep_config_selectorIxNS0_10empty_typeEEEZZNS1_29radix_sort_onesweep_iterationIS3_Lb1EPxS8_PS5_S9_mNS0_19identity_decomposerENS1_16block_id_wrapperIjLb1EEEEE10hipError_tT1_PNSt15iterator_traitsISE_E10value_typeET2_T3_PNSF_ISK_E10value_typeET4_T5_PSP_SQ_PNS1_23onesweep_lookback_stateEbbT6_jjT7_P12ihipStream_tbENKUlT_T0_SE_SJ_E_clIS8_S8_S9_S9_EEDaSX_SY_SE_SJ_EUlSX_E_NS1_11comp_targetILNS1_3genE10ELNS1_11target_archE1201ELNS1_3gpuE5ELNS1_3repE0EEENS1_47radix_sort_onesweep_sort_config_static_selectorELNS0_4arch9wavefront6targetE1EEEvSE_,"axG",@progbits,_ZN7rocprim17ROCPRIM_400000_NS6detail17trampoline_kernelINS0_14default_configENS1_35radix_sort_onesweep_config_selectorIxNS0_10empty_typeEEEZZNS1_29radix_sort_onesweep_iterationIS3_Lb1EPxS8_PS5_S9_mNS0_19identity_decomposerENS1_16block_id_wrapperIjLb1EEEEE10hipError_tT1_PNSt15iterator_traitsISE_E10value_typeET2_T3_PNSF_ISK_E10value_typeET4_T5_PSP_SQ_PNS1_23onesweep_lookback_stateEbbT6_jjT7_P12ihipStream_tbENKUlT_T0_SE_SJ_E_clIS8_S8_S9_S9_EEDaSX_SY_SE_SJ_EUlSX_E_NS1_11comp_targetILNS1_3genE10ELNS1_11target_archE1201ELNS1_3gpuE5ELNS1_3repE0EEENS1_47radix_sort_onesweep_sort_config_static_selectorELNS0_4arch9wavefront6targetE1EEEvSE_,comdat
.Lfunc_end2390:
	.size	_ZN7rocprim17ROCPRIM_400000_NS6detail17trampoline_kernelINS0_14default_configENS1_35radix_sort_onesweep_config_selectorIxNS0_10empty_typeEEEZZNS1_29radix_sort_onesweep_iterationIS3_Lb1EPxS8_PS5_S9_mNS0_19identity_decomposerENS1_16block_id_wrapperIjLb1EEEEE10hipError_tT1_PNSt15iterator_traitsISE_E10value_typeET2_T3_PNSF_ISK_E10value_typeET4_T5_PSP_SQ_PNS1_23onesweep_lookback_stateEbbT6_jjT7_P12ihipStream_tbENKUlT_T0_SE_SJ_E_clIS8_S8_S9_S9_EEDaSX_SY_SE_SJ_EUlSX_E_NS1_11comp_targetILNS1_3genE10ELNS1_11target_archE1201ELNS1_3gpuE5ELNS1_3repE0EEENS1_47radix_sort_onesweep_sort_config_static_selectorELNS0_4arch9wavefront6targetE1EEEvSE_, .Lfunc_end2390-_ZN7rocprim17ROCPRIM_400000_NS6detail17trampoline_kernelINS0_14default_configENS1_35radix_sort_onesweep_config_selectorIxNS0_10empty_typeEEEZZNS1_29radix_sort_onesweep_iterationIS3_Lb1EPxS8_PS5_S9_mNS0_19identity_decomposerENS1_16block_id_wrapperIjLb1EEEEE10hipError_tT1_PNSt15iterator_traitsISE_E10value_typeET2_T3_PNSF_ISK_E10value_typeET4_T5_PSP_SQ_PNS1_23onesweep_lookback_stateEbbT6_jjT7_P12ihipStream_tbENKUlT_T0_SE_SJ_E_clIS8_S8_S9_S9_EEDaSX_SY_SE_SJ_EUlSX_E_NS1_11comp_targetILNS1_3genE10ELNS1_11target_archE1201ELNS1_3gpuE5ELNS1_3repE0EEENS1_47radix_sort_onesweep_sort_config_static_selectorELNS0_4arch9wavefront6targetE1EEEvSE_
                                        ; -- End function
	.section	.AMDGPU.csdata,"",@progbits
; Kernel info:
; codeLenInByte = 0
; NumSgprs: 4
; NumVgprs: 0
; NumAgprs: 0
; TotalNumVgprs: 0
; ScratchSize: 0
; MemoryBound: 0
; FloatMode: 240
; IeeeMode: 1
; LDSByteSize: 0 bytes/workgroup (compile time only)
; SGPRBlocks: 0
; VGPRBlocks: 0
; NumSGPRsForWavesPerEU: 4
; NumVGPRsForWavesPerEU: 1
; AccumOffset: 4
; Occupancy: 8
; WaveLimiterHint : 0
; COMPUTE_PGM_RSRC2:SCRATCH_EN: 0
; COMPUTE_PGM_RSRC2:USER_SGPR: 6
; COMPUTE_PGM_RSRC2:TRAP_HANDLER: 0
; COMPUTE_PGM_RSRC2:TGID_X_EN: 1
; COMPUTE_PGM_RSRC2:TGID_Y_EN: 0
; COMPUTE_PGM_RSRC2:TGID_Z_EN: 0
; COMPUTE_PGM_RSRC2:TIDIG_COMP_CNT: 0
; COMPUTE_PGM_RSRC3_GFX90A:ACCUM_OFFSET: 0
; COMPUTE_PGM_RSRC3_GFX90A:TG_SPLIT: 0
	.section	.text._ZN7rocprim17ROCPRIM_400000_NS6detail17trampoline_kernelINS0_14default_configENS1_35radix_sort_onesweep_config_selectorIxNS0_10empty_typeEEEZZNS1_29radix_sort_onesweep_iterationIS3_Lb1EPxS8_PS5_S9_mNS0_19identity_decomposerENS1_16block_id_wrapperIjLb1EEEEE10hipError_tT1_PNSt15iterator_traitsISE_E10value_typeET2_T3_PNSF_ISK_E10value_typeET4_T5_PSP_SQ_PNS1_23onesweep_lookback_stateEbbT6_jjT7_P12ihipStream_tbENKUlT_T0_SE_SJ_E_clIS8_S8_S9_S9_EEDaSX_SY_SE_SJ_EUlSX_E_NS1_11comp_targetILNS1_3genE9ELNS1_11target_archE1100ELNS1_3gpuE3ELNS1_3repE0EEENS1_47radix_sort_onesweep_sort_config_static_selectorELNS0_4arch9wavefront6targetE1EEEvSE_,"axG",@progbits,_ZN7rocprim17ROCPRIM_400000_NS6detail17trampoline_kernelINS0_14default_configENS1_35radix_sort_onesweep_config_selectorIxNS0_10empty_typeEEEZZNS1_29radix_sort_onesweep_iterationIS3_Lb1EPxS8_PS5_S9_mNS0_19identity_decomposerENS1_16block_id_wrapperIjLb1EEEEE10hipError_tT1_PNSt15iterator_traitsISE_E10value_typeET2_T3_PNSF_ISK_E10value_typeET4_T5_PSP_SQ_PNS1_23onesweep_lookback_stateEbbT6_jjT7_P12ihipStream_tbENKUlT_T0_SE_SJ_E_clIS8_S8_S9_S9_EEDaSX_SY_SE_SJ_EUlSX_E_NS1_11comp_targetILNS1_3genE9ELNS1_11target_archE1100ELNS1_3gpuE3ELNS1_3repE0EEENS1_47radix_sort_onesweep_sort_config_static_selectorELNS0_4arch9wavefront6targetE1EEEvSE_,comdat
	.protected	_ZN7rocprim17ROCPRIM_400000_NS6detail17trampoline_kernelINS0_14default_configENS1_35radix_sort_onesweep_config_selectorIxNS0_10empty_typeEEEZZNS1_29radix_sort_onesweep_iterationIS3_Lb1EPxS8_PS5_S9_mNS0_19identity_decomposerENS1_16block_id_wrapperIjLb1EEEEE10hipError_tT1_PNSt15iterator_traitsISE_E10value_typeET2_T3_PNSF_ISK_E10value_typeET4_T5_PSP_SQ_PNS1_23onesweep_lookback_stateEbbT6_jjT7_P12ihipStream_tbENKUlT_T0_SE_SJ_E_clIS8_S8_S9_S9_EEDaSX_SY_SE_SJ_EUlSX_E_NS1_11comp_targetILNS1_3genE9ELNS1_11target_archE1100ELNS1_3gpuE3ELNS1_3repE0EEENS1_47radix_sort_onesweep_sort_config_static_selectorELNS0_4arch9wavefront6targetE1EEEvSE_ ; -- Begin function _ZN7rocprim17ROCPRIM_400000_NS6detail17trampoline_kernelINS0_14default_configENS1_35radix_sort_onesweep_config_selectorIxNS0_10empty_typeEEEZZNS1_29radix_sort_onesweep_iterationIS3_Lb1EPxS8_PS5_S9_mNS0_19identity_decomposerENS1_16block_id_wrapperIjLb1EEEEE10hipError_tT1_PNSt15iterator_traitsISE_E10value_typeET2_T3_PNSF_ISK_E10value_typeET4_T5_PSP_SQ_PNS1_23onesweep_lookback_stateEbbT6_jjT7_P12ihipStream_tbENKUlT_T0_SE_SJ_E_clIS8_S8_S9_S9_EEDaSX_SY_SE_SJ_EUlSX_E_NS1_11comp_targetILNS1_3genE9ELNS1_11target_archE1100ELNS1_3gpuE3ELNS1_3repE0EEENS1_47radix_sort_onesweep_sort_config_static_selectorELNS0_4arch9wavefront6targetE1EEEvSE_
	.globl	_ZN7rocprim17ROCPRIM_400000_NS6detail17trampoline_kernelINS0_14default_configENS1_35radix_sort_onesweep_config_selectorIxNS0_10empty_typeEEEZZNS1_29radix_sort_onesweep_iterationIS3_Lb1EPxS8_PS5_S9_mNS0_19identity_decomposerENS1_16block_id_wrapperIjLb1EEEEE10hipError_tT1_PNSt15iterator_traitsISE_E10value_typeET2_T3_PNSF_ISK_E10value_typeET4_T5_PSP_SQ_PNS1_23onesweep_lookback_stateEbbT6_jjT7_P12ihipStream_tbENKUlT_T0_SE_SJ_E_clIS8_S8_S9_S9_EEDaSX_SY_SE_SJ_EUlSX_E_NS1_11comp_targetILNS1_3genE9ELNS1_11target_archE1100ELNS1_3gpuE3ELNS1_3repE0EEENS1_47radix_sort_onesweep_sort_config_static_selectorELNS0_4arch9wavefront6targetE1EEEvSE_
	.p2align	8
	.type	_ZN7rocprim17ROCPRIM_400000_NS6detail17trampoline_kernelINS0_14default_configENS1_35radix_sort_onesweep_config_selectorIxNS0_10empty_typeEEEZZNS1_29radix_sort_onesweep_iterationIS3_Lb1EPxS8_PS5_S9_mNS0_19identity_decomposerENS1_16block_id_wrapperIjLb1EEEEE10hipError_tT1_PNSt15iterator_traitsISE_E10value_typeET2_T3_PNSF_ISK_E10value_typeET4_T5_PSP_SQ_PNS1_23onesweep_lookback_stateEbbT6_jjT7_P12ihipStream_tbENKUlT_T0_SE_SJ_E_clIS8_S8_S9_S9_EEDaSX_SY_SE_SJ_EUlSX_E_NS1_11comp_targetILNS1_3genE9ELNS1_11target_archE1100ELNS1_3gpuE3ELNS1_3repE0EEENS1_47radix_sort_onesweep_sort_config_static_selectorELNS0_4arch9wavefront6targetE1EEEvSE_,@function
_ZN7rocprim17ROCPRIM_400000_NS6detail17trampoline_kernelINS0_14default_configENS1_35radix_sort_onesweep_config_selectorIxNS0_10empty_typeEEEZZNS1_29radix_sort_onesweep_iterationIS3_Lb1EPxS8_PS5_S9_mNS0_19identity_decomposerENS1_16block_id_wrapperIjLb1EEEEE10hipError_tT1_PNSt15iterator_traitsISE_E10value_typeET2_T3_PNSF_ISK_E10value_typeET4_T5_PSP_SQ_PNS1_23onesweep_lookback_stateEbbT6_jjT7_P12ihipStream_tbENKUlT_T0_SE_SJ_E_clIS8_S8_S9_S9_EEDaSX_SY_SE_SJ_EUlSX_E_NS1_11comp_targetILNS1_3genE9ELNS1_11target_archE1100ELNS1_3gpuE3ELNS1_3repE0EEENS1_47radix_sort_onesweep_sort_config_static_selectorELNS0_4arch9wavefront6targetE1EEEvSE_: ; @_ZN7rocprim17ROCPRIM_400000_NS6detail17trampoline_kernelINS0_14default_configENS1_35radix_sort_onesweep_config_selectorIxNS0_10empty_typeEEEZZNS1_29radix_sort_onesweep_iterationIS3_Lb1EPxS8_PS5_S9_mNS0_19identity_decomposerENS1_16block_id_wrapperIjLb1EEEEE10hipError_tT1_PNSt15iterator_traitsISE_E10value_typeET2_T3_PNSF_ISK_E10value_typeET4_T5_PSP_SQ_PNS1_23onesweep_lookback_stateEbbT6_jjT7_P12ihipStream_tbENKUlT_T0_SE_SJ_E_clIS8_S8_S9_S9_EEDaSX_SY_SE_SJ_EUlSX_E_NS1_11comp_targetILNS1_3genE9ELNS1_11target_archE1100ELNS1_3gpuE3ELNS1_3repE0EEENS1_47radix_sort_onesweep_sort_config_static_selectorELNS0_4arch9wavefront6targetE1EEEvSE_
; %bb.0:
	.section	.rodata,"a",@progbits
	.p2align	6, 0x0
	.amdhsa_kernel _ZN7rocprim17ROCPRIM_400000_NS6detail17trampoline_kernelINS0_14default_configENS1_35radix_sort_onesweep_config_selectorIxNS0_10empty_typeEEEZZNS1_29radix_sort_onesweep_iterationIS3_Lb1EPxS8_PS5_S9_mNS0_19identity_decomposerENS1_16block_id_wrapperIjLb1EEEEE10hipError_tT1_PNSt15iterator_traitsISE_E10value_typeET2_T3_PNSF_ISK_E10value_typeET4_T5_PSP_SQ_PNS1_23onesweep_lookback_stateEbbT6_jjT7_P12ihipStream_tbENKUlT_T0_SE_SJ_E_clIS8_S8_S9_S9_EEDaSX_SY_SE_SJ_EUlSX_E_NS1_11comp_targetILNS1_3genE9ELNS1_11target_archE1100ELNS1_3gpuE3ELNS1_3repE0EEENS1_47radix_sort_onesweep_sort_config_static_selectorELNS0_4arch9wavefront6targetE1EEEvSE_
		.amdhsa_group_segment_fixed_size 0
		.amdhsa_private_segment_fixed_size 0
		.amdhsa_kernarg_size 88
		.amdhsa_user_sgpr_count 6
		.amdhsa_user_sgpr_private_segment_buffer 1
		.amdhsa_user_sgpr_dispatch_ptr 0
		.amdhsa_user_sgpr_queue_ptr 0
		.amdhsa_user_sgpr_kernarg_segment_ptr 1
		.amdhsa_user_sgpr_dispatch_id 0
		.amdhsa_user_sgpr_flat_scratch_init 0
		.amdhsa_user_sgpr_kernarg_preload_length 0
		.amdhsa_user_sgpr_kernarg_preload_offset 0
		.amdhsa_user_sgpr_private_segment_size 0
		.amdhsa_uses_dynamic_stack 0
		.amdhsa_system_sgpr_private_segment_wavefront_offset 0
		.amdhsa_system_sgpr_workgroup_id_x 1
		.amdhsa_system_sgpr_workgroup_id_y 0
		.amdhsa_system_sgpr_workgroup_id_z 0
		.amdhsa_system_sgpr_workgroup_info 0
		.amdhsa_system_vgpr_workitem_id 0
		.amdhsa_next_free_vgpr 1
		.amdhsa_next_free_sgpr 0
		.amdhsa_accum_offset 4
		.amdhsa_reserve_vcc 0
		.amdhsa_reserve_flat_scratch 0
		.amdhsa_float_round_mode_32 0
		.amdhsa_float_round_mode_16_64 0
		.amdhsa_float_denorm_mode_32 3
		.amdhsa_float_denorm_mode_16_64 3
		.amdhsa_dx10_clamp 1
		.amdhsa_ieee_mode 1
		.amdhsa_fp16_overflow 0
		.amdhsa_tg_split 0
		.amdhsa_exception_fp_ieee_invalid_op 0
		.amdhsa_exception_fp_denorm_src 0
		.amdhsa_exception_fp_ieee_div_zero 0
		.amdhsa_exception_fp_ieee_overflow 0
		.amdhsa_exception_fp_ieee_underflow 0
		.amdhsa_exception_fp_ieee_inexact 0
		.amdhsa_exception_int_div_zero 0
	.end_amdhsa_kernel
	.section	.text._ZN7rocprim17ROCPRIM_400000_NS6detail17trampoline_kernelINS0_14default_configENS1_35radix_sort_onesweep_config_selectorIxNS0_10empty_typeEEEZZNS1_29radix_sort_onesweep_iterationIS3_Lb1EPxS8_PS5_S9_mNS0_19identity_decomposerENS1_16block_id_wrapperIjLb1EEEEE10hipError_tT1_PNSt15iterator_traitsISE_E10value_typeET2_T3_PNSF_ISK_E10value_typeET4_T5_PSP_SQ_PNS1_23onesweep_lookback_stateEbbT6_jjT7_P12ihipStream_tbENKUlT_T0_SE_SJ_E_clIS8_S8_S9_S9_EEDaSX_SY_SE_SJ_EUlSX_E_NS1_11comp_targetILNS1_3genE9ELNS1_11target_archE1100ELNS1_3gpuE3ELNS1_3repE0EEENS1_47radix_sort_onesweep_sort_config_static_selectorELNS0_4arch9wavefront6targetE1EEEvSE_,"axG",@progbits,_ZN7rocprim17ROCPRIM_400000_NS6detail17trampoline_kernelINS0_14default_configENS1_35radix_sort_onesweep_config_selectorIxNS0_10empty_typeEEEZZNS1_29radix_sort_onesweep_iterationIS3_Lb1EPxS8_PS5_S9_mNS0_19identity_decomposerENS1_16block_id_wrapperIjLb1EEEEE10hipError_tT1_PNSt15iterator_traitsISE_E10value_typeET2_T3_PNSF_ISK_E10value_typeET4_T5_PSP_SQ_PNS1_23onesweep_lookback_stateEbbT6_jjT7_P12ihipStream_tbENKUlT_T0_SE_SJ_E_clIS8_S8_S9_S9_EEDaSX_SY_SE_SJ_EUlSX_E_NS1_11comp_targetILNS1_3genE9ELNS1_11target_archE1100ELNS1_3gpuE3ELNS1_3repE0EEENS1_47radix_sort_onesweep_sort_config_static_selectorELNS0_4arch9wavefront6targetE1EEEvSE_,comdat
.Lfunc_end2391:
	.size	_ZN7rocprim17ROCPRIM_400000_NS6detail17trampoline_kernelINS0_14default_configENS1_35radix_sort_onesweep_config_selectorIxNS0_10empty_typeEEEZZNS1_29radix_sort_onesweep_iterationIS3_Lb1EPxS8_PS5_S9_mNS0_19identity_decomposerENS1_16block_id_wrapperIjLb1EEEEE10hipError_tT1_PNSt15iterator_traitsISE_E10value_typeET2_T3_PNSF_ISK_E10value_typeET4_T5_PSP_SQ_PNS1_23onesweep_lookback_stateEbbT6_jjT7_P12ihipStream_tbENKUlT_T0_SE_SJ_E_clIS8_S8_S9_S9_EEDaSX_SY_SE_SJ_EUlSX_E_NS1_11comp_targetILNS1_3genE9ELNS1_11target_archE1100ELNS1_3gpuE3ELNS1_3repE0EEENS1_47radix_sort_onesweep_sort_config_static_selectorELNS0_4arch9wavefront6targetE1EEEvSE_, .Lfunc_end2391-_ZN7rocprim17ROCPRIM_400000_NS6detail17trampoline_kernelINS0_14default_configENS1_35radix_sort_onesweep_config_selectorIxNS0_10empty_typeEEEZZNS1_29radix_sort_onesweep_iterationIS3_Lb1EPxS8_PS5_S9_mNS0_19identity_decomposerENS1_16block_id_wrapperIjLb1EEEEE10hipError_tT1_PNSt15iterator_traitsISE_E10value_typeET2_T3_PNSF_ISK_E10value_typeET4_T5_PSP_SQ_PNS1_23onesweep_lookback_stateEbbT6_jjT7_P12ihipStream_tbENKUlT_T0_SE_SJ_E_clIS8_S8_S9_S9_EEDaSX_SY_SE_SJ_EUlSX_E_NS1_11comp_targetILNS1_3genE9ELNS1_11target_archE1100ELNS1_3gpuE3ELNS1_3repE0EEENS1_47radix_sort_onesweep_sort_config_static_selectorELNS0_4arch9wavefront6targetE1EEEvSE_
                                        ; -- End function
	.section	.AMDGPU.csdata,"",@progbits
; Kernel info:
; codeLenInByte = 0
; NumSgprs: 4
; NumVgprs: 0
; NumAgprs: 0
; TotalNumVgprs: 0
; ScratchSize: 0
; MemoryBound: 0
; FloatMode: 240
; IeeeMode: 1
; LDSByteSize: 0 bytes/workgroup (compile time only)
; SGPRBlocks: 0
; VGPRBlocks: 0
; NumSGPRsForWavesPerEU: 4
; NumVGPRsForWavesPerEU: 1
; AccumOffset: 4
; Occupancy: 8
; WaveLimiterHint : 0
; COMPUTE_PGM_RSRC2:SCRATCH_EN: 0
; COMPUTE_PGM_RSRC2:USER_SGPR: 6
; COMPUTE_PGM_RSRC2:TRAP_HANDLER: 0
; COMPUTE_PGM_RSRC2:TGID_X_EN: 1
; COMPUTE_PGM_RSRC2:TGID_Y_EN: 0
; COMPUTE_PGM_RSRC2:TGID_Z_EN: 0
; COMPUTE_PGM_RSRC2:TIDIG_COMP_CNT: 0
; COMPUTE_PGM_RSRC3_GFX90A:ACCUM_OFFSET: 0
; COMPUTE_PGM_RSRC3_GFX90A:TG_SPLIT: 0
	.section	.text._ZN7rocprim17ROCPRIM_400000_NS6detail17trampoline_kernelINS0_14default_configENS1_35radix_sort_onesweep_config_selectorIxNS0_10empty_typeEEEZZNS1_29radix_sort_onesweep_iterationIS3_Lb1EPxS8_PS5_S9_mNS0_19identity_decomposerENS1_16block_id_wrapperIjLb1EEEEE10hipError_tT1_PNSt15iterator_traitsISE_E10value_typeET2_T3_PNSF_ISK_E10value_typeET4_T5_PSP_SQ_PNS1_23onesweep_lookback_stateEbbT6_jjT7_P12ihipStream_tbENKUlT_T0_SE_SJ_E_clIS8_S8_S9_S9_EEDaSX_SY_SE_SJ_EUlSX_E_NS1_11comp_targetILNS1_3genE8ELNS1_11target_archE1030ELNS1_3gpuE2ELNS1_3repE0EEENS1_47radix_sort_onesweep_sort_config_static_selectorELNS0_4arch9wavefront6targetE1EEEvSE_,"axG",@progbits,_ZN7rocprim17ROCPRIM_400000_NS6detail17trampoline_kernelINS0_14default_configENS1_35radix_sort_onesweep_config_selectorIxNS0_10empty_typeEEEZZNS1_29radix_sort_onesweep_iterationIS3_Lb1EPxS8_PS5_S9_mNS0_19identity_decomposerENS1_16block_id_wrapperIjLb1EEEEE10hipError_tT1_PNSt15iterator_traitsISE_E10value_typeET2_T3_PNSF_ISK_E10value_typeET4_T5_PSP_SQ_PNS1_23onesweep_lookback_stateEbbT6_jjT7_P12ihipStream_tbENKUlT_T0_SE_SJ_E_clIS8_S8_S9_S9_EEDaSX_SY_SE_SJ_EUlSX_E_NS1_11comp_targetILNS1_3genE8ELNS1_11target_archE1030ELNS1_3gpuE2ELNS1_3repE0EEENS1_47radix_sort_onesweep_sort_config_static_selectorELNS0_4arch9wavefront6targetE1EEEvSE_,comdat
	.protected	_ZN7rocprim17ROCPRIM_400000_NS6detail17trampoline_kernelINS0_14default_configENS1_35radix_sort_onesweep_config_selectorIxNS0_10empty_typeEEEZZNS1_29radix_sort_onesweep_iterationIS3_Lb1EPxS8_PS5_S9_mNS0_19identity_decomposerENS1_16block_id_wrapperIjLb1EEEEE10hipError_tT1_PNSt15iterator_traitsISE_E10value_typeET2_T3_PNSF_ISK_E10value_typeET4_T5_PSP_SQ_PNS1_23onesweep_lookback_stateEbbT6_jjT7_P12ihipStream_tbENKUlT_T0_SE_SJ_E_clIS8_S8_S9_S9_EEDaSX_SY_SE_SJ_EUlSX_E_NS1_11comp_targetILNS1_3genE8ELNS1_11target_archE1030ELNS1_3gpuE2ELNS1_3repE0EEENS1_47radix_sort_onesweep_sort_config_static_selectorELNS0_4arch9wavefront6targetE1EEEvSE_ ; -- Begin function _ZN7rocprim17ROCPRIM_400000_NS6detail17trampoline_kernelINS0_14default_configENS1_35radix_sort_onesweep_config_selectorIxNS0_10empty_typeEEEZZNS1_29radix_sort_onesweep_iterationIS3_Lb1EPxS8_PS5_S9_mNS0_19identity_decomposerENS1_16block_id_wrapperIjLb1EEEEE10hipError_tT1_PNSt15iterator_traitsISE_E10value_typeET2_T3_PNSF_ISK_E10value_typeET4_T5_PSP_SQ_PNS1_23onesweep_lookback_stateEbbT6_jjT7_P12ihipStream_tbENKUlT_T0_SE_SJ_E_clIS8_S8_S9_S9_EEDaSX_SY_SE_SJ_EUlSX_E_NS1_11comp_targetILNS1_3genE8ELNS1_11target_archE1030ELNS1_3gpuE2ELNS1_3repE0EEENS1_47radix_sort_onesweep_sort_config_static_selectorELNS0_4arch9wavefront6targetE1EEEvSE_
	.globl	_ZN7rocprim17ROCPRIM_400000_NS6detail17trampoline_kernelINS0_14default_configENS1_35radix_sort_onesweep_config_selectorIxNS0_10empty_typeEEEZZNS1_29radix_sort_onesweep_iterationIS3_Lb1EPxS8_PS5_S9_mNS0_19identity_decomposerENS1_16block_id_wrapperIjLb1EEEEE10hipError_tT1_PNSt15iterator_traitsISE_E10value_typeET2_T3_PNSF_ISK_E10value_typeET4_T5_PSP_SQ_PNS1_23onesweep_lookback_stateEbbT6_jjT7_P12ihipStream_tbENKUlT_T0_SE_SJ_E_clIS8_S8_S9_S9_EEDaSX_SY_SE_SJ_EUlSX_E_NS1_11comp_targetILNS1_3genE8ELNS1_11target_archE1030ELNS1_3gpuE2ELNS1_3repE0EEENS1_47radix_sort_onesweep_sort_config_static_selectorELNS0_4arch9wavefront6targetE1EEEvSE_
	.p2align	8
	.type	_ZN7rocprim17ROCPRIM_400000_NS6detail17trampoline_kernelINS0_14default_configENS1_35radix_sort_onesweep_config_selectorIxNS0_10empty_typeEEEZZNS1_29radix_sort_onesweep_iterationIS3_Lb1EPxS8_PS5_S9_mNS0_19identity_decomposerENS1_16block_id_wrapperIjLb1EEEEE10hipError_tT1_PNSt15iterator_traitsISE_E10value_typeET2_T3_PNSF_ISK_E10value_typeET4_T5_PSP_SQ_PNS1_23onesweep_lookback_stateEbbT6_jjT7_P12ihipStream_tbENKUlT_T0_SE_SJ_E_clIS8_S8_S9_S9_EEDaSX_SY_SE_SJ_EUlSX_E_NS1_11comp_targetILNS1_3genE8ELNS1_11target_archE1030ELNS1_3gpuE2ELNS1_3repE0EEENS1_47radix_sort_onesweep_sort_config_static_selectorELNS0_4arch9wavefront6targetE1EEEvSE_,@function
_ZN7rocprim17ROCPRIM_400000_NS6detail17trampoline_kernelINS0_14default_configENS1_35radix_sort_onesweep_config_selectorIxNS0_10empty_typeEEEZZNS1_29radix_sort_onesweep_iterationIS3_Lb1EPxS8_PS5_S9_mNS0_19identity_decomposerENS1_16block_id_wrapperIjLb1EEEEE10hipError_tT1_PNSt15iterator_traitsISE_E10value_typeET2_T3_PNSF_ISK_E10value_typeET4_T5_PSP_SQ_PNS1_23onesweep_lookback_stateEbbT6_jjT7_P12ihipStream_tbENKUlT_T0_SE_SJ_E_clIS8_S8_S9_S9_EEDaSX_SY_SE_SJ_EUlSX_E_NS1_11comp_targetILNS1_3genE8ELNS1_11target_archE1030ELNS1_3gpuE2ELNS1_3repE0EEENS1_47radix_sort_onesweep_sort_config_static_selectorELNS0_4arch9wavefront6targetE1EEEvSE_: ; @_ZN7rocprim17ROCPRIM_400000_NS6detail17trampoline_kernelINS0_14default_configENS1_35radix_sort_onesweep_config_selectorIxNS0_10empty_typeEEEZZNS1_29radix_sort_onesweep_iterationIS3_Lb1EPxS8_PS5_S9_mNS0_19identity_decomposerENS1_16block_id_wrapperIjLb1EEEEE10hipError_tT1_PNSt15iterator_traitsISE_E10value_typeET2_T3_PNSF_ISK_E10value_typeET4_T5_PSP_SQ_PNS1_23onesweep_lookback_stateEbbT6_jjT7_P12ihipStream_tbENKUlT_T0_SE_SJ_E_clIS8_S8_S9_S9_EEDaSX_SY_SE_SJ_EUlSX_E_NS1_11comp_targetILNS1_3genE8ELNS1_11target_archE1030ELNS1_3gpuE2ELNS1_3repE0EEENS1_47radix_sort_onesweep_sort_config_static_selectorELNS0_4arch9wavefront6targetE1EEEvSE_
; %bb.0:
	.section	.rodata,"a",@progbits
	.p2align	6, 0x0
	.amdhsa_kernel _ZN7rocprim17ROCPRIM_400000_NS6detail17trampoline_kernelINS0_14default_configENS1_35radix_sort_onesweep_config_selectorIxNS0_10empty_typeEEEZZNS1_29radix_sort_onesweep_iterationIS3_Lb1EPxS8_PS5_S9_mNS0_19identity_decomposerENS1_16block_id_wrapperIjLb1EEEEE10hipError_tT1_PNSt15iterator_traitsISE_E10value_typeET2_T3_PNSF_ISK_E10value_typeET4_T5_PSP_SQ_PNS1_23onesweep_lookback_stateEbbT6_jjT7_P12ihipStream_tbENKUlT_T0_SE_SJ_E_clIS8_S8_S9_S9_EEDaSX_SY_SE_SJ_EUlSX_E_NS1_11comp_targetILNS1_3genE8ELNS1_11target_archE1030ELNS1_3gpuE2ELNS1_3repE0EEENS1_47radix_sort_onesweep_sort_config_static_selectorELNS0_4arch9wavefront6targetE1EEEvSE_
		.amdhsa_group_segment_fixed_size 0
		.amdhsa_private_segment_fixed_size 0
		.amdhsa_kernarg_size 88
		.amdhsa_user_sgpr_count 6
		.amdhsa_user_sgpr_private_segment_buffer 1
		.amdhsa_user_sgpr_dispatch_ptr 0
		.amdhsa_user_sgpr_queue_ptr 0
		.amdhsa_user_sgpr_kernarg_segment_ptr 1
		.amdhsa_user_sgpr_dispatch_id 0
		.amdhsa_user_sgpr_flat_scratch_init 0
		.amdhsa_user_sgpr_kernarg_preload_length 0
		.amdhsa_user_sgpr_kernarg_preload_offset 0
		.amdhsa_user_sgpr_private_segment_size 0
		.amdhsa_uses_dynamic_stack 0
		.amdhsa_system_sgpr_private_segment_wavefront_offset 0
		.amdhsa_system_sgpr_workgroup_id_x 1
		.amdhsa_system_sgpr_workgroup_id_y 0
		.amdhsa_system_sgpr_workgroup_id_z 0
		.amdhsa_system_sgpr_workgroup_info 0
		.amdhsa_system_vgpr_workitem_id 0
		.amdhsa_next_free_vgpr 1
		.amdhsa_next_free_sgpr 0
		.amdhsa_accum_offset 4
		.amdhsa_reserve_vcc 0
		.amdhsa_reserve_flat_scratch 0
		.amdhsa_float_round_mode_32 0
		.amdhsa_float_round_mode_16_64 0
		.amdhsa_float_denorm_mode_32 3
		.amdhsa_float_denorm_mode_16_64 3
		.amdhsa_dx10_clamp 1
		.amdhsa_ieee_mode 1
		.amdhsa_fp16_overflow 0
		.amdhsa_tg_split 0
		.amdhsa_exception_fp_ieee_invalid_op 0
		.amdhsa_exception_fp_denorm_src 0
		.amdhsa_exception_fp_ieee_div_zero 0
		.amdhsa_exception_fp_ieee_overflow 0
		.amdhsa_exception_fp_ieee_underflow 0
		.amdhsa_exception_fp_ieee_inexact 0
		.amdhsa_exception_int_div_zero 0
	.end_amdhsa_kernel
	.section	.text._ZN7rocprim17ROCPRIM_400000_NS6detail17trampoline_kernelINS0_14default_configENS1_35radix_sort_onesweep_config_selectorIxNS0_10empty_typeEEEZZNS1_29radix_sort_onesweep_iterationIS3_Lb1EPxS8_PS5_S9_mNS0_19identity_decomposerENS1_16block_id_wrapperIjLb1EEEEE10hipError_tT1_PNSt15iterator_traitsISE_E10value_typeET2_T3_PNSF_ISK_E10value_typeET4_T5_PSP_SQ_PNS1_23onesweep_lookback_stateEbbT6_jjT7_P12ihipStream_tbENKUlT_T0_SE_SJ_E_clIS8_S8_S9_S9_EEDaSX_SY_SE_SJ_EUlSX_E_NS1_11comp_targetILNS1_3genE8ELNS1_11target_archE1030ELNS1_3gpuE2ELNS1_3repE0EEENS1_47radix_sort_onesweep_sort_config_static_selectorELNS0_4arch9wavefront6targetE1EEEvSE_,"axG",@progbits,_ZN7rocprim17ROCPRIM_400000_NS6detail17trampoline_kernelINS0_14default_configENS1_35radix_sort_onesweep_config_selectorIxNS0_10empty_typeEEEZZNS1_29radix_sort_onesweep_iterationIS3_Lb1EPxS8_PS5_S9_mNS0_19identity_decomposerENS1_16block_id_wrapperIjLb1EEEEE10hipError_tT1_PNSt15iterator_traitsISE_E10value_typeET2_T3_PNSF_ISK_E10value_typeET4_T5_PSP_SQ_PNS1_23onesweep_lookback_stateEbbT6_jjT7_P12ihipStream_tbENKUlT_T0_SE_SJ_E_clIS8_S8_S9_S9_EEDaSX_SY_SE_SJ_EUlSX_E_NS1_11comp_targetILNS1_3genE8ELNS1_11target_archE1030ELNS1_3gpuE2ELNS1_3repE0EEENS1_47radix_sort_onesweep_sort_config_static_selectorELNS0_4arch9wavefront6targetE1EEEvSE_,comdat
.Lfunc_end2392:
	.size	_ZN7rocprim17ROCPRIM_400000_NS6detail17trampoline_kernelINS0_14default_configENS1_35radix_sort_onesweep_config_selectorIxNS0_10empty_typeEEEZZNS1_29radix_sort_onesweep_iterationIS3_Lb1EPxS8_PS5_S9_mNS0_19identity_decomposerENS1_16block_id_wrapperIjLb1EEEEE10hipError_tT1_PNSt15iterator_traitsISE_E10value_typeET2_T3_PNSF_ISK_E10value_typeET4_T5_PSP_SQ_PNS1_23onesweep_lookback_stateEbbT6_jjT7_P12ihipStream_tbENKUlT_T0_SE_SJ_E_clIS8_S8_S9_S9_EEDaSX_SY_SE_SJ_EUlSX_E_NS1_11comp_targetILNS1_3genE8ELNS1_11target_archE1030ELNS1_3gpuE2ELNS1_3repE0EEENS1_47radix_sort_onesweep_sort_config_static_selectorELNS0_4arch9wavefront6targetE1EEEvSE_, .Lfunc_end2392-_ZN7rocprim17ROCPRIM_400000_NS6detail17trampoline_kernelINS0_14default_configENS1_35radix_sort_onesweep_config_selectorIxNS0_10empty_typeEEEZZNS1_29radix_sort_onesweep_iterationIS3_Lb1EPxS8_PS5_S9_mNS0_19identity_decomposerENS1_16block_id_wrapperIjLb1EEEEE10hipError_tT1_PNSt15iterator_traitsISE_E10value_typeET2_T3_PNSF_ISK_E10value_typeET4_T5_PSP_SQ_PNS1_23onesweep_lookback_stateEbbT6_jjT7_P12ihipStream_tbENKUlT_T0_SE_SJ_E_clIS8_S8_S9_S9_EEDaSX_SY_SE_SJ_EUlSX_E_NS1_11comp_targetILNS1_3genE8ELNS1_11target_archE1030ELNS1_3gpuE2ELNS1_3repE0EEENS1_47radix_sort_onesweep_sort_config_static_selectorELNS0_4arch9wavefront6targetE1EEEvSE_
                                        ; -- End function
	.section	.AMDGPU.csdata,"",@progbits
; Kernel info:
; codeLenInByte = 0
; NumSgprs: 4
; NumVgprs: 0
; NumAgprs: 0
; TotalNumVgprs: 0
; ScratchSize: 0
; MemoryBound: 0
; FloatMode: 240
; IeeeMode: 1
; LDSByteSize: 0 bytes/workgroup (compile time only)
; SGPRBlocks: 0
; VGPRBlocks: 0
; NumSGPRsForWavesPerEU: 4
; NumVGPRsForWavesPerEU: 1
; AccumOffset: 4
; Occupancy: 8
; WaveLimiterHint : 0
; COMPUTE_PGM_RSRC2:SCRATCH_EN: 0
; COMPUTE_PGM_RSRC2:USER_SGPR: 6
; COMPUTE_PGM_RSRC2:TRAP_HANDLER: 0
; COMPUTE_PGM_RSRC2:TGID_X_EN: 1
; COMPUTE_PGM_RSRC2:TGID_Y_EN: 0
; COMPUTE_PGM_RSRC2:TGID_Z_EN: 0
; COMPUTE_PGM_RSRC2:TIDIG_COMP_CNT: 0
; COMPUTE_PGM_RSRC3_GFX90A:ACCUM_OFFSET: 0
; COMPUTE_PGM_RSRC3_GFX90A:TG_SPLIT: 0
	.section	.text._ZN7rocprim17ROCPRIM_400000_NS6detail17trampoline_kernelINS0_14default_configENS1_35radix_sort_onesweep_config_selectorIxNS0_10empty_typeEEEZZNS1_29radix_sort_onesweep_iterationIS3_Lb1EPxS8_PS5_S9_mNS0_19identity_decomposerENS1_16block_id_wrapperIjLb0EEEEE10hipError_tT1_PNSt15iterator_traitsISE_E10value_typeET2_T3_PNSF_ISK_E10value_typeET4_T5_PSP_SQ_PNS1_23onesweep_lookback_stateEbbT6_jjT7_P12ihipStream_tbENKUlT_T0_SE_SJ_E_clIS8_S8_S9_S9_EEDaSX_SY_SE_SJ_EUlSX_E_NS1_11comp_targetILNS1_3genE0ELNS1_11target_archE4294967295ELNS1_3gpuE0ELNS1_3repE0EEENS1_47radix_sort_onesweep_sort_config_static_selectorELNS0_4arch9wavefront6targetE1EEEvSE_,"axG",@progbits,_ZN7rocprim17ROCPRIM_400000_NS6detail17trampoline_kernelINS0_14default_configENS1_35radix_sort_onesweep_config_selectorIxNS0_10empty_typeEEEZZNS1_29radix_sort_onesweep_iterationIS3_Lb1EPxS8_PS5_S9_mNS0_19identity_decomposerENS1_16block_id_wrapperIjLb0EEEEE10hipError_tT1_PNSt15iterator_traitsISE_E10value_typeET2_T3_PNSF_ISK_E10value_typeET4_T5_PSP_SQ_PNS1_23onesweep_lookback_stateEbbT6_jjT7_P12ihipStream_tbENKUlT_T0_SE_SJ_E_clIS8_S8_S9_S9_EEDaSX_SY_SE_SJ_EUlSX_E_NS1_11comp_targetILNS1_3genE0ELNS1_11target_archE4294967295ELNS1_3gpuE0ELNS1_3repE0EEENS1_47radix_sort_onesweep_sort_config_static_selectorELNS0_4arch9wavefront6targetE1EEEvSE_,comdat
	.protected	_ZN7rocprim17ROCPRIM_400000_NS6detail17trampoline_kernelINS0_14default_configENS1_35radix_sort_onesweep_config_selectorIxNS0_10empty_typeEEEZZNS1_29radix_sort_onesweep_iterationIS3_Lb1EPxS8_PS5_S9_mNS0_19identity_decomposerENS1_16block_id_wrapperIjLb0EEEEE10hipError_tT1_PNSt15iterator_traitsISE_E10value_typeET2_T3_PNSF_ISK_E10value_typeET4_T5_PSP_SQ_PNS1_23onesweep_lookback_stateEbbT6_jjT7_P12ihipStream_tbENKUlT_T0_SE_SJ_E_clIS8_S8_S9_S9_EEDaSX_SY_SE_SJ_EUlSX_E_NS1_11comp_targetILNS1_3genE0ELNS1_11target_archE4294967295ELNS1_3gpuE0ELNS1_3repE0EEENS1_47radix_sort_onesweep_sort_config_static_selectorELNS0_4arch9wavefront6targetE1EEEvSE_ ; -- Begin function _ZN7rocprim17ROCPRIM_400000_NS6detail17trampoline_kernelINS0_14default_configENS1_35radix_sort_onesweep_config_selectorIxNS0_10empty_typeEEEZZNS1_29radix_sort_onesweep_iterationIS3_Lb1EPxS8_PS5_S9_mNS0_19identity_decomposerENS1_16block_id_wrapperIjLb0EEEEE10hipError_tT1_PNSt15iterator_traitsISE_E10value_typeET2_T3_PNSF_ISK_E10value_typeET4_T5_PSP_SQ_PNS1_23onesweep_lookback_stateEbbT6_jjT7_P12ihipStream_tbENKUlT_T0_SE_SJ_E_clIS8_S8_S9_S9_EEDaSX_SY_SE_SJ_EUlSX_E_NS1_11comp_targetILNS1_3genE0ELNS1_11target_archE4294967295ELNS1_3gpuE0ELNS1_3repE0EEENS1_47radix_sort_onesweep_sort_config_static_selectorELNS0_4arch9wavefront6targetE1EEEvSE_
	.globl	_ZN7rocprim17ROCPRIM_400000_NS6detail17trampoline_kernelINS0_14default_configENS1_35radix_sort_onesweep_config_selectorIxNS0_10empty_typeEEEZZNS1_29radix_sort_onesweep_iterationIS3_Lb1EPxS8_PS5_S9_mNS0_19identity_decomposerENS1_16block_id_wrapperIjLb0EEEEE10hipError_tT1_PNSt15iterator_traitsISE_E10value_typeET2_T3_PNSF_ISK_E10value_typeET4_T5_PSP_SQ_PNS1_23onesweep_lookback_stateEbbT6_jjT7_P12ihipStream_tbENKUlT_T0_SE_SJ_E_clIS8_S8_S9_S9_EEDaSX_SY_SE_SJ_EUlSX_E_NS1_11comp_targetILNS1_3genE0ELNS1_11target_archE4294967295ELNS1_3gpuE0ELNS1_3repE0EEENS1_47radix_sort_onesweep_sort_config_static_selectorELNS0_4arch9wavefront6targetE1EEEvSE_
	.p2align	8
	.type	_ZN7rocprim17ROCPRIM_400000_NS6detail17trampoline_kernelINS0_14default_configENS1_35radix_sort_onesweep_config_selectorIxNS0_10empty_typeEEEZZNS1_29radix_sort_onesweep_iterationIS3_Lb1EPxS8_PS5_S9_mNS0_19identity_decomposerENS1_16block_id_wrapperIjLb0EEEEE10hipError_tT1_PNSt15iterator_traitsISE_E10value_typeET2_T3_PNSF_ISK_E10value_typeET4_T5_PSP_SQ_PNS1_23onesweep_lookback_stateEbbT6_jjT7_P12ihipStream_tbENKUlT_T0_SE_SJ_E_clIS8_S8_S9_S9_EEDaSX_SY_SE_SJ_EUlSX_E_NS1_11comp_targetILNS1_3genE0ELNS1_11target_archE4294967295ELNS1_3gpuE0ELNS1_3repE0EEENS1_47radix_sort_onesweep_sort_config_static_selectorELNS0_4arch9wavefront6targetE1EEEvSE_,@function
_ZN7rocprim17ROCPRIM_400000_NS6detail17trampoline_kernelINS0_14default_configENS1_35radix_sort_onesweep_config_selectorIxNS0_10empty_typeEEEZZNS1_29radix_sort_onesweep_iterationIS3_Lb1EPxS8_PS5_S9_mNS0_19identity_decomposerENS1_16block_id_wrapperIjLb0EEEEE10hipError_tT1_PNSt15iterator_traitsISE_E10value_typeET2_T3_PNSF_ISK_E10value_typeET4_T5_PSP_SQ_PNS1_23onesweep_lookback_stateEbbT6_jjT7_P12ihipStream_tbENKUlT_T0_SE_SJ_E_clIS8_S8_S9_S9_EEDaSX_SY_SE_SJ_EUlSX_E_NS1_11comp_targetILNS1_3genE0ELNS1_11target_archE4294967295ELNS1_3gpuE0ELNS1_3repE0EEENS1_47radix_sort_onesweep_sort_config_static_selectorELNS0_4arch9wavefront6targetE1EEEvSE_: ; @_ZN7rocprim17ROCPRIM_400000_NS6detail17trampoline_kernelINS0_14default_configENS1_35radix_sort_onesweep_config_selectorIxNS0_10empty_typeEEEZZNS1_29radix_sort_onesweep_iterationIS3_Lb1EPxS8_PS5_S9_mNS0_19identity_decomposerENS1_16block_id_wrapperIjLb0EEEEE10hipError_tT1_PNSt15iterator_traitsISE_E10value_typeET2_T3_PNSF_ISK_E10value_typeET4_T5_PSP_SQ_PNS1_23onesweep_lookback_stateEbbT6_jjT7_P12ihipStream_tbENKUlT_T0_SE_SJ_E_clIS8_S8_S9_S9_EEDaSX_SY_SE_SJ_EUlSX_E_NS1_11comp_targetILNS1_3genE0ELNS1_11target_archE4294967295ELNS1_3gpuE0ELNS1_3repE0EEENS1_47radix_sort_onesweep_sort_config_static_selectorELNS0_4arch9wavefront6targetE1EEEvSE_
; %bb.0:
	.section	.rodata,"a",@progbits
	.p2align	6, 0x0
	.amdhsa_kernel _ZN7rocprim17ROCPRIM_400000_NS6detail17trampoline_kernelINS0_14default_configENS1_35radix_sort_onesweep_config_selectorIxNS0_10empty_typeEEEZZNS1_29radix_sort_onesweep_iterationIS3_Lb1EPxS8_PS5_S9_mNS0_19identity_decomposerENS1_16block_id_wrapperIjLb0EEEEE10hipError_tT1_PNSt15iterator_traitsISE_E10value_typeET2_T3_PNSF_ISK_E10value_typeET4_T5_PSP_SQ_PNS1_23onesweep_lookback_stateEbbT6_jjT7_P12ihipStream_tbENKUlT_T0_SE_SJ_E_clIS8_S8_S9_S9_EEDaSX_SY_SE_SJ_EUlSX_E_NS1_11comp_targetILNS1_3genE0ELNS1_11target_archE4294967295ELNS1_3gpuE0ELNS1_3repE0EEENS1_47radix_sort_onesweep_sort_config_static_selectorELNS0_4arch9wavefront6targetE1EEEvSE_
		.amdhsa_group_segment_fixed_size 0
		.amdhsa_private_segment_fixed_size 0
		.amdhsa_kernarg_size 88
		.amdhsa_user_sgpr_count 6
		.amdhsa_user_sgpr_private_segment_buffer 1
		.amdhsa_user_sgpr_dispatch_ptr 0
		.amdhsa_user_sgpr_queue_ptr 0
		.amdhsa_user_sgpr_kernarg_segment_ptr 1
		.amdhsa_user_sgpr_dispatch_id 0
		.amdhsa_user_sgpr_flat_scratch_init 0
		.amdhsa_user_sgpr_kernarg_preload_length 0
		.amdhsa_user_sgpr_kernarg_preload_offset 0
		.amdhsa_user_sgpr_private_segment_size 0
		.amdhsa_uses_dynamic_stack 0
		.amdhsa_system_sgpr_private_segment_wavefront_offset 0
		.amdhsa_system_sgpr_workgroup_id_x 1
		.amdhsa_system_sgpr_workgroup_id_y 0
		.amdhsa_system_sgpr_workgroup_id_z 0
		.amdhsa_system_sgpr_workgroup_info 0
		.amdhsa_system_vgpr_workitem_id 0
		.amdhsa_next_free_vgpr 1
		.amdhsa_next_free_sgpr 0
		.amdhsa_accum_offset 4
		.amdhsa_reserve_vcc 0
		.amdhsa_reserve_flat_scratch 0
		.amdhsa_float_round_mode_32 0
		.amdhsa_float_round_mode_16_64 0
		.amdhsa_float_denorm_mode_32 3
		.amdhsa_float_denorm_mode_16_64 3
		.amdhsa_dx10_clamp 1
		.amdhsa_ieee_mode 1
		.amdhsa_fp16_overflow 0
		.amdhsa_tg_split 0
		.amdhsa_exception_fp_ieee_invalid_op 0
		.amdhsa_exception_fp_denorm_src 0
		.amdhsa_exception_fp_ieee_div_zero 0
		.amdhsa_exception_fp_ieee_overflow 0
		.amdhsa_exception_fp_ieee_underflow 0
		.amdhsa_exception_fp_ieee_inexact 0
		.amdhsa_exception_int_div_zero 0
	.end_amdhsa_kernel
	.section	.text._ZN7rocprim17ROCPRIM_400000_NS6detail17trampoline_kernelINS0_14default_configENS1_35radix_sort_onesweep_config_selectorIxNS0_10empty_typeEEEZZNS1_29radix_sort_onesweep_iterationIS3_Lb1EPxS8_PS5_S9_mNS0_19identity_decomposerENS1_16block_id_wrapperIjLb0EEEEE10hipError_tT1_PNSt15iterator_traitsISE_E10value_typeET2_T3_PNSF_ISK_E10value_typeET4_T5_PSP_SQ_PNS1_23onesweep_lookback_stateEbbT6_jjT7_P12ihipStream_tbENKUlT_T0_SE_SJ_E_clIS8_S8_S9_S9_EEDaSX_SY_SE_SJ_EUlSX_E_NS1_11comp_targetILNS1_3genE0ELNS1_11target_archE4294967295ELNS1_3gpuE0ELNS1_3repE0EEENS1_47radix_sort_onesweep_sort_config_static_selectorELNS0_4arch9wavefront6targetE1EEEvSE_,"axG",@progbits,_ZN7rocprim17ROCPRIM_400000_NS6detail17trampoline_kernelINS0_14default_configENS1_35radix_sort_onesweep_config_selectorIxNS0_10empty_typeEEEZZNS1_29radix_sort_onesweep_iterationIS3_Lb1EPxS8_PS5_S9_mNS0_19identity_decomposerENS1_16block_id_wrapperIjLb0EEEEE10hipError_tT1_PNSt15iterator_traitsISE_E10value_typeET2_T3_PNSF_ISK_E10value_typeET4_T5_PSP_SQ_PNS1_23onesweep_lookback_stateEbbT6_jjT7_P12ihipStream_tbENKUlT_T0_SE_SJ_E_clIS8_S8_S9_S9_EEDaSX_SY_SE_SJ_EUlSX_E_NS1_11comp_targetILNS1_3genE0ELNS1_11target_archE4294967295ELNS1_3gpuE0ELNS1_3repE0EEENS1_47radix_sort_onesweep_sort_config_static_selectorELNS0_4arch9wavefront6targetE1EEEvSE_,comdat
.Lfunc_end2393:
	.size	_ZN7rocprim17ROCPRIM_400000_NS6detail17trampoline_kernelINS0_14default_configENS1_35radix_sort_onesweep_config_selectorIxNS0_10empty_typeEEEZZNS1_29radix_sort_onesweep_iterationIS3_Lb1EPxS8_PS5_S9_mNS0_19identity_decomposerENS1_16block_id_wrapperIjLb0EEEEE10hipError_tT1_PNSt15iterator_traitsISE_E10value_typeET2_T3_PNSF_ISK_E10value_typeET4_T5_PSP_SQ_PNS1_23onesweep_lookback_stateEbbT6_jjT7_P12ihipStream_tbENKUlT_T0_SE_SJ_E_clIS8_S8_S9_S9_EEDaSX_SY_SE_SJ_EUlSX_E_NS1_11comp_targetILNS1_3genE0ELNS1_11target_archE4294967295ELNS1_3gpuE0ELNS1_3repE0EEENS1_47radix_sort_onesweep_sort_config_static_selectorELNS0_4arch9wavefront6targetE1EEEvSE_, .Lfunc_end2393-_ZN7rocprim17ROCPRIM_400000_NS6detail17trampoline_kernelINS0_14default_configENS1_35radix_sort_onesweep_config_selectorIxNS0_10empty_typeEEEZZNS1_29radix_sort_onesweep_iterationIS3_Lb1EPxS8_PS5_S9_mNS0_19identity_decomposerENS1_16block_id_wrapperIjLb0EEEEE10hipError_tT1_PNSt15iterator_traitsISE_E10value_typeET2_T3_PNSF_ISK_E10value_typeET4_T5_PSP_SQ_PNS1_23onesweep_lookback_stateEbbT6_jjT7_P12ihipStream_tbENKUlT_T0_SE_SJ_E_clIS8_S8_S9_S9_EEDaSX_SY_SE_SJ_EUlSX_E_NS1_11comp_targetILNS1_3genE0ELNS1_11target_archE4294967295ELNS1_3gpuE0ELNS1_3repE0EEENS1_47radix_sort_onesweep_sort_config_static_selectorELNS0_4arch9wavefront6targetE1EEEvSE_
                                        ; -- End function
	.section	.AMDGPU.csdata,"",@progbits
; Kernel info:
; codeLenInByte = 0
; NumSgprs: 4
; NumVgprs: 0
; NumAgprs: 0
; TotalNumVgprs: 0
; ScratchSize: 0
; MemoryBound: 0
; FloatMode: 240
; IeeeMode: 1
; LDSByteSize: 0 bytes/workgroup (compile time only)
; SGPRBlocks: 0
; VGPRBlocks: 0
; NumSGPRsForWavesPerEU: 4
; NumVGPRsForWavesPerEU: 1
; AccumOffset: 4
; Occupancy: 8
; WaveLimiterHint : 0
; COMPUTE_PGM_RSRC2:SCRATCH_EN: 0
; COMPUTE_PGM_RSRC2:USER_SGPR: 6
; COMPUTE_PGM_RSRC2:TRAP_HANDLER: 0
; COMPUTE_PGM_RSRC2:TGID_X_EN: 1
; COMPUTE_PGM_RSRC2:TGID_Y_EN: 0
; COMPUTE_PGM_RSRC2:TGID_Z_EN: 0
; COMPUTE_PGM_RSRC2:TIDIG_COMP_CNT: 0
; COMPUTE_PGM_RSRC3_GFX90A:ACCUM_OFFSET: 0
; COMPUTE_PGM_RSRC3_GFX90A:TG_SPLIT: 0
	.section	.text._ZN7rocprim17ROCPRIM_400000_NS6detail17trampoline_kernelINS0_14default_configENS1_35radix_sort_onesweep_config_selectorIxNS0_10empty_typeEEEZZNS1_29radix_sort_onesweep_iterationIS3_Lb1EPxS8_PS5_S9_mNS0_19identity_decomposerENS1_16block_id_wrapperIjLb0EEEEE10hipError_tT1_PNSt15iterator_traitsISE_E10value_typeET2_T3_PNSF_ISK_E10value_typeET4_T5_PSP_SQ_PNS1_23onesweep_lookback_stateEbbT6_jjT7_P12ihipStream_tbENKUlT_T0_SE_SJ_E_clIS8_S8_S9_S9_EEDaSX_SY_SE_SJ_EUlSX_E_NS1_11comp_targetILNS1_3genE6ELNS1_11target_archE950ELNS1_3gpuE13ELNS1_3repE0EEENS1_47radix_sort_onesweep_sort_config_static_selectorELNS0_4arch9wavefront6targetE1EEEvSE_,"axG",@progbits,_ZN7rocprim17ROCPRIM_400000_NS6detail17trampoline_kernelINS0_14default_configENS1_35radix_sort_onesweep_config_selectorIxNS0_10empty_typeEEEZZNS1_29radix_sort_onesweep_iterationIS3_Lb1EPxS8_PS5_S9_mNS0_19identity_decomposerENS1_16block_id_wrapperIjLb0EEEEE10hipError_tT1_PNSt15iterator_traitsISE_E10value_typeET2_T3_PNSF_ISK_E10value_typeET4_T5_PSP_SQ_PNS1_23onesweep_lookback_stateEbbT6_jjT7_P12ihipStream_tbENKUlT_T0_SE_SJ_E_clIS8_S8_S9_S9_EEDaSX_SY_SE_SJ_EUlSX_E_NS1_11comp_targetILNS1_3genE6ELNS1_11target_archE950ELNS1_3gpuE13ELNS1_3repE0EEENS1_47radix_sort_onesweep_sort_config_static_selectorELNS0_4arch9wavefront6targetE1EEEvSE_,comdat
	.protected	_ZN7rocprim17ROCPRIM_400000_NS6detail17trampoline_kernelINS0_14default_configENS1_35radix_sort_onesweep_config_selectorIxNS0_10empty_typeEEEZZNS1_29radix_sort_onesweep_iterationIS3_Lb1EPxS8_PS5_S9_mNS0_19identity_decomposerENS1_16block_id_wrapperIjLb0EEEEE10hipError_tT1_PNSt15iterator_traitsISE_E10value_typeET2_T3_PNSF_ISK_E10value_typeET4_T5_PSP_SQ_PNS1_23onesweep_lookback_stateEbbT6_jjT7_P12ihipStream_tbENKUlT_T0_SE_SJ_E_clIS8_S8_S9_S9_EEDaSX_SY_SE_SJ_EUlSX_E_NS1_11comp_targetILNS1_3genE6ELNS1_11target_archE950ELNS1_3gpuE13ELNS1_3repE0EEENS1_47radix_sort_onesweep_sort_config_static_selectorELNS0_4arch9wavefront6targetE1EEEvSE_ ; -- Begin function _ZN7rocprim17ROCPRIM_400000_NS6detail17trampoline_kernelINS0_14default_configENS1_35radix_sort_onesweep_config_selectorIxNS0_10empty_typeEEEZZNS1_29radix_sort_onesweep_iterationIS3_Lb1EPxS8_PS5_S9_mNS0_19identity_decomposerENS1_16block_id_wrapperIjLb0EEEEE10hipError_tT1_PNSt15iterator_traitsISE_E10value_typeET2_T3_PNSF_ISK_E10value_typeET4_T5_PSP_SQ_PNS1_23onesweep_lookback_stateEbbT6_jjT7_P12ihipStream_tbENKUlT_T0_SE_SJ_E_clIS8_S8_S9_S9_EEDaSX_SY_SE_SJ_EUlSX_E_NS1_11comp_targetILNS1_3genE6ELNS1_11target_archE950ELNS1_3gpuE13ELNS1_3repE0EEENS1_47radix_sort_onesweep_sort_config_static_selectorELNS0_4arch9wavefront6targetE1EEEvSE_
	.globl	_ZN7rocprim17ROCPRIM_400000_NS6detail17trampoline_kernelINS0_14default_configENS1_35radix_sort_onesweep_config_selectorIxNS0_10empty_typeEEEZZNS1_29radix_sort_onesweep_iterationIS3_Lb1EPxS8_PS5_S9_mNS0_19identity_decomposerENS1_16block_id_wrapperIjLb0EEEEE10hipError_tT1_PNSt15iterator_traitsISE_E10value_typeET2_T3_PNSF_ISK_E10value_typeET4_T5_PSP_SQ_PNS1_23onesweep_lookback_stateEbbT6_jjT7_P12ihipStream_tbENKUlT_T0_SE_SJ_E_clIS8_S8_S9_S9_EEDaSX_SY_SE_SJ_EUlSX_E_NS1_11comp_targetILNS1_3genE6ELNS1_11target_archE950ELNS1_3gpuE13ELNS1_3repE0EEENS1_47radix_sort_onesweep_sort_config_static_selectorELNS0_4arch9wavefront6targetE1EEEvSE_
	.p2align	8
	.type	_ZN7rocprim17ROCPRIM_400000_NS6detail17trampoline_kernelINS0_14default_configENS1_35radix_sort_onesweep_config_selectorIxNS0_10empty_typeEEEZZNS1_29radix_sort_onesweep_iterationIS3_Lb1EPxS8_PS5_S9_mNS0_19identity_decomposerENS1_16block_id_wrapperIjLb0EEEEE10hipError_tT1_PNSt15iterator_traitsISE_E10value_typeET2_T3_PNSF_ISK_E10value_typeET4_T5_PSP_SQ_PNS1_23onesweep_lookback_stateEbbT6_jjT7_P12ihipStream_tbENKUlT_T0_SE_SJ_E_clIS8_S8_S9_S9_EEDaSX_SY_SE_SJ_EUlSX_E_NS1_11comp_targetILNS1_3genE6ELNS1_11target_archE950ELNS1_3gpuE13ELNS1_3repE0EEENS1_47radix_sort_onesweep_sort_config_static_selectorELNS0_4arch9wavefront6targetE1EEEvSE_,@function
_ZN7rocprim17ROCPRIM_400000_NS6detail17trampoline_kernelINS0_14default_configENS1_35radix_sort_onesweep_config_selectorIxNS0_10empty_typeEEEZZNS1_29radix_sort_onesweep_iterationIS3_Lb1EPxS8_PS5_S9_mNS0_19identity_decomposerENS1_16block_id_wrapperIjLb0EEEEE10hipError_tT1_PNSt15iterator_traitsISE_E10value_typeET2_T3_PNSF_ISK_E10value_typeET4_T5_PSP_SQ_PNS1_23onesweep_lookback_stateEbbT6_jjT7_P12ihipStream_tbENKUlT_T0_SE_SJ_E_clIS8_S8_S9_S9_EEDaSX_SY_SE_SJ_EUlSX_E_NS1_11comp_targetILNS1_3genE6ELNS1_11target_archE950ELNS1_3gpuE13ELNS1_3repE0EEENS1_47radix_sort_onesweep_sort_config_static_selectorELNS0_4arch9wavefront6targetE1EEEvSE_: ; @_ZN7rocprim17ROCPRIM_400000_NS6detail17trampoline_kernelINS0_14default_configENS1_35radix_sort_onesweep_config_selectorIxNS0_10empty_typeEEEZZNS1_29radix_sort_onesweep_iterationIS3_Lb1EPxS8_PS5_S9_mNS0_19identity_decomposerENS1_16block_id_wrapperIjLb0EEEEE10hipError_tT1_PNSt15iterator_traitsISE_E10value_typeET2_T3_PNSF_ISK_E10value_typeET4_T5_PSP_SQ_PNS1_23onesweep_lookback_stateEbbT6_jjT7_P12ihipStream_tbENKUlT_T0_SE_SJ_E_clIS8_S8_S9_S9_EEDaSX_SY_SE_SJ_EUlSX_E_NS1_11comp_targetILNS1_3genE6ELNS1_11target_archE950ELNS1_3gpuE13ELNS1_3repE0EEENS1_47radix_sort_onesweep_sort_config_static_selectorELNS0_4arch9wavefront6targetE1EEEvSE_
; %bb.0:
	.section	.rodata,"a",@progbits
	.p2align	6, 0x0
	.amdhsa_kernel _ZN7rocprim17ROCPRIM_400000_NS6detail17trampoline_kernelINS0_14default_configENS1_35radix_sort_onesweep_config_selectorIxNS0_10empty_typeEEEZZNS1_29radix_sort_onesweep_iterationIS3_Lb1EPxS8_PS5_S9_mNS0_19identity_decomposerENS1_16block_id_wrapperIjLb0EEEEE10hipError_tT1_PNSt15iterator_traitsISE_E10value_typeET2_T3_PNSF_ISK_E10value_typeET4_T5_PSP_SQ_PNS1_23onesweep_lookback_stateEbbT6_jjT7_P12ihipStream_tbENKUlT_T0_SE_SJ_E_clIS8_S8_S9_S9_EEDaSX_SY_SE_SJ_EUlSX_E_NS1_11comp_targetILNS1_3genE6ELNS1_11target_archE950ELNS1_3gpuE13ELNS1_3repE0EEENS1_47radix_sort_onesweep_sort_config_static_selectorELNS0_4arch9wavefront6targetE1EEEvSE_
		.amdhsa_group_segment_fixed_size 0
		.amdhsa_private_segment_fixed_size 0
		.amdhsa_kernarg_size 88
		.amdhsa_user_sgpr_count 6
		.amdhsa_user_sgpr_private_segment_buffer 1
		.amdhsa_user_sgpr_dispatch_ptr 0
		.amdhsa_user_sgpr_queue_ptr 0
		.amdhsa_user_sgpr_kernarg_segment_ptr 1
		.amdhsa_user_sgpr_dispatch_id 0
		.amdhsa_user_sgpr_flat_scratch_init 0
		.amdhsa_user_sgpr_kernarg_preload_length 0
		.amdhsa_user_sgpr_kernarg_preload_offset 0
		.amdhsa_user_sgpr_private_segment_size 0
		.amdhsa_uses_dynamic_stack 0
		.amdhsa_system_sgpr_private_segment_wavefront_offset 0
		.amdhsa_system_sgpr_workgroup_id_x 1
		.amdhsa_system_sgpr_workgroup_id_y 0
		.amdhsa_system_sgpr_workgroup_id_z 0
		.amdhsa_system_sgpr_workgroup_info 0
		.amdhsa_system_vgpr_workitem_id 0
		.amdhsa_next_free_vgpr 1
		.amdhsa_next_free_sgpr 0
		.amdhsa_accum_offset 4
		.amdhsa_reserve_vcc 0
		.amdhsa_reserve_flat_scratch 0
		.amdhsa_float_round_mode_32 0
		.amdhsa_float_round_mode_16_64 0
		.amdhsa_float_denorm_mode_32 3
		.amdhsa_float_denorm_mode_16_64 3
		.amdhsa_dx10_clamp 1
		.amdhsa_ieee_mode 1
		.amdhsa_fp16_overflow 0
		.amdhsa_tg_split 0
		.amdhsa_exception_fp_ieee_invalid_op 0
		.amdhsa_exception_fp_denorm_src 0
		.amdhsa_exception_fp_ieee_div_zero 0
		.amdhsa_exception_fp_ieee_overflow 0
		.amdhsa_exception_fp_ieee_underflow 0
		.amdhsa_exception_fp_ieee_inexact 0
		.amdhsa_exception_int_div_zero 0
	.end_amdhsa_kernel
	.section	.text._ZN7rocprim17ROCPRIM_400000_NS6detail17trampoline_kernelINS0_14default_configENS1_35radix_sort_onesweep_config_selectorIxNS0_10empty_typeEEEZZNS1_29radix_sort_onesweep_iterationIS3_Lb1EPxS8_PS5_S9_mNS0_19identity_decomposerENS1_16block_id_wrapperIjLb0EEEEE10hipError_tT1_PNSt15iterator_traitsISE_E10value_typeET2_T3_PNSF_ISK_E10value_typeET4_T5_PSP_SQ_PNS1_23onesweep_lookback_stateEbbT6_jjT7_P12ihipStream_tbENKUlT_T0_SE_SJ_E_clIS8_S8_S9_S9_EEDaSX_SY_SE_SJ_EUlSX_E_NS1_11comp_targetILNS1_3genE6ELNS1_11target_archE950ELNS1_3gpuE13ELNS1_3repE0EEENS1_47radix_sort_onesweep_sort_config_static_selectorELNS0_4arch9wavefront6targetE1EEEvSE_,"axG",@progbits,_ZN7rocprim17ROCPRIM_400000_NS6detail17trampoline_kernelINS0_14default_configENS1_35radix_sort_onesweep_config_selectorIxNS0_10empty_typeEEEZZNS1_29radix_sort_onesweep_iterationIS3_Lb1EPxS8_PS5_S9_mNS0_19identity_decomposerENS1_16block_id_wrapperIjLb0EEEEE10hipError_tT1_PNSt15iterator_traitsISE_E10value_typeET2_T3_PNSF_ISK_E10value_typeET4_T5_PSP_SQ_PNS1_23onesweep_lookback_stateEbbT6_jjT7_P12ihipStream_tbENKUlT_T0_SE_SJ_E_clIS8_S8_S9_S9_EEDaSX_SY_SE_SJ_EUlSX_E_NS1_11comp_targetILNS1_3genE6ELNS1_11target_archE950ELNS1_3gpuE13ELNS1_3repE0EEENS1_47radix_sort_onesweep_sort_config_static_selectorELNS0_4arch9wavefront6targetE1EEEvSE_,comdat
.Lfunc_end2394:
	.size	_ZN7rocprim17ROCPRIM_400000_NS6detail17trampoline_kernelINS0_14default_configENS1_35radix_sort_onesweep_config_selectorIxNS0_10empty_typeEEEZZNS1_29radix_sort_onesweep_iterationIS3_Lb1EPxS8_PS5_S9_mNS0_19identity_decomposerENS1_16block_id_wrapperIjLb0EEEEE10hipError_tT1_PNSt15iterator_traitsISE_E10value_typeET2_T3_PNSF_ISK_E10value_typeET4_T5_PSP_SQ_PNS1_23onesweep_lookback_stateEbbT6_jjT7_P12ihipStream_tbENKUlT_T0_SE_SJ_E_clIS8_S8_S9_S9_EEDaSX_SY_SE_SJ_EUlSX_E_NS1_11comp_targetILNS1_3genE6ELNS1_11target_archE950ELNS1_3gpuE13ELNS1_3repE0EEENS1_47radix_sort_onesweep_sort_config_static_selectorELNS0_4arch9wavefront6targetE1EEEvSE_, .Lfunc_end2394-_ZN7rocprim17ROCPRIM_400000_NS6detail17trampoline_kernelINS0_14default_configENS1_35radix_sort_onesweep_config_selectorIxNS0_10empty_typeEEEZZNS1_29radix_sort_onesweep_iterationIS3_Lb1EPxS8_PS5_S9_mNS0_19identity_decomposerENS1_16block_id_wrapperIjLb0EEEEE10hipError_tT1_PNSt15iterator_traitsISE_E10value_typeET2_T3_PNSF_ISK_E10value_typeET4_T5_PSP_SQ_PNS1_23onesweep_lookback_stateEbbT6_jjT7_P12ihipStream_tbENKUlT_T0_SE_SJ_E_clIS8_S8_S9_S9_EEDaSX_SY_SE_SJ_EUlSX_E_NS1_11comp_targetILNS1_3genE6ELNS1_11target_archE950ELNS1_3gpuE13ELNS1_3repE0EEENS1_47radix_sort_onesweep_sort_config_static_selectorELNS0_4arch9wavefront6targetE1EEEvSE_
                                        ; -- End function
	.section	.AMDGPU.csdata,"",@progbits
; Kernel info:
; codeLenInByte = 0
; NumSgprs: 4
; NumVgprs: 0
; NumAgprs: 0
; TotalNumVgprs: 0
; ScratchSize: 0
; MemoryBound: 0
; FloatMode: 240
; IeeeMode: 1
; LDSByteSize: 0 bytes/workgroup (compile time only)
; SGPRBlocks: 0
; VGPRBlocks: 0
; NumSGPRsForWavesPerEU: 4
; NumVGPRsForWavesPerEU: 1
; AccumOffset: 4
; Occupancy: 8
; WaveLimiterHint : 0
; COMPUTE_PGM_RSRC2:SCRATCH_EN: 0
; COMPUTE_PGM_RSRC2:USER_SGPR: 6
; COMPUTE_PGM_RSRC2:TRAP_HANDLER: 0
; COMPUTE_PGM_RSRC2:TGID_X_EN: 1
; COMPUTE_PGM_RSRC2:TGID_Y_EN: 0
; COMPUTE_PGM_RSRC2:TGID_Z_EN: 0
; COMPUTE_PGM_RSRC2:TIDIG_COMP_CNT: 0
; COMPUTE_PGM_RSRC3_GFX90A:ACCUM_OFFSET: 0
; COMPUTE_PGM_RSRC3_GFX90A:TG_SPLIT: 0
	.section	.text._ZN7rocprim17ROCPRIM_400000_NS6detail17trampoline_kernelINS0_14default_configENS1_35radix_sort_onesweep_config_selectorIxNS0_10empty_typeEEEZZNS1_29radix_sort_onesweep_iterationIS3_Lb1EPxS8_PS5_S9_mNS0_19identity_decomposerENS1_16block_id_wrapperIjLb0EEEEE10hipError_tT1_PNSt15iterator_traitsISE_E10value_typeET2_T3_PNSF_ISK_E10value_typeET4_T5_PSP_SQ_PNS1_23onesweep_lookback_stateEbbT6_jjT7_P12ihipStream_tbENKUlT_T0_SE_SJ_E_clIS8_S8_S9_S9_EEDaSX_SY_SE_SJ_EUlSX_E_NS1_11comp_targetILNS1_3genE5ELNS1_11target_archE942ELNS1_3gpuE9ELNS1_3repE0EEENS1_47radix_sort_onesweep_sort_config_static_selectorELNS0_4arch9wavefront6targetE1EEEvSE_,"axG",@progbits,_ZN7rocprim17ROCPRIM_400000_NS6detail17trampoline_kernelINS0_14default_configENS1_35radix_sort_onesweep_config_selectorIxNS0_10empty_typeEEEZZNS1_29radix_sort_onesweep_iterationIS3_Lb1EPxS8_PS5_S9_mNS0_19identity_decomposerENS1_16block_id_wrapperIjLb0EEEEE10hipError_tT1_PNSt15iterator_traitsISE_E10value_typeET2_T3_PNSF_ISK_E10value_typeET4_T5_PSP_SQ_PNS1_23onesweep_lookback_stateEbbT6_jjT7_P12ihipStream_tbENKUlT_T0_SE_SJ_E_clIS8_S8_S9_S9_EEDaSX_SY_SE_SJ_EUlSX_E_NS1_11comp_targetILNS1_3genE5ELNS1_11target_archE942ELNS1_3gpuE9ELNS1_3repE0EEENS1_47radix_sort_onesweep_sort_config_static_selectorELNS0_4arch9wavefront6targetE1EEEvSE_,comdat
	.protected	_ZN7rocprim17ROCPRIM_400000_NS6detail17trampoline_kernelINS0_14default_configENS1_35radix_sort_onesweep_config_selectorIxNS0_10empty_typeEEEZZNS1_29radix_sort_onesweep_iterationIS3_Lb1EPxS8_PS5_S9_mNS0_19identity_decomposerENS1_16block_id_wrapperIjLb0EEEEE10hipError_tT1_PNSt15iterator_traitsISE_E10value_typeET2_T3_PNSF_ISK_E10value_typeET4_T5_PSP_SQ_PNS1_23onesweep_lookback_stateEbbT6_jjT7_P12ihipStream_tbENKUlT_T0_SE_SJ_E_clIS8_S8_S9_S9_EEDaSX_SY_SE_SJ_EUlSX_E_NS1_11comp_targetILNS1_3genE5ELNS1_11target_archE942ELNS1_3gpuE9ELNS1_3repE0EEENS1_47radix_sort_onesweep_sort_config_static_selectorELNS0_4arch9wavefront6targetE1EEEvSE_ ; -- Begin function _ZN7rocprim17ROCPRIM_400000_NS6detail17trampoline_kernelINS0_14default_configENS1_35radix_sort_onesweep_config_selectorIxNS0_10empty_typeEEEZZNS1_29radix_sort_onesweep_iterationIS3_Lb1EPxS8_PS5_S9_mNS0_19identity_decomposerENS1_16block_id_wrapperIjLb0EEEEE10hipError_tT1_PNSt15iterator_traitsISE_E10value_typeET2_T3_PNSF_ISK_E10value_typeET4_T5_PSP_SQ_PNS1_23onesweep_lookback_stateEbbT6_jjT7_P12ihipStream_tbENKUlT_T0_SE_SJ_E_clIS8_S8_S9_S9_EEDaSX_SY_SE_SJ_EUlSX_E_NS1_11comp_targetILNS1_3genE5ELNS1_11target_archE942ELNS1_3gpuE9ELNS1_3repE0EEENS1_47radix_sort_onesweep_sort_config_static_selectorELNS0_4arch9wavefront6targetE1EEEvSE_
	.globl	_ZN7rocprim17ROCPRIM_400000_NS6detail17trampoline_kernelINS0_14default_configENS1_35radix_sort_onesweep_config_selectorIxNS0_10empty_typeEEEZZNS1_29radix_sort_onesweep_iterationIS3_Lb1EPxS8_PS5_S9_mNS0_19identity_decomposerENS1_16block_id_wrapperIjLb0EEEEE10hipError_tT1_PNSt15iterator_traitsISE_E10value_typeET2_T3_PNSF_ISK_E10value_typeET4_T5_PSP_SQ_PNS1_23onesweep_lookback_stateEbbT6_jjT7_P12ihipStream_tbENKUlT_T0_SE_SJ_E_clIS8_S8_S9_S9_EEDaSX_SY_SE_SJ_EUlSX_E_NS1_11comp_targetILNS1_3genE5ELNS1_11target_archE942ELNS1_3gpuE9ELNS1_3repE0EEENS1_47radix_sort_onesweep_sort_config_static_selectorELNS0_4arch9wavefront6targetE1EEEvSE_
	.p2align	8
	.type	_ZN7rocprim17ROCPRIM_400000_NS6detail17trampoline_kernelINS0_14default_configENS1_35radix_sort_onesweep_config_selectorIxNS0_10empty_typeEEEZZNS1_29radix_sort_onesweep_iterationIS3_Lb1EPxS8_PS5_S9_mNS0_19identity_decomposerENS1_16block_id_wrapperIjLb0EEEEE10hipError_tT1_PNSt15iterator_traitsISE_E10value_typeET2_T3_PNSF_ISK_E10value_typeET4_T5_PSP_SQ_PNS1_23onesweep_lookback_stateEbbT6_jjT7_P12ihipStream_tbENKUlT_T0_SE_SJ_E_clIS8_S8_S9_S9_EEDaSX_SY_SE_SJ_EUlSX_E_NS1_11comp_targetILNS1_3genE5ELNS1_11target_archE942ELNS1_3gpuE9ELNS1_3repE0EEENS1_47radix_sort_onesweep_sort_config_static_selectorELNS0_4arch9wavefront6targetE1EEEvSE_,@function
_ZN7rocprim17ROCPRIM_400000_NS6detail17trampoline_kernelINS0_14default_configENS1_35radix_sort_onesweep_config_selectorIxNS0_10empty_typeEEEZZNS1_29radix_sort_onesweep_iterationIS3_Lb1EPxS8_PS5_S9_mNS0_19identity_decomposerENS1_16block_id_wrapperIjLb0EEEEE10hipError_tT1_PNSt15iterator_traitsISE_E10value_typeET2_T3_PNSF_ISK_E10value_typeET4_T5_PSP_SQ_PNS1_23onesweep_lookback_stateEbbT6_jjT7_P12ihipStream_tbENKUlT_T0_SE_SJ_E_clIS8_S8_S9_S9_EEDaSX_SY_SE_SJ_EUlSX_E_NS1_11comp_targetILNS1_3genE5ELNS1_11target_archE942ELNS1_3gpuE9ELNS1_3repE0EEENS1_47radix_sort_onesweep_sort_config_static_selectorELNS0_4arch9wavefront6targetE1EEEvSE_: ; @_ZN7rocprim17ROCPRIM_400000_NS6detail17trampoline_kernelINS0_14default_configENS1_35radix_sort_onesweep_config_selectorIxNS0_10empty_typeEEEZZNS1_29radix_sort_onesweep_iterationIS3_Lb1EPxS8_PS5_S9_mNS0_19identity_decomposerENS1_16block_id_wrapperIjLb0EEEEE10hipError_tT1_PNSt15iterator_traitsISE_E10value_typeET2_T3_PNSF_ISK_E10value_typeET4_T5_PSP_SQ_PNS1_23onesweep_lookback_stateEbbT6_jjT7_P12ihipStream_tbENKUlT_T0_SE_SJ_E_clIS8_S8_S9_S9_EEDaSX_SY_SE_SJ_EUlSX_E_NS1_11comp_targetILNS1_3genE5ELNS1_11target_archE942ELNS1_3gpuE9ELNS1_3repE0EEENS1_47radix_sort_onesweep_sort_config_static_selectorELNS0_4arch9wavefront6targetE1EEEvSE_
; %bb.0:
	.section	.rodata,"a",@progbits
	.p2align	6, 0x0
	.amdhsa_kernel _ZN7rocprim17ROCPRIM_400000_NS6detail17trampoline_kernelINS0_14default_configENS1_35radix_sort_onesweep_config_selectorIxNS0_10empty_typeEEEZZNS1_29radix_sort_onesweep_iterationIS3_Lb1EPxS8_PS5_S9_mNS0_19identity_decomposerENS1_16block_id_wrapperIjLb0EEEEE10hipError_tT1_PNSt15iterator_traitsISE_E10value_typeET2_T3_PNSF_ISK_E10value_typeET4_T5_PSP_SQ_PNS1_23onesweep_lookback_stateEbbT6_jjT7_P12ihipStream_tbENKUlT_T0_SE_SJ_E_clIS8_S8_S9_S9_EEDaSX_SY_SE_SJ_EUlSX_E_NS1_11comp_targetILNS1_3genE5ELNS1_11target_archE942ELNS1_3gpuE9ELNS1_3repE0EEENS1_47radix_sort_onesweep_sort_config_static_selectorELNS0_4arch9wavefront6targetE1EEEvSE_
		.amdhsa_group_segment_fixed_size 0
		.amdhsa_private_segment_fixed_size 0
		.amdhsa_kernarg_size 88
		.amdhsa_user_sgpr_count 6
		.amdhsa_user_sgpr_private_segment_buffer 1
		.amdhsa_user_sgpr_dispatch_ptr 0
		.amdhsa_user_sgpr_queue_ptr 0
		.amdhsa_user_sgpr_kernarg_segment_ptr 1
		.amdhsa_user_sgpr_dispatch_id 0
		.amdhsa_user_sgpr_flat_scratch_init 0
		.amdhsa_user_sgpr_kernarg_preload_length 0
		.amdhsa_user_sgpr_kernarg_preload_offset 0
		.amdhsa_user_sgpr_private_segment_size 0
		.amdhsa_uses_dynamic_stack 0
		.amdhsa_system_sgpr_private_segment_wavefront_offset 0
		.amdhsa_system_sgpr_workgroup_id_x 1
		.amdhsa_system_sgpr_workgroup_id_y 0
		.amdhsa_system_sgpr_workgroup_id_z 0
		.amdhsa_system_sgpr_workgroup_info 0
		.amdhsa_system_vgpr_workitem_id 0
		.amdhsa_next_free_vgpr 1
		.amdhsa_next_free_sgpr 0
		.amdhsa_accum_offset 4
		.amdhsa_reserve_vcc 0
		.amdhsa_reserve_flat_scratch 0
		.amdhsa_float_round_mode_32 0
		.amdhsa_float_round_mode_16_64 0
		.amdhsa_float_denorm_mode_32 3
		.amdhsa_float_denorm_mode_16_64 3
		.amdhsa_dx10_clamp 1
		.amdhsa_ieee_mode 1
		.amdhsa_fp16_overflow 0
		.amdhsa_tg_split 0
		.amdhsa_exception_fp_ieee_invalid_op 0
		.amdhsa_exception_fp_denorm_src 0
		.amdhsa_exception_fp_ieee_div_zero 0
		.amdhsa_exception_fp_ieee_overflow 0
		.amdhsa_exception_fp_ieee_underflow 0
		.amdhsa_exception_fp_ieee_inexact 0
		.amdhsa_exception_int_div_zero 0
	.end_amdhsa_kernel
	.section	.text._ZN7rocprim17ROCPRIM_400000_NS6detail17trampoline_kernelINS0_14default_configENS1_35radix_sort_onesweep_config_selectorIxNS0_10empty_typeEEEZZNS1_29radix_sort_onesweep_iterationIS3_Lb1EPxS8_PS5_S9_mNS0_19identity_decomposerENS1_16block_id_wrapperIjLb0EEEEE10hipError_tT1_PNSt15iterator_traitsISE_E10value_typeET2_T3_PNSF_ISK_E10value_typeET4_T5_PSP_SQ_PNS1_23onesweep_lookback_stateEbbT6_jjT7_P12ihipStream_tbENKUlT_T0_SE_SJ_E_clIS8_S8_S9_S9_EEDaSX_SY_SE_SJ_EUlSX_E_NS1_11comp_targetILNS1_3genE5ELNS1_11target_archE942ELNS1_3gpuE9ELNS1_3repE0EEENS1_47radix_sort_onesweep_sort_config_static_selectorELNS0_4arch9wavefront6targetE1EEEvSE_,"axG",@progbits,_ZN7rocprim17ROCPRIM_400000_NS6detail17trampoline_kernelINS0_14default_configENS1_35radix_sort_onesweep_config_selectorIxNS0_10empty_typeEEEZZNS1_29radix_sort_onesweep_iterationIS3_Lb1EPxS8_PS5_S9_mNS0_19identity_decomposerENS1_16block_id_wrapperIjLb0EEEEE10hipError_tT1_PNSt15iterator_traitsISE_E10value_typeET2_T3_PNSF_ISK_E10value_typeET4_T5_PSP_SQ_PNS1_23onesweep_lookback_stateEbbT6_jjT7_P12ihipStream_tbENKUlT_T0_SE_SJ_E_clIS8_S8_S9_S9_EEDaSX_SY_SE_SJ_EUlSX_E_NS1_11comp_targetILNS1_3genE5ELNS1_11target_archE942ELNS1_3gpuE9ELNS1_3repE0EEENS1_47radix_sort_onesweep_sort_config_static_selectorELNS0_4arch9wavefront6targetE1EEEvSE_,comdat
.Lfunc_end2395:
	.size	_ZN7rocprim17ROCPRIM_400000_NS6detail17trampoline_kernelINS0_14default_configENS1_35radix_sort_onesweep_config_selectorIxNS0_10empty_typeEEEZZNS1_29radix_sort_onesweep_iterationIS3_Lb1EPxS8_PS5_S9_mNS0_19identity_decomposerENS1_16block_id_wrapperIjLb0EEEEE10hipError_tT1_PNSt15iterator_traitsISE_E10value_typeET2_T3_PNSF_ISK_E10value_typeET4_T5_PSP_SQ_PNS1_23onesweep_lookback_stateEbbT6_jjT7_P12ihipStream_tbENKUlT_T0_SE_SJ_E_clIS8_S8_S9_S9_EEDaSX_SY_SE_SJ_EUlSX_E_NS1_11comp_targetILNS1_3genE5ELNS1_11target_archE942ELNS1_3gpuE9ELNS1_3repE0EEENS1_47radix_sort_onesweep_sort_config_static_selectorELNS0_4arch9wavefront6targetE1EEEvSE_, .Lfunc_end2395-_ZN7rocprim17ROCPRIM_400000_NS6detail17trampoline_kernelINS0_14default_configENS1_35radix_sort_onesweep_config_selectorIxNS0_10empty_typeEEEZZNS1_29radix_sort_onesweep_iterationIS3_Lb1EPxS8_PS5_S9_mNS0_19identity_decomposerENS1_16block_id_wrapperIjLb0EEEEE10hipError_tT1_PNSt15iterator_traitsISE_E10value_typeET2_T3_PNSF_ISK_E10value_typeET4_T5_PSP_SQ_PNS1_23onesweep_lookback_stateEbbT6_jjT7_P12ihipStream_tbENKUlT_T0_SE_SJ_E_clIS8_S8_S9_S9_EEDaSX_SY_SE_SJ_EUlSX_E_NS1_11comp_targetILNS1_3genE5ELNS1_11target_archE942ELNS1_3gpuE9ELNS1_3repE0EEENS1_47radix_sort_onesweep_sort_config_static_selectorELNS0_4arch9wavefront6targetE1EEEvSE_
                                        ; -- End function
	.section	.AMDGPU.csdata,"",@progbits
; Kernel info:
; codeLenInByte = 0
; NumSgprs: 4
; NumVgprs: 0
; NumAgprs: 0
; TotalNumVgprs: 0
; ScratchSize: 0
; MemoryBound: 0
; FloatMode: 240
; IeeeMode: 1
; LDSByteSize: 0 bytes/workgroup (compile time only)
; SGPRBlocks: 0
; VGPRBlocks: 0
; NumSGPRsForWavesPerEU: 4
; NumVGPRsForWavesPerEU: 1
; AccumOffset: 4
; Occupancy: 8
; WaveLimiterHint : 0
; COMPUTE_PGM_RSRC2:SCRATCH_EN: 0
; COMPUTE_PGM_RSRC2:USER_SGPR: 6
; COMPUTE_PGM_RSRC2:TRAP_HANDLER: 0
; COMPUTE_PGM_RSRC2:TGID_X_EN: 1
; COMPUTE_PGM_RSRC2:TGID_Y_EN: 0
; COMPUTE_PGM_RSRC2:TGID_Z_EN: 0
; COMPUTE_PGM_RSRC2:TIDIG_COMP_CNT: 0
; COMPUTE_PGM_RSRC3_GFX90A:ACCUM_OFFSET: 0
; COMPUTE_PGM_RSRC3_GFX90A:TG_SPLIT: 0
	.section	.text._ZN7rocprim17ROCPRIM_400000_NS6detail17trampoline_kernelINS0_14default_configENS1_35radix_sort_onesweep_config_selectorIxNS0_10empty_typeEEEZZNS1_29radix_sort_onesweep_iterationIS3_Lb1EPxS8_PS5_S9_mNS0_19identity_decomposerENS1_16block_id_wrapperIjLb0EEEEE10hipError_tT1_PNSt15iterator_traitsISE_E10value_typeET2_T3_PNSF_ISK_E10value_typeET4_T5_PSP_SQ_PNS1_23onesweep_lookback_stateEbbT6_jjT7_P12ihipStream_tbENKUlT_T0_SE_SJ_E_clIS8_S8_S9_S9_EEDaSX_SY_SE_SJ_EUlSX_E_NS1_11comp_targetILNS1_3genE2ELNS1_11target_archE906ELNS1_3gpuE6ELNS1_3repE0EEENS1_47radix_sort_onesweep_sort_config_static_selectorELNS0_4arch9wavefront6targetE1EEEvSE_,"axG",@progbits,_ZN7rocprim17ROCPRIM_400000_NS6detail17trampoline_kernelINS0_14default_configENS1_35radix_sort_onesweep_config_selectorIxNS0_10empty_typeEEEZZNS1_29radix_sort_onesweep_iterationIS3_Lb1EPxS8_PS5_S9_mNS0_19identity_decomposerENS1_16block_id_wrapperIjLb0EEEEE10hipError_tT1_PNSt15iterator_traitsISE_E10value_typeET2_T3_PNSF_ISK_E10value_typeET4_T5_PSP_SQ_PNS1_23onesweep_lookback_stateEbbT6_jjT7_P12ihipStream_tbENKUlT_T0_SE_SJ_E_clIS8_S8_S9_S9_EEDaSX_SY_SE_SJ_EUlSX_E_NS1_11comp_targetILNS1_3genE2ELNS1_11target_archE906ELNS1_3gpuE6ELNS1_3repE0EEENS1_47radix_sort_onesweep_sort_config_static_selectorELNS0_4arch9wavefront6targetE1EEEvSE_,comdat
	.protected	_ZN7rocprim17ROCPRIM_400000_NS6detail17trampoline_kernelINS0_14default_configENS1_35radix_sort_onesweep_config_selectorIxNS0_10empty_typeEEEZZNS1_29radix_sort_onesweep_iterationIS3_Lb1EPxS8_PS5_S9_mNS0_19identity_decomposerENS1_16block_id_wrapperIjLb0EEEEE10hipError_tT1_PNSt15iterator_traitsISE_E10value_typeET2_T3_PNSF_ISK_E10value_typeET4_T5_PSP_SQ_PNS1_23onesweep_lookback_stateEbbT6_jjT7_P12ihipStream_tbENKUlT_T0_SE_SJ_E_clIS8_S8_S9_S9_EEDaSX_SY_SE_SJ_EUlSX_E_NS1_11comp_targetILNS1_3genE2ELNS1_11target_archE906ELNS1_3gpuE6ELNS1_3repE0EEENS1_47radix_sort_onesweep_sort_config_static_selectorELNS0_4arch9wavefront6targetE1EEEvSE_ ; -- Begin function _ZN7rocprim17ROCPRIM_400000_NS6detail17trampoline_kernelINS0_14default_configENS1_35radix_sort_onesweep_config_selectorIxNS0_10empty_typeEEEZZNS1_29radix_sort_onesweep_iterationIS3_Lb1EPxS8_PS5_S9_mNS0_19identity_decomposerENS1_16block_id_wrapperIjLb0EEEEE10hipError_tT1_PNSt15iterator_traitsISE_E10value_typeET2_T3_PNSF_ISK_E10value_typeET4_T5_PSP_SQ_PNS1_23onesweep_lookback_stateEbbT6_jjT7_P12ihipStream_tbENKUlT_T0_SE_SJ_E_clIS8_S8_S9_S9_EEDaSX_SY_SE_SJ_EUlSX_E_NS1_11comp_targetILNS1_3genE2ELNS1_11target_archE906ELNS1_3gpuE6ELNS1_3repE0EEENS1_47radix_sort_onesweep_sort_config_static_selectorELNS0_4arch9wavefront6targetE1EEEvSE_
	.globl	_ZN7rocprim17ROCPRIM_400000_NS6detail17trampoline_kernelINS0_14default_configENS1_35radix_sort_onesweep_config_selectorIxNS0_10empty_typeEEEZZNS1_29radix_sort_onesweep_iterationIS3_Lb1EPxS8_PS5_S9_mNS0_19identity_decomposerENS1_16block_id_wrapperIjLb0EEEEE10hipError_tT1_PNSt15iterator_traitsISE_E10value_typeET2_T3_PNSF_ISK_E10value_typeET4_T5_PSP_SQ_PNS1_23onesweep_lookback_stateEbbT6_jjT7_P12ihipStream_tbENKUlT_T0_SE_SJ_E_clIS8_S8_S9_S9_EEDaSX_SY_SE_SJ_EUlSX_E_NS1_11comp_targetILNS1_3genE2ELNS1_11target_archE906ELNS1_3gpuE6ELNS1_3repE0EEENS1_47radix_sort_onesweep_sort_config_static_selectorELNS0_4arch9wavefront6targetE1EEEvSE_
	.p2align	8
	.type	_ZN7rocprim17ROCPRIM_400000_NS6detail17trampoline_kernelINS0_14default_configENS1_35radix_sort_onesweep_config_selectorIxNS0_10empty_typeEEEZZNS1_29radix_sort_onesweep_iterationIS3_Lb1EPxS8_PS5_S9_mNS0_19identity_decomposerENS1_16block_id_wrapperIjLb0EEEEE10hipError_tT1_PNSt15iterator_traitsISE_E10value_typeET2_T3_PNSF_ISK_E10value_typeET4_T5_PSP_SQ_PNS1_23onesweep_lookback_stateEbbT6_jjT7_P12ihipStream_tbENKUlT_T0_SE_SJ_E_clIS8_S8_S9_S9_EEDaSX_SY_SE_SJ_EUlSX_E_NS1_11comp_targetILNS1_3genE2ELNS1_11target_archE906ELNS1_3gpuE6ELNS1_3repE0EEENS1_47radix_sort_onesweep_sort_config_static_selectorELNS0_4arch9wavefront6targetE1EEEvSE_,@function
_ZN7rocprim17ROCPRIM_400000_NS6detail17trampoline_kernelINS0_14default_configENS1_35radix_sort_onesweep_config_selectorIxNS0_10empty_typeEEEZZNS1_29radix_sort_onesweep_iterationIS3_Lb1EPxS8_PS5_S9_mNS0_19identity_decomposerENS1_16block_id_wrapperIjLb0EEEEE10hipError_tT1_PNSt15iterator_traitsISE_E10value_typeET2_T3_PNSF_ISK_E10value_typeET4_T5_PSP_SQ_PNS1_23onesweep_lookback_stateEbbT6_jjT7_P12ihipStream_tbENKUlT_T0_SE_SJ_E_clIS8_S8_S9_S9_EEDaSX_SY_SE_SJ_EUlSX_E_NS1_11comp_targetILNS1_3genE2ELNS1_11target_archE906ELNS1_3gpuE6ELNS1_3repE0EEENS1_47radix_sort_onesweep_sort_config_static_selectorELNS0_4arch9wavefront6targetE1EEEvSE_: ; @_ZN7rocprim17ROCPRIM_400000_NS6detail17trampoline_kernelINS0_14default_configENS1_35radix_sort_onesweep_config_selectorIxNS0_10empty_typeEEEZZNS1_29radix_sort_onesweep_iterationIS3_Lb1EPxS8_PS5_S9_mNS0_19identity_decomposerENS1_16block_id_wrapperIjLb0EEEEE10hipError_tT1_PNSt15iterator_traitsISE_E10value_typeET2_T3_PNSF_ISK_E10value_typeET4_T5_PSP_SQ_PNS1_23onesweep_lookback_stateEbbT6_jjT7_P12ihipStream_tbENKUlT_T0_SE_SJ_E_clIS8_S8_S9_S9_EEDaSX_SY_SE_SJ_EUlSX_E_NS1_11comp_targetILNS1_3genE2ELNS1_11target_archE906ELNS1_3gpuE6ELNS1_3repE0EEENS1_47radix_sort_onesweep_sort_config_static_selectorELNS0_4arch9wavefront6targetE1EEEvSE_
; %bb.0:
	.section	.rodata,"a",@progbits
	.p2align	6, 0x0
	.amdhsa_kernel _ZN7rocprim17ROCPRIM_400000_NS6detail17trampoline_kernelINS0_14default_configENS1_35radix_sort_onesweep_config_selectorIxNS0_10empty_typeEEEZZNS1_29radix_sort_onesweep_iterationIS3_Lb1EPxS8_PS5_S9_mNS0_19identity_decomposerENS1_16block_id_wrapperIjLb0EEEEE10hipError_tT1_PNSt15iterator_traitsISE_E10value_typeET2_T3_PNSF_ISK_E10value_typeET4_T5_PSP_SQ_PNS1_23onesweep_lookback_stateEbbT6_jjT7_P12ihipStream_tbENKUlT_T0_SE_SJ_E_clIS8_S8_S9_S9_EEDaSX_SY_SE_SJ_EUlSX_E_NS1_11comp_targetILNS1_3genE2ELNS1_11target_archE906ELNS1_3gpuE6ELNS1_3repE0EEENS1_47radix_sort_onesweep_sort_config_static_selectorELNS0_4arch9wavefront6targetE1EEEvSE_
		.amdhsa_group_segment_fixed_size 0
		.amdhsa_private_segment_fixed_size 0
		.amdhsa_kernarg_size 88
		.amdhsa_user_sgpr_count 6
		.amdhsa_user_sgpr_private_segment_buffer 1
		.amdhsa_user_sgpr_dispatch_ptr 0
		.amdhsa_user_sgpr_queue_ptr 0
		.amdhsa_user_sgpr_kernarg_segment_ptr 1
		.amdhsa_user_sgpr_dispatch_id 0
		.amdhsa_user_sgpr_flat_scratch_init 0
		.amdhsa_user_sgpr_kernarg_preload_length 0
		.amdhsa_user_sgpr_kernarg_preload_offset 0
		.amdhsa_user_sgpr_private_segment_size 0
		.amdhsa_uses_dynamic_stack 0
		.amdhsa_system_sgpr_private_segment_wavefront_offset 0
		.amdhsa_system_sgpr_workgroup_id_x 1
		.amdhsa_system_sgpr_workgroup_id_y 0
		.amdhsa_system_sgpr_workgroup_id_z 0
		.amdhsa_system_sgpr_workgroup_info 0
		.amdhsa_system_vgpr_workitem_id 0
		.amdhsa_next_free_vgpr 1
		.amdhsa_next_free_sgpr 0
		.amdhsa_accum_offset 4
		.amdhsa_reserve_vcc 0
		.amdhsa_reserve_flat_scratch 0
		.amdhsa_float_round_mode_32 0
		.amdhsa_float_round_mode_16_64 0
		.amdhsa_float_denorm_mode_32 3
		.amdhsa_float_denorm_mode_16_64 3
		.amdhsa_dx10_clamp 1
		.amdhsa_ieee_mode 1
		.amdhsa_fp16_overflow 0
		.amdhsa_tg_split 0
		.amdhsa_exception_fp_ieee_invalid_op 0
		.amdhsa_exception_fp_denorm_src 0
		.amdhsa_exception_fp_ieee_div_zero 0
		.amdhsa_exception_fp_ieee_overflow 0
		.amdhsa_exception_fp_ieee_underflow 0
		.amdhsa_exception_fp_ieee_inexact 0
		.amdhsa_exception_int_div_zero 0
	.end_amdhsa_kernel
	.section	.text._ZN7rocprim17ROCPRIM_400000_NS6detail17trampoline_kernelINS0_14default_configENS1_35radix_sort_onesweep_config_selectorIxNS0_10empty_typeEEEZZNS1_29radix_sort_onesweep_iterationIS3_Lb1EPxS8_PS5_S9_mNS0_19identity_decomposerENS1_16block_id_wrapperIjLb0EEEEE10hipError_tT1_PNSt15iterator_traitsISE_E10value_typeET2_T3_PNSF_ISK_E10value_typeET4_T5_PSP_SQ_PNS1_23onesweep_lookback_stateEbbT6_jjT7_P12ihipStream_tbENKUlT_T0_SE_SJ_E_clIS8_S8_S9_S9_EEDaSX_SY_SE_SJ_EUlSX_E_NS1_11comp_targetILNS1_3genE2ELNS1_11target_archE906ELNS1_3gpuE6ELNS1_3repE0EEENS1_47radix_sort_onesweep_sort_config_static_selectorELNS0_4arch9wavefront6targetE1EEEvSE_,"axG",@progbits,_ZN7rocprim17ROCPRIM_400000_NS6detail17trampoline_kernelINS0_14default_configENS1_35radix_sort_onesweep_config_selectorIxNS0_10empty_typeEEEZZNS1_29radix_sort_onesweep_iterationIS3_Lb1EPxS8_PS5_S9_mNS0_19identity_decomposerENS1_16block_id_wrapperIjLb0EEEEE10hipError_tT1_PNSt15iterator_traitsISE_E10value_typeET2_T3_PNSF_ISK_E10value_typeET4_T5_PSP_SQ_PNS1_23onesweep_lookback_stateEbbT6_jjT7_P12ihipStream_tbENKUlT_T0_SE_SJ_E_clIS8_S8_S9_S9_EEDaSX_SY_SE_SJ_EUlSX_E_NS1_11comp_targetILNS1_3genE2ELNS1_11target_archE906ELNS1_3gpuE6ELNS1_3repE0EEENS1_47radix_sort_onesweep_sort_config_static_selectorELNS0_4arch9wavefront6targetE1EEEvSE_,comdat
.Lfunc_end2396:
	.size	_ZN7rocprim17ROCPRIM_400000_NS6detail17trampoline_kernelINS0_14default_configENS1_35radix_sort_onesweep_config_selectorIxNS0_10empty_typeEEEZZNS1_29radix_sort_onesweep_iterationIS3_Lb1EPxS8_PS5_S9_mNS0_19identity_decomposerENS1_16block_id_wrapperIjLb0EEEEE10hipError_tT1_PNSt15iterator_traitsISE_E10value_typeET2_T3_PNSF_ISK_E10value_typeET4_T5_PSP_SQ_PNS1_23onesweep_lookback_stateEbbT6_jjT7_P12ihipStream_tbENKUlT_T0_SE_SJ_E_clIS8_S8_S9_S9_EEDaSX_SY_SE_SJ_EUlSX_E_NS1_11comp_targetILNS1_3genE2ELNS1_11target_archE906ELNS1_3gpuE6ELNS1_3repE0EEENS1_47radix_sort_onesweep_sort_config_static_selectorELNS0_4arch9wavefront6targetE1EEEvSE_, .Lfunc_end2396-_ZN7rocprim17ROCPRIM_400000_NS6detail17trampoline_kernelINS0_14default_configENS1_35radix_sort_onesweep_config_selectorIxNS0_10empty_typeEEEZZNS1_29radix_sort_onesweep_iterationIS3_Lb1EPxS8_PS5_S9_mNS0_19identity_decomposerENS1_16block_id_wrapperIjLb0EEEEE10hipError_tT1_PNSt15iterator_traitsISE_E10value_typeET2_T3_PNSF_ISK_E10value_typeET4_T5_PSP_SQ_PNS1_23onesweep_lookback_stateEbbT6_jjT7_P12ihipStream_tbENKUlT_T0_SE_SJ_E_clIS8_S8_S9_S9_EEDaSX_SY_SE_SJ_EUlSX_E_NS1_11comp_targetILNS1_3genE2ELNS1_11target_archE906ELNS1_3gpuE6ELNS1_3repE0EEENS1_47radix_sort_onesweep_sort_config_static_selectorELNS0_4arch9wavefront6targetE1EEEvSE_
                                        ; -- End function
	.section	.AMDGPU.csdata,"",@progbits
; Kernel info:
; codeLenInByte = 0
; NumSgprs: 4
; NumVgprs: 0
; NumAgprs: 0
; TotalNumVgprs: 0
; ScratchSize: 0
; MemoryBound: 0
; FloatMode: 240
; IeeeMode: 1
; LDSByteSize: 0 bytes/workgroup (compile time only)
; SGPRBlocks: 0
; VGPRBlocks: 0
; NumSGPRsForWavesPerEU: 4
; NumVGPRsForWavesPerEU: 1
; AccumOffset: 4
; Occupancy: 8
; WaveLimiterHint : 0
; COMPUTE_PGM_RSRC2:SCRATCH_EN: 0
; COMPUTE_PGM_RSRC2:USER_SGPR: 6
; COMPUTE_PGM_RSRC2:TRAP_HANDLER: 0
; COMPUTE_PGM_RSRC2:TGID_X_EN: 1
; COMPUTE_PGM_RSRC2:TGID_Y_EN: 0
; COMPUTE_PGM_RSRC2:TGID_Z_EN: 0
; COMPUTE_PGM_RSRC2:TIDIG_COMP_CNT: 0
; COMPUTE_PGM_RSRC3_GFX90A:ACCUM_OFFSET: 0
; COMPUTE_PGM_RSRC3_GFX90A:TG_SPLIT: 0
	.section	.text._ZN7rocprim17ROCPRIM_400000_NS6detail17trampoline_kernelINS0_14default_configENS1_35radix_sort_onesweep_config_selectorIxNS0_10empty_typeEEEZZNS1_29radix_sort_onesweep_iterationIS3_Lb1EPxS8_PS5_S9_mNS0_19identity_decomposerENS1_16block_id_wrapperIjLb0EEEEE10hipError_tT1_PNSt15iterator_traitsISE_E10value_typeET2_T3_PNSF_ISK_E10value_typeET4_T5_PSP_SQ_PNS1_23onesweep_lookback_stateEbbT6_jjT7_P12ihipStream_tbENKUlT_T0_SE_SJ_E_clIS8_S8_S9_S9_EEDaSX_SY_SE_SJ_EUlSX_E_NS1_11comp_targetILNS1_3genE4ELNS1_11target_archE910ELNS1_3gpuE8ELNS1_3repE0EEENS1_47radix_sort_onesweep_sort_config_static_selectorELNS0_4arch9wavefront6targetE1EEEvSE_,"axG",@progbits,_ZN7rocprim17ROCPRIM_400000_NS6detail17trampoline_kernelINS0_14default_configENS1_35radix_sort_onesweep_config_selectorIxNS0_10empty_typeEEEZZNS1_29radix_sort_onesweep_iterationIS3_Lb1EPxS8_PS5_S9_mNS0_19identity_decomposerENS1_16block_id_wrapperIjLb0EEEEE10hipError_tT1_PNSt15iterator_traitsISE_E10value_typeET2_T3_PNSF_ISK_E10value_typeET4_T5_PSP_SQ_PNS1_23onesweep_lookback_stateEbbT6_jjT7_P12ihipStream_tbENKUlT_T0_SE_SJ_E_clIS8_S8_S9_S9_EEDaSX_SY_SE_SJ_EUlSX_E_NS1_11comp_targetILNS1_3genE4ELNS1_11target_archE910ELNS1_3gpuE8ELNS1_3repE0EEENS1_47radix_sort_onesweep_sort_config_static_selectorELNS0_4arch9wavefront6targetE1EEEvSE_,comdat
	.protected	_ZN7rocprim17ROCPRIM_400000_NS6detail17trampoline_kernelINS0_14default_configENS1_35radix_sort_onesweep_config_selectorIxNS0_10empty_typeEEEZZNS1_29radix_sort_onesweep_iterationIS3_Lb1EPxS8_PS5_S9_mNS0_19identity_decomposerENS1_16block_id_wrapperIjLb0EEEEE10hipError_tT1_PNSt15iterator_traitsISE_E10value_typeET2_T3_PNSF_ISK_E10value_typeET4_T5_PSP_SQ_PNS1_23onesweep_lookback_stateEbbT6_jjT7_P12ihipStream_tbENKUlT_T0_SE_SJ_E_clIS8_S8_S9_S9_EEDaSX_SY_SE_SJ_EUlSX_E_NS1_11comp_targetILNS1_3genE4ELNS1_11target_archE910ELNS1_3gpuE8ELNS1_3repE0EEENS1_47radix_sort_onesweep_sort_config_static_selectorELNS0_4arch9wavefront6targetE1EEEvSE_ ; -- Begin function _ZN7rocprim17ROCPRIM_400000_NS6detail17trampoline_kernelINS0_14default_configENS1_35radix_sort_onesweep_config_selectorIxNS0_10empty_typeEEEZZNS1_29radix_sort_onesweep_iterationIS3_Lb1EPxS8_PS5_S9_mNS0_19identity_decomposerENS1_16block_id_wrapperIjLb0EEEEE10hipError_tT1_PNSt15iterator_traitsISE_E10value_typeET2_T3_PNSF_ISK_E10value_typeET4_T5_PSP_SQ_PNS1_23onesweep_lookback_stateEbbT6_jjT7_P12ihipStream_tbENKUlT_T0_SE_SJ_E_clIS8_S8_S9_S9_EEDaSX_SY_SE_SJ_EUlSX_E_NS1_11comp_targetILNS1_3genE4ELNS1_11target_archE910ELNS1_3gpuE8ELNS1_3repE0EEENS1_47radix_sort_onesweep_sort_config_static_selectorELNS0_4arch9wavefront6targetE1EEEvSE_
	.globl	_ZN7rocprim17ROCPRIM_400000_NS6detail17trampoline_kernelINS0_14default_configENS1_35radix_sort_onesweep_config_selectorIxNS0_10empty_typeEEEZZNS1_29radix_sort_onesweep_iterationIS3_Lb1EPxS8_PS5_S9_mNS0_19identity_decomposerENS1_16block_id_wrapperIjLb0EEEEE10hipError_tT1_PNSt15iterator_traitsISE_E10value_typeET2_T3_PNSF_ISK_E10value_typeET4_T5_PSP_SQ_PNS1_23onesweep_lookback_stateEbbT6_jjT7_P12ihipStream_tbENKUlT_T0_SE_SJ_E_clIS8_S8_S9_S9_EEDaSX_SY_SE_SJ_EUlSX_E_NS1_11comp_targetILNS1_3genE4ELNS1_11target_archE910ELNS1_3gpuE8ELNS1_3repE0EEENS1_47radix_sort_onesweep_sort_config_static_selectorELNS0_4arch9wavefront6targetE1EEEvSE_
	.p2align	8
	.type	_ZN7rocprim17ROCPRIM_400000_NS6detail17trampoline_kernelINS0_14default_configENS1_35radix_sort_onesweep_config_selectorIxNS0_10empty_typeEEEZZNS1_29radix_sort_onesweep_iterationIS3_Lb1EPxS8_PS5_S9_mNS0_19identity_decomposerENS1_16block_id_wrapperIjLb0EEEEE10hipError_tT1_PNSt15iterator_traitsISE_E10value_typeET2_T3_PNSF_ISK_E10value_typeET4_T5_PSP_SQ_PNS1_23onesweep_lookback_stateEbbT6_jjT7_P12ihipStream_tbENKUlT_T0_SE_SJ_E_clIS8_S8_S9_S9_EEDaSX_SY_SE_SJ_EUlSX_E_NS1_11comp_targetILNS1_3genE4ELNS1_11target_archE910ELNS1_3gpuE8ELNS1_3repE0EEENS1_47radix_sort_onesweep_sort_config_static_selectorELNS0_4arch9wavefront6targetE1EEEvSE_,@function
_ZN7rocprim17ROCPRIM_400000_NS6detail17trampoline_kernelINS0_14default_configENS1_35radix_sort_onesweep_config_selectorIxNS0_10empty_typeEEEZZNS1_29radix_sort_onesweep_iterationIS3_Lb1EPxS8_PS5_S9_mNS0_19identity_decomposerENS1_16block_id_wrapperIjLb0EEEEE10hipError_tT1_PNSt15iterator_traitsISE_E10value_typeET2_T3_PNSF_ISK_E10value_typeET4_T5_PSP_SQ_PNS1_23onesweep_lookback_stateEbbT6_jjT7_P12ihipStream_tbENKUlT_T0_SE_SJ_E_clIS8_S8_S9_S9_EEDaSX_SY_SE_SJ_EUlSX_E_NS1_11comp_targetILNS1_3genE4ELNS1_11target_archE910ELNS1_3gpuE8ELNS1_3repE0EEENS1_47radix_sort_onesweep_sort_config_static_selectorELNS0_4arch9wavefront6targetE1EEEvSE_: ; @_ZN7rocprim17ROCPRIM_400000_NS6detail17trampoline_kernelINS0_14default_configENS1_35radix_sort_onesweep_config_selectorIxNS0_10empty_typeEEEZZNS1_29radix_sort_onesweep_iterationIS3_Lb1EPxS8_PS5_S9_mNS0_19identity_decomposerENS1_16block_id_wrapperIjLb0EEEEE10hipError_tT1_PNSt15iterator_traitsISE_E10value_typeET2_T3_PNSF_ISK_E10value_typeET4_T5_PSP_SQ_PNS1_23onesweep_lookback_stateEbbT6_jjT7_P12ihipStream_tbENKUlT_T0_SE_SJ_E_clIS8_S8_S9_S9_EEDaSX_SY_SE_SJ_EUlSX_E_NS1_11comp_targetILNS1_3genE4ELNS1_11target_archE910ELNS1_3gpuE8ELNS1_3repE0EEENS1_47radix_sort_onesweep_sort_config_static_selectorELNS0_4arch9wavefront6targetE1EEEvSE_
; %bb.0:
	s_load_dwordx2 s[24:25], s[4:5], 0x38
	s_load_dwordx4 s[16:19], s[4:5], 0x44
	s_load_dwordx4 s[20:23], s[4:5], 0x0
	;; [unrolled: 1-line block ×3, first 2 shown]
	v_mbcnt_lo_u32_b32 v28, -1, 0
	s_waitcnt lgkmcnt(0)
	s_cmp_ge_u32 s6, s18
	s_cbranch_scc0 .LBB2397_61
; %bb.1:
	s_load_dword s0, s[4:5], 0x20
	s_lshl_b32 s1, s18, 13
	s_lshl_b32 s2, s6, 13
	s_mov_b32 s3, 0
	v_mbcnt_hi_u32_b32 v1, -1, v28
	s_waitcnt lgkmcnt(0)
	s_sub_i32 s7, s0, s1
	s_lshl_b64 s[0:1], s[2:3], 3
	v_and_b32_e32 v2, 0x3ff, v0
	s_add_u32 s0, s20, s0
	v_and_b32_e32 v3, 63, v1
	s_addc_u32 s1, s21, s1
	v_lshlrev_b32_e32 v29, 3, v2
	v_lshlrev_b32_e32 v5, 3, v3
	v_and_b32_e32 v4, 0x1e00, v29
	v_mov_b32_e32 v6, s1
	v_add_co_u32_e32 v5, vcc, s0, v5
	v_addc_co_u32_e32 v6, vcc, 0, v6, vcc
	v_lshlrev_b32_e32 v7, 3, v4
	v_add_co_u32_e32 v20, vcc, v5, v7
	v_addc_co_u32_e32 v21, vcc, 0, v6, vcc
	v_or_b32_e32 v3, v3, v4
	s_brev_b32 s1, 1
	s_mov_b32 s0, s3
	v_cmp_gt_u32_e32 vcc, s7, v3
	v_pk_mov_b32 v[4:5], s[0:1], s[0:1] op_sel:[0,1]
	s_and_saveexec_b64 s[2:3], vcc
	s_cbranch_execz .LBB2397_3
; %bb.2:
	global_load_dwordx2 v[4:5], v[20:21], off
.LBB2397_3:
	s_or_b64 exec, exec, s[2:3]
	v_or_b32_e32 v6, 64, v3
	v_cmp_gt_u32_e32 vcc, s7, v6
	v_pk_mov_b32 v[6:7], s[0:1], s[0:1] op_sel:[0,1]
	s_and_saveexec_b64 s[0:1], vcc
	s_cbranch_execz .LBB2397_5
; %bb.4:
	global_load_dwordx2 v[6:7], v[20:21], off offset:512
.LBB2397_5:
	s_or_b64 exec, exec, s[0:1]
	s_mov_b32 s0, 0
	v_or_b32_e32 v8, 0x80, v3
	s_brev_b32 s1, 1
	v_cmp_gt_u32_e32 vcc, s7, v8
	v_pk_mov_b32 v[8:9], s[0:1], s[0:1] op_sel:[0,1]
	s_and_saveexec_b64 s[2:3], vcc
	s_cbranch_execz .LBB2397_7
; %bb.6:
	global_load_dwordx2 v[8:9], v[20:21], off offset:1024
.LBB2397_7:
	s_or_b64 exec, exec, s[2:3]
	v_or_b32_e32 v10, 0xc0, v3
	v_cmp_gt_u32_e32 vcc, s7, v10
	v_pk_mov_b32 v[10:11], s[0:1], s[0:1] op_sel:[0,1]
	s_and_saveexec_b64 s[0:1], vcc
	s_cbranch_execz .LBB2397_9
; %bb.8:
	global_load_dwordx2 v[10:11], v[20:21], off offset:1536
.LBB2397_9:
	s_or_b64 exec, exec, s[0:1]
	s_mov_b32 s0, 0
	v_or_b32_e32 v12, 0x100, v3
	s_brev_b32 s1, 1
	v_cmp_gt_u32_e32 vcc, s7, v12
	v_pk_mov_b32 v[12:13], s[0:1], s[0:1] op_sel:[0,1]
	s_and_saveexec_b64 s[2:3], vcc
	s_cbranch_execz .LBB2397_11
; %bb.10:
	global_load_dwordx2 v[12:13], v[20:21], off offset:2048
.LBB2397_11:
	s_or_b64 exec, exec, s[2:3]
	v_or_b32_e32 v14, 0x140, v3
	v_cmp_gt_u32_e32 vcc, s7, v14
	v_pk_mov_b32 v[16:17], s[0:1], s[0:1] op_sel:[0,1]
	s_and_saveexec_b64 s[0:1], vcc
	s_cbranch_execz .LBB2397_13
; %bb.12:
	global_load_dwordx2 v[16:17], v[20:21], off offset:2560
.LBB2397_13:
	s_or_b64 exec, exec, s[0:1]
	s_mov_b32 s0, 0
	v_or_b32_e32 v14, 0x180, v3
	s_brev_b32 s1, 1
	v_cmp_gt_u32_e32 vcc, s7, v14
	v_pk_mov_b32 v[18:19], s[0:1], s[0:1] op_sel:[0,1]
	s_and_saveexec_b64 s[2:3], vcc
	s_cbranch_execz .LBB2397_15
; %bb.14:
	global_load_dwordx2 v[18:19], v[20:21], off offset:3072
.LBB2397_15:
	s_or_b64 exec, exec, s[2:3]
	v_or_b32_e32 v3, 0x1c0, v3
	v_cmp_gt_u32_e32 vcc, s7, v3
	v_pk_mov_b32 v[14:15], s[0:1], s[0:1] op_sel:[0,1]
	s_and_saveexec_b64 s[0:1], vcc
	s_cbranch_execz .LBB2397_17
; %bb.16:
	global_load_dwordx2 v[14:15], v[20:21], off offset:3584
.LBB2397_17:
	s_or_b64 exec, exec, s[0:1]
	s_load_dword s0, s[4:5], 0x64
	s_load_dword s26, s[4:5], 0x58
	s_add_u32 s1, s4, 0x58
	s_addc_u32 s2, s5, 0
	v_mov_b32_e32 v20, 0
	s_waitcnt lgkmcnt(0)
	s_lshr_b32 s3, s0, 16
	s_cmp_lt_u32 s6, s26
	s_cselect_b32 s0, 12, 18
	s_add_u32 s0, s1, s0
	s_addc_u32 s1, s2, 0
	global_load_ushort v24, v20, s[0:1]
	s_waitcnt vmcnt(1)
	v_xor_b32_e32 v5, 0x7fffffff, v5
	v_not_b32_e32 v4, v4
	s_lshl_b32 s0, -1, s17
	v_lshrrev_b64 v[22:23], s16, v[4:5]
	s_not_b32 s27, s0
	v_and_b32_e32 v22, s27, v22
	v_and_b32_e32 v26, 1, v22
	v_bfe_u32 v21, v0, 10, 10
	v_bfe_u32 v25, v0, 20, 10
	v_add_co_u32_e32 v27, vcc, -1, v26
	v_mad_u32_u24 v23, v25, s3, v21
	v_lshlrev_b32_e32 v21, 30, v22
	v_addc_co_u32_e64 v30, s[0:1], 0, -1, vcc
	v_cmp_ne_u32_e32 vcc, 0, v26
	v_cmp_gt_i64_e64 s[0:1], 0, v[20:21]
	v_not_b32_e32 v26, v21
	v_lshlrev_b32_e32 v21, 29, v22
	v_xor_b32_e32 v30, vcc_hi, v30
	v_xor_b32_e32 v27, vcc_lo, v27
	v_ashrrev_i32_e32 v26, 31, v26
	v_cmp_gt_i64_e32 vcc, 0, v[20:21]
	v_not_b32_e32 v31, v21
	v_lshlrev_b32_e32 v21, 28, v22
	v_and_b32_e32 v30, exec_hi, v30
	v_and_b32_e32 v27, exec_lo, v27
	v_xor_b32_e32 v32, s1, v26
	v_xor_b32_e32 v26, s0, v26
	v_ashrrev_i32_e32 v31, 31, v31
	v_cmp_gt_i64_e64 s[0:1], 0, v[20:21]
	v_not_b32_e32 v33, v21
	v_lshlrev_b32_e32 v21, 27, v22
	v_and_b32_e32 v30, v30, v32
	v_and_b32_e32 v26, v27, v26
	v_xor_b32_e32 v27, vcc_hi, v31
	v_xor_b32_e32 v31, vcc_lo, v31
	v_ashrrev_i32_e32 v32, 31, v33
	v_cmp_gt_i64_e32 vcc, 0, v[20:21]
	v_not_b32_e32 v33, v21
	v_lshlrev_b32_e32 v21, 26, v22
	v_and_b32_e32 v27, v30, v27
	v_and_b32_e32 v26, v26, v31
	v_xor_b32_e32 v30, s1, v32
	v_xor_b32_e32 v31, s0, v32
	v_ashrrev_i32_e32 v32, 31, v33
	v_cmp_gt_i64_e64 s[0:1], 0, v[20:21]
	v_not_b32_e32 v33, v21
	v_lshlrev_b32_e32 v21, 25, v22
	v_and_b32_e32 v27, v27, v30
	v_and_b32_e32 v26, v26, v31
	v_xor_b32_e32 v30, vcc_hi, v32
	v_xor_b32_e32 v31, vcc_lo, v32
	v_ashrrev_i32_e32 v32, 31, v33
	v_not_b32_e32 v33, v21
	v_mul_u32_u24_e32 v3, 5, v2
	v_lshl_add_u32 v25, v22, 4, v22
	v_cmp_gt_i64_e32 vcc, 0, v[20:21]
	v_lshlrev_b32_e32 v21, 24, v22
	v_and_b32_e32 v22, v27, v30
	v_and_b32_e32 v26, v26, v31
	v_xor_b32_e32 v27, s1, v32
	v_ashrrev_i32_e32 v31, 31, v33
	v_lshlrev_b32_e32 v3, 2, v3
	v_xor_b32_e32 v30, s0, v32
	v_cmp_gt_i64_e64 s[0:1], 0, v[20:21]
	v_and_b32_e32 v22, v22, v27
	v_xor_b32_e32 v27, vcc_hi, v31
	v_not_b32_e32 v21, v21
	v_and_b32_e32 v26, v26, v30
	v_xor_b32_e32 v30, vcc_lo, v31
	v_and_b32_e32 v31, v22, v27
	v_ashrrev_i32_e32 v21, 31, v21
	v_and_b32_e32 v26, v26, v30
	ds_write2_b32 v3, v20, v20 offset0:16 offset1:17
	ds_write2_b32 v3, v20, v20 offset0:18 offset1:19
	ds_write_b32 v3, v20 offset:80
	s_waitcnt lgkmcnt(0)
	s_barrier
	s_waitcnt vmcnt(0)
	v_mad_u64_u32 v[22:23], s[2:3], v23, v24, v[2:3]
	v_lshrrev_b32_e32 v27, 6, v22
	v_xor_b32_e32 v22, s1, v21
	v_xor_b32_e32 v21, s0, v21
	v_and_b32_e32 v23, v31, v22
	v_and_b32_e32 v22, v26, v21
	v_mbcnt_lo_u32_b32 v21, v22, 0
	v_mbcnt_hi_u32_b32 v30, v23, v21
	v_cmp_eq_u32_e32 vcc, 0, v30
	v_cmp_ne_u64_e64 s[0:1], 0, v[22:23]
	v_add_lshl_u32 v24, v27, v25, 2
	s_and_b64 s[2:3], s[0:1], vcc
	; wave barrier
	s_and_saveexec_b64 s[0:1], s[2:3]
	s_cbranch_execz .LBB2397_19
; %bb.18:
	v_bcnt_u32_b32 v21, v22, 0
	v_bcnt_u32_b32 v21, v23, v21
	ds_write_b32 v24, v21 offset:64
.LBB2397_19:
	s_or_b64 exec, exec, s[0:1]
	v_xor_b32_e32 v7, 0x7fffffff, v7
	v_not_b32_e32 v6, v6
	v_lshrrev_b64 v[22:23], s16, v[6:7]
	v_and_b32_e32 v22, s27, v22
	v_lshl_add_u32 v21, v22, 4, v22
	v_add_lshl_u32 v25, v27, v21, 2
	v_and_b32_e32 v21, 1, v22
	v_add_co_u32_e32 v23, vcc, -1, v21
	v_addc_co_u32_e64 v26, s[0:1], 0, -1, vcc
	v_cmp_ne_u32_e32 vcc, 0, v21
	v_xor_b32_e32 v21, vcc_hi, v26
	v_and_b32_e32 v26, exec_hi, v21
	v_lshlrev_b32_e32 v21, 30, v22
	v_xor_b32_e32 v23, vcc_lo, v23
	v_cmp_gt_i64_e32 vcc, 0, v[20:21]
	v_not_b32_e32 v21, v21
	v_ashrrev_i32_e32 v21, 31, v21
	v_and_b32_e32 v23, exec_lo, v23
	v_xor_b32_e32 v32, vcc_hi, v21
	v_xor_b32_e32 v21, vcc_lo, v21
	v_and_b32_e32 v23, v23, v21
	v_lshlrev_b32_e32 v21, 29, v22
	v_cmp_gt_i64_e32 vcc, 0, v[20:21]
	v_not_b32_e32 v21, v21
	v_ashrrev_i32_e32 v21, 31, v21
	v_and_b32_e32 v26, v26, v32
	v_xor_b32_e32 v32, vcc_hi, v21
	v_xor_b32_e32 v21, vcc_lo, v21
	v_and_b32_e32 v23, v23, v21
	v_lshlrev_b32_e32 v21, 28, v22
	v_cmp_gt_i64_e32 vcc, 0, v[20:21]
	v_not_b32_e32 v21, v21
	v_ashrrev_i32_e32 v21, 31, v21
	v_and_b32_e32 v26, v26, v32
	;; [unrolled: 8-line block ×5, first 2 shown]
	v_xor_b32_e32 v32, vcc_hi, v21
	v_xor_b32_e32 v21, vcc_lo, v21
	v_and_b32_e32 v23, v23, v21
	v_lshlrev_b32_e32 v21, 24, v22
	v_cmp_gt_i64_e32 vcc, 0, v[20:21]
	v_not_b32_e32 v20, v21
	v_ashrrev_i32_e32 v20, 31, v20
	v_xor_b32_e32 v21, vcc_hi, v20
	v_xor_b32_e32 v20, vcc_lo, v20
	; wave barrier
	ds_read_b32 v31, v25 offset:64
	v_and_b32_e32 v26, v26, v32
	v_and_b32_e32 v20, v23, v20
	;; [unrolled: 1-line block ×3, first 2 shown]
	v_mbcnt_lo_u32_b32 v22, v20, 0
	v_mbcnt_hi_u32_b32 v32, v21, v22
	v_cmp_eq_u32_e32 vcc, 0, v32
	v_cmp_ne_u64_e64 s[0:1], 0, v[20:21]
	s_and_b64 s[2:3], s[0:1], vcc
	; wave barrier
	s_and_saveexec_b64 s[0:1], s[2:3]
	s_cbranch_execz .LBB2397_21
; %bb.20:
	v_bcnt_u32_b32 v20, v20, 0
	v_bcnt_u32_b32 v20, v21, v20
	s_waitcnt lgkmcnt(0)
	v_add_u32_e32 v20, v31, v20
	ds_write_b32 v25, v20 offset:64
.LBB2397_21:
	s_or_b64 exec, exec, s[0:1]
	v_xor_b32_e32 v9, 0x7fffffff, v9
	v_not_b32_e32 v8, v8
	v_lshrrev_b64 v[20:21], s16, v[8:9]
	v_and_b32_e32 v22, s27, v20
	v_and_b32_e32 v21, 1, v22
	v_add_co_u32_e32 v23, vcc, -1, v21
	v_addc_co_u32_e64 v34, s[0:1], 0, -1, vcc
	v_cmp_ne_u32_e32 vcc, 0, v21
	v_lshl_add_u32 v20, v22, 4, v22
	v_xor_b32_e32 v21, vcc_hi, v34
	v_add_lshl_u32 v26, v27, v20, 2
	v_mov_b32_e32 v20, 0
	v_and_b32_e32 v34, exec_hi, v21
	v_lshlrev_b32_e32 v21, 30, v22
	v_xor_b32_e32 v23, vcc_lo, v23
	v_cmp_gt_i64_e32 vcc, 0, v[20:21]
	v_not_b32_e32 v21, v21
	v_ashrrev_i32_e32 v21, 31, v21
	v_and_b32_e32 v23, exec_lo, v23
	v_xor_b32_e32 v35, vcc_hi, v21
	v_xor_b32_e32 v21, vcc_lo, v21
	v_and_b32_e32 v23, v23, v21
	v_lshlrev_b32_e32 v21, 29, v22
	v_cmp_gt_i64_e32 vcc, 0, v[20:21]
	v_not_b32_e32 v21, v21
	v_ashrrev_i32_e32 v21, 31, v21
	v_and_b32_e32 v34, v34, v35
	v_xor_b32_e32 v35, vcc_hi, v21
	v_xor_b32_e32 v21, vcc_lo, v21
	v_and_b32_e32 v23, v23, v21
	v_lshlrev_b32_e32 v21, 28, v22
	v_cmp_gt_i64_e32 vcc, 0, v[20:21]
	v_not_b32_e32 v21, v21
	v_ashrrev_i32_e32 v21, 31, v21
	v_and_b32_e32 v34, v34, v35
	;; [unrolled: 8-line block ×5, first 2 shown]
	v_xor_b32_e32 v35, vcc_hi, v21
	v_xor_b32_e32 v21, vcc_lo, v21
	v_and_b32_e32 v34, v34, v35
	v_and_b32_e32 v35, v23, v21
	v_lshlrev_b32_e32 v21, 24, v22
	v_cmp_gt_i64_e32 vcc, 0, v[20:21]
	v_not_b32_e32 v21, v21
	v_ashrrev_i32_e32 v21, 31, v21
	v_xor_b32_e32 v22, vcc_hi, v21
	v_xor_b32_e32 v21, vcc_lo, v21
	; wave barrier
	ds_read_b32 v33, v26 offset:64
	v_and_b32_e32 v23, v34, v22
	v_and_b32_e32 v22, v35, v21
	v_mbcnt_lo_u32_b32 v21, v22, 0
	v_mbcnt_hi_u32_b32 v34, v23, v21
	v_cmp_eq_u32_e32 vcc, 0, v34
	v_cmp_ne_u64_e64 s[0:1], 0, v[22:23]
	s_and_b64 s[2:3], s[0:1], vcc
	; wave barrier
	s_and_saveexec_b64 s[0:1], s[2:3]
	s_cbranch_execz .LBB2397_23
; %bb.22:
	v_bcnt_u32_b32 v21, v22, 0
	v_bcnt_u32_b32 v21, v23, v21
	s_waitcnt lgkmcnt(0)
	v_add_u32_e32 v21, v33, v21
	ds_write_b32 v26, v21 offset:64
.LBB2397_23:
	s_or_b64 exec, exec, s[0:1]
	v_xor_b32_e32 v11, 0x7fffffff, v11
	v_not_b32_e32 v10, v10
	v_lshrrev_b64 v[22:23], s16, v[10:11]
	v_and_b32_e32 v22, s27, v22
	v_lshl_add_u32 v21, v22, 4, v22
	v_add_lshl_u32 v38, v27, v21, 2
	v_and_b32_e32 v21, 1, v22
	v_add_co_u32_e32 v23, vcc, -1, v21
	v_addc_co_u32_e64 v36, s[0:1], 0, -1, vcc
	v_cmp_ne_u32_e32 vcc, 0, v21
	v_xor_b32_e32 v21, vcc_hi, v36
	v_and_b32_e32 v36, exec_hi, v21
	v_lshlrev_b32_e32 v21, 30, v22
	v_xor_b32_e32 v23, vcc_lo, v23
	v_cmp_gt_i64_e32 vcc, 0, v[20:21]
	v_not_b32_e32 v21, v21
	v_ashrrev_i32_e32 v21, 31, v21
	v_and_b32_e32 v23, exec_lo, v23
	v_xor_b32_e32 v37, vcc_hi, v21
	v_xor_b32_e32 v21, vcc_lo, v21
	v_and_b32_e32 v23, v23, v21
	v_lshlrev_b32_e32 v21, 29, v22
	v_cmp_gt_i64_e32 vcc, 0, v[20:21]
	v_not_b32_e32 v21, v21
	v_ashrrev_i32_e32 v21, 31, v21
	v_and_b32_e32 v36, v36, v37
	v_xor_b32_e32 v37, vcc_hi, v21
	v_xor_b32_e32 v21, vcc_lo, v21
	v_and_b32_e32 v23, v23, v21
	v_lshlrev_b32_e32 v21, 28, v22
	v_cmp_gt_i64_e32 vcc, 0, v[20:21]
	v_not_b32_e32 v21, v21
	v_ashrrev_i32_e32 v21, 31, v21
	v_and_b32_e32 v36, v36, v37
	;; [unrolled: 8-line block ×5, first 2 shown]
	v_xor_b32_e32 v37, vcc_hi, v21
	v_xor_b32_e32 v21, vcc_lo, v21
	v_and_b32_e32 v23, v23, v21
	v_lshlrev_b32_e32 v21, 24, v22
	v_cmp_gt_i64_e32 vcc, 0, v[20:21]
	v_not_b32_e32 v20, v21
	v_ashrrev_i32_e32 v20, 31, v20
	v_xor_b32_e32 v21, vcc_hi, v20
	v_xor_b32_e32 v20, vcc_lo, v20
	; wave barrier
	ds_read_b32 v35, v38 offset:64
	v_and_b32_e32 v36, v36, v37
	v_and_b32_e32 v20, v23, v20
	;; [unrolled: 1-line block ×3, first 2 shown]
	v_mbcnt_lo_u32_b32 v22, v20, 0
	v_mbcnt_hi_u32_b32 v36, v21, v22
	v_cmp_eq_u32_e32 vcc, 0, v36
	v_cmp_ne_u64_e64 s[0:1], 0, v[20:21]
	s_and_b64 s[2:3], s[0:1], vcc
	; wave barrier
	s_and_saveexec_b64 s[0:1], s[2:3]
	s_cbranch_execz .LBB2397_25
; %bb.24:
	v_bcnt_u32_b32 v20, v20, 0
	v_bcnt_u32_b32 v20, v21, v20
	s_waitcnt lgkmcnt(0)
	v_add_u32_e32 v20, v35, v20
	ds_write_b32 v38, v20 offset:64
.LBB2397_25:
	s_or_b64 exec, exec, s[0:1]
	v_xor_b32_e32 v13, 0x7fffffff, v13
	v_not_b32_e32 v12, v12
	v_lshrrev_b64 v[20:21], s16, v[12:13]
	v_and_b32_e32 v22, s27, v20
	v_and_b32_e32 v21, 1, v22
	v_add_co_u32_e32 v23, vcc, -1, v21
	v_addc_co_u32_e64 v39, s[0:1], 0, -1, vcc
	v_cmp_ne_u32_e32 vcc, 0, v21
	v_lshl_add_u32 v20, v22, 4, v22
	v_xor_b32_e32 v21, vcc_hi, v39
	v_add_lshl_u32 v42, v27, v20, 2
	v_mov_b32_e32 v20, 0
	v_and_b32_e32 v39, exec_hi, v21
	v_lshlrev_b32_e32 v21, 30, v22
	v_xor_b32_e32 v23, vcc_lo, v23
	v_cmp_gt_i64_e32 vcc, 0, v[20:21]
	v_not_b32_e32 v21, v21
	v_ashrrev_i32_e32 v21, 31, v21
	v_and_b32_e32 v23, exec_lo, v23
	v_xor_b32_e32 v40, vcc_hi, v21
	v_xor_b32_e32 v21, vcc_lo, v21
	v_and_b32_e32 v23, v23, v21
	v_lshlrev_b32_e32 v21, 29, v22
	v_cmp_gt_i64_e32 vcc, 0, v[20:21]
	v_not_b32_e32 v21, v21
	v_ashrrev_i32_e32 v21, 31, v21
	v_and_b32_e32 v39, v39, v40
	v_xor_b32_e32 v40, vcc_hi, v21
	v_xor_b32_e32 v21, vcc_lo, v21
	v_and_b32_e32 v23, v23, v21
	v_lshlrev_b32_e32 v21, 28, v22
	v_cmp_gt_i64_e32 vcc, 0, v[20:21]
	v_not_b32_e32 v21, v21
	v_ashrrev_i32_e32 v21, 31, v21
	v_and_b32_e32 v39, v39, v40
	v_xor_b32_e32 v40, vcc_hi, v21
	v_xor_b32_e32 v21, vcc_lo, v21
	v_and_b32_e32 v23, v23, v21
	v_lshlrev_b32_e32 v21, 27, v22
	v_cmp_gt_i64_e32 vcc, 0, v[20:21]
	v_not_b32_e32 v21, v21
	v_ashrrev_i32_e32 v21, 31, v21
	v_and_b32_e32 v39, v39, v40
	v_xor_b32_e32 v40, vcc_hi, v21
	v_xor_b32_e32 v21, vcc_lo, v21
	v_and_b32_e32 v23, v23, v21
	v_lshlrev_b32_e32 v21, 26, v22
	v_cmp_gt_i64_e32 vcc, 0, v[20:21]
	v_not_b32_e32 v21, v21
	v_ashrrev_i32_e32 v21, 31, v21
	v_and_b32_e32 v39, v39, v40
	v_xor_b32_e32 v40, vcc_hi, v21
	v_xor_b32_e32 v21, vcc_lo, v21
	v_and_b32_e32 v23, v23, v21
	v_lshlrev_b32_e32 v21, 25, v22
	v_cmp_gt_i64_e32 vcc, 0, v[20:21]
	v_not_b32_e32 v21, v21
	v_ashrrev_i32_e32 v21, 31, v21
	v_and_b32_e32 v39, v39, v40
	v_xor_b32_e32 v40, vcc_hi, v21
	v_xor_b32_e32 v21, vcc_lo, v21
	v_and_b32_e32 v39, v39, v40
	v_and_b32_e32 v40, v23, v21
	v_lshlrev_b32_e32 v21, 24, v22
	v_cmp_gt_i64_e32 vcc, 0, v[20:21]
	v_not_b32_e32 v21, v21
	v_ashrrev_i32_e32 v21, 31, v21
	v_xor_b32_e32 v22, vcc_hi, v21
	v_xor_b32_e32 v21, vcc_lo, v21
	; wave barrier
	ds_read_b32 v37, v42 offset:64
	v_and_b32_e32 v23, v39, v22
	v_and_b32_e32 v22, v40, v21
	v_mbcnt_lo_u32_b32 v21, v22, 0
	v_mbcnt_hi_u32_b32 v39, v23, v21
	v_cmp_eq_u32_e32 vcc, 0, v39
	v_cmp_ne_u64_e64 s[0:1], 0, v[22:23]
	s_and_b64 s[2:3], s[0:1], vcc
	; wave barrier
	s_and_saveexec_b64 s[0:1], s[2:3]
	s_cbranch_execz .LBB2397_27
; %bb.26:
	v_bcnt_u32_b32 v21, v22, 0
	v_bcnt_u32_b32 v21, v23, v21
	s_waitcnt lgkmcnt(0)
	v_add_u32_e32 v21, v37, v21
	ds_write_b32 v42, v21 offset:64
.LBB2397_27:
	s_or_b64 exec, exec, s[0:1]
	v_xor_b32_e32 v17, 0x7fffffff, v17
	v_not_b32_e32 v16, v16
	v_lshrrev_b64 v[22:23], s16, v[16:17]
	v_and_b32_e32 v22, s27, v22
	v_lshl_add_u32 v21, v22, 4, v22
	v_add_lshl_u32 v45, v27, v21, 2
	v_and_b32_e32 v21, 1, v22
	v_add_co_u32_e32 v23, vcc, -1, v21
	v_addc_co_u32_e64 v41, s[0:1], 0, -1, vcc
	v_cmp_ne_u32_e32 vcc, 0, v21
	v_xor_b32_e32 v21, vcc_hi, v41
	v_and_b32_e32 v41, exec_hi, v21
	v_lshlrev_b32_e32 v21, 30, v22
	v_xor_b32_e32 v23, vcc_lo, v23
	v_cmp_gt_i64_e32 vcc, 0, v[20:21]
	v_not_b32_e32 v21, v21
	v_ashrrev_i32_e32 v21, 31, v21
	v_and_b32_e32 v23, exec_lo, v23
	v_xor_b32_e32 v43, vcc_hi, v21
	v_xor_b32_e32 v21, vcc_lo, v21
	v_and_b32_e32 v23, v23, v21
	v_lshlrev_b32_e32 v21, 29, v22
	v_cmp_gt_i64_e32 vcc, 0, v[20:21]
	v_not_b32_e32 v21, v21
	v_ashrrev_i32_e32 v21, 31, v21
	v_and_b32_e32 v41, v41, v43
	v_xor_b32_e32 v43, vcc_hi, v21
	v_xor_b32_e32 v21, vcc_lo, v21
	v_and_b32_e32 v23, v23, v21
	v_lshlrev_b32_e32 v21, 28, v22
	v_cmp_gt_i64_e32 vcc, 0, v[20:21]
	v_not_b32_e32 v21, v21
	v_ashrrev_i32_e32 v21, 31, v21
	v_and_b32_e32 v41, v41, v43
	;; [unrolled: 8-line block ×5, first 2 shown]
	v_xor_b32_e32 v43, vcc_hi, v21
	v_xor_b32_e32 v21, vcc_lo, v21
	v_and_b32_e32 v23, v23, v21
	v_lshlrev_b32_e32 v21, 24, v22
	v_cmp_gt_i64_e32 vcc, 0, v[20:21]
	v_not_b32_e32 v20, v21
	v_ashrrev_i32_e32 v20, 31, v20
	v_xor_b32_e32 v21, vcc_hi, v20
	v_xor_b32_e32 v20, vcc_lo, v20
	; wave barrier
	ds_read_b32 v40, v45 offset:64
	v_and_b32_e32 v41, v41, v43
	v_and_b32_e32 v20, v23, v20
	;; [unrolled: 1-line block ×3, first 2 shown]
	v_mbcnt_lo_u32_b32 v22, v20, 0
	v_mbcnt_hi_u32_b32 v41, v21, v22
	v_cmp_eq_u32_e32 vcc, 0, v41
	v_cmp_ne_u64_e64 s[0:1], 0, v[20:21]
	s_and_b64 s[2:3], s[0:1], vcc
	; wave barrier
	s_and_saveexec_b64 s[0:1], s[2:3]
	s_cbranch_execz .LBB2397_29
; %bb.28:
	v_bcnt_u32_b32 v20, v20, 0
	v_bcnt_u32_b32 v20, v21, v20
	s_waitcnt lgkmcnt(0)
	v_add_u32_e32 v20, v40, v20
	ds_write_b32 v45, v20 offset:64
.LBB2397_29:
	s_or_b64 exec, exec, s[0:1]
	v_xor_b32_e32 v21, 0x7fffffff, v19
	v_not_b32_e32 v20, v18
	v_lshrrev_b64 v[18:19], s16, v[20:21]
	v_and_b32_e32 v22, s27, v18
	v_and_b32_e32 v19, 1, v22
	v_add_co_u32_e32 v23, vcc, -1, v19
	v_addc_co_u32_e64 v44, s[0:1], 0, -1, vcc
	v_cmp_ne_u32_e32 vcc, 0, v19
	v_lshl_add_u32 v18, v22, 4, v22
	v_xor_b32_e32 v19, vcc_hi, v44
	v_add_lshl_u32 v47, v27, v18, 2
	v_mov_b32_e32 v18, 0
	v_and_b32_e32 v44, exec_hi, v19
	v_lshlrev_b32_e32 v19, 30, v22
	v_xor_b32_e32 v23, vcc_lo, v23
	v_cmp_gt_i64_e32 vcc, 0, v[18:19]
	v_not_b32_e32 v19, v19
	v_ashrrev_i32_e32 v19, 31, v19
	v_and_b32_e32 v23, exec_lo, v23
	v_xor_b32_e32 v46, vcc_hi, v19
	v_xor_b32_e32 v19, vcc_lo, v19
	v_and_b32_e32 v23, v23, v19
	v_lshlrev_b32_e32 v19, 29, v22
	v_cmp_gt_i64_e32 vcc, 0, v[18:19]
	v_not_b32_e32 v19, v19
	v_ashrrev_i32_e32 v19, 31, v19
	v_and_b32_e32 v44, v44, v46
	v_xor_b32_e32 v46, vcc_hi, v19
	v_xor_b32_e32 v19, vcc_lo, v19
	v_and_b32_e32 v23, v23, v19
	v_lshlrev_b32_e32 v19, 28, v22
	v_cmp_gt_i64_e32 vcc, 0, v[18:19]
	v_not_b32_e32 v19, v19
	v_ashrrev_i32_e32 v19, 31, v19
	v_and_b32_e32 v44, v44, v46
	;; [unrolled: 8-line block ×5, first 2 shown]
	v_xor_b32_e32 v46, vcc_hi, v19
	v_xor_b32_e32 v19, vcc_lo, v19
	v_and_b32_e32 v44, v44, v46
	v_and_b32_e32 v46, v23, v19
	v_lshlrev_b32_e32 v19, 24, v22
	v_cmp_gt_i64_e32 vcc, 0, v[18:19]
	v_not_b32_e32 v19, v19
	v_ashrrev_i32_e32 v19, 31, v19
	v_xor_b32_e32 v22, vcc_hi, v19
	v_xor_b32_e32 v19, vcc_lo, v19
	; wave barrier
	ds_read_b32 v43, v47 offset:64
	v_and_b32_e32 v23, v44, v22
	v_and_b32_e32 v22, v46, v19
	v_mbcnt_lo_u32_b32 v19, v22, 0
	v_mbcnt_hi_u32_b32 v44, v23, v19
	v_cmp_eq_u32_e32 vcc, 0, v44
	v_cmp_ne_u64_e64 s[0:1], 0, v[22:23]
	s_and_b64 s[2:3], s[0:1], vcc
	; wave barrier
	s_and_saveexec_b64 s[0:1], s[2:3]
	s_cbranch_execz .LBB2397_31
; %bb.30:
	v_bcnt_u32_b32 v19, v22, 0
	v_bcnt_u32_b32 v19, v23, v19
	s_waitcnt lgkmcnt(0)
	v_add_u32_e32 v19, v43, v19
	ds_write_b32 v47, v19 offset:64
.LBB2397_31:
	s_or_b64 exec, exec, s[0:1]
	v_xor_b32_e32 v15, 0x7fffffff, v15
	v_not_b32_e32 v14, v14
	v_lshrrev_b64 v[22:23], s16, v[14:15]
	v_and_b32_e32 v22, s27, v22
	v_lshl_add_u32 v19, v22, 4, v22
	v_add_lshl_u32 v27, v27, v19, 2
	v_and_b32_e32 v19, 1, v22
	v_add_co_u32_e32 v23, vcc, -1, v19
	v_addc_co_u32_e64 v48, s[0:1], 0, -1, vcc
	v_cmp_ne_u32_e32 vcc, 0, v19
	v_xor_b32_e32 v19, vcc_hi, v48
	v_and_b32_e32 v48, exec_hi, v19
	v_lshlrev_b32_e32 v19, 30, v22
	v_xor_b32_e32 v23, vcc_lo, v23
	v_cmp_gt_i64_e32 vcc, 0, v[18:19]
	v_not_b32_e32 v19, v19
	v_ashrrev_i32_e32 v19, 31, v19
	v_and_b32_e32 v23, exec_lo, v23
	v_xor_b32_e32 v50, vcc_hi, v19
	v_xor_b32_e32 v19, vcc_lo, v19
	v_and_b32_e32 v23, v23, v19
	v_lshlrev_b32_e32 v19, 29, v22
	v_cmp_gt_i64_e32 vcc, 0, v[18:19]
	v_not_b32_e32 v19, v19
	v_ashrrev_i32_e32 v19, 31, v19
	v_and_b32_e32 v48, v48, v50
	v_xor_b32_e32 v50, vcc_hi, v19
	v_xor_b32_e32 v19, vcc_lo, v19
	v_and_b32_e32 v23, v23, v19
	v_lshlrev_b32_e32 v19, 28, v22
	v_cmp_gt_i64_e32 vcc, 0, v[18:19]
	v_not_b32_e32 v19, v19
	v_ashrrev_i32_e32 v19, 31, v19
	v_and_b32_e32 v48, v48, v50
	;; [unrolled: 8-line block ×5, first 2 shown]
	v_xor_b32_e32 v50, vcc_hi, v19
	v_xor_b32_e32 v19, vcc_lo, v19
	v_and_b32_e32 v23, v23, v19
	v_lshlrev_b32_e32 v19, 24, v22
	v_cmp_gt_i64_e32 vcc, 0, v[18:19]
	v_not_b32_e32 v18, v19
	v_ashrrev_i32_e32 v18, 31, v18
	v_xor_b32_e32 v19, vcc_hi, v18
	v_xor_b32_e32 v18, vcc_lo, v18
	; wave barrier
	ds_read_b32 v46, v27 offset:64
	v_and_b32_e32 v48, v48, v50
	v_and_b32_e32 v18, v23, v18
	;; [unrolled: 1-line block ×3, first 2 shown]
	v_mbcnt_lo_u32_b32 v22, v18, 0
	v_mbcnt_hi_u32_b32 v48, v19, v22
	v_cmp_eq_u32_e32 vcc, 0, v48
	v_cmp_ne_u64_e64 s[0:1], 0, v[18:19]
	v_add_u32_e32 v49, 64, v3
	s_and_b64 s[2:3], s[0:1], vcc
	; wave barrier
	s_and_saveexec_b64 s[0:1], s[2:3]
	s_cbranch_execz .LBB2397_33
; %bb.32:
	v_bcnt_u32_b32 v18, v18, 0
	v_bcnt_u32_b32 v18, v19, v18
	s_waitcnt lgkmcnt(0)
	v_add_u32_e32 v18, v46, v18
	ds_write_b32 v27, v18 offset:64
.LBB2397_33:
	s_or_b64 exec, exec, s[0:1]
	; wave barrier
	s_waitcnt lgkmcnt(0)
	s_barrier
	ds_read2_b32 v[22:23], v3 offset0:16 offset1:17
	ds_read2_b32 v[18:19], v49 offset0:2 offset1:3
	ds_read_b32 v50, v49 offset:16
	v_cmp_lt_u32_e64 s[10:11], 31, v1
	s_waitcnt lgkmcnt(1)
	v_add3_u32 v51, v23, v22, v18
	s_waitcnt lgkmcnt(0)
	v_add3_u32 v50, v51, v19, v50
	v_and_b32_e32 v51, 15, v1
	v_cmp_eq_u32_e32 vcc, 0, v51
	v_mov_b32_dpp v52, v50 row_shr:1 row_mask:0xf bank_mask:0xf
	v_cndmask_b32_e64 v52, v52, 0, vcc
	v_add_u32_e32 v50, v52, v50
	v_cmp_lt_u32_e64 s[0:1], 1, v51
	v_cmp_lt_u32_e64 s[2:3], 3, v51
	v_mov_b32_dpp v52, v50 row_shr:2 row_mask:0xf bank_mask:0xf
	v_cndmask_b32_e64 v52, 0, v52, s[0:1]
	v_add_u32_e32 v50, v50, v52
	v_cmp_lt_u32_e64 s[8:9], 7, v51
	s_nop 0
	v_mov_b32_dpp v52, v50 row_shr:4 row_mask:0xf bank_mask:0xf
	v_cndmask_b32_e64 v52, 0, v52, s[2:3]
	v_add_u32_e32 v50, v50, v52
	s_nop 1
	v_mov_b32_dpp v52, v50 row_shr:8 row_mask:0xf bank_mask:0xf
	v_cndmask_b32_e64 v51, 0, v52, s[8:9]
	v_add_u32_e32 v50, v50, v51
	v_bfe_i32 v52, v1, 4, 1
	s_nop 0
	v_mov_b32_dpp v51, v50 row_bcast:15 row_mask:0xf bank_mask:0xf
	v_and_b32_e32 v51, v52, v51
	v_add_u32_e32 v50, v50, v51
	v_and_b32_e32 v52, 63, v2
	s_nop 0
	v_mov_b32_dpp v51, v50 row_bcast:31 row_mask:0xf bank_mask:0xf
	v_cndmask_b32_e64 v51, 0, v51, s[10:11]
	v_add_u32_e32 v50, v50, v51
	v_lshrrev_b32_e32 v51, 6, v2
	v_cmp_eq_u32_e64 s[10:11], 63, v52
	s_and_saveexec_b64 s[18:19], s[10:11]
	s_cbranch_execz .LBB2397_35
; %bb.34:
	v_lshlrev_b32_e32 v52, 2, v51
	ds_write_b32 v52, v50
.LBB2397_35:
	s_or_b64 exec, exec, s[18:19]
	v_cmp_gt_u32_e64 s[10:11], 16, v2
	s_waitcnt lgkmcnt(0)
	s_barrier
	s_and_saveexec_b64 s[18:19], s[10:11]
	s_cbranch_execz .LBB2397_37
; %bb.36:
	v_lshlrev_b32_e32 v52, 2, v2
	ds_read_b32 v53, v52
	s_waitcnt lgkmcnt(0)
	s_nop 0
	v_mov_b32_dpp v54, v53 row_shr:1 row_mask:0xf bank_mask:0xf
	v_cndmask_b32_e64 v54, v54, 0, vcc
	v_add_u32_e32 v53, v54, v53
	s_nop 1
	v_mov_b32_dpp v54, v53 row_shr:2 row_mask:0xf bank_mask:0xf
	v_cndmask_b32_e64 v54, 0, v54, s[0:1]
	v_add_u32_e32 v53, v53, v54
	s_nop 1
	v_mov_b32_dpp v54, v53 row_shr:4 row_mask:0xf bank_mask:0xf
	v_cndmask_b32_e64 v54, 0, v54, s[2:3]
	;; [unrolled: 4-line block ×3, first 2 shown]
	v_add_u32_e32 v53, v53, v54
	ds_write_b32 v52, v53
.LBB2397_37:
	s_or_b64 exec, exec, s[18:19]
	v_cmp_lt_u32_e32 vcc, 63, v2
	v_mov_b32_e32 v52, 0
	s_waitcnt lgkmcnt(0)
	s_barrier
	s_and_saveexec_b64 s[0:1], vcc
	s_cbranch_execz .LBB2397_39
; %bb.38:
	v_lshl_add_u32 v51, v51, 2, -4
	ds_read_b32 v52, v51
.LBB2397_39:
	s_or_b64 exec, exec, s[0:1]
	v_add_u32_e32 v51, -1, v1
	v_and_b32_e32 v53, 64, v1
	v_cmp_lt_i32_e32 vcc, v51, v53
	v_cndmask_b32_e32 v51, v51, v1, vcc
	s_waitcnt lgkmcnt(0)
	v_add_u32_e32 v50, v52, v50
	v_lshlrev_b32_e32 v51, 2, v51
	ds_bpermute_b32 v50, v51, v50
	v_cmp_eq_u32_e32 vcc, 0, v1
	s_movk_i32 s2, 0xff
	s_movk_i32 s0, 0x100
	v_cmp_gt_u32_e64 s[0:1], s0, v2
	s_waitcnt lgkmcnt(0)
	v_cndmask_b32_e32 v1, v50, v52, vcc
	v_cmp_ne_u32_e32 vcc, 0, v2
	v_cndmask_b32_e32 v1, 0, v1, vcc
	v_add_u32_e32 v22, v1, v22
	v_add_u32_e32 v23, v22, v23
	;; [unrolled: 1-line block ×4, first 2 shown]
	ds_write2_b32 v3, v1, v22 offset0:16 offset1:17
	ds_write2_b32 v49, v23, v18 offset0:2 offset1:3
	ds_write_b32 v49, v19 offset:16
	s_waitcnt lgkmcnt(0)
	s_barrier
	ds_read_b32 v51, v24 offset:64
	ds_read_b32 v1, v25 offset:64
	;; [unrolled: 1-line block ×8, first 2 shown]
	v_cmp_lt_u32_e32 vcc, s2, v2
	v_pk_mov_b32 v[18:19], 0, 0
                                        ; implicit-def: $vgpr38
	s_and_saveexec_b64 s[8:9], s[0:1]
	s_cbranch_execz .LBB2397_43
; %bb.40:
	v_mul_u32_u24_e32 v3, 17, v2
	v_lshlrev_b32_e32 v19, 2, v3
	ds_read_b32 v18, v19 offset:64
	v_cmp_ne_u32_e64 s[2:3], s2, v2
	v_mov_b32_e32 v3, 0x2000
	s_and_saveexec_b64 s[10:11], s[2:3]
	s_cbranch_execz .LBB2397_42
; %bb.41:
	ds_read_b32 v3, v19 offset:132
.LBB2397_42:
	s_or_b64 exec, exec, s[10:11]
	s_waitcnt lgkmcnt(0)
	v_sub_u32_e32 v38, v3, v18
	v_mov_b32_e32 v19, 0
.LBB2397_43:
	s_or_b64 exec, exec, s[8:9]
	s_waitcnt lgkmcnt(0)
	s_barrier
	s_and_saveexec_b64 s[2:3], vcc
	s_xor_b64 s[2:3], exec, s[2:3]
; %bb.44:
	v_mov_b32_e32 v3, 0
; %bb.45:
	s_andn2_saveexec_b64 s[2:3], s[2:3]
	s_cbranch_execz .LBB2397_55
; %bb.46:
	v_lshl_or_b32 v22, s6, 8, v2
	v_mov_b32_e32 v23, 0
	v_lshlrev_b64 v[24:25], 2, v[22:23]
	v_mov_b32_e32 v3, s25
	v_add_co_u32_e32 v24, vcc, s24, v24
	v_addc_co_u32_e32 v25, vcc, v3, v25, vcc
	v_or_b32_e32 v22, 2.0, v38
	s_mov_b64 s[8:9], 0
	s_brev_b32 s28, 1
	s_mov_b32 s29, s6
	v_mov_b32_e32 v53, 0
	global_store_dword v[24:25], v22, off
                                        ; implicit-def: $sgpr10_sgpr11
	s_branch .LBB2397_48
.LBB2397_47:                            ;   in Loop: Header=BB2397_48 Depth=1
	s_or_b64 exec, exec, s[10:11]
	v_and_b32_e32 v26, 0x3fffffff, v54
	v_add_u32_e32 v53, v26, v53
	v_cmp_eq_u32_e64 s[10:11], s28, v22
	s_and_b64 s[18:19], exec, s[10:11]
	s_or_b64 s[8:9], s[18:19], s[8:9]
	s_andn2_b64 exec, exec, s[8:9]
	s_cbranch_execz .LBB2397_54
.LBB2397_48:                            ; =>This Loop Header: Depth=1
                                        ;     Child Loop BB2397_51 Depth 2
	s_or_b64 s[10:11], s[10:11], exec
	s_cmp_eq_u32 s29, 0
	s_cbranch_scc1 .LBB2397_53
; %bb.49:                               ;   in Loop: Header=BB2397_48 Depth=1
	s_add_i32 s29, s29, -1
	v_lshl_or_b32 v22, s29, 8, v2
	v_lshlrev_b64 v[26:27], 2, v[22:23]
	v_add_co_u32_e32 v26, vcc, s24, v26
	v_addc_co_u32_e32 v27, vcc, v3, v27, vcc
	global_load_dword v54, v[26:27], off glc
	s_waitcnt vmcnt(0)
	v_and_b32_e32 v22, -2.0, v54
	v_cmp_eq_u32_e32 vcc, 0, v22
	s_and_saveexec_b64 s[10:11], vcc
	s_cbranch_execz .LBB2397_47
; %bb.50:                               ;   in Loop: Header=BB2397_48 Depth=1
	s_mov_b64 s[18:19], 0
.LBB2397_51:                            ;   Parent Loop BB2397_48 Depth=1
                                        ; =>  This Inner Loop Header: Depth=2
	global_load_dword v54, v[26:27], off glc
	s_waitcnt vmcnt(0)
	v_and_b32_e32 v22, -2.0, v54
	v_cmp_ne_u32_e32 vcc, 0, v22
	s_or_b64 s[18:19], vcc, s[18:19]
	s_andn2_b64 exec, exec, s[18:19]
	s_cbranch_execnz .LBB2397_51
; %bb.52:                               ;   in Loop: Header=BB2397_48 Depth=1
	s_or_b64 exec, exec, s[18:19]
	s_branch .LBB2397_47
.LBB2397_53:                            ;   in Loop: Header=BB2397_48 Depth=1
                                        ; implicit-def: $sgpr29
	s_and_b64 s[18:19], exec, s[10:11]
	s_or_b64 s[8:9], s[18:19], s[8:9]
	s_andn2_b64 exec, exec, s[8:9]
	s_cbranch_execnz .LBB2397_48
.LBB2397_54:
	s_or_b64 exec, exec, s[8:9]
	v_add_u32_e32 v3, v53, v38
	v_or_b32_e32 v3, 0x80000000, v3
	global_store_dword v[24:25], v3, off
	global_load_dwordx2 v[22:23], v29, s[12:13]
	v_sub_co_u32_e32 v24, vcc, v53, v18
	v_subb_co_u32_e32 v25, vcc, 0, v19, vcc
	v_mov_b32_e32 v3, 0
	s_waitcnt vmcnt(0)
	v_add_co_u32_e32 v22, vcc, v24, v22
	v_addc_co_u32_e32 v23, vcc, v25, v23, vcc
	ds_write_b64 v29, v[22:23]
.LBB2397_55:
	s_or_b64 exec, exec, s[2:3]
	v_add_u32_e32 v23, v51, v30
	v_add3_u32 v30, v39, v42, v37
	v_add3_u32 v35, v36, v50, v35
	v_lshlrev_b64 v[36:37], 3, v[2:3]
	v_add3_u32 v31, v32, v1, v31
	v_mov_b32_e32 v1, s23
	v_add_co_u32_e32 v22, vcc, s22, v36
	v_add_u32_e32 v24, 0x800, v29
	v_add3_u32 v25, v48, v52, v46
	v_add3_u32 v26, v44, v47, v43
	v_add3_u32 v27, v41, v45, v40
	v_add3_u32 v33, v34, v49, v33
	v_addc_co_u32_e32 v1, vcc, v1, v37, vcc
	s_mov_b32 s8, 0
	v_mov_b32_e32 v32, v2
	s_branch .LBB2397_57
.LBB2397_56:                            ;   in Loop: Header=BB2397_57 Depth=1
	s_or_b64 exec, exec, s[2:3]
	s_addk_i32 s8, 0xf800
	v_add_co_u32_e32 v22, vcc, 0x4000, v22
	v_addc_co_u32_e32 v1, vcc, 0, v1, vcc
	s_cmpk_eq_i32 s8, 0xe000
	v_add_u32_e32 v32, 0x800, v32
	s_barrier
	s_cbranch_scc1 .LBB2397_62
.LBB2397_57:                            ; =>This Inner Loop Header: Depth=1
	v_add_u32_e32 v34, s8, v23
	v_min_u32_e32 v34, 0x800, v34
	v_lshlrev_b32_e32 v34, 3, v34
	ds_write_b64 v34, v[4:5] offset:2048
	v_add_u32_e32 v34, s8, v31
	v_min_u32_e32 v34, 0x800, v34
	v_lshlrev_b32_e32 v34, 3, v34
	ds_write_b64 v34, v[6:7] offset:2048
	;; [unrolled: 4-line block ×7, first 2 shown]
	v_add_u32_e32 v34, s8, v25
	v_min_u32_e32 v34, 0x800, v34
	v_lshlrev_b32_e32 v34, 3, v34
	v_cmp_gt_u32_e32 vcc, s7, v32
	ds_write_b64 v34, v[14:15] offset:2048
	s_waitcnt lgkmcnt(0)
	s_barrier
	s_and_saveexec_b64 s[2:3], vcc
	s_cbranch_execz .LBB2397_59
; %bb.58:                               ;   in Loop: Header=BB2397_57 Depth=1
	ds_read_b64 v[36:37], v29 offset:2048
	s_waitcnt lgkmcnt(0)
	v_lshrrev_b64 v[40:41], s16, v[36:37]
	v_and_b32_e32 v34, s27, v40
	v_lshlrev_b32_e32 v34, 3, v34
	ds_read_b64 v[40:41], v34
	v_xor_b32_e32 v37, 0x7fffffff, v37
	v_not_b32_e32 v36, v36
	s_waitcnt lgkmcnt(0)
	v_lshlrev_b64 v[40:41], 3, v[40:41]
	v_add_co_u32_e32 v40, vcc, v22, v40
	v_addc_co_u32_e32 v41, vcc, v1, v41, vcc
	global_store_dwordx2 v[40:41], v[36:37], off
.LBB2397_59:                            ;   in Loop: Header=BB2397_57 Depth=1
	s_or_b64 exec, exec, s[2:3]
	v_add_u32_e32 v34, 0x400, v32
	v_cmp_gt_u32_e32 vcc, s7, v34
	s_and_saveexec_b64 s[2:3], vcc
	s_cbranch_execz .LBB2397_56
; %bb.60:                               ;   in Loop: Header=BB2397_57 Depth=1
	ds_read_b64 v[36:37], v24 offset:8192
	s_waitcnt lgkmcnt(0)
	v_lshrrev_b64 v[40:41], s16, v[36:37]
	v_and_b32_e32 v34, s27, v40
	v_lshlrev_b32_e32 v34, 3, v34
	ds_read_b64 v[40:41], v34
	v_xor_b32_e32 v37, 0x7fffffff, v37
	v_not_b32_e32 v36, v36
	s_waitcnt lgkmcnt(0)
	v_lshlrev_b64 v[40:41], 3, v[40:41]
	v_add_co_u32_e32 v34, vcc, v22, v40
	v_addc_co_u32_e32 v39, vcc, v1, v41, vcc
	v_add_co_u32_e32 v40, vcc, 0x2000, v34
	v_addc_co_u32_e32 v41, vcc, 0, v39, vcc
	global_store_dwordx2 v[40:41], v[36:37], off
	s_branch .LBB2397_56
.LBB2397_61:
	s_mov_b64 s[0:1], 0
                                        ; implicit-def: $vgpr2
                                        ; implicit-def: $vgpr18_vgpr19
                                        ; implicit-def: $vgpr38
	s_cbranch_execnz .LBB2397_63
	s_branch .LBB2397_104
.LBB2397_62:
	s_add_i32 s26, s26, -1
	s_cmp_eq_u32 s26, s6
	s_cselect_b64 s[2:3], -1, 0
	s_and_b64 s[0:1], s[0:1], s[2:3]
	s_branch .LBB2397_104
.LBB2397_63:
	s_lshl_b32 s0, s6, 13
	s_mov_b32 s1, 0
	v_mbcnt_hi_u32_b32 v3, -1, v28
	s_lshl_b64 s[0:1], s[0:1], 3
	v_and_b32_e32 v1, 63, v3
	s_add_u32 s0, s20, s0
	v_lshlrev_b32_e32 v1, 3, v1
	v_add_co_u32_e32 v1, vcc, s0, v1
	s_load_dword s7, s[4:5], 0x58
	s_load_dword s0, s[4:5], 0x64
	v_and_b32_e32 v2, 0x3ff, v0
	s_addc_u32 s1, s21, s1
	v_mov_b32_e32 v4, s1
	v_lshlrev_b32_e32 v5, 6, v2
	v_addc_co_u32_e32 v4, vcc, 0, v4, vcc
	v_and_b32_e32 v5, 0xf000, v5
	s_add_u32 s1, s4, 0x58
	v_add_co_u32_e32 v20, vcc, v1, v5
	s_addc_u32 s2, s5, 0
	s_waitcnt lgkmcnt(0)
	s_lshr_b32 s3, s0, 16
	v_addc_co_u32_e32 v21, vcc, 0, v4, vcc
	s_cmp_lt_u32 s6, s7
	global_load_dwordx2 v[24:25], v[20:21], off
	s_cselect_b32 s0, 12, 18
	s_add_u32 s0, s1, s0
	v_mov_b32_e32 v6, 0
	s_addc_u32 s1, s2, 0
	global_load_ushort v7, v6, s[0:1]
	v_mul_u32_u24_e32 v4, 5, v2
	v_lshlrev_b32_e32 v22, 2, v4
	ds_write2_b32 v22, v6, v6 offset0:16 offset1:17
	ds_write2_b32 v22, v6, v6 offset0:18 offset1:19
	ds_write_b32 v22, v6 offset:80
	global_load_dwordx2 v[4:5], v[20:21], off offset:512
	global_load_dwordx2 v[18:19], v[20:21], off offset:1024
	global_load_dwordx2 v[8:9], v[20:21], off offset:1536
	global_load_dwordx2 v[10:11], v[20:21], off offset:2048
	global_load_dwordx2 v[14:15], v[20:21], off offset:2560
	global_load_dwordx2 v[16:17], v[20:21], off offset:3072
	global_load_dwordx2 v[12:13], v[20:21], off offset:3584
	v_bfe_u32 v1, v0, 10, 10
	v_bfe_u32 v0, v0, 20, 10
	v_mad_u32_u24 v23, v0, s3, v1
	s_lshl_b32 s0, -1, s17
	s_not_b32 s17, s0
	s_waitcnt lgkmcnt(0)
	s_barrier
	s_waitcnt lgkmcnt(0)
	; wave barrier
	s_waitcnt vmcnt(8)
	v_xor_b32_e32 v1, 0x7fffffff, v25
	v_not_b32_e32 v0, v24
	v_lshrrev_b64 v[20:21], s16, v[0:1]
	v_and_b32_e32 v24, s17, v20
	s_waitcnt vmcnt(7)
	v_mad_u64_u32 v[20:21], s[0:1], v23, v7, v[2:3]
	v_and_b32_e32 v23, 1, v24
	v_lshrrev_b32_e32 v25, 6, v20
	v_add_co_u32_e32 v20, vcc, -1, v23
	v_lshlrev_b32_e32 v7, 30, v24
	v_addc_co_u32_e64 v26, s[0:1], 0, -1, vcc
	v_lshl_add_u32 v21, v24, 4, v24
	v_cmp_ne_u32_e32 vcc, 0, v23
	v_cmp_gt_i64_e64 s[0:1], 0, v[6:7]
	v_not_b32_e32 v27, v7
	v_lshlrev_b32_e32 v7, 29, v24
	v_add_lshl_u32 v23, v25, v21, 2
	v_xor_b32_e32 v21, vcc_hi, v26
	v_xor_b32_e32 v20, vcc_lo, v20
	v_ashrrev_i32_e32 v26, 31, v27
	v_cmp_gt_i64_e32 vcc, 0, v[6:7]
	v_not_b32_e32 v27, v7
	v_lshlrev_b32_e32 v7, 28, v24
	v_and_b32_e32 v21, exec_hi, v21
	v_and_b32_e32 v20, exec_lo, v20
	v_xor_b32_e32 v28, s1, v26
	v_xor_b32_e32 v26, s0, v26
	v_ashrrev_i32_e32 v27, 31, v27
	v_cmp_gt_i64_e64 s[0:1], 0, v[6:7]
	v_not_b32_e32 v29, v7
	v_lshlrev_b32_e32 v7, 27, v24
	v_and_b32_e32 v21, v21, v28
	v_and_b32_e32 v20, v20, v26
	v_xor_b32_e32 v26, vcc_hi, v27
	v_xor_b32_e32 v27, vcc_lo, v27
	v_ashrrev_i32_e32 v28, 31, v29
	v_cmp_gt_i64_e32 vcc, 0, v[6:7]
	v_not_b32_e32 v7, v7
	v_and_b32_e32 v21, v21, v26
	v_and_b32_e32 v20, v20, v27
	v_xor_b32_e32 v26, s1, v28
	v_xor_b32_e32 v27, s0, v28
	v_ashrrev_i32_e32 v7, 31, v7
	v_and_b32_e32 v21, v21, v26
	v_and_b32_e32 v20, v20, v27
	v_xor_b32_e32 v26, vcc_hi, v7
	v_xor_b32_e32 v7, vcc_lo, v7
	v_and_b32_e32 v20, v20, v7
	v_lshlrev_b32_e32 v7, 26, v24
	v_cmp_gt_i64_e32 vcc, 0, v[6:7]
	v_not_b32_e32 v7, v7
	v_ashrrev_i32_e32 v7, 31, v7
	v_and_b32_e32 v21, v21, v26
	v_xor_b32_e32 v26, vcc_hi, v7
	v_xor_b32_e32 v7, vcc_lo, v7
	v_and_b32_e32 v20, v20, v7
	v_lshlrev_b32_e32 v7, 25, v24
	v_cmp_gt_i64_e32 vcc, 0, v[6:7]
	v_not_b32_e32 v7, v7
	v_ashrrev_i32_e32 v7, 31, v7
	;; [unrolled: 8-line block ×3, first 2 shown]
	v_xor_b32_e32 v24, vcc_hi, v7
	v_xor_b32_e32 v7, vcc_lo, v7
	v_and_b32_e32 v21, v21, v26
	v_and_b32_e32 v20, v20, v7
	;; [unrolled: 1-line block ×3, first 2 shown]
	v_mbcnt_lo_u32_b32 v7, v20, 0
	v_mbcnt_hi_u32_b32 v26, v21, v7
	v_cmp_eq_u32_e32 vcc, 0, v26
	v_cmp_ne_u64_e64 s[0:1], 0, v[20:21]
	s_and_b64 s[2:3], s[0:1], vcc
	s_and_saveexec_b64 s[0:1], s[2:3]
	s_cbranch_execz .LBB2397_65
; %bb.64:
	v_bcnt_u32_b32 v7, v20, 0
	v_bcnt_u32_b32 v7, v21, v7
	ds_write_b32 v23, v7 offset:64
.LBB2397_65:
	s_or_b64 exec, exec, s[0:1]
	s_waitcnt vmcnt(6)
	v_xor_b32_e32 v5, 0x7fffffff, v5
	v_not_b32_e32 v4, v4
	v_lshrrev_b64 v[20:21], s16, v[4:5]
	v_and_b32_e32 v20, s17, v20
	v_lshl_add_u32 v7, v20, 4, v20
	v_add_lshl_u32 v24, v25, v7, 2
	v_and_b32_e32 v7, 1, v20
	v_add_co_u32_e32 v21, vcc, -1, v7
	v_addc_co_u32_e64 v28, s[0:1], 0, -1, vcc
	v_cmp_ne_u32_e32 vcc, 0, v7
	v_xor_b32_e32 v7, vcc_hi, v28
	v_and_b32_e32 v28, exec_hi, v7
	v_lshlrev_b32_e32 v7, 30, v20
	v_xor_b32_e32 v21, vcc_lo, v21
	v_cmp_gt_i64_e32 vcc, 0, v[6:7]
	v_not_b32_e32 v7, v7
	v_ashrrev_i32_e32 v7, 31, v7
	v_and_b32_e32 v21, exec_lo, v21
	v_xor_b32_e32 v29, vcc_hi, v7
	v_xor_b32_e32 v7, vcc_lo, v7
	v_and_b32_e32 v21, v21, v7
	v_lshlrev_b32_e32 v7, 29, v20
	v_cmp_gt_i64_e32 vcc, 0, v[6:7]
	v_not_b32_e32 v7, v7
	v_ashrrev_i32_e32 v7, 31, v7
	v_and_b32_e32 v28, v28, v29
	v_xor_b32_e32 v29, vcc_hi, v7
	v_xor_b32_e32 v7, vcc_lo, v7
	v_and_b32_e32 v21, v21, v7
	v_lshlrev_b32_e32 v7, 28, v20
	v_cmp_gt_i64_e32 vcc, 0, v[6:7]
	v_not_b32_e32 v7, v7
	v_ashrrev_i32_e32 v7, 31, v7
	v_and_b32_e32 v28, v28, v29
	;; [unrolled: 8-line block ×5, first 2 shown]
	v_xor_b32_e32 v29, vcc_hi, v7
	v_xor_b32_e32 v7, vcc_lo, v7
	v_and_b32_e32 v21, v21, v7
	v_lshlrev_b32_e32 v7, 24, v20
	v_cmp_gt_i64_e32 vcc, 0, v[6:7]
	v_not_b32_e32 v6, v7
	v_ashrrev_i32_e32 v6, 31, v6
	v_xor_b32_e32 v7, vcc_hi, v6
	v_xor_b32_e32 v6, vcc_lo, v6
	; wave barrier
	ds_read_b32 v27, v24 offset:64
	v_and_b32_e32 v28, v28, v29
	v_and_b32_e32 v6, v21, v6
	;; [unrolled: 1-line block ×3, first 2 shown]
	v_mbcnt_lo_u32_b32 v20, v6, 0
	v_mbcnt_hi_u32_b32 v28, v7, v20
	v_cmp_eq_u32_e32 vcc, 0, v28
	v_cmp_ne_u64_e64 s[0:1], 0, v[6:7]
	s_and_b64 s[2:3], s[0:1], vcc
	; wave barrier
	s_and_saveexec_b64 s[0:1], s[2:3]
	s_cbranch_execz .LBB2397_67
; %bb.66:
	v_bcnt_u32_b32 v6, v6, 0
	v_bcnt_u32_b32 v6, v7, v6
	s_waitcnt lgkmcnt(0)
	v_add_u32_e32 v6, v27, v6
	ds_write_b32 v24, v6 offset:64
.LBB2397_67:
	s_or_b64 exec, exec, s[0:1]
	s_waitcnt vmcnt(5)
	v_xor_b32_e32 v7, 0x7fffffff, v19
	v_not_b32_e32 v6, v18
	v_lshrrev_b64 v[18:19], s16, v[6:7]
	v_and_b32_e32 v20, s17, v18
	v_and_b32_e32 v19, 1, v20
	v_add_co_u32_e32 v21, vcc, -1, v19
	v_addc_co_u32_e64 v30, s[0:1], 0, -1, vcc
	v_cmp_ne_u32_e32 vcc, 0, v19
	v_lshl_add_u32 v18, v20, 4, v20
	v_xor_b32_e32 v19, vcc_hi, v30
	v_add_lshl_u32 v33, v25, v18, 2
	v_mov_b32_e32 v18, 0
	v_and_b32_e32 v30, exec_hi, v19
	v_lshlrev_b32_e32 v19, 30, v20
	v_xor_b32_e32 v21, vcc_lo, v21
	v_cmp_gt_i64_e32 vcc, 0, v[18:19]
	v_not_b32_e32 v19, v19
	v_ashrrev_i32_e32 v19, 31, v19
	v_and_b32_e32 v21, exec_lo, v21
	v_xor_b32_e32 v31, vcc_hi, v19
	v_xor_b32_e32 v19, vcc_lo, v19
	v_and_b32_e32 v21, v21, v19
	v_lshlrev_b32_e32 v19, 29, v20
	v_cmp_gt_i64_e32 vcc, 0, v[18:19]
	v_not_b32_e32 v19, v19
	v_ashrrev_i32_e32 v19, 31, v19
	v_and_b32_e32 v30, v30, v31
	v_xor_b32_e32 v31, vcc_hi, v19
	v_xor_b32_e32 v19, vcc_lo, v19
	v_and_b32_e32 v21, v21, v19
	v_lshlrev_b32_e32 v19, 28, v20
	v_cmp_gt_i64_e32 vcc, 0, v[18:19]
	v_not_b32_e32 v19, v19
	v_ashrrev_i32_e32 v19, 31, v19
	v_and_b32_e32 v30, v30, v31
	;; [unrolled: 8-line block ×5, first 2 shown]
	v_xor_b32_e32 v31, vcc_hi, v19
	v_xor_b32_e32 v19, vcc_lo, v19
	v_and_b32_e32 v30, v30, v31
	v_and_b32_e32 v31, v21, v19
	v_lshlrev_b32_e32 v19, 24, v20
	v_cmp_gt_i64_e32 vcc, 0, v[18:19]
	v_not_b32_e32 v19, v19
	v_ashrrev_i32_e32 v19, 31, v19
	v_xor_b32_e32 v20, vcc_hi, v19
	v_xor_b32_e32 v19, vcc_lo, v19
	; wave barrier
	ds_read_b32 v29, v33 offset:64
	v_and_b32_e32 v21, v30, v20
	v_and_b32_e32 v20, v31, v19
	v_mbcnt_lo_u32_b32 v19, v20, 0
	v_mbcnt_hi_u32_b32 v30, v21, v19
	v_cmp_eq_u32_e32 vcc, 0, v30
	v_cmp_ne_u64_e64 s[0:1], 0, v[20:21]
	s_and_b64 s[2:3], s[0:1], vcc
	; wave barrier
	s_and_saveexec_b64 s[0:1], s[2:3]
	s_cbranch_execz .LBB2397_69
; %bb.68:
	v_bcnt_u32_b32 v19, v20, 0
	v_bcnt_u32_b32 v19, v21, v19
	s_waitcnt lgkmcnt(0)
	v_add_u32_e32 v19, v29, v19
	ds_write_b32 v33, v19 offset:64
.LBB2397_69:
	s_or_b64 exec, exec, s[0:1]
	s_waitcnt vmcnt(4)
	v_xor_b32_e32 v9, 0x7fffffff, v9
	v_not_b32_e32 v8, v8
	v_lshrrev_b64 v[20:21], s16, v[8:9]
	v_and_b32_e32 v20, s17, v20
	v_lshl_add_u32 v19, v20, 4, v20
	v_add_lshl_u32 v36, v25, v19, 2
	v_and_b32_e32 v19, 1, v20
	v_add_co_u32_e32 v21, vcc, -1, v19
	v_addc_co_u32_e64 v32, s[0:1], 0, -1, vcc
	v_cmp_ne_u32_e32 vcc, 0, v19
	v_xor_b32_e32 v19, vcc_hi, v32
	v_and_b32_e32 v32, exec_hi, v19
	v_lshlrev_b32_e32 v19, 30, v20
	v_xor_b32_e32 v21, vcc_lo, v21
	v_cmp_gt_i64_e32 vcc, 0, v[18:19]
	v_not_b32_e32 v19, v19
	v_ashrrev_i32_e32 v19, 31, v19
	v_and_b32_e32 v21, exec_lo, v21
	v_xor_b32_e32 v34, vcc_hi, v19
	v_xor_b32_e32 v19, vcc_lo, v19
	v_and_b32_e32 v21, v21, v19
	v_lshlrev_b32_e32 v19, 29, v20
	v_cmp_gt_i64_e32 vcc, 0, v[18:19]
	v_not_b32_e32 v19, v19
	v_ashrrev_i32_e32 v19, 31, v19
	v_and_b32_e32 v32, v32, v34
	v_xor_b32_e32 v34, vcc_hi, v19
	v_xor_b32_e32 v19, vcc_lo, v19
	v_and_b32_e32 v21, v21, v19
	v_lshlrev_b32_e32 v19, 28, v20
	v_cmp_gt_i64_e32 vcc, 0, v[18:19]
	v_not_b32_e32 v19, v19
	v_ashrrev_i32_e32 v19, 31, v19
	v_and_b32_e32 v32, v32, v34
	;; [unrolled: 8-line block ×5, first 2 shown]
	v_xor_b32_e32 v34, vcc_hi, v19
	v_xor_b32_e32 v19, vcc_lo, v19
	v_and_b32_e32 v21, v21, v19
	v_lshlrev_b32_e32 v19, 24, v20
	v_cmp_gt_i64_e32 vcc, 0, v[18:19]
	v_not_b32_e32 v18, v19
	v_ashrrev_i32_e32 v18, 31, v18
	v_xor_b32_e32 v19, vcc_hi, v18
	v_xor_b32_e32 v18, vcc_lo, v18
	; wave barrier
	ds_read_b32 v31, v36 offset:64
	v_and_b32_e32 v32, v32, v34
	v_and_b32_e32 v18, v21, v18
	;; [unrolled: 1-line block ×3, first 2 shown]
	v_mbcnt_lo_u32_b32 v20, v18, 0
	v_mbcnt_hi_u32_b32 v32, v19, v20
	v_cmp_eq_u32_e32 vcc, 0, v32
	v_cmp_ne_u64_e64 s[0:1], 0, v[18:19]
	s_and_b64 s[2:3], s[0:1], vcc
	; wave barrier
	s_and_saveexec_b64 s[0:1], s[2:3]
	s_cbranch_execz .LBB2397_71
; %bb.70:
	v_bcnt_u32_b32 v18, v18, 0
	v_bcnt_u32_b32 v18, v19, v18
	s_waitcnt lgkmcnt(0)
	v_add_u32_e32 v18, v31, v18
	ds_write_b32 v36, v18 offset:64
.LBB2397_71:
	s_or_b64 exec, exec, s[0:1]
	s_waitcnt vmcnt(3)
	v_xor_b32_e32 v11, 0x7fffffff, v11
	v_not_b32_e32 v10, v10
	v_lshrrev_b64 v[18:19], s16, v[10:11]
	v_and_b32_e32 v20, s17, v18
	v_and_b32_e32 v19, 1, v20
	v_add_co_u32_e32 v21, vcc, -1, v19
	v_addc_co_u32_e64 v35, s[0:1], 0, -1, vcc
	v_cmp_ne_u32_e32 vcc, 0, v19
	v_lshl_add_u32 v18, v20, 4, v20
	v_xor_b32_e32 v19, vcc_hi, v35
	v_add_lshl_u32 v38, v25, v18, 2
	v_mov_b32_e32 v18, 0
	v_and_b32_e32 v35, exec_hi, v19
	v_lshlrev_b32_e32 v19, 30, v20
	v_xor_b32_e32 v21, vcc_lo, v21
	v_cmp_gt_i64_e32 vcc, 0, v[18:19]
	v_not_b32_e32 v19, v19
	v_ashrrev_i32_e32 v19, 31, v19
	v_and_b32_e32 v21, exec_lo, v21
	v_xor_b32_e32 v37, vcc_hi, v19
	v_xor_b32_e32 v19, vcc_lo, v19
	v_and_b32_e32 v21, v21, v19
	v_lshlrev_b32_e32 v19, 29, v20
	v_cmp_gt_i64_e32 vcc, 0, v[18:19]
	v_not_b32_e32 v19, v19
	v_ashrrev_i32_e32 v19, 31, v19
	v_and_b32_e32 v35, v35, v37
	v_xor_b32_e32 v37, vcc_hi, v19
	v_xor_b32_e32 v19, vcc_lo, v19
	v_and_b32_e32 v21, v21, v19
	v_lshlrev_b32_e32 v19, 28, v20
	v_cmp_gt_i64_e32 vcc, 0, v[18:19]
	v_not_b32_e32 v19, v19
	v_ashrrev_i32_e32 v19, 31, v19
	v_and_b32_e32 v35, v35, v37
	;; [unrolled: 8-line block ×5, first 2 shown]
	v_xor_b32_e32 v37, vcc_hi, v19
	v_xor_b32_e32 v19, vcc_lo, v19
	v_and_b32_e32 v35, v35, v37
	v_and_b32_e32 v37, v21, v19
	v_lshlrev_b32_e32 v19, 24, v20
	v_cmp_gt_i64_e32 vcc, 0, v[18:19]
	v_not_b32_e32 v19, v19
	v_ashrrev_i32_e32 v19, 31, v19
	v_xor_b32_e32 v20, vcc_hi, v19
	v_xor_b32_e32 v19, vcc_lo, v19
	; wave barrier
	ds_read_b32 v34, v38 offset:64
	v_and_b32_e32 v21, v35, v20
	v_and_b32_e32 v20, v37, v19
	v_mbcnt_lo_u32_b32 v19, v20, 0
	v_mbcnt_hi_u32_b32 v35, v21, v19
	v_cmp_eq_u32_e32 vcc, 0, v35
	v_cmp_ne_u64_e64 s[0:1], 0, v[20:21]
	s_and_b64 s[2:3], s[0:1], vcc
	; wave barrier
	s_and_saveexec_b64 s[0:1], s[2:3]
	s_cbranch_execz .LBB2397_73
; %bb.72:
	v_bcnt_u32_b32 v19, v20, 0
	v_bcnt_u32_b32 v19, v21, v19
	s_waitcnt lgkmcnt(0)
	v_add_u32_e32 v19, v34, v19
	ds_write_b32 v38, v19 offset:64
.LBB2397_73:
	s_or_b64 exec, exec, s[0:1]
	s_waitcnt vmcnt(2)
	v_xor_b32_e32 v15, 0x7fffffff, v15
	v_not_b32_e32 v14, v14
	v_lshrrev_b64 v[20:21], s16, v[14:15]
	v_and_b32_e32 v20, s17, v20
	v_lshl_add_u32 v19, v20, 4, v20
	v_add_lshl_u32 v42, v25, v19, 2
	v_and_b32_e32 v19, 1, v20
	v_add_co_u32_e32 v21, vcc, -1, v19
	v_addc_co_u32_e64 v39, s[0:1], 0, -1, vcc
	v_cmp_ne_u32_e32 vcc, 0, v19
	v_xor_b32_e32 v19, vcc_hi, v39
	v_and_b32_e32 v39, exec_hi, v19
	v_lshlrev_b32_e32 v19, 30, v20
	v_xor_b32_e32 v21, vcc_lo, v21
	v_cmp_gt_i64_e32 vcc, 0, v[18:19]
	v_not_b32_e32 v19, v19
	v_ashrrev_i32_e32 v19, 31, v19
	v_and_b32_e32 v21, exec_lo, v21
	v_xor_b32_e32 v40, vcc_hi, v19
	v_xor_b32_e32 v19, vcc_lo, v19
	v_and_b32_e32 v21, v21, v19
	v_lshlrev_b32_e32 v19, 29, v20
	v_cmp_gt_i64_e32 vcc, 0, v[18:19]
	v_not_b32_e32 v19, v19
	v_ashrrev_i32_e32 v19, 31, v19
	v_and_b32_e32 v39, v39, v40
	v_xor_b32_e32 v40, vcc_hi, v19
	v_xor_b32_e32 v19, vcc_lo, v19
	v_and_b32_e32 v21, v21, v19
	v_lshlrev_b32_e32 v19, 28, v20
	v_cmp_gt_i64_e32 vcc, 0, v[18:19]
	v_not_b32_e32 v19, v19
	v_ashrrev_i32_e32 v19, 31, v19
	v_and_b32_e32 v39, v39, v40
	;; [unrolled: 8-line block ×5, first 2 shown]
	v_xor_b32_e32 v40, vcc_hi, v19
	v_xor_b32_e32 v19, vcc_lo, v19
	v_and_b32_e32 v21, v21, v19
	v_lshlrev_b32_e32 v19, 24, v20
	v_cmp_gt_i64_e32 vcc, 0, v[18:19]
	v_not_b32_e32 v18, v19
	v_ashrrev_i32_e32 v18, 31, v18
	v_xor_b32_e32 v19, vcc_hi, v18
	v_xor_b32_e32 v18, vcc_lo, v18
	; wave barrier
	ds_read_b32 v37, v42 offset:64
	v_and_b32_e32 v39, v39, v40
	v_and_b32_e32 v18, v21, v18
	;; [unrolled: 1-line block ×3, first 2 shown]
	v_mbcnt_lo_u32_b32 v20, v18, 0
	v_mbcnt_hi_u32_b32 v39, v19, v20
	v_cmp_eq_u32_e32 vcc, 0, v39
	v_cmp_ne_u64_e64 s[0:1], 0, v[18:19]
	s_and_b64 s[2:3], s[0:1], vcc
	; wave barrier
	s_and_saveexec_b64 s[0:1], s[2:3]
	s_cbranch_execz .LBB2397_75
; %bb.74:
	v_bcnt_u32_b32 v18, v18, 0
	v_bcnt_u32_b32 v18, v19, v18
	s_waitcnt lgkmcnt(0)
	v_add_u32_e32 v18, v37, v18
	ds_write_b32 v42, v18 offset:64
.LBB2397_75:
	s_or_b64 exec, exec, s[0:1]
	s_waitcnt vmcnt(1)
	v_xor_b32_e32 v17, 0x7fffffff, v17
	v_not_b32_e32 v16, v16
	v_lshrrev_b64 v[18:19], s16, v[16:17]
	v_and_b32_e32 v20, s17, v18
	v_and_b32_e32 v19, 1, v20
	v_add_co_u32_e32 v21, vcc, -1, v19
	v_addc_co_u32_e64 v41, s[0:1], 0, -1, vcc
	v_cmp_ne_u32_e32 vcc, 0, v19
	v_lshl_add_u32 v18, v20, 4, v20
	v_xor_b32_e32 v19, vcc_hi, v41
	v_add_lshl_u32 v44, v25, v18, 2
	v_mov_b32_e32 v18, 0
	v_and_b32_e32 v41, exec_hi, v19
	v_lshlrev_b32_e32 v19, 30, v20
	v_xor_b32_e32 v21, vcc_lo, v21
	v_cmp_gt_i64_e32 vcc, 0, v[18:19]
	v_not_b32_e32 v19, v19
	v_ashrrev_i32_e32 v19, 31, v19
	v_and_b32_e32 v21, exec_lo, v21
	v_xor_b32_e32 v43, vcc_hi, v19
	v_xor_b32_e32 v19, vcc_lo, v19
	v_and_b32_e32 v21, v21, v19
	v_lshlrev_b32_e32 v19, 29, v20
	v_cmp_gt_i64_e32 vcc, 0, v[18:19]
	v_not_b32_e32 v19, v19
	v_ashrrev_i32_e32 v19, 31, v19
	v_and_b32_e32 v41, v41, v43
	v_xor_b32_e32 v43, vcc_hi, v19
	v_xor_b32_e32 v19, vcc_lo, v19
	v_and_b32_e32 v21, v21, v19
	v_lshlrev_b32_e32 v19, 28, v20
	v_cmp_gt_i64_e32 vcc, 0, v[18:19]
	v_not_b32_e32 v19, v19
	v_ashrrev_i32_e32 v19, 31, v19
	v_and_b32_e32 v41, v41, v43
	;; [unrolled: 8-line block ×5, first 2 shown]
	v_xor_b32_e32 v43, vcc_hi, v19
	v_xor_b32_e32 v19, vcc_lo, v19
	v_and_b32_e32 v41, v41, v43
	v_and_b32_e32 v43, v21, v19
	v_lshlrev_b32_e32 v19, 24, v20
	v_cmp_gt_i64_e32 vcc, 0, v[18:19]
	v_not_b32_e32 v19, v19
	v_ashrrev_i32_e32 v19, 31, v19
	v_xor_b32_e32 v20, vcc_hi, v19
	v_xor_b32_e32 v19, vcc_lo, v19
	; wave barrier
	ds_read_b32 v40, v44 offset:64
	v_and_b32_e32 v21, v41, v20
	v_and_b32_e32 v20, v43, v19
	v_mbcnt_lo_u32_b32 v19, v20, 0
	v_mbcnt_hi_u32_b32 v41, v21, v19
	v_cmp_eq_u32_e32 vcc, 0, v41
	v_cmp_ne_u64_e64 s[0:1], 0, v[20:21]
	s_and_b64 s[2:3], s[0:1], vcc
	; wave barrier
	s_and_saveexec_b64 s[0:1], s[2:3]
	s_cbranch_execz .LBB2397_77
; %bb.76:
	v_bcnt_u32_b32 v19, v20, 0
	v_bcnt_u32_b32 v19, v21, v19
	s_waitcnt lgkmcnt(0)
	v_add_u32_e32 v19, v40, v19
	ds_write_b32 v44, v19 offset:64
.LBB2397_77:
	s_or_b64 exec, exec, s[0:1]
	s_waitcnt vmcnt(0)
	v_xor_b32_e32 v13, 0x7fffffff, v13
	v_not_b32_e32 v12, v12
	v_lshrrev_b64 v[20:21], s16, v[12:13]
	v_and_b32_e32 v20, s17, v20
	v_lshl_add_u32 v19, v20, 4, v20
	v_add_lshl_u32 v25, v25, v19, 2
	v_and_b32_e32 v19, 1, v20
	v_add_co_u32_e32 v21, vcc, -1, v19
	v_addc_co_u32_e64 v45, s[0:1], 0, -1, vcc
	v_cmp_ne_u32_e32 vcc, 0, v19
	v_xor_b32_e32 v19, vcc_hi, v45
	v_and_b32_e32 v45, exec_hi, v19
	v_lshlrev_b32_e32 v19, 30, v20
	v_xor_b32_e32 v21, vcc_lo, v21
	v_cmp_gt_i64_e32 vcc, 0, v[18:19]
	v_not_b32_e32 v19, v19
	v_ashrrev_i32_e32 v19, 31, v19
	v_and_b32_e32 v21, exec_lo, v21
	v_xor_b32_e32 v47, vcc_hi, v19
	v_xor_b32_e32 v19, vcc_lo, v19
	v_and_b32_e32 v21, v21, v19
	v_lshlrev_b32_e32 v19, 29, v20
	v_cmp_gt_i64_e32 vcc, 0, v[18:19]
	v_not_b32_e32 v19, v19
	v_ashrrev_i32_e32 v19, 31, v19
	v_and_b32_e32 v45, v45, v47
	v_xor_b32_e32 v47, vcc_hi, v19
	v_xor_b32_e32 v19, vcc_lo, v19
	v_and_b32_e32 v21, v21, v19
	v_lshlrev_b32_e32 v19, 28, v20
	v_cmp_gt_i64_e32 vcc, 0, v[18:19]
	v_not_b32_e32 v19, v19
	v_ashrrev_i32_e32 v19, 31, v19
	v_and_b32_e32 v45, v45, v47
	;; [unrolled: 8-line block ×5, first 2 shown]
	v_xor_b32_e32 v47, vcc_hi, v19
	v_xor_b32_e32 v19, vcc_lo, v19
	v_and_b32_e32 v21, v21, v19
	v_lshlrev_b32_e32 v19, 24, v20
	v_cmp_gt_i64_e32 vcc, 0, v[18:19]
	v_not_b32_e32 v18, v19
	v_ashrrev_i32_e32 v18, 31, v18
	v_xor_b32_e32 v19, vcc_hi, v18
	v_xor_b32_e32 v18, vcc_lo, v18
	; wave barrier
	ds_read_b32 v43, v25 offset:64
	v_and_b32_e32 v45, v45, v47
	v_and_b32_e32 v18, v21, v18
	;; [unrolled: 1-line block ×3, first 2 shown]
	v_mbcnt_lo_u32_b32 v20, v18, 0
	v_mbcnt_hi_u32_b32 v45, v19, v20
	v_cmp_eq_u32_e32 vcc, 0, v45
	v_cmp_ne_u64_e64 s[0:1], 0, v[18:19]
	v_add_u32_e32 v46, 64, v22
	s_and_b64 s[2:3], s[0:1], vcc
	; wave barrier
	s_and_saveexec_b64 s[0:1], s[2:3]
	s_cbranch_execz .LBB2397_79
; %bb.78:
	v_bcnt_u32_b32 v18, v18, 0
	v_bcnt_u32_b32 v18, v19, v18
	s_waitcnt lgkmcnt(0)
	v_add_u32_e32 v18, v43, v18
	ds_write_b32 v25, v18 offset:64
.LBB2397_79:
	s_or_b64 exec, exec, s[0:1]
	; wave barrier
	s_waitcnt lgkmcnt(0)
	s_barrier
	ds_read2_b32 v[20:21], v22 offset0:16 offset1:17
	ds_read2_b32 v[18:19], v46 offset0:2 offset1:3
	ds_read_b32 v47, v46 offset:16
	v_cmp_lt_u32_e64 s[8:9], 31, v3
	s_waitcnt lgkmcnt(1)
	v_add3_u32 v48, v21, v20, v18
	s_waitcnt lgkmcnt(0)
	v_add3_u32 v47, v48, v19, v47
	v_and_b32_e32 v48, 15, v3
	v_cmp_eq_u32_e32 vcc, 0, v48
	v_mov_b32_dpp v49, v47 row_shr:1 row_mask:0xf bank_mask:0xf
	v_cndmask_b32_e64 v49, v49, 0, vcc
	v_add_u32_e32 v47, v49, v47
	v_cmp_lt_u32_e64 s[0:1], 1, v48
	v_cmp_lt_u32_e64 s[2:3], 3, v48
	v_mov_b32_dpp v49, v47 row_shr:2 row_mask:0xf bank_mask:0xf
	v_cndmask_b32_e64 v49, 0, v49, s[0:1]
	v_add_u32_e32 v47, v47, v49
	v_cmp_lt_u32_e64 s[4:5], 7, v48
	s_nop 0
	v_mov_b32_dpp v49, v47 row_shr:4 row_mask:0xf bank_mask:0xf
	v_cndmask_b32_e64 v49, 0, v49, s[2:3]
	v_add_u32_e32 v47, v47, v49
	s_nop 1
	v_mov_b32_dpp v49, v47 row_shr:8 row_mask:0xf bank_mask:0xf
	v_cndmask_b32_e64 v48, 0, v49, s[4:5]
	v_add_u32_e32 v47, v47, v48
	v_bfe_i32 v49, v3, 4, 1
	s_nop 0
	v_mov_b32_dpp v48, v47 row_bcast:15 row_mask:0xf bank_mask:0xf
	v_and_b32_e32 v48, v49, v48
	v_add_u32_e32 v47, v47, v48
	v_and_b32_e32 v49, 63, v2
	s_nop 0
	v_mov_b32_dpp v48, v47 row_bcast:31 row_mask:0xf bank_mask:0xf
	v_cndmask_b32_e64 v48, 0, v48, s[8:9]
	v_add_u32_e32 v47, v47, v48
	v_lshrrev_b32_e32 v48, 6, v2
	v_cmp_eq_u32_e64 s[8:9], 63, v49
	s_and_saveexec_b64 s[10:11], s[8:9]
	s_cbranch_execz .LBB2397_81
; %bb.80:
	v_lshlrev_b32_e32 v49, 2, v48
	ds_write_b32 v49, v47
.LBB2397_81:
	s_or_b64 exec, exec, s[10:11]
	v_cmp_gt_u32_e64 s[8:9], 16, v2
	s_waitcnt lgkmcnt(0)
	s_barrier
	s_and_saveexec_b64 s[10:11], s[8:9]
	s_cbranch_execz .LBB2397_83
; %bb.82:
	v_lshlrev_b32_e32 v49, 2, v2
	ds_read_b32 v50, v49
	s_waitcnt lgkmcnt(0)
	s_nop 0
	v_mov_b32_dpp v51, v50 row_shr:1 row_mask:0xf bank_mask:0xf
	v_cndmask_b32_e64 v51, v51, 0, vcc
	v_add_u32_e32 v50, v51, v50
	s_nop 1
	v_mov_b32_dpp v51, v50 row_shr:2 row_mask:0xf bank_mask:0xf
	v_cndmask_b32_e64 v51, 0, v51, s[0:1]
	v_add_u32_e32 v50, v50, v51
	s_nop 1
	v_mov_b32_dpp v51, v50 row_shr:4 row_mask:0xf bank_mask:0xf
	v_cndmask_b32_e64 v51, 0, v51, s[2:3]
	;; [unrolled: 4-line block ×3, first 2 shown]
	v_add_u32_e32 v50, v50, v51
	ds_write_b32 v49, v50
.LBB2397_83:
	s_or_b64 exec, exec, s[10:11]
	v_cmp_lt_u32_e32 vcc, 63, v2
	v_mov_b32_e32 v49, 0
	s_waitcnt lgkmcnt(0)
	s_barrier
	s_and_saveexec_b64 s[0:1], vcc
	s_cbranch_execz .LBB2397_85
; %bb.84:
	v_lshl_add_u32 v48, v48, 2, -4
	ds_read_b32 v49, v48
.LBB2397_85:
	s_or_b64 exec, exec, s[0:1]
	v_add_u32_e32 v48, -1, v3
	v_and_b32_e32 v50, 64, v3
	v_cmp_lt_i32_e32 vcc, v48, v50
	v_cndmask_b32_e32 v48, v48, v3, vcc
	s_waitcnt lgkmcnt(0)
	v_add_u32_e32 v47, v49, v47
	v_lshlrev_b32_e32 v48, 2, v48
	ds_bpermute_b32 v47, v48, v47
	v_cmp_eq_u32_e32 vcc, 0, v3
	s_movk_i32 s2, 0xff
	s_movk_i32 s0, 0x100
	v_cmp_gt_u32_e64 s[0:1], s0, v2
	s_waitcnt lgkmcnt(0)
	v_cndmask_b32_e32 v3, v47, v49, vcc
	v_cmp_ne_u32_e32 vcc, 0, v2
	v_cndmask_b32_e32 v3, 0, v3, vcc
	v_add_u32_e32 v20, v3, v20
	v_add_u32_e32 v21, v20, v21
	;; [unrolled: 1-line block ×4, first 2 shown]
	ds_write2_b32 v22, v3, v20 offset0:16 offset1:17
	ds_write2_b32 v46, v21, v18 offset0:2 offset1:3
	ds_write_b32 v46, v19 offset:16
	s_waitcnt lgkmcnt(0)
	s_barrier
	ds_read_b32 v48, v23 offset:64
	ds_read_b32 v46, v24 offset:64
	;; [unrolled: 1-line block ×8, first 2 shown]
	v_cmp_lt_u32_e32 vcc, s2, v2
	v_pk_mov_b32 v[18:19], 0, 0
                                        ; implicit-def: $vgpr38
	s_and_saveexec_b64 s[4:5], s[0:1]
	s_cbranch_execz .LBB2397_89
; %bb.86:
	v_mul_u32_u24_e32 v3, 17, v2
	v_lshlrev_b32_e32 v19, 2, v3
	ds_read_b32 v18, v19 offset:64
	v_cmp_ne_u32_e64 s[2:3], s2, v2
	v_mov_b32_e32 v3, 0x2000
	s_and_saveexec_b64 s[8:9], s[2:3]
	s_cbranch_execz .LBB2397_88
; %bb.87:
	ds_read_b32 v3, v19 offset:132
.LBB2397_88:
	s_or_b64 exec, exec, s[8:9]
	s_waitcnt lgkmcnt(0)
	v_sub_u32_e32 v38, v3, v18
	v_mov_b32_e32 v19, 0
.LBB2397_89:
	s_or_b64 exec, exec, s[4:5]
	s_waitcnt lgkmcnt(0)
	s_barrier
	s_and_saveexec_b64 s[2:3], vcc
	s_xor_b64 s[2:3], exec, s[2:3]
; %bb.90:
	v_mov_b32_e32 v3, 0
; %bb.91:
	s_andn2_saveexec_b64 s[2:3], s[2:3]
	s_cbranch_execz .LBB2397_101
; %bb.92:
	v_lshl_or_b32 v20, s6, 8, v2
	v_mov_b32_e32 v21, 0
	v_lshlrev_b64 v[22:23], 2, v[20:21]
	v_mov_b32_e32 v3, s25
	v_add_co_u32_e32 v22, vcc, s24, v22
	v_addc_co_u32_e32 v23, vcc, v3, v23, vcc
	v_or_b32_e32 v20, 2.0, v38
	s_mov_b64 s[4:5], 0
	s_brev_b32 s18, 1
	s_mov_b32 s19, s6
	v_mov_b32_e32 v50, 0
	global_store_dword v[22:23], v20, off
                                        ; implicit-def: $sgpr8_sgpr9
	s_branch .LBB2397_95
.LBB2397_93:                            ;   in Loop: Header=BB2397_95 Depth=1
	s_or_b64 exec, exec, s[10:11]
.LBB2397_94:                            ;   in Loop: Header=BB2397_95 Depth=1
	s_or_b64 exec, exec, s[8:9]
	v_and_b32_e32 v24, 0x3fffffff, v51
	v_add_u32_e32 v50, v24, v50
	v_cmp_eq_u32_e64 s[8:9], s18, v20
	s_and_b64 s[10:11], exec, s[8:9]
	s_or_b64 s[4:5], s[10:11], s[4:5]
	s_andn2_b64 exec, exec, s[4:5]
	s_cbranch_execz .LBB2397_100
.LBB2397_95:                            ; =>This Loop Header: Depth=1
                                        ;     Child Loop BB2397_98 Depth 2
	s_or_b64 s[8:9], s[8:9], exec
	s_cmp_eq_u32 s19, 0
	s_cbranch_scc1 .LBB2397_99
; %bb.96:                               ;   in Loop: Header=BB2397_95 Depth=1
	s_add_i32 s19, s19, -1
	v_lshl_or_b32 v20, s19, 8, v2
	v_lshlrev_b64 v[24:25], 2, v[20:21]
	v_add_co_u32_e32 v24, vcc, s24, v24
	v_addc_co_u32_e32 v25, vcc, v3, v25, vcc
	global_load_dword v51, v[24:25], off glc
	s_waitcnt vmcnt(0)
	v_and_b32_e32 v20, -2.0, v51
	v_cmp_eq_u32_e32 vcc, 0, v20
	s_and_saveexec_b64 s[8:9], vcc
	s_cbranch_execz .LBB2397_94
; %bb.97:                               ;   in Loop: Header=BB2397_95 Depth=1
	s_mov_b64 s[10:11], 0
.LBB2397_98:                            ;   Parent Loop BB2397_95 Depth=1
                                        ; =>  This Inner Loop Header: Depth=2
	global_load_dword v51, v[24:25], off glc
	s_waitcnt vmcnt(0)
	v_and_b32_e32 v20, -2.0, v51
	v_cmp_ne_u32_e32 vcc, 0, v20
	s_or_b64 s[10:11], vcc, s[10:11]
	s_andn2_b64 exec, exec, s[10:11]
	s_cbranch_execnz .LBB2397_98
	s_branch .LBB2397_93
.LBB2397_99:                            ;   in Loop: Header=BB2397_95 Depth=1
                                        ; implicit-def: $sgpr19
	s_and_b64 s[10:11], exec, s[8:9]
	s_or_b64 s[4:5], s[10:11], s[4:5]
	s_andn2_b64 exec, exec, s[4:5]
	s_cbranch_execnz .LBB2397_95
.LBB2397_100:
	s_or_b64 exec, exec, s[4:5]
	v_add_u32_e32 v3, v50, v38
	v_or_b32_e32 v3, 0x80000000, v3
	global_store_dword v[22:23], v3, off
	v_lshlrev_b32_e32 v22, 3, v2
	global_load_dwordx2 v[20:21], v22, s[12:13]
	v_sub_co_u32_e32 v23, vcc, v50, v18
	v_subb_co_u32_e32 v24, vcc, 0, v19, vcc
	v_mov_b32_e32 v3, 0
	s_waitcnt vmcnt(0)
	v_add_co_u32_e32 v20, vcc, v23, v20
	v_addc_co_u32_e32 v21, vcc, v24, v21, vcc
	ds_write_b64 v22, v[20:21]
.LBB2397_101:
	s_or_b64 exec, exec, s[2:3]
	v_lshlrev_b64 v[20:21], 3, v[2:3]
	v_lshlrev_b32_e32 v23, 3, v2
	v_add3_u32 v27, v28, v46, v27
	v_mov_b32_e32 v28, s23
	v_add_co_u32_e32 v20, vcc, s22, v20
	v_add_u32_e32 v22, v48, v26
	v_add_u32_e32 v24, 0x800, v23
	v_add3_u32 v25, v45, v49, v43
	v_add3_u32 v26, v41, v44, v40
	;; [unrolled: 1-line block ×6, first 2 shown]
	v_addc_co_u32_e32 v21, vcc, v28, v21, vcc
	s_mov_b32 s2, 0
.LBB2397_102:                           ; =>This Inner Loop Header: Depth=1
	v_add_u32_e32 v28, s2, v22
	v_add_u32_e32 v32, s2, v29
	;; [unrolled: 1-line block ×8, first 2 shown]
	v_min_u32_e32 v28, 0x800, v28
	v_min_u32_e32 v32, 0x800, v32
	v_min_u32_e32 v33, 0x800, v33
	v_min_u32_e32 v40, 0x800, v40
	v_min_u32_e32 v30, 0x800, v30
	v_min_u32_e32 v35, 0x800, v35
	v_min_u32_e32 v36, 0x800, v36
	v_min_u32_e32 v39, 0x800, v39
	v_lshlrev_b32_e32 v28, 3, v28
	v_lshlrev_b32_e32 v32, 3, v32
	v_lshlrev_b32_e32 v33, 3, v33
	v_lshlrev_b32_e32 v40, 3, v40
	v_lshlrev_b32_e32 v30, 3, v30
	v_lshlrev_b32_e32 v35, 3, v35
	v_lshlrev_b32_e32 v36, 3, v36
	v_lshlrev_b32_e32 v39, 3, v39
	ds_write_b64 v28, v[0:1] offset:2048
	ds_write_b64 v30, v[4:5] offset:2048
	;; [unrolled: 1-line block ×8, first 2 shown]
	s_waitcnt lgkmcnt(0)
	s_barrier
	ds_read_b64 v[32:33], v23 offset:2048
	ds_read_b64 v[40:41], v24 offset:8192
	s_addk_i32 s2, 0xf800
	s_cmpk_lg_i32 s2, 0xe000
	s_waitcnt lgkmcnt(1)
	v_lshrrev_b64 v[42:43], s16, v[32:33]
	s_waitcnt lgkmcnt(0)
	v_lshrrev_b64 v[44:45], s16, v[40:41]
	v_and_b32_e32 v28, s17, v42
	v_and_b32_e32 v30, s17, v44
	v_lshlrev_b32_e32 v28, 3, v28
	v_lshlrev_b32_e32 v30, 3, v30
	ds_read_b64 v[42:43], v28
	ds_read_b64 v[44:45], v30
	v_xor_b32_e32 v33, 0x7fffffff, v33
	v_xor_b32_e32 v32, -1, v32
	v_xor_b32_e32 v41, 0x7fffffff, v41
	s_waitcnt lgkmcnt(1)
	v_lshlrev_b64 v[42:43], 3, v[42:43]
	v_add_co_u32_e32 v42, vcc, v20, v42
	s_waitcnt lgkmcnt(0)
	v_lshlrev_b64 v[44:45], 3, v[44:45]
	v_addc_co_u32_e32 v43, vcc, v21, v43, vcc
	v_add_co_u32_e32 v28, vcc, v20, v44
	v_addc_co_u32_e32 v30, vcc, v21, v45, vcc
	global_store_dwordx2 v[42:43], v[32:33], off
	v_add_co_u32_e32 v32, vcc, 0x2000, v28
	v_addc_co_u32_e32 v33, vcc, 0, v30, vcc
	v_add_co_u32_e32 v20, vcc, 0x4000, v20
	v_xor_b32_e32 v40, -1, v40
	v_addc_co_u32_e32 v21, vcc, 0, v21, vcc
	global_store_dwordx2 v[32:33], v[40:41], off
	s_barrier
	s_cbranch_scc1 .LBB2397_102
; %bb.103:
	s_add_i32 s7, s7, -1
	s_cmp_eq_u32 s7, s6
	s_cselect_b64 s[2:3], -1, 0
	s_and_b64 s[0:1], s[0:1], s[2:3]
.LBB2397_104:
	s_and_saveexec_b64 s[2:3], s[0:1]
	s_cbranch_execnz .LBB2397_106
; %bb.105:
	s_endpgm
.LBB2397_106:
	v_lshlrev_b32_e32 v6, 3, v2
	v_lshlrev_b64 v[0:1], 3, v[2:3]
	ds_read_b64 v[2:3], v6
	v_add_co_u32_e32 v4, vcc, v18, v38
	v_addc_co_u32_e32 v5, vcc, 0, v19, vcc
	v_mov_b32_e32 v7, s15
	v_add_co_u32_e32 v0, vcc, s14, v0
	v_addc_co_u32_e32 v1, vcc, v7, v1, vcc
	s_waitcnt lgkmcnt(0)
	v_add_co_u32_e32 v2, vcc, v4, v2
	v_addc_co_u32_e32 v3, vcc, v5, v3, vcc
	global_store_dwordx2 v[0:1], v[2:3], off
	s_endpgm
	.section	.rodata,"a",@progbits
	.p2align	6, 0x0
	.amdhsa_kernel _ZN7rocprim17ROCPRIM_400000_NS6detail17trampoline_kernelINS0_14default_configENS1_35radix_sort_onesweep_config_selectorIxNS0_10empty_typeEEEZZNS1_29radix_sort_onesweep_iterationIS3_Lb1EPxS8_PS5_S9_mNS0_19identity_decomposerENS1_16block_id_wrapperIjLb0EEEEE10hipError_tT1_PNSt15iterator_traitsISE_E10value_typeET2_T3_PNSF_ISK_E10value_typeET4_T5_PSP_SQ_PNS1_23onesweep_lookback_stateEbbT6_jjT7_P12ihipStream_tbENKUlT_T0_SE_SJ_E_clIS8_S8_S9_S9_EEDaSX_SY_SE_SJ_EUlSX_E_NS1_11comp_targetILNS1_3genE4ELNS1_11target_archE910ELNS1_3gpuE8ELNS1_3repE0EEENS1_47radix_sort_onesweep_sort_config_static_selectorELNS0_4arch9wavefront6targetE1EEEvSE_
		.amdhsa_group_segment_fixed_size 20552
		.amdhsa_private_segment_fixed_size 0
		.amdhsa_kernarg_size 344
		.amdhsa_user_sgpr_count 6
		.amdhsa_user_sgpr_private_segment_buffer 1
		.amdhsa_user_sgpr_dispatch_ptr 0
		.amdhsa_user_sgpr_queue_ptr 0
		.amdhsa_user_sgpr_kernarg_segment_ptr 1
		.amdhsa_user_sgpr_dispatch_id 0
		.amdhsa_user_sgpr_flat_scratch_init 0
		.amdhsa_user_sgpr_kernarg_preload_length 0
		.amdhsa_user_sgpr_kernarg_preload_offset 0
		.amdhsa_user_sgpr_private_segment_size 0
		.amdhsa_uses_dynamic_stack 0
		.amdhsa_system_sgpr_private_segment_wavefront_offset 0
		.amdhsa_system_sgpr_workgroup_id_x 1
		.amdhsa_system_sgpr_workgroup_id_y 0
		.amdhsa_system_sgpr_workgroup_id_z 0
		.amdhsa_system_sgpr_workgroup_info 0
		.amdhsa_system_vgpr_workitem_id 2
		.amdhsa_next_free_vgpr 55
		.amdhsa_next_free_sgpr 30
		.amdhsa_accum_offset 56
		.amdhsa_reserve_vcc 1
		.amdhsa_reserve_flat_scratch 0
		.amdhsa_float_round_mode_32 0
		.amdhsa_float_round_mode_16_64 0
		.amdhsa_float_denorm_mode_32 3
		.amdhsa_float_denorm_mode_16_64 3
		.amdhsa_dx10_clamp 1
		.amdhsa_ieee_mode 1
		.amdhsa_fp16_overflow 0
		.amdhsa_tg_split 0
		.amdhsa_exception_fp_ieee_invalid_op 0
		.amdhsa_exception_fp_denorm_src 0
		.amdhsa_exception_fp_ieee_div_zero 0
		.amdhsa_exception_fp_ieee_overflow 0
		.amdhsa_exception_fp_ieee_underflow 0
		.amdhsa_exception_fp_ieee_inexact 0
		.amdhsa_exception_int_div_zero 0
	.end_amdhsa_kernel
	.section	.text._ZN7rocprim17ROCPRIM_400000_NS6detail17trampoline_kernelINS0_14default_configENS1_35radix_sort_onesweep_config_selectorIxNS0_10empty_typeEEEZZNS1_29radix_sort_onesweep_iterationIS3_Lb1EPxS8_PS5_S9_mNS0_19identity_decomposerENS1_16block_id_wrapperIjLb0EEEEE10hipError_tT1_PNSt15iterator_traitsISE_E10value_typeET2_T3_PNSF_ISK_E10value_typeET4_T5_PSP_SQ_PNS1_23onesweep_lookback_stateEbbT6_jjT7_P12ihipStream_tbENKUlT_T0_SE_SJ_E_clIS8_S8_S9_S9_EEDaSX_SY_SE_SJ_EUlSX_E_NS1_11comp_targetILNS1_3genE4ELNS1_11target_archE910ELNS1_3gpuE8ELNS1_3repE0EEENS1_47radix_sort_onesweep_sort_config_static_selectorELNS0_4arch9wavefront6targetE1EEEvSE_,"axG",@progbits,_ZN7rocprim17ROCPRIM_400000_NS6detail17trampoline_kernelINS0_14default_configENS1_35radix_sort_onesweep_config_selectorIxNS0_10empty_typeEEEZZNS1_29radix_sort_onesweep_iterationIS3_Lb1EPxS8_PS5_S9_mNS0_19identity_decomposerENS1_16block_id_wrapperIjLb0EEEEE10hipError_tT1_PNSt15iterator_traitsISE_E10value_typeET2_T3_PNSF_ISK_E10value_typeET4_T5_PSP_SQ_PNS1_23onesweep_lookback_stateEbbT6_jjT7_P12ihipStream_tbENKUlT_T0_SE_SJ_E_clIS8_S8_S9_S9_EEDaSX_SY_SE_SJ_EUlSX_E_NS1_11comp_targetILNS1_3genE4ELNS1_11target_archE910ELNS1_3gpuE8ELNS1_3repE0EEENS1_47radix_sort_onesweep_sort_config_static_selectorELNS0_4arch9wavefront6targetE1EEEvSE_,comdat
.Lfunc_end2397:
	.size	_ZN7rocprim17ROCPRIM_400000_NS6detail17trampoline_kernelINS0_14default_configENS1_35radix_sort_onesweep_config_selectorIxNS0_10empty_typeEEEZZNS1_29radix_sort_onesweep_iterationIS3_Lb1EPxS8_PS5_S9_mNS0_19identity_decomposerENS1_16block_id_wrapperIjLb0EEEEE10hipError_tT1_PNSt15iterator_traitsISE_E10value_typeET2_T3_PNSF_ISK_E10value_typeET4_T5_PSP_SQ_PNS1_23onesweep_lookback_stateEbbT6_jjT7_P12ihipStream_tbENKUlT_T0_SE_SJ_E_clIS8_S8_S9_S9_EEDaSX_SY_SE_SJ_EUlSX_E_NS1_11comp_targetILNS1_3genE4ELNS1_11target_archE910ELNS1_3gpuE8ELNS1_3repE0EEENS1_47radix_sort_onesweep_sort_config_static_selectorELNS0_4arch9wavefront6targetE1EEEvSE_, .Lfunc_end2397-_ZN7rocprim17ROCPRIM_400000_NS6detail17trampoline_kernelINS0_14default_configENS1_35radix_sort_onesweep_config_selectorIxNS0_10empty_typeEEEZZNS1_29radix_sort_onesweep_iterationIS3_Lb1EPxS8_PS5_S9_mNS0_19identity_decomposerENS1_16block_id_wrapperIjLb0EEEEE10hipError_tT1_PNSt15iterator_traitsISE_E10value_typeET2_T3_PNSF_ISK_E10value_typeET4_T5_PSP_SQ_PNS1_23onesweep_lookback_stateEbbT6_jjT7_P12ihipStream_tbENKUlT_T0_SE_SJ_E_clIS8_S8_S9_S9_EEDaSX_SY_SE_SJ_EUlSX_E_NS1_11comp_targetILNS1_3genE4ELNS1_11target_archE910ELNS1_3gpuE8ELNS1_3repE0EEENS1_47radix_sort_onesweep_sort_config_static_selectorELNS0_4arch9wavefront6targetE1EEEvSE_
                                        ; -- End function
	.section	.AMDGPU.csdata,"",@progbits
; Kernel info:
; codeLenInByte = 10444
; NumSgprs: 34
; NumVgprs: 55
; NumAgprs: 0
; TotalNumVgprs: 55
; ScratchSize: 0
; MemoryBound: 0
; FloatMode: 240
; IeeeMode: 1
; LDSByteSize: 20552 bytes/workgroup (compile time only)
; SGPRBlocks: 4
; VGPRBlocks: 6
; NumSGPRsForWavesPerEU: 34
; NumVGPRsForWavesPerEU: 55
; AccumOffset: 56
; Occupancy: 8
; WaveLimiterHint : 1
; COMPUTE_PGM_RSRC2:SCRATCH_EN: 0
; COMPUTE_PGM_RSRC2:USER_SGPR: 6
; COMPUTE_PGM_RSRC2:TRAP_HANDLER: 0
; COMPUTE_PGM_RSRC2:TGID_X_EN: 1
; COMPUTE_PGM_RSRC2:TGID_Y_EN: 0
; COMPUTE_PGM_RSRC2:TGID_Z_EN: 0
; COMPUTE_PGM_RSRC2:TIDIG_COMP_CNT: 2
; COMPUTE_PGM_RSRC3_GFX90A:ACCUM_OFFSET: 13
; COMPUTE_PGM_RSRC3_GFX90A:TG_SPLIT: 0
	.section	.text._ZN7rocprim17ROCPRIM_400000_NS6detail17trampoline_kernelINS0_14default_configENS1_35radix_sort_onesweep_config_selectorIxNS0_10empty_typeEEEZZNS1_29radix_sort_onesweep_iterationIS3_Lb1EPxS8_PS5_S9_mNS0_19identity_decomposerENS1_16block_id_wrapperIjLb0EEEEE10hipError_tT1_PNSt15iterator_traitsISE_E10value_typeET2_T3_PNSF_ISK_E10value_typeET4_T5_PSP_SQ_PNS1_23onesweep_lookback_stateEbbT6_jjT7_P12ihipStream_tbENKUlT_T0_SE_SJ_E_clIS8_S8_S9_S9_EEDaSX_SY_SE_SJ_EUlSX_E_NS1_11comp_targetILNS1_3genE3ELNS1_11target_archE908ELNS1_3gpuE7ELNS1_3repE0EEENS1_47radix_sort_onesweep_sort_config_static_selectorELNS0_4arch9wavefront6targetE1EEEvSE_,"axG",@progbits,_ZN7rocprim17ROCPRIM_400000_NS6detail17trampoline_kernelINS0_14default_configENS1_35radix_sort_onesweep_config_selectorIxNS0_10empty_typeEEEZZNS1_29radix_sort_onesweep_iterationIS3_Lb1EPxS8_PS5_S9_mNS0_19identity_decomposerENS1_16block_id_wrapperIjLb0EEEEE10hipError_tT1_PNSt15iterator_traitsISE_E10value_typeET2_T3_PNSF_ISK_E10value_typeET4_T5_PSP_SQ_PNS1_23onesweep_lookback_stateEbbT6_jjT7_P12ihipStream_tbENKUlT_T0_SE_SJ_E_clIS8_S8_S9_S9_EEDaSX_SY_SE_SJ_EUlSX_E_NS1_11comp_targetILNS1_3genE3ELNS1_11target_archE908ELNS1_3gpuE7ELNS1_3repE0EEENS1_47radix_sort_onesweep_sort_config_static_selectorELNS0_4arch9wavefront6targetE1EEEvSE_,comdat
	.protected	_ZN7rocprim17ROCPRIM_400000_NS6detail17trampoline_kernelINS0_14default_configENS1_35radix_sort_onesweep_config_selectorIxNS0_10empty_typeEEEZZNS1_29radix_sort_onesweep_iterationIS3_Lb1EPxS8_PS5_S9_mNS0_19identity_decomposerENS1_16block_id_wrapperIjLb0EEEEE10hipError_tT1_PNSt15iterator_traitsISE_E10value_typeET2_T3_PNSF_ISK_E10value_typeET4_T5_PSP_SQ_PNS1_23onesweep_lookback_stateEbbT6_jjT7_P12ihipStream_tbENKUlT_T0_SE_SJ_E_clIS8_S8_S9_S9_EEDaSX_SY_SE_SJ_EUlSX_E_NS1_11comp_targetILNS1_3genE3ELNS1_11target_archE908ELNS1_3gpuE7ELNS1_3repE0EEENS1_47radix_sort_onesweep_sort_config_static_selectorELNS0_4arch9wavefront6targetE1EEEvSE_ ; -- Begin function _ZN7rocprim17ROCPRIM_400000_NS6detail17trampoline_kernelINS0_14default_configENS1_35radix_sort_onesweep_config_selectorIxNS0_10empty_typeEEEZZNS1_29radix_sort_onesweep_iterationIS3_Lb1EPxS8_PS5_S9_mNS0_19identity_decomposerENS1_16block_id_wrapperIjLb0EEEEE10hipError_tT1_PNSt15iterator_traitsISE_E10value_typeET2_T3_PNSF_ISK_E10value_typeET4_T5_PSP_SQ_PNS1_23onesweep_lookback_stateEbbT6_jjT7_P12ihipStream_tbENKUlT_T0_SE_SJ_E_clIS8_S8_S9_S9_EEDaSX_SY_SE_SJ_EUlSX_E_NS1_11comp_targetILNS1_3genE3ELNS1_11target_archE908ELNS1_3gpuE7ELNS1_3repE0EEENS1_47radix_sort_onesweep_sort_config_static_selectorELNS0_4arch9wavefront6targetE1EEEvSE_
	.globl	_ZN7rocprim17ROCPRIM_400000_NS6detail17trampoline_kernelINS0_14default_configENS1_35radix_sort_onesweep_config_selectorIxNS0_10empty_typeEEEZZNS1_29radix_sort_onesweep_iterationIS3_Lb1EPxS8_PS5_S9_mNS0_19identity_decomposerENS1_16block_id_wrapperIjLb0EEEEE10hipError_tT1_PNSt15iterator_traitsISE_E10value_typeET2_T3_PNSF_ISK_E10value_typeET4_T5_PSP_SQ_PNS1_23onesweep_lookback_stateEbbT6_jjT7_P12ihipStream_tbENKUlT_T0_SE_SJ_E_clIS8_S8_S9_S9_EEDaSX_SY_SE_SJ_EUlSX_E_NS1_11comp_targetILNS1_3genE3ELNS1_11target_archE908ELNS1_3gpuE7ELNS1_3repE0EEENS1_47radix_sort_onesweep_sort_config_static_selectorELNS0_4arch9wavefront6targetE1EEEvSE_
	.p2align	8
	.type	_ZN7rocprim17ROCPRIM_400000_NS6detail17trampoline_kernelINS0_14default_configENS1_35radix_sort_onesweep_config_selectorIxNS0_10empty_typeEEEZZNS1_29radix_sort_onesweep_iterationIS3_Lb1EPxS8_PS5_S9_mNS0_19identity_decomposerENS1_16block_id_wrapperIjLb0EEEEE10hipError_tT1_PNSt15iterator_traitsISE_E10value_typeET2_T3_PNSF_ISK_E10value_typeET4_T5_PSP_SQ_PNS1_23onesweep_lookback_stateEbbT6_jjT7_P12ihipStream_tbENKUlT_T0_SE_SJ_E_clIS8_S8_S9_S9_EEDaSX_SY_SE_SJ_EUlSX_E_NS1_11comp_targetILNS1_3genE3ELNS1_11target_archE908ELNS1_3gpuE7ELNS1_3repE0EEENS1_47radix_sort_onesweep_sort_config_static_selectorELNS0_4arch9wavefront6targetE1EEEvSE_,@function
_ZN7rocprim17ROCPRIM_400000_NS6detail17trampoline_kernelINS0_14default_configENS1_35radix_sort_onesweep_config_selectorIxNS0_10empty_typeEEEZZNS1_29radix_sort_onesweep_iterationIS3_Lb1EPxS8_PS5_S9_mNS0_19identity_decomposerENS1_16block_id_wrapperIjLb0EEEEE10hipError_tT1_PNSt15iterator_traitsISE_E10value_typeET2_T3_PNSF_ISK_E10value_typeET4_T5_PSP_SQ_PNS1_23onesweep_lookback_stateEbbT6_jjT7_P12ihipStream_tbENKUlT_T0_SE_SJ_E_clIS8_S8_S9_S9_EEDaSX_SY_SE_SJ_EUlSX_E_NS1_11comp_targetILNS1_3genE3ELNS1_11target_archE908ELNS1_3gpuE7ELNS1_3repE0EEENS1_47radix_sort_onesweep_sort_config_static_selectorELNS0_4arch9wavefront6targetE1EEEvSE_: ; @_ZN7rocprim17ROCPRIM_400000_NS6detail17trampoline_kernelINS0_14default_configENS1_35radix_sort_onesweep_config_selectorIxNS0_10empty_typeEEEZZNS1_29radix_sort_onesweep_iterationIS3_Lb1EPxS8_PS5_S9_mNS0_19identity_decomposerENS1_16block_id_wrapperIjLb0EEEEE10hipError_tT1_PNSt15iterator_traitsISE_E10value_typeET2_T3_PNSF_ISK_E10value_typeET4_T5_PSP_SQ_PNS1_23onesweep_lookback_stateEbbT6_jjT7_P12ihipStream_tbENKUlT_T0_SE_SJ_E_clIS8_S8_S9_S9_EEDaSX_SY_SE_SJ_EUlSX_E_NS1_11comp_targetILNS1_3genE3ELNS1_11target_archE908ELNS1_3gpuE7ELNS1_3repE0EEENS1_47radix_sort_onesweep_sort_config_static_selectorELNS0_4arch9wavefront6targetE1EEEvSE_
; %bb.0:
	.section	.rodata,"a",@progbits
	.p2align	6, 0x0
	.amdhsa_kernel _ZN7rocprim17ROCPRIM_400000_NS6detail17trampoline_kernelINS0_14default_configENS1_35radix_sort_onesweep_config_selectorIxNS0_10empty_typeEEEZZNS1_29radix_sort_onesweep_iterationIS3_Lb1EPxS8_PS5_S9_mNS0_19identity_decomposerENS1_16block_id_wrapperIjLb0EEEEE10hipError_tT1_PNSt15iterator_traitsISE_E10value_typeET2_T3_PNSF_ISK_E10value_typeET4_T5_PSP_SQ_PNS1_23onesweep_lookback_stateEbbT6_jjT7_P12ihipStream_tbENKUlT_T0_SE_SJ_E_clIS8_S8_S9_S9_EEDaSX_SY_SE_SJ_EUlSX_E_NS1_11comp_targetILNS1_3genE3ELNS1_11target_archE908ELNS1_3gpuE7ELNS1_3repE0EEENS1_47radix_sort_onesweep_sort_config_static_selectorELNS0_4arch9wavefront6targetE1EEEvSE_
		.amdhsa_group_segment_fixed_size 0
		.amdhsa_private_segment_fixed_size 0
		.amdhsa_kernarg_size 88
		.amdhsa_user_sgpr_count 6
		.amdhsa_user_sgpr_private_segment_buffer 1
		.amdhsa_user_sgpr_dispatch_ptr 0
		.amdhsa_user_sgpr_queue_ptr 0
		.amdhsa_user_sgpr_kernarg_segment_ptr 1
		.amdhsa_user_sgpr_dispatch_id 0
		.amdhsa_user_sgpr_flat_scratch_init 0
		.amdhsa_user_sgpr_kernarg_preload_length 0
		.amdhsa_user_sgpr_kernarg_preload_offset 0
		.amdhsa_user_sgpr_private_segment_size 0
		.amdhsa_uses_dynamic_stack 0
		.amdhsa_system_sgpr_private_segment_wavefront_offset 0
		.amdhsa_system_sgpr_workgroup_id_x 1
		.amdhsa_system_sgpr_workgroup_id_y 0
		.amdhsa_system_sgpr_workgroup_id_z 0
		.amdhsa_system_sgpr_workgroup_info 0
		.amdhsa_system_vgpr_workitem_id 0
		.amdhsa_next_free_vgpr 1
		.amdhsa_next_free_sgpr 0
		.amdhsa_accum_offset 4
		.amdhsa_reserve_vcc 0
		.amdhsa_reserve_flat_scratch 0
		.amdhsa_float_round_mode_32 0
		.amdhsa_float_round_mode_16_64 0
		.amdhsa_float_denorm_mode_32 3
		.amdhsa_float_denorm_mode_16_64 3
		.amdhsa_dx10_clamp 1
		.amdhsa_ieee_mode 1
		.amdhsa_fp16_overflow 0
		.amdhsa_tg_split 0
		.amdhsa_exception_fp_ieee_invalid_op 0
		.amdhsa_exception_fp_denorm_src 0
		.amdhsa_exception_fp_ieee_div_zero 0
		.amdhsa_exception_fp_ieee_overflow 0
		.amdhsa_exception_fp_ieee_underflow 0
		.amdhsa_exception_fp_ieee_inexact 0
		.amdhsa_exception_int_div_zero 0
	.end_amdhsa_kernel
	.section	.text._ZN7rocprim17ROCPRIM_400000_NS6detail17trampoline_kernelINS0_14default_configENS1_35radix_sort_onesweep_config_selectorIxNS0_10empty_typeEEEZZNS1_29radix_sort_onesweep_iterationIS3_Lb1EPxS8_PS5_S9_mNS0_19identity_decomposerENS1_16block_id_wrapperIjLb0EEEEE10hipError_tT1_PNSt15iterator_traitsISE_E10value_typeET2_T3_PNSF_ISK_E10value_typeET4_T5_PSP_SQ_PNS1_23onesweep_lookback_stateEbbT6_jjT7_P12ihipStream_tbENKUlT_T0_SE_SJ_E_clIS8_S8_S9_S9_EEDaSX_SY_SE_SJ_EUlSX_E_NS1_11comp_targetILNS1_3genE3ELNS1_11target_archE908ELNS1_3gpuE7ELNS1_3repE0EEENS1_47radix_sort_onesweep_sort_config_static_selectorELNS0_4arch9wavefront6targetE1EEEvSE_,"axG",@progbits,_ZN7rocprim17ROCPRIM_400000_NS6detail17trampoline_kernelINS0_14default_configENS1_35radix_sort_onesweep_config_selectorIxNS0_10empty_typeEEEZZNS1_29radix_sort_onesweep_iterationIS3_Lb1EPxS8_PS5_S9_mNS0_19identity_decomposerENS1_16block_id_wrapperIjLb0EEEEE10hipError_tT1_PNSt15iterator_traitsISE_E10value_typeET2_T3_PNSF_ISK_E10value_typeET4_T5_PSP_SQ_PNS1_23onesweep_lookback_stateEbbT6_jjT7_P12ihipStream_tbENKUlT_T0_SE_SJ_E_clIS8_S8_S9_S9_EEDaSX_SY_SE_SJ_EUlSX_E_NS1_11comp_targetILNS1_3genE3ELNS1_11target_archE908ELNS1_3gpuE7ELNS1_3repE0EEENS1_47radix_sort_onesweep_sort_config_static_selectorELNS0_4arch9wavefront6targetE1EEEvSE_,comdat
.Lfunc_end2398:
	.size	_ZN7rocprim17ROCPRIM_400000_NS6detail17trampoline_kernelINS0_14default_configENS1_35radix_sort_onesweep_config_selectorIxNS0_10empty_typeEEEZZNS1_29radix_sort_onesweep_iterationIS3_Lb1EPxS8_PS5_S9_mNS0_19identity_decomposerENS1_16block_id_wrapperIjLb0EEEEE10hipError_tT1_PNSt15iterator_traitsISE_E10value_typeET2_T3_PNSF_ISK_E10value_typeET4_T5_PSP_SQ_PNS1_23onesweep_lookback_stateEbbT6_jjT7_P12ihipStream_tbENKUlT_T0_SE_SJ_E_clIS8_S8_S9_S9_EEDaSX_SY_SE_SJ_EUlSX_E_NS1_11comp_targetILNS1_3genE3ELNS1_11target_archE908ELNS1_3gpuE7ELNS1_3repE0EEENS1_47radix_sort_onesweep_sort_config_static_selectorELNS0_4arch9wavefront6targetE1EEEvSE_, .Lfunc_end2398-_ZN7rocprim17ROCPRIM_400000_NS6detail17trampoline_kernelINS0_14default_configENS1_35radix_sort_onesweep_config_selectorIxNS0_10empty_typeEEEZZNS1_29radix_sort_onesweep_iterationIS3_Lb1EPxS8_PS5_S9_mNS0_19identity_decomposerENS1_16block_id_wrapperIjLb0EEEEE10hipError_tT1_PNSt15iterator_traitsISE_E10value_typeET2_T3_PNSF_ISK_E10value_typeET4_T5_PSP_SQ_PNS1_23onesweep_lookback_stateEbbT6_jjT7_P12ihipStream_tbENKUlT_T0_SE_SJ_E_clIS8_S8_S9_S9_EEDaSX_SY_SE_SJ_EUlSX_E_NS1_11comp_targetILNS1_3genE3ELNS1_11target_archE908ELNS1_3gpuE7ELNS1_3repE0EEENS1_47radix_sort_onesweep_sort_config_static_selectorELNS0_4arch9wavefront6targetE1EEEvSE_
                                        ; -- End function
	.section	.AMDGPU.csdata,"",@progbits
; Kernel info:
; codeLenInByte = 0
; NumSgprs: 4
; NumVgprs: 0
; NumAgprs: 0
; TotalNumVgprs: 0
; ScratchSize: 0
; MemoryBound: 0
; FloatMode: 240
; IeeeMode: 1
; LDSByteSize: 0 bytes/workgroup (compile time only)
; SGPRBlocks: 0
; VGPRBlocks: 0
; NumSGPRsForWavesPerEU: 4
; NumVGPRsForWavesPerEU: 1
; AccumOffset: 4
; Occupancy: 8
; WaveLimiterHint : 0
; COMPUTE_PGM_RSRC2:SCRATCH_EN: 0
; COMPUTE_PGM_RSRC2:USER_SGPR: 6
; COMPUTE_PGM_RSRC2:TRAP_HANDLER: 0
; COMPUTE_PGM_RSRC2:TGID_X_EN: 1
; COMPUTE_PGM_RSRC2:TGID_Y_EN: 0
; COMPUTE_PGM_RSRC2:TGID_Z_EN: 0
; COMPUTE_PGM_RSRC2:TIDIG_COMP_CNT: 0
; COMPUTE_PGM_RSRC3_GFX90A:ACCUM_OFFSET: 0
; COMPUTE_PGM_RSRC3_GFX90A:TG_SPLIT: 0
	.section	.text._ZN7rocprim17ROCPRIM_400000_NS6detail17trampoline_kernelINS0_14default_configENS1_35radix_sort_onesweep_config_selectorIxNS0_10empty_typeEEEZZNS1_29radix_sort_onesweep_iterationIS3_Lb1EPxS8_PS5_S9_mNS0_19identity_decomposerENS1_16block_id_wrapperIjLb0EEEEE10hipError_tT1_PNSt15iterator_traitsISE_E10value_typeET2_T3_PNSF_ISK_E10value_typeET4_T5_PSP_SQ_PNS1_23onesweep_lookback_stateEbbT6_jjT7_P12ihipStream_tbENKUlT_T0_SE_SJ_E_clIS8_S8_S9_S9_EEDaSX_SY_SE_SJ_EUlSX_E_NS1_11comp_targetILNS1_3genE10ELNS1_11target_archE1201ELNS1_3gpuE5ELNS1_3repE0EEENS1_47radix_sort_onesweep_sort_config_static_selectorELNS0_4arch9wavefront6targetE1EEEvSE_,"axG",@progbits,_ZN7rocprim17ROCPRIM_400000_NS6detail17trampoline_kernelINS0_14default_configENS1_35radix_sort_onesweep_config_selectorIxNS0_10empty_typeEEEZZNS1_29radix_sort_onesweep_iterationIS3_Lb1EPxS8_PS5_S9_mNS0_19identity_decomposerENS1_16block_id_wrapperIjLb0EEEEE10hipError_tT1_PNSt15iterator_traitsISE_E10value_typeET2_T3_PNSF_ISK_E10value_typeET4_T5_PSP_SQ_PNS1_23onesweep_lookback_stateEbbT6_jjT7_P12ihipStream_tbENKUlT_T0_SE_SJ_E_clIS8_S8_S9_S9_EEDaSX_SY_SE_SJ_EUlSX_E_NS1_11comp_targetILNS1_3genE10ELNS1_11target_archE1201ELNS1_3gpuE5ELNS1_3repE0EEENS1_47radix_sort_onesweep_sort_config_static_selectorELNS0_4arch9wavefront6targetE1EEEvSE_,comdat
	.protected	_ZN7rocprim17ROCPRIM_400000_NS6detail17trampoline_kernelINS0_14default_configENS1_35radix_sort_onesweep_config_selectorIxNS0_10empty_typeEEEZZNS1_29radix_sort_onesweep_iterationIS3_Lb1EPxS8_PS5_S9_mNS0_19identity_decomposerENS1_16block_id_wrapperIjLb0EEEEE10hipError_tT1_PNSt15iterator_traitsISE_E10value_typeET2_T3_PNSF_ISK_E10value_typeET4_T5_PSP_SQ_PNS1_23onesweep_lookback_stateEbbT6_jjT7_P12ihipStream_tbENKUlT_T0_SE_SJ_E_clIS8_S8_S9_S9_EEDaSX_SY_SE_SJ_EUlSX_E_NS1_11comp_targetILNS1_3genE10ELNS1_11target_archE1201ELNS1_3gpuE5ELNS1_3repE0EEENS1_47radix_sort_onesweep_sort_config_static_selectorELNS0_4arch9wavefront6targetE1EEEvSE_ ; -- Begin function _ZN7rocprim17ROCPRIM_400000_NS6detail17trampoline_kernelINS0_14default_configENS1_35radix_sort_onesweep_config_selectorIxNS0_10empty_typeEEEZZNS1_29radix_sort_onesweep_iterationIS3_Lb1EPxS8_PS5_S9_mNS0_19identity_decomposerENS1_16block_id_wrapperIjLb0EEEEE10hipError_tT1_PNSt15iterator_traitsISE_E10value_typeET2_T3_PNSF_ISK_E10value_typeET4_T5_PSP_SQ_PNS1_23onesweep_lookback_stateEbbT6_jjT7_P12ihipStream_tbENKUlT_T0_SE_SJ_E_clIS8_S8_S9_S9_EEDaSX_SY_SE_SJ_EUlSX_E_NS1_11comp_targetILNS1_3genE10ELNS1_11target_archE1201ELNS1_3gpuE5ELNS1_3repE0EEENS1_47radix_sort_onesweep_sort_config_static_selectorELNS0_4arch9wavefront6targetE1EEEvSE_
	.globl	_ZN7rocprim17ROCPRIM_400000_NS6detail17trampoline_kernelINS0_14default_configENS1_35radix_sort_onesweep_config_selectorIxNS0_10empty_typeEEEZZNS1_29radix_sort_onesweep_iterationIS3_Lb1EPxS8_PS5_S9_mNS0_19identity_decomposerENS1_16block_id_wrapperIjLb0EEEEE10hipError_tT1_PNSt15iterator_traitsISE_E10value_typeET2_T3_PNSF_ISK_E10value_typeET4_T5_PSP_SQ_PNS1_23onesweep_lookback_stateEbbT6_jjT7_P12ihipStream_tbENKUlT_T0_SE_SJ_E_clIS8_S8_S9_S9_EEDaSX_SY_SE_SJ_EUlSX_E_NS1_11comp_targetILNS1_3genE10ELNS1_11target_archE1201ELNS1_3gpuE5ELNS1_3repE0EEENS1_47radix_sort_onesweep_sort_config_static_selectorELNS0_4arch9wavefront6targetE1EEEvSE_
	.p2align	8
	.type	_ZN7rocprim17ROCPRIM_400000_NS6detail17trampoline_kernelINS0_14default_configENS1_35radix_sort_onesweep_config_selectorIxNS0_10empty_typeEEEZZNS1_29radix_sort_onesweep_iterationIS3_Lb1EPxS8_PS5_S9_mNS0_19identity_decomposerENS1_16block_id_wrapperIjLb0EEEEE10hipError_tT1_PNSt15iterator_traitsISE_E10value_typeET2_T3_PNSF_ISK_E10value_typeET4_T5_PSP_SQ_PNS1_23onesweep_lookback_stateEbbT6_jjT7_P12ihipStream_tbENKUlT_T0_SE_SJ_E_clIS8_S8_S9_S9_EEDaSX_SY_SE_SJ_EUlSX_E_NS1_11comp_targetILNS1_3genE10ELNS1_11target_archE1201ELNS1_3gpuE5ELNS1_3repE0EEENS1_47radix_sort_onesweep_sort_config_static_selectorELNS0_4arch9wavefront6targetE1EEEvSE_,@function
_ZN7rocprim17ROCPRIM_400000_NS6detail17trampoline_kernelINS0_14default_configENS1_35radix_sort_onesweep_config_selectorIxNS0_10empty_typeEEEZZNS1_29radix_sort_onesweep_iterationIS3_Lb1EPxS8_PS5_S9_mNS0_19identity_decomposerENS1_16block_id_wrapperIjLb0EEEEE10hipError_tT1_PNSt15iterator_traitsISE_E10value_typeET2_T3_PNSF_ISK_E10value_typeET4_T5_PSP_SQ_PNS1_23onesweep_lookback_stateEbbT6_jjT7_P12ihipStream_tbENKUlT_T0_SE_SJ_E_clIS8_S8_S9_S9_EEDaSX_SY_SE_SJ_EUlSX_E_NS1_11comp_targetILNS1_3genE10ELNS1_11target_archE1201ELNS1_3gpuE5ELNS1_3repE0EEENS1_47radix_sort_onesweep_sort_config_static_selectorELNS0_4arch9wavefront6targetE1EEEvSE_: ; @_ZN7rocprim17ROCPRIM_400000_NS6detail17trampoline_kernelINS0_14default_configENS1_35radix_sort_onesweep_config_selectorIxNS0_10empty_typeEEEZZNS1_29radix_sort_onesweep_iterationIS3_Lb1EPxS8_PS5_S9_mNS0_19identity_decomposerENS1_16block_id_wrapperIjLb0EEEEE10hipError_tT1_PNSt15iterator_traitsISE_E10value_typeET2_T3_PNSF_ISK_E10value_typeET4_T5_PSP_SQ_PNS1_23onesweep_lookback_stateEbbT6_jjT7_P12ihipStream_tbENKUlT_T0_SE_SJ_E_clIS8_S8_S9_S9_EEDaSX_SY_SE_SJ_EUlSX_E_NS1_11comp_targetILNS1_3genE10ELNS1_11target_archE1201ELNS1_3gpuE5ELNS1_3repE0EEENS1_47radix_sort_onesweep_sort_config_static_selectorELNS0_4arch9wavefront6targetE1EEEvSE_
; %bb.0:
	.section	.rodata,"a",@progbits
	.p2align	6, 0x0
	.amdhsa_kernel _ZN7rocprim17ROCPRIM_400000_NS6detail17trampoline_kernelINS0_14default_configENS1_35radix_sort_onesweep_config_selectorIxNS0_10empty_typeEEEZZNS1_29radix_sort_onesweep_iterationIS3_Lb1EPxS8_PS5_S9_mNS0_19identity_decomposerENS1_16block_id_wrapperIjLb0EEEEE10hipError_tT1_PNSt15iterator_traitsISE_E10value_typeET2_T3_PNSF_ISK_E10value_typeET4_T5_PSP_SQ_PNS1_23onesweep_lookback_stateEbbT6_jjT7_P12ihipStream_tbENKUlT_T0_SE_SJ_E_clIS8_S8_S9_S9_EEDaSX_SY_SE_SJ_EUlSX_E_NS1_11comp_targetILNS1_3genE10ELNS1_11target_archE1201ELNS1_3gpuE5ELNS1_3repE0EEENS1_47radix_sort_onesweep_sort_config_static_selectorELNS0_4arch9wavefront6targetE1EEEvSE_
		.amdhsa_group_segment_fixed_size 0
		.amdhsa_private_segment_fixed_size 0
		.amdhsa_kernarg_size 88
		.amdhsa_user_sgpr_count 6
		.amdhsa_user_sgpr_private_segment_buffer 1
		.amdhsa_user_sgpr_dispatch_ptr 0
		.amdhsa_user_sgpr_queue_ptr 0
		.amdhsa_user_sgpr_kernarg_segment_ptr 1
		.amdhsa_user_sgpr_dispatch_id 0
		.amdhsa_user_sgpr_flat_scratch_init 0
		.amdhsa_user_sgpr_kernarg_preload_length 0
		.amdhsa_user_sgpr_kernarg_preload_offset 0
		.amdhsa_user_sgpr_private_segment_size 0
		.amdhsa_uses_dynamic_stack 0
		.amdhsa_system_sgpr_private_segment_wavefront_offset 0
		.amdhsa_system_sgpr_workgroup_id_x 1
		.amdhsa_system_sgpr_workgroup_id_y 0
		.amdhsa_system_sgpr_workgroup_id_z 0
		.amdhsa_system_sgpr_workgroup_info 0
		.amdhsa_system_vgpr_workitem_id 0
		.amdhsa_next_free_vgpr 1
		.amdhsa_next_free_sgpr 0
		.amdhsa_accum_offset 4
		.amdhsa_reserve_vcc 0
		.amdhsa_reserve_flat_scratch 0
		.amdhsa_float_round_mode_32 0
		.amdhsa_float_round_mode_16_64 0
		.amdhsa_float_denorm_mode_32 3
		.amdhsa_float_denorm_mode_16_64 3
		.amdhsa_dx10_clamp 1
		.amdhsa_ieee_mode 1
		.amdhsa_fp16_overflow 0
		.amdhsa_tg_split 0
		.amdhsa_exception_fp_ieee_invalid_op 0
		.amdhsa_exception_fp_denorm_src 0
		.amdhsa_exception_fp_ieee_div_zero 0
		.amdhsa_exception_fp_ieee_overflow 0
		.amdhsa_exception_fp_ieee_underflow 0
		.amdhsa_exception_fp_ieee_inexact 0
		.amdhsa_exception_int_div_zero 0
	.end_amdhsa_kernel
	.section	.text._ZN7rocprim17ROCPRIM_400000_NS6detail17trampoline_kernelINS0_14default_configENS1_35radix_sort_onesweep_config_selectorIxNS0_10empty_typeEEEZZNS1_29radix_sort_onesweep_iterationIS3_Lb1EPxS8_PS5_S9_mNS0_19identity_decomposerENS1_16block_id_wrapperIjLb0EEEEE10hipError_tT1_PNSt15iterator_traitsISE_E10value_typeET2_T3_PNSF_ISK_E10value_typeET4_T5_PSP_SQ_PNS1_23onesweep_lookback_stateEbbT6_jjT7_P12ihipStream_tbENKUlT_T0_SE_SJ_E_clIS8_S8_S9_S9_EEDaSX_SY_SE_SJ_EUlSX_E_NS1_11comp_targetILNS1_3genE10ELNS1_11target_archE1201ELNS1_3gpuE5ELNS1_3repE0EEENS1_47radix_sort_onesweep_sort_config_static_selectorELNS0_4arch9wavefront6targetE1EEEvSE_,"axG",@progbits,_ZN7rocprim17ROCPRIM_400000_NS6detail17trampoline_kernelINS0_14default_configENS1_35radix_sort_onesweep_config_selectorIxNS0_10empty_typeEEEZZNS1_29radix_sort_onesweep_iterationIS3_Lb1EPxS8_PS5_S9_mNS0_19identity_decomposerENS1_16block_id_wrapperIjLb0EEEEE10hipError_tT1_PNSt15iterator_traitsISE_E10value_typeET2_T3_PNSF_ISK_E10value_typeET4_T5_PSP_SQ_PNS1_23onesweep_lookback_stateEbbT6_jjT7_P12ihipStream_tbENKUlT_T0_SE_SJ_E_clIS8_S8_S9_S9_EEDaSX_SY_SE_SJ_EUlSX_E_NS1_11comp_targetILNS1_3genE10ELNS1_11target_archE1201ELNS1_3gpuE5ELNS1_3repE0EEENS1_47radix_sort_onesweep_sort_config_static_selectorELNS0_4arch9wavefront6targetE1EEEvSE_,comdat
.Lfunc_end2399:
	.size	_ZN7rocprim17ROCPRIM_400000_NS6detail17trampoline_kernelINS0_14default_configENS1_35radix_sort_onesweep_config_selectorIxNS0_10empty_typeEEEZZNS1_29radix_sort_onesweep_iterationIS3_Lb1EPxS8_PS5_S9_mNS0_19identity_decomposerENS1_16block_id_wrapperIjLb0EEEEE10hipError_tT1_PNSt15iterator_traitsISE_E10value_typeET2_T3_PNSF_ISK_E10value_typeET4_T5_PSP_SQ_PNS1_23onesweep_lookback_stateEbbT6_jjT7_P12ihipStream_tbENKUlT_T0_SE_SJ_E_clIS8_S8_S9_S9_EEDaSX_SY_SE_SJ_EUlSX_E_NS1_11comp_targetILNS1_3genE10ELNS1_11target_archE1201ELNS1_3gpuE5ELNS1_3repE0EEENS1_47radix_sort_onesweep_sort_config_static_selectorELNS0_4arch9wavefront6targetE1EEEvSE_, .Lfunc_end2399-_ZN7rocprim17ROCPRIM_400000_NS6detail17trampoline_kernelINS0_14default_configENS1_35radix_sort_onesweep_config_selectorIxNS0_10empty_typeEEEZZNS1_29radix_sort_onesweep_iterationIS3_Lb1EPxS8_PS5_S9_mNS0_19identity_decomposerENS1_16block_id_wrapperIjLb0EEEEE10hipError_tT1_PNSt15iterator_traitsISE_E10value_typeET2_T3_PNSF_ISK_E10value_typeET4_T5_PSP_SQ_PNS1_23onesweep_lookback_stateEbbT6_jjT7_P12ihipStream_tbENKUlT_T0_SE_SJ_E_clIS8_S8_S9_S9_EEDaSX_SY_SE_SJ_EUlSX_E_NS1_11comp_targetILNS1_3genE10ELNS1_11target_archE1201ELNS1_3gpuE5ELNS1_3repE0EEENS1_47radix_sort_onesweep_sort_config_static_selectorELNS0_4arch9wavefront6targetE1EEEvSE_
                                        ; -- End function
	.section	.AMDGPU.csdata,"",@progbits
; Kernel info:
; codeLenInByte = 0
; NumSgprs: 4
; NumVgprs: 0
; NumAgprs: 0
; TotalNumVgprs: 0
; ScratchSize: 0
; MemoryBound: 0
; FloatMode: 240
; IeeeMode: 1
; LDSByteSize: 0 bytes/workgroup (compile time only)
; SGPRBlocks: 0
; VGPRBlocks: 0
; NumSGPRsForWavesPerEU: 4
; NumVGPRsForWavesPerEU: 1
; AccumOffset: 4
; Occupancy: 8
; WaveLimiterHint : 0
; COMPUTE_PGM_RSRC2:SCRATCH_EN: 0
; COMPUTE_PGM_RSRC2:USER_SGPR: 6
; COMPUTE_PGM_RSRC2:TRAP_HANDLER: 0
; COMPUTE_PGM_RSRC2:TGID_X_EN: 1
; COMPUTE_PGM_RSRC2:TGID_Y_EN: 0
; COMPUTE_PGM_RSRC2:TGID_Z_EN: 0
; COMPUTE_PGM_RSRC2:TIDIG_COMP_CNT: 0
; COMPUTE_PGM_RSRC3_GFX90A:ACCUM_OFFSET: 0
; COMPUTE_PGM_RSRC3_GFX90A:TG_SPLIT: 0
	.section	.text._ZN7rocprim17ROCPRIM_400000_NS6detail17trampoline_kernelINS0_14default_configENS1_35radix_sort_onesweep_config_selectorIxNS0_10empty_typeEEEZZNS1_29radix_sort_onesweep_iterationIS3_Lb1EPxS8_PS5_S9_mNS0_19identity_decomposerENS1_16block_id_wrapperIjLb0EEEEE10hipError_tT1_PNSt15iterator_traitsISE_E10value_typeET2_T3_PNSF_ISK_E10value_typeET4_T5_PSP_SQ_PNS1_23onesweep_lookback_stateEbbT6_jjT7_P12ihipStream_tbENKUlT_T0_SE_SJ_E_clIS8_S8_S9_S9_EEDaSX_SY_SE_SJ_EUlSX_E_NS1_11comp_targetILNS1_3genE9ELNS1_11target_archE1100ELNS1_3gpuE3ELNS1_3repE0EEENS1_47radix_sort_onesweep_sort_config_static_selectorELNS0_4arch9wavefront6targetE1EEEvSE_,"axG",@progbits,_ZN7rocprim17ROCPRIM_400000_NS6detail17trampoline_kernelINS0_14default_configENS1_35radix_sort_onesweep_config_selectorIxNS0_10empty_typeEEEZZNS1_29radix_sort_onesweep_iterationIS3_Lb1EPxS8_PS5_S9_mNS0_19identity_decomposerENS1_16block_id_wrapperIjLb0EEEEE10hipError_tT1_PNSt15iterator_traitsISE_E10value_typeET2_T3_PNSF_ISK_E10value_typeET4_T5_PSP_SQ_PNS1_23onesweep_lookback_stateEbbT6_jjT7_P12ihipStream_tbENKUlT_T0_SE_SJ_E_clIS8_S8_S9_S9_EEDaSX_SY_SE_SJ_EUlSX_E_NS1_11comp_targetILNS1_3genE9ELNS1_11target_archE1100ELNS1_3gpuE3ELNS1_3repE0EEENS1_47radix_sort_onesweep_sort_config_static_selectorELNS0_4arch9wavefront6targetE1EEEvSE_,comdat
	.protected	_ZN7rocprim17ROCPRIM_400000_NS6detail17trampoline_kernelINS0_14default_configENS1_35radix_sort_onesweep_config_selectorIxNS0_10empty_typeEEEZZNS1_29radix_sort_onesweep_iterationIS3_Lb1EPxS8_PS5_S9_mNS0_19identity_decomposerENS1_16block_id_wrapperIjLb0EEEEE10hipError_tT1_PNSt15iterator_traitsISE_E10value_typeET2_T3_PNSF_ISK_E10value_typeET4_T5_PSP_SQ_PNS1_23onesweep_lookback_stateEbbT6_jjT7_P12ihipStream_tbENKUlT_T0_SE_SJ_E_clIS8_S8_S9_S9_EEDaSX_SY_SE_SJ_EUlSX_E_NS1_11comp_targetILNS1_3genE9ELNS1_11target_archE1100ELNS1_3gpuE3ELNS1_3repE0EEENS1_47radix_sort_onesweep_sort_config_static_selectorELNS0_4arch9wavefront6targetE1EEEvSE_ ; -- Begin function _ZN7rocprim17ROCPRIM_400000_NS6detail17trampoline_kernelINS0_14default_configENS1_35radix_sort_onesweep_config_selectorIxNS0_10empty_typeEEEZZNS1_29radix_sort_onesweep_iterationIS3_Lb1EPxS8_PS5_S9_mNS0_19identity_decomposerENS1_16block_id_wrapperIjLb0EEEEE10hipError_tT1_PNSt15iterator_traitsISE_E10value_typeET2_T3_PNSF_ISK_E10value_typeET4_T5_PSP_SQ_PNS1_23onesweep_lookback_stateEbbT6_jjT7_P12ihipStream_tbENKUlT_T0_SE_SJ_E_clIS8_S8_S9_S9_EEDaSX_SY_SE_SJ_EUlSX_E_NS1_11comp_targetILNS1_3genE9ELNS1_11target_archE1100ELNS1_3gpuE3ELNS1_3repE0EEENS1_47radix_sort_onesweep_sort_config_static_selectorELNS0_4arch9wavefront6targetE1EEEvSE_
	.globl	_ZN7rocprim17ROCPRIM_400000_NS6detail17trampoline_kernelINS0_14default_configENS1_35radix_sort_onesweep_config_selectorIxNS0_10empty_typeEEEZZNS1_29radix_sort_onesweep_iterationIS3_Lb1EPxS8_PS5_S9_mNS0_19identity_decomposerENS1_16block_id_wrapperIjLb0EEEEE10hipError_tT1_PNSt15iterator_traitsISE_E10value_typeET2_T3_PNSF_ISK_E10value_typeET4_T5_PSP_SQ_PNS1_23onesweep_lookback_stateEbbT6_jjT7_P12ihipStream_tbENKUlT_T0_SE_SJ_E_clIS8_S8_S9_S9_EEDaSX_SY_SE_SJ_EUlSX_E_NS1_11comp_targetILNS1_3genE9ELNS1_11target_archE1100ELNS1_3gpuE3ELNS1_3repE0EEENS1_47radix_sort_onesweep_sort_config_static_selectorELNS0_4arch9wavefront6targetE1EEEvSE_
	.p2align	8
	.type	_ZN7rocprim17ROCPRIM_400000_NS6detail17trampoline_kernelINS0_14default_configENS1_35radix_sort_onesweep_config_selectorIxNS0_10empty_typeEEEZZNS1_29radix_sort_onesweep_iterationIS3_Lb1EPxS8_PS5_S9_mNS0_19identity_decomposerENS1_16block_id_wrapperIjLb0EEEEE10hipError_tT1_PNSt15iterator_traitsISE_E10value_typeET2_T3_PNSF_ISK_E10value_typeET4_T5_PSP_SQ_PNS1_23onesweep_lookback_stateEbbT6_jjT7_P12ihipStream_tbENKUlT_T0_SE_SJ_E_clIS8_S8_S9_S9_EEDaSX_SY_SE_SJ_EUlSX_E_NS1_11comp_targetILNS1_3genE9ELNS1_11target_archE1100ELNS1_3gpuE3ELNS1_3repE0EEENS1_47radix_sort_onesweep_sort_config_static_selectorELNS0_4arch9wavefront6targetE1EEEvSE_,@function
_ZN7rocprim17ROCPRIM_400000_NS6detail17trampoline_kernelINS0_14default_configENS1_35radix_sort_onesweep_config_selectorIxNS0_10empty_typeEEEZZNS1_29radix_sort_onesweep_iterationIS3_Lb1EPxS8_PS5_S9_mNS0_19identity_decomposerENS1_16block_id_wrapperIjLb0EEEEE10hipError_tT1_PNSt15iterator_traitsISE_E10value_typeET2_T3_PNSF_ISK_E10value_typeET4_T5_PSP_SQ_PNS1_23onesweep_lookback_stateEbbT6_jjT7_P12ihipStream_tbENKUlT_T0_SE_SJ_E_clIS8_S8_S9_S9_EEDaSX_SY_SE_SJ_EUlSX_E_NS1_11comp_targetILNS1_3genE9ELNS1_11target_archE1100ELNS1_3gpuE3ELNS1_3repE0EEENS1_47radix_sort_onesweep_sort_config_static_selectorELNS0_4arch9wavefront6targetE1EEEvSE_: ; @_ZN7rocprim17ROCPRIM_400000_NS6detail17trampoline_kernelINS0_14default_configENS1_35radix_sort_onesweep_config_selectorIxNS0_10empty_typeEEEZZNS1_29radix_sort_onesweep_iterationIS3_Lb1EPxS8_PS5_S9_mNS0_19identity_decomposerENS1_16block_id_wrapperIjLb0EEEEE10hipError_tT1_PNSt15iterator_traitsISE_E10value_typeET2_T3_PNSF_ISK_E10value_typeET4_T5_PSP_SQ_PNS1_23onesweep_lookback_stateEbbT6_jjT7_P12ihipStream_tbENKUlT_T0_SE_SJ_E_clIS8_S8_S9_S9_EEDaSX_SY_SE_SJ_EUlSX_E_NS1_11comp_targetILNS1_3genE9ELNS1_11target_archE1100ELNS1_3gpuE3ELNS1_3repE0EEENS1_47radix_sort_onesweep_sort_config_static_selectorELNS0_4arch9wavefront6targetE1EEEvSE_
; %bb.0:
	.section	.rodata,"a",@progbits
	.p2align	6, 0x0
	.amdhsa_kernel _ZN7rocprim17ROCPRIM_400000_NS6detail17trampoline_kernelINS0_14default_configENS1_35radix_sort_onesweep_config_selectorIxNS0_10empty_typeEEEZZNS1_29radix_sort_onesweep_iterationIS3_Lb1EPxS8_PS5_S9_mNS0_19identity_decomposerENS1_16block_id_wrapperIjLb0EEEEE10hipError_tT1_PNSt15iterator_traitsISE_E10value_typeET2_T3_PNSF_ISK_E10value_typeET4_T5_PSP_SQ_PNS1_23onesweep_lookback_stateEbbT6_jjT7_P12ihipStream_tbENKUlT_T0_SE_SJ_E_clIS8_S8_S9_S9_EEDaSX_SY_SE_SJ_EUlSX_E_NS1_11comp_targetILNS1_3genE9ELNS1_11target_archE1100ELNS1_3gpuE3ELNS1_3repE0EEENS1_47radix_sort_onesweep_sort_config_static_selectorELNS0_4arch9wavefront6targetE1EEEvSE_
		.amdhsa_group_segment_fixed_size 0
		.amdhsa_private_segment_fixed_size 0
		.amdhsa_kernarg_size 88
		.amdhsa_user_sgpr_count 6
		.amdhsa_user_sgpr_private_segment_buffer 1
		.amdhsa_user_sgpr_dispatch_ptr 0
		.amdhsa_user_sgpr_queue_ptr 0
		.amdhsa_user_sgpr_kernarg_segment_ptr 1
		.amdhsa_user_sgpr_dispatch_id 0
		.amdhsa_user_sgpr_flat_scratch_init 0
		.amdhsa_user_sgpr_kernarg_preload_length 0
		.amdhsa_user_sgpr_kernarg_preload_offset 0
		.amdhsa_user_sgpr_private_segment_size 0
		.amdhsa_uses_dynamic_stack 0
		.amdhsa_system_sgpr_private_segment_wavefront_offset 0
		.amdhsa_system_sgpr_workgroup_id_x 1
		.amdhsa_system_sgpr_workgroup_id_y 0
		.amdhsa_system_sgpr_workgroup_id_z 0
		.amdhsa_system_sgpr_workgroup_info 0
		.amdhsa_system_vgpr_workitem_id 0
		.amdhsa_next_free_vgpr 1
		.amdhsa_next_free_sgpr 0
		.amdhsa_accum_offset 4
		.amdhsa_reserve_vcc 0
		.amdhsa_reserve_flat_scratch 0
		.amdhsa_float_round_mode_32 0
		.amdhsa_float_round_mode_16_64 0
		.amdhsa_float_denorm_mode_32 3
		.amdhsa_float_denorm_mode_16_64 3
		.amdhsa_dx10_clamp 1
		.amdhsa_ieee_mode 1
		.amdhsa_fp16_overflow 0
		.amdhsa_tg_split 0
		.amdhsa_exception_fp_ieee_invalid_op 0
		.amdhsa_exception_fp_denorm_src 0
		.amdhsa_exception_fp_ieee_div_zero 0
		.amdhsa_exception_fp_ieee_overflow 0
		.amdhsa_exception_fp_ieee_underflow 0
		.amdhsa_exception_fp_ieee_inexact 0
		.amdhsa_exception_int_div_zero 0
	.end_amdhsa_kernel
	.section	.text._ZN7rocprim17ROCPRIM_400000_NS6detail17trampoline_kernelINS0_14default_configENS1_35radix_sort_onesweep_config_selectorIxNS0_10empty_typeEEEZZNS1_29radix_sort_onesweep_iterationIS3_Lb1EPxS8_PS5_S9_mNS0_19identity_decomposerENS1_16block_id_wrapperIjLb0EEEEE10hipError_tT1_PNSt15iterator_traitsISE_E10value_typeET2_T3_PNSF_ISK_E10value_typeET4_T5_PSP_SQ_PNS1_23onesweep_lookback_stateEbbT6_jjT7_P12ihipStream_tbENKUlT_T0_SE_SJ_E_clIS8_S8_S9_S9_EEDaSX_SY_SE_SJ_EUlSX_E_NS1_11comp_targetILNS1_3genE9ELNS1_11target_archE1100ELNS1_3gpuE3ELNS1_3repE0EEENS1_47radix_sort_onesweep_sort_config_static_selectorELNS0_4arch9wavefront6targetE1EEEvSE_,"axG",@progbits,_ZN7rocprim17ROCPRIM_400000_NS6detail17trampoline_kernelINS0_14default_configENS1_35radix_sort_onesweep_config_selectorIxNS0_10empty_typeEEEZZNS1_29radix_sort_onesweep_iterationIS3_Lb1EPxS8_PS5_S9_mNS0_19identity_decomposerENS1_16block_id_wrapperIjLb0EEEEE10hipError_tT1_PNSt15iterator_traitsISE_E10value_typeET2_T3_PNSF_ISK_E10value_typeET4_T5_PSP_SQ_PNS1_23onesweep_lookback_stateEbbT6_jjT7_P12ihipStream_tbENKUlT_T0_SE_SJ_E_clIS8_S8_S9_S9_EEDaSX_SY_SE_SJ_EUlSX_E_NS1_11comp_targetILNS1_3genE9ELNS1_11target_archE1100ELNS1_3gpuE3ELNS1_3repE0EEENS1_47radix_sort_onesweep_sort_config_static_selectorELNS0_4arch9wavefront6targetE1EEEvSE_,comdat
.Lfunc_end2400:
	.size	_ZN7rocprim17ROCPRIM_400000_NS6detail17trampoline_kernelINS0_14default_configENS1_35radix_sort_onesweep_config_selectorIxNS0_10empty_typeEEEZZNS1_29radix_sort_onesweep_iterationIS3_Lb1EPxS8_PS5_S9_mNS0_19identity_decomposerENS1_16block_id_wrapperIjLb0EEEEE10hipError_tT1_PNSt15iterator_traitsISE_E10value_typeET2_T3_PNSF_ISK_E10value_typeET4_T5_PSP_SQ_PNS1_23onesweep_lookback_stateEbbT6_jjT7_P12ihipStream_tbENKUlT_T0_SE_SJ_E_clIS8_S8_S9_S9_EEDaSX_SY_SE_SJ_EUlSX_E_NS1_11comp_targetILNS1_3genE9ELNS1_11target_archE1100ELNS1_3gpuE3ELNS1_3repE0EEENS1_47radix_sort_onesweep_sort_config_static_selectorELNS0_4arch9wavefront6targetE1EEEvSE_, .Lfunc_end2400-_ZN7rocprim17ROCPRIM_400000_NS6detail17trampoline_kernelINS0_14default_configENS1_35radix_sort_onesweep_config_selectorIxNS0_10empty_typeEEEZZNS1_29radix_sort_onesweep_iterationIS3_Lb1EPxS8_PS5_S9_mNS0_19identity_decomposerENS1_16block_id_wrapperIjLb0EEEEE10hipError_tT1_PNSt15iterator_traitsISE_E10value_typeET2_T3_PNSF_ISK_E10value_typeET4_T5_PSP_SQ_PNS1_23onesweep_lookback_stateEbbT6_jjT7_P12ihipStream_tbENKUlT_T0_SE_SJ_E_clIS8_S8_S9_S9_EEDaSX_SY_SE_SJ_EUlSX_E_NS1_11comp_targetILNS1_3genE9ELNS1_11target_archE1100ELNS1_3gpuE3ELNS1_3repE0EEENS1_47radix_sort_onesweep_sort_config_static_selectorELNS0_4arch9wavefront6targetE1EEEvSE_
                                        ; -- End function
	.section	.AMDGPU.csdata,"",@progbits
; Kernel info:
; codeLenInByte = 0
; NumSgprs: 4
; NumVgprs: 0
; NumAgprs: 0
; TotalNumVgprs: 0
; ScratchSize: 0
; MemoryBound: 0
; FloatMode: 240
; IeeeMode: 1
; LDSByteSize: 0 bytes/workgroup (compile time only)
; SGPRBlocks: 0
; VGPRBlocks: 0
; NumSGPRsForWavesPerEU: 4
; NumVGPRsForWavesPerEU: 1
; AccumOffset: 4
; Occupancy: 8
; WaveLimiterHint : 0
; COMPUTE_PGM_RSRC2:SCRATCH_EN: 0
; COMPUTE_PGM_RSRC2:USER_SGPR: 6
; COMPUTE_PGM_RSRC2:TRAP_HANDLER: 0
; COMPUTE_PGM_RSRC2:TGID_X_EN: 1
; COMPUTE_PGM_RSRC2:TGID_Y_EN: 0
; COMPUTE_PGM_RSRC2:TGID_Z_EN: 0
; COMPUTE_PGM_RSRC2:TIDIG_COMP_CNT: 0
; COMPUTE_PGM_RSRC3_GFX90A:ACCUM_OFFSET: 0
; COMPUTE_PGM_RSRC3_GFX90A:TG_SPLIT: 0
	.section	.text._ZN7rocprim17ROCPRIM_400000_NS6detail17trampoline_kernelINS0_14default_configENS1_35radix_sort_onesweep_config_selectorIxNS0_10empty_typeEEEZZNS1_29radix_sort_onesweep_iterationIS3_Lb1EPxS8_PS5_S9_mNS0_19identity_decomposerENS1_16block_id_wrapperIjLb0EEEEE10hipError_tT1_PNSt15iterator_traitsISE_E10value_typeET2_T3_PNSF_ISK_E10value_typeET4_T5_PSP_SQ_PNS1_23onesweep_lookback_stateEbbT6_jjT7_P12ihipStream_tbENKUlT_T0_SE_SJ_E_clIS8_S8_S9_S9_EEDaSX_SY_SE_SJ_EUlSX_E_NS1_11comp_targetILNS1_3genE8ELNS1_11target_archE1030ELNS1_3gpuE2ELNS1_3repE0EEENS1_47radix_sort_onesweep_sort_config_static_selectorELNS0_4arch9wavefront6targetE1EEEvSE_,"axG",@progbits,_ZN7rocprim17ROCPRIM_400000_NS6detail17trampoline_kernelINS0_14default_configENS1_35radix_sort_onesweep_config_selectorIxNS0_10empty_typeEEEZZNS1_29radix_sort_onesweep_iterationIS3_Lb1EPxS8_PS5_S9_mNS0_19identity_decomposerENS1_16block_id_wrapperIjLb0EEEEE10hipError_tT1_PNSt15iterator_traitsISE_E10value_typeET2_T3_PNSF_ISK_E10value_typeET4_T5_PSP_SQ_PNS1_23onesweep_lookback_stateEbbT6_jjT7_P12ihipStream_tbENKUlT_T0_SE_SJ_E_clIS8_S8_S9_S9_EEDaSX_SY_SE_SJ_EUlSX_E_NS1_11comp_targetILNS1_3genE8ELNS1_11target_archE1030ELNS1_3gpuE2ELNS1_3repE0EEENS1_47radix_sort_onesweep_sort_config_static_selectorELNS0_4arch9wavefront6targetE1EEEvSE_,comdat
	.protected	_ZN7rocprim17ROCPRIM_400000_NS6detail17trampoline_kernelINS0_14default_configENS1_35radix_sort_onesweep_config_selectorIxNS0_10empty_typeEEEZZNS1_29radix_sort_onesweep_iterationIS3_Lb1EPxS8_PS5_S9_mNS0_19identity_decomposerENS1_16block_id_wrapperIjLb0EEEEE10hipError_tT1_PNSt15iterator_traitsISE_E10value_typeET2_T3_PNSF_ISK_E10value_typeET4_T5_PSP_SQ_PNS1_23onesweep_lookback_stateEbbT6_jjT7_P12ihipStream_tbENKUlT_T0_SE_SJ_E_clIS8_S8_S9_S9_EEDaSX_SY_SE_SJ_EUlSX_E_NS1_11comp_targetILNS1_3genE8ELNS1_11target_archE1030ELNS1_3gpuE2ELNS1_3repE0EEENS1_47radix_sort_onesweep_sort_config_static_selectorELNS0_4arch9wavefront6targetE1EEEvSE_ ; -- Begin function _ZN7rocprim17ROCPRIM_400000_NS6detail17trampoline_kernelINS0_14default_configENS1_35radix_sort_onesweep_config_selectorIxNS0_10empty_typeEEEZZNS1_29radix_sort_onesweep_iterationIS3_Lb1EPxS8_PS5_S9_mNS0_19identity_decomposerENS1_16block_id_wrapperIjLb0EEEEE10hipError_tT1_PNSt15iterator_traitsISE_E10value_typeET2_T3_PNSF_ISK_E10value_typeET4_T5_PSP_SQ_PNS1_23onesweep_lookback_stateEbbT6_jjT7_P12ihipStream_tbENKUlT_T0_SE_SJ_E_clIS8_S8_S9_S9_EEDaSX_SY_SE_SJ_EUlSX_E_NS1_11comp_targetILNS1_3genE8ELNS1_11target_archE1030ELNS1_3gpuE2ELNS1_3repE0EEENS1_47radix_sort_onesweep_sort_config_static_selectorELNS0_4arch9wavefront6targetE1EEEvSE_
	.globl	_ZN7rocprim17ROCPRIM_400000_NS6detail17trampoline_kernelINS0_14default_configENS1_35radix_sort_onesweep_config_selectorIxNS0_10empty_typeEEEZZNS1_29radix_sort_onesweep_iterationIS3_Lb1EPxS8_PS5_S9_mNS0_19identity_decomposerENS1_16block_id_wrapperIjLb0EEEEE10hipError_tT1_PNSt15iterator_traitsISE_E10value_typeET2_T3_PNSF_ISK_E10value_typeET4_T5_PSP_SQ_PNS1_23onesweep_lookback_stateEbbT6_jjT7_P12ihipStream_tbENKUlT_T0_SE_SJ_E_clIS8_S8_S9_S9_EEDaSX_SY_SE_SJ_EUlSX_E_NS1_11comp_targetILNS1_3genE8ELNS1_11target_archE1030ELNS1_3gpuE2ELNS1_3repE0EEENS1_47radix_sort_onesweep_sort_config_static_selectorELNS0_4arch9wavefront6targetE1EEEvSE_
	.p2align	8
	.type	_ZN7rocprim17ROCPRIM_400000_NS6detail17trampoline_kernelINS0_14default_configENS1_35radix_sort_onesweep_config_selectorIxNS0_10empty_typeEEEZZNS1_29radix_sort_onesweep_iterationIS3_Lb1EPxS8_PS5_S9_mNS0_19identity_decomposerENS1_16block_id_wrapperIjLb0EEEEE10hipError_tT1_PNSt15iterator_traitsISE_E10value_typeET2_T3_PNSF_ISK_E10value_typeET4_T5_PSP_SQ_PNS1_23onesweep_lookback_stateEbbT6_jjT7_P12ihipStream_tbENKUlT_T0_SE_SJ_E_clIS8_S8_S9_S9_EEDaSX_SY_SE_SJ_EUlSX_E_NS1_11comp_targetILNS1_3genE8ELNS1_11target_archE1030ELNS1_3gpuE2ELNS1_3repE0EEENS1_47radix_sort_onesweep_sort_config_static_selectorELNS0_4arch9wavefront6targetE1EEEvSE_,@function
_ZN7rocprim17ROCPRIM_400000_NS6detail17trampoline_kernelINS0_14default_configENS1_35radix_sort_onesweep_config_selectorIxNS0_10empty_typeEEEZZNS1_29radix_sort_onesweep_iterationIS3_Lb1EPxS8_PS5_S9_mNS0_19identity_decomposerENS1_16block_id_wrapperIjLb0EEEEE10hipError_tT1_PNSt15iterator_traitsISE_E10value_typeET2_T3_PNSF_ISK_E10value_typeET4_T5_PSP_SQ_PNS1_23onesweep_lookback_stateEbbT6_jjT7_P12ihipStream_tbENKUlT_T0_SE_SJ_E_clIS8_S8_S9_S9_EEDaSX_SY_SE_SJ_EUlSX_E_NS1_11comp_targetILNS1_3genE8ELNS1_11target_archE1030ELNS1_3gpuE2ELNS1_3repE0EEENS1_47radix_sort_onesweep_sort_config_static_selectorELNS0_4arch9wavefront6targetE1EEEvSE_: ; @_ZN7rocprim17ROCPRIM_400000_NS6detail17trampoline_kernelINS0_14default_configENS1_35radix_sort_onesweep_config_selectorIxNS0_10empty_typeEEEZZNS1_29radix_sort_onesweep_iterationIS3_Lb1EPxS8_PS5_S9_mNS0_19identity_decomposerENS1_16block_id_wrapperIjLb0EEEEE10hipError_tT1_PNSt15iterator_traitsISE_E10value_typeET2_T3_PNSF_ISK_E10value_typeET4_T5_PSP_SQ_PNS1_23onesweep_lookback_stateEbbT6_jjT7_P12ihipStream_tbENKUlT_T0_SE_SJ_E_clIS8_S8_S9_S9_EEDaSX_SY_SE_SJ_EUlSX_E_NS1_11comp_targetILNS1_3genE8ELNS1_11target_archE1030ELNS1_3gpuE2ELNS1_3repE0EEENS1_47radix_sort_onesweep_sort_config_static_selectorELNS0_4arch9wavefront6targetE1EEEvSE_
; %bb.0:
	.section	.rodata,"a",@progbits
	.p2align	6, 0x0
	.amdhsa_kernel _ZN7rocprim17ROCPRIM_400000_NS6detail17trampoline_kernelINS0_14default_configENS1_35radix_sort_onesweep_config_selectorIxNS0_10empty_typeEEEZZNS1_29radix_sort_onesweep_iterationIS3_Lb1EPxS8_PS5_S9_mNS0_19identity_decomposerENS1_16block_id_wrapperIjLb0EEEEE10hipError_tT1_PNSt15iterator_traitsISE_E10value_typeET2_T3_PNSF_ISK_E10value_typeET4_T5_PSP_SQ_PNS1_23onesweep_lookback_stateEbbT6_jjT7_P12ihipStream_tbENKUlT_T0_SE_SJ_E_clIS8_S8_S9_S9_EEDaSX_SY_SE_SJ_EUlSX_E_NS1_11comp_targetILNS1_3genE8ELNS1_11target_archE1030ELNS1_3gpuE2ELNS1_3repE0EEENS1_47radix_sort_onesweep_sort_config_static_selectorELNS0_4arch9wavefront6targetE1EEEvSE_
		.amdhsa_group_segment_fixed_size 0
		.amdhsa_private_segment_fixed_size 0
		.amdhsa_kernarg_size 88
		.amdhsa_user_sgpr_count 6
		.amdhsa_user_sgpr_private_segment_buffer 1
		.amdhsa_user_sgpr_dispatch_ptr 0
		.amdhsa_user_sgpr_queue_ptr 0
		.amdhsa_user_sgpr_kernarg_segment_ptr 1
		.amdhsa_user_sgpr_dispatch_id 0
		.amdhsa_user_sgpr_flat_scratch_init 0
		.amdhsa_user_sgpr_kernarg_preload_length 0
		.amdhsa_user_sgpr_kernarg_preload_offset 0
		.amdhsa_user_sgpr_private_segment_size 0
		.amdhsa_uses_dynamic_stack 0
		.amdhsa_system_sgpr_private_segment_wavefront_offset 0
		.amdhsa_system_sgpr_workgroup_id_x 1
		.amdhsa_system_sgpr_workgroup_id_y 0
		.amdhsa_system_sgpr_workgroup_id_z 0
		.amdhsa_system_sgpr_workgroup_info 0
		.amdhsa_system_vgpr_workitem_id 0
		.amdhsa_next_free_vgpr 1
		.amdhsa_next_free_sgpr 0
		.amdhsa_accum_offset 4
		.amdhsa_reserve_vcc 0
		.amdhsa_reserve_flat_scratch 0
		.amdhsa_float_round_mode_32 0
		.amdhsa_float_round_mode_16_64 0
		.amdhsa_float_denorm_mode_32 3
		.amdhsa_float_denorm_mode_16_64 3
		.amdhsa_dx10_clamp 1
		.amdhsa_ieee_mode 1
		.amdhsa_fp16_overflow 0
		.amdhsa_tg_split 0
		.amdhsa_exception_fp_ieee_invalid_op 0
		.amdhsa_exception_fp_denorm_src 0
		.amdhsa_exception_fp_ieee_div_zero 0
		.amdhsa_exception_fp_ieee_overflow 0
		.amdhsa_exception_fp_ieee_underflow 0
		.amdhsa_exception_fp_ieee_inexact 0
		.amdhsa_exception_int_div_zero 0
	.end_amdhsa_kernel
	.section	.text._ZN7rocprim17ROCPRIM_400000_NS6detail17trampoline_kernelINS0_14default_configENS1_35radix_sort_onesweep_config_selectorIxNS0_10empty_typeEEEZZNS1_29radix_sort_onesweep_iterationIS3_Lb1EPxS8_PS5_S9_mNS0_19identity_decomposerENS1_16block_id_wrapperIjLb0EEEEE10hipError_tT1_PNSt15iterator_traitsISE_E10value_typeET2_T3_PNSF_ISK_E10value_typeET4_T5_PSP_SQ_PNS1_23onesweep_lookback_stateEbbT6_jjT7_P12ihipStream_tbENKUlT_T0_SE_SJ_E_clIS8_S8_S9_S9_EEDaSX_SY_SE_SJ_EUlSX_E_NS1_11comp_targetILNS1_3genE8ELNS1_11target_archE1030ELNS1_3gpuE2ELNS1_3repE0EEENS1_47radix_sort_onesweep_sort_config_static_selectorELNS0_4arch9wavefront6targetE1EEEvSE_,"axG",@progbits,_ZN7rocprim17ROCPRIM_400000_NS6detail17trampoline_kernelINS0_14default_configENS1_35radix_sort_onesweep_config_selectorIxNS0_10empty_typeEEEZZNS1_29radix_sort_onesweep_iterationIS3_Lb1EPxS8_PS5_S9_mNS0_19identity_decomposerENS1_16block_id_wrapperIjLb0EEEEE10hipError_tT1_PNSt15iterator_traitsISE_E10value_typeET2_T3_PNSF_ISK_E10value_typeET4_T5_PSP_SQ_PNS1_23onesweep_lookback_stateEbbT6_jjT7_P12ihipStream_tbENKUlT_T0_SE_SJ_E_clIS8_S8_S9_S9_EEDaSX_SY_SE_SJ_EUlSX_E_NS1_11comp_targetILNS1_3genE8ELNS1_11target_archE1030ELNS1_3gpuE2ELNS1_3repE0EEENS1_47radix_sort_onesweep_sort_config_static_selectorELNS0_4arch9wavefront6targetE1EEEvSE_,comdat
.Lfunc_end2401:
	.size	_ZN7rocprim17ROCPRIM_400000_NS6detail17trampoline_kernelINS0_14default_configENS1_35radix_sort_onesweep_config_selectorIxNS0_10empty_typeEEEZZNS1_29radix_sort_onesweep_iterationIS3_Lb1EPxS8_PS5_S9_mNS0_19identity_decomposerENS1_16block_id_wrapperIjLb0EEEEE10hipError_tT1_PNSt15iterator_traitsISE_E10value_typeET2_T3_PNSF_ISK_E10value_typeET4_T5_PSP_SQ_PNS1_23onesweep_lookback_stateEbbT6_jjT7_P12ihipStream_tbENKUlT_T0_SE_SJ_E_clIS8_S8_S9_S9_EEDaSX_SY_SE_SJ_EUlSX_E_NS1_11comp_targetILNS1_3genE8ELNS1_11target_archE1030ELNS1_3gpuE2ELNS1_3repE0EEENS1_47radix_sort_onesweep_sort_config_static_selectorELNS0_4arch9wavefront6targetE1EEEvSE_, .Lfunc_end2401-_ZN7rocprim17ROCPRIM_400000_NS6detail17trampoline_kernelINS0_14default_configENS1_35radix_sort_onesweep_config_selectorIxNS0_10empty_typeEEEZZNS1_29radix_sort_onesweep_iterationIS3_Lb1EPxS8_PS5_S9_mNS0_19identity_decomposerENS1_16block_id_wrapperIjLb0EEEEE10hipError_tT1_PNSt15iterator_traitsISE_E10value_typeET2_T3_PNSF_ISK_E10value_typeET4_T5_PSP_SQ_PNS1_23onesweep_lookback_stateEbbT6_jjT7_P12ihipStream_tbENKUlT_T0_SE_SJ_E_clIS8_S8_S9_S9_EEDaSX_SY_SE_SJ_EUlSX_E_NS1_11comp_targetILNS1_3genE8ELNS1_11target_archE1030ELNS1_3gpuE2ELNS1_3repE0EEENS1_47radix_sort_onesweep_sort_config_static_selectorELNS0_4arch9wavefront6targetE1EEEvSE_
                                        ; -- End function
	.section	.AMDGPU.csdata,"",@progbits
; Kernel info:
; codeLenInByte = 0
; NumSgprs: 4
; NumVgprs: 0
; NumAgprs: 0
; TotalNumVgprs: 0
; ScratchSize: 0
; MemoryBound: 0
; FloatMode: 240
; IeeeMode: 1
; LDSByteSize: 0 bytes/workgroup (compile time only)
; SGPRBlocks: 0
; VGPRBlocks: 0
; NumSGPRsForWavesPerEU: 4
; NumVGPRsForWavesPerEU: 1
; AccumOffset: 4
; Occupancy: 8
; WaveLimiterHint : 0
; COMPUTE_PGM_RSRC2:SCRATCH_EN: 0
; COMPUTE_PGM_RSRC2:USER_SGPR: 6
; COMPUTE_PGM_RSRC2:TRAP_HANDLER: 0
; COMPUTE_PGM_RSRC2:TGID_X_EN: 1
; COMPUTE_PGM_RSRC2:TGID_Y_EN: 0
; COMPUTE_PGM_RSRC2:TGID_Z_EN: 0
; COMPUTE_PGM_RSRC2:TIDIG_COMP_CNT: 0
; COMPUTE_PGM_RSRC3_GFX90A:ACCUM_OFFSET: 0
; COMPUTE_PGM_RSRC3_GFX90A:TG_SPLIT: 0
	.section	.text._ZN7rocprim17ROCPRIM_400000_NS6detail17trampoline_kernelINS0_13kernel_configILj256ELj4ELj4294967295EEENS1_37radix_sort_block_sort_config_selectorIyNS0_10empty_typeEEEZNS1_21radix_sort_block_sortIS4_Lb1EPyS9_PS6_SA_NS0_19identity_decomposerEEE10hipError_tT1_T2_T3_T4_jRjT5_jjP12ihipStream_tbEUlT_E_NS1_11comp_targetILNS1_3genE0ELNS1_11target_archE4294967295ELNS1_3gpuE0ELNS1_3repE0EEENS1_44radix_sort_block_sort_config_static_selectorELNS0_4arch9wavefront6targetE1EEEvSD_,"axG",@progbits,_ZN7rocprim17ROCPRIM_400000_NS6detail17trampoline_kernelINS0_13kernel_configILj256ELj4ELj4294967295EEENS1_37radix_sort_block_sort_config_selectorIyNS0_10empty_typeEEEZNS1_21radix_sort_block_sortIS4_Lb1EPyS9_PS6_SA_NS0_19identity_decomposerEEE10hipError_tT1_T2_T3_T4_jRjT5_jjP12ihipStream_tbEUlT_E_NS1_11comp_targetILNS1_3genE0ELNS1_11target_archE4294967295ELNS1_3gpuE0ELNS1_3repE0EEENS1_44radix_sort_block_sort_config_static_selectorELNS0_4arch9wavefront6targetE1EEEvSD_,comdat
	.protected	_ZN7rocprim17ROCPRIM_400000_NS6detail17trampoline_kernelINS0_13kernel_configILj256ELj4ELj4294967295EEENS1_37radix_sort_block_sort_config_selectorIyNS0_10empty_typeEEEZNS1_21radix_sort_block_sortIS4_Lb1EPyS9_PS6_SA_NS0_19identity_decomposerEEE10hipError_tT1_T2_T3_T4_jRjT5_jjP12ihipStream_tbEUlT_E_NS1_11comp_targetILNS1_3genE0ELNS1_11target_archE4294967295ELNS1_3gpuE0ELNS1_3repE0EEENS1_44radix_sort_block_sort_config_static_selectorELNS0_4arch9wavefront6targetE1EEEvSD_ ; -- Begin function _ZN7rocprim17ROCPRIM_400000_NS6detail17trampoline_kernelINS0_13kernel_configILj256ELj4ELj4294967295EEENS1_37radix_sort_block_sort_config_selectorIyNS0_10empty_typeEEEZNS1_21radix_sort_block_sortIS4_Lb1EPyS9_PS6_SA_NS0_19identity_decomposerEEE10hipError_tT1_T2_T3_T4_jRjT5_jjP12ihipStream_tbEUlT_E_NS1_11comp_targetILNS1_3genE0ELNS1_11target_archE4294967295ELNS1_3gpuE0ELNS1_3repE0EEENS1_44radix_sort_block_sort_config_static_selectorELNS0_4arch9wavefront6targetE1EEEvSD_
	.globl	_ZN7rocprim17ROCPRIM_400000_NS6detail17trampoline_kernelINS0_13kernel_configILj256ELj4ELj4294967295EEENS1_37radix_sort_block_sort_config_selectorIyNS0_10empty_typeEEEZNS1_21radix_sort_block_sortIS4_Lb1EPyS9_PS6_SA_NS0_19identity_decomposerEEE10hipError_tT1_T2_T3_T4_jRjT5_jjP12ihipStream_tbEUlT_E_NS1_11comp_targetILNS1_3genE0ELNS1_11target_archE4294967295ELNS1_3gpuE0ELNS1_3repE0EEENS1_44radix_sort_block_sort_config_static_selectorELNS0_4arch9wavefront6targetE1EEEvSD_
	.p2align	8
	.type	_ZN7rocprim17ROCPRIM_400000_NS6detail17trampoline_kernelINS0_13kernel_configILj256ELj4ELj4294967295EEENS1_37radix_sort_block_sort_config_selectorIyNS0_10empty_typeEEEZNS1_21radix_sort_block_sortIS4_Lb1EPyS9_PS6_SA_NS0_19identity_decomposerEEE10hipError_tT1_T2_T3_T4_jRjT5_jjP12ihipStream_tbEUlT_E_NS1_11comp_targetILNS1_3genE0ELNS1_11target_archE4294967295ELNS1_3gpuE0ELNS1_3repE0EEENS1_44radix_sort_block_sort_config_static_selectorELNS0_4arch9wavefront6targetE1EEEvSD_,@function
_ZN7rocprim17ROCPRIM_400000_NS6detail17trampoline_kernelINS0_13kernel_configILj256ELj4ELj4294967295EEENS1_37radix_sort_block_sort_config_selectorIyNS0_10empty_typeEEEZNS1_21radix_sort_block_sortIS4_Lb1EPyS9_PS6_SA_NS0_19identity_decomposerEEE10hipError_tT1_T2_T3_T4_jRjT5_jjP12ihipStream_tbEUlT_E_NS1_11comp_targetILNS1_3genE0ELNS1_11target_archE4294967295ELNS1_3gpuE0ELNS1_3repE0EEENS1_44radix_sort_block_sort_config_static_selectorELNS0_4arch9wavefront6targetE1EEEvSD_: ; @_ZN7rocprim17ROCPRIM_400000_NS6detail17trampoline_kernelINS0_13kernel_configILj256ELj4ELj4294967295EEENS1_37radix_sort_block_sort_config_selectorIyNS0_10empty_typeEEEZNS1_21radix_sort_block_sortIS4_Lb1EPyS9_PS6_SA_NS0_19identity_decomposerEEE10hipError_tT1_T2_T3_T4_jRjT5_jjP12ihipStream_tbEUlT_E_NS1_11comp_targetILNS1_3genE0ELNS1_11target_archE4294967295ELNS1_3gpuE0ELNS1_3repE0EEENS1_44radix_sort_block_sort_config_static_selectorELNS0_4arch9wavefront6targetE1EEEvSD_
; %bb.0:
	.section	.rodata,"a",@progbits
	.p2align	6, 0x0
	.amdhsa_kernel _ZN7rocprim17ROCPRIM_400000_NS6detail17trampoline_kernelINS0_13kernel_configILj256ELj4ELj4294967295EEENS1_37radix_sort_block_sort_config_selectorIyNS0_10empty_typeEEEZNS1_21radix_sort_block_sortIS4_Lb1EPyS9_PS6_SA_NS0_19identity_decomposerEEE10hipError_tT1_T2_T3_T4_jRjT5_jjP12ihipStream_tbEUlT_E_NS1_11comp_targetILNS1_3genE0ELNS1_11target_archE4294967295ELNS1_3gpuE0ELNS1_3repE0EEENS1_44radix_sort_block_sort_config_static_selectorELNS0_4arch9wavefront6targetE1EEEvSD_
		.amdhsa_group_segment_fixed_size 0
		.amdhsa_private_segment_fixed_size 0
		.amdhsa_kernarg_size 48
		.amdhsa_user_sgpr_count 6
		.amdhsa_user_sgpr_private_segment_buffer 1
		.amdhsa_user_sgpr_dispatch_ptr 0
		.amdhsa_user_sgpr_queue_ptr 0
		.amdhsa_user_sgpr_kernarg_segment_ptr 1
		.amdhsa_user_sgpr_dispatch_id 0
		.amdhsa_user_sgpr_flat_scratch_init 0
		.amdhsa_user_sgpr_kernarg_preload_length 0
		.amdhsa_user_sgpr_kernarg_preload_offset 0
		.amdhsa_user_sgpr_private_segment_size 0
		.amdhsa_uses_dynamic_stack 0
		.amdhsa_system_sgpr_private_segment_wavefront_offset 0
		.amdhsa_system_sgpr_workgroup_id_x 1
		.amdhsa_system_sgpr_workgroup_id_y 0
		.amdhsa_system_sgpr_workgroup_id_z 0
		.amdhsa_system_sgpr_workgroup_info 0
		.amdhsa_system_vgpr_workitem_id 0
		.amdhsa_next_free_vgpr 1
		.amdhsa_next_free_sgpr 0
		.amdhsa_accum_offset 4
		.amdhsa_reserve_vcc 0
		.amdhsa_reserve_flat_scratch 0
		.amdhsa_float_round_mode_32 0
		.amdhsa_float_round_mode_16_64 0
		.amdhsa_float_denorm_mode_32 3
		.amdhsa_float_denorm_mode_16_64 3
		.amdhsa_dx10_clamp 1
		.amdhsa_ieee_mode 1
		.amdhsa_fp16_overflow 0
		.amdhsa_tg_split 0
		.amdhsa_exception_fp_ieee_invalid_op 0
		.amdhsa_exception_fp_denorm_src 0
		.amdhsa_exception_fp_ieee_div_zero 0
		.amdhsa_exception_fp_ieee_overflow 0
		.amdhsa_exception_fp_ieee_underflow 0
		.amdhsa_exception_fp_ieee_inexact 0
		.amdhsa_exception_int_div_zero 0
	.end_amdhsa_kernel
	.section	.text._ZN7rocprim17ROCPRIM_400000_NS6detail17trampoline_kernelINS0_13kernel_configILj256ELj4ELj4294967295EEENS1_37radix_sort_block_sort_config_selectorIyNS0_10empty_typeEEEZNS1_21radix_sort_block_sortIS4_Lb1EPyS9_PS6_SA_NS0_19identity_decomposerEEE10hipError_tT1_T2_T3_T4_jRjT5_jjP12ihipStream_tbEUlT_E_NS1_11comp_targetILNS1_3genE0ELNS1_11target_archE4294967295ELNS1_3gpuE0ELNS1_3repE0EEENS1_44radix_sort_block_sort_config_static_selectorELNS0_4arch9wavefront6targetE1EEEvSD_,"axG",@progbits,_ZN7rocprim17ROCPRIM_400000_NS6detail17trampoline_kernelINS0_13kernel_configILj256ELj4ELj4294967295EEENS1_37radix_sort_block_sort_config_selectorIyNS0_10empty_typeEEEZNS1_21radix_sort_block_sortIS4_Lb1EPyS9_PS6_SA_NS0_19identity_decomposerEEE10hipError_tT1_T2_T3_T4_jRjT5_jjP12ihipStream_tbEUlT_E_NS1_11comp_targetILNS1_3genE0ELNS1_11target_archE4294967295ELNS1_3gpuE0ELNS1_3repE0EEENS1_44radix_sort_block_sort_config_static_selectorELNS0_4arch9wavefront6targetE1EEEvSD_,comdat
.Lfunc_end2402:
	.size	_ZN7rocprim17ROCPRIM_400000_NS6detail17trampoline_kernelINS0_13kernel_configILj256ELj4ELj4294967295EEENS1_37radix_sort_block_sort_config_selectorIyNS0_10empty_typeEEEZNS1_21radix_sort_block_sortIS4_Lb1EPyS9_PS6_SA_NS0_19identity_decomposerEEE10hipError_tT1_T2_T3_T4_jRjT5_jjP12ihipStream_tbEUlT_E_NS1_11comp_targetILNS1_3genE0ELNS1_11target_archE4294967295ELNS1_3gpuE0ELNS1_3repE0EEENS1_44radix_sort_block_sort_config_static_selectorELNS0_4arch9wavefront6targetE1EEEvSD_, .Lfunc_end2402-_ZN7rocprim17ROCPRIM_400000_NS6detail17trampoline_kernelINS0_13kernel_configILj256ELj4ELj4294967295EEENS1_37radix_sort_block_sort_config_selectorIyNS0_10empty_typeEEEZNS1_21radix_sort_block_sortIS4_Lb1EPyS9_PS6_SA_NS0_19identity_decomposerEEE10hipError_tT1_T2_T3_T4_jRjT5_jjP12ihipStream_tbEUlT_E_NS1_11comp_targetILNS1_3genE0ELNS1_11target_archE4294967295ELNS1_3gpuE0ELNS1_3repE0EEENS1_44radix_sort_block_sort_config_static_selectorELNS0_4arch9wavefront6targetE1EEEvSD_
                                        ; -- End function
	.section	.AMDGPU.csdata,"",@progbits
; Kernel info:
; codeLenInByte = 0
; NumSgprs: 4
; NumVgprs: 0
; NumAgprs: 0
; TotalNumVgprs: 0
; ScratchSize: 0
; MemoryBound: 0
; FloatMode: 240
; IeeeMode: 1
; LDSByteSize: 0 bytes/workgroup (compile time only)
; SGPRBlocks: 0
; VGPRBlocks: 0
; NumSGPRsForWavesPerEU: 4
; NumVGPRsForWavesPerEU: 1
; AccumOffset: 4
; Occupancy: 8
; WaveLimiterHint : 0
; COMPUTE_PGM_RSRC2:SCRATCH_EN: 0
; COMPUTE_PGM_RSRC2:USER_SGPR: 6
; COMPUTE_PGM_RSRC2:TRAP_HANDLER: 0
; COMPUTE_PGM_RSRC2:TGID_X_EN: 1
; COMPUTE_PGM_RSRC2:TGID_Y_EN: 0
; COMPUTE_PGM_RSRC2:TGID_Z_EN: 0
; COMPUTE_PGM_RSRC2:TIDIG_COMP_CNT: 0
; COMPUTE_PGM_RSRC3_GFX90A:ACCUM_OFFSET: 0
; COMPUTE_PGM_RSRC3_GFX90A:TG_SPLIT: 0
	.section	.text._ZN7rocprim17ROCPRIM_400000_NS6detail17trampoline_kernelINS0_13kernel_configILj256ELj4ELj4294967295EEENS1_37radix_sort_block_sort_config_selectorIyNS0_10empty_typeEEEZNS1_21radix_sort_block_sortIS4_Lb1EPyS9_PS6_SA_NS0_19identity_decomposerEEE10hipError_tT1_T2_T3_T4_jRjT5_jjP12ihipStream_tbEUlT_E_NS1_11comp_targetILNS1_3genE5ELNS1_11target_archE942ELNS1_3gpuE9ELNS1_3repE0EEENS1_44radix_sort_block_sort_config_static_selectorELNS0_4arch9wavefront6targetE1EEEvSD_,"axG",@progbits,_ZN7rocprim17ROCPRIM_400000_NS6detail17trampoline_kernelINS0_13kernel_configILj256ELj4ELj4294967295EEENS1_37radix_sort_block_sort_config_selectorIyNS0_10empty_typeEEEZNS1_21radix_sort_block_sortIS4_Lb1EPyS9_PS6_SA_NS0_19identity_decomposerEEE10hipError_tT1_T2_T3_T4_jRjT5_jjP12ihipStream_tbEUlT_E_NS1_11comp_targetILNS1_3genE5ELNS1_11target_archE942ELNS1_3gpuE9ELNS1_3repE0EEENS1_44radix_sort_block_sort_config_static_selectorELNS0_4arch9wavefront6targetE1EEEvSD_,comdat
	.protected	_ZN7rocprim17ROCPRIM_400000_NS6detail17trampoline_kernelINS0_13kernel_configILj256ELj4ELj4294967295EEENS1_37radix_sort_block_sort_config_selectorIyNS0_10empty_typeEEEZNS1_21radix_sort_block_sortIS4_Lb1EPyS9_PS6_SA_NS0_19identity_decomposerEEE10hipError_tT1_T2_T3_T4_jRjT5_jjP12ihipStream_tbEUlT_E_NS1_11comp_targetILNS1_3genE5ELNS1_11target_archE942ELNS1_3gpuE9ELNS1_3repE0EEENS1_44radix_sort_block_sort_config_static_selectorELNS0_4arch9wavefront6targetE1EEEvSD_ ; -- Begin function _ZN7rocprim17ROCPRIM_400000_NS6detail17trampoline_kernelINS0_13kernel_configILj256ELj4ELj4294967295EEENS1_37radix_sort_block_sort_config_selectorIyNS0_10empty_typeEEEZNS1_21radix_sort_block_sortIS4_Lb1EPyS9_PS6_SA_NS0_19identity_decomposerEEE10hipError_tT1_T2_T3_T4_jRjT5_jjP12ihipStream_tbEUlT_E_NS1_11comp_targetILNS1_3genE5ELNS1_11target_archE942ELNS1_3gpuE9ELNS1_3repE0EEENS1_44radix_sort_block_sort_config_static_selectorELNS0_4arch9wavefront6targetE1EEEvSD_
	.globl	_ZN7rocprim17ROCPRIM_400000_NS6detail17trampoline_kernelINS0_13kernel_configILj256ELj4ELj4294967295EEENS1_37radix_sort_block_sort_config_selectorIyNS0_10empty_typeEEEZNS1_21radix_sort_block_sortIS4_Lb1EPyS9_PS6_SA_NS0_19identity_decomposerEEE10hipError_tT1_T2_T3_T4_jRjT5_jjP12ihipStream_tbEUlT_E_NS1_11comp_targetILNS1_3genE5ELNS1_11target_archE942ELNS1_3gpuE9ELNS1_3repE0EEENS1_44radix_sort_block_sort_config_static_selectorELNS0_4arch9wavefront6targetE1EEEvSD_
	.p2align	8
	.type	_ZN7rocprim17ROCPRIM_400000_NS6detail17trampoline_kernelINS0_13kernel_configILj256ELj4ELj4294967295EEENS1_37radix_sort_block_sort_config_selectorIyNS0_10empty_typeEEEZNS1_21radix_sort_block_sortIS4_Lb1EPyS9_PS6_SA_NS0_19identity_decomposerEEE10hipError_tT1_T2_T3_T4_jRjT5_jjP12ihipStream_tbEUlT_E_NS1_11comp_targetILNS1_3genE5ELNS1_11target_archE942ELNS1_3gpuE9ELNS1_3repE0EEENS1_44radix_sort_block_sort_config_static_selectorELNS0_4arch9wavefront6targetE1EEEvSD_,@function
_ZN7rocprim17ROCPRIM_400000_NS6detail17trampoline_kernelINS0_13kernel_configILj256ELj4ELj4294967295EEENS1_37radix_sort_block_sort_config_selectorIyNS0_10empty_typeEEEZNS1_21radix_sort_block_sortIS4_Lb1EPyS9_PS6_SA_NS0_19identity_decomposerEEE10hipError_tT1_T2_T3_T4_jRjT5_jjP12ihipStream_tbEUlT_E_NS1_11comp_targetILNS1_3genE5ELNS1_11target_archE942ELNS1_3gpuE9ELNS1_3repE0EEENS1_44radix_sort_block_sort_config_static_selectorELNS0_4arch9wavefront6targetE1EEEvSD_: ; @_ZN7rocprim17ROCPRIM_400000_NS6detail17trampoline_kernelINS0_13kernel_configILj256ELj4ELj4294967295EEENS1_37radix_sort_block_sort_config_selectorIyNS0_10empty_typeEEEZNS1_21radix_sort_block_sortIS4_Lb1EPyS9_PS6_SA_NS0_19identity_decomposerEEE10hipError_tT1_T2_T3_T4_jRjT5_jjP12ihipStream_tbEUlT_E_NS1_11comp_targetILNS1_3genE5ELNS1_11target_archE942ELNS1_3gpuE9ELNS1_3repE0EEENS1_44radix_sort_block_sort_config_static_selectorELNS0_4arch9wavefront6targetE1EEEvSD_
; %bb.0:
	.section	.rodata,"a",@progbits
	.p2align	6, 0x0
	.amdhsa_kernel _ZN7rocprim17ROCPRIM_400000_NS6detail17trampoline_kernelINS0_13kernel_configILj256ELj4ELj4294967295EEENS1_37radix_sort_block_sort_config_selectorIyNS0_10empty_typeEEEZNS1_21radix_sort_block_sortIS4_Lb1EPyS9_PS6_SA_NS0_19identity_decomposerEEE10hipError_tT1_T2_T3_T4_jRjT5_jjP12ihipStream_tbEUlT_E_NS1_11comp_targetILNS1_3genE5ELNS1_11target_archE942ELNS1_3gpuE9ELNS1_3repE0EEENS1_44radix_sort_block_sort_config_static_selectorELNS0_4arch9wavefront6targetE1EEEvSD_
		.amdhsa_group_segment_fixed_size 0
		.amdhsa_private_segment_fixed_size 0
		.amdhsa_kernarg_size 48
		.amdhsa_user_sgpr_count 6
		.amdhsa_user_sgpr_private_segment_buffer 1
		.amdhsa_user_sgpr_dispatch_ptr 0
		.amdhsa_user_sgpr_queue_ptr 0
		.amdhsa_user_sgpr_kernarg_segment_ptr 1
		.amdhsa_user_sgpr_dispatch_id 0
		.amdhsa_user_sgpr_flat_scratch_init 0
		.amdhsa_user_sgpr_kernarg_preload_length 0
		.amdhsa_user_sgpr_kernarg_preload_offset 0
		.amdhsa_user_sgpr_private_segment_size 0
		.amdhsa_uses_dynamic_stack 0
		.amdhsa_system_sgpr_private_segment_wavefront_offset 0
		.amdhsa_system_sgpr_workgroup_id_x 1
		.amdhsa_system_sgpr_workgroup_id_y 0
		.amdhsa_system_sgpr_workgroup_id_z 0
		.amdhsa_system_sgpr_workgroup_info 0
		.amdhsa_system_vgpr_workitem_id 0
		.amdhsa_next_free_vgpr 1
		.amdhsa_next_free_sgpr 0
		.amdhsa_accum_offset 4
		.amdhsa_reserve_vcc 0
		.amdhsa_reserve_flat_scratch 0
		.amdhsa_float_round_mode_32 0
		.amdhsa_float_round_mode_16_64 0
		.amdhsa_float_denorm_mode_32 3
		.amdhsa_float_denorm_mode_16_64 3
		.amdhsa_dx10_clamp 1
		.amdhsa_ieee_mode 1
		.amdhsa_fp16_overflow 0
		.amdhsa_tg_split 0
		.amdhsa_exception_fp_ieee_invalid_op 0
		.amdhsa_exception_fp_denorm_src 0
		.amdhsa_exception_fp_ieee_div_zero 0
		.amdhsa_exception_fp_ieee_overflow 0
		.amdhsa_exception_fp_ieee_underflow 0
		.amdhsa_exception_fp_ieee_inexact 0
		.amdhsa_exception_int_div_zero 0
	.end_amdhsa_kernel
	.section	.text._ZN7rocprim17ROCPRIM_400000_NS6detail17trampoline_kernelINS0_13kernel_configILj256ELj4ELj4294967295EEENS1_37radix_sort_block_sort_config_selectorIyNS0_10empty_typeEEEZNS1_21radix_sort_block_sortIS4_Lb1EPyS9_PS6_SA_NS0_19identity_decomposerEEE10hipError_tT1_T2_T3_T4_jRjT5_jjP12ihipStream_tbEUlT_E_NS1_11comp_targetILNS1_3genE5ELNS1_11target_archE942ELNS1_3gpuE9ELNS1_3repE0EEENS1_44radix_sort_block_sort_config_static_selectorELNS0_4arch9wavefront6targetE1EEEvSD_,"axG",@progbits,_ZN7rocprim17ROCPRIM_400000_NS6detail17trampoline_kernelINS0_13kernel_configILj256ELj4ELj4294967295EEENS1_37radix_sort_block_sort_config_selectorIyNS0_10empty_typeEEEZNS1_21radix_sort_block_sortIS4_Lb1EPyS9_PS6_SA_NS0_19identity_decomposerEEE10hipError_tT1_T2_T3_T4_jRjT5_jjP12ihipStream_tbEUlT_E_NS1_11comp_targetILNS1_3genE5ELNS1_11target_archE942ELNS1_3gpuE9ELNS1_3repE0EEENS1_44radix_sort_block_sort_config_static_selectorELNS0_4arch9wavefront6targetE1EEEvSD_,comdat
.Lfunc_end2403:
	.size	_ZN7rocprim17ROCPRIM_400000_NS6detail17trampoline_kernelINS0_13kernel_configILj256ELj4ELj4294967295EEENS1_37radix_sort_block_sort_config_selectorIyNS0_10empty_typeEEEZNS1_21radix_sort_block_sortIS4_Lb1EPyS9_PS6_SA_NS0_19identity_decomposerEEE10hipError_tT1_T2_T3_T4_jRjT5_jjP12ihipStream_tbEUlT_E_NS1_11comp_targetILNS1_3genE5ELNS1_11target_archE942ELNS1_3gpuE9ELNS1_3repE0EEENS1_44radix_sort_block_sort_config_static_selectorELNS0_4arch9wavefront6targetE1EEEvSD_, .Lfunc_end2403-_ZN7rocprim17ROCPRIM_400000_NS6detail17trampoline_kernelINS0_13kernel_configILj256ELj4ELj4294967295EEENS1_37radix_sort_block_sort_config_selectorIyNS0_10empty_typeEEEZNS1_21radix_sort_block_sortIS4_Lb1EPyS9_PS6_SA_NS0_19identity_decomposerEEE10hipError_tT1_T2_T3_T4_jRjT5_jjP12ihipStream_tbEUlT_E_NS1_11comp_targetILNS1_3genE5ELNS1_11target_archE942ELNS1_3gpuE9ELNS1_3repE0EEENS1_44radix_sort_block_sort_config_static_selectorELNS0_4arch9wavefront6targetE1EEEvSD_
                                        ; -- End function
	.section	.AMDGPU.csdata,"",@progbits
; Kernel info:
; codeLenInByte = 0
; NumSgprs: 4
; NumVgprs: 0
; NumAgprs: 0
; TotalNumVgprs: 0
; ScratchSize: 0
; MemoryBound: 0
; FloatMode: 240
; IeeeMode: 1
; LDSByteSize: 0 bytes/workgroup (compile time only)
; SGPRBlocks: 0
; VGPRBlocks: 0
; NumSGPRsForWavesPerEU: 4
; NumVGPRsForWavesPerEU: 1
; AccumOffset: 4
; Occupancy: 8
; WaveLimiterHint : 0
; COMPUTE_PGM_RSRC2:SCRATCH_EN: 0
; COMPUTE_PGM_RSRC2:USER_SGPR: 6
; COMPUTE_PGM_RSRC2:TRAP_HANDLER: 0
; COMPUTE_PGM_RSRC2:TGID_X_EN: 1
; COMPUTE_PGM_RSRC2:TGID_Y_EN: 0
; COMPUTE_PGM_RSRC2:TGID_Z_EN: 0
; COMPUTE_PGM_RSRC2:TIDIG_COMP_CNT: 0
; COMPUTE_PGM_RSRC3_GFX90A:ACCUM_OFFSET: 0
; COMPUTE_PGM_RSRC3_GFX90A:TG_SPLIT: 0
	.section	.text._ZN7rocprim17ROCPRIM_400000_NS6detail17trampoline_kernelINS0_13kernel_configILj256ELj4ELj4294967295EEENS1_37radix_sort_block_sort_config_selectorIyNS0_10empty_typeEEEZNS1_21radix_sort_block_sortIS4_Lb1EPyS9_PS6_SA_NS0_19identity_decomposerEEE10hipError_tT1_T2_T3_T4_jRjT5_jjP12ihipStream_tbEUlT_E_NS1_11comp_targetILNS1_3genE4ELNS1_11target_archE910ELNS1_3gpuE8ELNS1_3repE0EEENS1_44radix_sort_block_sort_config_static_selectorELNS0_4arch9wavefront6targetE1EEEvSD_,"axG",@progbits,_ZN7rocprim17ROCPRIM_400000_NS6detail17trampoline_kernelINS0_13kernel_configILj256ELj4ELj4294967295EEENS1_37radix_sort_block_sort_config_selectorIyNS0_10empty_typeEEEZNS1_21radix_sort_block_sortIS4_Lb1EPyS9_PS6_SA_NS0_19identity_decomposerEEE10hipError_tT1_T2_T3_T4_jRjT5_jjP12ihipStream_tbEUlT_E_NS1_11comp_targetILNS1_3genE4ELNS1_11target_archE910ELNS1_3gpuE8ELNS1_3repE0EEENS1_44radix_sort_block_sort_config_static_selectorELNS0_4arch9wavefront6targetE1EEEvSD_,comdat
	.protected	_ZN7rocprim17ROCPRIM_400000_NS6detail17trampoline_kernelINS0_13kernel_configILj256ELj4ELj4294967295EEENS1_37radix_sort_block_sort_config_selectorIyNS0_10empty_typeEEEZNS1_21radix_sort_block_sortIS4_Lb1EPyS9_PS6_SA_NS0_19identity_decomposerEEE10hipError_tT1_T2_T3_T4_jRjT5_jjP12ihipStream_tbEUlT_E_NS1_11comp_targetILNS1_3genE4ELNS1_11target_archE910ELNS1_3gpuE8ELNS1_3repE0EEENS1_44radix_sort_block_sort_config_static_selectorELNS0_4arch9wavefront6targetE1EEEvSD_ ; -- Begin function _ZN7rocprim17ROCPRIM_400000_NS6detail17trampoline_kernelINS0_13kernel_configILj256ELj4ELj4294967295EEENS1_37radix_sort_block_sort_config_selectorIyNS0_10empty_typeEEEZNS1_21radix_sort_block_sortIS4_Lb1EPyS9_PS6_SA_NS0_19identity_decomposerEEE10hipError_tT1_T2_T3_T4_jRjT5_jjP12ihipStream_tbEUlT_E_NS1_11comp_targetILNS1_3genE4ELNS1_11target_archE910ELNS1_3gpuE8ELNS1_3repE0EEENS1_44radix_sort_block_sort_config_static_selectorELNS0_4arch9wavefront6targetE1EEEvSD_
	.globl	_ZN7rocprim17ROCPRIM_400000_NS6detail17trampoline_kernelINS0_13kernel_configILj256ELj4ELj4294967295EEENS1_37radix_sort_block_sort_config_selectorIyNS0_10empty_typeEEEZNS1_21radix_sort_block_sortIS4_Lb1EPyS9_PS6_SA_NS0_19identity_decomposerEEE10hipError_tT1_T2_T3_T4_jRjT5_jjP12ihipStream_tbEUlT_E_NS1_11comp_targetILNS1_3genE4ELNS1_11target_archE910ELNS1_3gpuE8ELNS1_3repE0EEENS1_44radix_sort_block_sort_config_static_selectorELNS0_4arch9wavefront6targetE1EEEvSD_
	.p2align	8
	.type	_ZN7rocprim17ROCPRIM_400000_NS6detail17trampoline_kernelINS0_13kernel_configILj256ELj4ELj4294967295EEENS1_37radix_sort_block_sort_config_selectorIyNS0_10empty_typeEEEZNS1_21radix_sort_block_sortIS4_Lb1EPyS9_PS6_SA_NS0_19identity_decomposerEEE10hipError_tT1_T2_T3_T4_jRjT5_jjP12ihipStream_tbEUlT_E_NS1_11comp_targetILNS1_3genE4ELNS1_11target_archE910ELNS1_3gpuE8ELNS1_3repE0EEENS1_44radix_sort_block_sort_config_static_selectorELNS0_4arch9wavefront6targetE1EEEvSD_,@function
_ZN7rocprim17ROCPRIM_400000_NS6detail17trampoline_kernelINS0_13kernel_configILj256ELj4ELj4294967295EEENS1_37radix_sort_block_sort_config_selectorIyNS0_10empty_typeEEEZNS1_21radix_sort_block_sortIS4_Lb1EPyS9_PS6_SA_NS0_19identity_decomposerEEE10hipError_tT1_T2_T3_T4_jRjT5_jjP12ihipStream_tbEUlT_E_NS1_11comp_targetILNS1_3genE4ELNS1_11target_archE910ELNS1_3gpuE8ELNS1_3repE0EEENS1_44radix_sort_block_sort_config_static_selectorELNS0_4arch9wavefront6targetE1EEEvSD_: ; @_ZN7rocprim17ROCPRIM_400000_NS6detail17trampoline_kernelINS0_13kernel_configILj256ELj4ELj4294967295EEENS1_37radix_sort_block_sort_config_selectorIyNS0_10empty_typeEEEZNS1_21radix_sort_block_sortIS4_Lb1EPyS9_PS6_SA_NS0_19identity_decomposerEEE10hipError_tT1_T2_T3_T4_jRjT5_jjP12ihipStream_tbEUlT_E_NS1_11comp_targetILNS1_3genE4ELNS1_11target_archE910ELNS1_3gpuE8ELNS1_3repE0EEENS1_44radix_sort_block_sort_config_static_selectorELNS0_4arch9wavefront6targetE1EEEvSD_
; %bb.0:
	s_load_dword s7, s[4:5], 0x20
	s_load_dwordx4 s[28:31], s[4:5], 0x0
	s_lshl_b32 s0, s6, 10
	s_mov_b32 s1, 0
	v_mbcnt_lo_u32_b32 v1, -1, 0
	s_waitcnt lgkmcnt(0)
	s_lshr_b32 s2, s7, 10
	s_cmp_lg_u32 s6, s2
	s_cselect_b64 s[34:35], -1, 0
	s_lshl_b64 s[36:37], s[0:1], 3
	v_mbcnt_hi_u32_b32 v1, -1, v1
	v_and_b32_e32 v10, 0x3ff, v0
	s_add_u32 s1, s28, s36
	v_and_b32_e32 v14, 63, v1
	s_addc_u32 s3, s29, s37
	v_lshlrev_b32_e32 v11, 2, v10
	v_lshlrev_b32_e32 v2, 3, v14
	v_and_b32_e32 v16, 0x300, v11
	v_mov_b32_e32 v3, s3
	v_add_co_u32_e32 v2, vcc, s1, v2
	v_addc_co_u32_e32 v3, vcc, 0, v3, vcc
	v_lshlrev_b32_e32 v4, 3, v16
	v_add_co_u32_e32 v12, vcc, v2, v4
	s_cmp_eq_u32 s6, s2
	v_addc_co_u32_e32 v13, vcc, 0, v3, vcc
	v_or_b32_e32 v15, v14, v16
	s_cbranch_scc1 .LBB2404_2
; %bb.1:
	global_load_dwordx2 v[2:3], v[12:13], off
	global_load_dwordx2 v[4:5], v[12:13], off offset:512
	global_load_dwordx2 v[6:7], v[12:13], off offset:1024
	;; [unrolled: 1-line block ×3, first 2 shown]
	v_or_b32_e32 v18, v14, v16
	v_or_b32_e32 v14, 64, v18
	v_or_b32_e32 v16, 0x80, v18
	v_or_b32_e32 v17, 0xc0, v18
	s_load_dwordx2 s[28:29], s[4:5], 0x28
	s_sub_i32 s33, s7, s0
	s_cbranch_execz .LBB2404_3
	s_branch .LBB2404_12
.LBB2404_2:
                                        ; implicit-def: $vgpr2_vgpr3_vgpr4_vgpr5_vgpr6_vgpr7_vgpr8_vgpr9
                                        ; implicit-def: $vgpr18
                                        ; implicit-def: $vgpr14
                                        ; implicit-def: $vgpr16
                                        ; implicit-def: $vgpr17
	s_load_dwordx2 s[28:29], s[4:5], 0x28
	s_sub_i32 s33, s7, s0
.LBB2404_3:
	s_mov_b32 s8, 0
	s_mov_b32 s9, s8
	;; [unrolled: 1-line block ×8, first 2 shown]
	s_waitcnt vmcnt(0)
	v_pk_mov_b32 v[2:3], s[8:9], s[8:9] op_sel:[0,1]
	v_cmp_gt_u32_e32 vcc, s33, v15
	v_pk_mov_b32 v[4:5], s[10:11], s[10:11] op_sel:[0,1]
	v_pk_mov_b32 v[6:7], s[12:13], s[12:13] op_sel:[0,1]
	;; [unrolled: 1-line block ×3, first 2 shown]
	s_and_saveexec_b64 s[0:1], vcc
	s_cbranch_execz .LBB2404_5
; %bb.4:
	global_load_dwordx2 v[2:3], v[12:13], off
	v_mov_b32_e32 v4, 0
	v_mov_b32_e32 v5, v4
	;; [unrolled: 1-line block ×6, first 2 shown]
.LBB2404_5:
	s_or_b64 exec, exec, s[0:1]
	v_or_b32_e32 v14, 64, v15
	v_cmp_gt_u32_e32 vcc, s33, v14
	s_and_saveexec_b64 s[0:1], vcc
	s_cbranch_execz .LBB2404_7
; %bb.6:
	global_load_dwordx2 v[4:5], v[12:13], off offset:512
.LBB2404_7:
	s_or_b64 exec, exec, s[0:1]
	v_or_b32_e32 v16, 0x80, v15
	v_cmp_gt_u32_e32 vcc, s33, v16
	s_and_saveexec_b64 s[0:1], vcc
	s_cbranch_execz .LBB2404_9
; %bb.8:
	global_load_dwordx2 v[6:7], v[12:13], off offset:1024
.LBB2404_9:
	;; [unrolled: 8-line block ×3, first 2 shown]
	s_or_b64 exec, exec, s[0:1]
	v_mov_b32_e32 v18, v15
.LBB2404_12:
	s_load_dword s2, s[4:5], 0x3c
	s_waitcnt lgkmcnt(0)
	s_add_i32 s38, s29, s28
	s_getpc_b64 s[0:1]
	s_add_u32 s0, s0, _ZN7rocprim17ROCPRIM_400000_NS16block_radix_sortIyLj256ELj4ENS0_10empty_typeELj1ELj1ELj0ELNS0_26block_radix_rank_algorithmE1ELNS0_18block_padding_hintE2ELNS0_4arch9wavefront6targetE1EE19radix_bits_per_passE@rel32@lo+4
	s_addc_u32 s1, s1, _ZN7rocprim17ROCPRIM_400000_NS16block_radix_sortIyLj256ELj4ENS0_10empty_typeELj1ELj1ELj0ELNS0_26block_radix_rank_algorithmE1ELNS0_18block_padding_hintE2ELNS0_4arch9wavefront6targetE1EE19radix_bits_per_passE@rel32@hi+12
	s_waitcnt vmcnt(0)
	v_not_b32_e32 v20, v4
	s_load_dword s39, s[0:1], 0x0
	s_lshr_b32 s0, s2, 16
	v_bfe_u32 v4, v0, 10, 10
	v_bfe_u32 v0, v0, 20, 10
	s_and_b32 s1, s2, 0xffff
	v_mad_u32_u24 v0, v0, s0, v4
	v_not_b32_e32 v21, v5
	v_mad_u64_u32 v[4:5], s[0:1], v0, s1, v[10:11]
	v_and_b32_e32 v0, 15, v1
	v_cmp_eq_u32_e64 s[0:1], 0, v0
	v_cmp_lt_u32_e64 s[2:3], 1, v0
	v_cmp_lt_u32_e64 s[4:5], 3, v0
	;; [unrolled: 1-line block ×3, first 2 shown]
	v_and_b32_e32 v0, 16, v1
	v_cmp_eq_u32_e64 s[8:9], 0, v0
	v_and_b32_e32 v0, 0x3c0, v10
	v_min_u32_e32 v0, 0xc0, v0
	v_or_b32_e32 v0, 63, v0
	v_lshrrev_b32_e32 v26, 6, v4
	v_cmp_eq_u32_e64 s[12:13], v0, v10
	v_add_u32_e32 v0, -1, v1
	v_and_b32_e32 v4, 64, v1
	v_cmp_lt_i32_e32 vcc, v0, v4
	v_cndmask_b32_e32 v0, v0, v1, vcc
	s_mov_b32 s26, 0
	v_lshlrev_b32_e32 v27, 2, v0
	v_lshrrev_b32_e32 v0, 4, v10
	v_lshlrev_b32_e32 v11, 2, v11
	v_cmp_lt_u32_e64 s[10:11], 31, v1
	v_cmp_eq_u32_e64 s[18:19], 0, v1
	v_and_b32_e32 v28, 60, v0
	v_mul_i32_i24_e32 v0, -12, v10
	v_and_b32_e32 v1, 3, v1
	s_mov_b32 s27, s26
	s_mov_b32 s40, s26
	;; [unrolled: 1-line block ×3, first 2 shown]
	v_not_b32_e32 v3, v3
	v_not_b32_e32 v2, v2
	;; [unrolled: 1-line block ×6, first 2 shown]
	v_cmp_gt_u32_e64 s[14:15], 4, v10
	v_cmp_lt_u32_e64 s[16:17], 63, v10
	v_cmp_eq_u32_e64 s[20:21], 0, v10
	v_cmp_eq_u32_e64 s[22:23], 0, v1
	v_cmp_lt_u32_e64 s[24:25], 1, v1
	v_add_u32_e32 v29, -4, v28
	v_lshlrev_b32_e32 v30, 3, v18
	v_lshlrev_b32_e32 v31, 3, v14
	;; [unrolled: 1-line block ×4, first 2 shown]
	v_pk_mov_b32 v[4:5], s[26:27], s[26:27] op_sel:[0,1]
	v_pk_mov_b32 v[6:7], s[40:41], s[40:41] op_sel:[0,1]
	v_add_u32_e32 v34, v11, v0
	v_mov_b32_e32 v8, 0
	s_branch .LBB2404_14
.LBB2404_13:                            ;   in Loop: Header=BB2404_14 Depth=1
	s_barrier
	ds_write_b64 v0, v[18:19]
	ds_write_b64 v1, v[16:17]
	;; [unrolled: 1-line block ×4, first 2 shown]
	s_waitcnt lgkmcnt(0)
	s_barrier
	ds_read_b64 v[2:3], v30
	ds_read_b64 v[20:21], v31
	;; [unrolled: 1-line block ×4, first 2 shown]
	s_add_i32 s29, s29, -8
	s_waitcnt lgkmcnt(0)
	s_barrier
	s_cbranch_execz .LBB2404_30
.LBB2404_14:                            ; =>This Inner Loop Header: Depth=1
	s_waitcnt lgkmcnt(0)
	s_min_u32 s26, s39, s29
	v_pk_mov_b32 v[18:19], v[2:3], v[2:3] op_sel:[0,1]
	s_lshl_b32 s26, -1, s26
	s_not_b32 s40, s26
	v_lshrrev_b64 v[0:1], s28, v[18:19]
	v_and_b32_e32 v0, s40, v0
	v_lshl_add_u32 v1, v0, 2, v26
	v_pk_mov_b32 v[16:17], v[20:21], v[20:21] op_sel:[0,1]
	v_lshl_add_u32 v20, v1, 2, 16
	v_and_b32_e32 v1, 1, v0
	v_add_co_u32_e32 v2, vcc, -1, v1
	v_addc_co_u32_e64 v3, s[26:27], 0, -1, vcc
	v_cmp_ne_u32_e32 vcc, 0, v1
	v_lshlrev_b32_e32 v9, 30, v0
	v_xor_b32_e32 v1, vcc_hi, v3
	v_not_b32_e32 v3, v9
	v_xor_b32_e32 v2, vcc_lo, v2
	v_cmp_gt_i64_e32 vcc, 0, v[8:9]
	v_ashrrev_i32_e32 v3, 31, v3
	v_and_b32_e32 v1, exec_hi, v1
	v_xor_b32_e32 v9, vcc_hi, v3
	v_and_b32_e32 v2, exec_lo, v2
	v_xor_b32_e32 v3, vcc_lo, v3
	v_and_b32_e32 v1, v1, v9
	v_lshlrev_b32_e32 v9, 29, v0
	v_and_b32_e32 v2, v2, v3
	v_not_b32_e32 v3, v9
	v_cmp_gt_i64_e32 vcc, 0, v[8:9]
	v_ashrrev_i32_e32 v3, 31, v3
	v_xor_b32_e32 v9, vcc_hi, v3
	v_xor_b32_e32 v3, vcc_lo, v3
	v_and_b32_e32 v1, v1, v9
	v_lshlrev_b32_e32 v9, 28, v0
	v_and_b32_e32 v2, v2, v3
	v_not_b32_e32 v3, v9
	v_cmp_gt_i64_e32 vcc, 0, v[8:9]
	v_ashrrev_i32_e32 v3, 31, v3
	v_xor_b32_e32 v9, vcc_hi, v3
	;; [unrolled: 8-line block ×5, first 2 shown]
	v_and_b32_e32 v1, v1, v9
	v_lshlrev_b32_e32 v9, 24, v0
	v_not_b32_e32 v0, v9
	v_xor_b32_e32 v3, vcc_lo, v3
	v_cmp_gt_i64_e32 vcc, 0, v[8:9]
	v_ashrrev_i32_e32 v0, 31, v0
	v_and_b32_e32 v2, v2, v3
	v_xor_b32_e32 v3, vcc_hi, v0
	v_xor_b32_e32 v0, vcc_lo, v0
	v_and_b32_e32 v0, v2, v0
	v_and_b32_e32 v1, v1, v3
	v_mbcnt_lo_u32_b32 v2, v0, 0
	v_mbcnt_hi_u32_b32 v21, v1, v2
	v_cmp_eq_u32_e32 vcc, 0, v21
	v_cmp_ne_u64_e64 s[26:27], 0, v[0:1]
	v_pk_mov_b32 v[12:13], v[24:25], v[24:25] op_sel:[0,1]
	v_pk_mov_b32 v[14:15], v[22:23], v[22:23] op_sel:[0,1]
	s_and_b64 s[42:43], s[26:27], vcc
	ds_write2_b64 v11, v[4:5], v[6:7] offset0:2 offset1:3
	s_waitcnt lgkmcnt(0)
	s_barrier
	s_waitcnt lgkmcnt(0)
	; wave barrier
	s_and_saveexec_b64 s[26:27], s[42:43]
	s_cbranch_execz .LBB2404_16
; %bb.15:                               ;   in Loop: Header=BB2404_14 Depth=1
	v_bcnt_u32_b32 v0, v0, 0
	v_bcnt_u32_b32 v0, v1, v0
	ds_write_b32 v20, v0
.LBB2404_16:                            ;   in Loop: Header=BB2404_14 Depth=1
	s_or_b64 exec, exec, s[26:27]
	v_lshrrev_b64 v[0:1], s28, v[16:17]
	v_and_b32_e32 v0, s40, v0
	v_lshlrev_b32_e32 v1, 2, v0
	v_add_lshl_u32 v1, v1, v26, 2
	; wave barrier
	v_add_u32_e32 v23, 16, v1
	ds_read_b32 v22, v1 offset:16
	v_and_b32_e32 v1, 1, v0
	v_add_co_u32_e32 v2, vcc, -1, v1
	v_addc_co_u32_e64 v3, s[26:27], 0, -1, vcc
	v_cmp_ne_u32_e32 vcc, 0, v1
	v_lshlrev_b32_e32 v9, 30, v0
	v_xor_b32_e32 v1, vcc_hi, v3
	v_not_b32_e32 v3, v9
	v_xor_b32_e32 v2, vcc_lo, v2
	v_cmp_gt_i64_e32 vcc, 0, v[8:9]
	v_ashrrev_i32_e32 v3, 31, v3
	v_and_b32_e32 v1, exec_hi, v1
	v_xor_b32_e32 v9, vcc_hi, v3
	v_and_b32_e32 v2, exec_lo, v2
	v_xor_b32_e32 v3, vcc_lo, v3
	v_and_b32_e32 v1, v1, v9
	v_lshlrev_b32_e32 v9, 29, v0
	v_and_b32_e32 v2, v2, v3
	v_not_b32_e32 v3, v9
	v_cmp_gt_i64_e32 vcc, 0, v[8:9]
	v_ashrrev_i32_e32 v3, 31, v3
	v_xor_b32_e32 v9, vcc_hi, v3
	v_xor_b32_e32 v3, vcc_lo, v3
	v_and_b32_e32 v1, v1, v9
	v_lshlrev_b32_e32 v9, 28, v0
	v_and_b32_e32 v2, v2, v3
	v_not_b32_e32 v3, v9
	v_cmp_gt_i64_e32 vcc, 0, v[8:9]
	v_ashrrev_i32_e32 v3, 31, v3
	v_xor_b32_e32 v9, vcc_hi, v3
	;; [unrolled: 8-line block ×5, first 2 shown]
	v_and_b32_e32 v1, v1, v9
	v_lshlrev_b32_e32 v9, 24, v0
	v_not_b32_e32 v0, v9
	v_xor_b32_e32 v3, vcc_lo, v3
	v_cmp_gt_i64_e32 vcc, 0, v[8:9]
	v_ashrrev_i32_e32 v0, 31, v0
	v_and_b32_e32 v2, v2, v3
	v_xor_b32_e32 v3, vcc_hi, v0
	v_xor_b32_e32 v0, vcc_lo, v0
	v_and_b32_e32 v0, v2, v0
	v_and_b32_e32 v1, v1, v3
	v_mbcnt_lo_u32_b32 v2, v0, 0
	v_mbcnt_hi_u32_b32 v24, v1, v2
	v_cmp_eq_u32_e32 vcc, 0, v24
	v_cmp_ne_u64_e64 s[26:27], 0, v[0:1]
	s_and_b64 s[42:43], s[26:27], vcc
	; wave barrier
	s_and_saveexec_b64 s[26:27], s[42:43]
	s_cbranch_execz .LBB2404_18
; %bb.17:                               ;   in Loop: Header=BB2404_14 Depth=1
	v_bcnt_u32_b32 v0, v0, 0
	v_bcnt_u32_b32 v0, v1, v0
	s_waitcnt lgkmcnt(0)
	v_add_u32_e32 v0, v22, v0
	ds_write_b32 v23, v0
.LBB2404_18:                            ;   in Loop: Header=BB2404_14 Depth=1
	s_or_b64 exec, exec, s[26:27]
	v_lshrrev_b64 v[0:1], s28, v[14:15]
	v_and_b32_e32 v0, s40, v0
	v_lshlrev_b32_e32 v1, 2, v0
	v_add_lshl_u32 v1, v1, v26, 2
	; wave barrier
	v_add_u32_e32 v35, 16, v1
	ds_read_b32 v25, v1 offset:16
	v_and_b32_e32 v1, 1, v0
	v_add_co_u32_e32 v2, vcc, -1, v1
	v_addc_co_u32_e64 v3, s[26:27], 0, -1, vcc
	v_cmp_ne_u32_e32 vcc, 0, v1
	v_lshlrev_b32_e32 v9, 30, v0
	v_xor_b32_e32 v1, vcc_hi, v3
	v_not_b32_e32 v3, v9
	v_xor_b32_e32 v2, vcc_lo, v2
	v_cmp_gt_i64_e32 vcc, 0, v[8:9]
	v_ashrrev_i32_e32 v3, 31, v3
	v_and_b32_e32 v1, exec_hi, v1
	v_xor_b32_e32 v9, vcc_hi, v3
	v_and_b32_e32 v2, exec_lo, v2
	v_xor_b32_e32 v3, vcc_lo, v3
	v_and_b32_e32 v1, v1, v9
	v_lshlrev_b32_e32 v9, 29, v0
	v_and_b32_e32 v2, v2, v3
	v_not_b32_e32 v3, v9
	v_cmp_gt_i64_e32 vcc, 0, v[8:9]
	v_ashrrev_i32_e32 v3, 31, v3
	v_xor_b32_e32 v9, vcc_hi, v3
	v_xor_b32_e32 v3, vcc_lo, v3
	v_and_b32_e32 v1, v1, v9
	v_lshlrev_b32_e32 v9, 28, v0
	v_and_b32_e32 v2, v2, v3
	v_not_b32_e32 v3, v9
	v_cmp_gt_i64_e32 vcc, 0, v[8:9]
	v_ashrrev_i32_e32 v3, 31, v3
	v_xor_b32_e32 v9, vcc_hi, v3
	;; [unrolled: 8-line block ×5, first 2 shown]
	v_and_b32_e32 v1, v1, v9
	v_lshlrev_b32_e32 v9, 24, v0
	v_not_b32_e32 v0, v9
	v_xor_b32_e32 v3, vcc_lo, v3
	v_cmp_gt_i64_e32 vcc, 0, v[8:9]
	v_ashrrev_i32_e32 v0, 31, v0
	v_and_b32_e32 v2, v2, v3
	v_xor_b32_e32 v3, vcc_hi, v0
	v_xor_b32_e32 v0, vcc_lo, v0
	v_and_b32_e32 v0, v2, v0
	v_and_b32_e32 v1, v1, v3
	v_mbcnt_lo_u32_b32 v2, v0, 0
	v_mbcnt_hi_u32_b32 v36, v1, v2
	v_cmp_eq_u32_e32 vcc, 0, v36
	v_cmp_ne_u64_e64 s[26:27], 0, v[0:1]
	s_and_b64 s[42:43], s[26:27], vcc
	; wave barrier
	s_and_saveexec_b64 s[26:27], s[42:43]
	s_cbranch_execz .LBB2404_20
; %bb.19:                               ;   in Loop: Header=BB2404_14 Depth=1
	v_bcnt_u32_b32 v0, v0, 0
	v_bcnt_u32_b32 v0, v1, v0
	s_waitcnt lgkmcnt(0)
	v_add_u32_e32 v0, v25, v0
	ds_write_b32 v35, v0
.LBB2404_20:                            ;   in Loop: Header=BB2404_14 Depth=1
	s_or_b64 exec, exec, s[26:27]
	v_lshrrev_b64 v[0:1], s28, v[12:13]
	v_and_b32_e32 v0, s40, v0
	v_lshlrev_b32_e32 v1, 2, v0
	v_add_lshl_u32 v1, v1, v26, 2
	; wave barrier
	v_add_u32_e32 v38, 16, v1
	ds_read_b32 v37, v1 offset:16
	v_and_b32_e32 v1, 1, v0
	v_add_co_u32_e32 v2, vcc, -1, v1
	v_addc_co_u32_e64 v3, s[26:27], 0, -1, vcc
	v_cmp_ne_u32_e32 vcc, 0, v1
	v_lshlrev_b32_e32 v9, 30, v0
	v_xor_b32_e32 v1, vcc_hi, v3
	v_not_b32_e32 v3, v9
	v_xor_b32_e32 v2, vcc_lo, v2
	v_cmp_gt_i64_e32 vcc, 0, v[8:9]
	v_ashrrev_i32_e32 v3, 31, v3
	v_and_b32_e32 v1, exec_hi, v1
	v_xor_b32_e32 v9, vcc_hi, v3
	v_and_b32_e32 v2, exec_lo, v2
	v_xor_b32_e32 v3, vcc_lo, v3
	v_and_b32_e32 v1, v1, v9
	v_lshlrev_b32_e32 v9, 29, v0
	v_and_b32_e32 v2, v2, v3
	v_not_b32_e32 v3, v9
	v_cmp_gt_i64_e32 vcc, 0, v[8:9]
	v_ashrrev_i32_e32 v3, 31, v3
	v_xor_b32_e32 v9, vcc_hi, v3
	v_xor_b32_e32 v3, vcc_lo, v3
	v_and_b32_e32 v1, v1, v9
	v_lshlrev_b32_e32 v9, 28, v0
	v_and_b32_e32 v2, v2, v3
	v_not_b32_e32 v3, v9
	v_cmp_gt_i64_e32 vcc, 0, v[8:9]
	v_ashrrev_i32_e32 v3, 31, v3
	v_xor_b32_e32 v9, vcc_hi, v3
	;; [unrolled: 8-line block ×5, first 2 shown]
	v_and_b32_e32 v1, v1, v9
	v_lshlrev_b32_e32 v9, 24, v0
	v_not_b32_e32 v0, v9
	v_xor_b32_e32 v3, vcc_lo, v3
	v_cmp_gt_i64_e32 vcc, 0, v[8:9]
	v_ashrrev_i32_e32 v0, 31, v0
	v_and_b32_e32 v2, v2, v3
	v_xor_b32_e32 v3, vcc_hi, v0
	v_xor_b32_e32 v0, vcc_lo, v0
	v_and_b32_e32 v0, v2, v0
	v_and_b32_e32 v1, v1, v3
	v_mbcnt_lo_u32_b32 v2, v0, 0
	v_mbcnt_hi_u32_b32 v9, v1, v2
	v_cmp_eq_u32_e32 vcc, 0, v9
	v_cmp_ne_u64_e64 s[26:27], 0, v[0:1]
	s_and_b64 s[40:41], s[26:27], vcc
	; wave barrier
	s_and_saveexec_b64 s[26:27], s[40:41]
	s_cbranch_execz .LBB2404_22
; %bb.21:                               ;   in Loop: Header=BB2404_14 Depth=1
	v_bcnt_u32_b32 v0, v0, 0
	v_bcnt_u32_b32 v0, v1, v0
	s_waitcnt lgkmcnt(0)
	v_add_u32_e32 v0, v37, v0
	ds_write_b32 v38, v0
.LBB2404_22:                            ;   in Loop: Header=BB2404_14 Depth=1
	s_or_b64 exec, exec, s[26:27]
	; wave barrier
	s_waitcnt lgkmcnt(0)
	s_barrier
	ds_read2_b64 v[0:3], v11 offset0:2 offset1:3
	s_waitcnt lgkmcnt(0)
	v_add_u32_e32 v39, v1, v0
	v_add3_u32 v3, v39, v2, v3
	s_nop 1
	v_mov_b32_dpp v39, v3 row_shr:1 row_mask:0xf bank_mask:0xf
	v_cndmask_b32_e64 v39, v39, 0, s[0:1]
	v_add_u32_e32 v3, v39, v3
	s_nop 1
	v_mov_b32_dpp v39, v3 row_shr:2 row_mask:0xf bank_mask:0xf
	v_cndmask_b32_e64 v39, 0, v39, s[2:3]
	v_add_u32_e32 v3, v3, v39
	;; [unrolled: 4-line block ×4, first 2 shown]
	s_nop 1
	v_mov_b32_dpp v39, v3 row_bcast:15 row_mask:0xf bank_mask:0xf
	v_cndmask_b32_e64 v39, v39, 0, s[8:9]
	v_add_u32_e32 v3, v3, v39
	s_nop 1
	v_mov_b32_dpp v39, v3 row_bcast:31 row_mask:0xf bank_mask:0xf
	v_cndmask_b32_e64 v39, 0, v39, s[10:11]
	v_add_u32_e32 v3, v3, v39
	s_and_saveexec_b64 s[26:27], s[12:13]
	s_cbranch_execz .LBB2404_24
; %bb.23:                               ;   in Loop: Header=BB2404_14 Depth=1
	ds_write_b32 v28, v3
.LBB2404_24:                            ;   in Loop: Header=BB2404_14 Depth=1
	s_or_b64 exec, exec, s[26:27]
	s_waitcnt lgkmcnt(0)
	s_barrier
	s_and_saveexec_b64 s[26:27], s[14:15]
	s_cbranch_execz .LBB2404_26
; %bb.25:                               ;   in Loop: Header=BB2404_14 Depth=1
	ds_read_b32 v39, v34
	s_waitcnt lgkmcnt(0)
	s_nop 0
	v_mov_b32_dpp v40, v39 row_shr:1 row_mask:0xf bank_mask:0xf
	v_cndmask_b32_e64 v40, v40, 0, s[22:23]
	v_add_u32_e32 v39, v40, v39
	s_nop 1
	v_mov_b32_dpp v40, v39 row_shr:2 row_mask:0xf bank_mask:0xf
	v_cndmask_b32_e64 v40, 0, v40, s[24:25]
	v_add_u32_e32 v39, v39, v40
	ds_write_b32 v34, v39
.LBB2404_26:                            ;   in Loop: Header=BB2404_14 Depth=1
	s_or_b64 exec, exec, s[26:27]
	v_mov_b32_e32 v39, 0
	s_waitcnt lgkmcnt(0)
	s_barrier
	s_and_saveexec_b64 s[26:27], s[16:17]
	s_cbranch_execz .LBB2404_28
; %bb.27:                               ;   in Loop: Header=BB2404_14 Depth=1
	ds_read_b32 v39, v29
.LBB2404_28:                            ;   in Loop: Header=BB2404_14 Depth=1
	s_or_b64 exec, exec, s[26:27]
	s_waitcnt lgkmcnt(0)
	v_add_u32_e32 v3, v39, v3
	ds_bpermute_b32 v3, v27, v3
	s_add_i32 s28, s28, 8
	s_cmp_ge_u32 s28, s38
	s_waitcnt lgkmcnt(0)
	v_cndmask_b32_e64 v3, v3, v39, s[18:19]
	v_cndmask_b32_e64 v40, v3, 0, s[20:21]
	v_add_u32_e32 v41, v40, v0
	v_add_u32_e32 v0, v41, v1
	;; [unrolled: 1-line block ×3, first 2 shown]
	ds_write2_b64 v11, v[40:41], v[0:1] offset0:2 offset1:3
	s_waitcnt lgkmcnt(0)
	s_barrier
	ds_read_b32 v0, v20
	ds_read_b32 v1, v23
	;; [unrolled: 1-line block ×4, first 2 shown]
	v_lshlrev_b32_e32 v20, 3, v21
	s_waitcnt lgkmcnt(3)
	v_lshl_add_u32 v0, v0, 3, v20
	v_lshlrev_b32_e32 v20, 3, v24
	v_lshlrev_b32_e32 v21, 3, v22
	s_waitcnt lgkmcnt(2)
	v_lshlrev_b32_e32 v1, 3, v1
	v_add3_u32 v1, v20, v21, v1
	v_lshlrev_b32_e32 v20, 3, v36
	v_lshlrev_b32_e32 v21, 3, v25
	s_waitcnt lgkmcnt(1)
	v_lshlrev_b32_e32 v2, 3, v2
	v_add3_u32 v35, v20, v21, v2
	;; [unrolled: 5-line block ×3, first 2 shown]
	s_cbranch_scc0 .LBB2404_13
; %bb.29:
                                        ; implicit-def: $vgpr24_vgpr25
                                        ; implicit-def: $vgpr22_vgpr23
                                        ; implicit-def: $vgpr20_vgpr21
                                        ; implicit-def: $vgpr2_vgpr3
                                        ; implicit-def: $sgpr28
.LBB2404_30:
	v_lshlrev_b32_e32 v11, 3, v10
	s_barrier
	ds_write_b64 v0, v[18:19]
	ds_write_b64 v1, v[16:17]
	;; [unrolled: 1-line block ×4, first 2 shown]
	s_waitcnt lgkmcnt(0)
	s_barrier
	ds_read2st64_b64 v[4:7], v11 offset1:4
	ds_read2st64_b64 v[0:3], v11 offset0:8 offset1:12
	s_add_u32 s0, s30, s36
	s_addc_u32 s1, s31, s37
	s_andn2_b64 vcc, exec, s[34:35]
	s_waitcnt lgkmcnt(1)
	v_not_b32_e32 v9, v5
	v_not_b32_e32 v8, v4
	s_waitcnt lgkmcnt(0)
	v_not_b32_e32 v5, v1
	v_not_b32_e32 v4, v0
	v_mov_b32_e32 v1, s1
	v_add_co_u32_e64 v0, s[0:1], s0, v11
	v_not_b32_e32 v7, v7
	v_not_b32_e32 v6, v6
	v_addc_co_u32_e64 v1, s[0:1], 0, v1, s[0:1]
	s_cbranch_vccnz .LBB2404_32
; %bb.31:
	v_add_co_u32_e32 v12, vcc, 0x1000, v0
	v_addc_co_u32_e32 v13, vcc, 0, v1, vcc
	s_mov_b64 s[0:1], -1
	global_store_dwordx2 v[0:1], v[8:9], off
	global_store_dwordx2 v[0:1], v[6:7], off offset:2048
	global_store_dwordx2 v[12:13], v[4:5], off
	s_cbranch_execz .LBB2404_33
	s_branch .LBB2404_40
.LBB2404_32:
	s_mov_b64 s[0:1], 0
.LBB2404_33:
	v_cmp_gt_u32_e32 vcc, s33, v10
	s_and_saveexec_b64 s[0:1], vcc
	s_cbranch_execz .LBB2404_35
; %bb.34:
	global_store_dwordx2 v[0:1], v[8:9], off
.LBB2404_35:
	s_or_b64 exec, exec, s[0:1]
	v_add_u32_e32 v8, 0x100, v10
	v_cmp_gt_u32_e32 vcc, s33, v8
	s_and_saveexec_b64 s[0:1], vcc
	s_cbranch_execz .LBB2404_37
; %bb.36:
	global_store_dwordx2 v[0:1], v[6:7], off offset:2048
.LBB2404_37:
	s_or_b64 exec, exec, s[0:1]
	v_add_u32_e32 v6, 0x200, v10
	v_cmp_gt_u32_e32 vcc, s33, v6
	s_and_saveexec_b64 s[0:1], vcc
	s_cbranch_execz .LBB2404_39
; %bb.38:
	v_add_co_u32_e32 v6, vcc, 0x1000, v0
	v_addc_co_u32_e32 v7, vcc, 0, v1, vcc
	global_store_dwordx2 v[6:7], v[4:5], off
.LBB2404_39:
	s_or_b64 exec, exec, s[0:1]
	v_add_u32_e32 v4, 0x300, v10
	v_cmp_gt_u32_e64 s[0:1], s33, v4
.LBB2404_40:
	s_and_saveexec_b64 s[2:3], s[0:1]
	s_cbranch_execnz .LBB2404_42
; %bb.41:
	s_endpgm
.LBB2404_42:
	v_add_co_u32_e32 v0, vcc, 0x1000, v0
	v_not_b32_e32 v3, v3
	v_not_b32_e32 v2, v2
	v_addc_co_u32_e32 v1, vcc, 0, v1, vcc
	global_store_dwordx2 v[0:1], v[2:3], off offset:2048
	s_endpgm
	.section	.rodata,"a",@progbits
	.p2align	6, 0x0
	.amdhsa_kernel _ZN7rocprim17ROCPRIM_400000_NS6detail17trampoline_kernelINS0_13kernel_configILj256ELj4ELj4294967295EEENS1_37radix_sort_block_sort_config_selectorIyNS0_10empty_typeEEEZNS1_21radix_sort_block_sortIS4_Lb1EPyS9_PS6_SA_NS0_19identity_decomposerEEE10hipError_tT1_T2_T3_T4_jRjT5_jjP12ihipStream_tbEUlT_E_NS1_11comp_targetILNS1_3genE4ELNS1_11target_archE910ELNS1_3gpuE8ELNS1_3repE0EEENS1_44radix_sort_block_sort_config_static_selectorELNS0_4arch9wavefront6targetE1EEEvSD_
		.amdhsa_group_segment_fixed_size 8192
		.amdhsa_private_segment_fixed_size 0
		.amdhsa_kernarg_size 304
		.amdhsa_user_sgpr_count 6
		.amdhsa_user_sgpr_private_segment_buffer 1
		.amdhsa_user_sgpr_dispatch_ptr 0
		.amdhsa_user_sgpr_queue_ptr 0
		.amdhsa_user_sgpr_kernarg_segment_ptr 1
		.amdhsa_user_sgpr_dispatch_id 0
		.amdhsa_user_sgpr_flat_scratch_init 0
		.amdhsa_user_sgpr_kernarg_preload_length 0
		.amdhsa_user_sgpr_kernarg_preload_offset 0
		.amdhsa_user_sgpr_private_segment_size 0
		.amdhsa_uses_dynamic_stack 0
		.amdhsa_system_sgpr_private_segment_wavefront_offset 0
		.amdhsa_system_sgpr_workgroup_id_x 1
		.amdhsa_system_sgpr_workgroup_id_y 0
		.amdhsa_system_sgpr_workgroup_id_z 0
		.amdhsa_system_sgpr_workgroup_info 0
		.amdhsa_system_vgpr_workitem_id 2
		.amdhsa_next_free_vgpr 42
		.amdhsa_next_free_sgpr 44
		.amdhsa_accum_offset 44
		.amdhsa_reserve_vcc 1
		.amdhsa_reserve_flat_scratch 0
		.amdhsa_float_round_mode_32 0
		.amdhsa_float_round_mode_16_64 0
		.amdhsa_float_denorm_mode_32 3
		.amdhsa_float_denorm_mode_16_64 3
		.amdhsa_dx10_clamp 1
		.amdhsa_ieee_mode 1
		.amdhsa_fp16_overflow 0
		.amdhsa_tg_split 0
		.amdhsa_exception_fp_ieee_invalid_op 0
		.amdhsa_exception_fp_denorm_src 0
		.amdhsa_exception_fp_ieee_div_zero 0
		.amdhsa_exception_fp_ieee_overflow 0
		.amdhsa_exception_fp_ieee_underflow 0
		.amdhsa_exception_fp_ieee_inexact 0
		.amdhsa_exception_int_div_zero 0
	.end_amdhsa_kernel
	.section	.text._ZN7rocprim17ROCPRIM_400000_NS6detail17trampoline_kernelINS0_13kernel_configILj256ELj4ELj4294967295EEENS1_37radix_sort_block_sort_config_selectorIyNS0_10empty_typeEEEZNS1_21radix_sort_block_sortIS4_Lb1EPyS9_PS6_SA_NS0_19identity_decomposerEEE10hipError_tT1_T2_T3_T4_jRjT5_jjP12ihipStream_tbEUlT_E_NS1_11comp_targetILNS1_3genE4ELNS1_11target_archE910ELNS1_3gpuE8ELNS1_3repE0EEENS1_44radix_sort_block_sort_config_static_selectorELNS0_4arch9wavefront6targetE1EEEvSD_,"axG",@progbits,_ZN7rocprim17ROCPRIM_400000_NS6detail17trampoline_kernelINS0_13kernel_configILj256ELj4ELj4294967295EEENS1_37radix_sort_block_sort_config_selectorIyNS0_10empty_typeEEEZNS1_21radix_sort_block_sortIS4_Lb1EPyS9_PS6_SA_NS0_19identity_decomposerEEE10hipError_tT1_T2_T3_T4_jRjT5_jjP12ihipStream_tbEUlT_E_NS1_11comp_targetILNS1_3genE4ELNS1_11target_archE910ELNS1_3gpuE8ELNS1_3repE0EEENS1_44radix_sort_block_sort_config_static_selectorELNS0_4arch9wavefront6targetE1EEEvSD_,comdat
.Lfunc_end2404:
	.size	_ZN7rocprim17ROCPRIM_400000_NS6detail17trampoline_kernelINS0_13kernel_configILj256ELj4ELj4294967295EEENS1_37radix_sort_block_sort_config_selectorIyNS0_10empty_typeEEEZNS1_21radix_sort_block_sortIS4_Lb1EPyS9_PS6_SA_NS0_19identity_decomposerEEE10hipError_tT1_T2_T3_T4_jRjT5_jjP12ihipStream_tbEUlT_E_NS1_11comp_targetILNS1_3genE4ELNS1_11target_archE910ELNS1_3gpuE8ELNS1_3repE0EEENS1_44radix_sort_block_sort_config_static_selectorELNS0_4arch9wavefront6targetE1EEEvSD_, .Lfunc_end2404-_ZN7rocprim17ROCPRIM_400000_NS6detail17trampoline_kernelINS0_13kernel_configILj256ELj4ELj4294967295EEENS1_37radix_sort_block_sort_config_selectorIyNS0_10empty_typeEEEZNS1_21radix_sort_block_sortIS4_Lb1EPyS9_PS6_SA_NS0_19identity_decomposerEEE10hipError_tT1_T2_T3_T4_jRjT5_jjP12ihipStream_tbEUlT_E_NS1_11comp_targetILNS1_3genE4ELNS1_11target_archE910ELNS1_3gpuE8ELNS1_3repE0EEENS1_44radix_sort_block_sort_config_static_selectorELNS0_4arch9wavefront6targetE1EEEvSD_
                                        ; -- End function
	.section	.AMDGPU.csdata,"",@progbits
; Kernel info:
; codeLenInByte = 3284
; NumSgprs: 48
; NumVgprs: 42
; NumAgprs: 0
; TotalNumVgprs: 42
; ScratchSize: 0
; MemoryBound: 1
; FloatMode: 240
; IeeeMode: 1
; LDSByteSize: 8192 bytes/workgroup (compile time only)
; SGPRBlocks: 5
; VGPRBlocks: 5
; NumSGPRsForWavesPerEU: 48
; NumVGPRsForWavesPerEU: 42
; AccumOffset: 44
; Occupancy: 8
; WaveLimiterHint : 1
; COMPUTE_PGM_RSRC2:SCRATCH_EN: 0
; COMPUTE_PGM_RSRC2:USER_SGPR: 6
; COMPUTE_PGM_RSRC2:TRAP_HANDLER: 0
; COMPUTE_PGM_RSRC2:TGID_X_EN: 1
; COMPUTE_PGM_RSRC2:TGID_Y_EN: 0
; COMPUTE_PGM_RSRC2:TGID_Z_EN: 0
; COMPUTE_PGM_RSRC2:TIDIG_COMP_CNT: 2
; COMPUTE_PGM_RSRC3_GFX90A:ACCUM_OFFSET: 10
; COMPUTE_PGM_RSRC3_GFX90A:TG_SPLIT: 0
	.section	.text._ZN7rocprim17ROCPRIM_400000_NS6detail17trampoline_kernelINS0_13kernel_configILj256ELj4ELj4294967295EEENS1_37radix_sort_block_sort_config_selectorIyNS0_10empty_typeEEEZNS1_21radix_sort_block_sortIS4_Lb1EPyS9_PS6_SA_NS0_19identity_decomposerEEE10hipError_tT1_T2_T3_T4_jRjT5_jjP12ihipStream_tbEUlT_E_NS1_11comp_targetILNS1_3genE3ELNS1_11target_archE908ELNS1_3gpuE7ELNS1_3repE0EEENS1_44radix_sort_block_sort_config_static_selectorELNS0_4arch9wavefront6targetE1EEEvSD_,"axG",@progbits,_ZN7rocprim17ROCPRIM_400000_NS6detail17trampoline_kernelINS0_13kernel_configILj256ELj4ELj4294967295EEENS1_37radix_sort_block_sort_config_selectorIyNS0_10empty_typeEEEZNS1_21radix_sort_block_sortIS4_Lb1EPyS9_PS6_SA_NS0_19identity_decomposerEEE10hipError_tT1_T2_T3_T4_jRjT5_jjP12ihipStream_tbEUlT_E_NS1_11comp_targetILNS1_3genE3ELNS1_11target_archE908ELNS1_3gpuE7ELNS1_3repE0EEENS1_44radix_sort_block_sort_config_static_selectorELNS0_4arch9wavefront6targetE1EEEvSD_,comdat
	.protected	_ZN7rocprim17ROCPRIM_400000_NS6detail17trampoline_kernelINS0_13kernel_configILj256ELj4ELj4294967295EEENS1_37radix_sort_block_sort_config_selectorIyNS0_10empty_typeEEEZNS1_21radix_sort_block_sortIS4_Lb1EPyS9_PS6_SA_NS0_19identity_decomposerEEE10hipError_tT1_T2_T3_T4_jRjT5_jjP12ihipStream_tbEUlT_E_NS1_11comp_targetILNS1_3genE3ELNS1_11target_archE908ELNS1_3gpuE7ELNS1_3repE0EEENS1_44radix_sort_block_sort_config_static_selectorELNS0_4arch9wavefront6targetE1EEEvSD_ ; -- Begin function _ZN7rocprim17ROCPRIM_400000_NS6detail17trampoline_kernelINS0_13kernel_configILj256ELj4ELj4294967295EEENS1_37radix_sort_block_sort_config_selectorIyNS0_10empty_typeEEEZNS1_21radix_sort_block_sortIS4_Lb1EPyS9_PS6_SA_NS0_19identity_decomposerEEE10hipError_tT1_T2_T3_T4_jRjT5_jjP12ihipStream_tbEUlT_E_NS1_11comp_targetILNS1_3genE3ELNS1_11target_archE908ELNS1_3gpuE7ELNS1_3repE0EEENS1_44radix_sort_block_sort_config_static_selectorELNS0_4arch9wavefront6targetE1EEEvSD_
	.globl	_ZN7rocprim17ROCPRIM_400000_NS6detail17trampoline_kernelINS0_13kernel_configILj256ELj4ELj4294967295EEENS1_37radix_sort_block_sort_config_selectorIyNS0_10empty_typeEEEZNS1_21radix_sort_block_sortIS4_Lb1EPyS9_PS6_SA_NS0_19identity_decomposerEEE10hipError_tT1_T2_T3_T4_jRjT5_jjP12ihipStream_tbEUlT_E_NS1_11comp_targetILNS1_3genE3ELNS1_11target_archE908ELNS1_3gpuE7ELNS1_3repE0EEENS1_44radix_sort_block_sort_config_static_selectorELNS0_4arch9wavefront6targetE1EEEvSD_
	.p2align	8
	.type	_ZN7rocprim17ROCPRIM_400000_NS6detail17trampoline_kernelINS0_13kernel_configILj256ELj4ELj4294967295EEENS1_37radix_sort_block_sort_config_selectorIyNS0_10empty_typeEEEZNS1_21radix_sort_block_sortIS4_Lb1EPyS9_PS6_SA_NS0_19identity_decomposerEEE10hipError_tT1_T2_T3_T4_jRjT5_jjP12ihipStream_tbEUlT_E_NS1_11comp_targetILNS1_3genE3ELNS1_11target_archE908ELNS1_3gpuE7ELNS1_3repE0EEENS1_44radix_sort_block_sort_config_static_selectorELNS0_4arch9wavefront6targetE1EEEvSD_,@function
_ZN7rocprim17ROCPRIM_400000_NS6detail17trampoline_kernelINS0_13kernel_configILj256ELj4ELj4294967295EEENS1_37radix_sort_block_sort_config_selectorIyNS0_10empty_typeEEEZNS1_21radix_sort_block_sortIS4_Lb1EPyS9_PS6_SA_NS0_19identity_decomposerEEE10hipError_tT1_T2_T3_T4_jRjT5_jjP12ihipStream_tbEUlT_E_NS1_11comp_targetILNS1_3genE3ELNS1_11target_archE908ELNS1_3gpuE7ELNS1_3repE0EEENS1_44radix_sort_block_sort_config_static_selectorELNS0_4arch9wavefront6targetE1EEEvSD_: ; @_ZN7rocprim17ROCPRIM_400000_NS6detail17trampoline_kernelINS0_13kernel_configILj256ELj4ELj4294967295EEENS1_37radix_sort_block_sort_config_selectorIyNS0_10empty_typeEEEZNS1_21radix_sort_block_sortIS4_Lb1EPyS9_PS6_SA_NS0_19identity_decomposerEEE10hipError_tT1_T2_T3_T4_jRjT5_jjP12ihipStream_tbEUlT_E_NS1_11comp_targetILNS1_3genE3ELNS1_11target_archE908ELNS1_3gpuE7ELNS1_3repE0EEENS1_44radix_sort_block_sort_config_static_selectorELNS0_4arch9wavefront6targetE1EEEvSD_
; %bb.0:
	.section	.rodata,"a",@progbits
	.p2align	6, 0x0
	.amdhsa_kernel _ZN7rocprim17ROCPRIM_400000_NS6detail17trampoline_kernelINS0_13kernel_configILj256ELj4ELj4294967295EEENS1_37radix_sort_block_sort_config_selectorIyNS0_10empty_typeEEEZNS1_21radix_sort_block_sortIS4_Lb1EPyS9_PS6_SA_NS0_19identity_decomposerEEE10hipError_tT1_T2_T3_T4_jRjT5_jjP12ihipStream_tbEUlT_E_NS1_11comp_targetILNS1_3genE3ELNS1_11target_archE908ELNS1_3gpuE7ELNS1_3repE0EEENS1_44radix_sort_block_sort_config_static_selectorELNS0_4arch9wavefront6targetE1EEEvSD_
		.amdhsa_group_segment_fixed_size 0
		.amdhsa_private_segment_fixed_size 0
		.amdhsa_kernarg_size 48
		.amdhsa_user_sgpr_count 6
		.amdhsa_user_sgpr_private_segment_buffer 1
		.amdhsa_user_sgpr_dispatch_ptr 0
		.amdhsa_user_sgpr_queue_ptr 0
		.amdhsa_user_sgpr_kernarg_segment_ptr 1
		.amdhsa_user_sgpr_dispatch_id 0
		.amdhsa_user_sgpr_flat_scratch_init 0
		.amdhsa_user_sgpr_kernarg_preload_length 0
		.amdhsa_user_sgpr_kernarg_preload_offset 0
		.amdhsa_user_sgpr_private_segment_size 0
		.amdhsa_uses_dynamic_stack 0
		.amdhsa_system_sgpr_private_segment_wavefront_offset 0
		.amdhsa_system_sgpr_workgroup_id_x 1
		.amdhsa_system_sgpr_workgroup_id_y 0
		.amdhsa_system_sgpr_workgroup_id_z 0
		.amdhsa_system_sgpr_workgroup_info 0
		.amdhsa_system_vgpr_workitem_id 0
		.amdhsa_next_free_vgpr 1
		.amdhsa_next_free_sgpr 0
		.amdhsa_accum_offset 4
		.amdhsa_reserve_vcc 0
		.amdhsa_reserve_flat_scratch 0
		.amdhsa_float_round_mode_32 0
		.amdhsa_float_round_mode_16_64 0
		.amdhsa_float_denorm_mode_32 3
		.amdhsa_float_denorm_mode_16_64 3
		.amdhsa_dx10_clamp 1
		.amdhsa_ieee_mode 1
		.amdhsa_fp16_overflow 0
		.amdhsa_tg_split 0
		.amdhsa_exception_fp_ieee_invalid_op 0
		.amdhsa_exception_fp_denorm_src 0
		.amdhsa_exception_fp_ieee_div_zero 0
		.amdhsa_exception_fp_ieee_overflow 0
		.amdhsa_exception_fp_ieee_underflow 0
		.amdhsa_exception_fp_ieee_inexact 0
		.amdhsa_exception_int_div_zero 0
	.end_amdhsa_kernel
	.section	.text._ZN7rocprim17ROCPRIM_400000_NS6detail17trampoline_kernelINS0_13kernel_configILj256ELj4ELj4294967295EEENS1_37radix_sort_block_sort_config_selectorIyNS0_10empty_typeEEEZNS1_21radix_sort_block_sortIS4_Lb1EPyS9_PS6_SA_NS0_19identity_decomposerEEE10hipError_tT1_T2_T3_T4_jRjT5_jjP12ihipStream_tbEUlT_E_NS1_11comp_targetILNS1_3genE3ELNS1_11target_archE908ELNS1_3gpuE7ELNS1_3repE0EEENS1_44radix_sort_block_sort_config_static_selectorELNS0_4arch9wavefront6targetE1EEEvSD_,"axG",@progbits,_ZN7rocprim17ROCPRIM_400000_NS6detail17trampoline_kernelINS0_13kernel_configILj256ELj4ELj4294967295EEENS1_37radix_sort_block_sort_config_selectorIyNS0_10empty_typeEEEZNS1_21radix_sort_block_sortIS4_Lb1EPyS9_PS6_SA_NS0_19identity_decomposerEEE10hipError_tT1_T2_T3_T4_jRjT5_jjP12ihipStream_tbEUlT_E_NS1_11comp_targetILNS1_3genE3ELNS1_11target_archE908ELNS1_3gpuE7ELNS1_3repE0EEENS1_44radix_sort_block_sort_config_static_selectorELNS0_4arch9wavefront6targetE1EEEvSD_,comdat
.Lfunc_end2405:
	.size	_ZN7rocprim17ROCPRIM_400000_NS6detail17trampoline_kernelINS0_13kernel_configILj256ELj4ELj4294967295EEENS1_37radix_sort_block_sort_config_selectorIyNS0_10empty_typeEEEZNS1_21radix_sort_block_sortIS4_Lb1EPyS9_PS6_SA_NS0_19identity_decomposerEEE10hipError_tT1_T2_T3_T4_jRjT5_jjP12ihipStream_tbEUlT_E_NS1_11comp_targetILNS1_3genE3ELNS1_11target_archE908ELNS1_3gpuE7ELNS1_3repE0EEENS1_44radix_sort_block_sort_config_static_selectorELNS0_4arch9wavefront6targetE1EEEvSD_, .Lfunc_end2405-_ZN7rocprim17ROCPRIM_400000_NS6detail17trampoline_kernelINS0_13kernel_configILj256ELj4ELj4294967295EEENS1_37radix_sort_block_sort_config_selectorIyNS0_10empty_typeEEEZNS1_21radix_sort_block_sortIS4_Lb1EPyS9_PS6_SA_NS0_19identity_decomposerEEE10hipError_tT1_T2_T3_T4_jRjT5_jjP12ihipStream_tbEUlT_E_NS1_11comp_targetILNS1_3genE3ELNS1_11target_archE908ELNS1_3gpuE7ELNS1_3repE0EEENS1_44radix_sort_block_sort_config_static_selectorELNS0_4arch9wavefront6targetE1EEEvSD_
                                        ; -- End function
	.section	.AMDGPU.csdata,"",@progbits
; Kernel info:
; codeLenInByte = 0
; NumSgprs: 4
; NumVgprs: 0
; NumAgprs: 0
; TotalNumVgprs: 0
; ScratchSize: 0
; MemoryBound: 0
; FloatMode: 240
; IeeeMode: 1
; LDSByteSize: 0 bytes/workgroup (compile time only)
; SGPRBlocks: 0
; VGPRBlocks: 0
; NumSGPRsForWavesPerEU: 4
; NumVGPRsForWavesPerEU: 1
; AccumOffset: 4
; Occupancy: 8
; WaveLimiterHint : 0
; COMPUTE_PGM_RSRC2:SCRATCH_EN: 0
; COMPUTE_PGM_RSRC2:USER_SGPR: 6
; COMPUTE_PGM_RSRC2:TRAP_HANDLER: 0
; COMPUTE_PGM_RSRC2:TGID_X_EN: 1
; COMPUTE_PGM_RSRC2:TGID_Y_EN: 0
; COMPUTE_PGM_RSRC2:TGID_Z_EN: 0
; COMPUTE_PGM_RSRC2:TIDIG_COMP_CNT: 0
; COMPUTE_PGM_RSRC3_GFX90A:ACCUM_OFFSET: 0
; COMPUTE_PGM_RSRC3_GFX90A:TG_SPLIT: 0
	.section	.text._ZN7rocprim17ROCPRIM_400000_NS6detail17trampoline_kernelINS0_13kernel_configILj256ELj4ELj4294967295EEENS1_37radix_sort_block_sort_config_selectorIyNS0_10empty_typeEEEZNS1_21radix_sort_block_sortIS4_Lb1EPyS9_PS6_SA_NS0_19identity_decomposerEEE10hipError_tT1_T2_T3_T4_jRjT5_jjP12ihipStream_tbEUlT_E_NS1_11comp_targetILNS1_3genE2ELNS1_11target_archE906ELNS1_3gpuE6ELNS1_3repE0EEENS1_44radix_sort_block_sort_config_static_selectorELNS0_4arch9wavefront6targetE1EEEvSD_,"axG",@progbits,_ZN7rocprim17ROCPRIM_400000_NS6detail17trampoline_kernelINS0_13kernel_configILj256ELj4ELj4294967295EEENS1_37radix_sort_block_sort_config_selectorIyNS0_10empty_typeEEEZNS1_21radix_sort_block_sortIS4_Lb1EPyS9_PS6_SA_NS0_19identity_decomposerEEE10hipError_tT1_T2_T3_T4_jRjT5_jjP12ihipStream_tbEUlT_E_NS1_11comp_targetILNS1_3genE2ELNS1_11target_archE906ELNS1_3gpuE6ELNS1_3repE0EEENS1_44radix_sort_block_sort_config_static_selectorELNS0_4arch9wavefront6targetE1EEEvSD_,comdat
	.protected	_ZN7rocprim17ROCPRIM_400000_NS6detail17trampoline_kernelINS0_13kernel_configILj256ELj4ELj4294967295EEENS1_37radix_sort_block_sort_config_selectorIyNS0_10empty_typeEEEZNS1_21radix_sort_block_sortIS4_Lb1EPyS9_PS6_SA_NS0_19identity_decomposerEEE10hipError_tT1_T2_T3_T4_jRjT5_jjP12ihipStream_tbEUlT_E_NS1_11comp_targetILNS1_3genE2ELNS1_11target_archE906ELNS1_3gpuE6ELNS1_3repE0EEENS1_44radix_sort_block_sort_config_static_selectorELNS0_4arch9wavefront6targetE1EEEvSD_ ; -- Begin function _ZN7rocprim17ROCPRIM_400000_NS6detail17trampoline_kernelINS0_13kernel_configILj256ELj4ELj4294967295EEENS1_37radix_sort_block_sort_config_selectorIyNS0_10empty_typeEEEZNS1_21radix_sort_block_sortIS4_Lb1EPyS9_PS6_SA_NS0_19identity_decomposerEEE10hipError_tT1_T2_T3_T4_jRjT5_jjP12ihipStream_tbEUlT_E_NS1_11comp_targetILNS1_3genE2ELNS1_11target_archE906ELNS1_3gpuE6ELNS1_3repE0EEENS1_44radix_sort_block_sort_config_static_selectorELNS0_4arch9wavefront6targetE1EEEvSD_
	.globl	_ZN7rocprim17ROCPRIM_400000_NS6detail17trampoline_kernelINS0_13kernel_configILj256ELj4ELj4294967295EEENS1_37radix_sort_block_sort_config_selectorIyNS0_10empty_typeEEEZNS1_21radix_sort_block_sortIS4_Lb1EPyS9_PS6_SA_NS0_19identity_decomposerEEE10hipError_tT1_T2_T3_T4_jRjT5_jjP12ihipStream_tbEUlT_E_NS1_11comp_targetILNS1_3genE2ELNS1_11target_archE906ELNS1_3gpuE6ELNS1_3repE0EEENS1_44radix_sort_block_sort_config_static_selectorELNS0_4arch9wavefront6targetE1EEEvSD_
	.p2align	8
	.type	_ZN7rocprim17ROCPRIM_400000_NS6detail17trampoline_kernelINS0_13kernel_configILj256ELj4ELj4294967295EEENS1_37radix_sort_block_sort_config_selectorIyNS0_10empty_typeEEEZNS1_21radix_sort_block_sortIS4_Lb1EPyS9_PS6_SA_NS0_19identity_decomposerEEE10hipError_tT1_T2_T3_T4_jRjT5_jjP12ihipStream_tbEUlT_E_NS1_11comp_targetILNS1_3genE2ELNS1_11target_archE906ELNS1_3gpuE6ELNS1_3repE0EEENS1_44radix_sort_block_sort_config_static_selectorELNS0_4arch9wavefront6targetE1EEEvSD_,@function
_ZN7rocprim17ROCPRIM_400000_NS6detail17trampoline_kernelINS0_13kernel_configILj256ELj4ELj4294967295EEENS1_37radix_sort_block_sort_config_selectorIyNS0_10empty_typeEEEZNS1_21radix_sort_block_sortIS4_Lb1EPyS9_PS6_SA_NS0_19identity_decomposerEEE10hipError_tT1_T2_T3_T4_jRjT5_jjP12ihipStream_tbEUlT_E_NS1_11comp_targetILNS1_3genE2ELNS1_11target_archE906ELNS1_3gpuE6ELNS1_3repE0EEENS1_44radix_sort_block_sort_config_static_selectorELNS0_4arch9wavefront6targetE1EEEvSD_: ; @_ZN7rocprim17ROCPRIM_400000_NS6detail17trampoline_kernelINS0_13kernel_configILj256ELj4ELj4294967295EEENS1_37radix_sort_block_sort_config_selectorIyNS0_10empty_typeEEEZNS1_21radix_sort_block_sortIS4_Lb1EPyS9_PS6_SA_NS0_19identity_decomposerEEE10hipError_tT1_T2_T3_T4_jRjT5_jjP12ihipStream_tbEUlT_E_NS1_11comp_targetILNS1_3genE2ELNS1_11target_archE906ELNS1_3gpuE6ELNS1_3repE0EEENS1_44radix_sort_block_sort_config_static_selectorELNS0_4arch9wavefront6targetE1EEEvSD_
; %bb.0:
	.section	.rodata,"a",@progbits
	.p2align	6, 0x0
	.amdhsa_kernel _ZN7rocprim17ROCPRIM_400000_NS6detail17trampoline_kernelINS0_13kernel_configILj256ELj4ELj4294967295EEENS1_37radix_sort_block_sort_config_selectorIyNS0_10empty_typeEEEZNS1_21radix_sort_block_sortIS4_Lb1EPyS9_PS6_SA_NS0_19identity_decomposerEEE10hipError_tT1_T2_T3_T4_jRjT5_jjP12ihipStream_tbEUlT_E_NS1_11comp_targetILNS1_3genE2ELNS1_11target_archE906ELNS1_3gpuE6ELNS1_3repE0EEENS1_44radix_sort_block_sort_config_static_selectorELNS0_4arch9wavefront6targetE1EEEvSD_
		.amdhsa_group_segment_fixed_size 0
		.amdhsa_private_segment_fixed_size 0
		.amdhsa_kernarg_size 48
		.amdhsa_user_sgpr_count 6
		.amdhsa_user_sgpr_private_segment_buffer 1
		.amdhsa_user_sgpr_dispatch_ptr 0
		.amdhsa_user_sgpr_queue_ptr 0
		.amdhsa_user_sgpr_kernarg_segment_ptr 1
		.amdhsa_user_sgpr_dispatch_id 0
		.amdhsa_user_sgpr_flat_scratch_init 0
		.amdhsa_user_sgpr_kernarg_preload_length 0
		.amdhsa_user_sgpr_kernarg_preload_offset 0
		.amdhsa_user_sgpr_private_segment_size 0
		.amdhsa_uses_dynamic_stack 0
		.amdhsa_system_sgpr_private_segment_wavefront_offset 0
		.amdhsa_system_sgpr_workgroup_id_x 1
		.amdhsa_system_sgpr_workgroup_id_y 0
		.amdhsa_system_sgpr_workgroup_id_z 0
		.amdhsa_system_sgpr_workgroup_info 0
		.amdhsa_system_vgpr_workitem_id 0
		.amdhsa_next_free_vgpr 1
		.amdhsa_next_free_sgpr 0
		.amdhsa_accum_offset 4
		.amdhsa_reserve_vcc 0
		.amdhsa_reserve_flat_scratch 0
		.amdhsa_float_round_mode_32 0
		.amdhsa_float_round_mode_16_64 0
		.amdhsa_float_denorm_mode_32 3
		.amdhsa_float_denorm_mode_16_64 3
		.amdhsa_dx10_clamp 1
		.amdhsa_ieee_mode 1
		.amdhsa_fp16_overflow 0
		.amdhsa_tg_split 0
		.amdhsa_exception_fp_ieee_invalid_op 0
		.amdhsa_exception_fp_denorm_src 0
		.amdhsa_exception_fp_ieee_div_zero 0
		.amdhsa_exception_fp_ieee_overflow 0
		.amdhsa_exception_fp_ieee_underflow 0
		.amdhsa_exception_fp_ieee_inexact 0
		.amdhsa_exception_int_div_zero 0
	.end_amdhsa_kernel
	.section	.text._ZN7rocprim17ROCPRIM_400000_NS6detail17trampoline_kernelINS0_13kernel_configILj256ELj4ELj4294967295EEENS1_37radix_sort_block_sort_config_selectorIyNS0_10empty_typeEEEZNS1_21radix_sort_block_sortIS4_Lb1EPyS9_PS6_SA_NS0_19identity_decomposerEEE10hipError_tT1_T2_T3_T4_jRjT5_jjP12ihipStream_tbEUlT_E_NS1_11comp_targetILNS1_3genE2ELNS1_11target_archE906ELNS1_3gpuE6ELNS1_3repE0EEENS1_44radix_sort_block_sort_config_static_selectorELNS0_4arch9wavefront6targetE1EEEvSD_,"axG",@progbits,_ZN7rocprim17ROCPRIM_400000_NS6detail17trampoline_kernelINS0_13kernel_configILj256ELj4ELj4294967295EEENS1_37radix_sort_block_sort_config_selectorIyNS0_10empty_typeEEEZNS1_21radix_sort_block_sortIS4_Lb1EPyS9_PS6_SA_NS0_19identity_decomposerEEE10hipError_tT1_T2_T3_T4_jRjT5_jjP12ihipStream_tbEUlT_E_NS1_11comp_targetILNS1_3genE2ELNS1_11target_archE906ELNS1_3gpuE6ELNS1_3repE0EEENS1_44radix_sort_block_sort_config_static_selectorELNS0_4arch9wavefront6targetE1EEEvSD_,comdat
.Lfunc_end2406:
	.size	_ZN7rocprim17ROCPRIM_400000_NS6detail17trampoline_kernelINS0_13kernel_configILj256ELj4ELj4294967295EEENS1_37radix_sort_block_sort_config_selectorIyNS0_10empty_typeEEEZNS1_21radix_sort_block_sortIS4_Lb1EPyS9_PS6_SA_NS0_19identity_decomposerEEE10hipError_tT1_T2_T3_T4_jRjT5_jjP12ihipStream_tbEUlT_E_NS1_11comp_targetILNS1_3genE2ELNS1_11target_archE906ELNS1_3gpuE6ELNS1_3repE0EEENS1_44radix_sort_block_sort_config_static_selectorELNS0_4arch9wavefront6targetE1EEEvSD_, .Lfunc_end2406-_ZN7rocprim17ROCPRIM_400000_NS6detail17trampoline_kernelINS0_13kernel_configILj256ELj4ELj4294967295EEENS1_37radix_sort_block_sort_config_selectorIyNS0_10empty_typeEEEZNS1_21radix_sort_block_sortIS4_Lb1EPyS9_PS6_SA_NS0_19identity_decomposerEEE10hipError_tT1_T2_T3_T4_jRjT5_jjP12ihipStream_tbEUlT_E_NS1_11comp_targetILNS1_3genE2ELNS1_11target_archE906ELNS1_3gpuE6ELNS1_3repE0EEENS1_44radix_sort_block_sort_config_static_selectorELNS0_4arch9wavefront6targetE1EEEvSD_
                                        ; -- End function
	.section	.AMDGPU.csdata,"",@progbits
; Kernel info:
; codeLenInByte = 0
; NumSgprs: 4
; NumVgprs: 0
; NumAgprs: 0
; TotalNumVgprs: 0
; ScratchSize: 0
; MemoryBound: 0
; FloatMode: 240
; IeeeMode: 1
; LDSByteSize: 0 bytes/workgroup (compile time only)
; SGPRBlocks: 0
; VGPRBlocks: 0
; NumSGPRsForWavesPerEU: 4
; NumVGPRsForWavesPerEU: 1
; AccumOffset: 4
; Occupancy: 8
; WaveLimiterHint : 0
; COMPUTE_PGM_RSRC2:SCRATCH_EN: 0
; COMPUTE_PGM_RSRC2:USER_SGPR: 6
; COMPUTE_PGM_RSRC2:TRAP_HANDLER: 0
; COMPUTE_PGM_RSRC2:TGID_X_EN: 1
; COMPUTE_PGM_RSRC2:TGID_Y_EN: 0
; COMPUTE_PGM_RSRC2:TGID_Z_EN: 0
; COMPUTE_PGM_RSRC2:TIDIG_COMP_CNT: 0
; COMPUTE_PGM_RSRC3_GFX90A:ACCUM_OFFSET: 0
; COMPUTE_PGM_RSRC3_GFX90A:TG_SPLIT: 0
	.section	.text._ZN7rocprim17ROCPRIM_400000_NS6detail17trampoline_kernelINS0_13kernel_configILj256ELj4ELj4294967295EEENS1_37radix_sort_block_sort_config_selectorIyNS0_10empty_typeEEEZNS1_21radix_sort_block_sortIS4_Lb1EPyS9_PS6_SA_NS0_19identity_decomposerEEE10hipError_tT1_T2_T3_T4_jRjT5_jjP12ihipStream_tbEUlT_E_NS1_11comp_targetILNS1_3genE10ELNS1_11target_archE1201ELNS1_3gpuE5ELNS1_3repE0EEENS1_44radix_sort_block_sort_config_static_selectorELNS0_4arch9wavefront6targetE1EEEvSD_,"axG",@progbits,_ZN7rocprim17ROCPRIM_400000_NS6detail17trampoline_kernelINS0_13kernel_configILj256ELj4ELj4294967295EEENS1_37radix_sort_block_sort_config_selectorIyNS0_10empty_typeEEEZNS1_21radix_sort_block_sortIS4_Lb1EPyS9_PS6_SA_NS0_19identity_decomposerEEE10hipError_tT1_T2_T3_T4_jRjT5_jjP12ihipStream_tbEUlT_E_NS1_11comp_targetILNS1_3genE10ELNS1_11target_archE1201ELNS1_3gpuE5ELNS1_3repE0EEENS1_44radix_sort_block_sort_config_static_selectorELNS0_4arch9wavefront6targetE1EEEvSD_,comdat
	.protected	_ZN7rocprim17ROCPRIM_400000_NS6detail17trampoline_kernelINS0_13kernel_configILj256ELj4ELj4294967295EEENS1_37radix_sort_block_sort_config_selectorIyNS0_10empty_typeEEEZNS1_21radix_sort_block_sortIS4_Lb1EPyS9_PS6_SA_NS0_19identity_decomposerEEE10hipError_tT1_T2_T3_T4_jRjT5_jjP12ihipStream_tbEUlT_E_NS1_11comp_targetILNS1_3genE10ELNS1_11target_archE1201ELNS1_3gpuE5ELNS1_3repE0EEENS1_44radix_sort_block_sort_config_static_selectorELNS0_4arch9wavefront6targetE1EEEvSD_ ; -- Begin function _ZN7rocprim17ROCPRIM_400000_NS6detail17trampoline_kernelINS0_13kernel_configILj256ELj4ELj4294967295EEENS1_37radix_sort_block_sort_config_selectorIyNS0_10empty_typeEEEZNS1_21radix_sort_block_sortIS4_Lb1EPyS9_PS6_SA_NS0_19identity_decomposerEEE10hipError_tT1_T2_T3_T4_jRjT5_jjP12ihipStream_tbEUlT_E_NS1_11comp_targetILNS1_3genE10ELNS1_11target_archE1201ELNS1_3gpuE5ELNS1_3repE0EEENS1_44radix_sort_block_sort_config_static_selectorELNS0_4arch9wavefront6targetE1EEEvSD_
	.globl	_ZN7rocprim17ROCPRIM_400000_NS6detail17trampoline_kernelINS0_13kernel_configILj256ELj4ELj4294967295EEENS1_37radix_sort_block_sort_config_selectorIyNS0_10empty_typeEEEZNS1_21radix_sort_block_sortIS4_Lb1EPyS9_PS6_SA_NS0_19identity_decomposerEEE10hipError_tT1_T2_T3_T4_jRjT5_jjP12ihipStream_tbEUlT_E_NS1_11comp_targetILNS1_3genE10ELNS1_11target_archE1201ELNS1_3gpuE5ELNS1_3repE0EEENS1_44radix_sort_block_sort_config_static_selectorELNS0_4arch9wavefront6targetE1EEEvSD_
	.p2align	8
	.type	_ZN7rocprim17ROCPRIM_400000_NS6detail17trampoline_kernelINS0_13kernel_configILj256ELj4ELj4294967295EEENS1_37radix_sort_block_sort_config_selectorIyNS0_10empty_typeEEEZNS1_21radix_sort_block_sortIS4_Lb1EPyS9_PS6_SA_NS0_19identity_decomposerEEE10hipError_tT1_T2_T3_T4_jRjT5_jjP12ihipStream_tbEUlT_E_NS1_11comp_targetILNS1_3genE10ELNS1_11target_archE1201ELNS1_3gpuE5ELNS1_3repE0EEENS1_44radix_sort_block_sort_config_static_selectorELNS0_4arch9wavefront6targetE1EEEvSD_,@function
_ZN7rocprim17ROCPRIM_400000_NS6detail17trampoline_kernelINS0_13kernel_configILj256ELj4ELj4294967295EEENS1_37radix_sort_block_sort_config_selectorIyNS0_10empty_typeEEEZNS1_21radix_sort_block_sortIS4_Lb1EPyS9_PS6_SA_NS0_19identity_decomposerEEE10hipError_tT1_T2_T3_T4_jRjT5_jjP12ihipStream_tbEUlT_E_NS1_11comp_targetILNS1_3genE10ELNS1_11target_archE1201ELNS1_3gpuE5ELNS1_3repE0EEENS1_44radix_sort_block_sort_config_static_selectorELNS0_4arch9wavefront6targetE1EEEvSD_: ; @_ZN7rocprim17ROCPRIM_400000_NS6detail17trampoline_kernelINS0_13kernel_configILj256ELj4ELj4294967295EEENS1_37radix_sort_block_sort_config_selectorIyNS0_10empty_typeEEEZNS1_21radix_sort_block_sortIS4_Lb1EPyS9_PS6_SA_NS0_19identity_decomposerEEE10hipError_tT1_T2_T3_T4_jRjT5_jjP12ihipStream_tbEUlT_E_NS1_11comp_targetILNS1_3genE10ELNS1_11target_archE1201ELNS1_3gpuE5ELNS1_3repE0EEENS1_44radix_sort_block_sort_config_static_selectorELNS0_4arch9wavefront6targetE1EEEvSD_
; %bb.0:
	.section	.rodata,"a",@progbits
	.p2align	6, 0x0
	.amdhsa_kernel _ZN7rocprim17ROCPRIM_400000_NS6detail17trampoline_kernelINS0_13kernel_configILj256ELj4ELj4294967295EEENS1_37radix_sort_block_sort_config_selectorIyNS0_10empty_typeEEEZNS1_21radix_sort_block_sortIS4_Lb1EPyS9_PS6_SA_NS0_19identity_decomposerEEE10hipError_tT1_T2_T3_T4_jRjT5_jjP12ihipStream_tbEUlT_E_NS1_11comp_targetILNS1_3genE10ELNS1_11target_archE1201ELNS1_3gpuE5ELNS1_3repE0EEENS1_44radix_sort_block_sort_config_static_selectorELNS0_4arch9wavefront6targetE1EEEvSD_
		.amdhsa_group_segment_fixed_size 0
		.amdhsa_private_segment_fixed_size 0
		.amdhsa_kernarg_size 48
		.amdhsa_user_sgpr_count 6
		.amdhsa_user_sgpr_private_segment_buffer 1
		.amdhsa_user_sgpr_dispatch_ptr 0
		.amdhsa_user_sgpr_queue_ptr 0
		.amdhsa_user_sgpr_kernarg_segment_ptr 1
		.amdhsa_user_sgpr_dispatch_id 0
		.amdhsa_user_sgpr_flat_scratch_init 0
		.amdhsa_user_sgpr_kernarg_preload_length 0
		.amdhsa_user_sgpr_kernarg_preload_offset 0
		.amdhsa_user_sgpr_private_segment_size 0
		.amdhsa_uses_dynamic_stack 0
		.amdhsa_system_sgpr_private_segment_wavefront_offset 0
		.amdhsa_system_sgpr_workgroup_id_x 1
		.amdhsa_system_sgpr_workgroup_id_y 0
		.amdhsa_system_sgpr_workgroup_id_z 0
		.amdhsa_system_sgpr_workgroup_info 0
		.amdhsa_system_vgpr_workitem_id 0
		.amdhsa_next_free_vgpr 1
		.amdhsa_next_free_sgpr 0
		.amdhsa_accum_offset 4
		.amdhsa_reserve_vcc 0
		.amdhsa_reserve_flat_scratch 0
		.amdhsa_float_round_mode_32 0
		.amdhsa_float_round_mode_16_64 0
		.amdhsa_float_denorm_mode_32 3
		.amdhsa_float_denorm_mode_16_64 3
		.amdhsa_dx10_clamp 1
		.amdhsa_ieee_mode 1
		.amdhsa_fp16_overflow 0
		.amdhsa_tg_split 0
		.amdhsa_exception_fp_ieee_invalid_op 0
		.amdhsa_exception_fp_denorm_src 0
		.amdhsa_exception_fp_ieee_div_zero 0
		.amdhsa_exception_fp_ieee_overflow 0
		.amdhsa_exception_fp_ieee_underflow 0
		.amdhsa_exception_fp_ieee_inexact 0
		.amdhsa_exception_int_div_zero 0
	.end_amdhsa_kernel
	.section	.text._ZN7rocprim17ROCPRIM_400000_NS6detail17trampoline_kernelINS0_13kernel_configILj256ELj4ELj4294967295EEENS1_37radix_sort_block_sort_config_selectorIyNS0_10empty_typeEEEZNS1_21radix_sort_block_sortIS4_Lb1EPyS9_PS6_SA_NS0_19identity_decomposerEEE10hipError_tT1_T2_T3_T4_jRjT5_jjP12ihipStream_tbEUlT_E_NS1_11comp_targetILNS1_3genE10ELNS1_11target_archE1201ELNS1_3gpuE5ELNS1_3repE0EEENS1_44radix_sort_block_sort_config_static_selectorELNS0_4arch9wavefront6targetE1EEEvSD_,"axG",@progbits,_ZN7rocprim17ROCPRIM_400000_NS6detail17trampoline_kernelINS0_13kernel_configILj256ELj4ELj4294967295EEENS1_37radix_sort_block_sort_config_selectorIyNS0_10empty_typeEEEZNS1_21radix_sort_block_sortIS4_Lb1EPyS9_PS6_SA_NS0_19identity_decomposerEEE10hipError_tT1_T2_T3_T4_jRjT5_jjP12ihipStream_tbEUlT_E_NS1_11comp_targetILNS1_3genE10ELNS1_11target_archE1201ELNS1_3gpuE5ELNS1_3repE0EEENS1_44radix_sort_block_sort_config_static_selectorELNS0_4arch9wavefront6targetE1EEEvSD_,comdat
.Lfunc_end2407:
	.size	_ZN7rocprim17ROCPRIM_400000_NS6detail17trampoline_kernelINS0_13kernel_configILj256ELj4ELj4294967295EEENS1_37radix_sort_block_sort_config_selectorIyNS0_10empty_typeEEEZNS1_21radix_sort_block_sortIS4_Lb1EPyS9_PS6_SA_NS0_19identity_decomposerEEE10hipError_tT1_T2_T3_T4_jRjT5_jjP12ihipStream_tbEUlT_E_NS1_11comp_targetILNS1_3genE10ELNS1_11target_archE1201ELNS1_3gpuE5ELNS1_3repE0EEENS1_44radix_sort_block_sort_config_static_selectorELNS0_4arch9wavefront6targetE1EEEvSD_, .Lfunc_end2407-_ZN7rocprim17ROCPRIM_400000_NS6detail17trampoline_kernelINS0_13kernel_configILj256ELj4ELj4294967295EEENS1_37radix_sort_block_sort_config_selectorIyNS0_10empty_typeEEEZNS1_21radix_sort_block_sortIS4_Lb1EPyS9_PS6_SA_NS0_19identity_decomposerEEE10hipError_tT1_T2_T3_T4_jRjT5_jjP12ihipStream_tbEUlT_E_NS1_11comp_targetILNS1_3genE10ELNS1_11target_archE1201ELNS1_3gpuE5ELNS1_3repE0EEENS1_44radix_sort_block_sort_config_static_selectorELNS0_4arch9wavefront6targetE1EEEvSD_
                                        ; -- End function
	.section	.AMDGPU.csdata,"",@progbits
; Kernel info:
; codeLenInByte = 0
; NumSgprs: 4
; NumVgprs: 0
; NumAgprs: 0
; TotalNumVgprs: 0
; ScratchSize: 0
; MemoryBound: 0
; FloatMode: 240
; IeeeMode: 1
; LDSByteSize: 0 bytes/workgroup (compile time only)
; SGPRBlocks: 0
; VGPRBlocks: 0
; NumSGPRsForWavesPerEU: 4
; NumVGPRsForWavesPerEU: 1
; AccumOffset: 4
; Occupancy: 8
; WaveLimiterHint : 0
; COMPUTE_PGM_RSRC2:SCRATCH_EN: 0
; COMPUTE_PGM_RSRC2:USER_SGPR: 6
; COMPUTE_PGM_RSRC2:TRAP_HANDLER: 0
; COMPUTE_PGM_RSRC2:TGID_X_EN: 1
; COMPUTE_PGM_RSRC2:TGID_Y_EN: 0
; COMPUTE_PGM_RSRC2:TGID_Z_EN: 0
; COMPUTE_PGM_RSRC2:TIDIG_COMP_CNT: 0
; COMPUTE_PGM_RSRC3_GFX90A:ACCUM_OFFSET: 0
; COMPUTE_PGM_RSRC3_GFX90A:TG_SPLIT: 0
	.section	.text._ZN7rocprim17ROCPRIM_400000_NS6detail17trampoline_kernelINS0_13kernel_configILj256ELj4ELj4294967295EEENS1_37radix_sort_block_sort_config_selectorIyNS0_10empty_typeEEEZNS1_21radix_sort_block_sortIS4_Lb1EPyS9_PS6_SA_NS0_19identity_decomposerEEE10hipError_tT1_T2_T3_T4_jRjT5_jjP12ihipStream_tbEUlT_E_NS1_11comp_targetILNS1_3genE10ELNS1_11target_archE1200ELNS1_3gpuE4ELNS1_3repE0EEENS1_44radix_sort_block_sort_config_static_selectorELNS0_4arch9wavefront6targetE1EEEvSD_,"axG",@progbits,_ZN7rocprim17ROCPRIM_400000_NS6detail17trampoline_kernelINS0_13kernel_configILj256ELj4ELj4294967295EEENS1_37radix_sort_block_sort_config_selectorIyNS0_10empty_typeEEEZNS1_21radix_sort_block_sortIS4_Lb1EPyS9_PS6_SA_NS0_19identity_decomposerEEE10hipError_tT1_T2_T3_T4_jRjT5_jjP12ihipStream_tbEUlT_E_NS1_11comp_targetILNS1_3genE10ELNS1_11target_archE1200ELNS1_3gpuE4ELNS1_3repE0EEENS1_44radix_sort_block_sort_config_static_selectorELNS0_4arch9wavefront6targetE1EEEvSD_,comdat
	.protected	_ZN7rocprim17ROCPRIM_400000_NS6detail17trampoline_kernelINS0_13kernel_configILj256ELj4ELj4294967295EEENS1_37radix_sort_block_sort_config_selectorIyNS0_10empty_typeEEEZNS1_21radix_sort_block_sortIS4_Lb1EPyS9_PS6_SA_NS0_19identity_decomposerEEE10hipError_tT1_T2_T3_T4_jRjT5_jjP12ihipStream_tbEUlT_E_NS1_11comp_targetILNS1_3genE10ELNS1_11target_archE1200ELNS1_3gpuE4ELNS1_3repE0EEENS1_44radix_sort_block_sort_config_static_selectorELNS0_4arch9wavefront6targetE1EEEvSD_ ; -- Begin function _ZN7rocprim17ROCPRIM_400000_NS6detail17trampoline_kernelINS0_13kernel_configILj256ELj4ELj4294967295EEENS1_37radix_sort_block_sort_config_selectorIyNS0_10empty_typeEEEZNS1_21radix_sort_block_sortIS4_Lb1EPyS9_PS6_SA_NS0_19identity_decomposerEEE10hipError_tT1_T2_T3_T4_jRjT5_jjP12ihipStream_tbEUlT_E_NS1_11comp_targetILNS1_3genE10ELNS1_11target_archE1200ELNS1_3gpuE4ELNS1_3repE0EEENS1_44radix_sort_block_sort_config_static_selectorELNS0_4arch9wavefront6targetE1EEEvSD_
	.globl	_ZN7rocprim17ROCPRIM_400000_NS6detail17trampoline_kernelINS0_13kernel_configILj256ELj4ELj4294967295EEENS1_37radix_sort_block_sort_config_selectorIyNS0_10empty_typeEEEZNS1_21radix_sort_block_sortIS4_Lb1EPyS9_PS6_SA_NS0_19identity_decomposerEEE10hipError_tT1_T2_T3_T4_jRjT5_jjP12ihipStream_tbEUlT_E_NS1_11comp_targetILNS1_3genE10ELNS1_11target_archE1200ELNS1_3gpuE4ELNS1_3repE0EEENS1_44radix_sort_block_sort_config_static_selectorELNS0_4arch9wavefront6targetE1EEEvSD_
	.p2align	8
	.type	_ZN7rocprim17ROCPRIM_400000_NS6detail17trampoline_kernelINS0_13kernel_configILj256ELj4ELj4294967295EEENS1_37radix_sort_block_sort_config_selectorIyNS0_10empty_typeEEEZNS1_21radix_sort_block_sortIS4_Lb1EPyS9_PS6_SA_NS0_19identity_decomposerEEE10hipError_tT1_T2_T3_T4_jRjT5_jjP12ihipStream_tbEUlT_E_NS1_11comp_targetILNS1_3genE10ELNS1_11target_archE1200ELNS1_3gpuE4ELNS1_3repE0EEENS1_44radix_sort_block_sort_config_static_selectorELNS0_4arch9wavefront6targetE1EEEvSD_,@function
_ZN7rocprim17ROCPRIM_400000_NS6detail17trampoline_kernelINS0_13kernel_configILj256ELj4ELj4294967295EEENS1_37radix_sort_block_sort_config_selectorIyNS0_10empty_typeEEEZNS1_21radix_sort_block_sortIS4_Lb1EPyS9_PS6_SA_NS0_19identity_decomposerEEE10hipError_tT1_T2_T3_T4_jRjT5_jjP12ihipStream_tbEUlT_E_NS1_11comp_targetILNS1_3genE10ELNS1_11target_archE1200ELNS1_3gpuE4ELNS1_3repE0EEENS1_44radix_sort_block_sort_config_static_selectorELNS0_4arch9wavefront6targetE1EEEvSD_: ; @_ZN7rocprim17ROCPRIM_400000_NS6detail17trampoline_kernelINS0_13kernel_configILj256ELj4ELj4294967295EEENS1_37radix_sort_block_sort_config_selectorIyNS0_10empty_typeEEEZNS1_21radix_sort_block_sortIS4_Lb1EPyS9_PS6_SA_NS0_19identity_decomposerEEE10hipError_tT1_T2_T3_T4_jRjT5_jjP12ihipStream_tbEUlT_E_NS1_11comp_targetILNS1_3genE10ELNS1_11target_archE1200ELNS1_3gpuE4ELNS1_3repE0EEENS1_44radix_sort_block_sort_config_static_selectorELNS0_4arch9wavefront6targetE1EEEvSD_
; %bb.0:
	.section	.rodata,"a",@progbits
	.p2align	6, 0x0
	.amdhsa_kernel _ZN7rocprim17ROCPRIM_400000_NS6detail17trampoline_kernelINS0_13kernel_configILj256ELj4ELj4294967295EEENS1_37radix_sort_block_sort_config_selectorIyNS0_10empty_typeEEEZNS1_21radix_sort_block_sortIS4_Lb1EPyS9_PS6_SA_NS0_19identity_decomposerEEE10hipError_tT1_T2_T3_T4_jRjT5_jjP12ihipStream_tbEUlT_E_NS1_11comp_targetILNS1_3genE10ELNS1_11target_archE1200ELNS1_3gpuE4ELNS1_3repE0EEENS1_44radix_sort_block_sort_config_static_selectorELNS0_4arch9wavefront6targetE1EEEvSD_
		.amdhsa_group_segment_fixed_size 0
		.amdhsa_private_segment_fixed_size 0
		.amdhsa_kernarg_size 48
		.amdhsa_user_sgpr_count 6
		.amdhsa_user_sgpr_private_segment_buffer 1
		.amdhsa_user_sgpr_dispatch_ptr 0
		.amdhsa_user_sgpr_queue_ptr 0
		.amdhsa_user_sgpr_kernarg_segment_ptr 1
		.amdhsa_user_sgpr_dispatch_id 0
		.amdhsa_user_sgpr_flat_scratch_init 0
		.amdhsa_user_sgpr_kernarg_preload_length 0
		.amdhsa_user_sgpr_kernarg_preload_offset 0
		.amdhsa_user_sgpr_private_segment_size 0
		.amdhsa_uses_dynamic_stack 0
		.amdhsa_system_sgpr_private_segment_wavefront_offset 0
		.amdhsa_system_sgpr_workgroup_id_x 1
		.amdhsa_system_sgpr_workgroup_id_y 0
		.amdhsa_system_sgpr_workgroup_id_z 0
		.amdhsa_system_sgpr_workgroup_info 0
		.amdhsa_system_vgpr_workitem_id 0
		.amdhsa_next_free_vgpr 1
		.amdhsa_next_free_sgpr 0
		.amdhsa_accum_offset 4
		.amdhsa_reserve_vcc 0
		.amdhsa_reserve_flat_scratch 0
		.amdhsa_float_round_mode_32 0
		.amdhsa_float_round_mode_16_64 0
		.amdhsa_float_denorm_mode_32 3
		.amdhsa_float_denorm_mode_16_64 3
		.amdhsa_dx10_clamp 1
		.amdhsa_ieee_mode 1
		.amdhsa_fp16_overflow 0
		.amdhsa_tg_split 0
		.amdhsa_exception_fp_ieee_invalid_op 0
		.amdhsa_exception_fp_denorm_src 0
		.amdhsa_exception_fp_ieee_div_zero 0
		.amdhsa_exception_fp_ieee_overflow 0
		.amdhsa_exception_fp_ieee_underflow 0
		.amdhsa_exception_fp_ieee_inexact 0
		.amdhsa_exception_int_div_zero 0
	.end_amdhsa_kernel
	.section	.text._ZN7rocprim17ROCPRIM_400000_NS6detail17trampoline_kernelINS0_13kernel_configILj256ELj4ELj4294967295EEENS1_37radix_sort_block_sort_config_selectorIyNS0_10empty_typeEEEZNS1_21radix_sort_block_sortIS4_Lb1EPyS9_PS6_SA_NS0_19identity_decomposerEEE10hipError_tT1_T2_T3_T4_jRjT5_jjP12ihipStream_tbEUlT_E_NS1_11comp_targetILNS1_3genE10ELNS1_11target_archE1200ELNS1_3gpuE4ELNS1_3repE0EEENS1_44radix_sort_block_sort_config_static_selectorELNS0_4arch9wavefront6targetE1EEEvSD_,"axG",@progbits,_ZN7rocprim17ROCPRIM_400000_NS6detail17trampoline_kernelINS0_13kernel_configILj256ELj4ELj4294967295EEENS1_37radix_sort_block_sort_config_selectorIyNS0_10empty_typeEEEZNS1_21radix_sort_block_sortIS4_Lb1EPyS9_PS6_SA_NS0_19identity_decomposerEEE10hipError_tT1_T2_T3_T4_jRjT5_jjP12ihipStream_tbEUlT_E_NS1_11comp_targetILNS1_3genE10ELNS1_11target_archE1200ELNS1_3gpuE4ELNS1_3repE0EEENS1_44radix_sort_block_sort_config_static_selectorELNS0_4arch9wavefront6targetE1EEEvSD_,comdat
.Lfunc_end2408:
	.size	_ZN7rocprim17ROCPRIM_400000_NS6detail17trampoline_kernelINS0_13kernel_configILj256ELj4ELj4294967295EEENS1_37radix_sort_block_sort_config_selectorIyNS0_10empty_typeEEEZNS1_21radix_sort_block_sortIS4_Lb1EPyS9_PS6_SA_NS0_19identity_decomposerEEE10hipError_tT1_T2_T3_T4_jRjT5_jjP12ihipStream_tbEUlT_E_NS1_11comp_targetILNS1_3genE10ELNS1_11target_archE1200ELNS1_3gpuE4ELNS1_3repE0EEENS1_44radix_sort_block_sort_config_static_selectorELNS0_4arch9wavefront6targetE1EEEvSD_, .Lfunc_end2408-_ZN7rocprim17ROCPRIM_400000_NS6detail17trampoline_kernelINS0_13kernel_configILj256ELj4ELj4294967295EEENS1_37radix_sort_block_sort_config_selectorIyNS0_10empty_typeEEEZNS1_21radix_sort_block_sortIS4_Lb1EPyS9_PS6_SA_NS0_19identity_decomposerEEE10hipError_tT1_T2_T3_T4_jRjT5_jjP12ihipStream_tbEUlT_E_NS1_11comp_targetILNS1_3genE10ELNS1_11target_archE1200ELNS1_3gpuE4ELNS1_3repE0EEENS1_44radix_sort_block_sort_config_static_selectorELNS0_4arch9wavefront6targetE1EEEvSD_
                                        ; -- End function
	.section	.AMDGPU.csdata,"",@progbits
; Kernel info:
; codeLenInByte = 0
; NumSgprs: 4
; NumVgprs: 0
; NumAgprs: 0
; TotalNumVgprs: 0
; ScratchSize: 0
; MemoryBound: 0
; FloatMode: 240
; IeeeMode: 1
; LDSByteSize: 0 bytes/workgroup (compile time only)
; SGPRBlocks: 0
; VGPRBlocks: 0
; NumSGPRsForWavesPerEU: 4
; NumVGPRsForWavesPerEU: 1
; AccumOffset: 4
; Occupancy: 8
; WaveLimiterHint : 0
; COMPUTE_PGM_RSRC2:SCRATCH_EN: 0
; COMPUTE_PGM_RSRC2:USER_SGPR: 6
; COMPUTE_PGM_RSRC2:TRAP_HANDLER: 0
; COMPUTE_PGM_RSRC2:TGID_X_EN: 1
; COMPUTE_PGM_RSRC2:TGID_Y_EN: 0
; COMPUTE_PGM_RSRC2:TGID_Z_EN: 0
; COMPUTE_PGM_RSRC2:TIDIG_COMP_CNT: 0
; COMPUTE_PGM_RSRC3_GFX90A:ACCUM_OFFSET: 0
; COMPUTE_PGM_RSRC3_GFX90A:TG_SPLIT: 0
	.section	.text._ZN7rocprim17ROCPRIM_400000_NS6detail17trampoline_kernelINS0_13kernel_configILj256ELj4ELj4294967295EEENS1_37radix_sort_block_sort_config_selectorIyNS0_10empty_typeEEEZNS1_21radix_sort_block_sortIS4_Lb1EPyS9_PS6_SA_NS0_19identity_decomposerEEE10hipError_tT1_T2_T3_T4_jRjT5_jjP12ihipStream_tbEUlT_E_NS1_11comp_targetILNS1_3genE9ELNS1_11target_archE1100ELNS1_3gpuE3ELNS1_3repE0EEENS1_44radix_sort_block_sort_config_static_selectorELNS0_4arch9wavefront6targetE1EEEvSD_,"axG",@progbits,_ZN7rocprim17ROCPRIM_400000_NS6detail17trampoline_kernelINS0_13kernel_configILj256ELj4ELj4294967295EEENS1_37radix_sort_block_sort_config_selectorIyNS0_10empty_typeEEEZNS1_21radix_sort_block_sortIS4_Lb1EPyS9_PS6_SA_NS0_19identity_decomposerEEE10hipError_tT1_T2_T3_T4_jRjT5_jjP12ihipStream_tbEUlT_E_NS1_11comp_targetILNS1_3genE9ELNS1_11target_archE1100ELNS1_3gpuE3ELNS1_3repE0EEENS1_44radix_sort_block_sort_config_static_selectorELNS0_4arch9wavefront6targetE1EEEvSD_,comdat
	.protected	_ZN7rocprim17ROCPRIM_400000_NS6detail17trampoline_kernelINS0_13kernel_configILj256ELj4ELj4294967295EEENS1_37radix_sort_block_sort_config_selectorIyNS0_10empty_typeEEEZNS1_21radix_sort_block_sortIS4_Lb1EPyS9_PS6_SA_NS0_19identity_decomposerEEE10hipError_tT1_T2_T3_T4_jRjT5_jjP12ihipStream_tbEUlT_E_NS1_11comp_targetILNS1_3genE9ELNS1_11target_archE1100ELNS1_3gpuE3ELNS1_3repE0EEENS1_44radix_sort_block_sort_config_static_selectorELNS0_4arch9wavefront6targetE1EEEvSD_ ; -- Begin function _ZN7rocprim17ROCPRIM_400000_NS6detail17trampoline_kernelINS0_13kernel_configILj256ELj4ELj4294967295EEENS1_37radix_sort_block_sort_config_selectorIyNS0_10empty_typeEEEZNS1_21radix_sort_block_sortIS4_Lb1EPyS9_PS6_SA_NS0_19identity_decomposerEEE10hipError_tT1_T2_T3_T4_jRjT5_jjP12ihipStream_tbEUlT_E_NS1_11comp_targetILNS1_3genE9ELNS1_11target_archE1100ELNS1_3gpuE3ELNS1_3repE0EEENS1_44radix_sort_block_sort_config_static_selectorELNS0_4arch9wavefront6targetE1EEEvSD_
	.globl	_ZN7rocprim17ROCPRIM_400000_NS6detail17trampoline_kernelINS0_13kernel_configILj256ELj4ELj4294967295EEENS1_37radix_sort_block_sort_config_selectorIyNS0_10empty_typeEEEZNS1_21radix_sort_block_sortIS4_Lb1EPyS9_PS6_SA_NS0_19identity_decomposerEEE10hipError_tT1_T2_T3_T4_jRjT5_jjP12ihipStream_tbEUlT_E_NS1_11comp_targetILNS1_3genE9ELNS1_11target_archE1100ELNS1_3gpuE3ELNS1_3repE0EEENS1_44radix_sort_block_sort_config_static_selectorELNS0_4arch9wavefront6targetE1EEEvSD_
	.p2align	8
	.type	_ZN7rocprim17ROCPRIM_400000_NS6detail17trampoline_kernelINS0_13kernel_configILj256ELj4ELj4294967295EEENS1_37radix_sort_block_sort_config_selectorIyNS0_10empty_typeEEEZNS1_21radix_sort_block_sortIS4_Lb1EPyS9_PS6_SA_NS0_19identity_decomposerEEE10hipError_tT1_T2_T3_T4_jRjT5_jjP12ihipStream_tbEUlT_E_NS1_11comp_targetILNS1_3genE9ELNS1_11target_archE1100ELNS1_3gpuE3ELNS1_3repE0EEENS1_44radix_sort_block_sort_config_static_selectorELNS0_4arch9wavefront6targetE1EEEvSD_,@function
_ZN7rocprim17ROCPRIM_400000_NS6detail17trampoline_kernelINS0_13kernel_configILj256ELj4ELj4294967295EEENS1_37radix_sort_block_sort_config_selectorIyNS0_10empty_typeEEEZNS1_21radix_sort_block_sortIS4_Lb1EPyS9_PS6_SA_NS0_19identity_decomposerEEE10hipError_tT1_T2_T3_T4_jRjT5_jjP12ihipStream_tbEUlT_E_NS1_11comp_targetILNS1_3genE9ELNS1_11target_archE1100ELNS1_3gpuE3ELNS1_3repE0EEENS1_44radix_sort_block_sort_config_static_selectorELNS0_4arch9wavefront6targetE1EEEvSD_: ; @_ZN7rocprim17ROCPRIM_400000_NS6detail17trampoline_kernelINS0_13kernel_configILj256ELj4ELj4294967295EEENS1_37radix_sort_block_sort_config_selectorIyNS0_10empty_typeEEEZNS1_21radix_sort_block_sortIS4_Lb1EPyS9_PS6_SA_NS0_19identity_decomposerEEE10hipError_tT1_T2_T3_T4_jRjT5_jjP12ihipStream_tbEUlT_E_NS1_11comp_targetILNS1_3genE9ELNS1_11target_archE1100ELNS1_3gpuE3ELNS1_3repE0EEENS1_44radix_sort_block_sort_config_static_selectorELNS0_4arch9wavefront6targetE1EEEvSD_
; %bb.0:
	.section	.rodata,"a",@progbits
	.p2align	6, 0x0
	.amdhsa_kernel _ZN7rocprim17ROCPRIM_400000_NS6detail17trampoline_kernelINS0_13kernel_configILj256ELj4ELj4294967295EEENS1_37radix_sort_block_sort_config_selectorIyNS0_10empty_typeEEEZNS1_21radix_sort_block_sortIS4_Lb1EPyS9_PS6_SA_NS0_19identity_decomposerEEE10hipError_tT1_T2_T3_T4_jRjT5_jjP12ihipStream_tbEUlT_E_NS1_11comp_targetILNS1_3genE9ELNS1_11target_archE1100ELNS1_3gpuE3ELNS1_3repE0EEENS1_44radix_sort_block_sort_config_static_selectorELNS0_4arch9wavefront6targetE1EEEvSD_
		.amdhsa_group_segment_fixed_size 0
		.amdhsa_private_segment_fixed_size 0
		.amdhsa_kernarg_size 48
		.amdhsa_user_sgpr_count 6
		.amdhsa_user_sgpr_private_segment_buffer 1
		.amdhsa_user_sgpr_dispatch_ptr 0
		.amdhsa_user_sgpr_queue_ptr 0
		.amdhsa_user_sgpr_kernarg_segment_ptr 1
		.amdhsa_user_sgpr_dispatch_id 0
		.amdhsa_user_sgpr_flat_scratch_init 0
		.amdhsa_user_sgpr_kernarg_preload_length 0
		.amdhsa_user_sgpr_kernarg_preload_offset 0
		.amdhsa_user_sgpr_private_segment_size 0
		.amdhsa_uses_dynamic_stack 0
		.amdhsa_system_sgpr_private_segment_wavefront_offset 0
		.amdhsa_system_sgpr_workgroup_id_x 1
		.amdhsa_system_sgpr_workgroup_id_y 0
		.amdhsa_system_sgpr_workgroup_id_z 0
		.amdhsa_system_sgpr_workgroup_info 0
		.amdhsa_system_vgpr_workitem_id 0
		.amdhsa_next_free_vgpr 1
		.amdhsa_next_free_sgpr 0
		.amdhsa_accum_offset 4
		.amdhsa_reserve_vcc 0
		.amdhsa_reserve_flat_scratch 0
		.amdhsa_float_round_mode_32 0
		.amdhsa_float_round_mode_16_64 0
		.amdhsa_float_denorm_mode_32 3
		.amdhsa_float_denorm_mode_16_64 3
		.amdhsa_dx10_clamp 1
		.amdhsa_ieee_mode 1
		.amdhsa_fp16_overflow 0
		.amdhsa_tg_split 0
		.amdhsa_exception_fp_ieee_invalid_op 0
		.amdhsa_exception_fp_denorm_src 0
		.amdhsa_exception_fp_ieee_div_zero 0
		.amdhsa_exception_fp_ieee_overflow 0
		.amdhsa_exception_fp_ieee_underflow 0
		.amdhsa_exception_fp_ieee_inexact 0
		.amdhsa_exception_int_div_zero 0
	.end_amdhsa_kernel
	.section	.text._ZN7rocprim17ROCPRIM_400000_NS6detail17trampoline_kernelINS0_13kernel_configILj256ELj4ELj4294967295EEENS1_37radix_sort_block_sort_config_selectorIyNS0_10empty_typeEEEZNS1_21radix_sort_block_sortIS4_Lb1EPyS9_PS6_SA_NS0_19identity_decomposerEEE10hipError_tT1_T2_T3_T4_jRjT5_jjP12ihipStream_tbEUlT_E_NS1_11comp_targetILNS1_3genE9ELNS1_11target_archE1100ELNS1_3gpuE3ELNS1_3repE0EEENS1_44radix_sort_block_sort_config_static_selectorELNS0_4arch9wavefront6targetE1EEEvSD_,"axG",@progbits,_ZN7rocprim17ROCPRIM_400000_NS6detail17trampoline_kernelINS0_13kernel_configILj256ELj4ELj4294967295EEENS1_37radix_sort_block_sort_config_selectorIyNS0_10empty_typeEEEZNS1_21radix_sort_block_sortIS4_Lb1EPyS9_PS6_SA_NS0_19identity_decomposerEEE10hipError_tT1_T2_T3_T4_jRjT5_jjP12ihipStream_tbEUlT_E_NS1_11comp_targetILNS1_3genE9ELNS1_11target_archE1100ELNS1_3gpuE3ELNS1_3repE0EEENS1_44radix_sort_block_sort_config_static_selectorELNS0_4arch9wavefront6targetE1EEEvSD_,comdat
.Lfunc_end2409:
	.size	_ZN7rocprim17ROCPRIM_400000_NS6detail17trampoline_kernelINS0_13kernel_configILj256ELj4ELj4294967295EEENS1_37radix_sort_block_sort_config_selectorIyNS0_10empty_typeEEEZNS1_21radix_sort_block_sortIS4_Lb1EPyS9_PS6_SA_NS0_19identity_decomposerEEE10hipError_tT1_T2_T3_T4_jRjT5_jjP12ihipStream_tbEUlT_E_NS1_11comp_targetILNS1_3genE9ELNS1_11target_archE1100ELNS1_3gpuE3ELNS1_3repE0EEENS1_44radix_sort_block_sort_config_static_selectorELNS0_4arch9wavefront6targetE1EEEvSD_, .Lfunc_end2409-_ZN7rocprim17ROCPRIM_400000_NS6detail17trampoline_kernelINS0_13kernel_configILj256ELj4ELj4294967295EEENS1_37radix_sort_block_sort_config_selectorIyNS0_10empty_typeEEEZNS1_21radix_sort_block_sortIS4_Lb1EPyS9_PS6_SA_NS0_19identity_decomposerEEE10hipError_tT1_T2_T3_T4_jRjT5_jjP12ihipStream_tbEUlT_E_NS1_11comp_targetILNS1_3genE9ELNS1_11target_archE1100ELNS1_3gpuE3ELNS1_3repE0EEENS1_44radix_sort_block_sort_config_static_selectorELNS0_4arch9wavefront6targetE1EEEvSD_
                                        ; -- End function
	.section	.AMDGPU.csdata,"",@progbits
; Kernel info:
; codeLenInByte = 0
; NumSgprs: 4
; NumVgprs: 0
; NumAgprs: 0
; TotalNumVgprs: 0
; ScratchSize: 0
; MemoryBound: 0
; FloatMode: 240
; IeeeMode: 1
; LDSByteSize: 0 bytes/workgroup (compile time only)
; SGPRBlocks: 0
; VGPRBlocks: 0
; NumSGPRsForWavesPerEU: 4
; NumVGPRsForWavesPerEU: 1
; AccumOffset: 4
; Occupancy: 8
; WaveLimiterHint : 0
; COMPUTE_PGM_RSRC2:SCRATCH_EN: 0
; COMPUTE_PGM_RSRC2:USER_SGPR: 6
; COMPUTE_PGM_RSRC2:TRAP_HANDLER: 0
; COMPUTE_PGM_RSRC2:TGID_X_EN: 1
; COMPUTE_PGM_RSRC2:TGID_Y_EN: 0
; COMPUTE_PGM_RSRC2:TGID_Z_EN: 0
; COMPUTE_PGM_RSRC2:TIDIG_COMP_CNT: 0
; COMPUTE_PGM_RSRC3_GFX90A:ACCUM_OFFSET: 0
; COMPUTE_PGM_RSRC3_GFX90A:TG_SPLIT: 0
	.section	.text._ZN7rocprim17ROCPRIM_400000_NS6detail17trampoline_kernelINS0_13kernel_configILj256ELj4ELj4294967295EEENS1_37radix_sort_block_sort_config_selectorIyNS0_10empty_typeEEEZNS1_21radix_sort_block_sortIS4_Lb1EPyS9_PS6_SA_NS0_19identity_decomposerEEE10hipError_tT1_T2_T3_T4_jRjT5_jjP12ihipStream_tbEUlT_E_NS1_11comp_targetILNS1_3genE8ELNS1_11target_archE1030ELNS1_3gpuE2ELNS1_3repE0EEENS1_44radix_sort_block_sort_config_static_selectorELNS0_4arch9wavefront6targetE1EEEvSD_,"axG",@progbits,_ZN7rocprim17ROCPRIM_400000_NS6detail17trampoline_kernelINS0_13kernel_configILj256ELj4ELj4294967295EEENS1_37radix_sort_block_sort_config_selectorIyNS0_10empty_typeEEEZNS1_21radix_sort_block_sortIS4_Lb1EPyS9_PS6_SA_NS0_19identity_decomposerEEE10hipError_tT1_T2_T3_T4_jRjT5_jjP12ihipStream_tbEUlT_E_NS1_11comp_targetILNS1_3genE8ELNS1_11target_archE1030ELNS1_3gpuE2ELNS1_3repE0EEENS1_44radix_sort_block_sort_config_static_selectorELNS0_4arch9wavefront6targetE1EEEvSD_,comdat
	.protected	_ZN7rocprim17ROCPRIM_400000_NS6detail17trampoline_kernelINS0_13kernel_configILj256ELj4ELj4294967295EEENS1_37radix_sort_block_sort_config_selectorIyNS0_10empty_typeEEEZNS1_21radix_sort_block_sortIS4_Lb1EPyS9_PS6_SA_NS0_19identity_decomposerEEE10hipError_tT1_T2_T3_T4_jRjT5_jjP12ihipStream_tbEUlT_E_NS1_11comp_targetILNS1_3genE8ELNS1_11target_archE1030ELNS1_3gpuE2ELNS1_3repE0EEENS1_44radix_sort_block_sort_config_static_selectorELNS0_4arch9wavefront6targetE1EEEvSD_ ; -- Begin function _ZN7rocprim17ROCPRIM_400000_NS6detail17trampoline_kernelINS0_13kernel_configILj256ELj4ELj4294967295EEENS1_37radix_sort_block_sort_config_selectorIyNS0_10empty_typeEEEZNS1_21radix_sort_block_sortIS4_Lb1EPyS9_PS6_SA_NS0_19identity_decomposerEEE10hipError_tT1_T2_T3_T4_jRjT5_jjP12ihipStream_tbEUlT_E_NS1_11comp_targetILNS1_3genE8ELNS1_11target_archE1030ELNS1_3gpuE2ELNS1_3repE0EEENS1_44radix_sort_block_sort_config_static_selectorELNS0_4arch9wavefront6targetE1EEEvSD_
	.globl	_ZN7rocprim17ROCPRIM_400000_NS6detail17trampoline_kernelINS0_13kernel_configILj256ELj4ELj4294967295EEENS1_37radix_sort_block_sort_config_selectorIyNS0_10empty_typeEEEZNS1_21radix_sort_block_sortIS4_Lb1EPyS9_PS6_SA_NS0_19identity_decomposerEEE10hipError_tT1_T2_T3_T4_jRjT5_jjP12ihipStream_tbEUlT_E_NS1_11comp_targetILNS1_3genE8ELNS1_11target_archE1030ELNS1_3gpuE2ELNS1_3repE0EEENS1_44radix_sort_block_sort_config_static_selectorELNS0_4arch9wavefront6targetE1EEEvSD_
	.p2align	8
	.type	_ZN7rocprim17ROCPRIM_400000_NS6detail17trampoline_kernelINS0_13kernel_configILj256ELj4ELj4294967295EEENS1_37radix_sort_block_sort_config_selectorIyNS0_10empty_typeEEEZNS1_21radix_sort_block_sortIS4_Lb1EPyS9_PS6_SA_NS0_19identity_decomposerEEE10hipError_tT1_T2_T3_T4_jRjT5_jjP12ihipStream_tbEUlT_E_NS1_11comp_targetILNS1_3genE8ELNS1_11target_archE1030ELNS1_3gpuE2ELNS1_3repE0EEENS1_44radix_sort_block_sort_config_static_selectorELNS0_4arch9wavefront6targetE1EEEvSD_,@function
_ZN7rocprim17ROCPRIM_400000_NS6detail17trampoline_kernelINS0_13kernel_configILj256ELj4ELj4294967295EEENS1_37radix_sort_block_sort_config_selectorIyNS0_10empty_typeEEEZNS1_21radix_sort_block_sortIS4_Lb1EPyS9_PS6_SA_NS0_19identity_decomposerEEE10hipError_tT1_T2_T3_T4_jRjT5_jjP12ihipStream_tbEUlT_E_NS1_11comp_targetILNS1_3genE8ELNS1_11target_archE1030ELNS1_3gpuE2ELNS1_3repE0EEENS1_44radix_sort_block_sort_config_static_selectorELNS0_4arch9wavefront6targetE1EEEvSD_: ; @_ZN7rocprim17ROCPRIM_400000_NS6detail17trampoline_kernelINS0_13kernel_configILj256ELj4ELj4294967295EEENS1_37radix_sort_block_sort_config_selectorIyNS0_10empty_typeEEEZNS1_21radix_sort_block_sortIS4_Lb1EPyS9_PS6_SA_NS0_19identity_decomposerEEE10hipError_tT1_T2_T3_T4_jRjT5_jjP12ihipStream_tbEUlT_E_NS1_11comp_targetILNS1_3genE8ELNS1_11target_archE1030ELNS1_3gpuE2ELNS1_3repE0EEENS1_44radix_sort_block_sort_config_static_selectorELNS0_4arch9wavefront6targetE1EEEvSD_
; %bb.0:
	.section	.rodata,"a",@progbits
	.p2align	6, 0x0
	.amdhsa_kernel _ZN7rocprim17ROCPRIM_400000_NS6detail17trampoline_kernelINS0_13kernel_configILj256ELj4ELj4294967295EEENS1_37radix_sort_block_sort_config_selectorIyNS0_10empty_typeEEEZNS1_21radix_sort_block_sortIS4_Lb1EPyS9_PS6_SA_NS0_19identity_decomposerEEE10hipError_tT1_T2_T3_T4_jRjT5_jjP12ihipStream_tbEUlT_E_NS1_11comp_targetILNS1_3genE8ELNS1_11target_archE1030ELNS1_3gpuE2ELNS1_3repE0EEENS1_44radix_sort_block_sort_config_static_selectorELNS0_4arch9wavefront6targetE1EEEvSD_
		.amdhsa_group_segment_fixed_size 0
		.amdhsa_private_segment_fixed_size 0
		.amdhsa_kernarg_size 48
		.amdhsa_user_sgpr_count 6
		.amdhsa_user_sgpr_private_segment_buffer 1
		.amdhsa_user_sgpr_dispatch_ptr 0
		.amdhsa_user_sgpr_queue_ptr 0
		.amdhsa_user_sgpr_kernarg_segment_ptr 1
		.amdhsa_user_sgpr_dispatch_id 0
		.amdhsa_user_sgpr_flat_scratch_init 0
		.amdhsa_user_sgpr_kernarg_preload_length 0
		.amdhsa_user_sgpr_kernarg_preload_offset 0
		.amdhsa_user_sgpr_private_segment_size 0
		.amdhsa_uses_dynamic_stack 0
		.amdhsa_system_sgpr_private_segment_wavefront_offset 0
		.amdhsa_system_sgpr_workgroup_id_x 1
		.amdhsa_system_sgpr_workgroup_id_y 0
		.amdhsa_system_sgpr_workgroup_id_z 0
		.amdhsa_system_sgpr_workgroup_info 0
		.amdhsa_system_vgpr_workitem_id 0
		.amdhsa_next_free_vgpr 1
		.amdhsa_next_free_sgpr 0
		.amdhsa_accum_offset 4
		.amdhsa_reserve_vcc 0
		.amdhsa_reserve_flat_scratch 0
		.amdhsa_float_round_mode_32 0
		.amdhsa_float_round_mode_16_64 0
		.amdhsa_float_denorm_mode_32 3
		.amdhsa_float_denorm_mode_16_64 3
		.amdhsa_dx10_clamp 1
		.amdhsa_ieee_mode 1
		.amdhsa_fp16_overflow 0
		.amdhsa_tg_split 0
		.amdhsa_exception_fp_ieee_invalid_op 0
		.amdhsa_exception_fp_denorm_src 0
		.amdhsa_exception_fp_ieee_div_zero 0
		.amdhsa_exception_fp_ieee_overflow 0
		.amdhsa_exception_fp_ieee_underflow 0
		.amdhsa_exception_fp_ieee_inexact 0
		.amdhsa_exception_int_div_zero 0
	.end_amdhsa_kernel
	.section	.text._ZN7rocprim17ROCPRIM_400000_NS6detail17trampoline_kernelINS0_13kernel_configILj256ELj4ELj4294967295EEENS1_37radix_sort_block_sort_config_selectorIyNS0_10empty_typeEEEZNS1_21radix_sort_block_sortIS4_Lb1EPyS9_PS6_SA_NS0_19identity_decomposerEEE10hipError_tT1_T2_T3_T4_jRjT5_jjP12ihipStream_tbEUlT_E_NS1_11comp_targetILNS1_3genE8ELNS1_11target_archE1030ELNS1_3gpuE2ELNS1_3repE0EEENS1_44radix_sort_block_sort_config_static_selectorELNS0_4arch9wavefront6targetE1EEEvSD_,"axG",@progbits,_ZN7rocprim17ROCPRIM_400000_NS6detail17trampoline_kernelINS0_13kernel_configILj256ELj4ELj4294967295EEENS1_37radix_sort_block_sort_config_selectorIyNS0_10empty_typeEEEZNS1_21radix_sort_block_sortIS4_Lb1EPyS9_PS6_SA_NS0_19identity_decomposerEEE10hipError_tT1_T2_T3_T4_jRjT5_jjP12ihipStream_tbEUlT_E_NS1_11comp_targetILNS1_3genE8ELNS1_11target_archE1030ELNS1_3gpuE2ELNS1_3repE0EEENS1_44radix_sort_block_sort_config_static_selectorELNS0_4arch9wavefront6targetE1EEEvSD_,comdat
.Lfunc_end2410:
	.size	_ZN7rocprim17ROCPRIM_400000_NS6detail17trampoline_kernelINS0_13kernel_configILj256ELj4ELj4294967295EEENS1_37radix_sort_block_sort_config_selectorIyNS0_10empty_typeEEEZNS1_21radix_sort_block_sortIS4_Lb1EPyS9_PS6_SA_NS0_19identity_decomposerEEE10hipError_tT1_T2_T3_T4_jRjT5_jjP12ihipStream_tbEUlT_E_NS1_11comp_targetILNS1_3genE8ELNS1_11target_archE1030ELNS1_3gpuE2ELNS1_3repE0EEENS1_44radix_sort_block_sort_config_static_selectorELNS0_4arch9wavefront6targetE1EEEvSD_, .Lfunc_end2410-_ZN7rocprim17ROCPRIM_400000_NS6detail17trampoline_kernelINS0_13kernel_configILj256ELj4ELj4294967295EEENS1_37radix_sort_block_sort_config_selectorIyNS0_10empty_typeEEEZNS1_21radix_sort_block_sortIS4_Lb1EPyS9_PS6_SA_NS0_19identity_decomposerEEE10hipError_tT1_T2_T3_T4_jRjT5_jjP12ihipStream_tbEUlT_E_NS1_11comp_targetILNS1_3genE8ELNS1_11target_archE1030ELNS1_3gpuE2ELNS1_3repE0EEENS1_44radix_sort_block_sort_config_static_selectorELNS0_4arch9wavefront6targetE1EEEvSD_
                                        ; -- End function
	.section	.AMDGPU.csdata,"",@progbits
; Kernel info:
; codeLenInByte = 0
; NumSgprs: 4
; NumVgprs: 0
; NumAgprs: 0
; TotalNumVgprs: 0
; ScratchSize: 0
; MemoryBound: 0
; FloatMode: 240
; IeeeMode: 1
; LDSByteSize: 0 bytes/workgroup (compile time only)
; SGPRBlocks: 0
; VGPRBlocks: 0
; NumSGPRsForWavesPerEU: 4
; NumVGPRsForWavesPerEU: 1
; AccumOffset: 4
; Occupancy: 8
; WaveLimiterHint : 0
; COMPUTE_PGM_RSRC2:SCRATCH_EN: 0
; COMPUTE_PGM_RSRC2:USER_SGPR: 6
; COMPUTE_PGM_RSRC2:TRAP_HANDLER: 0
; COMPUTE_PGM_RSRC2:TGID_X_EN: 1
; COMPUTE_PGM_RSRC2:TGID_Y_EN: 0
; COMPUTE_PGM_RSRC2:TGID_Z_EN: 0
; COMPUTE_PGM_RSRC2:TIDIG_COMP_CNT: 0
; COMPUTE_PGM_RSRC3_GFX90A:ACCUM_OFFSET: 0
; COMPUTE_PGM_RSRC3_GFX90A:TG_SPLIT: 0
	.section	.text._ZN7rocprim17ROCPRIM_400000_NS6detail17trampoline_kernelINS0_14default_configENS1_38merge_sort_block_merge_config_selectorIyNS0_10empty_typeEEEZZNS1_27merge_sort_block_merge_implIS3_PyPS5_jNS1_19radix_merge_compareILb1ELb0EyNS0_19identity_decomposerEEEEE10hipError_tT0_T1_T2_jT3_P12ihipStream_tbPNSt15iterator_traitsISE_E10value_typeEPNSK_ISF_E10value_typeEPSG_NS1_7vsmem_tEENKUlT_SE_SF_SG_E_clIS8_S8_S9_S9_EESD_ST_SE_SF_SG_EUlST_E_NS1_11comp_targetILNS1_3genE0ELNS1_11target_archE4294967295ELNS1_3gpuE0ELNS1_3repE0EEENS1_48merge_mergepath_partition_config_static_selectorELNS0_4arch9wavefront6targetE1EEEvSF_,"axG",@progbits,_ZN7rocprim17ROCPRIM_400000_NS6detail17trampoline_kernelINS0_14default_configENS1_38merge_sort_block_merge_config_selectorIyNS0_10empty_typeEEEZZNS1_27merge_sort_block_merge_implIS3_PyPS5_jNS1_19radix_merge_compareILb1ELb0EyNS0_19identity_decomposerEEEEE10hipError_tT0_T1_T2_jT3_P12ihipStream_tbPNSt15iterator_traitsISE_E10value_typeEPNSK_ISF_E10value_typeEPSG_NS1_7vsmem_tEENKUlT_SE_SF_SG_E_clIS8_S8_S9_S9_EESD_ST_SE_SF_SG_EUlST_E_NS1_11comp_targetILNS1_3genE0ELNS1_11target_archE4294967295ELNS1_3gpuE0ELNS1_3repE0EEENS1_48merge_mergepath_partition_config_static_selectorELNS0_4arch9wavefront6targetE1EEEvSF_,comdat
	.protected	_ZN7rocprim17ROCPRIM_400000_NS6detail17trampoline_kernelINS0_14default_configENS1_38merge_sort_block_merge_config_selectorIyNS0_10empty_typeEEEZZNS1_27merge_sort_block_merge_implIS3_PyPS5_jNS1_19radix_merge_compareILb1ELb0EyNS0_19identity_decomposerEEEEE10hipError_tT0_T1_T2_jT3_P12ihipStream_tbPNSt15iterator_traitsISE_E10value_typeEPNSK_ISF_E10value_typeEPSG_NS1_7vsmem_tEENKUlT_SE_SF_SG_E_clIS8_S8_S9_S9_EESD_ST_SE_SF_SG_EUlST_E_NS1_11comp_targetILNS1_3genE0ELNS1_11target_archE4294967295ELNS1_3gpuE0ELNS1_3repE0EEENS1_48merge_mergepath_partition_config_static_selectorELNS0_4arch9wavefront6targetE1EEEvSF_ ; -- Begin function _ZN7rocprim17ROCPRIM_400000_NS6detail17trampoline_kernelINS0_14default_configENS1_38merge_sort_block_merge_config_selectorIyNS0_10empty_typeEEEZZNS1_27merge_sort_block_merge_implIS3_PyPS5_jNS1_19radix_merge_compareILb1ELb0EyNS0_19identity_decomposerEEEEE10hipError_tT0_T1_T2_jT3_P12ihipStream_tbPNSt15iterator_traitsISE_E10value_typeEPNSK_ISF_E10value_typeEPSG_NS1_7vsmem_tEENKUlT_SE_SF_SG_E_clIS8_S8_S9_S9_EESD_ST_SE_SF_SG_EUlST_E_NS1_11comp_targetILNS1_3genE0ELNS1_11target_archE4294967295ELNS1_3gpuE0ELNS1_3repE0EEENS1_48merge_mergepath_partition_config_static_selectorELNS0_4arch9wavefront6targetE1EEEvSF_
	.globl	_ZN7rocprim17ROCPRIM_400000_NS6detail17trampoline_kernelINS0_14default_configENS1_38merge_sort_block_merge_config_selectorIyNS0_10empty_typeEEEZZNS1_27merge_sort_block_merge_implIS3_PyPS5_jNS1_19radix_merge_compareILb1ELb0EyNS0_19identity_decomposerEEEEE10hipError_tT0_T1_T2_jT3_P12ihipStream_tbPNSt15iterator_traitsISE_E10value_typeEPNSK_ISF_E10value_typeEPSG_NS1_7vsmem_tEENKUlT_SE_SF_SG_E_clIS8_S8_S9_S9_EESD_ST_SE_SF_SG_EUlST_E_NS1_11comp_targetILNS1_3genE0ELNS1_11target_archE4294967295ELNS1_3gpuE0ELNS1_3repE0EEENS1_48merge_mergepath_partition_config_static_selectorELNS0_4arch9wavefront6targetE1EEEvSF_
	.p2align	8
	.type	_ZN7rocprim17ROCPRIM_400000_NS6detail17trampoline_kernelINS0_14default_configENS1_38merge_sort_block_merge_config_selectorIyNS0_10empty_typeEEEZZNS1_27merge_sort_block_merge_implIS3_PyPS5_jNS1_19radix_merge_compareILb1ELb0EyNS0_19identity_decomposerEEEEE10hipError_tT0_T1_T2_jT3_P12ihipStream_tbPNSt15iterator_traitsISE_E10value_typeEPNSK_ISF_E10value_typeEPSG_NS1_7vsmem_tEENKUlT_SE_SF_SG_E_clIS8_S8_S9_S9_EESD_ST_SE_SF_SG_EUlST_E_NS1_11comp_targetILNS1_3genE0ELNS1_11target_archE4294967295ELNS1_3gpuE0ELNS1_3repE0EEENS1_48merge_mergepath_partition_config_static_selectorELNS0_4arch9wavefront6targetE1EEEvSF_,@function
_ZN7rocprim17ROCPRIM_400000_NS6detail17trampoline_kernelINS0_14default_configENS1_38merge_sort_block_merge_config_selectorIyNS0_10empty_typeEEEZZNS1_27merge_sort_block_merge_implIS3_PyPS5_jNS1_19radix_merge_compareILb1ELb0EyNS0_19identity_decomposerEEEEE10hipError_tT0_T1_T2_jT3_P12ihipStream_tbPNSt15iterator_traitsISE_E10value_typeEPNSK_ISF_E10value_typeEPSG_NS1_7vsmem_tEENKUlT_SE_SF_SG_E_clIS8_S8_S9_S9_EESD_ST_SE_SF_SG_EUlST_E_NS1_11comp_targetILNS1_3genE0ELNS1_11target_archE4294967295ELNS1_3gpuE0ELNS1_3repE0EEENS1_48merge_mergepath_partition_config_static_selectorELNS0_4arch9wavefront6targetE1EEEvSF_: ; @_ZN7rocprim17ROCPRIM_400000_NS6detail17trampoline_kernelINS0_14default_configENS1_38merge_sort_block_merge_config_selectorIyNS0_10empty_typeEEEZZNS1_27merge_sort_block_merge_implIS3_PyPS5_jNS1_19radix_merge_compareILb1ELb0EyNS0_19identity_decomposerEEEEE10hipError_tT0_T1_T2_jT3_P12ihipStream_tbPNSt15iterator_traitsISE_E10value_typeEPNSK_ISF_E10value_typeEPSG_NS1_7vsmem_tEENKUlT_SE_SF_SG_E_clIS8_S8_S9_S9_EESD_ST_SE_SF_SG_EUlST_E_NS1_11comp_targetILNS1_3genE0ELNS1_11target_archE4294967295ELNS1_3gpuE0ELNS1_3repE0EEENS1_48merge_mergepath_partition_config_static_selectorELNS0_4arch9wavefront6targetE1EEEvSF_
; %bb.0:
	.section	.rodata,"a",@progbits
	.p2align	6, 0x0
	.amdhsa_kernel _ZN7rocprim17ROCPRIM_400000_NS6detail17trampoline_kernelINS0_14default_configENS1_38merge_sort_block_merge_config_selectorIyNS0_10empty_typeEEEZZNS1_27merge_sort_block_merge_implIS3_PyPS5_jNS1_19radix_merge_compareILb1ELb0EyNS0_19identity_decomposerEEEEE10hipError_tT0_T1_T2_jT3_P12ihipStream_tbPNSt15iterator_traitsISE_E10value_typeEPNSK_ISF_E10value_typeEPSG_NS1_7vsmem_tEENKUlT_SE_SF_SG_E_clIS8_S8_S9_S9_EESD_ST_SE_SF_SG_EUlST_E_NS1_11comp_targetILNS1_3genE0ELNS1_11target_archE4294967295ELNS1_3gpuE0ELNS1_3repE0EEENS1_48merge_mergepath_partition_config_static_selectorELNS0_4arch9wavefront6targetE1EEEvSF_
		.amdhsa_group_segment_fixed_size 0
		.amdhsa_private_segment_fixed_size 0
		.amdhsa_kernarg_size 40
		.amdhsa_user_sgpr_count 6
		.amdhsa_user_sgpr_private_segment_buffer 1
		.amdhsa_user_sgpr_dispatch_ptr 0
		.amdhsa_user_sgpr_queue_ptr 0
		.amdhsa_user_sgpr_kernarg_segment_ptr 1
		.amdhsa_user_sgpr_dispatch_id 0
		.amdhsa_user_sgpr_flat_scratch_init 0
		.amdhsa_user_sgpr_kernarg_preload_length 0
		.amdhsa_user_sgpr_kernarg_preload_offset 0
		.amdhsa_user_sgpr_private_segment_size 0
		.amdhsa_uses_dynamic_stack 0
		.amdhsa_system_sgpr_private_segment_wavefront_offset 0
		.amdhsa_system_sgpr_workgroup_id_x 1
		.amdhsa_system_sgpr_workgroup_id_y 0
		.amdhsa_system_sgpr_workgroup_id_z 0
		.amdhsa_system_sgpr_workgroup_info 0
		.amdhsa_system_vgpr_workitem_id 0
		.amdhsa_next_free_vgpr 1
		.amdhsa_next_free_sgpr 0
		.amdhsa_accum_offset 4
		.amdhsa_reserve_vcc 0
		.amdhsa_reserve_flat_scratch 0
		.amdhsa_float_round_mode_32 0
		.amdhsa_float_round_mode_16_64 0
		.amdhsa_float_denorm_mode_32 3
		.amdhsa_float_denorm_mode_16_64 3
		.amdhsa_dx10_clamp 1
		.amdhsa_ieee_mode 1
		.amdhsa_fp16_overflow 0
		.amdhsa_tg_split 0
		.amdhsa_exception_fp_ieee_invalid_op 0
		.amdhsa_exception_fp_denorm_src 0
		.amdhsa_exception_fp_ieee_div_zero 0
		.amdhsa_exception_fp_ieee_overflow 0
		.amdhsa_exception_fp_ieee_underflow 0
		.amdhsa_exception_fp_ieee_inexact 0
		.amdhsa_exception_int_div_zero 0
	.end_amdhsa_kernel
	.section	.text._ZN7rocprim17ROCPRIM_400000_NS6detail17trampoline_kernelINS0_14default_configENS1_38merge_sort_block_merge_config_selectorIyNS0_10empty_typeEEEZZNS1_27merge_sort_block_merge_implIS3_PyPS5_jNS1_19radix_merge_compareILb1ELb0EyNS0_19identity_decomposerEEEEE10hipError_tT0_T1_T2_jT3_P12ihipStream_tbPNSt15iterator_traitsISE_E10value_typeEPNSK_ISF_E10value_typeEPSG_NS1_7vsmem_tEENKUlT_SE_SF_SG_E_clIS8_S8_S9_S9_EESD_ST_SE_SF_SG_EUlST_E_NS1_11comp_targetILNS1_3genE0ELNS1_11target_archE4294967295ELNS1_3gpuE0ELNS1_3repE0EEENS1_48merge_mergepath_partition_config_static_selectorELNS0_4arch9wavefront6targetE1EEEvSF_,"axG",@progbits,_ZN7rocprim17ROCPRIM_400000_NS6detail17trampoline_kernelINS0_14default_configENS1_38merge_sort_block_merge_config_selectorIyNS0_10empty_typeEEEZZNS1_27merge_sort_block_merge_implIS3_PyPS5_jNS1_19radix_merge_compareILb1ELb0EyNS0_19identity_decomposerEEEEE10hipError_tT0_T1_T2_jT3_P12ihipStream_tbPNSt15iterator_traitsISE_E10value_typeEPNSK_ISF_E10value_typeEPSG_NS1_7vsmem_tEENKUlT_SE_SF_SG_E_clIS8_S8_S9_S9_EESD_ST_SE_SF_SG_EUlST_E_NS1_11comp_targetILNS1_3genE0ELNS1_11target_archE4294967295ELNS1_3gpuE0ELNS1_3repE0EEENS1_48merge_mergepath_partition_config_static_selectorELNS0_4arch9wavefront6targetE1EEEvSF_,comdat
.Lfunc_end2411:
	.size	_ZN7rocprim17ROCPRIM_400000_NS6detail17trampoline_kernelINS0_14default_configENS1_38merge_sort_block_merge_config_selectorIyNS0_10empty_typeEEEZZNS1_27merge_sort_block_merge_implIS3_PyPS5_jNS1_19radix_merge_compareILb1ELb0EyNS0_19identity_decomposerEEEEE10hipError_tT0_T1_T2_jT3_P12ihipStream_tbPNSt15iterator_traitsISE_E10value_typeEPNSK_ISF_E10value_typeEPSG_NS1_7vsmem_tEENKUlT_SE_SF_SG_E_clIS8_S8_S9_S9_EESD_ST_SE_SF_SG_EUlST_E_NS1_11comp_targetILNS1_3genE0ELNS1_11target_archE4294967295ELNS1_3gpuE0ELNS1_3repE0EEENS1_48merge_mergepath_partition_config_static_selectorELNS0_4arch9wavefront6targetE1EEEvSF_, .Lfunc_end2411-_ZN7rocprim17ROCPRIM_400000_NS6detail17trampoline_kernelINS0_14default_configENS1_38merge_sort_block_merge_config_selectorIyNS0_10empty_typeEEEZZNS1_27merge_sort_block_merge_implIS3_PyPS5_jNS1_19radix_merge_compareILb1ELb0EyNS0_19identity_decomposerEEEEE10hipError_tT0_T1_T2_jT3_P12ihipStream_tbPNSt15iterator_traitsISE_E10value_typeEPNSK_ISF_E10value_typeEPSG_NS1_7vsmem_tEENKUlT_SE_SF_SG_E_clIS8_S8_S9_S9_EESD_ST_SE_SF_SG_EUlST_E_NS1_11comp_targetILNS1_3genE0ELNS1_11target_archE4294967295ELNS1_3gpuE0ELNS1_3repE0EEENS1_48merge_mergepath_partition_config_static_selectorELNS0_4arch9wavefront6targetE1EEEvSF_
                                        ; -- End function
	.section	.AMDGPU.csdata,"",@progbits
; Kernel info:
; codeLenInByte = 0
; NumSgprs: 4
; NumVgprs: 0
; NumAgprs: 0
; TotalNumVgprs: 0
; ScratchSize: 0
; MemoryBound: 0
; FloatMode: 240
; IeeeMode: 1
; LDSByteSize: 0 bytes/workgroup (compile time only)
; SGPRBlocks: 0
; VGPRBlocks: 0
; NumSGPRsForWavesPerEU: 4
; NumVGPRsForWavesPerEU: 1
; AccumOffset: 4
; Occupancy: 8
; WaveLimiterHint : 0
; COMPUTE_PGM_RSRC2:SCRATCH_EN: 0
; COMPUTE_PGM_RSRC2:USER_SGPR: 6
; COMPUTE_PGM_RSRC2:TRAP_HANDLER: 0
; COMPUTE_PGM_RSRC2:TGID_X_EN: 1
; COMPUTE_PGM_RSRC2:TGID_Y_EN: 0
; COMPUTE_PGM_RSRC2:TGID_Z_EN: 0
; COMPUTE_PGM_RSRC2:TIDIG_COMP_CNT: 0
; COMPUTE_PGM_RSRC3_GFX90A:ACCUM_OFFSET: 0
; COMPUTE_PGM_RSRC3_GFX90A:TG_SPLIT: 0
	.section	.text._ZN7rocprim17ROCPRIM_400000_NS6detail17trampoline_kernelINS0_14default_configENS1_38merge_sort_block_merge_config_selectorIyNS0_10empty_typeEEEZZNS1_27merge_sort_block_merge_implIS3_PyPS5_jNS1_19radix_merge_compareILb1ELb0EyNS0_19identity_decomposerEEEEE10hipError_tT0_T1_T2_jT3_P12ihipStream_tbPNSt15iterator_traitsISE_E10value_typeEPNSK_ISF_E10value_typeEPSG_NS1_7vsmem_tEENKUlT_SE_SF_SG_E_clIS8_S8_S9_S9_EESD_ST_SE_SF_SG_EUlST_E_NS1_11comp_targetILNS1_3genE10ELNS1_11target_archE1201ELNS1_3gpuE5ELNS1_3repE0EEENS1_48merge_mergepath_partition_config_static_selectorELNS0_4arch9wavefront6targetE1EEEvSF_,"axG",@progbits,_ZN7rocprim17ROCPRIM_400000_NS6detail17trampoline_kernelINS0_14default_configENS1_38merge_sort_block_merge_config_selectorIyNS0_10empty_typeEEEZZNS1_27merge_sort_block_merge_implIS3_PyPS5_jNS1_19radix_merge_compareILb1ELb0EyNS0_19identity_decomposerEEEEE10hipError_tT0_T1_T2_jT3_P12ihipStream_tbPNSt15iterator_traitsISE_E10value_typeEPNSK_ISF_E10value_typeEPSG_NS1_7vsmem_tEENKUlT_SE_SF_SG_E_clIS8_S8_S9_S9_EESD_ST_SE_SF_SG_EUlST_E_NS1_11comp_targetILNS1_3genE10ELNS1_11target_archE1201ELNS1_3gpuE5ELNS1_3repE0EEENS1_48merge_mergepath_partition_config_static_selectorELNS0_4arch9wavefront6targetE1EEEvSF_,comdat
	.protected	_ZN7rocprim17ROCPRIM_400000_NS6detail17trampoline_kernelINS0_14default_configENS1_38merge_sort_block_merge_config_selectorIyNS0_10empty_typeEEEZZNS1_27merge_sort_block_merge_implIS3_PyPS5_jNS1_19radix_merge_compareILb1ELb0EyNS0_19identity_decomposerEEEEE10hipError_tT0_T1_T2_jT3_P12ihipStream_tbPNSt15iterator_traitsISE_E10value_typeEPNSK_ISF_E10value_typeEPSG_NS1_7vsmem_tEENKUlT_SE_SF_SG_E_clIS8_S8_S9_S9_EESD_ST_SE_SF_SG_EUlST_E_NS1_11comp_targetILNS1_3genE10ELNS1_11target_archE1201ELNS1_3gpuE5ELNS1_3repE0EEENS1_48merge_mergepath_partition_config_static_selectorELNS0_4arch9wavefront6targetE1EEEvSF_ ; -- Begin function _ZN7rocprim17ROCPRIM_400000_NS6detail17trampoline_kernelINS0_14default_configENS1_38merge_sort_block_merge_config_selectorIyNS0_10empty_typeEEEZZNS1_27merge_sort_block_merge_implIS3_PyPS5_jNS1_19radix_merge_compareILb1ELb0EyNS0_19identity_decomposerEEEEE10hipError_tT0_T1_T2_jT3_P12ihipStream_tbPNSt15iterator_traitsISE_E10value_typeEPNSK_ISF_E10value_typeEPSG_NS1_7vsmem_tEENKUlT_SE_SF_SG_E_clIS8_S8_S9_S9_EESD_ST_SE_SF_SG_EUlST_E_NS1_11comp_targetILNS1_3genE10ELNS1_11target_archE1201ELNS1_3gpuE5ELNS1_3repE0EEENS1_48merge_mergepath_partition_config_static_selectorELNS0_4arch9wavefront6targetE1EEEvSF_
	.globl	_ZN7rocprim17ROCPRIM_400000_NS6detail17trampoline_kernelINS0_14default_configENS1_38merge_sort_block_merge_config_selectorIyNS0_10empty_typeEEEZZNS1_27merge_sort_block_merge_implIS3_PyPS5_jNS1_19radix_merge_compareILb1ELb0EyNS0_19identity_decomposerEEEEE10hipError_tT0_T1_T2_jT3_P12ihipStream_tbPNSt15iterator_traitsISE_E10value_typeEPNSK_ISF_E10value_typeEPSG_NS1_7vsmem_tEENKUlT_SE_SF_SG_E_clIS8_S8_S9_S9_EESD_ST_SE_SF_SG_EUlST_E_NS1_11comp_targetILNS1_3genE10ELNS1_11target_archE1201ELNS1_3gpuE5ELNS1_3repE0EEENS1_48merge_mergepath_partition_config_static_selectorELNS0_4arch9wavefront6targetE1EEEvSF_
	.p2align	8
	.type	_ZN7rocprim17ROCPRIM_400000_NS6detail17trampoline_kernelINS0_14default_configENS1_38merge_sort_block_merge_config_selectorIyNS0_10empty_typeEEEZZNS1_27merge_sort_block_merge_implIS3_PyPS5_jNS1_19radix_merge_compareILb1ELb0EyNS0_19identity_decomposerEEEEE10hipError_tT0_T1_T2_jT3_P12ihipStream_tbPNSt15iterator_traitsISE_E10value_typeEPNSK_ISF_E10value_typeEPSG_NS1_7vsmem_tEENKUlT_SE_SF_SG_E_clIS8_S8_S9_S9_EESD_ST_SE_SF_SG_EUlST_E_NS1_11comp_targetILNS1_3genE10ELNS1_11target_archE1201ELNS1_3gpuE5ELNS1_3repE0EEENS1_48merge_mergepath_partition_config_static_selectorELNS0_4arch9wavefront6targetE1EEEvSF_,@function
_ZN7rocprim17ROCPRIM_400000_NS6detail17trampoline_kernelINS0_14default_configENS1_38merge_sort_block_merge_config_selectorIyNS0_10empty_typeEEEZZNS1_27merge_sort_block_merge_implIS3_PyPS5_jNS1_19radix_merge_compareILb1ELb0EyNS0_19identity_decomposerEEEEE10hipError_tT0_T1_T2_jT3_P12ihipStream_tbPNSt15iterator_traitsISE_E10value_typeEPNSK_ISF_E10value_typeEPSG_NS1_7vsmem_tEENKUlT_SE_SF_SG_E_clIS8_S8_S9_S9_EESD_ST_SE_SF_SG_EUlST_E_NS1_11comp_targetILNS1_3genE10ELNS1_11target_archE1201ELNS1_3gpuE5ELNS1_3repE0EEENS1_48merge_mergepath_partition_config_static_selectorELNS0_4arch9wavefront6targetE1EEEvSF_: ; @_ZN7rocprim17ROCPRIM_400000_NS6detail17trampoline_kernelINS0_14default_configENS1_38merge_sort_block_merge_config_selectorIyNS0_10empty_typeEEEZZNS1_27merge_sort_block_merge_implIS3_PyPS5_jNS1_19radix_merge_compareILb1ELb0EyNS0_19identity_decomposerEEEEE10hipError_tT0_T1_T2_jT3_P12ihipStream_tbPNSt15iterator_traitsISE_E10value_typeEPNSK_ISF_E10value_typeEPSG_NS1_7vsmem_tEENKUlT_SE_SF_SG_E_clIS8_S8_S9_S9_EESD_ST_SE_SF_SG_EUlST_E_NS1_11comp_targetILNS1_3genE10ELNS1_11target_archE1201ELNS1_3gpuE5ELNS1_3repE0EEENS1_48merge_mergepath_partition_config_static_selectorELNS0_4arch9wavefront6targetE1EEEvSF_
; %bb.0:
	.section	.rodata,"a",@progbits
	.p2align	6, 0x0
	.amdhsa_kernel _ZN7rocprim17ROCPRIM_400000_NS6detail17trampoline_kernelINS0_14default_configENS1_38merge_sort_block_merge_config_selectorIyNS0_10empty_typeEEEZZNS1_27merge_sort_block_merge_implIS3_PyPS5_jNS1_19radix_merge_compareILb1ELb0EyNS0_19identity_decomposerEEEEE10hipError_tT0_T1_T2_jT3_P12ihipStream_tbPNSt15iterator_traitsISE_E10value_typeEPNSK_ISF_E10value_typeEPSG_NS1_7vsmem_tEENKUlT_SE_SF_SG_E_clIS8_S8_S9_S9_EESD_ST_SE_SF_SG_EUlST_E_NS1_11comp_targetILNS1_3genE10ELNS1_11target_archE1201ELNS1_3gpuE5ELNS1_3repE0EEENS1_48merge_mergepath_partition_config_static_selectorELNS0_4arch9wavefront6targetE1EEEvSF_
		.amdhsa_group_segment_fixed_size 0
		.amdhsa_private_segment_fixed_size 0
		.amdhsa_kernarg_size 40
		.amdhsa_user_sgpr_count 6
		.amdhsa_user_sgpr_private_segment_buffer 1
		.amdhsa_user_sgpr_dispatch_ptr 0
		.amdhsa_user_sgpr_queue_ptr 0
		.amdhsa_user_sgpr_kernarg_segment_ptr 1
		.amdhsa_user_sgpr_dispatch_id 0
		.amdhsa_user_sgpr_flat_scratch_init 0
		.amdhsa_user_sgpr_kernarg_preload_length 0
		.amdhsa_user_sgpr_kernarg_preload_offset 0
		.amdhsa_user_sgpr_private_segment_size 0
		.amdhsa_uses_dynamic_stack 0
		.amdhsa_system_sgpr_private_segment_wavefront_offset 0
		.amdhsa_system_sgpr_workgroup_id_x 1
		.amdhsa_system_sgpr_workgroup_id_y 0
		.amdhsa_system_sgpr_workgroup_id_z 0
		.amdhsa_system_sgpr_workgroup_info 0
		.amdhsa_system_vgpr_workitem_id 0
		.amdhsa_next_free_vgpr 1
		.amdhsa_next_free_sgpr 0
		.amdhsa_accum_offset 4
		.amdhsa_reserve_vcc 0
		.amdhsa_reserve_flat_scratch 0
		.amdhsa_float_round_mode_32 0
		.amdhsa_float_round_mode_16_64 0
		.amdhsa_float_denorm_mode_32 3
		.amdhsa_float_denorm_mode_16_64 3
		.amdhsa_dx10_clamp 1
		.amdhsa_ieee_mode 1
		.amdhsa_fp16_overflow 0
		.amdhsa_tg_split 0
		.amdhsa_exception_fp_ieee_invalid_op 0
		.amdhsa_exception_fp_denorm_src 0
		.amdhsa_exception_fp_ieee_div_zero 0
		.amdhsa_exception_fp_ieee_overflow 0
		.amdhsa_exception_fp_ieee_underflow 0
		.amdhsa_exception_fp_ieee_inexact 0
		.amdhsa_exception_int_div_zero 0
	.end_amdhsa_kernel
	.section	.text._ZN7rocprim17ROCPRIM_400000_NS6detail17trampoline_kernelINS0_14default_configENS1_38merge_sort_block_merge_config_selectorIyNS0_10empty_typeEEEZZNS1_27merge_sort_block_merge_implIS3_PyPS5_jNS1_19radix_merge_compareILb1ELb0EyNS0_19identity_decomposerEEEEE10hipError_tT0_T1_T2_jT3_P12ihipStream_tbPNSt15iterator_traitsISE_E10value_typeEPNSK_ISF_E10value_typeEPSG_NS1_7vsmem_tEENKUlT_SE_SF_SG_E_clIS8_S8_S9_S9_EESD_ST_SE_SF_SG_EUlST_E_NS1_11comp_targetILNS1_3genE10ELNS1_11target_archE1201ELNS1_3gpuE5ELNS1_3repE0EEENS1_48merge_mergepath_partition_config_static_selectorELNS0_4arch9wavefront6targetE1EEEvSF_,"axG",@progbits,_ZN7rocprim17ROCPRIM_400000_NS6detail17trampoline_kernelINS0_14default_configENS1_38merge_sort_block_merge_config_selectorIyNS0_10empty_typeEEEZZNS1_27merge_sort_block_merge_implIS3_PyPS5_jNS1_19radix_merge_compareILb1ELb0EyNS0_19identity_decomposerEEEEE10hipError_tT0_T1_T2_jT3_P12ihipStream_tbPNSt15iterator_traitsISE_E10value_typeEPNSK_ISF_E10value_typeEPSG_NS1_7vsmem_tEENKUlT_SE_SF_SG_E_clIS8_S8_S9_S9_EESD_ST_SE_SF_SG_EUlST_E_NS1_11comp_targetILNS1_3genE10ELNS1_11target_archE1201ELNS1_3gpuE5ELNS1_3repE0EEENS1_48merge_mergepath_partition_config_static_selectorELNS0_4arch9wavefront6targetE1EEEvSF_,comdat
.Lfunc_end2412:
	.size	_ZN7rocprim17ROCPRIM_400000_NS6detail17trampoline_kernelINS0_14default_configENS1_38merge_sort_block_merge_config_selectorIyNS0_10empty_typeEEEZZNS1_27merge_sort_block_merge_implIS3_PyPS5_jNS1_19radix_merge_compareILb1ELb0EyNS0_19identity_decomposerEEEEE10hipError_tT0_T1_T2_jT3_P12ihipStream_tbPNSt15iterator_traitsISE_E10value_typeEPNSK_ISF_E10value_typeEPSG_NS1_7vsmem_tEENKUlT_SE_SF_SG_E_clIS8_S8_S9_S9_EESD_ST_SE_SF_SG_EUlST_E_NS1_11comp_targetILNS1_3genE10ELNS1_11target_archE1201ELNS1_3gpuE5ELNS1_3repE0EEENS1_48merge_mergepath_partition_config_static_selectorELNS0_4arch9wavefront6targetE1EEEvSF_, .Lfunc_end2412-_ZN7rocprim17ROCPRIM_400000_NS6detail17trampoline_kernelINS0_14default_configENS1_38merge_sort_block_merge_config_selectorIyNS0_10empty_typeEEEZZNS1_27merge_sort_block_merge_implIS3_PyPS5_jNS1_19radix_merge_compareILb1ELb0EyNS0_19identity_decomposerEEEEE10hipError_tT0_T1_T2_jT3_P12ihipStream_tbPNSt15iterator_traitsISE_E10value_typeEPNSK_ISF_E10value_typeEPSG_NS1_7vsmem_tEENKUlT_SE_SF_SG_E_clIS8_S8_S9_S9_EESD_ST_SE_SF_SG_EUlST_E_NS1_11comp_targetILNS1_3genE10ELNS1_11target_archE1201ELNS1_3gpuE5ELNS1_3repE0EEENS1_48merge_mergepath_partition_config_static_selectorELNS0_4arch9wavefront6targetE1EEEvSF_
                                        ; -- End function
	.section	.AMDGPU.csdata,"",@progbits
; Kernel info:
; codeLenInByte = 0
; NumSgprs: 4
; NumVgprs: 0
; NumAgprs: 0
; TotalNumVgprs: 0
; ScratchSize: 0
; MemoryBound: 0
; FloatMode: 240
; IeeeMode: 1
; LDSByteSize: 0 bytes/workgroup (compile time only)
; SGPRBlocks: 0
; VGPRBlocks: 0
; NumSGPRsForWavesPerEU: 4
; NumVGPRsForWavesPerEU: 1
; AccumOffset: 4
; Occupancy: 8
; WaveLimiterHint : 0
; COMPUTE_PGM_RSRC2:SCRATCH_EN: 0
; COMPUTE_PGM_RSRC2:USER_SGPR: 6
; COMPUTE_PGM_RSRC2:TRAP_HANDLER: 0
; COMPUTE_PGM_RSRC2:TGID_X_EN: 1
; COMPUTE_PGM_RSRC2:TGID_Y_EN: 0
; COMPUTE_PGM_RSRC2:TGID_Z_EN: 0
; COMPUTE_PGM_RSRC2:TIDIG_COMP_CNT: 0
; COMPUTE_PGM_RSRC3_GFX90A:ACCUM_OFFSET: 0
; COMPUTE_PGM_RSRC3_GFX90A:TG_SPLIT: 0
	.section	.text._ZN7rocprim17ROCPRIM_400000_NS6detail17trampoline_kernelINS0_14default_configENS1_38merge_sort_block_merge_config_selectorIyNS0_10empty_typeEEEZZNS1_27merge_sort_block_merge_implIS3_PyPS5_jNS1_19radix_merge_compareILb1ELb0EyNS0_19identity_decomposerEEEEE10hipError_tT0_T1_T2_jT3_P12ihipStream_tbPNSt15iterator_traitsISE_E10value_typeEPNSK_ISF_E10value_typeEPSG_NS1_7vsmem_tEENKUlT_SE_SF_SG_E_clIS8_S8_S9_S9_EESD_ST_SE_SF_SG_EUlST_E_NS1_11comp_targetILNS1_3genE5ELNS1_11target_archE942ELNS1_3gpuE9ELNS1_3repE0EEENS1_48merge_mergepath_partition_config_static_selectorELNS0_4arch9wavefront6targetE1EEEvSF_,"axG",@progbits,_ZN7rocprim17ROCPRIM_400000_NS6detail17trampoline_kernelINS0_14default_configENS1_38merge_sort_block_merge_config_selectorIyNS0_10empty_typeEEEZZNS1_27merge_sort_block_merge_implIS3_PyPS5_jNS1_19radix_merge_compareILb1ELb0EyNS0_19identity_decomposerEEEEE10hipError_tT0_T1_T2_jT3_P12ihipStream_tbPNSt15iterator_traitsISE_E10value_typeEPNSK_ISF_E10value_typeEPSG_NS1_7vsmem_tEENKUlT_SE_SF_SG_E_clIS8_S8_S9_S9_EESD_ST_SE_SF_SG_EUlST_E_NS1_11comp_targetILNS1_3genE5ELNS1_11target_archE942ELNS1_3gpuE9ELNS1_3repE0EEENS1_48merge_mergepath_partition_config_static_selectorELNS0_4arch9wavefront6targetE1EEEvSF_,comdat
	.protected	_ZN7rocprim17ROCPRIM_400000_NS6detail17trampoline_kernelINS0_14default_configENS1_38merge_sort_block_merge_config_selectorIyNS0_10empty_typeEEEZZNS1_27merge_sort_block_merge_implIS3_PyPS5_jNS1_19radix_merge_compareILb1ELb0EyNS0_19identity_decomposerEEEEE10hipError_tT0_T1_T2_jT3_P12ihipStream_tbPNSt15iterator_traitsISE_E10value_typeEPNSK_ISF_E10value_typeEPSG_NS1_7vsmem_tEENKUlT_SE_SF_SG_E_clIS8_S8_S9_S9_EESD_ST_SE_SF_SG_EUlST_E_NS1_11comp_targetILNS1_3genE5ELNS1_11target_archE942ELNS1_3gpuE9ELNS1_3repE0EEENS1_48merge_mergepath_partition_config_static_selectorELNS0_4arch9wavefront6targetE1EEEvSF_ ; -- Begin function _ZN7rocprim17ROCPRIM_400000_NS6detail17trampoline_kernelINS0_14default_configENS1_38merge_sort_block_merge_config_selectorIyNS0_10empty_typeEEEZZNS1_27merge_sort_block_merge_implIS3_PyPS5_jNS1_19radix_merge_compareILb1ELb0EyNS0_19identity_decomposerEEEEE10hipError_tT0_T1_T2_jT3_P12ihipStream_tbPNSt15iterator_traitsISE_E10value_typeEPNSK_ISF_E10value_typeEPSG_NS1_7vsmem_tEENKUlT_SE_SF_SG_E_clIS8_S8_S9_S9_EESD_ST_SE_SF_SG_EUlST_E_NS1_11comp_targetILNS1_3genE5ELNS1_11target_archE942ELNS1_3gpuE9ELNS1_3repE0EEENS1_48merge_mergepath_partition_config_static_selectorELNS0_4arch9wavefront6targetE1EEEvSF_
	.globl	_ZN7rocprim17ROCPRIM_400000_NS6detail17trampoline_kernelINS0_14default_configENS1_38merge_sort_block_merge_config_selectorIyNS0_10empty_typeEEEZZNS1_27merge_sort_block_merge_implIS3_PyPS5_jNS1_19radix_merge_compareILb1ELb0EyNS0_19identity_decomposerEEEEE10hipError_tT0_T1_T2_jT3_P12ihipStream_tbPNSt15iterator_traitsISE_E10value_typeEPNSK_ISF_E10value_typeEPSG_NS1_7vsmem_tEENKUlT_SE_SF_SG_E_clIS8_S8_S9_S9_EESD_ST_SE_SF_SG_EUlST_E_NS1_11comp_targetILNS1_3genE5ELNS1_11target_archE942ELNS1_3gpuE9ELNS1_3repE0EEENS1_48merge_mergepath_partition_config_static_selectorELNS0_4arch9wavefront6targetE1EEEvSF_
	.p2align	8
	.type	_ZN7rocprim17ROCPRIM_400000_NS6detail17trampoline_kernelINS0_14default_configENS1_38merge_sort_block_merge_config_selectorIyNS0_10empty_typeEEEZZNS1_27merge_sort_block_merge_implIS3_PyPS5_jNS1_19radix_merge_compareILb1ELb0EyNS0_19identity_decomposerEEEEE10hipError_tT0_T1_T2_jT3_P12ihipStream_tbPNSt15iterator_traitsISE_E10value_typeEPNSK_ISF_E10value_typeEPSG_NS1_7vsmem_tEENKUlT_SE_SF_SG_E_clIS8_S8_S9_S9_EESD_ST_SE_SF_SG_EUlST_E_NS1_11comp_targetILNS1_3genE5ELNS1_11target_archE942ELNS1_3gpuE9ELNS1_3repE0EEENS1_48merge_mergepath_partition_config_static_selectorELNS0_4arch9wavefront6targetE1EEEvSF_,@function
_ZN7rocprim17ROCPRIM_400000_NS6detail17trampoline_kernelINS0_14default_configENS1_38merge_sort_block_merge_config_selectorIyNS0_10empty_typeEEEZZNS1_27merge_sort_block_merge_implIS3_PyPS5_jNS1_19radix_merge_compareILb1ELb0EyNS0_19identity_decomposerEEEEE10hipError_tT0_T1_T2_jT3_P12ihipStream_tbPNSt15iterator_traitsISE_E10value_typeEPNSK_ISF_E10value_typeEPSG_NS1_7vsmem_tEENKUlT_SE_SF_SG_E_clIS8_S8_S9_S9_EESD_ST_SE_SF_SG_EUlST_E_NS1_11comp_targetILNS1_3genE5ELNS1_11target_archE942ELNS1_3gpuE9ELNS1_3repE0EEENS1_48merge_mergepath_partition_config_static_selectorELNS0_4arch9wavefront6targetE1EEEvSF_: ; @_ZN7rocprim17ROCPRIM_400000_NS6detail17trampoline_kernelINS0_14default_configENS1_38merge_sort_block_merge_config_selectorIyNS0_10empty_typeEEEZZNS1_27merge_sort_block_merge_implIS3_PyPS5_jNS1_19radix_merge_compareILb1ELb0EyNS0_19identity_decomposerEEEEE10hipError_tT0_T1_T2_jT3_P12ihipStream_tbPNSt15iterator_traitsISE_E10value_typeEPNSK_ISF_E10value_typeEPSG_NS1_7vsmem_tEENKUlT_SE_SF_SG_E_clIS8_S8_S9_S9_EESD_ST_SE_SF_SG_EUlST_E_NS1_11comp_targetILNS1_3genE5ELNS1_11target_archE942ELNS1_3gpuE9ELNS1_3repE0EEENS1_48merge_mergepath_partition_config_static_selectorELNS0_4arch9wavefront6targetE1EEEvSF_
; %bb.0:
	.section	.rodata,"a",@progbits
	.p2align	6, 0x0
	.amdhsa_kernel _ZN7rocprim17ROCPRIM_400000_NS6detail17trampoline_kernelINS0_14default_configENS1_38merge_sort_block_merge_config_selectorIyNS0_10empty_typeEEEZZNS1_27merge_sort_block_merge_implIS3_PyPS5_jNS1_19radix_merge_compareILb1ELb0EyNS0_19identity_decomposerEEEEE10hipError_tT0_T1_T2_jT3_P12ihipStream_tbPNSt15iterator_traitsISE_E10value_typeEPNSK_ISF_E10value_typeEPSG_NS1_7vsmem_tEENKUlT_SE_SF_SG_E_clIS8_S8_S9_S9_EESD_ST_SE_SF_SG_EUlST_E_NS1_11comp_targetILNS1_3genE5ELNS1_11target_archE942ELNS1_3gpuE9ELNS1_3repE0EEENS1_48merge_mergepath_partition_config_static_selectorELNS0_4arch9wavefront6targetE1EEEvSF_
		.amdhsa_group_segment_fixed_size 0
		.amdhsa_private_segment_fixed_size 0
		.amdhsa_kernarg_size 40
		.amdhsa_user_sgpr_count 6
		.amdhsa_user_sgpr_private_segment_buffer 1
		.amdhsa_user_sgpr_dispatch_ptr 0
		.amdhsa_user_sgpr_queue_ptr 0
		.amdhsa_user_sgpr_kernarg_segment_ptr 1
		.amdhsa_user_sgpr_dispatch_id 0
		.amdhsa_user_sgpr_flat_scratch_init 0
		.amdhsa_user_sgpr_kernarg_preload_length 0
		.amdhsa_user_sgpr_kernarg_preload_offset 0
		.amdhsa_user_sgpr_private_segment_size 0
		.amdhsa_uses_dynamic_stack 0
		.amdhsa_system_sgpr_private_segment_wavefront_offset 0
		.amdhsa_system_sgpr_workgroup_id_x 1
		.amdhsa_system_sgpr_workgroup_id_y 0
		.amdhsa_system_sgpr_workgroup_id_z 0
		.amdhsa_system_sgpr_workgroup_info 0
		.amdhsa_system_vgpr_workitem_id 0
		.amdhsa_next_free_vgpr 1
		.amdhsa_next_free_sgpr 0
		.amdhsa_accum_offset 4
		.amdhsa_reserve_vcc 0
		.amdhsa_reserve_flat_scratch 0
		.amdhsa_float_round_mode_32 0
		.amdhsa_float_round_mode_16_64 0
		.amdhsa_float_denorm_mode_32 3
		.amdhsa_float_denorm_mode_16_64 3
		.amdhsa_dx10_clamp 1
		.amdhsa_ieee_mode 1
		.amdhsa_fp16_overflow 0
		.amdhsa_tg_split 0
		.amdhsa_exception_fp_ieee_invalid_op 0
		.amdhsa_exception_fp_denorm_src 0
		.amdhsa_exception_fp_ieee_div_zero 0
		.amdhsa_exception_fp_ieee_overflow 0
		.amdhsa_exception_fp_ieee_underflow 0
		.amdhsa_exception_fp_ieee_inexact 0
		.amdhsa_exception_int_div_zero 0
	.end_amdhsa_kernel
	.section	.text._ZN7rocprim17ROCPRIM_400000_NS6detail17trampoline_kernelINS0_14default_configENS1_38merge_sort_block_merge_config_selectorIyNS0_10empty_typeEEEZZNS1_27merge_sort_block_merge_implIS3_PyPS5_jNS1_19radix_merge_compareILb1ELb0EyNS0_19identity_decomposerEEEEE10hipError_tT0_T1_T2_jT3_P12ihipStream_tbPNSt15iterator_traitsISE_E10value_typeEPNSK_ISF_E10value_typeEPSG_NS1_7vsmem_tEENKUlT_SE_SF_SG_E_clIS8_S8_S9_S9_EESD_ST_SE_SF_SG_EUlST_E_NS1_11comp_targetILNS1_3genE5ELNS1_11target_archE942ELNS1_3gpuE9ELNS1_3repE0EEENS1_48merge_mergepath_partition_config_static_selectorELNS0_4arch9wavefront6targetE1EEEvSF_,"axG",@progbits,_ZN7rocprim17ROCPRIM_400000_NS6detail17trampoline_kernelINS0_14default_configENS1_38merge_sort_block_merge_config_selectorIyNS0_10empty_typeEEEZZNS1_27merge_sort_block_merge_implIS3_PyPS5_jNS1_19radix_merge_compareILb1ELb0EyNS0_19identity_decomposerEEEEE10hipError_tT0_T1_T2_jT3_P12ihipStream_tbPNSt15iterator_traitsISE_E10value_typeEPNSK_ISF_E10value_typeEPSG_NS1_7vsmem_tEENKUlT_SE_SF_SG_E_clIS8_S8_S9_S9_EESD_ST_SE_SF_SG_EUlST_E_NS1_11comp_targetILNS1_3genE5ELNS1_11target_archE942ELNS1_3gpuE9ELNS1_3repE0EEENS1_48merge_mergepath_partition_config_static_selectorELNS0_4arch9wavefront6targetE1EEEvSF_,comdat
.Lfunc_end2413:
	.size	_ZN7rocprim17ROCPRIM_400000_NS6detail17trampoline_kernelINS0_14default_configENS1_38merge_sort_block_merge_config_selectorIyNS0_10empty_typeEEEZZNS1_27merge_sort_block_merge_implIS3_PyPS5_jNS1_19radix_merge_compareILb1ELb0EyNS0_19identity_decomposerEEEEE10hipError_tT0_T1_T2_jT3_P12ihipStream_tbPNSt15iterator_traitsISE_E10value_typeEPNSK_ISF_E10value_typeEPSG_NS1_7vsmem_tEENKUlT_SE_SF_SG_E_clIS8_S8_S9_S9_EESD_ST_SE_SF_SG_EUlST_E_NS1_11comp_targetILNS1_3genE5ELNS1_11target_archE942ELNS1_3gpuE9ELNS1_3repE0EEENS1_48merge_mergepath_partition_config_static_selectorELNS0_4arch9wavefront6targetE1EEEvSF_, .Lfunc_end2413-_ZN7rocprim17ROCPRIM_400000_NS6detail17trampoline_kernelINS0_14default_configENS1_38merge_sort_block_merge_config_selectorIyNS0_10empty_typeEEEZZNS1_27merge_sort_block_merge_implIS3_PyPS5_jNS1_19radix_merge_compareILb1ELb0EyNS0_19identity_decomposerEEEEE10hipError_tT0_T1_T2_jT3_P12ihipStream_tbPNSt15iterator_traitsISE_E10value_typeEPNSK_ISF_E10value_typeEPSG_NS1_7vsmem_tEENKUlT_SE_SF_SG_E_clIS8_S8_S9_S9_EESD_ST_SE_SF_SG_EUlST_E_NS1_11comp_targetILNS1_3genE5ELNS1_11target_archE942ELNS1_3gpuE9ELNS1_3repE0EEENS1_48merge_mergepath_partition_config_static_selectorELNS0_4arch9wavefront6targetE1EEEvSF_
                                        ; -- End function
	.section	.AMDGPU.csdata,"",@progbits
; Kernel info:
; codeLenInByte = 0
; NumSgprs: 4
; NumVgprs: 0
; NumAgprs: 0
; TotalNumVgprs: 0
; ScratchSize: 0
; MemoryBound: 0
; FloatMode: 240
; IeeeMode: 1
; LDSByteSize: 0 bytes/workgroup (compile time only)
; SGPRBlocks: 0
; VGPRBlocks: 0
; NumSGPRsForWavesPerEU: 4
; NumVGPRsForWavesPerEU: 1
; AccumOffset: 4
; Occupancy: 8
; WaveLimiterHint : 0
; COMPUTE_PGM_RSRC2:SCRATCH_EN: 0
; COMPUTE_PGM_RSRC2:USER_SGPR: 6
; COMPUTE_PGM_RSRC2:TRAP_HANDLER: 0
; COMPUTE_PGM_RSRC2:TGID_X_EN: 1
; COMPUTE_PGM_RSRC2:TGID_Y_EN: 0
; COMPUTE_PGM_RSRC2:TGID_Z_EN: 0
; COMPUTE_PGM_RSRC2:TIDIG_COMP_CNT: 0
; COMPUTE_PGM_RSRC3_GFX90A:ACCUM_OFFSET: 0
; COMPUTE_PGM_RSRC3_GFX90A:TG_SPLIT: 0
	.section	.text._ZN7rocprim17ROCPRIM_400000_NS6detail17trampoline_kernelINS0_14default_configENS1_38merge_sort_block_merge_config_selectorIyNS0_10empty_typeEEEZZNS1_27merge_sort_block_merge_implIS3_PyPS5_jNS1_19radix_merge_compareILb1ELb0EyNS0_19identity_decomposerEEEEE10hipError_tT0_T1_T2_jT3_P12ihipStream_tbPNSt15iterator_traitsISE_E10value_typeEPNSK_ISF_E10value_typeEPSG_NS1_7vsmem_tEENKUlT_SE_SF_SG_E_clIS8_S8_S9_S9_EESD_ST_SE_SF_SG_EUlST_E_NS1_11comp_targetILNS1_3genE4ELNS1_11target_archE910ELNS1_3gpuE8ELNS1_3repE0EEENS1_48merge_mergepath_partition_config_static_selectorELNS0_4arch9wavefront6targetE1EEEvSF_,"axG",@progbits,_ZN7rocprim17ROCPRIM_400000_NS6detail17trampoline_kernelINS0_14default_configENS1_38merge_sort_block_merge_config_selectorIyNS0_10empty_typeEEEZZNS1_27merge_sort_block_merge_implIS3_PyPS5_jNS1_19radix_merge_compareILb1ELb0EyNS0_19identity_decomposerEEEEE10hipError_tT0_T1_T2_jT3_P12ihipStream_tbPNSt15iterator_traitsISE_E10value_typeEPNSK_ISF_E10value_typeEPSG_NS1_7vsmem_tEENKUlT_SE_SF_SG_E_clIS8_S8_S9_S9_EESD_ST_SE_SF_SG_EUlST_E_NS1_11comp_targetILNS1_3genE4ELNS1_11target_archE910ELNS1_3gpuE8ELNS1_3repE0EEENS1_48merge_mergepath_partition_config_static_selectorELNS0_4arch9wavefront6targetE1EEEvSF_,comdat
	.protected	_ZN7rocprim17ROCPRIM_400000_NS6detail17trampoline_kernelINS0_14default_configENS1_38merge_sort_block_merge_config_selectorIyNS0_10empty_typeEEEZZNS1_27merge_sort_block_merge_implIS3_PyPS5_jNS1_19radix_merge_compareILb1ELb0EyNS0_19identity_decomposerEEEEE10hipError_tT0_T1_T2_jT3_P12ihipStream_tbPNSt15iterator_traitsISE_E10value_typeEPNSK_ISF_E10value_typeEPSG_NS1_7vsmem_tEENKUlT_SE_SF_SG_E_clIS8_S8_S9_S9_EESD_ST_SE_SF_SG_EUlST_E_NS1_11comp_targetILNS1_3genE4ELNS1_11target_archE910ELNS1_3gpuE8ELNS1_3repE0EEENS1_48merge_mergepath_partition_config_static_selectorELNS0_4arch9wavefront6targetE1EEEvSF_ ; -- Begin function _ZN7rocprim17ROCPRIM_400000_NS6detail17trampoline_kernelINS0_14default_configENS1_38merge_sort_block_merge_config_selectorIyNS0_10empty_typeEEEZZNS1_27merge_sort_block_merge_implIS3_PyPS5_jNS1_19radix_merge_compareILb1ELb0EyNS0_19identity_decomposerEEEEE10hipError_tT0_T1_T2_jT3_P12ihipStream_tbPNSt15iterator_traitsISE_E10value_typeEPNSK_ISF_E10value_typeEPSG_NS1_7vsmem_tEENKUlT_SE_SF_SG_E_clIS8_S8_S9_S9_EESD_ST_SE_SF_SG_EUlST_E_NS1_11comp_targetILNS1_3genE4ELNS1_11target_archE910ELNS1_3gpuE8ELNS1_3repE0EEENS1_48merge_mergepath_partition_config_static_selectorELNS0_4arch9wavefront6targetE1EEEvSF_
	.globl	_ZN7rocprim17ROCPRIM_400000_NS6detail17trampoline_kernelINS0_14default_configENS1_38merge_sort_block_merge_config_selectorIyNS0_10empty_typeEEEZZNS1_27merge_sort_block_merge_implIS3_PyPS5_jNS1_19radix_merge_compareILb1ELb0EyNS0_19identity_decomposerEEEEE10hipError_tT0_T1_T2_jT3_P12ihipStream_tbPNSt15iterator_traitsISE_E10value_typeEPNSK_ISF_E10value_typeEPSG_NS1_7vsmem_tEENKUlT_SE_SF_SG_E_clIS8_S8_S9_S9_EESD_ST_SE_SF_SG_EUlST_E_NS1_11comp_targetILNS1_3genE4ELNS1_11target_archE910ELNS1_3gpuE8ELNS1_3repE0EEENS1_48merge_mergepath_partition_config_static_selectorELNS0_4arch9wavefront6targetE1EEEvSF_
	.p2align	8
	.type	_ZN7rocprim17ROCPRIM_400000_NS6detail17trampoline_kernelINS0_14default_configENS1_38merge_sort_block_merge_config_selectorIyNS0_10empty_typeEEEZZNS1_27merge_sort_block_merge_implIS3_PyPS5_jNS1_19radix_merge_compareILb1ELb0EyNS0_19identity_decomposerEEEEE10hipError_tT0_T1_T2_jT3_P12ihipStream_tbPNSt15iterator_traitsISE_E10value_typeEPNSK_ISF_E10value_typeEPSG_NS1_7vsmem_tEENKUlT_SE_SF_SG_E_clIS8_S8_S9_S9_EESD_ST_SE_SF_SG_EUlST_E_NS1_11comp_targetILNS1_3genE4ELNS1_11target_archE910ELNS1_3gpuE8ELNS1_3repE0EEENS1_48merge_mergepath_partition_config_static_selectorELNS0_4arch9wavefront6targetE1EEEvSF_,@function
_ZN7rocprim17ROCPRIM_400000_NS6detail17trampoline_kernelINS0_14default_configENS1_38merge_sort_block_merge_config_selectorIyNS0_10empty_typeEEEZZNS1_27merge_sort_block_merge_implIS3_PyPS5_jNS1_19radix_merge_compareILb1ELb0EyNS0_19identity_decomposerEEEEE10hipError_tT0_T1_T2_jT3_P12ihipStream_tbPNSt15iterator_traitsISE_E10value_typeEPNSK_ISF_E10value_typeEPSG_NS1_7vsmem_tEENKUlT_SE_SF_SG_E_clIS8_S8_S9_S9_EESD_ST_SE_SF_SG_EUlST_E_NS1_11comp_targetILNS1_3genE4ELNS1_11target_archE910ELNS1_3gpuE8ELNS1_3repE0EEENS1_48merge_mergepath_partition_config_static_selectorELNS0_4arch9wavefront6targetE1EEEvSF_: ; @_ZN7rocprim17ROCPRIM_400000_NS6detail17trampoline_kernelINS0_14default_configENS1_38merge_sort_block_merge_config_selectorIyNS0_10empty_typeEEEZZNS1_27merge_sort_block_merge_implIS3_PyPS5_jNS1_19radix_merge_compareILb1ELb0EyNS0_19identity_decomposerEEEEE10hipError_tT0_T1_T2_jT3_P12ihipStream_tbPNSt15iterator_traitsISE_E10value_typeEPNSK_ISF_E10value_typeEPSG_NS1_7vsmem_tEENKUlT_SE_SF_SG_E_clIS8_S8_S9_S9_EESD_ST_SE_SF_SG_EUlST_E_NS1_11comp_targetILNS1_3genE4ELNS1_11target_archE910ELNS1_3gpuE8ELNS1_3repE0EEENS1_48merge_mergepath_partition_config_static_selectorELNS0_4arch9wavefront6targetE1EEEvSF_
; %bb.0:
	s_load_dword s0, s[4:5], 0x0
	v_lshl_or_b32 v0, s6, 7, v0
	s_waitcnt lgkmcnt(0)
	v_cmp_gt_u32_e32 vcc, s0, v0
	s_and_saveexec_b64 s[0:1], vcc
	s_cbranch_execz .LBB2414_6
; %bb.1:
	s_load_dwordx2 s[2:3], s[4:5], 0x4
	s_load_dwordx2 s[0:1], s[4:5], 0x20
	s_waitcnt lgkmcnt(0)
	s_lshr_b32 s6, s2, 9
	s_and_b32 s6, s6, 0x7ffffe
	s_add_i32 s7, s6, -1
	s_sub_i32 s6, 0, s6
	v_and_b32_e32 v1, s6, v0
	v_lshlrev_b32_e32 v1, 10, v1
	v_min_u32_e32 v2, s3, v1
	v_add_u32_e32 v1, s2, v1
	v_min_u32_e32 v4, s3, v1
	v_add_u32_e32 v1, s2, v4
	v_and_b32_e32 v3, s7, v0
	v_min_u32_e32 v1, s3, v1
	v_sub_u32_e32 v5, v1, v2
	v_lshlrev_b32_e32 v3, 10, v3
	v_min_u32_e32 v6, v5, v3
	v_sub_u32_e32 v3, v4, v2
	v_sub_u32_e32 v1, v1, v4
	v_sub_u32_e64 v1, v6, v1 clamp
	v_min_u32_e32 v7, v6, v3
	v_cmp_lt_u32_e32 vcc, v1, v7
	s_and_saveexec_b64 s[2:3], vcc
	s_cbranch_execz .LBB2414_5
; %bb.2:
	s_load_dwordx2 s[4:5], s[4:5], 0x10
	v_mov_b32_e32 v5, 0
	v_mov_b32_e32 v3, v5
	v_lshlrev_b64 v[8:9], 3, v[2:3]
	v_lshlrev_b64 v[10:11], 3, v[4:5]
	s_waitcnt lgkmcnt(0)
	v_mov_b32_e32 v12, s5
	v_add_co_u32_e32 v3, vcc, s4, v8
	v_addc_co_u32_e32 v8, vcc, v12, v9, vcc
	v_add_co_u32_e32 v9, vcc, s4, v10
	v_addc_co_u32_e32 v10, vcc, v12, v11, vcc
	s_mov_b64 s[4:5], 0
.LBB2414_3:                             ; =>This Inner Loop Header: Depth=1
	v_add_u32_e32 v4, v7, v1
	v_lshrrev_b32_e32 v4, 1, v4
	v_lshlrev_b64 v[14:15], 3, v[4:5]
	v_mov_b32_e32 v13, v5
	v_xad_u32 v12, v4, -1, v6
	v_add_co_u32_e32 v14, vcc, v3, v14
	v_addc_co_u32_e32 v15, vcc, v8, v15, vcc
	v_lshlrev_b64 v[12:13], 3, v[12:13]
	v_add_co_u32_e32 v12, vcc, v9, v12
	v_addc_co_u32_e32 v13, vcc, v10, v13, vcc
	global_load_dwordx2 v[16:17], v[14:15], off
	global_load_dwordx2 v[18:19], v[12:13], off
	v_add_u32_e32 v11, 1, v4
	s_waitcnt vmcnt(0)
	v_cmp_gt_u64_e32 vcc, v[18:19], v[16:17]
	v_cndmask_b32_e32 v7, v7, v4, vcc
	v_cndmask_b32_e32 v1, v11, v1, vcc
	v_cmp_ge_u32_e32 vcc, v1, v7
	s_or_b64 s[4:5], vcc, s[4:5]
	s_andn2_b64 exec, exec, s[4:5]
	s_cbranch_execnz .LBB2414_3
; %bb.4:
	s_or_b64 exec, exec, s[4:5]
.LBB2414_5:
	s_or_b64 exec, exec, s[2:3]
	v_add_u32_e32 v2, v1, v2
	v_mov_b32_e32 v1, 0
	v_lshlrev_b64 v[0:1], 2, v[0:1]
	v_mov_b32_e32 v3, s1
	v_add_co_u32_e32 v0, vcc, s0, v0
	v_addc_co_u32_e32 v1, vcc, v3, v1, vcc
	global_store_dword v[0:1], v2, off
.LBB2414_6:
	s_endpgm
	.section	.rodata,"a",@progbits
	.p2align	6, 0x0
	.amdhsa_kernel _ZN7rocprim17ROCPRIM_400000_NS6detail17trampoline_kernelINS0_14default_configENS1_38merge_sort_block_merge_config_selectorIyNS0_10empty_typeEEEZZNS1_27merge_sort_block_merge_implIS3_PyPS5_jNS1_19radix_merge_compareILb1ELb0EyNS0_19identity_decomposerEEEEE10hipError_tT0_T1_T2_jT3_P12ihipStream_tbPNSt15iterator_traitsISE_E10value_typeEPNSK_ISF_E10value_typeEPSG_NS1_7vsmem_tEENKUlT_SE_SF_SG_E_clIS8_S8_S9_S9_EESD_ST_SE_SF_SG_EUlST_E_NS1_11comp_targetILNS1_3genE4ELNS1_11target_archE910ELNS1_3gpuE8ELNS1_3repE0EEENS1_48merge_mergepath_partition_config_static_selectorELNS0_4arch9wavefront6targetE1EEEvSF_
		.amdhsa_group_segment_fixed_size 0
		.amdhsa_private_segment_fixed_size 0
		.amdhsa_kernarg_size 40
		.amdhsa_user_sgpr_count 6
		.amdhsa_user_sgpr_private_segment_buffer 1
		.amdhsa_user_sgpr_dispatch_ptr 0
		.amdhsa_user_sgpr_queue_ptr 0
		.amdhsa_user_sgpr_kernarg_segment_ptr 1
		.amdhsa_user_sgpr_dispatch_id 0
		.amdhsa_user_sgpr_flat_scratch_init 0
		.amdhsa_user_sgpr_kernarg_preload_length 0
		.amdhsa_user_sgpr_kernarg_preload_offset 0
		.amdhsa_user_sgpr_private_segment_size 0
		.amdhsa_uses_dynamic_stack 0
		.amdhsa_system_sgpr_private_segment_wavefront_offset 0
		.amdhsa_system_sgpr_workgroup_id_x 1
		.amdhsa_system_sgpr_workgroup_id_y 0
		.amdhsa_system_sgpr_workgroup_id_z 0
		.amdhsa_system_sgpr_workgroup_info 0
		.amdhsa_system_vgpr_workitem_id 0
		.amdhsa_next_free_vgpr 20
		.amdhsa_next_free_sgpr 8
		.amdhsa_accum_offset 20
		.amdhsa_reserve_vcc 1
		.amdhsa_reserve_flat_scratch 0
		.amdhsa_float_round_mode_32 0
		.amdhsa_float_round_mode_16_64 0
		.amdhsa_float_denorm_mode_32 3
		.amdhsa_float_denorm_mode_16_64 3
		.amdhsa_dx10_clamp 1
		.amdhsa_ieee_mode 1
		.amdhsa_fp16_overflow 0
		.amdhsa_tg_split 0
		.amdhsa_exception_fp_ieee_invalid_op 0
		.amdhsa_exception_fp_denorm_src 0
		.amdhsa_exception_fp_ieee_div_zero 0
		.amdhsa_exception_fp_ieee_overflow 0
		.amdhsa_exception_fp_ieee_underflow 0
		.amdhsa_exception_fp_ieee_inexact 0
		.amdhsa_exception_int_div_zero 0
	.end_amdhsa_kernel
	.section	.text._ZN7rocprim17ROCPRIM_400000_NS6detail17trampoline_kernelINS0_14default_configENS1_38merge_sort_block_merge_config_selectorIyNS0_10empty_typeEEEZZNS1_27merge_sort_block_merge_implIS3_PyPS5_jNS1_19radix_merge_compareILb1ELb0EyNS0_19identity_decomposerEEEEE10hipError_tT0_T1_T2_jT3_P12ihipStream_tbPNSt15iterator_traitsISE_E10value_typeEPNSK_ISF_E10value_typeEPSG_NS1_7vsmem_tEENKUlT_SE_SF_SG_E_clIS8_S8_S9_S9_EESD_ST_SE_SF_SG_EUlST_E_NS1_11comp_targetILNS1_3genE4ELNS1_11target_archE910ELNS1_3gpuE8ELNS1_3repE0EEENS1_48merge_mergepath_partition_config_static_selectorELNS0_4arch9wavefront6targetE1EEEvSF_,"axG",@progbits,_ZN7rocprim17ROCPRIM_400000_NS6detail17trampoline_kernelINS0_14default_configENS1_38merge_sort_block_merge_config_selectorIyNS0_10empty_typeEEEZZNS1_27merge_sort_block_merge_implIS3_PyPS5_jNS1_19radix_merge_compareILb1ELb0EyNS0_19identity_decomposerEEEEE10hipError_tT0_T1_T2_jT3_P12ihipStream_tbPNSt15iterator_traitsISE_E10value_typeEPNSK_ISF_E10value_typeEPSG_NS1_7vsmem_tEENKUlT_SE_SF_SG_E_clIS8_S8_S9_S9_EESD_ST_SE_SF_SG_EUlST_E_NS1_11comp_targetILNS1_3genE4ELNS1_11target_archE910ELNS1_3gpuE8ELNS1_3repE0EEENS1_48merge_mergepath_partition_config_static_selectorELNS0_4arch9wavefront6targetE1EEEvSF_,comdat
.Lfunc_end2414:
	.size	_ZN7rocprim17ROCPRIM_400000_NS6detail17trampoline_kernelINS0_14default_configENS1_38merge_sort_block_merge_config_selectorIyNS0_10empty_typeEEEZZNS1_27merge_sort_block_merge_implIS3_PyPS5_jNS1_19radix_merge_compareILb1ELb0EyNS0_19identity_decomposerEEEEE10hipError_tT0_T1_T2_jT3_P12ihipStream_tbPNSt15iterator_traitsISE_E10value_typeEPNSK_ISF_E10value_typeEPSG_NS1_7vsmem_tEENKUlT_SE_SF_SG_E_clIS8_S8_S9_S9_EESD_ST_SE_SF_SG_EUlST_E_NS1_11comp_targetILNS1_3genE4ELNS1_11target_archE910ELNS1_3gpuE8ELNS1_3repE0EEENS1_48merge_mergepath_partition_config_static_selectorELNS0_4arch9wavefront6targetE1EEEvSF_, .Lfunc_end2414-_ZN7rocprim17ROCPRIM_400000_NS6detail17trampoline_kernelINS0_14default_configENS1_38merge_sort_block_merge_config_selectorIyNS0_10empty_typeEEEZZNS1_27merge_sort_block_merge_implIS3_PyPS5_jNS1_19radix_merge_compareILb1ELb0EyNS0_19identity_decomposerEEEEE10hipError_tT0_T1_T2_jT3_P12ihipStream_tbPNSt15iterator_traitsISE_E10value_typeEPNSK_ISF_E10value_typeEPSG_NS1_7vsmem_tEENKUlT_SE_SF_SG_E_clIS8_S8_S9_S9_EESD_ST_SE_SF_SG_EUlST_E_NS1_11comp_targetILNS1_3genE4ELNS1_11target_archE910ELNS1_3gpuE8ELNS1_3repE0EEENS1_48merge_mergepath_partition_config_static_selectorELNS0_4arch9wavefront6targetE1EEEvSF_
                                        ; -- End function
	.section	.AMDGPU.csdata,"",@progbits
; Kernel info:
; codeLenInByte = 360
; NumSgprs: 12
; NumVgprs: 20
; NumAgprs: 0
; TotalNumVgprs: 20
; ScratchSize: 0
; MemoryBound: 0
; FloatMode: 240
; IeeeMode: 1
; LDSByteSize: 0 bytes/workgroup (compile time only)
; SGPRBlocks: 1
; VGPRBlocks: 2
; NumSGPRsForWavesPerEU: 12
; NumVGPRsForWavesPerEU: 20
; AccumOffset: 20
; Occupancy: 8
; WaveLimiterHint : 0
; COMPUTE_PGM_RSRC2:SCRATCH_EN: 0
; COMPUTE_PGM_RSRC2:USER_SGPR: 6
; COMPUTE_PGM_RSRC2:TRAP_HANDLER: 0
; COMPUTE_PGM_RSRC2:TGID_X_EN: 1
; COMPUTE_PGM_RSRC2:TGID_Y_EN: 0
; COMPUTE_PGM_RSRC2:TGID_Z_EN: 0
; COMPUTE_PGM_RSRC2:TIDIG_COMP_CNT: 0
; COMPUTE_PGM_RSRC3_GFX90A:ACCUM_OFFSET: 4
; COMPUTE_PGM_RSRC3_GFX90A:TG_SPLIT: 0
	.section	.text._ZN7rocprim17ROCPRIM_400000_NS6detail17trampoline_kernelINS0_14default_configENS1_38merge_sort_block_merge_config_selectorIyNS0_10empty_typeEEEZZNS1_27merge_sort_block_merge_implIS3_PyPS5_jNS1_19radix_merge_compareILb1ELb0EyNS0_19identity_decomposerEEEEE10hipError_tT0_T1_T2_jT3_P12ihipStream_tbPNSt15iterator_traitsISE_E10value_typeEPNSK_ISF_E10value_typeEPSG_NS1_7vsmem_tEENKUlT_SE_SF_SG_E_clIS8_S8_S9_S9_EESD_ST_SE_SF_SG_EUlST_E_NS1_11comp_targetILNS1_3genE3ELNS1_11target_archE908ELNS1_3gpuE7ELNS1_3repE0EEENS1_48merge_mergepath_partition_config_static_selectorELNS0_4arch9wavefront6targetE1EEEvSF_,"axG",@progbits,_ZN7rocprim17ROCPRIM_400000_NS6detail17trampoline_kernelINS0_14default_configENS1_38merge_sort_block_merge_config_selectorIyNS0_10empty_typeEEEZZNS1_27merge_sort_block_merge_implIS3_PyPS5_jNS1_19radix_merge_compareILb1ELb0EyNS0_19identity_decomposerEEEEE10hipError_tT0_T1_T2_jT3_P12ihipStream_tbPNSt15iterator_traitsISE_E10value_typeEPNSK_ISF_E10value_typeEPSG_NS1_7vsmem_tEENKUlT_SE_SF_SG_E_clIS8_S8_S9_S9_EESD_ST_SE_SF_SG_EUlST_E_NS1_11comp_targetILNS1_3genE3ELNS1_11target_archE908ELNS1_3gpuE7ELNS1_3repE0EEENS1_48merge_mergepath_partition_config_static_selectorELNS0_4arch9wavefront6targetE1EEEvSF_,comdat
	.protected	_ZN7rocprim17ROCPRIM_400000_NS6detail17trampoline_kernelINS0_14default_configENS1_38merge_sort_block_merge_config_selectorIyNS0_10empty_typeEEEZZNS1_27merge_sort_block_merge_implIS3_PyPS5_jNS1_19radix_merge_compareILb1ELb0EyNS0_19identity_decomposerEEEEE10hipError_tT0_T1_T2_jT3_P12ihipStream_tbPNSt15iterator_traitsISE_E10value_typeEPNSK_ISF_E10value_typeEPSG_NS1_7vsmem_tEENKUlT_SE_SF_SG_E_clIS8_S8_S9_S9_EESD_ST_SE_SF_SG_EUlST_E_NS1_11comp_targetILNS1_3genE3ELNS1_11target_archE908ELNS1_3gpuE7ELNS1_3repE0EEENS1_48merge_mergepath_partition_config_static_selectorELNS0_4arch9wavefront6targetE1EEEvSF_ ; -- Begin function _ZN7rocprim17ROCPRIM_400000_NS6detail17trampoline_kernelINS0_14default_configENS1_38merge_sort_block_merge_config_selectorIyNS0_10empty_typeEEEZZNS1_27merge_sort_block_merge_implIS3_PyPS5_jNS1_19radix_merge_compareILb1ELb0EyNS0_19identity_decomposerEEEEE10hipError_tT0_T1_T2_jT3_P12ihipStream_tbPNSt15iterator_traitsISE_E10value_typeEPNSK_ISF_E10value_typeEPSG_NS1_7vsmem_tEENKUlT_SE_SF_SG_E_clIS8_S8_S9_S9_EESD_ST_SE_SF_SG_EUlST_E_NS1_11comp_targetILNS1_3genE3ELNS1_11target_archE908ELNS1_3gpuE7ELNS1_3repE0EEENS1_48merge_mergepath_partition_config_static_selectorELNS0_4arch9wavefront6targetE1EEEvSF_
	.globl	_ZN7rocprim17ROCPRIM_400000_NS6detail17trampoline_kernelINS0_14default_configENS1_38merge_sort_block_merge_config_selectorIyNS0_10empty_typeEEEZZNS1_27merge_sort_block_merge_implIS3_PyPS5_jNS1_19radix_merge_compareILb1ELb0EyNS0_19identity_decomposerEEEEE10hipError_tT0_T1_T2_jT3_P12ihipStream_tbPNSt15iterator_traitsISE_E10value_typeEPNSK_ISF_E10value_typeEPSG_NS1_7vsmem_tEENKUlT_SE_SF_SG_E_clIS8_S8_S9_S9_EESD_ST_SE_SF_SG_EUlST_E_NS1_11comp_targetILNS1_3genE3ELNS1_11target_archE908ELNS1_3gpuE7ELNS1_3repE0EEENS1_48merge_mergepath_partition_config_static_selectorELNS0_4arch9wavefront6targetE1EEEvSF_
	.p2align	8
	.type	_ZN7rocprim17ROCPRIM_400000_NS6detail17trampoline_kernelINS0_14default_configENS1_38merge_sort_block_merge_config_selectorIyNS0_10empty_typeEEEZZNS1_27merge_sort_block_merge_implIS3_PyPS5_jNS1_19radix_merge_compareILb1ELb0EyNS0_19identity_decomposerEEEEE10hipError_tT0_T1_T2_jT3_P12ihipStream_tbPNSt15iterator_traitsISE_E10value_typeEPNSK_ISF_E10value_typeEPSG_NS1_7vsmem_tEENKUlT_SE_SF_SG_E_clIS8_S8_S9_S9_EESD_ST_SE_SF_SG_EUlST_E_NS1_11comp_targetILNS1_3genE3ELNS1_11target_archE908ELNS1_3gpuE7ELNS1_3repE0EEENS1_48merge_mergepath_partition_config_static_selectorELNS0_4arch9wavefront6targetE1EEEvSF_,@function
_ZN7rocprim17ROCPRIM_400000_NS6detail17trampoline_kernelINS0_14default_configENS1_38merge_sort_block_merge_config_selectorIyNS0_10empty_typeEEEZZNS1_27merge_sort_block_merge_implIS3_PyPS5_jNS1_19radix_merge_compareILb1ELb0EyNS0_19identity_decomposerEEEEE10hipError_tT0_T1_T2_jT3_P12ihipStream_tbPNSt15iterator_traitsISE_E10value_typeEPNSK_ISF_E10value_typeEPSG_NS1_7vsmem_tEENKUlT_SE_SF_SG_E_clIS8_S8_S9_S9_EESD_ST_SE_SF_SG_EUlST_E_NS1_11comp_targetILNS1_3genE3ELNS1_11target_archE908ELNS1_3gpuE7ELNS1_3repE0EEENS1_48merge_mergepath_partition_config_static_selectorELNS0_4arch9wavefront6targetE1EEEvSF_: ; @_ZN7rocprim17ROCPRIM_400000_NS6detail17trampoline_kernelINS0_14default_configENS1_38merge_sort_block_merge_config_selectorIyNS0_10empty_typeEEEZZNS1_27merge_sort_block_merge_implIS3_PyPS5_jNS1_19radix_merge_compareILb1ELb0EyNS0_19identity_decomposerEEEEE10hipError_tT0_T1_T2_jT3_P12ihipStream_tbPNSt15iterator_traitsISE_E10value_typeEPNSK_ISF_E10value_typeEPSG_NS1_7vsmem_tEENKUlT_SE_SF_SG_E_clIS8_S8_S9_S9_EESD_ST_SE_SF_SG_EUlST_E_NS1_11comp_targetILNS1_3genE3ELNS1_11target_archE908ELNS1_3gpuE7ELNS1_3repE0EEENS1_48merge_mergepath_partition_config_static_selectorELNS0_4arch9wavefront6targetE1EEEvSF_
; %bb.0:
	.section	.rodata,"a",@progbits
	.p2align	6, 0x0
	.amdhsa_kernel _ZN7rocprim17ROCPRIM_400000_NS6detail17trampoline_kernelINS0_14default_configENS1_38merge_sort_block_merge_config_selectorIyNS0_10empty_typeEEEZZNS1_27merge_sort_block_merge_implIS3_PyPS5_jNS1_19radix_merge_compareILb1ELb0EyNS0_19identity_decomposerEEEEE10hipError_tT0_T1_T2_jT3_P12ihipStream_tbPNSt15iterator_traitsISE_E10value_typeEPNSK_ISF_E10value_typeEPSG_NS1_7vsmem_tEENKUlT_SE_SF_SG_E_clIS8_S8_S9_S9_EESD_ST_SE_SF_SG_EUlST_E_NS1_11comp_targetILNS1_3genE3ELNS1_11target_archE908ELNS1_3gpuE7ELNS1_3repE0EEENS1_48merge_mergepath_partition_config_static_selectorELNS0_4arch9wavefront6targetE1EEEvSF_
		.amdhsa_group_segment_fixed_size 0
		.amdhsa_private_segment_fixed_size 0
		.amdhsa_kernarg_size 40
		.amdhsa_user_sgpr_count 6
		.amdhsa_user_sgpr_private_segment_buffer 1
		.amdhsa_user_sgpr_dispatch_ptr 0
		.amdhsa_user_sgpr_queue_ptr 0
		.amdhsa_user_sgpr_kernarg_segment_ptr 1
		.amdhsa_user_sgpr_dispatch_id 0
		.amdhsa_user_sgpr_flat_scratch_init 0
		.amdhsa_user_sgpr_kernarg_preload_length 0
		.amdhsa_user_sgpr_kernarg_preload_offset 0
		.amdhsa_user_sgpr_private_segment_size 0
		.amdhsa_uses_dynamic_stack 0
		.amdhsa_system_sgpr_private_segment_wavefront_offset 0
		.amdhsa_system_sgpr_workgroup_id_x 1
		.amdhsa_system_sgpr_workgroup_id_y 0
		.amdhsa_system_sgpr_workgroup_id_z 0
		.amdhsa_system_sgpr_workgroup_info 0
		.amdhsa_system_vgpr_workitem_id 0
		.amdhsa_next_free_vgpr 1
		.amdhsa_next_free_sgpr 0
		.amdhsa_accum_offset 4
		.amdhsa_reserve_vcc 0
		.amdhsa_reserve_flat_scratch 0
		.amdhsa_float_round_mode_32 0
		.amdhsa_float_round_mode_16_64 0
		.amdhsa_float_denorm_mode_32 3
		.amdhsa_float_denorm_mode_16_64 3
		.amdhsa_dx10_clamp 1
		.amdhsa_ieee_mode 1
		.amdhsa_fp16_overflow 0
		.amdhsa_tg_split 0
		.amdhsa_exception_fp_ieee_invalid_op 0
		.amdhsa_exception_fp_denorm_src 0
		.amdhsa_exception_fp_ieee_div_zero 0
		.amdhsa_exception_fp_ieee_overflow 0
		.amdhsa_exception_fp_ieee_underflow 0
		.amdhsa_exception_fp_ieee_inexact 0
		.amdhsa_exception_int_div_zero 0
	.end_amdhsa_kernel
	.section	.text._ZN7rocprim17ROCPRIM_400000_NS6detail17trampoline_kernelINS0_14default_configENS1_38merge_sort_block_merge_config_selectorIyNS0_10empty_typeEEEZZNS1_27merge_sort_block_merge_implIS3_PyPS5_jNS1_19radix_merge_compareILb1ELb0EyNS0_19identity_decomposerEEEEE10hipError_tT0_T1_T2_jT3_P12ihipStream_tbPNSt15iterator_traitsISE_E10value_typeEPNSK_ISF_E10value_typeEPSG_NS1_7vsmem_tEENKUlT_SE_SF_SG_E_clIS8_S8_S9_S9_EESD_ST_SE_SF_SG_EUlST_E_NS1_11comp_targetILNS1_3genE3ELNS1_11target_archE908ELNS1_3gpuE7ELNS1_3repE0EEENS1_48merge_mergepath_partition_config_static_selectorELNS0_4arch9wavefront6targetE1EEEvSF_,"axG",@progbits,_ZN7rocprim17ROCPRIM_400000_NS6detail17trampoline_kernelINS0_14default_configENS1_38merge_sort_block_merge_config_selectorIyNS0_10empty_typeEEEZZNS1_27merge_sort_block_merge_implIS3_PyPS5_jNS1_19radix_merge_compareILb1ELb0EyNS0_19identity_decomposerEEEEE10hipError_tT0_T1_T2_jT3_P12ihipStream_tbPNSt15iterator_traitsISE_E10value_typeEPNSK_ISF_E10value_typeEPSG_NS1_7vsmem_tEENKUlT_SE_SF_SG_E_clIS8_S8_S9_S9_EESD_ST_SE_SF_SG_EUlST_E_NS1_11comp_targetILNS1_3genE3ELNS1_11target_archE908ELNS1_3gpuE7ELNS1_3repE0EEENS1_48merge_mergepath_partition_config_static_selectorELNS0_4arch9wavefront6targetE1EEEvSF_,comdat
.Lfunc_end2415:
	.size	_ZN7rocprim17ROCPRIM_400000_NS6detail17trampoline_kernelINS0_14default_configENS1_38merge_sort_block_merge_config_selectorIyNS0_10empty_typeEEEZZNS1_27merge_sort_block_merge_implIS3_PyPS5_jNS1_19radix_merge_compareILb1ELb0EyNS0_19identity_decomposerEEEEE10hipError_tT0_T1_T2_jT3_P12ihipStream_tbPNSt15iterator_traitsISE_E10value_typeEPNSK_ISF_E10value_typeEPSG_NS1_7vsmem_tEENKUlT_SE_SF_SG_E_clIS8_S8_S9_S9_EESD_ST_SE_SF_SG_EUlST_E_NS1_11comp_targetILNS1_3genE3ELNS1_11target_archE908ELNS1_3gpuE7ELNS1_3repE0EEENS1_48merge_mergepath_partition_config_static_selectorELNS0_4arch9wavefront6targetE1EEEvSF_, .Lfunc_end2415-_ZN7rocprim17ROCPRIM_400000_NS6detail17trampoline_kernelINS0_14default_configENS1_38merge_sort_block_merge_config_selectorIyNS0_10empty_typeEEEZZNS1_27merge_sort_block_merge_implIS3_PyPS5_jNS1_19radix_merge_compareILb1ELb0EyNS0_19identity_decomposerEEEEE10hipError_tT0_T1_T2_jT3_P12ihipStream_tbPNSt15iterator_traitsISE_E10value_typeEPNSK_ISF_E10value_typeEPSG_NS1_7vsmem_tEENKUlT_SE_SF_SG_E_clIS8_S8_S9_S9_EESD_ST_SE_SF_SG_EUlST_E_NS1_11comp_targetILNS1_3genE3ELNS1_11target_archE908ELNS1_3gpuE7ELNS1_3repE0EEENS1_48merge_mergepath_partition_config_static_selectorELNS0_4arch9wavefront6targetE1EEEvSF_
                                        ; -- End function
	.section	.AMDGPU.csdata,"",@progbits
; Kernel info:
; codeLenInByte = 0
; NumSgprs: 4
; NumVgprs: 0
; NumAgprs: 0
; TotalNumVgprs: 0
; ScratchSize: 0
; MemoryBound: 0
; FloatMode: 240
; IeeeMode: 1
; LDSByteSize: 0 bytes/workgroup (compile time only)
; SGPRBlocks: 0
; VGPRBlocks: 0
; NumSGPRsForWavesPerEU: 4
; NumVGPRsForWavesPerEU: 1
; AccumOffset: 4
; Occupancy: 8
; WaveLimiterHint : 0
; COMPUTE_PGM_RSRC2:SCRATCH_EN: 0
; COMPUTE_PGM_RSRC2:USER_SGPR: 6
; COMPUTE_PGM_RSRC2:TRAP_HANDLER: 0
; COMPUTE_PGM_RSRC2:TGID_X_EN: 1
; COMPUTE_PGM_RSRC2:TGID_Y_EN: 0
; COMPUTE_PGM_RSRC2:TGID_Z_EN: 0
; COMPUTE_PGM_RSRC2:TIDIG_COMP_CNT: 0
; COMPUTE_PGM_RSRC3_GFX90A:ACCUM_OFFSET: 0
; COMPUTE_PGM_RSRC3_GFX90A:TG_SPLIT: 0
	.section	.text._ZN7rocprim17ROCPRIM_400000_NS6detail17trampoline_kernelINS0_14default_configENS1_38merge_sort_block_merge_config_selectorIyNS0_10empty_typeEEEZZNS1_27merge_sort_block_merge_implIS3_PyPS5_jNS1_19radix_merge_compareILb1ELb0EyNS0_19identity_decomposerEEEEE10hipError_tT0_T1_T2_jT3_P12ihipStream_tbPNSt15iterator_traitsISE_E10value_typeEPNSK_ISF_E10value_typeEPSG_NS1_7vsmem_tEENKUlT_SE_SF_SG_E_clIS8_S8_S9_S9_EESD_ST_SE_SF_SG_EUlST_E_NS1_11comp_targetILNS1_3genE2ELNS1_11target_archE906ELNS1_3gpuE6ELNS1_3repE0EEENS1_48merge_mergepath_partition_config_static_selectorELNS0_4arch9wavefront6targetE1EEEvSF_,"axG",@progbits,_ZN7rocprim17ROCPRIM_400000_NS6detail17trampoline_kernelINS0_14default_configENS1_38merge_sort_block_merge_config_selectorIyNS0_10empty_typeEEEZZNS1_27merge_sort_block_merge_implIS3_PyPS5_jNS1_19radix_merge_compareILb1ELb0EyNS0_19identity_decomposerEEEEE10hipError_tT0_T1_T2_jT3_P12ihipStream_tbPNSt15iterator_traitsISE_E10value_typeEPNSK_ISF_E10value_typeEPSG_NS1_7vsmem_tEENKUlT_SE_SF_SG_E_clIS8_S8_S9_S9_EESD_ST_SE_SF_SG_EUlST_E_NS1_11comp_targetILNS1_3genE2ELNS1_11target_archE906ELNS1_3gpuE6ELNS1_3repE0EEENS1_48merge_mergepath_partition_config_static_selectorELNS0_4arch9wavefront6targetE1EEEvSF_,comdat
	.protected	_ZN7rocprim17ROCPRIM_400000_NS6detail17trampoline_kernelINS0_14default_configENS1_38merge_sort_block_merge_config_selectorIyNS0_10empty_typeEEEZZNS1_27merge_sort_block_merge_implIS3_PyPS5_jNS1_19radix_merge_compareILb1ELb0EyNS0_19identity_decomposerEEEEE10hipError_tT0_T1_T2_jT3_P12ihipStream_tbPNSt15iterator_traitsISE_E10value_typeEPNSK_ISF_E10value_typeEPSG_NS1_7vsmem_tEENKUlT_SE_SF_SG_E_clIS8_S8_S9_S9_EESD_ST_SE_SF_SG_EUlST_E_NS1_11comp_targetILNS1_3genE2ELNS1_11target_archE906ELNS1_3gpuE6ELNS1_3repE0EEENS1_48merge_mergepath_partition_config_static_selectorELNS0_4arch9wavefront6targetE1EEEvSF_ ; -- Begin function _ZN7rocprim17ROCPRIM_400000_NS6detail17trampoline_kernelINS0_14default_configENS1_38merge_sort_block_merge_config_selectorIyNS0_10empty_typeEEEZZNS1_27merge_sort_block_merge_implIS3_PyPS5_jNS1_19radix_merge_compareILb1ELb0EyNS0_19identity_decomposerEEEEE10hipError_tT0_T1_T2_jT3_P12ihipStream_tbPNSt15iterator_traitsISE_E10value_typeEPNSK_ISF_E10value_typeEPSG_NS1_7vsmem_tEENKUlT_SE_SF_SG_E_clIS8_S8_S9_S9_EESD_ST_SE_SF_SG_EUlST_E_NS1_11comp_targetILNS1_3genE2ELNS1_11target_archE906ELNS1_3gpuE6ELNS1_3repE0EEENS1_48merge_mergepath_partition_config_static_selectorELNS0_4arch9wavefront6targetE1EEEvSF_
	.globl	_ZN7rocprim17ROCPRIM_400000_NS6detail17trampoline_kernelINS0_14default_configENS1_38merge_sort_block_merge_config_selectorIyNS0_10empty_typeEEEZZNS1_27merge_sort_block_merge_implIS3_PyPS5_jNS1_19radix_merge_compareILb1ELb0EyNS0_19identity_decomposerEEEEE10hipError_tT0_T1_T2_jT3_P12ihipStream_tbPNSt15iterator_traitsISE_E10value_typeEPNSK_ISF_E10value_typeEPSG_NS1_7vsmem_tEENKUlT_SE_SF_SG_E_clIS8_S8_S9_S9_EESD_ST_SE_SF_SG_EUlST_E_NS1_11comp_targetILNS1_3genE2ELNS1_11target_archE906ELNS1_3gpuE6ELNS1_3repE0EEENS1_48merge_mergepath_partition_config_static_selectorELNS0_4arch9wavefront6targetE1EEEvSF_
	.p2align	8
	.type	_ZN7rocprim17ROCPRIM_400000_NS6detail17trampoline_kernelINS0_14default_configENS1_38merge_sort_block_merge_config_selectorIyNS0_10empty_typeEEEZZNS1_27merge_sort_block_merge_implIS3_PyPS5_jNS1_19radix_merge_compareILb1ELb0EyNS0_19identity_decomposerEEEEE10hipError_tT0_T1_T2_jT3_P12ihipStream_tbPNSt15iterator_traitsISE_E10value_typeEPNSK_ISF_E10value_typeEPSG_NS1_7vsmem_tEENKUlT_SE_SF_SG_E_clIS8_S8_S9_S9_EESD_ST_SE_SF_SG_EUlST_E_NS1_11comp_targetILNS1_3genE2ELNS1_11target_archE906ELNS1_3gpuE6ELNS1_3repE0EEENS1_48merge_mergepath_partition_config_static_selectorELNS0_4arch9wavefront6targetE1EEEvSF_,@function
_ZN7rocprim17ROCPRIM_400000_NS6detail17trampoline_kernelINS0_14default_configENS1_38merge_sort_block_merge_config_selectorIyNS0_10empty_typeEEEZZNS1_27merge_sort_block_merge_implIS3_PyPS5_jNS1_19radix_merge_compareILb1ELb0EyNS0_19identity_decomposerEEEEE10hipError_tT0_T1_T2_jT3_P12ihipStream_tbPNSt15iterator_traitsISE_E10value_typeEPNSK_ISF_E10value_typeEPSG_NS1_7vsmem_tEENKUlT_SE_SF_SG_E_clIS8_S8_S9_S9_EESD_ST_SE_SF_SG_EUlST_E_NS1_11comp_targetILNS1_3genE2ELNS1_11target_archE906ELNS1_3gpuE6ELNS1_3repE0EEENS1_48merge_mergepath_partition_config_static_selectorELNS0_4arch9wavefront6targetE1EEEvSF_: ; @_ZN7rocprim17ROCPRIM_400000_NS6detail17trampoline_kernelINS0_14default_configENS1_38merge_sort_block_merge_config_selectorIyNS0_10empty_typeEEEZZNS1_27merge_sort_block_merge_implIS3_PyPS5_jNS1_19radix_merge_compareILb1ELb0EyNS0_19identity_decomposerEEEEE10hipError_tT0_T1_T2_jT3_P12ihipStream_tbPNSt15iterator_traitsISE_E10value_typeEPNSK_ISF_E10value_typeEPSG_NS1_7vsmem_tEENKUlT_SE_SF_SG_E_clIS8_S8_S9_S9_EESD_ST_SE_SF_SG_EUlST_E_NS1_11comp_targetILNS1_3genE2ELNS1_11target_archE906ELNS1_3gpuE6ELNS1_3repE0EEENS1_48merge_mergepath_partition_config_static_selectorELNS0_4arch9wavefront6targetE1EEEvSF_
; %bb.0:
	.section	.rodata,"a",@progbits
	.p2align	6, 0x0
	.amdhsa_kernel _ZN7rocprim17ROCPRIM_400000_NS6detail17trampoline_kernelINS0_14default_configENS1_38merge_sort_block_merge_config_selectorIyNS0_10empty_typeEEEZZNS1_27merge_sort_block_merge_implIS3_PyPS5_jNS1_19radix_merge_compareILb1ELb0EyNS0_19identity_decomposerEEEEE10hipError_tT0_T1_T2_jT3_P12ihipStream_tbPNSt15iterator_traitsISE_E10value_typeEPNSK_ISF_E10value_typeEPSG_NS1_7vsmem_tEENKUlT_SE_SF_SG_E_clIS8_S8_S9_S9_EESD_ST_SE_SF_SG_EUlST_E_NS1_11comp_targetILNS1_3genE2ELNS1_11target_archE906ELNS1_3gpuE6ELNS1_3repE0EEENS1_48merge_mergepath_partition_config_static_selectorELNS0_4arch9wavefront6targetE1EEEvSF_
		.amdhsa_group_segment_fixed_size 0
		.amdhsa_private_segment_fixed_size 0
		.amdhsa_kernarg_size 40
		.amdhsa_user_sgpr_count 6
		.amdhsa_user_sgpr_private_segment_buffer 1
		.amdhsa_user_sgpr_dispatch_ptr 0
		.amdhsa_user_sgpr_queue_ptr 0
		.amdhsa_user_sgpr_kernarg_segment_ptr 1
		.amdhsa_user_sgpr_dispatch_id 0
		.amdhsa_user_sgpr_flat_scratch_init 0
		.amdhsa_user_sgpr_kernarg_preload_length 0
		.amdhsa_user_sgpr_kernarg_preload_offset 0
		.amdhsa_user_sgpr_private_segment_size 0
		.amdhsa_uses_dynamic_stack 0
		.amdhsa_system_sgpr_private_segment_wavefront_offset 0
		.amdhsa_system_sgpr_workgroup_id_x 1
		.amdhsa_system_sgpr_workgroup_id_y 0
		.amdhsa_system_sgpr_workgroup_id_z 0
		.amdhsa_system_sgpr_workgroup_info 0
		.amdhsa_system_vgpr_workitem_id 0
		.amdhsa_next_free_vgpr 1
		.amdhsa_next_free_sgpr 0
		.amdhsa_accum_offset 4
		.amdhsa_reserve_vcc 0
		.amdhsa_reserve_flat_scratch 0
		.amdhsa_float_round_mode_32 0
		.amdhsa_float_round_mode_16_64 0
		.amdhsa_float_denorm_mode_32 3
		.amdhsa_float_denorm_mode_16_64 3
		.amdhsa_dx10_clamp 1
		.amdhsa_ieee_mode 1
		.amdhsa_fp16_overflow 0
		.amdhsa_tg_split 0
		.amdhsa_exception_fp_ieee_invalid_op 0
		.amdhsa_exception_fp_denorm_src 0
		.amdhsa_exception_fp_ieee_div_zero 0
		.amdhsa_exception_fp_ieee_overflow 0
		.amdhsa_exception_fp_ieee_underflow 0
		.amdhsa_exception_fp_ieee_inexact 0
		.amdhsa_exception_int_div_zero 0
	.end_amdhsa_kernel
	.section	.text._ZN7rocprim17ROCPRIM_400000_NS6detail17trampoline_kernelINS0_14default_configENS1_38merge_sort_block_merge_config_selectorIyNS0_10empty_typeEEEZZNS1_27merge_sort_block_merge_implIS3_PyPS5_jNS1_19radix_merge_compareILb1ELb0EyNS0_19identity_decomposerEEEEE10hipError_tT0_T1_T2_jT3_P12ihipStream_tbPNSt15iterator_traitsISE_E10value_typeEPNSK_ISF_E10value_typeEPSG_NS1_7vsmem_tEENKUlT_SE_SF_SG_E_clIS8_S8_S9_S9_EESD_ST_SE_SF_SG_EUlST_E_NS1_11comp_targetILNS1_3genE2ELNS1_11target_archE906ELNS1_3gpuE6ELNS1_3repE0EEENS1_48merge_mergepath_partition_config_static_selectorELNS0_4arch9wavefront6targetE1EEEvSF_,"axG",@progbits,_ZN7rocprim17ROCPRIM_400000_NS6detail17trampoline_kernelINS0_14default_configENS1_38merge_sort_block_merge_config_selectorIyNS0_10empty_typeEEEZZNS1_27merge_sort_block_merge_implIS3_PyPS5_jNS1_19radix_merge_compareILb1ELb0EyNS0_19identity_decomposerEEEEE10hipError_tT0_T1_T2_jT3_P12ihipStream_tbPNSt15iterator_traitsISE_E10value_typeEPNSK_ISF_E10value_typeEPSG_NS1_7vsmem_tEENKUlT_SE_SF_SG_E_clIS8_S8_S9_S9_EESD_ST_SE_SF_SG_EUlST_E_NS1_11comp_targetILNS1_3genE2ELNS1_11target_archE906ELNS1_3gpuE6ELNS1_3repE0EEENS1_48merge_mergepath_partition_config_static_selectorELNS0_4arch9wavefront6targetE1EEEvSF_,comdat
.Lfunc_end2416:
	.size	_ZN7rocprim17ROCPRIM_400000_NS6detail17trampoline_kernelINS0_14default_configENS1_38merge_sort_block_merge_config_selectorIyNS0_10empty_typeEEEZZNS1_27merge_sort_block_merge_implIS3_PyPS5_jNS1_19radix_merge_compareILb1ELb0EyNS0_19identity_decomposerEEEEE10hipError_tT0_T1_T2_jT3_P12ihipStream_tbPNSt15iterator_traitsISE_E10value_typeEPNSK_ISF_E10value_typeEPSG_NS1_7vsmem_tEENKUlT_SE_SF_SG_E_clIS8_S8_S9_S9_EESD_ST_SE_SF_SG_EUlST_E_NS1_11comp_targetILNS1_3genE2ELNS1_11target_archE906ELNS1_3gpuE6ELNS1_3repE0EEENS1_48merge_mergepath_partition_config_static_selectorELNS0_4arch9wavefront6targetE1EEEvSF_, .Lfunc_end2416-_ZN7rocprim17ROCPRIM_400000_NS6detail17trampoline_kernelINS0_14default_configENS1_38merge_sort_block_merge_config_selectorIyNS0_10empty_typeEEEZZNS1_27merge_sort_block_merge_implIS3_PyPS5_jNS1_19radix_merge_compareILb1ELb0EyNS0_19identity_decomposerEEEEE10hipError_tT0_T1_T2_jT3_P12ihipStream_tbPNSt15iterator_traitsISE_E10value_typeEPNSK_ISF_E10value_typeEPSG_NS1_7vsmem_tEENKUlT_SE_SF_SG_E_clIS8_S8_S9_S9_EESD_ST_SE_SF_SG_EUlST_E_NS1_11comp_targetILNS1_3genE2ELNS1_11target_archE906ELNS1_3gpuE6ELNS1_3repE0EEENS1_48merge_mergepath_partition_config_static_selectorELNS0_4arch9wavefront6targetE1EEEvSF_
                                        ; -- End function
	.section	.AMDGPU.csdata,"",@progbits
; Kernel info:
; codeLenInByte = 0
; NumSgprs: 4
; NumVgprs: 0
; NumAgprs: 0
; TotalNumVgprs: 0
; ScratchSize: 0
; MemoryBound: 0
; FloatMode: 240
; IeeeMode: 1
; LDSByteSize: 0 bytes/workgroup (compile time only)
; SGPRBlocks: 0
; VGPRBlocks: 0
; NumSGPRsForWavesPerEU: 4
; NumVGPRsForWavesPerEU: 1
; AccumOffset: 4
; Occupancy: 8
; WaveLimiterHint : 0
; COMPUTE_PGM_RSRC2:SCRATCH_EN: 0
; COMPUTE_PGM_RSRC2:USER_SGPR: 6
; COMPUTE_PGM_RSRC2:TRAP_HANDLER: 0
; COMPUTE_PGM_RSRC2:TGID_X_EN: 1
; COMPUTE_PGM_RSRC2:TGID_Y_EN: 0
; COMPUTE_PGM_RSRC2:TGID_Z_EN: 0
; COMPUTE_PGM_RSRC2:TIDIG_COMP_CNT: 0
; COMPUTE_PGM_RSRC3_GFX90A:ACCUM_OFFSET: 0
; COMPUTE_PGM_RSRC3_GFX90A:TG_SPLIT: 0
	.section	.text._ZN7rocprim17ROCPRIM_400000_NS6detail17trampoline_kernelINS0_14default_configENS1_38merge_sort_block_merge_config_selectorIyNS0_10empty_typeEEEZZNS1_27merge_sort_block_merge_implIS3_PyPS5_jNS1_19radix_merge_compareILb1ELb0EyNS0_19identity_decomposerEEEEE10hipError_tT0_T1_T2_jT3_P12ihipStream_tbPNSt15iterator_traitsISE_E10value_typeEPNSK_ISF_E10value_typeEPSG_NS1_7vsmem_tEENKUlT_SE_SF_SG_E_clIS8_S8_S9_S9_EESD_ST_SE_SF_SG_EUlST_E_NS1_11comp_targetILNS1_3genE9ELNS1_11target_archE1100ELNS1_3gpuE3ELNS1_3repE0EEENS1_48merge_mergepath_partition_config_static_selectorELNS0_4arch9wavefront6targetE1EEEvSF_,"axG",@progbits,_ZN7rocprim17ROCPRIM_400000_NS6detail17trampoline_kernelINS0_14default_configENS1_38merge_sort_block_merge_config_selectorIyNS0_10empty_typeEEEZZNS1_27merge_sort_block_merge_implIS3_PyPS5_jNS1_19radix_merge_compareILb1ELb0EyNS0_19identity_decomposerEEEEE10hipError_tT0_T1_T2_jT3_P12ihipStream_tbPNSt15iterator_traitsISE_E10value_typeEPNSK_ISF_E10value_typeEPSG_NS1_7vsmem_tEENKUlT_SE_SF_SG_E_clIS8_S8_S9_S9_EESD_ST_SE_SF_SG_EUlST_E_NS1_11comp_targetILNS1_3genE9ELNS1_11target_archE1100ELNS1_3gpuE3ELNS1_3repE0EEENS1_48merge_mergepath_partition_config_static_selectorELNS0_4arch9wavefront6targetE1EEEvSF_,comdat
	.protected	_ZN7rocprim17ROCPRIM_400000_NS6detail17trampoline_kernelINS0_14default_configENS1_38merge_sort_block_merge_config_selectorIyNS0_10empty_typeEEEZZNS1_27merge_sort_block_merge_implIS3_PyPS5_jNS1_19radix_merge_compareILb1ELb0EyNS0_19identity_decomposerEEEEE10hipError_tT0_T1_T2_jT3_P12ihipStream_tbPNSt15iterator_traitsISE_E10value_typeEPNSK_ISF_E10value_typeEPSG_NS1_7vsmem_tEENKUlT_SE_SF_SG_E_clIS8_S8_S9_S9_EESD_ST_SE_SF_SG_EUlST_E_NS1_11comp_targetILNS1_3genE9ELNS1_11target_archE1100ELNS1_3gpuE3ELNS1_3repE0EEENS1_48merge_mergepath_partition_config_static_selectorELNS0_4arch9wavefront6targetE1EEEvSF_ ; -- Begin function _ZN7rocprim17ROCPRIM_400000_NS6detail17trampoline_kernelINS0_14default_configENS1_38merge_sort_block_merge_config_selectorIyNS0_10empty_typeEEEZZNS1_27merge_sort_block_merge_implIS3_PyPS5_jNS1_19radix_merge_compareILb1ELb0EyNS0_19identity_decomposerEEEEE10hipError_tT0_T1_T2_jT3_P12ihipStream_tbPNSt15iterator_traitsISE_E10value_typeEPNSK_ISF_E10value_typeEPSG_NS1_7vsmem_tEENKUlT_SE_SF_SG_E_clIS8_S8_S9_S9_EESD_ST_SE_SF_SG_EUlST_E_NS1_11comp_targetILNS1_3genE9ELNS1_11target_archE1100ELNS1_3gpuE3ELNS1_3repE0EEENS1_48merge_mergepath_partition_config_static_selectorELNS0_4arch9wavefront6targetE1EEEvSF_
	.globl	_ZN7rocprim17ROCPRIM_400000_NS6detail17trampoline_kernelINS0_14default_configENS1_38merge_sort_block_merge_config_selectorIyNS0_10empty_typeEEEZZNS1_27merge_sort_block_merge_implIS3_PyPS5_jNS1_19radix_merge_compareILb1ELb0EyNS0_19identity_decomposerEEEEE10hipError_tT0_T1_T2_jT3_P12ihipStream_tbPNSt15iterator_traitsISE_E10value_typeEPNSK_ISF_E10value_typeEPSG_NS1_7vsmem_tEENKUlT_SE_SF_SG_E_clIS8_S8_S9_S9_EESD_ST_SE_SF_SG_EUlST_E_NS1_11comp_targetILNS1_3genE9ELNS1_11target_archE1100ELNS1_3gpuE3ELNS1_3repE0EEENS1_48merge_mergepath_partition_config_static_selectorELNS0_4arch9wavefront6targetE1EEEvSF_
	.p2align	8
	.type	_ZN7rocprim17ROCPRIM_400000_NS6detail17trampoline_kernelINS0_14default_configENS1_38merge_sort_block_merge_config_selectorIyNS0_10empty_typeEEEZZNS1_27merge_sort_block_merge_implIS3_PyPS5_jNS1_19radix_merge_compareILb1ELb0EyNS0_19identity_decomposerEEEEE10hipError_tT0_T1_T2_jT3_P12ihipStream_tbPNSt15iterator_traitsISE_E10value_typeEPNSK_ISF_E10value_typeEPSG_NS1_7vsmem_tEENKUlT_SE_SF_SG_E_clIS8_S8_S9_S9_EESD_ST_SE_SF_SG_EUlST_E_NS1_11comp_targetILNS1_3genE9ELNS1_11target_archE1100ELNS1_3gpuE3ELNS1_3repE0EEENS1_48merge_mergepath_partition_config_static_selectorELNS0_4arch9wavefront6targetE1EEEvSF_,@function
_ZN7rocprim17ROCPRIM_400000_NS6detail17trampoline_kernelINS0_14default_configENS1_38merge_sort_block_merge_config_selectorIyNS0_10empty_typeEEEZZNS1_27merge_sort_block_merge_implIS3_PyPS5_jNS1_19radix_merge_compareILb1ELb0EyNS0_19identity_decomposerEEEEE10hipError_tT0_T1_T2_jT3_P12ihipStream_tbPNSt15iterator_traitsISE_E10value_typeEPNSK_ISF_E10value_typeEPSG_NS1_7vsmem_tEENKUlT_SE_SF_SG_E_clIS8_S8_S9_S9_EESD_ST_SE_SF_SG_EUlST_E_NS1_11comp_targetILNS1_3genE9ELNS1_11target_archE1100ELNS1_3gpuE3ELNS1_3repE0EEENS1_48merge_mergepath_partition_config_static_selectorELNS0_4arch9wavefront6targetE1EEEvSF_: ; @_ZN7rocprim17ROCPRIM_400000_NS6detail17trampoline_kernelINS0_14default_configENS1_38merge_sort_block_merge_config_selectorIyNS0_10empty_typeEEEZZNS1_27merge_sort_block_merge_implIS3_PyPS5_jNS1_19radix_merge_compareILb1ELb0EyNS0_19identity_decomposerEEEEE10hipError_tT0_T1_T2_jT3_P12ihipStream_tbPNSt15iterator_traitsISE_E10value_typeEPNSK_ISF_E10value_typeEPSG_NS1_7vsmem_tEENKUlT_SE_SF_SG_E_clIS8_S8_S9_S9_EESD_ST_SE_SF_SG_EUlST_E_NS1_11comp_targetILNS1_3genE9ELNS1_11target_archE1100ELNS1_3gpuE3ELNS1_3repE0EEENS1_48merge_mergepath_partition_config_static_selectorELNS0_4arch9wavefront6targetE1EEEvSF_
; %bb.0:
	.section	.rodata,"a",@progbits
	.p2align	6, 0x0
	.amdhsa_kernel _ZN7rocprim17ROCPRIM_400000_NS6detail17trampoline_kernelINS0_14default_configENS1_38merge_sort_block_merge_config_selectorIyNS0_10empty_typeEEEZZNS1_27merge_sort_block_merge_implIS3_PyPS5_jNS1_19radix_merge_compareILb1ELb0EyNS0_19identity_decomposerEEEEE10hipError_tT0_T1_T2_jT3_P12ihipStream_tbPNSt15iterator_traitsISE_E10value_typeEPNSK_ISF_E10value_typeEPSG_NS1_7vsmem_tEENKUlT_SE_SF_SG_E_clIS8_S8_S9_S9_EESD_ST_SE_SF_SG_EUlST_E_NS1_11comp_targetILNS1_3genE9ELNS1_11target_archE1100ELNS1_3gpuE3ELNS1_3repE0EEENS1_48merge_mergepath_partition_config_static_selectorELNS0_4arch9wavefront6targetE1EEEvSF_
		.amdhsa_group_segment_fixed_size 0
		.amdhsa_private_segment_fixed_size 0
		.amdhsa_kernarg_size 40
		.amdhsa_user_sgpr_count 6
		.amdhsa_user_sgpr_private_segment_buffer 1
		.amdhsa_user_sgpr_dispatch_ptr 0
		.amdhsa_user_sgpr_queue_ptr 0
		.amdhsa_user_sgpr_kernarg_segment_ptr 1
		.amdhsa_user_sgpr_dispatch_id 0
		.amdhsa_user_sgpr_flat_scratch_init 0
		.amdhsa_user_sgpr_kernarg_preload_length 0
		.amdhsa_user_sgpr_kernarg_preload_offset 0
		.amdhsa_user_sgpr_private_segment_size 0
		.amdhsa_uses_dynamic_stack 0
		.amdhsa_system_sgpr_private_segment_wavefront_offset 0
		.amdhsa_system_sgpr_workgroup_id_x 1
		.amdhsa_system_sgpr_workgroup_id_y 0
		.amdhsa_system_sgpr_workgroup_id_z 0
		.amdhsa_system_sgpr_workgroup_info 0
		.amdhsa_system_vgpr_workitem_id 0
		.amdhsa_next_free_vgpr 1
		.amdhsa_next_free_sgpr 0
		.amdhsa_accum_offset 4
		.amdhsa_reserve_vcc 0
		.amdhsa_reserve_flat_scratch 0
		.amdhsa_float_round_mode_32 0
		.amdhsa_float_round_mode_16_64 0
		.amdhsa_float_denorm_mode_32 3
		.amdhsa_float_denorm_mode_16_64 3
		.amdhsa_dx10_clamp 1
		.amdhsa_ieee_mode 1
		.amdhsa_fp16_overflow 0
		.amdhsa_tg_split 0
		.amdhsa_exception_fp_ieee_invalid_op 0
		.amdhsa_exception_fp_denorm_src 0
		.amdhsa_exception_fp_ieee_div_zero 0
		.amdhsa_exception_fp_ieee_overflow 0
		.amdhsa_exception_fp_ieee_underflow 0
		.amdhsa_exception_fp_ieee_inexact 0
		.amdhsa_exception_int_div_zero 0
	.end_amdhsa_kernel
	.section	.text._ZN7rocprim17ROCPRIM_400000_NS6detail17trampoline_kernelINS0_14default_configENS1_38merge_sort_block_merge_config_selectorIyNS0_10empty_typeEEEZZNS1_27merge_sort_block_merge_implIS3_PyPS5_jNS1_19radix_merge_compareILb1ELb0EyNS0_19identity_decomposerEEEEE10hipError_tT0_T1_T2_jT3_P12ihipStream_tbPNSt15iterator_traitsISE_E10value_typeEPNSK_ISF_E10value_typeEPSG_NS1_7vsmem_tEENKUlT_SE_SF_SG_E_clIS8_S8_S9_S9_EESD_ST_SE_SF_SG_EUlST_E_NS1_11comp_targetILNS1_3genE9ELNS1_11target_archE1100ELNS1_3gpuE3ELNS1_3repE0EEENS1_48merge_mergepath_partition_config_static_selectorELNS0_4arch9wavefront6targetE1EEEvSF_,"axG",@progbits,_ZN7rocprim17ROCPRIM_400000_NS6detail17trampoline_kernelINS0_14default_configENS1_38merge_sort_block_merge_config_selectorIyNS0_10empty_typeEEEZZNS1_27merge_sort_block_merge_implIS3_PyPS5_jNS1_19radix_merge_compareILb1ELb0EyNS0_19identity_decomposerEEEEE10hipError_tT0_T1_T2_jT3_P12ihipStream_tbPNSt15iterator_traitsISE_E10value_typeEPNSK_ISF_E10value_typeEPSG_NS1_7vsmem_tEENKUlT_SE_SF_SG_E_clIS8_S8_S9_S9_EESD_ST_SE_SF_SG_EUlST_E_NS1_11comp_targetILNS1_3genE9ELNS1_11target_archE1100ELNS1_3gpuE3ELNS1_3repE0EEENS1_48merge_mergepath_partition_config_static_selectorELNS0_4arch9wavefront6targetE1EEEvSF_,comdat
.Lfunc_end2417:
	.size	_ZN7rocprim17ROCPRIM_400000_NS6detail17trampoline_kernelINS0_14default_configENS1_38merge_sort_block_merge_config_selectorIyNS0_10empty_typeEEEZZNS1_27merge_sort_block_merge_implIS3_PyPS5_jNS1_19radix_merge_compareILb1ELb0EyNS0_19identity_decomposerEEEEE10hipError_tT0_T1_T2_jT3_P12ihipStream_tbPNSt15iterator_traitsISE_E10value_typeEPNSK_ISF_E10value_typeEPSG_NS1_7vsmem_tEENKUlT_SE_SF_SG_E_clIS8_S8_S9_S9_EESD_ST_SE_SF_SG_EUlST_E_NS1_11comp_targetILNS1_3genE9ELNS1_11target_archE1100ELNS1_3gpuE3ELNS1_3repE0EEENS1_48merge_mergepath_partition_config_static_selectorELNS0_4arch9wavefront6targetE1EEEvSF_, .Lfunc_end2417-_ZN7rocprim17ROCPRIM_400000_NS6detail17trampoline_kernelINS0_14default_configENS1_38merge_sort_block_merge_config_selectorIyNS0_10empty_typeEEEZZNS1_27merge_sort_block_merge_implIS3_PyPS5_jNS1_19radix_merge_compareILb1ELb0EyNS0_19identity_decomposerEEEEE10hipError_tT0_T1_T2_jT3_P12ihipStream_tbPNSt15iterator_traitsISE_E10value_typeEPNSK_ISF_E10value_typeEPSG_NS1_7vsmem_tEENKUlT_SE_SF_SG_E_clIS8_S8_S9_S9_EESD_ST_SE_SF_SG_EUlST_E_NS1_11comp_targetILNS1_3genE9ELNS1_11target_archE1100ELNS1_3gpuE3ELNS1_3repE0EEENS1_48merge_mergepath_partition_config_static_selectorELNS0_4arch9wavefront6targetE1EEEvSF_
                                        ; -- End function
	.section	.AMDGPU.csdata,"",@progbits
; Kernel info:
; codeLenInByte = 0
; NumSgprs: 4
; NumVgprs: 0
; NumAgprs: 0
; TotalNumVgprs: 0
; ScratchSize: 0
; MemoryBound: 0
; FloatMode: 240
; IeeeMode: 1
; LDSByteSize: 0 bytes/workgroup (compile time only)
; SGPRBlocks: 0
; VGPRBlocks: 0
; NumSGPRsForWavesPerEU: 4
; NumVGPRsForWavesPerEU: 1
; AccumOffset: 4
; Occupancy: 8
; WaveLimiterHint : 0
; COMPUTE_PGM_RSRC2:SCRATCH_EN: 0
; COMPUTE_PGM_RSRC2:USER_SGPR: 6
; COMPUTE_PGM_RSRC2:TRAP_HANDLER: 0
; COMPUTE_PGM_RSRC2:TGID_X_EN: 1
; COMPUTE_PGM_RSRC2:TGID_Y_EN: 0
; COMPUTE_PGM_RSRC2:TGID_Z_EN: 0
; COMPUTE_PGM_RSRC2:TIDIG_COMP_CNT: 0
; COMPUTE_PGM_RSRC3_GFX90A:ACCUM_OFFSET: 0
; COMPUTE_PGM_RSRC3_GFX90A:TG_SPLIT: 0
	.section	.text._ZN7rocprim17ROCPRIM_400000_NS6detail17trampoline_kernelINS0_14default_configENS1_38merge_sort_block_merge_config_selectorIyNS0_10empty_typeEEEZZNS1_27merge_sort_block_merge_implIS3_PyPS5_jNS1_19radix_merge_compareILb1ELb0EyNS0_19identity_decomposerEEEEE10hipError_tT0_T1_T2_jT3_P12ihipStream_tbPNSt15iterator_traitsISE_E10value_typeEPNSK_ISF_E10value_typeEPSG_NS1_7vsmem_tEENKUlT_SE_SF_SG_E_clIS8_S8_S9_S9_EESD_ST_SE_SF_SG_EUlST_E_NS1_11comp_targetILNS1_3genE8ELNS1_11target_archE1030ELNS1_3gpuE2ELNS1_3repE0EEENS1_48merge_mergepath_partition_config_static_selectorELNS0_4arch9wavefront6targetE1EEEvSF_,"axG",@progbits,_ZN7rocprim17ROCPRIM_400000_NS6detail17trampoline_kernelINS0_14default_configENS1_38merge_sort_block_merge_config_selectorIyNS0_10empty_typeEEEZZNS1_27merge_sort_block_merge_implIS3_PyPS5_jNS1_19radix_merge_compareILb1ELb0EyNS0_19identity_decomposerEEEEE10hipError_tT0_T1_T2_jT3_P12ihipStream_tbPNSt15iterator_traitsISE_E10value_typeEPNSK_ISF_E10value_typeEPSG_NS1_7vsmem_tEENKUlT_SE_SF_SG_E_clIS8_S8_S9_S9_EESD_ST_SE_SF_SG_EUlST_E_NS1_11comp_targetILNS1_3genE8ELNS1_11target_archE1030ELNS1_3gpuE2ELNS1_3repE0EEENS1_48merge_mergepath_partition_config_static_selectorELNS0_4arch9wavefront6targetE1EEEvSF_,comdat
	.protected	_ZN7rocprim17ROCPRIM_400000_NS6detail17trampoline_kernelINS0_14default_configENS1_38merge_sort_block_merge_config_selectorIyNS0_10empty_typeEEEZZNS1_27merge_sort_block_merge_implIS3_PyPS5_jNS1_19radix_merge_compareILb1ELb0EyNS0_19identity_decomposerEEEEE10hipError_tT0_T1_T2_jT3_P12ihipStream_tbPNSt15iterator_traitsISE_E10value_typeEPNSK_ISF_E10value_typeEPSG_NS1_7vsmem_tEENKUlT_SE_SF_SG_E_clIS8_S8_S9_S9_EESD_ST_SE_SF_SG_EUlST_E_NS1_11comp_targetILNS1_3genE8ELNS1_11target_archE1030ELNS1_3gpuE2ELNS1_3repE0EEENS1_48merge_mergepath_partition_config_static_selectorELNS0_4arch9wavefront6targetE1EEEvSF_ ; -- Begin function _ZN7rocprim17ROCPRIM_400000_NS6detail17trampoline_kernelINS0_14default_configENS1_38merge_sort_block_merge_config_selectorIyNS0_10empty_typeEEEZZNS1_27merge_sort_block_merge_implIS3_PyPS5_jNS1_19radix_merge_compareILb1ELb0EyNS0_19identity_decomposerEEEEE10hipError_tT0_T1_T2_jT3_P12ihipStream_tbPNSt15iterator_traitsISE_E10value_typeEPNSK_ISF_E10value_typeEPSG_NS1_7vsmem_tEENKUlT_SE_SF_SG_E_clIS8_S8_S9_S9_EESD_ST_SE_SF_SG_EUlST_E_NS1_11comp_targetILNS1_3genE8ELNS1_11target_archE1030ELNS1_3gpuE2ELNS1_3repE0EEENS1_48merge_mergepath_partition_config_static_selectorELNS0_4arch9wavefront6targetE1EEEvSF_
	.globl	_ZN7rocprim17ROCPRIM_400000_NS6detail17trampoline_kernelINS0_14default_configENS1_38merge_sort_block_merge_config_selectorIyNS0_10empty_typeEEEZZNS1_27merge_sort_block_merge_implIS3_PyPS5_jNS1_19radix_merge_compareILb1ELb0EyNS0_19identity_decomposerEEEEE10hipError_tT0_T1_T2_jT3_P12ihipStream_tbPNSt15iterator_traitsISE_E10value_typeEPNSK_ISF_E10value_typeEPSG_NS1_7vsmem_tEENKUlT_SE_SF_SG_E_clIS8_S8_S9_S9_EESD_ST_SE_SF_SG_EUlST_E_NS1_11comp_targetILNS1_3genE8ELNS1_11target_archE1030ELNS1_3gpuE2ELNS1_3repE0EEENS1_48merge_mergepath_partition_config_static_selectorELNS0_4arch9wavefront6targetE1EEEvSF_
	.p2align	8
	.type	_ZN7rocprim17ROCPRIM_400000_NS6detail17trampoline_kernelINS0_14default_configENS1_38merge_sort_block_merge_config_selectorIyNS0_10empty_typeEEEZZNS1_27merge_sort_block_merge_implIS3_PyPS5_jNS1_19radix_merge_compareILb1ELb0EyNS0_19identity_decomposerEEEEE10hipError_tT0_T1_T2_jT3_P12ihipStream_tbPNSt15iterator_traitsISE_E10value_typeEPNSK_ISF_E10value_typeEPSG_NS1_7vsmem_tEENKUlT_SE_SF_SG_E_clIS8_S8_S9_S9_EESD_ST_SE_SF_SG_EUlST_E_NS1_11comp_targetILNS1_3genE8ELNS1_11target_archE1030ELNS1_3gpuE2ELNS1_3repE0EEENS1_48merge_mergepath_partition_config_static_selectorELNS0_4arch9wavefront6targetE1EEEvSF_,@function
_ZN7rocprim17ROCPRIM_400000_NS6detail17trampoline_kernelINS0_14default_configENS1_38merge_sort_block_merge_config_selectorIyNS0_10empty_typeEEEZZNS1_27merge_sort_block_merge_implIS3_PyPS5_jNS1_19radix_merge_compareILb1ELb0EyNS0_19identity_decomposerEEEEE10hipError_tT0_T1_T2_jT3_P12ihipStream_tbPNSt15iterator_traitsISE_E10value_typeEPNSK_ISF_E10value_typeEPSG_NS1_7vsmem_tEENKUlT_SE_SF_SG_E_clIS8_S8_S9_S9_EESD_ST_SE_SF_SG_EUlST_E_NS1_11comp_targetILNS1_3genE8ELNS1_11target_archE1030ELNS1_3gpuE2ELNS1_3repE0EEENS1_48merge_mergepath_partition_config_static_selectorELNS0_4arch9wavefront6targetE1EEEvSF_: ; @_ZN7rocprim17ROCPRIM_400000_NS6detail17trampoline_kernelINS0_14default_configENS1_38merge_sort_block_merge_config_selectorIyNS0_10empty_typeEEEZZNS1_27merge_sort_block_merge_implIS3_PyPS5_jNS1_19radix_merge_compareILb1ELb0EyNS0_19identity_decomposerEEEEE10hipError_tT0_T1_T2_jT3_P12ihipStream_tbPNSt15iterator_traitsISE_E10value_typeEPNSK_ISF_E10value_typeEPSG_NS1_7vsmem_tEENKUlT_SE_SF_SG_E_clIS8_S8_S9_S9_EESD_ST_SE_SF_SG_EUlST_E_NS1_11comp_targetILNS1_3genE8ELNS1_11target_archE1030ELNS1_3gpuE2ELNS1_3repE0EEENS1_48merge_mergepath_partition_config_static_selectorELNS0_4arch9wavefront6targetE1EEEvSF_
; %bb.0:
	.section	.rodata,"a",@progbits
	.p2align	6, 0x0
	.amdhsa_kernel _ZN7rocprim17ROCPRIM_400000_NS6detail17trampoline_kernelINS0_14default_configENS1_38merge_sort_block_merge_config_selectorIyNS0_10empty_typeEEEZZNS1_27merge_sort_block_merge_implIS3_PyPS5_jNS1_19radix_merge_compareILb1ELb0EyNS0_19identity_decomposerEEEEE10hipError_tT0_T1_T2_jT3_P12ihipStream_tbPNSt15iterator_traitsISE_E10value_typeEPNSK_ISF_E10value_typeEPSG_NS1_7vsmem_tEENKUlT_SE_SF_SG_E_clIS8_S8_S9_S9_EESD_ST_SE_SF_SG_EUlST_E_NS1_11comp_targetILNS1_3genE8ELNS1_11target_archE1030ELNS1_3gpuE2ELNS1_3repE0EEENS1_48merge_mergepath_partition_config_static_selectorELNS0_4arch9wavefront6targetE1EEEvSF_
		.amdhsa_group_segment_fixed_size 0
		.amdhsa_private_segment_fixed_size 0
		.amdhsa_kernarg_size 40
		.amdhsa_user_sgpr_count 6
		.amdhsa_user_sgpr_private_segment_buffer 1
		.amdhsa_user_sgpr_dispatch_ptr 0
		.amdhsa_user_sgpr_queue_ptr 0
		.amdhsa_user_sgpr_kernarg_segment_ptr 1
		.amdhsa_user_sgpr_dispatch_id 0
		.amdhsa_user_sgpr_flat_scratch_init 0
		.amdhsa_user_sgpr_kernarg_preload_length 0
		.amdhsa_user_sgpr_kernarg_preload_offset 0
		.amdhsa_user_sgpr_private_segment_size 0
		.amdhsa_uses_dynamic_stack 0
		.amdhsa_system_sgpr_private_segment_wavefront_offset 0
		.amdhsa_system_sgpr_workgroup_id_x 1
		.amdhsa_system_sgpr_workgroup_id_y 0
		.amdhsa_system_sgpr_workgroup_id_z 0
		.amdhsa_system_sgpr_workgroup_info 0
		.amdhsa_system_vgpr_workitem_id 0
		.amdhsa_next_free_vgpr 1
		.amdhsa_next_free_sgpr 0
		.amdhsa_accum_offset 4
		.amdhsa_reserve_vcc 0
		.amdhsa_reserve_flat_scratch 0
		.amdhsa_float_round_mode_32 0
		.amdhsa_float_round_mode_16_64 0
		.amdhsa_float_denorm_mode_32 3
		.amdhsa_float_denorm_mode_16_64 3
		.amdhsa_dx10_clamp 1
		.amdhsa_ieee_mode 1
		.amdhsa_fp16_overflow 0
		.amdhsa_tg_split 0
		.amdhsa_exception_fp_ieee_invalid_op 0
		.amdhsa_exception_fp_denorm_src 0
		.amdhsa_exception_fp_ieee_div_zero 0
		.amdhsa_exception_fp_ieee_overflow 0
		.amdhsa_exception_fp_ieee_underflow 0
		.amdhsa_exception_fp_ieee_inexact 0
		.amdhsa_exception_int_div_zero 0
	.end_amdhsa_kernel
	.section	.text._ZN7rocprim17ROCPRIM_400000_NS6detail17trampoline_kernelINS0_14default_configENS1_38merge_sort_block_merge_config_selectorIyNS0_10empty_typeEEEZZNS1_27merge_sort_block_merge_implIS3_PyPS5_jNS1_19radix_merge_compareILb1ELb0EyNS0_19identity_decomposerEEEEE10hipError_tT0_T1_T2_jT3_P12ihipStream_tbPNSt15iterator_traitsISE_E10value_typeEPNSK_ISF_E10value_typeEPSG_NS1_7vsmem_tEENKUlT_SE_SF_SG_E_clIS8_S8_S9_S9_EESD_ST_SE_SF_SG_EUlST_E_NS1_11comp_targetILNS1_3genE8ELNS1_11target_archE1030ELNS1_3gpuE2ELNS1_3repE0EEENS1_48merge_mergepath_partition_config_static_selectorELNS0_4arch9wavefront6targetE1EEEvSF_,"axG",@progbits,_ZN7rocprim17ROCPRIM_400000_NS6detail17trampoline_kernelINS0_14default_configENS1_38merge_sort_block_merge_config_selectorIyNS0_10empty_typeEEEZZNS1_27merge_sort_block_merge_implIS3_PyPS5_jNS1_19radix_merge_compareILb1ELb0EyNS0_19identity_decomposerEEEEE10hipError_tT0_T1_T2_jT3_P12ihipStream_tbPNSt15iterator_traitsISE_E10value_typeEPNSK_ISF_E10value_typeEPSG_NS1_7vsmem_tEENKUlT_SE_SF_SG_E_clIS8_S8_S9_S9_EESD_ST_SE_SF_SG_EUlST_E_NS1_11comp_targetILNS1_3genE8ELNS1_11target_archE1030ELNS1_3gpuE2ELNS1_3repE0EEENS1_48merge_mergepath_partition_config_static_selectorELNS0_4arch9wavefront6targetE1EEEvSF_,comdat
.Lfunc_end2418:
	.size	_ZN7rocprim17ROCPRIM_400000_NS6detail17trampoline_kernelINS0_14default_configENS1_38merge_sort_block_merge_config_selectorIyNS0_10empty_typeEEEZZNS1_27merge_sort_block_merge_implIS3_PyPS5_jNS1_19radix_merge_compareILb1ELb0EyNS0_19identity_decomposerEEEEE10hipError_tT0_T1_T2_jT3_P12ihipStream_tbPNSt15iterator_traitsISE_E10value_typeEPNSK_ISF_E10value_typeEPSG_NS1_7vsmem_tEENKUlT_SE_SF_SG_E_clIS8_S8_S9_S9_EESD_ST_SE_SF_SG_EUlST_E_NS1_11comp_targetILNS1_3genE8ELNS1_11target_archE1030ELNS1_3gpuE2ELNS1_3repE0EEENS1_48merge_mergepath_partition_config_static_selectorELNS0_4arch9wavefront6targetE1EEEvSF_, .Lfunc_end2418-_ZN7rocprim17ROCPRIM_400000_NS6detail17trampoline_kernelINS0_14default_configENS1_38merge_sort_block_merge_config_selectorIyNS0_10empty_typeEEEZZNS1_27merge_sort_block_merge_implIS3_PyPS5_jNS1_19radix_merge_compareILb1ELb0EyNS0_19identity_decomposerEEEEE10hipError_tT0_T1_T2_jT3_P12ihipStream_tbPNSt15iterator_traitsISE_E10value_typeEPNSK_ISF_E10value_typeEPSG_NS1_7vsmem_tEENKUlT_SE_SF_SG_E_clIS8_S8_S9_S9_EESD_ST_SE_SF_SG_EUlST_E_NS1_11comp_targetILNS1_3genE8ELNS1_11target_archE1030ELNS1_3gpuE2ELNS1_3repE0EEENS1_48merge_mergepath_partition_config_static_selectorELNS0_4arch9wavefront6targetE1EEEvSF_
                                        ; -- End function
	.section	.AMDGPU.csdata,"",@progbits
; Kernel info:
; codeLenInByte = 0
; NumSgprs: 4
; NumVgprs: 0
; NumAgprs: 0
; TotalNumVgprs: 0
; ScratchSize: 0
; MemoryBound: 0
; FloatMode: 240
; IeeeMode: 1
; LDSByteSize: 0 bytes/workgroup (compile time only)
; SGPRBlocks: 0
; VGPRBlocks: 0
; NumSGPRsForWavesPerEU: 4
; NumVGPRsForWavesPerEU: 1
; AccumOffset: 4
; Occupancy: 8
; WaveLimiterHint : 0
; COMPUTE_PGM_RSRC2:SCRATCH_EN: 0
; COMPUTE_PGM_RSRC2:USER_SGPR: 6
; COMPUTE_PGM_RSRC2:TRAP_HANDLER: 0
; COMPUTE_PGM_RSRC2:TGID_X_EN: 1
; COMPUTE_PGM_RSRC2:TGID_Y_EN: 0
; COMPUTE_PGM_RSRC2:TGID_Z_EN: 0
; COMPUTE_PGM_RSRC2:TIDIG_COMP_CNT: 0
; COMPUTE_PGM_RSRC3_GFX90A:ACCUM_OFFSET: 0
; COMPUTE_PGM_RSRC3_GFX90A:TG_SPLIT: 0
	.section	.text._ZN7rocprim17ROCPRIM_400000_NS6detail17trampoline_kernelINS0_14default_configENS1_38merge_sort_block_merge_config_selectorIyNS0_10empty_typeEEEZZNS1_27merge_sort_block_merge_implIS3_PyPS5_jNS1_19radix_merge_compareILb1ELb0EyNS0_19identity_decomposerEEEEE10hipError_tT0_T1_T2_jT3_P12ihipStream_tbPNSt15iterator_traitsISE_E10value_typeEPNSK_ISF_E10value_typeEPSG_NS1_7vsmem_tEENKUlT_SE_SF_SG_E_clIS8_S8_S9_S9_EESD_ST_SE_SF_SG_EUlST_E0_NS1_11comp_targetILNS1_3genE0ELNS1_11target_archE4294967295ELNS1_3gpuE0ELNS1_3repE0EEENS1_38merge_mergepath_config_static_selectorELNS0_4arch9wavefront6targetE1EEEvSF_,"axG",@progbits,_ZN7rocprim17ROCPRIM_400000_NS6detail17trampoline_kernelINS0_14default_configENS1_38merge_sort_block_merge_config_selectorIyNS0_10empty_typeEEEZZNS1_27merge_sort_block_merge_implIS3_PyPS5_jNS1_19radix_merge_compareILb1ELb0EyNS0_19identity_decomposerEEEEE10hipError_tT0_T1_T2_jT3_P12ihipStream_tbPNSt15iterator_traitsISE_E10value_typeEPNSK_ISF_E10value_typeEPSG_NS1_7vsmem_tEENKUlT_SE_SF_SG_E_clIS8_S8_S9_S9_EESD_ST_SE_SF_SG_EUlST_E0_NS1_11comp_targetILNS1_3genE0ELNS1_11target_archE4294967295ELNS1_3gpuE0ELNS1_3repE0EEENS1_38merge_mergepath_config_static_selectorELNS0_4arch9wavefront6targetE1EEEvSF_,comdat
	.protected	_ZN7rocprim17ROCPRIM_400000_NS6detail17trampoline_kernelINS0_14default_configENS1_38merge_sort_block_merge_config_selectorIyNS0_10empty_typeEEEZZNS1_27merge_sort_block_merge_implIS3_PyPS5_jNS1_19radix_merge_compareILb1ELb0EyNS0_19identity_decomposerEEEEE10hipError_tT0_T1_T2_jT3_P12ihipStream_tbPNSt15iterator_traitsISE_E10value_typeEPNSK_ISF_E10value_typeEPSG_NS1_7vsmem_tEENKUlT_SE_SF_SG_E_clIS8_S8_S9_S9_EESD_ST_SE_SF_SG_EUlST_E0_NS1_11comp_targetILNS1_3genE0ELNS1_11target_archE4294967295ELNS1_3gpuE0ELNS1_3repE0EEENS1_38merge_mergepath_config_static_selectorELNS0_4arch9wavefront6targetE1EEEvSF_ ; -- Begin function _ZN7rocprim17ROCPRIM_400000_NS6detail17trampoline_kernelINS0_14default_configENS1_38merge_sort_block_merge_config_selectorIyNS0_10empty_typeEEEZZNS1_27merge_sort_block_merge_implIS3_PyPS5_jNS1_19radix_merge_compareILb1ELb0EyNS0_19identity_decomposerEEEEE10hipError_tT0_T1_T2_jT3_P12ihipStream_tbPNSt15iterator_traitsISE_E10value_typeEPNSK_ISF_E10value_typeEPSG_NS1_7vsmem_tEENKUlT_SE_SF_SG_E_clIS8_S8_S9_S9_EESD_ST_SE_SF_SG_EUlST_E0_NS1_11comp_targetILNS1_3genE0ELNS1_11target_archE4294967295ELNS1_3gpuE0ELNS1_3repE0EEENS1_38merge_mergepath_config_static_selectorELNS0_4arch9wavefront6targetE1EEEvSF_
	.globl	_ZN7rocprim17ROCPRIM_400000_NS6detail17trampoline_kernelINS0_14default_configENS1_38merge_sort_block_merge_config_selectorIyNS0_10empty_typeEEEZZNS1_27merge_sort_block_merge_implIS3_PyPS5_jNS1_19radix_merge_compareILb1ELb0EyNS0_19identity_decomposerEEEEE10hipError_tT0_T1_T2_jT3_P12ihipStream_tbPNSt15iterator_traitsISE_E10value_typeEPNSK_ISF_E10value_typeEPSG_NS1_7vsmem_tEENKUlT_SE_SF_SG_E_clIS8_S8_S9_S9_EESD_ST_SE_SF_SG_EUlST_E0_NS1_11comp_targetILNS1_3genE0ELNS1_11target_archE4294967295ELNS1_3gpuE0ELNS1_3repE0EEENS1_38merge_mergepath_config_static_selectorELNS0_4arch9wavefront6targetE1EEEvSF_
	.p2align	8
	.type	_ZN7rocprim17ROCPRIM_400000_NS6detail17trampoline_kernelINS0_14default_configENS1_38merge_sort_block_merge_config_selectorIyNS0_10empty_typeEEEZZNS1_27merge_sort_block_merge_implIS3_PyPS5_jNS1_19radix_merge_compareILb1ELb0EyNS0_19identity_decomposerEEEEE10hipError_tT0_T1_T2_jT3_P12ihipStream_tbPNSt15iterator_traitsISE_E10value_typeEPNSK_ISF_E10value_typeEPSG_NS1_7vsmem_tEENKUlT_SE_SF_SG_E_clIS8_S8_S9_S9_EESD_ST_SE_SF_SG_EUlST_E0_NS1_11comp_targetILNS1_3genE0ELNS1_11target_archE4294967295ELNS1_3gpuE0ELNS1_3repE0EEENS1_38merge_mergepath_config_static_selectorELNS0_4arch9wavefront6targetE1EEEvSF_,@function
_ZN7rocprim17ROCPRIM_400000_NS6detail17trampoline_kernelINS0_14default_configENS1_38merge_sort_block_merge_config_selectorIyNS0_10empty_typeEEEZZNS1_27merge_sort_block_merge_implIS3_PyPS5_jNS1_19radix_merge_compareILb1ELb0EyNS0_19identity_decomposerEEEEE10hipError_tT0_T1_T2_jT3_P12ihipStream_tbPNSt15iterator_traitsISE_E10value_typeEPNSK_ISF_E10value_typeEPSG_NS1_7vsmem_tEENKUlT_SE_SF_SG_E_clIS8_S8_S9_S9_EESD_ST_SE_SF_SG_EUlST_E0_NS1_11comp_targetILNS1_3genE0ELNS1_11target_archE4294967295ELNS1_3gpuE0ELNS1_3repE0EEENS1_38merge_mergepath_config_static_selectorELNS0_4arch9wavefront6targetE1EEEvSF_: ; @_ZN7rocprim17ROCPRIM_400000_NS6detail17trampoline_kernelINS0_14default_configENS1_38merge_sort_block_merge_config_selectorIyNS0_10empty_typeEEEZZNS1_27merge_sort_block_merge_implIS3_PyPS5_jNS1_19radix_merge_compareILb1ELb0EyNS0_19identity_decomposerEEEEE10hipError_tT0_T1_T2_jT3_P12ihipStream_tbPNSt15iterator_traitsISE_E10value_typeEPNSK_ISF_E10value_typeEPSG_NS1_7vsmem_tEENKUlT_SE_SF_SG_E_clIS8_S8_S9_S9_EESD_ST_SE_SF_SG_EUlST_E0_NS1_11comp_targetILNS1_3genE0ELNS1_11target_archE4294967295ELNS1_3gpuE0ELNS1_3repE0EEENS1_38merge_mergepath_config_static_selectorELNS0_4arch9wavefront6targetE1EEEvSF_
; %bb.0:
	.section	.rodata,"a",@progbits
	.p2align	6, 0x0
	.amdhsa_kernel _ZN7rocprim17ROCPRIM_400000_NS6detail17trampoline_kernelINS0_14default_configENS1_38merge_sort_block_merge_config_selectorIyNS0_10empty_typeEEEZZNS1_27merge_sort_block_merge_implIS3_PyPS5_jNS1_19radix_merge_compareILb1ELb0EyNS0_19identity_decomposerEEEEE10hipError_tT0_T1_T2_jT3_P12ihipStream_tbPNSt15iterator_traitsISE_E10value_typeEPNSK_ISF_E10value_typeEPSG_NS1_7vsmem_tEENKUlT_SE_SF_SG_E_clIS8_S8_S9_S9_EESD_ST_SE_SF_SG_EUlST_E0_NS1_11comp_targetILNS1_3genE0ELNS1_11target_archE4294967295ELNS1_3gpuE0ELNS1_3repE0EEENS1_38merge_mergepath_config_static_selectorELNS0_4arch9wavefront6targetE1EEEvSF_
		.amdhsa_group_segment_fixed_size 0
		.amdhsa_private_segment_fixed_size 0
		.amdhsa_kernarg_size 64
		.amdhsa_user_sgpr_count 6
		.amdhsa_user_sgpr_private_segment_buffer 1
		.amdhsa_user_sgpr_dispatch_ptr 0
		.amdhsa_user_sgpr_queue_ptr 0
		.amdhsa_user_sgpr_kernarg_segment_ptr 1
		.amdhsa_user_sgpr_dispatch_id 0
		.amdhsa_user_sgpr_flat_scratch_init 0
		.amdhsa_user_sgpr_kernarg_preload_length 0
		.amdhsa_user_sgpr_kernarg_preload_offset 0
		.amdhsa_user_sgpr_private_segment_size 0
		.amdhsa_uses_dynamic_stack 0
		.amdhsa_system_sgpr_private_segment_wavefront_offset 0
		.amdhsa_system_sgpr_workgroup_id_x 1
		.amdhsa_system_sgpr_workgroup_id_y 0
		.amdhsa_system_sgpr_workgroup_id_z 0
		.amdhsa_system_sgpr_workgroup_info 0
		.amdhsa_system_vgpr_workitem_id 0
		.amdhsa_next_free_vgpr 1
		.amdhsa_next_free_sgpr 0
		.amdhsa_accum_offset 4
		.amdhsa_reserve_vcc 0
		.amdhsa_reserve_flat_scratch 0
		.amdhsa_float_round_mode_32 0
		.amdhsa_float_round_mode_16_64 0
		.amdhsa_float_denorm_mode_32 3
		.amdhsa_float_denorm_mode_16_64 3
		.amdhsa_dx10_clamp 1
		.amdhsa_ieee_mode 1
		.amdhsa_fp16_overflow 0
		.amdhsa_tg_split 0
		.amdhsa_exception_fp_ieee_invalid_op 0
		.amdhsa_exception_fp_denorm_src 0
		.amdhsa_exception_fp_ieee_div_zero 0
		.amdhsa_exception_fp_ieee_overflow 0
		.amdhsa_exception_fp_ieee_underflow 0
		.amdhsa_exception_fp_ieee_inexact 0
		.amdhsa_exception_int_div_zero 0
	.end_amdhsa_kernel
	.section	.text._ZN7rocprim17ROCPRIM_400000_NS6detail17trampoline_kernelINS0_14default_configENS1_38merge_sort_block_merge_config_selectorIyNS0_10empty_typeEEEZZNS1_27merge_sort_block_merge_implIS3_PyPS5_jNS1_19radix_merge_compareILb1ELb0EyNS0_19identity_decomposerEEEEE10hipError_tT0_T1_T2_jT3_P12ihipStream_tbPNSt15iterator_traitsISE_E10value_typeEPNSK_ISF_E10value_typeEPSG_NS1_7vsmem_tEENKUlT_SE_SF_SG_E_clIS8_S8_S9_S9_EESD_ST_SE_SF_SG_EUlST_E0_NS1_11comp_targetILNS1_3genE0ELNS1_11target_archE4294967295ELNS1_3gpuE0ELNS1_3repE0EEENS1_38merge_mergepath_config_static_selectorELNS0_4arch9wavefront6targetE1EEEvSF_,"axG",@progbits,_ZN7rocprim17ROCPRIM_400000_NS6detail17trampoline_kernelINS0_14default_configENS1_38merge_sort_block_merge_config_selectorIyNS0_10empty_typeEEEZZNS1_27merge_sort_block_merge_implIS3_PyPS5_jNS1_19radix_merge_compareILb1ELb0EyNS0_19identity_decomposerEEEEE10hipError_tT0_T1_T2_jT3_P12ihipStream_tbPNSt15iterator_traitsISE_E10value_typeEPNSK_ISF_E10value_typeEPSG_NS1_7vsmem_tEENKUlT_SE_SF_SG_E_clIS8_S8_S9_S9_EESD_ST_SE_SF_SG_EUlST_E0_NS1_11comp_targetILNS1_3genE0ELNS1_11target_archE4294967295ELNS1_3gpuE0ELNS1_3repE0EEENS1_38merge_mergepath_config_static_selectorELNS0_4arch9wavefront6targetE1EEEvSF_,comdat
.Lfunc_end2419:
	.size	_ZN7rocprim17ROCPRIM_400000_NS6detail17trampoline_kernelINS0_14default_configENS1_38merge_sort_block_merge_config_selectorIyNS0_10empty_typeEEEZZNS1_27merge_sort_block_merge_implIS3_PyPS5_jNS1_19radix_merge_compareILb1ELb0EyNS0_19identity_decomposerEEEEE10hipError_tT0_T1_T2_jT3_P12ihipStream_tbPNSt15iterator_traitsISE_E10value_typeEPNSK_ISF_E10value_typeEPSG_NS1_7vsmem_tEENKUlT_SE_SF_SG_E_clIS8_S8_S9_S9_EESD_ST_SE_SF_SG_EUlST_E0_NS1_11comp_targetILNS1_3genE0ELNS1_11target_archE4294967295ELNS1_3gpuE0ELNS1_3repE0EEENS1_38merge_mergepath_config_static_selectorELNS0_4arch9wavefront6targetE1EEEvSF_, .Lfunc_end2419-_ZN7rocprim17ROCPRIM_400000_NS6detail17trampoline_kernelINS0_14default_configENS1_38merge_sort_block_merge_config_selectorIyNS0_10empty_typeEEEZZNS1_27merge_sort_block_merge_implIS3_PyPS5_jNS1_19radix_merge_compareILb1ELb0EyNS0_19identity_decomposerEEEEE10hipError_tT0_T1_T2_jT3_P12ihipStream_tbPNSt15iterator_traitsISE_E10value_typeEPNSK_ISF_E10value_typeEPSG_NS1_7vsmem_tEENKUlT_SE_SF_SG_E_clIS8_S8_S9_S9_EESD_ST_SE_SF_SG_EUlST_E0_NS1_11comp_targetILNS1_3genE0ELNS1_11target_archE4294967295ELNS1_3gpuE0ELNS1_3repE0EEENS1_38merge_mergepath_config_static_selectorELNS0_4arch9wavefront6targetE1EEEvSF_
                                        ; -- End function
	.section	.AMDGPU.csdata,"",@progbits
; Kernel info:
; codeLenInByte = 0
; NumSgprs: 4
; NumVgprs: 0
; NumAgprs: 0
; TotalNumVgprs: 0
; ScratchSize: 0
; MemoryBound: 0
; FloatMode: 240
; IeeeMode: 1
; LDSByteSize: 0 bytes/workgroup (compile time only)
; SGPRBlocks: 0
; VGPRBlocks: 0
; NumSGPRsForWavesPerEU: 4
; NumVGPRsForWavesPerEU: 1
; AccumOffset: 4
; Occupancy: 8
; WaveLimiterHint : 0
; COMPUTE_PGM_RSRC2:SCRATCH_EN: 0
; COMPUTE_PGM_RSRC2:USER_SGPR: 6
; COMPUTE_PGM_RSRC2:TRAP_HANDLER: 0
; COMPUTE_PGM_RSRC2:TGID_X_EN: 1
; COMPUTE_PGM_RSRC2:TGID_Y_EN: 0
; COMPUTE_PGM_RSRC2:TGID_Z_EN: 0
; COMPUTE_PGM_RSRC2:TIDIG_COMP_CNT: 0
; COMPUTE_PGM_RSRC3_GFX90A:ACCUM_OFFSET: 0
; COMPUTE_PGM_RSRC3_GFX90A:TG_SPLIT: 0
	.section	.text._ZN7rocprim17ROCPRIM_400000_NS6detail17trampoline_kernelINS0_14default_configENS1_38merge_sort_block_merge_config_selectorIyNS0_10empty_typeEEEZZNS1_27merge_sort_block_merge_implIS3_PyPS5_jNS1_19radix_merge_compareILb1ELb0EyNS0_19identity_decomposerEEEEE10hipError_tT0_T1_T2_jT3_P12ihipStream_tbPNSt15iterator_traitsISE_E10value_typeEPNSK_ISF_E10value_typeEPSG_NS1_7vsmem_tEENKUlT_SE_SF_SG_E_clIS8_S8_S9_S9_EESD_ST_SE_SF_SG_EUlST_E0_NS1_11comp_targetILNS1_3genE10ELNS1_11target_archE1201ELNS1_3gpuE5ELNS1_3repE0EEENS1_38merge_mergepath_config_static_selectorELNS0_4arch9wavefront6targetE1EEEvSF_,"axG",@progbits,_ZN7rocprim17ROCPRIM_400000_NS6detail17trampoline_kernelINS0_14default_configENS1_38merge_sort_block_merge_config_selectorIyNS0_10empty_typeEEEZZNS1_27merge_sort_block_merge_implIS3_PyPS5_jNS1_19radix_merge_compareILb1ELb0EyNS0_19identity_decomposerEEEEE10hipError_tT0_T1_T2_jT3_P12ihipStream_tbPNSt15iterator_traitsISE_E10value_typeEPNSK_ISF_E10value_typeEPSG_NS1_7vsmem_tEENKUlT_SE_SF_SG_E_clIS8_S8_S9_S9_EESD_ST_SE_SF_SG_EUlST_E0_NS1_11comp_targetILNS1_3genE10ELNS1_11target_archE1201ELNS1_3gpuE5ELNS1_3repE0EEENS1_38merge_mergepath_config_static_selectorELNS0_4arch9wavefront6targetE1EEEvSF_,comdat
	.protected	_ZN7rocprim17ROCPRIM_400000_NS6detail17trampoline_kernelINS0_14default_configENS1_38merge_sort_block_merge_config_selectorIyNS0_10empty_typeEEEZZNS1_27merge_sort_block_merge_implIS3_PyPS5_jNS1_19radix_merge_compareILb1ELb0EyNS0_19identity_decomposerEEEEE10hipError_tT0_T1_T2_jT3_P12ihipStream_tbPNSt15iterator_traitsISE_E10value_typeEPNSK_ISF_E10value_typeEPSG_NS1_7vsmem_tEENKUlT_SE_SF_SG_E_clIS8_S8_S9_S9_EESD_ST_SE_SF_SG_EUlST_E0_NS1_11comp_targetILNS1_3genE10ELNS1_11target_archE1201ELNS1_3gpuE5ELNS1_3repE0EEENS1_38merge_mergepath_config_static_selectorELNS0_4arch9wavefront6targetE1EEEvSF_ ; -- Begin function _ZN7rocprim17ROCPRIM_400000_NS6detail17trampoline_kernelINS0_14default_configENS1_38merge_sort_block_merge_config_selectorIyNS0_10empty_typeEEEZZNS1_27merge_sort_block_merge_implIS3_PyPS5_jNS1_19radix_merge_compareILb1ELb0EyNS0_19identity_decomposerEEEEE10hipError_tT0_T1_T2_jT3_P12ihipStream_tbPNSt15iterator_traitsISE_E10value_typeEPNSK_ISF_E10value_typeEPSG_NS1_7vsmem_tEENKUlT_SE_SF_SG_E_clIS8_S8_S9_S9_EESD_ST_SE_SF_SG_EUlST_E0_NS1_11comp_targetILNS1_3genE10ELNS1_11target_archE1201ELNS1_3gpuE5ELNS1_3repE0EEENS1_38merge_mergepath_config_static_selectorELNS0_4arch9wavefront6targetE1EEEvSF_
	.globl	_ZN7rocprim17ROCPRIM_400000_NS6detail17trampoline_kernelINS0_14default_configENS1_38merge_sort_block_merge_config_selectorIyNS0_10empty_typeEEEZZNS1_27merge_sort_block_merge_implIS3_PyPS5_jNS1_19radix_merge_compareILb1ELb0EyNS0_19identity_decomposerEEEEE10hipError_tT0_T1_T2_jT3_P12ihipStream_tbPNSt15iterator_traitsISE_E10value_typeEPNSK_ISF_E10value_typeEPSG_NS1_7vsmem_tEENKUlT_SE_SF_SG_E_clIS8_S8_S9_S9_EESD_ST_SE_SF_SG_EUlST_E0_NS1_11comp_targetILNS1_3genE10ELNS1_11target_archE1201ELNS1_3gpuE5ELNS1_3repE0EEENS1_38merge_mergepath_config_static_selectorELNS0_4arch9wavefront6targetE1EEEvSF_
	.p2align	8
	.type	_ZN7rocprim17ROCPRIM_400000_NS6detail17trampoline_kernelINS0_14default_configENS1_38merge_sort_block_merge_config_selectorIyNS0_10empty_typeEEEZZNS1_27merge_sort_block_merge_implIS3_PyPS5_jNS1_19radix_merge_compareILb1ELb0EyNS0_19identity_decomposerEEEEE10hipError_tT0_T1_T2_jT3_P12ihipStream_tbPNSt15iterator_traitsISE_E10value_typeEPNSK_ISF_E10value_typeEPSG_NS1_7vsmem_tEENKUlT_SE_SF_SG_E_clIS8_S8_S9_S9_EESD_ST_SE_SF_SG_EUlST_E0_NS1_11comp_targetILNS1_3genE10ELNS1_11target_archE1201ELNS1_3gpuE5ELNS1_3repE0EEENS1_38merge_mergepath_config_static_selectorELNS0_4arch9wavefront6targetE1EEEvSF_,@function
_ZN7rocprim17ROCPRIM_400000_NS6detail17trampoline_kernelINS0_14default_configENS1_38merge_sort_block_merge_config_selectorIyNS0_10empty_typeEEEZZNS1_27merge_sort_block_merge_implIS3_PyPS5_jNS1_19radix_merge_compareILb1ELb0EyNS0_19identity_decomposerEEEEE10hipError_tT0_T1_T2_jT3_P12ihipStream_tbPNSt15iterator_traitsISE_E10value_typeEPNSK_ISF_E10value_typeEPSG_NS1_7vsmem_tEENKUlT_SE_SF_SG_E_clIS8_S8_S9_S9_EESD_ST_SE_SF_SG_EUlST_E0_NS1_11comp_targetILNS1_3genE10ELNS1_11target_archE1201ELNS1_3gpuE5ELNS1_3repE0EEENS1_38merge_mergepath_config_static_selectorELNS0_4arch9wavefront6targetE1EEEvSF_: ; @_ZN7rocprim17ROCPRIM_400000_NS6detail17trampoline_kernelINS0_14default_configENS1_38merge_sort_block_merge_config_selectorIyNS0_10empty_typeEEEZZNS1_27merge_sort_block_merge_implIS3_PyPS5_jNS1_19radix_merge_compareILb1ELb0EyNS0_19identity_decomposerEEEEE10hipError_tT0_T1_T2_jT3_P12ihipStream_tbPNSt15iterator_traitsISE_E10value_typeEPNSK_ISF_E10value_typeEPSG_NS1_7vsmem_tEENKUlT_SE_SF_SG_E_clIS8_S8_S9_S9_EESD_ST_SE_SF_SG_EUlST_E0_NS1_11comp_targetILNS1_3genE10ELNS1_11target_archE1201ELNS1_3gpuE5ELNS1_3repE0EEENS1_38merge_mergepath_config_static_selectorELNS0_4arch9wavefront6targetE1EEEvSF_
; %bb.0:
	.section	.rodata,"a",@progbits
	.p2align	6, 0x0
	.amdhsa_kernel _ZN7rocprim17ROCPRIM_400000_NS6detail17trampoline_kernelINS0_14default_configENS1_38merge_sort_block_merge_config_selectorIyNS0_10empty_typeEEEZZNS1_27merge_sort_block_merge_implIS3_PyPS5_jNS1_19radix_merge_compareILb1ELb0EyNS0_19identity_decomposerEEEEE10hipError_tT0_T1_T2_jT3_P12ihipStream_tbPNSt15iterator_traitsISE_E10value_typeEPNSK_ISF_E10value_typeEPSG_NS1_7vsmem_tEENKUlT_SE_SF_SG_E_clIS8_S8_S9_S9_EESD_ST_SE_SF_SG_EUlST_E0_NS1_11comp_targetILNS1_3genE10ELNS1_11target_archE1201ELNS1_3gpuE5ELNS1_3repE0EEENS1_38merge_mergepath_config_static_selectorELNS0_4arch9wavefront6targetE1EEEvSF_
		.amdhsa_group_segment_fixed_size 0
		.amdhsa_private_segment_fixed_size 0
		.amdhsa_kernarg_size 64
		.amdhsa_user_sgpr_count 6
		.amdhsa_user_sgpr_private_segment_buffer 1
		.amdhsa_user_sgpr_dispatch_ptr 0
		.amdhsa_user_sgpr_queue_ptr 0
		.amdhsa_user_sgpr_kernarg_segment_ptr 1
		.amdhsa_user_sgpr_dispatch_id 0
		.amdhsa_user_sgpr_flat_scratch_init 0
		.amdhsa_user_sgpr_kernarg_preload_length 0
		.amdhsa_user_sgpr_kernarg_preload_offset 0
		.amdhsa_user_sgpr_private_segment_size 0
		.amdhsa_uses_dynamic_stack 0
		.amdhsa_system_sgpr_private_segment_wavefront_offset 0
		.amdhsa_system_sgpr_workgroup_id_x 1
		.amdhsa_system_sgpr_workgroup_id_y 0
		.amdhsa_system_sgpr_workgroup_id_z 0
		.amdhsa_system_sgpr_workgroup_info 0
		.amdhsa_system_vgpr_workitem_id 0
		.amdhsa_next_free_vgpr 1
		.amdhsa_next_free_sgpr 0
		.amdhsa_accum_offset 4
		.amdhsa_reserve_vcc 0
		.amdhsa_reserve_flat_scratch 0
		.amdhsa_float_round_mode_32 0
		.amdhsa_float_round_mode_16_64 0
		.amdhsa_float_denorm_mode_32 3
		.amdhsa_float_denorm_mode_16_64 3
		.amdhsa_dx10_clamp 1
		.amdhsa_ieee_mode 1
		.amdhsa_fp16_overflow 0
		.amdhsa_tg_split 0
		.amdhsa_exception_fp_ieee_invalid_op 0
		.amdhsa_exception_fp_denorm_src 0
		.amdhsa_exception_fp_ieee_div_zero 0
		.amdhsa_exception_fp_ieee_overflow 0
		.amdhsa_exception_fp_ieee_underflow 0
		.amdhsa_exception_fp_ieee_inexact 0
		.amdhsa_exception_int_div_zero 0
	.end_amdhsa_kernel
	.section	.text._ZN7rocprim17ROCPRIM_400000_NS6detail17trampoline_kernelINS0_14default_configENS1_38merge_sort_block_merge_config_selectorIyNS0_10empty_typeEEEZZNS1_27merge_sort_block_merge_implIS3_PyPS5_jNS1_19radix_merge_compareILb1ELb0EyNS0_19identity_decomposerEEEEE10hipError_tT0_T1_T2_jT3_P12ihipStream_tbPNSt15iterator_traitsISE_E10value_typeEPNSK_ISF_E10value_typeEPSG_NS1_7vsmem_tEENKUlT_SE_SF_SG_E_clIS8_S8_S9_S9_EESD_ST_SE_SF_SG_EUlST_E0_NS1_11comp_targetILNS1_3genE10ELNS1_11target_archE1201ELNS1_3gpuE5ELNS1_3repE0EEENS1_38merge_mergepath_config_static_selectorELNS0_4arch9wavefront6targetE1EEEvSF_,"axG",@progbits,_ZN7rocprim17ROCPRIM_400000_NS6detail17trampoline_kernelINS0_14default_configENS1_38merge_sort_block_merge_config_selectorIyNS0_10empty_typeEEEZZNS1_27merge_sort_block_merge_implIS3_PyPS5_jNS1_19radix_merge_compareILb1ELb0EyNS0_19identity_decomposerEEEEE10hipError_tT0_T1_T2_jT3_P12ihipStream_tbPNSt15iterator_traitsISE_E10value_typeEPNSK_ISF_E10value_typeEPSG_NS1_7vsmem_tEENKUlT_SE_SF_SG_E_clIS8_S8_S9_S9_EESD_ST_SE_SF_SG_EUlST_E0_NS1_11comp_targetILNS1_3genE10ELNS1_11target_archE1201ELNS1_3gpuE5ELNS1_3repE0EEENS1_38merge_mergepath_config_static_selectorELNS0_4arch9wavefront6targetE1EEEvSF_,comdat
.Lfunc_end2420:
	.size	_ZN7rocprim17ROCPRIM_400000_NS6detail17trampoline_kernelINS0_14default_configENS1_38merge_sort_block_merge_config_selectorIyNS0_10empty_typeEEEZZNS1_27merge_sort_block_merge_implIS3_PyPS5_jNS1_19radix_merge_compareILb1ELb0EyNS0_19identity_decomposerEEEEE10hipError_tT0_T1_T2_jT3_P12ihipStream_tbPNSt15iterator_traitsISE_E10value_typeEPNSK_ISF_E10value_typeEPSG_NS1_7vsmem_tEENKUlT_SE_SF_SG_E_clIS8_S8_S9_S9_EESD_ST_SE_SF_SG_EUlST_E0_NS1_11comp_targetILNS1_3genE10ELNS1_11target_archE1201ELNS1_3gpuE5ELNS1_3repE0EEENS1_38merge_mergepath_config_static_selectorELNS0_4arch9wavefront6targetE1EEEvSF_, .Lfunc_end2420-_ZN7rocprim17ROCPRIM_400000_NS6detail17trampoline_kernelINS0_14default_configENS1_38merge_sort_block_merge_config_selectorIyNS0_10empty_typeEEEZZNS1_27merge_sort_block_merge_implIS3_PyPS5_jNS1_19radix_merge_compareILb1ELb0EyNS0_19identity_decomposerEEEEE10hipError_tT0_T1_T2_jT3_P12ihipStream_tbPNSt15iterator_traitsISE_E10value_typeEPNSK_ISF_E10value_typeEPSG_NS1_7vsmem_tEENKUlT_SE_SF_SG_E_clIS8_S8_S9_S9_EESD_ST_SE_SF_SG_EUlST_E0_NS1_11comp_targetILNS1_3genE10ELNS1_11target_archE1201ELNS1_3gpuE5ELNS1_3repE0EEENS1_38merge_mergepath_config_static_selectorELNS0_4arch9wavefront6targetE1EEEvSF_
                                        ; -- End function
	.section	.AMDGPU.csdata,"",@progbits
; Kernel info:
; codeLenInByte = 0
; NumSgprs: 4
; NumVgprs: 0
; NumAgprs: 0
; TotalNumVgprs: 0
; ScratchSize: 0
; MemoryBound: 0
; FloatMode: 240
; IeeeMode: 1
; LDSByteSize: 0 bytes/workgroup (compile time only)
; SGPRBlocks: 0
; VGPRBlocks: 0
; NumSGPRsForWavesPerEU: 4
; NumVGPRsForWavesPerEU: 1
; AccumOffset: 4
; Occupancy: 8
; WaveLimiterHint : 0
; COMPUTE_PGM_RSRC2:SCRATCH_EN: 0
; COMPUTE_PGM_RSRC2:USER_SGPR: 6
; COMPUTE_PGM_RSRC2:TRAP_HANDLER: 0
; COMPUTE_PGM_RSRC2:TGID_X_EN: 1
; COMPUTE_PGM_RSRC2:TGID_Y_EN: 0
; COMPUTE_PGM_RSRC2:TGID_Z_EN: 0
; COMPUTE_PGM_RSRC2:TIDIG_COMP_CNT: 0
; COMPUTE_PGM_RSRC3_GFX90A:ACCUM_OFFSET: 0
; COMPUTE_PGM_RSRC3_GFX90A:TG_SPLIT: 0
	.section	.text._ZN7rocprim17ROCPRIM_400000_NS6detail17trampoline_kernelINS0_14default_configENS1_38merge_sort_block_merge_config_selectorIyNS0_10empty_typeEEEZZNS1_27merge_sort_block_merge_implIS3_PyPS5_jNS1_19radix_merge_compareILb1ELb0EyNS0_19identity_decomposerEEEEE10hipError_tT0_T1_T2_jT3_P12ihipStream_tbPNSt15iterator_traitsISE_E10value_typeEPNSK_ISF_E10value_typeEPSG_NS1_7vsmem_tEENKUlT_SE_SF_SG_E_clIS8_S8_S9_S9_EESD_ST_SE_SF_SG_EUlST_E0_NS1_11comp_targetILNS1_3genE5ELNS1_11target_archE942ELNS1_3gpuE9ELNS1_3repE0EEENS1_38merge_mergepath_config_static_selectorELNS0_4arch9wavefront6targetE1EEEvSF_,"axG",@progbits,_ZN7rocprim17ROCPRIM_400000_NS6detail17trampoline_kernelINS0_14default_configENS1_38merge_sort_block_merge_config_selectorIyNS0_10empty_typeEEEZZNS1_27merge_sort_block_merge_implIS3_PyPS5_jNS1_19radix_merge_compareILb1ELb0EyNS0_19identity_decomposerEEEEE10hipError_tT0_T1_T2_jT3_P12ihipStream_tbPNSt15iterator_traitsISE_E10value_typeEPNSK_ISF_E10value_typeEPSG_NS1_7vsmem_tEENKUlT_SE_SF_SG_E_clIS8_S8_S9_S9_EESD_ST_SE_SF_SG_EUlST_E0_NS1_11comp_targetILNS1_3genE5ELNS1_11target_archE942ELNS1_3gpuE9ELNS1_3repE0EEENS1_38merge_mergepath_config_static_selectorELNS0_4arch9wavefront6targetE1EEEvSF_,comdat
	.protected	_ZN7rocprim17ROCPRIM_400000_NS6detail17trampoline_kernelINS0_14default_configENS1_38merge_sort_block_merge_config_selectorIyNS0_10empty_typeEEEZZNS1_27merge_sort_block_merge_implIS3_PyPS5_jNS1_19radix_merge_compareILb1ELb0EyNS0_19identity_decomposerEEEEE10hipError_tT0_T1_T2_jT3_P12ihipStream_tbPNSt15iterator_traitsISE_E10value_typeEPNSK_ISF_E10value_typeEPSG_NS1_7vsmem_tEENKUlT_SE_SF_SG_E_clIS8_S8_S9_S9_EESD_ST_SE_SF_SG_EUlST_E0_NS1_11comp_targetILNS1_3genE5ELNS1_11target_archE942ELNS1_3gpuE9ELNS1_3repE0EEENS1_38merge_mergepath_config_static_selectorELNS0_4arch9wavefront6targetE1EEEvSF_ ; -- Begin function _ZN7rocprim17ROCPRIM_400000_NS6detail17trampoline_kernelINS0_14default_configENS1_38merge_sort_block_merge_config_selectorIyNS0_10empty_typeEEEZZNS1_27merge_sort_block_merge_implIS3_PyPS5_jNS1_19radix_merge_compareILb1ELb0EyNS0_19identity_decomposerEEEEE10hipError_tT0_T1_T2_jT3_P12ihipStream_tbPNSt15iterator_traitsISE_E10value_typeEPNSK_ISF_E10value_typeEPSG_NS1_7vsmem_tEENKUlT_SE_SF_SG_E_clIS8_S8_S9_S9_EESD_ST_SE_SF_SG_EUlST_E0_NS1_11comp_targetILNS1_3genE5ELNS1_11target_archE942ELNS1_3gpuE9ELNS1_3repE0EEENS1_38merge_mergepath_config_static_selectorELNS0_4arch9wavefront6targetE1EEEvSF_
	.globl	_ZN7rocprim17ROCPRIM_400000_NS6detail17trampoline_kernelINS0_14default_configENS1_38merge_sort_block_merge_config_selectorIyNS0_10empty_typeEEEZZNS1_27merge_sort_block_merge_implIS3_PyPS5_jNS1_19radix_merge_compareILb1ELb0EyNS0_19identity_decomposerEEEEE10hipError_tT0_T1_T2_jT3_P12ihipStream_tbPNSt15iterator_traitsISE_E10value_typeEPNSK_ISF_E10value_typeEPSG_NS1_7vsmem_tEENKUlT_SE_SF_SG_E_clIS8_S8_S9_S9_EESD_ST_SE_SF_SG_EUlST_E0_NS1_11comp_targetILNS1_3genE5ELNS1_11target_archE942ELNS1_3gpuE9ELNS1_3repE0EEENS1_38merge_mergepath_config_static_selectorELNS0_4arch9wavefront6targetE1EEEvSF_
	.p2align	8
	.type	_ZN7rocprim17ROCPRIM_400000_NS6detail17trampoline_kernelINS0_14default_configENS1_38merge_sort_block_merge_config_selectorIyNS0_10empty_typeEEEZZNS1_27merge_sort_block_merge_implIS3_PyPS5_jNS1_19radix_merge_compareILb1ELb0EyNS0_19identity_decomposerEEEEE10hipError_tT0_T1_T2_jT3_P12ihipStream_tbPNSt15iterator_traitsISE_E10value_typeEPNSK_ISF_E10value_typeEPSG_NS1_7vsmem_tEENKUlT_SE_SF_SG_E_clIS8_S8_S9_S9_EESD_ST_SE_SF_SG_EUlST_E0_NS1_11comp_targetILNS1_3genE5ELNS1_11target_archE942ELNS1_3gpuE9ELNS1_3repE0EEENS1_38merge_mergepath_config_static_selectorELNS0_4arch9wavefront6targetE1EEEvSF_,@function
_ZN7rocprim17ROCPRIM_400000_NS6detail17trampoline_kernelINS0_14default_configENS1_38merge_sort_block_merge_config_selectorIyNS0_10empty_typeEEEZZNS1_27merge_sort_block_merge_implIS3_PyPS5_jNS1_19radix_merge_compareILb1ELb0EyNS0_19identity_decomposerEEEEE10hipError_tT0_T1_T2_jT3_P12ihipStream_tbPNSt15iterator_traitsISE_E10value_typeEPNSK_ISF_E10value_typeEPSG_NS1_7vsmem_tEENKUlT_SE_SF_SG_E_clIS8_S8_S9_S9_EESD_ST_SE_SF_SG_EUlST_E0_NS1_11comp_targetILNS1_3genE5ELNS1_11target_archE942ELNS1_3gpuE9ELNS1_3repE0EEENS1_38merge_mergepath_config_static_selectorELNS0_4arch9wavefront6targetE1EEEvSF_: ; @_ZN7rocprim17ROCPRIM_400000_NS6detail17trampoline_kernelINS0_14default_configENS1_38merge_sort_block_merge_config_selectorIyNS0_10empty_typeEEEZZNS1_27merge_sort_block_merge_implIS3_PyPS5_jNS1_19radix_merge_compareILb1ELb0EyNS0_19identity_decomposerEEEEE10hipError_tT0_T1_T2_jT3_P12ihipStream_tbPNSt15iterator_traitsISE_E10value_typeEPNSK_ISF_E10value_typeEPSG_NS1_7vsmem_tEENKUlT_SE_SF_SG_E_clIS8_S8_S9_S9_EESD_ST_SE_SF_SG_EUlST_E0_NS1_11comp_targetILNS1_3genE5ELNS1_11target_archE942ELNS1_3gpuE9ELNS1_3repE0EEENS1_38merge_mergepath_config_static_selectorELNS0_4arch9wavefront6targetE1EEEvSF_
; %bb.0:
	.section	.rodata,"a",@progbits
	.p2align	6, 0x0
	.amdhsa_kernel _ZN7rocprim17ROCPRIM_400000_NS6detail17trampoline_kernelINS0_14default_configENS1_38merge_sort_block_merge_config_selectorIyNS0_10empty_typeEEEZZNS1_27merge_sort_block_merge_implIS3_PyPS5_jNS1_19radix_merge_compareILb1ELb0EyNS0_19identity_decomposerEEEEE10hipError_tT0_T1_T2_jT3_P12ihipStream_tbPNSt15iterator_traitsISE_E10value_typeEPNSK_ISF_E10value_typeEPSG_NS1_7vsmem_tEENKUlT_SE_SF_SG_E_clIS8_S8_S9_S9_EESD_ST_SE_SF_SG_EUlST_E0_NS1_11comp_targetILNS1_3genE5ELNS1_11target_archE942ELNS1_3gpuE9ELNS1_3repE0EEENS1_38merge_mergepath_config_static_selectorELNS0_4arch9wavefront6targetE1EEEvSF_
		.amdhsa_group_segment_fixed_size 0
		.amdhsa_private_segment_fixed_size 0
		.amdhsa_kernarg_size 64
		.amdhsa_user_sgpr_count 6
		.amdhsa_user_sgpr_private_segment_buffer 1
		.amdhsa_user_sgpr_dispatch_ptr 0
		.amdhsa_user_sgpr_queue_ptr 0
		.amdhsa_user_sgpr_kernarg_segment_ptr 1
		.amdhsa_user_sgpr_dispatch_id 0
		.amdhsa_user_sgpr_flat_scratch_init 0
		.amdhsa_user_sgpr_kernarg_preload_length 0
		.amdhsa_user_sgpr_kernarg_preload_offset 0
		.amdhsa_user_sgpr_private_segment_size 0
		.amdhsa_uses_dynamic_stack 0
		.amdhsa_system_sgpr_private_segment_wavefront_offset 0
		.amdhsa_system_sgpr_workgroup_id_x 1
		.amdhsa_system_sgpr_workgroup_id_y 0
		.amdhsa_system_sgpr_workgroup_id_z 0
		.amdhsa_system_sgpr_workgroup_info 0
		.amdhsa_system_vgpr_workitem_id 0
		.amdhsa_next_free_vgpr 1
		.amdhsa_next_free_sgpr 0
		.amdhsa_accum_offset 4
		.amdhsa_reserve_vcc 0
		.amdhsa_reserve_flat_scratch 0
		.amdhsa_float_round_mode_32 0
		.amdhsa_float_round_mode_16_64 0
		.amdhsa_float_denorm_mode_32 3
		.amdhsa_float_denorm_mode_16_64 3
		.amdhsa_dx10_clamp 1
		.amdhsa_ieee_mode 1
		.amdhsa_fp16_overflow 0
		.amdhsa_tg_split 0
		.amdhsa_exception_fp_ieee_invalid_op 0
		.amdhsa_exception_fp_denorm_src 0
		.amdhsa_exception_fp_ieee_div_zero 0
		.amdhsa_exception_fp_ieee_overflow 0
		.amdhsa_exception_fp_ieee_underflow 0
		.amdhsa_exception_fp_ieee_inexact 0
		.amdhsa_exception_int_div_zero 0
	.end_amdhsa_kernel
	.section	.text._ZN7rocprim17ROCPRIM_400000_NS6detail17trampoline_kernelINS0_14default_configENS1_38merge_sort_block_merge_config_selectorIyNS0_10empty_typeEEEZZNS1_27merge_sort_block_merge_implIS3_PyPS5_jNS1_19radix_merge_compareILb1ELb0EyNS0_19identity_decomposerEEEEE10hipError_tT0_T1_T2_jT3_P12ihipStream_tbPNSt15iterator_traitsISE_E10value_typeEPNSK_ISF_E10value_typeEPSG_NS1_7vsmem_tEENKUlT_SE_SF_SG_E_clIS8_S8_S9_S9_EESD_ST_SE_SF_SG_EUlST_E0_NS1_11comp_targetILNS1_3genE5ELNS1_11target_archE942ELNS1_3gpuE9ELNS1_3repE0EEENS1_38merge_mergepath_config_static_selectorELNS0_4arch9wavefront6targetE1EEEvSF_,"axG",@progbits,_ZN7rocprim17ROCPRIM_400000_NS6detail17trampoline_kernelINS0_14default_configENS1_38merge_sort_block_merge_config_selectorIyNS0_10empty_typeEEEZZNS1_27merge_sort_block_merge_implIS3_PyPS5_jNS1_19radix_merge_compareILb1ELb0EyNS0_19identity_decomposerEEEEE10hipError_tT0_T1_T2_jT3_P12ihipStream_tbPNSt15iterator_traitsISE_E10value_typeEPNSK_ISF_E10value_typeEPSG_NS1_7vsmem_tEENKUlT_SE_SF_SG_E_clIS8_S8_S9_S9_EESD_ST_SE_SF_SG_EUlST_E0_NS1_11comp_targetILNS1_3genE5ELNS1_11target_archE942ELNS1_3gpuE9ELNS1_3repE0EEENS1_38merge_mergepath_config_static_selectorELNS0_4arch9wavefront6targetE1EEEvSF_,comdat
.Lfunc_end2421:
	.size	_ZN7rocprim17ROCPRIM_400000_NS6detail17trampoline_kernelINS0_14default_configENS1_38merge_sort_block_merge_config_selectorIyNS0_10empty_typeEEEZZNS1_27merge_sort_block_merge_implIS3_PyPS5_jNS1_19radix_merge_compareILb1ELb0EyNS0_19identity_decomposerEEEEE10hipError_tT0_T1_T2_jT3_P12ihipStream_tbPNSt15iterator_traitsISE_E10value_typeEPNSK_ISF_E10value_typeEPSG_NS1_7vsmem_tEENKUlT_SE_SF_SG_E_clIS8_S8_S9_S9_EESD_ST_SE_SF_SG_EUlST_E0_NS1_11comp_targetILNS1_3genE5ELNS1_11target_archE942ELNS1_3gpuE9ELNS1_3repE0EEENS1_38merge_mergepath_config_static_selectorELNS0_4arch9wavefront6targetE1EEEvSF_, .Lfunc_end2421-_ZN7rocprim17ROCPRIM_400000_NS6detail17trampoline_kernelINS0_14default_configENS1_38merge_sort_block_merge_config_selectorIyNS0_10empty_typeEEEZZNS1_27merge_sort_block_merge_implIS3_PyPS5_jNS1_19radix_merge_compareILb1ELb0EyNS0_19identity_decomposerEEEEE10hipError_tT0_T1_T2_jT3_P12ihipStream_tbPNSt15iterator_traitsISE_E10value_typeEPNSK_ISF_E10value_typeEPSG_NS1_7vsmem_tEENKUlT_SE_SF_SG_E_clIS8_S8_S9_S9_EESD_ST_SE_SF_SG_EUlST_E0_NS1_11comp_targetILNS1_3genE5ELNS1_11target_archE942ELNS1_3gpuE9ELNS1_3repE0EEENS1_38merge_mergepath_config_static_selectorELNS0_4arch9wavefront6targetE1EEEvSF_
                                        ; -- End function
	.section	.AMDGPU.csdata,"",@progbits
; Kernel info:
; codeLenInByte = 0
; NumSgprs: 4
; NumVgprs: 0
; NumAgprs: 0
; TotalNumVgprs: 0
; ScratchSize: 0
; MemoryBound: 0
; FloatMode: 240
; IeeeMode: 1
; LDSByteSize: 0 bytes/workgroup (compile time only)
; SGPRBlocks: 0
; VGPRBlocks: 0
; NumSGPRsForWavesPerEU: 4
; NumVGPRsForWavesPerEU: 1
; AccumOffset: 4
; Occupancy: 8
; WaveLimiterHint : 0
; COMPUTE_PGM_RSRC2:SCRATCH_EN: 0
; COMPUTE_PGM_RSRC2:USER_SGPR: 6
; COMPUTE_PGM_RSRC2:TRAP_HANDLER: 0
; COMPUTE_PGM_RSRC2:TGID_X_EN: 1
; COMPUTE_PGM_RSRC2:TGID_Y_EN: 0
; COMPUTE_PGM_RSRC2:TGID_Z_EN: 0
; COMPUTE_PGM_RSRC2:TIDIG_COMP_CNT: 0
; COMPUTE_PGM_RSRC3_GFX90A:ACCUM_OFFSET: 0
; COMPUTE_PGM_RSRC3_GFX90A:TG_SPLIT: 0
	.section	.text._ZN7rocprim17ROCPRIM_400000_NS6detail17trampoline_kernelINS0_14default_configENS1_38merge_sort_block_merge_config_selectorIyNS0_10empty_typeEEEZZNS1_27merge_sort_block_merge_implIS3_PyPS5_jNS1_19radix_merge_compareILb1ELb0EyNS0_19identity_decomposerEEEEE10hipError_tT0_T1_T2_jT3_P12ihipStream_tbPNSt15iterator_traitsISE_E10value_typeEPNSK_ISF_E10value_typeEPSG_NS1_7vsmem_tEENKUlT_SE_SF_SG_E_clIS8_S8_S9_S9_EESD_ST_SE_SF_SG_EUlST_E0_NS1_11comp_targetILNS1_3genE4ELNS1_11target_archE910ELNS1_3gpuE8ELNS1_3repE0EEENS1_38merge_mergepath_config_static_selectorELNS0_4arch9wavefront6targetE1EEEvSF_,"axG",@progbits,_ZN7rocprim17ROCPRIM_400000_NS6detail17trampoline_kernelINS0_14default_configENS1_38merge_sort_block_merge_config_selectorIyNS0_10empty_typeEEEZZNS1_27merge_sort_block_merge_implIS3_PyPS5_jNS1_19radix_merge_compareILb1ELb0EyNS0_19identity_decomposerEEEEE10hipError_tT0_T1_T2_jT3_P12ihipStream_tbPNSt15iterator_traitsISE_E10value_typeEPNSK_ISF_E10value_typeEPSG_NS1_7vsmem_tEENKUlT_SE_SF_SG_E_clIS8_S8_S9_S9_EESD_ST_SE_SF_SG_EUlST_E0_NS1_11comp_targetILNS1_3genE4ELNS1_11target_archE910ELNS1_3gpuE8ELNS1_3repE0EEENS1_38merge_mergepath_config_static_selectorELNS0_4arch9wavefront6targetE1EEEvSF_,comdat
	.protected	_ZN7rocprim17ROCPRIM_400000_NS6detail17trampoline_kernelINS0_14default_configENS1_38merge_sort_block_merge_config_selectorIyNS0_10empty_typeEEEZZNS1_27merge_sort_block_merge_implIS3_PyPS5_jNS1_19radix_merge_compareILb1ELb0EyNS0_19identity_decomposerEEEEE10hipError_tT0_T1_T2_jT3_P12ihipStream_tbPNSt15iterator_traitsISE_E10value_typeEPNSK_ISF_E10value_typeEPSG_NS1_7vsmem_tEENKUlT_SE_SF_SG_E_clIS8_S8_S9_S9_EESD_ST_SE_SF_SG_EUlST_E0_NS1_11comp_targetILNS1_3genE4ELNS1_11target_archE910ELNS1_3gpuE8ELNS1_3repE0EEENS1_38merge_mergepath_config_static_selectorELNS0_4arch9wavefront6targetE1EEEvSF_ ; -- Begin function _ZN7rocprim17ROCPRIM_400000_NS6detail17trampoline_kernelINS0_14default_configENS1_38merge_sort_block_merge_config_selectorIyNS0_10empty_typeEEEZZNS1_27merge_sort_block_merge_implIS3_PyPS5_jNS1_19radix_merge_compareILb1ELb0EyNS0_19identity_decomposerEEEEE10hipError_tT0_T1_T2_jT3_P12ihipStream_tbPNSt15iterator_traitsISE_E10value_typeEPNSK_ISF_E10value_typeEPSG_NS1_7vsmem_tEENKUlT_SE_SF_SG_E_clIS8_S8_S9_S9_EESD_ST_SE_SF_SG_EUlST_E0_NS1_11comp_targetILNS1_3genE4ELNS1_11target_archE910ELNS1_3gpuE8ELNS1_3repE0EEENS1_38merge_mergepath_config_static_selectorELNS0_4arch9wavefront6targetE1EEEvSF_
	.globl	_ZN7rocprim17ROCPRIM_400000_NS6detail17trampoline_kernelINS0_14default_configENS1_38merge_sort_block_merge_config_selectorIyNS0_10empty_typeEEEZZNS1_27merge_sort_block_merge_implIS3_PyPS5_jNS1_19radix_merge_compareILb1ELb0EyNS0_19identity_decomposerEEEEE10hipError_tT0_T1_T2_jT3_P12ihipStream_tbPNSt15iterator_traitsISE_E10value_typeEPNSK_ISF_E10value_typeEPSG_NS1_7vsmem_tEENKUlT_SE_SF_SG_E_clIS8_S8_S9_S9_EESD_ST_SE_SF_SG_EUlST_E0_NS1_11comp_targetILNS1_3genE4ELNS1_11target_archE910ELNS1_3gpuE8ELNS1_3repE0EEENS1_38merge_mergepath_config_static_selectorELNS0_4arch9wavefront6targetE1EEEvSF_
	.p2align	8
	.type	_ZN7rocprim17ROCPRIM_400000_NS6detail17trampoline_kernelINS0_14default_configENS1_38merge_sort_block_merge_config_selectorIyNS0_10empty_typeEEEZZNS1_27merge_sort_block_merge_implIS3_PyPS5_jNS1_19radix_merge_compareILb1ELb0EyNS0_19identity_decomposerEEEEE10hipError_tT0_T1_T2_jT3_P12ihipStream_tbPNSt15iterator_traitsISE_E10value_typeEPNSK_ISF_E10value_typeEPSG_NS1_7vsmem_tEENKUlT_SE_SF_SG_E_clIS8_S8_S9_S9_EESD_ST_SE_SF_SG_EUlST_E0_NS1_11comp_targetILNS1_3genE4ELNS1_11target_archE910ELNS1_3gpuE8ELNS1_3repE0EEENS1_38merge_mergepath_config_static_selectorELNS0_4arch9wavefront6targetE1EEEvSF_,@function
_ZN7rocprim17ROCPRIM_400000_NS6detail17trampoline_kernelINS0_14default_configENS1_38merge_sort_block_merge_config_selectorIyNS0_10empty_typeEEEZZNS1_27merge_sort_block_merge_implIS3_PyPS5_jNS1_19radix_merge_compareILb1ELb0EyNS0_19identity_decomposerEEEEE10hipError_tT0_T1_T2_jT3_P12ihipStream_tbPNSt15iterator_traitsISE_E10value_typeEPNSK_ISF_E10value_typeEPSG_NS1_7vsmem_tEENKUlT_SE_SF_SG_E_clIS8_S8_S9_S9_EESD_ST_SE_SF_SG_EUlST_E0_NS1_11comp_targetILNS1_3genE4ELNS1_11target_archE910ELNS1_3gpuE8ELNS1_3repE0EEENS1_38merge_mergepath_config_static_selectorELNS0_4arch9wavefront6targetE1EEEvSF_: ; @_ZN7rocprim17ROCPRIM_400000_NS6detail17trampoline_kernelINS0_14default_configENS1_38merge_sort_block_merge_config_selectorIyNS0_10empty_typeEEEZZNS1_27merge_sort_block_merge_implIS3_PyPS5_jNS1_19radix_merge_compareILb1ELb0EyNS0_19identity_decomposerEEEEE10hipError_tT0_T1_T2_jT3_P12ihipStream_tbPNSt15iterator_traitsISE_E10value_typeEPNSK_ISF_E10value_typeEPSG_NS1_7vsmem_tEENKUlT_SE_SF_SG_E_clIS8_S8_S9_S9_EESD_ST_SE_SF_SG_EUlST_E0_NS1_11comp_targetILNS1_3genE4ELNS1_11target_archE910ELNS1_3gpuE8ELNS1_3repE0EEENS1_38merge_mergepath_config_static_selectorELNS0_4arch9wavefront6targetE1EEEvSF_
; %bb.0:
	s_load_dwordx2 s[14:15], s[4:5], 0x40
	s_load_dword s3, s[4:5], 0x30
	s_add_u32 s0, s4, 64
	s_addc_u32 s1, s5, 0
	s_waitcnt lgkmcnt(0)
	s_mul_i32 s2, s15, s8
	s_add_i32 s2, s2, s7
	s_mul_i32 s2, s2, s14
	s_add_i32 s2, s2, s6
	s_cmp_ge_u32 s2, s3
	s_cbranch_scc1 .LBB2422_31
; %bb.1:
	s_load_dwordx2 s[8:9], s[4:5], 0x28
	s_load_dwordx2 s[10:11], s[4:5], 0x38
	;; [unrolled: 1-line block ×3, first 2 shown]
	s_mov_b32 s3, 0
	v_mov_b32_e32 v9, 0
	s_waitcnt lgkmcnt(0)
	s_lshr_b32 s7, s8, 10
	s_cmp_lg_u32 s2, s7
	s_cselect_b64 s[12:13], -1, 0
	s_lshl_b64 s[18:19], s[2:3], 2
	s_add_u32 s10, s10, s18
	s_addc_u32 s11, s11, s19
	s_load_dwordx2 s[18:19], s[10:11], 0x0
	s_lshr_b32 s10, s9, 9
	s_and_b32 s10, s10, 0x7ffffe
	s_sub_i32 s11, 0, s10
	s_and_b32 s15, s2, s11
	s_lshl_b32 s21, s15, 10
	s_lshl_b32 s10, s2, 10
	;; [unrolled: 1-line block ×3, first 2 shown]
	s_sub_i32 s20, s10, s21
	s_add_i32 s15, s15, s9
	s_add_i32 s22, s15, s20
	s_waitcnt lgkmcnt(0)
	s_sub_i32 s20, s22, s18
	s_sub_i32 s22, s22, s19
	;; [unrolled: 1-line block ×3, first 2 shown]
	s_min_u32 s20, s8, s20
	s_addk_i32 s22, 0x400
	s_or_b32 s11, s2, s11
	s_min_u32 s21, s8, s15
	s_add_i32 s15, s15, s9
	s_cmp_eq_u32 s11, -1
	s_cselect_b32 s9, s15, s22
	s_cselect_b32 s11, s21, s19
	s_min_u32 s15, s9, s8
	s_mov_b32 s19, s3
	s_sub_i32 s9, s11, s18
	s_sub_i32 s15, s15, s20
	s_lshl_b64 s[18:19], s[18:19], 3
	s_add_u32 s18, s16, s18
	s_mov_b32 s21, s3
	s_addc_u32 s19, s17, s19
	s_lshl_b64 s[20:21], s[20:21], 3
	s_add_u32 s16, s16, s20
	s_addc_u32 s17, s17, s21
	s_cmp_lt_u32 s6, s14
	s_cselect_b32 s3, 12, 18
	global_load_dword v1, v9, s[0:1] offset:14
	s_add_u32 s0, s0, s3
	s_addc_u32 s1, s1, 0
	global_load_ushort v2, v9, s[0:1]
	s_cmp_eq_u32 s2, s7
	s_waitcnt vmcnt(1)
	v_lshrrev_b32_e32 v3, 16, v1
	v_and_b32_e32 v1, 0xffff, v1
	v_mul_lo_u32 v1, v1, v3
	s_waitcnt vmcnt(0)
	v_mul_lo_u32 v14, v1, v2
	v_add_u32_e32 v12, v14, v0
	v_lshlrev_b32_e32 v1, 3, v0
	v_add_u32_e32 v10, v12, v14
	s_cbranch_scc1 .LBB2422_3
; %bb.2:
	v_mov_b32_e32 v2, s19
	v_add_co_u32_e32 v4, vcc, s18, v1
	v_subrev_u32_e32 v8, s9, v0
	v_addc_co_u32_e32 v5, vcc, 0, v2, vcc
	v_lshlrev_b64 v[2:3], 3, v[8:9]
	v_mov_b32_e32 v6, s17
	v_add_co_u32_e32 v2, vcc, s16, v2
	v_addc_co_u32_e32 v3, vcc, v6, v3, vcc
	v_cmp_gt_u32_e32 vcc, s9, v0
	v_mov_b32_e32 v13, v9
	v_cndmask_b32_e32 v3, v3, v5, vcc
	v_cndmask_b32_e32 v2, v2, v4, vcc
	v_lshlrev_b64 v[4:5], 3, v[12:13]
	v_mov_b32_e32 v6, s19
	v_add_co_u32_e32 v7, vcc, s18, v4
	v_subrev_u32_e32 v8, s9, v12
	v_addc_co_u32_e32 v6, vcc, v6, v5, vcc
	v_lshlrev_b64 v[4:5], 3, v[8:9]
	v_mov_b32_e32 v8, s17
	v_add_co_u32_e32 v4, vcc, s16, v4
	v_addc_co_u32_e32 v5, vcc, v8, v5, vcc
	v_cmp_gt_u32_e32 vcc, s9, v12
	v_mov_b32_e32 v11, v9
	v_cndmask_b32_e32 v5, v5, v6, vcc
	v_cndmask_b32_e32 v4, v4, v7, vcc
	v_lshlrev_b64 v[6:7], 3, v[10:11]
	v_mov_b32_e32 v8, s19
	v_add_co_u32_e32 v11, vcc, s18, v6
	v_addc_co_u32_e32 v13, vcc, v8, v7, vcc
	v_subrev_u32_e32 v8, s9, v10
	v_lshlrev_b64 v[6:7], 3, v[8:9]
	v_mov_b32_e32 v8, s17
	v_add_co_u32_e32 v6, vcc, s16, v6
	v_addc_co_u32_e32 v7, vcc, v8, v7, vcc
	v_add_u32_e32 v8, v10, v14
	v_cmp_gt_u32_e32 vcc, s9, v10
	v_lshlrev_b64 v[16:17], 3, v[8:9]
	v_cndmask_b32_e32 v7, v7, v13, vcc
	v_cndmask_b32_e32 v6, v6, v11, vcc
	v_mov_b32_e32 v11, s19
	v_add_co_u32_e32 v13, vcc, s18, v16
	v_addc_co_u32_e32 v11, vcc, v11, v17, vcc
	v_cmp_gt_u32_e32 vcc, s9, v8
	v_subrev_u32_e32 v8, s9, v8
	v_lshlrev_b64 v[8:9], 3, v[8:9]
	v_mov_b32_e32 v15, s17
	v_add_co_u32_e64 v8, s[0:1], s16, v8
	v_addc_co_u32_e64 v9, s[0:1], v15, v9, s[0:1]
	v_cndmask_b32_e32 v9, v9, v11, vcc
	v_cndmask_b32_e32 v8, v8, v13, vcc
	global_load_dwordx2 v[2:3], v[2:3], off
	s_add_i32 s11, s15, s9
	global_load_dwordx2 v[4:5], v[4:5], off
	s_nop 0
	global_load_dwordx2 v[6:7], v[6:7], off
	s_nop 0
	global_load_dwordx2 v[8:9], v[8:9], off
	s_load_dwordx2 s[6:7], s[4:5], 0x10
	s_cbranch_execz .LBB2422_4
	s_branch .LBB2422_11
.LBB2422_3:
                                        ; implicit-def: $vgpr2_vgpr3_vgpr4_vgpr5_vgpr6_vgpr7_vgpr8_vgpr9
                                        ; implicit-def: $sgpr11
	s_load_dwordx2 s[6:7], s[4:5], 0x10
.LBB2422_4:
	s_add_i32 s11, s15, s9
	v_cmp_gt_u32_e32 vcc, s11, v0
                                        ; implicit-def: $vgpr2_vgpr3_vgpr4_vgpr5_vgpr6_vgpr7_vgpr8_vgpr9
	s_and_saveexec_b64 s[0:1], vcc
	s_cbranch_execnz .LBB2422_32
; %bb.5:
	s_or_b64 exec, exec, s[0:1]
	v_cmp_gt_u32_e32 vcc, s11, v12
	s_and_saveexec_b64 s[2:3], vcc
	s_cbranch_execnz .LBB2422_33
.LBB2422_6:
	s_or_b64 exec, exec, s[2:3]
	v_cmp_gt_u32_e32 vcc, s11, v10
	s_and_saveexec_b64 s[0:1], vcc
	s_cbranch_execz .LBB2422_8
.LBB2422_7:
	v_mov_b32_e32 v11, 0
	s_waitcnt vmcnt(1)
	v_lshlrev_b64 v[6:7], 3, v[10:11]
	v_mov_b32_e32 v12, s19
	v_add_co_u32_e32 v13, vcc, s18, v6
	v_addc_co_u32_e32 v12, vcc, v12, v7, vcc
	v_subrev_u32_e32 v6, s9, v10
	v_mov_b32_e32 v7, v11
	v_lshlrev_b64 v[6:7], 3, v[6:7]
	v_mov_b32_e32 v11, s17
	v_add_co_u32_e32 v6, vcc, s16, v6
	v_addc_co_u32_e32 v7, vcc, v11, v7, vcc
	v_cmp_gt_u32_e32 vcc, s9, v10
	v_cndmask_b32_e32 v7, v7, v12, vcc
	v_cndmask_b32_e32 v6, v6, v13, vcc
	global_load_dwordx2 v[6:7], v[6:7], off
.LBB2422_8:
	s_or_b64 exec, exec, s[0:1]
	v_add_u32_e32 v10, v10, v14
	v_cmp_gt_u32_e32 vcc, s11, v10
	s_and_saveexec_b64 s[2:3], vcc
	s_cbranch_execz .LBB2422_10
; %bb.9:
	v_mov_b32_e32 v11, 0
	s_waitcnt vmcnt(0)
	v_lshlrev_b64 v[8:9], 3, v[10:11]
	v_mov_b32_e32 v12, s19
	v_add_co_u32_e32 v13, vcc, s18, v8
	v_addc_co_u32_e32 v12, vcc, v12, v9, vcc
	v_cmp_gt_u32_e32 vcc, s9, v10
	v_subrev_u32_e32 v10, s9, v10
	v_lshlrev_b64 v[8:9], 3, v[10:11]
	v_mov_b32_e32 v10, s17
	v_add_co_u32_e64 v8, s[0:1], s16, v8
	v_addc_co_u32_e64 v9, s[0:1], v10, v9, s[0:1]
	v_cndmask_b32_e32 v9, v9, v12, vcc
	v_cndmask_b32_e32 v8, v8, v13, vcc
	global_load_dwordx2 v[8:9], v[8:9], off
.LBB2422_10:
	s_or_b64 exec, exec, s[2:3]
.LBB2422_11:
	v_lshlrev_b32_e32 v10, 2, v0
	v_min_u32_e32 v12, s11, v10
	v_sub_u32_e64 v11, v12, s15 clamp
	v_min_u32_e32 v13, s9, v12
	v_cmp_lt_u32_e32 vcc, v11, v13
	s_waitcnt vmcnt(0)
	ds_write2st64_b64 v1, v[2:3], v[4:5] offset1:4
	ds_write2st64_b64 v1, v[6:7], v[8:9] offset0:8 offset1:12
	s_waitcnt lgkmcnt(0)
	s_barrier
	s_and_saveexec_b64 s[0:1], vcc
	s_cbranch_execz .LBB2422_15
; %bb.12:
	v_lshlrev_b32_e32 v14, 3, v12
	v_lshl_add_u32 v14, s9, 3, v14
	s_mov_b64 s[2:3], 0
.LBB2422_13:                            ; =>This Inner Loop Header: Depth=1
	v_add_u32_e32 v15, v13, v11
	v_lshrrev_b32_e32 v15, 1, v15
	v_not_b32_e32 v16, v15
	v_lshlrev_b32_e32 v17, 3, v15
	v_lshl_add_u32 v18, v16, 3, v14
	ds_read_b64 v[16:17], v17
	ds_read_b64 v[18:19], v18
	v_add_u32_e32 v20, 1, v15
	s_waitcnt lgkmcnt(0)
	v_cmp_gt_u64_e32 vcc, v[18:19], v[16:17]
	v_cndmask_b32_e32 v13, v13, v15, vcc
	v_cndmask_b32_e32 v11, v20, v11, vcc
	v_cmp_ge_u32_e32 vcc, v11, v13
	s_or_b64 s[2:3], vcc, s[2:3]
	s_andn2_b64 exec, exec, s[2:3]
	s_cbranch_execnz .LBB2422_13
; %bb.14:
	s_or_b64 exec, exec, s[2:3]
.LBB2422_15:
	s_or_b64 exec, exec, s[0:1]
	v_sub_u32_e32 v12, v12, v11
	v_add_u32_e32 v12, s9, v12
	v_cmp_ge_u32_e32 vcc, s9, v11
	v_cmp_ge_u32_e64 s[0:1], s11, v12
	s_or_b64 s[0:1], vcc, s[0:1]
	s_and_saveexec_b64 s[14:15], s[0:1]
	s_cbranch_execz .LBB2422_21
; %bb.16:
	v_cmp_gt_u32_e32 vcc, s9, v11
                                        ; implicit-def: $vgpr2_vgpr3
	s_and_saveexec_b64 s[0:1], vcc
	s_cbranch_execz .LBB2422_18
; %bb.17:
	v_lshlrev_b32_e32 v2, 3, v11
	ds_read_b64 v[2:3], v2
.LBB2422_18:
	s_or_b64 exec, exec, s[0:1]
	v_cmp_le_u32_e64 s[0:1], s11, v12
	v_cmp_gt_u32_e64 s[2:3], s11, v12
                                        ; implicit-def: $vgpr4_vgpr5
	s_and_saveexec_b64 s[4:5], s[2:3]
	s_cbranch_execz .LBB2422_20
; %bb.19:
	v_lshlrev_b32_e32 v4, 3, v12
	ds_read_b64 v[4:5], v4
.LBB2422_20:
	s_or_b64 exec, exec, s[4:5]
	s_waitcnt lgkmcnt(0)
	v_cmp_le_u64_e64 s[2:3], v[4:5], v[2:3]
	s_and_b64 s[2:3], vcc, s[2:3]
	s_or_b64 vcc, s[0:1], s[2:3]
	v_mov_b32_e32 v16, s11
	v_mov_b32_e32 v17, s9
	v_cndmask_b32_e32 v6, v12, v11, vcc
	v_cndmask_b32_e32 v7, v16, v17, vcc
	v_add_u32_e32 v13, 1, v6
	v_add_u32_e32 v6, -1, v7
	v_min_u32_e32 v6, v13, v6
	v_lshlrev_b32_e32 v6, 3, v6
	ds_read_b64 v[6:7], v6
	v_cndmask_b32_e32 v11, v11, v13, vcc
	v_cndmask_b32_e32 v18, v13, v12, vcc
	v_cmp_gt_u32_e64 s[2:3], s9, v11
	v_cmp_le_u32_e64 s[0:1], s11, v18
	s_waitcnt lgkmcnt(0)
	v_cndmask_b32_e32 v9, v7, v5, vcc
	v_cndmask_b32_e32 v8, v6, v4, vcc
	;; [unrolled: 1-line block ×4, first 2 shown]
	v_cmp_le_u64_e64 s[4:5], v[8:9], v[6:7]
	s_and_b64 s[2:3], s[2:3], s[4:5]
	s_or_b64 s[0:1], s[0:1], s[2:3]
	v_cndmask_b32_e64 v12, v18, v11, s[0:1]
	v_cndmask_b32_e64 v13, v16, v17, s[0:1]
	v_add_u32_e32 v19, 1, v12
	v_add_u32_e32 v12, -1, v13
	v_min_u32_e32 v12, v19, v12
	v_lshlrev_b32_e32 v12, 3, v12
	ds_read_b64 v[12:13], v12
	v_cndmask_b32_e64 v11, v11, v19, s[0:1]
	v_cndmask_b32_e64 v18, v19, v18, s[0:1]
	v_cmp_gt_u32_e64 s[2:3], s9, v11
	v_cndmask_b32_e32 v3, v5, v3, vcc
	s_waitcnt lgkmcnt(0)
	v_cndmask_b32_e64 v15, v13, v9, s[0:1]
	v_cndmask_b32_e64 v14, v12, v8, s[0:1]
	;; [unrolled: 1-line block ×4, first 2 shown]
	v_cmp_le_u64_e64 s[4:5], v[14:15], v[12:13]
	v_cndmask_b32_e32 v2, v4, v2, vcc
	v_cmp_le_u32_e32 vcc, s11, v18
	s_and_b64 s[2:3], s[2:3], s[4:5]
	s_or_b64 vcc, vcc, s[2:3]
	v_cndmask_b32_e32 v4, v18, v11, vcc
	v_cndmask_b32_e32 v5, v16, v17, vcc
	v_add_u32_e32 v19, 1, v4
	v_add_u32_e32 v4, -1, v5
	v_min_u32_e32 v4, v19, v4
	v_lshlrev_b32_e32 v4, 3, v4
	ds_read_b64 v[16:17], v4
	v_cndmask_b32_e64 v5, v9, v7, s[0:1]
	v_cndmask_b32_e64 v4, v8, v6, s[0:1]
	v_cndmask_b32_e32 v7, v15, v13, vcc
	v_cndmask_b32_e32 v6, v14, v12, vcc
	s_waitcnt lgkmcnt(0)
	v_cndmask_b32_e32 v9, v17, v15, vcc
	v_cndmask_b32_e32 v8, v16, v14, vcc
	v_cndmask_b32_e32 v13, v13, v17, vcc
	v_cndmask_b32_e32 v12, v12, v16, vcc
	v_cndmask_b32_e32 v11, v11, v19, vcc
	v_cndmask_b32_e32 v14, v19, v18, vcc
	v_cmp_gt_u32_e64 s[0:1], s9, v11
	v_cmp_le_u64_e64 s[2:3], v[8:9], v[12:13]
	v_cmp_le_u32_e32 vcc, s11, v14
	s_and_b64 s[0:1], s[0:1], s[2:3]
	s_or_b64 vcc, vcc, s[0:1]
	v_cndmask_b32_e32 v9, v9, v13, vcc
	v_cndmask_b32_e32 v8, v8, v12, vcc
.LBB2422_21:
	s_or_b64 exec, exec, s[14:15]
	v_and_b32_e32 v11, 0xf8, v0
	v_lshl_add_u32 v10, v10, 3, v11
	s_barrier
	s_barrier
	ds_write2_b64 v10, v[2:3], v[4:5] offset1:1
	ds_write2_b64 v10, v[6:7], v[8:9] offset0:2 offset1:3
	v_lshrrev_b32_e32 v2, 2, v0
	v_and_b32_e32 v2, 56, v2
	v_or_b32_e32 v12, 0x100, v0
	v_add_u32_e32 v13, v1, v2
	v_lshrrev_b32_e32 v2, 2, v12
	v_and_b32_e32 v2, 0x78, v2
	v_or_b32_e32 v11, 0x200, v0
	s_mov_b32 s11, 0
	v_add_u32_e32 v6, v1, v2
	v_lshrrev_b32_e32 v2, 2, v11
	s_lshl_b64 s[0:1], s[10:11], 3
	v_and_b32_e32 v2, 0xb8, v2
	v_or_b32_e32 v10, 0x300, v0
	s_add_u32 s0, s6, s0
	v_add_u32_e32 v7, v1, v2
	v_lshrrev_b32_e32 v2, 2, v10
	s_addc_u32 s1, s7, s1
	v_and_b32_e32 v2, 0xf8, v2
	v_add_u32_e32 v14, v1, v2
	v_mov_b32_e32 v3, s1
	v_add_co_u32_e32 v2, vcc, s0, v1
	v_addc_co_u32_e32 v3, vcc, 0, v3, vcc
	s_and_b64 vcc, exec, s[12:13]
	s_waitcnt lgkmcnt(0)
	s_cbranch_vccz .LBB2422_23
; %bb.22:
	s_barrier
	ds_read_b64 v[8:9], v13
	ds_read_b64 v[16:17], v6 offset:2048
	ds_read_b64 v[18:19], v7 offset:4096
	;; [unrolled: 1-line block ×3, first 2 shown]
	s_waitcnt lgkmcnt(3)
	global_store_dwordx2 v[2:3], v[8:9], off
	s_waitcnt lgkmcnt(2)
	global_store_dwordx2 v[2:3], v[16:17], off offset:2048
	v_add_co_u32_e32 v8, vcc, 0x1000, v2
	v_addc_co_u32_e32 v9, vcc, 0, v3, vcc
	s_waitcnt lgkmcnt(1)
	global_store_dwordx2 v[8:9], v[18:19], off
	s_mov_b64 s[0:1], -1
	s_cbranch_execz .LBB2422_24
	s_branch .LBB2422_29
.LBB2422_23:
	s_mov_b64 s[0:1], 0
                                        ; implicit-def: $vgpr4_vgpr5
.LBB2422_24:
	s_barrier
	s_waitcnt lgkmcnt(0)
	ds_read_b64 v[8:9], v6 offset:2048
	ds_read_b64 v[6:7], v7 offset:4096
	;; [unrolled: 1-line block ×3, first 2 shown]
	s_sub_i32 s2, s8, s10
	v_cmp_gt_u32_e32 vcc, s2, v0
	s_and_saveexec_b64 s[0:1], vcc
	s_cbranch_execnz .LBB2422_34
; %bb.25:
	s_or_b64 exec, exec, s[0:1]
	v_cmp_gt_u32_e32 vcc, s2, v12
	s_and_saveexec_b64 s[0:1], vcc
	s_cbranch_execnz .LBB2422_35
.LBB2422_26:
	s_or_b64 exec, exec, s[0:1]
	v_cmp_gt_u32_e32 vcc, s2, v11
	s_and_saveexec_b64 s[0:1], vcc
	s_cbranch_execz .LBB2422_28
.LBB2422_27:
	v_add_co_u32_e32 v0, vcc, 0x1000, v2
	v_addc_co_u32_e32 v1, vcc, 0, v3, vcc
	s_waitcnt lgkmcnt(1)
	global_store_dwordx2 v[0:1], v[6:7], off
.LBB2422_28:
	s_or_b64 exec, exec, s[0:1]
	v_cmp_gt_u32_e64 s[0:1], s2, v10
.LBB2422_29:
	s_and_saveexec_b64 s[2:3], s[0:1]
	s_cbranch_execz .LBB2422_31
; %bb.30:
	v_add_co_u32_e32 v0, vcc, 0x1000, v2
	v_addc_co_u32_e32 v1, vcc, 0, v3, vcc
	s_waitcnt lgkmcnt(0)
	global_store_dwordx2 v[0:1], v[4:5], off offset:2048
.LBB2422_31:
	s_endpgm
.LBB2422_32:
	s_waitcnt vmcnt(3)
	v_mov_b32_e32 v2, s19
	s_waitcnt vmcnt(2)
	v_add_co_u32_e32 v4, vcc, s18, v1
	v_mov_b32_e32 v3, 0
	v_addc_co_u32_e32 v5, vcc, 0, v2, vcc
	v_subrev_u32_e32 v2, s9, v0
	v_lshlrev_b64 v[2:3], 3, v[2:3]
	s_waitcnt vmcnt(1)
	v_mov_b32_e32 v6, s17
	v_add_co_u32_e32 v2, vcc, s16, v2
	v_addc_co_u32_e32 v3, vcc, v6, v3, vcc
	v_cmp_gt_u32_e32 vcc, s9, v0
	v_cndmask_b32_e32 v3, v3, v5, vcc
	v_cndmask_b32_e32 v2, v2, v4, vcc
	global_load_dwordx2 v[2:3], v[2:3], off
	s_or_b64 exec, exec, s[0:1]
	v_cmp_gt_u32_e32 vcc, s11, v12
	s_and_saveexec_b64 s[2:3], vcc
	s_cbranch_execz .LBB2422_6
.LBB2422_33:
	v_mov_b32_e32 v13, 0
	s_waitcnt vmcnt(2)
	v_lshlrev_b64 v[4:5], 3, v[12:13]
	v_mov_b32_e32 v11, s19
	v_add_co_u32_e32 v15, vcc, s18, v4
	v_addc_co_u32_e32 v11, vcc, v11, v5, vcc
	v_cmp_gt_u32_e32 vcc, s9, v12
	v_subrev_u32_e32 v12, s9, v12
	v_lshlrev_b64 v[4:5], 3, v[12:13]
	v_mov_b32_e32 v12, s17
	v_add_co_u32_e64 v4, s[0:1], s16, v4
	v_addc_co_u32_e64 v5, s[0:1], v12, v5, s[0:1]
	v_cndmask_b32_e32 v5, v5, v11, vcc
	v_cndmask_b32_e32 v4, v4, v15, vcc
	global_load_dwordx2 v[4:5], v[4:5], off
	s_or_b64 exec, exec, s[2:3]
	v_cmp_gt_u32_e32 vcc, s11, v10
	s_and_saveexec_b64 s[0:1], vcc
	s_cbranch_execnz .LBB2422_7
	s_branch .LBB2422_8
.LBB2422_34:
	ds_read_b64 v[0:1], v13
	s_waitcnt lgkmcnt(0)
	global_store_dwordx2 v[2:3], v[0:1], off
	s_or_b64 exec, exec, s[0:1]
	v_cmp_gt_u32_e32 vcc, s2, v12
	s_and_saveexec_b64 s[0:1], vcc
	s_cbranch_execz .LBB2422_26
.LBB2422_35:
	s_waitcnt lgkmcnt(2)
	global_store_dwordx2 v[2:3], v[8:9], off offset:2048
	s_or_b64 exec, exec, s[0:1]
	v_cmp_gt_u32_e32 vcc, s2, v11
	s_and_saveexec_b64 s[0:1], vcc
	s_cbranch_execnz .LBB2422_27
	s_branch .LBB2422_28
	.section	.rodata,"a",@progbits
	.p2align	6, 0x0
	.amdhsa_kernel _ZN7rocprim17ROCPRIM_400000_NS6detail17trampoline_kernelINS0_14default_configENS1_38merge_sort_block_merge_config_selectorIyNS0_10empty_typeEEEZZNS1_27merge_sort_block_merge_implIS3_PyPS5_jNS1_19radix_merge_compareILb1ELb0EyNS0_19identity_decomposerEEEEE10hipError_tT0_T1_T2_jT3_P12ihipStream_tbPNSt15iterator_traitsISE_E10value_typeEPNSK_ISF_E10value_typeEPSG_NS1_7vsmem_tEENKUlT_SE_SF_SG_E_clIS8_S8_S9_S9_EESD_ST_SE_SF_SG_EUlST_E0_NS1_11comp_targetILNS1_3genE4ELNS1_11target_archE910ELNS1_3gpuE8ELNS1_3repE0EEENS1_38merge_mergepath_config_static_selectorELNS0_4arch9wavefront6targetE1EEEvSF_
		.amdhsa_group_segment_fixed_size 8448
		.amdhsa_private_segment_fixed_size 0
		.amdhsa_kernarg_size 320
		.amdhsa_user_sgpr_count 6
		.amdhsa_user_sgpr_private_segment_buffer 1
		.amdhsa_user_sgpr_dispatch_ptr 0
		.amdhsa_user_sgpr_queue_ptr 0
		.amdhsa_user_sgpr_kernarg_segment_ptr 1
		.amdhsa_user_sgpr_dispatch_id 0
		.amdhsa_user_sgpr_flat_scratch_init 0
		.amdhsa_user_sgpr_kernarg_preload_length 0
		.amdhsa_user_sgpr_kernarg_preload_offset 0
		.amdhsa_user_sgpr_private_segment_size 0
		.amdhsa_uses_dynamic_stack 0
		.amdhsa_system_sgpr_private_segment_wavefront_offset 0
		.amdhsa_system_sgpr_workgroup_id_x 1
		.amdhsa_system_sgpr_workgroup_id_y 1
		.amdhsa_system_sgpr_workgroup_id_z 1
		.amdhsa_system_sgpr_workgroup_info 0
		.amdhsa_system_vgpr_workitem_id 0
		.amdhsa_next_free_vgpr 21
		.amdhsa_next_free_sgpr 23
		.amdhsa_accum_offset 24
		.amdhsa_reserve_vcc 1
		.amdhsa_reserve_flat_scratch 0
		.amdhsa_float_round_mode_32 0
		.amdhsa_float_round_mode_16_64 0
		.amdhsa_float_denorm_mode_32 3
		.amdhsa_float_denorm_mode_16_64 3
		.amdhsa_dx10_clamp 1
		.amdhsa_ieee_mode 1
		.amdhsa_fp16_overflow 0
		.amdhsa_tg_split 0
		.amdhsa_exception_fp_ieee_invalid_op 0
		.amdhsa_exception_fp_denorm_src 0
		.amdhsa_exception_fp_ieee_div_zero 0
		.amdhsa_exception_fp_ieee_overflow 0
		.amdhsa_exception_fp_ieee_underflow 0
		.amdhsa_exception_fp_ieee_inexact 0
		.amdhsa_exception_int_div_zero 0
	.end_amdhsa_kernel
	.section	.text._ZN7rocprim17ROCPRIM_400000_NS6detail17trampoline_kernelINS0_14default_configENS1_38merge_sort_block_merge_config_selectorIyNS0_10empty_typeEEEZZNS1_27merge_sort_block_merge_implIS3_PyPS5_jNS1_19radix_merge_compareILb1ELb0EyNS0_19identity_decomposerEEEEE10hipError_tT0_T1_T2_jT3_P12ihipStream_tbPNSt15iterator_traitsISE_E10value_typeEPNSK_ISF_E10value_typeEPSG_NS1_7vsmem_tEENKUlT_SE_SF_SG_E_clIS8_S8_S9_S9_EESD_ST_SE_SF_SG_EUlST_E0_NS1_11comp_targetILNS1_3genE4ELNS1_11target_archE910ELNS1_3gpuE8ELNS1_3repE0EEENS1_38merge_mergepath_config_static_selectorELNS0_4arch9wavefront6targetE1EEEvSF_,"axG",@progbits,_ZN7rocprim17ROCPRIM_400000_NS6detail17trampoline_kernelINS0_14default_configENS1_38merge_sort_block_merge_config_selectorIyNS0_10empty_typeEEEZZNS1_27merge_sort_block_merge_implIS3_PyPS5_jNS1_19radix_merge_compareILb1ELb0EyNS0_19identity_decomposerEEEEE10hipError_tT0_T1_T2_jT3_P12ihipStream_tbPNSt15iterator_traitsISE_E10value_typeEPNSK_ISF_E10value_typeEPSG_NS1_7vsmem_tEENKUlT_SE_SF_SG_E_clIS8_S8_S9_S9_EESD_ST_SE_SF_SG_EUlST_E0_NS1_11comp_targetILNS1_3genE4ELNS1_11target_archE910ELNS1_3gpuE8ELNS1_3repE0EEENS1_38merge_mergepath_config_static_selectorELNS0_4arch9wavefront6targetE1EEEvSF_,comdat
.Lfunc_end2422:
	.size	_ZN7rocprim17ROCPRIM_400000_NS6detail17trampoline_kernelINS0_14default_configENS1_38merge_sort_block_merge_config_selectorIyNS0_10empty_typeEEEZZNS1_27merge_sort_block_merge_implIS3_PyPS5_jNS1_19radix_merge_compareILb1ELb0EyNS0_19identity_decomposerEEEEE10hipError_tT0_T1_T2_jT3_P12ihipStream_tbPNSt15iterator_traitsISE_E10value_typeEPNSK_ISF_E10value_typeEPSG_NS1_7vsmem_tEENKUlT_SE_SF_SG_E_clIS8_S8_S9_S9_EESD_ST_SE_SF_SG_EUlST_E0_NS1_11comp_targetILNS1_3genE4ELNS1_11target_archE910ELNS1_3gpuE8ELNS1_3repE0EEENS1_38merge_mergepath_config_static_selectorELNS0_4arch9wavefront6targetE1EEEvSF_, .Lfunc_end2422-_ZN7rocprim17ROCPRIM_400000_NS6detail17trampoline_kernelINS0_14default_configENS1_38merge_sort_block_merge_config_selectorIyNS0_10empty_typeEEEZZNS1_27merge_sort_block_merge_implIS3_PyPS5_jNS1_19radix_merge_compareILb1ELb0EyNS0_19identity_decomposerEEEEE10hipError_tT0_T1_T2_jT3_P12ihipStream_tbPNSt15iterator_traitsISE_E10value_typeEPNSK_ISF_E10value_typeEPSG_NS1_7vsmem_tEENKUlT_SE_SF_SG_E_clIS8_S8_S9_S9_EESD_ST_SE_SF_SG_EUlST_E0_NS1_11comp_targetILNS1_3genE4ELNS1_11target_archE910ELNS1_3gpuE8ELNS1_3repE0EEENS1_38merge_mergepath_config_static_selectorELNS0_4arch9wavefront6targetE1EEEvSF_
                                        ; -- End function
	.section	.AMDGPU.csdata,"",@progbits
; Kernel info:
; codeLenInByte = 2180
; NumSgprs: 27
; NumVgprs: 21
; NumAgprs: 0
; TotalNumVgprs: 21
; ScratchSize: 0
; MemoryBound: 0
; FloatMode: 240
; IeeeMode: 1
; LDSByteSize: 8448 bytes/workgroup (compile time only)
; SGPRBlocks: 3
; VGPRBlocks: 2
; NumSGPRsForWavesPerEU: 27
; NumVGPRsForWavesPerEU: 21
; AccumOffset: 24
; Occupancy: 7
; WaveLimiterHint : 1
; COMPUTE_PGM_RSRC2:SCRATCH_EN: 0
; COMPUTE_PGM_RSRC2:USER_SGPR: 6
; COMPUTE_PGM_RSRC2:TRAP_HANDLER: 0
; COMPUTE_PGM_RSRC2:TGID_X_EN: 1
; COMPUTE_PGM_RSRC2:TGID_Y_EN: 1
; COMPUTE_PGM_RSRC2:TGID_Z_EN: 1
; COMPUTE_PGM_RSRC2:TIDIG_COMP_CNT: 0
; COMPUTE_PGM_RSRC3_GFX90A:ACCUM_OFFSET: 5
; COMPUTE_PGM_RSRC3_GFX90A:TG_SPLIT: 0
	.section	.text._ZN7rocprim17ROCPRIM_400000_NS6detail17trampoline_kernelINS0_14default_configENS1_38merge_sort_block_merge_config_selectorIyNS0_10empty_typeEEEZZNS1_27merge_sort_block_merge_implIS3_PyPS5_jNS1_19radix_merge_compareILb1ELb0EyNS0_19identity_decomposerEEEEE10hipError_tT0_T1_T2_jT3_P12ihipStream_tbPNSt15iterator_traitsISE_E10value_typeEPNSK_ISF_E10value_typeEPSG_NS1_7vsmem_tEENKUlT_SE_SF_SG_E_clIS8_S8_S9_S9_EESD_ST_SE_SF_SG_EUlST_E0_NS1_11comp_targetILNS1_3genE3ELNS1_11target_archE908ELNS1_3gpuE7ELNS1_3repE0EEENS1_38merge_mergepath_config_static_selectorELNS0_4arch9wavefront6targetE1EEEvSF_,"axG",@progbits,_ZN7rocprim17ROCPRIM_400000_NS6detail17trampoline_kernelINS0_14default_configENS1_38merge_sort_block_merge_config_selectorIyNS0_10empty_typeEEEZZNS1_27merge_sort_block_merge_implIS3_PyPS5_jNS1_19radix_merge_compareILb1ELb0EyNS0_19identity_decomposerEEEEE10hipError_tT0_T1_T2_jT3_P12ihipStream_tbPNSt15iterator_traitsISE_E10value_typeEPNSK_ISF_E10value_typeEPSG_NS1_7vsmem_tEENKUlT_SE_SF_SG_E_clIS8_S8_S9_S9_EESD_ST_SE_SF_SG_EUlST_E0_NS1_11comp_targetILNS1_3genE3ELNS1_11target_archE908ELNS1_3gpuE7ELNS1_3repE0EEENS1_38merge_mergepath_config_static_selectorELNS0_4arch9wavefront6targetE1EEEvSF_,comdat
	.protected	_ZN7rocprim17ROCPRIM_400000_NS6detail17trampoline_kernelINS0_14default_configENS1_38merge_sort_block_merge_config_selectorIyNS0_10empty_typeEEEZZNS1_27merge_sort_block_merge_implIS3_PyPS5_jNS1_19radix_merge_compareILb1ELb0EyNS0_19identity_decomposerEEEEE10hipError_tT0_T1_T2_jT3_P12ihipStream_tbPNSt15iterator_traitsISE_E10value_typeEPNSK_ISF_E10value_typeEPSG_NS1_7vsmem_tEENKUlT_SE_SF_SG_E_clIS8_S8_S9_S9_EESD_ST_SE_SF_SG_EUlST_E0_NS1_11comp_targetILNS1_3genE3ELNS1_11target_archE908ELNS1_3gpuE7ELNS1_3repE0EEENS1_38merge_mergepath_config_static_selectorELNS0_4arch9wavefront6targetE1EEEvSF_ ; -- Begin function _ZN7rocprim17ROCPRIM_400000_NS6detail17trampoline_kernelINS0_14default_configENS1_38merge_sort_block_merge_config_selectorIyNS0_10empty_typeEEEZZNS1_27merge_sort_block_merge_implIS3_PyPS5_jNS1_19radix_merge_compareILb1ELb0EyNS0_19identity_decomposerEEEEE10hipError_tT0_T1_T2_jT3_P12ihipStream_tbPNSt15iterator_traitsISE_E10value_typeEPNSK_ISF_E10value_typeEPSG_NS1_7vsmem_tEENKUlT_SE_SF_SG_E_clIS8_S8_S9_S9_EESD_ST_SE_SF_SG_EUlST_E0_NS1_11comp_targetILNS1_3genE3ELNS1_11target_archE908ELNS1_3gpuE7ELNS1_3repE0EEENS1_38merge_mergepath_config_static_selectorELNS0_4arch9wavefront6targetE1EEEvSF_
	.globl	_ZN7rocprim17ROCPRIM_400000_NS6detail17trampoline_kernelINS0_14default_configENS1_38merge_sort_block_merge_config_selectorIyNS0_10empty_typeEEEZZNS1_27merge_sort_block_merge_implIS3_PyPS5_jNS1_19radix_merge_compareILb1ELb0EyNS0_19identity_decomposerEEEEE10hipError_tT0_T1_T2_jT3_P12ihipStream_tbPNSt15iterator_traitsISE_E10value_typeEPNSK_ISF_E10value_typeEPSG_NS1_7vsmem_tEENKUlT_SE_SF_SG_E_clIS8_S8_S9_S9_EESD_ST_SE_SF_SG_EUlST_E0_NS1_11comp_targetILNS1_3genE3ELNS1_11target_archE908ELNS1_3gpuE7ELNS1_3repE0EEENS1_38merge_mergepath_config_static_selectorELNS0_4arch9wavefront6targetE1EEEvSF_
	.p2align	8
	.type	_ZN7rocprim17ROCPRIM_400000_NS6detail17trampoline_kernelINS0_14default_configENS1_38merge_sort_block_merge_config_selectorIyNS0_10empty_typeEEEZZNS1_27merge_sort_block_merge_implIS3_PyPS5_jNS1_19radix_merge_compareILb1ELb0EyNS0_19identity_decomposerEEEEE10hipError_tT0_T1_T2_jT3_P12ihipStream_tbPNSt15iterator_traitsISE_E10value_typeEPNSK_ISF_E10value_typeEPSG_NS1_7vsmem_tEENKUlT_SE_SF_SG_E_clIS8_S8_S9_S9_EESD_ST_SE_SF_SG_EUlST_E0_NS1_11comp_targetILNS1_3genE3ELNS1_11target_archE908ELNS1_3gpuE7ELNS1_3repE0EEENS1_38merge_mergepath_config_static_selectorELNS0_4arch9wavefront6targetE1EEEvSF_,@function
_ZN7rocprim17ROCPRIM_400000_NS6detail17trampoline_kernelINS0_14default_configENS1_38merge_sort_block_merge_config_selectorIyNS0_10empty_typeEEEZZNS1_27merge_sort_block_merge_implIS3_PyPS5_jNS1_19radix_merge_compareILb1ELb0EyNS0_19identity_decomposerEEEEE10hipError_tT0_T1_T2_jT3_P12ihipStream_tbPNSt15iterator_traitsISE_E10value_typeEPNSK_ISF_E10value_typeEPSG_NS1_7vsmem_tEENKUlT_SE_SF_SG_E_clIS8_S8_S9_S9_EESD_ST_SE_SF_SG_EUlST_E0_NS1_11comp_targetILNS1_3genE3ELNS1_11target_archE908ELNS1_3gpuE7ELNS1_3repE0EEENS1_38merge_mergepath_config_static_selectorELNS0_4arch9wavefront6targetE1EEEvSF_: ; @_ZN7rocprim17ROCPRIM_400000_NS6detail17trampoline_kernelINS0_14default_configENS1_38merge_sort_block_merge_config_selectorIyNS0_10empty_typeEEEZZNS1_27merge_sort_block_merge_implIS3_PyPS5_jNS1_19radix_merge_compareILb1ELb0EyNS0_19identity_decomposerEEEEE10hipError_tT0_T1_T2_jT3_P12ihipStream_tbPNSt15iterator_traitsISE_E10value_typeEPNSK_ISF_E10value_typeEPSG_NS1_7vsmem_tEENKUlT_SE_SF_SG_E_clIS8_S8_S9_S9_EESD_ST_SE_SF_SG_EUlST_E0_NS1_11comp_targetILNS1_3genE3ELNS1_11target_archE908ELNS1_3gpuE7ELNS1_3repE0EEENS1_38merge_mergepath_config_static_selectorELNS0_4arch9wavefront6targetE1EEEvSF_
; %bb.0:
	.section	.rodata,"a",@progbits
	.p2align	6, 0x0
	.amdhsa_kernel _ZN7rocprim17ROCPRIM_400000_NS6detail17trampoline_kernelINS0_14default_configENS1_38merge_sort_block_merge_config_selectorIyNS0_10empty_typeEEEZZNS1_27merge_sort_block_merge_implIS3_PyPS5_jNS1_19radix_merge_compareILb1ELb0EyNS0_19identity_decomposerEEEEE10hipError_tT0_T1_T2_jT3_P12ihipStream_tbPNSt15iterator_traitsISE_E10value_typeEPNSK_ISF_E10value_typeEPSG_NS1_7vsmem_tEENKUlT_SE_SF_SG_E_clIS8_S8_S9_S9_EESD_ST_SE_SF_SG_EUlST_E0_NS1_11comp_targetILNS1_3genE3ELNS1_11target_archE908ELNS1_3gpuE7ELNS1_3repE0EEENS1_38merge_mergepath_config_static_selectorELNS0_4arch9wavefront6targetE1EEEvSF_
		.amdhsa_group_segment_fixed_size 0
		.amdhsa_private_segment_fixed_size 0
		.amdhsa_kernarg_size 64
		.amdhsa_user_sgpr_count 6
		.amdhsa_user_sgpr_private_segment_buffer 1
		.amdhsa_user_sgpr_dispatch_ptr 0
		.amdhsa_user_sgpr_queue_ptr 0
		.amdhsa_user_sgpr_kernarg_segment_ptr 1
		.amdhsa_user_sgpr_dispatch_id 0
		.amdhsa_user_sgpr_flat_scratch_init 0
		.amdhsa_user_sgpr_kernarg_preload_length 0
		.amdhsa_user_sgpr_kernarg_preload_offset 0
		.amdhsa_user_sgpr_private_segment_size 0
		.amdhsa_uses_dynamic_stack 0
		.amdhsa_system_sgpr_private_segment_wavefront_offset 0
		.amdhsa_system_sgpr_workgroup_id_x 1
		.amdhsa_system_sgpr_workgroup_id_y 0
		.amdhsa_system_sgpr_workgroup_id_z 0
		.amdhsa_system_sgpr_workgroup_info 0
		.amdhsa_system_vgpr_workitem_id 0
		.amdhsa_next_free_vgpr 1
		.amdhsa_next_free_sgpr 0
		.amdhsa_accum_offset 4
		.amdhsa_reserve_vcc 0
		.amdhsa_reserve_flat_scratch 0
		.amdhsa_float_round_mode_32 0
		.amdhsa_float_round_mode_16_64 0
		.amdhsa_float_denorm_mode_32 3
		.amdhsa_float_denorm_mode_16_64 3
		.amdhsa_dx10_clamp 1
		.amdhsa_ieee_mode 1
		.amdhsa_fp16_overflow 0
		.amdhsa_tg_split 0
		.amdhsa_exception_fp_ieee_invalid_op 0
		.amdhsa_exception_fp_denorm_src 0
		.amdhsa_exception_fp_ieee_div_zero 0
		.amdhsa_exception_fp_ieee_overflow 0
		.amdhsa_exception_fp_ieee_underflow 0
		.amdhsa_exception_fp_ieee_inexact 0
		.amdhsa_exception_int_div_zero 0
	.end_amdhsa_kernel
	.section	.text._ZN7rocprim17ROCPRIM_400000_NS6detail17trampoline_kernelINS0_14default_configENS1_38merge_sort_block_merge_config_selectorIyNS0_10empty_typeEEEZZNS1_27merge_sort_block_merge_implIS3_PyPS5_jNS1_19radix_merge_compareILb1ELb0EyNS0_19identity_decomposerEEEEE10hipError_tT0_T1_T2_jT3_P12ihipStream_tbPNSt15iterator_traitsISE_E10value_typeEPNSK_ISF_E10value_typeEPSG_NS1_7vsmem_tEENKUlT_SE_SF_SG_E_clIS8_S8_S9_S9_EESD_ST_SE_SF_SG_EUlST_E0_NS1_11comp_targetILNS1_3genE3ELNS1_11target_archE908ELNS1_3gpuE7ELNS1_3repE0EEENS1_38merge_mergepath_config_static_selectorELNS0_4arch9wavefront6targetE1EEEvSF_,"axG",@progbits,_ZN7rocprim17ROCPRIM_400000_NS6detail17trampoline_kernelINS0_14default_configENS1_38merge_sort_block_merge_config_selectorIyNS0_10empty_typeEEEZZNS1_27merge_sort_block_merge_implIS3_PyPS5_jNS1_19radix_merge_compareILb1ELb0EyNS0_19identity_decomposerEEEEE10hipError_tT0_T1_T2_jT3_P12ihipStream_tbPNSt15iterator_traitsISE_E10value_typeEPNSK_ISF_E10value_typeEPSG_NS1_7vsmem_tEENKUlT_SE_SF_SG_E_clIS8_S8_S9_S9_EESD_ST_SE_SF_SG_EUlST_E0_NS1_11comp_targetILNS1_3genE3ELNS1_11target_archE908ELNS1_3gpuE7ELNS1_3repE0EEENS1_38merge_mergepath_config_static_selectorELNS0_4arch9wavefront6targetE1EEEvSF_,comdat
.Lfunc_end2423:
	.size	_ZN7rocprim17ROCPRIM_400000_NS6detail17trampoline_kernelINS0_14default_configENS1_38merge_sort_block_merge_config_selectorIyNS0_10empty_typeEEEZZNS1_27merge_sort_block_merge_implIS3_PyPS5_jNS1_19radix_merge_compareILb1ELb0EyNS0_19identity_decomposerEEEEE10hipError_tT0_T1_T2_jT3_P12ihipStream_tbPNSt15iterator_traitsISE_E10value_typeEPNSK_ISF_E10value_typeEPSG_NS1_7vsmem_tEENKUlT_SE_SF_SG_E_clIS8_S8_S9_S9_EESD_ST_SE_SF_SG_EUlST_E0_NS1_11comp_targetILNS1_3genE3ELNS1_11target_archE908ELNS1_3gpuE7ELNS1_3repE0EEENS1_38merge_mergepath_config_static_selectorELNS0_4arch9wavefront6targetE1EEEvSF_, .Lfunc_end2423-_ZN7rocprim17ROCPRIM_400000_NS6detail17trampoline_kernelINS0_14default_configENS1_38merge_sort_block_merge_config_selectorIyNS0_10empty_typeEEEZZNS1_27merge_sort_block_merge_implIS3_PyPS5_jNS1_19radix_merge_compareILb1ELb0EyNS0_19identity_decomposerEEEEE10hipError_tT0_T1_T2_jT3_P12ihipStream_tbPNSt15iterator_traitsISE_E10value_typeEPNSK_ISF_E10value_typeEPSG_NS1_7vsmem_tEENKUlT_SE_SF_SG_E_clIS8_S8_S9_S9_EESD_ST_SE_SF_SG_EUlST_E0_NS1_11comp_targetILNS1_3genE3ELNS1_11target_archE908ELNS1_3gpuE7ELNS1_3repE0EEENS1_38merge_mergepath_config_static_selectorELNS0_4arch9wavefront6targetE1EEEvSF_
                                        ; -- End function
	.section	.AMDGPU.csdata,"",@progbits
; Kernel info:
; codeLenInByte = 0
; NumSgprs: 4
; NumVgprs: 0
; NumAgprs: 0
; TotalNumVgprs: 0
; ScratchSize: 0
; MemoryBound: 0
; FloatMode: 240
; IeeeMode: 1
; LDSByteSize: 0 bytes/workgroup (compile time only)
; SGPRBlocks: 0
; VGPRBlocks: 0
; NumSGPRsForWavesPerEU: 4
; NumVGPRsForWavesPerEU: 1
; AccumOffset: 4
; Occupancy: 8
; WaveLimiterHint : 0
; COMPUTE_PGM_RSRC2:SCRATCH_EN: 0
; COMPUTE_PGM_RSRC2:USER_SGPR: 6
; COMPUTE_PGM_RSRC2:TRAP_HANDLER: 0
; COMPUTE_PGM_RSRC2:TGID_X_EN: 1
; COMPUTE_PGM_RSRC2:TGID_Y_EN: 0
; COMPUTE_PGM_RSRC2:TGID_Z_EN: 0
; COMPUTE_PGM_RSRC2:TIDIG_COMP_CNT: 0
; COMPUTE_PGM_RSRC3_GFX90A:ACCUM_OFFSET: 0
; COMPUTE_PGM_RSRC3_GFX90A:TG_SPLIT: 0
	.section	.text._ZN7rocprim17ROCPRIM_400000_NS6detail17trampoline_kernelINS0_14default_configENS1_38merge_sort_block_merge_config_selectorIyNS0_10empty_typeEEEZZNS1_27merge_sort_block_merge_implIS3_PyPS5_jNS1_19radix_merge_compareILb1ELb0EyNS0_19identity_decomposerEEEEE10hipError_tT0_T1_T2_jT3_P12ihipStream_tbPNSt15iterator_traitsISE_E10value_typeEPNSK_ISF_E10value_typeEPSG_NS1_7vsmem_tEENKUlT_SE_SF_SG_E_clIS8_S8_S9_S9_EESD_ST_SE_SF_SG_EUlST_E0_NS1_11comp_targetILNS1_3genE2ELNS1_11target_archE906ELNS1_3gpuE6ELNS1_3repE0EEENS1_38merge_mergepath_config_static_selectorELNS0_4arch9wavefront6targetE1EEEvSF_,"axG",@progbits,_ZN7rocprim17ROCPRIM_400000_NS6detail17trampoline_kernelINS0_14default_configENS1_38merge_sort_block_merge_config_selectorIyNS0_10empty_typeEEEZZNS1_27merge_sort_block_merge_implIS3_PyPS5_jNS1_19radix_merge_compareILb1ELb0EyNS0_19identity_decomposerEEEEE10hipError_tT0_T1_T2_jT3_P12ihipStream_tbPNSt15iterator_traitsISE_E10value_typeEPNSK_ISF_E10value_typeEPSG_NS1_7vsmem_tEENKUlT_SE_SF_SG_E_clIS8_S8_S9_S9_EESD_ST_SE_SF_SG_EUlST_E0_NS1_11comp_targetILNS1_3genE2ELNS1_11target_archE906ELNS1_3gpuE6ELNS1_3repE0EEENS1_38merge_mergepath_config_static_selectorELNS0_4arch9wavefront6targetE1EEEvSF_,comdat
	.protected	_ZN7rocprim17ROCPRIM_400000_NS6detail17trampoline_kernelINS0_14default_configENS1_38merge_sort_block_merge_config_selectorIyNS0_10empty_typeEEEZZNS1_27merge_sort_block_merge_implIS3_PyPS5_jNS1_19radix_merge_compareILb1ELb0EyNS0_19identity_decomposerEEEEE10hipError_tT0_T1_T2_jT3_P12ihipStream_tbPNSt15iterator_traitsISE_E10value_typeEPNSK_ISF_E10value_typeEPSG_NS1_7vsmem_tEENKUlT_SE_SF_SG_E_clIS8_S8_S9_S9_EESD_ST_SE_SF_SG_EUlST_E0_NS1_11comp_targetILNS1_3genE2ELNS1_11target_archE906ELNS1_3gpuE6ELNS1_3repE0EEENS1_38merge_mergepath_config_static_selectorELNS0_4arch9wavefront6targetE1EEEvSF_ ; -- Begin function _ZN7rocprim17ROCPRIM_400000_NS6detail17trampoline_kernelINS0_14default_configENS1_38merge_sort_block_merge_config_selectorIyNS0_10empty_typeEEEZZNS1_27merge_sort_block_merge_implIS3_PyPS5_jNS1_19radix_merge_compareILb1ELb0EyNS0_19identity_decomposerEEEEE10hipError_tT0_T1_T2_jT3_P12ihipStream_tbPNSt15iterator_traitsISE_E10value_typeEPNSK_ISF_E10value_typeEPSG_NS1_7vsmem_tEENKUlT_SE_SF_SG_E_clIS8_S8_S9_S9_EESD_ST_SE_SF_SG_EUlST_E0_NS1_11comp_targetILNS1_3genE2ELNS1_11target_archE906ELNS1_3gpuE6ELNS1_3repE0EEENS1_38merge_mergepath_config_static_selectorELNS0_4arch9wavefront6targetE1EEEvSF_
	.globl	_ZN7rocprim17ROCPRIM_400000_NS6detail17trampoline_kernelINS0_14default_configENS1_38merge_sort_block_merge_config_selectorIyNS0_10empty_typeEEEZZNS1_27merge_sort_block_merge_implIS3_PyPS5_jNS1_19radix_merge_compareILb1ELb0EyNS0_19identity_decomposerEEEEE10hipError_tT0_T1_T2_jT3_P12ihipStream_tbPNSt15iterator_traitsISE_E10value_typeEPNSK_ISF_E10value_typeEPSG_NS1_7vsmem_tEENKUlT_SE_SF_SG_E_clIS8_S8_S9_S9_EESD_ST_SE_SF_SG_EUlST_E0_NS1_11comp_targetILNS1_3genE2ELNS1_11target_archE906ELNS1_3gpuE6ELNS1_3repE0EEENS1_38merge_mergepath_config_static_selectorELNS0_4arch9wavefront6targetE1EEEvSF_
	.p2align	8
	.type	_ZN7rocprim17ROCPRIM_400000_NS6detail17trampoline_kernelINS0_14default_configENS1_38merge_sort_block_merge_config_selectorIyNS0_10empty_typeEEEZZNS1_27merge_sort_block_merge_implIS3_PyPS5_jNS1_19radix_merge_compareILb1ELb0EyNS0_19identity_decomposerEEEEE10hipError_tT0_T1_T2_jT3_P12ihipStream_tbPNSt15iterator_traitsISE_E10value_typeEPNSK_ISF_E10value_typeEPSG_NS1_7vsmem_tEENKUlT_SE_SF_SG_E_clIS8_S8_S9_S9_EESD_ST_SE_SF_SG_EUlST_E0_NS1_11comp_targetILNS1_3genE2ELNS1_11target_archE906ELNS1_3gpuE6ELNS1_3repE0EEENS1_38merge_mergepath_config_static_selectorELNS0_4arch9wavefront6targetE1EEEvSF_,@function
_ZN7rocprim17ROCPRIM_400000_NS6detail17trampoline_kernelINS0_14default_configENS1_38merge_sort_block_merge_config_selectorIyNS0_10empty_typeEEEZZNS1_27merge_sort_block_merge_implIS3_PyPS5_jNS1_19radix_merge_compareILb1ELb0EyNS0_19identity_decomposerEEEEE10hipError_tT0_T1_T2_jT3_P12ihipStream_tbPNSt15iterator_traitsISE_E10value_typeEPNSK_ISF_E10value_typeEPSG_NS1_7vsmem_tEENKUlT_SE_SF_SG_E_clIS8_S8_S9_S9_EESD_ST_SE_SF_SG_EUlST_E0_NS1_11comp_targetILNS1_3genE2ELNS1_11target_archE906ELNS1_3gpuE6ELNS1_3repE0EEENS1_38merge_mergepath_config_static_selectorELNS0_4arch9wavefront6targetE1EEEvSF_: ; @_ZN7rocprim17ROCPRIM_400000_NS6detail17trampoline_kernelINS0_14default_configENS1_38merge_sort_block_merge_config_selectorIyNS0_10empty_typeEEEZZNS1_27merge_sort_block_merge_implIS3_PyPS5_jNS1_19radix_merge_compareILb1ELb0EyNS0_19identity_decomposerEEEEE10hipError_tT0_T1_T2_jT3_P12ihipStream_tbPNSt15iterator_traitsISE_E10value_typeEPNSK_ISF_E10value_typeEPSG_NS1_7vsmem_tEENKUlT_SE_SF_SG_E_clIS8_S8_S9_S9_EESD_ST_SE_SF_SG_EUlST_E0_NS1_11comp_targetILNS1_3genE2ELNS1_11target_archE906ELNS1_3gpuE6ELNS1_3repE0EEENS1_38merge_mergepath_config_static_selectorELNS0_4arch9wavefront6targetE1EEEvSF_
; %bb.0:
	.section	.rodata,"a",@progbits
	.p2align	6, 0x0
	.amdhsa_kernel _ZN7rocprim17ROCPRIM_400000_NS6detail17trampoline_kernelINS0_14default_configENS1_38merge_sort_block_merge_config_selectorIyNS0_10empty_typeEEEZZNS1_27merge_sort_block_merge_implIS3_PyPS5_jNS1_19radix_merge_compareILb1ELb0EyNS0_19identity_decomposerEEEEE10hipError_tT0_T1_T2_jT3_P12ihipStream_tbPNSt15iterator_traitsISE_E10value_typeEPNSK_ISF_E10value_typeEPSG_NS1_7vsmem_tEENKUlT_SE_SF_SG_E_clIS8_S8_S9_S9_EESD_ST_SE_SF_SG_EUlST_E0_NS1_11comp_targetILNS1_3genE2ELNS1_11target_archE906ELNS1_3gpuE6ELNS1_3repE0EEENS1_38merge_mergepath_config_static_selectorELNS0_4arch9wavefront6targetE1EEEvSF_
		.amdhsa_group_segment_fixed_size 0
		.amdhsa_private_segment_fixed_size 0
		.amdhsa_kernarg_size 64
		.amdhsa_user_sgpr_count 6
		.amdhsa_user_sgpr_private_segment_buffer 1
		.amdhsa_user_sgpr_dispatch_ptr 0
		.amdhsa_user_sgpr_queue_ptr 0
		.amdhsa_user_sgpr_kernarg_segment_ptr 1
		.amdhsa_user_sgpr_dispatch_id 0
		.amdhsa_user_sgpr_flat_scratch_init 0
		.amdhsa_user_sgpr_kernarg_preload_length 0
		.amdhsa_user_sgpr_kernarg_preload_offset 0
		.amdhsa_user_sgpr_private_segment_size 0
		.amdhsa_uses_dynamic_stack 0
		.amdhsa_system_sgpr_private_segment_wavefront_offset 0
		.amdhsa_system_sgpr_workgroup_id_x 1
		.amdhsa_system_sgpr_workgroup_id_y 0
		.amdhsa_system_sgpr_workgroup_id_z 0
		.amdhsa_system_sgpr_workgroup_info 0
		.amdhsa_system_vgpr_workitem_id 0
		.amdhsa_next_free_vgpr 1
		.amdhsa_next_free_sgpr 0
		.amdhsa_accum_offset 4
		.amdhsa_reserve_vcc 0
		.amdhsa_reserve_flat_scratch 0
		.amdhsa_float_round_mode_32 0
		.amdhsa_float_round_mode_16_64 0
		.amdhsa_float_denorm_mode_32 3
		.amdhsa_float_denorm_mode_16_64 3
		.amdhsa_dx10_clamp 1
		.amdhsa_ieee_mode 1
		.amdhsa_fp16_overflow 0
		.amdhsa_tg_split 0
		.amdhsa_exception_fp_ieee_invalid_op 0
		.amdhsa_exception_fp_denorm_src 0
		.amdhsa_exception_fp_ieee_div_zero 0
		.amdhsa_exception_fp_ieee_overflow 0
		.amdhsa_exception_fp_ieee_underflow 0
		.amdhsa_exception_fp_ieee_inexact 0
		.amdhsa_exception_int_div_zero 0
	.end_amdhsa_kernel
	.section	.text._ZN7rocprim17ROCPRIM_400000_NS6detail17trampoline_kernelINS0_14default_configENS1_38merge_sort_block_merge_config_selectorIyNS0_10empty_typeEEEZZNS1_27merge_sort_block_merge_implIS3_PyPS5_jNS1_19radix_merge_compareILb1ELb0EyNS0_19identity_decomposerEEEEE10hipError_tT0_T1_T2_jT3_P12ihipStream_tbPNSt15iterator_traitsISE_E10value_typeEPNSK_ISF_E10value_typeEPSG_NS1_7vsmem_tEENKUlT_SE_SF_SG_E_clIS8_S8_S9_S9_EESD_ST_SE_SF_SG_EUlST_E0_NS1_11comp_targetILNS1_3genE2ELNS1_11target_archE906ELNS1_3gpuE6ELNS1_3repE0EEENS1_38merge_mergepath_config_static_selectorELNS0_4arch9wavefront6targetE1EEEvSF_,"axG",@progbits,_ZN7rocprim17ROCPRIM_400000_NS6detail17trampoline_kernelINS0_14default_configENS1_38merge_sort_block_merge_config_selectorIyNS0_10empty_typeEEEZZNS1_27merge_sort_block_merge_implIS3_PyPS5_jNS1_19radix_merge_compareILb1ELb0EyNS0_19identity_decomposerEEEEE10hipError_tT0_T1_T2_jT3_P12ihipStream_tbPNSt15iterator_traitsISE_E10value_typeEPNSK_ISF_E10value_typeEPSG_NS1_7vsmem_tEENKUlT_SE_SF_SG_E_clIS8_S8_S9_S9_EESD_ST_SE_SF_SG_EUlST_E0_NS1_11comp_targetILNS1_3genE2ELNS1_11target_archE906ELNS1_3gpuE6ELNS1_3repE0EEENS1_38merge_mergepath_config_static_selectorELNS0_4arch9wavefront6targetE1EEEvSF_,comdat
.Lfunc_end2424:
	.size	_ZN7rocprim17ROCPRIM_400000_NS6detail17trampoline_kernelINS0_14default_configENS1_38merge_sort_block_merge_config_selectorIyNS0_10empty_typeEEEZZNS1_27merge_sort_block_merge_implIS3_PyPS5_jNS1_19radix_merge_compareILb1ELb0EyNS0_19identity_decomposerEEEEE10hipError_tT0_T1_T2_jT3_P12ihipStream_tbPNSt15iterator_traitsISE_E10value_typeEPNSK_ISF_E10value_typeEPSG_NS1_7vsmem_tEENKUlT_SE_SF_SG_E_clIS8_S8_S9_S9_EESD_ST_SE_SF_SG_EUlST_E0_NS1_11comp_targetILNS1_3genE2ELNS1_11target_archE906ELNS1_3gpuE6ELNS1_3repE0EEENS1_38merge_mergepath_config_static_selectorELNS0_4arch9wavefront6targetE1EEEvSF_, .Lfunc_end2424-_ZN7rocprim17ROCPRIM_400000_NS6detail17trampoline_kernelINS0_14default_configENS1_38merge_sort_block_merge_config_selectorIyNS0_10empty_typeEEEZZNS1_27merge_sort_block_merge_implIS3_PyPS5_jNS1_19radix_merge_compareILb1ELb0EyNS0_19identity_decomposerEEEEE10hipError_tT0_T1_T2_jT3_P12ihipStream_tbPNSt15iterator_traitsISE_E10value_typeEPNSK_ISF_E10value_typeEPSG_NS1_7vsmem_tEENKUlT_SE_SF_SG_E_clIS8_S8_S9_S9_EESD_ST_SE_SF_SG_EUlST_E0_NS1_11comp_targetILNS1_3genE2ELNS1_11target_archE906ELNS1_3gpuE6ELNS1_3repE0EEENS1_38merge_mergepath_config_static_selectorELNS0_4arch9wavefront6targetE1EEEvSF_
                                        ; -- End function
	.section	.AMDGPU.csdata,"",@progbits
; Kernel info:
; codeLenInByte = 0
; NumSgprs: 4
; NumVgprs: 0
; NumAgprs: 0
; TotalNumVgprs: 0
; ScratchSize: 0
; MemoryBound: 0
; FloatMode: 240
; IeeeMode: 1
; LDSByteSize: 0 bytes/workgroup (compile time only)
; SGPRBlocks: 0
; VGPRBlocks: 0
; NumSGPRsForWavesPerEU: 4
; NumVGPRsForWavesPerEU: 1
; AccumOffset: 4
; Occupancy: 8
; WaveLimiterHint : 0
; COMPUTE_PGM_RSRC2:SCRATCH_EN: 0
; COMPUTE_PGM_RSRC2:USER_SGPR: 6
; COMPUTE_PGM_RSRC2:TRAP_HANDLER: 0
; COMPUTE_PGM_RSRC2:TGID_X_EN: 1
; COMPUTE_PGM_RSRC2:TGID_Y_EN: 0
; COMPUTE_PGM_RSRC2:TGID_Z_EN: 0
; COMPUTE_PGM_RSRC2:TIDIG_COMP_CNT: 0
; COMPUTE_PGM_RSRC3_GFX90A:ACCUM_OFFSET: 0
; COMPUTE_PGM_RSRC3_GFX90A:TG_SPLIT: 0
	.section	.text._ZN7rocprim17ROCPRIM_400000_NS6detail17trampoline_kernelINS0_14default_configENS1_38merge_sort_block_merge_config_selectorIyNS0_10empty_typeEEEZZNS1_27merge_sort_block_merge_implIS3_PyPS5_jNS1_19radix_merge_compareILb1ELb0EyNS0_19identity_decomposerEEEEE10hipError_tT0_T1_T2_jT3_P12ihipStream_tbPNSt15iterator_traitsISE_E10value_typeEPNSK_ISF_E10value_typeEPSG_NS1_7vsmem_tEENKUlT_SE_SF_SG_E_clIS8_S8_S9_S9_EESD_ST_SE_SF_SG_EUlST_E0_NS1_11comp_targetILNS1_3genE9ELNS1_11target_archE1100ELNS1_3gpuE3ELNS1_3repE0EEENS1_38merge_mergepath_config_static_selectorELNS0_4arch9wavefront6targetE1EEEvSF_,"axG",@progbits,_ZN7rocprim17ROCPRIM_400000_NS6detail17trampoline_kernelINS0_14default_configENS1_38merge_sort_block_merge_config_selectorIyNS0_10empty_typeEEEZZNS1_27merge_sort_block_merge_implIS3_PyPS5_jNS1_19radix_merge_compareILb1ELb0EyNS0_19identity_decomposerEEEEE10hipError_tT0_T1_T2_jT3_P12ihipStream_tbPNSt15iterator_traitsISE_E10value_typeEPNSK_ISF_E10value_typeEPSG_NS1_7vsmem_tEENKUlT_SE_SF_SG_E_clIS8_S8_S9_S9_EESD_ST_SE_SF_SG_EUlST_E0_NS1_11comp_targetILNS1_3genE9ELNS1_11target_archE1100ELNS1_3gpuE3ELNS1_3repE0EEENS1_38merge_mergepath_config_static_selectorELNS0_4arch9wavefront6targetE1EEEvSF_,comdat
	.protected	_ZN7rocprim17ROCPRIM_400000_NS6detail17trampoline_kernelINS0_14default_configENS1_38merge_sort_block_merge_config_selectorIyNS0_10empty_typeEEEZZNS1_27merge_sort_block_merge_implIS3_PyPS5_jNS1_19radix_merge_compareILb1ELb0EyNS0_19identity_decomposerEEEEE10hipError_tT0_T1_T2_jT3_P12ihipStream_tbPNSt15iterator_traitsISE_E10value_typeEPNSK_ISF_E10value_typeEPSG_NS1_7vsmem_tEENKUlT_SE_SF_SG_E_clIS8_S8_S9_S9_EESD_ST_SE_SF_SG_EUlST_E0_NS1_11comp_targetILNS1_3genE9ELNS1_11target_archE1100ELNS1_3gpuE3ELNS1_3repE0EEENS1_38merge_mergepath_config_static_selectorELNS0_4arch9wavefront6targetE1EEEvSF_ ; -- Begin function _ZN7rocprim17ROCPRIM_400000_NS6detail17trampoline_kernelINS0_14default_configENS1_38merge_sort_block_merge_config_selectorIyNS0_10empty_typeEEEZZNS1_27merge_sort_block_merge_implIS3_PyPS5_jNS1_19radix_merge_compareILb1ELb0EyNS0_19identity_decomposerEEEEE10hipError_tT0_T1_T2_jT3_P12ihipStream_tbPNSt15iterator_traitsISE_E10value_typeEPNSK_ISF_E10value_typeEPSG_NS1_7vsmem_tEENKUlT_SE_SF_SG_E_clIS8_S8_S9_S9_EESD_ST_SE_SF_SG_EUlST_E0_NS1_11comp_targetILNS1_3genE9ELNS1_11target_archE1100ELNS1_3gpuE3ELNS1_3repE0EEENS1_38merge_mergepath_config_static_selectorELNS0_4arch9wavefront6targetE1EEEvSF_
	.globl	_ZN7rocprim17ROCPRIM_400000_NS6detail17trampoline_kernelINS0_14default_configENS1_38merge_sort_block_merge_config_selectorIyNS0_10empty_typeEEEZZNS1_27merge_sort_block_merge_implIS3_PyPS5_jNS1_19radix_merge_compareILb1ELb0EyNS0_19identity_decomposerEEEEE10hipError_tT0_T1_T2_jT3_P12ihipStream_tbPNSt15iterator_traitsISE_E10value_typeEPNSK_ISF_E10value_typeEPSG_NS1_7vsmem_tEENKUlT_SE_SF_SG_E_clIS8_S8_S9_S9_EESD_ST_SE_SF_SG_EUlST_E0_NS1_11comp_targetILNS1_3genE9ELNS1_11target_archE1100ELNS1_3gpuE3ELNS1_3repE0EEENS1_38merge_mergepath_config_static_selectorELNS0_4arch9wavefront6targetE1EEEvSF_
	.p2align	8
	.type	_ZN7rocprim17ROCPRIM_400000_NS6detail17trampoline_kernelINS0_14default_configENS1_38merge_sort_block_merge_config_selectorIyNS0_10empty_typeEEEZZNS1_27merge_sort_block_merge_implIS3_PyPS5_jNS1_19radix_merge_compareILb1ELb0EyNS0_19identity_decomposerEEEEE10hipError_tT0_T1_T2_jT3_P12ihipStream_tbPNSt15iterator_traitsISE_E10value_typeEPNSK_ISF_E10value_typeEPSG_NS1_7vsmem_tEENKUlT_SE_SF_SG_E_clIS8_S8_S9_S9_EESD_ST_SE_SF_SG_EUlST_E0_NS1_11comp_targetILNS1_3genE9ELNS1_11target_archE1100ELNS1_3gpuE3ELNS1_3repE0EEENS1_38merge_mergepath_config_static_selectorELNS0_4arch9wavefront6targetE1EEEvSF_,@function
_ZN7rocprim17ROCPRIM_400000_NS6detail17trampoline_kernelINS0_14default_configENS1_38merge_sort_block_merge_config_selectorIyNS0_10empty_typeEEEZZNS1_27merge_sort_block_merge_implIS3_PyPS5_jNS1_19radix_merge_compareILb1ELb0EyNS0_19identity_decomposerEEEEE10hipError_tT0_T1_T2_jT3_P12ihipStream_tbPNSt15iterator_traitsISE_E10value_typeEPNSK_ISF_E10value_typeEPSG_NS1_7vsmem_tEENKUlT_SE_SF_SG_E_clIS8_S8_S9_S9_EESD_ST_SE_SF_SG_EUlST_E0_NS1_11comp_targetILNS1_3genE9ELNS1_11target_archE1100ELNS1_3gpuE3ELNS1_3repE0EEENS1_38merge_mergepath_config_static_selectorELNS0_4arch9wavefront6targetE1EEEvSF_: ; @_ZN7rocprim17ROCPRIM_400000_NS6detail17trampoline_kernelINS0_14default_configENS1_38merge_sort_block_merge_config_selectorIyNS0_10empty_typeEEEZZNS1_27merge_sort_block_merge_implIS3_PyPS5_jNS1_19radix_merge_compareILb1ELb0EyNS0_19identity_decomposerEEEEE10hipError_tT0_T1_T2_jT3_P12ihipStream_tbPNSt15iterator_traitsISE_E10value_typeEPNSK_ISF_E10value_typeEPSG_NS1_7vsmem_tEENKUlT_SE_SF_SG_E_clIS8_S8_S9_S9_EESD_ST_SE_SF_SG_EUlST_E0_NS1_11comp_targetILNS1_3genE9ELNS1_11target_archE1100ELNS1_3gpuE3ELNS1_3repE0EEENS1_38merge_mergepath_config_static_selectorELNS0_4arch9wavefront6targetE1EEEvSF_
; %bb.0:
	.section	.rodata,"a",@progbits
	.p2align	6, 0x0
	.amdhsa_kernel _ZN7rocprim17ROCPRIM_400000_NS6detail17trampoline_kernelINS0_14default_configENS1_38merge_sort_block_merge_config_selectorIyNS0_10empty_typeEEEZZNS1_27merge_sort_block_merge_implIS3_PyPS5_jNS1_19radix_merge_compareILb1ELb0EyNS0_19identity_decomposerEEEEE10hipError_tT0_T1_T2_jT3_P12ihipStream_tbPNSt15iterator_traitsISE_E10value_typeEPNSK_ISF_E10value_typeEPSG_NS1_7vsmem_tEENKUlT_SE_SF_SG_E_clIS8_S8_S9_S9_EESD_ST_SE_SF_SG_EUlST_E0_NS1_11comp_targetILNS1_3genE9ELNS1_11target_archE1100ELNS1_3gpuE3ELNS1_3repE0EEENS1_38merge_mergepath_config_static_selectorELNS0_4arch9wavefront6targetE1EEEvSF_
		.amdhsa_group_segment_fixed_size 0
		.amdhsa_private_segment_fixed_size 0
		.amdhsa_kernarg_size 64
		.amdhsa_user_sgpr_count 6
		.amdhsa_user_sgpr_private_segment_buffer 1
		.amdhsa_user_sgpr_dispatch_ptr 0
		.amdhsa_user_sgpr_queue_ptr 0
		.amdhsa_user_sgpr_kernarg_segment_ptr 1
		.amdhsa_user_sgpr_dispatch_id 0
		.amdhsa_user_sgpr_flat_scratch_init 0
		.amdhsa_user_sgpr_kernarg_preload_length 0
		.amdhsa_user_sgpr_kernarg_preload_offset 0
		.amdhsa_user_sgpr_private_segment_size 0
		.amdhsa_uses_dynamic_stack 0
		.amdhsa_system_sgpr_private_segment_wavefront_offset 0
		.amdhsa_system_sgpr_workgroup_id_x 1
		.amdhsa_system_sgpr_workgroup_id_y 0
		.amdhsa_system_sgpr_workgroup_id_z 0
		.amdhsa_system_sgpr_workgroup_info 0
		.amdhsa_system_vgpr_workitem_id 0
		.amdhsa_next_free_vgpr 1
		.amdhsa_next_free_sgpr 0
		.amdhsa_accum_offset 4
		.amdhsa_reserve_vcc 0
		.amdhsa_reserve_flat_scratch 0
		.amdhsa_float_round_mode_32 0
		.amdhsa_float_round_mode_16_64 0
		.amdhsa_float_denorm_mode_32 3
		.amdhsa_float_denorm_mode_16_64 3
		.amdhsa_dx10_clamp 1
		.amdhsa_ieee_mode 1
		.amdhsa_fp16_overflow 0
		.amdhsa_tg_split 0
		.amdhsa_exception_fp_ieee_invalid_op 0
		.amdhsa_exception_fp_denorm_src 0
		.amdhsa_exception_fp_ieee_div_zero 0
		.amdhsa_exception_fp_ieee_overflow 0
		.amdhsa_exception_fp_ieee_underflow 0
		.amdhsa_exception_fp_ieee_inexact 0
		.amdhsa_exception_int_div_zero 0
	.end_amdhsa_kernel
	.section	.text._ZN7rocprim17ROCPRIM_400000_NS6detail17trampoline_kernelINS0_14default_configENS1_38merge_sort_block_merge_config_selectorIyNS0_10empty_typeEEEZZNS1_27merge_sort_block_merge_implIS3_PyPS5_jNS1_19radix_merge_compareILb1ELb0EyNS0_19identity_decomposerEEEEE10hipError_tT0_T1_T2_jT3_P12ihipStream_tbPNSt15iterator_traitsISE_E10value_typeEPNSK_ISF_E10value_typeEPSG_NS1_7vsmem_tEENKUlT_SE_SF_SG_E_clIS8_S8_S9_S9_EESD_ST_SE_SF_SG_EUlST_E0_NS1_11comp_targetILNS1_3genE9ELNS1_11target_archE1100ELNS1_3gpuE3ELNS1_3repE0EEENS1_38merge_mergepath_config_static_selectorELNS0_4arch9wavefront6targetE1EEEvSF_,"axG",@progbits,_ZN7rocprim17ROCPRIM_400000_NS6detail17trampoline_kernelINS0_14default_configENS1_38merge_sort_block_merge_config_selectorIyNS0_10empty_typeEEEZZNS1_27merge_sort_block_merge_implIS3_PyPS5_jNS1_19radix_merge_compareILb1ELb0EyNS0_19identity_decomposerEEEEE10hipError_tT0_T1_T2_jT3_P12ihipStream_tbPNSt15iterator_traitsISE_E10value_typeEPNSK_ISF_E10value_typeEPSG_NS1_7vsmem_tEENKUlT_SE_SF_SG_E_clIS8_S8_S9_S9_EESD_ST_SE_SF_SG_EUlST_E0_NS1_11comp_targetILNS1_3genE9ELNS1_11target_archE1100ELNS1_3gpuE3ELNS1_3repE0EEENS1_38merge_mergepath_config_static_selectorELNS0_4arch9wavefront6targetE1EEEvSF_,comdat
.Lfunc_end2425:
	.size	_ZN7rocprim17ROCPRIM_400000_NS6detail17trampoline_kernelINS0_14default_configENS1_38merge_sort_block_merge_config_selectorIyNS0_10empty_typeEEEZZNS1_27merge_sort_block_merge_implIS3_PyPS5_jNS1_19radix_merge_compareILb1ELb0EyNS0_19identity_decomposerEEEEE10hipError_tT0_T1_T2_jT3_P12ihipStream_tbPNSt15iterator_traitsISE_E10value_typeEPNSK_ISF_E10value_typeEPSG_NS1_7vsmem_tEENKUlT_SE_SF_SG_E_clIS8_S8_S9_S9_EESD_ST_SE_SF_SG_EUlST_E0_NS1_11comp_targetILNS1_3genE9ELNS1_11target_archE1100ELNS1_3gpuE3ELNS1_3repE0EEENS1_38merge_mergepath_config_static_selectorELNS0_4arch9wavefront6targetE1EEEvSF_, .Lfunc_end2425-_ZN7rocprim17ROCPRIM_400000_NS6detail17trampoline_kernelINS0_14default_configENS1_38merge_sort_block_merge_config_selectorIyNS0_10empty_typeEEEZZNS1_27merge_sort_block_merge_implIS3_PyPS5_jNS1_19radix_merge_compareILb1ELb0EyNS0_19identity_decomposerEEEEE10hipError_tT0_T1_T2_jT3_P12ihipStream_tbPNSt15iterator_traitsISE_E10value_typeEPNSK_ISF_E10value_typeEPSG_NS1_7vsmem_tEENKUlT_SE_SF_SG_E_clIS8_S8_S9_S9_EESD_ST_SE_SF_SG_EUlST_E0_NS1_11comp_targetILNS1_3genE9ELNS1_11target_archE1100ELNS1_3gpuE3ELNS1_3repE0EEENS1_38merge_mergepath_config_static_selectorELNS0_4arch9wavefront6targetE1EEEvSF_
                                        ; -- End function
	.section	.AMDGPU.csdata,"",@progbits
; Kernel info:
; codeLenInByte = 0
; NumSgprs: 4
; NumVgprs: 0
; NumAgprs: 0
; TotalNumVgprs: 0
; ScratchSize: 0
; MemoryBound: 0
; FloatMode: 240
; IeeeMode: 1
; LDSByteSize: 0 bytes/workgroup (compile time only)
; SGPRBlocks: 0
; VGPRBlocks: 0
; NumSGPRsForWavesPerEU: 4
; NumVGPRsForWavesPerEU: 1
; AccumOffset: 4
; Occupancy: 8
; WaveLimiterHint : 0
; COMPUTE_PGM_RSRC2:SCRATCH_EN: 0
; COMPUTE_PGM_RSRC2:USER_SGPR: 6
; COMPUTE_PGM_RSRC2:TRAP_HANDLER: 0
; COMPUTE_PGM_RSRC2:TGID_X_EN: 1
; COMPUTE_PGM_RSRC2:TGID_Y_EN: 0
; COMPUTE_PGM_RSRC2:TGID_Z_EN: 0
; COMPUTE_PGM_RSRC2:TIDIG_COMP_CNT: 0
; COMPUTE_PGM_RSRC3_GFX90A:ACCUM_OFFSET: 0
; COMPUTE_PGM_RSRC3_GFX90A:TG_SPLIT: 0
	.section	.text._ZN7rocprim17ROCPRIM_400000_NS6detail17trampoline_kernelINS0_14default_configENS1_38merge_sort_block_merge_config_selectorIyNS0_10empty_typeEEEZZNS1_27merge_sort_block_merge_implIS3_PyPS5_jNS1_19radix_merge_compareILb1ELb0EyNS0_19identity_decomposerEEEEE10hipError_tT0_T1_T2_jT3_P12ihipStream_tbPNSt15iterator_traitsISE_E10value_typeEPNSK_ISF_E10value_typeEPSG_NS1_7vsmem_tEENKUlT_SE_SF_SG_E_clIS8_S8_S9_S9_EESD_ST_SE_SF_SG_EUlST_E0_NS1_11comp_targetILNS1_3genE8ELNS1_11target_archE1030ELNS1_3gpuE2ELNS1_3repE0EEENS1_38merge_mergepath_config_static_selectorELNS0_4arch9wavefront6targetE1EEEvSF_,"axG",@progbits,_ZN7rocprim17ROCPRIM_400000_NS6detail17trampoline_kernelINS0_14default_configENS1_38merge_sort_block_merge_config_selectorIyNS0_10empty_typeEEEZZNS1_27merge_sort_block_merge_implIS3_PyPS5_jNS1_19radix_merge_compareILb1ELb0EyNS0_19identity_decomposerEEEEE10hipError_tT0_T1_T2_jT3_P12ihipStream_tbPNSt15iterator_traitsISE_E10value_typeEPNSK_ISF_E10value_typeEPSG_NS1_7vsmem_tEENKUlT_SE_SF_SG_E_clIS8_S8_S9_S9_EESD_ST_SE_SF_SG_EUlST_E0_NS1_11comp_targetILNS1_3genE8ELNS1_11target_archE1030ELNS1_3gpuE2ELNS1_3repE0EEENS1_38merge_mergepath_config_static_selectorELNS0_4arch9wavefront6targetE1EEEvSF_,comdat
	.protected	_ZN7rocprim17ROCPRIM_400000_NS6detail17trampoline_kernelINS0_14default_configENS1_38merge_sort_block_merge_config_selectorIyNS0_10empty_typeEEEZZNS1_27merge_sort_block_merge_implIS3_PyPS5_jNS1_19radix_merge_compareILb1ELb0EyNS0_19identity_decomposerEEEEE10hipError_tT0_T1_T2_jT3_P12ihipStream_tbPNSt15iterator_traitsISE_E10value_typeEPNSK_ISF_E10value_typeEPSG_NS1_7vsmem_tEENKUlT_SE_SF_SG_E_clIS8_S8_S9_S9_EESD_ST_SE_SF_SG_EUlST_E0_NS1_11comp_targetILNS1_3genE8ELNS1_11target_archE1030ELNS1_3gpuE2ELNS1_3repE0EEENS1_38merge_mergepath_config_static_selectorELNS0_4arch9wavefront6targetE1EEEvSF_ ; -- Begin function _ZN7rocprim17ROCPRIM_400000_NS6detail17trampoline_kernelINS0_14default_configENS1_38merge_sort_block_merge_config_selectorIyNS0_10empty_typeEEEZZNS1_27merge_sort_block_merge_implIS3_PyPS5_jNS1_19radix_merge_compareILb1ELb0EyNS0_19identity_decomposerEEEEE10hipError_tT0_T1_T2_jT3_P12ihipStream_tbPNSt15iterator_traitsISE_E10value_typeEPNSK_ISF_E10value_typeEPSG_NS1_7vsmem_tEENKUlT_SE_SF_SG_E_clIS8_S8_S9_S9_EESD_ST_SE_SF_SG_EUlST_E0_NS1_11comp_targetILNS1_3genE8ELNS1_11target_archE1030ELNS1_3gpuE2ELNS1_3repE0EEENS1_38merge_mergepath_config_static_selectorELNS0_4arch9wavefront6targetE1EEEvSF_
	.globl	_ZN7rocprim17ROCPRIM_400000_NS6detail17trampoline_kernelINS0_14default_configENS1_38merge_sort_block_merge_config_selectorIyNS0_10empty_typeEEEZZNS1_27merge_sort_block_merge_implIS3_PyPS5_jNS1_19radix_merge_compareILb1ELb0EyNS0_19identity_decomposerEEEEE10hipError_tT0_T1_T2_jT3_P12ihipStream_tbPNSt15iterator_traitsISE_E10value_typeEPNSK_ISF_E10value_typeEPSG_NS1_7vsmem_tEENKUlT_SE_SF_SG_E_clIS8_S8_S9_S9_EESD_ST_SE_SF_SG_EUlST_E0_NS1_11comp_targetILNS1_3genE8ELNS1_11target_archE1030ELNS1_3gpuE2ELNS1_3repE0EEENS1_38merge_mergepath_config_static_selectorELNS0_4arch9wavefront6targetE1EEEvSF_
	.p2align	8
	.type	_ZN7rocprim17ROCPRIM_400000_NS6detail17trampoline_kernelINS0_14default_configENS1_38merge_sort_block_merge_config_selectorIyNS0_10empty_typeEEEZZNS1_27merge_sort_block_merge_implIS3_PyPS5_jNS1_19radix_merge_compareILb1ELb0EyNS0_19identity_decomposerEEEEE10hipError_tT0_T1_T2_jT3_P12ihipStream_tbPNSt15iterator_traitsISE_E10value_typeEPNSK_ISF_E10value_typeEPSG_NS1_7vsmem_tEENKUlT_SE_SF_SG_E_clIS8_S8_S9_S9_EESD_ST_SE_SF_SG_EUlST_E0_NS1_11comp_targetILNS1_3genE8ELNS1_11target_archE1030ELNS1_3gpuE2ELNS1_3repE0EEENS1_38merge_mergepath_config_static_selectorELNS0_4arch9wavefront6targetE1EEEvSF_,@function
_ZN7rocprim17ROCPRIM_400000_NS6detail17trampoline_kernelINS0_14default_configENS1_38merge_sort_block_merge_config_selectorIyNS0_10empty_typeEEEZZNS1_27merge_sort_block_merge_implIS3_PyPS5_jNS1_19radix_merge_compareILb1ELb0EyNS0_19identity_decomposerEEEEE10hipError_tT0_T1_T2_jT3_P12ihipStream_tbPNSt15iterator_traitsISE_E10value_typeEPNSK_ISF_E10value_typeEPSG_NS1_7vsmem_tEENKUlT_SE_SF_SG_E_clIS8_S8_S9_S9_EESD_ST_SE_SF_SG_EUlST_E0_NS1_11comp_targetILNS1_3genE8ELNS1_11target_archE1030ELNS1_3gpuE2ELNS1_3repE0EEENS1_38merge_mergepath_config_static_selectorELNS0_4arch9wavefront6targetE1EEEvSF_: ; @_ZN7rocprim17ROCPRIM_400000_NS6detail17trampoline_kernelINS0_14default_configENS1_38merge_sort_block_merge_config_selectorIyNS0_10empty_typeEEEZZNS1_27merge_sort_block_merge_implIS3_PyPS5_jNS1_19radix_merge_compareILb1ELb0EyNS0_19identity_decomposerEEEEE10hipError_tT0_T1_T2_jT3_P12ihipStream_tbPNSt15iterator_traitsISE_E10value_typeEPNSK_ISF_E10value_typeEPSG_NS1_7vsmem_tEENKUlT_SE_SF_SG_E_clIS8_S8_S9_S9_EESD_ST_SE_SF_SG_EUlST_E0_NS1_11comp_targetILNS1_3genE8ELNS1_11target_archE1030ELNS1_3gpuE2ELNS1_3repE0EEENS1_38merge_mergepath_config_static_selectorELNS0_4arch9wavefront6targetE1EEEvSF_
; %bb.0:
	.section	.rodata,"a",@progbits
	.p2align	6, 0x0
	.amdhsa_kernel _ZN7rocprim17ROCPRIM_400000_NS6detail17trampoline_kernelINS0_14default_configENS1_38merge_sort_block_merge_config_selectorIyNS0_10empty_typeEEEZZNS1_27merge_sort_block_merge_implIS3_PyPS5_jNS1_19radix_merge_compareILb1ELb0EyNS0_19identity_decomposerEEEEE10hipError_tT0_T1_T2_jT3_P12ihipStream_tbPNSt15iterator_traitsISE_E10value_typeEPNSK_ISF_E10value_typeEPSG_NS1_7vsmem_tEENKUlT_SE_SF_SG_E_clIS8_S8_S9_S9_EESD_ST_SE_SF_SG_EUlST_E0_NS1_11comp_targetILNS1_3genE8ELNS1_11target_archE1030ELNS1_3gpuE2ELNS1_3repE0EEENS1_38merge_mergepath_config_static_selectorELNS0_4arch9wavefront6targetE1EEEvSF_
		.amdhsa_group_segment_fixed_size 0
		.amdhsa_private_segment_fixed_size 0
		.amdhsa_kernarg_size 64
		.amdhsa_user_sgpr_count 6
		.amdhsa_user_sgpr_private_segment_buffer 1
		.amdhsa_user_sgpr_dispatch_ptr 0
		.amdhsa_user_sgpr_queue_ptr 0
		.amdhsa_user_sgpr_kernarg_segment_ptr 1
		.amdhsa_user_sgpr_dispatch_id 0
		.amdhsa_user_sgpr_flat_scratch_init 0
		.amdhsa_user_sgpr_kernarg_preload_length 0
		.amdhsa_user_sgpr_kernarg_preload_offset 0
		.amdhsa_user_sgpr_private_segment_size 0
		.amdhsa_uses_dynamic_stack 0
		.amdhsa_system_sgpr_private_segment_wavefront_offset 0
		.amdhsa_system_sgpr_workgroup_id_x 1
		.amdhsa_system_sgpr_workgroup_id_y 0
		.amdhsa_system_sgpr_workgroup_id_z 0
		.amdhsa_system_sgpr_workgroup_info 0
		.amdhsa_system_vgpr_workitem_id 0
		.amdhsa_next_free_vgpr 1
		.amdhsa_next_free_sgpr 0
		.amdhsa_accum_offset 4
		.amdhsa_reserve_vcc 0
		.amdhsa_reserve_flat_scratch 0
		.amdhsa_float_round_mode_32 0
		.amdhsa_float_round_mode_16_64 0
		.amdhsa_float_denorm_mode_32 3
		.amdhsa_float_denorm_mode_16_64 3
		.amdhsa_dx10_clamp 1
		.amdhsa_ieee_mode 1
		.amdhsa_fp16_overflow 0
		.amdhsa_tg_split 0
		.amdhsa_exception_fp_ieee_invalid_op 0
		.amdhsa_exception_fp_denorm_src 0
		.amdhsa_exception_fp_ieee_div_zero 0
		.amdhsa_exception_fp_ieee_overflow 0
		.amdhsa_exception_fp_ieee_underflow 0
		.amdhsa_exception_fp_ieee_inexact 0
		.amdhsa_exception_int_div_zero 0
	.end_amdhsa_kernel
	.section	.text._ZN7rocprim17ROCPRIM_400000_NS6detail17trampoline_kernelINS0_14default_configENS1_38merge_sort_block_merge_config_selectorIyNS0_10empty_typeEEEZZNS1_27merge_sort_block_merge_implIS3_PyPS5_jNS1_19radix_merge_compareILb1ELb0EyNS0_19identity_decomposerEEEEE10hipError_tT0_T1_T2_jT3_P12ihipStream_tbPNSt15iterator_traitsISE_E10value_typeEPNSK_ISF_E10value_typeEPSG_NS1_7vsmem_tEENKUlT_SE_SF_SG_E_clIS8_S8_S9_S9_EESD_ST_SE_SF_SG_EUlST_E0_NS1_11comp_targetILNS1_3genE8ELNS1_11target_archE1030ELNS1_3gpuE2ELNS1_3repE0EEENS1_38merge_mergepath_config_static_selectorELNS0_4arch9wavefront6targetE1EEEvSF_,"axG",@progbits,_ZN7rocprim17ROCPRIM_400000_NS6detail17trampoline_kernelINS0_14default_configENS1_38merge_sort_block_merge_config_selectorIyNS0_10empty_typeEEEZZNS1_27merge_sort_block_merge_implIS3_PyPS5_jNS1_19radix_merge_compareILb1ELb0EyNS0_19identity_decomposerEEEEE10hipError_tT0_T1_T2_jT3_P12ihipStream_tbPNSt15iterator_traitsISE_E10value_typeEPNSK_ISF_E10value_typeEPSG_NS1_7vsmem_tEENKUlT_SE_SF_SG_E_clIS8_S8_S9_S9_EESD_ST_SE_SF_SG_EUlST_E0_NS1_11comp_targetILNS1_3genE8ELNS1_11target_archE1030ELNS1_3gpuE2ELNS1_3repE0EEENS1_38merge_mergepath_config_static_selectorELNS0_4arch9wavefront6targetE1EEEvSF_,comdat
.Lfunc_end2426:
	.size	_ZN7rocprim17ROCPRIM_400000_NS6detail17trampoline_kernelINS0_14default_configENS1_38merge_sort_block_merge_config_selectorIyNS0_10empty_typeEEEZZNS1_27merge_sort_block_merge_implIS3_PyPS5_jNS1_19radix_merge_compareILb1ELb0EyNS0_19identity_decomposerEEEEE10hipError_tT0_T1_T2_jT3_P12ihipStream_tbPNSt15iterator_traitsISE_E10value_typeEPNSK_ISF_E10value_typeEPSG_NS1_7vsmem_tEENKUlT_SE_SF_SG_E_clIS8_S8_S9_S9_EESD_ST_SE_SF_SG_EUlST_E0_NS1_11comp_targetILNS1_3genE8ELNS1_11target_archE1030ELNS1_3gpuE2ELNS1_3repE0EEENS1_38merge_mergepath_config_static_selectorELNS0_4arch9wavefront6targetE1EEEvSF_, .Lfunc_end2426-_ZN7rocprim17ROCPRIM_400000_NS6detail17trampoline_kernelINS0_14default_configENS1_38merge_sort_block_merge_config_selectorIyNS0_10empty_typeEEEZZNS1_27merge_sort_block_merge_implIS3_PyPS5_jNS1_19radix_merge_compareILb1ELb0EyNS0_19identity_decomposerEEEEE10hipError_tT0_T1_T2_jT3_P12ihipStream_tbPNSt15iterator_traitsISE_E10value_typeEPNSK_ISF_E10value_typeEPSG_NS1_7vsmem_tEENKUlT_SE_SF_SG_E_clIS8_S8_S9_S9_EESD_ST_SE_SF_SG_EUlST_E0_NS1_11comp_targetILNS1_3genE8ELNS1_11target_archE1030ELNS1_3gpuE2ELNS1_3repE0EEENS1_38merge_mergepath_config_static_selectorELNS0_4arch9wavefront6targetE1EEEvSF_
                                        ; -- End function
	.section	.AMDGPU.csdata,"",@progbits
; Kernel info:
; codeLenInByte = 0
; NumSgprs: 4
; NumVgprs: 0
; NumAgprs: 0
; TotalNumVgprs: 0
; ScratchSize: 0
; MemoryBound: 0
; FloatMode: 240
; IeeeMode: 1
; LDSByteSize: 0 bytes/workgroup (compile time only)
; SGPRBlocks: 0
; VGPRBlocks: 0
; NumSGPRsForWavesPerEU: 4
; NumVGPRsForWavesPerEU: 1
; AccumOffset: 4
; Occupancy: 8
; WaveLimiterHint : 0
; COMPUTE_PGM_RSRC2:SCRATCH_EN: 0
; COMPUTE_PGM_RSRC2:USER_SGPR: 6
; COMPUTE_PGM_RSRC2:TRAP_HANDLER: 0
; COMPUTE_PGM_RSRC2:TGID_X_EN: 1
; COMPUTE_PGM_RSRC2:TGID_Y_EN: 0
; COMPUTE_PGM_RSRC2:TGID_Z_EN: 0
; COMPUTE_PGM_RSRC2:TIDIG_COMP_CNT: 0
; COMPUTE_PGM_RSRC3_GFX90A:ACCUM_OFFSET: 0
; COMPUTE_PGM_RSRC3_GFX90A:TG_SPLIT: 0
	.section	.text._ZN7rocprim17ROCPRIM_400000_NS6detail17trampoline_kernelINS0_14default_configENS1_38merge_sort_block_merge_config_selectorIyNS0_10empty_typeEEEZZNS1_27merge_sort_block_merge_implIS3_PyPS5_jNS1_19radix_merge_compareILb1ELb0EyNS0_19identity_decomposerEEEEE10hipError_tT0_T1_T2_jT3_P12ihipStream_tbPNSt15iterator_traitsISE_E10value_typeEPNSK_ISF_E10value_typeEPSG_NS1_7vsmem_tEENKUlT_SE_SF_SG_E_clIS8_S8_S9_S9_EESD_ST_SE_SF_SG_EUlST_E1_NS1_11comp_targetILNS1_3genE0ELNS1_11target_archE4294967295ELNS1_3gpuE0ELNS1_3repE0EEENS1_36merge_oddeven_config_static_selectorELNS0_4arch9wavefront6targetE1EEEvSF_,"axG",@progbits,_ZN7rocprim17ROCPRIM_400000_NS6detail17trampoline_kernelINS0_14default_configENS1_38merge_sort_block_merge_config_selectorIyNS0_10empty_typeEEEZZNS1_27merge_sort_block_merge_implIS3_PyPS5_jNS1_19radix_merge_compareILb1ELb0EyNS0_19identity_decomposerEEEEE10hipError_tT0_T1_T2_jT3_P12ihipStream_tbPNSt15iterator_traitsISE_E10value_typeEPNSK_ISF_E10value_typeEPSG_NS1_7vsmem_tEENKUlT_SE_SF_SG_E_clIS8_S8_S9_S9_EESD_ST_SE_SF_SG_EUlST_E1_NS1_11comp_targetILNS1_3genE0ELNS1_11target_archE4294967295ELNS1_3gpuE0ELNS1_3repE0EEENS1_36merge_oddeven_config_static_selectorELNS0_4arch9wavefront6targetE1EEEvSF_,comdat
	.protected	_ZN7rocprim17ROCPRIM_400000_NS6detail17trampoline_kernelINS0_14default_configENS1_38merge_sort_block_merge_config_selectorIyNS0_10empty_typeEEEZZNS1_27merge_sort_block_merge_implIS3_PyPS5_jNS1_19radix_merge_compareILb1ELb0EyNS0_19identity_decomposerEEEEE10hipError_tT0_T1_T2_jT3_P12ihipStream_tbPNSt15iterator_traitsISE_E10value_typeEPNSK_ISF_E10value_typeEPSG_NS1_7vsmem_tEENKUlT_SE_SF_SG_E_clIS8_S8_S9_S9_EESD_ST_SE_SF_SG_EUlST_E1_NS1_11comp_targetILNS1_3genE0ELNS1_11target_archE4294967295ELNS1_3gpuE0ELNS1_3repE0EEENS1_36merge_oddeven_config_static_selectorELNS0_4arch9wavefront6targetE1EEEvSF_ ; -- Begin function _ZN7rocprim17ROCPRIM_400000_NS6detail17trampoline_kernelINS0_14default_configENS1_38merge_sort_block_merge_config_selectorIyNS0_10empty_typeEEEZZNS1_27merge_sort_block_merge_implIS3_PyPS5_jNS1_19radix_merge_compareILb1ELb0EyNS0_19identity_decomposerEEEEE10hipError_tT0_T1_T2_jT3_P12ihipStream_tbPNSt15iterator_traitsISE_E10value_typeEPNSK_ISF_E10value_typeEPSG_NS1_7vsmem_tEENKUlT_SE_SF_SG_E_clIS8_S8_S9_S9_EESD_ST_SE_SF_SG_EUlST_E1_NS1_11comp_targetILNS1_3genE0ELNS1_11target_archE4294967295ELNS1_3gpuE0ELNS1_3repE0EEENS1_36merge_oddeven_config_static_selectorELNS0_4arch9wavefront6targetE1EEEvSF_
	.globl	_ZN7rocprim17ROCPRIM_400000_NS6detail17trampoline_kernelINS0_14default_configENS1_38merge_sort_block_merge_config_selectorIyNS0_10empty_typeEEEZZNS1_27merge_sort_block_merge_implIS3_PyPS5_jNS1_19radix_merge_compareILb1ELb0EyNS0_19identity_decomposerEEEEE10hipError_tT0_T1_T2_jT3_P12ihipStream_tbPNSt15iterator_traitsISE_E10value_typeEPNSK_ISF_E10value_typeEPSG_NS1_7vsmem_tEENKUlT_SE_SF_SG_E_clIS8_S8_S9_S9_EESD_ST_SE_SF_SG_EUlST_E1_NS1_11comp_targetILNS1_3genE0ELNS1_11target_archE4294967295ELNS1_3gpuE0ELNS1_3repE0EEENS1_36merge_oddeven_config_static_selectorELNS0_4arch9wavefront6targetE1EEEvSF_
	.p2align	8
	.type	_ZN7rocprim17ROCPRIM_400000_NS6detail17trampoline_kernelINS0_14default_configENS1_38merge_sort_block_merge_config_selectorIyNS0_10empty_typeEEEZZNS1_27merge_sort_block_merge_implIS3_PyPS5_jNS1_19radix_merge_compareILb1ELb0EyNS0_19identity_decomposerEEEEE10hipError_tT0_T1_T2_jT3_P12ihipStream_tbPNSt15iterator_traitsISE_E10value_typeEPNSK_ISF_E10value_typeEPSG_NS1_7vsmem_tEENKUlT_SE_SF_SG_E_clIS8_S8_S9_S9_EESD_ST_SE_SF_SG_EUlST_E1_NS1_11comp_targetILNS1_3genE0ELNS1_11target_archE4294967295ELNS1_3gpuE0ELNS1_3repE0EEENS1_36merge_oddeven_config_static_selectorELNS0_4arch9wavefront6targetE1EEEvSF_,@function
_ZN7rocprim17ROCPRIM_400000_NS6detail17trampoline_kernelINS0_14default_configENS1_38merge_sort_block_merge_config_selectorIyNS0_10empty_typeEEEZZNS1_27merge_sort_block_merge_implIS3_PyPS5_jNS1_19radix_merge_compareILb1ELb0EyNS0_19identity_decomposerEEEEE10hipError_tT0_T1_T2_jT3_P12ihipStream_tbPNSt15iterator_traitsISE_E10value_typeEPNSK_ISF_E10value_typeEPSG_NS1_7vsmem_tEENKUlT_SE_SF_SG_E_clIS8_S8_S9_S9_EESD_ST_SE_SF_SG_EUlST_E1_NS1_11comp_targetILNS1_3genE0ELNS1_11target_archE4294967295ELNS1_3gpuE0ELNS1_3repE0EEENS1_36merge_oddeven_config_static_selectorELNS0_4arch9wavefront6targetE1EEEvSF_: ; @_ZN7rocprim17ROCPRIM_400000_NS6detail17trampoline_kernelINS0_14default_configENS1_38merge_sort_block_merge_config_selectorIyNS0_10empty_typeEEEZZNS1_27merge_sort_block_merge_implIS3_PyPS5_jNS1_19radix_merge_compareILb1ELb0EyNS0_19identity_decomposerEEEEE10hipError_tT0_T1_T2_jT3_P12ihipStream_tbPNSt15iterator_traitsISE_E10value_typeEPNSK_ISF_E10value_typeEPSG_NS1_7vsmem_tEENKUlT_SE_SF_SG_E_clIS8_S8_S9_S9_EESD_ST_SE_SF_SG_EUlST_E1_NS1_11comp_targetILNS1_3genE0ELNS1_11target_archE4294967295ELNS1_3gpuE0ELNS1_3repE0EEENS1_36merge_oddeven_config_static_selectorELNS0_4arch9wavefront6targetE1EEEvSF_
; %bb.0:
	.section	.rodata,"a",@progbits
	.p2align	6, 0x0
	.amdhsa_kernel _ZN7rocprim17ROCPRIM_400000_NS6detail17trampoline_kernelINS0_14default_configENS1_38merge_sort_block_merge_config_selectorIyNS0_10empty_typeEEEZZNS1_27merge_sort_block_merge_implIS3_PyPS5_jNS1_19radix_merge_compareILb1ELb0EyNS0_19identity_decomposerEEEEE10hipError_tT0_T1_T2_jT3_P12ihipStream_tbPNSt15iterator_traitsISE_E10value_typeEPNSK_ISF_E10value_typeEPSG_NS1_7vsmem_tEENKUlT_SE_SF_SG_E_clIS8_S8_S9_S9_EESD_ST_SE_SF_SG_EUlST_E1_NS1_11comp_targetILNS1_3genE0ELNS1_11target_archE4294967295ELNS1_3gpuE0ELNS1_3repE0EEENS1_36merge_oddeven_config_static_selectorELNS0_4arch9wavefront6targetE1EEEvSF_
		.amdhsa_group_segment_fixed_size 0
		.amdhsa_private_segment_fixed_size 0
		.amdhsa_kernarg_size 48
		.amdhsa_user_sgpr_count 6
		.amdhsa_user_sgpr_private_segment_buffer 1
		.amdhsa_user_sgpr_dispatch_ptr 0
		.amdhsa_user_sgpr_queue_ptr 0
		.amdhsa_user_sgpr_kernarg_segment_ptr 1
		.amdhsa_user_sgpr_dispatch_id 0
		.amdhsa_user_sgpr_flat_scratch_init 0
		.amdhsa_user_sgpr_kernarg_preload_length 0
		.amdhsa_user_sgpr_kernarg_preload_offset 0
		.amdhsa_user_sgpr_private_segment_size 0
		.amdhsa_uses_dynamic_stack 0
		.amdhsa_system_sgpr_private_segment_wavefront_offset 0
		.amdhsa_system_sgpr_workgroup_id_x 1
		.amdhsa_system_sgpr_workgroup_id_y 0
		.amdhsa_system_sgpr_workgroup_id_z 0
		.amdhsa_system_sgpr_workgroup_info 0
		.amdhsa_system_vgpr_workitem_id 0
		.amdhsa_next_free_vgpr 1
		.amdhsa_next_free_sgpr 0
		.amdhsa_accum_offset 4
		.amdhsa_reserve_vcc 0
		.amdhsa_reserve_flat_scratch 0
		.amdhsa_float_round_mode_32 0
		.amdhsa_float_round_mode_16_64 0
		.amdhsa_float_denorm_mode_32 3
		.amdhsa_float_denorm_mode_16_64 3
		.amdhsa_dx10_clamp 1
		.amdhsa_ieee_mode 1
		.amdhsa_fp16_overflow 0
		.amdhsa_tg_split 0
		.amdhsa_exception_fp_ieee_invalid_op 0
		.amdhsa_exception_fp_denorm_src 0
		.amdhsa_exception_fp_ieee_div_zero 0
		.amdhsa_exception_fp_ieee_overflow 0
		.amdhsa_exception_fp_ieee_underflow 0
		.amdhsa_exception_fp_ieee_inexact 0
		.amdhsa_exception_int_div_zero 0
	.end_amdhsa_kernel
	.section	.text._ZN7rocprim17ROCPRIM_400000_NS6detail17trampoline_kernelINS0_14default_configENS1_38merge_sort_block_merge_config_selectorIyNS0_10empty_typeEEEZZNS1_27merge_sort_block_merge_implIS3_PyPS5_jNS1_19radix_merge_compareILb1ELb0EyNS0_19identity_decomposerEEEEE10hipError_tT0_T1_T2_jT3_P12ihipStream_tbPNSt15iterator_traitsISE_E10value_typeEPNSK_ISF_E10value_typeEPSG_NS1_7vsmem_tEENKUlT_SE_SF_SG_E_clIS8_S8_S9_S9_EESD_ST_SE_SF_SG_EUlST_E1_NS1_11comp_targetILNS1_3genE0ELNS1_11target_archE4294967295ELNS1_3gpuE0ELNS1_3repE0EEENS1_36merge_oddeven_config_static_selectorELNS0_4arch9wavefront6targetE1EEEvSF_,"axG",@progbits,_ZN7rocprim17ROCPRIM_400000_NS6detail17trampoline_kernelINS0_14default_configENS1_38merge_sort_block_merge_config_selectorIyNS0_10empty_typeEEEZZNS1_27merge_sort_block_merge_implIS3_PyPS5_jNS1_19radix_merge_compareILb1ELb0EyNS0_19identity_decomposerEEEEE10hipError_tT0_T1_T2_jT3_P12ihipStream_tbPNSt15iterator_traitsISE_E10value_typeEPNSK_ISF_E10value_typeEPSG_NS1_7vsmem_tEENKUlT_SE_SF_SG_E_clIS8_S8_S9_S9_EESD_ST_SE_SF_SG_EUlST_E1_NS1_11comp_targetILNS1_3genE0ELNS1_11target_archE4294967295ELNS1_3gpuE0ELNS1_3repE0EEENS1_36merge_oddeven_config_static_selectorELNS0_4arch9wavefront6targetE1EEEvSF_,comdat
.Lfunc_end2427:
	.size	_ZN7rocprim17ROCPRIM_400000_NS6detail17trampoline_kernelINS0_14default_configENS1_38merge_sort_block_merge_config_selectorIyNS0_10empty_typeEEEZZNS1_27merge_sort_block_merge_implIS3_PyPS5_jNS1_19radix_merge_compareILb1ELb0EyNS0_19identity_decomposerEEEEE10hipError_tT0_T1_T2_jT3_P12ihipStream_tbPNSt15iterator_traitsISE_E10value_typeEPNSK_ISF_E10value_typeEPSG_NS1_7vsmem_tEENKUlT_SE_SF_SG_E_clIS8_S8_S9_S9_EESD_ST_SE_SF_SG_EUlST_E1_NS1_11comp_targetILNS1_3genE0ELNS1_11target_archE4294967295ELNS1_3gpuE0ELNS1_3repE0EEENS1_36merge_oddeven_config_static_selectorELNS0_4arch9wavefront6targetE1EEEvSF_, .Lfunc_end2427-_ZN7rocprim17ROCPRIM_400000_NS6detail17trampoline_kernelINS0_14default_configENS1_38merge_sort_block_merge_config_selectorIyNS0_10empty_typeEEEZZNS1_27merge_sort_block_merge_implIS3_PyPS5_jNS1_19radix_merge_compareILb1ELb0EyNS0_19identity_decomposerEEEEE10hipError_tT0_T1_T2_jT3_P12ihipStream_tbPNSt15iterator_traitsISE_E10value_typeEPNSK_ISF_E10value_typeEPSG_NS1_7vsmem_tEENKUlT_SE_SF_SG_E_clIS8_S8_S9_S9_EESD_ST_SE_SF_SG_EUlST_E1_NS1_11comp_targetILNS1_3genE0ELNS1_11target_archE4294967295ELNS1_3gpuE0ELNS1_3repE0EEENS1_36merge_oddeven_config_static_selectorELNS0_4arch9wavefront6targetE1EEEvSF_
                                        ; -- End function
	.section	.AMDGPU.csdata,"",@progbits
; Kernel info:
; codeLenInByte = 0
; NumSgprs: 4
; NumVgprs: 0
; NumAgprs: 0
; TotalNumVgprs: 0
; ScratchSize: 0
; MemoryBound: 0
; FloatMode: 240
; IeeeMode: 1
; LDSByteSize: 0 bytes/workgroup (compile time only)
; SGPRBlocks: 0
; VGPRBlocks: 0
; NumSGPRsForWavesPerEU: 4
; NumVGPRsForWavesPerEU: 1
; AccumOffset: 4
; Occupancy: 8
; WaveLimiterHint : 0
; COMPUTE_PGM_RSRC2:SCRATCH_EN: 0
; COMPUTE_PGM_RSRC2:USER_SGPR: 6
; COMPUTE_PGM_RSRC2:TRAP_HANDLER: 0
; COMPUTE_PGM_RSRC2:TGID_X_EN: 1
; COMPUTE_PGM_RSRC2:TGID_Y_EN: 0
; COMPUTE_PGM_RSRC2:TGID_Z_EN: 0
; COMPUTE_PGM_RSRC2:TIDIG_COMP_CNT: 0
; COMPUTE_PGM_RSRC3_GFX90A:ACCUM_OFFSET: 0
; COMPUTE_PGM_RSRC3_GFX90A:TG_SPLIT: 0
	.section	.text._ZN7rocprim17ROCPRIM_400000_NS6detail17trampoline_kernelINS0_14default_configENS1_38merge_sort_block_merge_config_selectorIyNS0_10empty_typeEEEZZNS1_27merge_sort_block_merge_implIS3_PyPS5_jNS1_19radix_merge_compareILb1ELb0EyNS0_19identity_decomposerEEEEE10hipError_tT0_T1_T2_jT3_P12ihipStream_tbPNSt15iterator_traitsISE_E10value_typeEPNSK_ISF_E10value_typeEPSG_NS1_7vsmem_tEENKUlT_SE_SF_SG_E_clIS8_S8_S9_S9_EESD_ST_SE_SF_SG_EUlST_E1_NS1_11comp_targetILNS1_3genE10ELNS1_11target_archE1201ELNS1_3gpuE5ELNS1_3repE0EEENS1_36merge_oddeven_config_static_selectorELNS0_4arch9wavefront6targetE1EEEvSF_,"axG",@progbits,_ZN7rocprim17ROCPRIM_400000_NS6detail17trampoline_kernelINS0_14default_configENS1_38merge_sort_block_merge_config_selectorIyNS0_10empty_typeEEEZZNS1_27merge_sort_block_merge_implIS3_PyPS5_jNS1_19radix_merge_compareILb1ELb0EyNS0_19identity_decomposerEEEEE10hipError_tT0_T1_T2_jT3_P12ihipStream_tbPNSt15iterator_traitsISE_E10value_typeEPNSK_ISF_E10value_typeEPSG_NS1_7vsmem_tEENKUlT_SE_SF_SG_E_clIS8_S8_S9_S9_EESD_ST_SE_SF_SG_EUlST_E1_NS1_11comp_targetILNS1_3genE10ELNS1_11target_archE1201ELNS1_3gpuE5ELNS1_3repE0EEENS1_36merge_oddeven_config_static_selectorELNS0_4arch9wavefront6targetE1EEEvSF_,comdat
	.protected	_ZN7rocprim17ROCPRIM_400000_NS6detail17trampoline_kernelINS0_14default_configENS1_38merge_sort_block_merge_config_selectorIyNS0_10empty_typeEEEZZNS1_27merge_sort_block_merge_implIS3_PyPS5_jNS1_19radix_merge_compareILb1ELb0EyNS0_19identity_decomposerEEEEE10hipError_tT0_T1_T2_jT3_P12ihipStream_tbPNSt15iterator_traitsISE_E10value_typeEPNSK_ISF_E10value_typeEPSG_NS1_7vsmem_tEENKUlT_SE_SF_SG_E_clIS8_S8_S9_S9_EESD_ST_SE_SF_SG_EUlST_E1_NS1_11comp_targetILNS1_3genE10ELNS1_11target_archE1201ELNS1_3gpuE5ELNS1_3repE0EEENS1_36merge_oddeven_config_static_selectorELNS0_4arch9wavefront6targetE1EEEvSF_ ; -- Begin function _ZN7rocprim17ROCPRIM_400000_NS6detail17trampoline_kernelINS0_14default_configENS1_38merge_sort_block_merge_config_selectorIyNS0_10empty_typeEEEZZNS1_27merge_sort_block_merge_implIS3_PyPS5_jNS1_19radix_merge_compareILb1ELb0EyNS0_19identity_decomposerEEEEE10hipError_tT0_T1_T2_jT3_P12ihipStream_tbPNSt15iterator_traitsISE_E10value_typeEPNSK_ISF_E10value_typeEPSG_NS1_7vsmem_tEENKUlT_SE_SF_SG_E_clIS8_S8_S9_S9_EESD_ST_SE_SF_SG_EUlST_E1_NS1_11comp_targetILNS1_3genE10ELNS1_11target_archE1201ELNS1_3gpuE5ELNS1_3repE0EEENS1_36merge_oddeven_config_static_selectorELNS0_4arch9wavefront6targetE1EEEvSF_
	.globl	_ZN7rocprim17ROCPRIM_400000_NS6detail17trampoline_kernelINS0_14default_configENS1_38merge_sort_block_merge_config_selectorIyNS0_10empty_typeEEEZZNS1_27merge_sort_block_merge_implIS3_PyPS5_jNS1_19radix_merge_compareILb1ELb0EyNS0_19identity_decomposerEEEEE10hipError_tT0_T1_T2_jT3_P12ihipStream_tbPNSt15iterator_traitsISE_E10value_typeEPNSK_ISF_E10value_typeEPSG_NS1_7vsmem_tEENKUlT_SE_SF_SG_E_clIS8_S8_S9_S9_EESD_ST_SE_SF_SG_EUlST_E1_NS1_11comp_targetILNS1_3genE10ELNS1_11target_archE1201ELNS1_3gpuE5ELNS1_3repE0EEENS1_36merge_oddeven_config_static_selectorELNS0_4arch9wavefront6targetE1EEEvSF_
	.p2align	8
	.type	_ZN7rocprim17ROCPRIM_400000_NS6detail17trampoline_kernelINS0_14default_configENS1_38merge_sort_block_merge_config_selectorIyNS0_10empty_typeEEEZZNS1_27merge_sort_block_merge_implIS3_PyPS5_jNS1_19radix_merge_compareILb1ELb0EyNS0_19identity_decomposerEEEEE10hipError_tT0_T1_T2_jT3_P12ihipStream_tbPNSt15iterator_traitsISE_E10value_typeEPNSK_ISF_E10value_typeEPSG_NS1_7vsmem_tEENKUlT_SE_SF_SG_E_clIS8_S8_S9_S9_EESD_ST_SE_SF_SG_EUlST_E1_NS1_11comp_targetILNS1_3genE10ELNS1_11target_archE1201ELNS1_3gpuE5ELNS1_3repE0EEENS1_36merge_oddeven_config_static_selectorELNS0_4arch9wavefront6targetE1EEEvSF_,@function
_ZN7rocprim17ROCPRIM_400000_NS6detail17trampoline_kernelINS0_14default_configENS1_38merge_sort_block_merge_config_selectorIyNS0_10empty_typeEEEZZNS1_27merge_sort_block_merge_implIS3_PyPS5_jNS1_19radix_merge_compareILb1ELb0EyNS0_19identity_decomposerEEEEE10hipError_tT0_T1_T2_jT3_P12ihipStream_tbPNSt15iterator_traitsISE_E10value_typeEPNSK_ISF_E10value_typeEPSG_NS1_7vsmem_tEENKUlT_SE_SF_SG_E_clIS8_S8_S9_S9_EESD_ST_SE_SF_SG_EUlST_E1_NS1_11comp_targetILNS1_3genE10ELNS1_11target_archE1201ELNS1_3gpuE5ELNS1_3repE0EEENS1_36merge_oddeven_config_static_selectorELNS0_4arch9wavefront6targetE1EEEvSF_: ; @_ZN7rocprim17ROCPRIM_400000_NS6detail17trampoline_kernelINS0_14default_configENS1_38merge_sort_block_merge_config_selectorIyNS0_10empty_typeEEEZZNS1_27merge_sort_block_merge_implIS3_PyPS5_jNS1_19radix_merge_compareILb1ELb0EyNS0_19identity_decomposerEEEEE10hipError_tT0_T1_T2_jT3_P12ihipStream_tbPNSt15iterator_traitsISE_E10value_typeEPNSK_ISF_E10value_typeEPSG_NS1_7vsmem_tEENKUlT_SE_SF_SG_E_clIS8_S8_S9_S9_EESD_ST_SE_SF_SG_EUlST_E1_NS1_11comp_targetILNS1_3genE10ELNS1_11target_archE1201ELNS1_3gpuE5ELNS1_3repE0EEENS1_36merge_oddeven_config_static_selectorELNS0_4arch9wavefront6targetE1EEEvSF_
; %bb.0:
	.section	.rodata,"a",@progbits
	.p2align	6, 0x0
	.amdhsa_kernel _ZN7rocprim17ROCPRIM_400000_NS6detail17trampoline_kernelINS0_14default_configENS1_38merge_sort_block_merge_config_selectorIyNS0_10empty_typeEEEZZNS1_27merge_sort_block_merge_implIS3_PyPS5_jNS1_19radix_merge_compareILb1ELb0EyNS0_19identity_decomposerEEEEE10hipError_tT0_T1_T2_jT3_P12ihipStream_tbPNSt15iterator_traitsISE_E10value_typeEPNSK_ISF_E10value_typeEPSG_NS1_7vsmem_tEENKUlT_SE_SF_SG_E_clIS8_S8_S9_S9_EESD_ST_SE_SF_SG_EUlST_E1_NS1_11comp_targetILNS1_3genE10ELNS1_11target_archE1201ELNS1_3gpuE5ELNS1_3repE0EEENS1_36merge_oddeven_config_static_selectorELNS0_4arch9wavefront6targetE1EEEvSF_
		.amdhsa_group_segment_fixed_size 0
		.amdhsa_private_segment_fixed_size 0
		.amdhsa_kernarg_size 48
		.amdhsa_user_sgpr_count 6
		.amdhsa_user_sgpr_private_segment_buffer 1
		.amdhsa_user_sgpr_dispatch_ptr 0
		.amdhsa_user_sgpr_queue_ptr 0
		.amdhsa_user_sgpr_kernarg_segment_ptr 1
		.amdhsa_user_sgpr_dispatch_id 0
		.amdhsa_user_sgpr_flat_scratch_init 0
		.amdhsa_user_sgpr_kernarg_preload_length 0
		.amdhsa_user_sgpr_kernarg_preload_offset 0
		.amdhsa_user_sgpr_private_segment_size 0
		.amdhsa_uses_dynamic_stack 0
		.amdhsa_system_sgpr_private_segment_wavefront_offset 0
		.amdhsa_system_sgpr_workgroup_id_x 1
		.amdhsa_system_sgpr_workgroup_id_y 0
		.amdhsa_system_sgpr_workgroup_id_z 0
		.amdhsa_system_sgpr_workgroup_info 0
		.amdhsa_system_vgpr_workitem_id 0
		.amdhsa_next_free_vgpr 1
		.amdhsa_next_free_sgpr 0
		.amdhsa_accum_offset 4
		.amdhsa_reserve_vcc 0
		.amdhsa_reserve_flat_scratch 0
		.amdhsa_float_round_mode_32 0
		.amdhsa_float_round_mode_16_64 0
		.amdhsa_float_denorm_mode_32 3
		.amdhsa_float_denorm_mode_16_64 3
		.amdhsa_dx10_clamp 1
		.amdhsa_ieee_mode 1
		.amdhsa_fp16_overflow 0
		.amdhsa_tg_split 0
		.amdhsa_exception_fp_ieee_invalid_op 0
		.amdhsa_exception_fp_denorm_src 0
		.amdhsa_exception_fp_ieee_div_zero 0
		.amdhsa_exception_fp_ieee_overflow 0
		.amdhsa_exception_fp_ieee_underflow 0
		.amdhsa_exception_fp_ieee_inexact 0
		.amdhsa_exception_int_div_zero 0
	.end_amdhsa_kernel
	.section	.text._ZN7rocprim17ROCPRIM_400000_NS6detail17trampoline_kernelINS0_14default_configENS1_38merge_sort_block_merge_config_selectorIyNS0_10empty_typeEEEZZNS1_27merge_sort_block_merge_implIS3_PyPS5_jNS1_19radix_merge_compareILb1ELb0EyNS0_19identity_decomposerEEEEE10hipError_tT0_T1_T2_jT3_P12ihipStream_tbPNSt15iterator_traitsISE_E10value_typeEPNSK_ISF_E10value_typeEPSG_NS1_7vsmem_tEENKUlT_SE_SF_SG_E_clIS8_S8_S9_S9_EESD_ST_SE_SF_SG_EUlST_E1_NS1_11comp_targetILNS1_3genE10ELNS1_11target_archE1201ELNS1_3gpuE5ELNS1_3repE0EEENS1_36merge_oddeven_config_static_selectorELNS0_4arch9wavefront6targetE1EEEvSF_,"axG",@progbits,_ZN7rocprim17ROCPRIM_400000_NS6detail17trampoline_kernelINS0_14default_configENS1_38merge_sort_block_merge_config_selectorIyNS0_10empty_typeEEEZZNS1_27merge_sort_block_merge_implIS3_PyPS5_jNS1_19radix_merge_compareILb1ELb0EyNS0_19identity_decomposerEEEEE10hipError_tT0_T1_T2_jT3_P12ihipStream_tbPNSt15iterator_traitsISE_E10value_typeEPNSK_ISF_E10value_typeEPSG_NS1_7vsmem_tEENKUlT_SE_SF_SG_E_clIS8_S8_S9_S9_EESD_ST_SE_SF_SG_EUlST_E1_NS1_11comp_targetILNS1_3genE10ELNS1_11target_archE1201ELNS1_3gpuE5ELNS1_3repE0EEENS1_36merge_oddeven_config_static_selectorELNS0_4arch9wavefront6targetE1EEEvSF_,comdat
.Lfunc_end2428:
	.size	_ZN7rocprim17ROCPRIM_400000_NS6detail17trampoline_kernelINS0_14default_configENS1_38merge_sort_block_merge_config_selectorIyNS0_10empty_typeEEEZZNS1_27merge_sort_block_merge_implIS3_PyPS5_jNS1_19radix_merge_compareILb1ELb0EyNS0_19identity_decomposerEEEEE10hipError_tT0_T1_T2_jT3_P12ihipStream_tbPNSt15iterator_traitsISE_E10value_typeEPNSK_ISF_E10value_typeEPSG_NS1_7vsmem_tEENKUlT_SE_SF_SG_E_clIS8_S8_S9_S9_EESD_ST_SE_SF_SG_EUlST_E1_NS1_11comp_targetILNS1_3genE10ELNS1_11target_archE1201ELNS1_3gpuE5ELNS1_3repE0EEENS1_36merge_oddeven_config_static_selectorELNS0_4arch9wavefront6targetE1EEEvSF_, .Lfunc_end2428-_ZN7rocprim17ROCPRIM_400000_NS6detail17trampoline_kernelINS0_14default_configENS1_38merge_sort_block_merge_config_selectorIyNS0_10empty_typeEEEZZNS1_27merge_sort_block_merge_implIS3_PyPS5_jNS1_19radix_merge_compareILb1ELb0EyNS0_19identity_decomposerEEEEE10hipError_tT0_T1_T2_jT3_P12ihipStream_tbPNSt15iterator_traitsISE_E10value_typeEPNSK_ISF_E10value_typeEPSG_NS1_7vsmem_tEENKUlT_SE_SF_SG_E_clIS8_S8_S9_S9_EESD_ST_SE_SF_SG_EUlST_E1_NS1_11comp_targetILNS1_3genE10ELNS1_11target_archE1201ELNS1_3gpuE5ELNS1_3repE0EEENS1_36merge_oddeven_config_static_selectorELNS0_4arch9wavefront6targetE1EEEvSF_
                                        ; -- End function
	.section	.AMDGPU.csdata,"",@progbits
; Kernel info:
; codeLenInByte = 0
; NumSgprs: 4
; NumVgprs: 0
; NumAgprs: 0
; TotalNumVgprs: 0
; ScratchSize: 0
; MemoryBound: 0
; FloatMode: 240
; IeeeMode: 1
; LDSByteSize: 0 bytes/workgroup (compile time only)
; SGPRBlocks: 0
; VGPRBlocks: 0
; NumSGPRsForWavesPerEU: 4
; NumVGPRsForWavesPerEU: 1
; AccumOffset: 4
; Occupancy: 8
; WaveLimiterHint : 0
; COMPUTE_PGM_RSRC2:SCRATCH_EN: 0
; COMPUTE_PGM_RSRC2:USER_SGPR: 6
; COMPUTE_PGM_RSRC2:TRAP_HANDLER: 0
; COMPUTE_PGM_RSRC2:TGID_X_EN: 1
; COMPUTE_PGM_RSRC2:TGID_Y_EN: 0
; COMPUTE_PGM_RSRC2:TGID_Z_EN: 0
; COMPUTE_PGM_RSRC2:TIDIG_COMP_CNT: 0
; COMPUTE_PGM_RSRC3_GFX90A:ACCUM_OFFSET: 0
; COMPUTE_PGM_RSRC3_GFX90A:TG_SPLIT: 0
	.section	.text._ZN7rocprim17ROCPRIM_400000_NS6detail17trampoline_kernelINS0_14default_configENS1_38merge_sort_block_merge_config_selectorIyNS0_10empty_typeEEEZZNS1_27merge_sort_block_merge_implIS3_PyPS5_jNS1_19radix_merge_compareILb1ELb0EyNS0_19identity_decomposerEEEEE10hipError_tT0_T1_T2_jT3_P12ihipStream_tbPNSt15iterator_traitsISE_E10value_typeEPNSK_ISF_E10value_typeEPSG_NS1_7vsmem_tEENKUlT_SE_SF_SG_E_clIS8_S8_S9_S9_EESD_ST_SE_SF_SG_EUlST_E1_NS1_11comp_targetILNS1_3genE5ELNS1_11target_archE942ELNS1_3gpuE9ELNS1_3repE0EEENS1_36merge_oddeven_config_static_selectorELNS0_4arch9wavefront6targetE1EEEvSF_,"axG",@progbits,_ZN7rocprim17ROCPRIM_400000_NS6detail17trampoline_kernelINS0_14default_configENS1_38merge_sort_block_merge_config_selectorIyNS0_10empty_typeEEEZZNS1_27merge_sort_block_merge_implIS3_PyPS5_jNS1_19radix_merge_compareILb1ELb0EyNS0_19identity_decomposerEEEEE10hipError_tT0_T1_T2_jT3_P12ihipStream_tbPNSt15iterator_traitsISE_E10value_typeEPNSK_ISF_E10value_typeEPSG_NS1_7vsmem_tEENKUlT_SE_SF_SG_E_clIS8_S8_S9_S9_EESD_ST_SE_SF_SG_EUlST_E1_NS1_11comp_targetILNS1_3genE5ELNS1_11target_archE942ELNS1_3gpuE9ELNS1_3repE0EEENS1_36merge_oddeven_config_static_selectorELNS0_4arch9wavefront6targetE1EEEvSF_,comdat
	.protected	_ZN7rocprim17ROCPRIM_400000_NS6detail17trampoline_kernelINS0_14default_configENS1_38merge_sort_block_merge_config_selectorIyNS0_10empty_typeEEEZZNS1_27merge_sort_block_merge_implIS3_PyPS5_jNS1_19radix_merge_compareILb1ELb0EyNS0_19identity_decomposerEEEEE10hipError_tT0_T1_T2_jT3_P12ihipStream_tbPNSt15iterator_traitsISE_E10value_typeEPNSK_ISF_E10value_typeEPSG_NS1_7vsmem_tEENKUlT_SE_SF_SG_E_clIS8_S8_S9_S9_EESD_ST_SE_SF_SG_EUlST_E1_NS1_11comp_targetILNS1_3genE5ELNS1_11target_archE942ELNS1_3gpuE9ELNS1_3repE0EEENS1_36merge_oddeven_config_static_selectorELNS0_4arch9wavefront6targetE1EEEvSF_ ; -- Begin function _ZN7rocprim17ROCPRIM_400000_NS6detail17trampoline_kernelINS0_14default_configENS1_38merge_sort_block_merge_config_selectorIyNS0_10empty_typeEEEZZNS1_27merge_sort_block_merge_implIS3_PyPS5_jNS1_19radix_merge_compareILb1ELb0EyNS0_19identity_decomposerEEEEE10hipError_tT0_T1_T2_jT3_P12ihipStream_tbPNSt15iterator_traitsISE_E10value_typeEPNSK_ISF_E10value_typeEPSG_NS1_7vsmem_tEENKUlT_SE_SF_SG_E_clIS8_S8_S9_S9_EESD_ST_SE_SF_SG_EUlST_E1_NS1_11comp_targetILNS1_3genE5ELNS1_11target_archE942ELNS1_3gpuE9ELNS1_3repE0EEENS1_36merge_oddeven_config_static_selectorELNS0_4arch9wavefront6targetE1EEEvSF_
	.globl	_ZN7rocprim17ROCPRIM_400000_NS6detail17trampoline_kernelINS0_14default_configENS1_38merge_sort_block_merge_config_selectorIyNS0_10empty_typeEEEZZNS1_27merge_sort_block_merge_implIS3_PyPS5_jNS1_19radix_merge_compareILb1ELb0EyNS0_19identity_decomposerEEEEE10hipError_tT0_T1_T2_jT3_P12ihipStream_tbPNSt15iterator_traitsISE_E10value_typeEPNSK_ISF_E10value_typeEPSG_NS1_7vsmem_tEENKUlT_SE_SF_SG_E_clIS8_S8_S9_S9_EESD_ST_SE_SF_SG_EUlST_E1_NS1_11comp_targetILNS1_3genE5ELNS1_11target_archE942ELNS1_3gpuE9ELNS1_3repE0EEENS1_36merge_oddeven_config_static_selectorELNS0_4arch9wavefront6targetE1EEEvSF_
	.p2align	8
	.type	_ZN7rocprim17ROCPRIM_400000_NS6detail17trampoline_kernelINS0_14default_configENS1_38merge_sort_block_merge_config_selectorIyNS0_10empty_typeEEEZZNS1_27merge_sort_block_merge_implIS3_PyPS5_jNS1_19radix_merge_compareILb1ELb0EyNS0_19identity_decomposerEEEEE10hipError_tT0_T1_T2_jT3_P12ihipStream_tbPNSt15iterator_traitsISE_E10value_typeEPNSK_ISF_E10value_typeEPSG_NS1_7vsmem_tEENKUlT_SE_SF_SG_E_clIS8_S8_S9_S9_EESD_ST_SE_SF_SG_EUlST_E1_NS1_11comp_targetILNS1_3genE5ELNS1_11target_archE942ELNS1_3gpuE9ELNS1_3repE0EEENS1_36merge_oddeven_config_static_selectorELNS0_4arch9wavefront6targetE1EEEvSF_,@function
_ZN7rocprim17ROCPRIM_400000_NS6detail17trampoline_kernelINS0_14default_configENS1_38merge_sort_block_merge_config_selectorIyNS0_10empty_typeEEEZZNS1_27merge_sort_block_merge_implIS3_PyPS5_jNS1_19radix_merge_compareILb1ELb0EyNS0_19identity_decomposerEEEEE10hipError_tT0_T1_T2_jT3_P12ihipStream_tbPNSt15iterator_traitsISE_E10value_typeEPNSK_ISF_E10value_typeEPSG_NS1_7vsmem_tEENKUlT_SE_SF_SG_E_clIS8_S8_S9_S9_EESD_ST_SE_SF_SG_EUlST_E1_NS1_11comp_targetILNS1_3genE5ELNS1_11target_archE942ELNS1_3gpuE9ELNS1_3repE0EEENS1_36merge_oddeven_config_static_selectorELNS0_4arch9wavefront6targetE1EEEvSF_: ; @_ZN7rocprim17ROCPRIM_400000_NS6detail17trampoline_kernelINS0_14default_configENS1_38merge_sort_block_merge_config_selectorIyNS0_10empty_typeEEEZZNS1_27merge_sort_block_merge_implIS3_PyPS5_jNS1_19radix_merge_compareILb1ELb0EyNS0_19identity_decomposerEEEEE10hipError_tT0_T1_T2_jT3_P12ihipStream_tbPNSt15iterator_traitsISE_E10value_typeEPNSK_ISF_E10value_typeEPSG_NS1_7vsmem_tEENKUlT_SE_SF_SG_E_clIS8_S8_S9_S9_EESD_ST_SE_SF_SG_EUlST_E1_NS1_11comp_targetILNS1_3genE5ELNS1_11target_archE942ELNS1_3gpuE9ELNS1_3repE0EEENS1_36merge_oddeven_config_static_selectorELNS0_4arch9wavefront6targetE1EEEvSF_
; %bb.0:
	.section	.rodata,"a",@progbits
	.p2align	6, 0x0
	.amdhsa_kernel _ZN7rocprim17ROCPRIM_400000_NS6detail17trampoline_kernelINS0_14default_configENS1_38merge_sort_block_merge_config_selectorIyNS0_10empty_typeEEEZZNS1_27merge_sort_block_merge_implIS3_PyPS5_jNS1_19radix_merge_compareILb1ELb0EyNS0_19identity_decomposerEEEEE10hipError_tT0_T1_T2_jT3_P12ihipStream_tbPNSt15iterator_traitsISE_E10value_typeEPNSK_ISF_E10value_typeEPSG_NS1_7vsmem_tEENKUlT_SE_SF_SG_E_clIS8_S8_S9_S9_EESD_ST_SE_SF_SG_EUlST_E1_NS1_11comp_targetILNS1_3genE5ELNS1_11target_archE942ELNS1_3gpuE9ELNS1_3repE0EEENS1_36merge_oddeven_config_static_selectorELNS0_4arch9wavefront6targetE1EEEvSF_
		.amdhsa_group_segment_fixed_size 0
		.amdhsa_private_segment_fixed_size 0
		.amdhsa_kernarg_size 48
		.amdhsa_user_sgpr_count 6
		.amdhsa_user_sgpr_private_segment_buffer 1
		.amdhsa_user_sgpr_dispatch_ptr 0
		.amdhsa_user_sgpr_queue_ptr 0
		.amdhsa_user_sgpr_kernarg_segment_ptr 1
		.amdhsa_user_sgpr_dispatch_id 0
		.amdhsa_user_sgpr_flat_scratch_init 0
		.amdhsa_user_sgpr_kernarg_preload_length 0
		.amdhsa_user_sgpr_kernarg_preload_offset 0
		.amdhsa_user_sgpr_private_segment_size 0
		.amdhsa_uses_dynamic_stack 0
		.amdhsa_system_sgpr_private_segment_wavefront_offset 0
		.amdhsa_system_sgpr_workgroup_id_x 1
		.amdhsa_system_sgpr_workgroup_id_y 0
		.amdhsa_system_sgpr_workgroup_id_z 0
		.amdhsa_system_sgpr_workgroup_info 0
		.amdhsa_system_vgpr_workitem_id 0
		.amdhsa_next_free_vgpr 1
		.amdhsa_next_free_sgpr 0
		.amdhsa_accum_offset 4
		.amdhsa_reserve_vcc 0
		.amdhsa_reserve_flat_scratch 0
		.amdhsa_float_round_mode_32 0
		.amdhsa_float_round_mode_16_64 0
		.amdhsa_float_denorm_mode_32 3
		.amdhsa_float_denorm_mode_16_64 3
		.amdhsa_dx10_clamp 1
		.amdhsa_ieee_mode 1
		.amdhsa_fp16_overflow 0
		.amdhsa_tg_split 0
		.amdhsa_exception_fp_ieee_invalid_op 0
		.amdhsa_exception_fp_denorm_src 0
		.amdhsa_exception_fp_ieee_div_zero 0
		.amdhsa_exception_fp_ieee_overflow 0
		.amdhsa_exception_fp_ieee_underflow 0
		.amdhsa_exception_fp_ieee_inexact 0
		.amdhsa_exception_int_div_zero 0
	.end_amdhsa_kernel
	.section	.text._ZN7rocprim17ROCPRIM_400000_NS6detail17trampoline_kernelINS0_14default_configENS1_38merge_sort_block_merge_config_selectorIyNS0_10empty_typeEEEZZNS1_27merge_sort_block_merge_implIS3_PyPS5_jNS1_19radix_merge_compareILb1ELb0EyNS0_19identity_decomposerEEEEE10hipError_tT0_T1_T2_jT3_P12ihipStream_tbPNSt15iterator_traitsISE_E10value_typeEPNSK_ISF_E10value_typeEPSG_NS1_7vsmem_tEENKUlT_SE_SF_SG_E_clIS8_S8_S9_S9_EESD_ST_SE_SF_SG_EUlST_E1_NS1_11comp_targetILNS1_3genE5ELNS1_11target_archE942ELNS1_3gpuE9ELNS1_3repE0EEENS1_36merge_oddeven_config_static_selectorELNS0_4arch9wavefront6targetE1EEEvSF_,"axG",@progbits,_ZN7rocprim17ROCPRIM_400000_NS6detail17trampoline_kernelINS0_14default_configENS1_38merge_sort_block_merge_config_selectorIyNS0_10empty_typeEEEZZNS1_27merge_sort_block_merge_implIS3_PyPS5_jNS1_19radix_merge_compareILb1ELb0EyNS0_19identity_decomposerEEEEE10hipError_tT0_T1_T2_jT3_P12ihipStream_tbPNSt15iterator_traitsISE_E10value_typeEPNSK_ISF_E10value_typeEPSG_NS1_7vsmem_tEENKUlT_SE_SF_SG_E_clIS8_S8_S9_S9_EESD_ST_SE_SF_SG_EUlST_E1_NS1_11comp_targetILNS1_3genE5ELNS1_11target_archE942ELNS1_3gpuE9ELNS1_3repE0EEENS1_36merge_oddeven_config_static_selectorELNS0_4arch9wavefront6targetE1EEEvSF_,comdat
.Lfunc_end2429:
	.size	_ZN7rocprim17ROCPRIM_400000_NS6detail17trampoline_kernelINS0_14default_configENS1_38merge_sort_block_merge_config_selectorIyNS0_10empty_typeEEEZZNS1_27merge_sort_block_merge_implIS3_PyPS5_jNS1_19radix_merge_compareILb1ELb0EyNS0_19identity_decomposerEEEEE10hipError_tT0_T1_T2_jT3_P12ihipStream_tbPNSt15iterator_traitsISE_E10value_typeEPNSK_ISF_E10value_typeEPSG_NS1_7vsmem_tEENKUlT_SE_SF_SG_E_clIS8_S8_S9_S9_EESD_ST_SE_SF_SG_EUlST_E1_NS1_11comp_targetILNS1_3genE5ELNS1_11target_archE942ELNS1_3gpuE9ELNS1_3repE0EEENS1_36merge_oddeven_config_static_selectorELNS0_4arch9wavefront6targetE1EEEvSF_, .Lfunc_end2429-_ZN7rocprim17ROCPRIM_400000_NS6detail17trampoline_kernelINS0_14default_configENS1_38merge_sort_block_merge_config_selectorIyNS0_10empty_typeEEEZZNS1_27merge_sort_block_merge_implIS3_PyPS5_jNS1_19radix_merge_compareILb1ELb0EyNS0_19identity_decomposerEEEEE10hipError_tT0_T1_T2_jT3_P12ihipStream_tbPNSt15iterator_traitsISE_E10value_typeEPNSK_ISF_E10value_typeEPSG_NS1_7vsmem_tEENKUlT_SE_SF_SG_E_clIS8_S8_S9_S9_EESD_ST_SE_SF_SG_EUlST_E1_NS1_11comp_targetILNS1_3genE5ELNS1_11target_archE942ELNS1_3gpuE9ELNS1_3repE0EEENS1_36merge_oddeven_config_static_selectorELNS0_4arch9wavefront6targetE1EEEvSF_
                                        ; -- End function
	.section	.AMDGPU.csdata,"",@progbits
; Kernel info:
; codeLenInByte = 0
; NumSgprs: 4
; NumVgprs: 0
; NumAgprs: 0
; TotalNumVgprs: 0
; ScratchSize: 0
; MemoryBound: 0
; FloatMode: 240
; IeeeMode: 1
; LDSByteSize: 0 bytes/workgroup (compile time only)
; SGPRBlocks: 0
; VGPRBlocks: 0
; NumSGPRsForWavesPerEU: 4
; NumVGPRsForWavesPerEU: 1
; AccumOffset: 4
; Occupancy: 8
; WaveLimiterHint : 0
; COMPUTE_PGM_RSRC2:SCRATCH_EN: 0
; COMPUTE_PGM_RSRC2:USER_SGPR: 6
; COMPUTE_PGM_RSRC2:TRAP_HANDLER: 0
; COMPUTE_PGM_RSRC2:TGID_X_EN: 1
; COMPUTE_PGM_RSRC2:TGID_Y_EN: 0
; COMPUTE_PGM_RSRC2:TGID_Z_EN: 0
; COMPUTE_PGM_RSRC2:TIDIG_COMP_CNT: 0
; COMPUTE_PGM_RSRC3_GFX90A:ACCUM_OFFSET: 0
; COMPUTE_PGM_RSRC3_GFX90A:TG_SPLIT: 0
	.section	.text._ZN7rocprim17ROCPRIM_400000_NS6detail17trampoline_kernelINS0_14default_configENS1_38merge_sort_block_merge_config_selectorIyNS0_10empty_typeEEEZZNS1_27merge_sort_block_merge_implIS3_PyPS5_jNS1_19radix_merge_compareILb1ELb0EyNS0_19identity_decomposerEEEEE10hipError_tT0_T1_T2_jT3_P12ihipStream_tbPNSt15iterator_traitsISE_E10value_typeEPNSK_ISF_E10value_typeEPSG_NS1_7vsmem_tEENKUlT_SE_SF_SG_E_clIS8_S8_S9_S9_EESD_ST_SE_SF_SG_EUlST_E1_NS1_11comp_targetILNS1_3genE4ELNS1_11target_archE910ELNS1_3gpuE8ELNS1_3repE0EEENS1_36merge_oddeven_config_static_selectorELNS0_4arch9wavefront6targetE1EEEvSF_,"axG",@progbits,_ZN7rocprim17ROCPRIM_400000_NS6detail17trampoline_kernelINS0_14default_configENS1_38merge_sort_block_merge_config_selectorIyNS0_10empty_typeEEEZZNS1_27merge_sort_block_merge_implIS3_PyPS5_jNS1_19radix_merge_compareILb1ELb0EyNS0_19identity_decomposerEEEEE10hipError_tT0_T1_T2_jT3_P12ihipStream_tbPNSt15iterator_traitsISE_E10value_typeEPNSK_ISF_E10value_typeEPSG_NS1_7vsmem_tEENKUlT_SE_SF_SG_E_clIS8_S8_S9_S9_EESD_ST_SE_SF_SG_EUlST_E1_NS1_11comp_targetILNS1_3genE4ELNS1_11target_archE910ELNS1_3gpuE8ELNS1_3repE0EEENS1_36merge_oddeven_config_static_selectorELNS0_4arch9wavefront6targetE1EEEvSF_,comdat
	.protected	_ZN7rocprim17ROCPRIM_400000_NS6detail17trampoline_kernelINS0_14default_configENS1_38merge_sort_block_merge_config_selectorIyNS0_10empty_typeEEEZZNS1_27merge_sort_block_merge_implIS3_PyPS5_jNS1_19radix_merge_compareILb1ELb0EyNS0_19identity_decomposerEEEEE10hipError_tT0_T1_T2_jT3_P12ihipStream_tbPNSt15iterator_traitsISE_E10value_typeEPNSK_ISF_E10value_typeEPSG_NS1_7vsmem_tEENKUlT_SE_SF_SG_E_clIS8_S8_S9_S9_EESD_ST_SE_SF_SG_EUlST_E1_NS1_11comp_targetILNS1_3genE4ELNS1_11target_archE910ELNS1_3gpuE8ELNS1_3repE0EEENS1_36merge_oddeven_config_static_selectorELNS0_4arch9wavefront6targetE1EEEvSF_ ; -- Begin function _ZN7rocprim17ROCPRIM_400000_NS6detail17trampoline_kernelINS0_14default_configENS1_38merge_sort_block_merge_config_selectorIyNS0_10empty_typeEEEZZNS1_27merge_sort_block_merge_implIS3_PyPS5_jNS1_19radix_merge_compareILb1ELb0EyNS0_19identity_decomposerEEEEE10hipError_tT0_T1_T2_jT3_P12ihipStream_tbPNSt15iterator_traitsISE_E10value_typeEPNSK_ISF_E10value_typeEPSG_NS1_7vsmem_tEENKUlT_SE_SF_SG_E_clIS8_S8_S9_S9_EESD_ST_SE_SF_SG_EUlST_E1_NS1_11comp_targetILNS1_3genE4ELNS1_11target_archE910ELNS1_3gpuE8ELNS1_3repE0EEENS1_36merge_oddeven_config_static_selectorELNS0_4arch9wavefront6targetE1EEEvSF_
	.globl	_ZN7rocprim17ROCPRIM_400000_NS6detail17trampoline_kernelINS0_14default_configENS1_38merge_sort_block_merge_config_selectorIyNS0_10empty_typeEEEZZNS1_27merge_sort_block_merge_implIS3_PyPS5_jNS1_19radix_merge_compareILb1ELb0EyNS0_19identity_decomposerEEEEE10hipError_tT0_T1_T2_jT3_P12ihipStream_tbPNSt15iterator_traitsISE_E10value_typeEPNSK_ISF_E10value_typeEPSG_NS1_7vsmem_tEENKUlT_SE_SF_SG_E_clIS8_S8_S9_S9_EESD_ST_SE_SF_SG_EUlST_E1_NS1_11comp_targetILNS1_3genE4ELNS1_11target_archE910ELNS1_3gpuE8ELNS1_3repE0EEENS1_36merge_oddeven_config_static_selectorELNS0_4arch9wavefront6targetE1EEEvSF_
	.p2align	8
	.type	_ZN7rocprim17ROCPRIM_400000_NS6detail17trampoline_kernelINS0_14default_configENS1_38merge_sort_block_merge_config_selectorIyNS0_10empty_typeEEEZZNS1_27merge_sort_block_merge_implIS3_PyPS5_jNS1_19radix_merge_compareILb1ELb0EyNS0_19identity_decomposerEEEEE10hipError_tT0_T1_T2_jT3_P12ihipStream_tbPNSt15iterator_traitsISE_E10value_typeEPNSK_ISF_E10value_typeEPSG_NS1_7vsmem_tEENKUlT_SE_SF_SG_E_clIS8_S8_S9_S9_EESD_ST_SE_SF_SG_EUlST_E1_NS1_11comp_targetILNS1_3genE4ELNS1_11target_archE910ELNS1_3gpuE8ELNS1_3repE0EEENS1_36merge_oddeven_config_static_selectorELNS0_4arch9wavefront6targetE1EEEvSF_,@function
_ZN7rocprim17ROCPRIM_400000_NS6detail17trampoline_kernelINS0_14default_configENS1_38merge_sort_block_merge_config_selectorIyNS0_10empty_typeEEEZZNS1_27merge_sort_block_merge_implIS3_PyPS5_jNS1_19radix_merge_compareILb1ELb0EyNS0_19identity_decomposerEEEEE10hipError_tT0_T1_T2_jT3_P12ihipStream_tbPNSt15iterator_traitsISE_E10value_typeEPNSK_ISF_E10value_typeEPSG_NS1_7vsmem_tEENKUlT_SE_SF_SG_E_clIS8_S8_S9_S9_EESD_ST_SE_SF_SG_EUlST_E1_NS1_11comp_targetILNS1_3genE4ELNS1_11target_archE910ELNS1_3gpuE8ELNS1_3repE0EEENS1_36merge_oddeven_config_static_selectorELNS0_4arch9wavefront6targetE1EEEvSF_: ; @_ZN7rocprim17ROCPRIM_400000_NS6detail17trampoline_kernelINS0_14default_configENS1_38merge_sort_block_merge_config_selectorIyNS0_10empty_typeEEEZZNS1_27merge_sort_block_merge_implIS3_PyPS5_jNS1_19radix_merge_compareILb1ELb0EyNS0_19identity_decomposerEEEEE10hipError_tT0_T1_T2_jT3_P12ihipStream_tbPNSt15iterator_traitsISE_E10value_typeEPNSK_ISF_E10value_typeEPSG_NS1_7vsmem_tEENKUlT_SE_SF_SG_E_clIS8_S8_S9_S9_EESD_ST_SE_SF_SG_EUlST_E1_NS1_11comp_targetILNS1_3genE4ELNS1_11target_archE910ELNS1_3gpuE8ELNS1_3repE0EEENS1_36merge_oddeven_config_static_selectorELNS0_4arch9wavefront6targetE1EEEvSF_
; %bb.0:
	s_load_dword s18, s[4:5], 0x20
	s_waitcnt lgkmcnt(0)
	s_lshr_b32 s0, s18, 8
	s_cmp_lg_u32 s6, s0
	s_cselect_b64 s[14:15], -1, 0
	s_cmp_eq_u32 s6, s0
	s_cselect_b64 s[12:13], -1, 0
	s_lshl_b32 s16, s6, 8
	s_sub_i32 s0, s18, s16
	v_cmp_gt_u32_e64 s[2:3], s0, v0
	s_or_b64 s[0:1], s[14:15], s[2:3]
	s_and_saveexec_b64 s[8:9], s[0:1]
	s_cbranch_execz .LBB2430_20
; %bb.1:
	s_load_dwordx4 s[8:11], s[4:5], 0x0
	s_load_dword s19, s[4:5], 0x24
	s_mov_b32 s17, 0
	s_lshl_b64 s[0:1], s[16:17], 3
	v_lshlrev_b32_e32 v1, 3, v0
	s_waitcnt lgkmcnt(0)
	s_add_u32 s0, s8, s0
	s_addc_u32 s1, s9, s1
	global_load_dwordx2 v[2:3], v1, s[0:1]
	s_lshr_b32 s0, s19, 8
	s_sub_i32 s1, 0, s0
	s_and_b32 s1, s6, s1
	s_and_b32 s0, s1, s0
	s_lshl_b32 s20, s1, 8
	s_sub_i32 s6, 0, s19
	s_cmp_eq_u32 s0, 0
	s_cselect_b64 s[0:1], -1, 0
	s_and_b64 s[4:5], s[0:1], exec
	s_cselect_b32 s17, s19, s6
	s_add_i32 s17, s17, s20
	s_cmp_lt_u32 s17, s18
	v_add_u32_e32 v0, s16, v0
	s_cbranch_scc1 .LBB2430_3
; %bb.2:
	v_cmp_gt_u32_e32 vcc, s18, v0
	s_or_b64 s[4:5], vcc, s[14:15]
	s_and_b64 s[4:5], s[4:5], exec
	s_cbranch_execz .LBB2430_4
	s_branch .LBB2430_18
.LBB2430_3:
	s_mov_b64 s[4:5], 0
.LBB2430_4:
	s_min_u32 s14, s17, s18
	s_add_i32 s6, s14, s19
	s_min_u32 s15, s6, s18
	s_min_u32 s6, s20, s14
	s_add_i32 s20, s20, s14
	v_subrev_u32_e32 v0, s20, v0
	v_add_u32_e32 v4, s6, v0
	s_and_b64 vcc, exec, s[12:13]
	s_cbranch_vccz .LBB2430_12
; %bb.5:
                                        ; implicit-def: $vgpr0
	s_and_saveexec_b64 s[6:7], s[2:3]
	s_cbranch_execz .LBB2430_11
; %bb.6:
	s_cmp_ge_u32 s17, s15
	v_mov_b32_e32 v5, s14
	s_cbranch_scc1 .LBB2430_10
; %bb.7:
	s_mov_b64 s[2:3], 0
	v_mov_b32_e32 v6, s15
	v_mov_b32_e32 v5, s14
	;; [unrolled: 1-line block ×4, first 2 shown]
.LBB2430_8:                             ; =>This Inner Loop Header: Depth=1
	v_add_u32_e32 v0, v5, v6
	v_lshrrev_b32_e32 v0, 1, v0
	v_lshlrev_b64 v[8:9], 3, v[0:1]
	v_add_co_u32_e32 v8, vcc, s8, v8
	v_addc_co_u32_e32 v9, vcc, v7, v9, vcc
	global_load_dwordx2 v[8:9], v[8:9], off
	v_add_u32_e32 v10, 1, v0
	s_waitcnt vmcnt(0)
	v_cmp_gt_u64_e32 vcc, v[8:9], v[2:3]
	v_cndmask_b32_e64 v11, 0, 1, vcc
	v_cmp_le_u64_e32 vcc, v[2:3], v[8:9]
	v_cndmask_b32_e64 v8, 0, 1, vcc
	v_cndmask_b32_e64 v8, v8, v11, s[0:1]
	v_and_b32_e32 v8, 1, v8
	v_cmp_eq_u32_e32 vcc, 1, v8
	v_cndmask_b32_e32 v6, v0, v6, vcc
	v_cndmask_b32_e32 v5, v5, v10, vcc
	v_cmp_ge_u32_e32 vcc, v5, v6
	s_or_b64 s[2:3], vcc, s[2:3]
	s_andn2_b64 exec, exec, s[2:3]
	s_cbranch_execnz .LBB2430_8
; %bb.9:
	s_or_b64 exec, exec, s[2:3]
.LBB2430_10:
	v_add_u32_e32 v0, v5, v4
	s_or_b64 s[4:5], s[4:5], exec
.LBB2430_11:
	s_or_b64 exec, exec, s[6:7]
	s_branch .LBB2430_18
.LBB2430_12:
                                        ; implicit-def: $vgpr0
	s_cbranch_execz .LBB2430_18
; %bb.13:
	s_cmp_ge_u32 s17, s15
	v_mov_b32_e32 v5, s14
	s_cbranch_scc1 .LBB2430_17
; %bb.14:
	s_mov_b64 s[2:3], 0
	v_mov_b32_e32 v6, s15
	v_mov_b32_e32 v5, s14
	;; [unrolled: 1-line block ×4, first 2 shown]
.LBB2430_15:                            ; =>This Inner Loop Header: Depth=1
	v_add_u32_e32 v0, v5, v6
	v_lshrrev_b32_e32 v0, 1, v0
	v_lshlrev_b64 v[8:9], 3, v[0:1]
	v_add_co_u32_e32 v8, vcc, s8, v8
	v_addc_co_u32_e32 v9, vcc, v7, v9, vcc
	global_load_dwordx2 v[8:9], v[8:9], off
	v_add_u32_e32 v10, 1, v0
	s_waitcnt vmcnt(0)
	v_cmp_gt_u64_e32 vcc, v[8:9], v[2:3]
	v_cndmask_b32_e64 v11, 0, 1, vcc
	v_cmp_le_u64_e32 vcc, v[2:3], v[8:9]
	v_cndmask_b32_e64 v8, 0, 1, vcc
	v_cndmask_b32_e64 v8, v8, v11, s[0:1]
	v_and_b32_e32 v8, 1, v8
	v_cmp_eq_u32_e32 vcc, 1, v8
	v_cndmask_b32_e32 v6, v0, v6, vcc
	v_cndmask_b32_e32 v5, v5, v10, vcc
	v_cmp_ge_u32_e32 vcc, v5, v6
	s_or_b64 s[2:3], vcc, s[2:3]
	s_andn2_b64 exec, exec, s[2:3]
	s_cbranch_execnz .LBB2430_15
; %bb.16:
	s_or_b64 exec, exec, s[2:3]
.LBB2430_17:
	v_add_u32_e32 v0, v5, v4
	s_mov_b64 s[4:5], -1
.LBB2430_18:
	s_and_b64 exec, exec, s[4:5]
	s_cbranch_execz .LBB2430_20
; %bb.19:
	v_mov_b32_e32 v1, 0
	v_lshlrev_b64 v[0:1], 3, v[0:1]
	v_mov_b32_e32 v4, s11
	v_add_co_u32_e32 v0, vcc, s10, v0
	v_addc_co_u32_e32 v1, vcc, v4, v1, vcc
	s_waitcnt vmcnt(0)
	global_store_dwordx2 v[0:1], v[2:3], off
.LBB2430_20:
	s_endpgm
	.section	.rodata,"a",@progbits
	.p2align	6, 0x0
	.amdhsa_kernel _ZN7rocprim17ROCPRIM_400000_NS6detail17trampoline_kernelINS0_14default_configENS1_38merge_sort_block_merge_config_selectorIyNS0_10empty_typeEEEZZNS1_27merge_sort_block_merge_implIS3_PyPS5_jNS1_19radix_merge_compareILb1ELb0EyNS0_19identity_decomposerEEEEE10hipError_tT0_T1_T2_jT3_P12ihipStream_tbPNSt15iterator_traitsISE_E10value_typeEPNSK_ISF_E10value_typeEPSG_NS1_7vsmem_tEENKUlT_SE_SF_SG_E_clIS8_S8_S9_S9_EESD_ST_SE_SF_SG_EUlST_E1_NS1_11comp_targetILNS1_3genE4ELNS1_11target_archE910ELNS1_3gpuE8ELNS1_3repE0EEENS1_36merge_oddeven_config_static_selectorELNS0_4arch9wavefront6targetE1EEEvSF_
		.amdhsa_group_segment_fixed_size 0
		.amdhsa_private_segment_fixed_size 0
		.amdhsa_kernarg_size 48
		.amdhsa_user_sgpr_count 6
		.amdhsa_user_sgpr_private_segment_buffer 1
		.amdhsa_user_sgpr_dispatch_ptr 0
		.amdhsa_user_sgpr_queue_ptr 0
		.amdhsa_user_sgpr_kernarg_segment_ptr 1
		.amdhsa_user_sgpr_dispatch_id 0
		.amdhsa_user_sgpr_flat_scratch_init 0
		.amdhsa_user_sgpr_kernarg_preload_length 0
		.amdhsa_user_sgpr_kernarg_preload_offset 0
		.amdhsa_user_sgpr_private_segment_size 0
		.amdhsa_uses_dynamic_stack 0
		.amdhsa_system_sgpr_private_segment_wavefront_offset 0
		.amdhsa_system_sgpr_workgroup_id_x 1
		.amdhsa_system_sgpr_workgroup_id_y 0
		.amdhsa_system_sgpr_workgroup_id_z 0
		.amdhsa_system_sgpr_workgroup_info 0
		.amdhsa_system_vgpr_workitem_id 0
		.amdhsa_next_free_vgpr 12
		.amdhsa_next_free_sgpr 21
		.amdhsa_accum_offset 12
		.amdhsa_reserve_vcc 1
		.amdhsa_reserve_flat_scratch 0
		.amdhsa_float_round_mode_32 0
		.amdhsa_float_round_mode_16_64 0
		.amdhsa_float_denorm_mode_32 3
		.amdhsa_float_denorm_mode_16_64 3
		.amdhsa_dx10_clamp 1
		.amdhsa_ieee_mode 1
		.amdhsa_fp16_overflow 0
		.amdhsa_tg_split 0
		.amdhsa_exception_fp_ieee_invalid_op 0
		.amdhsa_exception_fp_denorm_src 0
		.amdhsa_exception_fp_ieee_div_zero 0
		.amdhsa_exception_fp_ieee_overflow 0
		.amdhsa_exception_fp_ieee_underflow 0
		.amdhsa_exception_fp_ieee_inexact 0
		.amdhsa_exception_int_div_zero 0
	.end_amdhsa_kernel
	.section	.text._ZN7rocprim17ROCPRIM_400000_NS6detail17trampoline_kernelINS0_14default_configENS1_38merge_sort_block_merge_config_selectorIyNS0_10empty_typeEEEZZNS1_27merge_sort_block_merge_implIS3_PyPS5_jNS1_19radix_merge_compareILb1ELb0EyNS0_19identity_decomposerEEEEE10hipError_tT0_T1_T2_jT3_P12ihipStream_tbPNSt15iterator_traitsISE_E10value_typeEPNSK_ISF_E10value_typeEPSG_NS1_7vsmem_tEENKUlT_SE_SF_SG_E_clIS8_S8_S9_S9_EESD_ST_SE_SF_SG_EUlST_E1_NS1_11comp_targetILNS1_3genE4ELNS1_11target_archE910ELNS1_3gpuE8ELNS1_3repE0EEENS1_36merge_oddeven_config_static_selectorELNS0_4arch9wavefront6targetE1EEEvSF_,"axG",@progbits,_ZN7rocprim17ROCPRIM_400000_NS6detail17trampoline_kernelINS0_14default_configENS1_38merge_sort_block_merge_config_selectorIyNS0_10empty_typeEEEZZNS1_27merge_sort_block_merge_implIS3_PyPS5_jNS1_19radix_merge_compareILb1ELb0EyNS0_19identity_decomposerEEEEE10hipError_tT0_T1_T2_jT3_P12ihipStream_tbPNSt15iterator_traitsISE_E10value_typeEPNSK_ISF_E10value_typeEPSG_NS1_7vsmem_tEENKUlT_SE_SF_SG_E_clIS8_S8_S9_S9_EESD_ST_SE_SF_SG_EUlST_E1_NS1_11comp_targetILNS1_3genE4ELNS1_11target_archE910ELNS1_3gpuE8ELNS1_3repE0EEENS1_36merge_oddeven_config_static_selectorELNS0_4arch9wavefront6targetE1EEEvSF_,comdat
.Lfunc_end2430:
	.size	_ZN7rocprim17ROCPRIM_400000_NS6detail17trampoline_kernelINS0_14default_configENS1_38merge_sort_block_merge_config_selectorIyNS0_10empty_typeEEEZZNS1_27merge_sort_block_merge_implIS3_PyPS5_jNS1_19radix_merge_compareILb1ELb0EyNS0_19identity_decomposerEEEEE10hipError_tT0_T1_T2_jT3_P12ihipStream_tbPNSt15iterator_traitsISE_E10value_typeEPNSK_ISF_E10value_typeEPSG_NS1_7vsmem_tEENKUlT_SE_SF_SG_E_clIS8_S8_S9_S9_EESD_ST_SE_SF_SG_EUlST_E1_NS1_11comp_targetILNS1_3genE4ELNS1_11target_archE910ELNS1_3gpuE8ELNS1_3repE0EEENS1_36merge_oddeven_config_static_selectorELNS0_4arch9wavefront6targetE1EEEvSF_, .Lfunc_end2430-_ZN7rocprim17ROCPRIM_400000_NS6detail17trampoline_kernelINS0_14default_configENS1_38merge_sort_block_merge_config_selectorIyNS0_10empty_typeEEEZZNS1_27merge_sort_block_merge_implIS3_PyPS5_jNS1_19radix_merge_compareILb1ELb0EyNS0_19identity_decomposerEEEEE10hipError_tT0_T1_T2_jT3_P12ihipStream_tbPNSt15iterator_traitsISE_E10value_typeEPNSK_ISF_E10value_typeEPSG_NS1_7vsmem_tEENKUlT_SE_SF_SG_E_clIS8_S8_S9_S9_EESD_ST_SE_SF_SG_EUlST_E1_NS1_11comp_targetILNS1_3genE4ELNS1_11target_archE910ELNS1_3gpuE8ELNS1_3repE0EEENS1_36merge_oddeven_config_static_selectorELNS0_4arch9wavefront6targetE1EEEvSF_
                                        ; -- End function
	.section	.AMDGPU.csdata,"",@progbits
; Kernel info:
; codeLenInByte = 588
; NumSgprs: 25
; NumVgprs: 12
; NumAgprs: 0
; TotalNumVgprs: 12
; ScratchSize: 0
; MemoryBound: 0
; FloatMode: 240
; IeeeMode: 1
; LDSByteSize: 0 bytes/workgroup (compile time only)
; SGPRBlocks: 3
; VGPRBlocks: 1
; NumSGPRsForWavesPerEU: 25
; NumVGPRsForWavesPerEU: 12
; AccumOffset: 12
; Occupancy: 8
; WaveLimiterHint : 0
; COMPUTE_PGM_RSRC2:SCRATCH_EN: 0
; COMPUTE_PGM_RSRC2:USER_SGPR: 6
; COMPUTE_PGM_RSRC2:TRAP_HANDLER: 0
; COMPUTE_PGM_RSRC2:TGID_X_EN: 1
; COMPUTE_PGM_RSRC2:TGID_Y_EN: 0
; COMPUTE_PGM_RSRC2:TGID_Z_EN: 0
; COMPUTE_PGM_RSRC2:TIDIG_COMP_CNT: 0
; COMPUTE_PGM_RSRC3_GFX90A:ACCUM_OFFSET: 2
; COMPUTE_PGM_RSRC3_GFX90A:TG_SPLIT: 0
	.section	.text._ZN7rocprim17ROCPRIM_400000_NS6detail17trampoline_kernelINS0_14default_configENS1_38merge_sort_block_merge_config_selectorIyNS0_10empty_typeEEEZZNS1_27merge_sort_block_merge_implIS3_PyPS5_jNS1_19radix_merge_compareILb1ELb0EyNS0_19identity_decomposerEEEEE10hipError_tT0_T1_T2_jT3_P12ihipStream_tbPNSt15iterator_traitsISE_E10value_typeEPNSK_ISF_E10value_typeEPSG_NS1_7vsmem_tEENKUlT_SE_SF_SG_E_clIS8_S8_S9_S9_EESD_ST_SE_SF_SG_EUlST_E1_NS1_11comp_targetILNS1_3genE3ELNS1_11target_archE908ELNS1_3gpuE7ELNS1_3repE0EEENS1_36merge_oddeven_config_static_selectorELNS0_4arch9wavefront6targetE1EEEvSF_,"axG",@progbits,_ZN7rocprim17ROCPRIM_400000_NS6detail17trampoline_kernelINS0_14default_configENS1_38merge_sort_block_merge_config_selectorIyNS0_10empty_typeEEEZZNS1_27merge_sort_block_merge_implIS3_PyPS5_jNS1_19radix_merge_compareILb1ELb0EyNS0_19identity_decomposerEEEEE10hipError_tT0_T1_T2_jT3_P12ihipStream_tbPNSt15iterator_traitsISE_E10value_typeEPNSK_ISF_E10value_typeEPSG_NS1_7vsmem_tEENKUlT_SE_SF_SG_E_clIS8_S8_S9_S9_EESD_ST_SE_SF_SG_EUlST_E1_NS1_11comp_targetILNS1_3genE3ELNS1_11target_archE908ELNS1_3gpuE7ELNS1_3repE0EEENS1_36merge_oddeven_config_static_selectorELNS0_4arch9wavefront6targetE1EEEvSF_,comdat
	.protected	_ZN7rocprim17ROCPRIM_400000_NS6detail17trampoline_kernelINS0_14default_configENS1_38merge_sort_block_merge_config_selectorIyNS0_10empty_typeEEEZZNS1_27merge_sort_block_merge_implIS3_PyPS5_jNS1_19radix_merge_compareILb1ELb0EyNS0_19identity_decomposerEEEEE10hipError_tT0_T1_T2_jT3_P12ihipStream_tbPNSt15iterator_traitsISE_E10value_typeEPNSK_ISF_E10value_typeEPSG_NS1_7vsmem_tEENKUlT_SE_SF_SG_E_clIS8_S8_S9_S9_EESD_ST_SE_SF_SG_EUlST_E1_NS1_11comp_targetILNS1_3genE3ELNS1_11target_archE908ELNS1_3gpuE7ELNS1_3repE0EEENS1_36merge_oddeven_config_static_selectorELNS0_4arch9wavefront6targetE1EEEvSF_ ; -- Begin function _ZN7rocprim17ROCPRIM_400000_NS6detail17trampoline_kernelINS0_14default_configENS1_38merge_sort_block_merge_config_selectorIyNS0_10empty_typeEEEZZNS1_27merge_sort_block_merge_implIS3_PyPS5_jNS1_19radix_merge_compareILb1ELb0EyNS0_19identity_decomposerEEEEE10hipError_tT0_T1_T2_jT3_P12ihipStream_tbPNSt15iterator_traitsISE_E10value_typeEPNSK_ISF_E10value_typeEPSG_NS1_7vsmem_tEENKUlT_SE_SF_SG_E_clIS8_S8_S9_S9_EESD_ST_SE_SF_SG_EUlST_E1_NS1_11comp_targetILNS1_3genE3ELNS1_11target_archE908ELNS1_3gpuE7ELNS1_3repE0EEENS1_36merge_oddeven_config_static_selectorELNS0_4arch9wavefront6targetE1EEEvSF_
	.globl	_ZN7rocprim17ROCPRIM_400000_NS6detail17trampoline_kernelINS0_14default_configENS1_38merge_sort_block_merge_config_selectorIyNS0_10empty_typeEEEZZNS1_27merge_sort_block_merge_implIS3_PyPS5_jNS1_19radix_merge_compareILb1ELb0EyNS0_19identity_decomposerEEEEE10hipError_tT0_T1_T2_jT3_P12ihipStream_tbPNSt15iterator_traitsISE_E10value_typeEPNSK_ISF_E10value_typeEPSG_NS1_7vsmem_tEENKUlT_SE_SF_SG_E_clIS8_S8_S9_S9_EESD_ST_SE_SF_SG_EUlST_E1_NS1_11comp_targetILNS1_3genE3ELNS1_11target_archE908ELNS1_3gpuE7ELNS1_3repE0EEENS1_36merge_oddeven_config_static_selectorELNS0_4arch9wavefront6targetE1EEEvSF_
	.p2align	8
	.type	_ZN7rocprim17ROCPRIM_400000_NS6detail17trampoline_kernelINS0_14default_configENS1_38merge_sort_block_merge_config_selectorIyNS0_10empty_typeEEEZZNS1_27merge_sort_block_merge_implIS3_PyPS5_jNS1_19radix_merge_compareILb1ELb0EyNS0_19identity_decomposerEEEEE10hipError_tT0_T1_T2_jT3_P12ihipStream_tbPNSt15iterator_traitsISE_E10value_typeEPNSK_ISF_E10value_typeEPSG_NS1_7vsmem_tEENKUlT_SE_SF_SG_E_clIS8_S8_S9_S9_EESD_ST_SE_SF_SG_EUlST_E1_NS1_11comp_targetILNS1_3genE3ELNS1_11target_archE908ELNS1_3gpuE7ELNS1_3repE0EEENS1_36merge_oddeven_config_static_selectorELNS0_4arch9wavefront6targetE1EEEvSF_,@function
_ZN7rocprim17ROCPRIM_400000_NS6detail17trampoline_kernelINS0_14default_configENS1_38merge_sort_block_merge_config_selectorIyNS0_10empty_typeEEEZZNS1_27merge_sort_block_merge_implIS3_PyPS5_jNS1_19radix_merge_compareILb1ELb0EyNS0_19identity_decomposerEEEEE10hipError_tT0_T1_T2_jT3_P12ihipStream_tbPNSt15iterator_traitsISE_E10value_typeEPNSK_ISF_E10value_typeEPSG_NS1_7vsmem_tEENKUlT_SE_SF_SG_E_clIS8_S8_S9_S9_EESD_ST_SE_SF_SG_EUlST_E1_NS1_11comp_targetILNS1_3genE3ELNS1_11target_archE908ELNS1_3gpuE7ELNS1_3repE0EEENS1_36merge_oddeven_config_static_selectorELNS0_4arch9wavefront6targetE1EEEvSF_: ; @_ZN7rocprim17ROCPRIM_400000_NS6detail17trampoline_kernelINS0_14default_configENS1_38merge_sort_block_merge_config_selectorIyNS0_10empty_typeEEEZZNS1_27merge_sort_block_merge_implIS3_PyPS5_jNS1_19radix_merge_compareILb1ELb0EyNS0_19identity_decomposerEEEEE10hipError_tT0_T1_T2_jT3_P12ihipStream_tbPNSt15iterator_traitsISE_E10value_typeEPNSK_ISF_E10value_typeEPSG_NS1_7vsmem_tEENKUlT_SE_SF_SG_E_clIS8_S8_S9_S9_EESD_ST_SE_SF_SG_EUlST_E1_NS1_11comp_targetILNS1_3genE3ELNS1_11target_archE908ELNS1_3gpuE7ELNS1_3repE0EEENS1_36merge_oddeven_config_static_selectorELNS0_4arch9wavefront6targetE1EEEvSF_
; %bb.0:
	.section	.rodata,"a",@progbits
	.p2align	6, 0x0
	.amdhsa_kernel _ZN7rocprim17ROCPRIM_400000_NS6detail17trampoline_kernelINS0_14default_configENS1_38merge_sort_block_merge_config_selectorIyNS0_10empty_typeEEEZZNS1_27merge_sort_block_merge_implIS3_PyPS5_jNS1_19radix_merge_compareILb1ELb0EyNS0_19identity_decomposerEEEEE10hipError_tT0_T1_T2_jT3_P12ihipStream_tbPNSt15iterator_traitsISE_E10value_typeEPNSK_ISF_E10value_typeEPSG_NS1_7vsmem_tEENKUlT_SE_SF_SG_E_clIS8_S8_S9_S9_EESD_ST_SE_SF_SG_EUlST_E1_NS1_11comp_targetILNS1_3genE3ELNS1_11target_archE908ELNS1_3gpuE7ELNS1_3repE0EEENS1_36merge_oddeven_config_static_selectorELNS0_4arch9wavefront6targetE1EEEvSF_
		.amdhsa_group_segment_fixed_size 0
		.amdhsa_private_segment_fixed_size 0
		.amdhsa_kernarg_size 48
		.amdhsa_user_sgpr_count 6
		.amdhsa_user_sgpr_private_segment_buffer 1
		.amdhsa_user_sgpr_dispatch_ptr 0
		.amdhsa_user_sgpr_queue_ptr 0
		.amdhsa_user_sgpr_kernarg_segment_ptr 1
		.amdhsa_user_sgpr_dispatch_id 0
		.amdhsa_user_sgpr_flat_scratch_init 0
		.amdhsa_user_sgpr_kernarg_preload_length 0
		.amdhsa_user_sgpr_kernarg_preload_offset 0
		.amdhsa_user_sgpr_private_segment_size 0
		.amdhsa_uses_dynamic_stack 0
		.amdhsa_system_sgpr_private_segment_wavefront_offset 0
		.amdhsa_system_sgpr_workgroup_id_x 1
		.amdhsa_system_sgpr_workgroup_id_y 0
		.amdhsa_system_sgpr_workgroup_id_z 0
		.amdhsa_system_sgpr_workgroup_info 0
		.amdhsa_system_vgpr_workitem_id 0
		.amdhsa_next_free_vgpr 1
		.amdhsa_next_free_sgpr 0
		.amdhsa_accum_offset 4
		.amdhsa_reserve_vcc 0
		.amdhsa_reserve_flat_scratch 0
		.amdhsa_float_round_mode_32 0
		.amdhsa_float_round_mode_16_64 0
		.amdhsa_float_denorm_mode_32 3
		.amdhsa_float_denorm_mode_16_64 3
		.amdhsa_dx10_clamp 1
		.amdhsa_ieee_mode 1
		.amdhsa_fp16_overflow 0
		.amdhsa_tg_split 0
		.amdhsa_exception_fp_ieee_invalid_op 0
		.amdhsa_exception_fp_denorm_src 0
		.amdhsa_exception_fp_ieee_div_zero 0
		.amdhsa_exception_fp_ieee_overflow 0
		.amdhsa_exception_fp_ieee_underflow 0
		.amdhsa_exception_fp_ieee_inexact 0
		.amdhsa_exception_int_div_zero 0
	.end_amdhsa_kernel
	.section	.text._ZN7rocprim17ROCPRIM_400000_NS6detail17trampoline_kernelINS0_14default_configENS1_38merge_sort_block_merge_config_selectorIyNS0_10empty_typeEEEZZNS1_27merge_sort_block_merge_implIS3_PyPS5_jNS1_19radix_merge_compareILb1ELb0EyNS0_19identity_decomposerEEEEE10hipError_tT0_T1_T2_jT3_P12ihipStream_tbPNSt15iterator_traitsISE_E10value_typeEPNSK_ISF_E10value_typeEPSG_NS1_7vsmem_tEENKUlT_SE_SF_SG_E_clIS8_S8_S9_S9_EESD_ST_SE_SF_SG_EUlST_E1_NS1_11comp_targetILNS1_3genE3ELNS1_11target_archE908ELNS1_3gpuE7ELNS1_3repE0EEENS1_36merge_oddeven_config_static_selectorELNS0_4arch9wavefront6targetE1EEEvSF_,"axG",@progbits,_ZN7rocprim17ROCPRIM_400000_NS6detail17trampoline_kernelINS0_14default_configENS1_38merge_sort_block_merge_config_selectorIyNS0_10empty_typeEEEZZNS1_27merge_sort_block_merge_implIS3_PyPS5_jNS1_19radix_merge_compareILb1ELb0EyNS0_19identity_decomposerEEEEE10hipError_tT0_T1_T2_jT3_P12ihipStream_tbPNSt15iterator_traitsISE_E10value_typeEPNSK_ISF_E10value_typeEPSG_NS1_7vsmem_tEENKUlT_SE_SF_SG_E_clIS8_S8_S9_S9_EESD_ST_SE_SF_SG_EUlST_E1_NS1_11comp_targetILNS1_3genE3ELNS1_11target_archE908ELNS1_3gpuE7ELNS1_3repE0EEENS1_36merge_oddeven_config_static_selectorELNS0_4arch9wavefront6targetE1EEEvSF_,comdat
.Lfunc_end2431:
	.size	_ZN7rocprim17ROCPRIM_400000_NS6detail17trampoline_kernelINS0_14default_configENS1_38merge_sort_block_merge_config_selectorIyNS0_10empty_typeEEEZZNS1_27merge_sort_block_merge_implIS3_PyPS5_jNS1_19radix_merge_compareILb1ELb0EyNS0_19identity_decomposerEEEEE10hipError_tT0_T1_T2_jT3_P12ihipStream_tbPNSt15iterator_traitsISE_E10value_typeEPNSK_ISF_E10value_typeEPSG_NS1_7vsmem_tEENKUlT_SE_SF_SG_E_clIS8_S8_S9_S9_EESD_ST_SE_SF_SG_EUlST_E1_NS1_11comp_targetILNS1_3genE3ELNS1_11target_archE908ELNS1_3gpuE7ELNS1_3repE0EEENS1_36merge_oddeven_config_static_selectorELNS0_4arch9wavefront6targetE1EEEvSF_, .Lfunc_end2431-_ZN7rocprim17ROCPRIM_400000_NS6detail17trampoline_kernelINS0_14default_configENS1_38merge_sort_block_merge_config_selectorIyNS0_10empty_typeEEEZZNS1_27merge_sort_block_merge_implIS3_PyPS5_jNS1_19radix_merge_compareILb1ELb0EyNS0_19identity_decomposerEEEEE10hipError_tT0_T1_T2_jT3_P12ihipStream_tbPNSt15iterator_traitsISE_E10value_typeEPNSK_ISF_E10value_typeEPSG_NS1_7vsmem_tEENKUlT_SE_SF_SG_E_clIS8_S8_S9_S9_EESD_ST_SE_SF_SG_EUlST_E1_NS1_11comp_targetILNS1_3genE3ELNS1_11target_archE908ELNS1_3gpuE7ELNS1_3repE0EEENS1_36merge_oddeven_config_static_selectorELNS0_4arch9wavefront6targetE1EEEvSF_
                                        ; -- End function
	.section	.AMDGPU.csdata,"",@progbits
; Kernel info:
; codeLenInByte = 0
; NumSgprs: 4
; NumVgprs: 0
; NumAgprs: 0
; TotalNumVgprs: 0
; ScratchSize: 0
; MemoryBound: 0
; FloatMode: 240
; IeeeMode: 1
; LDSByteSize: 0 bytes/workgroup (compile time only)
; SGPRBlocks: 0
; VGPRBlocks: 0
; NumSGPRsForWavesPerEU: 4
; NumVGPRsForWavesPerEU: 1
; AccumOffset: 4
; Occupancy: 8
; WaveLimiterHint : 0
; COMPUTE_PGM_RSRC2:SCRATCH_EN: 0
; COMPUTE_PGM_RSRC2:USER_SGPR: 6
; COMPUTE_PGM_RSRC2:TRAP_HANDLER: 0
; COMPUTE_PGM_RSRC2:TGID_X_EN: 1
; COMPUTE_PGM_RSRC2:TGID_Y_EN: 0
; COMPUTE_PGM_RSRC2:TGID_Z_EN: 0
; COMPUTE_PGM_RSRC2:TIDIG_COMP_CNT: 0
; COMPUTE_PGM_RSRC3_GFX90A:ACCUM_OFFSET: 0
; COMPUTE_PGM_RSRC3_GFX90A:TG_SPLIT: 0
	.section	.text._ZN7rocprim17ROCPRIM_400000_NS6detail17trampoline_kernelINS0_14default_configENS1_38merge_sort_block_merge_config_selectorIyNS0_10empty_typeEEEZZNS1_27merge_sort_block_merge_implIS3_PyPS5_jNS1_19radix_merge_compareILb1ELb0EyNS0_19identity_decomposerEEEEE10hipError_tT0_T1_T2_jT3_P12ihipStream_tbPNSt15iterator_traitsISE_E10value_typeEPNSK_ISF_E10value_typeEPSG_NS1_7vsmem_tEENKUlT_SE_SF_SG_E_clIS8_S8_S9_S9_EESD_ST_SE_SF_SG_EUlST_E1_NS1_11comp_targetILNS1_3genE2ELNS1_11target_archE906ELNS1_3gpuE6ELNS1_3repE0EEENS1_36merge_oddeven_config_static_selectorELNS0_4arch9wavefront6targetE1EEEvSF_,"axG",@progbits,_ZN7rocprim17ROCPRIM_400000_NS6detail17trampoline_kernelINS0_14default_configENS1_38merge_sort_block_merge_config_selectorIyNS0_10empty_typeEEEZZNS1_27merge_sort_block_merge_implIS3_PyPS5_jNS1_19radix_merge_compareILb1ELb0EyNS0_19identity_decomposerEEEEE10hipError_tT0_T1_T2_jT3_P12ihipStream_tbPNSt15iterator_traitsISE_E10value_typeEPNSK_ISF_E10value_typeEPSG_NS1_7vsmem_tEENKUlT_SE_SF_SG_E_clIS8_S8_S9_S9_EESD_ST_SE_SF_SG_EUlST_E1_NS1_11comp_targetILNS1_3genE2ELNS1_11target_archE906ELNS1_3gpuE6ELNS1_3repE0EEENS1_36merge_oddeven_config_static_selectorELNS0_4arch9wavefront6targetE1EEEvSF_,comdat
	.protected	_ZN7rocprim17ROCPRIM_400000_NS6detail17trampoline_kernelINS0_14default_configENS1_38merge_sort_block_merge_config_selectorIyNS0_10empty_typeEEEZZNS1_27merge_sort_block_merge_implIS3_PyPS5_jNS1_19radix_merge_compareILb1ELb0EyNS0_19identity_decomposerEEEEE10hipError_tT0_T1_T2_jT3_P12ihipStream_tbPNSt15iterator_traitsISE_E10value_typeEPNSK_ISF_E10value_typeEPSG_NS1_7vsmem_tEENKUlT_SE_SF_SG_E_clIS8_S8_S9_S9_EESD_ST_SE_SF_SG_EUlST_E1_NS1_11comp_targetILNS1_3genE2ELNS1_11target_archE906ELNS1_3gpuE6ELNS1_3repE0EEENS1_36merge_oddeven_config_static_selectorELNS0_4arch9wavefront6targetE1EEEvSF_ ; -- Begin function _ZN7rocprim17ROCPRIM_400000_NS6detail17trampoline_kernelINS0_14default_configENS1_38merge_sort_block_merge_config_selectorIyNS0_10empty_typeEEEZZNS1_27merge_sort_block_merge_implIS3_PyPS5_jNS1_19radix_merge_compareILb1ELb0EyNS0_19identity_decomposerEEEEE10hipError_tT0_T1_T2_jT3_P12ihipStream_tbPNSt15iterator_traitsISE_E10value_typeEPNSK_ISF_E10value_typeEPSG_NS1_7vsmem_tEENKUlT_SE_SF_SG_E_clIS8_S8_S9_S9_EESD_ST_SE_SF_SG_EUlST_E1_NS1_11comp_targetILNS1_3genE2ELNS1_11target_archE906ELNS1_3gpuE6ELNS1_3repE0EEENS1_36merge_oddeven_config_static_selectorELNS0_4arch9wavefront6targetE1EEEvSF_
	.globl	_ZN7rocprim17ROCPRIM_400000_NS6detail17trampoline_kernelINS0_14default_configENS1_38merge_sort_block_merge_config_selectorIyNS0_10empty_typeEEEZZNS1_27merge_sort_block_merge_implIS3_PyPS5_jNS1_19radix_merge_compareILb1ELb0EyNS0_19identity_decomposerEEEEE10hipError_tT0_T1_T2_jT3_P12ihipStream_tbPNSt15iterator_traitsISE_E10value_typeEPNSK_ISF_E10value_typeEPSG_NS1_7vsmem_tEENKUlT_SE_SF_SG_E_clIS8_S8_S9_S9_EESD_ST_SE_SF_SG_EUlST_E1_NS1_11comp_targetILNS1_3genE2ELNS1_11target_archE906ELNS1_3gpuE6ELNS1_3repE0EEENS1_36merge_oddeven_config_static_selectorELNS0_4arch9wavefront6targetE1EEEvSF_
	.p2align	8
	.type	_ZN7rocprim17ROCPRIM_400000_NS6detail17trampoline_kernelINS0_14default_configENS1_38merge_sort_block_merge_config_selectorIyNS0_10empty_typeEEEZZNS1_27merge_sort_block_merge_implIS3_PyPS5_jNS1_19radix_merge_compareILb1ELb0EyNS0_19identity_decomposerEEEEE10hipError_tT0_T1_T2_jT3_P12ihipStream_tbPNSt15iterator_traitsISE_E10value_typeEPNSK_ISF_E10value_typeEPSG_NS1_7vsmem_tEENKUlT_SE_SF_SG_E_clIS8_S8_S9_S9_EESD_ST_SE_SF_SG_EUlST_E1_NS1_11comp_targetILNS1_3genE2ELNS1_11target_archE906ELNS1_3gpuE6ELNS1_3repE0EEENS1_36merge_oddeven_config_static_selectorELNS0_4arch9wavefront6targetE1EEEvSF_,@function
_ZN7rocprim17ROCPRIM_400000_NS6detail17trampoline_kernelINS0_14default_configENS1_38merge_sort_block_merge_config_selectorIyNS0_10empty_typeEEEZZNS1_27merge_sort_block_merge_implIS3_PyPS5_jNS1_19radix_merge_compareILb1ELb0EyNS0_19identity_decomposerEEEEE10hipError_tT0_T1_T2_jT3_P12ihipStream_tbPNSt15iterator_traitsISE_E10value_typeEPNSK_ISF_E10value_typeEPSG_NS1_7vsmem_tEENKUlT_SE_SF_SG_E_clIS8_S8_S9_S9_EESD_ST_SE_SF_SG_EUlST_E1_NS1_11comp_targetILNS1_3genE2ELNS1_11target_archE906ELNS1_3gpuE6ELNS1_3repE0EEENS1_36merge_oddeven_config_static_selectorELNS0_4arch9wavefront6targetE1EEEvSF_: ; @_ZN7rocprim17ROCPRIM_400000_NS6detail17trampoline_kernelINS0_14default_configENS1_38merge_sort_block_merge_config_selectorIyNS0_10empty_typeEEEZZNS1_27merge_sort_block_merge_implIS3_PyPS5_jNS1_19radix_merge_compareILb1ELb0EyNS0_19identity_decomposerEEEEE10hipError_tT0_T1_T2_jT3_P12ihipStream_tbPNSt15iterator_traitsISE_E10value_typeEPNSK_ISF_E10value_typeEPSG_NS1_7vsmem_tEENKUlT_SE_SF_SG_E_clIS8_S8_S9_S9_EESD_ST_SE_SF_SG_EUlST_E1_NS1_11comp_targetILNS1_3genE2ELNS1_11target_archE906ELNS1_3gpuE6ELNS1_3repE0EEENS1_36merge_oddeven_config_static_selectorELNS0_4arch9wavefront6targetE1EEEvSF_
; %bb.0:
	.section	.rodata,"a",@progbits
	.p2align	6, 0x0
	.amdhsa_kernel _ZN7rocprim17ROCPRIM_400000_NS6detail17trampoline_kernelINS0_14default_configENS1_38merge_sort_block_merge_config_selectorIyNS0_10empty_typeEEEZZNS1_27merge_sort_block_merge_implIS3_PyPS5_jNS1_19radix_merge_compareILb1ELb0EyNS0_19identity_decomposerEEEEE10hipError_tT0_T1_T2_jT3_P12ihipStream_tbPNSt15iterator_traitsISE_E10value_typeEPNSK_ISF_E10value_typeEPSG_NS1_7vsmem_tEENKUlT_SE_SF_SG_E_clIS8_S8_S9_S9_EESD_ST_SE_SF_SG_EUlST_E1_NS1_11comp_targetILNS1_3genE2ELNS1_11target_archE906ELNS1_3gpuE6ELNS1_3repE0EEENS1_36merge_oddeven_config_static_selectorELNS0_4arch9wavefront6targetE1EEEvSF_
		.amdhsa_group_segment_fixed_size 0
		.amdhsa_private_segment_fixed_size 0
		.amdhsa_kernarg_size 48
		.amdhsa_user_sgpr_count 6
		.amdhsa_user_sgpr_private_segment_buffer 1
		.amdhsa_user_sgpr_dispatch_ptr 0
		.amdhsa_user_sgpr_queue_ptr 0
		.amdhsa_user_sgpr_kernarg_segment_ptr 1
		.amdhsa_user_sgpr_dispatch_id 0
		.amdhsa_user_sgpr_flat_scratch_init 0
		.amdhsa_user_sgpr_kernarg_preload_length 0
		.amdhsa_user_sgpr_kernarg_preload_offset 0
		.amdhsa_user_sgpr_private_segment_size 0
		.amdhsa_uses_dynamic_stack 0
		.amdhsa_system_sgpr_private_segment_wavefront_offset 0
		.amdhsa_system_sgpr_workgroup_id_x 1
		.amdhsa_system_sgpr_workgroup_id_y 0
		.amdhsa_system_sgpr_workgroup_id_z 0
		.amdhsa_system_sgpr_workgroup_info 0
		.amdhsa_system_vgpr_workitem_id 0
		.amdhsa_next_free_vgpr 1
		.amdhsa_next_free_sgpr 0
		.amdhsa_accum_offset 4
		.amdhsa_reserve_vcc 0
		.amdhsa_reserve_flat_scratch 0
		.amdhsa_float_round_mode_32 0
		.amdhsa_float_round_mode_16_64 0
		.amdhsa_float_denorm_mode_32 3
		.amdhsa_float_denorm_mode_16_64 3
		.amdhsa_dx10_clamp 1
		.amdhsa_ieee_mode 1
		.amdhsa_fp16_overflow 0
		.amdhsa_tg_split 0
		.amdhsa_exception_fp_ieee_invalid_op 0
		.amdhsa_exception_fp_denorm_src 0
		.amdhsa_exception_fp_ieee_div_zero 0
		.amdhsa_exception_fp_ieee_overflow 0
		.amdhsa_exception_fp_ieee_underflow 0
		.amdhsa_exception_fp_ieee_inexact 0
		.amdhsa_exception_int_div_zero 0
	.end_amdhsa_kernel
	.section	.text._ZN7rocprim17ROCPRIM_400000_NS6detail17trampoline_kernelINS0_14default_configENS1_38merge_sort_block_merge_config_selectorIyNS0_10empty_typeEEEZZNS1_27merge_sort_block_merge_implIS3_PyPS5_jNS1_19radix_merge_compareILb1ELb0EyNS0_19identity_decomposerEEEEE10hipError_tT0_T1_T2_jT3_P12ihipStream_tbPNSt15iterator_traitsISE_E10value_typeEPNSK_ISF_E10value_typeEPSG_NS1_7vsmem_tEENKUlT_SE_SF_SG_E_clIS8_S8_S9_S9_EESD_ST_SE_SF_SG_EUlST_E1_NS1_11comp_targetILNS1_3genE2ELNS1_11target_archE906ELNS1_3gpuE6ELNS1_3repE0EEENS1_36merge_oddeven_config_static_selectorELNS0_4arch9wavefront6targetE1EEEvSF_,"axG",@progbits,_ZN7rocprim17ROCPRIM_400000_NS6detail17trampoline_kernelINS0_14default_configENS1_38merge_sort_block_merge_config_selectorIyNS0_10empty_typeEEEZZNS1_27merge_sort_block_merge_implIS3_PyPS5_jNS1_19radix_merge_compareILb1ELb0EyNS0_19identity_decomposerEEEEE10hipError_tT0_T1_T2_jT3_P12ihipStream_tbPNSt15iterator_traitsISE_E10value_typeEPNSK_ISF_E10value_typeEPSG_NS1_7vsmem_tEENKUlT_SE_SF_SG_E_clIS8_S8_S9_S9_EESD_ST_SE_SF_SG_EUlST_E1_NS1_11comp_targetILNS1_3genE2ELNS1_11target_archE906ELNS1_3gpuE6ELNS1_3repE0EEENS1_36merge_oddeven_config_static_selectorELNS0_4arch9wavefront6targetE1EEEvSF_,comdat
.Lfunc_end2432:
	.size	_ZN7rocprim17ROCPRIM_400000_NS6detail17trampoline_kernelINS0_14default_configENS1_38merge_sort_block_merge_config_selectorIyNS0_10empty_typeEEEZZNS1_27merge_sort_block_merge_implIS3_PyPS5_jNS1_19radix_merge_compareILb1ELb0EyNS0_19identity_decomposerEEEEE10hipError_tT0_T1_T2_jT3_P12ihipStream_tbPNSt15iterator_traitsISE_E10value_typeEPNSK_ISF_E10value_typeEPSG_NS1_7vsmem_tEENKUlT_SE_SF_SG_E_clIS8_S8_S9_S9_EESD_ST_SE_SF_SG_EUlST_E1_NS1_11comp_targetILNS1_3genE2ELNS1_11target_archE906ELNS1_3gpuE6ELNS1_3repE0EEENS1_36merge_oddeven_config_static_selectorELNS0_4arch9wavefront6targetE1EEEvSF_, .Lfunc_end2432-_ZN7rocprim17ROCPRIM_400000_NS6detail17trampoline_kernelINS0_14default_configENS1_38merge_sort_block_merge_config_selectorIyNS0_10empty_typeEEEZZNS1_27merge_sort_block_merge_implIS3_PyPS5_jNS1_19radix_merge_compareILb1ELb0EyNS0_19identity_decomposerEEEEE10hipError_tT0_T1_T2_jT3_P12ihipStream_tbPNSt15iterator_traitsISE_E10value_typeEPNSK_ISF_E10value_typeEPSG_NS1_7vsmem_tEENKUlT_SE_SF_SG_E_clIS8_S8_S9_S9_EESD_ST_SE_SF_SG_EUlST_E1_NS1_11comp_targetILNS1_3genE2ELNS1_11target_archE906ELNS1_3gpuE6ELNS1_3repE0EEENS1_36merge_oddeven_config_static_selectorELNS0_4arch9wavefront6targetE1EEEvSF_
                                        ; -- End function
	.section	.AMDGPU.csdata,"",@progbits
; Kernel info:
; codeLenInByte = 0
; NumSgprs: 4
; NumVgprs: 0
; NumAgprs: 0
; TotalNumVgprs: 0
; ScratchSize: 0
; MemoryBound: 0
; FloatMode: 240
; IeeeMode: 1
; LDSByteSize: 0 bytes/workgroup (compile time only)
; SGPRBlocks: 0
; VGPRBlocks: 0
; NumSGPRsForWavesPerEU: 4
; NumVGPRsForWavesPerEU: 1
; AccumOffset: 4
; Occupancy: 8
; WaveLimiterHint : 0
; COMPUTE_PGM_RSRC2:SCRATCH_EN: 0
; COMPUTE_PGM_RSRC2:USER_SGPR: 6
; COMPUTE_PGM_RSRC2:TRAP_HANDLER: 0
; COMPUTE_PGM_RSRC2:TGID_X_EN: 1
; COMPUTE_PGM_RSRC2:TGID_Y_EN: 0
; COMPUTE_PGM_RSRC2:TGID_Z_EN: 0
; COMPUTE_PGM_RSRC2:TIDIG_COMP_CNT: 0
; COMPUTE_PGM_RSRC3_GFX90A:ACCUM_OFFSET: 0
; COMPUTE_PGM_RSRC3_GFX90A:TG_SPLIT: 0
	.section	.text._ZN7rocprim17ROCPRIM_400000_NS6detail17trampoline_kernelINS0_14default_configENS1_38merge_sort_block_merge_config_selectorIyNS0_10empty_typeEEEZZNS1_27merge_sort_block_merge_implIS3_PyPS5_jNS1_19radix_merge_compareILb1ELb0EyNS0_19identity_decomposerEEEEE10hipError_tT0_T1_T2_jT3_P12ihipStream_tbPNSt15iterator_traitsISE_E10value_typeEPNSK_ISF_E10value_typeEPSG_NS1_7vsmem_tEENKUlT_SE_SF_SG_E_clIS8_S8_S9_S9_EESD_ST_SE_SF_SG_EUlST_E1_NS1_11comp_targetILNS1_3genE9ELNS1_11target_archE1100ELNS1_3gpuE3ELNS1_3repE0EEENS1_36merge_oddeven_config_static_selectorELNS0_4arch9wavefront6targetE1EEEvSF_,"axG",@progbits,_ZN7rocprim17ROCPRIM_400000_NS6detail17trampoline_kernelINS0_14default_configENS1_38merge_sort_block_merge_config_selectorIyNS0_10empty_typeEEEZZNS1_27merge_sort_block_merge_implIS3_PyPS5_jNS1_19radix_merge_compareILb1ELb0EyNS0_19identity_decomposerEEEEE10hipError_tT0_T1_T2_jT3_P12ihipStream_tbPNSt15iterator_traitsISE_E10value_typeEPNSK_ISF_E10value_typeEPSG_NS1_7vsmem_tEENKUlT_SE_SF_SG_E_clIS8_S8_S9_S9_EESD_ST_SE_SF_SG_EUlST_E1_NS1_11comp_targetILNS1_3genE9ELNS1_11target_archE1100ELNS1_3gpuE3ELNS1_3repE0EEENS1_36merge_oddeven_config_static_selectorELNS0_4arch9wavefront6targetE1EEEvSF_,comdat
	.protected	_ZN7rocprim17ROCPRIM_400000_NS6detail17trampoline_kernelINS0_14default_configENS1_38merge_sort_block_merge_config_selectorIyNS0_10empty_typeEEEZZNS1_27merge_sort_block_merge_implIS3_PyPS5_jNS1_19radix_merge_compareILb1ELb0EyNS0_19identity_decomposerEEEEE10hipError_tT0_T1_T2_jT3_P12ihipStream_tbPNSt15iterator_traitsISE_E10value_typeEPNSK_ISF_E10value_typeEPSG_NS1_7vsmem_tEENKUlT_SE_SF_SG_E_clIS8_S8_S9_S9_EESD_ST_SE_SF_SG_EUlST_E1_NS1_11comp_targetILNS1_3genE9ELNS1_11target_archE1100ELNS1_3gpuE3ELNS1_3repE0EEENS1_36merge_oddeven_config_static_selectorELNS0_4arch9wavefront6targetE1EEEvSF_ ; -- Begin function _ZN7rocprim17ROCPRIM_400000_NS6detail17trampoline_kernelINS0_14default_configENS1_38merge_sort_block_merge_config_selectorIyNS0_10empty_typeEEEZZNS1_27merge_sort_block_merge_implIS3_PyPS5_jNS1_19radix_merge_compareILb1ELb0EyNS0_19identity_decomposerEEEEE10hipError_tT0_T1_T2_jT3_P12ihipStream_tbPNSt15iterator_traitsISE_E10value_typeEPNSK_ISF_E10value_typeEPSG_NS1_7vsmem_tEENKUlT_SE_SF_SG_E_clIS8_S8_S9_S9_EESD_ST_SE_SF_SG_EUlST_E1_NS1_11comp_targetILNS1_3genE9ELNS1_11target_archE1100ELNS1_3gpuE3ELNS1_3repE0EEENS1_36merge_oddeven_config_static_selectorELNS0_4arch9wavefront6targetE1EEEvSF_
	.globl	_ZN7rocprim17ROCPRIM_400000_NS6detail17trampoline_kernelINS0_14default_configENS1_38merge_sort_block_merge_config_selectorIyNS0_10empty_typeEEEZZNS1_27merge_sort_block_merge_implIS3_PyPS5_jNS1_19radix_merge_compareILb1ELb0EyNS0_19identity_decomposerEEEEE10hipError_tT0_T1_T2_jT3_P12ihipStream_tbPNSt15iterator_traitsISE_E10value_typeEPNSK_ISF_E10value_typeEPSG_NS1_7vsmem_tEENKUlT_SE_SF_SG_E_clIS8_S8_S9_S9_EESD_ST_SE_SF_SG_EUlST_E1_NS1_11comp_targetILNS1_3genE9ELNS1_11target_archE1100ELNS1_3gpuE3ELNS1_3repE0EEENS1_36merge_oddeven_config_static_selectorELNS0_4arch9wavefront6targetE1EEEvSF_
	.p2align	8
	.type	_ZN7rocprim17ROCPRIM_400000_NS6detail17trampoline_kernelINS0_14default_configENS1_38merge_sort_block_merge_config_selectorIyNS0_10empty_typeEEEZZNS1_27merge_sort_block_merge_implIS3_PyPS5_jNS1_19radix_merge_compareILb1ELb0EyNS0_19identity_decomposerEEEEE10hipError_tT0_T1_T2_jT3_P12ihipStream_tbPNSt15iterator_traitsISE_E10value_typeEPNSK_ISF_E10value_typeEPSG_NS1_7vsmem_tEENKUlT_SE_SF_SG_E_clIS8_S8_S9_S9_EESD_ST_SE_SF_SG_EUlST_E1_NS1_11comp_targetILNS1_3genE9ELNS1_11target_archE1100ELNS1_3gpuE3ELNS1_3repE0EEENS1_36merge_oddeven_config_static_selectorELNS0_4arch9wavefront6targetE1EEEvSF_,@function
_ZN7rocprim17ROCPRIM_400000_NS6detail17trampoline_kernelINS0_14default_configENS1_38merge_sort_block_merge_config_selectorIyNS0_10empty_typeEEEZZNS1_27merge_sort_block_merge_implIS3_PyPS5_jNS1_19radix_merge_compareILb1ELb0EyNS0_19identity_decomposerEEEEE10hipError_tT0_T1_T2_jT3_P12ihipStream_tbPNSt15iterator_traitsISE_E10value_typeEPNSK_ISF_E10value_typeEPSG_NS1_7vsmem_tEENKUlT_SE_SF_SG_E_clIS8_S8_S9_S9_EESD_ST_SE_SF_SG_EUlST_E1_NS1_11comp_targetILNS1_3genE9ELNS1_11target_archE1100ELNS1_3gpuE3ELNS1_3repE0EEENS1_36merge_oddeven_config_static_selectorELNS0_4arch9wavefront6targetE1EEEvSF_: ; @_ZN7rocprim17ROCPRIM_400000_NS6detail17trampoline_kernelINS0_14default_configENS1_38merge_sort_block_merge_config_selectorIyNS0_10empty_typeEEEZZNS1_27merge_sort_block_merge_implIS3_PyPS5_jNS1_19radix_merge_compareILb1ELb0EyNS0_19identity_decomposerEEEEE10hipError_tT0_T1_T2_jT3_P12ihipStream_tbPNSt15iterator_traitsISE_E10value_typeEPNSK_ISF_E10value_typeEPSG_NS1_7vsmem_tEENKUlT_SE_SF_SG_E_clIS8_S8_S9_S9_EESD_ST_SE_SF_SG_EUlST_E1_NS1_11comp_targetILNS1_3genE9ELNS1_11target_archE1100ELNS1_3gpuE3ELNS1_3repE0EEENS1_36merge_oddeven_config_static_selectorELNS0_4arch9wavefront6targetE1EEEvSF_
; %bb.0:
	.section	.rodata,"a",@progbits
	.p2align	6, 0x0
	.amdhsa_kernel _ZN7rocprim17ROCPRIM_400000_NS6detail17trampoline_kernelINS0_14default_configENS1_38merge_sort_block_merge_config_selectorIyNS0_10empty_typeEEEZZNS1_27merge_sort_block_merge_implIS3_PyPS5_jNS1_19radix_merge_compareILb1ELb0EyNS0_19identity_decomposerEEEEE10hipError_tT0_T1_T2_jT3_P12ihipStream_tbPNSt15iterator_traitsISE_E10value_typeEPNSK_ISF_E10value_typeEPSG_NS1_7vsmem_tEENKUlT_SE_SF_SG_E_clIS8_S8_S9_S9_EESD_ST_SE_SF_SG_EUlST_E1_NS1_11comp_targetILNS1_3genE9ELNS1_11target_archE1100ELNS1_3gpuE3ELNS1_3repE0EEENS1_36merge_oddeven_config_static_selectorELNS0_4arch9wavefront6targetE1EEEvSF_
		.amdhsa_group_segment_fixed_size 0
		.amdhsa_private_segment_fixed_size 0
		.amdhsa_kernarg_size 48
		.amdhsa_user_sgpr_count 6
		.amdhsa_user_sgpr_private_segment_buffer 1
		.amdhsa_user_sgpr_dispatch_ptr 0
		.amdhsa_user_sgpr_queue_ptr 0
		.amdhsa_user_sgpr_kernarg_segment_ptr 1
		.amdhsa_user_sgpr_dispatch_id 0
		.amdhsa_user_sgpr_flat_scratch_init 0
		.amdhsa_user_sgpr_kernarg_preload_length 0
		.amdhsa_user_sgpr_kernarg_preload_offset 0
		.amdhsa_user_sgpr_private_segment_size 0
		.amdhsa_uses_dynamic_stack 0
		.amdhsa_system_sgpr_private_segment_wavefront_offset 0
		.amdhsa_system_sgpr_workgroup_id_x 1
		.amdhsa_system_sgpr_workgroup_id_y 0
		.amdhsa_system_sgpr_workgroup_id_z 0
		.amdhsa_system_sgpr_workgroup_info 0
		.amdhsa_system_vgpr_workitem_id 0
		.amdhsa_next_free_vgpr 1
		.amdhsa_next_free_sgpr 0
		.amdhsa_accum_offset 4
		.amdhsa_reserve_vcc 0
		.amdhsa_reserve_flat_scratch 0
		.amdhsa_float_round_mode_32 0
		.amdhsa_float_round_mode_16_64 0
		.amdhsa_float_denorm_mode_32 3
		.amdhsa_float_denorm_mode_16_64 3
		.amdhsa_dx10_clamp 1
		.amdhsa_ieee_mode 1
		.amdhsa_fp16_overflow 0
		.amdhsa_tg_split 0
		.amdhsa_exception_fp_ieee_invalid_op 0
		.amdhsa_exception_fp_denorm_src 0
		.amdhsa_exception_fp_ieee_div_zero 0
		.amdhsa_exception_fp_ieee_overflow 0
		.amdhsa_exception_fp_ieee_underflow 0
		.amdhsa_exception_fp_ieee_inexact 0
		.amdhsa_exception_int_div_zero 0
	.end_amdhsa_kernel
	.section	.text._ZN7rocprim17ROCPRIM_400000_NS6detail17trampoline_kernelINS0_14default_configENS1_38merge_sort_block_merge_config_selectorIyNS0_10empty_typeEEEZZNS1_27merge_sort_block_merge_implIS3_PyPS5_jNS1_19radix_merge_compareILb1ELb0EyNS0_19identity_decomposerEEEEE10hipError_tT0_T1_T2_jT3_P12ihipStream_tbPNSt15iterator_traitsISE_E10value_typeEPNSK_ISF_E10value_typeEPSG_NS1_7vsmem_tEENKUlT_SE_SF_SG_E_clIS8_S8_S9_S9_EESD_ST_SE_SF_SG_EUlST_E1_NS1_11comp_targetILNS1_3genE9ELNS1_11target_archE1100ELNS1_3gpuE3ELNS1_3repE0EEENS1_36merge_oddeven_config_static_selectorELNS0_4arch9wavefront6targetE1EEEvSF_,"axG",@progbits,_ZN7rocprim17ROCPRIM_400000_NS6detail17trampoline_kernelINS0_14default_configENS1_38merge_sort_block_merge_config_selectorIyNS0_10empty_typeEEEZZNS1_27merge_sort_block_merge_implIS3_PyPS5_jNS1_19radix_merge_compareILb1ELb0EyNS0_19identity_decomposerEEEEE10hipError_tT0_T1_T2_jT3_P12ihipStream_tbPNSt15iterator_traitsISE_E10value_typeEPNSK_ISF_E10value_typeEPSG_NS1_7vsmem_tEENKUlT_SE_SF_SG_E_clIS8_S8_S9_S9_EESD_ST_SE_SF_SG_EUlST_E1_NS1_11comp_targetILNS1_3genE9ELNS1_11target_archE1100ELNS1_3gpuE3ELNS1_3repE0EEENS1_36merge_oddeven_config_static_selectorELNS0_4arch9wavefront6targetE1EEEvSF_,comdat
.Lfunc_end2433:
	.size	_ZN7rocprim17ROCPRIM_400000_NS6detail17trampoline_kernelINS0_14default_configENS1_38merge_sort_block_merge_config_selectorIyNS0_10empty_typeEEEZZNS1_27merge_sort_block_merge_implIS3_PyPS5_jNS1_19radix_merge_compareILb1ELb0EyNS0_19identity_decomposerEEEEE10hipError_tT0_T1_T2_jT3_P12ihipStream_tbPNSt15iterator_traitsISE_E10value_typeEPNSK_ISF_E10value_typeEPSG_NS1_7vsmem_tEENKUlT_SE_SF_SG_E_clIS8_S8_S9_S9_EESD_ST_SE_SF_SG_EUlST_E1_NS1_11comp_targetILNS1_3genE9ELNS1_11target_archE1100ELNS1_3gpuE3ELNS1_3repE0EEENS1_36merge_oddeven_config_static_selectorELNS0_4arch9wavefront6targetE1EEEvSF_, .Lfunc_end2433-_ZN7rocprim17ROCPRIM_400000_NS6detail17trampoline_kernelINS0_14default_configENS1_38merge_sort_block_merge_config_selectorIyNS0_10empty_typeEEEZZNS1_27merge_sort_block_merge_implIS3_PyPS5_jNS1_19radix_merge_compareILb1ELb0EyNS0_19identity_decomposerEEEEE10hipError_tT0_T1_T2_jT3_P12ihipStream_tbPNSt15iterator_traitsISE_E10value_typeEPNSK_ISF_E10value_typeEPSG_NS1_7vsmem_tEENKUlT_SE_SF_SG_E_clIS8_S8_S9_S9_EESD_ST_SE_SF_SG_EUlST_E1_NS1_11comp_targetILNS1_3genE9ELNS1_11target_archE1100ELNS1_3gpuE3ELNS1_3repE0EEENS1_36merge_oddeven_config_static_selectorELNS0_4arch9wavefront6targetE1EEEvSF_
                                        ; -- End function
	.section	.AMDGPU.csdata,"",@progbits
; Kernel info:
; codeLenInByte = 0
; NumSgprs: 4
; NumVgprs: 0
; NumAgprs: 0
; TotalNumVgprs: 0
; ScratchSize: 0
; MemoryBound: 0
; FloatMode: 240
; IeeeMode: 1
; LDSByteSize: 0 bytes/workgroup (compile time only)
; SGPRBlocks: 0
; VGPRBlocks: 0
; NumSGPRsForWavesPerEU: 4
; NumVGPRsForWavesPerEU: 1
; AccumOffset: 4
; Occupancy: 8
; WaveLimiterHint : 0
; COMPUTE_PGM_RSRC2:SCRATCH_EN: 0
; COMPUTE_PGM_RSRC2:USER_SGPR: 6
; COMPUTE_PGM_RSRC2:TRAP_HANDLER: 0
; COMPUTE_PGM_RSRC2:TGID_X_EN: 1
; COMPUTE_PGM_RSRC2:TGID_Y_EN: 0
; COMPUTE_PGM_RSRC2:TGID_Z_EN: 0
; COMPUTE_PGM_RSRC2:TIDIG_COMP_CNT: 0
; COMPUTE_PGM_RSRC3_GFX90A:ACCUM_OFFSET: 0
; COMPUTE_PGM_RSRC3_GFX90A:TG_SPLIT: 0
	.section	.text._ZN7rocprim17ROCPRIM_400000_NS6detail17trampoline_kernelINS0_14default_configENS1_38merge_sort_block_merge_config_selectorIyNS0_10empty_typeEEEZZNS1_27merge_sort_block_merge_implIS3_PyPS5_jNS1_19radix_merge_compareILb1ELb0EyNS0_19identity_decomposerEEEEE10hipError_tT0_T1_T2_jT3_P12ihipStream_tbPNSt15iterator_traitsISE_E10value_typeEPNSK_ISF_E10value_typeEPSG_NS1_7vsmem_tEENKUlT_SE_SF_SG_E_clIS8_S8_S9_S9_EESD_ST_SE_SF_SG_EUlST_E1_NS1_11comp_targetILNS1_3genE8ELNS1_11target_archE1030ELNS1_3gpuE2ELNS1_3repE0EEENS1_36merge_oddeven_config_static_selectorELNS0_4arch9wavefront6targetE1EEEvSF_,"axG",@progbits,_ZN7rocprim17ROCPRIM_400000_NS6detail17trampoline_kernelINS0_14default_configENS1_38merge_sort_block_merge_config_selectorIyNS0_10empty_typeEEEZZNS1_27merge_sort_block_merge_implIS3_PyPS5_jNS1_19radix_merge_compareILb1ELb0EyNS0_19identity_decomposerEEEEE10hipError_tT0_T1_T2_jT3_P12ihipStream_tbPNSt15iterator_traitsISE_E10value_typeEPNSK_ISF_E10value_typeEPSG_NS1_7vsmem_tEENKUlT_SE_SF_SG_E_clIS8_S8_S9_S9_EESD_ST_SE_SF_SG_EUlST_E1_NS1_11comp_targetILNS1_3genE8ELNS1_11target_archE1030ELNS1_3gpuE2ELNS1_3repE0EEENS1_36merge_oddeven_config_static_selectorELNS0_4arch9wavefront6targetE1EEEvSF_,comdat
	.protected	_ZN7rocprim17ROCPRIM_400000_NS6detail17trampoline_kernelINS0_14default_configENS1_38merge_sort_block_merge_config_selectorIyNS0_10empty_typeEEEZZNS1_27merge_sort_block_merge_implIS3_PyPS5_jNS1_19radix_merge_compareILb1ELb0EyNS0_19identity_decomposerEEEEE10hipError_tT0_T1_T2_jT3_P12ihipStream_tbPNSt15iterator_traitsISE_E10value_typeEPNSK_ISF_E10value_typeEPSG_NS1_7vsmem_tEENKUlT_SE_SF_SG_E_clIS8_S8_S9_S9_EESD_ST_SE_SF_SG_EUlST_E1_NS1_11comp_targetILNS1_3genE8ELNS1_11target_archE1030ELNS1_3gpuE2ELNS1_3repE0EEENS1_36merge_oddeven_config_static_selectorELNS0_4arch9wavefront6targetE1EEEvSF_ ; -- Begin function _ZN7rocprim17ROCPRIM_400000_NS6detail17trampoline_kernelINS0_14default_configENS1_38merge_sort_block_merge_config_selectorIyNS0_10empty_typeEEEZZNS1_27merge_sort_block_merge_implIS3_PyPS5_jNS1_19radix_merge_compareILb1ELb0EyNS0_19identity_decomposerEEEEE10hipError_tT0_T1_T2_jT3_P12ihipStream_tbPNSt15iterator_traitsISE_E10value_typeEPNSK_ISF_E10value_typeEPSG_NS1_7vsmem_tEENKUlT_SE_SF_SG_E_clIS8_S8_S9_S9_EESD_ST_SE_SF_SG_EUlST_E1_NS1_11comp_targetILNS1_3genE8ELNS1_11target_archE1030ELNS1_3gpuE2ELNS1_3repE0EEENS1_36merge_oddeven_config_static_selectorELNS0_4arch9wavefront6targetE1EEEvSF_
	.globl	_ZN7rocprim17ROCPRIM_400000_NS6detail17trampoline_kernelINS0_14default_configENS1_38merge_sort_block_merge_config_selectorIyNS0_10empty_typeEEEZZNS1_27merge_sort_block_merge_implIS3_PyPS5_jNS1_19radix_merge_compareILb1ELb0EyNS0_19identity_decomposerEEEEE10hipError_tT0_T1_T2_jT3_P12ihipStream_tbPNSt15iterator_traitsISE_E10value_typeEPNSK_ISF_E10value_typeEPSG_NS1_7vsmem_tEENKUlT_SE_SF_SG_E_clIS8_S8_S9_S9_EESD_ST_SE_SF_SG_EUlST_E1_NS1_11comp_targetILNS1_3genE8ELNS1_11target_archE1030ELNS1_3gpuE2ELNS1_3repE0EEENS1_36merge_oddeven_config_static_selectorELNS0_4arch9wavefront6targetE1EEEvSF_
	.p2align	8
	.type	_ZN7rocprim17ROCPRIM_400000_NS6detail17trampoline_kernelINS0_14default_configENS1_38merge_sort_block_merge_config_selectorIyNS0_10empty_typeEEEZZNS1_27merge_sort_block_merge_implIS3_PyPS5_jNS1_19radix_merge_compareILb1ELb0EyNS0_19identity_decomposerEEEEE10hipError_tT0_T1_T2_jT3_P12ihipStream_tbPNSt15iterator_traitsISE_E10value_typeEPNSK_ISF_E10value_typeEPSG_NS1_7vsmem_tEENKUlT_SE_SF_SG_E_clIS8_S8_S9_S9_EESD_ST_SE_SF_SG_EUlST_E1_NS1_11comp_targetILNS1_3genE8ELNS1_11target_archE1030ELNS1_3gpuE2ELNS1_3repE0EEENS1_36merge_oddeven_config_static_selectorELNS0_4arch9wavefront6targetE1EEEvSF_,@function
_ZN7rocprim17ROCPRIM_400000_NS6detail17trampoline_kernelINS0_14default_configENS1_38merge_sort_block_merge_config_selectorIyNS0_10empty_typeEEEZZNS1_27merge_sort_block_merge_implIS3_PyPS5_jNS1_19radix_merge_compareILb1ELb0EyNS0_19identity_decomposerEEEEE10hipError_tT0_T1_T2_jT3_P12ihipStream_tbPNSt15iterator_traitsISE_E10value_typeEPNSK_ISF_E10value_typeEPSG_NS1_7vsmem_tEENKUlT_SE_SF_SG_E_clIS8_S8_S9_S9_EESD_ST_SE_SF_SG_EUlST_E1_NS1_11comp_targetILNS1_3genE8ELNS1_11target_archE1030ELNS1_3gpuE2ELNS1_3repE0EEENS1_36merge_oddeven_config_static_selectorELNS0_4arch9wavefront6targetE1EEEvSF_: ; @_ZN7rocprim17ROCPRIM_400000_NS6detail17trampoline_kernelINS0_14default_configENS1_38merge_sort_block_merge_config_selectorIyNS0_10empty_typeEEEZZNS1_27merge_sort_block_merge_implIS3_PyPS5_jNS1_19radix_merge_compareILb1ELb0EyNS0_19identity_decomposerEEEEE10hipError_tT0_T1_T2_jT3_P12ihipStream_tbPNSt15iterator_traitsISE_E10value_typeEPNSK_ISF_E10value_typeEPSG_NS1_7vsmem_tEENKUlT_SE_SF_SG_E_clIS8_S8_S9_S9_EESD_ST_SE_SF_SG_EUlST_E1_NS1_11comp_targetILNS1_3genE8ELNS1_11target_archE1030ELNS1_3gpuE2ELNS1_3repE0EEENS1_36merge_oddeven_config_static_selectorELNS0_4arch9wavefront6targetE1EEEvSF_
; %bb.0:
	.section	.rodata,"a",@progbits
	.p2align	6, 0x0
	.amdhsa_kernel _ZN7rocprim17ROCPRIM_400000_NS6detail17trampoline_kernelINS0_14default_configENS1_38merge_sort_block_merge_config_selectorIyNS0_10empty_typeEEEZZNS1_27merge_sort_block_merge_implIS3_PyPS5_jNS1_19radix_merge_compareILb1ELb0EyNS0_19identity_decomposerEEEEE10hipError_tT0_T1_T2_jT3_P12ihipStream_tbPNSt15iterator_traitsISE_E10value_typeEPNSK_ISF_E10value_typeEPSG_NS1_7vsmem_tEENKUlT_SE_SF_SG_E_clIS8_S8_S9_S9_EESD_ST_SE_SF_SG_EUlST_E1_NS1_11comp_targetILNS1_3genE8ELNS1_11target_archE1030ELNS1_3gpuE2ELNS1_3repE0EEENS1_36merge_oddeven_config_static_selectorELNS0_4arch9wavefront6targetE1EEEvSF_
		.amdhsa_group_segment_fixed_size 0
		.amdhsa_private_segment_fixed_size 0
		.amdhsa_kernarg_size 48
		.amdhsa_user_sgpr_count 6
		.amdhsa_user_sgpr_private_segment_buffer 1
		.amdhsa_user_sgpr_dispatch_ptr 0
		.amdhsa_user_sgpr_queue_ptr 0
		.amdhsa_user_sgpr_kernarg_segment_ptr 1
		.amdhsa_user_sgpr_dispatch_id 0
		.amdhsa_user_sgpr_flat_scratch_init 0
		.amdhsa_user_sgpr_kernarg_preload_length 0
		.amdhsa_user_sgpr_kernarg_preload_offset 0
		.amdhsa_user_sgpr_private_segment_size 0
		.amdhsa_uses_dynamic_stack 0
		.amdhsa_system_sgpr_private_segment_wavefront_offset 0
		.amdhsa_system_sgpr_workgroup_id_x 1
		.amdhsa_system_sgpr_workgroup_id_y 0
		.amdhsa_system_sgpr_workgroup_id_z 0
		.amdhsa_system_sgpr_workgroup_info 0
		.amdhsa_system_vgpr_workitem_id 0
		.amdhsa_next_free_vgpr 1
		.amdhsa_next_free_sgpr 0
		.amdhsa_accum_offset 4
		.amdhsa_reserve_vcc 0
		.amdhsa_reserve_flat_scratch 0
		.amdhsa_float_round_mode_32 0
		.amdhsa_float_round_mode_16_64 0
		.amdhsa_float_denorm_mode_32 3
		.amdhsa_float_denorm_mode_16_64 3
		.amdhsa_dx10_clamp 1
		.amdhsa_ieee_mode 1
		.amdhsa_fp16_overflow 0
		.amdhsa_tg_split 0
		.amdhsa_exception_fp_ieee_invalid_op 0
		.amdhsa_exception_fp_denorm_src 0
		.amdhsa_exception_fp_ieee_div_zero 0
		.amdhsa_exception_fp_ieee_overflow 0
		.amdhsa_exception_fp_ieee_underflow 0
		.amdhsa_exception_fp_ieee_inexact 0
		.amdhsa_exception_int_div_zero 0
	.end_amdhsa_kernel
	.section	.text._ZN7rocprim17ROCPRIM_400000_NS6detail17trampoline_kernelINS0_14default_configENS1_38merge_sort_block_merge_config_selectorIyNS0_10empty_typeEEEZZNS1_27merge_sort_block_merge_implIS3_PyPS5_jNS1_19radix_merge_compareILb1ELb0EyNS0_19identity_decomposerEEEEE10hipError_tT0_T1_T2_jT3_P12ihipStream_tbPNSt15iterator_traitsISE_E10value_typeEPNSK_ISF_E10value_typeEPSG_NS1_7vsmem_tEENKUlT_SE_SF_SG_E_clIS8_S8_S9_S9_EESD_ST_SE_SF_SG_EUlST_E1_NS1_11comp_targetILNS1_3genE8ELNS1_11target_archE1030ELNS1_3gpuE2ELNS1_3repE0EEENS1_36merge_oddeven_config_static_selectorELNS0_4arch9wavefront6targetE1EEEvSF_,"axG",@progbits,_ZN7rocprim17ROCPRIM_400000_NS6detail17trampoline_kernelINS0_14default_configENS1_38merge_sort_block_merge_config_selectorIyNS0_10empty_typeEEEZZNS1_27merge_sort_block_merge_implIS3_PyPS5_jNS1_19radix_merge_compareILb1ELb0EyNS0_19identity_decomposerEEEEE10hipError_tT0_T1_T2_jT3_P12ihipStream_tbPNSt15iterator_traitsISE_E10value_typeEPNSK_ISF_E10value_typeEPSG_NS1_7vsmem_tEENKUlT_SE_SF_SG_E_clIS8_S8_S9_S9_EESD_ST_SE_SF_SG_EUlST_E1_NS1_11comp_targetILNS1_3genE8ELNS1_11target_archE1030ELNS1_3gpuE2ELNS1_3repE0EEENS1_36merge_oddeven_config_static_selectorELNS0_4arch9wavefront6targetE1EEEvSF_,comdat
.Lfunc_end2434:
	.size	_ZN7rocprim17ROCPRIM_400000_NS6detail17trampoline_kernelINS0_14default_configENS1_38merge_sort_block_merge_config_selectorIyNS0_10empty_typeEEEZZNS1_27merge_sort_block_merge_implIS3_PyPS5_jNS1_19radix_merge_compareILb1ELb0EyNS0_19identity_decomposerEEEEE10hipError_tT0_T1_T2_jT3_P12ihipStream_tbPNSt15iterator_traitsISE_E10value_typeEPNSK_ISF_E10value_typeEPSG_NS1_7vsmem_tEENKUlT_SE_SF_SG_E_clIS8_S8_S9_S9_EESD_ST_SE_SF_SG_EUlST_E1_NS1_11comp_targetILNS1_3genE8ELNS1_11target_archE1030ELNS1_3gpuE2ELNS1_3repE0EEENS1_36merge_oddeven_config_static_selectorELNS0_4arch9wavefront6targetE1EEEvSF_, .Lfunc_end2434-_ZN7rocprim17ROCPRIM_400000_NS6detail17trampoline_kernelINS0_14default_configENS1_38merge_sort_block_merge_config_selectorIyNS0_10empty_typeEEEZZNS1_27merge_sort_block_merge_implIS3_PyPS5_jNS1_19radix_merge_compareILb1ELb0EyNS0_19identity_decomposerEEEEE10hipError_tT0_T1_T2_jT3_P12ihipStream_tbPNSt15iterator_traitsISE_E10value_typeEPNSK_ISF_E10value_typeEPSG_NS1_7vsmem_tEENKUlT_SE_SF_SG_E_clIS8_S8_S9_S9_EESD_ST_SE_SF_SG_EUlST_E1_NS1_11comp_targetILNS1_3genE8ELNS1_11target_archE1030ELNS1_3gpuE2ELNS1_3repE0EEENS1_36merge_oddeven_config_static_selectorELNS0_4arch9wavefront6targetE1EEEvSF_
                                        ; -- End function
	.section	.AMDGPU.csdata,"",@progbits
; Kernel info:
; codeLenInByte = 0
; NumSgprs: 4
; NumVgprs: 0
; NumAgprs: 0
; TotalNumVgprs: 0
; ScratchSize: 0
; MemoryBound: 0
; FloatMode: 240
; IeeeMode: 1
; LDSByteSize: 0 bytes/workgroup (compile time only)
; SGPRBlocks: 0
; VGPRBlocks: 0
; NumSGPRsForWavesPerEU: 4
; NumVGPRsForWavesPerEU: 1
; AccumOffset: 4
; Occupancy: 8
; WaveLimiterHint : 0
; COMPUTE_PGM_RSRC2:SCRATCH_EN: 0
; COMPUTE_PGM_RSRC2:USER_SGPR: 6
; COMPUTE_PGM_RSRC2:TRAP_HANDLER: 0
; COMPUTE_PGM_RSRC2:TGID_X_EN: 1
; COMPUTE_PGM_RSRC2:TGID_Y_EN: 0
; COMPUTE_PGM_RSRC2:TGID_Z_EN: 0
; COMPUTE_PGM_RSRC2:TIDIG_COMP_CNT: 0
; COMPUTE_PGM_RSRC3_GFX90A:ACCUM_OFFSET: 0
; COMPUTE_PGM_RSRC3_GFX90A:TG_SPLIT: 0
	.section	.text._ZN7rocprim17ROCPRIM_400000_NS6detail17trampoline_kernelINS0_14default_configENS1_38merge_sort_block_merge_config_selectorIyNS0_10empty_typeEEEZZNS1_27merge_sort_block_merge_implIS3_PyPS5_jNS1_19radix_merge_compareILb1ELb1EyNS0_19identity_decomposerEEEEE10hipError_tT0_T1_T2_jT3_P12ihipStream_tbPNSt15iterator_traitsISE_E10value_typeEPNSK_ISF_E10value_typeEPSG_NS1_7vsmem_tEENKUlT_SE_SF_SG_E_clIS8_S8_S9_S9_EESD_ST_SE_SF_SG_EUlST_E_NS1_11comp_targetILNS1_3genE0ELNS1_11target_archE4294967295ELNS1_3gpuE0ELNS1_3repE0EEENS1_48merge_mergepath_partition_config_static_selectorELNS0_4arch9wavefront6targetE1EEEvSF_,"axG",@progbits,_ZN7rocprim17ROCPRIM_400000_NS6detail17trampoline_kernelINS0_14default_configENS1_38merge_sort_block_merge_config_selectorIyNS0_10empty_typeEEEZZNS1_27merge_sort_block_merge_implIS3_PyPS5_jNS1_19radix_merge_compareILb1ELb1EyNS0_19identity_decomposerEEEEE10hipError_tT0_T1_T2_jT3_P12ihipStream_tbPNSt15iterator_traitsISE_E10value_typeEPNSK_ISF_E10value_typeEPSG_NS1_7vsmem_tEENKUlT_SE_SF_SG_E_clIS8_S8_S9_S9_EESD_ST_SE_SF_SG_EUlST_E_NS1_11comp_targetILNS1_3genE0ELNS1_11target_archE4294967295ELNS1_3gpuE0ELNS1_3repE0EEENS1_48merge_mergepath_partition_config_static_selectorELNS0_4arch9wavefront6targetE1EEEvSF_,comdat
	.protected	_ZN7rocprim17ROCPRIM_400000_NS6detail17trampoline_kernelINS0_14default_configENS1_38merge_sort_block_merge_config_selectorIyNS0_10empty_typeEEEZZNS1_27merge_sort_block_merge_implIS3_PyPS5_jNS1_19radix_merge_compareILb1ELb1EyNS0_19identity_decomposerEEEEE10hipError_tT0_T1_T2_jT3_P12ihipStream_tbPNSt15iterator_traitsISE_E10value_typeEPNSK_ISF_E10value_typeEPSG_NS1_7vsmem_tEENKUlT_SE_SF_SG_E_clIS8_S8_S9_S9_EESD_ST_SE_SF_SG_EUlST_E_NS1_11comp_targetILNS1_3genE0ELNS1_11target_archE4294967295ELNS1_3gpuE0ELNS1_3repE0EEENS1_48merge_mergepath_partition_config_static_selectorELNS0_4arch9wavefront6targetE1EEEvSF_ ; -- Begin function _ZN7rocprim17ROCPRIM_400000_NS6detail17trampoline_kernelINS0_14default_configENS1_38merge_sort_block_merge_config_selectorIyNS0_10empty_typeEEEZZNS1_27merge_sort_block_merge_implIS3_PyPS5_jNS1_19radix_merge_compareILb1ELb1EyNS0_19identity_decomposerEEEEE10hipError_tT0_T1_T2_jT3_P12ihipStream_tbPNSt15iterator_traitsISE_E10value_typeEPNSK_ISF_E10value_typeEPSG_NS1_7vsmem_tEENKUlT_SE_SF_SG_E_clIS8_S8_S9_S9_EESD_ST_SE_SF_SG_EUlST_E_NS1_11comp_targetILNS1_3genE0ELNS1_11target_archE4294967295ELNS1_3gpuE0ELNS1_3repE0EEENS1_48merge_mergepath_partition_config_static_selectorELNS0_4arch9wavefront6targetE1EEEvSF_
	.globl	_ZN7rocprim17ROCPRIM_400000_NS6detail17trampoline_kernelINS0_14default_configENS1_38merge_sort_block_merge_config_selectorIyNS0_10empty_typeEEEZZNS1_27merge_sort_block_merge_implIS3_PyPS5_jNS1_19radix_merge_compareILb1ELb1EyNS0_19identity_decomposerEEEEE10hipError_tT0_T1_T2_jT3_P12ihipStream_tbPNSt15iterator_traitsISE_E10value_typeEPNSK_ISF_E10value_typeEPSG_NS1_7vsmem_tEENKUlT_SE_SF_SG_E_clIS8_S8_S9_S9_EESD_ST_SE_SF_SG_EUlST_E_NS1_11comp_targetILNS1_3genE0ELNS1_11target_archE4294967295ELNS1_3gpuE0ELNS1_3repE0EEENS1_48merge_mergepath_partition_config_static_selectorELNS0_4arch9wavefront6targetE1EEEvSF_
	.p2align	8
	.type	_ZN7rocprim17ROCPRIM_400000_NS6detail17trampoline_kernelINS0_14default_configENS1_38merge_sort_block_merge_config_selectorIyNS0_10empty_typeEEEZZNS1_27merge_sort_block_merge_implIS3_PyPS5_jNS1_19radix_merge_compareILb1ELb1EyNS0_19identity_decomposerEEEEE10hipError_tT0_T1_T2_jT3_P12ihipStream_tbPNSt15iterator_traitsISE_E10value_typeEPNSK_ISF_E10value_typeEPSG_NS1_7vsmem_tEENKUlT_SE_SF_SG_E_clIS8_S8_S9_S9_EESD_ST_SE_SF_SG_EUlST_E_NS1_11comp_targetILNS1_3genE0ELNS1_11target_archE4294967295ELNS1_3gpuE0ELNS1_3repE0EEENS1_48merge_mergepath_partition_config_static_selectorELNS0_4arch9wavefront6targetE1EEEvSF_,@function
_ZN7rocprim17ROCPRIM_400000_NS6detail17trampoline_kernelINS0_14default_configENS1_38merge_sort_block_merge_config_selectorIyNS0_10empty_typeEEEZZNS1_27merge_sort_block_merge_implIS3_PyPS5_jNS1_19radix_merge_compareILb1ELb1EyNS0_19identity_decomposerEEEEE10hipError_tT0_T1_T2_jT3_P12ihipStream_tbPNSt15iterator_traitsISE_E10value_typeEPNSK_ISF_E10value_typeEPSG_NS1_7vsmem_tEENKUlT_SE_SF_SG_E_clIS8_S8_S9_S9_EESD_ST_SE_SF_SG_EUlST_E_NS1_11comp_targetILNS1_3genE0ELNS1_11target_archE4294967295ELNS1_3gpuE0ELNS1_3repE0EEENS1_48merge_mergepath_partition_config_static_selectorELNS0_4arch9wavefront6targetE1EEEvSF_: ; @_ZN7rocprim17ROCPRIM_400000_NS6detail17trampoline_kernelINS0_14default_configENS1_38merge_sort_block_merge_config_selectorIyNS0_10empty_typeEEEZZNS1_27merge_sort_block_merge_implIS3_PyPS5_jNS1_19radix_merge_compareILb1ELb1EyNS0_19identity_decomposerEEEEE10hipError_tT0_T1_T2_jT3_P12ihipStream_tbPNSt15iterator_traitsISE_E10value_typeEPNSK_ISF_E10value_typeEPSG_NS1_7vsmem_tEENKUlT_SE_SF_SG_E_clIS8_S8_S9_S9_EESD_ST_SE_SF_SG_EUlST_E_NS1_11comp_targetILNS1_3genE0ELNS1_11target_archE4294967295ELNS1_3gpuE0ELNS1_3repE0EEENS1_48merge_mergepath_partition_config_static_selectorELNS0_4arch9wavefront6targetE1EEEvSF_
; %bb.0:
	.section	.rodata,"a",@progbits
	.p2align	6, 0x0
	.amdhsa_kernel _ZN7rocprim17ROCPRIM_400000_NS6detail17trampoline_kernelINS0_14default_configENS1_38merge_sort_block_merge_config_selectorIyNS0_10empty_typeEEEZZNS1_27merge_sort_block_merge_implIS3_PyPS5_jNS1_19radix_merge_compareILb1ELb1EyNS0_19identity_decomposerEEEEE10hipError_tT0_T1_T2_jT3_P12ihipStream_tbPNSt15iterator_traitsISE_E10value_typeEPNSK_ISF_E10value_typeEPSG_NS1_7vsmem_tEENKUlT_SE_SF_SG_E_clIS8_S8_S9_S9_EESD_ST_SE_SF_SG_EUlST_E_NS1_11comp_targetILNS1_3genE0ELNS1_11target_archE4294967295ELNS1_3gpuE0ELNS1_3repE0EEENS1_48merge_mergepath_partition_config_static_selectorELNS0_4arch9wavefront6targetE1EEEvSF_
		.amdhsa_group_segment_fixed_size 0
		.amdhsa_private_segment_fixed_size 0
		.amdhsa_kernarg_size 40
		.amdhsa_user_sgpr_count 6
		.amdhsa_user_sgpr_private_segment_buffer 1
		.amdhsa_user_sgpr_dispatch_ptr 0
		.amdhsa_user_sgpr_queue_ptr 0
		.amdhsa_user_sgpr_kernarg_segment_ptr 1
		.amdhsa_user_sgpr_dispatch_id 0
		.amdhsa_user_sgpr_flat_scratch_init 0
		.amdhsa_user_sgpr_kernarg_preload_length 0
		.amdhsa_user_sgpr_kernarg_preload_offset 0
		.amdhsa_user_sgpr_private_segment_size 0
		.amdhsa_uses_dynamic_stack 0
		.amdhsa_system_sgpr_private_segment_wavefront_offset 0
		.amdhsa_system_sgpr_workgroup_id_x 1
		.amdhsa_system_sgpr_workgroup_id_y 0
		.amdhsa_system_sgpr_workgroup_id_z 0
		.amdhsa_system_sgpr_workgroup_info 0
		.amdhsa_system_vgpr_workitem_id 0
		.amdhsa_next_free_vgpr 1
		.amdhsa_next_free_sgpr 0
		.amdhsa_accum_offset 4
		.amdhsa_reserve_vcc 0
		.amdhsa_reserve_flat_scratch 0
		.amdhsa_float_round_mode_32 0
		.amdhsa_float_round_mode_16_64 0
		.amdhsa_float_denorm_mode_32 3
		.amdhsa_float_denorm_mode_16_64 3
		.amdhsa_dx10_clamp 1
		.amdhsa_ieee_mode 1
		.amdhsa_fp16_overflow 0
		.amdhsa_tg_split 0
		.amdhsa_exception_fp_ieee_invalid_op 0
		.amdhsa_exception_fp_denorm_src 0
		.amdhsa_exception_fp_ieee_div_zero 0
		.amdhsa_exception_fp_ieee_overflow 0
		.amdhsa_exception_fp_ieee_underflow 0
		.amdhsa_exception_fp_ieee_inexact 0
		.amdhsa_exception_int_div_zero 0
	.end_amdhsa_kernel
	.section	.text._ZN7rocprim17ROCPRIM_400000_NS6detail17trampoline_kernelINS0_14default_configENS1_38merge_sort_block_merge_config_selectorIyNS0_10empty_typeEEEZZNS1_27merge_sort_block_merge_implIS3_PyPS5_jNS1_19radix_merge_compareILb1ELb1EyNS0_19identity_decomposerEEEEE10hipError_tT0_T1_T2_jT3_P12ihipStream_tbPNSt15iterator_traitsISE_E10value_typeEPNSK_ISF_E10value_typeEPSG_NS1_7vsmem_tEENKUlT_SE_SF_SG_E_clIS8_S8_S9_S9_EESD_ST_SE_SF_SG_EUlST_E_NS1_11comp_targetILNS1_3genE0ELNS1_11target_archE4294967295ELNS1_3gpuE0ELNS1_3repE0EEENS1_48merge_mergepath_partition_config_static_selectorELNS0_4arch9wavefront6targetE1EEEvSF_,"axG",@progbits,_ZN7rocprim17ROCPRIM_400000_NS6detail17trampoline_kernelINS0_14default_configENS1_38merge_sort_block_merge_config_selectorIyNS0_10empty_typeEEEZZNS1_27merge_sort_block_merge_implIS3_PyPS5_jNS1_19radix_merge_compareILb1ELb1EyNS0_19identity_decomposerEEEEE10hipError_tT0_T1_T2_jT3_P12ihipStream_tbPNSt15iterator_traitsISE_E10value_typeEPNSK_ISF_E10value_typeEPSG_NS1_7vsmem_tEENKUlT_SE_SF_SG_E_clIS8_S8_S9_S9_EESD_ST_SE_SF_SG_EUlST_E_NS1_11comp_targetILNS1_3genE0ELNS1_11target_archE4294967295ELNS1_3gpuE0ELNS1_3repE0EEENS1_48merge_mergepath_partition_config_static_selectorELNS0_4arch9wavefront6targetE1EEEvSF_,comdat
.Lfunc_end2435:
	.size	_ZN7rocprim17ROCPRIM_400000_NS6detail17trampoline_kernelINS0_14default_configENS1_38merge_sort_block_merge_config_selectorIyNS0_10empty_typeEEEZZNS1_27merge_sort_block_merge_implIS3_PyPS5_jNS1_19radix_merge_compareILb1ELb1EyNS0_19identity_decomposerEEEEE10hipError_tT0_T1_T2_jT3_P12ihipStream_tbPNSt15iterator_traitsISE_E10value_typeEPNSK_ISF_E10value_typeEPSG_NS1_7vsmem_tEENKUlT_SE_SF_SG_E_clIS8_S8_S9_S9_EESD_ST_SE_SF_SG_EUlST_E_NS1_11comp_targetILNS1_3genE0ELNS1_11target_archE4294967295ELNS1_3gpuE0ELNS1_3repE0EEENS1_48merge_mergepath_partition_config_static_selectorELNS0_4arch9wavefront6targetE1EEEvSF_, .Lfunc_end2435-_ZN7rocprim17ROCPRIM_400000_NS6detail17trampoline_kernelINS0_14default_configENS1_38merge_sort_block_merge_config_selectorIyNS0_10empty_typeEEEZZNS1_27merge_sort_block_merge_implIS3_PyPS5_jNS1_19radix_merge_compareILb1ELb1EyNS0_19identity_decomposerEEEEE10hipError_tT0_T1_T2_jT3_P12ihipStream_tbPNSt15iterator_traitsISE_E10value_typeEPNSK_ISF_E10value_typeEPSG_NS1_7vsmem_tEENKUlT_SE_SF_SG_E_clIS8_S8_S9_S9_EESD_ST_SE_SF_SG_EUlST_E_NS1_11comp_targetILNS1_3genE0ELNS1_11target_archE4294967295ELNS1_3gpuE0ELNS1_3repE0EEENS1_48merge_mergepath_partition_config_static_selectorELNS0_4arch9wavefront6targetE1EEEvSF_
                                        ; -- End function
	.section	.AMDGPU.csdata,"",@progbits
; Kernel info:
; codeLenInByte = 0
; NumSgprs: 4
; NumVgprs: 0
; NumAgprs: 0
; TotalNumVgprs: 0
; ScratchSize: 0
; MemoryBound: 0
; FloatMode: 240
; IeeeMode: 1
; LDSByteSize: 0 bytes/workgroup (compile time only)
; SGPRBlocks: 0
; VGPRBlocks: 0
; NumSGPRsForWavesPerEU: 4
; NumVGPRsForWavesPerEU: 1
; AccumOffset: 4
; Occupancy: 8
; WaveLimiterHint : 0
; COMPUTE_PGM_RSRC2:SCRATCH_EN: 0
; COMPUTE_PGM_RSRC2:USER_SGPR: 6
; COMPUTE_PGM_RSRC2:TRAP_HANDLER: 0
; COMPUTE_PGM_RSRC2:TGID_X_EN: 1
; COMPUTE_PGM_RSRC2:TGID_Y_EN: 0
; COMPUTE_PGM_RSRC2:TGID_Z_EN: 0
; COMPUTE_PGM_RSRC2:TIDIG_COMP_CNT: 0
; COMPUTE_PGM_RSRC3_GFX90A:ACCUM_OFFSET: 0
; COMPUTE_PGM_RSRC3_GFX90A:TG_SPLIT: 0
	.section	.text._ZN7rocprim17ROCPRIM_400000_NS6detail17trampoline_kernelINS0_14default_configENS1_38merge_sort_block_merge_config_selectorIyNS0_10empty_typeEEEZZNS1_27merge_sort_block_merge_implIS3_PyPS5_jNS1_19radix_merge_compareILb1ELb1EyNS0_19identity_decomposerEEEEE10hipError_tT0_T1_T2_jT3_P12ihipStream_tbPNSt15iterator_traitsISE_E10value_typeEPNSK_ISF_E10value_typeEPSG_NS1_7vsmem_tEENKUlT_SE_SF_SG_E_clIS8_S8_S9_S9_EESD_ST_SE_SF_SG_EUlST_E_NS1_11comp_targetILNS1_3genE10ELNS1_11target_archE1201ELNS1_3gpuE5ELNS1_3repE0EEENS1_48merge_mergepath_partition_config_static_selectorELNS0_4arch9wavefront6targetE1EEEvSF_,"axG",@progbits,_ZN7rocprim17ROCPRIM_400000_NS6detail17trampoline_kernelINS0_14default_configENS1_38merge_sort_block_merge_config_selectorIyNS0_10empty_typeEEEZZNS1_27merge_sort_block_merge_implIS3_PyPS5_jNS1_19radix_merge_compareILb1ELb1EyNS0_19identity_decomposerEEEEE10hipError_tT0_T1_T2_jT3_P12ihipStream_tbPNSt15iterator_traitsISE_E10value_typeEPNSK_ISF_E10value_typeEPSG_NS1_7vsmem_tEENKUlT_SE_SF_SG_E_clIS8_S8_S9_S9_EESD_ST_SE_SF_SG_EUlST_E_NS1_11comp_targetILNS1_3genE10ELNS1_11target_archE1201ELNS1_3gpuE5ELNS1_3repE0EEENS1_48merge_mergepath_partition_config_static_selectorELNS0_4arch9wavefront6targetE1EEEvSF_,comdat
	.protected	_ZN7rocprim17ROCPRIM_400000_NS6detail17trampoline_kernelINS0_14default_configENS1_38merge_sort_block_merge_config_selectorIyNS0_10empty_typeEEEZZNS1_27merge_sort_block_merge_implIS3_PyPS5_jNS1_19radix_merge_compareILb1ELb1EyNS0_19identity_decomposerEEEEE10hipError_tT0_T1_T2_jT3_P12ihipStream_tbPNSt15iterator_traitsISE_E10value_typeEPNSK_ISF_E10value_typeEPSG_NS1_7vsmem_tEENKUlT_SE_SF_SG_E_clIS8_S8_S9_S9_EESD_ST_SE_SF_SG_EUlST_E_NS1_11comp_targetILNS1_3genE10ELNS1_11target_archE1201ELNS1_3gpuE5ELNS1_3repE0EEENS1_48merge_mergepath_partition_config_static_selectorELNS0_4arch9wavefront6targetE1EEEvSF_ ; -- Begin function _ZN7rocprim17ROCPRIM_400000_NS6detail17trampoline_kernelINS0_14default_configENS1_38merge_sort_block_merge_config_selectorIyNS0_10empty_typeEEEZZNS1_27merge_sort_block_merge_implIS3_PyPS5_jNS1_19radix_merge_compareILb1ELb1EyNS0_19identity_decomposerEEEEE10hipError_tT0_T1_T2_jT3_P12ihipStream_tbPNSt15iterator_traitsISE_E10value_typeEPNSK_ISF_E10value_typeEPSG_NS1_7vsmem_tEENKUlT_SE_SF_SG_E_clIS8_S8_S9_S9_EESD_ST_SE_SF_SG_EUlST_E_NS1_11comp_targetILNS1_3genE10ELNS1_11target_archE1201ELNS1_3gpuE5ELNS1_3repE0EEENS1_48merge_mergepath_partition_config_static_selectorELNS0_4arch9wavefront6targetE1EEEvSF_
	.globl	_ZN7rocprim17ROCPRIM_400000_NS6detail17trampoline_kernelINS0_14default_configENS1_38merge_sort_block_merge_config_selectorIyNS0_10empty_typeEEEZZNS1_27merge_sort_block_merge_implIS3_PyPS5_jNS1_19radix_merge_compareILb1ELb1EyNS0_19identity_decomposerEEEEE10hipError_tT0_T1_T2_jT3_P12ihipStream_tbPNSt15iterator_traitsISE_E10value_typeEPNSK_ISF_E10value_typeEPSG_NS1_7vsmem_tEENKUlT_SE_SF_SG_E_clIS8_S8_S9_S9_EESD_ST_SE_SF_SG_EUlST_E_NS1_11comp_targetILNS1_3genE10ELNS1_11target_archE1201ELNS1_3gpuE5ELNS1_3repE0EEENS1_48merge_mergepath_partition_config_static_selectorELNS0_4arch9wavefront6targetE1EEEvSF_
	.p2align	8
	.type	_ZN7rocprim17ROCPRIM_400000_NS6detail17trampoline_kernelINS0_14default_configENS1_38merge_sort_block_merge_config_selectorIyNS0_10empty_typeEEEZZNS1_27merge_sort_block_merge_implIS3_PyPS5_jNS1_19radix_merge_compareILb1ELb1EyNS0_19identity_decomposerEEEEE10hipError_tT0_T1_T2_jT3_P12ihipStream_tbPNSt15iterator_traitsISE_E10value_typeEPNSK_ISF_E10value_typeEPSG_NS1_7vsmem_tEENKUlT_SE_SF_SG_E_clIS8_S8_S9_S9_EESD_ST_SE_SF_SG_EUlST_E_NS1_11comp_targetILNS1_3genE10ELNS1_11target_archE1201ELNS1_3gpuE5ELNS1_3repE0EEENS1_48merge_mergepath_partition_config_static_selectorELNS0_4arch9wavefront6targetE1EEEvSF_,@function
_ZN7rocprim17ROCPRIM_400000_NS6detail17trampoline_kernelINS0_14default_configENS1_38merge_sort_block_merge_config_selectorIyNS0_10empty_typeEEEZZNS1_27merge_sort_block_merge_implIS3_PyPS5_jNS1_19radix_merge_compareILb1ELb1EyNS0_19identity_decomposerEEEEE10hipError_tT0_T1_T2_jT3_P12ihipStream_tbPNSt15iterator_traitsISE_E10value_typeEPNSK_ISF_E10value_typeEPSG_NS1_7vsmem_tEENKUlT_SE_SF_SG_E_clIS8_S8_S9_S9_EESD_ST_SE_SF_SG_EUlST_E_NS1_11comp_targetILNS1_3genE10ELNS1_11target_archE1201ELNS1_3gpuE5ELNS1_3repE0EEENS1_48merge_mergepath_partition_config_static_selectorELNS0_4arch9wavefront6targetE1EEEvSF_: ; @_ZN7rocprim17ROCPRIM_400000_NS6detail17trampoline_kernelINS0_14default_configENS1_38merge_sort_block_merge_config_selectorIyNS0_10empty_typeEEEZZNS1_27merge_sort_block_merge_implIS3_PyPS5_jNS1_19radix_merge_compareILb1ELb1EyNS0_19identity_decomposerEEEEE10hipError_tT0_T1_T2_jT3_P12ihipStream_tbPNSt15iterator_traitsISE_E10value_typeEPNSK_ISF_E10value_typeEPSG_NS1_7vsmem_tEENKUlT_SE_SF_SG_E_clIS8_S8_S9_S9_EESD_ST_SE_SF_SG_EUlST_E_NS1_11comp_targetILNS1_3genE10ELNS1_11target_archE1201ELNS1_3gpuE5ELNS1_3repE0EEENS1_48merge_mergepath_partition_config_static_selectorELNS0_4arch9wavefront6targetE1EEEvSF_
; %bb.0:
	.section	.rodata,"a",@progbits
	.p2align	6, 0x0
	.amdhsa_kernel _ZN7rocprim17ROCPRIM_400000_NS6detail17trampoline_kernelINS0_14default_configENS1_38merge_sort_block_merge_config_selectorIyNS0_10empty_typeEEEZZNS1_27merge_sort_block_merge_implIS3_PyPS5_jNS1_19radix_merge_compareILb1ELb1EyNS0_19identity_decomposerEEEEE10hipError_tT0_T1_T2_jT3_P12ihipStream_tbPNSt15iterator_traitsISE_E10value_typeEPNSK_ISF_E10value_typeEPSG_NS1_7vsmem_tEENKUlT_SE_SF_SG_E_clIS8_S8_S9_S9_EESD_ST_SE_SF_SG_EUlST_E_NS1_11comp_targetILNS1_3genE10ELNS1_11target_archE1201ELNS1_3gpuE5ELNS1_3repE0EEENS1_48merge_mergepath_partition_config_static_selectorELNS0_4arch9wavefront6targetE1EEEvSF_
		.amdhsa_group_segment_fixed_size 0
		.amdhsa_private_segment_fixed_size 0
		.amdhsa_kernarg_size 40
		.amdhsa_user_sgpr_count 6
		.amdhsa_user_sgpr_private_segment_buffer 1
		.amdhsa_user_sgpr_dispatch_ptr 0
		.amdhsa_user_sgpr_queue_ptr 0
		.amdhsa_user_sgpr_kernarg_segment_ptr 1
		.amdhsa_user_sgpr_dispatch_id 0
		.amdhsa_user_sgpr_flat_scratch_init 0
		.amdhsa_user_sgpr_kernarg_preload_length 0
		.amdhsa_user_sgpr_kernarg_preload_offset 0
		.amdhsa_user_sgpr_private_segment_size 0
		.amdhsa_uses_dynamic_stack 0
		.amdhsa_system_sgpr_private_segment_wavefront_offset 0
		.amdhsa_system_sgpr_workgroup_id_x 1
		.amdhsa_system_sgpr_workgroup_id_y 0
		.amdhsa_system_sgpr_workgroup_id_z 0
		.amdhsa_system_sgpr_workgroup_info 0
		.amdhsa_system_vgpr_workitem_id 0
		.amdhsa_next_free_vgpr 1
		.amdhsa_next_free_sgpr 0
		.amdhsa_accum_offset 4
		.amdhsa_reserve_vcc 0
		.amdhsa_reserve_flat_scratch 0
		.amdhsa_float_round_mode_32 0
		.amdhsa_float_round_mode_16_64 0
		.amdhsa_float_denorm_mode_32 3
		.amdhsa_float_denorm_mode_16_64 3
		.amdhsa_dx10_clamp 1
		.amdhsa_ieee_mode 1
		.amdhsa_fp16_overflow 0
		.amdhsa_tg_split 0
		.amdhsa_exception_fp_ieee_invalid_op 0
		.amdhsa_exception_fp_denorm_src 0
		.amdhsa_exception_fp_ieee_div_zero 0
		.amdhsa_exception_fp_ieee_overflow 0
		.amdhsa_exception_fp_ieee_underflow 0
		.amdhsa_exception_fp_ieee_inexact 0
		.amdhsa_exception_int_div_zero 0
	.end_amdhsa_kernel
	.section	.text._ZN7rocprim17ROCPRIM_400000_NS6detail17trampoline_kernelINS0_14default_configENS1_38merge_sort_block_merge_config_selectorIyNS0_10empty_typeEEEZZNS1_27merge_sort_block_merge_implIS3_PyPS5_jNS1_19radix_merge_compareILb1ELb1EyNS0_19identity_decomposerEEEEE10hipError_tT0_T1_T2_jT3_P12ihipStream_tbPNSt15iterator_traitsISE_E10value_typeEPNSK_ISF_E10value_typeEPSG_NS1_7vsmem_tEENKUlT_SE_SF_SG_E_clIS8_S8_S9_S9_EESD_ST_SE_SF_SG_EUlST_E_NS1_11comp_targetILNS1_3genE10ELNS1_11target_archE1201ELNS1_3gpuE5ELNS1_3repE0EEENS1_48merge_mergepath_partition_config_static_selectorELNS0_4arch9wavefront6targetE1EEEvSF_,"axG",@progbits,_ZN7rocprim17ROCPRIM_400000_NS6detail17trampoline_kernelINS0_14default_configENS1_38merge_sort_block_merge_config_selectorIyNS0_10empty_typeEEEZZNS1_27merge_sort_block_merge_implIS3_PyPS5_jNS1_19radix_merge_compareILb1ELb1EyNS0_19identity_decomposerEEEEE10hipError_tT0_T1_T2_jT3_P12ihipStream_tbPNSt15iterator_traitsISE_E10value_typeEPNSK_ISF_E10value_typeEPSG_NS1_7vsmem_tEENKUlT_SE_SF_SG_E_clIS8_S8_S9_S9_EESD_ST_SE_SF_SG_EUlST_E_NS1_11comp_targetILNS1_3genE10ELNS1_11target_archE1201ELNS1_3gpuE5ELNS1_3repE0EEENS1_48merge_mergepath_partition_config_static_selectorELNS0_4arch9wavefront6targetE1EEEvSF_,comdat
.Lfunc_end2436:
	.size	_ZN7rocprim17ROCPRIM_400000_NS6detail17trampoline_kernelINS0_14default_configENS1_38merge_sort_block_merge_config_selectorIyNS0_10empty_typeEEEZZNS1_27merge_sort_block_merge_implIS3_PyPS5_jNS1_19radix_merge_compareILb1ELb1EyNS0_19identity_decomposerEEEEE10hipError_tT0_T1_T2_jT3_P12ihipStream_tbPNSt15iterator_traitsISE_E10value_typeEPNSK_ISF_E10value_typeEPSG_NS1_7vsmem_tEENKUlT_SE_SF_SG_E_clIS8_S8_S9_S9_EESD_ST_SE_SF_SG_EUlST_E_NS1_11comp_targetILNS1_3genE10ELNS1_11target_archE1201ELNS1_3gpuE5ELNS1_3repE0EEENS1_48merge_mergepath_partition_config_static_selectorELNS0_4arch9wavefront6targetE1EEEvSF_, .Lfunc_end2436-_ZN7rocprim17ROCPRIM_400000_NS6detail17trampoline_kernelINS0_14default_configENS1_38merge_sort_block_merge_config_selectorIyNS0_10empty_typeEEEZZNS1_27merge_sort_block_merge_implIS3_PyPS5_jNS1_19radix_merge_compareILb1ELb1EyNS0_19identity_decomposerEEEEE10hipError_tT0_T1_T2_jT3_P12ihipStream_tbPNSt15iterator_traitsISE_E10value_typeEPNSK_ISF_E10value_typeEPSG_NS1_7vsmem_tEENKUlT_SE_SF_SG_E_clIS8_S8_S9_S9_EESD_ST_SE_SF_SG_EUlST_E_NS1_11comp_targetILNS1_3genE10ELNS1_11target_archE1201ELNS1_3gpuE5ELNS1_3repE0EEENS1_48merge_mergepath_partition_config_static_selectorELNS0_4arch9wavefront6targetE1EEEvSF_
                                        ; -- End function
	.section	.AMDGPU.csdata,"",@progbits
; Kernel info:
; codeLenInByte = 0
; NumSgprs: 4
; NumVgprs: 0
; NumAgprs: 0
; TotalNumVgprs: 0
; ScratchSize: 0
; MemoryBound: 0
; FloatMode: 240
; IeeeMode: 1
; LDSByteSize: 0 bytes/workgroup (compile time only)
; SGPRBlocks: 0
; VGPRBlocks: 0
; NumSGPRsForWavesPerEU: 4
; NumVGPRsForWavesPerEU: 1
; AccumOffset: 4
; Occupancy: 8
; WaveLimiterHint : 0
; COMPUTE_PGM_RSRC2:SCRATCH_EN: 0
; COMPUTE_PGM_RSRC2:USER_SGPR: 6
; COMPUTE_PGM_RSRC2:TRAP_HANDLER: 0
; COMPUTE_PGM_RSRC2:TGID_X_EN: 1
; COMPUTE_PGM_RSRC2:TGID_Y_EN: 0
; COMPUTE_PGM_RSRC2:TGID_Z_EN: 0
; COMPUTE_PGM_RSRC2:TIDIG_COMP_CNT: 0
; COMPUTE_PGM_RSRC3_GFX90A:ACCUM_OFFSET: 0
; COMPUTE_PGM_RSRC3_GFX90A:TG_SPLIT: 0
	.section	.text._ZN7rocprim17ROCPRIM_400000_NS6detail17trampoline_kernelINS0_14default_configENS1_38merge_sort_block_merge_config_selectorIyNS0_10empty_typeEEEZZNS1_27merge_sort_block_merge_implIS3_PyPS5_jNS1_19radix_merge_compareILb1ELb1EyNS0_19identity_decomposerEEEEE10hipError_tT0_T1_T2_jT3_P12ihipStream_tbPNSt15iterator_traitsISE_E10value_typeEPNSK_ISF_E10value_typeEPSG_NS1_7vsmem_tEENKUlT_SE_SF_SG_E_clIS8_S8_S9_S9_EESD_ST_SE_SF_SG_EUlST_E_NS1_11comp_targetILNS1_3genE5ELNS1_11target_archE942ELNS1_3gpuE9ELNS1_3repE0EEENS1_48merge_mergepath_partition_config_static_selectorELNS0_4arch9wavefront6targetE1EEEvSF_,"axG",@progbits,_ZN7rocprim17ROCPRIM_400000_NS6detail17trampoline_kernelINS0_14default_configENS1_38merge_sort_block_merge_config_selectorIyNS0_10empty_typeEEEZZNS1_27merge_sort_block_merge_implIS3_PyPS5_jNS1_19radix_merge_compareILb1ELb1EyNS0_19identity_decomposerEEEEE10hipError_tT0_T1_T2_jT3_P12ihipStream_tbPNSt15iterator_traitsISE_E10value_typeEPNSK_ISF_E10value_typeEPSG_NS1_7vsmem_tEENKUlT_SE_SF_SG_E_clIS8_S8_S9_S9_EESD_ST_SE_SF_SG_EUlST_E_NS1_11comp_targetILNS1_3genE5ELNS1_11target_archE942ELNS1_3gpuE9ELNS1_3repE0EEENS1_48merge_mergepath_partition_config_static_selectorELNS0_4arch9wavefront6targetE1EEEvSF_,comdat
	.protected	_ZN7rocprim17ROCPRIM_400000_NS6detail17trampoline_kernelINS0_14default_configENS1_38merge_sort_block_merge_config_selectorIyNS0_10empty_typeEEEZZNS1_27merge_sort_block_merge_implIS3_PyPS5_jNS1_19radix_merge_compareILb1ELb1EyNS0_19identity_decomposerEEEEE10hipError_tT0_T1_T2_jT3_P12ihipStream_tbPNSt15iterator_traitsISE_E10value_typeEPNSK_ISF_E10value_typeEPSG_NS1_7vsmem_tEENKUlT_SE_SF_SG_E_clIS8_S8_S9_S9_EESD_ST_SE_SF_SG_EUlST_E_NS1_11comp_targetILNS1_3genE5ELNS1_11target_archE942ELNS1_3gpuE9ELNS1_3repE0EEENS1_48merge_mergepath_partition_config_static_selectorELNS0_4arch9wavefront6targetE1EEEvSF_ ; -- Begin function _ZN7rocprim17ROCPRIM_400000_NS6detail17trampoline_kernelINS0_14default_configENS1_38merge_sort_block_merge_config_selectorIyNS0_10empty_typeEEEZZNS1_27merge_sort_block_merge_implIS3_PyPS5_jNS1_19radix_merge_compareILb1ELb1EyNS0_19identity_decomposerEEEEE10hipError_tT0_T1_T2_jT3_P12ihipStream_tbPNSt15iterator_traitsISE_E10value_typeEPNSK_ISF_E10value_typeEPSG_NS1_7vsmem_tEENKUlT_SE_SF_SG_E_clIS8_S8_S9_S9_EESD_ST_SE_SF_SG_EUlST_E_NS1_11comp_targetILNS1_3genE5ELNS1_11target_archE942ELNS1_3gpuE9ELNS1_3repE0EEENS1_48merge_mergepath_partition_config_static_selectorELNS0_4arch9wavefront6targetE1EEEvSF_
	.globl	_ZN7rocprim17ROCPRIM_400000_NS6detail17trampoline_kernelINS0_14default_configENS1_38merge_sort_block_merge_config_selectorIyNS0_10empty_typeEEEZZNS1_27merge_sort_block_merge_implIS3_PyPS5_jNS1_19radix_merge_compareILb1ELb1EyNS0_19identity_decomposerEEEEE10hipError_tT0_T1_T2_jT3_P12ihipStream_tbPNSt15iterator_traitsISE_E10value_typeEPNSK_ISF_E10value_typeEPSG_NS1_7vsmem_tEENKUlT_SE_SF_SG_E_clIS8_S8_S9_S9_EESD_ST_SE_SF_SG_EUlST_E_NS1_11comp_targetILNS1_3genE5ELNS1_11target_archE942ELNS1_3gpuE9ELNS1_3repE0EEENS1_48merge_mergepath_partition_config_static_selectorELNS0_4arch9wavefront6targetE1EEEvSF_
	.p2align	8
	.type	_ZN7rocprim17ROCPRIM_400000_NS6detail17trampoline_kernelINS0_14default_configENS1_38merge_sort_block_merge_config_selectorIyNS0_10empty_typeEEEZZNS1_27merge_sort_block_merge_implIS3_PyPS5_jNS1_19radix_merge_compareILb1ELb1EyNS0_19identity_decomposerEEEEE10hipError_tT0_T1_T2_jT3_P12ihipStream_tbPNSt15iterator_traitsISE_E10value_typeEPNSK_ISF_E10value_typeEPSG_NS1_7vsmem_tEENKUlT_SE_SF_SG_E_clIS8_S8_S9_S9_EESD_ST_SE_SF_SG_EUlST_E_NS1_11comp_targetILNS1_3genE5ELNS1_11target_archE942ELNS1_3gpuE9ELNS1_3repE0EEENS1_48merge_mergepath_partition_config_static_selectorELNS0_4arch9wavefront6targetE1EEEvSF_,@function
_ZN7rocprim17ROCPRIM_400000_NS6detail17trampoline_kernelINS0_14default_configENS1_38merge_sort_block_merge_config_selectorIyNS0_10empty_typeEEEZZNS1_27merge_sort_block_merge_implIS3_PyPS5_jNS1_19radix_merge_compareILb1ELb1EyNS0_19identity_decomposerEEEEE10hipError_tT0_T1_T2_jT3_P12ihipStream_tbPNSt15iterator_traitsISE_E10value_typeEPNSK_ISF_E10value_typeEPSG_NS1_7vsmem_tEENKUlT_SE_SF_SG_E_clIS8_S8_S9_S9_EESD_ST_SE_SF_SG_EUlST_E_NS1_11comp_targetILNS1_3genE5ELNS1_11target_archE942ELNS1_3gpuE9ELNS1_3repE0EEENS1_48merge_mergepath_partition_config_static_selectorELNS0_4arch9wavefront6targetE1EEEvSF_: ; @_ZN7rocprim17ROCPRIM_400000_NS6detail17trampoline_kernelINS0_14default_configENS1_38merge_sort_block_merge_config_selectorIyNS0_10empty_typeEEEZZNS1_27merge_sort_block_merge_implIS3_PyPS5_jNS1_19radix_merge_compareILb1ELb1EyNS0_19identity_decomposerEEEEE10hipError_tT0_T1_T2_jT3_P12ihipStream_tbPNSt15iterator_traitsISE_E10value_typeEPNSK_ISF_E10value_typeEPSG_NS1_7vsmem_tEENKUlT_SE_SF_SG_E_clIS8_S8_S9_S9_EESD_ST_SE_SF_SG_EUlST_E_NS1_11comp_targetILNS1_3genE5ELNS1_11target_archE942ELNS1_3gpuE9ELNS1_3repE0EEENS1_48merge_mergepath_partition_config_static_selectorELNS0_4arch9wavefront6targetE1EEEvSF_
; %bb.0:
	.section	.rodata,"a",@progbits
	.p2align	6, 0x0
	.amdhsa_kernel _ZN7rocprim17ROCPRIM_400000_NS6detail17trampoline_kernelINS0_14default_configENS1_38merge_sort_block_merge_config_selectorIyNS0_10empty_typeEEEZZNS1_27merge_sort_block_merge_implIS3_PyPS5_jNS1_19radix_merge_compareILb1ELb1EyNS0_19identity_decomposerEEEEE10hipError_tT0_T1_T2_jT3_P12ihipStream_tbPNSt15iterator_traitsISE_E10value_typeEPNSK_ISF_E10value_typeEPSG_NS1_7vsmem_tEENKUlT_SE_SF_SG_E_clIS8_S8_S9_S9_EESD_ST_SE_SF_SG_EUlST_E_NS1_11comp_targetILNS1_3genE5ELNS1_11target_archE942ELNS1_3gpuE9ELNS1_3repE0EEENS1_48merge_mergepath_partition_config_static_selectorELNS0_4arch9wavefront6targetE1EEEvSF_
		.amdhsa_group_segment_fixed_size 0
		.amdhsa_private_segment_fixed_size 0
		.amdhsa_kernarg_size 40
		.amdhsa_user_sgpr_count 6
		.amdhsa_user_sgpr_private_segment_buffer 1
		.amdhsa_user_sgpr_dispatch_ptr 0
		.amdhsa_user_sgpr_queue_ptr 0
		.amdhsa_user_sgpr_kernarg_segment_ptr 1
		.amdhsa_user_sgpr_dispatch_id 0
		.amdhsa_user_sgpr_flat_scratch_init 0
		.amdhsa_user_sgpr_kernarg_preload_length 0
		.amdhsa_user_sgpr_kernarg_preload_offset 0
		.amdhsa_user_sgpr_private_segment_size 0
		.amdhsa_uses_dynamic_stack 0
		.amdhsa_system_sgpr_private_segment_wavefront_offset 0
		.amdhsa_system_sgpr_workgroup_id_x 1
		.amdhsa_system_sgpr_workgroup_id_y 0
		.amdhsa_system_sgpr_workgroup_id_z 0
		.amdhsa_system_sgpr_workgroup_info 0
		.amdhsa_system_vgpr_workitem_id 0
		.amdhsa_next_free_vgpr 1
		.amdhsa_next_free_sgpr 0
		.amdhsa_accum_offset 4
		.amdhsa_reserve_vcc 0
		.amdhsa_reserve_flat_scratch 0
		.amdhsa_float_round_mode_32 0
		.amdhsa_float_round_mode_16_64 0
		.amdhsa_float_denorm_mode_32 3
		.amdhsa_float_denorm_mode_16_64 3
		.amdhsa_dx10_clamp 1
		.amdhsa_ieee_mode 1
		.amdhsa_fp16_overflow 0
		.amdhsa_tg_split 0
		.amdhsa_exception_fp_ieee_invalid_op 0
		.amdhsa_exception_fp_denorm_src 0
		.amdhsa_exception_fp_ieee_div_zero 0
		.amdhsa_exception_fp_ieee_overflow 0
		.amdhsa_exception_fp_ieee_underflow 0
		.amdhsa_exception_fp_ieee_inexact 0
		.amdhsa_exception_int_div_zero 0
	.end_amdhsa_kernel
	.section	.text._ZN7rocprim17ROCPRIM_400000_NS6detail17trampoline_kernelINS0_14default_configENS1_38merge_sort_block_merge_config_selectorIyNS0_10empty_typeEEEZZNS1_27merge_sort_block_merge_implIS3_PyPS5_jNS1_19radix_merge_compareILb1ELb1EyNS0_19identity_decomposerEEEEE10hipError_tT0_T1_T2_jT3_P12ihipStream_tbPNSt15iterator_traitsISE_E10value_typeEPNSK_ISF_E10value_typeEPSG_NS1_7vsmem_tEENKUlT_SE_SF_SG_E_clIS8_S8_S9_S9_EESD_ST_SE_SF_SG_EUlST_E_NS1_11comp_targetILNS1_3genE5ELNS1_11target_archE942ELNS1_3gpuE9ELNS1_3repE0EEENS1_48merge_mergepath_partition_config_static_selectorELNS0_4arch9wavefront6targetE1EEEvSF_,"axG",@progbits,_ZN7rocprim17ROCPRIM_400000_NS6detail17trampoline_kernelINS0_14default_configENS1_38merge_sort_block_merge_config_selectorIyNS0_10empty_typeEEEZZNS1_27merge_sort_block_merge_implIS3_PyPS5_jNS1_19radix_merge_compareILb1ELb1EyNS0_19identity_decomposerEEEEE10hipError_tT0_T1_T2_jT3_P12ihipStream_tbPNSt15iterator_traitsISE_E10value_typeEPNSK_ISF_E10value_typeEPSG_NS1_7vsmem_tEENKUlT_SE_SF_SG_E_clIS8_S8_S9_S9_EESD_ST_SE_SF_SG_EUlST_E_NS1_11comp_targetILNS1_3genE5ELNS1_11target_archE942ELNS1_3gpuE9ELNS1_3repE0EEENS1_48merge_mergepath_partition_config_static_selectorELNS0_4arch9wavefront6targetE1EEEvSF_,comdat
.Lfunc_end2437:
	.size	_ZN7rocprim17ROCPRIM_400000_NS6detail17trampoline_kernelINS0_14default_configENS1_38merge_sort_block_merge_config_selectorIyNS0_10empty_typeEEEZZNS1_27merge_sort_block_merge_implIS3_PyPS5_jNS1_19radix_merge_compareILb1ELb1EyNS0_19identity_decomposerEEEEE10hipError_tT0_T1_T2_jT3_P12ihipStream_tbPNSt15iterator_traitsISE_E10value_typeEPNSK_ISF_E10value_typeEPSG_NS1_7vsmem_tEENKUlT_SE_SF_SG_E_clIS8_S8_S9_S9_EESD_ST_SE_SF_SG_EUlST_E_NS1_11comp_targetILNS1_3genE5ELNS1_11target_archE942ELNS1_3gpuE9ELNS1_3repE0EEENS1_48merge_mergepath_partition_config_static_selectorELNS0_4arch9wavefront6targetE1EEEvSF_, .Lfunc_end2437-_ZN7rocprim17ROCPRIM_400000_NS6detail17trampoline_kernelINS0_14default_configENS1_38merge_sort_block_merge_config_selectorIyNS0_10empty_typeEEEZZNS1_27merge_sort_block_merge_implIS3_PyPS5_jNS1_19radix_merge_compareILb1ELb1EyNS0_19identity_decomposerEEEEE10hipError_tT0_T1_T2_jT3_P12ihipStream_tbPNSt15iterator_traitsISE_E10value_typeEPNSK_ISF_E10value_typeEPSG_NS1_7vsmem_tEENKUlT_SE_SF_SG_E_clIS8_S8_S9_S9_EESD_ST_SE_SF_SG_EUlST_E_NS1_11comp_targetILNS1_3genE5ELNS1_11target_archE942ELNS1_3gpuE9ELNS1_3repE0EEENS1_48merge_mergepath_partition_config_static_selectorELNS0_4arch9wavefront6targetE1EEEvSF_
                                        ; -- End function
	.section	.AMDGPU.csdata,"",@progbits
; Kernel info:
; codeLenInByte = 0
; NumSgprs: 4
; NumVgprs: 0
; NumAgprs: 0
; TotalNumVgprs: 0
; ScratchSize: 0
; MemoryBound: 0
; FloatMode: 240
; IeeeMode: 1
; LDSByteSize: 0 bytes/workgroup (compile time only)
; SGPRBlocks: 0
; VGPRBlocks: 0
; NumSGPRsForWavesPerEU: 4
; NumVGPRsForWavesPerEU: 1
; AccumOffset: 4
; Occupancy: 8
; WaveLimiterHint : 0
; COMPUTE_PGM_RSRC2:SCRATCH_EN: 0
; COMPUTE_PGM_RSRC2:USER_SGPR: 6
; COMPUTE_PGM_RSRC2:TRAP_HANDLER: 0
; COMPUTE_PGM_RSRC2:TGID_X_EN: 1
; COMPUTE_PGM_RSRC2:TGID_Y_EN: 0
; COMPUTE_PGM_RSRC2:TGID_Z_EN: 0
; COMPUTE_PGM_RSRC2:TIDIG_COMP_CNT: 0
; COMPUTE_PGM_RSRC3_GFX90A:ACCUM_OFFSET: 0
; COMPUTE_PGM_RSRC3_GFX90A:TG_SPLIT: 0
	.section	.text._ZN7rocprim17ROCPRIM_400000_NS6detail17trampoline_kernelINS0_14default_configENS1_38merge_sort_block_merge_config_selectorIyNS0_10empty_typeEEEZZNS1_27merge_sort_block_merge_implIS3_PyPS5_jNS1_19radix_merge_compareILb1ELb1EyNS0_19identity_decomposerEEEEE10hipError_tT0_T1_T2_jT3_P12ihipStream_tbPNSt15iterator_traitsISE_E10value_typeEPNSK_ISF_E10value_typeEPSG_NS1_7vsmem_tEENKUlT_SE_SF_SG_E_clIS8_S8_S9_S9_EESD_ST_SE_SF_SG_EUlST_E_NS1_11comp_targetILNS1_3genE4ELNS1_11target_archE910ELNS1_3gpuE8ELNS1_3repE0EEENS1_48merge_mergepath_partition_config_static_selectorELNS0_4arch9wavefront6targetE1EEEvSF_,"axG",@progbits,_ZN7rocprim17ROCPRIM_400000_NS6detail17trampoline_kernelINS0_14default_configENS1_38merge_sort_block_merge_config_selectorIyNS0_10empty_typeEEEZZNS1_27merge_sort_block_merge_implIS3_PyPS5_jNS1_19radix_merge_compareILb1ELb1EyNS0_19identity_decomposerEEEEE10hipError_tT0_T1_T2_jT3_P12ihipStream_tbPNSt15iterator_traitsISE_E10value_typeEPNSK_ISF_E10value_typeEPSG_NS1_7vsmem_tEENKUlT_SE_SF_SG_E_clIS8_S8_S9_S9_EESD_ST_SE_SF_SG_EUlST_E_NS1_11comp_targetILNS1_3genE4ELNS1_11target_archE910ELNS1_3gpuE8ELNS1_3repE0EEENS1_48merge_mergepath_partition_config_static_selectorELNS0_4arch9wavefront6targetE1EEEvSF_,comdat
	.protected	_ZN7rocprim17ROCPRIM_400000_NS6detail17trampoline_kernelINS0_14default_configENS1_38merge_sort_block_merge_config_selectorIyNS0_10empty_typeEEEZZNS1_27merge_sort_block_merge_implIS3_PyPS5_jNS1_19radix_merge_compareILb1ELb1EyNS0_19identity_decomposerEEEEE10hipError_tT0_T1_T2_jT3_P12ihipStream_tbPNSt15iterator_traitsISE_E10value_typeEPNSK_ISF_E10value_typeEPSG_NS1_7vsmem_tEENKUlT_SE_SF_SG_E_clIS8_S8_S9_S9_EESD_ST_SE_SF_SG_EUlST_E_NS1_11comp_targetILNS1_3genE4ELNS1_11target_archE910ELNS1_3gpuE8ELNS1_3repE0EEENS1_48merge_mergepath_partition_config_static_selectorELNS0_4arch9wavefront6targetE1EEEvSF_ ; -- Begin function _ZN7rocprim17ROCPRIM_400000_NS6detail17trampoline_kernelINS0_14default_configENS1_38merge_sort_block_merge_config_selectorIyNS0_10empty_typeEEEZZNS1_27merge_sort_block_merge_implIS3_PyPS5_jNS1_19radix_merge_compareILb1ELb1EyNS0_19identity_decomposerEEEEE10hipError_tT0_T1_T2_jT3_P12ihipStream_tbPNSt15iterator_traitsISE_E10value_typeEPNSK_ISF_E10value_typeEPSG_NS1_7vsmem_tEENKUlT_SE_SF_SG_E_clIS8_S8_S9_S9_EESD_ST_SE_SF_SG_EUlST_E_NS1_11comp_targetILNS1_3genE4ELNS1_11target_archE910ELNS1_3gpuE8ELNS1_3repE0EEENS1_48merge_mergepath_partition_config_static_selectorELNS0_4arch9wavefront6targetE1EEEvSF_
	.globl	_ZN7rocprim17ROCPRIM_400000_NS6detail17trampoline_kernelINS0_14default_configENS1_38merge_sort_block_merge_config_selectorIyNS0_10empty_typeEEEZZNS1_27merge_sort_block_merge_implIS3_PyPS5_jNS1_19radix_merge_compareILb1ELb1EyNS0_19identity_decomposerEEEEE10hipError_tT0_T1_T2_jT3_P12ihipStream_tbPNSt15iterator_traitsISE_E10value_typeEPNSK_ISF_E10value_typeEPSG_NS1_7vsmem_tEENKUlT_SE_SF_SG_E_clIS8_S8_S9_S9_EESD_ST_SE_SF_SG_EUlST_E_NS1_11comp_targetILNS1_3genE4ELNS1_11target_archE910ELNS1_3gpuE8ELNS1_3repE0EEENS1_48merge_mergepath_partition_config_static_selectorELNS0_4arch9wavefront6targetE1EEEvSF_
	.p2align	8
	.type	_ZN7rocprim17ROCPRIM_400000_NS6detail17trampoline_kernelINS0_14default_configENS1_38merge_sort_block_merge_config_selectorIyNS0_10empty_typeEEEZZNS1_27merge_sort_block_merge_implIS3_PyPS5_jNS1_19radix_merge_compareILb1ELb1EyNS0_19identity_decomposerEEEEE10hipError_tT0_T1_T2_jT3_P12ihipStream_tbPNSt15iterator_traitsISE_E10value_typeEPNSK_ISF_E10value_typeEPSG_NS1_7vsmem_tEENKUlT_SE_SF_SG_E_clIS8_S8_S9_S9_EESD_ST_SE_SF_SG_EUlST_E_NS1_11comp_targetILNS1_3genE4ELNS1_11target_archE910ELNS1_3gpuE8ELNS1_3repE0EEENS1_48merge_mergepath_partition_config_static_selectorELNS0_4arch9wavefront6targetE1EEEvSF_,@function
_ZN7rocprim17ROCPRIM_400000_NS6detail17trampoline_kernelINS0_14default_configENS1_38merge_sort_block_merge_config_selectorIyNS0_10empty_typeEEEZZNS1_27merge_sort_block_merge_implIS3_PyPS5_jNS1_19radix_merge_compareILb1ELb1EyNS0_19identity_decomposerEEEEE10hipError_tT0_T1_T2_jT3_P12ihipStream_tbPNSt15iterator_traitsISE_E10value_typeEPNSK_ISF_E10value_typeEPSG_NS1_7vsmem_tEENKUlT_SE_SF_SG_E_clIS8_S8_S9_S9_EESD_ST_SE_SF_SG_EUlST_E_NS1_11comp_targetILNS1_3genE4ELNS1_11target_archE910ELNS1_3gpuE8ELNS1_3repE0EEENS1_48merge_mergepath_partition_config_static_selectorELNS0_4arch9wavefront6targetE1EEEvSF_: ; @_ZN7rocprim17ROCPRIM_400000_NS6detail17trampoline_kernelINS0_14default_configENS1_38merge_sort_block_merge_config_selectorIyNS0_10empty_typeEEEZZNS1_27merge_sort_block_merge_implIS3_PyPS5_jNS1_19radix_merge_compareILb1ELb1EyNS0_19identity_decomposerEEEEE10hipError_tT0_T1_T2_jT3_P12ihipStream_tbPNSt15iterator_traitsISE_E10value_typeEPNSK_ISF_E10value_typeEPSG_NS1_7vsmem_tEENKUlT_SE_SF_SG_E_clIS8_S8_S9_S9_EESD_ST_SE_SF_SG_EUlST_E_NS1_11comp_targetILNS1_3genE4ELNS1_11target_archE910ELNS1_3gpuE8ELNS1_3repE0EEENS1_48merge_mergepath_partition_config_static_selectorELNS0_4arch9wavefront6targetE1EEEvSF_
; %bb.0:
	s_load_dword s0, s[4:5], 0x0
	v_lshl_or_b32 v0, s6, 7, v0
	s_waitcnt lgkmcnt(0)
	v_cmp_gt_u32_e32 vcc, s0, v0
	s_and_saveexec_b64 s[0:1], vcc
	s_cbranch_execz .LBB2438_6
; %bb.1:
	s_load_dwordx2 s[6:7], s[4:5], 0x4
	s_load_dwordx4 s[0:3], s[4:5], 0x18
	s_waitcnt lgkmcnt(0)
	s_lshr_b32 s8, s6, 9
	s_and_b32 s8, s8, 0x7ffffe
	s_add_i32 s9, s8, -1
	s_sub_i32 s8, 0, s8
	v_and_b32_e32 v1, s8, v0
	v_lshlrev_b32_e32 v1, 10, v1
	v_min_u32_e32 v2, s7, v1
	v_add_u32_e32 v1, s6, v1
	v_min_u32_e32 v4, s7, v1
	v_add_u32_e32 v1, s6, v4
	v_and_b32_e32 v3, s9, v0
	v_min_u32_e32 v1, s7, v1
	v_sub_u32_e32 v5, v1, v2
	v_lshlrev_b32_e32 v3, 10, v3
	v_min_u32_e32 v6, v5, v3
	v_sub_u32_e32 v3, v4, v2
	v_sub_u32_e32 v1, v1, v4
	v_sub_u32_e64 v1, v6, v1 clamp
	v_min_u32_e32 v7, v6, v3
	v_cmp_lt_u32_e32 vcc, v1, v7
	s_and_saveexec_b64 s[6:7], vcc
	s_cbranch_execz .LBB2438_5
; %bb.2:
	s_load_dwordx2 s[4:5], s[4:5], 0x10
	v_mov_b32_e32 v5, 0
	v_mov_b32_e32 v3, v5
	v_lshlrev_b64 v[8:9], 3, v[2:3]
	v_lshlrev_b64 v[10:11], 3, v[4:5]
	s_waitcnt lgkmcnt(0)
	v_mov_b32_e32 v12, s5
	v_add_co_u32_e32 v3, vcc, s4, v8
	v_addc_co_u32_e32 v8, vcc, v12, v9, vcc
	v_add_co_u32_e32 v9, vcc, s4, v10
	v_addc_co_u32_e32 v10, vcc, v12, v11, vcc
	s_mov_b64 s[4:5], 0
.LBB2438_3:                             ; =>This Inner Loop Header: Depth=1
	v_add_u32_e32 v4, v7, v1
	v_lshrrev_b32_e32 v4, 1, v4
	v_lshlrev_b64 v[14:15], 3, v[4:5]
	v_mov_b32_e32 v13, v5
	v_xad_u32 v12, v4, -1, v6
	v_add_co_u32_e32 v14, vcc, v3, v14
	v_addc_co_u32_e32 v15, vcc, v8, v15, vcc
	v_lshlrev_b64 v[12:13], 3, v[12:13]
	v_add_co_u32_e32 v12, vcc, v9, v12
	v_addc_co_u32_e32 v13, vcc, v10, v13, vcc
	global_load_dwordx2 v[14:15], v[14:15], off
	v_add_u32_e32 v11, 1, v4
	global_load_dwordx2 v[12:13], v[12:13], off
	s_waitcnt vmcnt(1)
	v_and_b32_e32 v15, s1, v15
	v_and_b32_e32 v14, s0, v14
	s_waitcnt vmcnt(0)
	v_and_b32_e32 v13, s1, v13
	v_and_b32_e32 v12, s0, v12
	v_cmp_gt_u64_e32 vcc, v[12:13], v[14:15]
	v_cndmask_b32_e32 v7, v7, v4, vcc
	v_cndmask_b32_e32 v1, v11, v1, vcc
	v_cmp_ge_u32_e32 vcc, v1, v7
	s_or_b64 s[4:5], vcc, s[4:5]
	s_andn2_b64 exec, exec, s[4:5]
	s_cbranch_execnz .LBB2438_3
; %bb.4:
	s_or_b64 exec, exec, s[4:5]
.LBB2438_5:
	s_or_b64 exec, exec, s[6:7]
	v_add_u32_e32 v2, v1, v2
	v_mov_b32_e32 v1, 0
	v_lshlrev_b64 v[0:1], 2, v[0:1]
	v_mov_b32_e32 v3, s3
	v_add_co_u32_e32 v0, vcc, s2, v0
	v_addc_co_u32_e32 v1, vcc, v3, v1, vcc
	global_store_dword v[0:1], v2, off
.LBB2438_6:
	s_endpgm
	.section	.rodata,"a",@progbits
	.p2align	6, 0x0
	.amdhsa_kernel _ZN7rocprim17ROCPRIM_400000_NS6detail17trampoline_kernelINS0_14default_configENS1_38merge_sort_block_merge_config_selectorIyNS0_10empty_typeEEEZZNS1_27merge_sort_block_merge_implIS3_PyPS5_jNS1_19radix_merge_compareILb1ELb1EyNS0_19identity_decomposerEEEEE10hipError_tT0_T1_T2_jT3_P12ihipStream_tbPNSt15iterator_traitsISE_E10value_typeEPNSK_ISF_E10value_typeEPSG_NS1_7vsmem_tEENKUlT_SE_SF_SG_E_clIS8_S8_S9_S9_EESD_ST_SE_SF_SG_EUlST_E_NS1_11comp_targetILNS1_3genE4ELNS1_11target_archE910ELNS1_3gpuE8ELNS1_3repE0EEENS1_48merge_mergepath_partition_config_static_selectorELNS0_4arch9wavefront6targetE1EEEvSF_
		.amdhsa_group_segment_fixed_size 0
		.amdhsa_private_segment_fixed_size 0
		.amdhsa_kernarg_size 40
		.amdhsa_user_sgpr_count 6
		.amdhsa_user_sgpr_private_segment_buffer 1
		.amdhsa_user_sgpr_dispatch_ptr 0
		.amdhsa_user_sgpr_queue_ptr 0
		.amdhsa_user_sgpr_kernarg_segment_ptr 1
		.amdhsa_user_sgpr_dispatch_id 0
		.amdhsa_user_sgpr_flat_scratch_init 0
		.amdhsa_user_sgpr_kernarg_preload_length 0
		.amdhsa_user_sgpr_kernarg_preload_offset 0
		.amdhsa_user_sgpr_private_segment_size 0
		.amdhsa_uses_dynamic_stack 0
		.amdhsa_system_sgpr_private_segment_wavefront_offset 0
		.amdhsa_system_sgpr_workgroup_id_x 1
		.amdhsa_system_sgpr_workgroup_id_y 0
		.amdhsa_system_sgpr_workgroup_id_z 0
		.amdhsa_system_sgpr_workgroup_info 0
		.amdhsa_system_vgpr_workitem_id 0
		.amdhsa_next_free_vgpr 16
		.amdhsa_next_free_sgpr 10
		.amdhsa_accum_offset 16
		.amdhsa_reserve_vcc 1
		.amdhsa_reserve_flat_scratch 0
		.amdhsa_float_round_mode_32 0
		.amdhsa_float_round_mode_16_64 0
		.amdhsa_float_denorm_mode_32 3
		.amdhsa_float_denorm_mode_16_64 3
		.amdhsa_dx10_clamp 1
		.amdhsa_ieee_mode 1
		.amdhsa_fp16_overflow 0
		.amdhsa_tg_split 0
		.amdhsa_exception_fp_ieee_invalid_op 0
		.amdhsa_exception_fp_denorm_src 0
		.amdhsa_exception_fp_ieee_div_zero 0
		.amdhsa_exception_fp_ieee_overflow 0
		.amdhsa_exception_fp_ieee_underflow 0
		.amdhsa_exception_fp_ieee_inexact 0
		.amdhsa_exception_int_div_zero 0
	.end_amdhsa_kernel
	.section	.text._ZN7rocprim17ROCPRIM_400000_NS6detail17trampoline_kernelINS0_14default_configENS1_38merge_sort_block_merge_config_selectorIyNS0_10empty_typeEEEZZNS1_27merge_sort_block_merge_implIS3_PyPS5_jNS1_19radix_merge_compareILb1ELb1EyNS0_19identity_decomposerEEEEE10hipError_tT0_T1_T2_jT3_P12ihipStream_tbPNSt15iterator_traitsISE_E10value_typeEPNSK_ISF_E10value_typeEPSG_NS1_7vsmem_tEENKUlT_SE_SF_SG_E_clIS8_S8_S9_S9_EESD_ST_SE_SF_SG_EUlST_E_NS1_11comp_targetILNS1_3genE4ELNS1_11target_archE910ELNS1_3gpuE8ELNS1_3repE0EEENS1_48merge_mergepath_partition_config_static_selectorELNS0_4arch9wavefront6targetE1EEEvSF_,"axG",@progbits,_ZN7rocprim17ROCPRIM_400000_NS6detail17trampoline_kernelINS0_14default_configENS1_38merge_sort_block_merge_config_selectorIyNS0_10empty_typeEEEZZNS1_27merge_sort_block_merge_implIS3_PyPS5_jNS1_19radix_merge_compareILb1ELb1EyNS0_19identity_decomposerEEEEE10hipError_tT0_T1_T2_jT3_P12ihipStream_tbPNSt15iterator_traitsISE_E10value_typeEPNSK_ISF_E10value_typeEPSG_NS1_7vsmem_tEENKUlT_SE_SF_SG_E_clIS8_S8_S9_S9_EESD_ST_SE_SF_SG_EUlST_E_NS1_11comp_targetILNS1_3genE4ELNS1_11target_archE910ELNS1_3gpuE8ELNS1_3repE0EEENS1_48merge_mergepath_partition_config_static_selectorELNS0_4arch9wavefront6targetE1EEEvSF_,comdat
.Lfunc_end2438:
	.size	_ZN7rocprim17ROCPRIM_400000_NS6detail17trampoline_kernelINS0_14default_configENS1_38merge_sort_block_merge_config_selectorIyNS0_10empty_typeEEEZZNS1_27merge_sort_block_merge_implIS3_PyPS5_jNS1_19radix_merge_compareILb1ELb1EyNS0_19identity_decomposerEEEEE10hipError_tT0_T1_T2_jT3_P12ihipStream_tbPNSt15iterator_traitsISE_E10value_typeEPNSK_ISF_E10value_typeEPSG_NS1_7vsmem_tEENKUlT_SE_SF_SG_E_clIS8_S8_S9_S9_EESD_ST_SE_SF_SG_EUlST_E_NS1_11comp_targetILNS1_3genE4ELNS1_11target_archE910ELNS1_3gpuE8ELNS1_3repE0EEENS1_48merge_mergepath_partition_config_static_selectorELNS0_4arch9wavefront6targetE1EEEvSF_, .Lfunc_end2438-_ZN7rocprim17ROCPRIM_400000_NS6detail17trampoline_kernelINS0_14default_configENS1_38merge_sort_block_merge_config_selectorIyNS0_10empty_typeEEEZZNS1_27merge_sort_block_merge_implIS3_PyPS5_jNS1_19radix_merge_compareILb1ELb1EyNS0_19identity_decomposerEEEEE10hipError_tT0_T1_T2_jT3_P12ihipStream_tbPNSt15iterator_traitsISE_E10value_typeEPNSK_ISF_E10value_typeEPSG_NS1_7vsmem_tEENKUlT_SE_SF_SG_E_clIS8_S8_S9_S9_EESD_ST_SE_SF_SG_EUlST_E_NS1_11comp_targetILNS1_3genE4ELNS1_11target_archE910ELNS1_3gpuE8ELNS1_3repE0EEENS1_48merge_mergepath_partition_config_static_selectorELNS0_4arch9wavefront6targetE1EEEvSF_
                                        ; -- End function
	.section	.AMDGPU.csdata,"",@progbits
; Kernel info:
; codeLenInByte = 380
; NumSgprs: 14
; NumVgprs: 16
; NumAgprs: 0
; TotalNumVgprs: 16
; ScratchSize: 0
; MemoryBound: 0
; FloatMode: 240
; IeeeMode: 1
; LDSByteSize: 0 bytes/workgroup (compile time only)
; SGPRBlocks: 1
; VGPRBlocks: 1
; NumSGPRsForWavesPerEU: 14
; NumVGPRsForWavesPerEU: 16
; AccumOffset: 16
; Occupancy: 8
; WaveLimiterHint : 0
; COMPUTE_PGM_RSRC2:SCRATCH_EN: 0
; COMPUTE_PGM_RSRC2:USER_SGPR: 6
; COMPUTE_PGM_RSRC2:TRAP_HANDLER: 0
; COMPUTE_PGM_RSRC2:TGID_X_EN: 1
; COMPUTE_PGM_RSRC2:TGID_Y_EN: 0
; COMPUTE_PGM_RSRC2:TGID_Z_EN: 0
; COMPUTE_PGM_RSRC2:TIDIG_COMP_CNT: 0
; COMPUTE_PGM_RSRC3_GFX90A:ACCUM_OFFSET: 3
; COMPUTE_PGM_RSRC3_GFX90A:TG_SPLIT: 0
	.section	.text._ZN7rocprim17ROCPRIM_400000_NS6detail17trampoline_kernelINS0_14default_configENS1_38merge_sort_block_merge_config_selectorIyNS0_10empty_typeEEEZZNS1_27merge_sort_block_merge_implIS3_PyPS5_jNS1_19radix_merge_compareILb1ELb1EyNS0_19identity_decomposerEEEEE10hipError_tT0_T1_T2_jT3_P12ihipStream_tbPNSt15iterator_traitsISE_E10value_typeEPNSK_ISF_E10value_typeEPSG_NS1_7vsmem_tEENKUlT_SE_SF_SG_E_clIS8_S8_S9_S9_EESD_ST_SE_SF_SG_EUlST_E_NS1_11comp_targetILNS1_3genE3ELNS1_11target_archE908ELNS1_3gpuE7ELNS1_3repE0EEENS1_48merge_mergepath_partition_config_static_selectorELNS0_4arch9wavefront6targetE1EEEvSF_,"axG",@progbits,_ZN7rocprim17ROCPRIM_400000_NS6detail17trampoline_kernelINS0_14default_configENS1_38merge_sort_block_merge_config_selectorIyNS0_10empty_typeEEEZZNS1_27merge_sort_block_merge_implIS3_PyPS5_jNS1_19radix_merge_compareILb1ELb1EyNS0_19identity_decomposerEEEEE10hipError_tT0_T1_T2_jT3_P12ihipStream_tbPNSt15iterator_traitsISE_E10value_typeEPNSK_ISF_E10value_typeEPSG_NS1_7vsmem_tEENKUlT_SE_SF_SG_E_clIS8_S8_S9_S9_EESD_ST_SE_SF_SG_EUlST_E_NS1_11comp_targetILNS1_3genE3ELNS1_11target_archE908ELNS1_3gpuE7ELNS1_3repE0EEENS1_48merge_mergepath_partition_config_static_selectorELNS0_4arch9wavefront6targetE1EEEvSF_,comdat
	.protected	_ZN7rocprim17ROCPRIM_400000_NS6detail17trampoline_kernelINS0_14default_configENS1_38merge_sort_block_merge_config_selectorIyNS0_10empty_typeEEEZZNS1_27merge_sort_block_merge_implIS3_PyPS5_jNS1_19radix_merge_compareILb1ELb1EyNS0_19identity_decomposerEEEEE10hipError_tT0_T1_T2_jT3_P12ihipStream_tbPNSt15iterator_traitsISE_E10value_typeEPNSK_ISF_E10value_typeEPSG_NS1_7vsmem_tEENKUlT_SE_SF_SG_E_clIS8_S8_S9_S9_EESD_ST_SE_SF_SG_EUlST_E_NS1_11comp_targetILNS1_3genE3ELNS1_11target_archE908ELNS1_3gpuE7ELNS1_3repE0EEENS1_48merge_mergepath_partition_config_static_selectorELNS0_4arch9wavefront6targetE1EEEvSF_ ; -- Begin function _ZN7rocprim17ROCPRIM_400000_NS6detail17trampoline_kernelINS0_14default_configENS1_38merge_sort_block_merge_config_selectorIyNS0_10empty_typeEEEZZNS1_27merge_sort_block_merge_implIS3_PyPS5_jNS1_19radix_merge_compareILb1ELb1EyNS0_19identity_decomposerEEEEE10hipError_tT0_T1_T2_jT3_P12ihipStream_tbPNSt15iterator_traitsISE_E10value_typeEPNSK_ISF_E10value_typeEPSG_NS1_7vsmem_tEENKUlT_SE_SF_SG_E_clIS8_S8_S9_S9_EESD_ST_SE_SF_SG_EUlST_E_NS1_11comp_targetILNS1_3genE3ELNS1_11target_archE908ELNS1_3gpuE7ELNS1_3repE0EEENS1_48merge_mergepath_partition_config_static_selectorELNS0_4arch9wavefront6targetE1EEEvSF_
	.globl	_ZN7rocprim17ROCPRIM_400000_NS6detail17trampoline_kernelINS0_14default_configENS1_38merge_sort_block_merge_config_selectorIyNS0_10empty_typeEEEZZNS1_27merge_sort_block_merge_implIS3_PyPS5_jNS1_19radix_merge_compareILb1ELb1EyNS0_19identity_decomposerEEEEE10hipError_tT0_T1_T2_jT3_P12ihipStream_tbPNSt15iterator_traitsISE_E10value_typeEPNSK_ISF_E10value_typeEPSG_NS1_7vsmem_tEENKUlT_SE_SF_SG_E_clIS8_S8_S9_S9_EESD_ST_SE_SF_SG_EUlST_E_NS1_11comp_targetILNS1_3genE3ELNS1_11target_archE908ELNS1_3gpuE7ELNS1_3repE0EEENS1_48merge_mergepath_partition_config_static_selectorELNS0_4arch9wavefront6targetE1EEEvSF_
	.p2align	8
	.type	_ZN7rocprim17ROCPRIM_400000_NS6detail17trampoline_kernelINS0_14default_configENS1_38merge_sort_block_merge_config_selectorIyNS0_10empty_typeEEEZZNS1_27merge_sort_block_merge_implIS3_PyPS5_jNS1_19radix_merge_compareILb1ELb1EyNS0_19identity_decomposerEEEEE10hipError_tT0_T1_T2_jT3_P12ihipStream_tbPNSt15iterator_traitsISE_E10value_typeEPNSK_ISF_E10value_typeEPSG_NS1_7vsmem_tEENKUlT_SE_SF_SG_E_clIS8_S8_S9_S9_EESD_ST_SE_SF_SG_EUlST_E_NS1_11comp_targetILNS1_3genE3ELNS1_11target_archE908ELNS1_3gpuE7ELNS1_3repE0EEENS1_48merge_mergepath_partition_config_static_selectorELNS0_4arch9wavefront6targetE1EEEvSF_,@function
_ZN7rocprim17ROCPRIM_400000_NS6detail17trampoline_kernelINS0_14default_configENS1_38merge_sort_block_merge_config_selectorIyNS0_10empty_typeEEEZZNS1_27merge_sort_block_merge_implIS3_PyPS5_jNS1_19radix_merge_compareILb1ELb1EyNS0_19identity_decomposerEEEEE10hipError_tT0_T1_T2_jT3_P12ihipStream_tbPNSt15iterator_traitsISE_E10value_typeEPNSK_ISF_E10value_typeEPSG_NS1_7vsmem_tEENKUlT_SE_SF_SG_E_clIS8_S8_S9_S9_EESD_ST_SE_SF_SG_EUlST_E_NS1_11comp_targetILNS1_3genE3ELNS1_11target_archE908ELNS1_3gpuE7ELNS1_3repE0EEENS1_48merge_mergepath_partition_config_static_selectorELNS0_4arch9wavefront6targetE1EEEvSF_: ; @_ZN7rocprim17ROCPRIM_400000_NS6detail17trampoline_kernelINS0_14default_configENS1_38merge_sort_block_merge_config_selectorIyNS0_10empty_typeEEEZZNS1_27merge_sort_block_merge_implIS3_PyPS5_jNS1_19radix_merge_compareILb1ELb1EyNS0_19identity_decomposerEEEEE10hipError_tT0_T1_T2_jT3_P12ihipStream_tbPNSt15iterator_traitsISE_E10value_typeEPNSK_ISF_E10value_typeEPSG_NS1_7vsmem_tEENKUlT_SE_SF_SG_E_clIS8_S8_S9_S9_EESD_ST_SE_SF_SG_EUlST_E_NS1_11comp_targetILNS1_3genE3ELNS1_11target_archE908ELNS1_3gpuE7ELNS1_3repE0EEENS1_48merge_mergepath_partition_config_static_selectorELNS0_4arch9wavefront6targetE1EEEvSF_
; %bb.0:
	.section	.rodata,"a",@progbits
	.p2align	6, 0x0
	.amdhsa_kernel _ZN7rocprim17ROCPRIM_400000_NS6detail17trampoline_kernelINS0_14default_configENS1_38merge_sort_block_merge_config_selectorIyNS0_10empty_typeEEEZZNS1_27merge_sort_block_merge_implIS3_PyPS5_jNS1_19radix_merge_compareILb1ELb1EyNS0_19identity_decomposerEEEEE10hipError_tT0_T1_T2_jT3_P12ihipStream_tbPNSt15iterator_traitsISE_E10value_typeEPNSK_ISF_E10value_typeEPSG_NS1_7vsmem_tEENKUlT_SE_SF_SG_E_clIS8_S8_S9_S9_EESD_ST_SE_SF_SG_EUlST_E_NS1_11comp_targetILNS1_3genE3ELNS1_11target_archE908ELNS1_3gpuE7ELNS1_3repE0EEENS1_48merge_mergepath_partition_config_static_selectorELNS0_4arch9wavefront6targetE1EEEvSF_
		.amdhsa_group_segment_fixed_size 0
		.amdhsa_private_segment_fixed_size 0
		.amdhsa_kernarg_size 40
		.amdhsa_user_sgpr_count 6
		.amdhsa_user_sgpr_private_segment_buffer 1
		.amdhsa_user_sgpr_dispatch_ptr 0
		.amdhsa_user_sgpr_queue_ptr 0
		.amdhsa_user_sgpr_kernarg_segment_ptr 1
		.amdhsa_user_sgpr_dispatch_id 0
		.amdhsa_user_sgpr_flat_scratch_init 0
		.amdhsa_user_sgpr_kernarg_preload_length 0
		.amdhsa_user_sgpr_kernarg_preload_offset 0
		.amdhsa_user_sgpr_private_segment_size 0
		.amdhsa_uses_dynamic_stack 0
		.amdhsa_system_sgpr_private_segment_wavefront_offset 0
		.amdhsa_system_sgpr_workgroup_id_x 1
		.amdhsa_system_sgpr_workgroup_id_y 0
		.amdhsa_system_sgpr_workgroup_id_z 0
		.amdhsa_system_sgpr_workgroup_info 0
		.amdhsa_system_vgpr_workitem_id 0
		.amdhsa_next_free_vgpr 1
		.amdhsa_next_free_sgpr 0
		.amdhsa_accum_offset 4
		.amdhsa_reserve_vcc 0
		.amdhsa_reserve_flat_scratch 0
		.amdhsa_float_round_mode_32 0
		.amdhsa_float_round_mode_16_64 0
		.amdhsa_float_denorm_mode_32 3
		.amdhsa_float_denorm_mode_16_64 3
		.amdhsa_dx10_clamp 1
		.amdhsa_ieee_mode 1
		.amdhsa_fp16_overflow 0
		.amdhsa_tg_split 0
		.amdhsa_exception_fp_ieee_invalid_op 0
		.amdhsa_exception_fp_denorm_src 0
		.amdhsa_exception_fp_ieee_div_zero 0
		.amdhsa_exception_fp_ieee_overflow 0
		.amdhsa_exception_fp_ieee_underflow 0
		.amdhsa_exception_fp_ieee_inexact 0
		.amdhsa_exception_int_div_zero 0
	.end_amdhsa_kernel
	.section	.text._ZN7rocprim17ROCPRIM_400000_NS6detail17trampoline_kernelINS0_14default_configENS1_38merge_sort_block_merge_config_selectorIyNS0_10empty_typeEEEZZNS1_27merge_sort_block_merge_implIS3_PyPS5_jNS1_19radix_merge_compareILb1ELb1EyNS0_19identity_decomposerEEEEE10hipError_tT0_T1_T2_jT3_P12ihipStream_tbPNSt15iterator_traitsISE_E10value_typeEPNSK_ISF_E10value_typeEPSG_NS1_7vsmem_tEENKUlT_SE_SF_SG_E_clIS8_S8_S9_S9_EESD_ST_SE_SF_SG_EUlST_E_NS1_11comp_targetILNS1_3genE3ELNS1_11target_archE908ELNS1_3gpuE7ELNS1_3repE0EEENS1_48merge_mergepath_partition_config_static_selectorELNS0_4arch9wavefront6targetE1EEEvSF_,"axG",@progbits,_ZN7rocprim17ROCPRIM_400000_NS6detail17trampoline_kernelINS0_14default_configENS1_38merge_sort_block_merge_config_selectorIyNS0_10empty_typeEEEZZNS1_27merge_sort_block_merge_implIS3_PyPS5_jNS1_19radix_merge_compareILb1ELb1EyNS0_19identity_decomposerEEEEE10hipError_tT0_T1_T2_jT3_P12ihipStream_tbPNSt15iterator_traitsISE_E10value_typeEPNSK_ISF_E10value_typeEPSG_NS1_7vsmem_tEENKUlT_SE_SF_SG_E_clIS8_S8_S9_S9_EESD_ST_SE_SF_SG_EUlST_E_NS1_11comp_targetILNS1_3genE3ELNS1_11target_archE908ELNS1_3gpuE7ELNS1_3repE0EEENS1_48merge_mergepath_partition_config_static_selectorELNS0_4arch9wavefront6targetE1EEEvSF_,comdat
.Lfunc_end2439:
	.size	_ZN7rocprim17ROCPRIM_400000_NS6detail17trampoline_kernelINS0_14default_configENS1_38merge_sort_block_merge_config_selectorIyNS0_10empty_typeEEEZZNS1_27merge_sort_block_merge_implIS3_PyPS5_jNS1_19radix_merge_compareILb1ELb1EyNS0_19identity_decomposerEEEEE10hipError_tT0_T1_T2_jT3_P12ihipStream_tbPNSt15iterator_traitsISE_E10value_typeEPNSK_ISF_E10value_typeEPSG_NS1_7vsmem_tEENKUlT_SE_SF_SG_E_clIS8_S8_S9_S9_EESD_ST_SE_SF_SG_EUlST_E_NS1_11comp_targetILNS1_3genE3ELNS1_11target_archE908ELNS1_3gpuE7ELNS1_3repE0EEENS1_48merge_mergepath_partition_config_static_selectorELNS0_4arch9wavefront6targetE1EEEvSF_, .Lfunc_end2439-_ZN7rocprim17ROCPRIM_400000_NS6detail17trampoline_kernelINS0_14default_configENS1_38merge_sort_block_merge_config_selectorIyNS0_10empty_typeEEEZZNS1_27merge_sort_block_merge_implIS3_PyPS5_jNS1_19radix_merge_compareILb1ELb1EyNS0_19identity_decomposerEEEEE10hipError_tT0_T1_T2_jT3_P12ihipStream_tbPNSt15iterator_traitsISE_E10value_typeEPNSK_ISF_E10value_typeEPSG_NS1_7vsmem_tEENKUlT_SE_SF_SG_E_clIS8_S8_S9_S9_EESD_ST_SE_SF_SG_EUlST_E_NS1_11comp_targetILNS1_3genE3ELNS1_11target_archE908ELNS1_3gpuE7ELNS1_3repE0EEENS1_48merge_mergepath_partition_config_static_selectorELNS0_4arch9wavefront6targetE1EEEvSF_
                                        ; -- End function
	.section	.AMDGPU.csdata,"",@progbits
; Kernel info:
; codeLenInByte = 0
; NumSgprs: 4
; NumVgprs: 0
; NumAgprs: 0
; TotalNumVgprs: 0
; ScratchSize: 0
; MemoryBound: 0
; FloatMode: 240
; IeeeMode: 1
; LDSByteSize: 0 bytes/workgroup (compile time only)
; SGPRBlocks: 0
; VGPRBlocks: 0
; NumSGPRsForWavesPerEU: 4
; NumVGPRsForWavesPerEU: 1
; AccumOffset: 4
; Occupancy: 8
; WaveLimiterHint : 0
; COMPUTE_PGM_RSRC2:SCRATCH_EN: 0
; COMPUTE_PGM_RSRC2:USER_SGPR: 6
; COMPUTE_PGM_RSRC2:TRAP_HANDLER: 0
; COMPUTE_PGM_RSRC2:TGID_X_EN: 1
; COMPUTE_PGM_RSRC2:TGID_Y_EN: 0
; COMPUTE_PGM_RSRC2:TGID_Z_EN: 0
; COMPUTE_PGM_RSRC2:TIDIG_COMP_CNT: 0
; COMPUTE_PGM_RSRC3_GFX90A:ACCUM_OFFSET: 0
; COMPUTE_PGM_RSRC3_GFX90A:TG_SPLIT: 0
	.section	.text._ZN7rocprim17ROCPRIM_400000_NS6detail17trampoline_kernelINS0_14default_configENS1_38merge_sort_block_merge_config_selectorIyNS0_10empty_typeEEEZZNS1_27merge_sort_block_merge_implIS3_PyPS5_jNS1_19radix_merge_compareILb1ELb1EyNS0_19identity_decomposerEEEEE10hipError_tT0_T1_T2_jT3_P12ihipStream_tbPNSt15iterator_traitsISE_E10value_typeEPNSK_ISF_E10value_typeEPSG_NS1_7vsmem_tEENKUlT_SE_SF_SG_E_clIS8_S8_S9_S9_EESD_ST_SE_SF_SG_EUlST_E_NS1_11comp_targetILNS1_3genE2ELNS1_11target_archE906ELNS1_3gpuE6ELNS1_3repE0EEENS1_48merge_mergepath_partition_config_static_selectorELNS0_4arch9wavefront6targetE1EEEvSF_,"axG",@progbits,_ZN7rocprim17ROCPRIM_400000_NS6detail17trampoline_kernelINS0_14default_configENS1_38merge_sort_block_merge_config_selectorIyNS0_10empty_typeEEEZZNS1_27merge_sort_block_merge_implIS3_PyPS5_jNS1_19radix_merge_compareILb1ELb1EyNS0_19identity_decomposerEEEEE10hipError_tT0_T1_T2_jT3_P12ihipStream_tbPNSt15iterator_traitsISE_E10value_typeEPNSK_ISF_E10value_typeEPSG_NS1_7vsmem_tEENKUlT_SE_SF_SG_E_clIS8_S8_S9_S9_EESD_ST_SE_SF_SG_EUlST_E_NS1_11comp_targetILNS1_3genE2ELNS1_11target_archE906ELNS1_3gpuE6ELNS1_3repE0EEENS1_48merge_mergepath_partition_config_static_selectorELNS0_4arch9wavefront6targetE1EEEvSF_,comdat
	.protected	_ZN7rocprim17ROCPRIM_400000_NS6detail17trampoline_kernelINS0_14default_configENS1_38merge_sort_block_merge_config_selectorIyNS0_10empty_typeEEEZZNS1_27merge_sort_block_merge_implIS3_PyPS5_jNS1_19radix_merge_compareILb1ELb1EyNS0_19identity_decomposerEEEEE10hipError_tT0_T1_T2_jT3_P12ihipStream_tbPNSt15iterator_traitsISE_E10value_typeEPNSK_ISF_E10value_typeEPSG_NS1_7vsmem_tEENKUlT_SE_SF_SG_E_clIS8_S8_S9_S9_EESD_ST_SE_SF_SG_EUlST_E_NS1_11comp_targetILNS1_3genE2ELNS1_11target_archE906ELNS1_3gpuE6ELNS1_3repE0EEENS1_48merge_mergepath_partition_config_static_selectorELNS0_4arch9wavefront6targetE1EEEvSF_ ; -- Begin function _ZN7rocprim17ROCPRIM_400000_NS6detail17trampoline_kernelINS0_14default_configENS1_38merge_sort_block_merge_config_selectorIyNS0_10empty_typeEEEZZNS1_27merge_sort_block_merge_implIS3_PyPS5_jNS1_19radix_merge_compareILb1ELb1EyNS0_19identity_decomposerEEEEE10hipError_tT0_T1_T2_jT3_P12ihipStream_tbPNSt15iterator_traitsISE_E10value_typeEPNSK_ISF_E10value_typeEPSG_NS1_7vsmem_tEENKUlT_SE_SF_SG_E_clIS8_S8_S9_S9_EESD_ST_SE_SF_SG_EUlST_E_NS1_11comp_targetILNS1_3genE2ELNS1_11target_archE906ELNS1_3gpuE6ELNS1_3repE0EEENS1_48merge_mergepath_partition_config_static_selectorELNS0_4arch9wavefront6targetE1EEEvSF_
	.globl	_ZN7rocprim17ROCPRIM_400000_NS6detail17trampoline_kernelINS0_14default_configENS1_38merge_sort_block_merge_config_selectorIyNS0_10empty_typeEEEZZNS1_27merge_sort_block_merge_implIS3_PyPS5_jNS1_19radix_merge_compareILb1ELb1EyNS0_19identity_decomposerEEEEE10hipError_tT0_T1_T2_jT3_P12ihipStream_tbPNSt15iterator_traitsISE_E10value_typeEPNSK_ISF_E10value_typeEPSG_NS1_7vsmem_tEENKUlT_SE_SF_SG_E_clIS8_S8_S9_S9_EESD_ST_SE_SF_SG_EUlST_E_NS1_11comp_targetILNS1_3genE2ELNS1_11target_archE906ELNS1_3gpuE6ELNS1_3repE0EEENS1_48merge_mergepath_partition_config_static_selectorELNS0_4arch9wavefront6targetE1EEEvSF_
	.p2align	8
	.type	_ZN7rocprim17ROCPRIM_400000_NS6detail17trampoline_kernelINS0_14default_configENS1_38merge_sort_block_merge_config_selectorIyNS0_10empty_typeEEEZZNS1_27merge_sort_block_merge_implIS3_PyPS5_jNS1_19radix_merge_compareILb1ELb1EyNS0_19identity_decomposerEEEEE10hipError_tT0_T1_T2_jT3_P12ihipStream_tbPNSt15iterator_traitsISE_E10value_typeEPNSK_ISF_E10value_typeEPSG_NS1_7vsmem_tEENKUlT_SE_SF_SG_E_clIS8_S8_S9_S9_EESD_ST_SE_SF_SG_EUlST_E_NS1_11comp_targetILNS1_3genE2ELNS1_11target_archE906ELNS1_3gpuE6ELNS1_3repE0EEENS1_48merge_mergepath_partition_config_static_selectorELNS0_4arch9wavefront6targetE1EEEvSF_,@function
_ZN7rocprim17ROCPRIM_400000_NS6detail17trampoline_kernelINS0_14default_configENS1_38merge_sort_block_merge_config_selectorIyNS0_10empty_typeEEEZZNS1_27merge_sort_block_merge_implIS3_PyPS5_jNS1_19radix_merge_compareILb1ELb1EyNS0_19identity_decomposerEEEEE10hipError_tT0_T1_T2_jT3_P12ihipStream_tbPNSt15iterator_traitsISE_E10value_typeEPNSK_ISF_E10value_typeEPSG_NS1_7vsmem_tEENKUlT_SE_SF_SG_E_clIS8_S8_S9_S9_EESD_ST_SE_SF_SG_EUlST_E_NS1_11comp_targetILNS1_3genE2ELNS1_11target_archE906ELNS1_3gpuE6ELNS1_3repE0EEENS1_48merge_mergepath_partition_config_static_selectorELNS0_4arch9wavefront6targetE1EEEvSF_: ; @_ZN7rocprim17ROCPRIM_400000_NS6detail17trampoline_kernelINS0_14default_configENS1_38merge_sort_block_merge_config_selectorIyNS0_10empty_typeEEEZZNS1_27merge_sort_block_merge_implIS3_PyPS5_jNS1_19radix_merge_compareILb1ELb1EyNS0_19identity_decomposerEEEEE10hipError_tT0_T1_T2_jT3_P12ihipStream_tbPNSt15iterator_traitsISE_E10value_typeEPNSK_ISF_E10value_typeEPSG_NS1_7vsmem_tEENKUlT_SE_SF_SG_E_clIS8_S8_S9_S9_EESD_ST_SE_SF_SG_EUlST_E_NS1_11comp_targetILNS1_3genE2ELNS1_11target_archE906ELNS1_3gpuE6ELNS1_3repE0EEENS1_48merge_mergepath_partition_config_static_selectorELNS0_4arch9wavefront6targetE1EEEvSF_
; %bb.0:
	.section	.rodata,"a",@progbits
	.p2align	6, 0x0
	.amdhsa_kernel _ZN7rocprim17ROCPRIM_400000_NS6detail17trampoline_kernelINS0_14default_configENS1_38merge_sort_block_merge_config_selectorIyNS0_10empty_typeEEEZZNS1_27merge_sort_block_merge_implIS3_PyPS5_jNS1_19radix_merge_compareILb1ELb1EyNS0_19identity_decomposerEEEEE10hipError_tT0_T1_T2_jT3_P12ihipStream_tbPNSt15iterator_traitsISE_E10value_typeEPNSK_ISF_E10value_typeEPSG_NS1_7vsmem_tEENKUlT_SE_SF_SG_E_clIS8_S8_S9_S9_EESD_ST_SE_SF_SG_EUlST_E_NS1_11comp_targetILNS1_3genE2ELNS1_11target_archE906ELNS1_3gpuE6ELNS1_3repE0EEENS1_48merge_mergepath_partition_config_static_selectorELNS0_4arch9wavefront6targetE1EEEvSF_
		.amdhsa_group_segment_fixed_size 0
		.amdhsa_private_segment_fixed_size 0
		.amdhsa_kernarg_size 40
		.amdhsa_user_sgpr_count 6
		.amdhsa_user_sgpr_private_segment_buffer 1
		.amdhsa_user_sgpr_dispatch_ptr 0
		.amdhsa_user_sgpr_queue_ptr 0
		.amdhsa_user_sgpr_kernarg_segment_ptr 1
		.amdhsa_user_sgpr_dispatch_id 0
		.amdhsa_user_sgpr_flat_scratch_init 0
		.amdhsa_user_sgpr_kernarg_preload_length 0
		.amdhsa_user_sgpr_kernarg_preload_offset 0
		.amdhsa_user_sgpr_private_segment_size 0
		.amdhsa_uses_dynamic_stack 0
		.amdhsa_system_sgpr_private_segment_wavefront_offset 0
		.amdhsa_system_sgpr_workgroup_id_x 1
		.amdhsa_system_sgpr_workgroup_id_y 0
		.amdhsa_system_sgpr_workgroup_id_z 0
		.amdhsa_system_sgpr_workgroup_info 0
		.amdhsa_system_vgpr_workitem_id 0
		.amdhsa_next_free_vgpr 1
		.amdhsa_next_free_sgpr 0
		.amdhsa_accum_offset 4
		.amdhsa_reserve_vcc 0
		.amdhsa_reserve_flat_scratch 0
		.amdhsa_float_round_mode_32 0
		.amdhsa_float_round_mode_16_64 0
		.amdhsa_float_denorm_mode_32 3
		.amdhsa_float_denorm_mode_16_64 3
		.amdhsa_dx10_clamp 1
		.amdhsa_ieee_mode 1
		.amdhsa_fp16_overflow 0
		.amdhsa_tg_split 0
		.amdhsa_exception_fp_ieee_invalid_op 0
		.amdhsa_exception_fp_denorm_src 0
		.amdhsa_exception_fp_ieee_div_zero 0
		.amdhsa_exception_fp_ieee_overflow 0
		.amdhsa_exception_fp_ieee_underflow 0
		.amdhsa_exception_fp_ieee_inexact 0
		.amdhsa_exception_int_div_zero 0
	.end_amdhsa_kernel
	.section	.text._ZN7rocprim17ROCPRIM_400000_NS6detail17trampoline_kernelINS0_14default_configENS1_38merge_sort_block_merge_config_selectorIyNS0_10empty_typeEEEZZNS1_27merge_sort_block_merge_implIS3_PyPS5_jNS1_19radix_merge_compareILb1ELb1EyNS0_19identity_decomposerEEEEE10hipError_tT0_T1_T2_jT3_P12ihipStream_tbPNSt15iterator_traitsISE_E10value_typeEPNSK_ISF_E10value_typeEPSG_NS1_7vsmem_tEENKUlT_SE_SF_SG_E_clIS8_S8_S9_S9_EESD_ST_SE_SF_SG_EUlST_E_NS1_11comp_targetILNS1_3genE2ELNS1_11target_archE906ELNS1_3gpuE6ELNS1_3repE0EEENS1_48merge_mergepath_partition_config_static_selectorELNS0_4arch9wavefront6targetE1EEEvSF_,"axG",@progbits,_ZN7rocprim17ROCPRIM_400000_NS6detail17trampoline_kernelINS0_14default_configENS1_38merge_sort_block_merge_config_selectorIyNS0_10empty_typeEEEZZNS1_27merge_sort_block_merge_implIS3_PyPS5_jNS1_19radix_merge_compareILb1ELb1EyNS0_19identity_decomposerEEEEE10hipError_tT0_T1_T2_jT3_P12ihipStream_tbPNSt15iterator_traitsISE_E10value_typeEPNSK_ISF_E10value_typeEPSG_NS1_7vsmem_tEENKUlT_SE_SF_SG_E_clIS8_S8_S9_S9_EESD_ST_SE_SF_SG_EUlST_E_NS1_11comp_targetILNS1_3genE2ELNS1_11target_archE906ELNS1_3gpuE6ELNS1_3repE0EEENS1_48merge_mergepath_partition_config_static_selectorELNS0_4arch9wavefront6targetE1EEEvSF_,comdat
.Lfunc_end2440:
	.size	_ZN7rocprim17ROCPRIM_400000_NS6detail17trampoline_kernelINS0_14default_configENS1_38merge_sort_block_merge_config_selectorIyNS0_10empty_typeEEEZZNS1_27merge_sort_block_merge_implIS3_PyPS5_jNS1_19radix_merge_compareILb1ELb1EyNS0_19identity_decomposerEEEEE10hipError_tT0_T1_T2_jT3_P12ihipStream_tbPNSt15iterator_traitsISE_E10value_typeEPNSK_ISF_E10value_typeEPSG_NS1_7vsmem_tEENKUlT_SE_SF_SG_E_clIS8_S8_S9_S9_EESD_ST_SE_SF_SG_EUlST_E_NS1_11comp_targetILNS1_3genE2ELNS1_11target_archE906ELNS1_3gpuE6ELNS1_3repE0EEENS1_48merge_mergepath_partition_config_static_selectorELNS0_4arch9wavefront6targetE1EEEvSF_, .Lfunc_end2440-_ZN7rocprim17ROCPRIM_400000_NS6detail17trampoline_kernelINS0_14default_configENS1_38merge_sort_block_merge_config_selectorIyNS0_10empty_typeEEEZZNS1_27merge_sort_block_merge_implIS3_PyPS5_jNS1_19radix_merge_compareILb1ELb1EyNS0_19identity_decomposerEEEEE10hipError_tT0_T1_T2_jT3_P12ihipStream_tbPNSt15iterator_traitsISE_E10value_typeEPNSK_ISF_E10value_typeEPSG_NS1_7vsmem_tEENKUlT_SE_SF_SG_E_clIS8_S8_S9_S9_EESD_ST_SE_SF_SG_EUlST_E_NS1_11comp_targetILNS1_3genE2ELNS1_11target_archE906ELNS1_3gpuE6ELNS1_3repE0EEENS1_48merge_mergepath_partition_config_static_selectorELNS0_4arch9wavefront6targetE1EEEvSF_
                                        ; -- End function
	.section	.AMDGPU.csdata,"",@progbits
; Kernel info:
; codeLenInByte = 0
; NumSgprs: 4
; NumVgprs: 0
; NumAgprs: 0
; TotalNumVgprs: 0
; ScratchSize: 0
; MemoryBound: 0
; FloatMode: 240
; IeeeMode: 1
; LDSByteSize: 0 bytes/workgroup (compile time only)
; SGPRBlocks: 0
; VGPRBlocks: 0
; NumSGPRsForWavesPerEU: 4
; NumVGPRsForWavesPerEU: 1
; AccumOffset: 4
; Occupancy: 8
; WaveLimiterHint : 0
; COMPUTE_PGM_RSRC2:SCRATCH_EN: 0
; COMPUTE_PGM_RSRC2:USER_SGPR: 6
; COMPUTE_PGM_RSRC2:TRAP_HANDLER: 0
; COMPUTE_PGM_RSRC2:TGID_X_EN: 1
; COMPUTE_PGM_RSRC2:TGID_Y_EN: 0
; COMPUTE_PGM_RSRC2:TGID_Z_EN: 0
; COMPUTE_PGM_RSRC2:TIDIG_COMP_CNT: 0
; COMPUTE_PGM_RSRC3_GFX90A:ACCUM_OFFSET: 0
; COMPUTE_PGM_RSRC3_GFX90A:TG_SPLIT: 0
	.section	.text._ZN7rocprim17ROCPRIM_400000_NS6detail17trampoline_kernelINS0_14default_configENS1_38merge_sort_block_merge_config_selectorIyNS0_10empty_typeEEEZZNS1_27merge_sort_block_merge_implIS3_PyPS5_jNS1_19radix_merge_compareILb1ELb1EyNS0_19identity_decomposerEEEEE10hipError_tT0_T1_T2_jT3_P12ihipStream_tbPNSt15iterator_traitsISE_E10value_typeEPNSK_ISF_E10value_typeEPSG_NS1_7vsmem_tEENKUlT_SE_SF_SG_E_clIS8_S8_S9_S9_EESD_ST_SE_SF_SG_EUlST_E_NS1_11comp_targetILNS1_3genE9ELNS1_11target_archE1100ELNS1_3gpuE3ELNS1_3repE0EEENS1_48merge_mergepath_partition_config_static_selectorELNS0_4arch9wavefront6targetE1EEEvSF_,"axG",@progbits,_ZN7rocprim17ROCPRIM_400000_NS6detail17trampoline_kernelINS0_14default_configENS1_38merge_sort_block_merge_config_selectorIyNS0_10empty_typeEEEZZNS1_27merge_sort_block_merge_implIS3_PyPS5_jNS1_19radix_merge_compareILb1ELb1EyNS0_19identity_decomposerEEEEE10hipError_tT0_T1_T2_jT3_P12ihipStream_tbPNSt15iterator_traitsISE_E10value_typeEPNSK_ISF_E10value_typeEPSG_NS1_7vsmem_tEENKUlT_SE_SF_SG_E_clIS8_S8_S9_S9_EESD_ST_SE_SF_SG_EUlST_E_NS1_11comp_targetILNS1_3genE9ELNS1_11target_archE1100ELNS1_3gpuE3ELNS1_3repE0EEENS1_48merge_mergepath_partition_config_static_selectorELNS0_4arch9wavefront6targetE1EEEvSF_,comdat
	.protected	_ZN7rocprim17ROCPRIM_400000_NS6detail17trampoline_kernelINS0_14default_configENS1_38merge_sort_block_merge_config_selectorIyNS0_10empty_typeEEEZZNS1_27merge_sort_block_merge_implIS3_PyPS5_jNS1_19radix_merge_compareILb1ELb1EyNS0_19identity_decomposerEEEEE10hipError_tT0_T1_T2_jT3_P12ihipStream_tbPNSt15iterator_traitsISE_E10value_typeEPNSK_ISF_E10value_typeEPSG_NS1_7vsmem_tEENKUlT_SE_SF_SG_E_clIS8_S8_S9_S9_EESD_ST_SE_SF_SG_EUlST_E_NS1_11comp_targetILNS1_3genE9ELNS1_11target_archE1100ELNS1_3gpuE3ELNS1_3repE0EEENS1_48merge_mergepath_partition_config_static_selectorELNS0_4arch9wavefront6targetE1EEEvSF_ ; -- Begin function _ZN7rocprim17ROCPRIM_400000_NS6detail17trampoline_kernelINS0_14default_configENS1_38merge_sort_block_merge_config_selectorIyNS0_10empty_typeEEEZZNS1_27merge_sort_block_merge_implIS3_PyPS5_jNS1_19radix_merge_compareILb1ELb1EyNS0_19identity_decomposerEEEEE10hipError_tT0_T1_T2_jT3_P12ihipStream_tbPNSt15iterator_traitsISE_E10value_typeEPNSK_ISF_E10value_typeEPSG_NS1_7vsmem_tEENKUlT_SE_SF_SG_E_clIS8_S8_S9_S9_EESD_ST_SE_SF_SG_EUlST_E_NS1_11comp_targetILNS1_3genE9ELNS1_11target_archE1100ELNS1_3gpuE3ELNS1_3repE0EEENS1_48merge_mergepath_partition_config_static_selectorELNS0_4arch9wavefront6targetE1EEEvSF_
	.globl	_ZN7rocprim17ROCPRIM_400000_NS6detail17trampoline_kernelINS0_14default_configENS1_38merge_sort_block_merge_config_selectorIyNS0_10empty_typeEEEZZNS1_27merge_sort_block_merge_implIS3_PyPS5_jNS1_19radix_merge_compareILb1ELb1EyNS0_19identity_decomposerEEEEE10hipError_tT0_T1_T2_jT3_P12ihipStream_tbPNSt15iterator_traitsISE_E10value_typeEPNSK_ISF_E10value_typeEPSG_NS1_7vsmem_tEENKUlT_SE_SF_SG_E_clIS8_S8_S9_S9_EESD_ST_SE_SF_SG_EUlST_E_NS1_11comp_targetILNS1_3genE9ELNS1_11target_archE1100ELNS1_3gpuE3ELNS1_3repE0EEENS1_48merge_mergepath_partition_config_static_selectorELNS0_4arch9wavefront6targetE1EEEvSF_
	.p2align	8
	.type	_ZN7rocprim17ROCPRIM_400000_NS6detail17trampoline_kernelINS0_14default_configENS1_38merge_sort_block_merge_config_selectorIyNS0_10empty_typeEEEZZNS1_27merge_sort_block_merge_implIS3_PyPS5_jNS1_19radix_merge_compareILb1ELb1EyNS0_19identity_decomposerEEEEE10hipError_tT0_T1_T2_jT3_P12ihipStream_tbPNSt15iterator_traitsISE_E10value_typeEPNSK_ISF_E10value_typeEPSG_NS1_7vsmem_tEENKUlT_SE_SF_SG_E_clIS8_S8_S9_S9_EESD_ST_SE_SF_SG_EUlST_E_NS1_11comp_targetILNS1_3genE9ELNS1_11target_archE1100ELNS1_3gpuE3ELNS1_3repE0EEENS1_48merge_mergepath_partition_config_static_selectorELNS0_4arch9wavefront6targetE1EEEvSF_,@function
_ZN7rocprim17ROCPRIM_400000_NS6detail17trampoline_kernelINS0_14default_configENS1_38merge_sort_block_merge_config_selectorIyNS0_10empty_typeEEEZZNS1_27merge_sort_block_merge_implIS3_PyPS5_jNS1_19radix_merge_compareILb1ELb1EyNS0_19identity_decomposerEEEEE10hipError_tT0_T1_T2_jT3_P12ihipStream_tbPNSt15iterator_traitsISE_E10value_typeEPNSK_ISF_E10value_typeEPSG_NS1_7vsmem_tEENKUlT_SE_SF_SG_E_clIS8_S8_S9_S9_EESD_ST_SE_SF_SG_EUlST_E_NS1_11comp_targetILNS1_3genE9ELNS1_11target_archE1100ELNS1_3gpuE3ELNS1_3repE0EEENS1_48merge_mergepath_partition_config_static_selectorELNS0_4arch9wavefront6targetE1EEEvSF_: ; @_ZN7rocprim17ROCPRIM_400000_NS6detail17trampoline_kernelINS0_14default_configENS1_38merge_sort_block_merge_config_selectorIyNS0_10empty_typeEEEZZNS1_27merge_sort_block_merge_implIS3_PyPS5_jNS1_19radix_merge_compareILb1ELb1EyNS0_19identity_decomposerEEEEE10hipError_tT0_T1_T2_jT3_P12ihipStream_tbPNSt15iterator_traitsISE_E10value_typeEPNSK_ISF_E10value_typeEPSG_NS1_7vsmem_tEENKUlT_SE_SF_SG_E_clIS8_S8_S9_S9_EESD_ST_SE_SF_SG_EUlST_E_NS1_11comp_targetILNS1_3genE9ELNS1_11target_archE1100ELNS1_3gpuE3ELNS1_3repE0EEENS1_48merge_mergepath_partition_config_static_selectorELNS0_4arch9wavefront6targetE1EEEvSF_
; %bb.0:
	.section	.rodata,"a",@progbits
	.p2align	6, 0x0
	.amdhsa_kernel _ZN7rocprim17ROCPRIM_400000_NS6detail17trampoline_kernelINS0_14default_configENS1_38merge_sort_block_merge_config_selectorIyNS0_10empty_typeEEEZZNS1_27merge_sort_block_merge_implIS3_PyPS5_jNS1_19radix_merge_compareILb1ELb1EyNS0_19identity_decomposerEEEEE10hipError_tT0_T1_T2_jT3_P12ihipStream_tbPNSt15iterator_traitsISE_E10value_typeEPNSK_ISF_E10value_typeEPSG_NS1_7vsmem_tEENKUlT_SE_SF_SG_E_clIS8_S8_S9_S9_EESD_ST_SE_SF_SG_EUlST_E_NS1_11comp_targetILNS1_3genE9ELNS1_11target_archE1100ELNS1_3gpuE3ELNS1_3repE0EEENS1_48merge_mergepath_partition_config_static_selectorELNS0_4arch9wavefront6targetE1EEEvSF_
		.amdhsa_group_segment_fixed_size 0
		.amdhsa_private_segment_fixed_size 0
		.amdhsa_kernarg_size 40
		.amdhsa_user_sgpr_count 6
		.amdhsa_user_sgpr_private_segment_buffer 1
		.amdhsa_user_sgpr_dispatch_ptr 0
		.amdhsa_user_sgpr_queue_ptr 0
		.amdhsa_user_sgpr_kernarg_segment_ptr 1
		.amdhsa_user_sgpr_dispatch_id 0
		.amdhsa_user_sgpr_flat_scratch_init 0
		.amdhsa_user_sgpr_kernarg_preload_length 0
		.amdhsa_user_sgpr_kernarg_preload_offset 0
		.amdhsa_user_sgpr_private_segment_size 0
		.amdhsa_uses_dynamic_stack 0
		.amdhsa_system_sgpr_private_segment_wavefront_offset 0
		.amdhsa_system_sgpr_workgroup_id_x 1
		.amdhsa_system_sgpr_workgroup_id_y 0
		.amdhsa_system_sgpr_workgroup_id_z 0
		.amdhsa_system_sgpr_workgroup_info 0
		.amdhsa_system_vgpr_workitem_id 0
		.amdhsa_next_free_vgpr 1
		.amdhsa_next_free_sgpr 0
		.amdhsa_accum_offset 4
		.amdhsa_reserve_vcc 0
		.amdhsa_reserve_flat_scratch 0
		.amdhsa_float_round_mode_32 0
		.amdhsa_float_round_mode_16_64 0
		.amdhsa_float_denorm_mode_32 3
		.amdhsa_float_denorm_mode_16_64 3
		.amdhsa_dx10_clamp 1
		.amdhsa_ieee_mode 1
		.amdhsa_fp16_overflow 0
		.amdhsa_tg_split 0
		.amdhsa_exception_fp_ieee_invalid_op 0
		.amdhsa_exception_fp_denorm_src 0
		.amdhsa_exception_fp_ieee_div_zero 0
		.amdhsa_exception_fp_ieee_overflow 0
		.amdhsa_exception_fp_ieee_underflow 0
		.amdhsa_exception_fp_ieee_inexact 0
		.amdhsa_exception_int_div_zero 0
	.end_amdhsa_kernel
	.section	.text._ZN7rocprim17ROCPRIM_400000_NS6detail17trampoline_kernelINS0_14default_configENS1_38merge_sort_block_merge_config_selectorIyNS0_10empty_typeEEEZZNS1_27merge_sort_block_merge_implIS3_PyPS5_jNS1_19radix_merge_compareILb1ELb1EyNS0_19identity_decomposerEEEEE10hipError_tT0_T1_T2_jT3_P12ihipStream_tbPNSt15iterator_traitsISE_E10value_typeEPNSK_ISF_E10value_typeEPSG_NS1_7vsmem_tEENKUlT_SE_SF_SG_E_clIS8_S8_S9_S9_EESD_ST_SE_SF_SG_EUlST_E_NS1_11comp_targetILNS1_3genE9ELNS1_11target_archE1100ELNS1_3gpuE3ELNS1_3repE0EEENS1_48merge_mergepath_partition_config_static_selectorELNS0_4arch9wavefront6targetE1EEEvSF_,"axG",@progbits,_ZN7rocprim17ROCPRIM_400000_NS6detail17trampoline_kernelINS0_14default_configENS1_38merge_sort_block_merge_config_selectorIyNS0_10empty_typeEEEZZNS1_27merge_sort_block_merge_implIS3_PyPS5_jNS1_19radix_merge_compareILb1ELb1EyNS0_19identity_decomposerEEEEE10hipError_tT0_T1_T2_jT3_P12ihipStream_tbPNSt15iterator_traitsISE_E10value_typeEPNSK_ISF_E10value_typeEPSG_NS1_7vsmem_tEENKUlT_SE_SF_SG_E_clIS8_S8_S9_S9_EESD_ST_SE_SF_SG_EUlST_E_NS1_11comp_targetILNS1_3genE9ELNS1_11target_archE1100ELNS1_3gpuE3ELNS1_3repE0EEENS1_48merge_mergepath_partition_config_static_selectorELNS0_4arch9wavefront6targetE1EEEvSF_,comdat
.Lfunc_end2441:
	.size	_ZN7rocprim17ROCPRIM_400000_NS6detail17trampoline_kernelINS0_14default_configENS1_38merge_sort_block_merge_config_selectorIyNS0_10empty_typeEEEZZNS1_27merge_sort_block_merge_implIS3_PyPS5_jNS1_19radix_merge_compareILb1ELb1EyNS0_19identity_decomposerEEEEE10hipError_tT0_T1_T2_jT3_P12ihipStream_tbPNSt15iterator_traitsISE_E10value_typeEPNSK_ISF_E10value_typeEPSG_NS1_7vsmem_tEENKUlT_SE_SF_SG_E_clIS8_S8_S9_S9_EESD_ST_SE_SF_SG_EUlST_E_NS1_11comp_targetILNS1_3genE9ELNS1_11target_archE1100ELNS1_3gpuE3ELNS1_3repE0EEENS1_48merge_mergepath_partition_config_static_selectorELNS0_4arch9wavefront6targetE1EEEvSF_, .Lfunc_end2441-_ZN7rocprim17ROCPRIM_400000_NS6detail17trampoline_kernelINS0_14default_configENS1_38merge_sort_block_merge_config_selectorIyNS0_10empty_typeEEEZZNS1_27merge_sort_block_merge_implIS3_PyPS5_jNS1_19radix_merge_compareILb1ELb1EyNS0_19identity_decomposerEEEEE10hipError_tT0_T1_T2_jT3_P12ihipStream_tbPNSt15iterator_traitsISE_E10value_typeEPNSK_ISF_E10value_typeEPSG_NS1_7vsmem_tEENKUlT_SE_SF_SG_E_clIS8_S8_S9_S9_EESD_ST_SE_SF_SG_EUlST_E_NS1_11comp_targetILNS1_3genE9ELNS1_11target_archE1100ELNS1_3gpuE3ELNS1_3repE0EEENS1_48merge_mergepath_partition_config_static_selectorELNS0_4arch9wavefront6targetE1EEEvSF_
                                        ; -- End function
	.section	.AMDGPU.csdata,"",@progbits
; Kernel info:
; codeLenInByte = 0
; NumSgprs: 4
; NumVgprs: 0
; NumAgprs: 0
; TotalNumVgprs: 0
; ScratchSize: 0
; MemoryBound: 0
; FloatMode: 240
; IeeeMode: 1
; LDSByteSize: 0 bytes/workgroup (compile time only)
; SGPRBlocks: 0
; VGPRBlocks: 0
; NumSGPRsForWavesPerEU: 4
; NumVGPRsForWavesPerEU: 1
; AccumOffset: 4
; Occupancy: 8
; WaveLimiterHint : 0
; COMPUTE_PGM_RSRC2:SCRATCH_EN: 0
; COMPUTE_PGM_RSRC2:USER_SGPR: 6
; COMPUTE_PGM_RSRC2:TRAP_HANDLER: 0
; COMPUTE_PGM_RSRC2:TGID_X_EN: 1
; COMPUTE_PGM_RSRC2:TGID_Y_EN: 0
; COMPUTE_PGM_RSRC2:TGID_Z_EN: 0
; COMPUTE_PGM_RSRC2:TIDIG_COMP_CNT: 0
; COMPUTE_PGM_RSRC3_GFX90A:ACCUM_OFFSET: 0
; COMPUTE_PGM_RSRC3_GFX90A:TG_SPLIT: 0
	.section	.text._ZN7rocprim17ROCPRIM_400000_NS6detail17trampoline_kernelINS0_14default_configENS1_38merge_sort_block_merge_config_selectorIyNS0_10empty_typeEEEZZNS1_27merge_sort_block_merge_implIS3_PyPS5_jNS1_19radix_merge_compareILb1ELb1EyNS0_19identity_decomposerEEEEE10hipError_tT0_T1_T2_jT3_P12ihipStream_tbPNSt15iterator_traitsISE_E10value_typeEPNSK_ISF_E10value_typeEPSG_NS1_7vsmem_tEENKUlT_SE_SF_SG_E_clIS8_S8_S9_S9_EESD_ST_SE_SF_SG_EUlST_E_NS1_11comp_targetILNS1_3genE8ELNS1_11target_archE1030ELNS1_3gpuE2ELNS1_3repE0EEENS1_48merge_mergepath_partition_config_static_selectorELNS0_4arch9wavefront6targetE1EEEvSF_,"axG",@progbits,_ZN7rocprim17ROCPRIM_400000_NS6detail17trampoline_kernelINS0_14default_configENS1_38merge_sort_block_merge_config_selectorIyNS0_10empty_typeEEEZZNS1_27merge_sort_block_merge_implIS3_PyPS5_jNS1_19radix_merge_compareILb1ELb1EyNS0_19identity_decomposerEEEEE10hipError_tT0_T1_T2_jT3_P12ihipStream_tbPNSt15iterator_traitsISE_E10value_typeEPNSK_ISF_E10value_typeEPSG_NS1_7vsmem_tEENKUlT_SE_SF_SG_E_clIS8_S8_S9_S9_EESD_ST_SE_SF_SG_EUlST_E_NS1_11comp_targetILNS1_3genE8ELNS1_11target_archE1030ELNS1_3gpuE2ELNS1_3repE0EEENS1_48merge_mergepath_partition_config_static_selectorELNS0_4arch9wavefront6targetE1EEEvSF_,comdat
	.protected	_ZN7rocprim17ROCPRIM_400000_NS6detail17trampoline_kernelINS0_14default_configENS1_38merge_sort_block_merge_config_selectorIyNS0_10empty_typeEEEZZNS1_27merge_sort_block_merge_implIS3_PyPS5_jNS1_19radix_merge_compareILb1ELb1EyNS0_19identity_decomposerEEEEE10hipError_tT0_T1_T2_jT3_P12ihipStream_tbPNSt15iterator_traitsISE_E10value_typeEPNSK_ISF_E10value_typeEPSG_NS1_7vsmem_tEENKUlT_SE_SF_SG_E_clIS8_S8_S9_S9_EESD_ST_SE_SF_SG_EUlST_E_NS1_11comp_targetILNS1_3genE8ELNS1_11target_archE1030ELNS1_3gpuE2ELNS1_3repE0EEENS1_48merge_mergepath_partition_config_static_selectorELNS0_4arch9wavefront6targetE1EEEvSF_ ; -- Begin function _ZN7rocprim17ROCPRIM_400000_NS6detail17trampoline_kernelINS0_14default_configENS1_38merge_sort_block_merge_config_selectorIyNS0_10empty_typeEEEZZNS1_27merge_sort_block_merge_implIS3_PyPS5_jNS1_19radix_merge_compareILb1ELb1EyNS0_19identity_decomposerEEEEE10hipError_tT0_T1_T2_jT3_P12ihipStream_tbPNSt15iterator_traitsISE_E10value_typeEPNSK_ISF_E10value_typeEPSG_NS1_7vsmem_tEENKUlT_SE_SF_SG_E_clIS8_S8_S9_S9_EESD_ST_SE_SF_SG_EUlST_E_NS1_11comp_targetILNS1_3genE8ELNS1_11target_archE1030ELNS1_3gpuE2ELNS1_3repE0EEENS1_48merge_mergepath_partition_config_static_selectorELNS0_4arch9wavefront6targetE1EEEvSF_
	.globl	_ZN7rocprim17ROCPRIM_400000_NS6detail17trampoline_kernelINS0_14default_configENS1_38merge_sort_block_merge_config_selectorIyNS0_10empty_typeEEEZZNS1_27merge_sort_block_merge_implIS3_PyPS5_jNS1_19radix_merge_compareILb1ELb1EyNS0_19identity_decomposerEEEEE10hipError_tT0_T1_T2_jT3_P12ihipStream_tbPNSt15iterator_traitsISE_E10value_typeEPNSK_ISF_E10value_typeEPSG_NS1_7vsmem_tEENKUlT_SE_SF_SG_E_clIS8_S8_S9_S9_EESD_ST_SE_SF_SG_EUlST_E_NS1_11comp_targetILNS1_3genE8ELNS1_11target_archE1030ELNS1_3gpuE2ELNS1_3repE0EEENS1_48merge_mergepath_partition_config_static_selectorELNS0_4arch9wavefront6targetE1EEEvSF_
	.p2align	8
	.type	_ZN7rocprim17ROCPRIM_400000_NS6detail17trampoline_kernelINS0_14default_configENS1_38merge_sort_block_merge_config_selectorIyNS0_10empty_typeEEEZZNS1_27merge_sort_block_merge_implIS3_PyPS5_jNS1_19radix_merge_compareILb1ELb1EyNS0_19identity_decomposerEEEEE10hipError_tT0_T1_T2_jT3_P12ihipStream_tbPNSt15iterator_traitsISE_E10value_typeEPNSK_ISF_E10value_typeEPSG_NS1_7vsmem_tEENKUlT_SE_SF_SG_E_clIS8_S8_S9_S9_EESD_ST_SE_SF_SG_EUlST_E_NS1_11comp_targetILNS1_3genE8ELNS1_11target_archE1030ELNS1_3gpuE2ELNS1_3repE0EEENS1_48merge_mergepath_partition_config_static_selectorELNS0_4arch9wavefront6targetE1EEEvSF_,@function
_ZN7rocprim17ROCPRIM_400000_NS6detail17trampoline_kernelINS0_14default_configENS1_38merge_sort_block_merge_config_selectorIyNS0_10empty_typeEEEZZNS1_27merge_sort_block_merge_implIS3_PyPS5_jNS1_19radix_merge_compareILb1ELb1EyNS0_19identity_decomposerEEEEE10hipError_tT0_T1_T2_jT3_P12ihipStream_tbPNSt15iterator_traitsISE_E10value_typeEPNSK_ISF_E10value_typeEPSG_NS1_7vsmem_tEENKUlT_SE_SF_SG_E_clIS8_S8_S9_S9_EESD_ST_SE_SF_SG_EUlST_E_NS1_11comp_targetILNS1_3genE8ELNS1_11target_archE1030ELNS1_3gpuE2ELNS1_3repE0EEENS1_48merge_mergepath_partition_config_static_selectorELNS0_4arch9wavefront6targetE1EEEvSF_: ; @_ZN7rocprim17ROCPRIM_400000_NS6detail17trampoline_kernelINS0_14default_configENS1_38merge_sort_block_merge_config_selectorIyNS0_10empty_typeEEEZZNS1_27merge_sort_block_merge_implIS3_PyPS5_jNS1_19radix_merge_compareILb1ELb1EyNS0_19identity_decomposerEEEEE10hipError_tT0_T1_T2_jT3_P12ihipStream_tbPNSt15iterator_traitsISE_E10value_typeEPNSK_ISF_E10value_typeEPSG_NS1_7vsmem_tEENKUlT_SE_SF_SG_E_clIS8_S8_S9_S9_EESD_ST_SE_SF_SG_EUlST_E_NS1_11comp_targetILNS1_3genE8ELNS1_11target_archE1030ELNS1_3gpuE2ELNS1_3repE0EEENS1_48merge_mergepath_partition_config_static_selectorELNS0_4arch9wavefront6targetE1EEEvSF_
; %bb.0:
	.section	.rodata,"a",@progbits
	.p2align	6, 0x0
	.amdhsa_kernel _ZN7rocprim17ROCPRIM_400000_NS6detail17trampoline_kernelINS0_14default_configENS1_38merge_sort_block_merge_config_selectorIyNS0_10empty_typeEEEZZNS1_27merge_sort_block_merge_implIS3_PyPS5_jNS1_19radix_merge_compareILb1ELb1EyNS0_19identity_decomposerEEEEE10hipError_tT0_T1_T2_jT3_P12ihipStream_tbPNSt15iterator_traitsISE_E10value_typeEPNSK_ISF_E10value_typeEPSG_NS1_7vsmem_tEENKUlT_SE_SF_SG_E_clIS8_S8_S9_S9_EESD_ST_SE_SF_SG_EUlST_E_NS1_11comp_targetILNS1_3genE8ELNS1_11target_archE1030ELNS1_3gpuE2ELNS1_3repE0EEENS1_48merge_mergepath_partition_config_static_selectorELNS0_4arch9wavefront6targetE1EEEvSF_
		.amdhsa_group_segment_fixed_size 0
		.amdhsa_private_segment_fixed_size 0
		.amdhsa_kernarg_size 40
		.amdhsa_user_sgpr_count 6
		.amdhsa_user_sgpr_private_segment_buffer 1
		.amdhsa_user_sgpr_dispatch_ptr 0
		.amdhsa_user_sgpr_queue_ptr 0
		.amdhsa_user_sgpr_kernarg_segment_ptr 1
		.amdhsa_user_sgpr_dispatch_id 0
		.amdhsa_user_sgpr_flat_scratch_init 0
		.amdhsa_user_sgpr_kernarg_preload_length 0
		.amdhsa_user_sgpr_kernarg_preload_offset 0
		.amdhsa_user_sgpr_private_segment_size 0
		.amdhsa_uses_dynamic_stack 0
		.amdhsa_system_sgpr_private_segment_wavefront_offset 0
		.amdhsa_system_sgpr_workgroup_id_x 1
		.amdhsa_system_sgpr_workgroup_id_y 0
		.amdhsa_system_sgpr_workgroup_id_z 0
		.amdhsa_system_sgpr_workgroup_info 0
		.amdhsa_system_vgpr_workitem_id 0
		.amdhsa_next_free_vgpr 1
		.amdhsa_next_free_sgpr 0
		.amdhsa_accum_offset 4
		.amdhsa_reserve_vcc 0
		.amdhsa_reserve_flat_scratch 0
		.amdhsa_float_round_mode_32 0
		.amdhsa_float_round_mode_16_64 0
		.amdhsa_float_denorm_mode_32 3
		.amdhsa_float_denorm_mode_16_64 3
		.amdhsa_dx10_clamp 1
		.amdhsa_ieee_mode 1
		.amdhsa_fp16_overflow 0
		.amdhsa_tg_split 0
		.amdhsa_exception_fp_ieee_invalid_op 0
		.amdhsa_exception_fp_denorm_src 0
		.amdhsa_exception_fp_ieee_div_zero 0
		.amdhsa_exception_fp_ieee_overflow 0
		.amdhsa_exception_fp_ieee_underflow 0
		.amdhsa_exception_fp_ieee_inexact 0
		.amdhsa_exception_int_div_zero 0
	.end_amdhsa_kernel
	.section	.text._ZN7rocprim17ROCPRIM_400000_NS6detail17trampoline_kernelINS0_14default_configENS1_38merge_sort_block_merge_config_selectorIyNS0_10empty_typeEEEZZNS1_27merge_sort_block_merge_implIS3_PyPS5_jNS1_19radix_merge_compareILb1ELb1EyNS0_19identity_decomposerEEEEE10hipError_tT0_T1_T2_jT3_P12ihipStream_tbPNSt15iterator_traitsISE_E10value_typeEPNSK_ISF_E10value_typeEPSG_NS1_7vsmem_tEENKUlT_SE_SF_SG_E_clIS8_S8_S9_S9_EESD_ST_SE_SF_SG_EUlST_E_NS1_11comp_targetILNS1_3genE8ELNS1_11target_archE1030ELNS1_3gpuE2ELNS1_3repE0EEENS1_48merge_mergepath_partition_config_static_selectorELNS0_4arch9wavefront6targetE1EEEvSF_,"axG",@progbits,_ZN7rocprim17ROCPRIM_400000_NS6detail17trampoline_kernelINS0_14default_configENS1_38merge_sort_block_merge_config_selectorIyNS0_10empty_typeEEEZZNS1_27merge_sort_block_merge_implIS3_PyPS5_jNS1_19radix_merge_compareILb1ELb1EyNS0_19identity_decomposerEEEEE10hipError_tT0_T1_T2_jT3_P12ihipStream_tbPNSt15iterator_traitsISE_E10value_typeEPNSK_ISF_E10value_typeEPSG_NS1_7vsmem_tEENKUlT_SE_SF_SG_E_clIS8_S8_S9_S9_EESD_ST_SE_SF_SG_EUlST_E_NS1_11comp_targetILNS1_3genE8ELNS1_11target_archE1030ELNS1_3gpuE2ELNS1_3repE0EEENS1_48merge_mergepath_partition_config_static_selectorELNS0_4arch9wavefront6targetE1EEEvSF_,comdat
.Lfunc_end2442:
	.size	_ZN7rocprim17ROCPRIM_400000_NS6detail17trampoline_kernelINS0_14default_configENS1_38merge_sort_block_merge_config_selectorIyNS0_10empty_typeEEEZZNS1_27merge_sort_block_merge_implIS3_PyPS5_jNS1_19radix_merge_compareILb1ELb1EyNS0_19identity_decomposerEEEEE10hipError_tT0_T1_T2_jT3_P12ihipStream_tbPNSt15iterator_traitsISE_E10value_typeEPNSK_ISF_E10value_typeEPSG_NS1_7vsmem_tEENKUlT_SE_SF_SG_E_clIS8_S8_S9_S9_EESD_ST_SE_SF_SG_EUlST_E_NS1_11comp_targetILNS1_3genE8ELNS1_11target_archE1030ELNS1_3gpuE2ELNS1_3repE0EEENS1_48merge_mergepath_partition_config_static_selectorELNS0_4arch9wavefront6targetE1EEEvSF_, .Lfunc_end2442-_ZN7rocprim17ROCPRIM_400000_NS6detail17trampoline_kernelINS0_14default_configENS1_38merge_sort_block_merge_config_selectorIyNS0_10empty_typeEEEZZNS1_27merge_sort_block_merge_implIS3_PyPS5_jNS1_19radix_merge_compareILb1ELb1EyNS0_19identity_decomposerEEEEE10hipError_tT0_T1_T2_jT3_P12ihipStream_tbPNSt15iterator_traitsISE_E10value_typeEPNSK_ISF_E10value_typeEPSG_NS1_7vsmem_tEENKUlT_SE_SF_SG_E_clIS8_S8_S9_S9_EESD_ST_SE_SF_SG_EUlST_E_NS1_11comp_targetILNS1_3genE8ELNS1_11target_archE1030ELNS1_3gpuE2ELNS1_3repE0EEENS1_48merge_mergepath_partition_config_static_selectorELNS0_4arch9wavefront6targetE1EEEvSF_
                                        ; -- End function
	.section	.AMDGPU.csdata,"",@progbits
; Kernel info:
; codeLenInByte = 0
; NumSgprs: 4
; NumVgprs: 0
; NumAgprs: 0
; TotalNumVgprs: 0
; ScratchSize: 0
; MemoryBound: 0
; FloatMode: 240
; IeeeMode: 1
; LDSByteSize: 0 bytes/workgroup (compile time only)
; SGPRBlocks: 0
; VGPRBlocks: 0
; NumSGPRsForWavesPerEU: 4
; NumVGPRsForWavesPerEU: 1
; AccumOffset: 4
; Occupancy: 8
; WaveLimiterHint : 0
; COMPUTE_PGM_RSRC2:SCRATCH_EN: 0
; COMPUTE_PGM_RSRC2:USER_SGPR: 6
; COMPUTE_PGM_RSRC2:TRAP_HANDLER: 0
; COMPUTE_PGM_RSRC2:TGID_X_EN: 1
; COMPUTE_PGM_RSRC2:TGID_Y_EN: 0
; COMPUTE_PGM_RSRC2:TGID_Z_EN: 0
; COMPUTE_PGM_RSRC2:TIDIG_COMP_CNT: 0
; COMPUTE_PGM_RSRC3_GFX90A:ACCUM_OFFSET: 0
; COMPUTE_PGM_RSRC3_GFX90A:TG_SPLIT: 0
	.section	.text._ZN7rocprim17ROCPRIM_400000_NS6detail17trampoline_kernelINS0_14default_configENS1_38merge_sort_block_merge_config_selectorIyNS0_10empty_typeEEEZZNS1_27merge_sort_block_merge_implIS3_PyPS5_jNS1_19radix_merge_compareILb1ELb1EyNS0_19identity_decomposerEEEEE10hipError_tT0_T1_T2_jT3_P12ihipStream_tbPNSt15iterator_traitsISE_E10value_typeEPNSK_ISF_E10value_typeEPSG_NS1_7vsmem_tEENKUlT_SE_SF_SG_E_clIS8_S8_S9_S9_EESD_ST_SE_SF_SG_EUlST_E0_NS1_11comp_targetILNS1_3genE0ELNS1_11target_archE4294967295ELNS1_3gpuE0ELNS1_3repE0EEENS1_38merge_mergepath_config_static_selectorELNS0_4arch9wavefront6targetE1EEEvSF_,"axG",@progbits,_ZN7rocprim17ROCPRIM_400000_NS6detail17trampoline_kernelINS0_14default_configENS1_38merge_sort_block_merge_config_selectorIyNS0_10empty_typeEEEZZNS1_27merge_sort_block_merge_implIS3_PyPS5_jNS1_19radix_merge_compareILb1ELb1EyNS0_19identity_decomposerEEEEE10hipError_tT0_T1_T2_jT3_P12ihipStream_tbPNSt15iterator_traitsISE_E10value_typeEPNSK_ISF_E10value_typeEPSG_NS1_7vsmem_tEENKUlT_SE_SF_SG_E_clIS8_S8_S9_S9_EESD_ST_SE_SF_SG_EUlST_E0_NS1_11comp_targetILNS1_3genE0ELNS1_11target_archE4294967295ELNS1_3gpuE0ELNS1_3repE0EEENS1_38merge_mergepath_config_static_selectorELNS0_4arch9wavefront6targetE1EEEvSF_,comdat
	.protected	_ZN7rocprim17ROCPRIM_400000_NS6detail17trampoline_kernelINS0_14default_configENS1_38merge_sort_block_merge_config_selectorIyNS0_10empty_typeEEEZZNS1_27merge_sort_block_merge_implIS3_PyPS5_jNS1_19radix_merge_compareILb1ELb1EyNS0_19identity_decomposerEEEEE10hipError_tT0_T1_T2_jT3_P12ihipStream_tbPNSt15iterator_traitsISE_E10value_typeEPNSK_ISF_E10value_typeEPSG_NS1_7vsmem_tEENKUlT_SE_SF_SG_E_clIS8_S8_S9_S9_EESD_ST_SE_SF_SG_EUlST_E0_NS1_11comp_targetILNS1_3genE0ELNS1_11target_archE4294967295ELNS1_3gpuE0ELNS1_3repE0EEENS1_38merge_mergepath_config_static_selectorELNS0_4arch9wavefront6targetE1EEEvSF_ ; -- Begin function _ZN7rocprim17ROCPRIM_400000_NS6detail17trampoline_kernelINS0_14default_configENS1_38merge_sort_block_merge_config_selectorIyNS0_10empty_typeEEEZZNS1_27merge_sort_block_merge_implIS3_PyPS5_jNS1_19radix_merge_compareILb1ELb1EyNS0_19identity_decomposerEEEEE10hipError_tT0_T1_T2_jT3_P12ihipStream_tbPNSt15iterator_traitsISE_E10value_typeEPNSK_ISF_E10value_typeEPSG_NS1_7vsmem_tEENKUlT_SE_SF_SG_E_clIS8_S8_S9_S9_EESD_ST_SE_SF_SG_EUlST_E0_NS1_11comp_targetILNS1_3genE0ELNS1_11target_archE4294967295ELNS1_3gpuE0ELNS1_3repE0EEENS1_38merge_mergepath_config_static_selectorELNS0_4arch9wavefront6targetE1EEEvSF_
	.globl	_ZN7rocprim17ROCPRIM_400000_NS6detail17trampoline_kernelINS0_14default_configENS1_38merge_sort_block_merge_config_selectorIyNS0_10empty_typeEEEZZNS1_27merge_sort_block_merge_implIS3_PyPS5_jNS1_19radix_merge_compareILb1ELb1EyNS0_19identity_decomposerEEEEE10hipError_tT0_T1_T2_jT3_P12ihipStream_tbPNSt15iterator_traitsISE_E10value_typeEPNSK_ISF_E10value_typeEPSG_NS1_7vsmem_tEENKUlT_SE_SF_SG_E_clIS8_S8_S9_S9_EESD_ST_SE_SF_SG_EUlST_E0_NS1_11comp_targetILNS1_3genE0ELNS1_11target_archE4294967295ELNS1_3gpuE0ELNS1_3repE0EEENS1_38merge_mergepath_config_static_selectorELNS0_4arch9wavefront6targetE1EEEvSF_
	.p2align	8
	.type	_ZN7rocprim17ROCPRIM_400000_NS6detail17trampoline_kernelINS0_14default_configENS1_38merge_sort_block_merge_config_selectorIyNS0_10empty_typeEEEZZNS1_27merge_sort_block_merge_implIS3_PyPS5_jNS1_19radix_merge_compareILb1ELb1EyNS0_19identity_decomposerEEEEE10hipError_tT0_T1_T2_jT3_P12ihipStream_tbPNSt15iterator_traitsISE_E10value_typeEPNSK_ISF_E10value_typeEPSG_NS1_7vsmem_tEENKUlT_SE_SF_SG_E_clIS8_S8_S9_S9_EESD_ST_SE_SF_SG_EUlST_E0_NS1_11comp_targetILNS1_3genE0ELNS1_11target_archE4294967295ELNS1_3gpuE0ELNS1_3repE0EEENS1_38merge_mergepath_config_static_selectorELNS0_4arch9wavefront6targetE1EEEvSF_,@function
_ZN7rocprim17ROCPRIM_400000_NS6detail17trampoline_kernelINS0_14default_configENS1_38merge_sort_block_merge_config_selectorIyNS0_10empty_typeEEEZZNS1_27merge_sort_block_merge_implIS3_PyPS5_jNS1_19radix_merge_compareILb1ELb1EyNS0_19identity_decomposerEEEEE10hipError_tT0_T1_T2_jT3_P12ihipStream_tbPNSt15iterator_traitsISE_E10value_typeEPNSK_ISF_E10value_typeEPSG_NS1_7vsmem_tEENKUlT_SE_SF_SG_E_clIS8_S8_S9_S9_EESD_ST_SE_SF_SG_EUlST_E0_NS1_11comp_targetILNS1_3genE0ELNS1_11target_archE4294967295ELNS1_3gpuE0ELNS1_3repE0EEENS1_38merge_mergepath_config_static_selectorELNS0_4arch9wavefront6targetE1EEEvSF_: ; @_ZN7rocprim17ROCPRIM_400000_NS6detail17trampoline_kernelINS0_14default_configENS1_38merge_sort_block_merge_config_selectorIyNS0_10empty_typeEEEZZNS1_27merge_sort_block_merge_implIS3_PyPS5_jNS1_19radix_merge_compareILb1ELb1EyNS0_19identity_decomposerEEEEE10hipError_tT0_T1_T2_jT3_P12ihipStream_tbPNSt15iterator_traitsISE_E10value_typeEPNSK_ISF_E10value_typeEPSG_NS1_7vsmem_tEENKUlT_SE_SF_SG_E_clIS8_S8_S9_S9_EESD_ST_SE_SF_SG_EUlST_E0_NS1_11comp_targetILNS1_3genE0ELNS1_11target_archE4294967295ELNS1_3gpuE0ELNS1_3repE0EEENS1_38merge_mergepath_config_static_selectorELNS0_4arch9wavefront6targetE1EEEvSF_
; %bb.0:
	.section	.rodata,"a",@progbits
	.p2align	6, 0x0
	.amdhsa_kernel _ZN7rocprim17ROCPRIM_400000_NS6detail17trampoline_kernelINS0_14default_configENS1_38merge_sort_block_merge_config_selectorIyNS0_10empty_typeEEEZZNS1_27merge_sort_block_merge_implIS3_PyPS5_jNS1_19radix_merge_compareILb1ELb1EyNS0_19identity_decomposerEEEEE10hipError_tT0_T1_T2_jT3_P12ihipStream_tbPNSt15iterator_traitsISE_E10value_typeEPNSK_ISF_E10value_typeEPSG_NS1_7vsmem_tEENKUlT_SE_SF_SG_E_clIS8_S8_S9_S9_EESD_ST_SE_SF_SG_EUlST_E0_NS1_11comp_targetILNS1_3genE0ELNS1_11target_archE4294967295ELNS1_3gpuE0ELNS1_3repE0EEENS1_38merge_mergepath_config_static_selectorELNS0_4arch9wavefront6targetE1EEEvSF_
		.amdhsa_group_segment_fixed_size 0
		.amdhsa_private_segment_fixed_size 0
		.amdhsa_kernarg_size 72
		.amdhsa_user_sgpr_count 6
		.amdhsa_user_sgpr_private_segment_buffer 1
		.amdhsa_user_sgpr_dispatch_ptr 0
		.amdhsa_user_sgpr_queue_ptr 0
		.amdhsa_user_sgpr_kernarg_segment_ptr 1
		.amdhsa_user_sgpr_dispatch_id 0
		.amdhsa_user_sgpr_flat_scratch_init 0
		.amdhsa_user_sgpr_kernarg_preload_length 0
		.amdhsa_user_sgpr_kernarg_preload_offset 0
		.amdhsa_user_sgpr_private_segment_size 0
		.amdhsa_uses_dynamic_stack 0
		.amdhsa_system_sgpr_private_segment_wavefront_offset 0
		.amdhsa_system_sgpr_workgroup_id_x 1
		.amdhsa_system_sgpr_workgroup_id_y 0
		.amdhsa_system_sgpr_workgroup_id_z 0
		.amdhsa_system_sgpr_workgroup_info 0
		.amdhsa_system_vgpr_workitem_id 0
		.amdhsa_next_free_vgpr 1
		.amdhsa_next_free_sgpr 0
		.amdhsa_accum_offset 4
		.amdhsa_reserve_vcc 0
		.amdhsa_reserve_flat_scratch 0
		.amdhsa_float_round_mode_32 0
		.amdhsa_float_round_mode_16_64 0
		.amdhsa_float_denorm_mode_32 3
		.amdhsa_float_denorm_mode_16_64 3
		.amdhsa_dx10_clamp 1
		.amdhsa_ieee_mode 1
		.amdhsa_fp16_overflow 0
		.amdhsa_tg_split 0
		.amdhsa_exception_fp_ieee_invalid_op 0
		.amdhsa_exception_fp_denorm_src 0
		.amdhsa_exception_fp_ieee_div_zero 0
		.amdhsa_exception_fp_ieee_overflow 0
		.amdhsa_exception_fp_ieee_underflow 0
		.amdhsa_exception_fp_ieee_inexact 0
		.amdhsa_exception_int_div_zero 0
	.end_amdhsa_kernel
	.section	.text._ZN7rocprim17ROCPRIM_400000_NS6detail17trampoline_kernelINS0_14default_configENS1_38merge_sort_block_merge_config_selectorIyNS0_10empty_typeEEEZZNS1_27merge_sort_block_merge_implIS3_PyPS5_jNS1_19radix_merge_compareILb1ELb1EyNS0_19identity_decomposerEEEEE10hipError_tT0_T1_T2_jT3_P12ihipStream_tbPNSt15iterator_traitsISE_E10value_typeEPNSK_ISF_E10value_typeEPSG_NS1_7vsmem_tEENKUlT_SE_SF_SG_E_clIS8_S8_S9_S9_EESD_ST_SE_SF_SG_EUlST_E0_NS1_11comp_targetILNS1_3genE0ELNS1_11target_archE4294967295ELNS1_3gpuE0ELNS1_3repE0EEENS1_38merge_mergepath_config_static_selectorELNS0_4arch9wavefront6targetE1EEEvSF_,"axG",@progbits,_ZN7rocprim17ROCPRIM_400000_NS6detail17trampoline_kernelINS0_14default_configENS1_38merge_sort_block_merge_config_selectorIyNS0_10empty_typeEEEZZNS1_27merge_sort_block_merge_implIS3_PyPS5_jNS1_19radix_merge_compareILb1ELb1EyNS0_19identity_decomposerEEEEE10hipError_tT0_T1_T2_jT3_P12ihipStream_tbPNSt15iterator_traitsISE_E10value_typeEPNSK_ISF_E10value_typeEPSG_NS1_7vsmem_tEENKUlT_SE_SF_SG_E_clIS8_S8_S9_S9_EESD_ST_SE_SF_SG_EUlST_E0_NS1_11comp_targetILNS1_3genE0ELNS1_11target_archE4294967295ELNS1_3gpuE0ELNS1_3repE0EEENS1_38merge_mergepath_config_static_selectorELNS0_4arch9wavefront6targetE1EEEvSF_,comdat
.Lfunc_end2443:
	.size	_ZN7rocprim17ROCPRIM_400000_NS6detail17trampoline_kernelINS0_14default_configENS1_38merge_sort_block_merge_config_selectorIyNS0_10empty_typeEEEZZNS1_27merge_sort_block_merge_implIS3_PyPS5_jNS1_19radix_merge_compareILb1ELb1EyNS0_19identity_decomposerEEEEE10hipError_tT0_T1_T2_jT3_P12ihipStream_tbPNSt15iterator_traitsISE_E10value_typeEPNSK_ISF_E10value_typeEPSG_NS1_7vsmem_tEENKUlT_SE_SF_SG_E_clIS8_S8_S9_S9_EESD_ST_SE_SF_SG_EUlST_E0_NS1_11comp_targetILNS1_3genE0ELNS1_11target_archE4294967295ELNS1_3gpuE0ELNS1_3repE0EEENS1_38merge_mergepath_config_static_selectorELNS0_4arch9wavefront6targetE1EEEvSF_, .Lfunc_end2443-_ZN7rocprim17ROCPRIM_400000_NS6detail17trampoline_kernelINS0_14default_configENS1_38merge_sort_block_merge_config_selectorIyNS0_10empty_typeEEEZZNS1_27merge_sort_block_merge_implIS3_PyPS5_jNS1_19radix_merge_compareILb1ELb1EyNS0_19identity_decomposerEEEEE10hipError_tT0_T1_T2_jT3_P12ihipStream_tbPNSt15iterator_traitsISE_E10value_typeEPNSK_ISF_E10value_typeEPSG_NS1_7vsmem_tEENKUlT_SE_SF_SG_E_clIS8_S8_S9_S9_EESD_ST_SE_SF_SG_EUlST_E0_NS1_11comp_targetILNS1_3genE0ELNS1_11target_archE4294967295ELNS1_3gpuE0ELNS1_3repE0EEENS1_38merge_mergepath_config_static_selectorELNS0_4arch9wavefront6targetE1EEEvSF_
                                        ; -- End function
	.section	.AMDGPU.csdata,"",@progbits
; Kernel info:
; codeLenInByte = 0
; NumSgprs: 4
; NumVgprs: 0
; NumAgprs: 0
; TotalNumVgprs: 0
; ScratchSize: 0
; MemoryBound: 0
; FloatMode: 240
; IeeeMode: 1
; LDSByteSize: 0 bytes/workgroup (compile time only)
; SGPRBlocks: 0
; VGPRBlocks: 0
; NumSGPRsForWavesPerEU: 4
; NumVGPRsForWavesPerEU: 1
; AccumOffset: 4
; Occupancy: 8
; WaveLimiterHint : 0
; COMPUTE_PGM_RSRC2:SCRATCH_EN: 0
; COMPUTE_PGM_RSRC2:USER_SGPR: 6
; COMPUTE_PGM_RSRC2:TRAP_HANDLER: 0
; COMPUTE_PGM_RSRC2:TGID_X_EN: 1
; COMPUTE_PGM_RSRC2:TGID_Y_EN: 0
; COMPUTE_PGM_RSRC2:TGID_Z_EN: 0
; COMPUTE_PGM_RSRC2:TIDIG_COMP_CNT: 0
; COMPUTE_PGM_RSRC3_GFX90A:ACCUM_OFFSET: 0
; COMPUTE_PGM_RSRC3_GFX90A:TG_SPLIT: 0
	.section	.text._ZN7rocprim17ROCPRIM_400000_NS6detail17trampoline_kernelINS0_14default_configENS1_38merge_sort_block_merge_config_selectorIyNS0_10empty_typeEEEZZNS1_27merge_sort_block_merge_implIS3_PyPS5_jNS1_19radix_merge_compareILb1ELb1EyNS0_19identity_decomposerEEEEE10hipError_tT0_T1_T2_jT3_P12ihipStream_tbPNSt15iterator_traitsISE_E10value_typeEPNSK_ISF_E10value_typeEPSG_NS1_7vsmem_tEENKUlT_SE_SF_SG_E_clIS8_S8_S9_S9_EESD_ST_SE_SF_SG_EUlST_E0_NS1_11comp_targetILNS1_3genE10ELNS1_11target_archE1201ELNS1_3gpuE5ELNS1_3repE0EEENS1_38merge_mergepath_config_static_selectorELNS0_4arch9wavefront6targetE1EEEvSF_,"axG",@progbits,_ZN7rocprim17ROCPRIM_400000_NS6detail17trampoline_kernelINS0_14default_configENS1_38merge_sort_block_merge_config_selectorIyNS0_10empty_typeEEEZZNS1_27merge_sort_block_merge_implIS3_PyPS5_jNS1_19radix_merge_compareILb1ELb1EyNS0_19identity_decomposerEEEEE10hipError_tT0_T1_T2_jT3_P12ihipStream_tbPNSt15iterator_traitsISE_E10value_typeEPNSK_ISF_E10value_typeEPSG_NS1_7vsmem_tEENKUlT_SE_SF_SG_E_clIS8_S8_S9_S9_EESD_ST_SE_SF_SG_EUlST_E0_NS1_11comp_targetILNS1_3genE10ELNS1_11target_archE1201ELNS1_3gpuE5ELNS1_3repE0EEENS1_38merge_mergepath_config_static_selectorELNS0_4arch9wavefront6targetE1EEEvSF_,comdat
	.protected	_ZN7rocprim17ROCPRIM_400000_NS6detail17trampoline_kernelINS0_14default_configENS1_38merge_sort_block_merge_config_selectorIyNS0_10empty_typeEEEZZNS1_27merge_sort_block_merge_implIS3_PyPS5_jNS1_19radix_merge_compareILb1ELb1EyNS0_19identity_decomposerEEEEE10hipError_tT0_T1_T2_jT3_P12ihipStream_tbPNSt15iterator_traitsISE_E10value_typeEPNSK_ISF_E10value_typeEPSG_NS1_7vsmem_tEENKUlT_SE_SF_SG_E_clIS8_S8_S9_S9_EESD_ST_SE_SF_SG_EUlST_E0_NS1_11comp_targetILNS1_3genE10ELNS1_11target_archE1201ELNS1_3gpuE5ELNS1_3repE0EEENS1_38merge_mergepath_config_static_selectorELNS0_4arch9wavefront6targetE1EEEvSF_ ; -- Begin function _ZN7rocprim17ROCPRIM_400000_NS6detail17trampoline_kernelINS0_14default_configENS1_38merge_sort_block_merge_config_selectorIyNS0_10empty_typeEEEZZNS1_27merge_sort_block_merge_implIS3_PyPS5_jNS1_19radix_merge_compareILb1ELb1EyNS0_19identity_decomposerEEEEE10hipError_tT0_T1_T2_jT3_P12ihipStream_tbPNSt15iterator_traitsISE_E10value_typeEPNSK_ISF_E10value_typeEPSG_NS1_7vsmem_tEENKUlT_SE_SF_SG_E_clIS8_S8_S9_S9_EESD_ST_SE_SF_SG_EUlST_E0_NS1_11comp_targetILNS1_3genE10ELNS1_11target_archE1201ELNS1_3gpuE5ELNS1_3repE0EEENS1_38merge_mergepath_config_static_selectorELNS0_4arch9wavefront6targetE1EEEvSF_
	.globl	_ZN7rocprim17ROCPRIM_400000_NS6detail17trampoline_kernelINS0_14default_configENS1_38merge_sort_block_merge_config_selectorIyNS0_10empty_typeEEEZZNS1_27merge_sort_block_merge_implIS3_PyPS5_jNS1_19radix_merge_compareILb1ELb1EyNS0_19identity_decomposerEEEEE10hipError_tT0_T1_T2_jT3_P12ihipStream_tbPNSt15iterator_traitsISE_E10value_typeEPNSK_ISF_E10value_typeEPSG_NS1_7vsmem_tEENKUlT_SE_SF_SG_E_clIS8_S8_S9_S9_EESD_ST_SE_SF_SG_EUlST_E0_NS1_11comp_targetILNS1_3genE10ELNS1_11target_archE1201ELNS1_3gpuE5ELNS1_3repE0EEENS1_38merge_mergepath_config_static_selectorELNS0_4arch9wavefront6targetE1EEEvSF_
	.p2align	8
	.type	_ZN7rocprim17ROCPRIM_400000_NS6detail17trampoline_kernelINS0_14default_configENS1_38merge_sort_block_merge_config_selectorIyNS0_10empty_typeEEEZZNS1_27merge_sort_block_merge_implIS3_PyPS5_jNS1_19radix_merge_compareILb1ELb1EyNS0_19identity_decomposerEEEEE10hipError_tT0_T1_T2_jT3_P12ihipStream_tbPNSt15iterator_traitsISE_E10value_typeEPNSK_ISF_E10value_typeEPSG_NS1_7vsmem_tEENKUlT_SE_SF_SG_E_clIS8_S8_S9_S9_EESD_ST_SE_SF_SG_EUlST_E0_NS1_11comp_targetILNS1_3genE10ELNS1_11target_archE1201ELNS1_3gpuE5ELNS1_3repE0EEENS1_38merge_mergepath_config_static_selectorELNS0_4arch9wavefront6targetE1EEEvSF_,@function
_ZN7rocprim17ROCPRIM_400000_NS6detail17trampoline_kernelINS0_14default_configENS1_38merge_sort_block_merge_config_selectorIyNS0_10empty_typeEEEZZNS1_27merge_sort_block_merge_implIS3_PyPS5_jNS1_19radix_merge_compareILb1ELb1EyNS0_19identity_decomposerEEEEE10hipError_tT0_T1_T2_jT3_P12ihipStream_tbPNSt15iterator_traitsISE_E10value_typeEPNSK_ISF_E10value_typeEPSG_NS1_7vsmem_tEENKUlT_SE_SF_SG_E_clIS8_S8_S9_S9_EESD_ST_SE_SF_SG_EUlST_E0_NS1_11comp_targetILNS1_3genE10ELNS1_11target_archE1201ELNS1_3gpuE5ELNS1_3repE0EEENS1_38merge_mergepath_config_static_selectorELNS0_4arch9wavefront6targetE1EEEvSF_: ; @_ZN7rocprim17ROCPRIM_400000_NS6detail17trampoline_kernelINS0_14default_configENS1_38merge_sort_block_merge_config_selectorIyNS0_10empty_typeEEEZZNS1_27merge_sort_block_merge_implIS3_PyPS5_jNS1_19radix_merge_compareILb1ELb1EyNS0_19identity_decomposerEEEEE10hipError_tT0_T1_T2_jT3_P12ihipStream_tbPNSt15iterator_traitsISE_E10value_typeEPNSK_ISF_E10value_typeEPSG_NS1_7vsmem_tEENKUlT_SE_SF_SG_E_clIS8_S8_S9_S9_EESD_ST_SE_SF_SG_EUlST_E0_NS1_11comp_targetILNS1_3genE10ELNS1_11target_archE1201ELNS1_3gpuE5ELNS1_3repE0EEENS1_38merge_mergepath_config_static_selectorELNS0_4arch9wavefront6targetE1EEEvSF_
; %bb.0:
	.section	.rodata,"a",@progbits
	.p2align	6, 0x0
	.amdhsa_kernel _ZN7rocprim17ROCPRIM_400000_NS6detail17trampoline_kernelINS0_14default_configENS1_38merge_sort_block_merge_config_selectorIyNS0_10empty_typeEEEZZNS1_27merge_sort_block_merge_implIS3_PyPS5_jNS1_19radix_merge_compareILb1ELb1EyNS0_19identity_decomposerEEEEE10hipError_tT0_T1_T2_jT3_P12ihipStream_tbPNSt15iterator_traitsISE_E10value_typeEPNSK_ISF_E10value_typeEPSG_NS1_7vsmem_tEENKUlT_SE_SF_SG_E_clIS8_S8_S9_S9_EESD_ST_SE_SF_SG_EUlST_E0_NS1_11comp_targetILNS1_3genE10ELNS1_11target_archE1201ELNS1_3gpuE5ELNS1_3repE0EEENS1_38merge_mergepath_config_static_selectorELNS0_4arch9wavefront6targetE1EEEvSF_
		.amdhsa_group_segment_fixed_size 0
		.amdhsa_private_segment_fixed_size 0
		.amdhsa_kernarg_size 72
		.amdhsa_user_sgpr_count 6
		.amdhsa_user_sgpr_private_segment_buffer 1
		.amdhsa_user_sgpr_dispatch_ptr 0
		.amdhsa_user_sgpr_queue_ptr 0
		.amdhsa_user_sgpr_kernarg_segment_ptr 1
		.amdhsa_user_sgpr_dispatch_id 0
		.amdhsa_user_sgpr_flat_scratch_init 0
		.amdhsa_user_sgpr_kernarg_preload_length 0
		.amdhsa_user_sgpr_kernarg_preload_offset 0
		.amdhsa_user_sgpr_private_segment_size 0
		.amdhsa_uses_dynamic_stack 0
		.amdhsa_system_sgpr_private_segment_wavefront_offset 0
		.amdhsa_system_sgpr_workgroup_id_x 1
		.amdhsa_system_sgpr_workgroup_id_y 0
		.amdhsa_system_sgpr_workgroup_id_z 0
		.amdhsa_system_sgpr_workgroup_info 0
		.amdhsa_system_vgpr_workitem_id 0
		.amdhsa_next_free_vgpr 1
		.amdhsa_next_free_sgpr 0
		.amdhsa_accum_offset 4
		.amdhsa_reserve_vcc 0
		.amdhsa_reserve_flat_scratch 0
		.amdhsa_float_round_mode_32 0
		.amdhsa_float_round_mode_16_64 0
		.amdhsa_float_denorm_mode_32 3
		.amdhsa_float_denorm_mode_16_64 3
		.amdhsa_dx10_clamp 1
		.amdhsa_ieee_mode 1
		.amdhsa_fp16_overflow 0
		.amdhsa_tg_split 0
		.amdhsa_exception_fp_ieee_invalid_op 0
		.amdhsa_exception_fp_denorm_src 0
		.amdhsa_exception_fp_ieee_div_zero 0
		.amdhsa_exception_fp_ieee_overflow 0
		.amdhsa_exception_fp_ieee_underflow 0
		.amdhsa_exception_fp_ieee_inexact 0
		.amdhsa_exception_int_div_zero 0
	.end_amdhsa_kernel
	.section	.text._ZN7rocprim17ROCPRIM_400000_NS6detail17trampoline_kernelINS0_14default_configENS1_38merge_sort_block_merge_config_selectorIyNS0_10empty_typeEEEZZNS1_27merge_sort_block_merge_implIS3_PyPS5_jNS1_19radix_merge_compareILb1ELb1EyNS0_19identity_decomposerEEEEE10hipError_tT0_T1_T2_jT3_P12ihipStream_tbPNSt15iterator_traitsISE_E10value_typeEPNSK_ISF_E10value_typeEPSG_NS1_7vsmem_tEENKUlT_SE_SF_SG_E_clIS8_S8_S9_S9_EESD_ST_SE_SF_SG_EUlST_E0_NS1_11comp_targetILNS1_3genE10ELNS1_11target_archE1201ELNS1_3gpuE5ELNS1_3repE0EEENS1_38merge_mergepath_config_static_selectorELNS0_4arch9wavefront6targetE1EEEvSF_,"axG",@progbits,_ZN7rocprim17ROCPRIM_400000_NS6detail17trampoline_kernelINS0_14default_configENS1_38merge_sort_block_merge_config_selectorIyNS0_10empty_typeEEEZZNS1_27merge_sort_block_merge_implIS3_PyPS5_jNS1_19radix_merge_compareILb1ELb1EyNS0_19identity_decomposerEEEEE10hipError_tT0_T1_T2_jT3_P12ihipStream_tbPNSt15iterator_traitsISE_E10value_typeEPNSK_ISF_E10value_typeEPSG_NS1_7vsmem_tEENKUlT_SE_SF_SG_E_clIS8_S8_S9_S9_EESD_ST_SE_SF_SG_EUlST_E0_NS1_11comp_targetILNS1_3genE10ELNS1_11target_archE1201ELNS1_3gpuE5ELNS1_3repE0EEENS1_38merge_mergepath_config_static_selectorELNS0_4arch9wavefront6targetE1EEEvSF_,comdat
.Lfunc_end2444:
	.size	_ZN7rocprim17ROCPRIM_400000_NS6detail17trampoline_kernelINS0_14default_configENS1_38merge_sort_block_merge_config_selectorIyNS0_10empty_typeEEEZZNS1_27merge_sort_block_merge_implIS3_PyPS5_jNS1_19radix_merge_compareILb1ELb1EyNS0_19identity_decomposerEEEEE10hipError_tT0_T1_T2_jT3_P12ihipStream_tbPNSt15iterator_traitsISE_E10value_typeEPNSK_ISF_E10value_typeEPSG_NS1_7vsmem_tEENKUlT_SE_SF_SG_E_clIS8_S8_S9_S9_EESD_ST_SE_SF_SG_EUlST_E0_NS1_11comp_targetILNS1_3genE10ELNS1_11target_archE1201ELNS1_3gpuE5ELNS1_3repE0EEENS1_38merge_mergepath_config_static_selectorELNS0_4arch9wavefront6targetE1EEEvSF_, .Lfunc_end2444-_ZN7rocprim17ROCPRIM_400000_NS6detail17trampoline_kernelINS0_14default_configENS1_38merge_sort_block_merge_config_selectorIyNS0_10empty_typeEEEZZNS1_27merge_sort_block_merge_implIS3_PyPS5_jNS1_19radix_merge_compareILb1ELb1EyNS0_19identity_decomposerEEEEE10hipError_tT0_T1_T2_jT3_P12ihipStream_tbPNSt15iterator_traitsISE_E10value_typeEPNSK_ISF_E10value_typeEPSG_NS1_7vsmem_tEENKUlT_SE_SF_SG_E_clIS8_S8_S9_S9_EESD_ST_SE_SF_SG_EUlST_E0_NS1_11comp_targetILNS1_3genE10ELNS1_11target_archE1201ELNS1_3gpuE5ELNS1_3repE0EEENS1_38merge_mergepath_config_static_selectorELNS0_4arch9wavefront6targetE1EEEvSF_
                                        ; -- End function
	.section	.AMDGPU.csdata,"",@progbits
; Kernel info:
; codeLenInByte = 0
; NumSgprs: 4
; NumVgprs: 0
; NumAgprs: 0
; TotalNumVgprs: 0
; ScratchSize: 0
; MemoryBound: 0
; FloatMode: 240
; IeeeMode: 1
; LDSByteSize: 0 bytes/workgroup (compile time only)
; SGPRBlocks: 0
; VGPRBlocks: 0
; NumSGPRsForWavesPerEU: 4
; NumVGPRsForWavesPerEU: 1
; AccumOffset: 4
; Occupancy: 8
; WaveLimiterHint : 0
; COMPUTE_PGM_RSRC2:SCRATCH_EN: 0
; COMPUTE_PGM_RSRC2:USER_SGPR: 6
; COMPUTE_PGM_RSRC2:TRAP_HANDLER: 0
; COMPUTE_PGM_RSRC2:TGID_X_EN: 1
; COMPUTE_PGM_RSRC2:TGID_Y_EN: 0
; COMPUTE_PGM_RSRC2:TGID_Z_EN: 0
; COMPUTE_PGM_RSRC2:TIDIG_COMP_CNT: 0
; COMPUTE_PGM_RSRC3_GFX90A:ACCUM_OFFSET: 0
; COMPUTE_PGM_RSRC3_GFX90A:TG_SPLIT: 0
	.section	.text._ZN7rocprim17ROCPRIM_400000_NS6detail17trampoline_kernelINS0_14default_configENS1_38merge_sort_block_merge_config_selectorIyNS0_10empty_typeEEEZZNS1_27merge_sort_block_merge_implIS3_PyPS5_jNS1_19radix_merge_compareILb1ELb1EyNS0_19identity_decomposerEEEEE10hipError_tT0_T1_T2_jT3_P12ihipStream_tbPNSt15iterator_traitsISE_E10value_typeEPNSK_ISF_E10value_typeEPSG_NS1_7vsmem_tEENKUlT_SE_SF_SG_E_clIS8_S8_S9_S9_EESD_ST_SE_SF_SG_EUlST_E0_NS1_11comp_targetILNS1_3genE5ELNS1_11target_archE942ELNS1_3gpuE9ELNS1_3repE0EEENS1_38merge_mergepath_config_static_selectorELNS0_4arch9wavefront6targetE1EEEvSF_,"axG",@progbits,_ZN7rocprim17ROCPRIM_400000_NS6detail17trampoline_kernelINS0_14default_configENS1_38merge_sort_block_merge_config_selectorIyNS0_10empty_typeEEEZZNS1_27merge_sort_block_merge_implIS3_PyPS5_jNS1_19radix_merge_compareILb1ELb1EyNS0_19identity_decomposerEEEEE10hipError_tT0_T1_T2_jT3_P12ihipStream_tbPNSt15iterator_traitsISE_E10value_typeEPNSK_ISF_E10value_typeEPSG_NS1_7vsmem_tEENKUlT_SE_SF_SG_E_clIS8_S8_S9_S9_EESD_ST_SE_SF_SG_EUlST_E0_NS1_11comp_targetILNS1_3genE5ELNS1_11target_archE942ELNS1_3gpuE9ELNS1_3repE0EEENS1_38merge_mergepath_config_static_selectorELNS0_4arch9wavefront6targetE1EEEvSF_,comdat
	.protected	_ZN7rocprim17ROCPRIM_400000_NS6detail17trampoline_kernelINS0_14default_configENS1_38merge_sort_block_merge_config_selectorIyNS0_10empty_typeEEEZZNS1_27merge_sort_block_merge_implIS3_PyPS5_jNS1_19radix_merge_compareILb1ELb1EyNS0_19identity_decomposerEEEEE10hipError_tT0_T1_T2_jT3_P12ihipStream_tbPNSt15iterator_traitsISE_E10value_typeEPNSK_ISF_E10value_typeEPSG_NS1_7vsmem_tEENKUlT_SE_SF_SG_E_clIS8_S8_S9_S9_EESD_ST_SE_SF_SG_EUlST_E0_NS1_11comp_targetILNS1_3genE5ELNS1_11target_archE942ELNS1_3gpuE9ELNS1_3repE0EEENS1_38merge_mergepath_config_static_selectorELNS0_4arch9wavefront6targetE1EEEvSF_ ; -- Begin function _ZN7rocprim17ROCPRIM_400000_NS6detail17trampoline_kernelINS0_14default_configENS1_38merge_sort_block_merge_config_selectorIyNS0_10empty_typeEEEZZNS1_27merge_sort_block_merge_implIS3_PyPS5_jNS1_19radix_merge_compareILb1ELb1EyNS0_19identity_decomposerEEEEE10hipError_tT0_T1_T2_jT3_P12ihipStream_tbPNSt15iterator_traitsISE_E10value_typeEPNSK_ISF_E10value_typeEPSG_NS1_7vsmem_tEENKUlT_SE_SF_SG_E_clIS8_S8_S9_S9_EESD_ST_SE_SF_SG_EUlST_E0_NS1_11comp_targetILNS1_3genE5ELNS1_11target_archE942ELNS1_3gpuE9ELNS1_3repE0EEENS1_38merge_mergepath_config_static_selectorELNS0_4arch9wavefront6targetE1EEEvSF_
	.globl	_ZN7rocprim17ROCPRIM_400000_NS6detail17trampoline_kernelINS0_14default_configENS1_38merge_sort_block_merge_config_selectorIyNS0_10empty_typeEEEZZNS1_27merge_sort_block_merge_implIS3_PyPS5_jNS1_19radix_merge_compareILb1ELb1EyNS0_19identity_decomposerEEEEE10hipError_tT0_T1_T2_jT3_P12ihipStream_tbPNSt15iterator_traitsISE_E10value_typeEPNSK_ISF_E10value_typeEPSG_NS1_7vsmem_tEENKUlT_SE_SF_SG_E_clIS8_S8_S9_S9_EESD_ST_SE_SF_SG_EUlST_E0_NS1_11comp_targetILNS1_3genE5ELNS1_11target_archE942ELNS1_3gpuE9ELNS1_3repE0EEENS1_38merge_mergepath_config_static_selectorELNS0_4arch9wavefront6targetE1EEEvSF_
	.p2align	8
	.type	_ZN7rocprim17ROCPRIM_400000_NS6detail17trampoline_kernelINS0_14default_configENS1_38merge_sort_block_merge_config_selectorIyNS0_10empty_typeEEEZZNS1_27merge_sort_block_merge_implIS3_PyPS5_jNS1_19radix_merge_compareILb1ELb1EyNS0_19identity_decomposerEEEEE10hipError_tT0_T1_T2_jT3_P12ihipStream_tbPNSt15iterator_traitsISE_E10value_typeEPNSK_ISF_E10value_typeEPSG_NS1_7vsmem_tEENKUlT_SE_SF_SG_E_clIS8_S8_S9_S9_EESD_ST_SE_SF_SG_EUlST_E0_NS1_11comp_targetILNS1_3genE5ELNS1_11target_archE942ELNS1_3gpuE9ELNS1_3repE0EEENS1_38merge_mergepath_config_static_selectorELNS0_4arch9wavefront6targetE1EEEvSF_,@function
_ZN7rocprim17ROCPRIM_400000_NS6detail17trampoline_kernelINS0_14default_configENS1_38merge_sort_block_merge_config_selectorIyNS0_10empty_typeEEEZZNS1_27merge_sort_block_merge_implIS3_PyPS5_jNS1_19radix_merge_compareILb1ELb1EyNS0_19identity_decomposerEEEEE10hipError_tT0_T1_T2_jT3_P12ihipStream_tbPNSt15iterator_traitsISE_E10value_typeEPNSK_ISF_E10value_typeEPSG_NS1_7vsmem_tEENKUlT_SE_SF_SG_E_clIS8_S8_S9_S9_EESD_ST_SE_SF_SG_EUlST_E0_NS1_11comp_targetILNS1_3genE5ELNS1_11target_archE942ELNS1_3gpuE9ELNS1_3repE0EEENS1_38merge_mergepath_config_static_selectorELNS0_4arch9wavefront6targetE1EEEvSF_: ; @_ZN7rocprim17ROCPRIM_400000_NS6detail17trampoline_kernelINS0_14default_configENS1_38merge_sort_block_merge_config_selectorIyNS0_10empty_typeEEEZZNS1_27merge_sort_block_merge_implIS3_PyPS5_jNS1_19radix_merge_compareILb1ELb1EyNS0_19identity_decomposerEEEEE10hipError_tT0_T1_T2_jT3_P12ihipStream_tbPNSt15iterator_traitsISE_E10value_typeEPNSK_ISF_E10value_typeEPSG_NS1_7vsmem_tEENKUlT_SE_SF_SG_E_clIS8_S8_S9_S9_EESD_ST_SE_SF_SG_EUlST_E0_NS1_11comp_targetILNS1_3genE5ELNS1_11target_archE942ELNS1_3gpuE9ELNS1_3repE0EEENS1_38merge_mergepath_config_static_selectorELNS0_4arch9wavefront6targetE1EEEvSF_
; %bb.0:
	.section	.rodata,"a",@progbits
	.p2align	6, 0x0
	.amdhsa_kernel _ZN7rocprim17ROCPRIM_400000_NS6detail17trampoline_kernelINS0_14default_configENS1_38merge_sort_block_merge_config_selectorIyNS0_10empty_typeEEEZZNS1_27merge_sort_block_merge_implIS3_PyPS5_jNS1_19radix_merge_compareILb1ELb1EyNS0_19identity_decomposerEEEEE10hipError_tT0_T1_T2_jT3_P12ihipStream_tbPNSt15iterator_traitsISE_E10value_typeEPNSK_ISF_E10value_typeEPSG_NS1_7vsmem_tEENKUlT_SE_SF_SG_E_clIS8_S8_S9_S9_EESD_ST_SE_SF_SG_EUlST_E0_NS1_11comp_targetILNS1_3genE5ELNS1_11target_archE942ELNS1_3gpuE9ELNS1_3repE0EEENS1_38merge_mergepath_config_static_selectorELNS0_4arch9wavefront6targetE1EEEvSF_
		.amdhsa_group_segment_fixed_size 0
		.amdhsa_private_segment_fixed_size 0
		.amdhsa_kernarg_size 72
		.amdhsa_user_sgpr_count 6
		.amdhsa_user_sgpr_private_segment_buffer 1
		.amdhsa_user_sgpr_dispatch_ptr 0
		.amdhsa_user_sgpr_queue_ptr 0
		.amdhsa_user_sgpr_kernarg_segment_ptr 1
		.amdhsa_user_sgpr_dispatch_id 0
		.amdhsa_user_sgpr_flat_scratch_init 0
		.amdhsa_user_sgpr_kernarg_preload_length 0
		.amdhsa_user_sgpr_kernarg_preload_offset 0
		.amdhsa_user_sgpr_private_segment_size 0
		.amdhsa_uses_dynamic_stack 0
		.amdhsa_system_sgpr_private_segment_wavefront_offset 0
		.amdhsa_system_sgpr_workgroup_id_x 1
		.amdhsa_system_sgpr_workgroup_id_y 0
		.amdhsa_system_sgpr_workgroup_id_z 0
		.amdhsa_system_sgpr_workgroup_info 0
		.amdhsa_system_vgpr_workitem_id 0
		.amdhsa_next_free_vgpr 1
		.amdhsa_next_free_sgpr 0
		.amdhsa_accum_offset 4
		.amdhsa_reserve_vcc 0
		.amdhsa_reserve_flat_scratch 0
		.amdhsa_float_round_mode_32 0
		.amdhsa_float_round_mode_16_64 0
		.amdhsa_float_denorm_mode_32 3
		.amdhsa_float_denorm_mode_16_64 3
		.amdhsa_dx10_clamp 1
		.amdhsa_ieee_mode 1
		.amdhsa_fp16_overflow 0
		.amdhsa_tg_split 0
		.amdhsa_exception_fp_ieee_invalid_op 0
		.amdhsa_exception_fp_denorm_src 0
		.amdhsa_exception_fp_ieee_div_zero 0
		.amdhsa_exception_fp_ieee_overflow 0
		.amdhsa_exception_fp_ieee_underflow 0
		.amdhsa_exception_fp_ieee_inexact 0
		.amdhsa_exception_int_div_zero 0
	.end_amdhsa_kernel
	.section	.text._ZN7rocprim17ROCPRIM_400000_NS6detail17trampoline_kernelINS0_14default_configENS1_38merge_sort_block_merge_config_selectorIyNS0_10empty_typeEEEZZNS1_27merge_sort_block_merge_implIS3_PyPS5_jNS1_19radix_merge_compareILb1ELb1EyNS0_19identity_decomposerEEEEE10hipError_tT0_T1_T2_jT3_P12ihipStream_tbPNSt15iterator_traitsISE_E10value_typeEPNSK_ISF_E10value_typeEPSG_NS1_7vsmem_tEENKUlT_SE_SF_SG_E_clIS8_S8_S9_S9_EESD_ST_SE_SF_SG_EUlST_E0_NS1_11comp_targetILNS1_3genE5ELNS1_11target_archE942ELNS1_3gpuE9ELNS1_3repE0EEENS1_38merge_mergepath_config_static_selectorELNS0_4arch9wavefront6targetE1EEEvSF_,"axG",@progbits,_ZN7rocprim17ROCPRIM_400000_NS6detail17trampoline_kernelINS0_14default_configENS1_38merge_sort_block_merge_config_selectorIyNS0_10empty_typeEEEZZNS1_27merge_sort_block_merge_implIS3_PyPS5_jNS1_19radix_merge_compareILb1ELb1EyNS0_19identity_decomposerEEEEE10hipError_tT0_T1_T2_jT3_P12ihipStream_tbPNSt15iterator_traitsISE_E10value_typeEPNSK_ISF_E10value_typeEPSG_NS1_7vsmem_tEENKUlT_SE_SF_SG_E_clIS8_S8_S9_S9_EESD_ST_SE_SF_SG_EUlST_E0_NS1_11comp_targetILNS1_3genE5ELNS1_11target_archE942ELNS1_3gpuE9ELNS1_3repE0EEENS1_38merge_mergepath_config_static_selectorELNS0_4arch9wavefront6targetE1EEEvSF_,comdat
.Lfunc_end2445:
	.size	_ZN7rocprim17ROCPRIM_400000_NS6detail17trampoline_kernelINS0_14default_configENS1_38merge_sort_block_merge_config_selectorIyNS0_10empty_typeEEEZZNS1_27merge_sort_block_merge_implIS3_PyPS5_jNS1_19radix_merge_compareILb1ELb1EyNS0_19identity_decomposerEEEEE10hipError_tT0_T1_T2_jT3_P12ihipStream_tbPNSt15iterator_traitsISE_E10value_typeEPNSK_ISF_E10value_typeEPSG_NS1_7vsmem_tEENKUlT_SE_SF_SG_E_clIS8_S8_S9_S9_EESD_ST_SE_SF_SG_EUlST_E0_NS1_11comp_targetILNS1_3genE5ELNS1_11target_archE942ELNS1_3gpuE9ELNS1_3repE0EEENS1_38merge_mergepath_config_static_selectorELNS0_4arch9wavefront6targetE1EEEvSF_, .Lfunc_end2445-_ZN7rocprim17ROCPRIM_400000_NS6detail17trampoline_kernelINS0_14default_configENS1_38merge_sort_block_merge_config_selectorIyNS0_10empty_typeEEEZZNS1_27merge_sort_block_merge_implIS3_PyPS5_jNS1_19radix_merge_compareILb1ELb1EyNS0_19identity_decomposerEEEEE10hipError_tT0_T1_T2_jT3_P12ihipStream_tbPNSt15iterator_traitsISE_E10value_typeEPNSK_ISF_E10value_typeEPSG_NS1_7vsmem_tEENKUlT_SE_SF_SG_E_clIS8_S8_S9_S9_EESD_ST_SE_SF_SG_EUlST_E0_NS1_11comp_targetILNS1_3genE5ELNS1_11target_archE942ELNS1_3gpuE9ELNS1_3repE0EEENS1_38merge_mergepath_config_static_selectorELNS0_4arch9wavefront6targetE1EEEvSF_
                                        ; -- End function
	.section	.AMDGPU.csdata,"",@progbits
; Kernel info:
; codeLenInByte = 0
; NumSgprs: 4
; NumVgprs: 0
; NumAgprs: 0
; TotalNumVgprs: 0
; ScratchSize: 0
; MemoryBound: 0
; FloatMode: 240
; IeeeMode: 1
; LDSByteSize: 0 bytes/workgroup (compile time only)
; SGPRBlocks: 0
; VGPRBlocks: 0
; NumSGPRsForWavesPerEU: 4
; NumVGPRsForWavesPerEU: 1
; AccumOffset: 4
; Occupancy: 8
; WaveLimiterHint : 0
; COMPUTE_PGM_RSRC2:SCRATCH_EN: 0
; COMPUTE_PGM_RSRC2:USER_SGPR: 6
; COMPUTE_PGM_RSRC2:TRAP_HANDLER: 0
; COMPUTE_PGM_RSRC2:TGID_X_EN: 1
; COMPUTE_PGM_RSRC2:TGID_Y_EN: 0
; COMPUTE_PGM_RSRC2:TGID_Z_EN: 0
; COMPUTE_PGM_RSRC2:TIDIG_COMP_CNT: 0
; COMPUTE_PGM_RSRC3_GFX90A:ACCUM_OFFSET: 0
; COMPUTE_PGM_RSRC3_GFX90A:TG_SPLIT: 0
	.section	.text._ZN7rocprim17ROCPRIM_400000_NS6detail17trampoline_kernelINS0_14default_configENS1_38merge_sort_block_merge_config_selectorIyNS0_10empty_typeEEEZZNS1_27merge_sort_block_merge_implIS3_PyPS5_jNS1_19radix_merge_compareILb1ELb1EyNS0_19identity_decomposerEEEEE10hipError_tT0_T1_T2_jT3_P12ihipStream_tbPNSt15iterator_traitsISE_E10value_typeEPNSK_ISF_E10value_typeEPSG_NS1_7vsmem_tEENKUlT_SE_SF_SG_E_clIS8_S8_S9_S9_EESD_ST_SE_SF_SG_EUlST_E0_NS1_11comp_targetILNS1_3genE4ELNS1_11target_archE910ELNS1_3gpuE8ELNS1_3repE0EEENS1_38merge_mergepath_config_static_selectorELNS0_4arch9wavefront6targetE1EEEvSF_,"axG",@progbits,_ZN7rocprim17ROCPRIM_400000_NS6detail17trampoline_kernelINS0_14default_configENS1_38merge_sort_block_merge_config_selectorIyNS0_10empty_typeEEEZZNS1_27merge_sort_block_merge_implIS3_PyPS5_jNS1_19radix_merge_compareILb1ELb1EyNS0_19identity_decomposerEEEEE10hipError_tT0_T1_T2_jT3_P12ihipStream_tbPNSt15iterator_traitsISE_E10value_typeEPNSK_ISF_E10value_typeEPSG_NS1_7vsmem_tEENKUlT_SE_SF_SG_E_clIS8_S8_S9_S9_EESD_ST_SE_SF_SG_EUlST_E0_NS1_11comp_targetILNS1_3genE4ELNS1_11target_archE910ELNS1_3gpuE8ELNS1_3repE0EEENS1_38merge_mergepath_config_static_selectorELNS0_4arch9wavefront6targetE1EEEvSF_,comdat
	.protected	_ZN7rocprim17ROCPRIM_400000_NS6detail17trampoline_kernelINS0_14default_configENS1_38merge_sort_block_merge_config_selectorIyNS0_10empty_typeEEEZZNS1_27merge_sort_block_merge_implIS3_PyPS5_jNS1_19radix_merge_compareILb1ELb1EyNS0_19identity_decomposerEEEEE10hipError_tT0_T1_T2_jT3_P12ihipStream_tbPNSt15iterator_traitsISE_E10value_typeEPNSK_ISF_E10value_typeEPSG_NS1_7vsmem_tEENKUlT_SE_SF_SG_E_clIS8_S8_S9_S9_EESD_ST_SE_SF_SG_EUlST_E0_NS1_11comp_targetILNS1_3genE4ELNS1_11target_archE910ELNS1_3gpuE8ELNS1_3repE0EEENS1_38merge_mergepath_config_static_selectorELNS0_4arch9wavefront6targetE1EEEvSF_ ; -- Begin function _ZN7rocprim17ROCPRIM_400000_NS6detail17trampoline_kernelINS0_14default_configENS1_38merge_sort_block_merge_config_selectorIyNS0_10empty_typeEEEZZNS1_27merge_sort_block_merge_implIS3_PyPS5_jNS1_19radix_merge_compareILb1ELb1EyNS0_19identity_decomposerEEEEE10hipError_tT0_T1_T2_jT3_P12ihipStream_tbPNSt15iterator_traitsISE_E10value_typeEPNSK_ISF_E10value_typeEPSG_NS1_7vsmem_tEENKUlT_SE_SF_SG_E_clIS8_S8_S9_S9_EESD_ST_SE_SF_SG_EUlST_E0_NS1_11comp_targetILNS1_3genE4ELNS1_11target_archE910ELNS1_3gpuE8ELNS1_3repE0EEENS1_38merge_mergepath_config_static_selectorELNS0_4arch9wavefront6targetE1EEEvSF_
	.globl	_ZN7rocprim17ROCPRIM_400000_NS6detail17trampoline_kernelINS0_14default_configENS1_38merge_sort_block_merge_config_selectorIyNS0_10empty_typeEEEZZNS1_27merge_sort_block_merge_implIS3_PyPS5_jNS1_19radix_merge_compareILb1ELb1EyNS0_19identity_decomposerEEEEE10hipError_tT0_T1_T2_jT3_P12ihipStream_tbPNSt15iterator_traitsISE_E10value_typeEPNSK_ISF_E10value_typeEPSG_NS1_7vsmem_tEENKUlT_SE_SF_SG_E_clIS8_S8_S9_S9_EESD_ST_SE_SF_SG_EUlST_E0_NS1_11comp_targetILNS1_3genE4ELNS1_11target_archE910ELNS1_3gpuE8ELNS1_3repE0EEENS1_38merge_mergepath_config_static_selectorELNS0_4arch9wavefront6targetE1EEEvSF_
	.p2align	8
	.type	_ZN7rocprim17ROCPRIM_400000_NS6detail17trampoline_kernelINS0_14default_configENS1_38merge_sort_block_merge_config_selectorIyNS0_10empty_typeEEEZZNS1_27merge_sort_block_merge_implIS3_PyPS5_jNS1_19radix_merge_compareILb1ELb1EyNS0_19identity_decomposerEEEEE10hipError_tT0_T1_T2_jT3_P12ihipStream_tbPNSt15iterator_traitsISE_E10value_typeEPNSK_ISF_E10value_typeEPSG_NS1_7vsmem_tEENKUlT_SE_SF_SG_E_clIS8_S8_S9_S9_EESD_ST_SE_SF_SG_EUlST_E0_NS1_11comp_targetILNS1_3genE4ELNS1_11target_archE910ELNS1_3gpuE8ELNS1_3repE0EEENS1_38merge_mergepath_config_static_selectorELNS0_4arch9wavefront6targetE1EEEvSF_,@function
_ZN7rocprim17ROCPRIM_400000_NS6detail17trampoline_kernelINS0_14default_configENS1_38merge_sort_block_merge_config_selectorIyNS0_10empty_typeEEEZZNS1_27merge_sort_block_merge_implIS3_PyPS5_jNS1_19radix_merge_compareILb1ELb1EyNS0_19identity_decomposerEEEEE10hipError_tT0_T1_T2_jT3_P12ihipStream_tbPNSt15iterator_traitsISE_E10value_typeEPNSK_ISF_E10value_typeEPSG_NS1_7vsmem_tEENKUlT_SE_SF_SG_E_clIS8_S8_S9_S9_EESD_ST_SE_SF_SG_EUlST_E0_NS1_11comp_targetILNS1_3genE4ELNS1_11target_archE910ELNS1_3gpuE8ELNS1_3repE0EEENS1_38merge_mergepath_config_static_selectorELNS0_4arch9wavefront6targetE1EEEvSF_: ; @_ZN7rocprim17ROCPRIM_400000_NS6detail17trampoline_kernelINS0_14default_configENS1_38merge_sort_block_merge_config_selectorIyNS0_10empty_typeEEEZZNS1_27merge_sort_block_merge_implIS3_PyPS5_jNS1_19radix_merge_compareILb1ELb1EyNS0_19identity_decomposerEEEEE10hipError_tT0_T1_T2_jT3_P12ihipStream_tbPNSt15iterator_traitsISE_E10value_typeEPNSK_ISF_E10value_typeEPSG_NS1_7vsmem_tEENKUlT_SE_SF_SG_E_clIS8_S8_S9_S9_EESD_ST_SE_SF_SG_EUlST_E0_NS1_11comp_targetILNS1_3genE4ELNS1_11target_archE910ELNS1_3gpuE8ELNS1_3repE0EEENS1_38merge_mergepath_config_static_selectorELNS0_4arch9wavefront6targetE1EEEvSF_
; %bb.0:
	s_load_dwordx2 s[14:15], s[4:5], 0x48
	s_load_dword s3, s[4:5], 0x30
	s_add_u32 s0, s4, 0x48
	s_addc_u32 s1, s5, 0
	s_waitcnt lgkmcnt(0)
	s_mul_i32 s2, s15, s8
	s_add_i32 s2, s2, s7
	s_mul_i32 s2, s2, s14
	s_add_i32 s2, s2, s6
	s_cmp_ge_u32 s2, s3
	s_cbranch_scc1 .LBB2446_31
; %bb.1:
	s_load_dwordx2 s[8:9], s[4:5], 0x28
	s_load_dwordx2 s[10:11], s[4:5], 0x40
	;; [unrolled: 1-line block ×3, first 2 shown]
	s_mov_b32 s3, 0
	s_mov_b32 s25, s3
	s_waitcnt lgkmcnt(0)
	s_lshr_b32 s7, s8, 10
	s_cmp_lg_u32 s2, s7
	s_cselect_b64 s[12:13], -1, 0
	s_lshl_b64 s[16:17], s[2:3], 2
	s_add_u32 s10, s10, s16
	s_addc_u32 s11, s11, s17
	s_load_dwordx2 s[18:19], s[10:11], 0x0
	s_lshr_b32 s10, s9, 9
	s_and_b32 s10, s10, 0x7ffffe
	s_sub_i32 s11, 0, s10
	s_and_b32 s15, s2, s11
	s_lshl_b32 s16, s15, 10
	s_lshl_b32 s10, s2, 10
	s_lshl_b32 s15, s15, 11
	s_sub_i32 s17, s10, s16
	s_add_i32 s15, s15, s9
	s_add_i32 s17, s15, s17
	s_waitcnt lgkmcnt(0)
	s_sub_i32 s20, s17, s18
	s_sub_i32 s17, s17, s19
	;; [unrolled: 1-line block ×3, first 2 shown]
	s_min_u32 s24, s8, s20
	s_addk_i32 s17, 0x400
	s_or_b32 s11, s2, s11
	s_min_u32 s16, s8, s15
	s_add_i32 s15, s15, s9
	s_cmp_eq_u32 s11, -1
	s_cselect_b32 s9, s15, s17
	s_cselect_b32 s11, s16, s19
	s_min_u32 s15, s9, s8
	s_mov_b32 s19, s3
	s_sub_i32 s9, s11, s18
	s_sub_i32 s16, s15, s24
	s_lshl_b64 s[20:21], s[18:19], 3
	s_add_u32 s19, s22, s20
	s_addc_u32 s20, s23, s21
	s_lshl_b64 s[24:25], s[24:25], 3
	s_add_u32 s17, s22, s24
	s_addc_u32 s18, s23, s25
	s_cmp_lt_u32 s6, s14
	v_mov_b32_e32 v9, 0
	s_cselect_b32 s3, 12, 18
	global_load_dword v1, v9, s[0:1] offset:14
	s_add_u32 s0, s0, s3
	s_addc_u32 s1, s1, 0
	global_load_ushort v2, v9, s[0:1]
	s_cmp_eq_u32 s2, s7
	s_waitcnt vmcnt(1)
	v_lshrrev_b32_e32 v3, 16, v1
	v_and_b32_e32 v1, 0xffff, v1
	v_mul_lo_u32 v1, v1, v3
	s_waitcnt vmcnt(0)
	v_mul_lo_u32 v14, v1, v2
	v_add_u32_e32 v12, v14, v0
	v_lshlrev_b32_e32 v1, 3, v0
	v_add_u32_e32 v10, v12, v14
	s_cbranch_scc1 .LBB2446_3
; %bb.2:
	v_mov_b32_e32 v2, s20
	v_add_co_u32_e32 v4, vcc, s19, v1
	v_subrev_u32_e32 v8, s9, v0
	v_addc_co_u32_e32 v5, vcc, 0, v2, vcc
	v_lshlrev_b64 v[2:3], 3, v[8:9]
	v_mov_b32_e32 v6, s18
	v_add_co_u32_e32 v2, vcc, s17, v2
	v_addc_co_u32_e32 v3, vcc, v6, v3, vcc
	v_cmp_gt_u32_e32 vcc, s9, v0
	v_mov_b32_e32 v13, v9
	v_cndmask_b32_e32 v3, v3, v5, vcc
	v_cndmask_b32_e32 v2, v2, v4, vcc
	v_lshlrev_b64 v[4:5], 3, v[12:13]
	v_mov_b32_e32 v6, s20
	v_add_co_u32_e32 v7, vcc, s19, v4
	v_subrev_u32_e32 v8, s9, v12
	v_addc_co_u32_e32 v6, vcc, v6, v5, vcc
	v_lshlrev_b64 v[4:5], 3, v[8:9]
	v_mov_b32_e32 v8, s18
	v_add_co_u32_e32 v4, vcc, s17, v4
	v_addc_co_u32_e32 v5, vcc, v8, v5, vcc
	v_cmp_gt_u32_e32 vcc, s9, v12
	v_mov_b32_e32 v11, v9
	v_cndmask_b32_e32 v5, v5, v6, vcc
	v_cndmask_b32_e32 v4, v4, v7, vcc
	v_lshlrev_b64 v[6:7], 3, v[10:11]
	v_mov_b32_e32 v8, s20
	v_add_co_u32_e32 v11, vcc, s19, v6
	v_addc_co_u32_e32 v13, vcc, v8, v7, vcc
	v_subrev_u32_e32 v8, s9, v10
	v_lshlrev_b64 v[6:7], 3, v[8:9]
	v_mov_b32_e32 v8, s18
	v_add_co_u32_e32 v6, vcc, s17, v6
	v_addc_co_u32_e32 v7, vcc, v8, v7, vcc
	v_add_u32_e32 v8, v10, v14
	v_cmp_gt_u32_e32 vcc, s9, v10
	v_lshlrev_b64 v[16:17], 3, v[8:9]
	v_cndmask_b32_e32 v7, v7, v13, vcc
	v_cndmask_b32_e32 v6, v6, v11, vcc
	v_mov_b32_e32 v11, s20
	v_add_co_u32_e32 v13, vcc, s19, v16
	v_addc_co_u32_e32 v11, vcc, v11, v17, vcc
	v_cmp_gt_u32_e32 vcc, s9, v8
	v_subrev_u32_e32 v8, s9, v8
	v_lshlrev_b64 v[8:9], 3, v[8:9]
	v_mov_b32_e32 v15, s18
	v_add_co_u32_e64 v8, s[0:1], s17, v8
	v_addc_co_u32_e64 v9, s[0:1], v15, v9, s[0:1]
	v_cndmask_b32_e32 v9, v9, v11, vcc
	v_cndmask_b32_e32 v8, v8, v13, vcc
	global_load_dwordx2 v[2:3], v[2:3], off
	s_add_i32 s11, s16, s9
	global_load_dwordx2 v[4:5], v[4:5], off
	s_nop 0
	global_load_dwordx2 v[6:7], v[6:7], off
	s_nop 0
	global_load_dwordx2 v[8:9], v[8:9], off
	s_load_dwordx2 s[6:7], s[4:5], 0x10
	s_load_dwordx2 s[14:15], s[4:5], 0x38
	s_cbranch_execz .LBB2446_4
	s_branch .LBB2446_11
.LBB2446_3:
                                        ; implicit-def: $vgpr2_vgpr3_vgpr4_vgpr5_vgpr6_vgpr7_vgpr8_vgpr9
                                        ; implicit-def: $sgpr11
	s_load_dwordx2 s[6:7], s[4:5], 0x10
	s_load_dwordx2 s[14:15], s[4:5], 0x38
.LBB2446_4:
	s_add_i32 s11, s16, s9
	v_cmp_gt_u32_e32 vcc, s11, v0
                                        ; implicit-def: $vgpr2_vgpr3_vgpr4_vgpr5_vgpr6_vgpr7_vgpr8_vgpr9
	s_and_saveexec_b64 s[0:1], vcc
	s_cbranch_execnz .LBB2446_32
; %bb.5:
	s_or_b64 exec, exec, s[0:1]
	v_cmp_gt_u32_e32 vcc, s11, v12
	s_and_saveexec_b64 s[2:3], vcc
	s_cbranch_execnz .LBB2446_33
.LBB2446_6:
	s_or_b64 exec, exec, s[2:3]
	v_cmp_gt_u32_e32 vcc, s11, v10
	s_and_saveexec_b64 s[0:1], vcc
	s_cbranch_execz .LBB2446_8
.LBB2446_7:
	v_mov_b32_e32 v11, 0
	s_waitcnt vmcnt(1)
	v_lshlrev_b64 v[6:7], 3, v[10:11]
	v_mov_b32_e32 v12, s20
	v_add_co_u32_e32 v13, vcc, s19, v6
	v_addc_co_u32_e32 v12, vcc, v12, v7, vcc
	v_subrev_u32_e32 v6, s9, v10
	v_mov_b32_e32 v7, v11
	v_lshlrev_b64 v[6:7], 3, v[6:7]
	v_mov_b32_e32 v11, s18
	v_add_co_u32_e32 v6, vcc, s17, v6
	v_addc_co_u32_e32 v7, vcc, v11, v7, vcc
	v_cmp_gt_u32_e32 vcc, s9, v10
	v_cndmask_b32_e32 v7, v7, v12, vcc
	v_cndmask_b32_e32 v6, v6, v13, vcc
	global_load_dwordx2 v[6:7], v[6:7], off
.LBB2446_8:
	s_or_b64 exec, exec, s[0:1]
	v_add_u32_e32 v10, v10, v14
	v_cmp_gt_u32_e32 vcc, s11, v10
	s_and_saveexec_b64 s[2:3], vcc
	s_cbranch_execz .LBB2446_10
; %bb.9:
	v_mov_b32_e32 v11, 0
	s_waitcnt vmcnt(0)
	v_lshlrev_b64 v[8:9], 3, v[10:11]
	v_mov_b32_e32 v12, s20
	v_add_co_u32_e32 v13, vcc, s19, v8
	v_addc_co_u32_e32 v12, vcc, v12, v9, vcc
	v_cmp_gt_u32_e32 vcc, s9, v10
	v_subrev_u32_e32 v10, s9, v10
	v_lshlrev_b64 v[8:9], 3, v[10:11]
	v_mov_b32_e32 v10, s18
	v_add_co_u32_e64 v8, s[0:1], s17, v8
	v_addc_co_u32_e64 v9, s[0:1], v10, v9, s[0:1]
	v_cndmask_b32_e32 v9, v9, v12, vcc
	v_cndmask_b32_e32 v8, v8, v13, vcc
	global_load_dwordx2 v[8:9], v[8:9], off
.LBB2446_10:
	s_or_b64 exec, exec, s[2:3]
.LBB2446_11:
	v_lshlrev_b32_e32 v10, 2, v0
	v_min_u32_e32 v12, s11, v10
	v_sub_u32_e64 v11, v12, s16 clamp
	v_min_u32_e32 v13, s9, v12
	v_cmp_lt_u32_e32 vcc, v11, v13
	s_waitcnt vmcnt(0)
	ds_write2st64_b64 v1, v[2:3], v[4:5] offset1:4
	ds_write2st64_b64 v1, v[6:7], v[8:9] offset0:8 offset1:12
	s_waitcnt lgkmcnt(0)
	s_barrier
	s_and_saveexec_b64 s[0:1], vcc
	s_cbranch_execz .LBB2446_15
; %bb.12:
	v_lshlrev_b32_e32 v14, 3, v12
	v_lshl_add_u32 v14, s9, 3, v14
	s_mov_b64 s[2:3], 0
.LBB2446_13:                            ; =>This Inner Loop Header: Depth=1
	v_add_u32_e32 v15, v13, v11
	v_lshrrev_b32_e32 v15, 1, v15
	v_not_b32_e32 v18, v15
	v_lshlrev_b32_e32 v16, 3, v15
	v_lshl_add_u32 v18, v18, 3, v14
	ds_read_b64 v[16:17], v16
	ds_read_b64 v[18:19], v18
	v_add_u32_e32 v20, 1, v15
	s_waitcnt lgkmcnt(1)
	v_and_b32_e32 v17, s15, v17
	v_and_b32_e32 v16, s14, v16
	s_waitcnt lgkmcnt(0)
	v_and_b32_e32 v19, s15, v19
	v_and_b32_e32 v18, s14, v18
	v_cmp_gt_u64_e32 vcc, v[18:19], v[16:17]
	v_cndmask_b32_e32 v13, v13, v15, vcc
	v_cndmask_b32_e32 v11, v20, v11, vcc
	v_cmp_ge_u32_e32 vcc, v11, v13
	s_or_b64 s[2:3], vcc, s[2:3]
	s_andn2_b64 exec, exec, s[2:3]
	s_cbranch_execnz .LBB2446_13
; %bb.14:
	s_or_b64 exec, exec, s[2:3]
.LBB2446_15:
	s_or_b64 exec, exec, s[0:1]
	v_sub_u32_e32 v12, v12, v11
	v_add_u32_e32 v12, s9, v12
	v_cmp_ge_u32_e32 vcc, s9, v11
	v_cmp_ge_u32_e64 s[0:1], s11, v12
	s_or_b64 s[0:1], vcc, s[0:1]
	s_and_saveexec_b64 s[16:17], s[0:1]
	s_cbranch_execz .LBB2446_21
; %bb.16:
	v_cmp_gt_u32_e32 vcc, s9, v11
                                        ; implicit-def: $vgpr2_vgpr3
	s_and_saveexec_b64 s[0:1], vcc
	s_cbranch_execz .LBB2446_18
; %bb.17:
	v_lshlrev_b32_e32 v2, 3, v11
	ds_read_b64 v[2:3], v2
.LBB2446_18:
	s_or_b64 exec, exec, s[0:1]
	v_cmp_le_u32_e64 s[0:1], s11, v12
	v_cmp_gt_u32_e64 s[2:3], s11, v12
                                        ; implicit-def: $vgpr4_vgpr5
	s_and_saveexec_b64 s[4:5], s[2:3]
	s_cbranch_execz .LBB2446_20
; %bb.19:
	v_lshlrev_b32_e32 v4, 3, v12
	ds_read_b64 v[4:5], v4
.LBB2446_20:
	s_or_b64 exec, exec, s[4:5]
	s_waitcnt lgkmcnt(0)
	v_and_b32_e32 v7, s15, v5
	v_and_b32_e32 v6, s14, v4
	;; [unrolled: 1-line block ×4, first 2 shown]
	v_cmp_le_u64_e64 s[2:3], v[6:7], v[8:9]
	s_and_b64 s[2:3], vcc, s[2:3]
	s_or_b64 vcc, s[0:1], s[2:3]
	v_mov_b32_e32 v13, s11
	v_mov_b32_e32 v14, s9
	v_cndmask_b32_e32 v6, v12, v11, vcc
	v_cndmask_b32_e32 v7, v13, v14, vcc
	v_add_u32_e32 v8, 1, v6
	v_add_u32_e32 v6, -1, v7
	v_min_u32_e32 v6, v8, v6
	v_lshlrev_b32_e32 v6, 3, v6
	ds_read_b64 v[6:7], v6
	v_cndmask_b32_e32 v12, v8, v12, vcc
	v_cndmask_b32_e32 v11, v11, v8, vcc
	v_cmp_gt_u32_e64 s[2:3], s9, v11
	v_cmp_le_u32_e64 s[0:1], s11, v12
	s_waitcnt lgkmcnt(0)
	v_cndmask_b32_e32 v15, v7, v5, vcc
	v_cndmask_b32_e32 v16, v6, v4, vcc
	;; [unrolled: 1-line block ×4, first 2 shown]
	v_and_b32_e32 v7, s15, v15
	v_and_b32_e32 v6, s14, v16
	;; [unrolled: 1-line block ×4, first 2 shown]
	v_cmp_le_u64_e64 s[4:5], v[6:7], v[8:9]
	s_and_b64 s[2:3], s[2:3], s[4:5]
	s_or_b64 s[0:1], s[0:1], s[2:3]
	v_cndmask_b32_e64 v6, v12, v11, s[0:1]
	v_cndmask_b32_e64 v7, v13, v14, s[0:1]
	v_add_u32_e32 v8, 1, v6
	v_add_u32_e32 v6, -1, v7
	v_min_u32_e32 v6, v8, v6
	v_lshlrev_b32_e32 v6, 3, v6
	ds_read_b64 v[6:7], v6
	v_cndmask_b32_e32 v3, v5, v3, vcc
	v_cndmask_b32_e32 v2, v4, v2, vcc
	v_cndmask_b32_e64 v11, v11, v8, s[0:1]
	v_cndmask_b32_e64 v12, v8, v12, s[0:1]
	s_waitcnt lgkmcnt(0)
	v_cndmask_b32_e64 v19, v7, v15, s[0:1]
	v_cndmask_b32_e64 v20, v6, v16, s[0:1]
	;; [unrolled: 1-line block ×4, first 2 shown]
	v_and_b32_e32 v5, s15, v19
	v_and_b32_e32 v4, s14, v20
	;; [unrolled: 1-line block ×4, first 2 shown]
	v_cmp_gt_u32_e64 s[2:3], s9, v11
	v_cmp_le_u64_e64 s[4:5], v[4:5], v[6:7]
	v_cmp_le_u32_e32 vcc, s11, v12
	s_and_b64 s[2:3], s[2:3], s[4:5]
	s_or_b64 vcc, vcc, s[2:3]
	v_cndmask_b32_e32 v4, v12, v11, vcc
	v_cndmask_b32_e32 v5, v13, v14, vcc
	v_add_u32_e32 v13, 1, v4
	v_add_u32_e32 v4, -1, v5
	v_min_u32_e32 v4, v13, v4
	v_lshlrev_b32_e32 v4, 3, v4
	ds_read_b64 v[8:9], v4
	v_cndmask_b32_e64 v5, v15, v17, s[0:1]
	v_cndmask_b32_e64 v4, v16, v18, s[0:1]
	v_cndmask_b32_e32 v7, v19, v21, vcc
	v_cndmask_b32_e32 v6, v20, v22, vcc
	s_waitcnt lgkmcnt(0)
	v_cndmask_b32_e32 v14, v9, v19, vcc
	v_cndmask_b32_e32 v15, v8, v20, vcc
	;; [unrolled: 1-line block ×6, first 2 shown]
	v_cmp_le_u32_e32 vcc, s11, v8
	v_cmp_gt_u32_e64 s[0:1], s9, v9
	v_and_b32_e32 v9, s15, v14
	v_and_b32_e32 v8, s14, v15
	v_and_b32_e32 v13, s15, v16
	v_and_b32_e32 v12, s14, v17
	v_cmp_le_u64_e64 s[2:3], v[8:9], v[12:13]
	s_and_b64 s[0:1], s[0:1], s[2:3]
	s_or_b64 vcc, vcc, s[0:1]
	v_cndmask_b32_e32 v9, v14, v16, vcc
	v_cndmask_b32_e32 v8, v15, v17, vcc
.LBB2446_21:
	s_or_b64 exec, exec, s[16:17]
	v_and_b32_e32 v11, 0xf8, v0
	v_lshl_add_u32 v10, v10, 3, v11
	s_barrier
	s_barrier
	ds_write2_b64 v10, v[2:3], v[4:5] offset1:1
	ds_write2_b64 v10, v[6:7], v[8:9] offset0:2 offset1:3
	v_lshrrev_b32_e32 v2, 2, v0
	v_and_b32_e32 v2, 56, v2
	v_or_b32_e32 v12, 0x100, v0
	v_add_u32_e32 v13, v1, v2
	v_lshrrev_b32_e32 v2, 2, v12
	v_and_b32_e32 v2, 0x78, v2
	v_or_b32_e32 v11, 0x200, v0
	s_mov_b32 s11, 0
	v_add_u32_e32 v6, v1, v2
	v_lshrrev_b32_e32 v2, 2, v11
	s_lshl_b64 s[0:1], s[10:11], 3
	v_and_b32_e32 v2, 0xb8, v2
	v_or_b32_e32 v10, 0x300, v0
	s_add_u32 s0, s6, s0
	v_add_u32_e32 v7, v1, v2
	v_lshrrev_b32_e32 v2, 2, v10
	s_addc_u32 s1, s7, s1
	v_and_b32_e32 v2, 0xf8, v2
	v_add_u32_e32 v14, v1, v2
	v_mov_b32_e32 v3, s1
	v_add_co_u32_e32 v2, vcc, s0, v1
	v_addc_co_u32_e32 v3, vcc, 0, v3, vcc
	s_and_b64 vcc, exec, s[12:13]
	s_waitcnt lgkmcnt(0)
	s_cbranch_vccz .LBB2446_23
; %bb.22:
	s_barrier
	ds_read_b64 v[8:9], v13
	ds_read_b64 v[16:17], v6 offset:2048
	ds_read_b64 v[18:19], v7 offset:4096
	;; [unrolled: 1-line block ×3, first 2 shown]
	s_waitcnt lgkmcnt(3)
	global_store_dwordx2 v[2:3], v[8:9], off
	s_waitcnt lgkmcnt(2)
	global_store_dwordx2 v[2:3], v[16:17], off offset:2048
	v_add_co_u32_e32 v8, vcc, 0x1000, v2
	v_addc_co_u32_e32 v9, vcc, 0, v3, vcc
	s_waitcnt lgkmcnt(1)
	global_store_dwordx2 v[8:9], v[18:19], off
	s_mov_b64 s[0:1], -1
	s_cbranch_execz .LBB2446_24
	s_branch .LBB2446_29
.LBB2446_23:
	s_mov_b64 s[0:1], 0
                                        ; implicit-def: $vgpr4_vgpr5
.LBB2446_24:
	s_barrier
	s_waitcnt lgkmcnt(0)
	ds_read_b64 v[8:9], v6 offset:2048
	ds_read_b64 v[6:7], v7 offset:4096
	;; [unrolled: 1-line block ×3, first 2 shown]
	s_sub_i32 s2, s8, s10
	v_cmp_gt_u32_e32 vcc, s2, v0
	s_and_saveexec_b64 s[0:1], vcc
	s_cbranch_execnz .LBB2446_34
; %bb.25:
	s_or_b64 exec, exec, s[0:1]
	v_cmp_gt_u32_e32 vcc, s2, v12
	s_and_saveexec_b64 s[0:1], vcc
	s_cbranch_execnz .LBB2446_35
.LBB2446_26:
	s_or_b64 exec, exec, s[0:1]
	v_cmp_gt_u32_e32 vcc, s2, v11
	s_and_saveexec_b64 s[0:1], vcc
	s_cbranch_execz .LBB2446_28
.LBB2446_27:
	v_add_co_u32_e32 v0, vcc, 0x1000, v2
	v_addc_co_u32_e32 v1, vcc, 0, v3, vcc
	s_waitcnt lgkmcnt(1)
	global_store_dwordx2 v[0:1], v[6:7], off
.LBB2446_28:
	s_or_b64 exec, exec, s[0:1]
	v_cmp_gt_u32_e64 s[0:1], s2, v10
.LBB2446_29:
	s_and_saveexec_b64 s[2:3], s[0:1]
	s_cbranch_execz .LBB2446_31
; %bb.30:
	v_add_co_u32_e32 v0, vcc, 0x1000, v2
	v_addc_co_u32_e32 v1, vcc, 0, v3, vcc
	s_waitcnt lgkmcnt(0)
	global_store_dwordx2 v[0:1], v[4:5], off offset:2048
.LBB2446_31:
	s_endpgm
.LBB2446_32:
	s_waitcnt vmcnt(3)
	v_mov_b32_e32 v2, s20
	s_waitcnt vmcnt(2)
	v_add_co_u32_e32 v4, vcc, s19, v1
	v_mov_b32_e32 v3, 0
	v_addc_co_u32_e32 v5, vcc, 0, v2, vcc
	v_subrev_u32_e32 v2, s9, v0
	v_lshlrev_b64 v[2:3], 3, v[2:3]
	s_waitcnt vmcnt(1)
	v_mov_b32_e32 v6, s18
	v_add_co_u32_e32 v2, vcc, s17, v2
	v_addc_co_u32_e32 v3, vcc, v6, v3, vcc
	v_cmp_gt_u32_e32 vcc, s9, v0
	v_cndmask_b32_e32 v3, v3, v5, vcc
	v_cndmask_b32_e32 v2, v2, v4, vcc
	global_load_dwordx2 v[2:3], v[2:3], off
	s_or_b64 exec, exec, s[0:1]
	v_cmp_gt_u32_e32 vcc, s11, v12
	s_and_saveexec_b64 s[2:3], vcc
	s_cbranch_execz .LBB2446_6
.LBB2446_33:
	v_mov_b32_e32 v13, 0
	s_waitcnt vmcnt(2)
	v_lshlrev_b64 v[4:5], 3, v[12:13]
	v_mov_b32_e32 v11, s20
	v_add_co_u32_e32 v15, vcc, s19, v4
	v_addc_co_u32_e32 v11, vcc, v11, v5, vcc
	v_cmp_gt_u32_e32 vcc, s9, v12
	v_subrev_u32_e32 v12, s9, v12
	v_lshlrev_b64 v[4:5], 3, v[12:13]
	v_mov_b32_e32 v12, s18
	v_add_co_u32_e64 v4, s[0:1], s17, v4
	v_addc_co_u32_e64 v5, s[0:1], v12, v5, s[0:1]
	v_cndmask_b32_e32 v5, v5, v11, vcc
	v_cndmask_b32_e32 v4, v4, v15, vcc
	global_load_dwordx2 v[4:5], v[4:5], off
	s_or_b64 exec, exec, s[2:3]
	v_cmp_gt_u32_e32 vcc, s11, v10
	s_and_saveexec_b64 s[0:1], vcc
	s_cbranch_execnz .LBB2446_7
	s_branch .LBB2446_8
.LBB2446_34:
	ds_read_b64 v[0:1], v13
	s_waitcnt lgkmcnt(0)
	global_store_dwordx2 v[2:3], v[0:1], off
	s_or_b64 exec, exec, s[0:1]
	v_cmp_gt_u32_e32 vcc, s2, v12
	s_and_saveexec_b64 s[0:1], vcc
	s_cbranch_execz .LBB2446_26
.LBB2446_35:
	s_waitcnt lgkmcnt(2)
	global_store_dwordx2 v[2:3], v[8:9], off offset:2048
	s_or_b64 exec, exec, s[0:1]
	v_cmp_gt_u32_e32 vcc, s2, v11
	s_and_saveexec_b64 s[0:1], vcc
	s_cbranch_execnz .LBB2446_27
	s_branch .LBB2446_28
	.section	.rodata,"a",@progbits
	.p2align	6, 0x0
	.amdhsa_kernel _ZN7rocprim17ROCPRIM_400000_NS6detail17trampoline_kernelINS0_14default_configENS1_38merge_sort_block_merge_config_selectorIyNS0_10empty_typeEEEZZNS1_27merge_sort_block_merge_implIS3_PyPS5_jNS1_19radix_merge_compareILb1ELb1EyNS0_19identity_decomposerEEEEE10hipError_tT0_T1_T2_jT3_P12ihipStream_tbPNSt15iterator_traitsISE_E10value_typeEPNSK_ISF_E10value_typeEPSG_NS1_7vsmem_tEENKUlT_SE_SF_SG_E_clIS8_S8_S9_S9_EESD_ST_SE_SF_SG_EUlST_E0_NS1_11comp_targetILNS1_3genE4ELNS1_11target_archE910ELNS1_3gpuE8ELNS1_3repE0EEENS1_38merge_mergepath_config_static_selectorELNS0_4arch9wavefront6targetE1EEEvSF_
		.amdhsa_group_segment_fixed_size 8448
		.amdhsa_private_segment_fixed_size 0
		.amdhsa_kernarg_size 328
		.amdhsa_user_sgpr_count 6
		.amdhsa_user_sgpr_private_segment_buffer 1
		.amdhsa_user_sgpr_dispatch_ptr 0
		.amdhsa_user_sgpr_queue_ptr 0
		.amdhsa_user_sgpr_kernarg_segment_ptr 1
		.amdhsa_user_sgpr_dispatch_id 0
		.amdhsa_user_sgpr_flat_scratch_init 0
		.amdhsa_user_sgpr_kernarg_preload_length 0
		.amdhsa_user_sgpr_kernarg_preload_offset 0
		.amdhsa_user_sgpr_private_segment_size 0
		.amdhsa_uses_dynamic_stack 0
		.amdhsa_system_sgpr_private_segment_wavefront_offset 0
		.amdhsa_system_sgpr_workgroup_id_x 1
		.amdhsa_system_sgpr_workgroup_id_y 1
		.amdhsa_system_sgpr_workgroup_id_z 1
		.amdhsa_system_sgpr_workgroup_info 0
		.amdhsa_system_vgpr_workitem_id 0
		.amdhsa_next_free_vgpr 23
		.amdhsa_next_free_sgpr 26
		.amdhsa_accum_offset 24
		.amdhsa_reserve_vcc 1
		.amdhsa_reserve_flat_scratch 0
		.amdhsa_float_round_mode_32 0
		.amdhsa_float_round_mode_16_64 0
		.amdhsa_float_denorm_mode_32 3
		.amdhsa_float_denorm_mode_16_64 3
		.amdhsa_dx10_clamp 1
		.amdhsa_ieee_mode 1
		.amdhsa_fp16_overflow 0
		.amdhsa_tg_split 0
		.amdhsa_exception_fp_ieee_invalid_op 0
		.amdhsa_exception_fp_denorm_src 0
		.amdhsa_exception_fp_ieee_div_zero 0
		.amdhsa_exception_fp_ieee_overflow 0
		.amdhsa_exception_fp_ieee_underflow 0
		.amdhsa_exception_fp_ieee_inexact 0
		.amdhsa_exception_int_div_zero 0
	.end_amdhsa_kernel
	.section	.text._ZN7rocprim17ROCPRIM_400000_NS6detail17trampoline_kernelINS0_14default_configENS1_38merge_sort_block_merge_config_selectorIyNS0_10empty_typeEEEZZNS1_27merge_sort_block_merge_implIS3_PyPS5_jNS1_19radix_merge_compareILb1ELb1EyNS0_19identity_decomposerEEEEE10hipError_tT0_T1_T2_jT3_P12ihipStream_tbPNSt15iterator_traitsISE_E10value_typeEPNSK_ISF_E10value_typeEPSG_NS1_7vsmem_tEENKUlT_SE_SF_SG_E_clIS8_S8_S9_S9_EESD_ST_SE_SF_SG_EUlST_E0_NS1_11comp_targetILNS1_3genE4ELNS1_11target_archE910ELNS1_3gpuE8ELNS1_3repE0EEENS1_38merge_mergepath_config_static_selectorELNS0_4arch9wavefront6targetE1EEEvSF_,"axG",@progbits,_ZN7rocprim17ROCPRIM_400000_NS6detail17trampoline_kernelINS0_14default_configENS1_38merge_sort_block_merge_config_selectorIyNS0_10empty_typeEEEZZNS1_27merge_sort_block_merge_implIS3_PyPS5_jNS1_19radix_merge_compareILb1ELb1EyNS0_19identity_decomposerEEEEE10hipError_tT0_T1_T2_jT3_P12ihipStream_tbPNSt15iterator_traitsISE_E10value_typeEPNSK_ISF_E10value_typeEPSG_NS1_7vsmem_tEENKUlT_SE_SF_SG_E_clIS8_S8_S9_S9_EESD_ST_SE_SF_SG_EUlST_E0_NS1_11comp_targetILNS1_3genE4ELNS1_11target_archE910ELNS1_3gpuE8ELNS1_3repE0EEENS1_38merge_mergepath_config_static_selectorELNS0_4arch9wavefront6targetE1EEEvSF_,comdat
.Lfunc_end2446:
	.size	_ZN7rocprim17ROCPRIM_400000_NS6detail17trampoline_kernelINS0_14default_configENS1_38merge_sort_block_merge_config_selectorIyNS0_10empty_typeEEEZZNS1_27merge_sort_block_merge_implIS3_PyPS5_jNS1_19radix_merge_compareILb1ELb1EyNS0_19identity_decomposerEEEEE10hipError_tT0_T1_T2_jT3_P12ihipStream_tbPNSt15iterator_traitsISE_E10value_typeEPNSK_ISF_E10value_typeEPSG_NS1_7vsmem_tEENKUlT_SE_SF_SG_E_clIS8_S8_S9_S9_EESD_ST_SE_SF_SG_EUlST_E0_NS1_11comp_targetILNS1_3genE4ELNS1_11target_archE910ELNS1_3gpuE8ELNS1_3repE0EEENS1_38merge_mergepath_config_static_selectorELNS0_4arch9wavefront6targetE1EEEvSF_, .Lfunc_end2446-_ZN7rocprim17ROCPRIM_400000_NS6detail17trampoline_kernelINS0_14default_configENS1_38merge_sort_block_merge_config_selectorIyNS0_10empty_typeEEEZZNS1_27merge_sort_block_merge_implIS3_PyPS5_jNS1_19radix_merge_compareILb1ELb1EyNS0_19identity_decomposerEEEEE10hipError_tT0_T1_T2_jT3_P12ihipStream_tbPNSt15iterator_traitsISE_E10value_typeEPNSK_ISF_E10value_typeEPSG_NS1_7vsmem_tEENKUlT_SE_SF_SG_E_clIS8_S8_S9_S9_EESD_ST_SE_SF_SG_EUlST_E0_NS1_11comp_targetILNS1_3genE4ELNS1_11target_archE910ELNS1_3gpuE8ELNS1_3repE0EEENS1_38merge_mergepath_config_static_selectorELNS0_4arch9wavefront6targetE1EEEvSF_
                                        ; -- End function
	.section	.AMDGPU.csdata,"",@progbits
; Kernel info:
; codeLenInByte = 2284
; NumSgprs: 30
; NumVgprs: 23
; NumAgprs: 0
; TotalNumVgprs: 23
; ScratchSize: 0
; MemoryBound: 0
; FloatMode: 240
; IeeeMode: 1
; LDSByteSize: 8448 bytes/workgroup (compile time only)
; SGPRBlocks: 3
; VGPRBlocks: 2
; NumSGPRsForWavesPerEU: 30
; NumVGPRsForWavesPerEU: 23
; AccumOffset: 24
; Occupancy: 7
; WaveLimiterHint : 1
; COMPUTE_PGM_RSRC2:SCRATCH_EN: 0
; COMPUTE_PGM_RSRC2:USER_SGPR: 6
; COMPUTE_PGM_RSRC2:TRAP_HANDLER: 0
; COMPUTE_PGM_RSRC2:TGID_X_EN: 1
; COMPUTE_PGM_RSRC2:TGID_Y_EN: 1
; COMPUTE_PGM_RSRC2:TGID_Z_EN: 1
; COMPUTE_PGM_RSRC2:TIDIG_COMP_CNT: 0
; COMPUTE_PGM_RSRC3_GFX90A:ACCUM_OFFSET: 5
; COMPUTE_PGM_RSRC3_GFX90A:TG_SPLIT: 0
	.section	.text._ZN7rocprim17ROCPRIM_400000_NS6detail17trampoline_kernelINS0_14default_configENS1_38merge_sort_block_merge_config_selectorIyNS0_10empty_typeEEEZZNS1_27merge_sort_block_merge_implIS3_PyPS5_jNS1_19radix_merge_compareILb1ELb1EyNS0_19identity_decomposerEEEEE10hipError_tT0_T1_T2_jT3_P12ihipStream_tbPNSt15iterator_traitsISE_E10value_typeEPNSK_ISF_E10value_typeEPSG_NS1_7vsmem_tEENKUlT_SE_SF_SG_E_clIS8_S8_S9_S9_EESD_ST_SE_SF_SG_EUlST_E0_NS1_11comp_targetILNS1_3genE3ELNS1_11target_archE908ELNS1_3gpuE7ELNS1_3repE0EEENS1_38merge_mergepath_config_static_selectorELNS0_4arch9wavefront6targetE1EEEvSF_,"axG",@progbits,_ZN7rocprim17ROCPRIM_400000_NS6detail17trampoline_kernelINS0_14default_configENS1_38merge_sort_block_merge_config_selectorIyNS0_10empty_typeEEEZZNS1_27merge_sort_block_merge_implIS3_PyPS5_jNS1_19radix_merge_compareILb1ELb1EyNS0_19identity_decomposerEEEEE10hipError_tT0_T1_T2_jT3_P12ihipStream_tbPNSt15iterator_traitsISE_E10value_typeEPNSK_ISF_E10value_typeEPSG_NS1_7vsmem_tEENKUlT_SE_SF_SG_E_clIS8_S8_S9_S9_EESD_ST_SE_SF_SG_EUlST_E0_NS1_11comp_targetILNS1_3genE3ELNS1_11target_archE908ELNS1_3gpuE7ELNS1_3repE0EEENS1_38merge_mergepath_config_static_selectorELNS0_4arch9wavefront6targetE1EEEvSF_,comdat
	.protected	_ZN7rocprim17ROCPRIM_400000_NS6detail17trampoline_kernelINS0_14default_configENS1_38merge_sort_block_merge_config_selectorIyNS0_10empty_typeEEEZZNS1_27merge_sort_block_merge_implIS3_PyPS5_jNS1_19radix_merge_compareILb1ELb1EyNS0_19identity_decomposerEEEEE10hipError_tT0_T1_T2_jT3_P12ihipStream_tbPNSt15iterator_traitsISE_E10value_typeEPNSK_ISF_E10value_typeEPSG_NS1_7vsmem_tEENKUlT_SE_SF_SG_E_clIS8_S8_S9_S9_EESD_ST_SE_SF_SG_EUlST_E0_NS1_11comp_targetILNS1_3genE3ELNS1_11target_archE908ELNS1_3gpuE7ELNS1_3repE0EEENS1_38merge_mergepath_config_static_selectorELNS0_4arch9wavefront6targetE1EEEvSF_ ; -- Begin function _ZN7rocprim17ROCPRIM_400000_NS6detail17trampoline_kernelINS0_14default_configENS1_38merge_sort_block_merge_config_selectorIyNS0_10empty_typeEEEZZNS1_27merge_sort_block_merge_implIS3_PyPS5_jNS1_19radix_merge_compareILb1ELb1EyNS0_19identity_decomposerEEEEE10hipError_tT0_T1_T2_jT3_P12ihipStream_tbPNSt15iterator_traitsISE_E10value_typeEPNSK_ISF_E10value_typeEPSG_NS1_7vsmem_tEENKUlT_SE_SF_SG_E_clIS8_S8_S9_S9_EESD_ST_SE_SF_SG_EUlST_E0_NS1_11comp_targetILNS1_3genE3ELNS1_11target_archE908ELNS1_3gpuE7ELNS1_3repE0EEENS1_38merge_mergepath_config_static_selectorELNS0_4arch9wavefront6targetE1EEEvSF_
	.globl	_ZN7rocprim17ROCPRIM_400000_NS6detail17trampoline_kernelINS0_14default_configENS1_38merge_sort_block_merge_config_selectorIyNS0_10empty_typeEEEZZNS1_27merge_sort_block_merge_implIS3_PyPS5_jNS1_19radix_merge_compareILb1ELb1EyNS0_19identity_decomposerEEEEE10hipError_tT0_T1_T2_jT3_P12ihipStream_tbPNSt15iterator_traitsISE_E10value_typeEPNSK_ISF_E10value_typeEPSG_NS1_7vsmem_tEENKUlT_SE_SF_SG_E_clIS8_S8_S9_S9_EESD_ST_SE_SF_SG_EUlST_E0_NS1_11comp_targetILNS1_3genE3ELNS1_11target_archE908ELNS1_3gpuE7ELNS1_3repE0EEENS1_38merge_mergepath_config_static_selectorELNS0_4arch9wavefront6targetE1EEEvSF_
	.p2align	8
	.type	_ZN7rocprim17ROCPRIM_400000_NS6detail17trampoline_kernelINS0_14default_configENS1_38merge_sort_block_merge_config_selectorIyNS0_10empty_typeEEEZZNS1_27merge_sort_block_merge_implIS3_PyPS5_jNS1_19radix_merge_compareILb1ELb1EyNS0_19identity_decomposerEEEEE10hipError_tT0_T1_T2_jT3_P12ihipStream_tbPNSt15iterator_traitsISE_E10value_typeEPNSK_ISF_E10value_typeEPSG_NS1_7vsmem_tEENKUlT_SE_SF_SG_E_clIS8_S8_S9_S9_EESD_ST_SE_SF_SG_EUlST_E0_NS1_11comp_targetILNS1_3genE3ELNS1_11target_archE908ELNS1_3gpuE7ELNS1_3repE0EEENS1_38merge_mergepath_config_static_selectorELNS0_4arch9wavefront6targetE1EEEvSF_,@function
_ZN7rocprim17ROCPRIM_400000_NS6detail17trampoline_kernelINS0_14default_configENS1_38merge_sort_block_merge_config_selectorIyNS0_10empty_typeEEEZZNS1_27merge_sort_block_merge_implIS3_PyPS5_jNS1_19radix_merge_compareILb1ELb1EyNS0_19identity_decomposerEEEEE10hipError_tT0_T1_T2_jT3_P12ihipStream_tbPNSt15iterator_traitsISE_E10value_typeEPNSK_ISF_E10value_typeEPSG_NS1_7vsmem_tEENKUlT_SE_SF_SG_E_clIS8_S8_S9_S9_EESD_ST_SE_SF_SG_EUlST_E0_NS1_11comp_targetILNS1_3genE3ELNS1_11target_archE908ELNS1_3gpuE7ELNS1_3repE0EEENS1_38merge_mergepath_config_static_selectorELNS0_4arch9wavefront6targetE1EEEvSF_: ; @_ZN7rocprim17ROCPRIM_400000_NS6detail17trampoline_kernelINS0_14default_configENS1_38merge_sort_block_merge_config_selectorIyNS0_10empty_typeEEEZZNS1_27merge_sort_block_merge_implIS3_PyPS5_jNS1_19radix_merge_compareILb1ELb1EyNS0_19identity_decomposerEEEEE10hipError_tT0_T1_T2_jT3_P12ihipStream_tbPNSt15iterator_traitsISE_E10value_typeEPNSK_ISF_E10value_typeEPSG_NS1_7vsmem_tEENKUlT_SE_SF_SG_E_clIS8_S8_S9_S9_EESD_ST_SE_SF_SG_EUlST_E0_NS1_11comp_targetILNS1_3genE3ELNS1_11target_archE908ELNS1_3gpuE7ELNS1_3repE0EEENS1_38merge_mergepath_config_static_selectorELNS0_4arch9wavefront6targetE1EEEvSF_
; %bb.0:
	.section	.rodata,"a",@progbits
	.p2align	6, 0x0
	.amdhsa_kernel _ZN7rocprim17ROCPRIM_400000_NS6detail17trampoline_kernelINS0_14default_configENS1_38merge_sort_block_merge_config_selectorIyNS0_10empty_typeEEEZZNS1_27merge_sort_block_merge_implIS3_PyPS5_jNS1_19radix_merge_compareILb1ELb1EyNS0_19identity_decomposerEEEEE10hipError_tT0_T1_T2_jT3_P12ihipStream_tbPNSt15iterator_traitsISE_E10value_typeEPNSK_ISF_E10value_typeEPSG_NS1_7vsmem_tEENKUlT_SE_SF_SG_E_clIS8_S8_S9_S9_EESD_ST_SE_SF_SG_EUlST_E0_NS1_11comp_targetILNS1_3genE3ELNS1_11target_archE908ELNS1_3gpuE7ELNS1_3repE0EEENS1_38merge_mergepath_config_static_selectorELNS0_4arch9wavefront6targetE1EEEvSF_
		.amdhsa_group_segment_fixed_size 0
		.amdhsa_private_segment_fixed_size 0
		.amdhsa_kernarg_size 72
		.amdhsa_user_sgpr_count 6
		.amdhsa_user_sgpr_private_segment_buffer 1
		.amdhsa_user_sgpr_dispatch_ptr 0
		.amdhsa_user_sgpr_queue_ptr 0
		.amdhsa_user_sgpr_kernarg_segment_ptr 1
		.amdhsa_user_sgpr_dispatch_id 0
		.amdhsa_user_sgpr_flat_scratch_init 0
		.amdhsa_user_sgpr_kernarg_preload_length 0
		.amdhsa_user_sgpr_kernarg_preload_offset 0
		.amdhsa_user_sgpr_private_segment_size 0
		.amdhsa_uses_dynamic_stack 0
		.amdhsa_system_sgpr_private_segment_wavefront_offset 0
		.amdhsa_system_sgpr_workgroup_id_x 1
		.amdhsa_system_sgpr_workgroup_id_y 0
		.amdhsa_system_sgpr_workgroup_id_z 0
		.amdhsa_system_sgpr_workgroup_info 0
		.amdhsa_system_vgpr_workitem_id 0
		.amdhsa_next_free_vgpr 1
		.amdhsa_next_free_sgpr 0
		.amdhsa_accum_offset 4
		.amdhsa_reserve_vcc 0
		.amdhsa_reserve_flat_scratch 0
		.amdhsa_float_round_mode_32 0
		.amdhsa_float_round_mode_16_64 0
		.amdhsa_float_denorm_mode_32 3
		.amdhsa_float_denorm_mode_16_64 3
		.amdhsa_dx10_clamp 1
		.amdhsa_ieee_mode 1
		.amdhsa_fp16_overflow 0
		.amdhsa_tg_split 0
		.amdhsa_exception_fp_ieee_invalid_op 0
		.amdhsa_exception_fp_denorm_src 0
		.amdhsa_exception_fp_ieee_div_zero 0
		.amdhsa_exception_fp_ieee_overflow 0
		.amdhsa_exception_fp_ieee_underflow 0
		.amdhsa_exception_fp_ieee_inexact 0
		.amdhsa_exception_int_div_zero 0
	.end_amdhsa_kernel
	.section	.text._ZN7rocprim17ROCPRIM_400000_NS6detail17trampoline_kernelINS0_14default_configENS1_38merge_sort_block_merge_config_selectorIyNS0_10empty_typeEEEZZNS1_27merge_sort_block_merge_implIS3_PyPS5_jNS1_19radix_merge_compareILb1ELb1EyNS0_19identity_decomposerEEEEE10hipError_tT0_T1_T2_jT3_P12ihipStream_tbPNSt15iterator_traitsISE_E10value_typeEPNSK_ISF_E10value_typeEPSG_NS1_7vsmem_tEENKUlT_SE_SF_SG_E_clIS8_S8_S9_S9_EESD_ST_SE_SF_SG_EUlST_E0_NS1_11comp_targetILNS1_3genE3ELNS1_11target_archE908ELNS1_3gpuE7ELNS1_3repE0EEENS1_38merge_mergepath_config_static_selectorELNS0_4arch9wavefront6targetE1EEEvSF_,"axG",@progbits,_ZN7rocprim17ROCPRIM_400000_NS6detail17trampoline_kernelINS0_14default_configENS1_38merge_sort_block_merge_config_selectorIyNS0_10empty_typeEEEZZNS1_27merge_sort_block_merge_implIS3_PyPS5_jNS1_19radix_merge_compareILb1ELb1EyNS0_19identity_decomposerEEEEE10hipError_tT0_T1_T2_jT3_P12ihipStream_tbPNSt15iterator_traitsISE_E10value_typeEPNSK_ISF_E10value_typeEPSG_NS1_7vsmem_tEENKUlT_SE_SF_SG_E_clIS8_S8_S9_S9_EESD_ST_SE_SF_SG_EUlST_E0_NS1_11comp_targetILNS1_3genE3ELNS1_11target_archE908ELNS1_3gpuE7ELNS1_3repE0EEENS1_38merge_mergepath_config_static_selectorELNS0_4arch9wavefront6targetE1EEEvSF_,comdat
.Lfunc_end2447:
	.size	_ZN7rocprim17ROCPRIM_400000_NS6detail17trampoline_kernelINS0_14default_configENS1_38merge_sort_block_merge_config_selectorIyNS0_10empty_typeEEEZZNS1_27merge_sort_block_merge_implIS3_PyPS5_jNS1_19radix_merge_compareILb1ELb1EyNS0_19identity_decomposerEEEEE10hipError_tT0_T1_T2_jT3_P12ihipStream_tbPNSt15iterator_traitsISE_E10value_typeEPNSK_ISF_E10value_typeEPSG_NS1_7vsmem_tEENKUlT_SE_SF_SG_E_clIS8_S8_S9_S9_EESD_ST_SE_SF_SG_EUlST_E0_NS1_11comp_targetILNS1_3genE3ELNS1_11target_archE908ELNS1_3gpuE7ELNS1_3repE0EEENS1_38merge_mergepath_config_static_selectorELNS0_4arch9wavefront6targetE1EEEvSF_, .Lfunc_end2447-_ZN7rocprim17ROCPRIM_400000_NS6detail17trampoline_kernelINS0_14default_configENS1_38merge_sort_block_merge_config_selectorIyNS0_10empty_typeEEEZZNS1_27merge_sort_block_merge_implIS3_PyPS5_jNS1_19radix_merge_compareILb1ELb1EyNS0_19identity_decomposerEEEEE10hipError_tT0_T1_T2_jT3_P12ihipStream_tbPNSt15iterator_traitsISE_E10value_typeEPNSK_ISF_E10value_typeEPSG_NS1_7vsmem_tEENKUlT_SE_SF_SG_E_clIS8_S8_S9_S9_EESD_ST_SE_SF_SG_EUlST_E0_NS1_11comp_targetILNS1_3genE3ELNS1_11target_archE908ELNS1_3gpuE7ELNS1_3repE0EEENS1_38merge_mergepath_config_static_selectorELNS0_4arch9wavefront6targetE1EEEvSF_
                                        ; -- End function
	.section	.AMDGPU.csdata,"",@progbits
; Kernel info:
; codeLenInByte = 0
; NumSgprs: 4
; NumVgprs: 0
; NumAgprs: 0
; TotalNumVgprs: 0
; ScratchSize: 0
; MemoryBound: 0
; FloatMode: 240
; IeeeMode: 1
; LDSByteSize: 0 bytes/workgroup (compile time only)
; SGPRBlocks: 0
; VGPRBlocks: 0
; NumSGPRsForWavesPerEU: 4
; NumVGPRsForWavesPerEU: 1
; AccumOffset: 4
; Occupancy: 8
; WaveLimiterHint : 0
; COMPUTE_PGM_RSRC2:SCRATCH_EN: 0
; COMPUTE_PGM_RSRC2:USER_SGPR: 6
; COMPUTE_PGM_RSRC2:TRAP_HANDLER: 0
; COMPUTE_PGM_RSRC2:TGID_X_EN: 1
; COMPUTE_PGM_RSRC2:TGID_Y_EN: 0
; COMPUTE_PGM_RSRC2:TGID_Z_EN: 0
; COMPUTE_PGM_RSRC2:TIDIG_COMP_CNT: 0
; COMPUTE_PGM_RSRC3_GFX90A:ACCUM_OFFSET: 0
; COMPUTE_PGM_RSRC3_GFX90A:TG_SPLIT: 0
	.section	.text._ZN7rocprim17ROCPRIM_400000_NS6detail17trampoline_kernelINS0_14default_configENS1_38merge_sort_block_merge_config_selectorIyNS0_10empty_typeEEEZZNS1_27merge_sort_block_merge_implIS3_PyPS5_jNS1_19radix_merge_compareILb1ELb1EyNS0_19identity_decomposerEEEEE10hipError_tT0_T1_T2_jT3_P12ihipStream_tbPNSt15iterator_traitsISE_E10value_typeEPNSK_ISF_E10value_typeEPSG_NS1_7vsmem_tEENKUlT_SE_SF_SG_E_clIS8_S8_S9_S9_EESD_ST_SE_SF_SG_EUlST_E0_NS1_11comp_targetILNS1_3genE2ELNS1_11target_archE906ELNS1_3gpuE6ELNS1_3repE0EEENS1_38merge_mergepath_config_static_selectorELNS0_4arch9wavefront6targetE1EEEvSF_,"axG",@progbits,_ZN7rocprim17ROCPRIM_400000_NS6detail17trampoline_kernelINS0_14default_configENS1_38merge_sort_block_merge_config_selectorIyNS0_10empty_typeEEEZZNS1_27merge_sort_block_merge_implIS3_PyPS5_jNS1_19radix_merge_compareILb1ELb1EyNS0_19identity_decomposerEEEEE10hipError_tT0_T1_T2_jT3_P12ihipStream_tbPNSt15iterator_traitsISE_E10value_typeEPNSK_ISF_E10value_typeEPSG_NS1_7vsmem_tEENKUlT_SE_SF_SG_E_clIS8_S8_S9_S9_EESD_ST_SE_SF_SG_EUlST_E0_NS1_11comp_targetILNS1_3genE2ELNS1_11target_archE906ELNS1_3gpuE6ELNS1_3repE0EEENS1_38merge_mergepath_config_static_selectorELNS0_4arch9wavefront6targetE1EEEvSF_,comdat
	.protected	_ZN7rocprim17ROCPRIM_400000_NS6detail17trampoline_kernelINS0_14default_configENS1_38merge_sort_block_merge_config_selectorIyNS0_10empty_typeEEEZZNS1_27merge_sort_block_merge_implIS3_PyPS5_jNS1_19radix_merge_compareILb1ELb1EyNS0_19identity_decomposerEEEEE10hipError_tT0_T1_T2_jT3_P12ihipStream_tbPNSt15iterator_traitsISE_E10value_typeEPNSK_ISF_E10value_typeEPSG_NS1_7vsmem_tEENKUlT_SE_SF_SG_E_clIS8_S8_S9_S9_EESD_ST_SE_SF_SG_EUlST_E0_NS1_11comp_targetILNS1_3genE2ELNS1_11target_archE906ELNS1_3gpuE6ELNS1_3repE0EEENS1_38merge_mergepath_config_static_selectorELNS0_4arch9wavefront6targetE1EEEvSF_ ; -- Begin function _ZN7rocprim17ROCPRIM_400000_NS6detail17trampoline_kernelINS0_14default_configENS1_38merge_sort_block_merge_config_selectorIyNS0_10empty_typeEEEZZNS1_27merge_sort_block_merge_implIS3_PyPS5_jNS1_19radix_merge_compareILb1ELb1EyNS0_19identity_decomposerEEEEE10hipError_tT0_T1_T2_jT3_P12ihipStream_tbPNSt15iterator_traitsISE_E10value_typeEPNSK_ISF_E10value_typeEPSG_NS1_7vsmem_tEENKUlT_SE_SF_SG_E_clIS8_S8_S9_S9_EESD_ST_SE_SF_SG_EUlST_E0_NS1_11comp_targetILNS1_3genE2ELNS1_11target_archE906ELNS1_3gpuE6ELNS1_3repE0EEENS1_38merge_mergepath_config_static_selectorELNS0_4arch9wavefront6targetE1EEEvSF_
	.globl	_ZN7rocprim17ROCPRIM_400000_NS6detail17trampoline_kernelINS0_14default_configENS1_38merge_sort_block_merge_config_selectorIyNS0_10empty_typeEEEZZNS1_27merge_sort_block_merge_implIS3_PyPS5_jNS1_19radix_merge_compareILb1ELb1EyNS0_19identity_decomposerEEEEE10hipError_tT0_T1_T2_jT3_P12ihipStream_tbPNSt15iterator_traitsISE_E10value_typeEPNSK_ISF_E10value_typeEPSG_NS1_7vsmem_tEENKUlT_SE_SF_SG_E_clIS8_S8_S9_S9_EESD_ST_SE_SF_SG_EUlST_E0_NS1_11comp_targetILNS1_3genE2ELNS1_11target_archE906ELNS1_3gpuE6ELNS1_3repE0EEENS1_38merge_mergepath_config_static_selectorELNS0_4arch9wavefront6targetE1EEEvSF_
	.p2align	8
	.type	_ZN7rocprim17ROCPRIM_400000_NS6detail17trampoline_kernelINS0_14default_configENS1_38merge_sort_block_merge_config_selectorIyNS0_10empty_typeEEEZZNS1_27merge_sort_block_merge_implIS3_PyPS5_jNS1_19radix_merge_compareILb1ELb1EyNS0_19identity_decomposerEEEEE10hipError_tT0_T1_T2_jT3_P12ihipStream_tbPNSt15iterator_traitsISE_E10value_typeEPNSK_ISF_E10value_typeEPSG_NS1_7vsmem_tEENKUlT_SE_SF_SG_E_clIS8_S8_S9_S9_EESD_ST_SE_SF_SG_EUlST_E0_NS1_11comp_targetILNS1_3genE2ELNS1_11target_archE906ELNS1_3gpuE6ELNS1_3repE0EEENS1_38merge_mergepath_config_static_selectorELNS0_4arch9wavefront6targetE1EEEvSF_,@function
_ZN7rocprim17ROCPRIM_400000_NS6detail17trampoline_kernelINS0_14default_configENS1_38merge_sort_block_merge_config_selectorIyNS0_10empty_typeEEEZZNS1_27merge_sort_block_merge_implIS3_PyPS5_jNS1_19radix_merge_compareILb1ELb1EyNS0_19identity_decomposerEEEEE10hipError_tT0_T1_T2_jT3_P12ihipStream_tbPNSt15iterator_traitsISE_E10value_typeEPNSK_ISF_E10value_typeEPSG_NS1_7vsmem_tEENKUlT_SE_SF_SG_E_clIS8_S8_S9_S9_EESD_ST_SE_SF_SG_EUlST_E0_NS1_11comp_targetILNS1_3genE2ELNS1_11target_archE906ELNS1_3gpuE6ELNS1_3repE0EEENS1_38merge_mergepath_config_static_selectorELNS0_4arch9wavefront6targetE1EEEvSF_: ; @_ZN7rocprim17ROCPRIM_400000_NS6detail17trampoline_kernelINS0_14default_configENS1_38merge_sort_block_merge_config_selectorIyNS0_10empty_typeEEEZZNS1_27merge_sort_block_merge_implIS3_PyPS5_jNS1_19radix_merge_compareILb1ELb1EyNS0_19identity_decomposerEEEEE10hipError_tT0_T1_T2_jT3_P12ihipStream_tbPNSt15iterator_traitsISE_E10value_typeEPNSK_ISF_E10value_typeEPSG_NS1_7vsmem_tEENKUlT_SE_SF_SG_E_clIS8_S8_S9_S9_EESD_ST_SE_SF_SG_EUlST_E0_NS1_11comp_targetILNS1_3genE2ELNS1_11target_archE906ELNS1_3gpuE6ELNS1_3repE0EEENS1_38merge_mergepath_config_static_selectorELNS0_4arch9wavefront6targetE1EEEvSF_
; %bb.0:
	.section	.rodata,"a",@progbits
	.p2align	6, 0x0
	.amdhsa_kernel _ZN7rocprim17ROCPRIM_400000_NS6detail17trampoline_kernelINS0_14default_configENS1_38merge_sort_block_merge_config_selectorIyNS0_10empty_typeEEEZZNS1_27merge_sort_block_merge_implIS3_PyPS5_jNS1_19radix_merge_compareILb1ELb1EyNS0_19identity_decomposerEEEEE10hipError_tT0_T1_T2_jT3_P12ihipStream_tbPNSt15iterator_traitsISE_E10value_typeEPNSK_ISF_E10value_typeEPSG_NS1_7vsmem_tEENKUlT_SE_SF_SG_E_clIS8_S8_S9_S9_EESD_ST_SE_SF_SG_EUlST_E0_NS1_11comp_targetILNS1_3genE2ELNS1_11target_archE906ELNS1_3gpuE6ELNS1_3repE0EEENS1_38merge_mergepath_config_static_selectorELNS0_4arch9wavefront6targetE1EEEvSF_
		.amdhsa_group_segment_fixed_size 0
		.amdhsa_private_segment_fixed_size 0
		.amdhsa_kernarg_size 72
		.amdhsa_user_sgpr_count 6
		.amdhsa_user_sgpr_private_segment_buffer 1
		.amdhsa_user_sgpr_dispatch_ptr 0
		.amdhsa_user_sgpr_queue_ptr 0
		.amdhsa_user_sgpr_kernarg_segment_ptr 1
		.amdhsa_user_sgpr_dispatch_id 0
		.amdhsa_user_sgpr_flat_scratch_init 0
		.amdhsa_user_sgpr_kernarg_preload_length 0
		.amdhsa_user_sgpr_kernarg_preload_offset 0
		.amdhsa_user_sgpr_private_segment_size 0
		.amdhsa_uses_dynamic_stack 0
		.amdhsa_system_sgpr_private_segment_wavefront_offset 0
		.amdhsa_system_sgpr_workgroup_id_x 1
		.amdhsa_system_sgpr_workgroup_id_y 0
		.amdhsa_system_sgpr_workgroup_id_z 0
		.amdhsa_system_sgpr_workgroup_info 0
		.amdhsa_system_vgpr_workitem_id 0
		.amdhsa_next_free_vgpr 1
		.amdhsa_next_free_sgpr 0
		.amdhsa_accum_offset 4
		.amdhsa_reserve_vcc 0
		.amdhsa_reserve_flat_scratch 0
		.amdhsa_float_round_mode_32 0
		.amdhsa_float_round_mode_16_64 0
		.amdhsa_float_denorm_mode_32 3
		.amdhsa_float_denorm_mode_16_64 3
		.amdhsa_dx10_clamp 1
		.amdhsa_ieee_mode 1
		.amdhsa_fp16_overflow 0
		.amdhsa_tg_split 0
		.amdhsa_exception_fp_ieee_invalid_op 0
		.amdhsa_exception_fp_denorm_src 0
		.amdhsa_exception_fp_ieee_div_zero 0
		.amdhsa_exception_fp_ieee_overflow 0
		.amdhsa_exception_fp_ieee_underflow 0
		.amdhsa_exception_fp_ieee_inexact 0
		.amdhsa_exception_int_div_zero 0
	.end_amdhsa_kernel
	.section	.text._ZN7rocprim17ROCPRIM_400000_NS6detail17trampoline_kernelINS0_14default_configENS1_38merge_sort_block_merge_config_selectorIyNS0_10empty_typeEEEZZNS1_27merge_sort_block_merge_implIS3_PyPS5_jNS1_19radix_merge_compareILb1ELb1EyNS0_19identity_decomposerEEEEE10hipError_tT0_T1_T2_jT3_P12ihipStream_tbPNSt15iterator_traitsISE_E10value_typeEPNSK_ISF_E10value_typeEPSG_NS1_7vsmem_tEENKUlT_SE_SF_SG_E_clIS8_S8_S9_S9_EESD_ST_SE_SF_SG_EUlST_E0_NS1_11comp_targetILNS1_3genE2ELNS1_11target_archE906ELNS1_3gpuE6ELNS1_3repE0EEENS1_38merge_mergepath_config_static_selectorELNS0_4arch9wavefront6targetE1EEEvSF_,"axG",@progbits,_ZN7rocprim17ROCPRIM_400000_NS6detail17trampoline_kernelINS0_14default_configENS1_38merge_sort_block_merge_config_selectorIyNS0_10empty_typeEEEZZNS1_27merge_sort_block_merge_implIS3_PyPS5_jNS1_19radix_merge_compareILb1ELb1EyNS0_19identity_decomposerEEEEE10hipError_tT0_T1_T2_jT3_P12ihipStream_tbPNSt15iterator_traitsISE_E10value_typeEPNSK_ISF_E10value_typeEPSG_NS1_7vsmem_tEENKUlT_SE_SF_SG_E_clIS8_S8_S9_S9_EESD_ST_SE_SF_SG_EUlST_E0_NS1_11comp_targetILNS1_3genE2ELNS1_11target_archE906ELNS1_3gpuE6ELNS1_3repE0EEENS1_38merge_mergepath_config_static_selectorELNS0_4arch9wavefront6targetE1EEEvSF_,comdat
.Lfunc_end2448:
	.size	_ZN7rocprim17ROCPRIM_400000_NS6detail17trampoline_kernelINS0_14default_configENS1_38merge_sort_block_merge_config_selectorIyNS0_10empty_typeEEEZZNS1_27merge_sort_block_merge_implIS3_PyPS5_jNS1_19radix_merge_compareILb1ELb1EyNS0_19identity_decomposerEEEEE10hipError_tT0_T1_T2_jT3_P12ihipStream_tbPNSt15iterator_traitsISE_E10value_typeEPNSK_ISF_E10value_typeEPSG_NS1_7vsmem_tEENKUlT_SE_SF_SG_E_clIS8_S8_S9_S9_EESD_ST_SE_SF_SG_EUlST_E0_NS1_11comp_targetILNS1_3genE2ELNS1_11target_archE906ELNS1_3gpuE6ELNS1_3repE0EEENS1_38merge_mergepath_config_static_selectorELNS0_4arch9wavefront6targetE1EEEvSF_, .Lfunc_end2448-_ZN7rocprim17ROCPRIM_400000_NS6detail17trampoline_kernelINS0_14default_configENS1_38merge_sort_block_merge_config_selectorIyNS0_10empty_typeEEEZZNS1_27merge_sort_block_merge_implIS3_PyPS5_jNS1_19radix_merge_compareILb1ELb1EyNS0_19identity_decomposerEEEEE10hipError_tT0_T1_T2_jT3_P12ihipStream_tbPNSt15iterator_traitsISE_E10value_typeEPNSK_ISF_E10value_typeEPSG_NS1_7vsmem_tEENKUlT_SE_SF_SG_E_clIS8_S8_S9_S9_EESD_ST_SE_SF_SG_EUlST_E0_NS1_11comp_targetILNS1_3genE2ELNS1_11target_archE906ELNS1_3gpuE6ELNS1_3repE0EEENS1_38merge_mergepath_config_static_selectorELNS0_4arch9wavefront6targetE1EEEvSF_
                                        ; -- End function
	.section	.AMDGPU.csdata,"",@progbits
; Kernel info:
; codeLenInByte = 0
; NumSgprs: 4
; NumVgprs: 0
; NumAgprs: 0
; TotalNumVgprs: 0
; ScratchSize: 0
; MemoryBound: 0
; FloatMode: 240
; IeeeMode: 1
; LDSByteSize: 0 bytes/workgroup (compile time only)
; SGPRBlocks: 0
; VGPRBlocks: 0
; NumSGPRsForWavesPerEU: 4
; NumVGPRsForWavesPerEU: 1
; AccumOffset: 4
; Occupancy: 8
; WaveLimiterHint : 0
; COMPUTE_PGM_RSRC2:SCRATCH_EN: 0
; COMPUTE_PGM_RSRC2:USER_SGPR: 6
; COMPUTE_PGM_RSRC2:TRAP_HANDLER: 0
; COMPUTE_PGM_RSRC2:TGID_X_EN: 1
; COMPUTE_PGM_RSRC2:TGID_Y_EN: 0
; COMPUTE_PGM_RSRC2:TGID_Z_EN: 0
; COMPUTE_PGM_RSRC2:TIDIG_COMP_CNT: 0
; COMPUTE_PGM_RSRC3_GFX90A:ACCUM_OFFSET: 0
; COMPUTE_PGM_RSRC3_GFX90A:TG_SPLIT: 0
	.section	.text._ZN7rocprim17ROCPRIM_400000_NS6detail17trampoline_kernelINS0_14default_configENS1_38merge_sort_block_merge_config_selectorIyNS0_10empty_typeEEEZZNS1_27merge_sort_block_merge_implIS3_PyPS5_jNS1_19radix_merge_compareILb1ELb1EyNS0_19identity_decomposerEEEEE10hipError_tT0_T1_T2_jT3_P12ihipStream_tbPNSt15iterator_traitsISE_E10value_typeEPNSK_ISF_E10value_typeEPSG_NS1_7vsmem_tEENKUlT_SE_SF_SG_E_clIS8_S8_S9_S9_EESD_ST_SE_SF_SG_EUlST_E0_NS1_11comp_targetILNS1_3genE9ELNS1_11target_archE1100ELNS1_3gpuE3ELNS1_3repE0EEENS1_38merge_mergepath_config_static_selectorELNS0_4arch9wavefront6targetE1EEEvSF_,"axG",@progbits,_ZN7rocprim17ROCPRIM_400000_NS6detail17trampoline_kernelINS0_14default_configENS1_38merge_sort_block_merge_config_selectorIyNS0_10empty_typeEEEZZNS1_27merge_sort_block_merge_implIS3_PyPS5_jNS1_19radix_merge_compareILb1ELb1EyNS0_19identity_decomposerEEEEE10hipError_tT0_T1_T2_jT3_P12ihipStream_tbPNSt15iterator_traitsISE_E10value_typeEPNSK_ISF_E10value_typeEPSG_NS1_7vsmem_tEENKUlT_SE_SF_SG_E_clIS8_S8_S9_S9_EESD_ST_SE_SF_SG_EUlST_E0_NS1_11comp_targetILNS1_3genE9ELNS1_11target_archE1100ELNS1_3gpuE3ELNS1_3repE0EEENS1_38merge_mergepath_config_static_selectorELNS0_4arch9wavefront6targetE1EEEvSF_,comdat
	.protected	_ZN7rocprim17ROCPRIM_400000_NS6detail17trampoline_kernelINS0_14default_configENS1_38merge_sort_block_merge_config_selectorIyNS0_10empty_typeEEEZZNS1_27merge_sort_block_merge_implIS3_PyPS5_jNS1_19radix_merge_compareILb1ELb1EyNS0_19identity_decomposerEEEEE10hipError_tT0_T1_T2_jT3_P12ihipStream_tbPNSt15iterator_traitsISE_E10value_typeEPNSK_ISF_E10value_typeEPSG_NS1_7vsmem_tEENKUlT_SE_SF_SG_E_clIS8_S8_S9_S9_EESD_ST_SE_SF_SG_EUlST_E0_NS1_11comp_targetILNS1_3genE9ELNS1_11target_archE1100ELNS1_3gpuE3ELNS1_3repE0EEENS1_38merge_mergepath_config_static_selectorELNS0_4arch9wavefront6targetE1EEEvSF_ ; -- Begin function _ZN7rocprim17ROCPRIM_400000_NS6detail17trampoline_kernelINS0_14default_configENS1_38merge_sort_block_merge_config_selectorIyNS0_10empty_typeEEEZZNS1_27merge_sort_block_merge_implIS3_PyPS5_jNS1_19radix_merge_compareILb1ELb1EyNS0_19identity_decomposerEEEEE10hipError_tT0_T1_T2_jT3_P12ihipStream_tbPNSt15iterator_traitsISE_E10value_typeEPNSK_ISF_E10value_typeEPSG_NS1_7vsmem_tEENKUlT_SE_SF_SG_E_clIS8_S8_S9_S9_EESD_ST_SE_SF_SG_EUlST_E0_NS1_11comp_targetILNS1_3genE9ELNS1_11target_archE1100ELNS1_3gpuE3ELNS1_3repE0EEENS1_38merge_mergepath_config_static_selectorELNS0_4arch9wavefront6targetE1EEEvSF_
	.globl	_ZN7rocprim17ROCPRIM_400000_NS6detail17trampoline_kernelINS0_14default_configENS1_38merge_sort_block_merge_config_selectorIyNS0_10empty_typeEEEZZNS1_27merge_sort_block_merge_implIS3_PyPS5_jNS1_19radix_merge_compareILb1ELb1EyNS0_19identity_decomposerEEEEE10hipError_tT0_T1_T2_jT3_P12ihipStream_tbPNSt15iterator_traitsISE_E10value_typeEPNSK_ISF_E10value_typeEPSG_NS1_7vsmem_tEENKUlT_SE_SF_SG_E_clIS8_S8_S9_S9_EESD_ST_SE_SF_SG_EUlST_E0_NS1_11comp_targetILNS1_3genE9ELNS1_11target_archE1100ELNS1_3gpuE3ELNS1_3repE0EEENS1_38merge_mergepath_config_static_selectorELNS0_4arch9wavefront6targetE1EEEvSF_
	.p2align	8
	.type	_ZN7rocprim17ROCPRIM_400000_NS6detail17trampoline_kernelINS0_14default_configENS1_38merge_sort_block_merge_config_selectorIyNS0_10empty_typeEEEZZNS1_27merge_sort_block_merge_implIS3_PyPS5_jNS1_19radix_merge_compareILb1ELb1EyNS0_19identity_decomposerEEEEE10hipError_tT0_T1_T2_jT3_P12ihipStream_tbPNSt15iterator_traitsISE_E10value_typeEPNSK_ISF_E10value_typeEPSG_NS1_7vsmem_tEENKUlT_SE_SF_SG_E_clIS8_S8_S9_S9_EESD_ST_SE_SF_SG_EUlST_E0_NS1_11comp_targetILNS1_3genE9ELNS1_11target_archE1100ELNS1_3gpuE3ELNS1_3repE0EEENS1_38merge_mergepath_config_static_selectorELNS0_4arch9wavefront6targetE1EEEvSF_,@function
_ZN7rocprim17ROCPRIM_400000_NS6detail17trampoline_kernelINS0_14default_configENS1_38merge_sort_block_merge_config_selectorIyNS0_10empty_typeEEEZZNS1_27merge_sort_block_merge_implIS3_PyPS5_jNS1_19radix_merge_compareILb1ELb1EyNS0_19identity_decomposerEEEEE10hipError_tT0_T1_T2_jT3_P12ihipStream_tbPNSt15iterator_traitsISE_E10value_typeEPNSK_ISF_E10value_typeEPSG_NS1_7vsmem_tEENKUlT_SE_SF_SG_E_clIS8_S8_S9_S9_EESD_ST_SE_SF_SG_EUlST_E0_NS1_11comp_targetILNS1_3genE9ELNS1_11target_archE1100ELNS1_3gpuE3ELNS1_3repE0EEENS1_38merge_mergepath_config_static_selectorELNS0_4arch9wavefront6targetE1EEEvSF_: ; @_ZN7rocprim17ROCPRIM_400000_NS6detail17trampoline_kernelINS0_14default_configENS1_38merge_sort_block_merge_config_selectorIyNS0_10empty_typeEEEZZNS1_27merge_sort_block_merge_implIS3_PyPS5_jNS1_19radix_merge_compareILb1ELb1EyNS0_19identity_decomposerEEEEE10hipError_tT0_T1_T2_jT3_P12ihipStream_tbPNSt15iterator_traitsISE_E10value_typeEPNSK_ISF_E10value_typeEPSG_NS1_7vsmem_tEENKUlT_SE_SF_SG_E_clIS8_S8_S9_S9_EESD_ST_SE_SF_SG_EUlST_E0_NS1_11comp_targetILNS1_3genE9ELNS1_11target_archE1100ELNS1_3gpuE3ELNS1_3repE0EEENS1_38merge_mergepath_config_static_selectorELNS0_4arch9wavefront6targetE1EEEvSF_
; %bb.0:
	.section	.rodata,"a",@progbits
	.p2align	6, 0x0
	.amdhsa_kernel _ZN7rocprim17ROCPRIM_400000_NS6detail17trampoline_kernelINS0_14default_configENS1_38merge_sort_block_merge_config_selectorIyNS0_10empty_typeEEEZZNS1_27merge_sort_block_merge_implIS3_PyPS5_jNS1_19radix_merge_compareILb1ELb1EyNS0_19identity_decomposerEEEEE10hipError_tT0_T1_T2_jT3_P12ihipStream_tbPNSt15iterator_traitsISE_E10value_typeEPNSK_ISF_E10value_typeEPSG_NS1_7vsmem_tEENKUlT_SE_SF_SG_E_clIS8_S8_S9_S9_EESD_ST_SE_SF_SG_EUlST_E0_NS1_11comp_targetILNS1_3genE9ELNS1_11target_archE1100ELNS1_3gpuE3ELNS1_3repE0EEENS1_38merge_mergepath_config_static_selectorELNS0_4arch9wavefront6targetE1EEEvSF_
		.amdhsa_group_segment_fixed_size 0
		.amdhsa_private_segment_fixed_size 0
		.amdhsa_kernarg_size 72
		.amdhsa_user_sgpr_count 6
		.amdhsa_user_sgpr_private_segment_buffer 1
		.amdhsa_user_sgpr_dispatch_ptr 0
		.amdhsa_user_sgpr_queue_ptr 0
		.amdhsa_user_sgpr_kernarg_segment_ptr 1
		.amdhsa_user_sgpr_dispatch_id 0
		.amdhsa_user_sgpr_flat_scratch_init 0
		.amdhsa_user_sgpr_kernarg_preload_length 0
		.amdhsa_user_sgpr_kernarg_preload_offset 0
		.amdhsa_user_sgpr_private_segment_size 0
		.amdhsa_uses_dynamic_stack 0
		.amdhsa_system_sgpr_private_segment_wavefront_offset 0
		.amdhsa_system_sgpr_workgroup_id_x 1
		.amdhsa_system_sgpr_workgroup_id_y 0
		.amdhsa_system_sgpr_workgroup_id_z 0
		.amdhsa_system_sgpr_workgroup_info 0
		.amdhsa_system_vgpr_workitem_id 0
		.amdhsa_next_free_vgpr 1
		.amdhsa_next_free_sgpr 0
		.amdhsa_accum_offset 4
		.amdhsa_reserve_vcc 0
		.amdhsa_reserve_flat_scratch 0
		.amdhsa_float_round_mode_32 0
		.amdhsa_float_round_mode_16_64 0
		.amdhsa_float_denorm_mode_32 3
		.amdhsa_float_denorm_mode_16_64 3
		.amdhsa_dx10_clamp 1
		.amdhsa_ieee_mode 1
		.amdhsa_fp16_overflow 0
		.amdhsa_tg_split 0
		.amdhsa_exception_fp_ieee_invalid_op 0
		.amdhsa_exception_fp_denorm_src 0
		.amdhsa_exception_fp_ieee_div_zero 0
		.amdhsa_exception_fp_ieee_overflow 0
		.amdhsa_exception_fp_ieee_underflow 0
		.amdhsa_exception_fp_ieee_inexact 0
		.amdhsa_exception_int_div_zero 0
	.end_amdhsa_kernel
	.section	.text._ZN7rocprim17ROCPRIM_400000_NS6detail17trampoline_kernelINS0_14default_configENS1_38merge_sort_block_merge_config_selectorIyNS0_10empty_typeEEEZZNS1_27merge_sort_block_merge_implIS3_PyPS5_jNS1_19radix_merge_compareILb1ELb1EyNS0_19identity_decomposerEEEEE10hipError_tT0_T1_T2_jT3_P12ihipStream_tbPNSt15iterator_traitsISE_E10value_typeEPNSK_ISF_E10value_typeEPSG_NS1_7vsmem_tEENKUlT_SE_SF_SG_E_clIS8_S8_S9_S9_EESD_ST_SE_SF_SG_EUlST_E0_NS1_11comp_targetILNS1_3genE9ELNS1_11target_archE1100ELNS1_3gpuE3ELNS1_3repE0EEENS1_38merge_mergepath_config_static_selectorELNS0_4arch9wavefront6targetE1EEEvSF_,"axG",@progbits,_ZN7rocprim17ROCPRIM_400000_NS6detail17trampoline_kernelINS0_14default_configENS1_38merge_sort_block_merge_config_selectorIyNS0_10empty_typeEEEZZNS1_27merge_sort_block_merge_implIS3_PyPS5_jNS1_19radix_merge_compareILb1ELb1EyNS0_19identity_decomposerEEEEE10hipError_tT0_T1_T2_jT3_P12ihipStream_tbPNSt15iterator_traitsISE_E10value_typeEPNSK_ISF_E10value_typeEPSG_NS1_7vsmem_tEENKUlT_SE_SF_SG_E_clIS8_S8_S9_S9_EESD_ST_SE_SF_SG_EUlST_E0_NS1_11comp_targetILNS1_3genE9ELNS1_11target_archE1100ELNS1_3gpuE3ELNS1_3repE0EEENS1_38merge_mergepath_config_static_selectorELNS0_4arch9wavefront6targetE1EEEvSF_,comdat
.Lfunc_end2449:
	.size	_ZN7rocprim17ROCPRIM_400000_NS6detail17trampoline_kernelINS0_14default_configENS1_38merge_sort_block_merge_config_selectorIyNS0_10empty_typeEEEZZNS1_27merge_sort_block_merge_implIS3_PyPS5_jNS1_19radix_merge_compareILb1ELb1EyNS0_19identity_decomposerEEEEE10hipError_tT0_T1_T2_jT3_P12ihipStream_tbPNSt15iterator_traitsISE_E10value_typeEPNSK_ISF_E10value_typeEPSG_NS1_7vsmem_tEENKUlT_SE_SF_SG_E_clIS8_S8_S9_S9_EESD_ST_SE_SF_SG_EUlST_E0_NS1_11comp_targetILNS1_3genE9ELNS1_11target_archE1100ELNS1_3gpuE3ELNS1_3repE0EEENS1_38merge_mergepath_config_static_selectorELNS0_4arch9wavefront6targetE1EEEvSF_, .Lfunc_end2449-_ZN7rocprim17ROCPRIM_400000_NS6detail17trampoline_kernelINS0_14default_configENS1_38merge_sort_block_merge_config_selectorIyNS0_10empty_typeEEEZZNS1_27merge_sort_block_merge_implIS3_PyPS5_jNS1_19radix_merge_compareILb1ELb1EyNS0_19identity_decomposerEEEEE10hipError_tT0_T1_T2_jT3_P12ihipStream_tbPNSt15iterator_traitsISE_E10value_typeEPNSK_ISF_E10value_typeEPSG_NS1_7vsmem_tEENKUlT_SE_SF_SG_E_clIS8_S8_S9_S9_EESD_ST_SE_SF_SG_EUlST_E0_NS1_11comp_targetILNS1_3genE9ELNS1_11target_archE1100ELNS1_3gpuE3ELNS1_3repE0EEENS1_38merge_mergepath_config_static_selectorELNS0_4arch9wavefront6targetE1EEEvSF_
                                        ; -- End function
	.section	.AMDGPU.csdata,"",@progbits
; Kernel info:
; codeLenInByte = 0
; NumSgprs: 4
; NumVgprs: 0
; NumAgprs: 0
; TotalNumVgprs: 0
; ScratchSize: 0
; MemoryBound: 0
; FloatMode: 240
; IeeeMode: 1
; LDSByteSize: 0 bytes/workgroup (compile time only)
; SGPRBlocks: 0
; VGPRBlocks: 0
; NumSGPRsForWavesPerEU: 4
; NumVGPRsForWavesPerEU: 1
; AccumOffset: 4
; Occupancy: 8
; WaveLimiterHint : 0
; COMPUTE_PGM_RSRC2:SCRATCH_EN: 0
; COMPUTE_PGM_RSRC2:USER_SGPR: 6
; COMPUTE_PGM_RSRC2:TRAP_HANDLER: 0
; COMPUTE_PGM_RSRC2:TGID_X_EN: 1
; COMPUTE_PGM_RSRC2:TGID_Y_EN: 0
; COMPUTE_PGM_RSRC2:TGID_Z_EN: 0
; COMPUTE_PGM_RSRC2:TIDIG_COMP_CNT: 0
; COMPUTE_PGM_RSRC3_GFX90A:ACCUM_OFFSET: 0
; COMPUTE_PGM_RSRC3_GFX90A:TG_SPLIT: 0
	.section	.text._ZN7rocprim17ROCPRIM_400000_NS6detail17trampoline_kernelINS0_14default_configENS1_38merge_sort_block_merge_config_selectorIyNS0_10empty_typeEEEZZNS1_27merge_sort_block_merge_implIS3_PyPS5_jNS1_19radix_merge_compareILb1ELb1EyNS0_19identity_decomposerEEEEE10hipError_tT0_T1_T2_jT3_P12ihipStream_tbPNSt15iterator_traitsISE_E10value_typeEPNSK_ISF_E10value_typeEPSG_NS1_7vsmem_tEENKUlT_SE_SF_SG_E_clIS8_S8_S9_S9_EESD_ST_SE_SF_SG_EUlST_E0_NS1_11comp_targetILNS1_3genE8ELNS1_11target_archE1030ELNS1_3gpuE2ELNS1_3repE0EEENS1_38merge_mergepath_config_static_selectorELNS0_4arch9wavefront6targetE1EEEvSF_,"axG",@progbits,_ZN7rocprim17ROCPRIM_400000_NS6detail17trampoline_kernelINS0_14default_configENS1_38merge_sort_block_merge_config_selectorIyNS0_10empty_typeEEEZZNS1_27merge_sort_block_merge_implIS3_PyPS5_jNS1_19radix_merge_compareILb1ELb1EyNS0_19identity_decomposerEEEEE10hipError_tT0_T1_T2_jT3_P12ihipStream_tbPNSt15iterator_traitsISE_E10value_typeEPNSK_ISF_E10value_typeEPSG_NS1_7vsmem_tEENKUlT_SE_SF_SG_E_clIS8_S8_S9_S9_EESD_ST_SE_SF_SG_EUlST_E0_NS1_11comp_targetILNS1_3genE8ELNS1_11target_archE1030ELNS1_3gpuE2ELNS1_3repE0EEENS1_38merge_mergepath_config_static_selectorELNS0_4arch9wavefront6targetE1EEEvSF_,comdat
	.protected	_ZN7rocprim17ROCPRIM_400000_NS6detail17trampoline_kernelINS0_14default_configENS1_38merge_sort_block_merge_config_selectorIyNS0_10empty_typeEEEZZNS1_27merge_sort_block_merge_implIS3_PyPS5_jNS1_19radix_merge_compareILb1ELb1EyNS0_19identity_decomposerEEEEE10hipError_tT0_T1_T2_jT3_P12ihipStream_tbPNSt15iterator_traitsISE_E10value_typeEPNSK_ISF_E10value_typeEPSG_NS1_7vsmem_tEENKUlT_SE_SF_SG_E_clIS8_S8_S9_S9_EESD_ST_SE_SF_SG_EUlST_E0_NS1_11comp_targetILNS1_3genE8ELNS1_11target_archE1030ELNS1_3gpuE2ELNS1_3repE0EEENS1_38merge_mergepath_config_static_selectorELNS0_4arch9wavefront6targetE1EEEvSF_ ; -- Begin function _ZN7rocprim17ROCPRIM_400000_NS6detail17trampoline_kernelINS0_14default_configENS1_38merge_sort_block_merge_config_selectorIyNS0_10empty_typeEEEZZNS1_27merge_sort_block_merge_implIS3_PyPS5_jNS1_19radix_merge_compareILb1ELb1EyNS0_19identity_decomposerEEEEE10hipError_tT0_T1_T2_jT3_P12ihipStream_tbPNSt15iterator_traitsISE_E10value_typeEPNSK_ISF_E10value_typeEPSG_NS1_7vsmem_tEENKUlT_SE_SF_SG_E_clIS8_S8_S9_S9_EESD_ST_SE_SF_SG_EUlST_E0_NS1_11comp_targetILNS1_3genE8ELNS1_11target_archE1030ELNS1_3gpuE2ELNS1_3repE0EEENS1_38merge_mergepath_config_static_selectorELNS0_4arch9wavefront6targetE1EEEvSF_
	.globl	_ZN7rocprim17ROCPRIM_400000_NS6detail17trampoline_kernelINS0_14default_configENS1_38merge_sort_block_merge_config_selectorIyNS0_10empty_typeEEEZZNS1_27merge_sort_block_merge_implIS3_PyPS5_jNS1_19radix_merge_compareILb1ELb1EyNS0_19identity_decomposerEEEEE10hipError_tT0_T1_T2_jT3_P12ihipStream_tbPNSt15iterator_traitsISE_E10value_typeEPNSK_ISF_E10value_typeEPSG_NS1_7vsmem_tEENKUlT_SE_SF_SG_E_clIS8_S8_S9_S9_EESD_ST_SE_SF_SG_EUlST_E0_NS1_11comp_targetILNS1_3genE8ELNS1_11target_archE1030ELNS1_3gpuE2ELNS1_3repE0EEENS1_38merge_mergepath_config_static_selectorELNS0_4arch9wavefront6targetE1EEEvSF_
	.p2align	8
	.type	_ZN7rocprim17ROCPRIM_400000_NS6detail17trampoline_kernelINS0_14default_configENS1_38merge_sort_block_merge_config_selectorIyNS0_10empty_typeEEEZZNS1_27merge_sort_block_merge_implIS3_PyPS5_jNS1_19radix_merge_compareILb1ELb1EyNS0_19identity_decomposerEEEEE10hipError_tT0_T1_T2_jT3_P12ihipStream_tbPNSt15iterator_traitsISE_E10value_typeEPNSK_ISF_E10value_typeEPSG_NS1_7vsmem_tEENKUlT_SE_SF_SG_E_clIS8_S8_S9_S9_EESD_ST_SE_SF_SG_EUlST_E0_NS1_11comp_targetILNS1_3genE8ELNS1_11target_archE1030ELNS1_3gpuE2ELNS1_3repE0EEENS1_38merge_mergepath_config_static_selectorELNS0_4arch9wavefront6targetE1EEEvSF_,@function
_ZN7rocprim17ROCPRIM_400000_NS6detail17trampoline_kernelINS0_14default_configENS1_38merge_sort_block_merge_config_selectorIyNS0_10empty_typeEEEZZNS1_27merge_sort_block_merge_implIS3_PyPS5_jNS1_19radix_merge_compareILb1ELb1EyNS0_19identity_decomposerEEEEE10hipError_tT0_T1_T2_jT3_P12ihipStream_tbPNSt15iterator_traitsISE_E10value_typeEPNSK_ISF_E10value_typeEPSG_NS1_7vsmem_tEENKUlT_SE_SF_SG_E_clIS8_S8_S9_S9_EESD_ST_SE_SF_SG_EUlST_E0_NS1_11comp_targetILNS1_3genE8ELNS1_11target_archE1030ELNS1_3gpuE2ELNS1_3repE0EEENS1_38merge_mergepath_config_static_selectorELNS0_4arch9wavefront6targetE1EEEvSF_: ; @_ZN7rocprim17ROCPRIM_400000_NS6detail17trampoline_kernelINS0_14default_configENS1_38merge_sort_block_merge_config_selectorIyNS0_10empty_typeEEEZZNS1_27merge_sort_block_merge_implIS3_PyPS5_jNS1_19radix_merge_compareILb1ELb1EyNS0_19identity_decomposerEEEEE10hipError_tT0_T1_T2_jT3_P12ihipStream_tbPNSt15iterator_traitsISE_E10value_typeEPNSK_ISF_E10value_typeEPSG_NS1_7vsmem_tEENKUlT_SE_SF_SG_E_clIS8_S8_S9_S9_EESD_ST_SE_SF_SG_EUlST_E0_NS1_11comp_targetILNS1_3genE8ELNS1_11target_archE1030ELNS1_3gpuE2ELNS1_3repE0EEENS1_38merge_mergepath_config_static_selectorELNS0_4arch9wavefront6targetE1EEEvSF_
; %bb.0:
	.section	.rodata,"a",@progbits
	.p2align	6, 0x0
	.amdhsa_kernel _ZN7rocprim17ROCPRIM_400000_NS6detail17trampoline_kernelINS0_14default_configENS1_38merge_sort_block_merge_config_selectorIyNS0_10empty_typeEEEZZNS1_27merge_sort_block_merge_implIS3_PyPS5_jNS1_19radix_merge_compareILb1ELb1EyNS0_19identity_decomposerEEEEE10hipError_tT0_T1_T2_jT3_P12ihipStream_tbPNSt15iterator_traitsISE_E10value_typeEPNSK_ISF_E10value_typeEPSG_NS1_7vsmem_tEENKUlT_SE_SF_SG_E_clIS8_S8_S9_S9_EESD_ST_SE_SF_SG_EUlST_E0_NS1_11comp_targetILNS1_3genE8ELNS1_11target_archE1030ELNS1_3gpuE2ELNS1_3repE0EEENS1_38merge_mergepath_config_static_selectorELNS0_4arch9wavefront6targetE1EEEvSF_
		.amdhsa_group_segment_fixed_size 0
		.amdhsa_private_segment_fixed_size 0
		.amdhsa_kernarg_size 72
		.amdhsa_user_sgpr_count 6
		.amdhsa_user_sgpr_private_segment_buffer 1
		.amdhsa_user_sgpr_dispatch_ptr 0
		.amdhsa_user_sgpr_queue_ptr 0
		.amdhsa_user_sgpr_kernarg_segment_ptr 1
		.amdhsa_user_sgpr_dispatch_id 0
		.amdhsa_user_sgpr_flat_scratch_init 0
		.amdhsa_user_sgpr_kernarg_preload_length 0
		.amdhsa_user_sgpr_kernarg_preload_offset 0
		.amdhsa_user_sgpr_private_segment_size 0
		.amdhsa_uses_dynamic_stack 0
		.amdhsa_system_sgpr_private_segment_wavefront_offset 0
		.amdhsa_system_sgpr_workgroup_id_x 1
		.amdhsa_system_sgpr_workgroup_id_y 0
		.amdhsa_system_sgpr_workgroup_id_z 0
		.amdhsa_system_sgpr_workgroup_info 0
		.amdhsa_system_vgpr_workitem_id 0
		.amdhsa_next_free_vgpr 1
		.amdhsa_next_free_sgpr 0
		.amdhsa_accum_offset 4
		.amdhsa_reserve_vcc 0
		.amdhsa_reserve_flat_scratch 0
		.amdhsa_float_round_mode_32 0
		.amdhsa_float_round_mode_16_64 0
		.amdhsa_float_denorm_mode_32 3
		.amdhsa_float_denorm_mode_16_64 3
		.amdhsa_dx10_clamp 1
		.amdhsa_ieee_mode 1
		.amdhsa_fp16_overflow 0
		.amdhsa_tg_split 0
		.amdhsa_exception_fp_ieee_invalid_op 0
		.amdhsa_exception_fp_denorm_src 0
		.amdhsa_exception_fp_ieee_div_zero 0
		.amdhsa_exception_fp_ieee_overflow 0
		.amdhsa_exception_fp_ieee_underflow 0
		.amdhsa_exception_fp_ieee_inexact 0
		.amdhsa_exception_int_div_zero 0
	.end_amdhsa_kernel
	.section	.text._ZN7rocprim17ROCPRIM_400000_NS6detail17trampoline_kernelINS0_14default_configENS1_38merge_sort_block_merge_config_selectorIyNS0_10empty_typeEEEZZNS1_27merge_sort_block_merge_implIS3_PyPS5_jNS1_19radix_merge_compareILb1ELb1EyNS0_19identity_decomposerEEEEE10hipError_tT0_T1_T2_jT3_P12ihipStream_tbPNSt15iterator_traitsISE_E10value_typeEPNSK_ISF_E10value_typeEPSG_NS1_7vsmem_tEENKUlT_SE_SF_SG_E_clIS8_S8_S9_S9_EESD_ST_SE_SF_SG_EUlST_E0_NS1_11comp_targetILNS1_3genE8ELNS1_11target_archE1030ELNS1_3gpuE2ELNS1_3repE0EEENS1_38merge_mergepath_config_static_selectorELNS0_4arch9wavefront6targetE1EEEvSF_,"axG",@progbits,_ZN7rocprim17ROCPRIM_400000_NS6detail17trampoline_kernelINS0_14default_configENS1_38merge_sort_block_merge_config_selectorIyNS0_10empty_typeEEEZZNS1_27merge_sort_block_merge_implIS3_PyPS5_jNS1_19radix_merge_compareILb1ELb1EyNS0_19identity_decomposerEEEEE10hipError_tT0_T1_T2_jT3_P12ihipStream_tbPNSt15iterator_traitsISE_E10value_typeEPNSK_ISF_E10value_typeEPSG_NS1_7vsmem_tEENKUlT_SE_SF_SG_E_clIS8_S8_S9_S9_EESD_ST_SE_SF_SG_EUlST_E0_NS1_11comp_targetILNS1_3genE8ELNS1_11target_archE1030ELNS1_3gpuE2ELNS1_3repE0EEENS1_38merge_mergepath_config_static_selectorELNS0_4arch9wavefront6targetE1EEEvSF_,comdat
.Lfunc_end2450:
	.size	_ZN7rocprim17ROCPRIM_400000_NS6detail17trampoline_kernelINS0_14default_configENS1_38merge_sort_block_merge_config_selectorIyNS0_10empty_typeEEEZZNS1_27merge_sort_block_merge_implIS3_PyPS5_jNS1_19radix_merge_compareILb1ELb1EyNS0_19identity_decomposerEEEEE10hipError_tT0_T1_T2_jT3_P12ihipStream_tbPNSt15iterator_traitsISE_E10value_typeEPNSK_ISF_E10value_typeEPSG_NS1_7vsmem_tEENKUlT_SE_SF_SG_E_clIS8_S8_S9_S9_EESD_ST_SE_SF_SG_EUlST_E0_NS1_11comp_targetILNS1_3genE8ELNS1_11target_archE1030ELNS1_3gpuE2ELNS1_3repE0EEENS1_38merge_mergepath_config_static_selectorELNS0_4arch9wavefront6targetE1EEEvSF_, .Lfunc_end2450-_ZN7rocprim17ROCPRIM_400000_NS6detail17trampoline_kernelINS0_14default_configENS1_38merge_sort_block_merge_config_selectorIyNS0_10empty_typeEEEZZNS1_27merge_sort_block_merge_implIS3_PyPS5_jNS1_19radix_merge_compareILb1ELb1EyNS0_19identity_decomposerEEEEE10hipError_tT0_T1_T2_jT3_P12ihipStream_tbPNSt15iterator_traitsISE_E10value_typeEPNSK_ISF_E10value_typeEPSG_NS1_7vsmem_tEENKUlT_SE_SF_SG_E_clIS8_S8_S9_S9_EESD_ST_SE_SF_SG_EUlST_E0_NS1_11comp_targetILNS1_3genE8ELNS1_11target_archE1030ELNS1_3gpuE2ELNS1_3repE0EEENS1_38merge_mergepath_config_static_selectorELNS0_4arch9wavefront6targetE1EEEvSF_
                                        ; -- End function
	.section	.AMDGPU.csdata,"",@progbits
; Kernel info:
; codeLenInByte = 0
; NumSgprs: 4
; NumVgprs: 0
; NumAgprs: 0
; TotalNumVgprs: 0
; ScratchSize: 0
; MemoryBound: 0
; FloatMode: 240
; IeeeMode: 1
; LDSByteSize: 0 bytes/workgroup (compile time only)
; SGPRBlocks: 0
; VGPRBlocks: 0
; NumSGPRsForWavesPerEU: 4
; NumVGPRsForWavesPerEU: 1
; AccumOffset: 4
; Occupancy: 8
; WaveLimiterHint : 0
; COMPUTE_PGM_RSRC2:SCRATCH_EN: 0
; COMPUTE_PGM_RSRC2:USER_SGPR: 6
; COMPUTE_PGM_RSRC2:TRAP_HANDLER: 0
; COMPUTE_PGM_RSRC2:TGID_X_EN: 1
; COMPUTE_PGM_RSRC2:TGID_Y_EN: 0
; COMPUTE_PGM_RSRC2:TGID_Z_EN: 0
; COMPUTE_PGM_RSRC2:TIDIG_COMP_CNT: 0
; COMPUTE_PGM_RSRC3_GFX90A:ACCUM_OFFSET: 0
; COMPUTE_PGM_RSRC3_GFX90A:TG_SPLIT: 0
	.section	.text._ZN7rocprim17ROCPRIM_400000_NS6detail17trampoline_kernelINS0_14default_configENS1_38merge_sort_block_merge_config_selectorIyNS0_10empty_typeEEEZZNS1_27merge_sort_block_merge_implIS3_PyPS5_jNS1_19radix_merge_compareILb1ELb1EyNS0_19identity_decomposerEEEEE10hipError_tT0_T1_T2_jT3_P12ihipStream_tbPNSt15iterator_traitsISE_E10value_typeEPNSK_ISF_E10value_typeEPSG_NS1_7vsmem_tEENKUlT_SE_SF_SG_E_clIS8_S8_S9_S9_EESD_ST_SE_SF_SG_EUlST_E1_NS1_11comp_targetILNS1_3genE0ELNS1_11target_archE4294967295ELNS1_3gpuE0ELNS1_3repE0EEENS1_36merge_oddeven_config_static_selectorELNS0_4arch9wavefront6targetE1EEEvSF_,"axG",@progbits,_ZN7rocprim17ROCPRIM_400000_NS6detail17trampoline_kernelINS0_14default_configENS1_38merge_sort_block_merge_config_selectorIyNS0_10empty_typeEEEZZNS1_27merge_sort_block_merge_implIS3_PyPS5_jNS1_19radix_merge_compareILb1ELb1EyNS0_19identity_decomposerEEEEE10hipError_tT0_T1_T2_jT3_P12ihipStream_tbPNSt15iterator_traitsISE_E10value_typeEPNSK_ISF_E10value_typeEPSG_NS1_7vsmem_tEENKUlT_SE_SF_SG_E_clIS8_S8_S9_S9_EESD_ST_SE_SF_SG_EUlST_E1_NS1_11comp_targetILNS1_3genE0ELNS1_11target_archE4294967295ELNS1_3gpuE0ELNS1_3repE0EEENS1_36merge_oddeven_config_static_selectorELNS0_4arch9wavefront6targetE1EEEvSF_,comdat
	.protected	_ZN7rocprim17ROCPRIM_400000_NS6detail17trampoline_kernelINS0_14default_configENS1_38merge_sort_block_merge_config_selectorIyNS0_10empty_typeEEEZZNS1_27merge_sort_block_merge_implIS3_PyPS5_jNS1_19radix_merge_compareILb1ELb1EyNS0_19identity_decomposerEEEEE10hipError_tT0_T1_T2_jT3_P12ihipStream_tbPNSt15iterator_traitsISE_E10value_typeEPNSK_ISF_E10value_typeEPSG_NS1_7vsmem_tEENKUlT_SE_SF_SG_E_clIS8_S8_S9_S9_EESD_ST_SE_SF_SG_EUlST_E1_NS1_11comp_targetILNS1_3genE0ELNS1_11target_archE4294967295ELNS1_3gpuE0ELNS1_3repE0EEENS1_36merge_oddeven_config_static_selectorELNS0_4arch9wavefront6targetE1EEEvSF_ ; -- Begin function _ZN7rocprim17ROCPRIM_400000_NS6detail17trampoline_kernelINS0_14default_configENS1_38merge_sort_block_merge_config_selectorIyNS0_10empty_typeEEEZZNS1_27merge_sort_block_merge_implIS3_PyPS5_jNS1_19radix_merge_compareILb1ELb1EyNS0_19identity_decomposerEEEEE10hipError_tT0_T1_T2_jT3_P12ihipStream_tbPNSt15iterator_traitsISE_E10value_typeEPNSK_ISF_E10value_typeEPSG_NS1_7vsmem_tEENKUlT_SE_SF_SG_E_clIS8_S8_S9_S9_EESD_ST_SE_SF_SG_EUlST_E1_NS1_11comp_targetILNS1_3genE0ELNS1_11target_archE4294967295ELNS1_3gpuE0ELNS1_3repE0EEENS1_36merge_oddeven_config_static_selectorELNS0_4arch9wavefront6targetE1EEEvSF_
	.globl	_ZN7rocprim17ROCPRIM_400000_NS6detail17trampoline_kernelINS0_14default_configENS1_38merge_sort_block_merge_config_selectorIyNS0_10empty_typeEEEZZNS1_27merge_sort_block_merge_implIS3_PyPS5_jNS1_19radix_merge_compareILb1ELb1EyNS0_19identity_decomposerEEEEE10hipError_tT0_T1_T2_jT3_P12ihipStream_tbPNSt15iterator_traitsISE_E10value_typeEPNSK_ISF_E10value_typeEPSG_NS1_7vsmem_tEENKUlT_SE_SF_SG_E_clIS8_S8_S9_S9_EESD_ST_SE_SF_SG_EUlST_E1_NS1_11comp_targetILNS1_3genE0ELNS1_11target_archE4294967295ELNS1_3gpuE0ELNS1_3repE0EEENS1_36merge_oddeven_config_static_selectorELNS0_4arch9wavefront6targetE1EEEvSF_
	.p2align	8
	.type	_ZN7rocprim17ROCPRIM_400000_NS6detail17trampoline_kernelINS0_14default_configENS1_38merge_sort_block_merge_config_selectorIyNS0_10empty_typeEEEZZNS1_27merge_sort_block_merge_implIS3_PyPS5_jNS1_19radix_merge_compareILb1ELb1EyNS0_19identity_decomposerEEEEE10hipError_tT0_T1_T2_jT3_P12ihipStream_tbPNSt15iterator_traitsISE_E10value_typeEPNSK_ISF_E10value_typeEPSG_NS1_7vsmem_tEENKUlT_SE_SF_SG_E_clIS8_S8_S9_S9_EESD_ST_SE_SF_SG_EUlST_E1_NS1_11comp_targetILNS1_3genE0ELNS1_11target_archE4294967295ELNS1_3gpuE0ELNS1_3repE0EEENS1_36merge_oddeven_config_static_selectorELNS0_4arch9wavefront6targetE1EEEvSF_,@function
_ZN7rocprim17ROCPRIM_400000_NS6detail17trampoline_kernelINS0_14default_configENS1_38merge_sort_block_merge_config_selectorIyNS0_10empty_typeEEEZZNS1_27merge_sort_block_merge_implIS3_PyPS5_jNS1_19radix_merge_compareILb1ELb1EyNS0_19identity_decomposerEEEEE10hipError_tT0_T1_T2_jT3_P12ihipStream_tbPNSt15iterator_traitsISE_E10value_typeEPNSK_ISF_E10value_typeEPSG_NS1_7vsmem_tEENKUlT_SE_SF_SG_E_clIS8_S8_S9_S9_EESD_ST_SE_SF_SG_EUlST_E1_NS1_11comp_targetILNS1_3genE0ELNS1_11target_archE4294967295ELNS1_3gpuE0ELNS1_3repE0EEENS1_36merge_oddeven_config_static_selectorELNS0_4arch9wavefront6targetE1EEEvSF_: ; @_ZN7rocprim17ROCPRIM_400000_NS6detail17trampoline_kernelINS0_14default_configENS1_38merge_sort_block_merge_config_selectorIyNS0_10empty_typeEEEZZNS1_27merge_sort_block_merge_implIS3_PyPS5_jNS1_19radix_merge_compareILb1ELb1EyNS0_19identity_decomposerEEEEE10hipError_tT0_T1_T2_jT3_P12ihipStream_tbPNSt15iterator_traitsISE_E10value_typeEPNSK_ISF_E10value_typeEPSG_NS1_7vsmem_tEENKUlT_SE_SF_SG_E_clIS8_S8_S9_S9_EESD_ST_SE_SF_SG_EUlST_E1_NS1_11comp_targetILNS1_3genE0ELNS1_11target_archE4294967295ELNS1_3gpuE0ELNS1_3repE0EEENS1_36merge_oddeven_config_static_selectorELNS0_4arch9wavefront6targetE1EEEvSF_
; %bb.0:
	.section	.rodata,"a",@progbits
	.p2align	6, 0x0
	.amdhsa_kernel _ZN7rocprim17ROCPRIM_400000_NS6detail17trampoline_kernelINS0_14default_configENS1_38merge_sort_block_merge_config_selectorIyNS0_10empty_typeEEEZZNS1_27merge_sort_block_merge_implIS3_PyPS5_jNS1_19radix_merge_compareILb1ELb1EyNS0_19identity_decomposerEEEEE10hipError_tT0_T1_T2_jT3_P12ihipStream_tbPNSt15iterator_traitsISE_E10value_typeEPNSK_ISF_E10value_typeEPSG_NS1_7vsmem_tEENKUlT_SE_SF_SG_E_clIS8_S8_S9_S9_EESD_ST_SE_SF_SG_EUlST_E1_NS1_11comp_targetILNS1_3genE0ELNS1_11target_archE4294967295ELNS1_3gpuE0ELNS1_3repE0EEENS1_36merge_oddeven_config_static_selectorELNS0_4arch9wavefront6targetE1EEEvSF_
		.amdhsa_group_segment_fixed_size 0
		.amdhsa_private_segment_fixed_size 0
		.amdhsa_kernarg_size 48
		.amdhsa_user_sgpr_count 6
		.amdhsa_user_sgpr_private_segment_buffer 1
		.amdhsa_user_sgpr_dispatch_ptr 0
		.amdhsa_user_sgpr_queue_ptr 0
		.amdhsa_user_sgpr_kernarg_segment_ptr 1
		.amdhsa_user_sgpr_dispatch_id 0
		.amdhsa_user_sgpr_flat_scratch_init 0
		.amdhsa_user_sgpr_kernarg_preload_length 0
		.amdhsa_user_sgpr_kernarg_preload_offset 0
		.amdhsa_user_sgpr_private_segment_size 0
		.amdhsa_uses_dynamic_stack 0
		.amdhsa_system_sgpr_private_segment_wavefront_offset 0
		.amdhsa_system_sgpr_workgroup_id_x 1
		.amdhsa_system_sgpr_workgroup_id_y 0
		.amdhsa_system_sgpr_workgroup_id_z 0
		.amdhsa_system_sgpr_workgroup_info 0
		.amdhsa_system_vgpr_workitem_id 0
		.amdhsa_next_free_vgpr 1
		.amdhsa_next_free_sgpr 0
		.amdhsa_accum_offset 4
		.amdhsa_reserve_vcc 0
		.amdhsa_reserve_flat_scratch 0
		.amdhsa_float_round_mode_32 0
		.amdhsa_float_round_mode_16_64 0
		.amdhsa_float_denorm_mode_32 3
		.amdhsa_float_denorm_mode_16_64 3
		.amdhsa_dx10_clamp 1
		.amdhsa_ieee_mode 1
		.amdhsa_fp16_overflow 0
		.amdhsa_tg_split 0
		.amdhsa_exception_fp_ieee_invalid_op 0
		.amdhsa_exception_fp_denorm_src 0
		.amdhsa_exception_fp_ieee_div_zero 0
		.amdhsa_exception_fp_ieee_overflow 0
		.amdhsa_exception_fp_ieee_underflow 0
		.amdhsa_exception_fp_ieee_inexact 0
		.amdhsa_exception_int_div_zero 0
	.end_amdhsa_kernel
	.section	.text._ZN7rocprim17ROCPRIM_400000_NS6detail17trampoline_kernelINS0_14default_configENS1_38merge_sort_block_merge_config_selectorIyNS0_10empty_typeEEEZZNS1_27merge_sort_block_merge_implIS3_PyPS5_jNS1_19radix_merge_compareILb1ELb1EyNS0_19identity_decomposerEEEEE10hipError_tT0_T1_T2_jT3_P12ihipStream_tbPNSt15iterator_traitsISE_E10value_typeEPNSK_ISF_E10value_typeEPSG_NS1_7vsmem_tEENKUlT_SE_SF_SG_E_clIS8_S8_S9_S9_EESD_ST_SE_SF_SG_EUlST_E1_NS1_11comp_targetILNS1_3genE0ELNS1_11target_archE4294967295ELNS1_3gpuE0ELNS1_3repE0EEENS1_36merge_oddeven_config_static_selectorELNS0_4arch9wavefront6targetE1EEEvSF_,"axG",@progbits,_ZN7rocprim17ROCPRIM_400000_NS6detail17trampoline_kernelINS0_14default_configENS1_38merge_sort_block_merge_config_selectorIyNS0_10empty_typeEEEZZNS1_27merge_sort_block_merge_implIS3_PyPS5_jNS1_19radix_merge_compareILb1ELb1EyNS0_19identity_decomposerEEEEE10hipError_tT0_T1_T2_jT3_P12ihipStream_tbPNSt15iterator_traitsISE_E10value_typeEPNSK_ISF_E10value_typeEPSG_NS1_7vsmem_tEENKUlT_SE_SF_SG_E_clIS8_S8_S9_S9_EESD_ST_SE_SF_SG_EUlST_E1_NS1_11comp_targetILNS1_3genE0ELNS1_11target_archE4294967295ELNS1_3gpuE0ELNS1_3repE0EEENS1_36merge_oddeven_config_static_selectorELNS0_4arch9wavefront6targetE1EEEvSF_,comdat
.Lfunc_end2451:
	.size	_ZN7rocprim17ROCPRIM_400000_NS6detail17trampoline_kernelINS0_14default_configENS1_38merge_sort_block_merge_config_selectorIyNS0_10empty_typeEEEZZNS1_27merge_sort_block_merge_implIS3_PyPS5_jNS1_19radix_merge_compareILb1ELb1EyNS0_19identity_decomposerEEEEE10hipError_tT0_T1_T2_jT3_P12ihipStream_tbPNSt15iterator_traitsISE_E10value_typeEPNSK_ISF_E10value_typeEPSG_NS1_7vsmem_tEENKUlT_SE_SF_SG_E_clIS8_S8_S9_S9_EESD_ST_SE_SF_SG_EUlST_E1_NS1_11comp_targetILNS1_3genE0ELNS1_11target_archE4294967295ELNS1_3gpuE0ELNS1_3repE0EEENS1_36merge_oddeven_config_static_selectorELNS0_4arch9wavefront6targetE1EEEvSF_, .Lfunc_end2451-_ZN7rocprim17ROCPRIM_400000_NS6detail17trampoline_kernelINS0_14default_configENS1_38merge_sort_block_merge_config_selectorIyNS0_10empty_typeEEEZZNS1_27merge_sort_block_merge_implIS3_PyPS5_jNS1_19radix_merge_compareILb1ELb1EyNS0_19identity_decomposerEEEEE10hipError_tT0_T1_T2_jT3_P12ihipStream_tbPNSt15iterator_traitsISE_E10value_typeEPNSK_ISF_E10value_typeEPSG_NS1_7vsmem_tEENKUlT_SE_SF_SG_E_clIS8_S8_S9_S9_EESD_ST_SE_SF_SG_EUlST_E1_NS1_11comp_targetILNS1_3genE0ELNS1_11target_archE4294967295ELNS1_3gpuE0ELNS1_3repE0EEENS1_36merge_oddeven_config_static_selectorELNS0_4arch9wavefront6targetE1EEEvSF_
                                        ; -- End function
	.section	.AMDGPU.csdata,"",@progbits
; Kernel info:
; codeLenInByte = 0
; NumSgprs: 4
; NumVgprs: 0
; NumAgprs: 0
; TotalNumVgprs: 0
; ScratchSize: 0
; MemoryBound: 0
; FloatMode: 240
; IeeeMode: 1
; LDSByteSize: 0 bytes/workgroup (compile time only)
; SGPRBlocks: 0
; VGPRBlocks: 0
; NumSGPRsForWavesPerEU: 4
; NumVGPRsForWavesPerEU: 1
; AccumOffset: 4
; Occupancy: 8
; WaveLimiterHint : 0
; COMPUTE_PGM_RSRC2:SCRATCH_EN: 0
; COMPUTE_PGM_RSRC2:USER_SGPR: 6
; COMPUTE_PGM_RSRC2:TRAP_HANDLER: 0
; COMPUTE_PGM_RSRC2:TGID_X_EN: 1
; COMPUTE_PGM_RSRC2:TGID_Y_EN: 0
; COMPUTE_PGM_RSRC2:TGID_Z_EN: 0
; COMPUTE_PGM_RSRC2:TIDIG_COMP_CNT: 0
; COMPUTE_PGM_RSRC3_GFX90A:ACCUM_OFFSET: 0
; COMPUTE_PGM_RSRC3_GFX90A:TG_SPLIT: 0
	.section	.text._ZN7rocprim17ROCPRIM_400000_NS6detail17trampoline_kernelINS0_14default_configENS1_38merge_sort_block_merge_config_selectorIyNS0_10empty_typeEEEZZNS1_27merge_sort_block_merge_implIS3_PyPS5_jNS1_19radix_merge_compareILb1ELb1EyNS0_19identity_decomposerEEEEE10hipError_tT0_T1_T2_jT3_P12ihipStream_tbPNSt15iterator_traitsISE_E10value_typeEPNSK_ISF_E10value_typeEPSG_NS1_7vsmem_tEENKUlT_SE_SF_SG_E_clIS8_S8_S9_S9_EESD_ST_SE_SF_SG_EUlST_E1_NS1_11comp_targetILNS1_3genE10ELNS1_11target_archE1201ELNS1_3gpuE5ELNS1_3repE0EEENS1_36merge_oddeven_config_static_selectorELNS0_4arch9wavefront6targetE1EEEvSF_,"axG",@progbits,_ZN7rocprim17ROCPRIM_400000_NS6detail17trampoline_kernelINS0_14default_configENS1_38merge_sort_block_merge_config_selectorIyNS0_10empty_typeEEEZZNS1_27merge_sort_block_merge_implIS3_PyPS5_jNS1_19radix_merge_compareILb1ELb1EyNS0_19identity_decomposerEEEEE10hipError_tT0_T1_T2_jT3_P12ihipStream_tbPNSt15iterator_traitsISE_E10value_typeEPNSK_ISF_E10value_typeEPSG_NS1_7vsmem_tEENKUlT_SE_SF_SG_E_clIS8_S8_S9_S9_EESD_ST_SE_SF_SG_EUlST_E1_NS1_11comp_targetILNS1_3genE10ELNS1_11target_archE1201ELNS1_3gpuE5ELNS1_3repE0EEENS1_36merge_oddeven_config_static_selectorELNS0_4arch9wavefront6targetE1EEEvSF_,comdat
	.protected	_ZN7rocprim17ROCPRIM_400000_NS6detail17trampoline_kernelINS0_14default_configENS1_38merge_sort_block_merge_config_selectorIyNS0_10empty_typeEEEZZNS1_27merge_sort_block_merge_implIS3_PyPS5_jNS1_19radix_merge_compareILb1ELb1EyNS0_19identity_decomposerEEEEE10hipError_tT0_T1_T2_jT3_P12ihipStream_tbPNSt15iterator_traitsISE_E10value_typeEPNSK_ISF_E10value_typeEPSG_NS1_7vsmem_tEENKUlT_SE_SF_SG_E_clIS8_S8_S9_S9_EESD_ST_SE_SF_SG_EUlST_E1_NS1_11comp_targetILNS1_3genE10ELNS1_11target_archE1201ELNS1_3gpuE5ELNS1_3repE0EEENS1_36merge_oddeven_config_static_selectorELNS0_4arch9wavefront6targetE1EEEvSF_ ; -- Begin function _ZN7rocprim17ROCPRIM_400000_NS6detail17trampoline_kernelINS0_14default_configENS1_38merge_sort_block_merge_config_selectorIyNS0_10empty_typeEEEZZNS1_27merge_sort_block_merge_implIS3_PyPS5_jNS1_19radix_merge_compareILb1ELb1EyNS0_19identity_decomposerEEEEE10hipError_tT0_T1_T2_jT3_P12ihipStream_tbPNSt15iterator_traitsISE_E10value_typeEPNSK_ISF_E10value_typeEPSG_NS1_7vsmem_tEENKUlT_SE_SF_SG_E_clIS8_S8_S9_S9_EESD_ST_SE_SF_SG_EUlST_E1_NS1_11comp_targetILNS1_3genE10ELNS1_11target_archE1201ELNS1_3gpuE5ELNS1_3repE0EEENS1_36merge_oddeven_config_static_selectorELNS0_4arch9wavefront6targetE1EEEvSF_
	.globl	_ZN7rocprim17ROCPRIM_400000_NS6detail17trampoline_kernelINS0_14default_configENS1_38merge_sort_block_merge_config_selectorIyNS0_10empty_typeEEEZZNS1_27merge_sort_block_merge_implIS3_PyPS5_jNS1_19radix_merge_compareILb1ELb1EyNS0_19identity_decomposerEEEEE10hipError_tT0_T1_T2_jT3_P12ihipStream_tbPNSt15iterator_traitsISE_E10value_typeEPNSK_ISF_E10value_typeEPSG_NS1_7vsmem_tEENKUlT_SE_SF_SG_E_clIS8_S8_S9_S9_EESD_ST_SE_SF_SG_EUlST_E1_NS1_11comp_targetILNS1_3genE10ELNS1_11target_archE1201ELNS1_3gpuE5ELNS1_3repE0EEENS1_36merge_oddeven_config_static_selectorELNS0_4arch9wavefront6targetE1EEEvSF_
	.p2align	8
	.type	_ZN7rocprim17ROCPRIM_400000_NS6detail17trampoline_kernelINS0_14default_configENS1_38merge_sort_block_merge_config_selectorIyNS0_10empty_typeEEEZZNS1_27merge_sort_block_merge_implIS3_PyPS5_jNS1_19radix_merge_compareILb1ELb1EyNS0_19identity_decomposerEEEEE10hipError_tT0_T1_T2_jT3_P12ihipStream_tbPNSt15iterator_traitsISE_E10value_typeEPNSK_ISF_E10value_typeEPSG_NS1_7vsmem_tEENKUlT_SE_SF_SG_E_clIS8_S8_S9_S9_EESD_ST_SE_SF_SG_EUlST_E1_NS1_11comp_targetILNS1_3genE10ELNS1_11target_archE1201ELNS1_3gpuE5ELNS1_3repE0EEENS1_36merge_oddeven_config_static_selectorELNS0_4arch9wavefront6targetE1EEEvSF_,@function
_ZN7rocprim17ROCPRIM_400000_NS6detail17trampoline_kernelINS0_14default_configENS1_38merge_sort_block_merge_config_selectorIyNS0_10empty_typeEEEZZNS1_27merge_sort_block_merge_implIS3_PyPS5_jNS1_19radix_merge_compareILb1ELb1EyNS0_19identity_decomposerEEEEE10hipError_tT0_T1_T2_jT3_P12ihipStream_tbPNSt15iterator_traitsISE_E10value_typeEPNSK_ISF_E10value_typeEPSG_NS1_7vsmem_tEENKUlT_SE_SF_SG_E_clIS8_S8_S9_S9_EESD_ST_SE_SF_SG_EUlST_E1_NS1_11comp_targetILNS1_3genE10ELNS1_11target_archE1201ELNS1_3gpuE5ELNS1_3repE0EEENS1_36merge_oddeven_config_static_selectorELNS0_4arch9wavefront6targetE1EEEvSF_: ; @_ZN7rocprim17ROCPRIM_400000_NS6detail17trampoline_kernelINS0_14default_configENS1_38merge_sort_block_merge_config_selectorIyNS0_10empty_typeEEEZZNS1_27merge_sort_block_merge_implIS3_PyPS5_jNS1_19radix_merge_compareILb1ELb1EyNS0_19identity_decomposerEEEEE10hipError_tT0_T1_T2_jT3_P12ihipStream_tbPNSt15iterator_traitsISE_E10value_typeEPNSK_ISF_E10value_typeEPSG_NS1_7vsmem_tEENKUlT_SE_SF_SG_E_clIS8_S8_S9_S9_EESD_ST_SE_SF_SG_EUlST_E1_NS1_11comp_targetILNS1_3genE10ELNS1_11target_archE1201ELNS1_3gpuE5ELNS1_3repE0EEENS1_36merge_oddeven_config_static_selectorELNS0_4arch9wavefront6targetE1EEEvSF_
; %bb.0:
	.section	.rodata,"a",@progbits
	.p2align	6, 0x0
	.amdhsa_kernel _ZN7rocprim17ROCPRIM_400000_NS6detail17trampoline_kernelINS0_14default_configENS1_38merge_sort_block_merge_config_selectorIyNS0_10empty_typeEEEZZNS1_27merge_sort_block_merge_implIS3_PyPS5_jNS1_19radix_merge_compareILb1ELb1EyNS0_19identity_decomposerEEEEE10hipError_tT0_T1_T2_jT3_P12ihipStream_tbPNSt15iterator_traitsISE_E10value_typeEPNSK_ISF_E10value_typeEPSG_NS1_7vsmem_tEENKUlT_SE_SF_SG_E_clIS8_S8_S9_S9_EESD_ST_SE_SF_SG_EUlST_E1_NS1_11comp_targetILNS1_3genE10ELNS1_11target_archE1201ELNS1_3gpuE5ELNS1_3repE0EEENS1_36merge_oddeven_config_static_selectorELNS0_4arch9wavefront6targetE1EEEvSF_
		.amdhsa_group_segment_fixed_size 0
		.amdhsa_private_segment_fixed_size 0
		.amdhsa_kernarg_size 48
		.amdhsa_user_sgpr_count 6
		.amdhsa_user_sgpr_private_segment_buffer 1
		.amdhsa_user_sgpr_dispatch_ptr 0
		.amdhsa_user_sgpr_queue_ptr 0
		.amdhsa_user_sgpr_kernarg_segment_ptr 1
		.amdhsa_user_sgpr_dispatch_id 0
		.amdhsa_user_sgpr_flat_scratch_init 0
		.amdhsa_user_sgpr_kernarg_preload_length 0
		.amdhsa_user_sgpr_kernarg_preload_offset 0
		.amdhsa_user_sgpr_private_segment_size 0
		.amdhsa_uses_dynamic_stack 0
		.amdhsa_system_sgpr_private_segment_wavefront_offset 0
		.amdhsa_system_sgpr_workgroup_id_x 1
		.amdhsa_system_sgpr_workgroup_id_y 0
		.amdhsa_system_sgpr_workgroup_id_z 0
		.amdhsa_system_sgpr_workgroup_info 0
		.amdhsa_system_vgpr_workitem_id 0
		.amdhsa_next_free_vgpr 1
		.amdhsa_next_free_sgpr 0
		.amdhsa_accum_offset 4
		.amdhsa_reserve_vcc 0
		.amdhsa_reserve_flat_scratch 0
		.amdhsa_float_round_mode_32 0
		.amdhsa_float_round_mode_16_64 0
		.amdhsa_float_denorm_mode_32 3
		.amdhsa_float_denorm_mode_16_64 3
		.amdhsa_dx10_clamp 1
		.amdhsa_ieee_mode 1
		.amdhsa_fp16_overflow 0
		.amdhsa_tg_split 0
		.amdhsa_exception_fp_ieee_invalid_op 0
		.amdhsa_exception_fp_denorm_src 0
		.amdhsa_exception_fp_ieee_div_zero 0
		.amdhsa_exception_fp_ieee_overflow 0
		.amdhsa_exception_fp_ieee_underflow 0
		.amdhsa_exception_fp_ieee_inexact 0
		.amdhsa_exception_int_div_zero 0
	.end_amdhsa_kernel
	.section	.text._ZN7rocprim17ROCPRIM_400000_NS6detail17trampoline_kernelINS0_14default_configENS1_38merge_sort_block_merge_config_selectorIyNS0_10empty_typeEEEZZNS1_27merge_sort_block_merge_implIS3_PyPS5_jNS1_19radix_merge_compareILb1ELb1EyNS0_19identity_decomposerEEEEE10hipError_tT0_T1_T2_jT3_P12ihipStream_tbPNSt15iterator_traitsISE_E10value_typeEPNSK_ISF_E10value_typeEPSG_NS1_7vsmem_tEENKUlT_SE_SF_SG_E_clIS8_S8_S9_S9_EESD_ST_SE_SF_SG_EUlST_E1_NS1_11comp_targetILNS1_3genE10ELNS1_11target_archE1201ELNS1_3gpuE5ELNS1_3repE0EEENS1_36merge_oddeven_config_static_selectorELNS0_4arch9wavefront6targetE1EEEvSF_,"axG",@progbits,_ZN7rocprim17ROCPRIM_400000_NS6detail17trampoline_kernelINS0_14default_configENS1_38merge_sort_block_merge_config_selectorIyNS0_10empty_typeEEEZZNS1_27merge_sort_block_merge_implIS3_PyPS5_jNS1_19radix_merge_compareILb1ELb1EyNS0_19identity_decomposerEEEEE10hipError_tT0_T1_T2_jT3_P12ihipStream_tbPNSt15iterator_traitsISE_E10value_typeEPNSK_ISF_E10value_typeEPSG_NS1_7vsmem_tEENKUlT_SE_SF_SG_E_clIS8_S8_S9_S9_EESD_ST_SE_SF_SG_EUlST_E1_NS1_11comp_targetILNS1_3genE10ELNS1_11target_archE1201ELNS1_3gpuE5ELNS1_3repE0EEENS1_36merge_oddeven_config_static_selectorELNS0_4arch9wavefront6targetE1EEEvSF_,comdat
.Lfunc_end2452:
	.size	_ZN7rocprim17ROCPRIM_400000_NS6detail17trampoline_kernelINS0_14default_configENS1_38merge_sort_block_merge_config_selectorIyNS0_10empty_typeEEEZZNS1_27merge_sort_block_merge_implIS3_PyPS5_jNS1_19radix_merge_compareILb1ELb1EyNS0_19identity_decomposerEEEEE10hipError_tT0_T1_T2_jT3_P12ihipStream_tbPNSt15iterator_traitsISE_E10value_typeEPNSK_ISF_E10value_typeEPSG_NS1_7vsmem_tEENKUlT_SE_SF_SG_E_clIS8_S8_S9_S9_EESD_ST_SE_SF_SG_EUlST_E1_NS1_11comp_targetILNS1_3genE10ELNS1_11target_archE1201ELNS1_3gpuE5ELNS1_3repE0EEENS1_36merge_oddeven_config_static_selectorELNS0_4arch9wavefront6targetE1EEEvSF_, .Lfunc_end2452-_ZN7rocprim17ROCPRIM_400000_NS6detail17trampoline_kernelINS0_14default_configENS1_38merge_sort_block_merge_config_selectorIyNS0_10empty_typeEEEZZNS1_27merge_sort_block_merge_implIS3_PyPS5_jNS1_19radix_merge_compareILb1ELb1EyNS0_19identity_decomposerEEEEE10hipError_tT0_T1_T2_jT3_P12ihipStream_tbPNSt15iterator_traitsISE_E10value_typeEPNSK_ISF_E10value_typeEPSG_NS1_7vsmem_tEENKUlT_SE_SF_SG_E_clIS8_S8_S9_S9_EESD_ST_SE_SF_SG_EUlST_E1_NS1_11comp_targetILNS1_3genE10ELNS1_11target_archE1201ELNS1_3gpuE5ELNS1_3repE0EEENS1_36merge_oddeven_config_static_selectorELNS0_4arch9wavefront6targetE1EEEvSF_
                                        ; -- End function
	.section	.AMDGPU.csdata,"",@progbits
; Kernel info:
; codeLenInByte = 0
; NumSgprs: 4
; NumVgprs: 0
; NumAgprs: 0
; TotalNumVgprs: 0
; ScratchSize: 0
; MemoryBound: 0
; FloatMode: 240
; IeeeMode: 1
; LDSByteSize: 0 bytes/workgroup (compile time only)
; SGPRBlocks: 0
; VGPRBlocks: 0
; NumSGPRsForWavesPerEU: 4
; NumVGPRsForWavesPerEU: 1
; AccumOffset: 4
; Occupancy: 8
; WaveLimiterHint : 0
; COMPUTE_PGM_RSRC2:SCRATCH_EN: 0
; COMPUTE_PGM_RSRC2:USER_SGPR: 6
; COMPUTE_PGM_RSRC2:TRAP_HANDLER: 0
; COMPUTE_PGM_RSRC2:TGID_X_EN: 1
; COMPUTE_PGM_RSRC2:TGID_Y_EN: 0
; COMPUTE_PGM_RSRC2:TGID_Z_EN: 0
; COMPUTE_PGM_RSRC2:TIDIG_COMP_CNT: 0
; COMPUTE_PGM_RSRC3_GFX90A:ACCUM_OFFSET: 0
; COMPUTE_PGM_RSRC3_GFX90A:TG_SPLIT: 0
	.section	.text._ZN7rocprim17ROCPRIM_400000_NS6detail17trampoline_kernelINS0_14default_configENS1_38merge_sort_block_merge_config_selectorIyNS0_10empty_typeEEEZZNS1_27merge_sort_block_merge_implIS3_PyPS5_jNS1_19radix_merge_compareILb1ELb1EyNS0_19identity_decomposerEEEEE10hipError_tT0_T1_T2_jT3_P12ihipStream_tbPNSt15iterator_traitsISE_E10value_typeEPNSK_ISF_E10value_typeEPSG_NS1_7vsmem_tEENKUlT_SE_SF_SG_E_clIS8_S8_S9_S9_EESD_ST_SE_SF_SG_EUlST_E1_NS1_11comp_targetILNS1_3genE5ELNS1_11target_archE942ELNS1_3gpuE9ELNS1_3repE0EEENS1_36merge_oddeven_config_static_selectorELNS0_4arch9wavefront6targetE1EEEvSF_,"axG",@progbits,_ZN7rocprim17ROCPRIM_400000_NS6detail17trampoline_kernelINS0_14default_configENS1_38merge_sort_block_merge_config_selectorIyNS0_10empty_typeEEEZZNS1_27merge_sort_block_merge_implIS3_PyPS5_jNS1_19radix_merge_compareILb1ELb1EyNS0_19identity_decomposerEEEEE10hipError_tT0_T1_T2_jT3_P12ihipStream_tbPNSt15iterator_traitsISE_E10value_typeEPNSK_ISF_E10value_typeEPSG_NS1_7vsmem_tEENKUlT_SE_SF_SG_E_clIS8_S8_S9_S9_EESD_ST_SE_SF_SG_EUlST_E1_NS1_11comp_targetILNS1_3genE5ELNS1_11target_archE942ELNS1_3gpuE9ELNS1_3repE0EEENS1_36merge_oddeven_config_static_selectorELNS0_4arch9wavefront6targetE1EEEvSF_,comdat
	.protected	_ZN7rocprim17ROCPRIM_400000_NS6detail17trampoline_kernelINS0_14default_configENS1_38merge_sort_block_merge_config_selectorIyNS0_10empty_typeEEEZZNS1_27merge_sort_block_merge_implIS3_PyPS5_jNS1_19radix_merge_compareILb1ELb1EyNS0_19identity_decomposerEEEEE10hipError_tT0_T1_T2_jT3_P12ihipStream_tbPNSt15iterator_traitsISE_E10value_typeEPNSK_ISF_E10value_typeEPSG_NS1_7vsmem_tEENKUlT_SE_SF_SG_E_clIS8_S8_S9_S9_EESD_ST_SE_SF_SG_EUlST_E1_NS1_11comp_targetILNS1_3genE5ELNS1_11target_archE942ELNS1_3gpuE9ELNS1_3repE0EEENS1_36merge_oddeven_config_static_selectorELNS0_4arch9wavefront6targetE1EEEvSF_ ; -- Begin function _ZN7rocprim17ROCPRIM_400000_NS6detail17trampoline_kernelINS0_14default_configENS1_38merge_sort_block_merge_config_selectorIyNS0_10empty_typeEEEZZNS1_27merge_sort_block_merge_implIS3_PyPS5_jNS1_19radix_merge_compareILb1ELb1EyNS0_19identity_decomposerEEEEE10hipError_tT0_T1_T2_jT3_P12ihipStream_tbPNSt15iterator_traitsISE_E10value_typeEPNSK_ISF_E10value_typeEPSG_NS1_7vsmem_tEENKUlT_SE_SF_SG_E_clIS8_S8_S9_S9_EESD_ST_SE_SF_SG_EUlST_E1_NS1_11comp_targetILNS1_3genE5ELNS1_11target_archE942ELNS1_3gpuE9ELNS1_3repE0EEENS1_36merge_oddeven_config_static_selectorELNS0_4arch9wavefront6targetE1EEEvSF_
	.globl	_ZN7rocprim17ROCPRIM_400000_NS6detail17trampoline_kernelINS0_14default_configENS1_38merge_sort_block_merge_config_selectorIyNS0_10empty_typeEEEZZNS1_27merge_sort_block_merge_implIS3_PyPS5_jNS1_19radix_merge_compareILb1ELb1EyNS0_19identity_decomposerEEEEE10hipError_tT0_T1_T2_jT3_P12ihipStream_tbPNSt15iterator_traitsISE_E10value_typeEPNSK_ISF_E10value_typeEPSG_NS1_7vsmem_tEENKUlT_SE_SF_SG_E_clIS8_S8_S9_S9_EESD_ST_SE_SF_SG_EUlST_E1_NS1_11comp_targetILNS1_3genE5ELNS1_11target_archE942ELNS1_3gpuE9ELNS1_3repE0EEENS1_36merge_oddeven_config_static_selectorELNS0_4arch9wavefront6targetE1EEEvSF_
	.p2align	8
	.type	_ZN7rocprim17ROCPRIM_400000_NS6detail17trampoline_kernelINS0_14default_configENS1_38merge_sort_block_merge_config_selectorIyNS0_10empty_typeEEEZZNS1_27merge_sort_block_merge_implIS3_PyPS5_jNS1_19radix_merge_compareILb1ELb1EyNS0_19identity_decomposerEEEEE10hipError_tT0_T1_T2_jT3_P12ihipStream_tbPNSt15iterator_traitsISE_E10value_typeEPNSK_ISF_E10value_typeEPSG_NS1_7vsmem_tEENKUlT_SE_SF_SG_E_clIS8_S8_S9_S9_EESD_ST_SE_SF_SG_EUlST_E1_NS1_11comp_targetILNS1_3genE5ELNS1_11target_archE942ELNS1_3gpuE9ELNS1_3repE0EEENS1_36merge_oddeven_config_static_selectorELNS0_4arch9wavefront6targetE1EEEvSF_,@function
_ZN7rocprim17ROCPRIM_400000_NS6detail17trampoline_kernelINS0_14default_configENS1_38merge_sort_block_merge_config_selectorIyNS0_10empty_typeEEEZZNS1_27merge_sort_block_merge_implIS3_PyPS5_jNS1_19radix_merge_compareILb1ELb1EyNS0_19identity_decomposerEEEEE10hipError_tT0_T1_T2_jT3_P12ihipStream_tbPNSt15iterator_traitsISE_E10value_typeEPNSK_ISF_E10value_typeEPSG_NS1_7vsmem_tEENKUlT_SE_SF_SG_E_clIS8_S8_S9_S9_EESD_ST_SE_SF_SG_EUlST_E1_NS1_11comp_targetILNS1_3genE5ELNS1_11target_archE942ELNS1_3gpuE9ELNS1_3repE0EEENS1_36merge_oddeven_config_static_selectorELNS0_4arch9wavefront6targetE1EEEvSF_: ; @_ZN7rocprim17ROCPRIM_400000_NS6detail17trampoline_kernelINS0_14default_configENS1_38merge_sort_block_merge_config_selectorIyNS0_10empty_typeEEEZZNS1_27merge_sort_block_merge_implIS3_PyPS5_jNS1_19radix_merge_compareILb1ELb1EyNS0_19identity_decomposerEEEEE10hipError_tT0_T1_T2_jT3_P12ihipStream_tbPNSt15iterator_traitsISE_E10value_typeEPNSK_ISF_E10value_typeEPSG_NS1_7vsmem_tEENKUlT_SE_SF_SG_E_clIS8_S8_S9_S9_EESD_ST_SE_SF_SG_EUlST_E1_NS1_11comp_targetILNS1_3genE5ELNS1_11target_archE942ELNS1_3gpuE9ELNS1_3repE0EEENS1_36merge_oddeven_config_static_selectorELNS0_4arch9wavefront6targetE1EEEvSF_
; %bb.0:
	.section	.rodata,"a",@progbits
	.p2align	6, 0x0
	.amdhsa_kernel _ZN7rocprim17ROCPRIM_400000_NS6detail17trampoline_kernelINS0_14default_configENS1_38merge_sort_block_merge_config_selectorIyNS0_10empty_typeEEEZZNS1_27merge_sort_block_merge_implIS3_PyPS5_jNS1_19radix_merge_compareILb1ELb1EyNS0_19identity_decomposerEEEEE10hipError_tT0_T1_T2_jT3_P12ihipStream_tbPNSt15iterator_traitsISE_E10value_typeEPNSK_ISF_E10value_typeEPSG_NS1_7vsmem_tEENKUlT_SE_SF_SG_E_clIS8_S8_S9_S9_EESD_ST_SE_SF_SG_EUlST_E1_NS1_11comp_targetILNS1_3genE5ELNS1_11target_archE942ELNS1_3gpuE9ELNS1_3repE0EEENS1_36merge_oddeven_config_static_selectorELNS0_4arch9wavefront6targetE1EEEvSF_
		.amdhsa_group_segment_fixed_size 0
		.amdhsa_private_segment_fixed_size 0
		.amdhsa_kernarg_size 48
		.amdhsa_user_sgpr_count 6
		.amdhsa_user_sgpr_private_segment_buffer 1
		.amdhsa_user_sgpr_dispatch_ptr 0
		.amdhsa_user_sgpr_queue_ptr 0
		.amdhsa_user_sgpr_kernarg_segment_ptr 1
		.amdhsa_user_sgpr_dispatch_id 0
		.amdhsa_user_sgpr_flat_scratch_init 0
		.amdhsa_user_sgpr_kernarg_preload_length 0
		.amdhsa_user_sgpr_kernarg_preload_offset 0
		.amdhsa_user_sgpr_private_segment_size 0
		.amdhsa_uses_dynamic_stack 0
		.amdhsa_system_sgpr_private_segment_wavefront_offset 0
		.amdhsa_system_sgpr_workgroup_id_x 1
		.amdhsa_system_sgpr_workgroup_id_y 0
		.amdhsa_system_sgpr_workgroup_id_z 0
		.amdhsa_system_sgpr_workgroup_info 0
		.amdhsa_system_vgpr_workitem_id 0
		.amdhsa_next_free_vgpr 1
		.amdhsa_next_free_sgpr 0
		.amdhsa_accum_offset 4
		.amdhsa_reserve_vcc 0
		.amdhsa_reserve_flat_scratch 0
		.amdhsa_float_round_mode_32 0
		.amdhsa_float_round_mode_16_64 0
		.amdhsa_float_denorm_mode_32 3
		.amdhsa_float_denorm_mode_16_64 3
		.amdhsa_dx10_clamp 1
		.amdhsa_ieee_mode 1
		.amdhsa_fp16_overflow 0
		.amdhsa_tg_split 0
		.amdhsa_exception_fp_ieee_invalid_op 0
		.amdhsa_exception_fp_denorm_src 0
		.amdhsa_exception_fp_ieee_div_zero 0
		.amdhsa_exception_fp_ieee_overflow 0
		.amdhsa_exception_fp_ieee_underflow 0
		.amdhsa_exception_fp_ieee_inexact 0
		.amdhsa_exception_int_div_zero 0
	.end_amdhsa_kernel
	.section	.text._ZN7rocprim17ROCPRIM_400000_NS6detail17trampoline_kernelINS0_14default_configENS1_38merge_sort_block_merge_config_selectorIyNS0_10empty_typeEEEZZNS1_27merge_sort_block_merge_implIS3_PyPS5_jNS1_19radix_merge_compareILb1ELb1EyNS0_19identity_decomposerEEEEE10hipError_tT0_T1_T2_jT3_P12ihipStream_tbPNSt15iterator_traitsISE_E10value_typeEPNSK_ISF_E10value_typeEPSG_NS1_7vsmem_tEENKUlT_SE_SF_SG_E_clIS8_S8_S9_S9_EESD_ST_SE_SF_SG_EUlST_E1_NS1_11comp_targetILNS1_3genE5ELNS1_11target_archE942ELNS1_3gpuE9ELNS1_3repE0EEENS1_36merge_oddeven_config_static_selectorELNS0_4arch9wavefront6targetE1EEEvSF_,"axG",@progbits,_ZN7rocprim17ROCPRIM_400000_NS6detail17trampoline_kernelINS0_14default_configENS1_38merge_sort_block_merge_config_selectorIyNS0_10empty_typeEEEZZNS1_27merge_sort_block_merge_implIS3_PyPS5_jNS1_19radix_merge_compareILb1ELb1EyNS0_19identity_decomposerEEEEE10hipError_tT0_T1_T2_jT3_P12ihipStream_tbPNSt15iterator_traitsISE_E10value_typeEPNSK_ISF_E10value_typeEPSG_NS1_7vsmem_tEENKUlT_SE_SF_SG_E_clIS8_S8_S9_S9_EESD_ST_SE_SF_SG_EUlST_E1_NS1_11comp_targetILNS1_3genE5ELNS1_11target_archE942ELNS1_3gpuE9ELNS1_3repE0EEENS1_36merge_oddeven_config_static_selectorELNS0_4arch9wavefront6targetE1EEEvSF_,comdat
.Lfunc_end2453:
	.size	_ZN7rocprim17ROCPRIM_400000_NS6detail17trampoline_kernelINS0_14default_configENS1_38merge_sort_block_merge_config_selectorIyNS0_10empty_typeEEEZZNS1_27merge_sort_block_merge_implIS3_PyPS5_jNS1_19radix_merge_compareILb1ELb1EyNS0_19identity_decomposerEEEEE10hipError_tT0_T1_T2_jT3_P12ihipStream_tbPNSt15iterator_traitsISE_E10value_typeEPNSK_ISF_E10value_typeEPSG_NS1_7vsmem_tEENKUlT_SE_SF_SG_E_clIS8_S8_S9_S9_EESD_ST_SE_SF_SG_EUlST_E1_NS1_11comp_targetILNS1_3genE5ELNS1_11target_archE942ELNS1_3gpuE9ELNS1_3repE0EEENS1_36merge_oddeven_config_static_selectorELNS0_4arch9wavefront6targetE1EEEvSF_, .Lfunc_end2453-_ZN7rocprim17ROCPRIM_400000_NS6detail17trampoline_kernelINS0_14default_configENS1_38merge_sort_block_merge_config_selectorIyNS0_10empty_typeEEEZZNS1_27merge_sort_block_merge_implIS3_PyPS5_jNS1_19radix_merge_compareILb1ELb1EyNS0_19identity_decomposerEEEEE10hipError_tT0_T1_T2_jT3_P12ihipStream_tbPNSt15iterator_traitsISE_E10value_typeEPNSK_ISF_E10value_typeEPSG_NS1_7vsmem_tEENKUlT_SE_SF_SG_E_clIS8_S8_S9_S9_EESD_ST_SE_SF_SG_EUlST_E1_NS1_11comp_targetILNS1_3genE5ELNS1_11target_archE942ELNS1_3gpuE9ELNS1_3repE0EEENS1_36merge_oddeven_config_static_selectorELNS0_4arch9wavefront6targetE1EEEvSF_
                                        ; -- End function
	.section	.AMDGPU.csdata,"",@progbits
; Kernel info:
; codeLenInByte = 0
; NumSgprs: 4
; NumVgprs: 0
; NumAgprs: 0
; TotalNumVgprs: 0
; ScratchSize: 0
; MemoryBound: 0
; FloatMode: 240
; IeeeMode: 1
; LDSByteSize: 0 bytes/workgroup (compile time only)
; SGPRBlocks: 0
; VGPRBlocks: 0
; NumSGPRsForWavesPerEU: 4
; NumVGPRsForWavesPerEU: 1
; AccumOffset: 4
; Occupancy: 8
; WaveLimiterHint : 0
; COMPUTE_PGM_RSRC2:SCRATCH_EN: 0
; COMPUTE_PGM_RSRC2:USER_SGPR: 6
; COMPUTE_PGM_RSRC2:TRAP_HANDLER: 0
; COMPUTE_PGM_RSRC2:TGID_X_EN: 1
; COMPUTE_PGM_RSRC2:TGID_Y_EN: 0
; COMPUTE_PGM_RSRC2:TGID_Z_EN: 0
; COMPUTE_PGM_RSRC2:TIDIG_COMP_CNT: 0
; COMPUTE_PGM_RSRC3_GFX90A:ACCUM_OFFSET: 0
; COMPUTE_PGM_RSRC3_GFX90A:TG_SPLIT: 0
	.section	.text._ZN7rocprim17ROCPRIM_400000_NS6detail17trampoline_kernelINS0_14default_configENS1_38merge_sort_block_merge_config_selectorIyNS0_10empty_typeEEEZZNS1_27merge_sort_block_merge_implIS3_PyPS5_jNS1_19radix_merge_compareILb1ELb1EyNS0_19identity_decomposerEEEEE10hipError_tT0_T1_T2_jT3_P12ihipStream_tbPNSt15iterator_traitsISE_E10value_typeEPNSK_ISF_E10value_typeEPSG_NS1_7vsmem_tEENKUlT_SE_SF_SG_E_clIS8_S8_S9_S9_EESD_ST_SE_SF_SG_EUlST_E1_NS1_11comp_targetILNS1_3genE4ELNS1_11target_archE910ELNS1_3gpuE8ELNS1_3repE0EEENS1_36merge_oddeven_config_static_selectorELNS0_4arch9wavefront6targetE1EEEvSF_,"axG",@progbits,_ZN7rocprim17ROCPRIM_400000_NS6detail17trampoline_kernelINS0_14default_configENS1_38merge_sort_block_merge_config_selectorIyNS0_10empty_typeEEEZZNS1_27merge_sort_block_merge_implIS3_PyPS5_jNS1_19radix_merge_compareILb1ELb1EyNS0_19identity_decomposerEEEEE10hipError_tT0_T1_T2_jT3_P12ihipStream_tbPNSt15iterator_traitsISE_E10value_typeEPNSK_ISF_E10value_typeEPSG_NS1_7vsmem_tEENKUlT_SE_SF_SG_E_clIS8_S8_S9_S9_EESD_ST_SE_SF_SG_EUlST_E1_NS1_11comp_targetILNS1_3genE4ELNS1_11target_archE910ELNS1_3gpuE8ELNS1_3repE0EEENS1_36merge_oddeven_config_static_selectorELNS0_4arch9wavefront6targetE1EEEvSF_,comdat
	.protected	_ZN7rocprim17ROCPRIM_400000_NS6detail17trampoline_kernelINS0_14default_configENS1_38merge_sort_block_merge_config_selectorIyNS0_10empty_typeEEEZZNS1_27merge_sort_block_merge_implIS3_PyPS5_jNS1_19radix_merge_compareILb1ELb1EyNS0_19identity_decomposerEEEEE10hipError_tT0_T1_T2_jT3_P12ihipStream_tbPNSt15iterator_traitsISE_E10value_typeEPNSK_ISF_E10value_typeEPSG_NS1_7vsmem_tEENKUlT_SE_SF_SG_E_clIS8_S8_S9_S9_EESD_ST_SE_SF_SG_EUlST_E1_NS1_11comp_targetILNS1_3genE4ELNS1_11target_archE910ELNS1_3gpuE8ELNS1_3repE0EEENS1_36merge_oddeven_config_static_selectorELNS0_4arch9wavefront6targetE1EEEvSF_ ; -- Begin function _ZN7rocprim17ROCPRIM_400000_NS6detail17trampoline_kernelINS0_14default_configENS1_38merge_sort_block_merge_config_selectorIyNS0_10empty_typeEEEZZNS1_27merge_sort_block_merge_implIS3_PyPS5_jNS1_19radix_merge_compareILb1ELb1EyNS0_19identity_decomposerEEEEE10hipError_tT0_T1_T2_jT3_P12ihipStream_tbPNSt15iterator_traitsISE_E10value_typeEPNSK_ISF_E10value_typeEPSG_NS1_7vsmem_tEENKUlT_SE_SF_SG_E_clIS8_S8_S9_S9_EESD_ST_SE_SF_SG_EUlST_E1_NS1_11comp_targetILNS1_3genE4ELNS1_11target_archE910ELNS1_3gpuE8ELNS1_3repE0EEENS1_36merge_oddeven_config_static_selectorELNS0_4arch9wavefront6targetE1EEEvSF_
	.globl	_ZN7rocprim17ROCPRIM_400000_NS6detail17trampoline_kernelINS0_14default_configENS1_38merge_sort_block_merge_config_selectorIyNS0_10empty_typeEEEZZNS1_27merge_sort_block_merge_implIS3_PyPS5_jNS1_19radix_merge_compareILb1ELb1EyNS0_19identity_decomposerEEEEE10hipError_tT0_T1_T2_jT3_P12ihipStream_tbPNSt15iterator_traitsISE_E10value_typeEPNSK_ISF_E10value_typeEPSG_NS1_7vsmem_tEENKUlT_SE_SF_SG_E_clIS8_S8_S9_S9_EESD_ST_SE_SF_SG_EUlST_E1_NS1_11comp_targetILNS1_3genE4ELNS1_11target_archE910ELNS1_3gpuE8ELNS1_3repE0EEENS1_36merge_oddeven_config_static_selectorELNS0_4arch9wavefront6targetE1EEEvSF_
	.p2align	8
	.type	_ZN7rocprim17ROCPRIM_400000_NS6detail17trampoline_kernelINS0_14default_configENS1_38merge_sort_block_merge_config_selectorIyNS0_10empty_typeEEEZZNS1_27merge_sort_block_merge_implIS3_PyPS5_jNS1_19radix_merge_compareILb1ELb1EyNS0_19identity_decomposerEEEEE10hipError_tT0_T1_T2_jT3_P12ihipStream_tbPNSt15iterator_traitsISE_E10value_typeEPNSK_ISF_E10value_typeEPSG_NS1_7vsmem_tEENKUlT_SE_SF_SG_E_clIS8_S8_S9_S9_EESD_ST_SE_SF_SG_EUlST_E1_NS1_11comp_targetILNS1_3genE4ELNS1_11target_archE910ELNS1_3gpuE8ELNS1_3repE0EEENS1_36merge_oddeven_config_static_selectorELNS0_4arch9wavefront6targetE1EEEvSF_,@function
_ZN7rocprim17ROCPRIM_400000_NS6detail17trampoline_kernelINS0_14default_configENS1_38merge_sort_block_merge_config_selectorIyNS0_10empty_typeEEEZZNS1_27merge_sort_block_merge_implIS3_PyPS5_jNS1_19radix_merge_compareILb1ELb1EyNS0_19identity_decomposerEEEEE10hipError_tT0_T1_T2_jT3_P12ihipStream_tbPNSt15iterator_traitsISE_E10value_typeEPNSK_ISF_E10value_typeEPSG_NS1_7vsmem_tEENKUlT_SE_SF_SG_E_clIS8_S8_S9_S9_EESD_ST_SE_SF_SG_EUlST_E1_NS1_11comp_targetILNS1_3genE4ELNS1_11target_archE910ELNS1_3gpuE8ELNS1_3repE0EEENS1_36merge_oddeven_config_static_selectorELNS0_4arch9wavefront6targetE1EEEvSF_: ; @_ZN7rocprim17ROCPRIM_400000_NS6detail17trampoline_kernelINS0_14default_configENS1_38merge_sort_block_merge_config_selectorIyNS0_10empty_typeEEEZZNS1_27merge_sort_block_merge_implIS3_PyPS5_jNS1_19radix_merge_compareILb1ELb1EyNS0_19identity_decomposerEEEEE10hipError_tT0_T1_T2_jT3_P12ihipStream_tbPNSt15iterator_traitsISE_E10value_typeEPNSK_ISF_E10value_typeEPSG_NS1_7vsmem_tEENKUlT_SE_SF_SG_E_clIS8_S8_S9_S9_EESD_ST_SE_SF_SG_EUlST_E1_NS1_11comp_targetILNS1_3genE4ELNS1_11target_archE910ELNS1_3gpuE8ELNS1_3repE0EEENS1_36merge_oddeven_config_static_selectorELNS0_4arch9wavefront6targetE1EEEvSF_
; %bb.0:
	s_load_dword s18, s[4:5], 0x20
	s_waitcnt lgkmcnt(0)
	s_lshr_b32 s0, s18, 8
	s_cmp_lg_u32 s6, s0
	s_cselect_b64 s[14:15], -1, 0
	s_cmp_eq_u32 s6, s0
	s_cselect_b64 s[12:13], -1, 0
	s_lshl_b32 s16, s6, 8
	s_sub_i32 s0, s18, s16
	v_cmp_gt_u32_e64 s[2:3], s0, v0
	s_or_b64 s[0:1], s[14:15], s[2:3]
	s_and_saveexec_b64 s[8:9], s[0:1]
	s_cbranch_execz .LBB2454_20
; %bb.1:
	s_load_dwordx4 s[8:11], s[4:5], 0x0
	s_load_dword s19, s[4:5], 0x24
	s_mov_b32 s17, 0
	s_lshl_b64 s[0:1], s[16:17], 3
	v_lshlrev_b32_e32 v1, 3, v0
	s_waitcnt lgkmcnt(0)
	s_add_u32 s0, s8, s0
	s_addc_u32 s1, s9, s1
	global_load_dwordx2 v[2:3], v1, s[0:1]
	s_lshr_b32 s0, s19, 8
	s_sub_i32 s1, 0, s0
	s_and_b32 s1, s6, s1
	s_and_b32 s0, s1, s0
	s_lshl_b32 s20, s1, 8
	s_sub_i32 s17, 0, s19
	s_cmp_eq_u32 s0, 0
	s_cselect_b64 s[0:1], -1, 0
	s_and_b64 s[6:7], s[0:1], exec
	s_cselect_b32 s17, s19, s17
	s_add_i32 s17, s17, s20
	s_cmp_lt_u32 s17, s18
	v_add_u32_e32 v0, s16, v0
	s_cbranch_scc1 .LBB2454_3
; %bb.2:
	v_cmp_gt_u32_e32 vcc, s18, v0
	s_or_b64 s[6:7], vcc, s[14:15]
	s_and_b64 s[6:7], s[6:7], exec
	s_cbranch_execz .LBB2454_4
	s_branch .LBB2454_18
.LBB2454_3:
	s_mov_b64 s[6:7], 0
.LBB2454_4:
	s_load_dwordx2 s[4:5], s[4:5], 0x28
	s_min_u32 s14, s17, s18
	s_min_u32 s16, s20, s14
	s_add_i32 s20, s20, s14
	s_add_i32 s15, s14, s19
	v_subrev_u32_e32 v0, s20, v0
	s_min_u32 s15, s15, s18
	v_add_u32_e32 v6, s16, v0
	s_and_b64 vcc, exec, s[12:13]
	s_cbranch_vccz .LBB2454_12
; %bb.5:
                                        ; implicit-def: $vgpr0
	s_and_saveexec_b64 s[12:13], s[2:3]
	s_cbranch_execz .LBB2454_11
; %bb.6:
	s_cmp_ge_u32 s17, s15
	v_mov_b32_e32 v7, s14
	s_cbranch_scc1 .LBB2454_10
; %bb.7:
	s_waitcnt vmcnt(0) lgkmcnt(0)
	v_and_b32_e32 v1, s5, v3
	v_and_b32_e32 v0, s4, v2
	s_mov_b64 s[2:3], 0
	v_mov_b32_e32 v8, s15
	v_mov_b32_e32 v7, s14
	;; [unrolled: 1-line block ×4, first 2 shown]
.LBB2454_8:                             ; =>This Inner Loop Header: Depth=1
	v_add_u32_e32 v4, v7, v8
	v_lshrrev_b32_e32 v4, 1, v4
	v_lshlrev_b64 v[10:11], 3, v[4:5]
	v_add_co_u32_e32 v10, vcc, s8, v10
	v_addc_co_u32_e32 v11, vcc, v9, v11, vcc
	global_load_dwordx2 v[10:11], v[10:11], off
	v_add_u32_e32 v12, 1, v4
	s_waitcnt vmcnt(0)
	v_and_b32_e32 v11, s5, v11
	v_and_b32_e32 v10, s4, v10
	v_cmp_gt_u64_e32 vcc, v[10:11], v[0:1]
	v_cndmask_b32_e64 v13, 0, 1, vcc
	v_cmp_le_u64_e32 vcc, v[0:1], v[10:11]
	v_cndmask_b32_e64 v10, 0, 1, vcc
	v_cndmask_b32_e64 v10, v10, v13, s[0:1]
	v_and_b32_e32 v10, 1, v10
	v_cmp_eq_u32_e32 vcc, 1, v10
	v_cndmask_b32_e32 v8, v4, v8, vcc
	v_cndmask_b32_e32 v7, v7, v12, vcc
	v_cmp_ge_u32_e32 vcc, v7, v8
	s_or_b64 s[2:3], vcc, s[2:3]
	s_andn2_b64 exec, exec, s[2:3]
	s_cbranch_execnz .LBB2454_8
; %bb.9:
	s_or_b64 exec, exec, s[2:3]
.LBB2454_10:
	v_add_u32_e32 v0, v7, v6
	s_or_b64 s[6:7], s[6:7], exec
.LBB2454_11:
	s_or_b64 exec, exec, s[12:13]
	s_branch .LBB2454_18
.LBB2454_12:
                                        ; implicit-def: $vgpr0
	s_cbranch_execz .LBB2454_18
; %bb.13:
	s_cmp_ge_u32 s17, s15
	v_mov_b32_e32 v7, s14
	s_cbranch_scc1 .LBB2454_17
; %bb.14:
	s_waitcnt vmcnt(0) lgkmcnt(0)
	v_and_b32_e32 v1, s5, v3
	v_and_b32_e32 v0, s4, v2
	s_mov_b64 s[2:3], 0
	v_mov_b32_e32 v8, s15
	v_mov_b32_e32 v7, s14
	;; [unrolled: 1-line block ×4, first 2 shown]
.LBB2454_15:                            ; =>This Inner Loop Header: Depth=1
	v_add_u32_e32 v4, v7, v8
	v_lshrrev_b32_e32 v4, 1, v4
	v_lshlrev_b64 v[10:11], 3, v[4:5]
	v_add_co_u32_e32 v10, vcc, s8, v10
	v_addc_co_u32_e32 v11, vcc, v9, v11, vcc
	global_load_dwordx2 v[10:11], v[10:11], off
	v_add_u32_e32 v12, 1, v4
	s_waitcnt vmcnt(0)
	v_and_b32_e32 v11, s5, v11
	v_and_b32_e32 v10, s4, v10
	v_cmp_gt_u64_e32 vcc, v[10:11], v[0:1]
	v_cndmask_b32_e64 v13, 0, 1, vcc
	v_cmp_le_u64_e32 vcc, v[0:1], v[10:11]
	v_cndmask_b32_e64 v10, 0, 1, vcc
	v_cndmask_b32_e64 v10, v10, v13, s[0:1]
	v_and_b32_e32 v10, 1, v10
	v_cmp_eq_u32_e32 vcc, 1, v10
	v_cndmask_b32_e32 v8, v4, v8, vcc
	v_cndmask_b32_e32 v7, v7, v12, vcc
	v_cmp_ge_u32_e32 vcc, v7, v8
	s_or_b64 s[2:3], vcc, s[2:3]
	s_andn2_b64 exec, exec, s[2:3]
	s_cbranch_execnz .LBB2454_15
; %bb.16:
	s_or_b64 exec, exec, s[2:3]
.LBB2454_17:
	v_add_u32_e32 v0, v7, v6
	s_mov_b64 s[6:7], -1
.LBB2454_18:
	s_and_b64 exec, exec, s[6:7]
	s_cbranch_execz .LBB2454_20
; %bb.19:
	v_mov_b32_e32 v1, 0
	v_lshlrev_b64 v[0:1], 3, v[0:1]
	v_mov_b32_e32 v4, s11
	v_add_co_u32_e32 v0, vcc, s10, v0
	v_addc_co_u32_e32 v1, vcc, v4, v1, vcc
	s_waitcnt vmcnt(0)
	global_store_dwordx2 v[0:1], v[2:3], off
.LBB2454_20:
	s_endpgm
	.section	.rodata,"a",@progbits
	.p2align	6, 0x0
	.amdhsa_kernel _ZN7rocprim17ROCPRIM_400000_NS6detail17trampoline_kernelINS0_14default_configENS1_38merge_sort_block_merge_config_selectorIyNS0_10empty_typeEEEZZNS1_27merge_sort_block_merge_implIS3_PyPS5_jNS1_19radix_merge_compareILb1ELb1EyNS0_19identity_decomposerEEEEE10hipError_tT0_T1_T2_jT3_P12ihipStream_tbPNSt15iterator_traitsISE_E10value_typeEPNSK_ISF_E10value_typeEPSG_NS1_7vsmem_tEENKUlT_SE_SF_SG_E_clIS8_S8_S9_S9_EESD_ST_SE_SF_SG_EUlST_E1_NS1_11comp_targetILNS1_3genE4ELNS1_11target_archE910ELNS1_3gpuE8ELNS1_3repE0EEENS1_36merge_oddeven_config_static_selectorELNS0_4arch9wavefront6targetE1EEEvSF_
		.amdhsa_group_segment_fixed_size 0
		.amdhsa_private_segment_fixed_size 0
		.amdhsa_kernarg_size 48
		.amdhsa_user_sgpr_count 6
		.amdhsa_user_sgpr_private_segment_buffer 1
		.amdhsa_user_sgpr_dispatch_ptr 0
		.amdhsa_user_sgpr_queue_ptr 0
		.amdhsa_user_sgpr_kernarg_segment_ptr 1
		.amdhsa_user_sgpr_dispatch_id 0
		.amdhsa_user_sgpr_flat_scratch_init 0
		.amdhsa_user_sgpr_kernarg_preload_length 0
		.amdhsa_user_sgpr_kernarg_preload_offset 0
		.amdhsa_user_sgpr_private_segment_size 0
		.amdhsa_uses_dynamic_stack 0
		.amdhsa_system_sgpr_private_segment_wavefront_offset 0
		.amdhsa_system_sgpr_workgroup_id_x 1
		.amdhsa_system_sgpr_workgroup_id_y 0
		.amdhsa_system_sgpr_workgroup_id_z 0
		.amdhsa_system_sgpr_workgroup_info 0
		.amdhsa_system_vgpr_workitem_id 0
		.amdhsa_next_free_vgpr 14
		.amdhsa_next_free_sgpr 21
		.amdhsa_accum_offset 16
		.amdhsa_reserve_vcc 1
		.amdhsa_reserve_flat_scratch 0
		.amdhsa_float_round_mode_32 0
		.amdhsa_float_round_mode_16_64 0
		.amdhsa_float_denorm_mode_32 3
		.amdhsa_float_denorm_mode_16_64 3
		.amdhsa_dx10_clamp 1
		.amdhsa_ieee_mode 1
		.amdhsa_fp16_overflow 0
		.amdhsa_tg_split 0
		.amdhsa_exception_fp_ieee_invalid_op 0
		.amdhsa_exception_fp_denorm_src 0
		.amdhsa_exception_fp_ieee_div_zero 0
		.amdhsa_exception_fp_ieee_overflow 0
		.amdhsa_exception_fp_ieee_underflow 0
		.amdhsa_exception_fp_ieee_inexact 0
		.amdhsa_exception_int_div_zero 0
	.end_amdhsa_kernel
	.section	.text._ZN7rocprim17ROCPRIM_400000_NS6detail17trampoline_kernelINS0_14default_configENS1_38merge_sort_block_merge_config_selectorIyNS0_10empty_typeEEEZZNS1_27merge_sort_block_merge_implIS3_PyPS5_jNS1_19radix_merge_compareILb1ELb1EyNS0_19identity_decomposerEEEEE10hipError_tT0_T1_T2_jT3_P12ihipStream_tbPNSt15iterator_traitsISE_E10value_typeEPNSK_ISF_E10value_typeEPSG_NS1_7vsmem_tEENKUlT_SE_SF_SG_E_clIS8_S8_S9_S9_EESD_ST_SE_SF_SG_EUlST_E1_NS1_11comp_targetILNS1_3genE4ELNS1_11target_archE910ELNS1_3gpuE8ELNS1_3repE0EEENS1_36merge_oddeven_config_static_selectorELNS0_4arch9wavefront6targetE1EEEvSF_,"axG",@progbits,_ZN7rocprim17ROCPRIM_400000_NS6detail17trampoline_kernelINS0_14default_configENS1_38merge_sort_block_merge_config_selectorIyNS0_10empty_typeEEEZZNS1_27merge_sort_block_merge_implIS3_PyPS5_jNS1_19radix_merge_compareILb1ELb1EyNS0_19identity_decomposerEEEEE10hipError_tT0_T1_T2_jT3_P12ihipStream_tbPNSt15iterator_traitsISE_E10value_typeEPNSK_ISF_E10value_typeEPSG_NS1_7vsmem_tEENKUlT_SE_SF_SG_E_clIS8_S8_S9_S9_EESD_ST_SE_SF_SG_EUlST_E1_NS1_11comp_targetILNS1_3genE4ELNS1_11target_archE910ELNS1_3gpuE8ELNS1_3repE0EEENS1_36merge_oddeven_config_static_selectorELNS0_4arch9wavefront6targetE1EEEvSF_,comdat
.Lfunc_end2454:
	.size	_ZN7rocprim17ROCPRIM_400000_NS6detail17trampoline_kernelINS0_14default_configENS1_38merge_sort_block_merge_config_selectorIyNS0_10empty_typeEEEZZNS1_27merge_sort_block_merge_implIS3_PyPS5_jNS1_19radix_merge_compareILb1ELb1EyNS0_19identity_decomposerEEEEE10hipError_tT0_T1_T2_jT3_P12ihipStream_tbPNSt15iterator_traitsISE_E10value_typeEPNSK_ISF_E10value_typeEPSG_NS1_7vsmem_tEENKUlT_SE_SF_SG_E_clIS8_S8_S9_S9_EESD_ST_SE_SF_SG_EUlST_E1_NS1_11comp_targetILNS1_3genE4ELNS1_11target_archE910ELNS1_3gpuE8ELNS1_3repE0EEENS1_36merge_oddeven_config_static_selectorELNS0_4arch9wavefront6targetE1EEEvSF_, .Lfunc_end2454-_ZN7rocprim17ROCPRIM_400000_NS6detail17trampoline_kernelINS0_14default_configENS1_38merge_sort_block_merge_config_selectorIyNS0_10empty_typeEEEZZNS1_27merge_sort_block_merge_implIS3_PyPS5_jNS1_19radix_merge_compareILb1ELb1EyNS0_19identity_decomposerEEEEE10hipError_tT0_T1_T2_jT3_P12ihipStream_tbPNSt15iterator_traitsISE_E10value_typeEPNSK_ISF_E10value_typeEPSG_NS1_7vsmem_tEENKUlT_SE_SF_SG_E_clIS8_S8_S9_S9_EESD_ST_SE_SF_SG_EUlST_E1_NS1_11comp_targetILNS1_3genE4ELNS1_11target_archE910ELNS1_3gpuE8ELNS1_3repE0EEENS1_36merge_oddeven_config_static_selectorELNS0_4arch9wavefront6targetE1EEEvSF_
                                        ; -- End function
	.section	.AMDGPU.csdata,"",@progbits
; Kernel info:
; codeLenInByte = 636
; NumSgprs: 25
; NumVgprs: 14
; NumAgprs: 0
; TotalNumVgprs: 14
; ScratchSize: 0
; MemoryBound: 0
; FloatMode: 240
; IeeeMode: 1
; LDSByteSize: 0 bytes/workgroup (compile time only)
; SGPRBlocks: 3
; VGPRBlocks: 1
; NumSGPRsForWavesPerEU: 25
; NumVGPRsForWavesPerEU: 14
; AccumOffset: 16
; Occupancy: 8
; WaveLimiterHint : 0
; COMPUTE_PGM_RSRC2:SCRATCH_EN: 0
; COMPUTE_PGM_RSRC2:USER_SGPR: 6
; COMPUTE_PGM_RSRC2:TRAP_HANDLER: 0
; COMPUTE_PGM_RSRC2:TGID_X_EN: 1
; COMPUTE_PGM_RSRC2:TGID_Y_EN: 0
; COMPUTE_PGM_RSRC2:TGID_Z_EN: 0
; COMPUTE_PGM_RSRC2:TIDIG_COMP_CNT: 0
; COMPUTE_PGM_RSRC3_GFX90A:ACCUM_OFFSET: 3
; COMPUTE_PGM_RSRC3_GFX90A:TG_SPLIT: 0
	.section	.text._ZN7rocprim17ROCPRIM_400000_NS6detail17trampoline_kernelINS0_14default_configENS1_38merge_sort_block_merge_config_selectorIyNS0_10empty_typeEEEZZNS1_27merge_sort_block_merge_implIS3_PyPS5_jNS1_19radix_merge_compareILb1ELb1EyNS0_19identity_decomposerEEEEE10hipError_tT0_T1_T2_jT3_P12ihipStream_tbPNSt15iterator_traitsISE_E10value_typeEPNSK_ISF_E10value_typeEPSG_NS1_7vsmem_tEENKUlT_SE_SF_SG_E_clIS8_S8_S9_S9_EESD_ST_SE_SF_SG_EUlST_E1_NS1_11comp_targetILNS1_3genE3ELNS1_11target_archE908ELNS1_3gpuE7ELNS1_3repE0EEENS1_36merge_oddeven_config_static_selectorELNS0_4arch9wavefront6targetE1EEEvSF_,"axG",@progbits,_ZN7rocprim17ROCPRIM_400000_NS6detail17trampoline_kernelINS0_14default_configENS1_38merge_sort_block_merge_config_selectorIyNS0_10empty_typeEEEZZNS1_27merge_sort_block_merge_implIS3_PyPS5_jNS1_19radix_merge_compareILb1ELb1EyNS0_19identity_decomposerEEEEE10hipError_tT0_T1_T2_jT3_P12ihipStream_tbPNSt15iterator_traitsISE_E10value_typeEPNSK_ISF_E10value_typeEPSG_NS1_7vsmem_tEENKUlT_SE_SF_SG_E_clIS8_S8_S9_S9_EESD_ST_SE_SF_SG_EUlST_E1_NS1_11comp_targetILNS1_3genE3ELNS1_11target_archE908ELNS1_3gpuE7ELNS1_3repE0EEENS1_36merge_oddeven_config_static_selectorELNS0_4arch9wavefront6targetE1EEEvSF_,comdat
	.protected	_ZN7rocprim17ROCPRIM_400000_NS6detail17trampoline_kernelINS0_14default_configENS1_38merge_sort_block_merge_config_selectorIyNS0_10empty_typeEEEZZNS1_27merge_sort_block_merge_implIS3_PyPS5_jNS1_19radix_merge_compareILb1ELb1EyNS0_19identity_decomposerEEEEE10hipError_tT0_T1_T2_jT3_P12ihipStream_tbPNSt15iterator_traitsISE_E10value_typeEPNSK_ISF_E10value_typeEPSG_NS1_7vsmem_tEENKUlT_SE_SF_SG_E_clIS8_S8_S9_S9_EESD_ST_SE_SF_SG_EUlST_E1_NS1_11comp_targetILNS1_3genE3ELNS1_11target_archE908ELNS1_3gpuE7ELNS1_3repE0EEENS1_36merge_oddeven_config_static_selectorELNS0_4arch9wavefront6targetE1EEEvSF_ ; -- Begin function _ZN7rocprim17ROCPRIM_400000_NS6detail17trampoline_kernelINS0_14default_configENS1_38merge_sort_block_merge_config_selectorIyNS0_10empty_typeEEEZZNS1_27merge_sort_block_merge_implIS3_PyPS5_jNS1_19radix_merge_compareILb1ELb1EyNS0_19identity_decomposerEEEEE10hipError_tT0_T1_T2_jT3_P12ihipStream_tbPNSt15iterator_traitsISE_E10value_typeEPNSK_ISF_E10value_typeEPSG_NS1_7vsmem_tEENKUlT_SE_SF_SG_E_clIS8_S8_S9_S9_EESD_ST_SE_SF_SG_EUlST_E1_NS1_11comp_targetILNS1_3genE3ELNS1_11target_archE908ELNS1_3gpuE7ELNS1_3repE0EEENS1_36merge_oddeven_config_static_selectorELNS0_4arch9wavefront6targetE1EEEvSF_
	.globl	_ZN7rocprim17ROCPRIM_400000_NS6detail17trampoline_kernelINS0_14default_configENS1_38merge_sort_block_merge_config_selectorIyNS0_10empty_typeEEEZZNS1_27merge_sort_block_merge_implIS3_PyPS5_jNS1_19radix_merge_compareILb1ELb1EyNS0_19identity_decomposerEEEEE10hipError_tT0_T1_T2_jT3_P12ihipStream_tbPNSt15iterator_traitsISE_E10value_typeEPNSK_ISF_E10value_typeEPSG_NS1_7vsmem_tEENKUlT_SE_SF_SG_E_clIS8_S8_S9_S9_EESD_ST_SE_SF_SG_EUlST_E1_NS1_11comp_targetILNS1_3genE3ELNS1_11target_archE908ELNS1_3gpuE7ELNS1_3repE0EEENS1_36merge_oddeven_config_static_selectorELNS0_4arch9wavefront6targetE1EEEvSF_
	.p2align	8
	.type	_ZN7rocprim17ROCPRIM_400000_NS6detail17trampoline_kernelINS0_14default_configENS1_38merge_sort_block_merge_config_selectorIyNS0_10empty_typeEEEZZNS1_27merge_sort_block_merge_implIS3_PyPS5_jNS1_19radix_merge_compareILb1ELb1EyNS0_19identity_decomposerEEEEE10hipError_tT0_T1_T2_jT3_P12ihipStream_tbPNSt15iterator_traitsISE_E10value_typeEPNSK_ISF_E10value_typeEPSG_NS1_7vsmem_tEENKUlT_SE_SF_SG_E_clIS8_S8_S9_S9_EESD_ST_SE_SF_SG_EUlST_E1_NS1_11comp_targetILNS1_3genE3ELNS1_11target_archE908ELNS1_3gpuE7ELNS1_3repE0EEENS1_36merge_oddeven_config_static_selectorELNS0_4arch9wavefront6targetE1EEEvSF_,@function
_ZN7rocprim17ROCPRIM_400000_NS6detail17trampoline_kernelINS0_14default_configENS1_38merge_sort_block_merge_config_selectorIyNS0_10empty_typeEEEZZNS1_27merge_sort_block_merge_implIS3_PyPS5_jNS1_19radix_merge_compareILb1ELb1EyNS0_19identity_decomposerEEEEE10hipError_tT0_T1_T2_jT3_P12ihipStream_tbPNSt15iterator_traitsISE_E10value_typeEPNSK_ISF_E10value_typeEPSG_NS1_7vsmem_tEENKUlT_SE_SF_SG_E_clIS8_S8_S9_S9_EESD_ST_SE_SF_SG_EUlST_E1_NS1_11comp_targetILNS1_3genE3ELNS1_11target_archE908ELNS1_3gpuE7ELNS1_3repE0EEENS1_36merge_oddeven_config_static_selectorELNS0_4arch9wavefront6targetE1EEEvSF_: ; @_ZN7rocprim17ROCPRIM_400000_NS6detail17trampoline_kernelINS0_14default_configENS1_38merge_sort_block_merge_config_selectorIyNS0_10empty_typeEEEZZNS1_27merge_sort_block_merge_implIS3_PyPS5_jNS1_19radix_merge_compareILb1ELb1EyNS0_19identity_decomposerEEEEE10hipError_tT0_T1_T2_jT3_P12ihipStream_tbPNSt15iterator_traitsISE_E10value_typeEPNSK_ISF_E10value_typeEPSG_NS1_7vsmem_tEENKUlT_SE_SF_SG_E_clIS8_S8_S9_S9_EESD_ST_SE_SF_SG_EUlST_E1_NS1_11comp_targetILNS1_3genE3ELNS1_11target_archE908ELNS1_3gpuE7ELNS1_3repE0EEENS1_36merge_oddeven_config_static_selectorELNS0_4arch9wavefront6targetE1EEEvSF_
; %bb.0:
	.section	.rodata,"a",@progbits
	.p2align	6, 0x0
	.amdhsa_kernel _ZN7rocprim17ROCPRIM_400000_NS6detail17trampoline_kernelINS0_14default_configENS1_38merge_sort_block_merge_config_selectorIyNS0_10empty_typeEEEZZNS1_27merge_sort_block_merge_implIS3_PyPS5_jNS1_19radix_merge_compareILb1ELb1EyNS0_19identity_decomposerEEEEE10hipError_tT0_T1_T2_jT3_P12ihipStream_tbPNSt15iterator_traitsISE_E10value_typeEPNSK_ISF_E10value_typeEPSG_NS1_7vsmem_tEENKUlT_SE_SF_SG_E_clIS8_S8_S9_S9_EESD_ST_SE_SF_SG_EUlST_E1_NS1_11comp_targetILNS1_3genE3ELNS1_11target_archE908ELNS1_3gpuE7ELNS1_3repE0EEENS1_36merge_oddeven_config_static_selectorELNS0_4arch9wavefront6targetE1EEEvSF_
		.amdhsa_group_segment_fixed_size 0
		.amdhsa_private_segment_fixed_size 0
		.amdhsa_kernarg_size 48
		.amdhsa_user_sgpr_count 6
		.amdhsa_user_sgpr_private_segment_buffer 1
		.amdhsa_user_sgpr_dispatch_ptr 0
		.amdhsa_user_sgpr_queue_ptr 0
		.amdhsa_user_sgpr_kernarg_segment_ptr 1
		.amdhsa_user_sgpr_dispatch_id 0
		.amdhsa_user_sgpr_flat_scratch_init 0
		.amdhsa_user_sgpr_kernarg_preload_length 0
		.amdhsa_user_sgpr_kernarg_preload_offset 0
		.amdhsa_user_sgpr_private_segment_size 0
		.amdhsa_uses_dynamic_stack 0
		.amdhsa_system_sgpr_private_segment_wavefront_offset 0
		.amdhsa_system_sgpr_workgroup_id_x 1
		.amdhsa_system_sgpr_workgroup_id_y 0
		.amdhsa_system_sgpr_workgroup_id_z 0
		.amdhsa_system_sgpr_workgroup_info 0
		.amdhsa_system_vgpr_workitem_id 0
		.amdhsa_next_free_vgpr 1
		.amdhsa_next_free_sgpr 0
		.amdhsa_accum_offset 4
		.amdhsa_reserve_vcc 0
		.amdhsa_reserve_flat_scratch 0
		.amdhsa_float_round_mode_32 0
		.amdhsa_float_round_mode_16_64 0
		.amdhsa_float_denorm_mode_32 3
		.amdhsa_float_denorm_mode_16_64 3
		.amdhsa_dx10_clamp 1
		.amdhsa_ieee_mode 1
		.amdhsa_fp16_overflow 0
		.amdhsa_tg_split 0
		.amdhsa_exception_fp_ieee_invalid_op 0
		.amdhsa_exception_fp_denorm_src 0
		.amdhsa_exception_fp_ieee_div_zero 0
		.amdhsa_exception_fp_ieee_overflow 0
		.amdhsa_exception_fp_ieee_underflow 0
		.amdhsa_exception_fp_ieee_inexact 0
		.amdhsa_exception_int_div_zero 0
	.end_amdhsa_kernel
	.section	.text._ZN7rocprim17ROCPRIM_400000_NS6detail17trampoline_kernelINS0_14default_configENS1_38merge_sort_block_merge_config_selectorIyNS0_10empty_typeEEEZZNS1_27merge_sort_block_merge_implIS3_PyPS5_jNS1_19radix_merge_compareILb1ELb1EyNS0_19identity_decomposerEEEEE10hipError_tT0_T1_T2_jT3_P12ihipStream_tbPNSt15iterator_traitsISE_E10value_typeEPNSK_ISF_E10value_typeEPSG_NS1_7vsmem_tEENKUlT_SE_SF_SG_E_clIS8_S8_S9_S9_EESD_ST_SE_SF_SG_EUlST_E1_NS1_11comp_targetILNS1_3genE3ELNS1_11target_archE908ELNS1_3gpuE7ELNS1_3repE0EEENS1_36merge_oddeven_config_static_selectorELNS0_4arch9wavefront6targetE1EEEvSF_,"axG",@progbits,_ZN7rocprim17ROCPRIM_400000_NS6detail17trampoline_kernelINS0_14default_configENS1_38merge_sort_block_merge_config_selectorIyNS0_10empty_typeEEEZZNS1_27merge_sort_block_merge_implIS3_PyPS5_jNS1_19radix_merge_compareILb1ELb1EyNS0_19identity_decomposerEEEEE10hipError_tT0_T1_T2_jT3_P12ihipStream_tbPNSt15iterator_traitsISE_E10value_typeEPNSK_ISF_E10value_typeEPSG_NS1_7vsmem_tEENKUlT_SE_SF_SG_E_clIS8_S8_S9_S9_EESD_ST_SE_SF_SG_EUlST_E1_NS1_11comp_targetILNS1_3genE3ELNS1_11target_archE908ELNS1_3gpuE7ELNS1_3repE0EEENS1_36merge_oddeven_config_static_selectorELNS0_4arch9wavefront6targetE1EEEvSF_,comdat
.Lfunc_end2455:
	.size	_ZN7rocprim17ROCPRIM_400000_NS6detail17trampoline_kernelINS0_14default_configENS1_38merge_sort_block_merge_config_selectorIyNS0_10empty_typeEEEZZNS1_27merge_sort_block_merge_implIS3_PyPS5_jNS1_19radix_merge_compareILb1ELb1EyNS0_19identity_decomposerEEEEE10hipError_tT0_T1_T2_jT3_P12ihipStream_tbPNSt15iterator_traitsISE_E10value_typeEPNSK_ISF_E10value_typeEPSG_NS1_7vsmem_tEENKUlT_SE_SF_SG_E_clIS8_S8_S9_S9_EESD_ST_SE_SF_SG_EUlST_E1_NS1_11comp_targetILNS1_3genE3ELNS1_11target_archE908ELNS1_3gpuE7ELNS1_3repE0EEENS1_36merge_oddeven_config_static_selectorELNS0_4arch9wavefront6targetE1EEEvSF_, .Lfunc_end2455-_ZN7rocprim17ROCPRIM_400000_NS6detail17trampoline_kernelINS0_14default_configENS1_38merge_sort_block_merge_config_selectorIyNS0_10empty_typeEEEZZNS1_27merge_sort_block_merge_implIS3_PyPS5_jNS1_19radix_merge_compareILb1ELb1EyNS0_19identity_decomposerEEEEE10hipError_tT0_T1_T2_jT3_P12ihipStream_tbPNSt15iterator_traitsISE_E10value_typeEPNSK_ISF_E10value_typeEPSG_NS1_7vsmem_tEENKUlT_SE_SF_SG_E_clIS8_S8_S9_S9_EESD_ST_SE_SF_SG_EUlST_E1_NS1_11comp_targetILNS1_3genE3ELNS1_11target_archE908ELNS1_3gpuE7ELNS1_3repE0EEENS1_36merge_oddeven_config_static_selectorELNS0_4arch9wavefront6targetE1EEEvSF_
                                        ; -- End function
	.section	.AMDGPU.csdata,"",@progbits
; Kernel info:
; codeLenInByte = 0
; NumSgprs: 4
; NumVgprs: 0
; NumAgprs: 0
; TotalNumVgprs: 0
; ScratchSize: 0
; MemoryBound: 0
; FloatMode: 240
; IeeeMode: 1
; LDSByteSize: 0 bytes/workgroup (compile time only)
; SGPRBlocks: 0
; VGPRBlocks: 0
; NumSGPRsForWavesPerEU: 4
; NumVGPRsForWavesPerEU: 1
; AccumOffset: 4
; Occupancy: 8
; WaveLimiterHint : 0
; COMPUTE_PGM_RSRC2:SCRATCH_EN: 0
; COMPUTE_PGM_RSRC2:USER_SGPR: 6
; COMPUTE_PGM_RSRC2:TRAP_HANDLER: 0
; COMPUTE_PGM_RSRC2:TGID_X_EN: 1
; COMPUTE_PGM_RSRC2:TGID_Y_EN: 0
; COMPUTE_PGM_RSRC2:TGID_Z_EN: 0
; COMPUTE_PGM_RSRC2:TIDIG_COMP_CNT: 0
; COMPUTE_PGM_RSRC3_GFX90A:ACCUM_OFFSET: 0
; COMPUTE_PGM_RSRC3_GFX90A:TG_SPLIT: 0
	.section	.text._ZN7rocprim17ROCPRIM_400000_NS6detail17trampoline_kernelINS0_14default_configENS1_38merge_sort_block_merge_config_selectorIyNS0_10empty_typeEEEZZNS1_27merge_sort_block_merge_implIS3_PyPS5_jNS1_19radix_merge_compareILb1ELb1EyNS0_19identity_decomposerEEEEE10hipError_tT0_T1_T2_jT3_P12ihipStream_tbPNSt15iterator_traitsISE_E10value_typeEPNSK_ISF_E10value_typeEPSG_NS1_7vsmem_tEENKUlT_SE_SF_SG_E_clIS8_S8_S9_S9_EESD_ST_SE_SF_SG_EUlST_E1_NS1_11comp_targetILNS1_3genE2ELNS1_11target_archE906ELNS1_3gpuE6ELNS1_3repE0EEENS1_36merge_oddeven_config_static_selectorELNS0_4arch9wavefront6targetE1EEEvSF_,"axG",@progbits,_ZN7rocprim17ROCPRIM_400000_NS6detail17trampoline_kernelINS0_14default_configENS1_38merge_sort_block_merge_config_selectorIyNS0_10empty_typeEEEZZNS1_27merge_sort_block_merge_implIS3_PyPS5_jNS1_19radix_merge_compareILb1ELb1EyNS0_19identity_decomposerEEEEE10hipError_tT0_T1_T2_jT3_P12ihipStream_tbPNSt15iterator_traitsISE_E10value_typeEPNSK_ISF_E10value_typeEPSG_NS1_7vsmem_tEENKUlT_SE_SF_SG_E_clIS8_S8_S9_S9_EESD_ST_SE_SF_SG_EUlST_E1_NS1_11comp_targetILNS1_3genE2ELNS1_11target_archE906ELNS1_3gpuE6ELNS1_3repE0EEENS1_36merge_oddeven_config_static_selectorELNS0_4arch9wavefront6targetE1EEEvSF_,comdat
	.protected	_ZN7rocprim17ROCPRIM_400000_NS6detail17trampoline_kernelINS0_14default_configENS1_38merge_sort_block_merge_config_selectorIyNS0_10empty_typeEEEZZNS1_27merge_sort_block_merge_implIS3_PyPS5_jNS1_19radix_merge_compareILb1ELb1EyNS0_19identity_decomposerEEEEE10hipError_tT0_T1_T2_jT3_P12ihipStream_tbPNSt15iterator_traitsISE_E10value_typeEPNSK_ISF_E10value_typeEPSG_NS1_7vsmem_tEENKUlT_SE_SF_SG_E_clIS8_S8_S9_S9_EESD_ST_SE_SF_SG_EUlST_E1_NS1_11comp_targetILNS1_3genE2ELNS1_11target_archE906ELNS1_3gpuE6ELNS1_3repE0EEENS1_36merge_oddeven_config_static_selectorELNS0_4arch9wavefront6targetE1EEEvSF_ ; -- Begin function _ZN7rocprim17ROCPRIM_400000_NS6detail17trampoline_kernelINS0_14default_configENS1_38merge_sort_block_merge_config_selectorIyNS0_10empty_typeEEEZZNS1_27merge_sort_block_merge_implIS3_PyPS5_jNS1_19radix_merge_compareILb1ELb1EyNS0_19identity_decomposerEEEEE10hipError_tT0_T1_T2_jT3_P12ihipStream_tbPNSt15iterator_traitsISE_E10value_typeEPNSK_ISF_E10value_typeEPSG_NS1_7vsmem_tEENKUlT_SE_SF_SG_E_clIS8_S8_S9_S9_EESD_ST_SE_SF_SG_EUlST_E1_NS1_11comp_targetILNS1_3genE2ELNS1_11target_archE906ELNS1_3gpuE6ELNS1_3repE0EEENS1_36merge_oddeven_config_static_selectorELNS0_4arch9wavefront6targetE1EEEvSF_
	.globl	_ZN7rocprim17ROCPRIM_400000_NS6detail17trampoline_kernelINS0_14default_configENS1_38merge_sort_block_merge_config_selectorIyNS0_10empty_typeEEEZZNS1_27merge_sort_block_merge_implIS3_PyPS5_jNS1_19radix_merge_compareILb1ELb1EyNS0_19identity_decomposerEEEEE10hipError_tT0_T1_T2_jT3_P12ihipStream_tbPNSt15iterator_traitsISE_E10value_typeEPNSK_ISF_E10value_typeEPSG_NS1_7vsmem_tEENKUlT_SE_SF_SG_E_clIS8_S8_S9_S9_EESD_ST_SE_SF_SG_EUlST_E1_NS1_11comp_targetILNS1_3genE2ELNS1_11target_archE906ELNS1_3gpuE6ELNS1_3repE0EEENS1_36merge_oddeven_config_static_selectorELNS0_4arch9wavefront6targetE1EEEvSF_
	.p2align	8
	.type	_ZN7rocprim17ROCPRIM_400000_NS6detail17trampoline_kernelINS0_14default_configENS1_38merge_sort_block_merge_config_selectorIyNS0_10empty_typeEEEZZNS1_27merge_sort_block_merge_implIS3_PyPS5_jNS1_19radix_merge_compareILb1ELb1EyNS0_19identity_decomposerEEEEE10hipError_tT0_T1_T2_jT3_P12ihipStream_tbPNSt15iterator_traitsISE_E10value_typeEPNSK_ISF_E10value_typeEPSG_NS1_7vsmem_tEENKUlT_SE_SF_SG_E_clIS8_S8_S9_S9_EESD_ST_SE_SF_SG_EUlST_E1_NS1_11comp_targetILNS1_3genE2ELNS1_11target_archE906ELNS1_3gpuE6ELNS1_3repE0EEENS1_36merge_oddeven_config_static_selectorELNS0_4arch9wavefront6targetE1EEEvSF_,@function
_ZN7rocprim17ROCPRIM_400000_NS6detail17trampoline_kernelINS0_14default_configENS1_38merge_sort_block_merge_config_selectorIyNS0_10empty_typeEEEZZNS1_27merge_sort_block_merge_implIS3_PyPS5_jNS1_19radix_merge_compareILb1ELb1EyNS0_19identity_decomposerEEEEE10hipError_tT0_T1_T2_jT3_P12ihipStream_tbPNSt15iterator_traitsISE_E10value_typeEPNSK_ISF_E10value_typeEPSG_NS1_7vsmem_tEENKUlT_SE_SF_SG_E_clIS8_S8_S9_S9_EESD_ST_SE_SF_SG_EUlST_E1_NS1_11comp_targetILNS1_3genE2ELNS1_11target_archE906ELNS1_3gpuE6ELNS1_3repE0EEENS1_36merge_oddeven_config_static_selectorELNS0_4arch9wavefront6targetE1EEEvSF_: ; @_ZN7rocprim17ROCPRIM_400000_NS6detail17trampoline_kernelINS0_14default_configENS1_38merge_sort_block_merge_config_selectorIyNS0_10empty_typeEEEZZNS1_27merge_sort_block_merge_implIS3_PyPS5_jNS1_19radix_merge_compareILb1ELb1EyNS0_19identity_decomposerEEEEE10hipError_tT0_T1_T2_jT3_P12ihipStream_tbPNSt15iterator_traitsISE_E10value_typeEPNSK_ISF_E10value_typeEPSG_NS1_7vsmem_tEENKUlT_SE_SF_SG_E_clIS8_S8_S9_S9_EESD_ST_SE_SF_SG_EUlST_E1_NS1_11comp_targetILNS1_3genE2ELNS1_11target_archE906ELNS1_3gpuE6ELNS1_3repE0EEENS1_36merge_oddeven_config_static_selectorELNS0_4arch9wavefront6targetE1EEEvSF_
; %bb.0:
	.section	.rodata,"a",@progbits
	.p2align	6, 0x0
	.amdhsa_kernel _ZN7rocprim17ROCPRIM_400000_NS6detail17trampoline_kernelINS0_14default_configENS1_38merge_sort_block_merge_config_selectorIyNS0_10empty_typeEEEZZNS1_27merge_sort_block_merge_implIS3_PyPS5_jNS1_19radix_merge_compareILb1ELb1EyNS0_19identity_decomposerEEEEE10hipError_tT0_T1_T2_jT3_P12ihipStream_tbPNSt15iterator_traitsISE_E10value_typeEPNSK_ISF_E10value_typeEPSG_NS1_7vsmem_tEENKUlT_SE_SF_SG_E_clIS8_S8_S9_S9_EESD_ST_SE_SF_SG_EUlST_E1_NS1_11comp_targetILNS1_3genE2ELNS1_11target_archE906ELNS1_3gpuE6ELNS1_3repE0EEENS1_36merge_oddeven_config_static_selectorELNS0_4arch9wavefront6targetE1EEEvSF_
		.amdhsa_group_segment_fixed_size 0
		.amdhsa_private_segment_fixed_size 0
		.amdhsa_kernarg_size 48
		.amdhsa_user_sgpr_count 6
		.amdhsa_user_sgpr_private_segment_buffer 1
		.amdhsa_user_sgpr_dispatch_ptr 0
		.amdhsa_user_sgpr_queue_ptr 0
		.amdhsa_user_sgpr_kernarg_segment_ptr 1
		.amdhsa_user_sgpr_dispatch_id 0
		.amdhsa_user_sgpr_flat_scratch_init 0
		.amdhsa_user_sgpr_kernarg_preload_length 0
		.amdhsa_user_sgpr_kernarg_preload_offset 0
		.amdhsa_user_sgpr_private_segment_size 0
		.amdhsa_uses_dynamic_stack 0
		.amdhsa_system_sgpr_private_segment_wavefront_offset 0
		.amdhsa_system_sgpr_workgroup_id_x 1
		.amdhsa_system_sgpr_workgroup_id_y 0
		.amdhsa_system_sgpr_workgroup_id_z 0
		.amdhsa_system_sgpr_workgroup_info 0
		.amdhsa_system_vgpr_workitem_id 0
		.amdhsa_next_free_vgpr 1
		.amdhsa_next_free_sgpr 0
		.amdhsa_accum_offset 4
		.amdhsa_reserve_vcc 0
		.amdhsa_reserve_flat_scratch 0
		.amdhsa_float_round_mode_32 0
		.amdhsa_float_round_mode_16_64 0
		.amdhsa_float_denorm_mode_32 3
		.amdhsa_float_denorm_mode_16_64 3
		.amdhsa_dx10_clamp 1
		.amdhsa_ieee_mode 1
		.amdhsa_fp16_overflow 0
		.amdhsa_tg_split 0
		.amdhsa_exception_fp_ieee_invalid_op 0
		.amdhsa_exception_fp_denorm_src 0
		.amdhsa_exception_fp_ieee_div_zero 0
		.amdhsa_exception_fp_ieee_overflow 0
		.amdhsa_exception_fp_ieee_underflow 0
		.amdhsa_exception_fp_ieee_inexact 0
		.amdhsa_exception_int_div_zero 0
	.end_amdhsa_kernel
	.section	.text._ZN7rocprim17ROCPRIM_400000_NS6detail17trampoline_kernelINS0_14default_configENS1_38merge_sort_block_merge_config_selectorIyNS0_10empty_typeEEEZZNS1_27merge_sort_block_merge_implIS3_PyPS5_jNS1_19radix_merge_compareILb1ELb1EyNS0_19identity_decomposerEEEEE10hipError_tT0_T1_T2_jT3_P12ihipStream_tbPNSt15iterator_traitsISE_E10value_typeEPNSK_ISF_E10value_typeEPSG_NS1_7vsmem_tEENKUlT_SE_SF_SG_E_clIS8_S8_S9_S9_EESD_ST_SE_SF_SG_EUlST_E1_NS1_11comp_targetILNS1_3genE2ELNS1_11target_archE906ELNS1_3gpuE6ELNS1_3repE0EEENS1_36merge_oddeven_config_static_selectorELNS0_4arch9wavefront6targetE1EEEvSF_,"axG",@progbits,_ZN7rocprim17ROCPRIM_400000_NS6detail17trampoline_kernelINS0_14default_configENS1_38merge_sort_block_merge_config_selectorIyNS0_10empty_typeEEEZZNS1_27merge_sort_block_merge_implIS3_PyPS5_jNS1_19radix_merge_compareILb1ELb1EyNS0_19identity_decomposerEEEEE10hipError_tT0_T1_T2_jT3_P12ihipStream_tbPNSt15iterator_traitsISE_E10value_typeEPNSK_ISF_E10value_typeEPSG_NS1_7vsmem_tEENKUlT_SE_SF_SG_E_clIS8_S8_S9_S9_EESD_ST_SE_SF_SG_EUlST_E1_NS1_11comp_targetILNS1_3genE2ELNS1_11target_archE906ELNS1_3gpuE6ELNS1_3repE0EEENS1_36merge_oddeven_config_static_selectorELNS0_4arch9wavefront6targetE1EEEvSF_,comdat
.Lfunc_end2456:
	.size	_ZN7rocprim17ROCPRIM_400000_NS6detail17trampoline_kernelINS0_14default_configENS1_38merge_sort_block_merge_config_selectorIyNS0_10empty_typeEEEZZNS1_27merge_sort_block_merge_implIS3_PyPS5_jNS1_19radix_merge_compareILb1ELb1EyNS0_19identity_decomposerEEEEE10hipError_tT0_T1_T2_jT3_P12ihipStream_tbPNSt15iterator_traitsISE_E10value_typeEPNSK_ISF_E10value_typeEPSG_NS1_7vsmem_tEENKUlT_SE_SF_SG_E_clIS8_S8_S9_S9_EESD_ST_SE_SF_SG_EUlST_E1_NS1_11comp_targetILNS1_3genE2ELNS1_11target_archE906ELNS1_3gpuE6ELNS1_3repE0EEENS1_36merge_oddeven_config_static_selectorELNS0_4arch9wavefront6targetE1EEEvSF_, .Lfunc_end2456-_ZN7rocprim17ROCPRIM_400000_NS6detail17trampoline_kernelINS0_14default_configENS1_38merge_sort_block_merge_config_selectorIyNS0_10empty_typeEEEZZNS1_27merge_sort_block_merge_implIS3_PyPS5_jNS1_19radix_merge_compareILb1ELb1EyNS0_19identity_decomposerEEEEE10hipError_tT0_T1_T2_jT3_P12ihipStream_tbPNSt15iterator_traitsISE_E10value_typeEPNSK_ISF_E10value_typeEPSG_NS1_7vsmem_tEENKUlT_SE_SF_SG_E_clIS8_S8_S9_S9_EESD_ST_SE_SF_SG_EUlST_E1_NS1_11comp_targetILNS1_3genE2ELNS1_11target_archE906ELNS1_3gpuE6ELNS1_3repE0EEENS1_36merge_oddeven_config_static_selectorELNS0_4arch9wavefront6targetE1EEEvSF_
                                        ; -- End function
	.section	.AMDGPU.csdata,"",@progbits
; Kernel info:
; codeLenInByte = 0
; NumSgprs: 4
; NumVgprs: 0
; NumAgprs: 0
; TotalNumVgprs: 0
; ScratchSize: 0
; MemoryBound: 0
; FloatMode: 240
; IeeeMode: 1
; LDSByteSize: 0 bytes/workgroup (compile time only)
; SGPRBlocks: 0
; VGPRBlocks: 0
; NumSGPRsForWavesPerEU: 4
; NumVGPRsForWavesPerEU: 1
; AccumOffset: 4
; Occupancy: 8
; WaveLimiterHint : 0
; COMPUTE_PGM_RSRC2:SCRATCH_EN: 0
; COMPUTE_PGM_RSRC2:USER_SGPR: 6
; COMPUTE_PGM_RSRC2:TRAP_HANDLER: 0
; COMPUTE_PGM_RSRC2:TGID_X_EN: 1
; COMPUTE_PGM_RSRC2:TGID_Y_EN: 0
; COMPUTE_PGM_RSRC2:TGID_Z_EN: 0
; COMPUTE_PGM_RSRC2:TIDIG_COMP_CNT: 0
; COMPUTE_PGM_RSRC3_GFX90A:ACCUM_OFFSET: 0
; COMPUTE_PGM_RSRC3_GFX90A:TG_SPLIT: 0
	.section	.text._ZN7rocprim17ROCPRIM_400000_NS6detail17trampoline_kernelINS0_14default_configENS1_38merge_sort_block_merge_config_selectorIyNS0_10empty_typeEEEZZNS1_27merge_sort_block_merge_implIS3_PyPS5_jNS1_19radix_merge_compareILb1ELb1EyNS0_19identity_decomposerEEEEE10hipError_tT0_T1_T2_jT3_P12ihipStream_tbPNSt15iterator_traitsISE_E10value_typeEPNSK_ISF_E10value_typeEPSG_NS1_7vsmem_tEENKUlT_SE_SF_SG_E_clIS8_S8_S9_S9_EESD_ST_SE_SF_SG_EUlST_E1_NS1_11comp_targetILNS1_3genE9ELNS1_11target_archE1100ELNS1_3gpuE3ELNS1_3repE0EEENS1_36merge_oddeven_config_static_selectorELNS0_4arch9wavefront6targetE1EEEvSF_,"axG",@progbits,_ZN7rocprim17ROCPRIM_400000_NS6detail17trampoline_kernelINS0_14default_configENS1_38merge_sort_block_merge_config_selectorIyNS0_10empty_typeEEEZZNS1_27merge_sort_block_merge_implIS3_PyPS5_jNS1_19radix_merge_compareILb1ELb1EyNS0_19identity_decomposerEEEEE10hipError_tT0_T1_T2_jT3_P12ihipStream_tbPNSt15iterator_traitsISE_E10value_typeEPNSK_ISF_E10value_typeEPSG_NS1_7vsmem_tEENKUlT_SE_SF_SG_E_clIS8_S8_S9_S9_EESD_ST_SE_SF_SG_EUlST_E1_NS1_11comp_targetILNS1_3genE9ELNS1_11target_archE1100ELNS1_3gpuE3ELNS1_3repE0EEENS1_36merge_oddeven_config_static_selectorELNS0_4arch9wavefront6targetE1EEEvSF_,comdat
	.protected	_ZN7rocprim17ROCPRIM_400000_NS6detail17trampoline_kernelINS0_14default_configENS1_38merge_sort_block_merge_config_selectorIyNS0_10empty_typeEEEZZNS1_27merge_sort_block_merge_implIS3_PyPS5_jNS1_19radix_merge_compareILb1ELb1EyNS0_19identity_decomposerEEEEE10hipError_tT0_T1_T2_jT3_P12ihipStream_tbPNSt15iterator_traitsISE_E10value_typeEPNSK_ISF_E10value_typeEPSG_NS1_7vsmem_tEENKUlT_SE_SF_SG_E_clIS8_S8_S9_S9_EESD_ST_SE_SF_SG_EUlST_E1_NS1_11comp_targetILNS1_3genE9ELNS1_11target_archE1100ELNS1_3gpuE3ELNS1_3repE0EEENS1_36merge_oddeven_config_static_selectorELNS0_4arch9wavefront6targetE1EEEvSF_ ; -- Begin function _ZN7rocprim17ROCPRIM_400000_NS6detail17trampoline_kernelINS0_14default_configENS1_38merge_sort_block_merge_config_selectorIyNS0_10empty_typeEEEZZNS1_27merge_sort_block_merge_implIS3_PyPS5_jNS1_19radix_merge_compareILb1ELb1EyNS0_19identity_decomposerEEEEE10hipError_tT0_T1_T2_jT3_P12ihipStream_tbPNSt15iterator_traitsISE_E10value_typeEPNSK_ISF_E10value_typeEPSG_NS1_7vsmem_tEENKUlT_SE_SF_SG_E_clIS8_S8_S9_S9_EESD_ST_SE_SF_SG_EUlST_E1_NS1_11comp_targetILNS1_3genE9ELNS1_11target_archE1100ELNS1_3gpuE3ELNS1_3repE0EEENS1_36merge_oddeven_config_static_selectorELNS0_4arch9wavefront6targetE1EEEvSF_
	.globl	_ZN7rocprim17ROCPRIM_400000_NS6detail17trampoline_kernelINS0_14default_configENS1_38merge_sort_block_merge_config_selectorIyNS0_10empty_typeEEEZZNS1_27merge_sort_block_merge_implIS3_PyPS5_jNS1_19radix_merge_compareILb1ELb1EyNS0_19identity_decomposerEEEEE10hipError_tT0_T1_T2_jT3_P12ihipStream_tbPNSt15iterator_traitsISE_E10value_typeEPNSK_ISF_E10value_typeEPSG_NS1_7vsmem_tEENKUlT_SE_SF_SG_E_clIS8_S8_S9_S9_EESD_ST_SE_SF_SG_EUlST_E1_NS1_11comp_targetILNS1_3genE9ELNS1_11target_archE1100ELNS1_3gpuE3ELNS1_3repE0EEENS1_36merge_oddeven_config_static_selectorELNS0_4arch9wavefront6targetE1EEEvSF_
	.p2align	8
	.type	_ZN7rocprim17ROCPRIM_400000_NS6detail17trampoline_kernelINS0_14default_configENS1_38merge_sort_block_merge_config_selectorIyNS0_10empty_typeEEEZZNS1_27merge_sort_block_merge_implIS3_PyPS5_jNS1_19radix_merge_compareILb1ELb1EyNS0_19identity_decomposerEEEEE10hipError_tT0_T1_T2_jT3_P12ihipStream_tbPNSt15iterator_traitsISE_E10value_typeEPNSK_ISF_E10value_typeEPSG_NS1_7vsmem_tEENKUlT_SE_SF_SG_E_clIS8_S8_S9_S9_EESD_ST_SE_SF_SG_EUlST_E1_NS1_11comp_targetILNS1_3genE9ELNS1_11target_archE1100ELNS1_3gpuE3ELNS1_3repE0EEENS1_36merge_oddeven_config_static_selectorELNS0_4arch9wavefront6targetE1EEEvSF_,@function
_ZN7rocprim17ROCPRIM_400000_NS6detail17trampoline_kernelINS0_14default_configENS1_38merge_sort_block_merge_config_selectorIyNS0_10empty_typeEEEZZNS1_27merge_sort_block_merge_implIS3_PyPS5_jNS1_19radix_merge_compareILb1ELb1EyNS0_19identity_decomposerEEEEE10hipError_tT0_T1_T2_jT3_P12ihipStream_tbPNSt15iterator_traitsISE_E10value_typeEPNSK_ISF_E10value_typeEPSG_NS1_7vsmem_tEENKUlT_SE_SF_SG_E_clIS8_S8_S9_S9_EESD_ST_SE_SF_SG_EUlST_E1_NS1_11comp_targetILNS1_3genE9ELNS1_11target_archE1100ELNS1_3gpuE3ELNS1_3repE0EEENS1_36merge_oddeven_config_static_selectorELNS0_4arch9wavefront6targetE1EEEvSF_: ; @_ZN7rocprim17ROCPRIM_400000_NS6detail17trampoline_kernelINS0_14default_configENS1_38merge_sort_block_merge_config_selectorIyNS0_10empty_typeEEEZZNS1_27merge_sort_block_merge_implIS3_PyPS5_jNS1_19radix_merge_compareILb1ELb1EyNS0_19identity_decomposerEEEEE10hipError_tT0_T1_T2_jT3_P12ihipStream_tbPNSt15iterator_traitsISE_E10value_typeEPNSK_ISF_E10value_typeEPSG_NS1_7vsmem_tEENKUlT_SE_SF_SG_E_clIS8_S8_S9_S9_EESD_ST_SE_SF_SG_EUlST_E1_NS1_11comp_targetILNS1_3genE9ELNS1_11target_archE1100ELNS1_3gpuE3ELNS1_3repE0EEENS1_36merge_oddeven_config_static_selectorELNS0_4arch9wavefront6targetE1EEEvSF_
; %bb.0:
	.section	.rodata,"a",@progbits
	.p2align	6, 0x0
	.amdhsa_kernel _ZN7rocprim17ROCPRIM_400000_NS6detail17trampoline_kernelINS0_14default_configENS1_38merge_sort_block_merge_config_selectorIyNS0_10empty_typeEEEZZNS1_27merge_sort_block_merge_implIS3_PyPS5_jNS1_19radix_merge_compareILb1ELb1EyNS0_19identity_decomposerEEEEE10hipError_tT0_T1_T2_jT3_P12ihipStream_tbPNSt15iterator_traitsISE_E10value_typeEPNSK_ISF_E10value_typeEPSG_NS1_7vsmem_tEENKUlT_SE_SF_SG_E_clIS8_S8_S9_S9_EESD_ST_SE_SF_SG_EUlST_E1_NS1_11comp_targetILNS1_3genE9ELNS1_11target_archE1100ELNS1_3gpuE3ELNS1_3repE0EEENS1_36merge_oddeven_config_static_selectorELNS0_4arch9wavefront6targetE1EEEvSF_
		.amdhsa_group_segment_fixed_size 0
		.amdhsa_private_segment_fixed_size 0
		.amdhsa_kernarg_size 48
		.amdhsa_user_sgpr_count 6
		.amdhsa_user_sgpr_private_segment_buffer 1
		.amdhsa_user_sgpr_dispatch_ptr 0
		.amdhsa_user_sgpr_queue_ptr 0
		.amdhsa_user_sgpr_kernarg_segment_ptr 1
		.amdhsa_user_sgpr_dispatch_id 0
		.amdhsa_user_sgpr_flat_scratch_init 0
		.amdhsa_user_sgpr_kernarg_preload_length 0
		.amdhsa_user_sgpr_kernarg_preload_offset 0
		.amdhsa_user_sgpr_private_segment_size 0
		.amdhsa_uses_dynamic_stack 0
		.amdhsa_system_sgpr_private_segment_wavefront_offset 0
		.amdhsa_system_sgpr_workgroup_id_x 1
		.amdhsa_system_sgpr_workgroup_id_y 0
		.amdhsa_system_sgpr_workgroup_id_z 0
		.amdhsa_system_sgpr_workgroup_info 0
		.amdhsa_system_vgpr_workitem_id 0
		.amdhsa_next_free_vgpr 1
		.amdhsa_next_free_sgpr 0
		.amdhsa_accum_offset 4
		.amdhsa_reserve_vcc 0
		.amdhsa_reserve_flat_scratch 0
		.amdhsa_float_round_mode_32 0
		.amdhsa_float_round_mode_16_64 0
		.amdhsa_float_denorm_mode_32 3
		.amdhsa_float_denorm_mode_16_64 3
		.amdhsa_dx10_clamp 1
		.amdhsa_ieee_mode 1
		.amdhsa_fp16_overflow 0
		.amdhsa_tg_split 0
		.amdhsa_exception_fp_ieee_invalid_op 0
		.amdhsa_exception_fp_denorm_src 0
		.amdhsa_exception_fp_ieee_div_zero 0
		.amdhsa_exception_fp_ieee_overflow 0
		.amdhsa_exception_fp_ieee_underflow 0
		.amdhsa_exception_fp_ieee_inexact 0
		.amdhsa_exception_int_div_zero 0
	.end_amdhsa_kernel
	.section	.text._ZN7rocprim17ROCPRIM_400000_NS6detail17trampoline_kernelINS0_14default_configENS1_38merge_sort_block_merge_config_selectorIyNS0_10empty_typeEEEZZNS1_27merge_sort_block_merge_implIS3_PyPS5_jNS1_19radix_merge_compareILb1ELb1EyNS0_19identity_decomposerEEEEE10hipError_tT0_T1_T2_jT3_P12ihipStream_tbPNSt15iterator_traitsISE_E10value_typeEPNSK_ISF_E10value_typeEPSG_NS1_7vsmem_tEENKUlT_SE_SF_SG_E_clIS8_S8_S9_S9_EESD_ST_SE_SF_SG_EUlST_E1_NS1_11comp_targetILNS1_3genE9ELNS1_11target_archE1100ELNS1_3gpuE3ELNS1_3repE0EEENS1_36merge_oddeven_config_static_selectorELNS0_4arch9wavefront6targetE1EEEvSF_,"axG",@progbits,_ZN7rocprim17ROCPRIM_400000_NS6detail17trampoline_kernelINS0_14default_configENS1_38merge_sort_block_merge_config_selectorIyNS0_10empty_typeEEEZZNS1_27merge_sort_block_merge_implIS3_PyPS5_jNS1_19radix_merge_compareILb1ELb1EyNS0_19identity_decomposerEEEEE10hipError_tT0_T1_T2_jT3_P12ihipStream_tbPNSt15iterator_traitsISE_E10value_typeEPNSK_ISF_E10value_typeEPSG_NS1_7vsmem_tEENKUlT_SE_SF_SG_E_clIS8_S8_S9_S9_EESD_ST_SE_SF_SG_EUlST_E1_NS1_11comp_targetILNS1_3genE9ELNS1_11target_archE1100ELNS1_3gpuE3ELNS1_3repE0EEENS1_36merge_oddeven_config_static_selectorELNS0_4arch9wavefront6targetE1EEEvSF_,comdat
.Lfunc_end2457:
	.size	_ZN7rocprim17ROCPRIM_400000_NS6detail17trampoline_kernelINS0_14default_configENS1_38merge_sort_block_merge_config_selectorIyNS0_10empty_typeEEEZZNS1_27merge_sort_block_merge_implIS3_PyPS5_jNS1_19radix_merge_compareILb1ELb1EyNS0_19identity_decomposerEEEEE10hipError_tT0_T1_T2_jT3_P12ihipStream_tbPNSt15iterator_traitsISE_E10value_typeEPNSK_ISF_E10value_typeEPSG_NS1_7vsmem_tEENKUlT_SE_SF_SG_E_clIS8_S8_S9_S9_EESD_ST_SE_SF_SG_EUlST_E1_NS1_11comp_targetILNS1_3genE9ELNS1_11target_archE1100ELNS1_3gpuE3ELNS1_3repE0EEENS1_36merge_oddeven_config_static_selectorELNS0_4arch9wavefront6targetE1EEEvSF_, .Lfunc_end2457-_ZN7rocprim17ROCPRIM_400000_NS6detail17trampoline_kernelINS0_14default_configENS1_38merge_sort_block_merge_config_selectorIyNS0_10empty_typeEEEZZNS1_27merge_sort_block_merge_implIS3_PyPS5_jNS1_19radix_merge_compareILb1ELb1EyNS0_19identity_decomposerEEEEE10hipError_tT0_T1_T2_jT3_P12ihipStream_tbPNSt15iterator_traitsISE_E10value_typeEPNSK_ISF_E10value_typeEPSG_NS1_7vsmem_tEENKUlT_SE_SF_SG_E_clIS8_S8_S9_S9_EESD_ST_SE_SF_SG_EUlST_E1_NS1_11comp_targetILNS1_3genE9ELNS1_11target_archE1100ELNS1_3gpuE3ELNS1_3repE0EEENS1_36merge_oddeven_config_static_selectorELNS0_4arch9wavefront6targetE1EEEvSF_
                                        ; -- End function
	.section	.AMDGPU.csdata,"",@progbits
; Kernel info:
; codeLenInByte = 0
; NumSgprs: 4
; NumVgprs: 0
; NumAgprs: 0
; TotalNumVgprs: 0
; ScratchSize: 0
; MemoryBound: 0
; FloatMode: 240
; IeeeMode: 1
; LDSByteSize: 0 bytes/workgroup (compile time only)
; SGPRBlocks: 0
; VGPRBlocks: 0
; NumSGPRsForWavesPerEU: 4
; NumVGPRsForWavesPerEU: 1
; AccumOffset: 4
; Occupancy: 8
; WaveLimiterHint : 0
; COMPUTE_PGM_RSRC2:SCRATCH_EN: 0
; COMPUTE_PGM_RSRC2:USER_SGPR: 6
; COMPUTE_PGM_RSRC2:TRAP_HANDLER: 0
; COMPUTE_PGM_RSRC2:TGID_X_EN: 1
; COMPUTE_PGM_RSRC2:TGID_Y_EN: 0
; COMPUTE_PGM_RSRC2:TGID_Z_EN: 0
; COMPUTE_PGM_RSRC2:TIDIG_COMP_CNT: 0
; COMPUTE_PGM_RSRC3_GFX90A:ACCUM_OFFSET: 0
; COMPUTE_PGM_RSRC3_GFX90A:TG_SPLIT: 0
	.section	.text._ZN7rocprim17ROCPRIM_400000_NS6detail17trampoline_kernelINS0_14default_configENS1_38merge_sort_block_merge_config_selectorIyNS0_10empty_typeEEEZZNS1_27merge_sort_block_merge_implIS3_PyPS5_jNS1_19radix_merge_compareILb1ELb1EyNS0_19identity_decomposerEEEEE10hipError_tT0_T1_T2_jT3_P12ihipStream_tbPNSt15iterator_traitsISE_E10value_typeEPNSK_ISF_E10value_typeEPSG_NS1_7vsmem_tEENKUlT_SE_SF_SG_E_clIS8_S8_S9_S9_EESD_ST_SE_SF_SG_EUlST_E1_NS1_11comp_targetILNS1_3genE8ELNS1_11target_archE1030ELNS1_3gpuE2ELNS1_3repE0EEENS1_36merge_oddeven_config_static_selectorELNS0_4arch9wavefront6targetE1EEEvSF_,"axG",@progbits,_ZN7rocprim17ROCPRIM_400000_NS6detail17trampoline_kernelINS0_14default_configENS1_38merge_sort_block_merge_config_selectorIyNS0_10empty_typeEEEZZNS1_27merge_sort_block_merge_implIS3_PyPS5_jNS1_19radix_merge_compareILb1ELb1EyNS0_19identity_decomposerEEEEE10hipError_tT0_T1_T2_jT3_P12ihipStream_tbPNSt15iterator_traitsISE_E10value_typeEPNSK_ISF_E10value_typeEPSG_NS1_7vsmem_tEENKUlT_SE_SF_SG_E_clIS8_S8_S9_S9_EESD_ST_SE_SF_SG_EUlST_E1_NS1_11comp_targetILNS1_3genE8ELNS1_11target_archE1030ELNS1_3gpuE2ELNS1_3repE0EEENS1_36merge_oddeven_config_static_selectorELNS0_4arch9wavefront6targetE1EEEvSF_,comdat
	.protected	_ZN7rocprim17ROCPRIM_400000_NS6detail17trampoline_kernelINS0_14default_configENS1_38merge_sort_block_merge_config_selectorIyNS0_10empty_typeEEEZZNS1_27merge_sort_block_merge_implIS3_PyPS5_jNS1_19radix_merge_compareILb1ELb1EyNS0_19identity_decomposerEEEEE10hipError_tT0_T1_T2_jT3_P12ihipStream_tbPNSt15iterator_traitsISE_E10value_typeEPNSK_ISF_E10value_typeEPSG_NS1_7vsmem_tEENKUlT_SE_SF_SG_E_clIS8_S8_S9_S9_EESD_ST_SE_SF_SG_EUlST_E1_NS1_11comp_targetILNS1_3genE8ELNS1_11target_archE1030ELNS1_3gpuE2ELNS1_3repE0EEENS1_36merge_oddeven_config_static_selectorELNS0_4arch9wavefront6targetE1EEEvSF_ ; -- Begin function _ZN7rocprim17ROCPRIM_400000_NS6detail17trampoline_kernelINS0_14default_configENS1_38merge_sort_block_merge_config_selectorIyNS0_10empty_typeEEEZZNS1_27merge_sort_block_merge_implIS3_PyPS5_jNS1_19radix_merge_compareILb1ELb1EyNS0_19identity_decomposerEEEEE10hipError_tT0_T1_T2_jT3_P12ihipStream_tbPNSt15iterator_traitsISE_E10value_typeEPNSK_ISF_E10value_typeEPSG_NS1_7vsmem_tEENKUlT_SE_SF_SG_E_clIS8_S8_S9_S9_EESD_ST_SE_SF_SG_EUlST_E1_NS1_11comp_targetILNS1_3genE8ELNS1_11target_archE1030ELNS1_3gpuE2ELNS1_3repE0EEENS1_36merge_oddeven_config_static_selectorELNS0_4arch9wavefront6targetE1EEEvSF_
	.globl	_ZN7rocprim17ROCPRIM_400000_NS6detail17trampoline_kernelINS0_14default_configENS1_38merge_sort_block_merge_config_selectorIyNS0_10empty_typeEEEZZNS1_27merge_sort_block_merge_implIS3_PyPS5_jNS1_19radix_merge_compareILb1ELb1EyNS0_19identity_decomposerEEEEE10hipError_tT0_T1_T2_jT3_P12ihipStream_tbPNSt15iterator_traitsISE_E10value_typeEPNSK_ISF_E10value_typeEPSG_NS1_7vsmem_tEENKUlT_SE_SF_SG_E_clIS8_S8_S9_S9_EESD_ST_SE_SF_SG_EUlST_E1_NS1_11comp_targetILNS1_3genE8ELNS1_11target_archE1030ELNS1_3gpuE2ELNS1_3repE0EEENS1_36merge_oddeven_config_static_selectorELNS0_4arch9wavefront6targetE1EEEvSF_
	.p2align	8
	.type	_ZN7rocprim17ROCPRIM_400000_NS6detail17trampoline_kernelINS0_14default_configENS1_38merge_sort_block_merge_config_selectorIyNS0_10empty_typeEEEZZNS1_27merge_sort_block_merge_implIS3_PyPS5_jNS1_19radix_merge_compareILb1ELb1EyNS0_19identity_decomposerEEEEE10hipError_tT0_T1_T2_jT3_P12ihipStream_tbPNSt15iterator_traitsISE_E10value_typeEPNSK_ISF_E10value_typeEPSG_NS1_7vsmem_tEENKUlT_SE_SF_SG_E_clIS8_S8_S9_S9_EESD_ST_SE_SF_SG_EUlST_E1_NS1_11comp_targetILNS1_3genE8ELNS1_11target_archE1030ELNS1_3gpuE2ELNS1_3repE0EEENS1_36merge_oddeven_config_static_selectorELNS0_4arch9wavefront6targetE1EEEvSF_,@function
_ZN7rocprim17ROCPRIM_400000_NS6detail17trampoline_kernelINS0_14default_configENS1_38merge_sort_block_merge_config_selectorIyNS0_10empty_typeEEEZZNS1_27merge_sort_block_merge_implIS3_PyPS5_jNS1_19radix_merge_compareILb1ELb1EyNS0_19identity_decomposerEEEEE10hipError_tT0_T1_T2_jT3_P12ihipStream_tbPNSt15iterator_traitsISE_E10value_typeEPNSK_ISF_E10value_typeEPSG_NS1_7vsmem_tEENKUlT_SE_SF_SG_E_clIS8_S8_S9_S9_EESD_ST_SE_SF_SG_EUlST_E1_NS1_11comp_targetILNS1_3genE8ELNS1_11target_archE1030ELNS1_3gpuE2ELNS1_3repE0EEENS1_36merge_oddeven_config_static_selectorELNS0_4arch9wavefront6targetE1EEEvSF_: ; @_ZN7rocprim17ROCPRIM_400000_NS6detail17trampoline_kernelINS0_14default_configENS1_38merge_sort_block_merge_config_selectorIyNS0_10empty_typeEEEZZNS1_27merge_sort_block_merge_implIS3_PyPS5_jNS1_19radix_merge_compareILb1ELb1EyNS0_19identity_decomposerEEEEE10hipError_tT0_T1_T2_jT3_P12ihipStream_tbPNSt15iterator_traitsISE_E10value_typeEPNSK_ISF_E10value_typeEPSG_NS1_7vsmem_tEENKUlT_SE_SF_SG_E_clIS8_S8_S9_S9_EESD_ST_SE_SF_SG_EUlST_E1_NS1_11comp_targetILNS1_3genE8ELNS1_11target_archE1030ELNS1_3gpuE2ELNS1_3repE0EEENS1_36merge_oddeven_config_static_selectorELNS0_4arch9wavefront6targetE1EEEvSF_
; %bb.0:
	.section	.rodata,"a",@progbits
	.p2align	6, 0x0
	.amdhsa_kernel _ZN7rocprim17ROCPRIM_400000_NS6detail17trampoline_kernelINS0_14default_configENS1_38merge_sort_block_merge_config_selectorIyNS0_10empty_typeEEEZZNS1_27merge_sort_block_merge_implIS3_PyPS5_jNS1_19radix_merge_compareILb1ELb1EyNS0_19identity_decomposerEEEEE10hipError_tT0_T1_T2_jT3_P12ihipStream_tbPNSt15iterator_traitsISE_E10value_typeEPNSK_ISF_E10value_typeEPSG_NS1_7vsmem_tEENKUlT_SE_SF_SG_E_clIS8_S8_S9_S9_EESD_ST_SE_SF_SG_EUlST_E1_NS1_11comp_targetILNS1_3genE8ELNS1_11target_archE1030ELNS1_3gpuE2ELNS1_3repE0EEENS1_36merge_oddeven_config_static_selectorELNS0_4arch9wavefront6targetE1EEEvSF_
		.amdhsa_group_segment_fixed_size 0
		.amdhsa_private_segment_fixed_size 0
		.amdhsa_kernarg_size 48
		.amdhsa_user_sgpr_count 6
		.amdhsa_user_sgpr_private_segment_buffer 1
		.amdhsa_user_sgpr_dispatch_ptr 0
		.amdhsa_user_sgpr_queue_ptr 0
		.amdhsa_user_sgpr_kernarg_segment_ptr 1
		.amdhsa_user_sgpr_dispatch_id 0
		.amdhsa_user_sgpr_flat_scratch_init 0
		.amdhsa_user_sgpr_kernarg_preload_length 0
		.amdhsa_user_sgpr_kernarg_preload_offset 0
		.amdhsa_user_sgpr_private_segment_size 0
		.amdhsa_uses_dynamic_stack 0
		.amdhsa_system_sgpr_private_segment_wavefront_offset 0
		.amdhsa_system_sgpr_workgroup_id_x 1
		.amdhsa_system_sgpr_workgroup_id_y 0
		.amdhsa_system_sgpr_workgroup_id_z 0
		.amdhsa_system_sgpr_workgroup_info 0
		.amdhsa_system_vgpr_workitem_id 0
		.amdhsa_next_free_vgpr 1
		.amdhsa_next_free_sgpr 0
		.amdhsa_accum_offset 4
		.amdhsa_reserve_vcc 0
		.amdhsa_reserve_flat_scratch 0
		.amdhsa_float_round_mode_32 0
		.amdhsa_float_round_mode_16_64 0
		.amdhsa_float_denorm_mode_32 3
		.amdhsa_float_denorm_mode_16_64 3
		.amdhsa_dx10_clamp 1
		.amdhsa_ieee_mode 1
		.amdhsa_fp16_overflow 0
		.amdhsa_tg_split 0
		.amdhsa_exception_fp_ieee_invalid_op 0
		.amdhsa_exception_fp_denorm_src 0
		.amdhsa_exception_fp_ieee_div_zero 0
		.amdhsa_exception_fp_ieee_overflow 0
		.amdhsa_exception_fp_ieee_underflow 0
		.amdhsa_exception_fp_ieee_inexact 0
		.amdhsa_exception_int_div_zero 0
	.end_amdhsa_kernel
	.section	.text._ZN7rocprim17ROCPRIM_400000_NS6detail17trampoline_kernelINS0_14default_configENS1_38merge_sort_block_merge_config_selectorIyNS0_10empty_typeEEEZZNS1_27merge_sort_block_merge_implIS3_PyPS5_jNS1_19radix_merge_compareILb1ELb1EyNS0_19identity_decomposerEEEEE10hipError_tT0_T1_T2_jT3_P12ihipStream_tbPNSt15iterator_traitsISE_E10value_typeEPNSK_ISF_E10value_typeEPSG_NS1_7vsmem_tEENKUlT_SE_SF_SG_E_clIS8_S8_S9_S9_EESD_ST_SE_SF_SG_EUlST_E1_NS1_11comp_targetILNS1_3genE8ELNS1_11target_archE1030ELNS1_3gpuE2ELNS1_3repE0EEENS1_36merge_oddeven_config_static_selectorELNS0_4arch9wavefront6targetE1EEEvSF_,"axG",@progbits,_ZN7rocprim17ROCPRIM_400000_NS6detail17trampoline_kernelINS0_14default_configENS1_38merge_sort_block_merge_config_selectorIyNS0_10empty_typeEEEZZNS1_27merge_sort_block_merge_implIS3_PyPS5_jNS1_19radix_merge_compareILb1ELb1EyNS0_19identity_decomposerEEEEE10hipError_tT0_T1_T2_jT3_P12ihipStream_tbPNSt15iterator_traitsISE_E10value_typeEPNSK_ISF_E10value_typeEPSG_NS1_7vsmem_tEENKUlT_SE_SF_SG_E_clIS8_S8_S9_S9_EESD_ST_SE_SF_SG_EUlST_E1_NS1_11comp_targetILNS1_3genE8ELNS1_11target_archE1030ELNS1_3gpuE2ELNS1_3repE0EEENS1_36merge_oddeven_config_static_selectorELNS0_4arch9wavefront6targetE1EEEvSF_,comdat
.Lfunc_end2458:
	.size	_ZN7rocprim17ROCPRIM_400000_NS6detail17trampoline_kernelINS0_14default_configENS1_38merge_sort_block_merge_config_selectorIyNS0_10empty_typeEEEZZNS1_27merge_sort_block_merge_implIS3_PyPS5_jNS1_19radix_merge_compareILb1ELb1EyNS0_19identity_decomposerEEEEE10hipError_tT0_T1_T2_jT3_P12ihipStream_tbPNSt15iterator_traitsISE_E10value_typeEPNSK_ISF_E10value_typeEPSG_NS1_7vsmem_tEENKUlT_SE_SF_SG_E_clIS8_S8_S9_S9_EESD_ST_SE_SF_SG_EUlST_E1_NS1_11comp_targetILNS1_3genE8ELNS1_11target_archE1030ELNS1_3gpuE2ELNS1_3repE0EEENS1_36merge_oddeven_config_static_selectorELNS0_4arch9wavefront6targetE1EEEvSF_, .Lfunc_end2458-_ZN7rocprim17ROCPRIM_400000_NS6detail17trampoline_kernelINS0_14default_configENS1_38merge_sort_block_merge_config_selectorIyNS0_10empty_typeEEEZZNS1_27merge_sort_block_merge_implIS3_PyPS5_jNS1_19radix_merge_compareILb1ELb1EyNS0_19identity_decomposerEEEEE10hipError_tT0_T1_T2_jT3_P12ihipStream_tbPNSt15iterator_traitsISE_E10value_typeEPNSK_ISF_E10value_typeEPSG_NS1_7vsmem_tEENKUlT_SE_SF_SG_E_clIS8_S8_S9_S9_EESD_ST_SE_SF_SG_EUlST_E1_NS1_11comp_targetILNS1_3genE8ELNS1_11target_archE1030ELNS1_3gpuE2ELNS1_3repE0EEENS1_36merge_oddeven_config_static_selectorELNS0_4arch9wavefront6targetE1EEEvSF_
                                        ; -- End function
	.section	.AMDGPU.csdata,"",@progbits
; Kernel info:
; codeLenInByte = 0
; NumSgprs: 4
; NumVgprs: 0
; NumAgprs: 0
; TotalNumVgprs: 0
; ScratchSize: 0
; MemoryBound: 0
; FloatMode: 240
; IeeeMode: 1
; LDSByteSize: 0 bytes/workgroup (compile time only)
; SGPRBlocks: 0
; VGPRBlocks: 0
; NumSGPRsForWavesPerEU: 4
; NumVGPRsForWavesPerEU: 1
; AccumOffset: 4
; Occupancy: 8
; WaveLimiterHint : 0
; COMPUTE_PGM_RSRC2:SCRATCH_EN: 0
; COMPUTE_PGM_RSRC2:USER_SGPR: 6
; COMPUTE_PGM_RSRC2:TRAP_HANDLER: 0
; COMPUTE_PGM_RSRC2:TGID_X_EN: 1
; COMPUTE_PGM_RSRC2:TGID_Y_EN: 0
; COMPUTE_PGM_RSRC2:TGID_Z_EN: 0
; COMPUTE_PGM_RSRC2:TIDIG_COMP_CNT: 0
; COMPUTE_PGM_RSRC3_GFX90A:ACCUM_OFFSET: 0
; COMPUTE_PGM_RSRC3_GFX90A:TG_SPLIT: 0
	.section	.text._ZN7rocprim17ROCPRIM_400000_NS6detail17trampoline_kernelINS0_14default_configENS1_35radix_sort_onesweep_config_selectorIyNS0_10empty_typeEEEZNS1_34radix_sort_onesweep_global_offsetsIS3_Lb1EPyPS5_mNS0_19identity_decomposerEEE10hipError_tT1_T2_PT3_SE_jT4_jjP12ihipStream_tbEUlT_E_NS1_11comp_targetILNS1_3genE0ELNS1_11target_archE4294967295ELNS1_3gpuE0ELNS1_3repE0EEENS1_52radix_sort_onesweep_histogram_config_static_selectorELNS0_4arch9wavefront6targetE1EEEvSC_,"axG",@progbits,_ZN7rocprim17ROCPRIM_400000_NS6detail17trampoline_kernelINS0_14default_configENS1_35radix_sort_onesweep_config_selectorIyNS0_10empty_typeEEEZNS1_34radix_sort_onesweep_global_offsetsIS3_Lb1EPyPS5_mNS0_19identity_decomposerEEE10hipError_tT1_T2_PT3_SE_jT4_jjP12ihipStream_tbEUlT_E_NS1_11comp_targetILNS1_3genE0ELNS1_11target_archE4294967295ELNS1_3gpuE0ELNS1_3repE0EEENS1_52radix_sort_onesweep_histogram_config_static_selectorELNS0_4arch9wavefront6targetE1EEEvSC_,comdat
	.protected	_ZN7rocprim17ROCPRIM_400000_NS6detail17trampoline_kernelINS0_14default_configENS1_35radix_sort_onesweep_config_selectorIyNS0_10empty_typeEEEZNS1_34radix_sort_onesweep_global_offsetsIS3_Lb1EPyPS5_mNS0_19identity_decomposerEEE10hipError_tT1_T2_PT3_SE_jT4_jjP12ihipStream_tbEUlT_E_NS1_11comp_targetILNS1_3genE0ELNS1_11target_archE4294967295ELNS1_3gpuE0ELNS1_3repE0EEENS1_52radix_sort_onesweep_histogram_config_static_selectorELNS0_4arch9wavefront6targetE1EEEvSC_ ; -- Begin function _ZN7rocprim17ROCPRIM_400000_NS6detail17trampoline_kernelINS0_14default_configENS1_35radix_sort_onesweep_config_selectorIyNS0_10empty_typeEEEZNS1_34radix_sort_onesweep_global_offsetsIS3_Lb1EPyPS5_mNS0_19identity_decomposerEEE10hipError_tT1_T2_PT3_SE_jT4_jjP12ihipStream_tbEUlT_E_NS1_11comp_targetILNS1_3genE0ELNS1_11target_archE4294967295ELNS1_3gpuE0ELNS1_3repE0EEENS1_52radix_sort_onesweep_histogram_config_static_selectorELNS0_4arch9wavefront6targetE1EEEvSC_
	.globl	_ZN7rocprim17ROCPRIM_400000_NS6detail17trampoline_kernelINS0_14default_configENS1_35radix_sort_onesweep_config_selectorIyNS0_10empty_typeEEEZNS1_34radix_sort_onesweep_global_offsetsIS3_Lb1EPyPS5_mNS0_19identity_decomposerEEE10hipError_tT1_T2_PT3_SE_jT4_jjP12ihipStream_tbEUlT_E_NS1_11comp_targetILNS1_3genE0ELNS1_11target_archE4294967295ELNS1_3gpuE0ELNS1_3repE0EEENS1_52radix_sort_onesweep_histogram_config_static_selectorELNS0_4arch9wavefront6targetE1EEEvSC_
	.p2align	8
	.type	_ZN7rocprim17ROCPRIM_400000_NS6detail17trampoline_kernelINS0_14default_configENS1_35radix_sort_onesweep_config_selectorIyNS0_10empty_typeEEEZNS1_34radix_sort_onesweep_global_offsetsIS3_Lb1EPyPS5_mNS0_19identity_decomposerEEE10hipError_tT1_T2_PT3_SE_jT4_jjP12ihipStream_tbEUlT_E_NS1_11comp_targetILNS1_3genE0ELNS1_11target_archE4294967295ELNS1_3gpuE0ELNS1_3repE0EEENS1_52radix_sort_onesweep_histogram_config_static_selectorELNS0_4arch9wavefront6targetE1EEEvSC_,@function
_ZN7rocprim17ROCPRIM_400000_NS6detail17trampoline_kernelINS0_14default_configENS1_35radix_sort_onesweep_config_selectorIyNS0_10empty_typeEEEZNS1_34radix_sort_onesweep_global_offsetsIS3_Lb1EPyPS5_mNS0_19identity_decomposerEEE10hipError_tT1_T2_PT3_SE_jT4_jjP12ihipStream_tbEUlT_E_NS1_11comp_targetILNS1_3genE0ELNS1_11target_archE4294967295ELNS1_3gpuE0ELNS1_3repE0EEENS1_52radix_sort_onesweep_histogram_config_static_selectorELNS0_4arch9wavefront6targetE1EEEvSC_: ; @_ZN7rocprim17ROCPRIM_400000_NS6detail17trampoline_kernelINS0_14default_configENS1_35radix_sort_onesweep_config_selectorIyNS0_10empty_typeEEEZNS1_34radix_sort_onesweep_global_offsetsIS3_Lb1EPyPS5_mNS0_19identity_decomposerEEE10hipError_tT1_T2_PT3_SE_jT4_jjP12ihipStream_tbEUlT_E_NS1_11comp_targetILNS1_3genE0ELNS1_11target_archE4294967295ELNS1_3gpuE0ELNS1_3repE0EEENS1_52radix_sort_onesweep_histogram_config_static_selectorELNS0_4arch9wavefront6targetE1EEEvSC_
; %bb.0:
	.section	.rodata,"a",@progbits
	.p2align	6, 0x0
	.amdhsa_kernel _ZN7rocprim17ROCPRIM_400000_NS6detail17trampoline_kernelINS0_14default_configENS1_35radix_sort_onesweep_config_selectorIyNS0_10empty_typeEEEZNS1_34radix_sort_onesweep_global_offsetsIS3_Lb1EPyPS5_mNS0_19identity_decomposerEEE10hipError_tT1_T2_PT3_SE_jT4_jjP12ihipStream_tbEUlT_E_NS1_11comp_targetILNS1_3genE0ELNS1_11target_archE4294967295ELNS1_3gpuE0ELNS1_3repE0EEENS1_52radix_sort_onesweep_histogram_config_static_selectorELNS0_4arch9wavefront6targetE1EEEvSC_
		.amdhsa_group_segment_fixed_size 0
		.amdhsa_private_segment_fixed_size 0
		.amdhsa_kernarg_size 48
		.amdhsa_user_sgpr_count 6
		.amdhsa_user_sgpr_private_segment_buffer 1
		.amdhsa_user_sgpr_dispatch_ptr 0
		.amdhsa_user_sgpr_queue_ptr 0
		.amdhsa_user_sgpr_kernarg_segment_ptr 1
		.amdhsa_user_sgpr_dispatch_id 0
		.amdhsa_user_sgpr_flat_scratch_init 0
		.amdhsa_user_sgpr_kernarg_preload_length 0
		.amdhsa_user_sgpr_kernarg_preload_offset 0
		.amdhsa_user_sgpr_private_segment_size 0
		.amdhsa_uses_dynamic_stack 0
		.amdhsa_system_sgpr_private_segment_wavefront_offset 0
		.amdhsa_system_sgpr_workgroup_id_x 1
		.amdhsa_system_sgpr_workgroup_id_y 0
		.amdhsa_system_sgpr_workgroup_id_z 0
		.amdhsa_system_sgpr_workgroup_info 0
		.amdhsa_system_vgpr_workitem_id 0
		.amdhsa_next_free_vgpr 1
		.amdhsa_next_free_sgpr 0
		.amdhsa_accum_offset 4
		.amdhsa_reserve_vcc 0
		.amdhsa_reserve_flat_scratch 0
		.amdhsa_float_round_mode_32 0
		.amdhsa_float_round_mode_16_64 0
		.amdhsa_float_denorm_mode_32 3
		.amdhsa_float_denorm_mode_16_64 3
		.amdhsa_dx10_clamp 1
		.amdhsa_ieee_mode 1
		.amdhsa_fp16_overflow 0
		.amdhsa_tg_split 0
		.amdhsa_exception_fp_ieee_invalid_op 0
		.amdhsa_exception_fp_denorm_src 0
		.amdhsa_exception_fp_ieee_div_zero 0
		.amdhsa_exception_fp_ieee_overflow 0
		.amdhsa_exception_fp_ieee_underflow 0
		.amdhsa_exception_fp_ieee_inexact 0
		.amdhsa_exception_int_div_zero 0
	.end_amdhsa_kernel
	.section	.text._ZN7rocprim17ROCPRIM_400000_NS6detail17trampoline_kernelINS0_14default_configENS1_35radix_sort_onesweep_config_selectorIyNS0_10empty_typeEEEZNS1_34radix_sort_onesweep_global_offsetsIS3_Lb1EPyPS5_mNS0_19identity_decomposerEEE10hipError_tT1_T2_PT3_SE_jT4_jjP12ihipStream_tbEUlT_E_NS1_11comp_targetILNS1_3genE0ELNS1_11target_archE4294967295ELNS1_3gpuE0ELNS1_3repE0EEENS1_52radix_sort_onesweep_histogram_config_static_selectorELNS0_4arch9wavefront6targetE1EEEvSC_,"axG",@progbits,_ZN7rocprim17ROCPRIM_400000_NS6detail17trampoline_kernelINS0_14default_configENS1_35radix_sort_onesweep_config_selectorIyNS0_10empty_typeEEEZNS1_34radix_sort_onesweep_global_offsetsIS3_Lb1EPyPS5_mNS0_19identity_decomposerEEE10hipError_tT1_T2_PT3_SE_jT4_jjP12ihipStream_tbEUlT_E_NS1_11comp_targetILNS1_3genE0ELNS1_11target_archE4294967295ELNS1_3gpuE0ELNS1_3repE0EEENS1_52radix_sort_onesweep_histogram_config_static_selectorELNS0_4arch9wavefront6targetE1EEEvSC_,comdat
.Lfunc_end2459:
	.size	_ZN7rocprim17ROCPRIM_400000_NS6detail17trampoline_kernelINS0_14default_configENS1_35radix_sort_onesweep_config_selectorIyNS0_10empty_typeEEEZNS1_34radix_sort_onesweep_global_offsetsIS3_Lb1EPyPS5_mNS0_19identity_decomposerEEE10hipError_tT1_T2_PT3_SE_jT4_jjP12ihipStream_tbEUlT_E_NS1_11comp_targetILNS1_3genE0ELNS1_11target_archE4294967295ELNS1_3gpuE0ELNS1_3repE0EEENS1_52radix_sort_onesweep_histogram_config_static_selectorELNS0_4arch9wavefront6targetE1EEEvSC_, .Lfunc_end2459-_ZN7rocprim17ROCPRIM_400000_NS6detail17trampoline_kernelINS0_14default_configENS1_35radix_sort_onesweep_config_selectorIyNS0_10empty_typeEEEZNS1_34radix_sort_onesweep_global_offsetsIS3_Lb1EPyPS5_mNS0_19identity_decomposerEEE10hipError_tT1_T2_PT3_SE_jT4_jjP12ihipStream_tbEUlT_E_NS1_11comp_targetILNS1_3genE0ELNS1_11target_archE4294967295ELNS1_3gpuE0ELNS1_3repE0EEENS1_52radix_sort_onesweep_histogram_config_static_selectorELNS0_4arch9wavefront6targetE1EEEvSC_
                                        ; -- End function
	.section	.AMDGPU.csdata,"",@progbits
; Kernel info:
; codeLenInByte = 0
; NumSgprs: 4
; NumVgprs: 0
; NumAgprs: 0
; TotalNumVgprs: 0
; ScratchSize: 0
; MemoryBound: 0
; FloatMode: 240
; IeeeMode: 1
; LDSByteSize: 0 bytes/workgroup (compile time only)
; SGPRBlocks: 0
; VGPRBlocks: 0
; NumSGPRsForWavesPerEU: 4
; NumVGPRsForWavesPerEU: 1
; AccumOffset: 4
; Occupancy: 8
; WaveLimiterHint : 0
; COMPUTE_PGM_RSRC2:SCRATCH_EN: 0
; COMPUTE_PGM_RSRC2:USER_SGPR: 6
; COMPUTE_PGM_RSRC2:TRAP_HANDLER: 0
; COMPUTE_PGM_RSRC2:TGID_X_EN: 1
; COMPUTE_PGM_RSRC2:TGID_Y_EN: 0
; COMPUTE_PGM_RSRC2:TGID_Z_EN: 0
; COMPUTE_PGM_RSRC2:TIDIG_COMP_CNT: 0
; COMPUTE_PGM_RSRC3_GFX90A:ACCUM_OFFSET: 0
; COMPUTE_PGM_RSRC3_GFX90A:TG_SPLIT: 0
	.section	.text._ZN7rocprim17ROCPRIM_400000_NS6detail17trampoline_kernelINS0_14default_configENS1_35radix_sort_onesweep_config_selectorIyNS0_10empty_typeEEEZNS1_34radix_sort_onesweep_global_offsetsIS3_Lb1EPyPS5_mNS0_19identity_decomposerEEE10hipError_tT1_T2_PT3_SE_jT4_jjP12ihipStream_tbEUlT_E_NS1_11comp_targetILNS1_3genE6ELNS1_11target_archE950ELNS1_3gpuE13ELNS1_3repE0EEENS1_52radix_sort_onesweep_histogram_config_static_selectorELNS0_4arch9wavefront6targetE1EEEvSC_,"axG",@progbits,_ZN7rocprim17ROCPRIM_400000_NS6detail17trampoline_kernelINS0_14default_configENS1_35radix_sort_onesweep_config_selectorIyNS0_10empty_typeEEEZNS1_34radix_sort_onesweep_global_offsetsIS3_Lb1EPyPS5_mNS0_19identity_decomposerEEE10hipError_tT1_T2_PT3_SE_jT4_jjP12ihipStream_tbEUlT_E_NS1_11comp_targetILNS1_3genE6ELNS1_11target_archE950ELNS1_3gpuE13ELNS1_3repE0EEENS1_52radix_sort_onesweep_histogram_config_static_selectorELNS0_4arch9wavefront6targetE1EEEvSC_,comdat
	.protected	_ZN7rocprim17ROCPRIM_400000_NS6detail17trampoline_kernelINS0_14default_configENS1_35radix_sort_onesweep_config_selectorIyNS0_10empty_typeEEEZNS1_34radix_sort_onesweep_global_offsetsIS3_Lb1EPyPS5_mNS0_19identity_decomposerEEE10hipError_tT1_T2_PT3_SE_jT4_jjP12ihipStream_tbEUlT_E_NS1_11comp_targetILNS1_3genE6ELNS1_11target_archE950ELNS1_3gpuE13ELNS1_3repE0EEENS1_52radix_sort_onesweep_histogram_config_static_selectorELNS0_4arch9wavefront6targetE1EEEvSC_ ; -- Begin function _ZN7rocprim17ROCPRIM_400000_NS6detail17trampoline_kernelINS0_14default_configENS1_35radix_sort_onesweep_config_selectorIyNS0_10empty_typeEEEZNS1_34radix_sort_onesweep_global_offsetsIS3_Lb1EPyPS5_mNS0_19identity_decomposerEEE10hipError_tT1_T2_PT3_SE_jT4_jjP12ihipStream_tbEUlT_E_NS1_11comp_targetILNS1_3genE6ELNS1_11target_archE950ELNS1_3gpuE13ELNS1_3repE0EEENS1_52radix_sort_onesweep_histogram_config_static_selectorELNS0_4arch9wavefront6targetE1EEEvSC_
	.globl	_ZN7rocprim17ROCPRIM_400000_NS6detail17trampoline_kernelINS0_14default_configENS1_35radix_sort_onesweep_config_selectorIyNS0_10empty_typeEEEZNS1_34radix_sort_onesweep_global_offsetsIS3_Lb1EPyPS5_mNS0_19identity_decomposerEEE10hipError_tT1_T2_PT3_SE_jT4_jjP12ihipStream_tbEUlT_E_NS1_11comp_targetILNS1_3genE6ELNS1_11target_archE950ELNS1_3gpuE13ELNS1_3repE0EEENS1_52radix_sort_onesweep_histogram_config_static_selectorELNS0_4arch9wavefront6targetE1EEEvSC_
	.p2align	8
	.type	_ZN7rocprim17ROCPRIM_400000_NS6detail17trampoline_kernelINS0_14default_configENS1_35radix_sort_onesweep_config_selectorIyNS0_10empty_typeEEEZNS1_34radix_sort_onesweep_global_offsetsIS3_Lb1EPyPS5_mNS0_19identity_decomposerEEE10hipError_tT1_T2_PT3_SE_jT4_jjP12ihipStream_tbEUlT_E_NS1_11comp_targetILNS1_3genE6ELNS1_11target_archE950ELNS1_3gpuE13ELNS1_3repE0EEENS1_52radix_sort_onesweep_histogram_config_static_selectorELNS0_4arch9wavefront6targetE1EEEvSC_,@function
_ZN7rocprim17ROCPRIM_400000_NS6detail17trampoline_kernelINS0_14default_configENS1_35radix_sort_onesweep_config_selectorIyNS0_10empty_typeEEEZNS1_34radix_sort_onesweep_global_offsetsIS3_Lb1EPyPS5_mNS0_19identity_decomposerEEE10hipError_tT1_T2_PT3_SE_jT4_jjP12ihipStream_tbEUlT_E_NS1_11comp_targetILNS1_3genE6ELNS1_11target_archE950ELNS1_3gpuE13ELNS1_3repE0EEENS1_52radix_sort_onesweep_histogram_config_static_selectorELNS0_4arch9wavefront6targetE1EEEvSC_: ; @_ZN7rocprim17ROCPRIM_400000_NS6detail17trampoline_kernelINS0_14default_configENS1_35radix_sort_onesweep_config_selectorIyNS0_10empty_typeEEEZNS1_34radix_sort_onesweep_global_offsetsIS3_Lb1EPyPS5_mNS0_19identity_decomposerEEE10hipError_tT1_T2_PT3_SE_jT4_jjP12ihipStream_tbEUlT_E_NS1_11comp_targetILNS1_3genE6ELNS1_11target_archE950ELNS1_3gpuE13ELNS1_3repE0EEENS1_52radix_sort_onesweep_histogram_config_static_selectorELNS0_4arch9wavefront6targetE1EEEvSC_
; %bb.0:
	.section	.rodata,"a",@progbits
	.p2align	6, 0x0
	.amdhsa_kernel _ZN7rocprim17ROCPRIM_400000_NS6detail17trampoline_kernelINS0_14default_configENS1_35radix_sort_onesweep_config_selectorIyNS0_10empty_typeEEEZNS1_34radix_sort_onesweep_global_offsetsIS3_Lb1EPyPS5_mNS0_19identity_decomposerEEE10hipError_tT1_T2_PT3_SE_jT4_jjP12ihipStream_tbEUlT_E_NS1_11comp_targetILNS1_3genE6ELNS1_11target_archE950ELNS1_3gpuE13ELNS1_3repE0EEENS1_52radix_sort_onesweep_histogram_config_static_selectorELNS0_4arch9wavefront6targetE1EEEvSC_
		.amdhsa_group_segment_fixed_size 0
		.amdhsa_private_segment_fixed_size 0
		.amdhsa_kernarg_size 48
		.amdhsa_user_sgpr_count 6
		.amdhsa_user_sgpr_private_segment_buffer 1
		.amdhsa_user_sgpr_dispatch_ptr 0
		.amdhsa_user_sgpr_queue_ptr 0
		.amdhsa_user_sgpr_kernarg_segment_ptr 1
		.amdhsa_user_sgpr_dispatch_id 0
		.amdhsa_user_sgpr_flat_scratch_init 0
		.amdhsa_user_sgpr_kernarg_preload_length 0
		.amdhsa_user_sgpr_kernarg_preload_offset 0
		.amdhsa_user_sgpr_private_segment_size 0
		.amdhsa_uses_dynamic_stack 0
		.amdhsa_system_sgpr_private_segment_wavefront_offset 0
		.amdhsa_system_sgpr_workgroup_id_x 1
		.amdhsa_system_sgpr_workgroup_id_y 0
		.amdhsa_system_sgpr_workgroup_id_z 0
		.amdhsa_system_sgpr_workgroup_info 0
		.amdhsa_system_vgpr_workitem_id 0
		.amdhsa_next_free_vgpr 1
		.amdhsa_next_free_sgpr 0
		.amdhsa_accum_offset 4
		.amdhsa_reserve_vcc 0
		.amdhsa_reserve_flat_scratch 0
		.amdhsa_float_round_mode_32 0
		.amdhsa_float_round_mode_16_64 0
		.amdhsa_float_denorm_mode_32 3
		.amdhsa_float_denorm_mode_16_64 3
		.amdhsa_dx10_clamp 1
		.amdhsa_ieee_mode 1
		.amdhsa_fp16_overflow 0
		.amdhsa_tg_split 0
		.amdhsa_exception_fp_ieee_invalid_op 0
		.amdhsa_exception_fp_denorm_src 0
		.amdhsa_exception_fp_ieee_div_zero 0
		.amdhsa_exception_fp_ieee_overflow 0
		.amdhsa_exception_fp_ieee_underflow 0
		.amdhsa_exception_fp_ieee_inexact 0
		.amdhsa_exception_int_div_zero 0
	.end_amdhsa_kernel
	.section	.text._ZN7rocprim17ROCPRIM_400000_NS6detail17trampoline_kernelINS0_14default_configENS1_35radix_sort_onesweep_config_selectorIyNS0_10empty_typeEEEZNS1_34radix_sort_onesweep_global_offsetsIS3_Lb1EPyPS5_mNS0_19identity_decomposerEEE10hipError_tT1_T2_PT3_SE_jT4_jjP12ihipStream_tbEUlT_E_NS1_11comp_targetILNS1_3genE6ELNS1_11target_archE950ELNS1_3gpuE13ELNS1_3repE0EEENS1_52radix_sort_onesweep_histogram_config_static_selectorELNS0_4arch9wavefront6targetE1EEEvSC_,"axG",@progbits,_ZN7rocprim17ROCPRIM_400000_NS6detail17trampoline_kernelINS0_14default_configENS1_35radix_sort_onesweep_config_selectorIyNS0_10empty_typeEEEZNS1_34radix_sort_onesweep_global_offsetsIS3_Lb1EPyPS5_mNS0_19identity_decomposerEEE10hipError_tT1_T2_PT3_SE_jT4_jjP12ihipStream_tbEUlT_E_NS1_11comp_targetILNS1_3genE6ELNS1_11target_archE950ELNS1_3gpuE13ELNS1_3repE0EEENS1_52radix_sort_onesweep_histogram_config_static_selectorELNS0_4arch9wavefront6targetE1EEEvSC_,comdat
.Lfunc_end2460:
	.size	_ZN7rocprim17ROCPRIM_400000_NS6detail17trampoline_kernelINS0_14default_configENS1_35radix_sort_onesweep_config_selectorIyNS0_10empty_typeEEEZNS1_34radix_sort_onesweep_global_offsetsIS3_Lb1EPyPS5_mNS0_19identity_decomposerEEE10hipError_tT1_T2_PT3_SE_jT4_jjP12ihipStream_tbEUlT_E_NS1_11comp_targetILNS1_3genE6ELNS1_11target_archE950ELNS1_3gpuE13ELNS1_3repE0EEENS1_52radix_sort_onesweep_histogram_config_static_selectorELNS0_4arch9wavefront6targetE1EEEvSC_, .Lfunc_end2460-_ZN7rocprim17ROCPRIM_400000_NS6detail17trampoline_kernelINS0_14default_configENS1_35radix_sort_onesweep_config_selectorIyNS0_10empty_typeEEEZNS1_34radix_sort_onesweep_global_offsetsIS3_Lb1EPyPS5_mNS0_19identity_decomposerEEE10hipError_tT1_T2_PT3_SE_jT4_jjP12ihipStream_tbEUlT_E_NS1_11comp_targetILNS1_3genE6ELNS1_11target_archE950ELNS1_3gpuE13ELNS1_3repE0EEENS1_52radix_sort_onesweep_histogram_config_static_selectorELNS0_4arch9wavefront6targetE1EEEvSC_
                                        ; -- End function
	.section	.AMDGPU.csdata,"",@progbits
; Kernel info:
; codeLenInByte = 0
; NumSgprs: 4
; NumVgprs: 0
; NumAgprs: 0
; TotalNumVgprs: 0
; ScratchSize: 0
; MemoryBound: 0
; FloatMode: 240
; IeeeMode: 1
; LDSByteSize: 0 bytes/workgroup (compile time only)
; SGPRBlocks: 0
; VGPRBlocks: 0
; NumSGPRsForWavesPerEU: 4
; NumVGPRsForWavesPerEU: 1
; AccumOffset: 4
; Occupancy: 8
; WaveLimiterHint : 0
; COMPUTE_PGM_RSRC2:SCRATCH_EN: 0
; COMPUTE_PGM_RSRC2:USER_SGPR: 6
; COMPUTE_PGM_RSRC2:TRAP_HANDLER: 0
; COMPUTE_PGM_RSRC2:TGID_X_EN: 1
; COMPUTE_PGM_RSRC2:TGID_Y_EN: 0
; COMPUTE_PGM_RSRC2:TGID_Z_EN: 0
; COMPUTE_PGM_RSRC2:TIDIG_COMP_CNT: 0
; COMPUTE_PGM_RSRC3_GFX90A:ACCUM_OFFSET: 0
; COMPUTE_PGM_RSRC3_GFX90A:TG_SPLIT: 0
	.section	.text._ZN7rocprim17ROCPRIM_400000_NS6detail17trampoline_kernelINS0_14default_configENS1_35radix_sort_onesweep_config_selectorIyNS0_10empty_typeEEEZNS1_34radix_sort_onesweep_global_offsetsIS3_Lb1EPyPS5_mNS0_19identity_decomposerEEE10hipError_tT1_T2_PT3_SE_jT4_jjP12ihipStream_tbEUlT_E_NS1_11comp_targetILNS1_3genE5ELNS1_11target_archE942ELNS1_3gpuE9ELNS1_3repE0EEENS1_52radix_sort_onesweep_histogram_config_static_selectorELNS0_4arch9wavefront6targetE1EEEvSC_,"axG",@progbits,_ZN7rocprim17ROCPRIM_400000_NS6detail17trampoline_kernelINS0_14default_configENS1_35radix_sort_onesweep_config_selectorIyNS0_10empty_typeEEEZNS1_34radix_sort_onesweep_global_offsetsIS3_Lb1EPyPS5_mNS0_19identity_decomposerEEE10hipError_tT1_T2_PT3_SE_jT4_jjP12ihipStream_tbEUlT_E_NS1_11comp_targetILNS1_3genE5ELNS1_11target_archE942ELNS1_3gpuE9ELNS1_3repE0EEENS1_52radix_sort_onesweep_histogram_config_static_selectorELNS0_4arch9wavefront6targetE1EEEvSC_,comdat
	.protected	_ZN7rocprim17ROCPRIM_400000_NS6detail17trampoline_kernelINS0_14default_configENS1_35radix_sort_onesweep_config_selectorIyNS0_10empty_typeEEEZNS1_34radix_sort_onesweep_global_offsetsIS3_Lb1EPyPS5_mNS0_19identity_decomposerEEE10hipError_tT1_T2_PT3_SE_jT4_jjP12ihipStream_tbEUlT_E_NS1_11comp_targetILNS1_3genE5ELNS1_11target_archE942ELNS1_3gpuE9ELNS1_3repE0EEENS1_52radix_sort_onesweep_histogram_config_static_selectorELNS0_4arch9wavefront6targetE1EEEvSC_ ; -- Begin function _ZN7rocprim17ROCPRIM_400000_NS6detail17trampoline_kernelINS0_14default_configENS1_35radix_sort_onesweep_config_selectorIyNS0_10empty_typeEEEZNS1_34radix_sort_onesweep_global_offsetsIS3_Lb1EPyPS5_mNS0_19identity_decomposerEEE10hipError_tT1_T2_PT3_SE_jT4_jjP12ihipStream_tbEUlT_E_NS1_11comp_targetILNS1_3genE5ELNS1_11target_archE942ELNS1_3gpuE9ELNS1_3repE0EEENS1_52radix_sort_onesweep_histogram_config_static_selectorELNS0_4arch9wavefront6targetE1EEEvSC_
	.globl	_ZN7rocprim17ROCPRIM_400000_NS6detail17trampoline_kernelINS0_14default_configENS1_35radix_sort_onesweep_config_selectorIyNS0_10empty_typeEEEZNS1_34radix_sort_onesweep_global_offsetsIS3_Lb1EPyPS5_mNS0_19identity_decomposerEEE10hipError_tT1_T2_PT3_SE_jT4_jjP12ihipStream_tbEUlT_E_NS1_11comp_targetILNS1_3genE5ELNS1_11target_archE942ELNS1_3gpuE9ELNS1_3repE0EEENS1_52radix_sort_onesweep_histogram_config_static_selectorELNS0_4arch9wavefront6targetE1EEEvSC_
	.p2align	8
	.type	_ZN7rocprim17ROCPRIM_400000_NS6detail17trampoline_kernelINS0_14default_configENS1_35radix_sort_onesweep_config_selectorIyNS0_10empty_typeEEEZNS1_34radix_sort_onesweep_global_offsetsIS3_Lb1EPyPS5_mNS0_19identity_decomposerEEE10hipError_tT1_T2_PT3_SE_jT4_jjP12ihipStream_tbEUlT_E_NS1_11comp_targetILNS1_3genE5ELNS1_11target_archE942ELNS1_3gpuE9ELNS1_3repE0EEENS1_52radix_sort_onesweep_histogram_config_static_selectorELNS0_4arch9wavefront6targetE1EEEvSC_,@function
_ZN7rocprim17ROCPRIM_400000_NS6detail17trampoline_kernelINS0_14default_configENS1_35radix_sort_onesweep_config_selectorIyNS0_10empty_typeEEEZNS1_34radix_sort_onesweep_global_offsetsIS3_Lb1EPyPS5_mNS0_19identity_decomposerEEE10hipError_tT1_T2_PT3_SE_jT4_jjP12ihipStream_tbEUlT_E_NS1_11comp_targetILNS1_3genE5ELNS1_11target_archE942ELNS1_3gpuE9ELNS1_3repE0EEENS1_52radix_sort_onesweep_histogram_config_static_selectorELNS0_4arch9wavefront6targetE1EEEvSC_: ; @_ZN7rocprim17ROCPRIM_400000_NS6detail17trampoline_kernelINS0_14default_configENS1_35radix_sort_onesweep_config_selectorIyNS0_10empty_typeEEEZNS1_34radix_sort_onesweep_global_offsetsIS3_Lb1EPyPS5_mNS0_19identity_decomposerEEE10hipError_tT1_T2_PT3_SE_jT4_jjP12ihipStream_tbEUlT_E_NS1_11comp_targetILNS1_3genE5ELNS1_11target_archE942ELNS1_3gpuE9ELNS1_3repE0EEENS1_52radix_sort_onesweep_histogram_config_static_selectorELNS0_4arch9wavefront6targetE1EEEvSC_
; %bb.0:
	.section	.rodata,"a",@progbits
	.p2align	6, 0x0
	.amdhsa_kernel _ZN7rocprim17ROCPRIM_400000_NS6detail17trampoline_kernelINS0_14default_configENS1_35radix_sort_onesweep_config_selectorIyNS0_10empty_typeEEEZNS1_34radix_sort_onesweep_global_offsetsIS3_Lb1EPyPS5_mNS0_19identity_decomposerEEE10hipError_tT1_T2_PT3_SE_jT4_jjP12ihipStream_tbEUlT_E_NS1_11comp_targetILNS1_3genE5ELNS1_11target_archE942ELNS1_3gpuE9ELNS1_3repE0EEENS1_52radix_sort_onesweep_histogram_config_static_selectorELNS0_4arch9wavefront6targetE1EEEvSC_
		.amdhsa_group_segment_fixed_size 0
		.amdhsa_private_segment_fixed_size 0
		.amdhsa_kernarg_size 48
		.amdhsa_user_sgpr_count 6
		.amdhsa_user_sgpr_private_segment_buffer 1
		.amdhsa_user_sgpr_dispatch_ptr 0
		.amdhsa_user_sgpr_queue_ptr 0
		.amdhsa_user_sgpr_kernarg_segment_ptr 1
		.amdhsa_user_sgpr_dispatch_id 0
		.amdhsa_user_sgpr_flat_scratch_init 0
		.amdhsa_user_sgpr_kernarg_preload_length 0
		.amdhsa_user_sgpr_kernarg_preload_offset 0
		.amdhsa_user_sgpr_private_segment_size 0
		.amdhsa_uses_dynamic_stack 0
		.amdhsa_system_sgpr_private_segment_wavefront_offset 0
		.amdhsa_system_sgpr_workgroup_id_x 1
		.amdhsa_system_sgpr_workgroup_id_y 0
		.amdhsa_system_sgpr_workgroup_id_z 0
		.amdhsa_system_sgpr_workgroup_info 0
		.amdhsa_system_vgpr_workitem_id 0
		.amdhsa_next_free_vgpr 1
		.amdhsa_next_free_sgpr 0
		.amdhsa_accum_offset 4
		.amdhsa_reserve_vcc 0
		.amdhsa_reserve_flat_scratch 0
		.amdhsa_float_round_mode_32 0
		.amdhsa_float_round_mode_16_64 0
		.amdhsa_float_denorm_mode_32 3
		.amdhsa_float_denorm_mode_16_64 3
		.amdhsa_dx10_clamp 1
		.amdhsa_ieee_mode 1
		.amdhsa_fp16_overflow 0
		.amdhsa_tg_split 0
		.amdhsa_exception_fp_ieee_invalid_op 0
		.amdhsa_exception_fp_denorm_src 0
		.amdhsa_exception_fp_ieee_div_zero 0
		.amdhsa_exception_fp_ieee_overflow 0
		.amdhsa_exception_fp_ieee_underflow 0
		.amdhsa_exception_fp_ieee_inexact 0
		.amdhsa_exception_int_div_zero 0
	.end_amdhsa_kernel
	.section	.text._ZN7rocprim17ROCPRIM_400000_NS6detail17trampoline_kernelINS0_14default_configENS1_35radix_sort_onesweep_config_selectorIyNS0_10empty_typeEEEZNS1_34radix_sort_onesweep_global_offsetsIS3_Lb1EPyPS5_mNS0_19identity_decomposerEEE10hipError_tT1_T2_PT3_SE_jT4_jjP12ihipStream_tbEUlT_E_NS1_11comp_targetILNS1_3genE5ELNS1_11target_archE942ELNS1_3gpuE9ELNS1_3repE0EEENS1_52radix_sort_onesweep_histogram_config_static_selectorELNS0_4arch9wavefront6targetE1EEEvSC_,"axG",@progbits,_ZN7rocprim17ROCPRIM_400000_NS6detail17trampoline_kernelINS0_14default_configENS1_35radix_sort_onesweep_config_selectorIyNS0_10empty_typeEEEZNS1_34radix_sort_onesweep_global_offsetsIS3_Lb1EPyPS5_mNS0_19identity_decomposerEEE10hipError_tT1_T2_PT3_SE_jT4_jjP12ihipStream_tbEUlT_E_NS1_11comp_targetILNS1_3genE5ELNS1_11target_archE942ELNS1_3gpuE9ELNS1_3repE0EEENS1_52radix_sort_onesweep_histogram_config_static_selectorELNS0_4arch9wavefront6targetE1EEEvSC_,comdat
.Lfunc_end2461:
	.size	_ZN7rocprim17ROCPRIM_400000_NS6detail17trampoline_kernelINS0_14default_configENS1_35radix_sort_onesweep_config_selectorIyNS0_10empty_typeEEEZNS1_34radix_sort_onesweep_global_offsetsIS3_Lb1EPyPS5_mNS0_19identity_decomposerEEE10hipError_tT1_T2_PT3_SE_jT4_jjP12ihipStream_tbEUlT_E_NS1_11comp_targetILNS1_3genE5ELNS1_11target_archE942ELNS1_3gpuE9ELNS1_3repE0EEENS1_52radix_sort_onesweep_histogram_config_static_selectorELNS0_4arch9wavefront6targetE1EEEvSC_, .Lfunc_end2461-_ZN7rocprim17ROCPRIM_400000_NS6detail17trampoline_kernelINS0_14default_configENS1_35radix_sort_onesweep_config_selectorIyNS0_10empty_typeEEEZNS1_34radix_sort_onesweep_global_offsetsIS3_Lb1EPyPS5_mNS0_19identity_decomposerEEE10hipError_tT1_T2_PT3_SE_jT4_jjP12ihipStream_tbEUlT_E_NS1_11comp_targetILNS1_3genE5ELNS1_11target_archE942ELNS1_3gpuE9ELNS1_3repE0EEENS1_52radix_sort_onesweep_histogram_config_static_selectorELNS0_4arch9wavefront6targetE1EEEvSC_
                                        ; -- End function
	.section	.AMDGPU.csdata,"",@progbits
; Kernel info:
; codeLenInByte = 0
; NumSgprs: 4
; NumVgprs: 0
; NumAgprs: 0
; TotalNumVgprs: 0
; ScratchSize: 0
; MemoryBound: 0
; FloatMode: 240
; IeeeMode: 1
; LDSByteSize: 0 bytes/workgroup (compile time only)
; SGPRBlocks: 0
; VGPRBlocks: 0
; NumSGPRsForWavesPerEU: 4
; NumVGPRsForWavesPerEU: 1
; AccumOffset: 4
; Occupancy: 8
; WaveLimiterHint : 0
; COMPUTE_PGM_RSRC2:SCRATCH_EN: 0
; COMPUTE_PGM_RSRC2:USER_SGPR: 6
; COMPUTE_PGM_RSRC2:TRAP_HANDLER: 0
; COMPUTE_PGM_RSRC2:TGID_X_EN: 1
; COMPUTE_PGM_RSRC2:TGID_Y_EN: 0
; COMPUTE_PGM_RSRC2:TGID_Z_EN: 0
; COMPUTE_PGM_RSRC2:TIDIG_COMP_CNT: 0
; COMPUTE_PGM_RSRC3_GFX90A:ACCUM_OFFSET: 0
; COMPUTE_PGM_RSRC3_GFX90A:TG_SPLIT: 0
	.section	.text._ZN7rocprim17ROCPRIM_400000_NS6detail17trampoline_kernelINS0_14default_configENS1_35radix_sort_onesweep_config_selectorIyNS0_10empty_typeEEEZNS1_34radix_sort_onesweep_global_offsetsIS3_Lb1EPyPS5_mNS0_19identity_decomposerEEE10hipError_tT1_T2_PT3_SE_jT4_jjP12ihipStream_tbEUlT_E_NS1_11comp_targetILNS1_3genE2ELNS1_11target_archE906ELNS1_3gpuE6ELNS1_3repE0EEENS1_52radix_sort_onesweep_histogram_config_static_selectorELNS0_4arch9wavefront6targetE1EEEvSC_,"axG",@progbits,_ZN7rocprim17ROCPRIM_400000_NS6detail17trampoline_kernelINS0_14default_configENS1_35radix_sort_onesweep_config_selectorIyNS0_10empty_typeEEEZNS1_34radix_sort_onesweep_global_offsetsIS3_Lb1EPyPS5_mNS0_19identity_decomposerEEE10hipError_tT1_T2_PT3_SE_jT4_jjP12ihipStream_tbEUlT_E_NS1_11comp_targetILNS1_3genE2ELNS1_11target_archE906ELNS1_3gpuE6ELNS1_3repE0EEENS1_52radix_sort_onesweep_histogram_config_static_selectorELNS0_4arch9wavefront6targetE1EEEvSC_,comdat
	.protected	_ZN7rocprim17ROCPRIM_400000_NS6detail17trampoline_kernelINS0_14default_configENS1_35radix_sort_onesweep_config_selectorIyNS0_10empty_typeEEEZNS1_34radix_sort_onesweep_global_offsetsIS3_Lb1EPyPS5_mNS0_19identity_decomposerEEE10hipError_tT1_T2_PT3_SE_jT4_jjP12ihipStream_tbEUlT_E_NS1_11comp_targetILNS1_3genE2ELNS1_11target_archE906ELNS1_3gpuE6ELNS1_3repE0EEENS1_52radix_sort_onesweep_histogram_config_static_selectorELNS0_4arch9wavefront6targetE1EEEvSC_ ; -- Begin function _ZN7rocprim17ROCPRIM_400000_NS6detail17trampoline_kernelINS0_14default_configENS1_35radix_sort_onesweep_config_selectorIyNS0_10empty_typeEEEZNS1_34radix_sort_onesweep_global_offsetsIS3_Lb1EPyPS5_mNS0_19identity_decomposerEEE10hipError_tT1_T2_PT3_SE_jT4_jjP12ihipStream_tbEUlT_E_NS1_11comp_targetILNS1_3genE2ELNS1_11target_archE906ELNS1_3gpuE6ELNS1_3repE0EEENS1_52radix_sort_onesweep_histogram_config_static_selectorELNS0_4arch9wavefront6targetE1EEEvSC_
	.globl	_ZN7rocprim17ROCPRIM_400000_NS6detail17trampoline_kernelINS0_14default_configENS1_35radix_sort_onesweep_config_selectorIyNS0_10empty_typeEEEZNS1_34radix_sort_onesweep_global_offsetsIS3_Lb1EPyPS5_mNS0_19identity_decomposerEEE10hipError_tT1_T2_PT3_SE_jT4_jjP12ihipStream_tbEUlT_E_NS1_11comp_targetILNS1_3genE2ELNS1_11target_archE906ELNS1_3gpuE6ELNS1_3repE0EEENS1_52radix_sort_onesweep_histogram_config_static_selectorELNS0_4arch9wavefront6targetE1EEEvSC_
	.p2align	8
	.type	_ZN7rocprim17ROCPRIM_400000_NS6detail17trampoline_kernelINS0_14default_configENS1_35radix_sort_onesweep_config_selectorIyNS0_10empty_typeEEEZNS1_34radix_sort_onesweep_global_offsetsIS3_Lb1EPyPS5_mNS0_19identity_decomposerEEE10hipError_tT1_T2_PT3_SE_jT4_jjP12ihipStream_tbEUlT_E_NS1_11comp_targetILNS1_3genE2ELNS1_11target_archE906ELNS1_3gpuE6ELNS1_3repE0EEENS1_52radix_sort_onesweep_histogram_config_static_selectorELNS0_4arch9wavefront6targetE1EEEvSC_,@function
_ZN7rocprim17ROCPRIM_400000_NS6detail17trampoline_kernelINS0_14default_configENS1_35radix_sort_onesweep_config_selectorIyNS0_10empty_typeEEEZNS1_34radix_sort_onesweep_global_offsetsIS3_Lb1EPyPS5_mNS0_19identity_decomposerEEE10hipError_tT1_T2_PT3_SE_jT4_jjP12ihipStream_tbEUlT_E_NS1_11comp_targetILNS1_3genE2ELNS1_11target_archE906ELNS1_3gpuE6ELNS1_3repE0EEENS1_52radix_sort_onesweep_histogram_config_static_selectorELNS0_4arch9wavefront6targetE1EEEvSC_: ; @_ZN7rocprim17ROCPRIM_400000_NS6detail17trampoline_kernelINS0_14default_configENS1_35radix_sort_onesweep_config_selectorIyNS0_10empty_typeEEEZNS1_34radix_sort_onesweep_global_offsetsIS3_Lb1EPyPS5_mNS0_19identity_decomposerEEE10hipError_tT1_T2_PT3_SE_jT4_jjP12ihipStream_tbEUlT_E_NS1_11comp_targetILNS1_3genE2ELNS1_11target_archE906ELNS1_3gpuE6ELNS1_3repE0EEENS1_52radix_sort_onesweep_histogram_config_static_selectorELNS0_4arch9wavefront6targetE1EEEvSC_
; %bb.0:
	.section	.rodata,"a",@progbits
	.p2align	6, 0x0
	.amdhsa_kernel _ZN7rocprim17ROCPRIM_400000_NS6detail17trampoline_kernelINS0_14default_configENS1_35radix_sort_onesweep_config_selectorIyNS0_10empty_typeEEEZNS1_34radix_sort_onesweep_global_offsetsIS3_Lb1EPyPS5_mNS0_19identity_decomposerEEE10hipError_tT1_T2_PT3_SE_jT4_jjP12ihipStream_tbEUlT_E_NS1_11comp_targetILNS1_3genE2ELNS1_11target_archE906ELNS1_3gpuE6ELNS1_3repE0EEENS1_52radix_sort_onesweep_histogram_config_static_selectorELNS0_4arch9wavefront6targetE1EEEvSC_
		.amdhsa_group_segment_fixed_size 0
		.amdhsa_private_segment_fixed_size 0
		.amdhsa_kernarg_size 48
		.amdhsa_user_sgpr_count 6
		.amdhsa_user_sgpr_private_segment_buffer 1
		.amdhsa_user_sgpr_dispatch_ptr 0
		.amdhsa_user_sgpr_queue_ptr 0
		.amdhsa_user_sgpr_kernarg_segment_ptr 1
		.amdhsa_user_sgpr_dispatch_id 0
		.amdhsa_user_sgpr_flat_scratch_init 0
		.amdhsa_user_sgpr_kernarg_preload_length 0
		.amdhsa_user_sgpr_kernarg_preload_offset 0
		.amdhsa_user_sgpr_private_segment_size 0
		.amdhsa_uses_dynamic_stack 0
		.amdhsa_system_sgpr_private_segment_wavefront_offset 0
		.amdhsa_system_sgpr_workgroup_id_x 1
		.amdhsa_system_sgpr_workgroup_id_y 0
		.amdhsa_system_sgpr_workgroup_id_z 0
		.amdhsa_system_sgpr_workgroup_info 0
		.amdhsa_system_vgpr_workitem_id 0
		.amdhsa_next_free_vgpr 1
		.amdhsa_next_free_sgpr 0
		.amdhsa_accum_offset 4
		.amdhsa_reserve_vcc 0
		.amdhsa_reserve_flat_scratch 0
		.amdhsa_float_round_mode_32 0
		.amdhsa_float_round_mode_16_64 0
		.amdhsa_float_denorm_mode_32 3
		.amdhsa_float_denorm_mode_16_64 3
		.amdhsa_dx10_clamp 1
		.amdhsa_ieee_mode 1
		.amdhsa_fp16_overflow 0
		.amdhsa_tg_split 0
		.amdhsa_exception_fp_ieee_invalid_op 0
		.amdhsa_exception_fp_denorm_src 0
		.amdhsa_exception_fp_ieee_div_zero 0
		.amdhsa_exception_fp_ieee_overflow 0
		.amdhsa_exception_fp_ieee_underflow 0
		.amdhsa_exception_fp_ieee_inexact 0
		.amdhsa_exception_int_div_zero 0
	.end_amdhsa_kernel
	.section	.text._ZN7rocprim17ROCPRIM_400000_NS6detail17trampoline_kernelINS0_14default_configENS1_35radix_sort_onesweep_config_selectorIyNS0_10empty_typeEEEZNS1_34radix_sort_onesweep_global_offsetsIS3_Lb1EPyPS5_mNS0_19identity_decomposerEEE10hipError_tT1_T2_PT3_SE_jT4_jjP12ihipStream_tbEUlT_E_NS1_11comp_targetILNS1_3genE2ELNS1_11target_archE906ELNS1_3gpuE6ELNS1_3repE0EEENS1_52radix_sort_onesweep_histogram_config_static_selectorELNS0_4arch9wavefront6targetE1EEEvSC_,"axG",@progbits,_ZN7rocprim17ROCPRIM_400000_NS6detail17trampoline_kernelINS0_14default_configENS1_35radix_sort_onesweep_config_selectorIyNS0_10empty_typeEEEZNS1_34radix_sort_onesweep_global_offsetsIS3_Lb1EPyPS5_mNS0_19identity_decomposerEEE10hipError_tT1_T2_PT3_SE_jT4_jjP12ihipStream_tbEUlT_E_NS1_11comp_targetILNS1_3genE2ELNS1_11target_archE906ELNS1_3gpuE6ELNS1_3repE0EEENS1_52radix_sort_onesweep_histogram_config_static_selectorELNS0_4arch9wavefront6targetE1EEEvSC_,comdat
.Lfunc_end2462:
	.size	_ZN7rocprim17ROCPRIM_400000_NS6detail17trampoline_kernelINS0_14default_configENS1_35radix_sort_onesweep_config_selectorIyNS0_10empty_typeEEEZNS1_34radix_sort_onesweep_global_offsetsIS3_Lb1EPyPS5_mNS0_19identity_decomposerEEE10hipError_tT1_T2_PT3_SE_jT4_jjP12ihipStream_tbEUlT_E_NS1_11comp_targetILNS1_3genE2ELNS1_11target_archE906ELNS1_3gpuE6ELNS1_3repE0EEENS1_52radix_sort_onesweep_histogram_config_static_selectorELNS0_4arch9wavefront6targetE1EEEvSC_, .Lfunc_end2462-_ZN7rocprim17ROCPRIM_400000_NS6detail17trampoline_kernelINS0_14default_configENS1_35radix_sort_onesweep_config_selectorIyNS0_10empty_typeEEEZNS1_34radix_sort_onesweep_global_offsetsIS3_Lb1EPyPS5_mNS0_19identity_decomposerEEE10hipError_tT1_T2_PT3_SE_jT4_jjP12ihipStream_tbEUlT_E_NS1_11comp_targetILNS1_3genE2ELNS1_11target_archE906ELNS1_3gpuE6ELNS1_3repE0EEENS1_52radix_sort_onesweep_histogram_config_static_selectorELNS0_4arch9wavefront6targetE1EEEvSC_
                                        ; -- End function
	.section	.AMDGPU.csdata,"",@progbits
; Kernel info:
; codeLenInByte = 0
; NumSgprs: 4
; NumVgprs: 0
; NumAgprs: 0
; TotalNumVgprs: 0
; ScratchSize: 0
; MemoryBound: 0
; FloatMode: 240
; IeeeMode: 1
; LDSByteSize: 0 bytes/workgroup (compile time only)
; SGPRBlocks: 0
; VGPRBlocks: 0
; NumSGPRsForWavesPerEU: 4
; NumVGPRsForWavesPerEU: 1
; AccumOffset: 4
; Occupancy: 8
; WaveLimiterHint : 0
; COMPUTE_PGM_RSRC2:SCRATCH_EN: 0
; COMPUTE_PGM_RSRC2:USER_SGPR: 6
; COMPUTE_PGM_RSRC2:TRAP_HANDLER: 0
; COMPUTE_PGM_RSRC2:TGID_X_EN: 1
; COMPUTE_PGM_RSRC2:TGID_Y_EN: 0
; COMPUTE_PGM_RSRC2:TGID_Z_EN: 0
; COMPUTE_PGM_RSRC2:TIDIG_COMP_CNT: 0
; COMPUTE_PGM_RSRC3_GFX90A:ACCUM_OFFSET: 0
; COMPUTE_PGM_RSRC3_GFX90A:TG_SPLIT: 0
	.section	.text._ZN7rocprim17ROCPRIM_400000_NS6detail17trampoline_kernelINS0_14default_configENS1_35radix_sort_onesweep_config_selectorIyNS0_10empty_typeEEEZNS1_34radix_sort_onesweep_global_offsetsIS3_Lb1EPyPS5_mNS0_19identity_decomposerEEE10hipError_tT1_T2_PT3_SE_jT4_jjP12ihipStream_tbEUlT_E_NS1_11comp_targetILNS1_3genE4ELNS1_11target_archE910ELNS1_3gpuE8ELNS1_3repE0EEENS1_52radix_sort_onesweep_histogram_config_static_selectorELNS0_4arch9wavefront6targetE1EEEvSC_,"axG",@progbits,_ZN7rocprim17ROCPRIM_400000_NS6detail17trampoline_kernelINS0_14default_configENS1_35radix_sort_onesweep_config_selectorIyNS0_10empty_typeEEEZNS1_34radix_sort_onesweep_global_offsetsIS3_Lb1EPyPS5_mNS0_19identity_decomposerEEE10hipError_tT1_T2_PT3_SE_jT4_jjP12ihipStream_tbEUlT_E_NS1_11comp_targetILNS1_3genE4ELNS1_11target_archE910ELNS1_3gpuE8ELNS1_3repE0EEENS1_52radix_sort_onesweep_histogram_config_static_selectorELNS0_4arch9wavefront6targetE1EEEvSC_,comdat
	.protected	_ZN7rocprim17ROCPRIM_400000_NS6detail17trampoline_kernelINS0_14default_configENS1_35radix_sort_onesweep_config_selectorIyNS0_10empty_typeEEEZNS1_34radix_sort_onesweep_global_offsetsIS3_Lb1EPyPS5_mNS0_19identity_decomposerEEE10hipError_tT1_T2_PT3_SE_jT4_jjP12ihipStream_tbEUlT_E_NS1_11comp_targetILNS1_3genE4ELNS1_11target_archE910ELNS1_3gpuE8ELNS1_3repE0EEENS1_52radix_sort_onesweep_histogram_config_static_selectorELNS0_4arch9wavefront6targetE1EEEvSC_ ; -- Begin function _ZN7rocprim17ROCPRIM_400000_NS6detail17trampoline_kernelINS0_14default_configENS1_35radix_sort_onesweep_config_selectorIyNS0_10empty_typeEEEZNS1_34radix_sort_onesweep_global_offsetsIS3_Lb1EPyPS5_mNS0_19identity_decomposerEEE10hipError_tT1_T2_PT3_SE_jT4_jjP12ihipStream_tbEUlT_E_NS1_11comp_targetILNS1_3genE4ELNS1_11target_archE910ELNS1_3gpuE8ELNS1_3repE0EEENS1_52radix_sort_onesweep_histogram_config_static_selectorELNS0_4arch9wavefront6targetE1EEEvSC_
	.globl	_ZN7rocprim17ROCPRIM_400000_NS6detail17trampoline_kernelINS0_14default_configENS1_35radix_sort_onesweep_config_selectorIyNS0_10empty_typeEEEZNS1_34radix_sort_onesweep_global_offsetsIS3_Lb1EPyPS5_mNS0_19identity_decomposerEEE10hipError_tT1_T2_PT3_SE_jT4_jjP12ihipStream_tbEUlT_E_NS1_11comp_targetILNS1_3genE4ELNS1_11target_archE910ELNS1_3gpuE8ELNS1_3repE0EEENS1_52radix_sort_onesweep_histogram_config_static_selectorELNS0_4arch9wavefront6targetE1EEEvSC_
	.p2align	8
	.type	_ZN7rocprim17ROCPRIM_400000_NS6detail17trampoline_kernelINS0_14default_configENS1_35radix_sort_onesweep_config_selectorIyNS0_10empty_typeEEEZNS1_34radix_sort_onesweep_global_offsetsIS3_Lb1EPyPS5_mNS0_19identity_decomposerEEE10hipError_tT1_T2_PT3_SE_jT4_jjP12ihipStream_tbEUlT_E_NS1_11comp_targetILNS1_3genE4ELNS1_11target_archE910ELNS1_3gpuE8ELNS1_3repE0EEENS1_52radix_sort_onesweep_histogram_config_static_selectorELNS0_4arch9wavefront6targetE1EEEvSC_,@function
_ZN7rocprim17ROCPRIM_400000_NS6detail17trampoline_kernelINS0_14default_configENS1_35radix_sort_onesweep_config_selectorIyNS0_10empty_typeEEEZNS1_34radix_sort_onesweep_global_offsetsIS3_Lb1EPyPS5_mNS0_19identity_decomposerEEE10hipError_tT1_T2_PT3_SE_jT4_jjP12ihipStream_tbEUlT_E_NS1_11comp_targetILNS1_3genE4ELNS1_11target_archE910ELNS1_3gpuE8ELNS1_3repE0EEENS1_52radix_sort_onesweep_histogram_config_static_selectorELNS0_4arch9wavefront6targetE1EEEvSC_: ; @_ZN7rocprim17ROCPRIM_400000_NS6detail17trampoline_kernelINS0_14default_configENS1_35radix_sort_onesweep_config_selectorIyNS0_10empty_typeEEEZNS1_34radix_sort_onesweep_global_offsetsIS3_Lb1EPyPS5_mNS0_19identity_decomposerEEE10hipError_tT1_T2_PT3_SE_jT4_jjP12ihipStream_tbEUlT_E_NS1_11comp_targetILNS1_3genE4ELNS1_11target_archE910ELNS1_3gpuE8ELNS1_3repE0EEENS1_52radix_sort_onesweep_histogram_config_static_selectorELNS0_4arch9wavefront6targetE1EEEvSC_
; %bb.0:
	s_load_dwordx2 s[10:11], s[4:5], 0x18
	s_load_dwordx4 s[0:3], s[4:5], 0x0
	s_load_dwordx2 s[8:9], s[4:5], 0x24
	s_mov_b32 s7, 0
	v_pk_mov_b32 v[2:3], s[6:7], s[6:7] op_sel:[0,1]
	s_lshl_b64 s[6:7], s[6:7], 16
	s_waitcnt lgkmcnt(0)
	v_cmp_le_u64_e32 vcc, s[10:11], v[2:3]
	s_add_u32 s6, s0, s6
	s_addc_u32 s7, s1, s7
	s_mov_b64 s[0:1], -1
	s_cbranch_vccz .LBB2463_319
; %bb.1:
	s_load_dword s0, s[4:5], 0x10
	s_lshl_b32 s1, s10, 13
                                        ; implicit-def: $vgpr16_vgpr17
	s_waitcnt lgkmcnt(0)
	s_sub_i32 s16, s0, s1
	v_cmp_gt_u32_e32 vcc, s16, v0
	s_and_saveexec_b64 s[0:1], vcc
	s_cbranch_execz .LBB2463_3
; %bb.2:
	v_lshlrev_b32_e32 v1, 3, v0
	global_load_dwordx2 v[16:17], v1, s[6:7]
.LBB2463_3:
	s_or_b64 exec, exec, s[0:1]
	v_or_b32_e32 v24, 0x400, v0
	v_cmp_gt_u32_e32 vcc, s16, v24
                                        ; implicit-def: $vgpr14_vgpr15
	s_and_saveexec_b64 s[0:1], vcc
	s_cbranch_execz .LBB2463_5
; %bb.4:
	v_lshlrev_b32_e32 v1, 3, v24
	global_load_dwordx2 v[14:15], v1, s[6:7]
.LBB2463_5:
	s_or_b64 exec, exec, s[0:1]
	v_or_b32_e32 v23, 0x800, v0
	v_cmp_gt_u32_e32 vcc, s16, v23
                                        ; implicit-def: $vgpr12_vgpr13
	s_and_saveexec_b64 s[0:1], vcc
	s_cbranch_execz .LBB2463_7
; %bb.6:
	v_lshlrev_b32_e32 v1, 3, v23
	global_load_dwordx2 v[12:13], v1, s[6:7]
.LBB2463_7:
	s_or_b64 exec, exec, s[0:1]
	v_or_b32_e32 v22, 0xc00, v0
	v_cmp_gt_u32_e32 vcc, s16, v22
                                        ; implicit-def: $vgpr10_vgpr11
	s_and_saveexec_b64 s[0:1], vcc
	s_cbranch_execz .LBB2463_9
; %bb.8:
	v_lshlrev_b32_e32 v1, 3, v22
	global_load_dwordx2 v[10:11], v1, s[6:7]
.LBB2463_9:
	s_or_b64 exec, exec, s[0:1]
	v_or_b32_e32 v21, 0x1000, v0
	v_cmp_gt_u32_e32 vcc, s16, v21
                                        ; implicit-def: $vgpr8_vgpr9
	s_and_saveexec_b64 s[0:1], vcc
	s_cbranch_execz .LBB2463_11
; %bb.10:
	v_lshlrev_b32_e32 v1, 3, v21
	global_load_dwordx2 v[8:9], v1, s[6:7]
.LBB2463_11:
	s_or_b64 exec, exec, s[0:1]
	v_or_b32_e32 v20, 0x1400, v0
	v_cmp_gt_u32_e32 vcc, s16, v20
                                        ; implicit-def: $vgpr6_vgpr7
	s_and_saveexec_b64 s[0:1], vcc
	s_cbranch_execz .LBB2463_13
; %bb.12:
	v_lshlrev_b32_e32 v1, 3, v20
	global_load_dwordx2 v[6:7], v1, s[6:7]
.LBB2463_13:
	s_or_b64 exec, exec, s[0:1]
	v_or_b32_e32 v19, 0x1800, v0
	v_cmp_gt_u32_e32 vcc, s16, v19
                                        ; implicit-def: $vgpr4_vgpr5
	s_and_saveexec_b64 s[0:1], vcc
	s_cbranch_execz .LBB2463_15
; %bb.14:
	v_lshlrev_b32_e32 v1, 3, v19
	global_load_dwordx2 v[4:5], v1, s[6:7]
.LBB2463_15:
	s_or_b64 exec, exec, s[0:1]
	v_or_b32_e32 v18, 0x1c00, v0
	v_cmp_gt_u32_e32 vcc, s16, v18
                                        ; implicit-def: $vgpr2_vgpr3
	s_and_saveexec_b64 s[0:1], vcc
	s_cbranch_execz .LBB2463_17
; %bb.16:
	v_lshlrev_b32_e32 v1, 3, v18
	global_load_dwordx2 v[2:3], v1, s[6:7]
.LBB2463_17:
	s_or_b64 exec, exec, s[0:1]
	s_cmp_le_u32 s9, s8
	s_cselect_b64 s[4:5], -1, 0
	v_cmp_le_u32_e32 vcc, s16, v0
	s_and_b64 s[0:1], s[4:5], exec
	v_lshlrev_b32_e32 v25, 2, v0
	v_mov_b32_e32 v26, 0
	s_cselect_b32 s17, 8, 10
	s_or_b64 s[0:1], s[4:5], vcc
	v_and_b32_e32 v1, 3, v0
	ds_write2st64_b32 v25, v26, v26 offset1:16
	ds_write2st64_b32 v25, v26, v26 offset0:32 offset1:48
	ds_write2st64_b32 v25, v26, v26 offset0:64 offset1:80
	;; [unrolled: 1-line block ×3, first 2 shown]
	s_waitcnt vmcnt(0)
	v_not_b32_e32 v17, v17
	v_not_b32_e32 v16, v16
	s_xor_b64 s[10:11], s[0:1], -1
	v_mov_b32_e32 v25, s17
	s_waitcnt lgkmcnt(0)
	s_barrier
	s_and_saveexec_b64 s[0:1], s[10:11]
	s_cbranch_execz .LBB2463_19
; %bb.18:
	s_sub_i32 s10, s9, s8
	s_min_u32 s10, s10, 8
	v_lshrrev_b64 v[26:27], s8, v[16:17]
	v_bfe_u32 v25, v26, 0, s10
	v_lshlrev_b32_e32 v26, 2, v1
	v_lshl_or_b32 v25, v25, 4, v26
	v_mov_b32_e32 v26, 1
	ds_add_u32 v25, v26
	v_mov_b32_e32 v25, 0
.LBB2463_19:
	s_or_b64 exec, exec, s[0:1]
	v_cmp_gt_i32_e64 s[0:1], 10, v25
	s_mov_b64 s[12:13], -1
	s_and_saveexec_b64 s[10:11], s[0:1]
; %bb.20:
	v_cmp_eq_u32_e64 s[0:1], 0, v25
	s_orn2_b64 s[12:13], s[0:1], exec
; %bb.21:
	s_or_b64 exec, exec, s[10:11]
	s_and_saveexec_b64 s[10:11], s[12:13]
	s_cbranch_execz .LBB2463_54
; %bb.22:
	s_add_i32 s12, s8, 8
	s_cmp_le_u32 s9, s12
	s_cselect_b64 s[0:1], -1, 0
	s_and_b64 s[14:15], s[0:1], exec
	s_cselect_b32 s13, 8, 10
	s_or_b64 s[0:1], s[0:1], vcc
	s_xor_b64 s[14:15], s[0:1], -1
	v_mov_b32_e32 v25, s13
	s_and_saveexec_b64 s[0:1], s[14:15]
	s_cbranch_execz .LBB2463_24
; %bb.23:
	s_sub_i32 s13, s9, s12
	s_min_u32 s13, s13, 8
	v_lshrrev_b64 v[26:27], s12, v[16:17]
	v_bfe_u32 v25, v26, 0, s13
	v_lshlrev_b32_e32 v26, 2, v1
	v_lshl_or_b32 v25, v25, 4, v26
	v_mov_b32_e32 v26, 1
	ds_add_u32 v25, v26 offset:4096
	v_mov_b32_e32 v25, 0
.LBB2463_24:
	s_or_b64 exec, exec, s[0:1]
	v_cmp_gt_i32_e64 s[0:1], 10, v25
	s_mov_b64 s[12:13], -1
	s_and_saveexec_b64 s[14:15], s[0:1]
; %bb.25:
	v_cmp_eq_u32_e64 s[0:1], 0, v25
	s_orn2_b64 s[12:13], s[0:1], exec
; %bb.26:
	s_or_b64 exec, exec, s[14:15]
	s_and_b64 exec, exec, s[12:13]
	s_cbranch_execz .LBB2463_54
; %bb.27:
	s_add_i32 s12, s8, 16
	s_cmp_le_u32 s9, s12
	s_cselect_b64 s[0:1], -1, 0
	s_and_b64 s[14:15], s[0:1], exec
	s_cselect_b32 s13, 8, 10
	s_or_b64 s[0:1], s[0:1], vcc
	s_xor_b64 s[14:15], s[0:1], -1
	v_mov_b32_e32 v25, s13
	s_and_saveexec_b64 s[0:1], s[14:15]
	s_cbranch_execz .LBB2463_29
; %bb.28:
	s_sub_i32 s13, s9, s12
	s_min_u32 s13, s13, 8
	v_lshrrev_b64 v[26:27], s12, v[16:17]
	v_bfe_u32 v25, v26, 0, s13
	v_lshlrev_b32_e32 v26, 2, v1
	v_lshl_or_b32 v25, v25, 4, v26
	v_mov_b32_e32 v26, 1
	ds_add_u32 v25, v26 offset:8192
	v_mov_b32_e32 v25, 0
.LBB2463_29:
	s_or_b64 exec, exec, s[0:1]
	v_cmp_gt_i32_e64 s[0:1], 10, v25
	s_mov_b64 s[12:13], -1
	s_and_saveexec_b64 s[14:15], s[0:1]
; %bb.30:
	v_cmp_eq_u32_e64 s[0:1], 0, v25
	s_orn2_b64 s[12:13], s[0:1], exec
; %bb.31:
	s_or_b64 exec, exec, s[14:15]
	s_and_b64 exec, exec, s[12:13]
	;; [unrolled: 33-line block ×6, first 2 shown]
	s_cbranch_execz .LBB2463_54
; %bb.52:
	s_add_i32 s0, s8, 56
	s_cmp_gt_u32 s9, s0
	s_cselect_b64 s[12:13], -1, 0
	s_xor_b64 s[14:15], vcc, -1
	s_and_b64 s[12:13], s[12:13], s[14:15]
	s_and_b64 exec, exec, s[12:13]
	s_cbranch_execz .LBB2463_54
; %bb.53:
	s_sub_i32 s1, s9, s0
	s_min_u32 s1, s1, 8
	v_lshrrev_b64 v[16:17], s0, v[16:17]
	v_bfe_u32 v16, v16, 0, s1
	v_lshlrev_b32_e32 v17, 2, v1
	v_lshl_or_b32 v16, v16, 4, v17
	v_mov_b32_e32 v17, 1
	ds_add_u32 v16, v17 offset:28672
.LBB2463_54:
	s_or_b64 exec, exec, s[10:11]
	v_cmp_le_u32_e32 vcc, s16, v24
	s_or_b64 s[0:1], s[4:5], vcc
	v_not_b32_e32 v15, v15
	v_not_b32_e32 v14, v14
	s_xor_b64 s[10:11], s[0:1], -1
	v_mov_b32_e32 v16, s17
	s_and_saveexec_b64 s[0:1], s[10:11]
	s_cbranch_execz .LBB2463_56
; %bb.55:
	s_sub_i32 s10, s9, s8
	s_min_u32 s10, s10, 8
	v_lshrrev_b64 v[16:17], s8, v[14:15]
	v_bfe_u32 v16, v16, 0, s10
	v_lshlrev_b32_e32 v17, 2, v1
	v_lshl_or_b32 v16, v16, 4, v17
	v_mov_b32_e32 v17, 1
	ds_add_u32 v16, v17
	v_mov_b32_e32 v16, 0
.LBB2463_56:
	s_or_b64 exec, exec, s[0:1]
	v_cmp_gt_i32_e64 s[0:1], 10, v16
	s_mov_b64 s[12:13], -1
	s_and_saveexec_b64 s[10:11], s[0:1]
; %bb.57:
	v_cmp_eq_u32_e64 s[0:1], 0, v16
	s_orn2_b64 s[12:13], s[0:1], exec
; %bb.58:
	s_or_b64 exec, exec, s[10:11]
	s_and_saveexec_b64 s[10:11], s[12:13]
	s_cbranch_execz .LBB2463_91
; %bb.59:
	s_add_i32 s12, s8, 8
	s_cmp_le_u32 s9, s12
	s_cselect_b64 s[0:1], -1, 0
	s_and_b64 s[14:15], s[0:1], exec
	s_cselect_b32 s13, 8, 10
	s_or_b64 s[0:1], s[0:1], vcc
	s_xor_b64 s[14:15], s[0:1], -1
	v_mov_b32_e32 v16, s13
	s_and_saveexec_b64 s[0:1], s[14:15]
	s_cbranch_execz .LBB2463_61
; %bb.60:
	s_sub_i32 s13, s9, s12
	s_min_u32 s13, s13, 8
	v_lshrrev_b64 v[16:17], s12, v[14:15]
	v_bfe_u32 v16, v16, 0, s13
	v_lshlrev_b32_e32 v17, 2, v1
	v_lshl_or_b32 v16, v16, 4, v17
	v_mov_b32_e32 v17, 1
	ds_add_u32 v16, v17 offset:4096
	v_mov_b32_e32 v16, 0
.LBB2463_61:
	s_or_b64 exec, exec, s[0:1]
	v_cmp_gt_i32_e64 s[0:1], 10, v16
	s_mov_b64 s[12:13], -1
	s_and_saveexec_b64 s[14:15], s[0:1]
; %bb.62:
	v_cmp_eq_u32_e64 s[0:1], 0, v16
	s_orn2_b64 s[12:13], s[0:1], exec
; %bb.63:
	s_or_b64 exec, exec, s[14:15]
	s_and_b64 exec, exec, s[12:13]
	s_cbranch_execz .LBB2463_91
; %bb.64:
	s_add_i32 s12, s8, 16
	s_cmp_le_u32 s9, s12
	s_cselect_b64 s[0:1], -1, 0
	s_and_b64 s[14:15], s[0:1], exec
	s_cselect_b32 s13, 8, 10
	s_or_b64 s[0:1], s[0:1], vcc
	s_xor_b64 s[14:15], s[0:1], -1
	v_mov_b32_e32 v16, s13
	s_and_saveexec_b64 s[0:1], s[14:15]
	s_cbranch_execz .LBB2463_66
; %bb.65:
	s_sub_i32 s13, s9, s12
	s_min_u32 s13, s13, 8
	v_lshrrev_b64 v[16:17], s12, v[14:15]
	v_bfe_u32 v16, v16, 0, s13
	v_lshlrev_b32_e32 v17, 2, v1
	v_lshl_or_b32 v16, v16, 4, v17
	v_mov_b32_e32 v17, 1
	ds_add_u32 v16, v17 offset:8192
	v_mov_b32_e32 v16, 0
.LBB2463_66:
	s_or_b64 exec, exec, s[0:1]
	v_cmp_gt_i32_e64 s[0:1], 10, v16
	s_mov_b64 s[12:13], -1
	s_and_saveexec_b64 s[14:15], s[0:1]
; %bb.67:
	v_cmp_eq_u32_e64 s[0:1], 0, v16
	s_orn2_b64 s[12:13], s[0:1], exec
; %bb.68:
	s_or_b64 exec, exec, s[14:15]
	s_and_b64 exec, exec, s[12:13]
	;; [unrolled: 33-line block ×6, first 2 shown]
	s_cbranch_execz .LBB2463_91
; %bb.89:
	s_add_i32 s0, s8, 56
	s_cmp_gt_u32 s9, s0
	s_cselect_b64 s[12:13], -1, 0
	s_xor_b64 s[14:15], vcc, -1
	s_and_b64 s[12:13], s[12:13], s[14:15]
	s_and_b64 exec, exec, s[12:13]
	s_cbranch_execz .LBB2463_91
; %bb.90:
	s_sub_i32 s1, s9, s0
	s_min_u32 s1, s1, 8
	v_lshrrev_b64 v[14:15], s0, v[14:15]
	v_bfe_u32 v14, v14, 0, s1
	v_lshlrev_b32_e32 v15, 2, v1
	v_lshl_or_b32 v14, v14, 4, v15
	v_mov_b32_e32 v15, 1
	ds_add_u32 v14, v15 offset:28672
.LBB2463_91:
	s_or_b64 exec, exec, s[10:11]
	v_cmp_le_u32_e32 vcc, s16, v23
	s_or_b64 s[0:1], s[4:5], vcc
	v_not_b32_e32 v13, v13
	v_not_b32_e32 v12, v12
	s_xor_b64 s[10:11], s[0:1], -1
	v_mov_b32_e32 v14, s17
	s_and_saveexec_b64 s[0:1], s[10:11]
	s_cbranch_execz .LBB2463_93
; %bb.92:
	s_sub_i32 s10, s9, s8
	s_min_u32 s10, s10, 8
	v_lshrrev_b64 v[14:15], s8, v[12:13]
	v_bfe_u32 v14, v14, 0, s10
	v_lshlrev_b32_e32 v15, 2, v1
	v_lshl_or_b32 v14, v14, 4, v15
	v_mov_b32_e32 v15, 1
	ds_add_u32 v14, v15
	v_mov_b32_e32 v14, 0
.LBB2463_93:
	s_or_b64 exec, exec, s[0:1]
	v_cmp_gt_i32_e64 s[0:1], 10, v14
	s_mov_b64 s[12:13], -1
	s_and_saveexec_b64 s[10:11], s[0:1]
; %bb.94:
	v_cmp_eq_u32_e64 s[0:1], 0, v14
	s_orn2_b64 s[12:13], s[0:1], exec
; %bb.95:
	s_or_b64 exec, exec, s[10:11]
	s_and_saveexec_b64 s[10:11], s[12:13]
	s_cbranch_execz .LBB2463_128
; %bb.96:
	s_add_i32 s12, s8, 8
	s_cmp_le_u32 s9, s12
	s_cselect_b64 s[0:1], -1, 0
	s_and_b64 s[14:15], s[0:1], exec
	s_cselect_b32 s13, 8, 10
	s_or_b64 s[0:1], s[0:1], vcc
	s_xor_b64 s[14:15], s[0:1], -1
	v_mov_b32_e32 v14, s13
	s_and_saveexec_b64 s[0:1], s[14:15]
	s_cbranch_execz .LBB2463_98
; %bb.97:
	s_sub_i32 s13, s9, s12
	s_min_u32 s13, s13, 8
	v_lshrrev_b64 v[14:15], s12, v[12:13]
	v_bfe_u32 v14, v14, 0, s13
	v_lshlrev_b32_e32 v15, 2, v1
	v_lshl_or_b32 v14, v14, 4, v15
	v_mov_b32_e32 v15, 1
	ds_add_u32 v14, v15 offset:4096
	v_mov_b32_e32 v14, 0
.LBB2463_98:
	s_or_b64 exec, exec, s[0:1]
	v_cmp_gt_i32_e64 s[0:1], 10, v14
	s_mov_b64 s[12:13], -1
	s_and_saveexec_b64 s[14:15], s[0:1]
; %bb.99:
	v_cmp_eq_u32_e64 s[0:1], 0, v14
	s_orn2_b64 s[12:13], s[0:1], exec
; %bb.100:
	s_or_b64 exec, exec, s[14:15]
	s_and_b64 exec, exec, s[12:13]
	s_cbranch_execz .LBB2463_128
; %bb.101:
	s_add_i32 s12, s8, 16
	s_cmp_le_u32 s9, s12
	s_cselect_b64 s[0:1], -1, 0
	s_and_b64 s[14:15], s[0:1], exec
	s_cselect_b32 s13, 8, 10
	s_or_b64 s[0:1], s[0:1], vcc
	s_xor_b64 s[14:15], s[0:1], -1
	v_mov_b32_e32 v14, s13
	s_and_saveexec_b64 s[0:1], s[14:15]
	s_cbranch_execz .LBB2463_103
; %bb.102:
	s_sub_i32 s13, s9, s12
	s_min_u32 s13, s13, 8
	v_lshrrev_b64 v[14:15], s12, v[12:13]
	v_bfe_u32 v14, v14, 0, s13
	v_lshlrev_b32_e32 v15, 2, v1
	v_lshl_or_b32 v14, v14, 4, v15
	v_mov_b32_e32 v15, 1
	ds_add_u32 v14, v15 offset:8192
	v_mov_b32_e32 v14, 0
.LBB2463_103:
	s_or_b64 exec, exec, s[0:1]
	v_cmp_gt_i32_e64 s[0:1], 10, v14
	s_mov_b64 s[12:13], -1
	s_and_saveexec_b64 s[14:15], s[0:1]
; %bb.104:
	v_cmp_eq_u32_e64 s[0:1], 0, v14
	s_orn2_b64 s[12:13], s[0:1], exec
; %bb.105:
	s_or_b64 exec, exec, s[14:15]
	s_and_b64 exec, exec, s[12:13]
	;; [unrolled: 33-line block ×6, first 2 shown]
	s_cbranch_execz .LBB2463_128
; %bb.126:
	s_add_i32 s0, s8, 56
	s_cmp_gt_u32 s9, s0
	s_cselect_b64 s[12:13], -1, 0
	s_xor_b64 s[14:15], vcc, -1
	s_and_b64 s[12:13], s[12:13], s[14:15]
	s_and_b64 exec, exec, s[12:13]
	s_cbranch_execz .LBB2463_128
; %bb.127:
	s_sub_i32 s1, s9, s0
	s_min_u32 s1, s1, 8
	v_lshrrev_b64 v[12:13], s0, v[12:13]
	v_bfe_u32 v12, v12, 0, s1
	v_lshlrev_b32_e32 v13, 2, v1
	v_lshl_or_b32 v12, v12, 4, v13
	v_mov_b32_e32 v13, 1
	ds_add_u32 v12, v13 offset:28672
.LBB2463_128:
	s_or_b64 exec, exec, s[10:11]
	v_cmp_le_u32_e32 vcc, s16, v22
	s_or_b64 s[0:1], s[4:5], vcc
	v_not_b32_e32 v11, v11
	v_not_b32_e32 v10, v10
	s_xor_b64 s[10:11], s[0:1], -1
	v_mov_b32_e32 v12, s17
	s_and_saveexec_b64 s[0:1], s[10:11]
	s_cbranch_execz .LBB2463_130
; %bb.129:
	s_sub_i32 s10, s9, s8
	s_min_u32 s10, s10, 8
	v_lshrrev_b64 v[12:13], s8, v[10:11]
	v_bfe_u32 v12, v12, 0, s10
	v_lshlrev_b32_e32 v13, 2, v1
	v_lshl_or_b32 v12, v12, 4, v13
	v_mov_b32_e32 v13, 1
	ds_add_u32 v12, v13
	v_mov_b32_e32 v12, 0
.LBB2463_130:
	s_or_b64 exec, exec, s[0:1]
	v_cmp_gt_i32_e64 s[0:1], 10, v12
	s_mov_b64 s[12:13], -1
	s_and_saveexec_b64 s[10:11], s[0:1]
; %bb.131:
	v_cmp_eq_u32_e64 s[0:1], 0, v12
	s_orn2_b64 s[12:13], s[0:1], exec
; %bb.132:
	s_or_b64 exec, exec, s[10:11]
	s_and_saveexec_b64 s[10:11], s[12:13]
	s_cbranch_execz .LBB2463_165
; %bb.133:
	s_add_i32 s12, s8, 8
	s_cmp_le_u32 s9, s12
	s_cselect_b64 s[0:1], -1, 0
	s_and_b64 s[14:15], s[0:1], exec
	s_cselect_b32 s13, 8, 10
	s_or_b64 s[0:1], s[0:1], vcc
	s_xor_b64 s[14:15], s[0:1], -1
	v_mov_b32_e32 v12, s13
	s_and_saveexec_b64 s[0:1], s[14:15]
	s_cbranch_execz .LBB2463_135
; %bb.134:
	s_sub_i32 s13, s9, s12
	s_min_u32 s13, s13, 8
	v_lshrrev_b64 v[12:13], s12, v[10:11]
	v_bfe_u32 v12, v12, 0, s13
	v_lshlrev_b32_e32 v13, 2, v1
	v_lshl_or_b32 v12, v12, 4, v13
	v_mov_b32_e32 v13, 1
	ds_add_u32 v12, v13 offset:4096
	v_mov_b32_e32 v12, 0
.LBB2463_135:
	s_or_b64 exec, exec, s[0:1]
	v_cmp_gt_i32_e64 s[0:1], 10, v12
	s_mov_b64 s[12:13], -1
	s_and_saveexec_b64 s[14:15], s[0:1]
; %bb.136:
	v_cmp_eq_u32_e64 s[0:1], 0, v12
	s_orn2_b64 s[12:13], s[0:1], exec
; %bb.137:
	s_or_b64 exec, exec, s[14:15]
	s_and_b64 exec, exec, s[12:13]
	s_cbranch_execz .LBB2463_165
; %bb.138:
	s_add_i32 s12, s8, 16
	s_cmp_le_u32 s9, s12
	s_cselect_b64 s[0:1], -1, 0
	s_and_b64 s[14:15], s[0:1], exec
	s_cselect_b32 s13, 8, 10
	s_or_b64 s[0:1], s[0:1], vcc
	s_xor_b64 s[14:15], s[0:1], -1
	v_mov_b32_e32 v12, s13
	s_and_saveexec_b64 s[0:1], s[14:15]
	s_cbranch_execz .LBB2463_140
; %bb.139:
	s_sub_i32 s13, s9, s12
	s_min_u32 s13, s13, 8
	v_lshrrev_b64 v[12:13], s12, v[10:11]
	v_bfe_u32 v12, v12, 0, s13
	v_lshlrev_b32_e32 v13, 2, v1
	v_lshl_or_b32 v12, v12, 4, v13
	v_mov_b32_e32 v13, 1
	ds_add_u32 v12, v13 offset:8192
	v_mov_b32_e32 v12, 0
.LBB2463_140:
	s_or_b64 exec, exec, s[0:1]
	v_cmp_gt_i32_e64 s[0:1], 10, v12
	s_mov_b64 s[12:13], -1
	s_and_saveexec_b64 s[14:15], s[0:1]
; %bb.141:
	v_cmp_eq_u32_e64 s[0:1], 0, v12
	s_orn2_b64 s[12:13], s[0:1], exec
; %bb.142:
	s_or_b64 exec, exec, s[14:15]
	s_and_b64 exec, exec, s[12:13]
	;; [unrolled: 33-line block ×6, first 2 shown]
	s_cbranch_execz .LBB2463_165
; %bb.163:
	s_add_i32 s0, s8, 56
	s_cmp_gt_u32 s9, s0
	s_cselect_b64 s[12:13], -1, 0
	s_xor_b64 s[14:15], vcc, -1
	s_and_b64 s[12:13], s[12:13], s[14:15]
	s_and_b64 exec, exec, s[12:13]
	s_cbranch_execz .LBB2463_165
; %bb.164:
	s_sub_i32 s1, s9, s0
	s_min_u32 s1, s1, 8
	v_lshrrev_b64 v[10:11], s0, v[10:11]
	v_bfe_u32 v10, v10, 0, s1
	v_lshlrev_b32_e32 v11, 2, v1
	v_lshl_or_b32 v10, v10, 4, v11
	v_mov_b32_e32 v11, 1
	ds_add_u32 v10, v11 offset:28672
.LBB2463_165:
	s_or_b64 exec, exec, s[10:11]
	v_cmp_le_u32_e32 vcc, s16, v21
	s_or_b64 s[0:1], s[4:5], vcc
	v_not_b32_e32 v9, v9
	v_not_b32_e32 v8, v8
	s_xor_b64 s[10:11], s[0:1], -1
	v_mov_b32_e32 v10, s17
	s_and_saveexec_b64 s[0:1], s[10:11]
	s_cbranch_execz .LBB2463_167
; %bb.166:
	s_sub_i32 s10, s9, s8
	s_min_u32 s10, s10, 8
	v_lshrrev_b64 v[10:11], s8, v[8:9]
	v_bfe_u32 v10, v10, 0, s10
	v_lshlrev_b32_e32 v11, 2, v1
	v_lshl_or_b32 v10, v10, 4, v11
	v_mov_b32_e32 v11, 1
	ds_add_u32 v10, v11
	v_mov_b32_e32 v10, 0
.LBB2463_167:
	s_or_b64 exec, exec, s[0:1]
	v_cmp_gt_i32_e64 s[0:1], 10, v10
	s_mov_b64 s[12:13], -1
	s_and_saveexec_b64 s[10:11], s[0:1]
; %bb.168:
	v_cmp_eq_u32_e64 s[0:1], 0, v10
	s_orn2_b64 s[12:13], s[0:1], exec
; %bb.169:
	s_or_b64 exec, exec, s[10:11]
	s_and_saveexec_b64 s[10:11], s[12:13]
	s_cbranch_execz .LBB2463_202
; %bb.170:
	s_add_i32 s12, s8, 8
	s_cmp_le_u32 s9, s12
	s_cselect_b64 s[0:1], -1, 0
	s_and_b64 s[14:15], s[0:1], exec
	s_cselect_b32 s13, 8, 10
	s_or_b64 s[0:1], s[0:1], vcc
	s_xor_b64 s[14:15], s[0:1], -1
	v_mov_b32_e32 v10, s13
	s_and_saveexec_b64 s[0:1], s[14:15]
	s_cbranch_execz .LBB2463_172
; %bb.171:
	s_sub_i32 s13, s9, s12
	s_min_u32 s13, s13, 8
	v_lshrrev_b64 v[10:11], s12, v[8:9]
	v_bfe_u32 v10, v10, 0, s13
	v_lshlrev_b32_e32 v11, 2, v1
	v_lshl_or_b32 v10, v10, 4, v11
	v_mov_b32_e32 v11, 1
	ds_add_u32 v10, v11 offset:4096
	v_mov_b32_e32 v10, 0
.LBB2463_172:
	s_or_b64 exec, exec, s[0:1]
	v_cmp_gt_i32_e64 s[0:1], 10, v10
	s_mov_b64 s[12:13], -1
	s_and_saveexec_b64 s[14:15], s[0:1]
; %bb.173:
	v_cmp_eq_u32_e64 s[0:1], 0, v10
	s_orn2_b64 s[12:13], s[0:1], exec
; %bb.174:
	s_or_b64 exec, exec, s[14:15]
	s_and_b64 exec, exec, s[12:13]
	s_cbranch_execz .LBB2463_202
; %bb.175:
	s_add_i32 s12, s8, 16
	s_cmp_le_u32 s9, s12
	s_cselect_b64 s[0:1], -1, 0
	s_and_b64 s[14:15], s[0:1], exec
	s_cselect_b32 s13, 8, 10
	s_or_b64 s[0:1], s[0:1], vcc
	s_xor_b64 s[14:15], s[0:1], -1
	v_mov_b32_e32 v10, s13
	s_and_saveexec_b64 s[0:1], s[14:15]
	s_cbranch_execz .LBB2463_177
; %bb.176:
	s_sub_i32 s13, s9, s12
	s_min_u32 s13, s13, 8
	v_lshrrev_b64 v[10:11], s12, v[8:9]
	v_bfe_u32 v10, v10, 0, s13
	v_lshlrev_b32_e32 v11, 2, v1
	v_lshl_or_b32 v10, v10, 4, v11
	v_mov_b32_e32 v11, 1
	ds_add_u32 v10, v11 offset:8192
	v_mov_b32_e32 v10, 0
.LBB2463_177:
	s_or_b64 exec, exec, s[0:1]
	v_cmp_gt_i32_e64 s[0:1], 10, v10
	s_mov_b64 s[12:13], -1
	s_and_saveexec_b64 s[14:15], s[0:1]
; %bb.178:
	v_cmp_eq_u32_e64 s[0:1], 0, v10
	s_orn2_b64 s[12:13], s[0:1], exec
; %bb.179:
	s_or_b64 exec, exec, s[14:15]
	s_and_b64 exec, exec, s[12:13]
	;; [unrolled: 33-line block ×6, first 2 shown]
	s_cbranch_execz .LBB2463_202
; %bb.200:
	s_add_i32 s0, s8, 56
	s_cmp_gt_u32 s9, s0
	s_cselect_b64 s[12:13], -1, 0
	s_xor_b64 s[14:15], vcc, -1
	s_and_b64 s[12:13], s[12:13], s[14:15]
	s_and_b64 exec, exec, s[12:13]
	s_cbranch_execz .LBB2463_202
; %bb.201:
	s_sub_i32 s1, s9, s0
	s_min_u32 s1, s1, 8
	v_lshrrev_b64 v[8:9], s0, v[8:9]
	v_bfe_u32 v8, v8, 0, s1
	v_lshlrev_b32_e32 v9, 2, v1
	v_lshl_or_b32 v8, v8, 4, v9
	v_mov_b32_e32 v9, 1
	ds_add_u32 v8, v9 offset:28672
.LBB2463_202:
	s_or_b64 exec, exec, s[10:11]
	v_cmp_le_u32_e32 vcc, s16, v20
	s_or_b64 s[0:1], s[4:5], vcc
	v_not_b32_e32 v7, v7
	v_not_b32_e32 v6, v6
	s_xor_b64 s[10:11], s[0:1], -1
	v_mov_b32_e32 v8, s17
	s_and_saveexec_b64 s[0:1], s[10:11]
	s_cbranch_execz .LBB2463_204
; %bb.203:
	s_sub_i32 s10, s9, s8
	s_min_u32 s10, s10, 8
	v_lshrrev_b64 v[8:9], s8, v[6:7]
	v_bfe_u32 v8, v8, 0, s10
	v_lshlrev_b32_e32 v9, 2, v1
	v_lshl_or_b32 v8, v8, 4, v9
	v_mov_b32_e32 v9, 1
	ds_add_u32 v8, v9
	v_mov_b32_e32 v8, 0
.LBB2463_204:
	s_or_b64 exec, exec, s[0:1]
	v_cmp_gt_i32_e64 s[0:1], 10, v8
	s_mov_b64 s[12:13], -1
	s_and_saveexec_b64 s[10:11], s[0:1]
; %bb.205:
	v_cmp_eq_u32_e64 s[0:1], 0, v8
	s_orn2_b64 s[12:13], s[0:1], exec
; %bb.206:
	s_or_b64 exec, exec, s[10:11]
	s_and_saveexec_b64 s[10:11], s[12:13]
	s_cbranch_execz .LBB2463_239
; %bb.207:
	s_add_i32 s12, s8, 8
	s_cmp_le_u32 s9, s12
	s_cselect_b64 s[0:1], -1, 0
	s_and_b64 s[14:15], s[0:1], exec
	s_cselect_b32 s13, 8, 10
	s_or_b64 s[0:1], s[0:1], vcc
	s_xor_b64 s[14:15], s[0:1], -1
	v_mov_b32_e32 v8, s13
	s_and_saveexec_b64 s[0:1], s[14:15]
	s_cbranch_execz .LBB2463_209
; %bb.208:
	s_sub_i32 s13, s9, s12
	s_min_u32 s13, s13, 8
	v_lshrrev_b64 v[8:9], s12, v[6:7]
	v_bfe_u32 v8, v8, 0, s13
	v_lshlrev_b32_e32 v9, 2, v1
	v_lshl_or_b32 v8, v8, 4, v9
	v_mov_b32_e32 v9, 1
	ds_add_u32 v8, v9 offset:4096
	v_mov_b32_e32 v8, 0
.LBB2463_209:
	s_or_b64 exec, exec, s[0:1]
	v_cmp_gt_i32_e64 s[0:1], 10, v8
	s_mov_b64 s[12:13], -1
	s_and_saveexec_b64 s[14:15], s[0:1]
; %bb.210:
	v_cmp_eq_u32_e64 s[0:1], 0, v8
	s_orn2_b64 s[12:13], s[0:1], exec
; %bb.211:
	s_or_b64 exec, exec, s[14:15]
	s_and_b64 exec, exec, s[12:13]
	s_cbranch_execz .LBB2463_239
; %bb.212:
	s_add_i32 s12, s8, 16
	s_cmp_le_u32 s9, s12
	s_cselect_b64 s[0:1], -1, 0
	s_and_b64 s[14:15], s[0:1], exec
	s_cselect_b32 s13, 8, 10
	s_or_b64 s[0:1], s[0:1], vcc
	s_xor_b64 s[14:15], s[0:1], -1
	v_mov_b32_e32 v8, s13
	s_and_saveexec_b64 s[0:1], s[14:15]
	s_cbranch_execz .LBB2463_214
; %bb.213:
	s_sub_i32 s13, s9, s12
	s_min_u32 s13, s13, 8
	v_lshrrev_b64 v[8:9], s12, v[6:7]
	v_bfe_u32 v8, v8, 0, s13
	v_lshlrev_b32_e32 v9, 2, v1
	v_lshl_or_b32 v8, v8, 4, v9
	v_mov_b32_e32 v9, 1
	ds_add_u32 v8, v9 offset:8192
	v_mov_b32_e32 v8, 0
.LBB2463_214:
	s_or_b64 exec, exec, s[0:1]
	v_cmp_gt_i32_e64 s[0:1], 10, v8
	s_mov_b64 s[12:13], -1
	s_and_saveexec_b64 s[14:15], s[0:1]
; %bb.215:
	v_cmp_eq_u32_e64 s[0:1], 0, v8
	s_orn2_b64 s[12:13], s[0:1], exec
; %bb.216:
	s_or_b64 exec, exec, s[14:15]
	s_and_b64 exec, exec, s[12:13]
	;; [unrolled: 33-line block ×6, first 2 shown]
	s_cbranch_execz .LBB2463_239
; %bb.237:
	s_add_i32 s0, s8, 56
	s_cmp_gt_u32 s9, s0
	s_cselect_b64 s[12:13], -1, 0
	s_xor_b64 s[14:15], vcc, -1
	s_and_b64 s[12:13], s[12:13], s[14:15]
	s_and_b64 exec, exec, s[12:13]
	s_cbranch_execz .LBB2463_239
; %bb.238:
	s_sub_i32 s1, s9, s0
	s_min_u32 s1, s1, 8
	v_lshrrev_b64 v[6:7], s0, v[6:7]
	v_bfe_u32 v6, v6, 0, s1
	v_lshlrev_b32_e32 v7, 2, v1
	v_lshl_or_b32 v6, v6, 4, v7
	v_mov_b32_e32 v7, 1
	ds_add_u32 v6, v7 offset:28672
.LBB2463_239:
	s_or_b64 exec, exec, s[10:11]
	v_cmp_le_u32_e32 vcc, s16, v19
	s_or_b64 s[0:1], s[4:5], vcc
	v_not_b32_e32 v5, v5
	v_not_b32_e32 v4, v4
	s_xor_b64 s[10:11], s[0:1], -1
	v_mov_b32_e32 v6, s17
	s_and_saveexec_b64 s[0:1], s[10:11]
	s_cbranch_execz .LBB2463_241
; %bb.240:
	s_sub_i32 s10, s9, s8
	s_min_u32 s10, s10, 8
	v_lshrrev_b64 v[6:7], s8, v[4:5]
	v_bfe_u32 v6, v6, 0, s10
	v_lshlrev_b32_e32 v7, 2, v1
	v_lshl_or_b32 v6, v6, 4, v7
	v_mov_b32_e32 v7, 1
	ds_add_u32 v6, v7
	v_mov_b32_e32 v6, 0
.LBB2463_241:
	s_or_b64 exec, exec, s[0:1]
	v_cmp_gt_i32_e64 s[0:1], 10, v6
	s_mov_b64 s[12:13], -1
	s_and_saveexec_b64 s[10:11], s[0:1]
; %bb.242:
	v_cmp_eq_u32_e64 s[0:1], 0, v6
	s_orn2_b64 s[12:13], s[0:1], exec
; %bb.243:
	s_or_b64 exec, exec, s[10:11]
	s_and_saveexec_b64 s[10:11], s[12:13]
	s_cbranch_execz .LBB2463_276
; %bb.244:
	s_add_i32 s12, s8, 8
	s_cmp_le_u32 s9, s12
	s_cselect_b64 s[0:1], -1, 0
	s_and_b64 s[14:15], s[0:1], exec
	s_cselect_b32 s13, 8, 10
	s_or_b64 s[0:1], s[0:1], vcc
	s_xor_b64 s[14:15], s[0:1], -1
	v_mov_b32_e32 v6, s13
	s_and_saveexec_b64 s[0:1], s[14:15]
	s_cbranch_execz .LBB2463_246
; %bb.245:
	s_sub_i32 s13, s9, s12
	s_min_u32 s13, s13, 8
	v_lshrrev_b64 v[6:7], s12, v[4:5]
	v_bfe_u32 v6, v6, 0, s13
	v_lshlrev_b32_e32 v7, 2, v1
	v_lshl_or_b32 v6, v6, 4, v7
	v_mov_b32_e32 v7, 1
	ds_add_u32 v6, v7 offset:4096
	v_mov_b32_e32 v6, 0
.LBB2463_246:
	s_or_b64 exec, exec, s[0:1]
	v_cmp_gt_i32_e64 s[0:1], 10, v6
	s_mov_b64 s[12:13], -1
	s_and_saveexec_b64 s[14:15], s[0:1]
; %bb.247:
	v_cmp_eq_u32_e64 s[0:1], 0, v6
	s_orn2_b64 s[12:13], s[0:1], exec
; %bb.248:
	s_or_b64 exec, exec, s[14:15]
	s_and_b64 exec, exec, s[12:13]
	s_cbranch_execz .LBB2463_276
; %bb.249:
	s_add_i32 s12, s8, 16
	s_cmp_le_u32 s9, s12
	s_cselect_b64 s[0:1], -1, 0
	s_and_b64 s[14:15], s[0:1], exec
	s_cselect_b32 s13, 8, 10
	s_or_b64 s[0:1], s[0:1], vcc
	s_xor_b64 s[14:15], s[0:1], -1
	v_mov_b32_e32 v6, s13
	s_and_saveexec_b64 s[0:1], s[14:15]
	s_cbranch_execz .LBB2463_251
; %bb.250:
	s_sub_i32 s13, s9, s12
	s_min_u32 s13, s13, 8
	v_lshrrev_b64 v[6:7], s12, v[4:5]
	v_bfe_u32 v6, v6, 0, s13
	v_lshlrev_b32_e32 v7, 2, v1
	v_lshl_or_b32 v6, v6, 4, v7
	v_mov_b32_e32 v7, 1
	ds_add_u32 v6, v7 offset:8192
	v_mov_b32_e32 v6, 0
.LBB2463_251:
	s_or_b64 exec, exec, s[0:1]
	v_cmp_gt_i32_e64 s[0:1], 10, v6
	s_mov_b64 s[12:13], -1
	s_and_saveexec_b64 s[14:15], s[0:1]
; %bb.252:
	v_cmp_eq_u32_e64 s[0:1], 0, v6
	s_orn2_b64 s[12:13], s[0:1], exec
; %bb.253:
	s_or_b64 exec, exec, s[14:15]
	s_and_b64 exec, exec, s[12:13]
	;; [unrolled: 33-line block ×6, first 2 shown]
	s_cbranch_execz .LBB2463_276
; %bb.274:
	s_add_i32 s0, s8, 56
	s_cmp_gt_u32 s9, s0
	s_cselect_b64 s[12:13], -1, 0
	s_xor_b64 s[14:15], vcc, -1
	s_and_b64 s[12:13], s[12:13], s[14:15]
	s_and_b64 exec, exec, s[12:13]
	s_cbranch_execz .LBB2463_276
; %bb.275:
	s_sub_i32 s1, s9, s0
	s_min_u32 s1, s1, 8
	v_lshrrev_b64 v[4:5], s0, v[4:5]
	v_bfe_u32 v4, v4, 0, s1
	v_lshlrev_b32_e32 v5, 2, v1
	v_lshl_or_b32 v4, v4, 4, v5
	v_mov_b32_e32 v5, 1
	ds_add_u32 v4, v5 offset:28672
.LBB2463_276:
	s_or_b64 exec, exec, s[10:11]
	v_cmp_le_u32_e32 vcc, s16, v18
	s_or_b64 s[0:1], s[4:5], vcc
	v_not_b32_e32 v3, v3
	v_not_b32_e32 v2, v2
	s_xor_b64 s[4:5], s[0:1], -1
	v_mov_b32_e32 v4, s17
	s_and_saveexec_b64 s[0:1], s[4:5]
	s_cbranch_execz .LBB2463_278
; %bb.277:
	s_sub_i32 s4, s9, s8
	s_min_u32 s4, s4, 8
	v_lshrrev_b64 v[4:5], s8, v[2:3]
	v_bfe_u32 v4, v4, 0, s4
	v_lshlrev_b32_e32 v5, 2, v1
	v_lshl_or_b32 v4, v4, 4, v5
	v_mov_b32_e32 v5, 1
	ds_add_u32 v4, v5
	v_mov_b32_e32 v4, 0
.LBB2463_278:
	s_or_b64 exec, exec, s[0:1]
	v_cmp_gt_i32_e64 s[0:1], 10, v4
	s_mov_b64 s[10:11], -1
	s_and_saveexec_b64 s[4:5], s[0:1]
; %bb.279:
	v_cmp_eq_u32_e64 s[0:1], 0, v4
	s_orn2_b64 s[10:11], s[0:1], exec
; %bb.280:
	s_or_b64 exec, exec, s[4:5]
	s_and_saveexec_b64 s[4:5], s[10:11]
	s_cbranch_execz .LBB2463_313
; %bb.281:
	s_add_i32 s10, s8, 8
	s_cmp_le_u32 s9, s10
	s_cselect_b64 s[0:1], -1, 0
	s_and_b64 s[12:13], s[0:1], exec
	s_cselect_b32 s11, 8, 10
	s_or_b64 s[0:1], s[0:1], vcc
	s_xor_b64 s[12:13], s[0:1], -1
	v_mov_b32_e32 v4, s11
	s_and_saveexec_b64 s[0:1], s[12:13]
	s_cbranch_execz .LBB2463_283
; %bb.282:
	s_sub_i32 s11, s9, s10
	s_min_u32 s11, s11, 8
	v_lshrrev_b64 v[4:5], s10, v[2:3]
	v_bfe_u32 v4, v4, 0, s11
	v_lshlrev_b32_e32 v5, 2, v1
	v_lshl_or_b32 v4, v4, 4, v5
	v_mov_b32_e32 v5, 1
	ds_add_u32 v4, v5 offset:4096
	v_mov_b32_e32 v4, 0
.LBB2463_283:
	s_or_b64 exec, exec, s[0:1]
	v_cmp_gt_i32_e64 s[0:1], 10, v4
	s_mov_b64 s[10:11], -1
	s_and_saveexec_b64 s[12:13], s[0:1]
; %bb.284:
	v_cmp_eq_u32_e64 s[0:1], 0, v4
	s_orn2_b64 s[10:11], s[0:1], exec
; %bb.285:
	s_or_b64 exec, exec, s[12:13]
	s_and_b64 exec, exec, s[10:11]
	s_cbranch_execz .LBB2463_313
; %bb.286:
	s_add_i32 s10, s8, 16
	s_cmp_le_u32 s9, s10
	s_cselect_b64 s[0:1], -1, 0
	s_and_b64 s[12:13], s[0:1], exec
	s_cselect_b32 s11, 8, 10
	s_or_b64 s[0:1], s[0:1], vcc
	s_xor_b64 s[12:13], s[0:1], -1
	v_mov_b32_e32 v4, s11
	s_and_saveexec_b64 s[0:1], s[12:13]
	s_cbranch_execz .LBB2463_288
; %bb.287:
	s_sub_i32 s11, s9, s10
	s_min_u32 s11, s11, 8
	v_lshrrev_b64 v[4:5], s10, v[2:3]
	v_bfe_u32 v4, v4, 0, s11
	v_lshlrev_b32_e32 v5, 2, v1
	v_lshl_or_b32 v4, v4, 4, v5
	v_mov_b32_e32 v5, 1
	ds_add_u32 v4, v5 offset:8192
	v_mov_b32_e32 v4, 0
.LBB2463_288:
	s_or_b64 exec, exec, s[0:1]
	v_cmp_gt_i32_e64 s[0:1], 10, v4
	s_mov_b64 s[10:11], -1
	s_and_saveexec_b64 s[12:13], s[0:1]
; %bb.289:
	v_cmp_eq_u32_e64 s[0:1], 0, v4
	s_orn2_b64 s[10:11], s[0:1], exec
; %bb.290:
	s_or_b64 exec, exec, s[12:13]
	s_and_b64 exec, exec, s[10:11]
	;; [unrolled: 33-line block ×6, first 2 shown]
	s_cbranch_execz .LBB2463_313
; %bb.311:
	s_add_i32 s0, s8, 56
	s_cmp_gt_u32 s9, s0
	s_cselect_b64 s[10:11], -1, 0
	s_xor_b64 s[12:13], vcc, -1
	s_and_b64 s[10:11], s[10:11], s[12:13]
	s_and_b64 exec, exec, s[10:11]
	s_cbranch_execz .LBB2463_313
; %bb.312:
	s_sub_i32 s1, s9, s0
	s_min_u32 s1, s1, 8
	v_lshrrev_b64 v[2:3], s0, v[2:3]
	v_bfe_u32 v2, v2, 0, s1
	v_lshlrev_b32_e32 v1, 2, v1
	v_lshl_or_b32 v1, v2, 4, v1
	v_mov_b32_e32 v2, 1
	ds_add_u32 v1, v2 offset:28672
.LBB2463_313:
	s_or_b64 exec, exec, s[4:5]
	s_cmp_gt_u32 s9, s8
	s_waitcnt lgkmcnt(0)
	s_barrier
	s_cbranch_scc0 .LBB2463_318
; %bb.314:
	s_movk_i32 s0, 0x100
	v_cmp_gt_u32_e32 vcc, s0, v0
	v_lshlrev_b32_e32 v1, 4, v0
	v_mov_b32_e32 v3, 0
	v_mov_b32_e32 v2, v0
	s_mov_b32 s10, s8
	s_branch .LBB2463_316
.LBB2463_315:                           ;   in Loop: Header=BB2463_316 Depth=1
	s_or_b64 exec, exec, s[4:5]
	s_add_i32 s10, s10, 8
	v_add_u32_e32 v2, 0x100, v2
	s_cmp_lt_u32 s10, s9
	v_add_u32_e32 v1, 0x1000, v1
	s_cbranch_scc0 .LBB2463_318
.LBB2463_316:                           ; =>This Inner Loop Header: Depth=1
	s_and_saveexec_b64 s[4:5], vcc
	s_cbranch_execz .LBB2463_315
; %bb.317:                              ;   in Loop: Header=BB2463_316 Depth=1
	ds_read2_b32 v[4:5], v1 offset1:1
	ds_read2_b32 v[6:7], v1 offset0:2 offset1:3
	v_lshlrev_b64 v[8:9], 3, v[2:3]
	v_mov_b32_e32 v10, s3
	s_waitcnt lgkmcnt(1)
	v_add_u32_e32 v4, v5, v4
	s_waitcnt lgkmcnt(0)
	v_add3_u32 v4, v4, v6, v7
	v_add_co_u32_e64 v6, s[0:1], s2, v8
	v_addc_co_u32_e64 v7, s[0:1], v10, v9, s[0:1]
	v_mov_b32_e32 v5, v3
	global_atomic_add_x2 v[6:7], v[4:5], off
	s_branch .LBB2463_315
.LBB2463_318:
	s_mov_b64 s[0:1], 0
.LBB2463_319:
	s_and_b64 vcc, exec, s[0:1]
	s_cbranch_vccz .LBB2463_411
; %bb.320:
	v_lshlrev_b32_e32 v24, 3, v0
	v_mov_b32_e32 v1, s7
	v_add_co_u32_e32 v16, vcc, s6, v24
	v_addc_co_u32_e32 v1, vcc, 0, v1, vcc
	v_add_co_u32_e32 v10, vcc, 0x2000, v16
	v_addc_co_u32_e32 v11, vcc, 0, v1, vcc
	;; [unrolled: 2-line block ×7, first 2 shown]
	v_add_co_u32_e32 v26, vcc, 0xe000, v16
	global_load_dwordx2 v[8:9], v24, s[6:7]
	global_load_dwordx2 v[4:5], v[10:11], off
	global_load_dwordx2 v[2:3], v[12:13], off
	;; [unrolled: 1-line block ×3, first 2 shown]
	v_addc_co_u32_e32 v27, vcc, 0, v1, vcc
	global_load_dwordx2 v[16:17], v[18:19], off
	global_load_dwordx2 v[12:13], v[20:21], off
	;; [unrolled: 1-line block ×4, first 2 shown]
	s_cmp_eq_u32 s8, 0
	s_cselect_b64 s[0:1], -1, 0
	s_cmp_eq_u32 s9, 64
	s_cselect_b64 s[4:5], -1, 0
	s_and_b64 s[4:5], s[0:1], s[4:5]
	s_mov_b64 s[0:1], -1
	s_and_b64 vcc, exec, s[4:5]
	v_lshlrev_b32_e32 v25, 2, v0
	s_cbranch_vccnz .LBB2463_408
; %bb.321:
	s_cmp_gt_u32 s9, s8
	s_cselect_b64 s[0:1], -1, 0
	v_mov_b32_e32 v1, 0
	s_and_b64 vcc, exec, s[0:1]
	ds_write2st64_b32 v25, v1, v1 offset1:16
	ds_write2st64_b32 v25, v1, v1 offset0:32 offset1:48
	ds_write2st64_b32 v25, v1, v1 offset0:64 offset1:80
	;; [unrolled: 1-line block ×3, first 2 shown]
	s_waitcnt lgkmcnt(0)
	s_barrier
	s_cbranch_vccz .LBB2463_402
; %bb.322:
	s_sub_i32 s4, s9, s8
	s_min_u32 s4, s4, 8
	s_waitcnt vmcnt(7)
	v_not_b32_e32 v21, v9
	v_not_b32_e32 v20, v8
	s_lshl_b32 s4, -1, s4
	v_and_b32_e32 v1, 3, v0
	s_not_b32 s12, s4
	v_lshrrev_b64 v[22:23], s8, v[20:21]
	v_and_b32_e32 v22, s12, v22
	v_lshlrev_b32_e32 v26, 2, v1
	v_lshl_or_b32 v22, v22, 4, v26
	v_mov_b32_e32 v23, 1
	ds_add_u32 v22, v23
	s_add_i32 s13, s8, 8
	s_cmp_le_u32 s9, s13
	s_waitcnt vmcnt(6)
	v_not_b32_e32 v19, v5
	v_not_b32_e32 v18, v4
	s_cselect_b64 s[4:5], -1, 0
	s_and_b64 vcc, exec, s[4:5]
	v_lshrrev_b64 v[22:23], s8, v[18:19]
	s_cbranch_vccz .LBB2463_324
; %bb.323:
	v_and_b32_e32 v23, s12, v22
	v_lshl_or_b32 v23, v23, 2, v1
	s_mov_b64 s[6:7], -1
	s_cbranch_execz .LBB2463_325
	s_branch .LBB2463_340
.LBB2463_324:
	s_mov_b64 s[6:7], 0
                                        ; implicit-def: $vgpr23
.LBB2463_325:
	s_sub_i32 s10, s9, s13
	s_min_u32 s10, s10, 8
	s_lshl_b32 s10, -1, s10
	s_not_b32 s15, s10
	v_lshrrev_b64 v[28:29], s13, v[20:21]
	v_and_b32_e32 v23, s15, v28
	v_lshl_or_b32 v27, v23, 4, v26
	v_mov_b32_e32 v23, 1
	ds_add_u32 v27, v23 offset:4096
	s_add_i32 s14, s8, 16
	s_cmp_gt_u32 s9, s14
	s_cselect_b64 s[10:11], -1, 0
	s_cmp_le_u32 s9, s14
	s_cbranch_scc1 .LBB2463_332
; %bb.326:
	s_sub_i32 s16, s9, s14
	s_min_u32 s16, s16, 8
	v_lshrrev_b64 v[28:29], s14, v[20:21]
	v_bfe_u32 v27, v28, 0, s16
	v_lshl_or_b32 v27, v27, 4, v26
	ds_add_u32 v27, v23 offset:8192
	s_add_i32 s16, s8, 24
	s_cmp_le_u32 s9, s16
	s_cbranch_scc1 .LBB2463_332
; %bb.327:
	s_sub_i32 s17, s9, s16
	s_min_u32 s17, s17, 8
	v_lshrrev_b64 v[28:29], s16, v[20:21]
	v_bfe_u32 v27, v28, 0, s17
	v_lshl_or_b32 v28, v27, 4, v26
	v_mov_b32_e32 v27, 1
	ds_add_u32 v28, v27 offset:12288
	s_add_i32 s16, s8, 32
	s_cmp_le_u32 s9, s16
	s_cbranch_scc1 .LBB2463_332
; %bb.328:
	s_sub_i32 s17, s9, s16
	s_min_u32 s17, s17, 8
	v_lshrrev_b64 v[28:29], s16, v[20:21]
	v_bfe_u32 v28, v28, 0, s17
	v_lshl_or_b32 v28, v28, 4, v26
	ds_add_u32 v28, v27 offset:16384
	s_add_i32 s16, s8, 40
	s_cmp_le_u32 s9, s16
	s_cbranch_scc1 .LBB2463_332
; %bb.329:
	s_sub_i32 s17, s9, s16
	s_min_u32 s17, s17, 8
	v_lshrrev_b64 v[28:29], s16, v[20:21]
	v_bfe_u32 v27, v28, 0, s17
	v_lshl_or_b32 v28, v27, 4, v26
	v_mov_b32_e32 v27, 1
	ds_add_u32 v28, v27 offset:20480
	s_add_i32 s16, s8, 48
	s_cmp_le_u32 s9, s16
	s_cbranch_scc1 .LBB2463_332
; %bb.330:
	s_sub_i32 s17, s9, s16
	s_min_u32 s17, s17, 8
	v_lshrrev_b64 v[28:29], s16, v[20:21]
	v_bfe_u32 v28, v28, 0, s17
	v_lshl_or_b32 v28, v28, 4, v26
	ds_add_u32 v28, v27 offset:24576
	s_add_i32 s16, s8, 56
	s_cmp_le_u32 s9, s16
	s_cbranch_scc1 .LBB2463_332
; %bb.331:
	s_sub_i32 s17, s9, s16
	s_min_u32 s17, s17, 8
	v_lshrrev_b64 v[20:21], s16, v[20:21]
	v_bfe_u32 v20, v20, 0, s17
	v_lshl_or_b32 v20, v20, 4, v26
	v_mov_b32_e32 v21, 1
	ds_add_u32 v20, v21 offset:28672
.LBB2463_332:
	v_and_b32_e32 v20, s12, v22
	v_lshl_or_b32 v20, v20, 4, v26
	ds_add_u32 v20, v23
	v_lshrrev_b64 v[20:21], s13, v[18:19]
	v_and_b32_e32 v20, s15, v20
	v_lshl_or_b32 v20, v20, 4, v26
	ds_add_u32 v20, v23 offset:4096
	s_andn2_b64 vcc, exec, s[10:11]
	s_cbranch_vccnz .LBB2463_339
; %bb.333:
	s_sub_i32 s10, s9, s14
	s_min_u32 s10, s10, 8
	v_lshrrev_b64 v[20:21], s14, v[18:19]
	v_bfe_u32 v20, v20, 0, s10
	v_lshl_or_b32 v21, v20, 4, v26
	v_mov_b32_e32 v20, 1
	ds_add_u32 v21, v20 offset:8192
	s_add_i32 s10, s8, 24
	s_cmp_gt_u32 s9, s10
	s_cbranch_scc0 .LBB2463_339
; %bb.334:
	s_sub_i32 s11, s9, s10
	s_min_u32 s11, s11, 8
	v_lshrrev_b64 v[22:23], s10, v[18:19]
	v_bfe_u32 v21, v22, 0, s11
	v_lshl_or_b32 v21, v21, 4, v26
	ds_add_u32 v21, v20 offset:12288
	s_add_i32 s10, s8, 32
	s_cmp_gt_u32 s9, s10
	s_cbranch_scc0 .LBB2463_339
; %bb.335:
	s_sub_i32 s11, s9, s10
	s_min_u32 s11, s11, 8
	v_lshrrev_b64 v[20:21], s10, v[18:19]
	v_bfe_u32 v20, v20, 0, s11
	v_lshl_or_b32 v21, v20, 4, v26
	v_mov_b32_e32 v20, 1
	ds_add_u32 v21, v20 offset:16384
	s_add_i32 s10, s8, 40
	s_cmp_gt_u32 s9, s10
	s_cbranch_scc0 .LBB2463_339
; %bb.336:
	s_sub_i32 s11, s9, s10
	s_min_u32 s11, s11, 8
	v_lshrrev_b64 v[22:23], s10, v[18:19]
	v_bfe_u32 v21, v22, 0, s11
	v_lshl_or_b32 v21, v21, 4, v26
	ds_add_u32 v21, v20 offset:20480
	s_add_i32 s10, s8, 48
	s_cmp_gt_u32 s9, s10
	s_cbranch_scc0 .LBB2463_339
; %bb.337:
	s_sub_i32 s11, s9, s10
	s_min_u32 s11, s11, 8
	v_lshrrev_b64 v[20:21], s10, v[18:19]
	v_bfe_u32 v20, v20, 0, s11
	v_lshl_or_b32 v20, v20, 4, v26
	v_mov_b32_e32 v21, 1
	ds_add_u32 v20, v21 offset:24576
	s_add_i32 s10, s8, 56
	s_cmp_gt_u32 s9, s10
	s_cbranch_scc0 .LBB2463_339
; %bb.338:
	s_sub_i32 s6, s9, s10
	s_min_u32 s6, s6, 8
	v_lshrrev_b64 v[18:19], s10, v[18:19]
	v_bfe_u32 v18, v18, 0, s6
	v_lshl_or_b32 v18, v18, 2, v1
	v_add_u32_e32 v23, 0x1c00, v18
	s_mov_b64 s[6:7], -1
	s_branch .LBB2463_340
.LBB2463_339:
                                        ; implicit-def: $vgpr23
.LBB2463_340:
	s_and_b64 vcc, exec, s[6:7]
	s_cbranch_vccz .LBB2463_342
; %bb.341:
	v_lshlrev_b32_e32 v18, 2, v23
	v_mov_b32_e32 v19, 1
	ds_add_u32 v18, v19
.LBB2463_342:
	s_waitcnt vmcnt(5)
	v_not_b32_e32 v21, v3
	v_not_b32_e32 v20, v2
	v_lshrrev_b64 v[22:23], s8, v[20:21]
	v_and_b32_e32 v22, s12, v22
	v_lshl_or_b32 v22, v22, 4, v26
	v_mov_b32_e32 v23, 1
	ds_add_u32 v22, v23
	s_waitcnt vmcnt(4)
	v_not_b32_e32 v19, v7
	v_not_b32_e32 v18, v6
	s_and_b64 vcc, exec, s[4:5]
	v_lshrrev_b64 v[22:23], s8, v[18:19]
	s_cbranch_vccz .LBB2463_344
; %bb.343:
	v_and_b32_e32 v23, s12, v22
	v_lshl_or_b32 v23, v23, 2, v1
	s_mov_b64 s[6:7], -1
	s_cbranch_execz .LBB2463_345
	s_branch .LBB2463_360
.LBB2463_344:
	s_mov_b64 s[6:7], 0
                                        ; implicit-def: $vgpr23
.LBB2463_345:
	s_sub_i32 s10, s9, s13
	s_min_u32 s10, s10, 8
	s_lshl_b32 s10, -1, s10
	s_not_b32 s15, s10
	v_lshrrev_b64 v[28:29], s13, v[20:21]
	v_and_b32_e32 v23, s15, v28
	v_lshl_or_b32 v27, v23, 4, v26
	v_mov_b32_e32 v23, 1
	ds_add_u32 v27, v23 offset:4096
	s_add_i32 s14, s8, 16
	s_cmp_gt_u32 s9, s14
	s_cselect_b64 s[10:11], -1, 0
	s_cmp_le_u32 s9, s14
	s_cbranch_scc1 .LBB2463_352
; %bb.346:
	s_sub_i32 s16, s9, s14
	s_min_u32 s16, s16, 8
	v_lshrrev_b64 v[28:29], s14, v[20:21]
	v_bfe_u32 v27, v28, 0, s16
	v_lshl_or_b32 v27, v27, 4, v26
	ds_add_u32 v27, v23 offset:8192
	s_add_i32 s16, s8, 24
	s_cmp_le_u32 s9, s16
	s_cbranch_scc1 .LBB2463_352
; %bb.347:
	s_sub_i32 s17, s9, s16
	s_min_u32 s17, s17, 8
	v_lshrrev_b64 v[28:29], s16, v[20:21]
	v_bfe_u32 v27, v28, 0, s17
	v_lshl_or_b32 v28, v27, 4, v26
	v_mov_b32_e32 v27, 1
	ds_add_u32 v28, v27 offset:12288
	s_add_i32 s16, s8, 32
	s_cmp_le_u32 s9, s16
	s_cbranch_scc1 .LBB2463_352
; %bb.348:
	s_sub_i32 s17, s9, s16
	s_min_u32 s17, s17, 8
	v_lshrrev_b64 v[28:29], s16, v[20:21]
	v_bfe_u32 v28, v28, 0, s17
	v_lshl_or_b32 v28, v28, 4, v26
	ds_add_u32 v28, v27 offset:16384
	s_add_i32 s16, s8, 40
	s_cmp_le_u32 s9, s16
	s_cbranch_scc1 .LBB2463_352
; %bb.349:
	s_sub_i32 s17, s9, s16
	s_min_u32 s17, s17, 8
	v_lshrrev_b64 v[28:29], s16, v[20:21]
	v_bfe_u32 v27, v28, 0, s17
	v_lshl_or_b32 v28, v27, 4, v26
	v_mov_b32_e32 v27, 1
	ds_add_u32 v28, v27 offset:20480
	s_add_i32 s16, s8, 48
	s_cmp_le_u32 s9, s16
	s_cbranch_scc1 .LBB2463_352
; %bb.350:
	s_sub_i32 s17, s9, s16
	s_min_u32 s17, s17, 8
	v_lshrrev_b64 v[28:29], s16, v[20:21]
	v_bfe_u32 v28, v28, 0, s17
	v_lshl_or_b32 v28, v28, 4, v26
	ds_add_u32 v28, v27 offset:24576
	s_add_i32 s16, s8, 56
	s_cmp_le_u32 s9, s16
	s_cbranch_scc1 .LBB2463_352
; %bb.351:
	s_sub_i32 s17, s9, s16
	s_min_u32 s17, s17, 8
	v_lshrrev_b64 v[20:21], s16, v[20:21]
	v_bfe_u32 v20, v20, 0, s17
	v_lshl_or_b32 v20, v20, 4, v26
	v_mov_b32_e32 v21, 1
	ds_add_u32 v20, v21 offset:28672
.LBB2463_352:
	v_and_b32_e32 v20, s12, v22
	v_lshl_or_b32 v20, v20, 4, v26
	ds_add_u32 v20, v23
	v_lshrrev_b64 v[20:21], s13, v[18:19]
	v_and_b32_e32 v20, s15, v20
	v_lshl_or_b32 v20, v20, 4, v26
	ds_add_u32 v20, v23 offset:4096
	s_andn2_b64 vcc, exec, s[10:11]
	s_cbranch_vccnz .LBB2463_359
; %bb.353:
	s_sub_i32 s10, s9, s14
	s_min_u32 s10, s10, 8
	v_lshrrev_b64 v[20:21], s14, v[18:19]
	v_bfe_u32 v20, v20, 0, s10
	v_lshl_or_b32 v21, v20, 4, v26
	v_mov_b32_e32 v20, 1
	ds_add_u32 v21, v20 offset:8192
	s_add_i32 s10, s8, 24
	s_cmp_gt_u32 s9, s10
	s_cbranch_scc0 .LBB2463_359
; %bb.354:
	s_sub_i32 s11, s9, s10
	s_min_u32 s11, s11, 8
	v_lshrrev_b64 v[22:23], s10, v[18:19]
	v_bfe_u32 v21, v22, 0, s11
	v_lshl_or_b32 v21, v21, 4, v26
	ds_add_u32 v21, v20 offset:12288
	s_add_i32 s10, s8, 32
	s_cmp_gt_u32 s9, s10
	s_cbranch_scc0 .LBB2463_359
; %bb.355:
	s_sub_i32 s11, s9, s10
	s_min_u32 s11, s11, 8
	v_lshrrev_b64 v[20:21], s10, v[18:19]
	v_bfe_u32 v20, v20, 0, s11
	v_lshl_or_b32 v21, v20, 4, v26
	v_mov_b32_e32 v20, 1
	ds_add_u32 v21, v20 offset:16384
	s_add_i32 s10, s8, 40
	s_cmp_gt_u32 s9, s10
	s_cbranch_scc0 .LBB2463_359
; %bb.356:
	s_sub_i32 s11, s9, s10
	s_min_u32 s11, s11, 8
	v_lshrrev_b64 v[22:23], s10, v[18:19]
	v_bfe_u32 v21, v22, 0, s11
	v_lshl_or_b32 v21, v21, 4, v26
	ds_add_u32 v21, v20 offset:20480
	s_add_i32 s10, s8, 48
	s_cmp_gt_u32 s9, s10
	s_cbranch_scc0 .LBB2463_359
; %bb.357:
	s_sub_i32 s11, s9, s10
	s_min_u32 s11, s11, 8
	v_lshrrev_b64 v[20:21], s10, v[18:19]
	v_bfe_u32 v20, v20, 0, s11
	v_lshl_or_b32 v20, v20, 4, v26
	v_mov_b32_e32 v21, 1
	ds_add_u32 v20, v21 offset:24576
	s_add_i32 s10, s8, 56
	s_cmp_gt_u32 s9, s10
	s_cbranch_scc0 .LBB2463_359
; %bb.358:
	s_sub_i32 s6, s9, s10
	s_min_u32 s6, s6, 8
	v_lshrrev_b64 v[18:19], s10, v[18:19]
	v_bfe_u32 v18, v18, 0, s6
	v_lshl_or_b32 v18, v18, 2, v1
	v_add_u32_e32 v23, 0x1c00, v18
	s_mov_b64 s[6:7], -1
	s_branch .LBB2463_360
.LBB2463_359:
                                        ; implicit-def: $vgpr23
.LBB2463_360:
	s_and_b64 vcc, exec, s[6:7]
	s_cbranch_vccz .LBB2463_362
; %bb.361:
	v_lshlrev_b32_e32 v18, 2, v23
	v_mov_b32_e32 v19, 1
	ds_add_u32 v18, v19
.LBB2463_362:
	s_waitcnt vmcnt(3)
	v_not_b32_e32 v21, v17
	v_not_b32_e32 v20, v16
	v_lshrrev_b64 v[22:23], s8, v[20:21]
	v_and_b32_e32 v22, s12, v22
	v_lshl_or_b32 v22, v22, 4, v26
	v_mov_b32_e32 v23, 1
	ds_add_u32 v22, v23
	s_waitcnt vmcnt(2)
	v_not_b32_e32 v19, v13
	v_not_b32_e32 v18, v12
	s_and_b64 vcc, exec, s[4:5]
	v_lshrrev_b64 v[22:23], s8, v[18:19]
	s_cbranch_vccz .LBB2463_364
; %bb.363:
	v_and_b32_e32 v23, s12, v22
	v_lshl_or_b32 v23, v23, 2, v1
	s_mov_b64 s[6:7], -1
	s_cbranch_execz .LBB2463_365
	s_branch .LBB2463_380
.LBB2463_364:
	s_mov_b64 s[6:7], 0
                                        ; implicit-def: $vgpr23
.LBB2463_365:
	s_sub_i32 s10, s9, s13
	s_min_u32 s10, s10, 8
	s_lshl_b32 s10, -1, s10
	s_not_b32 s15, s10
	v_lshrrev_b64 v[28:29], s13, v[20:21]
	v_and_b32_e32 v23, s15, v28
	v_lshl_or_b32 v27, v23, 4, v26
	v_mov_b32_e32 v23, 1
	ds_add_u32 v27, v23 offset:4096
	s_add_i32 s14, s8, 16
	s_cmp_gt_u32 s9, s14
	s_cselect_b64 s[10:11], -1, 0
	s_cmp_le_u32 s9, s14
	s_cbranch_scc1 .LBB2463_372
; %bb.366:
	s_sub_i32 s16, s9, s14
	s_min_u32 s16, s16, 8
	v_lshrrev_b64 v[28:29], s14, v[20:21]
	v_bfe_u32 v27, v28, 0, s16
	v_lshl_or_b32 v27, v27, 4, v26
	ds_add_u32 v27, v23 offset:8192
	s_add_i32 s16, s8, 24
	s_cmp_le_u32 s9, s16
	s_cbranch_scc1 .LBB2463_372
; %bb.367:
	s_sub_i32 s17, s9, s16
	s_min_u32 s17, s17, 8
	v_lshrrev_b64 v[28:29], s16, v[20:21]
	v_bfe_u32 v27, v28, 0, s17
	v_lshl_or_b32 v28, v27, 4, v26
	v_mov_b32_e32 v27, 1
	ds_add_u32 v28, v27 offset:12288
	s_add_i32 s16, s8, 32
	s_cmp_le_u32 s9, s16
	s_cbranch_scc1 .LBB2463_372
; %bb.368:
	s_sub_i32 s17, s9, s16
	s_min_u32 s17, s17, 8
	v_lshrrev_b64 v[28:29], s16, v[20:21]
	v_bfe_u32 v28, v28, 0, s17
	v_lshl_or_b32 v28, v28, 4, v26
	ds_add_u32 v28, v27 offset:16384
	s_add_i32 s16, s8, 40
	s_cmp_le_u32 s9, s16
	s_cbranch_scc1 .LBB2463_372
; %bb.369:
	s_sub_i32 s17, s9, s16
	s_min_u32 s17, s17, 8
	v_lshrrev_b64 v[28:29], s16, v[20:21]
	v_bfe_u32 v27, v28, 0, s17
	v_lshl_or_b32 v28, v27, 4, v26
	v_mov_b32_e32 v27, 1
	ds_add_u32 v28, v27 offset:20480
	s_add_i32 s16, s8, 48
	s_cmp_le_u32 s9, s16
	s_cbranch_scc1 .LBB2463_372
; %bb.370:
	s_sub_i32 s17, s9, s16
	s_min_u32 s17, s17, 8
	v_lshrrev_b64 v[28:29], s16, v[20:21]
	v_bfe_u32 v28, v28, 0, s17
	v_lshl_or_b32 v28, v28, 4, v26
	ds_add_u32 v28, v27 offset:24576
	s_add_i32 s16, s8, 56
	s_cmp_le_u32 s9, s16
	s_cbranch_scc1 .LBB2463_372
; %bb.371:
	s_sub_i32 s17, s9, s16
	s_min_u32 s17, s17, 8
	v_lshrrev_b64 v[20:21], s16, v[20:21]
	v_bfe_u32 v20, v20, 0, s17
	v_lshl_or_b32 v20, v20, 4, v26
	v_mov_b32_e32 v21, 1
	ds_add_u32 v20, v21 offset:28672
.LBB2463_372:
	v_and_b32_e32 v20, s12, v22
	v_lshl_or_b32 v20, v20, 4, v26
	ds_add_u32 v20, v23
	v_lshrrev_b64 v[20:21], s13, v[18:19]
	v_and_b32_e32 v20, s15, v20
	v_lshl_or_b32 v20, v20, 4, v26
	ds_add_u32 v20, v23 offset:4096
	s_andn2_b64 vcc, exec, s[10:11]
	s_cbranch_vccnz .LBB2463_379
; %bb.373:
	s_sub_i32 s10, s9, s14
	s_min_u32 s10, s10, 8
	v_lshrrev_b64 v[20:21], s14, v[18:19]
	v_bfe_u32 v20, v20, 0, s10
	v_lshl_or_b32 v21, v20, 4, v26
	v_mov_b32_e32 v20, 1
	ds_add_u32 v21, v20 offset:8192
	s_add_i32 s10, s8, 24
	s_cmp_gt_u32 s9, s10
	s_cbranch_scc0 .LBB2463_379
; %bb.374:
	s_sub_i32 s11, s9, s10
	s_min_u32 s11, s11, 8
	v_lshrrev_b64 v[22:23], s10, v[18:19]
	v_bfe_u32 v21, v22, 0, s11
	v_lshl_or_b32 v21, v21, 4, v26
	ds_add_u32 v21, v20 offset:12288
	s_add_i32 s10, s8, 32
	s_cmp_gt_u32 s9, s10
	s_cbranch_scc0 .LBB2463_379
; %bb.375:
	s_sub_i32 s11, s9, s10
	s_min_u32 s11, s11, 8
	v_lshrrev_b64 v[20:21], s10, v[18:19]
	v_bfe_u32 v20, v20, 0, s11
	v_lshl_or_b32 v21, v20, 4, v26
	v_mov_b32_e32 v20, 1
	ds_add_u32 v21, v20 offset:16384
	s_add_i32 s10, s8, 40
	s_cmp_gt_u32 s9, s10
	s_cbranch_scc0 .LBB2463_379
; %bb.376:
	s_sub_i32 s11, s9, s10
	s_min_u32 s11, s11, 8
	v_lshrrev_b64 v[22:23], s10, v[18:19]
	v_bfe_u32 v21, v22, 0, s11
	v_lshl_or_b32 v21, v21, 4, v26
	ds_add_u32 v21, v20 offset:20480
	s_add_i32 s10, s8, 48
	s_cmp_gt_u32 s9, s10
	s_cbranch_scc0 .LBB2463_379
; %bb.377:
	s_sub_i32 s11, s9, s10
	s_min_u32 s11, s11, 8
	v_lshrrev_b64 v[20:21], s10, v[18:19]
	v_bfe_u32 v20, v20, 0, s11
	v_lshl_or_b32 v20, v20, 4, v26
	v_mov_b32_e32 v21, 1
	ds_add_u32 v20, v21 offset:24576
	s_add_i32 s10, s8, 56
	s_cmp_gt_u32 s9, s10
	s_cbranch_scc0 .LBB2463_379
; %bb.378:
	s_sub_i32 s6, s9, s10
	s_min_u32 s6, s6, 8
	v_lshrrev_b64 v[18:19], s10, v[18:19]
	v_bfe_u32 v18, v18, 0, s6
	v_lshl_or_b32 v18, v18, 2, v1
	v_add_u32_e32 v23, 0x1c00, v18
	s_mov_b64 s[6:7], -1
	s_branch .LBB2463_380
.LBB2463_379:
                                        ; implicit-def: $vgpr23
.LBB2463_380:
	s_and_b64 vcc, exec, s[6:7]
	s_cbranch_vccz .LBB2463_382
; %bb.381:
	v_lshlrev_b32_e32 v18, 2, v23
	v_mov_b32_e32 v19, 1
	ds_add_u32 v18, v19
.LBB2463_382:
	s_waitcnt vmcnt(1)
	v_not_b32_e32 v21, v11
	v_not_b32_e32 v20, v10
	v_lshrrev_b64 v[22:23], s8, v[20:21]
	v_and_b32_e32 v22, s12, v22
	v_lshl_or_b32 v22, v22, 4, v26
	v_mov_b32_e32 v23, 1
	ds_add_u32 v22, v23
	s_waitcnt vmcnt(0)
	v_not_b32_e32 v19, v15
	v_not_b32_e32 v18, v14
	s_and_b64 vcc, exec, s[4:5]
	v_lshrrev_b64 v[22:23], s8, v[18:19]
	s_cbranch_vccz .LBB2463_384
; %bb.383:
	v_and_b32_e32 v23, s12, v22
	v_lshl_or_b32 v23, v23, 2, v1
	s_mov_b64 s[4:5], -1
	s_cbranch_execz .LBB2463_385
	s_branch .LBB2463_400
.LBB2463_384:
	s_mov_b64 s[4:5], 0
                                        ; implicit-def: $vgpr23
.LBB2463_385:
	s_sub_i32 s6, s9, s13
	s_min_u32 s6, s6, 8
	s_lshl_b32 s6, -1, s6
	s_not_b32 s11, s6
	v_lshrrev_b64 v[28:29], s13, v[20:21]
	v_and_b32_e32 v23, s11, v28
	v_lshl_or_b32 v27, v23, 4, v26
	v_mov_b32_e32 v23, 1
	ds_add_u32 v27, v23 offset:4096
	s_add_i32 s10, s8, 16
	s_cmp_gt_u32 s9, s10
	s_cselect_b64 s[6:7], -1, 0
	s_cmp_le_u32 s9, s10
	s_cbranch_scc1 .LBB2463_392
; %bb.386:
	s_sub_i32 s14, s9, s10
	s_min_u32 s14, s14, 8
	v_lshrrev_b64 v[28:29], s10, v[20:21]
	v_bfe_u32 v27, v28, 0, s14
	v_lshl_or_b32 v27, v27, 4, v26
	ds_add_u32 v27, v23 offset:8192
	s_add_i32 s14, s8, 24
	s_cmp_le_u32 s9, s14
	s_cbranch_scc1 .LBB2463_392
; %bb.387:
	s_sub_i32 s15, s9, s14
	s_min_u32 s15, s15, 8
	v_lshrrev_b64 v[28:29], s14, v[20:21]
	v_bfe_u32 v27, v28, 0, s15
	v_lshl_or_b32 v28, v27, 4, v26
	v_mov_b32_e32 v27, 1
	ds_add_u32 v28, v27 offset:12288
	s_add_i32 s14, s8, 32
	s_cmp_le_u32 s9, s14
	s_cbranch_scc1 .LBB2463_392
; %bb.388:
	s_sub_i32 s15, s9, s14
	s_min_u32 s15, s15, 8
	v_lshrrev_b64 v[28:29], s14, v[20:21]
	v_bfe_u32 v28, v28, 0, s15
	v_lshl_or_b32 v28, v28, 4, v26
	ds_add_u32 v28, v27 offset:16384
	s_add_i32 s14, s8, 40
	s_cmp_le_u32 s9, s14
	s_cbranch_scc1 .LBB2463_392
; %bb.389:
	s_sub_i32 s15, s9, s14
	s_min_u32 s15, s15, 8
	v_lshrrev_b64 v[28:29], s14, v[20:21]
	v_bfe_u32 v27, v28, 0, s15
	v_lshl_or_b32 v28, v27, 4, v26
	v_mov_b32_e32 v27, 1
	ds_add_u32 v28, v27 offset:20480
	s_add_i32 s14, s8, 48
	s_cmp_le_u32 s9, s14
	s_cbranch_scc1 .LBB2463_392
; %bb.390:
	s_sub_i32 s15, s9, s14
	s_min_u32 s15, s15, 8
	v_lshrrev_b64 v[28:29], s14, v[20:21]
	v_bfe_u32 v28, v28, 0, s15
	v_lshl_or_b32 v28, v28, 4, v26
	ds_add_u32 v28, v27 offset:24576
	s_add_i32 s14, s8, 56
	s_cmp_le_u32 s9, s14
	s_cbranch_scc1 .LBB2463_392
; %bb.391:
	s_sub_i32 s15, s9, s14
	s_min_u32 s15, s15, 8
	v_lshrrev_b64 v[20:21], s14, v[20:21]
	v_bfe_u32 v20, v20, 0, s15
	v_lshl_or_b32 v20, v20, 4, v26
	v_mov_b32_e32 v21, 1
	ds_add_u32 v20, v21 offset:28672
.LBB2463_392:
	v_and_b32_e32 v20, s12, v22
	v_lshl_or_b32 v20, v20, 4, v26
	ds_add_u32 v20, v23
	v_lshrrev_b64 v[20:21], s13, v[18:19]
	v_and_b32_e32 v20, s11, v20
	v_lshl_or_b32 v20, v20, 4, v26
	ds_add_u32 v20, v23 offset:4096
	s_andn2_b64 vcc, exec, s[6:7]
	s_cbranch_vccnz .LBB2463_399
; %bb.393:
	s_sub_i32 s6, s9, s10
	s_min_u32 s6, s6, 8
	v_lshrrev_b64 v[20:21], s10, v[18:19]
	v_bfe_u32 v20, v20, 0, s6
	v_lshl_or_b32 v21, v20, 4, v26
	v_mov_b32_e32 v20, 1
	ds_add_u32 v21, v20 offset:8192
	s_add_i32 s6, s8, 24
	s_cmp_gt_u32 s9, s6
	s_cbranch_scc0 .LBB2463_399
; %bb.394:
	s_sub_i32 s7, s9, s6
	s_min_u32 s7, s7, 8
	v_lshrrev_b64 v[22:23], s6, v[18:19]
	v_bfe_u32 v21, v22, 0, s7
	v_lshl_or_b32 v21, v21, 4, v26
	ds_add_u32 v21, v20 offset:12288
	s_add_i32 s6, s8, 32
	s_cmp_gt_u32 s9, s6
	s_cbranch_scc0 .LBB2463_399
; %bb.395:
	s_sub_i32 s7, s9, s6
	s_min_u32 s7, s7, 8
	v_lshrrev_b64 v[20:21], s6, v[18:19]
	v_bfe_u32 v20, v20, 0, s7
	v_lshl_or_b32 v21, v20, 4, v26
	v_mov_b32_e32 v20, 1
	ds_add_u32 v21, v20 offset:16384
	s_add_i32 s6, s8, 40
	s_cmp_gt_u32 s9, s6
	s_cbranch_scc0 .LBB2463_399
; %bb.396:
	s_sub_i32 s7, s9, s6
	s_min_u32 s7, s7, 8
	v_lshrrev_b64 v[22:23], s6, v[18:19]
	v_bfe_u32 v21, v22, 0, s7
	v_lshl_or_b32 v21, v21, 4, v26
	ds_add_u32 v21, v20 offset:20480
	s_add_i32 s6, s8, 48
	s_cmp_gt_u32 s9, s6
	s_cbranch_scc0 .LBB2463_399
; %bb.397:
	s_sub_i32 s7, s9, s6
	s_min_u32 s7, s7, 8
	v_lshrrev_b64 v[20:21], s6, v[18:19]
	v_bfe_u32 v20, v20, 0, s7
	v_lshl_or_b32 v20, v20, 4, v26
	v_mov_b32_e32 v21, 1
	ds_add_u32 v20, v21 offset:24576
	s_add_i32 s6, s8, 56
	s_cmp_gt_u32 s9, s6
	s_cbranch_scc0 .LBB2463_399
; %bb.398:
	s_sub_i32 s4, s9, s6
	s_min_u32 s4, s4, 8
	v_lshrrev_b64 v[18:19], s6, v[18:19]
	v_bfe_u32 v18, v18, 0, s4
	v_lshl_or_b32 v1, v18, 2, v1
	v_add_u32_e32 v23, 0x1c00, v1
	s_mov_b64 s[4:5], -1
	s_branch .LBB2463_400
.LBB2463_399:
                                        ; implicit-def: $vgpr23
.LBB2463_400:
	s_and_b64 vcc, exec, s[4:5]
	s_cbranch_vccz .LBB2463_402
; %bb.401:
	v_lshlrev_b32_e32 v1, 2, v23
	v_mov_b32_e32 v18, 1
	ds_add_u32 v1, v18
.LBB2463_402:
	s_and_b64 vcc, exec, s[0:1]
	s_waitcnt lgkmcnt(0)
	s_barrier
	s_cbranch_vccz .LBB2463_407
; %bb.403:
	s_movk_i32 s0, 0x100
	v_cmp_gt_u32_e32 vcc, s0, v0
	v_lshlrev_b32_e32 v1, 4, v0
	v_mov_b32_e32 v19, 0
	v_mov_b32_e32 v18, v0
	s_branch .LBB2463_405
.LBB2463_404:                           ;   in Loop: Header=BB2463_405 Depth=1
	s_or_b64 exec, exec, s[4:5]
	s_add_i32 s8, s8, 8
	v_add_u32_e32 v18, 0x100, v18
	s_cmp_ge_u32 s8, s9
	v_add_u32_e32 v1, 0x1000, v1
	s_cbranch_scc1 .LBB2463_407
.LBB2463_405:                           ; =>This Inner Loop Header: Depth=1
	s_and_saveexec_b64 s[4:5], vcc
	s_cbranch_execz .LBB2463_404
; %bb.406:                              ;   in Loop: Header=BB2463_405 Depth=1
	ds_read2_b32 v[20:21], v1 offset1:1
	ds_read2_b32 v[22:23], v1 offset0:2 offset1:3
	v_lshlrev_b64 v[26:27], 3, v[18:19]
	v_mov_b32_e32 v28, s3
	s_waitcnt lgkmcnt(1)
	v_add_u32_e32 v20, v21, v20
	s_waitcnt lgkmcnt(0)
	v_add3_u32 v20, v20, v22, v23
	v_add_co_u32_e64 v22, s[0:1], s2, v26
	v_addc_co_u32_e64 v23, s[0:1], v28, v27, s[0:1]
	v_mov_b32_e32 v21, v19
	global_atomic_add_x2 v[22:23], v[20:21], off
	s_branch .LBB2463_404
.LBB2463_407:
	s_mov_b64 s[0:1], 0
.LBB2463_408:
	s_and_b64 vcc, exec, s[0:1]
	s_cbranch_vccz .LBB2463_411
; %bb.409:
	s_waitcnt vmcnt(7)
	v_not_b32_e32 v8, v8
	s_waitcnt vmcnt(5)
	v_not_b32_e32 v18, v2
	;; [unrolled: 2-line block ×3, first 2 shown]
	v_and_b32_e32 v15, 3, v0
	v_lshlrev_b32_e32 v19, 2, v8
	s_movk_i32 s0, 0x3fc
	v_and_or_b32 v19, v19, s0, v15
	v_mov_b32_e32 v1, 0
	v_lshlrev_b32_e32 v19, 2, v19
	v_mov_b32_e32 v20, 1
	ds_write2st64_b32 v25, v1, v1 offset1:16
	ds_write2st64_b32 v25, v1, v1 offset0:32 offset1:48
	ds_write2st64_b32 v25, v1, v1 offset0:64 offset1:80
	;; [unrolled: 1-line block ×3, first 2 shown]
	s_waitcnt lgkmcnt(0)
	s_barrier
	ds_add_u32 v19, v20
	v_bfe_u32 v19, v8, 8, 8
	v_lshl_or_b32 v19, v19, 2, v15
	v_lshlrev_b32_e32 v19, 2, v19
	ds_add_u32 v19, v20 offset:4096
	v_bfe_u32 v19, v8, 16, 8
	v_lshl_or_b32 v19, v19, 2, v15
	v_lshlrev_b32_e32 v19, 2, v19
	v_not_b32_e32 v9, v9
	ds_add_u32 v19, v20 offset:8192
	v_lshrrev_b32_e32 v19, 24, v8
	v_lshl_or_b32 v19, v19, 2, v15
	v_alignbit_b32 v8, v9, v8, 30
	v_lshlrev_b32_e32 v19, 2, v19
	v_and_or_b32 v8, v8, s0, v15
	ds_add_u32 v19, v20 offset:12288
	v_lshlrev_b32_e32 v8, 2, v8
	ds_add_u32 v8, v20 offset:16384
	v_bfe_u32 v8, v9, 8, 8
	v_lshl_or_b32 v8, v8, 2, v15
	v_lshlrev_b32_e32 v8, 2, v8
	ds_add_u32 v8, v20 offset:20480
	v_bfe_u32 v8, v9, 16, 8
	v_lshl_or_b32 v8, v8, 2, v15
	v_lshlrev_b32_e32 v8, 2, v8
	ds_add_u32 v8, v20 offset:24576
	v_lshrrev_b32_e32 v8, 24, v9
	v_lshl_or_b32 v8, v8, 2, v15
	v_not_b32_e32 v4, v4
	v_lshlrev_b32_e32 v8, 2, v8
	ds_add_u32 v8, v20 offset:28672
	v_lshlrev_b32_e32 v8, 2, v4
	v_and_or_b32 v8, v8, s0, v15
	v_lshlrev_b32_e32 v8, 2, v8
	ds_add_u32 v8, v20
	v_bfe_u32 v8, v4, 8, 8
	v_lshl_or_b32 v8, v8, 2, v15
	v_lshlrev_b32_e32 v8, 2, v8
	ds_add_u32 v8, v20 offset:4096
	v_bfe_u32 v8, v4, 16, 8
	v_lshl_or_b32 v8, v8, 2, v15
	v_lshlrev_b32_e32 v8, 2, v8
	v_not_b32_e32 v5, v5
	ds_add_u32 v8, v20 offset:8192
	v_lshrrev_b32_e32 v8, 24, v4
	v_lshl_or_b32 v8, v8, 2, v15
	v_alignbit_b32 v4, v5, v4, 30
	v_lshlrev_b32_e32 v8, 2, v8
	v_and_or_b32 v4, v4, s0, v15
	ds_add_u32 v8, v20 offset:12288
	v_lshlrev_b32_e32 v4, 2, v4
	ds_add_u32 v4, v20 offset:16384
	v_bfe_u32 v4, v5, 8, 8
	v_lshl_or_b32 v4, v4, 2, v15
	v_lshlrev_b32_e32 v4, 2, v4
	ds_add_u32 v4, v20 offset:20480
	v_bfe_u32 v4, v5, 16, 8
	v_lshl_or_b32 v4, v4, 2, v15
	v_lshlrev_b32_e32 v4, 2, v4
	ds_add_u32 v4, v20 offset:24576
	v_lshrrev_b32_e32 v4, 24, v5
	v_lshl_or_b32 v4, v4, 2, v15
	v_lshlrev_b32_e32 v4, 2, v4
	ds_add_u32 v4, v20 offset:28672
	v_lshlrev_b32_e32 v4, 2, v18
	v_and_or_b32 v4, v4, s0, v15
	v_lshlrev_b32_e32 v4, 2, v4
	ds_add_u32 v4, v20
	v_bfe_u32 v4, v18, 8, 8
	v_lshl_or_b32 v4, v4, 2, v15
	v_lshlrev_b32_e32 v4, 2, v4
	ds_add_u32 v4, v20 offset:4096
	v_bfe_u32 v4, v18, 16, 8
	v_lshl_or_b32 v4, v4, 2, v15
	v_lshlrev_b32_e32 v4, 2, v4
	ds_add_u32 v4, v20 offset:8192
	v_lshrrev_b32_e32 v4, 24, v18
	v_lshl_or_b32 v4, v4, 2, v15
	v_not_b32_e32 v3, v3
	v_lshlrev_b32_e32 v4, 2, v4
	ds_add_u32 v4, v20 offset:12288
	v_alignbit_b32 v4, v3, v18, 30
	v_and_or_b32 v4, v4, s0, v15
	v_lshlrev_b32_e32 v4, 2, v4
	ds_add_u32 v4, v20 offset:16384
	v_bfe_u32 v4, v3, 8, 8
	v_lshl_or_b32 v4, v4, 2, v15
	v_lshlrev_b32_e32 v4, 2, v4
	ds_add_u32 v4, v20 offset:20480
	v_bfe_u32 v4, v3, 16, 8
	v_lshl_or_b32 v4, v4, 2, v15
	v_lshrrev_b32_e32 v3, 24, v3
	v_lshlrev_b32_e32 v4, 2, v4
	v_lshl_or_b32 v3, v3, 2, v15
	v_not_b32_e32 v6, v6
	ds_add_u32 v4, v20 offset:24576
	v_lshlrev_b32_e32 v3, 2, v3
	ds_add_u32 v3, v20 offset:28672
	v_lshlrev_b32_e32 v3, 2, v6
	v_and_or_b32 v3, v3, s0, v15
	v_lshlrev_b32_e32 v3, 2, v3
	ds_add_u32 v3, v20
	v_bfe_u32 v3, v6, 8, 8
	v_lshl_or_b32 v3, v3, 2, v15
	v_lshlrev_b32_e32 v3, 2, v3
	ds_add_u32 v3, v20 offset:4096
	v_bfe_u32 v3, v6, 16, 8
	v_lshl_or_b32 v3, v3, 2, v15
	v_lshlrev_b32_e32 v3, 2, v3
	ds_add_u32 v3, v20 offset:8192
	v_lshrrev_b32_e32 v3, 24, v6
	v_lshl_or_b32 v3, v3, 2, v15
	v_not_b32_e32 v7, v7
	v_lshlrev_b32_e32 v3, 2, v3
	ds_add_u32 v3, v20 offset:12288
	v_alignbit_b32 v3, v7, v6, 30
	v_and_or_b32 v3, v3, s0, v15
	v_lshlrev_b32_e32 v3, 2, v3
	ds_add_u32 v3, v20 offset:16384
	v_bfe_u32 v3, v7, 8, 8
	v_lshl_or_b32 v3, v3, 2, v15
	v_lshlrev_b32_e32 v3, 2, v3
	ds_add_u32 v3, v20 offset:20480
	v_bfe_u32 v3, v7, 16, 8
	v_lshl_or_b32 v3, v3, 2, v15
	v_lshlrev_b32_e32 v3, 2, v3
	ds_add_u32 v3, v20 offset:24576
	v_lshrrev_b32_e32 v3, 24, v7
	v_lshl_or_b32 v3, v3, 2, v15
	v_not_b32_e32 v16, v16
	v_lshlrev_b32_e32 v3, 2, v3
	ds_add_u32 v3, v20 offset:28672
	v_lshlrev_b32_e32 v3, 2, v16
	v_and_or_b32 v3, v3, s0, v15
	v_lshlrev_b32_e32 v3, 2, v3
	ds_add_u32 v3, v20
	v_bfe_u32 v3, v16, 8, 8
	v_lshl_or_b32 v3, v3, 2, v15
	v_lshlrev_b32_e32 v3, 2, v3
	ds_add_u32 v3, v20 offset:4096
	v_bfe_u32 v3, v16, 16, 8
	v_lshl_or_b32 v3, v3, 2, v15
	v_lshlrev_b32_e32 v3, 2, v3
	ds_add_u32 v3, v20 offset:8192
	v_lshrrev_b32_e32 v3, 24, v16
	v_lshl_or_b32 v3, v3, 2, v15
	v_not_b32_e32 v17, v17
	v_lshlrev_b32_e32 v3, 2, v3
	ds_add_u32 v3, v20 offset:12288
	v_alignbit_b32 v3, v17, v16, 30
	v_and_or_b32 v3, v3, s0, v15
	v_lshlrev_b32_e32 v3, 2, v3
	ds_add_u32 v3, v20 offset:16384
	v_bfe_u32 v3, v17, 8, 8
	v_lshl_or_b32 v3, v3, 2, v15
	v_lshlrev_b32_e32 v3, 2, v3
	ds_add_u32 v3, v20 offset:20480
	v_bfe_u32 v3, v17, 16, 8
	v_lshl_or_b32 v3, v3, 2, v15
	v_lshlrev_b32_e32 v3, 2, v3
	ds_add_u32 v3, v20 offset:24576
	v_lshrrev_b32_e32 v3, 24, v17
	v_lshl_or_b32 v3, v3, 2, v15
	v_not_b32_e32 v12, v12
	;; [unrolled: 34-line block ×4, first 2 shown]
	v_lshlrev_b32_e32 v3, 2, v3
	ds_add_u32 v3, v20 offset:28672
	v_lshlrev_b32_e32 v3, 2, v14
	v_and_or_b32 v3, v3, s0, v15
	v_lshlrev_b32_e32 v3, 2, v3
	ds_add_u32 v3, v20
	v_bfe_u32 v3, v14, 8, 8
	v_lshl_or_b32 v3, v3, 2, v15
	v_lshlrev_b32_e32 v3, 2, v3
	ds_add_u32 v3, v20 offset:4096
	v_bfe_u32 v3, v14, 16, 8
	v_lshl_or_b32 v3, v3, 2, v15
	v_lshlrev_b32_e32 v3, 2, v3
	ds_add_u32 v3, v20 offset:8192
	v_lshrrev_b32_e32 v3, 24, v14
	v_lshl_or_b32 v3, v3, 2, v15
	v_lshlrev_b32_e32 v3, 2, v3
	ds_add_u32 v3, v20 offset:12288
	v_alignbit_b32 v3, v2, v14, 30
	v_and_or_b32 v3, v3, s0, v15
	v_lshlrev_b32_e32 v3, 2, v3
	ds_add_u32 v3, v20 offset:16384
	v_bfe_u32 v3, v2, 8, 8
	v_lshl_or_b32 v3, v3, 2, v15
	v_lshlrev_b32_e32 v3, 2, v3
	ds_add_u32 v3, v20 offset:20480
	v_bfe_u32 v3, v2, 16, 8
	v_lshl_or_b32 v3, v3, 2, v15
	v_lshrrev_b32_e32 v2, 24, v2
	v_lshlrev_b32_e32 v3, 2, v3
	v_lshl_or_b32 v2, v2, 2, v15
	ds_add_u32 v3, v20 offset:24576
	v_lshlrev_b32_e32 v2, 2, v2
	ds_add_u32 v2, v20 offset:28672
	s_movk_i32 s0, 0x100
	v_cmp_gt_u32_e32 vcc, s0, v0
	s_waitcnt lgkmcnt(0)
	s_barrier
	s_and_saveexec_b64 s[0:1], vcc
	s_cbranch_execz .LBB2463_411
; %bb.410:
	v_lshlrev_b32_e32 v6, 4, v0
	ds_read2_b32 v[2:3], v6 offset1:1
	ds_read2_b32 v[4:5], v6 offset0:2 offset1:3
	v_add_u32_e32 v7, 0x1000, v6
	v_add_u32_e32 v8, 0x1008, v6
	v_add_u32_e32 v9, 0x3008, v6
	s_waitcnt lgkmcnt(1)
	v_add_u32_e32 v0, v3, v2
	s_waitcnt lgkmcnt(0)
	v_add3_u32 v0, v0, v4, v5
	global_atomic_add_x2 v24, v[0:1], s[2:3]
	ds_read2_b32 v[2:3], v7 offset1:1
	ds_read2_b32 v[4:5], v8 offset1:1
	v_add_u32_e32 v7, 0x2000, v6
	v_add_u32_e32 v8, 0x2008, v6
	s_waitcnt lgkmcnt(1)
	v_add_u32_e32 v0, v3, v2
	s_waitcnt lgkmcnt(0)
	v_add3_u32 v0, v0, v4, v5
	global_atomic_add_x2 v24, v[0:1], s[2:3] offset:2048
	ds_read2_b32 v[2:3], v7 offset1:1
	ds_read2_b32 v[4:5], v8 offset1:1
	v_or_b32_e32 v7, 0x1000, v24
	v_add_u32_e32 v8, 0x3000, v6
	s_waitcnt lgkmcnt(1)
	v_add_u32_e32 v0, v3, v2
	s_waitcnt lgkmcnt(0)
	v_add3_u32 v0, v0, v4, v5
	global_atomic_add_x2 v7, v[0:1], s[2:3]
	ds_read2_b32 v[2:3], v8 offset1:1
	ds_read2_b32 v[4:5], v9 offset1:1
	v_or_b32_e32 v7, 0x1800, v24
	v_or_b32_e32 v8, 0x4000, v6
	;; [unrolled: 1-line block ×3, first 2 shown]
	s_waitcnt lgkmcnt(1)
	v_add_u32_e32 v0, v3, v2
	s_waitcnt lgkmcnt(0)
	v_add3_u32 v0, v0, v4, v5
	global_atomic_add_x2 v7, v[0:1], s[2:3]
	ds_read2_b32 v[2:3], v8 offset1:1
	ds_read2_b32 v[4:5], v9 offset1:1
	v_or_b32_e32 v7, 0x2000, v24
	v_add_u32_e32 v8, 0x5000, v6
	v_add_u32_e32 v9, 0x5008, v6
	s_waitcnt lgkmcnt(1)
	v_add_u32_e32 v0, v3, v2
	s_waitcnt lgkmcnt(0)
	v_add3_u32 v0, v0, v4, v5
	global_atomic_add_x2 v7, v[0:1], s[2:3]
	ds_read2_b32 v[2:3], v8 offset1:1
	ds_read2_b32 v[4:5], v9 offset1:1
	v_or_b32_e32 v7, 0x2800, v24
	v_add_u32_e32 v8, 0x6000, v6
	v_add_u32_e32 v9, 0x6008, v6
	;; [unrolled: 10-line block ×3, first 2 shown]
	s_waitcnt lgkmcnt(1)
	v_add_u32_e32 v0, v3, v2
	s_waitcnt lgkmcnt(0)
	v_add3_u32 v0, v0, v4, v5
	global_atomic_add_x2 v7, v[0:1], s[2:3]
	ds_read2_b32 v[2:3], v8 offset1:1
	ds_read2_b32 v[4:5], v6 offset1:1
	s_waitcnt lgkmcnt(1)
	v_add_u32_e32 v0, v3, v2
	s_waitcnt lgkmcnt(0)
	v_add3_u32 v0, v0, v4, v5
	v_or_b32_e32 v2, 0x3800, v24
	global_atomic_add_x2 v2, v[0:1], s[2:3]
.LBB2463_411:
	s_endpgm
	.section	.rodata,"a",@progbits
	.p2align	6, 0x0
	.amdhsa_kernel _ZN7rocprim17ROCPRIM_400000_NS6detail17trampoline_kernelINS0_14default_configENS1_35radix_sort_onesweep_config_selectorIyNS0_10empty_typeEEEZNS1_34radix_sort_onesweep_global_offsetsIS3_Lb1EPyPS5_mNS0_19identity_decomposerEEE10hipError_tT1_T2_PT3_SE_jT4_jjP12ihipStream_tbEUlT_E_NS1_11comp_targetILNS1_3genE4ELNS1_11target_archE910ELNS1_3gpuE8ELNS1_3repE0EEENS1_52radix_sort_onesweep_histogram_config_static_selectorELNS0_4arch9wavefront6targetE1EEEvSC_
		.amdhsa_group_segment_fixed_size 32768
		.amdhsa_private_segment_fixed_size 0
		.amdhsa_kernarg_size 48
		.amdhsa_user_sgpr_count 6
		.amdhsa_user_sgpr_private_segment_buffer 1
		.amdhsa_user_sgpr_dispatch_ptr 0
		.amdhsa_user_sgpr_queue_ptr 0
		.amdhsa_user_sgpr_kernarg_segment_ptr 1
		.amdhsa_user_sgpr_dispatch_id 0
		.amdhsa_user_sgpr_flat_scratch_init 0
		.amdhsa_user_sgpr_kernarg_preload_length 0
		.amdhsa_user_sgpr_kernarg_preload_offset 0
		.amdhsa_user_sgpr_private_segment_size 0
		.amdhsa_uses_dynamic_stack 0
		.amdhsa_system_sgpr_private_segment_wavefront_offset 0
		.amdhsa_system_sgpr_workgroup_id_x 1
		.amdhsa_system_sgpr_workgroup_id_y 0
		.amdhsa_system_sgpr_workgroup_id_z 0
		.amdhsa_system_sgpr_workgroup_info 0
		.amdhsa_system_vgpr_workitem_id 0
		.amdhsa_next_free_vgpr 30
		.amdhsa_next_free_sgpr 18
		.amdhsa_accum_offset 32
		.amdhsa_reserve_vcc 1
		.amdhsa_reserve_flat_scratch 0
		.amdhsa_float_round_mode_32 0
		.amdhsa_float_round_mode_16_64 0
		.amdhsa_float_denorm_mode_32 3
		.amdhsa_float_denorm_mode_16_64 3
		.amdhsa_dx10_clamp 1
		.amdhsa_ieee_mode 1
		.amdhsa_fp16_overflow 0
		.amdhsa_tg_split 0
		.amdhsa_exception_fp_ieee_invalid_op 0
		.amdhsa_exception_fp_denorm_src 0
		.amdhsa_exception_fp_ieee_div_zero 0
		.amdhsa_exception_fp_ieee_overflow 0
		.amdhsa_exception_fp_ieee_underflow 0
		.amdhsa_exception_fp_ieee_inexact 0
		.amdhsa_exception_int_div_zero 0
	.end_amdhsa_kernel
	.section	.text._ZN7rocprim17ROCPRIM_400000_NS6detail17trampoline_kernelINS0_14default_configENS1_35radix_sort_onesweep_config_selectorIyNS0_10empty_typeEEEZNS1_34radix_sort_onesweep_global_offsetsIS3_Lb1EPyPS5_mNS0_19identity_decomposerEEE10hipError_tT1_T2_PT3_SE_jT4_jjP12ihipStream_tbEUlT_E_NS1_11comp_targetILNS1_3genE4ELNS1_11target_archE910ELNS1_3gpuE8ELNS1_3repE0EEENS1_52radix_sort_onesweep_histogram_config_static_selectorELNS0_4arch9wavefront6targetE1EEEvSC_,"axG",@progbits,_ZN7rocprim17ROCPRIM_400000_NS6detail17trampoline_kernelINS0_14default_configENS1_35radix_sort_onesweep_config_selectorIyNS0_10empty_typeEEEZNS1_34radix_sort_onesweep_global_offsetsIS3_Lb1EPyPS5_mNS0_19identity_decomposerEEE10hipError_tT1_T2_PT3_SE_jT4_jjP12ihipStream_tbEUlT_E_NS1_11comp_targetILNS1_3genE4ELNS1_11target_archE910ELNS1_3gpuE8ELNS1_3repE0EEENS1_52radix_sort_onesweep_histogram_config_static_selectorELNS0_4arch9wavefront6targetE1EEEvSC_,comdat
.Lfunc_end2463:
	.size	_ZN7rocprim17ROCPRIM_400000_NS6detail17trampoline_kernelINS0_14default_configENS1_35radix_sort_onesweep_config_selectorIyNS0_10empty_typeEEEZNS1_34radix_sort_onesweep_global_offsetsIS3_Lb1EPyPS5_mNS0_19identity_decomposerEEE10hipError_tT1_T2_PT3_SE_jT4_jjP12ihipStream_tbEUlT_E_NS1_11comp_targetILNS1_3genE4ELNS1_11target_archE910ELNS1_3gpuE8ELNS1_3repE0EEENS1_52radix_sort_onesweep_histogram_config_static_selectorELNS0_4arch9wavefront6targetE1EEEvSC_, .Lfunc_end2463-_ZN7rocprim17ROCPRIM_400000_NS6detail17trampoline_kernelINS0_14default_configENS1_35radix_sort_onesweep_config_selectorIyNS0_10empty_typeEEEZNS1_34radix_sort_onesweep_global_offsetsIS3_Lb1EPyPS5_mNS0_19identity_decomposerEEE10hipError_tT1_T2_PT3_SE_jT4_jjP12ihipStream_tbEUlT_E_NS1_11comp_targetILNS1_3genE4ELNS1_11target_archE910ELNS1_3gpuE8ELNS1_3repE0EEENS1_52radix_sort_onesweep_histogram_config_static_selectorELNS0_4arch9wavefront6targetE1EEEvSC_
                                        ; -- End function
	.section	.AMDGPU.csdata,"",@progbits
; Kernel info:
; codeLenInByte = 15164
; NumSgprs: 22
; NumVgprs: 30
; NumAgprs: 0
; TotalNumVgprs: 30
; ScratchSize: 0
; MemoryBound: 0
; FloatMode: 240
; IeeeMode: 1
; LDSByteSize: 32768 bytes/workgroup (compile time only)
; SGPRBlocks: 2
; VGPRBlocks: 3
; NumSGPRsForWavesPerEU: 22
; NumVGPRsForWavesPerEU: 30
; AccumOffset: 32
; Occupancy: 8
; WaveLimiterHint : 1
; COMPUTE_PGM_RSRC2:SCRATCH_EN: 0
; COMPUTE_PGM_RSRC2:USER_SGPR: 6
; COMPUTE_PGM_RSRC2:TRAP_HANDLER: 0
; COMPUTE_PGM_RSRC2:TGID_X_EN: 1
; COMPUTE_PGM_RSRC2:TGID_Y_EN: 0
; COMPUTE_PGM_RSRC2:TGID_Z_EN: 0
; COMPUTE_PGM_RSRC2:TIDIG_COMP_CNT: 0
; COMPUTE_PGM_RSRC3_GFX90A:ACCUM_OFFSET: 7
; COMPUTE_PGM_RSRC3_GFX90A:TG_SPLIT: 0
	.section	.text._ZN7rocprim17ROCPRIM_400000_NS6detail17trampoline_kernelINS0_14default_configENS1_35radix_sort_onesweep_config_selectorIyNS0_10empty_typeEEEZNS1_34radix_sort_onesweep_global_offsetsIS3_Lb1EPyPS5_mNS0_19identity_decomposerEEE10hipError_tT1_T2_PT3_SE_jT4_jjP12ihipStream_tbEUlT_E_NS1_11comp_targetILNS1_3genE3ELNS1_11target_archE908ELNS1_3gpuE7ELNS1_3repE0EEENS1_52radix_sort_onesweep_histogram_config_static_selectorELNS0_4arch9wavefront6targetE1EEEvSC_,"axG",@progbits,_ZN7rocprim17ROCPRIM_400000_NS6detail17trampoline_kernelINS0_14default_configENS1_35radix_sort_onesweep_config_selectorIyNS0_10empty_typeEEEZNS1_34radix_sort_onesweep_global_offsetsIS3_Lb1EPyPS5_mNS0_19identity_decomposerEEE10hipError_tT1_T2_PT3_SE_jT4_jjP12ihipStream_tbEUlT_E_NS1_11comp_targetILNS1_3genE3ELNS1_11target_archE908ELNS1_3gpuE7ELNS1_3repE0EEENS1_52radix_sort_onesweep_histogram_config_static_selectorELNS0_4arch9wavefront6targetE1EEEvSC_,comdat
	.protected	_ZN7rocprim17ROCPRIM_400000_NS6detail17trampoline_kernelINS0_14default_configENS1_35radix_sort_onesweep_config_selectorIyNS0_10empty_typeEEEZNS1_34radix_sort_onesweep_global_offsetsIS3_Lb1EPyPS5_mNS0_19identity_decomposerEEE10hipError_tT1_T2_PT3_SE_jT4_jjP12ihipStream_tbEUlT_E_NS1_11comp_targetILNS1_3genE3ELNS1_11target_archE908ELNS1_3gpuE7ELNS1_3repE0EEENS1_52radix_sort_onesweep_histogram_config_static_selectorELNS0_4arch9wavefront6targetE1EEEvSC_ ; -- Begin function _ZN7rocprim17ROCPRIM_400000_NS6detail17trampoline_kernelINS0_14default_configENS1_35radix_sort_onesweep_config_selectorIyNS0_10empty_typeEEEZNS1_34radix_sort_onesweep_global_offsetsIS3_Lb1EPyPS5_mNS0_19identity_decomposerEEE10hipError_tT1_T2_PT3_SE_jT4_jjP12ihipStream_tbEUlT_E_NS1_11comp_targetILNS1_3genE3ELNS1_11target_archE908ELNS1_3gpuE7ELNS1_3repE0EEENS1_52radix_sort_onesweep_histogram_config_static_selectorELNS0_4arch9wavefront6targetE1EEEvSC_
	.globl	_ZN7rocprim17ROCPRIM_400000_NS6detail17trampoline_kernelINS0_14default_configENS1_35radix_sort_onesweep_config_selectorIyNS0_10empty_typeEEEZNS1_34radix_sort_onesweep_global_offsetsIS3_Lb1EPyPS5_mNS0_19identity_decomposerEEE10hipError_tT1_T2_PT3_SE_jT4_jjP12ihipStream_tbEUlT_E_NS1_11comp_targetILNS1_3genE3ELNS1_11target_archE908ELNS1_3gpuE7ELNS1_3repE0EEENS1_52radix_sort_onesweep_histogram_config_static_selectorELNS0_4arch9wavefront6targetE1EEEvSC_
	.p2align	8
	.type	_ZN7rocprim17ROCPRIM_400000_NS6detail17trampoline_kernelINS0_14default_configENS1_35radix_sort_onesweep_config_selectorIyNS0_10empty_typeEEEZNS1_34radix_sort_onesweep_global_offsetsIS3_Lb1EPyPS5_mNS0_19identity_decomposerEEE10hipError_tT1_T2_PT3_SE_jT4_jjP12ihipStream_tbEUlT_E_NS1_11comp_targetILNS1_3genE3ELNS1_11target_archE908ELNS1_3gpuE7ELNS1_3repE0EEENS1_52radix_sort_onesweep_histogram_config_static_selectorELNS0_4arch9wavefront6targetE1EEEvSC_,@function
_ZN7rocprim17ROCPRIM_400000_NS6detail17trampoline_kernelINS0_14default_configENS1_35radix_sort_onesweep_config_selectorIyNS0_10empty_typeEEEZNS1_34radix_sort_onesweep_global_offsetsIS3_Lb1EPyPS5_mNS0_19identity_decomposerEEE10hipError_tT1_T2_PT3_SE_jT4_jjP12ihipStream_tbEUlT_E_NS1_11comp_targetILNS1_3genE3ELNS1_11target_archE908ELNS1_3gpuE7ELNS1_3repE0EEENS1_52radix_sort_onesweep_histogram_config_static_selectorELNS0_4arch9wavefront6targetE1EEEvSC_: ; @_ZN7rocprim17ROCPRIM_400000_NS6detail17trampoline_kernelINS0_14default_configENS1_35radix_sort_onesweep_config_selectorIyNS0_10empty_typeEEEZNS1_34radix_sort_onesweep_global_offsetsIS3_Lb1EPyPS5_mNS0_19identity_decomposerEEE10hipError_tT1_T2_PT3_SE_jT4_jjP12ihipStream_tbEUlT_E_NS1_11comp_targetILNS1_3genE3ELNS1_11target_archE908ELNS1_3gpuE7ELNS1_3repE0EEENS1_52radix_sort_onesweep_histogram_config_static_selectorELNS0_4arch9wavefront6targetE1EEEvSC_
; %bb.0:
	.section	.rodata,"a",@progbits
	.p2align	6, 0x0
	.amdhsa_kernel _ZN7rocprim17ROCPRIM_400000_NS6detail17trampoline_kernelINS0_14default_configENS1_35radix_sort_onesweep_config_selectorIyNS0_10empty_typeEEEZNS1_34radix_sort_onesweep_global_offsetsIS3_Lb1EPyPS5_mNS0_19identity_decomposerEEE10hipError_tT1_T2_PT3_SE_jT4_jjP12ihipStream_tbEUlT_E_NS1_11comp_targetILNS1_3genE3ELNS1_11target_archE908ELNS1_3gpuE7ELNS1_3repE0EEENS1_52radix_sort_onesweep_histogram_config_static_selectorELNS0_4arch9wavefront6targetE1EEEvSC_
		.amdhsa_group_segment_fixed_size 0
		.amdhsa_private_segment_fixed_size 0
		.amdhsa_kernarg_size 48
		.amdhsa_user_sgpr_count 6
		.amdhsa_user_sgpr_private_segment_buffer 1
		.amdhsa_user_sgpr_dispatch_ptr 0
		.amdhsa_user_sgpr_queue_ptr 0
		.amdhsa_user_sgpr_kernarg_segment_ptr 1
		.amdhsa_user_sgpr_dispatch_id 0
		.amdhsa_user_sgpr_flat_scratch_init 0
		.amdhsa_user_sgpr_kernarg_preload_length 0
		.amdhsa_user_sgpr_kernarg_preload_offset 0
		.amdhsa_user_sgpr_private_segment_size 0
		.amdhsa_uses_dynamic_stack 0
		.amdhsa_system_sgpr_private_segment_wavefront_offset 0
		.amdhsa_system_sgpr_workgroup_id_x 1
		.amdhsa_system_sgpr_workgroup_id_y 0
		.amdhsa_system_sgpr_workgroup_id_z 0
		.amdhsa_system_sgpr_workgroup_info 0
		.amdhsa_system_vgpr_workitem_id 0
		.amdhsa_next_free_vgpr 1
		.amdhsa_next_free_sgpr 0
		.amdhsa_accum_offset 4
		.amdhsa_reserve_vcc 0
		.amdhsa_reserve_flat_scratch 0
		.amdhsa_float_round_mode_32 0
		.amdhsa_float_round_mode_16_64 0
		.amdhsa_float_denorm_mode_32 3
		.amdhsa_float_denorm_mode_16_64 3
		.amdhsa_dx10_clamp 1
		.amdhsa_ieee_mode 1
		.amdhsa_fp16_overflow 0
		.amdhsa_tg_split 0
		.amdhsa_exception_fp_ieee_invalid_op 0
		.amdhsa_exception_fp_denorm_src 0
		.amdhsa_exception_fp_ieee_div_zero 0
		.amdhsa_exception_fp_ieee_overflow 0
		.amdhsa_exception_fp_ieee_underflow 0
		.amdhsa_exception_fp_ieee_inexact 0
		.amdhsa_exception_int_div_zero 0
	.end_amdhsa_kernel
	.section	.text._ZN7rocprim17ROCPRIM_400000_NS6detail17trampoline_kernelINS0_14default_configENS1_35radix_sort_onesweep_config_selectorIyNS0_10empty_typeEEEZNS1_34radix_sort_onesweep_global_offsetsIS3_Lb1EPyPS5_mNS0_19identity_decomposerEEE10hipError_tT1_T2_PT3_SE_jT4_jjP12ihipStream_tbEUlT_E_NS1_11comp_targetILNS1_3genE3ELNS1_11target_archE908ELNS1_3gpuE7ELNS1_3repE0EEENS1_52radix_sort_onesweep_histogram_config_static_selectorELNS0_4arch9wavefront6targetE1EEEvSC_,"axG",@progbits,_ZN7rocprim17ROCPRIM_400000_NS6detail17trampoline_kernelINS0_14default_configENS1_35radix_sort_onesweep_config_selectorIyNS0_10empty_typeEEEZNS1_34radix_sort_onesweep_global_offsetsIS3_Lb1EPyPS5_mNS0_19identity_decomposerEEE10hipError_tT1_T2_PT3_SE_jT4_jjP12ihipStream_tbEUlT_E_NS1_11comp_targetILNS1_3genE3ELNS1_11target_archE908ELNS1_3gpuE7ELNS1_3repE0EEENS1_52radix_sort_onesweep_histogram_config_static_selectorELNS0_4arch9wavefront6targetE1EEEvSC_,comdat
.Lfunc_end2464:
	.size	_ZN7rocprim17ROCPRIM_400000_NS6detail17trampoline_kernelINS0_14default_configENS1_35radix_sort_onesweep_config_selectorIyNS0_10empty_typeEEEZNS1_34radix_sort_onesweep_global_offsetsIS3_Lb1EPyPS5_mNS0_19identity_decomposerEEE10hipError_tT1_T2_PT3_SE_jT4_jjP12ihipStream_tbEUlT_E_NS1_11comp_targetILNS1_3genE3ELNS1_11target_archE908ELNS1_3gpuE7ELNS1_3repE0EEENS1_52radix_sort_onesweep_histogram_config_static_selectorELNS0_4arch9wavefront6targetE1EEEvSC_, .Lfunc_end2464-_ZN7rocprim17ROCPRIM_400000_NS6detail17trampoline_kernelINS0_14default_configENS1_35radix_sort_onesweep_config_selectorIyNS0_10empty_typeEEEZNS1_34radix_sort_onesweep_global_offsetsIS3_Lb1EPyPS5_mNS0_19identity_decomposerEEE10hipError_tT1_T2_PT3_SE_jT4_jjP12ihipStream_tbEUlT_E_NS1_11comp_targetILNS1_3genE3ELNS1_11target_archE908ELNS1_3gpuE7ELNS1_3repE0EEENS1_52radix_sort_onesweep_histogram_config_static_selectorELNS0_4arch9wavefront6targetE1EEEvSC_
                                        ; -- End function
	.section	.AMDGPU.csdata,"",@progbits
; Kernel info:
; codeLenInByte = 0
; NumSgprs: 4
; NumVgprs: 0
; NumAgprs: 0
; TotalNumVgprs: 0
; ScratchSize: 0
; MemoryBound: 0
; FloatMode: 240
; IeeeMode: 1
; LDSByteSize: 0 bytes/workgroup (compile time only)
; SGPRBlocks: 0
; VGPRBlocks: 0
; NumSGPRsForWavesPerEU: 4
; NumVGPRsForWavesPerEU: 1
; AccumOffset: 4
; Occupancy: 8
; WaveLimiterHint : 0
; COMPUTE_PGM_RSRC2:SCRATCH_EN: 0
; COMPUTE_PGM_RSRC2:USER_SGPR: 6
; COMPUTE_PGM_RSRC2:TRAP_HANDLER: 0
; COMPUTE_PGM_RSRC2:TGID_X_EN: 1
; COMPUTE_PGM_RSRC2:TGID_Y_EN: 0
; COMPUTE_PGM_RSRC2:TGID_Z_EN: 0
; COMPUTE_PGM_RSRC2:TIDIG_COMP_CNT: 0
; COMPUTE_PGM_RSRC3_GFX90A:ACCUM_OFFSET: 0
; COMPUTE_PGM_RSRC3_GFX90A:TG_SPLIT: 0
	.section	.text._ZN7rocprim17ROCPRIM_400000_NS6detail17trampoline_kernelINS0_14default_configENS1_35radix_sort_onesweep_config_selectorIyNS0_10empty_typeEEEZNS1_34radix_sort_onesweep_global_offsetsIS3_Lb1EPyPS5_mNS0_19identity_decomposerEEE10hipError_tT1_T2_PT3_SE_jT4_jjP12ihipStream_tbEUlT_E_NS1_11comp_targetILNS1_3genE10ELNS1_11target_archE1201ELNS1_3gpuE5ELNS1_3repE0EEENS1_52radix_sort_onesweep_histogram_config_static_selectorELNS0_4arch9wavefront6targetE1EEEvSC_,"axG",@progbits,_ZN7rocprim17ROCPRIM_400000_NS6detail17trampoline_kernelINS0_14default_configENS1_35radix_sort_onesweep_config_selectorIyNS0_10empty_typeEEEZNS1_34radix_sort_onesweep_global_offsetsIS3_Lb1EPyPS5_mNS0_19identity_decomposerEEE10hipError_tT1_T2_PT3_SE_jT4_jjP12ihipStream_tbEUlT_E_NS1_11comp_targetILNS1_3genE10ELNS1_11target_archE1201ELNS1_3gpuE5ELNS1_3repE0EEENS1_52radix_sort_onesweep_histogram_config_static_selectorELNS0_4arch9wavefront6targetE1EEEvSC_,comdat
	.protected	_ZN7rocprim17ROCPRIM_400000_NS6detail17trampoline_kernelINS0_14default_configENS1_35radix_sort_onesweep_config_selectorIyNS0_10empty_typeEEEZNS1_34radix_sort_onesweep_global_offsetsIS3_Lb1EPyPS5_mNS0_19identity_decomposerEEE10hipError_tT1_T2_PT3_SE_jT4_jjP12ihipStream_tbEUlT_E_NS1_11comp_targetILNS1_3genE10ELNS1_11target_archE1201ELNS1_3gpuE5ELNS1_3repE0EEENS1_52radix_sort_onesweep_histogram_config_static_selectorELNS0_4arch9wavefront6targetE1EEEvSC_ ; -- Begin function _ZN7rocprim17ROCPRIM_400000_NS6detail17trampoline_kernelINS0_14default_configENS1_35radix_sort_onesweep_config_selectorIyNS0_10empty_typeEEEZNS1_34radix_sort_onesweep_global_offsetsIS3_Lb1EPyPS5_mNS0_19identity_decomposerEEE10hipError_tT1_T2_PT3_SE_jT4_jjP12ihipStream_tbEUlT_E_NS1_11comp_targetILNS1_3genE10ELNS1_11target_archE1201ELNS1_3gpuE5ELNS1_3repE0EEENS1_52radix_sort_onesweep_histogram_config_static_selectorELNS0_4arch9wavefront6targetE1EEEvSC_
	.globl	_ZN7rocprim17ROCPRIM_400000_NS6detail17trampoline_kernelINS0_14default_configENS1_35radix_sort_onesweep_config_selectorIyNS0_10empty_typeEEEZNS1_34radix_sort_onesweep_global_offsetsIS3_Lb1EPyPS5_mNS0_19identity_decomposerEEE10hipError_tT1_T2_PT3_SE_jT4_jjP12ihipStream_tbEUlT_E_NS1_11comp_targetILNS1_3genE10ELNS1_11target_archE1201ELNS1_3gpuE5ELNS1_3repE0EEENS1_52radix_sort_onesweep_histogram_config_static_selectorELNS0_4arch9wavefront6targetE1EEEvSC_
	.p2align	8
	.type	_ZN7rocprim17ROCPRIM_400000_NS6detail17trampoline_kernelINS0_14default_configENS1_35radix_sort_onesweep_config_selectorIyNS0_10empty_typeEEEZNS1_34radix_sort_onesweep_global_offsetsIS3_Lb1EPyPS5_mNS0_19identity_decomposerEEE10hipError_tT1_T2_PT3_SE_jT4_jjP12ihipStream_tbEUlT_E_NS1_11comp_targetILNS1_3genE10ELNS1_11target_archE1201ELNS1_3gpuE5ELNS1_3repE0EEENS1_52radix_sort_onesweep_histogram_config_static_selectorELNS0_4arch9wavefront6targetE1EEEvSC_,@function
_ZN7rocprim17ROCPRIM_400000_NS6detail17trampoline_kernelINS0_14default_configENS1_35radix_sort_onesweep_config_selectorIyNS0_10empty_typeEEEZNS1_34radix_sort_onesweep_global_offsetsIS3_Lb1EPyPS5_mNS0_19identity_decomposerEEE10hipError_tT1_T2_PT3_SE_jT4_jjP12ihipStream_tbEUlT_E_NS1_11comp_targetILNS1_3genE10ELNS1_11target_archE1201ELNS1_3gpuE5ELNS1_3repE0EEENS1_52radix_sort_onesweep_histogram_config_static_selectorELNS0_4arch9wavefront6targetE1EEEvSC_: ; @_ZN7rocprim17ROCPRIM_400000_NS6detail17trampoline_kernelINS0_14default_configENS1_35radix_sort_onesweep_config_selectorIyNS0_10empty_typeEEEZNS1_34radix_sort_onesweep_global_offsetsIS3_Lb1EPyPS5_mNS0_19identity_decomposerEEE10hipError_tT1_T2_PT3_SE_jT4_jjP12ihipStream_tbEUlT_E_NS1_11comp_targetILNS1_3genE10ELNS1_11target_archE1201ELNS1_3gpuE5ELNS1_3repE0EEENS1_52radix_sort_onesweep_histogram_config_static_selectorELNS0_4arch9wavefront6targetE1EEEvSC_
; %bb.0:
	.section	.rodata,"a",@progbits
	.p2align	6, 0x0
	.amdhsa_kernel _ZN7rocprim17ROCPRIM_400000_NS6detail17trampoline_kernelINS0_14default_configENS1_35radix_sort_onesweep_config_selectorIyNS0_10empty_typeEEEZNS1_34radix_sort_onesweep_global_offsetsIS3_Lb1EPyPS5_mNS0_19identity_decomposerEEE10hipError_tT1_T2_PT3_SE_jT4_jjP12ihipStream_tbEUlT_E_NS1_11comp_targetILNS1_3genE10ELNS1_11target_archE1201ELNS1_3gpuE5ELNS1_3repE0EEENS1_52radix_sort_onesweep_histogram_config_static_selectorELNS0_4arch9wavefront6targetE1EEEvSC_
		.amdhsa_group_segment_fixed_size 0
		.amdhsa_private_segment_fixed_size 0
		.amdhsa_kernarg_size 48
		.amdhsa_user_sgpr_count 6
		.amdhsa_user_sgpr_private_segment_buffer 1
		.amdhsa_user_sgpr_dispatch_ptr 0
		.amdhsa_user_sgpr_queue_ptr 0
		.amdhsa_user_sgpr_kernarg_segment_ptr 1
		.amdhsa_user_sgpr_dispatch_id 0
		.amdhsa_user_sgpr_flat_scratch_init 0
		.amdhsa_user_sgpr_kernarg_preload_length 0
		.amdhsa_user_sgpr_kernarg_preload_offset 0
		.amdhsa_user_sgpr_private_segment_size 0
		.amdhsa_uses_dynamic_stack 0
		.amdhsa_system_sgpr_private_segment_wavefront_offset 0
		.amdhsa_system_sgpr_workgroup_id_x 1
		.amdhsa_system_sgpr_workgroup_id_y 0
		.amdhsa_system_sgpr_workgroup_id_z 0
		.amdhsa_system_sgpr_workgroup_info 0
		.amdhsa_system_vgpr_workitem_id 0
		.amdhsa_next_free_vgpr 1
		.amdhsa_next_free_sgpr 0
		.amdhsa_accum_offset 4
		.amdhsa_reserve_vcc 0
		.amdhsa_reserve_flat_scratch 0
		.amdhsa_float_round_mode_32 0
		.amdhsa_float_round_mode_16_64 0
		.amdhsa_float_denorm_mode_32 3
		.amdhsa_float_denorm_mode_16_64 3
		.amdhsa_dx10_clamp 1
		.amdhsa_ieee_mode 1
		.amdhsa_fp16_overflow 0
		.amdhsa_tg_split 0
		.amdhsa_exception_fp_ieee_invalid_op 0
		.amdhsa_exception_fp_denorm_src 0
		.amdhsa_exception_fp_ieee_div_zero 0
		.amdhsa_exception_fp_ieee_overflow 0
		.amdhsa_exception_fp_ieee_underflow 0
		.amdhsa_exception_fp_ieee_inexact 0
		.amdhsa_exception_int_div_zero 0
	.end_amdhsa_kernel
	.section	.text._ZN7rocprim17ROCPRIM_400000_NS6detail17trampoline_kernelINS0_14default_configENS1_35radix_sort_onesweep_config_selectorIyNS0_10empty_typeEEEZNS1_34radix_sort_onesweep_global_offsetsIS3_Lb1EPyPS5_mNS0_19identity_decomposerEEE10hipError_tT1_T2_PT3_SE_jT4_jjP12ihipStream_tbEUlT_E_NS1_11comp_targetILNS1_3genE10ELNS1_11target_archE1201ELNS1_3gpuE5ELNS1_3repE0EEENS1_52radix_sort_onesweep_histogram_config_static_selectorELNS0_4arch9wavefront6targetE1EEEvSC_,"axG",@progbits,_ZN7rocprim17ROCPRIM_400000_NS6detail17trampoline_kernelINS0_14default_configENS1_35radix_sort_onesweep_config_selectorIyNS0_10empty_typeEEEZNS1_34radix_sort_onesweep_global_offsetsIS3_Lb1EPyPS5_mNS0_19identity_decomposerEEE10hipError_tT1_T2_PT3_SE_jT4_jjP12ihipStream_tbEUlT_E_NS1_11comp_targetILNS1_3genE10ELNS1_11target_archE1201ELNS1_3gpuE5ELNS1_3repE0EEENS1_52radix_sort_onesweep_histogram_config_static_selectorELNS0_4arch9wavefront6targetE1EEEvSC_,comdat
.Lfunc_end2465:
	.size	_ZN7rocprim17ROCPRIM_400000_NS6detail17trampoline_kernelINS0_14default_configENS1_35radix_sort_onesweep_config_selectorIyNS0_10empty_typeEEEZNS1_34radix_sort_onesweep_global_offsetsIS3_Lb1EPyPS5_mNS0_19identity_decomposerEEE10hipError_tT1_T2_PT3_SE_jT4_jjP12ihipStream_tbEUlT_E_NS1_11comp_targetILNS1_3genE10ELNS1_11target_archE1201ELNS1_3gpuE5ELNS1_3repE0EEENS1_52radix_sort_onesweep_histogram_config_static_selectorELNS0_4arch9wavefront6targetE1EEEvSC_, .Lfunc_end2465-_ZN7rocprim17ROCPRIM_400000_NS6detail17trampoline_kernelINS0_14default_configENS1_35radix_sort_onesweep_config_selectorIyNS0_10empty_typeEEEZNS1_34radix_sort_onesweep_global_offsetsIS3_Lb1EPyPS5_mNS0_19identity_decomposerEEE10hipError_tT1_T2_PT3_SE_jT4_jjP12ihipStream_tbEUlT_E_NS1_11comp_targetILNS1_3genE10ELNS1_11target_archE1201ELNS1_3gpuE5ELNS1_3repE0EEENS1_52radix_sort_onesweep_histogram_config_static_selectorELNS0_4arch9wavefront6targetE1EEEvSC_
                                        ; -- End function
	.section	.AMDGPU.csdata,"",@progbits
; Kernel info:
; codeLenInByte = 0
; NumSgprs: 4
; NumVgprs: 0
; NumAgprs: 0
; TotalNumVgprs: 0
; ScratchSize: 0
; MemoryBound: 0
; FloatMode: 240
; IeeeMode: 1
; LDSByteSize: 0 bytes/workgroup (compile time only)
; SGPRBlocks: 0
; VGPRBlocks: 0
; NumSGPRsForWavesPerEU: 4
; NumVGPRsForWavesPerEU: 1
; AccumOffset: 4
; Occupancy: 8
; WaveLimiterHint : 0
; COMPUTE_PGM_RSRC2:SCRATCH_EN: 0
; COMPUTE_PGM_RSRC2:USER_SGPR: 6
; COMPUTE_PGM_RSRC2:TRAP_HANDLER: 0
; COMPUTE_PGM_RSRC2:TGID_X_EN: 1
; COMPUTE_PGM_RSRC2:TGID_Y_EN: 0
; COMPUTE_PGM_RSRC2:TGID_Z_EN: 0
; COMPUTE_PGM_RSRC2:TIDIG_COMP_CNT: 0
; COMPUTE_PGM_RSRC3_GFX90A:ACCUM_OFFSET: 0
; COMPUTE_PGM_RSRC3_GFX90A:TG_SPLIT: 0
	.section	.text._ZN7rocprim17ROCPRIM_400000_NS6detail17trampoline_kernelINS0_14default_configENS1_35radix_sort_onesweep_config_selectorIyNS0_10empty_typeEEEZNS1_34radix_sort_onesweep_global_offsetsIS3_Lb1EPyPS5_mNS0_19identity_decomposerEEE10hipError_tT1_T2_PT3_SE_jT4_jjP12ihipStream_tbEUlT_E_NS1_11comp_targetILNS1_3genE9ELNS1_11target_archE1100ELNS1_3gpuE3ELNS1_3repE0EEENS1_52radix_sort_onesweep_histogram_config_static_selectorELNS0_4arch9wavefront6targetE1EEEvSC_,"axG",@progbits,_ZN7rocprim17ROCPRIM_400000_NS6detail17trampoline_kernelINS0_14default_configENS1_35radix_sort_onesweep_config_selectorIyNS0_10empty_typeEEEZNS1_34radix_sort_onesweep_global_offsetsIS3_Lb1EPyPS5_mNS0_19identity_decomposerEEE10hipError_tT1_T2_PT3_SE_jT4_jjP12ihipStream_tbEUlT_E_NS1_11comp_targetILNS1_3genE9ELNS1_11target_archE1100ELNS1_3gpuE3ELNS1_3repE0EEENS1_52radix_sort_onesweep_histogram_config_static_selectorELNS0_4arch9wavefront6targetE1EEEvSC_,comdat
	.protected	_ZN7rocprim17ROCPRIM_400000_NS6detail17trampoline_kernelINS0_14default_configENS1_35radix_sort_onesweep_config_selectorIyNS0_10empty_typeEEEZNS1_34radix_sort_onesweep_global_offsetsIS3_Lb1EPyPS5_mNS0_19identity_decomposerEEE10hipError_tT1_T2_PT3_SE_jT4_jjP12ihipStream_tbEUlT_E_NS1_11comp_targetILNS1_3genE9ELNS1_11target_archE1100ELNS1_3gpuE3ELNS1_3repE0EEENS1_52radix_sort_onesweep_histogram_config_static_selectorELNS0_4arch9wavefront6targetE1EEEvSC_ ; -- Begin function _ZN7rocprim17ROCPRIM_400000_NS6detail17trampoline_kernelINS0_14default_configENS1_35radix_sort_onesweep_config_selectorIyNS0_10empty_typeEEEZNS1_34radix_sort_onesweep_global_offsetsIS3_Lb1EPyPS5_mNS0_19identity_decomposerEEE10hipError_tT1_T2_PT3_SE_jT4_jjP12ihipStream_tbEUlT_E_NS1_11comp_targetILNS1_3genE9ELNS1_11target_archE1100ELNS1_3gpuE3ELNS1_3repE0EEENS1_52radix_sort_onesweep_histogram_config_static_selectorELNS0_4arch9wavefront6targetE1EEEvSC_
	.globl	_ZN7rocprim17ROCPRIM_400000_NS6detail17trampoline_kernelINS0_14default_configENS1_35radix_sort_onesweep_config_selectorIyNS0_10empty_typeEEEZNS1_34radix_sort_onesweep_global_offsetsIS3_Lb1EPyPS5_mNS0_19identity_decomposerEEE10hipError_tT1_T2_PT3_SE_jT4_jjP12ihipStream_tbEUlT_E_NS1_11comp_targetILNS1_3genE9ELNS1_11target_archE1100ELNS1_3gpuE3ELNS1_3repE0EEENS1_52radix_sort_onesweep_histogram_config_static_selectorELNS0_4arch9wavefront6targetE1EEEvSC_
	.p2align	8
	.type	_ZN7rocprim17ROCPRIM_400000_NS6detail17trampoline_kernelINS0_14default_configENS1_35radix_sort_onesweep_config_selectorIyNS0_10empty_typeEEEZNS1_34radix_sort_onesweep_global_offsetsIS3_Lb1EPyPS5_mNS0_19identity_decomposerEEE10hipError_tT1_T2_PT3_SE_jT4_jjP12ihipStream_tbEUlT_E_NS1_11comp_targetILNS1_3genE9ELNS1_11target_archE1100ELNS1_3gpuE3ELNS1_3repE0EEENS1_52radix_sort_onesweep_histogram_config_static_selectorELNS0_4arch9wavefront6targetE1EEEvSC_,@function
_ZN7rocprim17ROCPRIM_400000_NS6detail17trampoline_kernelINS0_14default_configENS1_35radix_sort_onesweep_config_selectorIyNS0_10empty_typeEEEZNS1_34radix_sort_onesweep_global_offsetsIS3_Lb1EPyPS5_mNS0_19identity_decomposerEEE10hipError_tT1_T2_PT3_SE_jT4_jjP12ihipStream_tbEUlT_E_NS1_11comp_targetILNS1_3genE9ELNS1_11target_archE1100ELNS1_3gpuE3ELNS1_3repE0EEENS1_52radix_sort_onesweep_histogram_config_static_selectorELNS0_4arch9wavefront6targetE1EEEvSC_: ; @_ZN7rocprim17ROCPRIM_400000_NS6detail17trampoline_kernelINS0_14default_configENS1_35radix_sort_onesweep_config_selectorIyNS0_10empty_typeEEEZNS1_34radix_sort_onesweep_global_offsetsIS3_Lb1EPyPS5_mNS0_19identity_decomposerEEE10hipError_tT1_T2_PT3_SE_jT4_jjP12ihipStream_tbEUlT_E_NS1_11comp_targetILNS1_3genE9ELNS1_11target_archE1100ELNS1_3gpuE3ELNS1_3repE0EEENS1_52radix_sort_onesweep_histogram_config_static_selectorELNS0_4arch9wavefront6targetE1EEEvSC_
; %bb.0:
	.section	.rodata,"a",@progbits
	.p2align	6, 0x0
	.amdhsa_kernel _ZN7rocprim17ROCPRIM_400000_NS6detail17trampoline_kernelINS0_14default_configENS1_35radix_sort_onesweep_config_selectorIyNS0_10empty_typeEEEZNS1_34radix_sort_onesweep_global_offsetsIS3_Lb1EPyPS5_mNS0_19identity_decomposerEEE10hipError_tT1_T2_PT3_SE_jT4_jjP12ihipStream_tbEUlT_E_NS1_11comp_targetILNS1_3genE9ELNS1_11target_archE1100ELNS1_3gpuE3ELNS1_3repE0EEENS1_52radix_sort_onesweep_histogram_config_static_selectorELNS0_4arch9wavefront6targetE1EEEvSC_
		.amdhsa_group_segment_fixed_size 0
		.amdhsa_private_segment_fixed_size 0
		.amdhsa_kernarg_size 48
		.amdhsa_user_sgpr_count 6
		.amdhsa_user_sgpr_private_segment_buffer 1
		.amdhsa_user_sgpr_dispatch_ptr 0
		.amdhsa_user_sgpr_queue_ptr 0
		.amdhsa_user_sgpr_kernarg_segment_ptr 1
		.amdhsa_user_sgpr_dispatch_id 0
		.amdhsa_user_sgpr_flat_scratch_init 0
		.amdhsa_user_sgpr_kernarg_preload_length 0
		.amdhsa_user_sgpr_kernarg_preload_offset 0
		.amdhsa_user_sgpr_private_segment_size 0
		.amdhsa_uses_dynamic_stack 0
		.amdhsa_system_sgpr_private_segment_wavefront_offset 0
		.amdhsa_system_sgpr_workgroup_id_x 1
		.amdhsa_system_sgpr_workgroup_id_y 0
		.amdhsa_system_sgpr_workgroup_id_z 0
		.amdhsa_system_sgpr_workgroup_info 0
		.amdhsa_system_vgpr_workitem_id 0
		.amdhsa_next_free_vgpr 1
		.amdhsa_next_free_sgpr 0
		.amdhsa_accum_offset 4
		.amdhsa_reserve_vcc 0
		.amdhsa_reserve_flat_scratch 0
		.amdhsa_float_round_mode_32 0
		.amdhsa_float_round_mode_16_64 0
		.amdhsa_float_denorm_mode_32 3
		.amdhsa_float_denorm_mode_16_64 3
		.amdhsa_dx10_clamp 1
		.amdhsa_ieee_mode 1
		.amdhsa_fp16_overflow 0
		.amdhsa_tg_split 0
		.amdhsa_exception_fp_ieee_invalid_op 0
		.amdhsa_exception_fp_denorm_src 0
		.amdhsa_exception_fp_ieee_div_zero 0
		.amdhsa_exception_fp_ieee_overflow 0
		.amdhsa_exception_fp_ieee_underflow 0
		.amdhsa_exception_fp_ieee_inexact 0
		.amdhsa_exception_int_div_zero 0
	.end_amdhsa_kernel
	.section	.text._ZN7rocprim17ROCPRIM_400000_NS6detail17trampoline_kernelINS0_14default_configENS1_35radix_sort_onesweep_config_selectorIyNS0_10empty_typeEEEZNS1_34radix_sort_onesweep_global_offsetsIS3_Lb1EPyPS5_mNS0_19identity_decomposerEEE10hipError_tT1_T2_PT3_SE_jT4_jjP12ihipStream_tbEUlT_E_NS1_11comp_targetILNS1_3genE9ELNS1_11target_archE1100ELNS1_3gpuE3ELNS1_3repE0EEENS1_52radix_sort_onesweep_histogram_config_static_selectorELNS0_4arch9wavefront6targetE1EEEvSC_,"axG",@progbits,_ZN7rocprim17ROCPRIM_400000_NS6detail17trampoline_kernelINS0_14default_configENS1_35radix_sort_onesweep_config_selectorIyNS0_10empty_typeEEEZNS1_34radix_sort_onesweep_global_offsetsIS3_Lb1EPyPS5_mNS0_19identity_decomposerEEE10hipError_tT1_T2_PT3_SE_jT4_jjP12ihipStream_tbEUlT_E_NS1_11comp_targetILNS1_3genE9ELNS1_11target_archE1100ELNS1_3gpuE3ELNS1_3repE0EEENS1_52radix_sort_onesweep_histogram_config_static_selectorELNS0_4arch9wavefront6targetE1EEEvSC_,comdat
.Lfunc_end2466:
	.size	_ZN7rocprim17ROCPRIM_400000_NS6detail17trampoline_kernelINS0_14default_configENS1_35radix_sort_onesweep_config_selectorIyNS0_10empty_typeEEEZNS1_34radix_sort_onesweep_global_offsetsIS3_Lb1EPyPS5_mNS0_19identity_decomposerEEE10hipError_tT1_T2_PT3_SE_jT4_jjP12ihipStream_tbEUlT_E_NS1_11comp_targetILNS1_3genE9ELNS1_11target_archE1100ELNS1_3gpuE3ELNS1_3repE0EEENS1_52radix_sort_onesweep_histogram_config_static_selectorELNS0_4arch9wavefront6targetE1EEEvSC_, .Lfunc_end2466-_ZN7rocprim17ROCPRIM_400000_NS6detail17trampoline_kernelINS0_14default_configENS1_35radix_sort_onesweep_config_selectorIyNS0_10empty_typeEEEZNS1_34radix_sort_onesweep_global_offsetsIS3_Lb1EPyPS5_mNS0_19identity_decomposerEEE10hipError_tT1_T2_PT3_SE_jT4_jjP12ihipStream_tbEUlT_E_NS1_11comp_targetILNS1_3genE9ELNS1_11target_archE1100ELNS1_3gpuE3ELNS1_3repE0EEENS1_52radix_sort_onesweep_histogram_config_static_selectorELNS0_4arch9wavefront6targetE1EEEvSC_
                                        ; -- End function
	.section	.AMDGPU.csdata,"",@progbits
; Kernel info:
; codeLenInByte = 0
; NumSgprs: 4
; NumVgprs: 0
; NumAgprs: 0
; TotalNumVgprs: 0
; ScratchSize: 0
; MemoryBound: 0
; FloatMode: 240
; IeeeMode: 1
; LDSByteSize: 0 bytes/workgroup (compile time only)
; SGPRBlocks: 0
; VGPRBlocks: 0
; NumSGPRsForWavesPerEU: 4
; NumVGPRsForWavesPerEU: 1
; AccumOffset: 4
; Occupancy: 8
; WaveLimiterHint : 0
; COMPUTE_PGM_RSRC2:SCRATCH_EN: 0
; COMPUTE_PGM_RSRC2:USER_SGPR: 6
; COMPUTE_PGM_RSRC2:TRAP_HANDLER: 0
; COMPUTE_PGM_RSRC2:TGID_X_EN: 1
; COMPUTE_PGM_RSRC2:TGID_Y_EN: 0
; COMPUTE_PGM_RSRC2:TGID_Z_EN: 0
; COMPUTE_PGM_RSRC2:TIDIG_COMP_CNT: 0
; COMPUTE_PGM_RSRC3_GFX90A:ACCUM_OFFSET: 0
; COMPUTE_PGM_RSRC3_GFX90A:TG_SPLIT: 0
	.section	.text._ZN7rocprim17ROCPRIM_400000_NS6detail17trampoline_kernelINS0_14default_configENS1_35radix_sort_onesweep_config_selectorIyNS0_10empty_typeEEEZNS1_34radix_sort_onesweep_global_offsetsIS3_Lb1EPyPS5_mNS0_19identity_decomposerEEE10hipError_tT1_T2_PT3_SE_jT4_jjP12ihipStream_tbEUlT_E_NS1_11comp_targetILNS1_3genE8ELNS1_11target_archE1030ELNS1_3gpuE2ELNS1_3repE0EEENS1_52radix_sort_onesweep_histogram_config_static_selectorELNS0_4arch9wavefront6targetE1EEEvSC_,"axG",@progbits,_ZN7rocprim17ROCPRIM_400000_NS6detail17trampoline_kernelINS0_14default_configENS1_35radix_sort_onesweep_config_selectorIyNS0_10empty_typeEEEZNS1_34radix_sort_onesweep_global_offsetsIS3_Lb1EPyPS5_mNS0_19identity_decomposerEEE10hipError_tT1_T2_PT3_SE_jT4_jjP12ihipStream_tbEUlT_E_NS1_11comp_targetILNS1_3genE8ELNS1_11target_archE1030ELNS1_3gpuE2ELNS1_3repE0EEENS1_52radix_sort_onesweep_histogram_config_static_selectorELNS0_4arch9wavefront6targetE1EEEvSC_,comdat
	.protected	_ZN7rocprim17ROCPRIM_400000_NS6detail17trampoline_kernelINS0_14default_configENS1_35radix_sort_onesweep_config_selectorIyNS0_10empty_typeEEEZNS1_34radix_sort_onesweep_global_offsetsIS3_Lb1EPyPS5_mNS0_19identity_decomposerEEE10hipError_tT1_T2_PT3_SE_jT4_jjP12ihipStream_tbEUlT_E_NS1_11comp_targetILNS1_3genE8ELNS1_11target_archE1030ELNS1_3gpuE2ELNS1_3repE0EEENS1_52radix_sort_onesweep_histogram_config_static_selectorELNS0_4arch9wavefront6targetE1EEEvSC_ ; -- Begin function _ZN7rocprim17ROCPRIM_400000_NS6detail17trampoline_kernelINS0_14default_configENS1_35radix_sort_onesweep_config_selectorIyNS0_10empty_typeEEEZNS1_34radix_sort_onesweep_global_offsetsIS3_Lb1EPyPS5_mNS0_19identity_decomposerEEE10hipError_tT1_T2_PT3_SE_jT4_jjP12ihipStream_tbEUlT_E_NS1_11comp_targetILNS1_3genE8ELNS1_11target_archE1030ELNS1_3gpuE2ELNS1_3repE0EEENS1_52radix_sort_onesweep_histogram_config_static_selectorELNS0_4arch9wavefront6targetE1EEEvSC_
	.globl	_ZN7rocprim17ROCPRIM_400000_NS6detail17trampoline_kernelINS0_14default_configENS1_35radix_sort_onesweep_config_selectorIyNS0_10empty_typeEEEZNS1_34radix_sort_onesweep_global_offsetsIS3_Lb1EPyPS5_mNS0_19identity_decomposerEEE10hipError_tT1_T2_PT3_SE_jT4_jjP12ihipStream_tbEUlT_E_NS1_11comp_targetILNS1_3genE8ELNS1_11target_archE1030ELNS1_3gpuE2ELNS1_3repE0EEENS1_52radix_sort_onesweep_histogram_config_static_selectorELNS0_4arch9wavefront6targetE1EEEvSC_
	.p2align	8
	.type	_ZN7rocprim17ROCPRIM_400000_NS6detail17trampoline_kernelINS0_14default_configENS1_35radix_sort_onesweep_config_selectorIyNS0_10empty_typeEEEZNS1_34radix_sort_onesweep_global_offsetsIS3_Lb1EPyPS5_mNS0_19identity_decomposerEEE10hipError_tT1_T2_PT3_SE_jT4_jjP12ihipStream_tbEUlT_E_NS1_11comp_targetILNS1_3genE8ELNS1_11target_archE1030ELNS1_3gpuE2ELNS1_3repE0EEENS1_52radix_sort_onesweep_histogram_config_static_selectorELNS0_4arch9wavefront6targetE1EEEvSC_,@function
_ZN7rocprim17ROCPRIM_400000_NS6detail17trampoline_kernelINS0_14default_configENS1_35radix_sort_onesweep_config_selectorIyNS0_10empty_typeEEEZNS1_34radix_sort_onesweep_global_offsetsIS3_Lb1EPyPS5_mNS0_19identity_decomposerEEE10hipError_tT1_T2_PT3_SE_jT4_jjP12ihipStream_tbEUlT_E_NS1_11comp_targetILNS1_3genE8ELNS1_11target_archE1030ELNS1_3gpuE2ELNS1_3repE0EEENS1_52radix_sort_onesweep_histogram_config_static_selectorELNS0_4arch9wavefront6targetE1EEEvSC_: ; @_ZN7rocprim17ROCPRIM_400000_NS6detail17trampoline_kernelINS0_14default_configENS1_35radix_sort_onesweep_config_selectorIyNS0_10empty_typeEEEZNS1_34radix_sort_onesweep_global_offsetsIS3_Lb1EPyPS5_mNS0_19identity_decomposerEEE10hipError_tT1_T2_PT3_SE_jT4_jjP12ihipStream_tbEUlT_E_NS1_11comp_targetILNS1_3genE8ELNS1_11target_archE1030ELNS1_3gpuE2ELNS1_3repE0EEENS1_52radix_sort_onesweep_histogram_config_static_selectorELNS0_4arch9wavefront6targetE1EEEvSC_
; %bb.0:
	.section	.rodata,"a",@progbits
	.p2align	6, 0x0
	.amdhsa_kernel _ZN7rocprim17ROCPRIM_400000_NS6detail17trampoline_kernelINS0_14default_configENS1_35radix_sort_onesweep_config_selectorIyNS0_10empty_typeEEEZNS1_34radix_sort_onesweep_global_offsetsIS3_Lb1EPyPS5_mNS0_19identity_decomposerEEE10hipError_tT1_T2_PT3_SE_jT4_jjP12ihipStream_tbEUlT_E_NS1_11comp_targetILNS1_3genE8ELNS1_11target_archE1030ELNS1_3gpuE2ELNS1_3repE0EEENS1_52radix_sort_onesweep_histogram_config_static_selectorELNS0_4arch9wavefront6targetE1EEEvSC_
		.amdhsa_group_segment_fixed_size 0
		.amdhsa_private_segment_fixed_size 0
		.amdhsa_kernarg_size 48
		.amdhsa_user_sgpr_count 6
		.amdhsa_user_sgpr_private_segment_buffer 1
		.amdhsa_user_sgpr_dispatch_ptr 0
		.amdhsa_user_sgpr_queue_ptr 0
		.amdhsa_user_sgpr_kernarg_segment_ptr 1
		.amdhsa_user_sgpr_dispatch_id 0
		.amdhsa_user_sgpr_flat_scratch_init 0
		.amdhsa_user_sgpr_kernarg_preload_length 0
		.amdhsa_user_sgpr_kernarg_preload_offset 0
		.amdhsa_user_sgpr_private_segment_size 0
		.amdhsa_uses_dynamic_stack 0
		.amdhsa_system_sgpr_private_segment_wavefront_offset 0
		.amdhsa_system_sgpr_workgroup_id_x 1
		.amdhsa_system_sgpr_workgroup_id_y 0
		.amdhsa_system_sgpr_workgroup_id_z 0
		.amdhsa_system_sgpr_workgroup_info 0
		.amdhsa_system_vgpr_workitem_id 0
		.amdhsa_next_free_vgpr 1
		.amdhsa_next_free_sgpr 0
		.amdhsa_accum_offset 4
		.amdhsa_reserve_vcc 0
		.amdhsa_reserve_flat_scratch 0
		.amdhsa_float_round_mode_32 0
		.amdhsa_float_round_mode_16_64 0
		.amdhsa_float_denorm_mode_32 3
		.amdhsa_float_denorm_mode_16_64 3
		.amdhsa_dx10_clamp 1
		.amdhsa_ieee_mode 1
		.amdhsa_fp16_overflow 0
		.amdhsa_tg_split 0
		.amdhsa_exception_fp_ieee_invalid_op 0
		.amdhsa_exception_fp_denorm_src 0
		.amdhsa_exception_fp_ieee_div_zero 0
		.amdhsa_exception_fp_ieee_overflow 0
		.amdhsa_exception_fp_ieee_underflow 0
		.amdhsa_exception_fp_ieee_inexact 0
		.amdhsa_exception_int_div_zero 0
	.end_amdhsa_kernel
	.section	.text._ZN7rocprim17ROCPRIM_400000_NS6detail17trampoline_kernelINS0_14default_configENS1_35radix_sort_onesweep_config_selectorIyNS0_10empty_typeEEEZNS1_34radix_sort_onesweep_global_offsetsIS3_Lb1EPyPS5_mNS0_19identity_decomposerEEE10hipError_tT1_T2_PT3_SE_jT4_jjP12ihipStream_tbEUlT_E_NS1_11comp_targetILNS1_3genE8ELNS1_11target_archE1030ELNS1_3gpuE2ELNS1_3repE0EEENS1_52radix_sort_onesweep_histogram_config_static_selectorELNS0_4arch9wavefront6targetE1EEEvSC_,"axG",@progbits,_ZN7rocprim17ROCPRIM_400000_NS6detail17trampoline_kernelINS0_14default_configENS1_35radix_sort_onesweep_config_selectorIyNS0_10empty_typeEEEZNS1_34radix_sort_onesweep_global_offsetsIS3_Lb1EPyPS5_mNS0_19identity_decomposerEEE10hipError_tT1_T2_PT3_SE_jT4_jjP12ihipStream_tbEUlT_E_NS1_11comp_targetILNS1_3genE8ELNS1_11target_archE1030ELNS1_3gpuE2ELNS1_3repE0EEENS1_52radix_sort_onesweep_histogram_config_static_selectorELNS0_4arch9wavefront6targetE1EEEvSC_,comdat
.Lfunc_end2467:
	.size	_ZN7rocprim17ROCPRIM_400000_NS6detail17trampoline_kernelINS0_14default_configENS1_35radix_sort_onesweep_config_selectorIyNS0_10empty_typeEEEZNS1_34radix_sort_onesweep_global_offsetsIS3_Lb1EPyPS5_mNS0_19identity_decomposerEEE10hipError_tT1_T2_PT3_SE_jT4_jjP12ihipStream_tbEUlT_E_NS1_11comp_targetILNS1_3genE8ELNS1_11target_archE1030ELNS1_3gpuE2ELNS1_3repE0EEENS1_52radix_sort_onesweep_histogram_config_static_selectorELNS0_4arch9wavefront6targetE1EEEvSC_, .Lfunc_end2467-_ZN7rocprim17ROCPRIM_400000_NS6detail17trampoline_kernelINS0_14default_configENS1_35radix_sort_onesweep_config_selectorIyNS0_10empty_typeEEEZNS1_34radix_sort_onesweep_global_offsetsIS3_Lb1EPyPS5_mNS0_19identity_decomposerEEE10hipError_tT1_T2_PT3_SE_jT4_jjP12ihipStream_tbEUlT_E_NS1_11comp_targetILNS1_3genE8ELNS1_11target_archE1030ELNS1_3gpuE2ELNS1_3repE0EEENS1_52radix_sort_onesweep_histogram_config_static_selectorELNS0_4arch9wavefront6targetE1EEEvSC_
                                        ; -- End function
	.section	.AMDGPU.csdata,"",@progbits
; Kernel info:
; codeLenInByte = 0
; NumSgprs: 4
; NumVgprs: 0
; NumAgprs: 0
; TotalNumVgprs: 0
; ScratchSize: 0
; MemoryBound: 0
; FloatMode: 240
; IeeeMode: 1
; LDSByteSize: 0 bytes/workgroup (compile time only)
; SGPRBlocks: 0
; VGPRBlocks: 0
; NumSGPRsForWavesPerEU: 4
; NumVGPRsForWavesPerEU: 1
; AccumOffset: 4
; Occupancy: 8
; WaveLimiterHint : 0
; COMPUTE_PGM_RSRC2:SCRATCH_EN: 0
; COMPUTE_PGM_RSRC2:USER_SGPR: 6
; COMPUTE_PGM_RSRC2:TRAP_HANDLER: 0
; COMPUTE_PGM_RSRC2:TGID_X_EN: 1
; COMPUTE_PGM_RSRC2:TGID_Y_EN: 0
; COMPUTE_PGM_RSRC2:TGID_Z_EN: 0
; COMPUTE_PGM_RSRC2:TIDIG_COMP_CNT: 0
; COMPUTE_PGM_RSRC3_GFX90A:ACCUM_OFFSET: 0
; COMPUTE_PGM_RSRC3_GFX90A:TG_SPLIT: 0
	.section	.text._ZN7rocprim17ROCPRIM_400000_NS6detail17trampoline_kernelINS0_14default_configENS1_35radix_sort_onesweep_config_selectorIyNS0_10empty_typeEEEZNS1_34radix_sort_onesweep_global_offsetsIS3_Lb1EPyPS5_mNS0_19identity_decomposerEEE10hipError_tT1_T2_PT3_SE_jT4_jjP12ihipStream_tbEUlT_E0_NS1_11comp_targetILNS1_3genE0ELNS1_11target_archE4294967295ELNS1_3gpuE0ELNS1_3repE0EEENS1_52radix_sort_onesweep_histogram_config_static_selectorELNS0_4arch9wavefront6targetE1EEEvSC_,"axG",@progbits,_ZN7rocprim17ROCPRIM_400000_NS6detail17trampoline_kernelINS0_14default_configENS1_35radix_sort_onesweep_config_selectorIyNS0_10empty_typeEEEZNS1_34radix_sort_onesweep_global_offsetsIS3_Lb1EPyPS5_mNS0_19identity_decomposerEEE10hipError_tT1_T2_PT3_SE_jT4_jjP12ihipStream_tbEUlT_E0_NS1_11comp_targetILNS1_3genE0ELNS1_11target_archE4294967295ELNS1_3gpuE0ELNS1_3repE0EEENS1_52radix_sort_onesweep_histogram_config_static_selectorELNS0_4arch9wavefront6targetE1EEEvSC_,comdat
	.protected	_ZN7rocprim17ROCPRIM_400000_NS6detail17trampoline_kernelINS0_14default_configENS1_35radix_sort_onesweep_config_selectorIyNS0_10empty_typeEEEZNS1_34radix_sort_onesweep_global_offsetsIS3_Lb1EPyPS5_mNS0_19identity_decomposerEEE10hipError_tT1_T2_PT3_SE_jT4_jjP12ihipStream_tbEUlT_E0_NS1_11comp_targetILNS1_3genE0ELNS1_11target_archE4294967295ELNS1_3gpuE0ELNS1_3repE0EEENS1_52radix_sort_onesweep_histogram_config_static_selectorELNS0_4arch9wavefront6targetE1EEEvSC_ ; -- Begin function _ZN7rocprim17ROCPRIM_400000_NS6detail17trampoline_kernelINS0_14default_configENS1_35radix_sort_onesweep_config_selectorIyNS0_10empty_typeEEEZNS1_34radix_sort_onesweep_global_offsetsIS3_Lb1EPyPS5_mNS0_19identity_decomposerEEE10hipError_tT1_T2_PT3_SE_jT4_jjP12ihipStream_tbEUlT_E0_NS1_11comp_targetILNS1_3genE0ELNS1_11target_archE4294967295ELNS1_3gpuE0ELNS1_3repE0EEENS1_52radix_sort_onesweep_histogram_config_static_selectorELNS0_4arch9wavefront6targetE1EEEvSC_
	.globl	_ZN7rocprim17ROCPRIM_400000_NS6detail17trampoline_kernelINS0_14default_configENS1_35radix_sort_onesweep_config_selectorIyNS0_10empty_typeEEEZNS1_34radix_sort_onesweep_global_offsetsIS3_Lb1EPyPS5_mNS0_19identity_decomposerEEE10hipError_tT1_T2_PT3_SE_jT4_jjP12ihipStream_tbEUlT_E0_NS1_11comp_targetILNS1_3genE0ELNS1_11target_archE4294967295ELNS1_3gpuE0ELNS1_3repE0EEENS1_52radix_sort_onesweep_histogram_config_static_selectorELNS0_4arch9wavefront6targetE1EEEvSC_
	.p2align	8
	.type	_ZN7rocprim17ROCPRIM_400000_NS6detail17trampoline_kernelINS0_14default_configENS1_35radix_sort_onesweep_config_selectorIyNS0_10empty_typeEEEZNS1_34radix_sort_onesweep_global_offsetsIS3_Lb1EPyPS5_mNS0_19identity_decomposerEEE10hipError_tT1_T2_PT3_SE_jT4_jjP12ihipStream_tbEUlT_E0_NS1_11comp_targetILNS1_3genE0ELNS1_11target_archE4294967295ELNS1_3gpuE0ELNS1_3repE0EEENS1_52radix_sort_onesweep_histogram_config_static_selectorELNS0_4arch9wavefront6targetE1EEEvSC_,@function
_ZN7rocprim17ROCPRIM_400000_NS6detail17trampoline_kernelINS0_14default_configENS1_35radix_sort_onesweep_config_selectorIyNS0_10empty_typeEEEZNS1_34radix_sort_onesweep_global_offsetsIS3_Lb1EPyPS5_mNS0_19identity_decomposerEEE10hipError_tT1_T2_PT3_SE_jT4_jjP12ihipStream_tbEUlT_E0_NS1_11comp_targetILNS1_3genE0ELNS1_11target_archE4294967295ELNS1_3gpuE0ELNS1_3repE0EEENS1_52radix_sort_onesweep_histogram_config_static_selectorELNS0_4arch9wavefront6targetE1EEEvSC_: ; @_ZN7rocprim17ROCPRIM_400000_NS6detail17trampoline_kernelINS0_14default_configENS1_35radix_sort_onesweep_config_selectorIyNS0_10empty_typeEEEZNS1_34radix_sort_onesweep_global_offsetsIS3_Lb1EPyPS5_mNS0_19identity_decomposerEEE10hipError_tT1_T2_PT3_SE_jT4_jjP12ihipStream_tbEUlT_E0_NS1_11comp_targetILNS1_3genE0ELNS1_11target_archE4294967295ELNS1_3gpuE0ELNS1_3repE0EEENS1_52radix_sort_onesweep_histogram_config_static_selectorELNS0_4arch9wavefront6targetE1EEEvSC_
; %bb.0:
	.section	.rodata,"a",@progbits
	.p2align	6, 0x0
	.amdhsa_kernel _ZN7rocprim17ROCPRIM_400000_NS6detail17trampoline_kernelINS0_14default_configENS1_35radix_sort_onesweep_config_selectorIyNS0_10empty_typeEEEZNS1_34radix_sort_onesweep_global_offsetsIS3_Lb1EPyPS5_mNS0_19identity_decomposerEEE10hipError_tT1_T2_PT3_SE_jT4_jjP12ihipStream_tbEUlT_E0_NS1_11comp_targetILNS1_3genE0ELNS1_11target_archE4294967295ELNS1_3gpuE0ELNS1_3repE0EEENS1_52radix_sort_onesweep_histogram_config_static_selectorELNS0_4arch9wavefront6targetE1EEEvSC_
		.amdhsa_group_segment_fixed_size 0
		.amdhsa_private_segment_fixed_size 0
		.amdhsa_kernarg_size 8
		.amdhsa_user_sgpr_count 6
		.amdhsa_user_sgpr_private_segment_buffer 1
		.amdhsa_user_sgpr_dispatch_ptr 0
		.amdhsa_user_sgpr_queue_ptr 0
		.amdhsa_user_sgpr_kernarg_segment_ptr 1
		.amdhsa_user_sgpr_dispatch_id 0
		.amdhsa_user_sgpr_flat_scratch_init 0
		.amdhsa_user_sgpr_kernarg_preload_length 0
		.amdhsa_user_sgpr_kernarg_preload_offset 0
		.amdhsa_user_sgpr_private_segment_size 0
		.amdhsa_uses_dynamic_stack 0
		.amdhsa_system_sgpr_private_segment_wavefront_offset 0
		.amdhsa_system_sgpr_workgroup_id_x 1
		.amdhsa_system_sgpr_workgroup_id_y 0
		.amdhsa_system_sgpr_workgroup_id_z 0
		.amdhsa_system_sgpr_workgroup_info 0
		.amdhsa_system_vgpr_workitem_id 0
		.amdhsa_next_free_vgpr 1
		.amdhsa_next_free_sgpr 0
		.amdhsa_accum_offset 4
		.amdhsa_reserve_vcc 0
		.amdhsa_reserve_flat_scratch 0
		.amdhsa_float_round_mode_32 0
		.amdhsa_float_round_mode_16_64 0
		.amdhsa_float_denorm_mode_32 3
		.amdhsa_float_denorm_mode_16_64 3
		.amdhsa_dx10_clamp 1
		.amdhsa_ieee_mode 1
		.amdhsa_fp16_overflow 0
		.amdhsa_tg_split 0
		.amdhsa_exception_fp_ieee_invalid_op 0
		.amdhsa_exception_fp_denorm_src 0
		.amdhsa_exception_fp_ieee_div_zero 0
		.amdhsa_exception_fp_ieee_overflow 0
		.amdhsa_exception_fp_ieee_underflow 0
		.amdhsa_exception_fp_ieee_inexact 0
		.amdhsa_exception_int_div_zero 0
	.end_amdhsa_kernel
	.section	.text._ZN7rocprim17ROCPRIM_400000_NS6detail17trampoline_kernelINS0_14default_configENS1_35radix_sort_onesweep_config_selectorIyNS0_10empty_typeEEEZNS1_34radix_sort_onesweep_global_offsetsIS3_Lb1EPyPS5_mNS0_19identity_decomposerEEE10hipError_tT1_T2_PT3_SE_jT4_jjP12ihipStream_tbEUlT_E0_NS1_11comp_targetILNS1_3genE0ELNS1_11target_archE4294967295ELNS1_3gpuE0ELNS1_3repE0EEENS1_52radix_sort_onesweep_histogram_config_static_selectorELNS0_4arch9wavefront6targetE1EEEvSC_,"axG",@progbits,_ZN7rocprim17ROCPRIM_400000_NS6detail17trampoline_kernelINS0_14default_configENS1_35radix_sort_onesweep_config_selectorIyNS0_10empty_typeEEEZNS1_34radix_sort_onesweep_global_offsetsIS3_Lb1EPyPS5_mNS0_19identity_decomposerEEE10hipError_tT1_T2_PT3_SE_jT4_jjP12ihipStream_tbEUlT_E0_NS1_11comp_targetILNS1_3genE0ELNS1_11target_archE4294967295ELNS1_3gpuE0ELNS1_3repE0EEENS1_52radix_sort_onesweep_histogram_config_static_selectorELNS0_4arch9wavefront6targetE1EEEvSC_,comdat
.Lfunc_end2468:
	.size	_ZN7rocprim17ROCPRIM_400000_NS6detail17trampoline_kernelINS0_14default_configENS1_35radix_sort_onesweep_config_selectorIyNS0_10empty_typeEEEZNS1_34radix_sort_onesweep_global_offsetsIS3_Lb1EPyPS5_mNS0_19identity_decomposerEEE10hipError_tT1_T2_PT3_SE_jT4_jjP12ihipStream_tbEUlT_E0_NS1_11comp_targetILNS1_3genE0ELNS1_11target_archE4294967295ELNS1_3gpuE0ELNS1_3repE0EEENS1_52radix_sort_onesweep_histogram_config_static_selectorELNS0_4arch9wavefront6targetE1EEEvSC_, .Lfunc_end2468-_ZN7rocprim17ROCPRIM_400000_NS6detail17trampoline_kernelINS0_14default_configENS1_35radix_sort_onesweep_config_selectorIyNS0_10empty_typeEEEZNS1_34radix_sort_onesweep_global_offsetsIS3_Lb1EPyPS5_mNS0_19identity_decomposerEEE10hipError_tT1_T2_PT3_SE_jT4_jjP12ihipStream_tbEUlT_E0_NS1_11comp_targetILNS1_3genE0ELNS1_11target_archE4294967295ELNS1_3gpuE0ELNS1_3repE0EEENS1_52radix_sort_onesweep_histogram_config_static_selectorELNS0_4arch9wavefront6targetE1EEEvSC_
                                        ; -- End function
	.section	.AMDGPU.csdata,"",@progbits
; Kernel info:
; codeLenInByte = 0
; NumSgprs: 4
; NumVgprs: 0
; NumAgprs: 0
; TotalNumVgprs: 0
; ScratchSize: 0
; MemoryBound: 0
; FloatMode: 240
; IeeeMode: 1
; LDSByteSize: 0 bytes/workgroup (compile time only)
; SGPRBlocks: 0
; VGPRBlocks: 0
; NumSGPRsForWavesPerEU: 4
; NumVGPRsForWavesPerEU: 1
; AccumOffset: 4
; Occupancy: 8
; WaveLimiterHint : 0
; COMPUTE_PGM_RSRC2:SCRATCH_EN: 0
; COMPUTE_PGM_RSRC2:USER_SGPR: 6
; COMPUTE_PGM_RSRC2:TRAP_HANDLER: 0
; COMPUTE_PGM_RSRC2:TGID_X_EN: 1
; COMPUTE_PGM_RSRC2:TGID_Y_EN: 0
; COMPUTE_PGM_RSRC2:TGID_Z_EN: 0
; COMPUTE_PGM_RSRC2:TIDIG_COMP_CNT: 0
; COMPUTE_PGM_RSRC3_GFX90A:ACCUM_OFFSET: 0
; COMPUTE_PGM_RSRC3_GFX90A:TG_SPLIT: 0
	.section	.text._ZN7rocprim17ROCPRIM_400000_NS6detail17trampoline_kernelINS0_14default_configENS1_35radix_sort_onesweep_config_selectorIyNS0_10empty_typeEEEZNS1_34radix_sort_onesweep_global_offsetsIS3_Lb1EPyPS5_mNS0_19identity_decomposerEEE10hipError_tT1_T2_PT3_SE_jT4_jjP12ihipStream_tbEUlT_E0_NS1_11comp_targetILNS1_3genE6ELNS1_11target_archE950ELNS1_3gpuE13ELNS1_3repE0EEENS1_52radix_sort_onesweep_histogram_config_static_selectorELNS0_4arch9wavefront6targetE1EEEvSC_,"axG",@progbits,_ZN7rocprim17ROCPRIM_400000_NS6detail17trampoline_kernelINS0_14default_configENS1_35radix_sort_onesweep_config_selectorIyNS0_10empty_typeEEEZNS1_34radix_sort_onesweep_global_offsetsIS3_Lb1EPyPS5_mNS0_19identity_decomposerEEE10hipError_tT1_T2_PT3_SE_jT4_jjP12ihipStream_tbEUlT_E0_NS1_11comp_targetILNS1_3genE6ELNS1_11target_archE950ELNS1_3gpuE13ELNS1_3repE0EEENS1_52radix_sort_onesweep_histogram_config_static_selectorELNS0_4arch9wavefront6targetE1EEEvSC_,comdat
	.protected	_ZN7rocprim17ROCPRIM_400000_NS6detail17trampoline_kernelINS0_14default_configENS1_35radix_sort_onesweep_config_selectorIyNS0_10empty_typeEEEZNS1_34radix_sort_onesweep_global_offsetsIS3_Lb1EPyPS5_mNS0_19identity_decomposerEEE10hipError_tT1_T2_PT3_SE_jT4_jjP12ihipStream_tbEUlT_E0_NS1_11comp_targetILNS1_3genE6ELNS1_11target_archE950ELNS1_3gpuE13ELNS1_3repE0EEENS1_52radix_sort_onesweep_histogram_config_static_selectorELNS0_4arch9wavefront6targetE1EEEvSC_ ; -- Begin function _ZN7rocprim17ROCPRIM_400000_NS6detail17trampoline_kernelINS0_14default_configENS1_35radix_sort_onesweep_config_selectorIyNS0_10empty_typeEEEZNS1_34radix_sort_onesweep_global_offsetsIS3_Lb1EPyPS5_mNS0_19identity_decomposerEEE10hipError_tT1_T2_PT3_SE_jT4_jjP12ihipStream_tbEUlT_E0_NS1_11comp_targetILNS1_3genE6ELNS1_11target_archE950ELNS1_3gpuE13ELNS1_3repE0EEENS1_52radix_sort_onesweep_histogram_config_static_selectorELNS0_4arch9wavefront6targetE1EEEvSC_
	.globl	_ZN7rocprim17ROCPRIM_400000_NS6detail17trampoline_kernelINS0_14default_configENS1_35radix_sort_onesweep_config_selectorIyNS0_10empty_typeEEEZNS1_34radix_sort_onesweep_global_offsetsIS3_Lb1EPyPS5_mNS0_19identity_decomposerEEE10hipError_tT1_T2_PT3_SE_jT4_jjP12ihipStream_tbEUlT_E0_NS1_11comp_targetILNS1_3genE6ELNS1_11target_archE950ELNS1_3gpuE13ELNS1_3repE0EEENS1_52radix_sort_onesweep_histogram_config_static_selectorELNS0_4arch9wavefront6targetE1EEEvSC_
	.p2align	8
	.type	_ZN7rocprim17ROCPRIM_400000_NS6detail17trampoline_kernelINS0_14default_configENS1_35radix_sort_onesweep_config_selectorIyNS0_10empty_typeEEEZNS1_34radix_sort_onesweep_global_offsetsIS3_Lb1EPyPS5_mNS0_19identity_decomposerEEE10hipError_tT1_T2_PT3_SE_jT4_jjP12ihipStream_tbEUlT_E0_NS1_11comp_targetILNS1_3genE6ELNS1_11target_archE950ELNS1_3gpuE13ELNS1_3repE0EEENS1_52radix_sort_onesweep_histogram_config_static_selectorELNS0_4arch9wavefront6targetE1EEEvSC_,@function
_ZN7rocprim17ROCPRIM_400000_NS6detail17trampoline_kernelINS0_14default_configENS1_35radix_sort_onesweep_config_selectorIyNS0_10empty_typeEEEZNS1_34radix_sort_onesweep_global_offsetsIS3_Lb1EPyPS5_mNS0_19identity_decomposerEEE10hipError_tT1_T2_PT3_SE_jT4_jjP12ihipStream_tbEUlT_E0_NS1_11comp_targetILNS1_3genE6ELNS1_11target_archE950ELNS1_3gpuE13ELNS1_3repE0EEENS1_52radix_sort_onesweep_histogram_config_static_selectorELNS0_4arch9wavefront6targetE1EEEvSC_: ; @_ZN7rocprim17ROCPRIM_400000_NS6detail17trampoline_kernelINS0_14default_configENS1_35radix_sort_onesweep_config_selectorIyNS0_10empty_typeEEEZNS1_34radix_sort_onesweep_global_offsetsIS3_Lb1EPyPS5_mNS0_19identity_decomposerEEE10hipError_tT1_T2_PT3_SE_jT4_jjP12ihipStream_tbEUlT_E0_NS1_11comp_targetILNS1_3genE6ELNS1_11target_archE950ELNS1_3gpuE13ELNS1_3repE0EEENS1_52radix_sort_onesweep_histogram_config_static_selectorELNS0_4arch9wavefront6targetE1EEEvSC_
; %bb.0:
	.section	.rodata,"a",@progbits
	.p2align	6, 0x0
	.amdhsa_kernel _ZN7rocprim17ROCPRIM_400000_NS6detail17trampoline_kernelINS0_14default_configENS1_35radix_sort_onesweep_config_selectorIyNS0_10empty_typeEEEZNS1_34radix_sort_onesweep_global_offsetsIS3_Lb1EPyPS5_mNS0_19identity_decomposerEEE10hipError_tT1_T2_PT3_SE_jT4_jjP12ihipStream_tbEUlT_E0_NS1_11comp_targetILNS1_3genE6ELNS1_11target_archE950ELNS1_3gpuE13ELNS1_3repE0EEENS1_52radix_sort_onesweep_histogram_config_static_selectorELNS0_4arch9wavefront6targetE1EEEvSC_
		.amdhsa_group_segment_fixed_size 0
		.amdhsa_private_segment_fixed_size 0
		.amdhsa_kernarg_size 8
		.amdhsa_user_sgpr_count 6
		.amdhsa_user_sgpr_private_segment_buffer 1
		.amdhsa_user_sgpr_dispatch_ptr 0
		.amdhsa_user_sgpr_queue_ptr 0
		.amdhsa_user_sgpr_kernarg_segment_ptr 1
		.amdhsa_user_sgpr_dispatch_id 0
		.amdhsa_user_sgpr_flat_scratch_init 0
		.amdhsa_user_sgpr_kernarg_preload_length 0
		.amdhsa_user_sgpr_kernarg_preload_offset 0
		.amdhsa_user_sgpr_private_segment_size 0
		.amdhsa_uses_dynamic_stack 0
		.amdhsa_system_sgpr_private_segment_wavefront_offset 0
		.amdhsa_system_sgpr_workgroup_id_x 1
		.amdhsa_system_sgpr_workgroup_id_y 0
		.amdhsa_system_sgpr_workgroup_id_z 0
		.amdhsa_system_sgpr_workgroup_info 0
		.amdhsa_system_vgpr_workitem_id 0
		.amdhsa_next_free_vgpr 1
		.amdhsa_next_free_sgpr 0
		.amdhsa_accum_offset 4
		.amdhsa_reserve_vcc 0
		.amdhsa_reserve_flat_scratch 0
		.amdhsa_float_round_mode_32 0
		.amdhsa_float_round_mode_16_64 0
		.amdhsa_float_denorm_mode_32 3
		.amdhsa_float_denorm_mode_16_64 3
		.amdhsa_dx10_clamp 1
		.amdhsa_ieee_mode 1
		.amdhsa_fp16_overflow 0
		.amdhsa_tg_split 0
		.amdhsa_exception_fp_ieee_invalid_op 0
		.amdhsa_exception_fp_denorm_src 0
		.amdhsa_exception_fp_ieee_div_zero 0
		.amdhsa_exception_fp_ieee_overflow 0
		.amdhsa_exception_fp_ieee_underflow 0
		.amdhsa_exception_fp_ieee_inexact 0
		.amdhsa_exception_int_div_zero 0
	.end_amdhsa_kernel
	.section	.text._ZN7rocprim17ROCPRIM_400000_NS6detail17trampoline_kernelINS0_14default_configENS1_35radix_sort_onesweep_config_selectorIyNS0_10empty_typeEEEZNS1_34radix_sort_onesweep_global_offsetsIS3_Lb1EPyPS5_mNS0_19identity_decomposerEEE10hipError_tT1_T2_PT3_SE_jT4_jjP12ihipStream_tbEUlT_E0_NS1_11comp_targetILNS1_3genE6ELNS1_11target_archE950ELNS1_3gpuE13ELNS1_3repE0EEENS1_52radix_sort_onesweep_histogram_config_static_selectorELNS0_4arch9wavefront6targetE1EEEvSC_,"axG",@progbits,_ZN7rocprim17ROCPRIM_400000_NS6detail17trampoline_kernelINS0_14default_configENS1_35radix_sort_onesweep_config_selectorIyNS0_10empty_typeEEEZNS1_34radix_sort_onesweep_global_offsetsIS3_Lb1EPyPS5_mNS0_19identity_decomposerEEE10hipError_tT1_T2_PT3_SE_jT4_jjP12ihipStream_tbEUlT_E0_NS1_11comp_targetILNS1_3genE6ELNS1_11target_archE950ELNS1_3gpuE13ELNS1_3repE0EEENS1_52radix_sort_onesweep_histogram_config_static_selectorELNS0_4arch9wavefront6targetE1EEEvSC_,comdat
.Lfunc_end2469:
	.size	_ZN7rocprim17ROCPRIM_400000_NS6detail17trampoline_kernelINS0_14default_configENS1_35radix_sort_onesweep_config_selectorIyNS0_10empty_typeEEEZNS1_34radix_sort_onesweep_global_offsetsIS3_Lb1EPyPS5_mNS0_19identity_decomposerEEE10hipError_tT1_T2_PT3_SE_jT4_jjP12ihipStream_tbEUlT_E0_NS1_11comp_targetILNS1_3genE6ELNS1_11target_archE950ELNS1_3gpuE13ELNS1_3repE0EEENS1_52radix_sort_onesweep_histogram_config_static_selectorELNS0_4arch9wavefront6targetE1EEEvSC_, .Lfunc_end2469-_ZN7rocprim17ROCPRIM_400000_NS6detail17trampoline_kernelINS0_14default_configENS1_35radix_sort_onesweep_config_selectorIyNS0_10empty_typeEEEZNS1_34radix_sort_onesweep_global_offsetsIS3_Lb1EPyPS5_mNS0_19identity_decomposerEEE10hipError_tT1_T2_PT3_SE_jT4_jjP12ihipStream_tbEUlT_E0_NS1_11comp_targetILNS1_3genE6ELNS1_11target_archE950ELNS1_3gpuE13ELNS1_3repE0EEENS1_52radix_sort_onesweep_histogram_config_static_selectorELNS0_4arch9wavefront6targetE1EEEvSC_
                                        ; -- End function
	.section	.AMDGPU.csdata,"",@progbits
; Kernel info:
; codeLenInByte = 0
; NumSgprs: 4
; NumVgprs: 0
; NumAgprs: 0
; TotalNumVgprs: 0
; ScratchSize: 0
; MemoryBound: 0
; FloatMode: 240
; IeeeMode: 1
; LDSByteSize: 0 bytes/workgroup (compile time only)
; SGPRBlocks: 0
; VGPRBlocks: 0
; NumSGPRsForWavesPerEU: 4
; NumVGPRsForWavesPerEU: 1
; AccumOffset: 4
; Occupancy: 8
; WaveLimiterHint : 0
; COMPUTE_PGM_RSRC2:SCRATCH_EN: 0
; COMPUTE_PGM_RSRC2:USER_SGPR: 6
; COMPUTE_PGM_RSRC2:TRAP_HANDLER: 0
; COMPUTE_PGM_RSRC2:TGID_X_EN: 1
; COMPUTE_PGM_RSRC2:TGID_Y_EN: 0
; COMPUTE_PGM_RSRC2:TGID_Z_EN: 0
; COMPUTE_PGM_RSRC2:TIDIG_COMP_CNT: 0
; COMPUTE_PGM_RSRC3_GFX90A:ACCUM_OFFSET: 0
; COMPUTE_PGM_RSRC3_GFX90A:TG_SPLIT: 0
	.section	.text._ZN7rocprim17ROCPRIM_400000_NS6detail17trampoline_kernelINS0_14default_configENS1_35radix_sort_onesweep_config_selectorIyNS0_10empty_typeEEEZNS1_34radix_sort_onesweep_global_offsetsIS3_Lb1EPyPS5_mNS0_19identity_decomposerEEE10hipError_tT1_T2_PT3_SE_jT4_jjP12ihipStream_tbEUlT_E0_NS1_11comp_targetILNS1_3genE5ELNS1_11target_archE942ELNS1_3gpuE9ELNS1_3repE0EEENS1_52radix_sort_onesweep_histogram_config_static_selectorELNS0_4arch9wavefront6targetE1EEEvSC_,"axG",@progbits,_ZN7rocprim17ROCPRIM_400000_NS6detail17trampoline_kernelINS0_14default_configENS1_35radix_sort_onesweep_config_selectorIyNS0_10empty_typeEEEZNS1_34radix_sort_onesweep_global_offsetsIS3_Lb1EPyPS5_mNS0_19identity_decomposerEEE10hipError_tT1_T2_PT3_SE_jT4_jjP12ihipStream_tbEUlT_E0_NS1_11comp_targetILNS1_3genE5ELNS1_11target_archE942ELNS1_3gpuE9ELNS1_3repE0EEENS1_52radix_sort_onesweep_histogram_config_static_selectorELNS0_4arch9wavefront6targetE1EEEvSC_,comdat
	.protected	_ZN7rocprim17ROCPRIM_400000_NS6detail17trampoline_kernelINS0_14default_configENS1_35radix_sort_onesweep_config_selectorIyNS0_10empty_typeEEEZNS1_34radix_sort_onesweep_global_offsetsIS3_Lb1EPyPS5_mNS0_19identity_decomposerEEE10hipError_tT1_T2_PT3_SE_jT4_jjP12ihipStream_tbEUlT_E0_NS1_11comp_targetILNS1_3genE5ELNS1_11target_archE942ELNS1_3gpuE9ELNS1_3repE0EEENS1_52radix_sort_onesweep_histogram_config_static_selectorELNS0_4arch9wavefront6targetE1EEEvSC_ ; -- Begin function _ZN7rocprim17ROCPRIM_400000_NS6detail17trampoline_kernelINS0_14default_configENS1_35radix_sort_onesweep_config_selectorIyNS0_10empty_typeEEEZNS1_34radix_sort_onesweep_global_offsetsIS3_Lb1EPyPS5_mNS0_19identity_decomposerEEE10hipError_tT1_T2_PT3_SE_jT4_jjP12ihipStream_tbEUlT_E0_NS1_11comp_targetILNS1_3genE5ELNS1_11target_archE942ELNS1_3gpuE9ELNS1_3repE0EEENS1_52radix_sort_onesweep_histogram_config_static_selectorELNS0_4arch9wavefront6targetE1EEEvSC_
	.globl	_ZN7rocprim17ROCPRIM_400000_NS6detail17trampoline_kernelINS0_14default_configENS1_35radix_sort_onesweep_config_selectorIyNS0_10empty_typeEEEZNS1_34radix_sort_onesweep_global_offsetsIS3_Lb1EPyPS5_mNS0_19identity_decomposerEEE10hipError_tT1_T2_PT3_SE_jT4_jjP12ihipStream_tbEUlT_E0_NS1_11comp_targetILNS1_3genE5ELNS1_11target_archE942ELNS1_3gpuE9ELNS1_3repE0EEENS1_52radix_sort_onesweep_histogram_config_static_selectorELNS0_4arch9wavefront6targetE1EEEvSC_
	.p2align	8
	.type	_ZN7rocprim17ROCPRIM_400000_NS6detail17trampoline_kernelINS0_14default_configENS1_35radix_sort_onesweep_config_selectorIyNS0_10empty_typeEEEZNS1_34radix_sort_onesweep_global_offsetsIS3_Lb1EPyPS5_mNS0_19identity_decomposerEEE10hipError_tT1_T2_PT3_SE_jT4_jjP12ihipStream_tbEUlT_E0_NS1_11comp_targetILNS1_3genE5ELNS1_11target_archE942ELNS1_3gpuE9ELNS1_3repE0EEENS1_52radix_sort_onesweep_histogram_config_static_selectorELNS0_4arch9wavefront6targetE1EEEvSC_,@function
_ZN7rocprim17ROCPRIM_400000_NS6detail17trampoline_kernelINS0_14default_configENS1_35radix_sort_onesweep_config_selectorIyNS0_10empty_typeEEEZNS1_34radix_sort_onesweep_global_offsetsIS3_Lb1EPyPS5_mNS0_19identity_decomposerEEE10hipError_tT1_T2_PT3_SE_jT4_jjP12ihipStream_tbEUlT_E0_NS1_11comp_targetILNS1_3genE5ELNS1_11target_archE942ELNS1_3gpuE9ELNS1_3repE0EEENS1_52radix_sort_onesweep_histogram_config_static_selectorELNS0_4arch9wavefront6targetE1EEEvSC_: ; @_ZN7rocprim17ROCPRIM_400000_NS6detail17trampoline_kernelINS0_14default_configENS1_35radix_sort_onesweep_config_selectorIyNS0_10empty_typeEEEZNS1_34radix_sort_onesweep_global_offsetsIS3_Lb1EPyPS5_mNS0_19identity_decomposerEEE10hipError_tT1_T2_PT3_SE_jT4_jjP12ihipStream_tbEUlT_E0_NS1_11comp_targetILNS1_3genE5ELNS1_11target_archE942ELNS1_3gpuE9ELNS1_3repE0EEENS1_52radix_sort_onesweep_histogram_config_static_selectorELNS0_4arch9wavefront6targetE1EEEvSC_
; %bb.0:
	.section	.rodata,"a",@progbits
	.p2align	6, 0x0
	.amdhsa_kernel _ZN7rocprim17ROCPRIM_400000_NS6detail17trampoline_kernelINS0_14default_configENS1_35radix_sort_onesweep_config_selectorIyNS0_10empty_typeEEEZNS1_34radix_sort_onesweep_global_offsetsIS3_Lb1EPyPS5_mNS0_19identity_decomposerEEE10hipError_tT1_T2_PT3_SE_jT4_jjP12ihipStream_tbEUlT_E0_NS1_11comp_targetILNS1_3genE5ELNS1_11target_archE942ELNS1_3gpuE9ELNS1_3repE0EEENS1_52radix_sort_onesweep_histogram_config_static_selectorELNS0_4arch9wavefront6targetE1EEEvSC_
		.amdhsa_group_segment_fixed_size 0
		.amdhsa_private_segment_fixed_size 0
		.amdhsa_kernarg_size 8
		.amdhsa_user_sgpr_count 6
		.amdhsa_user_sgpr_private_segment_buffer 1
		.amdhsa_user_sgpr_dispatch_ptr 0
		.amdhsa_user_sgpr_queue_ptr 0
		.amdhsa_user_sgpr_kernarg_segment_ptr 1
		.amdhsa_user_sgpr_dispatch_id 0
		.amdhsa_user_sgpr_flat_scratch_init 0
		.amdhsa_user_sgpr_kernarg_preload_length 0
		.amdhsa_user_sgpr_kernarg_preload_offset 0
		.amdhsa_user_sgpr_private_segment_size 0
		.amdhsa_uses_dynamic_stack 0
		.amdhsa_system_sgpr_private_segment_wavefront_offset 0
		.amdhsa_system_sgpr_workgroup_id_x 1
		.amdhsa_system_sgpr_workgroup_id_y 0
		.amdhsa_system_sgpr_workgroup_id_z 0
		.amdhsa_system_sgpr_workgroup_info 0
		.amdhsa_system_vgpr_workitem_id 0
		.amdhsa_next_free_vgpr 1
		.amdhsa_next_free_sgpr 0
		.amdhsa_accum_offset 4
		.amdhsa_reserve_vcc 0
		.amdhsa_reserve_flat_scratch 0
		.amdhsa_float_round_mode_32 0
		.amdhsa_float_round_mode_16_64 0
		.amdhsa_float_denorm_mode_32 3
		.amdhsa_float_denorm_mode_16_64 3
		.amdhsa_dx10_clamp 1
		.amdhsa_ieee_mode 1
		.amdhsa_fp16_overflow 0
		.amdhsa_tg_split 0
		.amdhsa_exception_fp_ieee_invalid_op 0
		.amdhsa_exception_fp_denorm_src 0
		.amdhsa_exception_fp_ieee_div_zero 0
		.amdhsa_exception_fp_ieee_overflow 0
		.amdhsa_exception_fp_ieee_underflow 0
		.amdhsa_exception_fp_ieee_inexact 0
		.amdhsa_exception_int_div_zero 0
	.end_amdhsa_kernel
	.section	.text._ZN7rocprim17ROCPRIM_400000_NS6detail17trampoline_kernelINS0_14default_configENS1_35radix_sort_onesweep_config_selectorIyNS0_10empty_typeEEEZNS1_34radix_sort_onesweep_global_offsetsIS3_Lb1EPyPS5_mNS0_19identity_decomposerEEE10hipError_tT1_T2_PT3_SE_jT4_jjP12ihipStream_tbEUlT_E0_NS1_11comp_targetILNS1_3genE5ELNS1_11target_archE942ELNS1_3gpuE9ELNS1_3repE0EEENS1_52radix_sort_onesweep_histogram_config_static_selectorELNS0_4arch9wavefront6targetE1EEEvSC_,"axG",@progbits,_ZN7rocprim17ROCPRIM_400000_NS6detail17trampoline_kernelINS0_14default_configENS1_35radix_sort_onesweep_config_selectorIyNS0_10empty_typeEEEZNS1_34radix_sort_onesweep_global_offsetsIS3_Lb1EPyPS5_mNS0_19identity_decomposerEEE10hipError_tT1_T2_PT3_SE_jT4_jjP12ihipStream_tbEUlT_E0_NS1_11comp_targetILNS1_3genE5ELNS1_11target_archE942ELNS1_3gpuE9ELNS1_3repE0EEENS1_52radix_sort_onesweep_histogram_config_static_selectorELNS0_4arch9wavefront6targetE1EEEvSC_,comdat
.Lfunc_end2470:
	.size	_ZN7rocprim17ROCPRIM_400000_NS6detail17trampoline_kernelINS0_14default_configENS1_35radix_sort_onesweep_config_selectorIyNS0_10empty_typeEEEZNS1_34radix_sort_onesweep_global_offsetsIS3_Lb1EPyPS5_mNS0_19identity_decomposerEEE10hipError_tT1_T2_PT3_SE_jT4_jjP12ihipStream_tbEUlT_E0_NS1_11comp_targetILNS1_3genE5ELNS1_11target_archE942ELNS1_3gpuE9ELNS1_3repE0EEENS1_52radix_sort_onesweep_histogram_config_static_selectorELNS0_4arch9wavefront6targetE1EEEvSC_, .Lfunc_end2470-_ZN7rocprim17ROCPRIM_400000_NS6detail17trampoline_kernelINS0_14default_configENS1_35radix_sort_onesweep_config_selectorIyNS0_10empty_typeEEEZNS1_34radix_sort_onesweep_global_offsetsIS3_Lb1EPyPS5_mNS0_19identity_decomposerEEE10hipError_tT1_T2_PT3_SE_jT4_jjP12ihipStream_tbEUlT_E0_NS1_11comp_targetILNS1_3genE5ELNS1_11target_archE942ELNS1_3gpuE9ELNS1_3repE0EEENS1_52radix_sort_onesweep_histogram_config_static_selectorELNS0_4arch9wavefront6targetE1EEEvSC_
                                        ; -- End function
	.section	.AMDGPU.csdata,"",@progbits
; Kernel info:
; codeLenInByte = 0
; NumSgprs: 4
; NumVgprs: 0
; NumAgprs: 0
; TotalNumVgprs: 0
; ScratchSize: 0
; MemoryBound: 0
; FloatMode: 240
; IeeeMode: 1
; LDSByteSize: 0 bytes/workgroup (compile time only)
; SGPRBlocks: 0
; VGPRBlocks: 0
; NumSGPRsForWavesPerEU: 4
; NumVGPRsForWavesPerEU: 1
; AccumOffset: 4
; Occupancy: 8
; WaveLimiterHint : 0
; COMPUTE_PGM_RSRC2:SCRATCH_EN: 0
; COMPUTE_PGM_RSRC2:USER_SGPR: 6
; COMPUTE_PGM_RSRC2:TRAP_HANDLER: 0
; COMPUTE_PGM_RSRC2:TGID_X_EN: 1
; COMPUTE_PGM_RSRC2:TGID_Y_EN: 0
; COMPUTE_PGM_RSRC2:TGID_Z_EN: 0
; COMPUTE_PGM_RSRC2:TIDIG_COMP_CNT: 0
; COMPUTE_PGM_RSRC3_GFX90A:ACCUM_OFFSET: 0
; COMPUTE_PGM_RSRC3_GFX90A:TG_SPLIT: 0
	.section	.text._ZN7rocprim17ROCPRIM_400000_NS6detail17trampoline_kernelINS0_14default_configENS1_35radix_sort_onesweep_config_selectorIyNS0_10empty_typeEEEZNS1_34radix_sort_onesweep_global_offsetsIS3_Lb1EPyPS5_mNS0_19identity_decomposerEEE10hipError_tT1_T2_PT3_SE_jT4_jjP12ihipStream_tbEUlT_E0_NS1_11comp_targetILNS1_3genE2ELNS1_11target_archE906ELNS1_3gpuE6ELNS1_3repE0EEENS1_52radix_sort_onesweep_histogram_config_static_selectorELNS0_4arch9wavefront6targetE1EEEvSC_,"axG",@progbits,_ZN7rocprim17ROCPRIM_400000_NS6detail17trampoline_kernelINS0_14default_configENS1_35radix_sort_onesweep_config_selectorIyNS0_10empty_typeEEEZNS1_34radix_sort_onesweep_global_offsetsIS3_Lb1EPyPS5_mNS0_19identity_decomposerEEE10hipError_tT1_T2_PT3_SE_jT4_jjP12ihipStream_tbEUlT_E0_NS1_11comp_targetILNS1_3genE2ELNS1_11target_archE906ELNS1_3gpuE6ELNS1_3repE0EEENS1_52radix_sort_onesweep_histogram_config_static_selectorELNS0_4arch9wavefront6targetE1EEEvSC_,comdat
	.protected	_ZN7rocprim17ROCPRIM_400000_NS6detail17trampoline_kernelINS0_14default_configENS1_35radix_sort_onesweep_config_selectorIyNS0_10empty_typeEEEZNS1_34radix_sort_onesweep_global_offsetsIS3_Lb1EPyPS5_mNS0_19identity_decomposerEEE10hipError_tT1_T2_PT3_SE_jT4_jjP12ihipStream_tbEUlT_E0_NS1_11comp_targetILNS1_3genE2ELNS1_11target_archE906ELNS1_3gpuE6ELNS1_3repE0EEENS1_52radix_sort_onesweep_histogram_config_static_selectorELNS0_4arch9wavefront6targetE1EEEvSC_ ; -- Begin function _ZN7rocprim17ROCPRIM_400000_NS6detail17trampoline_kernelINS0_14default_configENS1_35radix_sort_onesweep_config_selectorIyNS0_10empty_typeEEEZNS1_34radix_sort_onesweep_global_offsetsIS3_Lb1EPyPS5_mNS0_19identity_decomposerEEE10hipError_tT1_T2_PT3_SE_jT4_jjP12ihipStream_tbEUlT_E0_NS1_11comp_targetILNS1_3genE2ELNS1_11target_archE906ELNS1_3gpuE6ELNS1_3repE0EEENS1_52radix_sort_onesweep_histogram_config_static_selectorELNS0_4arch9wavefront6targetE1EEEvSC_
	.globl	_ZN7rocprim17ROCPRIM_400000_NS6detail17trampoline_kernelINS0_14default_configENS1_35radix_sort_onesweep_config_selectorIyNS0_10empty_typeEEEZNS1_34radix_sort_onesweep_global_offsetsIS3_Lb1EPyPS5_mNS0_19identity_decomposerEEE10hipError_tT1_T2_PT3_SE_jT4_jjP12ihipStream_tbEUlT_E0_NS1_11comp_targetILNS1_3genE2ELNS1_11target_archE906ELNS1_3gpuE6ELNS1_3repE0EEENS1_52radix_sort_onesweep_histogram_config_static_selectorELNS0_4arch9wavefront6targetE1EEEvSC_
	.p2align	8
	.type	_ZN7rocprim17ROCPRIM_400000_NS6detail17trampoline_kernelINS0_14default_configENS1_35radix_sort_onesweep_config_selectorIyNS0_10empty_typeEEEZNS1_34radix_sort_onesweep_global_offsetsIS3_Lb1EPyPS5_mNS0_19identity_decomposerEEE10hipError_tT1_T2_PT3_SE_jT4_jjP12ihipStream_tbEUlT_E0_NS1_11comp_targetILNS1_3genE2ELNS1_11target_archE906ELNS1_3gpuE6ELNS1_3repE0EEENS1_52radix_sort_onesweep_histogram_config_static_selectorELNS0_4arch9wavefront6targetE1EEEvSC_,@function
_ZN7rocprim17ROCPRIM_400000_NS6detail17trampoline_kernelINS0_14default_configENS1_35radix_sort_onesweep_config_selectorIyNS0_10empty_typeEEEZNS1_34radix_sort_onesweep_global_offsetsIS3_Lb1EPyPS5_mNS0_19identity_decomposerEEE10hipError_tT1_T2_PT3_SE_jT4_jjP12ihipStream_tbEUlT_E0_NS1_11comp_targetILNS1_3genE2ELNS1_11target_archE906ELNS1_3gpuE6ELNS1_3repE0EEENS1_52radix_sort_onesweep_histogram_config_static_selectorELNS0_4arch9wavefront6targetE1EEEvSC_: ; @_ZN7rocprim17ROCPRIM_400000_NS6detail17trampoline_kernelINS0_14default_configENS1_35radix_sort_onesweep_config_selectorIyNS0_10empty_typeEEEZNS1_34radix_sort_onesweep_global_offsetsIS3_Lb1EPyPS5_mNS0_19identity_decomposerEEE10hipError_tT1_T2_PT3_SE_jT4_jjP12ihipStream_tbEUlT_E0_NS1_11comp_targetILNS1_3genE2ELNS1_11target_archE906ELNS1_3gpuE6ELNS1_3repE0EEENS1_52radix_sort_onesweep_histogram_config_static_selectorELNS0_4arch9wavefront6targetE1EEEvSC_
; %bb.0:
	.section	.rodata,"a",@progbits
	.p2align	6, 0x0
	.amdhsa_kernel _ZN7rocprim17ROCPRIM_400000_NS6detail17trampoline_kernelINS0_14default_configENS1_35radix_sort_onesweep_config_selectorIyNS0_10empty_typeEEEZNS1_34radix_sort_onesweep_global_offsetsIS3_Lb1EPyPS5_mNS0_19identity_decomposerEEE10hipError_tT1_T2_PT3_SE_jT4_jjP12ihipStream_tbEUlT_E0_NS1_11comp_targetILNS1_3genE2ELNS1_11target_archE906ELNS1_3gpuE6ELNS1_3repE0EEENS1_52radix_sort_onesweep_histogram_config_static_selectorELNS0_4arch9wavefront6targetE1EEEvSC_
		.amdhsa_group_segment_fixed_size 0
		.amdhsa_private_segment_fixed_size 0
		.amdhsa_kernarg_size 8
		.amdhsa_user_sgpr_count 6
		.amdhsa_user_sgpr_private_segment_buffer 1
		.amdhsa_user_sgpr_dispatch_ptr 0
		.amdhsa_user_sgpr_queue_ptr 0
		.amdhsa_user_sgpr_kernarg_segment_ptr 1
		.amdhsa_user_sgpr_dispatch_id 0
		.amdhsa_user_sgpr_flat_scratch_init 0
		.amdhsa_user_sgpr_kernarg_preload_length 0
		.amdhsa_user_sgpr_kernarg_preload_offset 0
		.amdhsa_user_sgpr_private_segment_size 0
		.amdhsa_uses_dynamic_stack 0
		.amdhsa_system_sgpr_private_segment_wavefront_offset 0
		.amdhsa_system_sgpr_workgroup_id_x 1
		.amdhsa_system_sgpr_workgroup_id_y 0
		.amdhsa_system_sgpr_workgroup_id_z 0
		.amdhsa_system_sgpr_workgroup_info 0
		.amdhsa_system_vgpr_workitem_id 0
		.amdhsa_next_free_vgpr 1
		.amdhsa_next_free_sgpr 0
		.amdhsa_accum_offset 4
		.amdhsa_reserve_vcc 0
		.amdhsa_reserve_flat_scratch 0
		.amdhsa_float_round_mode_32 0
		.amdhsa_float_round_mode_16_64 0
		.amdhsa_float_denorm_mode_32 3
		.amdhsa_float_denorm_mode_16_64 3
		.amdhsa_dx10_clamp 1
		.amdhsa_ieee_mode 1
		.amdhsa_fp16_overflow 0
		.amdhsa_tg_split 0
		.amdhsa_exception_fp_ieee_invalid_op 0
		.amdhsa_exception_fp_denorm_src 0
		.amdhsa_exception_fp_ieee_div_zero 0
		.amdhsa_exception_fp_ieee_overflow 0
		.amdhsa_exception_fp_ieee_underflow 0
		.amdhsa_exception_fp_ieee_inexact 0
		.amdhsa_exception_int_div_zero 0
	.end_amdhsa_kernel
	.section	.text._ZN7rocprim17ROCPRIM_400000_NS6detail17trampoline_kernelINS0_14default_configENS1_35radix_sort_onesweep_config_selectorIyNS0_10empty_typeEEEZNS1_34radix_sort_onesweep_global_offsetsIS3_Lb1EPyPS5_mNS0_19identity_decomposerEEE10hipError_tT1_T2_PT3_SE_jT4_jjP12ihipStream_tbEUlT_E0_NS1_11comp_targetILNS1_3genE2ELNS1_11target_archE906ELNS1_3gpuE6ELNS1_3repE0EEENS1_52radix_sort_onesweep_histogram_config_static_selectorELNS0_4arch9wavefront6targetE1EEEvSC_,"axG",@progbits,_ZN7rocprim17ROCPRIM_400000_NS6detail17trampoline_kernelINS0_14default_configENS1_35radix_sort_onesweep_config_selectorIyNS0_10empty_typeEEEZNS1_34radix_sort_onesweep_global_offsetsIS3_Lb1EPyPS5_mNS0_19identity_decomposerEEE10hipError_tT1_T2_PT3_SE_jT4_jjP12ihipStream_tbEUlT_E0_NS1_11comp_targetILNS1_3genE2ELNS1_11target_archE906ELNS1_3gpuE6ELNS1_3repE0EEENS1_52radix_sort_onesweep_histogram_config_static_selectorELNS0_4arch9wavefront6targetE1EEEvSC_,comdat
.Lfunc_end2471:
	.size	_ZN7rocprim17ROCPRIM_400000_NS6detail17trampoline_kernelINS0_14default_configENS1_35radix_sort_onesweep_config_selectorIyNS0_10empty_typeEEEZNS1_34radix_sort_onesweep_global_offsetsIS3_Lb1EPyPS5_mNS0_19identity_decomposerEEE10hipError_tT1_T2_PT3_SE_jT4_jjP12ihipStream_tbEUlT_E0_NS1_11comp_targetILNS1_3genE2ELNS1_11target_archE906ELNS1_3gpuE6ELNS1_3repE0EEENS1_52radix_sort_onesweep_histogram_config_static_selectorELNS0_4arch9wavefront6targetE1EEEvSC_, .Lfunc_end2471-_ZN7rocprim17ROCPRIM_400000_NS6detail17trampoline_kernelINS0_14default_configENS1_35radix_sort_onesweep_config_selectorIyNS0_10empty_typeEEEZNS1_34radix_sort_onesweep_global_offsetsIS3_Lb1EPyPS5_mNS0_19identity_decomposerEEE10hipError_tT1_T2_PT3_SE_jT4_jjP12ihipStream_tbEUlT_E0_NS1_11comp_targetILNS1_3genE2ELNS1_11target_archE906ELNS1_3gpuE6ELNS1_3repE0EEENS1_52radix_sort_onesweep_histogram_config_static_selectorELNS0_4arch9wavefront6targetE1EEEvSC_
                                        ; -- End function
	.section	.AMDGPU.csdata,"",@progbits
; Kernel info:
; codeLenInByte = 0
; NumSgprs: 4
; NumVgprs: 0
; NumAgprs: 0
; TotalNumVgprs: 0
; ScratchSize: 0
; MemoryBound: 0
; FloatMode: 240
; IeeeMode: 1
; LDSByteSize: 0 bytes/workgroup (compile time only)
; SGPRBlocks: 0
; VGPRBlocks: 0
; NumSGPRsForWavesPerEU: 4
; NumVGPRsForWavesPerEU: 1
; AccumOffset: 4
; Occupancy: 8
; WaveLimiterHint : 0
; COMPUTE_PGM_RSRC2:SCRATCH_EN: 0
; COMPUTE_PGM_RSRC2:USER_SGPR: 6
; COMPUTE_PGM_RSRC2:TRAP_HANDLER: 0
; COMPUTE_PGM_RSRC2:TGID_X_EN: 1
; COMPUTE_PGM_RSRC2:TGID_Y_EN: 0
; COMPUTE_PGM_RSRC2:TGID_Z_EN: 0
; COMPUTE_PGM_RSRC2:TIDIG_COMP_CNT: 0
; COMPUTE_PGM_RSRC3_GFX90A:ACCUM_OFFSET: 0
; COMPUTE_PGM_RSRC3_GFX90A:TG_SPLIT: 0
	.section	.text._ZN7rocprim17ROCPRIM_400000_NS6detail17trampoline_kernelINS0_14default_configENS1_35radix_sort_onesweep_config_selectorIyNS0_10empty_typeEEEZNS1_34radix_sort_onesweep_global_offsetsIS3_Lb1EPyPS5_mNS0_19identity_decomposerEEE10hipError_tT1_T2_PT3_SE_jT4_jjP12ihipStream_tbEUlT_E0_NS1_11comp_targetILNS1_3genE4ELNS1_11target_archE910ELNS1_3gpuE8ELNS1_3repE0EEENS1_52radix_sort_onesweep_histogram_config_static_selectorELNS0_4arch9wavefront6targetE1EEEvSC_,"axG",@progbits,_ZN7rocprim17ROCPRIM_400000_NS6detail17trampoline_kernelINS0_14default_configENS1_35radix_sort_onesweep_config_selectorIyNS0_10empty_typeEEEZNS1_34radix_sort_onesweep_global_offsetsIS3_Lb1EPyPS5_mNS0_19identity_decomposerEEE10hipError_tT1_T2_PT3_SE_jT4_jjP12ihipStream_tbEUlT_E0_NS1_11comp_targetILNS1_3genE4ELNS1_11target_archE910ELNS1_3gpuE8ELNS1_3repE0EEENS1_52radix_sort_onesweep_histogram_config_static_selectorELNS0_4arch9wavefront6targetE1EEEvSC_,comdat
	.protected	_ZN7rocprim17ROCPRIM_400000_NS6detail17trampoline_kernelINS0_14default_configENS1_35radix_sort_onesweep_config_selectorIyNS0_10empty_typeEEEZNS1_34radix_sort_onesweep_global_offsetsIS3_Lb1EPyPS5_mNS0_19identity_decomposerEEE10hipError_tT1_T2_PT3_SE_jT4_jjP12ihipStream_tbEUlT_E0_NS1_11comp_targetILNS1_3genE4ELNS1_11target_archE910ELNS1_3gpuE8ELNS1_3repE0EEENS1_52radix_sort_onesweep_histogram_config_static_selectorELNS0_4arch9wavefront6targetE1EEEvSC_ ; -- Begin function _ZN7rocprim17ROCPRIM_400000_NS6detail17trampoline_kernelINS0_14default_configENS1_35radix_sort_onesweep_config_selectorIyNS0_10empty_typeEEEZNS1_34radix_sort_onesweep_global_offsetsIS3_Lb1EPyPS5_mNS0_19identity_decomposerEEE10hipError_tT1_T2_PT3_SE_jT4_jjP12ihipStream_tbEUlT_E0_NS1_11comp_targetILNS1_3genE4ELNS1_11target_archE910ELNS1_3gpuE8ELNS1_3repE0EEENS1_52radix_sort_onesweep_histogram_config_static_selectorELNS0_4arch9wavefront6targetE1EEEvSC_
	.globl	_ZN7rocprim17ROCPRIM_400000_NS6detail17trampoline_kernelINS0_14default_configENS1_35radix_sort_onesweep_config_selectorIyNS0_10empty_typeEEEZNS1_34radix_sort_onesweep_global_offsetsIS3_Lb1EPyPS5_mNS0_19identity_decomposerEEE10hipError_tT1_T2_PT3_SE_jT4_jjP12ihipStream_tbEUlT_E0_NS1_11comp_targetILNS1_3genE4ELNS1_11target_archE910ELNS1_3gpuE8ELNS1_3repE0EEENS1_52radix_sort_onesweep_histogram_config_static_selectorELNS0_4arch9wavefront6targetE1EEEvSC_
	.p2align	8
	.type	_ZN7rocprim17ROCPRIM_400000_NS6detail17trampoline_kernelINS0_14default_configENS1_35radix_sort_onesweep_config_selectorIyNS0_10empty_typeEEEZNS1_34radix_sort_onesweep_global_offsetsIS3_Lb1EPyPS5_mNS0_19identity_decomposerEEE10hipError_tT1_T2_PT3_SE_jT4_jjP12ihipStream_tbEUlT_E0_NS1_11comp_targetILNS1_3genE4ELNS1_11target_archE910ELNS1_3gpuE8ELNS1_3repE0EEENS1_52radix_sort_onesweep_histogram_config_static_selectorELNS0_4arch9wavefront6targetE1EEEvSC_,@function
_ZN7rocprim17ROCPRIM_400000_NS6detail17trampoline_kernelINS0_14default_configENS1_35radix_sort_onesweep_config_selectorIyNS0_10empty_typeEEEZNS1_34radix_sort_onesweep_global_offsetsIS3_Lb1EPyPS5_mNS0_19identity_decomposerEEE10hipError_tT1_T2_PT3_SE_jT4_jjP12ihipStream_tbEUlT_E0_NS1_11comp_targetILNS1_3genE4ELNS1_11target_archE910ELNS1_3gpuE8ELNS1_3repE0EEENS1_52radix_sort_onesweep_histogram_config_static_selectorELNS0_4arch9wavefront6targetE1EEEvSC_: ; @_ZN7rocprim17ROCPRIM_400000_NS6detail17trampoline_kernelINS0_14default_configENS1_35radix_sort_onesweep_config_selectorIyNS0_10empty_typeEEEZNS1_34radix_sort_onesweep_global_offsetsIS3_Lb1EPyPS5_mNS0_19identity_decomposerEEE10hipError_tT1_T2_PT3_SE_jT4_jjP12ihipStream_tbEUlT_E0_NS1_11comp_targetILNS1_3genE4ELNS1_11target_archE910ELNS1_3gpuE8ELNS1_3repE0EEENS1_52radix_sort_onesweep_histogram_config_static_selectorELNS0_4arch9wavefront6targetE1EEEvSC_
; %bb.0:
	s_load_dwordx2 s[0:1], s[4:5], 0x0
	s_lshl_b32 s2, s6, 8
	s_mov_b32 s3, 0
	s_lshl_b64 s[2:3], s[2:3], 3
	v_lshlrev_b32_e32 v5, 3, v0
	s_waitcnt lgkmcnt(0)
	s_add_u32 s14, s0, s2
	s_movk_i32 s0, 0x100
	s_addc_u32 s15, s1, s3
	v_cmp_gt_u32_e32 vcc, s0, v0
                                        ; implicit-def: $vgpr2_vgpr3
	s_and_saveexec_b64 s[0:1], vcc
	s_cbranch_execz .LBB2472_2
; %bb.1:
	global_load_dwordx2 v[2:3], v5, s[14:15]
.LBB2472_2:
	s_or_b64 exec, exec, s[0:1]
	s_waitcnt vmcnt(0)
	v_mov_b32_dpp v4, v2 row_shr:1 row_mask:0xf bank_mask:0xf
	v_add_co_u32_e64 v4, s[0:1], v2, v4
	v_mbcnt_lo_u32_b32 v1, -1, 0
	v_addc_co_u32_e64 v8, s[0:1], 0, v3, s[0:1]
	v_mbcnt_hi_u32_b32 v6, -1, v1
	v_mov_b32_dpp v7, v3 row_shr:1 row_mask:0xf bank_mask:0xf
	v_add_co_u32_e64 v9, s[0:1], 0, v4
	v_and_b32_e32 v1, 15, v6
	v_addc_co_u32_e64 v7, s[0:1], v7, v8, s[0:1]
	v_cmp_eq_u32_e64 s[0:1], 0, v1
	v_cndmask_b32_e64 v4, v4, v2, s[0:1]
	v_cndmask_b32_e64 v7, v7, v3, s[0:1]
	v_cndmask_b32_e64 v8, v9, v2, s[0:1]
	v_mov_b32_dpp v9, v4 row_shr:2 row_mask:0xf bank_mask:0xf
	v_mov_b32_dpp v10, v7 row_shr:2 row_mask:0xf bank_mask:0xf
	v_add_co_u32_e64 v9, s[2:3], v9, v8
	v_cmp_lt_u32_e64 s[4:5], 1, v1
	v_addc_co_u32_e64 v10, s[2:3], v10, v7, s[2:3]
	v_cndmask_b32_e64 v4, v4, v9, s[4:5]
	v_cndmask_b32_e64 v7, v7, v10, s[4:5]
	v_cndmask_b32_e64 v8, v8, v9, s[4:5]
	v_mov_b32_dpp v9, v4 row_shr:4 row_mask:0xf bank_mask:0xf
	v_mov_b32_dpp v10, v7 row_shr:4 row_mask:0xf bank_mask:0xf
	v_add_co_u32_e64 v9, s[2:3], v9, v8
	v_cmp_lt_u32_e64 s[6:7], 3, v1
	v_addc_co_u32_e64 v10, s[2:3], v10, v7, s[2:3]
	;; [unrolled: 8-line block ×3, first 2 shown]
	v_cndmask_b32_e64 v11, v4, v9, s[8:9]
	v_cndmask_b32_e64 v1, v7, v10, s[8:9]
	;; [unrolled: 1-line block ×3, first 2 shown]
	v_mov_b32_dpp v7, v11 row_bcast:15 row_mask:0xf bank_mask:0xf
	v_mov_b32_dpp v8, v1 row_bcast:15 row_mask:0xf bank_mask:0xf
	v_and_b32_e32 v10, 16, v6
	v_add_co_u32_e64 v7, s[2:3], v7, v4
	v_addc_co_u32_e64 v9, s[2:3], v8, v1, s[2:3]
	v_cmp_eq_u32_e64 s[10:11], 0, v10
	v_cndmask_b32_e64 v10, v9, v1, s[10:11]
	v_cndmask_b32_e64 v8, v7, v11, s[10:11]
	v_cmp_eq_u32_e64 s[2:3], 0, v6
	v_mov_b32_dpp v10, v10 row_bcast:31 row_mask:0xf bank_mask:0xf
	v_mov_b32_dpp v8, v8 row_bcast:31 row_mask:0xf bank_mask:0xf
	v_cmp_ne_u32_e64 s[12:13], 0, v6
	s_and_saveexec_b64 s[16:17], s[12:13]
; %bb.3:
	v_cndmask_b32_e64 v1, v9, v1, s[10:11]
	v_cndmask_b32_e64 v2, v7, v4, s[10:11]
	v_cmp_lt_u32_e64 s[10:11], 31, v6
	v_cndmask_b32_e64 v4, 0, v8, s[10:11]
	v_cndmask_b32_e64 v3, 0, v10, s[10:11]
	v_add_co_u32_e64 v2, s[10:11], v4, v2
	v_addc_co_u32_e64 v3, s[10:11], v3, v1, s[10:11]
; %bb.4:
	s_or_b64 exec, exec, s[16:17]
	v_and_b32_e32 v1, 63, v0
	v_lshrrev_b32_e32 v4, 6, v0
	v_cmp_eq_u32_e64 s[10:11], 63, v1
	s_and_saveexec_b64 s[12:13], s[10:11]
	s_cbranch_execz .LBB2472_6
; %bb.5:
	v_lshlrev_b32_e32 v1, 3, v4
	ds_write_b64 v1, v[2:3]
.LBB2472_6:
	s_or_b64 exec, exec, s[12:13]
	v_cmp_gt_u32_e64 s[10:11], 16, v0
	s_waitcnt lgkmcnt(0)
	s_barrier
	s_and_saveexec_b64 s[12:13], s[10:11]
	s_cbranch_execz .LBB2472_8
; %bb.7:
	ds_read_b64 v[8:9], v5
	s_waitcnt lgkmcnt(0)
	s_nop 0
	v_mov_b32_dpp v1, v8 row_shr:1 row_mask:0xf bank_mask:0xf
	v_add_co_u32_e64 v1, s[10:11], v8, v1
	v_addc_co_u32_e64 v10, s[10:11], 0, v9, s[10:11]
	v_mov_b32_dpp v7, v9 row_shr:1 row_mask:0xf bank_mask:0xf
	v_add_co_u32_e64 v11, s[10:11], 0, v1
	v_addc_co_u32_e64 v7, s[10:11], v7, v10, s[10:11]
	v_cndmask_b32_e64 v1, v1, v8, s[0:1]
	v_cndmask_b32_e64 v7, v7, v9, s[0:1]
	v_cndmask_b32_e64 v10, v11, v8, s[0:1]
	v_mov_b32_dpp v11, v1 row_shr:2 row_mask:0xf bank_mask:0xf
	v_mov_b32_dpp v12, v7 row_shr:2 row_mask:0xf bank_mask:0xf
	v_add_co_u32_e64 v11, s[10:11], v11, v10
	v_addc_co_u32_e64 v12, s[10:11], v12, v7, s[10:11]
	v_cndmask_b32_e64 v1, v1, v11, s[4:5]
	v_cndmask_b32_e64 v7, v7, v12, s[4:5]
	v_cndmask_b32_e64 v10, v10, v11, s[4:5]
	v_mov_b32_dpp v11, v1 row_shr:4 row_mask:0xf bank_mask:0xf
	;; [unrolled: 7-line block ×3, first 2 shown]
	v_mov_b32_dpp v12, v7 row_shr:8 row_mask:0xf bank_mask:0xf
	v_cndmask_b32_e64 v1, 0, v1, s[8:9]
	v_cndmask_b32_e64 v11, 0, v12, s[8:9]
	v_add_co_u32_e64 v1, s[4:5], v1, v10
	v_addc_co_u32_e64 v7, s[4:5], v11, v7, s[4:5]
	v_cndmask_b32_e64 v9, v7, v9, s[0:1]
	v_cndmask_b32_e64 v8, v1, v8, s[0:1]
	ds_write_b64 v5, v[8:9]
.LBB2472_8:
	s_or_b64 exec, exec, s[12:13]
	v_cmp_lt_u32_e64 s[0:1], 63, v0
	v_pk_mov_b32 v[0:1], 0, 0
	s_waitcnt lgkmcnt(0)
	s_barrier
	s_and_saveexec_b64 s[4:5], s[0:1]
	s_cbranch_execz .LBB2472_10
; %bb.9:
	v_lshl_add_u32 v0, v4, 3, -8
	ds_read_b64 v[0:1], v0
.LBB2472_10:
	s_or_b64 exec, exec, s[4:5]
	s_waitcnt lgkmcnt(0)
	v_add_co_u32_e64 v2, s[0:1], v0, v2
	v_addc_co_u32_e64 v3, s[0:1], v1, v3, s[0:1]
	v_add_u32_e32 v4, -1, v6
	v_and_b32_e32 v7, 64, v6
	v_cmp_lt_i32_e64 s[0:1], v4, v7
	v_cndmask_b32_e64 v4, v4, v6, s[0:1]
	v_lshlrev_b32_e32 v4, 2, v4
	ds_bpermute_b32 v2, v4, v2
	ds_bpermute_b32 v3, v4, v3
	s_and_saveexec_b64 s[0:1], vcc
	s_cbranch_execz .LBB2472_12
; %bb.11:
	s_waitcnt lgkmcnt(0)
	v_cndmask_b32_e64 v1, v3, v1, s[2:3]
	v_cndmask_b32_e64 v0, v2, v0, s[2:3]
	global_store_dwordx2 v5, v[0:1], s[14:15]
.LBB2472_12:
	s_endpgm
	.section	.rodata,"a",@progbits
	.p2align	6, 0x0
	.amdhsa_kernel _ZN7rocprim17ROCPRIM_400000_NS6detail17trampoline_kernelINS0_14default_configENS1_35radix_sort_onesweep_config_selectorIyNS0_10empty_typeEEEZNS1_34radix_sort_onesweep_global_offsetsIS3_Lb1EPyPS5_mNS0_19identity_decomposerEEE10hipError_tT1_T2_PT3_SE_jT4_jjP12ihipStream_tbEUlT_E0_NS1_11comp_targetILNS1_3genE4ELNS1_11target_archE910ELNS1_3gpuE8ELNS1_3repE0EEENS1_52radix_sort_onesweep_histogram_config_static_selectorELNS0_4arch9wavefront6targetE1EEEvSC_
		.amdhsa_group_segment_fixed_size 128
		.amdhsa_private_segment_fixed_size 0
		.amdhsa_kernarg_size 8
		.amdhsa_user_sgpr_count 6
		.amdhsa_user_sgpr_private_segment_buffer 1
		.amdhsa_user_sgpr_dispatch_ptr 0
		.amdhsa_user_sgpr_queue_ptr 0
		.amdhsa_user_sgpr_kernarg_segment_ptr 1
		.amdhsa_user_sgpr_dispatch_id 0
		.amdhsa_user_sgpr_flat_scratch_init 0
		.amdhsa_user_sgpr_kernarg_preload_length 0
		.amdhsa_user_sgpr_kernarg_preload_offset 0
		.amdhsa_user_sgpr_private_segment_size 0
		.amdhsa_uses_dynamic_stack 0
		.amdhsa_system_sgpr_private_segment_wavefront_offset 0
		.amdhsa_system_sgpr_workgroup_id_x 1
		.amdhsa_system_sgpr_workgroup_id_y 0
		.amdhsa_system_sgpr_workgroup_id_z 0
		.amdhsa_system_sgpr_workgroup_info 0
		.amdhsa_system_vgpr_workitem_id 0
		.amdhsa_next_free_vgpr 13
		.amdhsa_next_free_sgpr 18
		.amdhsa_accum_offset 16
		.amdhsa_reserve_vcc 1
		.amdhsa_reserve_flat_scratch 0
		.amdhsa_float_round_mode_32 0
		.amdhsa_float_round_mode_16_64 0
		.amdhsa_float_denorm_mode_32 3
		.amdhsa_float_denorm_mode_16_64 3
		.amdhsa_dx10_clamp 1
		.amdhsa_ieee_mode 1
		.amdhsa_fp16_overflow 0
		.amdhsa_tg_split 0
		.amdhsa_exception_fp_ieee_invalid_op 0
		.amdhsa_exception_fp_denorm_src 0
		.amdhsa_exception_fp_ieee_div_zero 0
		.amdhsa_exception_fp_ieee_overflow 0
		.amdhsa_exception_fp_ieee_underflow 0
		.amdhsa_exception_fp_ieee_inexact 0
		.amdhsa_exception_int_div_zero 0
	.end_amdhsa_kernel
	.section	.text._ZN7rocprim17ROCPRIM_400000_NS6detail17trampoline_kernelINS0_14default_configENS1_35radix_sort_onesweep_config_selectorIyNS0_10empty_typeEEEZNS1_34radix_sort_onesweep_global_offsetsIS3_Lb1EPyPS5_mNS0_19identity_decomposerEEE10hipError_tT1_T2_PT3_SE_jT4_jjP12ihipStream_tbEUlT_E0_NS1_11comp_targetILNS1_3genE4ELNS1_11target_archE910ELNS1_3gpuE8ELNS1_3repE0EEENS1_52radix_sort_onesweep_histogram_config_static_selectorELNS0_4arch9wavefront6targetE1EEEvSC_,"axG",@progbits,_ZN7rocprim17ROCPRIM_400000_NS6detail17trampoline_kernelINS0_14default_configENS1_35radix_sort_onesweep_config_selectorIyNS0_10empty_typeEEEZNS1_34radix_sort_onesweep_global_offsetsIS3_Lb1EPyPS5_mNS0_19identity_decomposerEEE10hipError_tT1_T2_PT3_SE_jT4_jjP12ihipStream_tbEUlT_E0_NS1_11comp_targetILNS1_3genE4ELNS1_11target_archE910ELNS1_3gpuE8ELNS1_3repE0EEENS1_52radix_sort_onesweep_histogram_config_static_selectorELNS0_4arch9wavefront6targetE1EEEvSC_,comdat
.Lfunc_end2472:
	.size	_ZN7rocprim17ROCPRIM_400000_NS6detail17trampoline_kernelINS0_14default_configENS1_35radix_sort_onesweep_config_selectorIyNS0_10empty_typeEEEZNS1_34radix_sort_onesweep_global_offsetsIS3_Lb1EPyPS5_mNS0_19identity_decomposerEEE10hipError_tT1_T2_PT3_SE_jT4_jjP12ihipStream_tbEUlT_E0_NS1_11comp_targetILNS1_3genE4ELNS1_11target_archE910ELNS1_3gpuE8ELNS1_3repE0EEENS1_52radix_sort_onesweep_histogram_config_static_selectorELNS0_4arch9wavefront6targetE1EEEvSC_, .Lfunc_end2472-_ZN7rocprim17ROCPRIM_400000_NS6detail17trampoline_kernelINS0_14default_configENS1_35radix_sort_onesweep_config_selectorIyNS0_10empty_typeEEEZNS1_34radix_sort_onesweep_global_offsetsIS3_Lb1EPyPS5_mNS0_19identity_decomposerEEE10hipError_tT1_T2_PT3_SE_jT4_jjP12ihipStream_tbEUlT_E0_NS1_11comp_targetILNS1_3genE4ELNS1_11target_archE910ELNS1_3gpuE8ELNS1_3repE0EEENS1_52radix_sort_onesweep_histogram_config_static_selectorELNS0_4arch9wavefront6targetE1EEEvSC_
                                        ; -- End function
	.section	.AMDGPU.csdata,"",@progbits
; Kernel info:
; codeLenInByte = 1012
; NumSgprs: 22
; NumVgprs: 13
; NumAgprs: 0
; TotalNumVgprs: 13
; ScratchSize: 0
; MemoryBound: 0
; FloatMode: 240
; IeeeMode: 1
; LDSByteSize: 128 bytes/workgroup (compile time only)
; SGPRBlocks: 2
; VGPRBlocks: 1
; NumSGPRsForWavesPerEU: 22
; NumVGPRsForWavesPerEU: 13
; AccumOffset: 16
; Occupancy: 8
; WaveLimiterHint : 0
; COMPUTE_PGM_RSRC2:SCRATCH_EN: 0
; COMPUTE_PGM_RSRC2:USER_SGPR: 6
; COMPUTE_PGM_RSRC2:TRAP_HANDLER: 0
; COMPUTE_PGM_RSRC2:TGID_X_EN: 1
; COMPUTE_PGM_RSRC2:TGID_Y_EN: 0
; COMPUTE_PGM_RSRC2:TGID_Z_EN: 0
; COMPUTE_PGM_RSRC2:TIDIG_COMP_CNT: 0
; COMPUTE_PGM_RSRC3_GFX90A:ACCUM_OFFSET: 3
; COMPUTE_PGM_RSRC3_GFX90A:TG_SPLIT: 0
	.section	.text._ZN7rocprim17ROCPRIM_400000_NS6detail17trampoline_kernelINS0_14default_configENS1_35radix_sort_onesweep_config_selectorIyNS0_10empty_typeEEEZNS1_34radix_sort_onesweep_global_offsetsIS3_Lb1EPyPS5_mNS0_19identity_decomposerEEE10hipError_tT1_T2_PT3_SE_jT4_jjP12ihipStream_tbEUlT_E0_NS1_11comp_targetILNS1_3genE3ELNS1_11target_archE908ELNS1_3gpuE7ELNS1_3repE0EEENS1_52radix_sort_onesweep_histogram_config_static_selectorELNS0_4arch9wavefront6targetE1EEEvSC_,"axG",@progbits,_ZN7rocprim17ROCPRIM_400000_NS6detail17trampoline_kernelINS0_14default_configENS1_35radix_sort_onesweep_config_selectorIyNS0_10empty_typeEEEZNS1_34radix_sort_onesweep_global_offsetsIS3_Lb1EPyPS5_mNS0_19identity_decomposerEEE10hipError_tT1_T2_PT3_SE_jT4_jjP12ihipStream_tbEUlT_E0_NS1_11comp_targetILNS1_3genE3ELNS1_11target_archE908ELNS1_3gpuE7ELNS1_3repE0EEENS1_52radix_sort_onesweep_histogram_config_static_selectorELNS0_4arch9wavefront6targetE1EEEvSC_,comdat
	.protected	_ZN7rocprim17ROCPRIM_400000_NS6detail17trampoline_kernelINS0_14default_configENS1_35radix_sort_onesweep_config_selectorIyNS0_10empty_typeEEEZNS1_34radix_sort_onesweep_global_offsetsIS3_Lb1EPyPS5_mNS0_19identity_decomposerEEE10hipError_tT1_T2_PT3_SE_jT4_jjP12ihipStream_tbEUlT_E0_NS1_11comp_targetILNS1_3genE3ELNS1_11target_archE908ELNS1_3gpuE7ELNS1_3repE0EEENS1_52radix_sort_onesweep_histogram_config_static_selectorELNS0_4arch9wavefront6targetE1EEEvSC_ ; -- Begin function _ZN7rocprim17ROCPRIM_400000_NS6detail17trampoline_kernelINS0_14default_configENS1_35radix_sort_onesweep_config_selectorIyNS0_10empty_typeEEEZNS1_34radix_sort_onesweep_global_offsetsIS3_Lb1EPyPS5_mNS0_19identity_decomposerEEE10hipError_tT1_T2_PT3_SE_jT4_jjP12ihipStream_tbEUlT_E0_NS1_11comp_targetILNS1_3genE3ELNS1_11target_archE908ELNS1_3gpuE7ELNS1_3repE0EEENS1_52radix_sort_onesweep_histogram_config_static_selectorELNS0_4arch9wavefront6targetE1EEEvSC_
	.globl	_ZN7rocprim17ROCPRIM_400000_NS6detail17trampoline_kernelINS0_14default_configENS1_35radix_sort_onesweep_config_selectorIyNS0_10empty_typeEEEZNS1_34radix_sort_onesweep_global_offsetsIS3_Lb1EPyPS5_mNS0_19identity_decomposerEEE10hipError_tT1_T2_PT3_SE_jT4_jjP12ihipStream_tbEUlT_E0_NS1_11comp_targetILNS1_3genE3ELNS1_11target_archE908ELNS1_3gpuE7ELNS1_3repE0EEENS1_52radix_sort_onesweep_histogram_config_static_selectorELNS0_4arch9wavefront6targetE1EEEvSC_
	.p2align	8
	.type	_ZN7rocprim17ROCPRIM_400000_NS6detail17trampoline_kernelINS0_14default_configENS1_35radix_sort_onesweep_config_selectorIyNS0_10empty_typeEEEZNS1_34radix_sort_onesweep_global_offsetsIS3_Lb1EPyPS5_mNS0_19identity_decomposerEEE10hipError_tT1_T2_PT3_SE_jT4_jjP12ihipStream_tbEUlT_E0_NS1_11comp_targetILNS1_3genE3ELNS1_11target_archE908ELNS1_3gpuE7ELNS1_3repE0EEENS1_52radix_sort_onesweep_histogram_config_static_selectorELNS0_4arch9wavefront6targetE1EEEvSC_,@function
_ZN7rocprim17ROCPRIM_400000_NS6detail17trampoline_kernelINS0_14default_configENS1_35radix_sort_onesweep_config_selectorIyNS0_10empty_typeEEEZNS1_34radix_sort_onesweep_global_offsetsIS3_Lb1EPyPS5_mNS0_19identity_decomposerEEE10hipError_tT1_T2_PT3_SE_jT4_jjP12ihipStream_tbEUlT_E0_NS1_11comp_targetILNS1_3genE3ELNS1_11target_archE908ELNS1_3gpuE7ELNS1_3repE0EEENS1_52radix_sort_onesweep_histogram_config_static_selectorELNS0_4arch9wavefront6targetE1EEEvSC_: ; @_ZN7rocprim17ROCPRIM_400000_NS6detail17trampoline_kernelINS0_14default_configENS1_35radix_sort_onesweep_config_selectorIyNS0_10empty_typeEEEZNS1_34radix_sort_onesweep_global_offsetsIS3_Lb1EPyPS5_mNS0_19identity_decomposerEEE10hipError_tT1_T2_PT3_SE_jT4_jjP12ihipStream_tbEUlT_E0_NS1_11comp_targetILNS1_3genE3ELNS1_11target_archE908ELNS1_3gpuE7ELNS1_3repE0EEENS1_52radix_sort_onesweep_histogram_config_static_selectorELNS0_4arch9wavefront6targetE1EEEvSC_
; %bb.0:
	.section	.rodata,"a",@progbits
	.p2align	6, 0x0
	.amdhsa_kernel _ZN7rocprim17ROCPRIM_400000_NS6detail17trampoline_kernelINS0_14default_configENS1_35radix_sort_onesweep_config_selectorIyNS0_10empty_typeEEEZNS1_34radix_sort_onesweep_global_offsetsIS3_Lb1EPyPS5_mNS0_19identity_decomposerEEE10hipError_tT1_T2_PT3_SE_jT4_jjP12ihipStream_tbEUlT_E0_NS1_11comp_targetILNS1_3genE3ELNS1_11target_archE908ELNS1_3gpuE7ELNS1_3repE0EEENS1_52radix_sort_onesweep_histogram_config_static_selectorELNS0_4arch9wavefront6targetE1EEEvSC_
		.amdhsa_group_segment_fixed_size 0
		.amdhsa_private_segment_fixed_size 0
		.amdhsa_kernarg_size 8
		.amdhsa_user_sgpr_count 6
		.amdhsa_user_sgpr_private_segment_buffer 1
		.amdhsa_user_sgpr_dispatch_ptr 0
		.amdhsa_user_sgpr_queue_ptr 0
		.amdhsa_user_sgpr_kernarg_segment_ptr 1
		.amdhsa_user_sgpr_dispatch_id 0
		.amdhsa_user_sgpr_flat_scratch_init 0
		.amdhsa_user_sgpr_kernarg_preload_length 0
		.amdhsa_user_sgpr_kernarg_preload_offset 0
		.amdhsa_user_sgpr_private_segment_size 0
		.amdhsa_uses_dynamic_stack 0
		.amdhsa_system_sgpr_private_segment_wavefront_offset 0
		.amdhsa_system_sgpr_workgroup_id_x 1
		.amdhsa_system_sgpr_workgroup_id_y 0
		.amdhsa_system_sgpr_workgroup_id_z 0
		.amdhsa_system_sgpr_workgroup_info 0
		.amdhsa_system_vgpr_workitem_id 0
		.amdhsa_next_free_vgpr 1
		.amdhsa_next_free_sgpr 0
		.amdhsa_accum_offset 4
		.amdhsa_reserve_vcc 0
		.amdhsa_reserve_flat_scratch 0
		.amdhsa_float_round_mode_32 0
		.amdhsa_float_round_mode_16_64 0
		.amdhsa_float_denorm_mode_32 3
		.amdhsa_float_denorm_mode_16_64 3
		.amdhsa_dx10_clamp 1
		.amdhsa_ieee_mode 1
		.amdhsa_fp16_overflow 0
		.amdhsa_tg_split 0
		.amdhsa_exception_fp_ieee_invalid_op 0
		.amdhsa_exception_fp_denorm_src 0
		.amdhsa_exception_fp_ieee_div_zero 0
		.amdhsa_exception_fp_ieee_overflow 0
		.amdhsa_exception_fp_ieee_underflow 0
		.amdhsa_exception_fp_ieee_inexact 0
		.amdhsa_exception_int_div_zero 0
	.end_amdhsa_kernel
	.section	.text._ZN7rocprim17ROCPRIM_400000_NS6detail17trampoline_kernelINS0_14default_configENS1_35radix_sort_onesweep_config_selectorIyNS0_10empty_typeEEEZNS1_34radix_sort_onesweep_global_offsetsIS3_Lb1EPyPS5_mNS0_19identity_decomposerEEE10hipError_tT1_T2_PT3_SE_jT4_jjP12ihipStream_tbEUlT_E0_NS1_11comp_targetILNS1_3genE3ELNS1_11target_archE908ELNS1_3gpuE7ELNS1_3repE0EEENS1_52radix_sort_onesweep_histogram_config_static_selectorELNS0_4arch9wavefront6targetE1EEEvSC_,"axG",@progbits,_ZN7rocprim17ROCPRIM_400000_NS6detail17trampoline_kernelINS0_14default_configENS1_35radix_sort_onesweep_config_selectorIyNS0_10empty_typeEEEZNS1_34radix_sort_onesweep_global_offsetsIS3_Lb1EPyPS5_mNS0_19identity_decomposerEEE10hipError_tT1_T2_PT3_SE_jT4_jjP12ihipStream_tbEUlT_E0_NS1_11comp_targetILNS1_3genE3ELNS1_11target_archE908ELNS1_3gpuE7ELNS1_3repE0EEENS1_52radix_sort_onesweep_histogram_config_static_selectorELNS0_4arch9wavefront6targetE1EEEvSC_,comdat
.Lfunc_end2473:
	.size	_ZN7rocprim17ROCPRIM_400000_NS6detail17trampoline_kernelINS0_14default_configENS1_35radix_sort_onesweep_config_selectorIyNS0_10empty_typeEEEZNS1_34radix_sort_onesweep_global_offsetsIS3_Lb1EPyPS5_mNS0_19identity_decomposerEEE10hipError_tT1_T2_PT3_SE_jT4_jjP12ihipStream_tbEUlT_E0_NS1_11comp_targetILNS1_3genE3ELNS1_11target_archE908ELNS1_3gpuE7ELNS1_3repE0EEENS1_52radix_sort_onesweep_histogram_config_static_selectorELNS0_4arch9wavefront6targetE1EEEvSC_, .Lfunc_end2473-_ZN7rocprim17ROCPRIM_400000_NS6detail17trampoline_kernelINS0_14default_configENS1_35radix_sort_onesweep_config_selectorIyNS0_10empty_typeEEEZNS1_34radix_sort_onesweep_global_offsetsIS3_Lb1EPyPS5_mNS0_19identity_decomposerEEE10hipError_tT1_T2_PT3_SE_jT4_jjP12ihipStream_tbEUlT_E0_NS1_11comp_targetILNS1_3genE3ELNS1_11target_archE908ELNS1_3gpuE7ELNS1_3repE0EEENS1_52radix_sort_onesweep_histogram_config_static_selectorELNS0_4arch9wavefront6targetE1EEEvSC_
                                        ; -- End function
	.section	.AMDGPU.csdata,"",@progbits
; Kernel info:
; codeLenInByte = 0
; NumSgprs: 4
; NumVgprs: 0
; NumAgprs: 0
; TotalNumVgprs: 0
; ScratchSize: 0
; MemoryBound: 0
; FloatMode: 240
; IeeeMode: 1
; LDSByteSize: 0 bytes/workgroup (compile time only)
; SGPRBlocks: 0
; VGPRBlocks: 0
; NumSGPRsForWavesPerEU: 4
; NumVGPRsForWavesPerEU: 1
; AccumOffset: 4
; Occupancy: 8
; WaveLimiterHint : 0
; COMPUTE_PGM_RSRC2:SCRATCH_EN: 0
; COMPUTE_PGM_RSRC2:USER_SGPR: 6
; COMPUTE_PGM_RSRC2:TRAP_HANDLER: 0
; COMPUTE_PGM_RSRC2:TGID_X_EN: 1
; COMPUTE_PGM_RSRC2:TGID_Y_EN: 0
; COMPUTE_PGM_RSRC2:TGID_Z_EN: 0
; COMPUTE_PGM_RSRC2:TIDIG_COMP_CNT: 0
; COMPUTE_PGM_RSRC3_GFX90A:ACCUM_OFFSET: 0
; COMPUTE_PGM_RSRC3_GFX90A:TG_SPLIT: 0
	.section	.text._ZN7rocprim17ROCPRIM_400000_NS6detail17trampoline_kernelINS0_14default_configENS1_35radix_sort_onesweep_config_selectorIyNS0_10empty_typeEEEZNS1_34radix_sort_onesweep_global_offsetsIS3_Lb1EPyPS5_mNS0_19identity_decomposerEEE10hipError_tT1_T2_PT3_SE_jT4_jjP12ihipStream_tbEUlT_E0_NS1_11comp_targetILNS1_3genE10ELNS1_11target_archE1201ELNS1_3gpuE5ELNS1_3repE0EEENS1_52radix_sort_onesweep_histogram_config_static_selectorELNS0_4arch9wavefront6targetE1EEEvSC_,"axG",@progbits,_ZN7rocprim17ROCPRIM_400000_NS6detail17trampoline_kernelINS0_14default_configENS1_35radix_sort_onesweep_config_selectorIyNS0_10empty_typeEEEZNS1_34radix_sort_onesweep_global_offsetsIS3_Lb1EPyPS5_mNS0_19identity_decomposerEEE10hipError_tT1_T2_PT3_SE_jT4_jjP12ihipStream_tbEUlT_E0_NS1_11comp_targetILNS1_3genE10ELNS1_11target_archE1201ELNS1_3gpuE5ELNS1_3repE0EEENS1_52radix_sort_onesweep_histogram_config_static_selectorELNS0_4arch9wavefront6targetE1EEEvSC_,comdat
	.protected	_ZN7rocprim17ROCPRIM_400000_NS6detail17trampoline_kernelINS0_14default_configENS1_35radix_sort_onesweep_config_selectorIyNS0_10empty_typeEEEZNS1_34radix_sort_onesweep_global_offsetsIS3_Lb1EPyPS5_mNS0_19identity_decomposerEEE10hipError_tT1_T2_PT3_SE_jT4_jjP12ihipStream_tbEUlT_E0_NS1_11comp_targetILNS1_3genE10ELNS1_11target_archE1201ELNS1_3gpuE5ELNS1_3repE0EEENS1_52radix_sort_onesweep_histogram_config_static_selectorELNS0_4arch9wavefront6targetE1EEEvSC_ ; -- Begin function _ZN7rocprim17ROCPRIM_400000_NS6detail17trampoline_kernelINS0_14default_configENS1_35radix_sort_onesweep_config_selectorIyNS0_10empty_typeEEEZNS1_34radix_sort_onesweep_global_offsetsIS3_Lb1EPyPS5_mNS0_19identity_decomposerEEE10hipError_tT1_T2_PT3_SE_jT4_jjP12ihipStream_tbEUlT_E0_NS1_11comp_targetILNS1_3genE10ELNS1_11target_archE1201ELNS1_3gpuE5ELNS1_3repE0EEENS1_52radix_sort_onesweep_histogram_config_static_selectorELNS0_4arch9wavefront6targetE1EEEvSC_
	.globl	_ZN7rocprim17ROCPRIM_400000_NS6detail17trampoline_kernelINS0_14default_configENS1_35radix_sort_onesweep_config_selectorIyNS0_10empty_typeEEEZNS1_34radix_sort_onesweep_global_offsetsIS3_Lb1EPyPS5_mNS0_19identity_decomposerEEE10hipError_tT1_T2_PT3_SE_jT4_jjP12ihipStream_tbEUlT_E0_NS1_11comp_targetILNS1_3genE10ELNS1_11target_archE1201ELNS1_3gpuE5ELNS1_3repE0EEENS1_52radix_sort_onesweep_histogram_config_static_selectorELNS0_4arch9wavefront6targetE1EEEvSC_
	.p2align	8
	.type	_ZN7rocprim17ROCPRIM_400000_NS6detail17trampoline_kernelINS0_14default_configENS1_35radix_sort_onesweep_config_selectorIyNS0_10empty_typeEEEZNS1_34radix_sort_onesweep_global_offsetsIS3_Lb1EPyPS5_mNS0_19identity_decomposerEEE10hipError_tT1_T2_PT3_SE_jT4_jjP12ihipStream_tbEUlT_E0_NS1_11comp_targetILNS1_3genE10ELNS1_11target_archE1201ELNS1_3gpuE5ELNS1_3repE0EEENS1_52radix_sort_onesweep_histogram_config_static_selectorELNS0_4arch9wavefront6targetE1EEEvSC_,@function
_ZN7rocprim17ROCPRIM_400000_NS6detail17trampoline_kernelINS0_14default_configENS1_35radix_sort_onesweep_config_selectorIyNS0_10empty_typeEEEZNS1_34radix_sort_onesweep_global_offsetsIS3_Lb1EPyPS5_mNS0_19identity_decomposerEEE10hipError_tT1_T2_PT3_SE_jT4_jjP12ihipStream_tbEUlT_E0_NS1_11comp_targetILNS1_3genE10ELNS1_11target_archE1201ELNS1_3gpuE5ELNS1_3repE0EEENS1_52radix_sort_onesweep_histogram_config_static_selectorELNS0_4arch9wavefront6targetE1EEEvSC_: ; @_ZN7rocprim17ROCPRIM_400000_NS6detail17trampoline_kernelINS0_14default_configENS1_35radix_sort_onesweep_config_selectorIyNS0_10empty_typeEEEZNS1_34radix_sort_onesweep_global_offsetsIS3_Lb1EPyPS5_mNS0_19identity_decomposerEEE10hipError_tT1_T2_PT3_SE_jT4_jjP12ihipStream_tbEUlT_E0_NS1_11comp_targetILNS1_3genE10ELNS1_11target_archE1201ELNS1_3gpuE5ELNS1_3repE0EEENS1_52radix_sort_onesweep_histogram_config_static_selectorELNS0_4arch9wavefront6targetE1EEEvSC_
; %bb.0:
	.section	.rodata,"a",@progbits
	.p2align	6, 0x0
	.amdhsa_kernel _ZN7rocprim17ROCPRIM_400000_NS6detail17trampoline_kernelINS0_14default_configENS1_35radix_sort_onesweep_config_selectorIyNS0_10empty_typeEEEZNS1_34radix_sort_onesweep_global_offsetsIS3_Lb1EPyPS5_mNS0_19identity_decomposerEEE10hipError_tT1_T2_PT3_SE_jT4_jjP12ihipStream_tbEUlT_E0_NS1_11comp_targetILNS1_3genE10ELNS1_11target_archE1201ELNS1_3gpuE5ELNS1_3repE0EEENS1_52radix_sort_onesweep_histogram_config_static_selectorELNS0_4arch9wavefront6targetE1EEEvSC_
		.amdhsa_group_segment_fixed_size 0
		.amdhsa_private_segment_fixed_size 0
		.amdhsa_kernarg_size 8
		.amdhsa_user_sgpr_count 6
		.amdhsa_user_sgpr_private_segment_buffer 1
		.amdhsa_user_sgpr_dispatch_ptr 0
		.amdhsa_user_sgpr_queue_ptr 0
		.amdhsa_user_sgpr_kernarg_segment_ptr 1
		.amdhsa_user_sgpr_dispatch_id 0
		.amdhsa_user_sgpr_flat_scratch_init 0
		.amdhsa_user_sgpr_kernarg_preload_length 0
		.amdhsa_user_sgpr_kernarg_preload_offset 0
		.amdhsa_user_sgpr_private_segment_size 0
		.amdhsa_uses_dynamic_stack 0
		.amdhsa_system_sgpr_private_segment_wavefront_offset 0
		.amdhsa_system_sgpr_workgroup_id_x 1
		.amdhsa_system_sgpr_workgroup_id_y 0
		.amdhsa_system_sgpr_workgroup_id_z 0
		.amdhsa_system_sgpr_workgroup_info 0
		.amdhsa_system_vgpr_workitem_id 0
		.amdhsa_next_free_vgpr 1
		.amdhsa_next_free_sgpr 0
		.amdhsa_accum_offset 4
		.amdhsa_reserve_vcc 0
		.amdhsa_reserve_flat_scratch 0
		.amdhsa_float_round_mode_32 0
		.amdhsa_float_round_mode_16_64 0
		.amdhsa_float_denorm_mode_32 3
		.amdhsa_float_denorm_mode_16_64 3
		.amdhsa_dx10_clamp 1
		.amdhsa_ieee_mode 1
		.amdhsa_fp16_overflow 0
		.amdhsa_tg_split 0
		.amdhsa_exception_fp_ieee_invalid_op 0
		.amdhsa_exception_fp_denorm_src 0
		.amdhsa_exception_fp_ieee_div_zero 0
		.amdhsa_exception_fp_ieee_overflow 0
		.amdhsa_exception_fp_ieee_underflow 0
		.amdhsa_exception_fp_ieee_inexact 0
		.amdhsa_exception_int_div_zero 0
	.end_amdhsa_kernel
	.section	.text._ZN7rocprim17ROCPRIM_400000_NS6detail17trampoline_kernelINS0_14default_configENS1_35radix_sort_onesweep_config_selectorIyNS0_10empty_typeEEEZNS1_34radix_sort_onesweep_global_offsetsIS3_Lb1EPyPS5_mNS0_19identity_decomposerEEE10hipError_tT1_T2_PT3_SE_jT4_jjP12ihipStream_tbEUlT_E0_NS1_11comp_targetILNS1_3genE10ELNS1_11target_archE1201ELNS1_3gpuE5ELNS1_3repE0EEENS1_52radix_sort_onesweep_histogram_config_static_selectorELNS0_4arch9wavefront6targetE1EEEvSC_,"axG",@progbits,_ZN7rocprim17ROCPRIM_400000_NS6detail17trampoline_kernelINS0_14default_configENS1_35radix_sort_onesweep_config_selectorIyNS0_10empty_typeEEEZNS1_34radix_sort_onesweep_global_offsetsIS3_Lb1EPyPS5_mNS0_19identity_decomposerEEE10hipError_tT1_T2_PT3_SE_jT4_jjP12ihipStream_tbEUlT_E0_NS1_11comp_targetILNS1_3genE10ELNS1_11target_archE1201ELNS1_3gpuE5ELNS1_3repE0EEENS1_52radix_sort_onesweep_histogram_config_static_selectorELNS0_4arch9wavefront6targetE1EEEvSC_,comdat
.Lfunc_end2474:
	.size	_ZN7rocprim17ROCPRIM_400000_NS6detail17trampoline_kernelINS0_14default_configENS1_35radix_sort_onesweep_config_selectorIyNS0_10empty_typeEEEZNS1_34radix_sort_onesweep_global_offsetsIS3_Lb1EPyPS5_mNS0_19identity_decomposerEEE10hipError_tT1_T2_PT3_SE_jT4_jjP12ihipStream_tbEUlT_E0_NS1_11comp_targetILNS1_3genE10ELNS1_11target_archE1201ELNS1_3gpuE5ELNS1_3repE0EEENS1_52radix_sort_onesweep_histogram_config_static_selectorELNS0_4arch9wavefront6targetE1EEEvSC_, .Lfunc_end2474-_ZN7rocprim17ROCPRIM_400000_NS6detail17trampoline_kernelINS0_14default_configENS1_35radix_sort_onesweep_config_selectorIyNS0_10empty_typeEEEZNS1_34radix_sort_onesweep_global_offsetsIS3_Lb1EPyPS5_mNS0_19identity_decomposerEEE10hipError_tT1_T2_PT3_SE_jT4_jjP12ihipStream_tbEUlT_E0_NS1_11comp_targetILNS1_3genE10ELNS1_11target_archE1201ELNS1_3gpuE5ELNS1_3repE0EEENS1_52radix_sort_onesweep_histogram_config_static_selectorELNS0_4arch9wavefront6targetE1EEEvSC_
                                        ; -- End function
	.section	.AMDGPU.csdata,"",@progbits
; Kernel info:
; codeLenInByte = 0
; NumSgprs: 4
; NumVgprs: 0
; NumAgprs: 0
; TotalNumVgprs: 0
; ScratchSize: 0
; MemoryBound: 0
; FloatMode: 240
; IeeeMode: 1
; LDSByteSize: 0 bytes/workgroup (compile time only)
; SGPRBlocks: 0
; VGPRBlocks: 0
; NumSGPRsForWavesPerEU: 4
; NumVGPRsForWavesPerEU: 1
; AccumOffset: 4
; Occupancy: 8
; WaveLimiterHint : 0
; COMPUTE_PGM_RSRC2:SCRATCH_EN: 0
; COMPUTE_PGM_RSRC2:USER_SGPR: 6
; COMPUTE_PGM_RSRC2:TRAP_HANDLER: 0
; COMPUTE_PGM_RSRC2:TGID_X_EN: 1
; COMPUTE_PGM_RSRC2:TGID_Y_EN: 0
; COMPUTE_PGM_RSRC2:TGID_Z_EN: 0
; COMPUTE_PGM_RSRC2:TIDIG_COMP_CNT: 0
; COMPUTE_PGM_RSRC3_GFX90A:ACCUM_OFFSET: 0
; COMPUTE_PGM_RSRC3_GFX90A:TG_SPLIT: 0
	.section	.text._ZN7rocprim17ROCPRIM_400000_NS6detail17trampoline_kernelINS0_14default_configENS1_35radix_sort_onesweep_config_selectorIyNS0_10empty_typeEEEZNS1_34radix_sort_onesweep_global_offsetsIS3_Lb1EPyPS5_mNS0_19identity_decomposerEEE10hipError_tT1_T2_PT3_SE_jT4_jjP12ihipStream_tbEUlT_E0_NS1_11comp_targetILNS1_3genE9ELNS1_11target_archE1100ELNS1_3gpuE3ELNS1_3repE0EEENS1_52radix_sort_onesweep_histogram_config_static_selectorELNS0_4arch9wavefront6targetE1EEEvSC_,"axG",@progbits,_ZN7rocprim17ROCPRIM_400000_NS6detail17trampoline_kernelINS0_14default_configENS1_35radix_sort_onesweep_config_selectorIyNS0_10empty_typeEEEZNS1_34radix_sort_onesweep_global_offsetsIS3_Lb1EPyPS5_mNS0_19identity_decomposerEEE10hipError_tT1_T2_PT3_SE_jT4_jjP12ihipStream_tbEUlT_E0_NS1_11comp_targetILNS1_3genE9ELNS1_11target_archE1100ELNS1_3gpuE3ELNS1_3repE0EEENS1_52radix_sort_onesweep_histogram_config_static_selectorELNS0_4arch9wavefront6targetE1EEEvSC_,comdat
	.protected	_ZN7rocprim17ROCPRIM_400000_NS6detail17trampoline_kernelINS0_14default_configENS1_35radix_sort_onesweep_config_selectorIyNS0_10empty_typeEEEZNS1_34radix_sort_onesweep_global_offsetsIS3_Lb1EPyPS5_mNS0_19identity_decomposerEEE10hipError_tT1_T2_PT3_SE_jT4_jjP12ihipStream_tbEUlT_E0_NS1_11comp_targetILNS1_3genE9ELNS1_11target_archE1100ELNS1_3gpuE3ELNS1_3repE0EEENS1_52radix_sort_onesweep_histogram_config_static_selectorELNS0_4arch9wavefront6targetE1EEEvSC_ ; -- Begin function _ZN7rocprim17ROCPRIM_400000_NS6detail17trampoline_kernelINS0_14default_configENS1_35radix_sort_onesweep_config_selectorIyNS0_10empty_typeEEEZNS1_34radix_sort_onesweep_global_offsetsIS3_Lb1EPyPS5_mNS0_19identity_decomposerEEE10hipError_tT1_T2_PT3_SE_jT4_jjP12ihipStream_tbEUlT_E0_NS1_11comp_targetILNS1_3genE9ELNS1_11target_archE1100ELNS1_3gpuE3ELNS1_3repE0EEENS1_52radix_sort_onesweep_histogram_config_static_selectorELNS0_4arch9wavefront6targetE1EEEvSC_
	.globl	_ZN7rocprim17ROCPRIM_400000_NS6detail17trampoline_kernelINS0_14default_configENS1_35radix_sort_onesweep_config_selectorIyNS0_10empty_typeEEEZNS1_34radix_sort_onesweep_global_offsetsIS3_Lb1EPyPS5_mNS0_19identity_decomposerEEE10hipError_tT1_T2_PT3_SE_jT4_jjP12ihipStream_tbEUlT_E0_NS1_11comp_targetILNS1_3genE9ELNS1_11target_archE1100ELNS1_3gpuE3ELNS1_3repE0EEENS1_52radix_sort_onesweep_histogram_config_static_selectorELNS0_4arch9wavefront6targetE1EEEvSC_
	.p2align	8
	.type	_ZN7rocprim17ROCPRIM_400000_NS6detail17trampoline_kernelINS0_14default_configENS1_35radix_sort_onesweep_config_selectorIyNS0_10empty_typeEEEZNS1_34radix_sort_onesweep_global_offsetsIS3_Lb1EPyPS5_mNS0_19identity_decomposerEEE10hipError_tT1_T2_PT3_SE_jT4_jjP12ihipStream_tbEUlT_E0_NS1_11comp_targetILNS1_3genE9ELNS1_11target_archE1100ELNS1_3gpuE3ELNS1_3repE0EEENS1_52radix_sort_onesweep_histogram_config_static_selectorELNS0_4arch9wavefront6targetE1EEEvSC_,@function
_ZN7rocprim17ROCPRIM_400000_NS6detail17trampoline_kernelINS0_14default_configENS1_35radix_sort_onesweep_config_selectorIyNS0_10empty_typeEEEZNS1_34radix_sort_onesweep_global_offsetsIS3_Lb1EPyPS5_mNS0_19identity_decomposerEEE10hipError_tT1_T2_PT3_SE_jT4_jjP12ihipStream_tbEUlT_E0_NS1_11comp_targetILNS1_3genE9ELNS1_11target_archE1100ELNS1_3gpuE3ELNS1_3repE0EEENS1_52radix_sort_onesweep_histogram_config_static_selectorELNS0_4arch9wavefront6targetE1EEEvSC_: ; @_ZN7rocprim17ROCPRIM_400000_NS6detail17trampoline_kernelINS0_14default_configENS1_35radix_sort_onesweep_config_selectorIyNS0_10empty_typeEEEZNS1_34radix_sort_onesweep_global_offsetsIS3_Lb1EPyPS5_mNS0_19identity_decomposerEEE10hipError_tT1_T2_PT3_SE_jT4_jjP12ihipStream_tbEUlT_E0_NS1_11comp_targetILNS1_3genE9ELNS1_11target_archE1100ELNS1_3gpuE3ELNS1_3repE0EEENS1_52radix_sort_onesweep_histogram_config_static_selectorELNS0_4arch9wavefront6targetE1EEEvSC_
; %bb.0:
	.section	.rodata,"a",@progbits
	.p2align	6, 0x0
	.amdhsa_kernel _ZN7rocprim17ROCPRIM_400000_NS6detail17trampoline_kernelINS0_14default_configENS1_35radix_sort_onesweep_config_selectorIyNS0_10empty_typeEEEZNS1_34radix_sort_onesweep_global_offsetsIS3_Lb1EPyPS5_mNS0_19identity_decomposerEEE10hipError_tT1_T2_PT3_SE_jT4_jjP12ihipStream_tbEUlT_E0_NS1_11comp_targetILNS1_3genE9ELNS1_11target_archE1100ELNS1_3gpuE3ELNS1_3repE0EEENS1_52radix_sort_onesweep_histogram_config_static_selectorELNS0_4arch9wavefront6targetE1EEEvSC_
		.amdhsa_group_segment_fixed_size 0
		.amdhsa_private_segment_fixed_size 0
		.amdhsa_kernarg_size 8
		.amdhsa_user_sgpr_count 6
		.amdhsa_user_sgpr_private_segment_buffer 1
		.amdhsa_user_sgpr_dispatch_ptr 0
		.amdhsa_user_sgpr_queue_ptr 0
		.amdhsa_user_sgpr_kernarg_segment_ptr 1
		.amdhsa_user_sgpr_dispatch_id 0
		.amdhsa_user_sgpr_flat_scratch_init 0
		.amdhsa_user_sgpr_kernarg_preload_length 0
		.amdhsa_user_sgpr_kernarg_preload_offset 0
		.amdhsa_user_sgpr_private_segment_size 0
		.amdhsa_uses_dynamic_stack 0
		.amdhsa_system_sgpr_private_segment_wavefront_offset 0
		.amdhsa_system_sgpr_workgroup_id_x 1
		.amdhsa_system_sgpr_workgroup_id_y 0
		.amdhsa_system_sgpr_workgroup_id_z 0
		.amdhsa_system_sgpr_workgroup_info 0
		.amdhsa_system_vgpr_workitem_id 0
		.amdhsa_next_free_vgpr 1
		.amdhsa_next_free_sgpr 0
		.amdhsa_accum_offset 4
		.amdhsa_reserve_vcc 0
		.amdhsa_reserve_flat_scratch 0
		.amdhsa_float_round_mode_32 0
		.amdhsa_float_round_mode_16_64 0
		.amdhsa_float_denorm_mode_32 3
		.amdhsa_float_denorm_mode_16_64 3
		.amdhsa_dx10_clamp 1
		.amdhsa_ieee_mode 1
		.amdhsa_fp16_overflow 0
		.amdhsa_tg_split 0
		.amdhsa_exception_fp_ieee_invalid_op 0
		.amdhsa_exception_fp_denorm_src 0
		.amdhsa_exception_fp_ieee_div_zero 0
		.amdhsa_exception_fp_ieee_overflow 0
		.amdhsa_exception_fp_ieee_underflow 0
		.amdhsa_exception_fp_ieee_inexact 0
		.amdhsa_exception_int_div_zero 0
	.end_amdhsa_kernel
	.section	.text._ZN7rocprim17ROCPRIM_400000_NS6detail17trampoline_kernelINS0_14default_configENS1_35radix_sort_onesweep_config_selectorIyNS0_10empty_typeEEEZNS1_34radix_sort_onesweep_global_offsetsIS3_Lb1EPyPS5_mNS0_19identity_decomposerEEE10hipError_tT1_T2_PT3_SE_jT4_jjP12ihipStream_tbEUlT_E0_NS1_11comp_targetILNS1_3genE9ELNS1_11target_archE1100ELNS1_3gpuE3ELNS1_3repE0EEENS1_52radix_sort_onesweep_histogram_config_static_selectorELNS0_4arch9wavefront6targetE1EEEvSC_,"axG",@progbits,_ZN7rocprim17ROCPRIM_400000_NS6detail17trampoline_kernelINS0_14default_configENS1_35radix_sort_onesweep_config_selectorIyNS0_10empty_typeEEEZNS1_34radix_sort_onesweep_global_offsetsIS3_Lb1EPyPS5_mNS0_19identity_decomposerEEE10hipError_tT1_T2_PT3_SE_jT4_jjP12ihipStream_tbEUlT_E0_NS1_11comp_targetILNS1_3genE9ELNS1_11target_archE1100ELNS1_3gpuE3ELNS1_3repE0EEENS1_52radix_sort_onesweep_histogram_config_static_selectorELNS0_4arch9wavefront6targetE1EEEvSC_,comdat
.Lfunc_end2475:
	.size	_ZN7rocprim17ROCPRIM_400000_NS6detail17trampoline_kernelINS0_14default_configENS1_35radix_sort_onesweep_config_selectorIyNS0_10empty_typeEEEZNS1_34radix_sort_onesweep_global_offsetsIS3_Lb1EPyPS5_mNS0_19identity_decomposerEEE10hipError_tT1_T2_PT3_SE_jT4_jjP12ihipStream_tbEUlT_E0_NS1_11comp_targetILNS1_3genE9ELNS1_11target_archE1100ELNS1_3gpuE3ELNS1_3repE0EEENS1_52radix_sort_onesweep_histogram_config_static_selectorELNS0_4arch9wavefront6targetE1EEEvSC_, .Lfunc_end2475-_ZN7rocprim17ROCPRIM_400000_NS6detail17trampoline_kernelINS0_14default_configENS1_35radix_sort_onesweep_config_selectorIyNS0_10empty_typeEEEZNS1_34radix_sort_onesweep_global_offsetsIS3_Lb1EPyPS5_mNS0_19identity_decomposerEEE10hipError_tT1_T2_PT3_SE_jT4_jjP12ihipStream_tbEUlT_E0_NS1_11comp_targetILNS1_3genE9ELNS1_11target_archE1100ELNS1_3gpuE3ELNS1_3repE0EEENS1_52radix_sort_onesweep_histogram_config_static_selectorELNS0_4arch9wavefront6targetE1EEEvSC_
                                        ; -- End function
	.section	.AMDGPU.csdata,"",@progbits
; Kernel info:
; codeLenInByte = 0
; NumSgprs: 4
; NumVgprs: 0
; NumAgprs: 0
; TotalNumVgprs: 0
; ScratchSize: 0
; MemoryBound: 0
; FloatMode: 240
; IeeeMode: 1
; LDSByteSize: 0 bytes/workgroup (compile time only)
; SGPRBlocks: 0
; VGPRBlocks: 0
; NumSGPRsForWavesPerEU: 4
; NumVGPRsForWavesPerEU: 1
; AccumOffset: 4
; Occupancy: 8
; WaveLimiterHint : 0
; COMPUTE_PGM_RSRC2:SCRATCH_EN: 0
; COMPUTE_PGM_RSRC2:USER_SGPR: 6
; COMPUTE_PGM_RSRC2:TRAP_HANDLER: 0
; COMPUTE_PGM_RSRC2:TGID_X_EN: 1
; COMPUTE_PGM_RSRC2:TGID_Y_EN: 0
; COMPUTE_PGM_RSRC2:TGID_Z_EN: 0
; COMPUTE_PGM_RSRC2:TIDIG_COMP_CNT: 0
; COMPUTE_PGM_RSRC3_GFX90A:ACCUM_OFFSET: 0
; COMPUTE_PGM_RSRC3_GFX90A:TG_SPLIT: 0
	.section	.text._ZN7rocprim17ROCPRIM_400000_NS6detail17trampoline_kernelINS0_14default_configENS1_35radix_sort_onesweep_config_selectorIyNS0_10empty_typeEEEZNS1_34radix_sort_onesweep_global_offsetsIS3_Lb1EPyPS5_mNS0_19identity_decomposerEEE10hipError_tT1_T2_PT3_SE_jT4_jjP12ihipStream_tbEUlT_E0_NS1_11comp_targetILNS1_3genE8ELNS1_11target_archE1030ELNS1_3gpuE2ELNS1_3repE0EEENS1_52radix_sort_onesweep_histogram_config_static_selectorELNS0_4arch9wavefront6targetE1EEEvSC_,"axG",@progbits,_ZN7rocprim17ROCPRIM_400000_NS6detail17trampoline_kernelINS0_14default_configENS1_35radix_sort_onesweep_config_selectorIyNS0_10empty_typeEEEZNS1_34radix_sort_onesweep_global_offsetsIS3_Lb1EPyPS5_mNS0_19identity_decomposerEEE10hipError_tT1_T2_PT3_SE_jT4_jjP12ihipStream_tbEUlT_E0_NS1_11comp_targetILNS1_3genE8ELNS1_11target_archE1030ELNS1_3gpuE2ELNS1_3repE0EEENS1_52radix_sort_onesweep_histogram_config_static_selectorELNS0_4arch9wavefront6targetE1EEEvSC_,comdat
	.protected	_ZN7rocprim17ROCPRIM_400000_NS6detail17trampoline_kernelINS0_14default_configENS1_35radix_sort_onesweep_config_selectorIyNS0_10empty_typeEEEZNS1_34radix_sort_onesweep_global_offsetsIS3_Lb1EPyPS5_mNS0_19identity_decomposerEEE10hipError_tT1_T2_PT3_SE_jT4_jjP12ihipStream_tbEUlT_E0_NS1_11comp_targetILNS1_3genE8ELNS1_11target_archE1030ELNS1_3gpuE2ELNS1_3repE0EEENS1_52radix_sort_onesweep_histogram_config_static_selectorELNS0_4arch9wavefront6targetE1EEEvSC_ ; -- Begin function _ZN7rocprim17ROCPRIM_400000_NS6detail17trampoline_kernelINS0_14default_configENS1_35radix_sort_onesweep_config_selectorIyNS0_10empty_typeEEEZNS1_34radix_sort_onesweep_global_offsetsIS3_Lb1EPyPS5_mNS0_19identity_decomposerEEE10hipError_tT1_T2_PT3_SE_jT4_jjP12ihipStream_tbEUlT_E0_NS1_11comp_targetILNS1_3genE8ELNS1_11target_archE1030ELNS1_3gpuE2ELNS1_3repE0EEENS1_52radix_sort_onesweep_histogram_config_static_selectorELNS0_4arch9wavefront6targetE1EEEvSC_
	.globl	_ZN7rocprim17ROCPRIM_400000_NS6detail17trampoline_kernelINS0_14default_configENS1_35radix_sort_onesweep_config_selectorIyNS0_10empty_typeEEEZNS1_34radix_sort_onesweep_global_offsetsIS3_Lb1EPyPS5_mNS0_19identity_decomposerEEE10hipError_tT1_T2_PT3_SE_jT4_jjP12ihipStream_tbEUlT_E0_NS1_11comp_targetILNS1_3genE8ELNS1_11target_archE1030ELNS1_3gpuE2ELNS1_3repE0EEENS1_52radix_sort_onesweep_histogram_config_static_selectorELNS0_4arch9wavefront6targetE1EEEvSC_
	.p2align	8
	.type	_ZN7rocprim17ROCPRIM_400000_NS6detail17trampoline_kernelINS0_14default_configENS1_35radix_sort_onesweep_config_selectorIyNS0_10empty_typeEEEZNS1_34radix_sort_onesweep_global_offsetsIS3_Lb1EPyPS5_mNS0_19identity_decomposerEEE10hipError_tT1_T2_PT3_SE_jT4_jjP12ihipStream_tbEUlT_E0_NS1_11comp_targetILNS1_3genE8ELNS1_11target_archE1030ELNS1_3gpuE2ELNS1_3repE0EEENS1_52radix_sort_onesweep_histogram_config_static_selectorELNS0_4arch9wavefront6targetE1EEEvSC_,@function
_ZN7rocprim17ROCPRIM_400000_NS6detail17trampoline_kernelINS0_14default_configENS1_35radix_sort_onesweep_config_selectorIyNS0_10empty_typeEEEZNS1_34radix_sort_onesweep_global_offsetsIS3_Lb1EPyPS5_mNS0_19identity_decomposerEEE10hipError_tT1_T2_PT3_SE_jT4_jjP12ihipStream_tbEUlT_E0_NS1_11comp_targetILNS1_3genE8ELNS1_11target_archE1030ELNS1_3gpuE2ELNS1_3repE0EEENS1_52radix_sort_onesweep_histogram_config_static_selectorELNS0_4arch9wavefront6targetE1EEEvSC_: ; @_ZN7rocprim17ROCPRIM_400000_NS6detail17trampoline_kernelINS0_14default_configENS1_35radix_sort_onesweep_config_selectorIyNS0_10empty_typeEEEZNS1_34radix_sort_onesweep_global_offsetsIS3_Lb1EPyPS5_mNS0_19identity_decomposerEEE10hipError_tT1_T2_PT3_SE_jT4_jjP12ihipStream_tbEUlT_E0_NS1_11comp_targetILNS1_3genE8ELNS1_11target_archE1030ELNS1_3gpuE2ELNS1_3repE0EEENS1_52radix_sort_onesweep_histogram_config_static_selectorELNS0_4arch9wavefront6targetE1EEEvSC_
; %bb.0:
	.section	.rodata,"a",@progbits
	.p2align	6, 0x0
	.amdhsa_kernel _ZN7rocprim17ROCPRIM_400000_NS6detail17trampoline_kernelINS0_14default_configENS1_35radix_sort_onesweep_config_selectorIyNS0_10empty_typeEEEZNS1_34radix_sort_onesweep_global_offsetsIS3_Lb1EPyPS5_mNS0_19identity_decomposerEEE10hipError_tT1_T2_PT3_SE_jT4_jjP12ihipStream_tbEUlT_E0_NS1_11comp_targetILNS1_3genE8ELNS1_11target_archE1030ELNS1_3gpuE2ELNS1_3repE0EEENS1_52radix_sort_onesweep_histogram_config_static_selectorELNS0_4arch9wavefront6targetE1EEEvSC_
		.amdhsa_group_segment_fixed_size 0
		.amdhsa_private_segment_fixed_size 0
		.amdhsa_kernarg_size 8
		.amdhsa_user_sgpr_count 6
		.amdhsa_user_sgpr_private_segment_buffer 1
		.amdhsa_user_sgpr_dispatch_ptr 0
		.amdhsa_user_sgpr_queue_ptr 0
		.amdhsa_user_sgpr_kernarg_segment_ptr 1
		.amdhsa_user_sgpr_dispatch_id 0
		.amdhsa_user_sgpr_flat_scratch_init 0
		.amdhsa_user_sgpr_kernarg_preload_length 0
		.amdhsa_user_sgpr_kernarg_preload_offset 0
		.amdhsa_user_sgpr_private_segment_size 0
		.amdhsa_uses_dynamic_stack 0
		.amdhsa_system_sgpr_private_segment_wavefront_offset 0
		.amdhsa_system_sgpr_workgroup_id_x 1
		.amdhsa_system_sgpr_workgroup_id_y 0
		.amdhsa_system_sgpr_workgroup_id_z 0
		.amdhsa_system_sgpr_workgroup_info 0
		.amdhsa_system_vgpr_workitem_id 0
		.amdhsa_next_free_vgpr 1
		.amdhsa_next_free_sgpr 0
		.amdhsa_accum_offset 4
		.amdhsa_reserve_vcc 0
		.amdhsa_reserve_flat_scratch 0
		.amdhsa_float_round_mode_32 0
		.amdhsa_float_round_mode_16_64 0
		.amdhsa_float_denorm_mode_32 3
		.amdhsa_float_denorm_mode_16_64 3
		.amdhsa_dx10_clamp 1
		.amdhsa_ieee_mode 1
		.amdhsa_fp16_overflow 0
		.amdhsa_tg_split 0
		.amdhsa_exception_fp_ieee_invalid_op 0
		.amdhsa_exception_fp_denorm_src 0
		.amdhsa_exception_fp_ieee_div_zero 0
		.amdhsa_exception_fp_ieee_overflow 0
		.amdhsa_exception_fp_ieee_underflow 0
		.amdhsa_exception_fp_ieee_inexact 0
		.amdhsa_exception_int_div_zero 0
	.end_amdhsa_kernel
	.section	.text._ZN7rocprim17ROCPRIM_400000_NS6detail17trampoline_kernelINS0_14default_configENS1_35radix_sort_onesweep_config_selectorIyNS0_10empty_typeEEEZNS1_34radix_sort_onesweep_global_offsetsIS3_Lb1EPyPS5_mNS0_19identity_decomposerEEE10hipError_tT1_T2_PT3_SE_jT4_jjP12ihipStream_tbEUlT_E0_NS1_11comp_targetILNS1_3genE8ELNS1_11target_archE1030ELNS1_3gpuE2ELNS1_3repE0EEENS1_52radix_sort_onesweep_histogram_config_static_selectorELNS0_4arch9wavefront6targetE1EEEvSC_,"axG",@progbits,_ZN7rocprim17ROCPRIM_400000_NS6detail17trampoline_kernelINS0_14default_configENS1_35radix_sort_onesweep_config_selectorIyNS0_10empty_typeEEEZNS1_34radix_sort_onesweep_global_offsetsIS3_Lb1EPyPS5_mNS0_19identity_decomposerEEE10hipError_tT1_T2_PT3_SE_jT4_jjP12ihipStream_tbEUlT_E0_NS1_11comp_targetILNS1_3genE8ELNS1_11target_archE1030ELNS1_3gpuE2ELNS1_3repE0EEENS1_52radix_sort_onesweep_histogram_config_static_selectorELNS0_4arch9wavefront6targetE1EEEvSC_,comdat
.Lfunc_end2476:
	.size	_ZN7rocprim17ROCPRIM_400000_NS6detail17trampoline_kernelINS0_14default_configENS1_35radix_sort_onesweep_config_selectorIyNS0_10empty_typeEEEZNS1_34radix_sort_onesweep_global_offsetsIS3_Lb1EPyPS5_mNS0_19identity_decomposerEEE10hipError_tT1_T2_PT3_SE_jT4_jjP12ihipStream_tbEUlT_E0_NS1_11comp_targetILNS1_3genE8ELNS1_11target_archE1030ELNS1_3gpuE2ELNS1_3repE0EEENS1_52radix_sort_onesweep_histogram_config_static_selectorELNS0_4arch9wavefront6targetE1EEEvSC_, .Lfunc_end2476-_ZN7rocprim17ROCPRIM_400000_NS6detail17trampoline_kernelINS0_14default_configENS1_35radix_sort_onesweep_config_selectorIyNS0_10empty_typeEEEZNS1_34radix_sort_onesweep_global_offsetsIS3_Lb1EPyPS5_mNS0_19identity_decomposerEEE10hipError_tT1_T2_PT3_SE_jT4_jjP12ihipStream_tbEUlT_E0_NS1_11comp_targetILNS1_3genE8ELNS1_11target_archE1030ELNS1_3gpuE2ELNS1_3repE0EEENS1_52radix_sort_onesweep_histogram_config_static_selectorELNS0_4arch9wavefront6targetE1EEEvSC_
                                        ; -- End function
	.section	.AMDGPU.csdata,"",@progbits
; Kernel info:
; codeLenInByte = 0
; NumSgprs: 4
; NumVgprs: 0
; NumAgprs: 0
; TotalNumVgprs: 0
; ScratchSize: 0
; MemoryBound: 0
; FloatMode: 240
; IeeeMode: 1
; LDSByteSize: 0 bytes/workgroup (compile time only)
; SGPRBlocks: 0
; VGPRBlocks: 0
; NumSGPRsForWavesPerEU: 4
; NumVGPRsForWavesPerEU: 1
; AccumOffset: 4
; Occupancy: 8
; WaveLimiterHint : 0
; COMPUTE_PGM_RSRC2:SCRATCH_EN: 0
; COMPUTE_PGM_RSRC2:USER_SGPR: 6
; COMPUTE_PGM_RSRC2:TRAP_HANDLER: 0
; COMPUTE_PGM_RSRC2:TGID_X_EN: 1
; COMPUTE_PGM_RSRC2:TGID_Y_EN: 0
; COMPUTE_PGM_RSRC2:TGID_Z_EN: 0
; COMPUTE_PGM_RSRC2:TIDIG_COMP_CNT: 0
; COMPUTE_PGM_RSRC3_GFX90A:ACCUM_OFFSET: 0
; COMPUTE_PGM_RSRC3_GFX90A:TG_SPLIT: 0
	.section	.text._ZN7rocprim17ROCPRIM_400000_NS6detail17trampoline_kernelINS0_14default_configENS1_35radix_sort_onesweep_config_selectorIyNS0_10empty_typeEEEZZNS1_29radix_sort_onesweep_iterationIS3_Lb1EPyS8_PS5_S9_mNS0_19identity_decomposerENS1_16block_id_wrapperIjLb1EEEEE10hipError_tT1_PNSt15iterator_traitsISE_E10value_typeET2_T3_PNSF_ISK_E10value_typeET4_T5_PSP_SQ_PNS1_23onesweep_lookback_stateEbbT6_jjT7_P12ihipStream_tbENKUlT_T0_SE_SJ_E_clIS8_S8_S9_S9_EEDaSX_SY_SE_SJ_EUlSX_E_NS1_11comp_targetILNS1_3genE0ELNS1_11target_archE4294967295ELNS1_3gpuE0ELNS1_3repE0EEENS1_47radix_sort_onesweep_sort_config_static_selectorELNS0_4arch9wavefront6targetE1EEEvSE_,"axG",@progbits,_ZN7rocprim17ROCPRIM_400000_NS6detail17trampoline_kernelINS0_14default_configENS1_35radix_sort_onesweep_config_selectorIyNS0_10empty_typeEEEZZNS1_29radix_sort_onesweep_iterationIS3_Lb1EPyS8_PS5_S9_mNS0_19identity_decomposerENS1_16block_id_wrapperIjLb1EEEEE10hipError_tT1_PNSt15iterator_traitsISE_E10value_typeET2_T3_PNSF_ISK_E10value_typeET4_T5_PSP_SQ_PNS1_23onesweep_lookback_stateEbbT6_jjT7_P12ihipStream_tbENKUlT_T0_SE_SJ_E_clIS8_S8_S9_S9_EEDaSX_SY_SE_SJ_EUlSX_E_NS1_11comp_targetILNS1_3genE0ELNS1_11target_archE4294967295ELNS1_3gpuE0ELNS1_3repE0EEENS1_47radix_sort_onesweep_sort_config_static_selectorELNS0_4arch9wavefront6targetE1EEEvSE_,comdat
	.protected	_ZN7rocprim17ROCPRIM_400000_NS6detail17trampoline_kernelINS0_14default_configENS1_35radix_sort_onesweep_config_selectorIyNS0_10empty_typeEEEZZNS1_29radix_sort_onesweep_iterationIS3_Lb1EPyS8_PS5_S9_mNS0_19identity_decomposerENS1_16block_id_wrapperIjLb1EEEEE10hipError_tT1_PNSt15iterator_traitsISE_E10value_typeET2_T3_PNSF_ISK_E10value_typeET4_T5_PSP_SQ_PNS1_23onesweep_lookback_stateEbbT6_jjT7_P12ihipStream_tbENKUlT_T0_SE_SJ_E_clIS8_S8_S9_S9_EEDaSX_SY_SE_SJ_EUlSX_E_NS1_11comp_targetILNS1_3genE0ELNS1_11target_archE4294967295ELNS1_3gpuE0ELNS1_3repE0EEENS1_47radix_sort_onesweep_sort_config_static_selectorELNS0_4arch9wavefront6targetE1EEEvSE_ ; -- Begin function _ZN7rocprim17ROCPRIM_400000_NS6detail17trampoline_kernelINS0_14default_configENS1_35radix_sort_onesweep_config_selectorIyNS0_10empty_typeEEEZZNS1_29radix_sort_onesweep_iterationIS3_Lb1EPyS8_PS5_S9_mNS0_19identity_decomposerENS1_16block_id_wrapperIjLb1EEEEE10hipError_tT1_PNSt15iterator_traitsISE_E10value_typeET2_T3_PNSF_ISK_E10value_typeET4_T5_PSP_SQ_PNS1_23onesweep_lookback_stateEbbT6_jjT7_P12ihipStream_tbENKUlT_T0_SE_SJ_E_clIS8_S8_S9_S9_EEDaSX_SY_SE_SJ_EUlSX_E_NS1_11comp_targetILNS1_3genE0ELNS1_11target_archE4294967295ELNS1_3gpuE0ELNS1_3repE0EEENS1_47radix_sort_onesweep_sort_config_static_selectorELNS0_4arch9wavefront6targetE1EEEvSE_
	.globl	_ZN7rocprim17ROCPRIM_400000_NS6detail17trampoline_kernelINS0_14default_configENS1_35radix_sort_onesweep_config_selectorIyNS0_10empty_typeEEEZZNS1_29radix_sort_onesweep_iterationIS3_Lb1EPyS8_PS5_S9_mNS0_19identity_decomposerENS1_16block_id_wrapperIjLb1EEEEE10hipError_tT1_PNSt15iterator_traitsISE_E10value_typeET2_T3_PNSF_ISK_E10value_typeET4_T5_PSP_SQ_PNS1_23onesweep_lookback_stateEbbT6_jjT7_P12ihipStream_tbENKUlT_T0_SE_SJ_E_clIS8_S8_S9_S9_EEDaSX_SY_SE_SJ_EUlSX_E_NS1_11comp_targetILNS1_3genE0ELNS1_11target_archE4294967295ELNS1_3gpuE0ELNS1_3repE0EEENS1_47radix_sort_onesweep_sort_config_static_selectorELNS0_4arch9wavefront6targetE1EEEvSE_
	.p2align	8
	.type	_ZN7rocprim17ROCPRIM_400000_NS6detail17trampoline_kernelINS0_14default_configENS1_35radix_sort_onesweep_config_selectorIyNS0_10empty_typeEEEZZNS1_29radix_sort_onesweep_iterationIS3_Lb1EPyS8_PS5_S9_mNS0_19identity_decomposerENS1_16block_id_wrapperIjLb1EEEEE10hipError_tT1_PNSt15iterator_traitsISE_E10value_typeET2_T3_PNSF_ISK_E10value_typeET4_T5_PSP_SQ_PNS1_23onesweep_lookback_stateEbbT6_jjT7_P12ihipStream_tbENKUlT_T0_SE_SJ_E_clIS8_S8_S9_S9_EEDaSX_SY_SE_SJ_EUlSX_E_NS1_11comp_targetILNS1_3genE0ELNS1_11target_archE4294967295ELNS1_3gpuE0ELNS1_3repE0EEENS1_47radix_sort_onesweep_sort_config_static_selectorELNS0_4arch9wavefront6targetE1EEEvSE_,@function
_ZN7rocprim17ROCPRIM_400000_NS6detail17trampoline_kernelINS0_14default_configENS1_35radix_sort_onesweep_config_selectorIyNS0_10empty_typeEEEZZNS1_29radix_sort_onesweep_iterationIS3_Lb1EPyS8_PS5_S9_mNS0_19identity_decomposerENS1_16block_id_wrapperIjLb1EEEEE10hipError_tT1_PNSt15iterator_traitsISE_E10value_typeET2_T3_PNSF_ISK_E10value_typeET4_T5_PSP_SQ_PNS1_23onesweep_lookback_stateEbbT6_jjT7_P12ihipStream_tbENKUlT_T0_SE_SJ_E_clIS8_S8_S9_S9_EEDaSX_SY_SE_SJ_EUlSX_E_NS1_11comp_targetILNS1_3genE0ELNS1_11target_archE4294967295ELNS1_3gpuE0ELNS1_3repE0EEENS1_47radix_sort_onesweep_sort_config_static_selectorELNS0_4arch9wavefront6targetE1EEEvSE_: ; @_ZN7rocprim17ROCPRIM_400000_NS6detail17trampoline_kernelINS0_14default_configENS1_35radix_sort_onesweep_config_selectorIyNS0_10empty_typeEEEZZNS1_29radix_sort_onesweep_iterationIS3_Lb1EPyS8_PS5_S9_mNS0_19identity_decomposerENS1_16block_id_wrapperIjLb1EEEEE10hipError_tT1_PNSt15iterator_traitsISE_E10value_typeET2_T3_PNSF_ISK_E10value_typeET4_T5_PSP_SQ_PNS1_23onesweep_lookback_stateEbbT6_jjT7_P12ihipStream_tbENKUlT_T0_SE_SJ_E_clIS8_S8_S9_S9_EEDaSX_SY_SE_SJ_EUlSX_E_NS1_11comp_targetILNS1_3genE0ELNS1_11target_archE4294967295ELNS1_3gpuE0ELNS1_3repE0EEENS1_47radix_sort_onesweep_sort_config_static_selectorELNS0_4arch9wavefront6targetE1EEEvSE_
; %bb.0:
	.section	.rodata,"a",@progbits
	.p2align	6, 0x0
	.amdhsa_kernel _ZN7rocprim17ROCPRIM_400000_NS6detail17trampoline_kernelINS0_14default_configENS1_35radix_sort_onesweep_config_selectorIyNS0_10empty_typeEEEZZNS1_29radix_sort_onesweep_iterationIS3_Lb1EPyS8_PS5_S9_mNS0_19identity_decomposerENS1_16block_id_wrapperIjLb1EEEEE10hipError_tT1_PNSt15iterator_traitsISE_E10value_typeET2_T3_PNSF_ISK_E10value_typeET4_T5_PSP_SQ_PNS1_23onesweep_lookback_stateEbbT6_jjT7_P12ihipStream_tbENKUlT_T0_SE_SJ_E_clIS8_S8_S9_S9_EEDaSX_SY_SE_SJ_EUlSX_E_NS1_11comp_targetILNS1_3genE0ELNS1_11target_archE4294967295ELNS1_3gpuE0ELNS1_3repE0EEENS1_47radix_sort_onesweep_sort_config_static_selectorELNS0_4arch9wavefront6targetE1EEEvSE_
		.amdhsa_group_segment_fixed_size 0
		.amdhsa_private_segment_fixed_size 0
		.amdhsa_kernarg_size 88
		.amdhsa_user_sgpr_count 6
		.amdhsa_user_sgpr_private_segment_buffer 1
		.amdhsa_user_sgpr_dispatch_ptr 0
		.amdhsa_user_sgpr_queue_ptr 0
		.amdhsa_user_sgpr_kernarg_segment_ptr 1
		.amdhsa_user_sgpr_dispatch_id 0
		.amdhsa_user_sgpr_flat_scratch_init 0
		.amdhsa_user_sgpr_kernarg_preload_length 0
		.amdhsa_user_sgpr_kernarg_preload_offset 0
		.amdhsa_user_sgpr_private_segment_size 0
		.amdhsa_uses_dynamic_stack 0
		.amdhsa_system_sgpr_private_segment_wavefront_offset 0
		.amdhsa_system_sgpr_workgroup_id_x 1
		.amdhsa_system_sgpr_workgroup_id_y 0
		.amdhsa_system_sgpr_workgroup_id_z 0
		.amdhsa_system_sgpr_workgroup_info 0
		.amdhsa_system_vgpr_workitem_id 0
		.amdhsa_next_free_vgpr 1
		.amdhsa_next_free_sgpr 0
		.amdhsa_accum_offset 4
		.amdhsa_reserve_vcc 0
		.amdhsa_reserve_flat_scratch 0
		.amdhsa_float_round_mode_32 0
		.amdhsa_float_round_mode_16_64 0
		.amdhsa_float_denorm_mode_32 3
		.amdhsa_float_denorm_mode_16_64 3
		.amdhsa_dx10_clamp 1
		.amdhsa_ieee_mode 1
		.amdhsa_fp16_overflow 0
		.amdhsa_tg_split 0
		.amdhsa_exception_fp_ieee_invalid_op 0
		.amdhsa_exception_fp_denorm_src 0
		.amdhsa_exception_fp_ieee_div_zero 0
		.amdhsa_exception_fp_ieee_overflow 0
		.amdhsa_exception_fp_ieee_underflow 0
		.amdhsa_exception_fp_ieee_inexact 0
		.amdhsa_exception_int_div_zero 0
	.end_amdhsa_kernel
	.section	.text._ZN7rocprim17ROCPRIM_400000_NS6detail17trampoline_kernelINS0_14default_configENS1_35radix_sort_onesweep_config_selectorIyNS0_10empty_typeEEEZZNS1_29radix_sort_onesweep_iterationIS3_Lb1EPyS8_PS5_S9_mNS0_19identity_decomposerENS1_16block_id_wrapperIjLb1EEEEE10hipError_tT1_PNSt15iterator_traitsISE_E10value_typeET2_T3_PNSF_ISK_E10value_typeET4_T5_PSP_SQ_PNS1_23onesweep_lookback_stateEbbT6_jjT7_P12ihipStream_tbENKUlT_T0_SE_SJ_E_clIS8_S8_S9_S9_EEDaSX_SY_SE_SJ_EUlSX_E_NS1_11comp_targetILNS1_3genE0ELNS1_11target_archE4294967295ELNS1_3gpuE0ELNS1_3repE0EEENS1_47radix_sort_onesweep_sort_config_static_selectorELNS0_4arch9wavefront6targetE1EEEvSE_,"axG",@progbits,_ZN7rocprim17ROCPRIM_400000_NS6detail17trampoline_kernelINS0_14default_configENS1_35radix_sort_onesweep_config_selectorIyNS0_10empty_typeEEEZZNS1_29radix_sort_onesweep_iterationIS3_Lb1EPyS8_PS5_S9_mNS0_19identity_decomposerENS1_16block_id_wrapperIjLb1EEEEE10hipError_tT1_PNSt15iterator_traitsISE_E10value_typeET2_T3_PNSF_ISK_E10value_typeET4_T5_PSP_SQ_PNS1_23onesweep_lookback_stateEbbT6_jjT7_P12ihipStream_tbENKUlT_T0_SE_SJ_E_clIS8_S8_S9_S9_EEDaSX_SY_SE_SJ_EUlSX_E_NS1_11comp_targetILNS1_3genE0ELNS1_11target_archE4294967295ELNS1_3gpuE0ELNS1_3repE0EEENS1_47radix_sort_onesweep_sort_config_static_selectorELNS0_4arch9wavefront6targetE1EEEvSE_,comdat
.Lfunc_end2477:
	.size	_ZN7rocprim17ROCPRIM_400000_NS6detail17trampoline_kernelINS0_14default_configENS1_35radix_sort_onesweep_config_selectorIyNS0_10empty_typeEEEZZNS1_29radix_sort_onesweep_iterationIS3_Lb1EPyS8_PS5_S9_mNS0_19identity_decomposerENS1_16block_id_wrapperIjLb1EEEEE10hipError_tT1_PNSt15iterator_traitsISE_E10value_typeET2_T3_PNSF_ISK_E10value_typeET4_T5_PSP_SQ_PNS1_23onesweep_lookback_stateEbbT6_jjT7_P12ihipStream_tbENKUlT_T0_SE_SJ_E_clIS8_S8_S9_S9_EEDaSX_SY_SE_SJ_EUlSX_E_NS1_11comp_targetILNS1_3genE0ELNS1_11target_archE4294967295ELNS1_3gpuE0ELNS1_3repE0EEENS1_47radix_sort_onesweep_sort_config_static_selectorELNS0_4arch9wavefront6targetE1EEEvSE_, .Lfunc_end2477-_ZN7rocprim17ROCPRIM_400000_NS6detail17trampoline_kernelINS0_14default_configENS1_35radix_sort_onesweep_config_selectorIyNS0_10empty_typeEEEZZNS1_29radix_sort_onesweep_iterationIS3_Lb1EPyS8_PS5_S9_mNS0_19identity_decomposerENS1_16block_id_wrapperIjLb1EEEEE10hipError_tT1_PNSt15iterator_traitsISE_E10value_typeET2_T3_PNSF_ISK_E10value_typeET4_T5_PSP_SQ_PNS1_23onesweep_lookback_stateEbbT6_jjT7_P12ihipStream_tbENKUlT_T0_SE_SJ_E_clIS8_S8_S9_S9_EEDaSX_SY_SE_SJ_EUlSX_E_NS1_11comp_targetILNS1_3genE0ELNS1_11target_archE4294967295ELNS1_3gpuE0ELNS1_3repE0EEENS1_47radix_sort_onesweep_sort_config_static_selectorELNS0_4arch9wavefront6targetE1EEEvSE_
                                        ; -- End function
	.section	.AMDGPU.csdata,"",@progbits
; Kernel info:
; codeLenInByte = 0
; NumSgprs: 4
; NumVgprs: 0
; NumAgprs: 0
; TotalNumVgprs: 0
; ScratchSize: 0
; MemoryBound: 0
; FloatMode: 240
; IeeeMode: 1
; LDSByteSize: 0 bytes/workgroup (compile time only)
; SGPRBlocks: 0
; VGPRBlocks: 0
; NumSGPRsForWavesPerEU: 4
; NumVGPRsForWavesPerEU: 1
; AccumOffset: 4
; Occupancy: 8
; WaveLimiterHint : 0
; COMPUTE_PGM_RSRC2:SCRATCH_EN: 0
; COMPUTE_PGM_RSRC2:USER_SGPR: 6
; COMPUTE_PGM_RSRC2:TRAP_HANDLER: 0
; COMPUTE_PGM_RSRC2:TGID_X_EN: 1
; COMPUTE_PGM_RSRC2:TGID_Y_EN: 0
; COMPUTE_PGM_RSRC2:TGID_Z_EN: 0
; COMPUTE_PGM_RSRC2:TIDIG_COMP_CNT: 0
; COMPUTE_PGM_RSRC3_GFX90A:ACCUM_OFFSET: 0
; COMPUTE_PGM_RSRC3_GFX90A:TG_SPLIT: 0
	.section	.text._ZN7rocprim17ROCPRIM_400000_NS6detail17trampoline_kernelINS0_14default_configENS1_35radix_sort_onesweep_config_selectorIyNS0_10empty_typeEEEZZNS1_29radix_sort_onesweep_iterationIS3_Lb1EPyS8_PS5_S9_mNS0_19identity_decomposerENS1_16block_id_wrapperIjLb1EEEEE10hipError_tT1_PNSt15iterator_traitsISE_E10value_typeET2_T3_PNSF_ISK_E10value_typeET4_T5_PSP_SQ_PNS1_23onesweep_lookback_stateEbbT6_jjT7_P12ihipStream_tbENKUlT_T0_SE_SJ_E_clIS8_S8_S9_S9_EEDaSX_SY_SE_SJ_EUlSX_E_NS1_11comp_targetILNS1_3genE6ELNS1_11target_archE950ELNS1_3gpuE13ELNS1_3repE0EEENS1_47radix_sort_onesweep_sort_config_static_selectorELNS0_4arch9wavefront6targetE1EEEvSE_,"axG",@progbits,_ZN7rocprim17ROCPRIM_400000_NS6detail17trampoline_kernelINS0_14default_configENS1_35radix_sort_onesweep_config_selectorIyNS0_10empty_typeEEEZZNS1_29radix_sort_onesweep_iterationIS3_Lb1EPyS8_PS5_S9_mNS0_19identity_decomposerENS1_16block_id_wrapperIjLb1EEEEE10hipError_tT1_PNSt15iterator_traitsISE_E10value_typeET2_T3_PNSF_ISK_E10value_typeET4_T5_PSP_SQ_PNS1_23onesweep_lookback_stateEbbT6_jjT7_P12ihipStream_tbENKUlT_T0_SE_SJ_E_clIS8_S8_S9_S9_EEDaSX_SY_SE_SJ_EUlSX_E_NS1_11comp_targetILNS1_3genE6ELNS1_11target_archE950ELNS1_3gpuE13ELNS1_3repE0EEENS1_47radix_sort_onesweep_sort_config_static_selectorELNS0_4arch9wavefront6targetE1EEEvSE_,comdat
	.protected	_ZN7rocprim17ROCPRIM_400000_NS6detail17trampoline_kernelINS0_14default_configENS1_35radix_sort_onesweep_config_selectorIyNS0_10empty_typeEEEZZNS1_29radix_sort_onesweep_iterationIS3_Lb1EPyS8_PS5_S9_mNS0_19identity_decomposerENS1_16block_id_wrapperIjLb1EEEEE10hipError_tT1_PNSt15iterator_traitsISE_E10value_typeET2_T3_PNSF_ISK_E10value_typeET4_T5_PSP_SQ_PNS1_23onesweep_lookback_stateEbbT6_jjT7_P12ihipStream_tbENKUlT_T0_SE_SJ_E_clIS8_S8_S9_S9_EEDaSX_SY_SE_SJ_EUlSX_E_NS1_11comp_targetILNS1_3genE6ELNS1_11target_archE950ELNS1_3gpuE13ELNS1_3repE0EEENS1_47radix_sort_onesweep_sort_config_static_selectorELNS0_4arch9wavefront6targetE1EEEvSE_ ; -- Begin function _ZN7rocprim17ROCPRIM_400000_NS6detail17trampoline_kernelINS0_14default_configENS1_35radix_sort_onesweep_config_selectorIyNS0_10empty_typeEEEZZNS1_29radix_sort_onesweep_iterationIS3_Lb1EPyS8_PS5_S9_mNS0_19identity_decomposerENS1_16block_id_wrapperIjLb1EEEEE10hipError_tT1_PNSt15iterator_traitsISE_E10value_typeET2_T3_PNSF_ISK_E10value_typeET4_T5_PSP_SQ_PNS1_23onesweep_lookback_stateEbbT6_jjT7_P12ihipStream_tbENKUlT_T0_SE_SJ_E_clIS8_S8_S9_S9_EEDaSX_SY_SE_SJ_EUlSX_E_NS1_11comp_targetILNS1_3genE6ELNS1_11target_archE950ELNS1_3gpuE13ELNS1_3repE0EEENS1_47radix_sort_onesweep_sort_config_static_selectorELNS0_4arch9wavefront6targetE1EEEvSE_
	.globl	_ZN7rocprim17ROCPRIM_400000_NS6detail17trampoline_kernelINS0_14default_configENS1_35radix_sort_onesweep_config_selectorIyNS0_10empty_typeEEEZZNS1_29radix_sort_onesweep_iterationIS3_Lb1EPyS8_PS5_S9_mNS0_19identity_decomposerENS1_16block_id_wrapperIjLb1EEEEE10hipError_tT1_PNSt15iterator_traitsISE_E10value_typeET2_T3_PNSF_ISK_E10value_typeET4_T5_PSP_SQ_PNS1_23onesweep_lookback_stateEbbT6_jjT7_P12ihipStream_tbENKUlT_T0_SE_SJ_E_clIS8_S8_S9_S9_EEDaSX_SY_SE_SJ_EUlSX_E_NS1_11comp_targetILNS1_3genE6ELNS1_11target_archE950ELNS1_3gpuE13ELNS1_3repE0EEENS1_47radix_sort_onesweep_sort_config_static_selectorELNS0_4arch9wavefront6targetE1EEEvSE_
	.p2align	8
	.type	_ZN7rocprim17ROCPRIM_400000_NS6detail17trampoline_kernelINS0_14default_configENS1_35radix_sort_onesweep_config_selectorIyNS0_10empty_typeEEEZZNS1_29radix_sort_onesweep_iterationIS3_Lb1EPyS8_PS5_S9_mNS0_19identity_decomposerENS1_16block_id_wrapperIjLb1EEEEE10hipError_tT1_PNSt15iterator_traitsISE_E10value_typeET2_T3_PNSF_ISK_E10value_typeET4_T5_PSP_SQ_PNS1_23onesweep_lookback_stateEbbT6_jjT7_P12ihipStream_tbENKUlT_T0_SE_SJ_E_clIS8_S8_S9_S9_EEDaSX_SY_SE_SJ_EUlSX_E_NS1_11comp_targetILNS1_3genE6ELNS1_11target_archE950ELNS1_3gpuE13ELNS1_3repE0EEENS1_47radix_sort_onesweep_sort_config_static_selectorELNS0_4arch9wavefront6targetE1EEEvSE_,@function
_ZN7rocprim17ROCPRIM_400000_NS6detail17trampoline_kernelINS0_14default_configENS1_35radix_sort_onesweep_config_selectorIyNS0_10empty_typeEEEZZNS1_29radix_sort_onesweep_iterationIS3_Lb1EPyS8_PS5_S9_mNS0_19identity_decomposerENS1_16block_id_wrapperIjLb1EEEEE10hipError_tT1_PNSt15iterator_traitsISE_E10value_typeET2_T3_PNSF_ISK_E10value_typeET4_T5_PSP_SQ_PNS1_23onesweep_lookback_stateEbbT6_jjT7_P12ihipStream_tbENKUlT_T0_SE_SJ_E_clIS8_S8_S9_S9_EEDaSX_SY_SE_SJ_EUlSX_E_NS1_11comp_targetILNS1_3genE6ELNS1_11target_archE950ELNS1_3gpuE13ELNS1_3repE0EEENS1_47radix_sort_onesweep_sort_config_static_selectorELNS0_4arch9wavefront6targetE1EEEvSE_: ; @_ZN7rocprim17ROCPRIM_400000_NS6detail17trampoline_kernelINS0_14default_configENS1_35radix_sort_onesweep_config_selectorIyNS0_10empty_typeEEEZZNS1_29radix_sort_onesweep_iterationIS3_Lb1EPyS8_PS5_S9_mNS0_19identity_decomposerENS1_16block_id_wrapperIjLb1EEEEE10hipError_tT1_PNSt15iterator_traitsISE_E10value_typeET2_T3_PNSF_ISK_E10value_typeET4_T5_PSP_SQ_PNS1_23onesweep_lookback_stateEbbT6_jjT7_P12ihipStream_tbENKUlT_T0_SE_SJ_E_clIS8_S8_S9_S9_EEDaSX_SY_SE_SJ_EUlSX_E_NS1_11comp_targetILNS1_3genE6ELNS1_11target_archE950ELNS1_3gpuE13ELNS1_3repE0EEENS1_47radix_sort_onesweep_sort_config_static_selectorELNS0_4arch9wavefront6targetE1EEEvSE_
; %bb.0:
	.section	.rodata,"a",@progbits
	.p2align	6, 0x0
	.amdhsa_kernel _ZN7rocprim17ROCPRIM_400000_NS6detail17trampoline_kernelINS0_14default_configENS1_35radix_sort_onesweep_config_selectorIyNS0_10empty_typeEEEZZNS1_29radix_sort_onesweep_iterationIS3_Lb1EPyS8_PS5_S9_mNS0_19identity_decomposerENS1_16block_id_wrapperIjLb1EEEEE10hipError_tT1_PNSt15iterator_traitsISE_E10value_typeET2_T3_PNSF_ISK_E10value_typeET4_T5_PSP_SQ_PNS1_23onesweep_lookback_stateEbbT6_jjT7_P12ihipStream_tbENKUlT_T0_SE_SJ_E_clIS8_S8_S9_S9_EEDaSX_SY_SE_SJ_EUlSX_E_NS1_11comp_targetILNS1_3genE6ELNS1_11target_archE950ELNS1_3gpuE13ELNS1_3repE0EEENS1_47radix_sort_onesweep_sort_config_static_selectorELNS0_4arch9wavefront6targetE1EEEvSE_
		.amdhsa_group_segment_fixed_size 0
		.amdhsa_private_segment_fixed_size 0
		.amdhsa_kernarg_size 88
		.amdhsa_user_sgpr_count 6
		.amdhsa_user_sgpr_private_segment_buffer 1
		.amdhsa_user_sgpr_dispatch_ptr 0
		.amdhsa_user_sgpr_queue_ptr 0
		.amdhsa_user_sgpr_kernarg_segment_ptr 1
		.amdhsa_user_sgpr_dispatch_id 0
		.amdhsa_user_sgpr_flat_scratch_init 0
		.amdhsa_user_sgpr_kernarg_preload_length 0
		.amdhsa_user_sgpr_kernarg_preload_offset 0
		.amdhsa_user_sgpr_private_segment_size 0
		.amdhsa_uses_dynamic_stack 0
		.amdhsa_system_sgpr_private_segment_wavefront_offset 0
		.amdhsa_system_sgpr_workgroup_id_x 1
		.amdhsa_system_sgpr_workgroup_id_y 0
		.amdhsa_system_sgpr_workgroup_id_z 0
		.amdhsa_system_sgpr_workgroup_info 0
		.amdhsa_system_vgpr_workitem_id 0
		.amdhsa_next_free_vgpr 1
		.amdhsa_next_free_sgpr 0
		.amdhsa_accum_offset 4
		.amdhsa_reserve_vcc 0
		.amdhsa_reserve_flat_scratch 0
		.amdhsa_float_round_mode_32 0
		.amdhsa_float_round_mode_16_64 0
		.amdhsa_float_denorm_mode_32 3
		.amdhsa_float_denorm_mode_16_64 3
		.amdhsa_dx10_clamp 1
		.amdhsa_ieee_mode 1
		.amdhsa_fp16_overflow 0
		.amdhsa_tg_split 0
		.amdhsa_exception_fp_ieee_invalid_op 0
		.amdhsa_exception_fp_denorm_src 0
		.amdhsa_exception_fp_ieee_div_zero 0
		.amdhsa_exception_fp_ieee_overflow 0
		.amdhsa_exception_fp_ieee_underflow 0
		.amdhsa_exception_fp_ieee_inexact 0
		.amdhsa_exception_int_div_zero 0
	.end_amdhsa_kernel
	.section	.text._ZN7rocprim17ROCPRIM_400000_NS6detail17trampoline_kernelINS0_14default_configENS1_35radix_sort_onesweep_config_selectorIyNS0_10empty_typeEEEZZNS1_29radix_sort_onesweep_iterationIS3_Lb1EPyS8_PS5_S9_mNS0_19identity_decomposerENS1_16block_id_wrapperIjLb1EEEEE10hipError_tT1_PNSt15iterator_traitsISE_E10value_typeET2_T3_PNSF_ISK_E10value_typeET4_T5_PSP_SQ_PNS1_23onesweep_lookback_stateEbbT6_jjT7_P12ihipStream_tbENKUlT_T0_SE_SJ_E_clIS8_S8_S9_S9_EEDaSX_SY_SE_SJ_EUlSX_E_NS1_11comp_targetILNS1_3genE6ELNS1_11target_archE950ELNS1_3gpuE13ELNS1_3repE0EEENS1_47radix_sort_onesweep_sort_config_static_selectorELNS0_4arch9wavefront6targetE1EEEvSE_,"axG",@progbits,_ZN7rocprim17ROCPRIM_400000_NS6detail17trampoline_kernelINS0_14default_configENS1_35radix_sort_onesweep_config_selectorIyNS0_10empty_typeEEEZZNS1_29radix_sort_onesweep_iterationIS3_Lb1EPyS8_PS5_S9_mNS0_19identity_decomposerENS1_16block_id_wrapperIjLb1EEEEE10hipError_tT1_PNSt15iterator_traitsISE_E10value_typeET2_T3_PNSF_ISK_E10value_typeET4_T5_PSP_SQ_PNS1_23onesweep_lookback_stateEbbT6_jjT7_P12ihipStream_tbENKUlT_T0_SE_SJ_E_clIS8_S8_S9_S9_EEDaSX_SY_SE_SJ_EUlSX_E_NS1_11comp_targetILNS1_3genE6ELNS1_11target_archE950ELNS1_3gpuE13ELNS1_3repE0EEENS1_47radix_sort_onesweep_sort_config_static_selectorELNS0_4arch9wavefront6targetE1EEEvSE_,comdat
.Lfunc_end2478:
	.size	_ZN7rocprim17ROCPRIM_400000_NS6detail17trampoline_kernelINS0_14default_configENS1_35radix_sort_onesweep_config_selectorIyNS0_10empty_typeEEEZZNS1_29radix_sort_onesweep_iterationIS3_Lb1EPyS8_PS5_S9_mNS0_19identity_decomposerENS1_16block_id_wrapperIjLb1EEEEE10hipError_tT1_PNSt15iterator_traitsISE_E10value_typeET2_T3_PNSF_ISK_E10value_typeET4_T5_PSP_SQ_PNS1_23onesweep_lookback_stateEbbT6_jjT7_P12ihipStream_tbENKUlT_T0_SE_SJ_E_clIS8_S8_S9_S9_EEDaSX_SY_SE_SJ_EUlSX_E_NS1_11comp_targetILNS1_3genE6ELNS1_11target_archE950ELNS1_3gpuE13ELNS1_3repE0EEENS1_47radix_sort_onesweep_sort_config_static_selectorELNS0_4arch9wavefront6targetE1EEEvSE_, .Lfunc_end2478-_ZN7rocprim17ROCPRIM_400000_NS6detail17trampoline_kernelINS0_14default_configENS1_35radix_sort_onesweep_config_selectorIyNS0_10empty_typeEEEZZNS1_29radix_sort_onesweep_iterationIS3_Lb1EPyS8_PS5_S9_mNS0_19identity_decomposerENS1_16block_id_wrapperIjLb1EEEEE10hipError_tT1_PNSt15iterator_traitsISE_E10value_typeET2_T3_PNSF_ISK_E10value_typeET4_T5_PSP_SQ_PNS1_23onesweep_lookback_stateEbbT6_jjT7_P12ihipStream_tbENKUlT_T0_SE_SJ_E_clIS8_S8_S9_S9_EEDaSX_SY_SE_SJ_EUlSX_E_NS1_11comp_targetILNS1_3genE6ELNS1_11target_archE950ELNS1_3gpuE13ELNS1_3repE0EEENS1_47radix_sort_onesweep_sort_config_static_selectorELNS0_4arch9wavefront6targetE1EEEvSE_
                                        ; -- End function
	.section	.AMDGPU.csdata,"",@progbits
; Kernel info:
; codeLenInByte = 0
; NumSgprs: 4
; NumVgprs: 0
; NumAgprs: 0
; TotalNumVgprs: 0
; ScratchSize: 0
; MemoryBound: 0
; FloatMode: 240
; IeeeMode: 1
; LDSByteSize: 0 bytes/workgroup (compile time only)
; SGPRBlocks: 0
; VGPRBlocks: 0
; NumSGPRsForWavesPerEU: 4
; NumVGPRsForWavesPerEU: 1
; AccumOffset: 4
; Occupancy: 8
; WaveLimiterHint : 0
; COMPUTE_PGM_RSRC2:SCRATCH_EN: 0
; COMPUTE_PGM_RSRC2:USER_SGPR: 6
; COMPUTE_PGM_RSRC2:TRAP_HANDLER: 0
; COMPUTE_PGM_RSRC2:TGID_X_EN: 1
; COMPUTE_PGM_RSRC2:TGID_Y_EN: 0
; COMPUTE_PGM_RSRC2:TGID_Z_EN: 0
; COMPUTE_PGM_RSRC2:TIDIG_COMP_CNT: 0
; COMPUTE_PGM_RSRC3_GFX90A:ACCUM_OFFSET: 0
; COMPUTE_PGM_RSRC3_GFX90A:TG_SPLIT: 0
	.section	.text._ZN7rocprim17ROCPRIM_400000_NS6detail17trampoline_kernelINS0_14default_configENS1_35radix_sort_onesweep_config_selectorIyNS0_10empty_typeEEEZZNS1_29radix_sort_onesweep_iterationIS3_Lb1EPyS8_PS5_S9_mNS0_19identity_decomposerENS1_16block_id_wrapperIjLb1EEEEE10hipError_tT1_PNSt15iterator_traitsISE_E10value_typeET2_T3_PNSF_ISK_E10value_typeET4_T5_PSP_SQ_PNS1_23onesweep_lookback_stateEbbT6_jjT7_P12ihipStream_tbENKUlT_T0_SE_SJ_E_clIS8_S8_S9_S9_EEDaSX_SY_SE_SJ_EUlSX_E_NS1_11comp_targetILNS1_3genE5ELNS1_11target_archE942ELNS1_3gpuE9ELNS1_3repE0EEENS1_47radix_sort_onesweep_sort_config_static_selectorELNS0_4arch9wavefront6targetE1EEEvSE_,"axG",@progbits,_ZN7rocprim17ROCPRIM_400000_NS6detail17trampoline_kernelINS0_14default_configENS1_35radix_sort_onesweep_config_selectorIyNS0_10empty_typeEEEZZNS1_29radix_sort_onesweep_iterationIS3_Lb1EPyS8_PS5_S9_mNS0_19identity_decomposerENS1_16block_id_wrapperIjLb1EEEEE10hipError_tT1_PNSt15iterator_traitsISE_E10value_typeET2_T3_PNSF_ISK_E10value_typeET4_T5_PSP_SQ_PNS1_23onesweep_lookback_stateEbbT6_jjT7_P12ihipStream_tbENKUlT_T0_SE_SJ_E_clIS8_S8_S9_S9_EEDaSX_SY_SE_SJ_EUlSX_E_NS1_11comp_targetILNS1_3genE5ELNS1_11target_archE942ELNS1_3gpuE9ELNS1_3repE0EEENS1_47radix_sort_onesweep_sort_config_static_selectorELNS0_4arch9wavefront6targetE1EEEvSE_,comdat
	.protected	_ZN7rocprim17ROCPRIM_400000_NS6detail17trampoline_kernelINS0_14default_configENS1_35radix_sort_onesweep_config_selectorIyNS0_10empty_typeEEEZZNS1_29radix_sort_onesweep_iterationIS3_Lb1EPyS8_PS5_S9_mNS0_19identity_decomposerENS1_16block_id_wrapperIjLb1EEEEE10hipError_tT1_PNSt15iterator_traitsISE_E10value_typeET2_T3_PNSF_ISK_E10value_typeET4_T5_PSP_SQ_PNS1_23onesweep_lookback_stateEbbT6_jjT7_P12ihipStream_tbENKUlT_T0_SE_SJ_E_clIS8_S8_S9_S9_EEDaSX_SY_SE_SJ_EUlSX_E_NS1_11comp_targetILNS1_3genE5ELNS1_11target_archE942ELNS1_3gpuE9ELNS1_3repE0EEENS1_47radix_sort_onesweep_sort_config_static_selectorELNS0_4arch9wavefront6targetE1EEEvSE_ ; -- Begin function _ZN7rocprim17ROCPRIM_400000_NS6detail17trampoline_kernelINS0_14default_configENS1_35radix_sort_onesweep_config_selectorIyNS0_10empty_typeEEEZZNS1_29radix_sort_onesweep_iterationIS3_Lb1EPyS8_PS5_S9_mNS0_19identity_decomposerENS1_16block_id_wrapperIjLb1EEEEE10hipError_tT1_PNSt15iterator_traitsISE_E10value_typeET2_T3_PNSF_ISK_E10value_typeET4_T5_PSP_SQ_PNS1_23onesweep_lookback_stateEbbT6_jjT7_P12ihipStream_tbENKUlT_T0_SE_SJ_E_clIS8_S8_S9_S9_EEDaSX_SY_SE_SJ_EUlSX_E_NS1_11comp_targetILNS1_3genE5ELNS1_11target_archE942ELNS1_3gpuE9ELNS1_3repE0EEENS1_47radix_sort_onesweep_sort_config_static_selectorELNS0_4arch9wavefront6targetE1EEEvSE_
	.globl	_ZN7rocprim17ROCPRIM_400000_NS6detail17trampoline_kernelINS0_14default_configENS1_35radix_sort_onesweep_config_selectorIyNS0_10empty_typeEEEZZNS1_29radix_sort_onesweep_iterationIS3_Lb1EPyS8_PS5_S9_mNS0_19identity_decomposerENS1_16block_id_wrapperIjLb1EEEEE10hipError_tT1_PNSt15iterator_traitsISE_E10value_typeET2_T3_PNSF_ISK_E10value_typeET4_T5_PSP_SQ_PNS1_23onesweep_lookback_stateEbbT6_jjT7_P12ihipStream_tbENKUlT_T0_SE_SJ_E_clIS8_S8_S9_S9_EEDaSX_SY_SE_SJ_EUlSX_E_NS1_11comp_targetILNS1_3genE5ELNS1_11target_archE942ELNS1_3gpuE9ELNS1_3repE0EEENS1_47radix_sort_onesweep_sort_config_static_selectorELNS0_4arch9wavefront6targetE1EEEvSE_
	.p2align	8
	.type	_ZN7rocprim17ROCPRIM_400000_NS6detail17trampoline_kernelINS0_14default_configENS1_35radix_sort_onesweep_config_selectorIyNS0_10empty_typeEEEZZNS1_29radix_sort_onesweep_iterationIS3_Lb1EPyS8_PS5_S9_mNS0_19identity_decomposerENS1_16block_id_wrapperIjLb1EEEEE10hipError_tT1_PNSt15iterator_traitsISE_E10value_typeET2_T3_PNSF_ISK_E10value_typeET4_T5_PSP_SQ_PNS1_23onesweep_lookback_stateEbbT6_jjT7_P12ihipStream_tbENKUlT_T0_SE_SJ_E_clIS8_S8_S9_S9_EEDaSX_SY_SE_SJ_EUlSX_E_NS1_11comp_targetILNS1_3genE5ELNS1_11target_archE942ELNS1_3gpuE9ELNS1_3repE0EEENS1_47radix_sort_onesweep_sort_config_static_selectorELNS0_4arch9wavefront6targetE1EEEvSE_,@function
_ZN7rocprim17ROCPRIM_400000_NS6detail17trampoline_kernelINS0_14default_configENS1_35radix_sort_onesweep_config_selectorIyNS0_10empty_typeEEEZZNS1_29radix_sort_onesweep_iterationIS3_Lb1EPyS8_PS5_S9_mNS0_19identity_decomposerENS1_16block_id_wrapperIjLb1EEEEE10hipError_tT1_PNSt15iterator_traitsISE_E10value_typeET2_T3_PNSF_ISK_E10value_typeET4_T5_PSP_SQ_PNS1_23onesweep_lookback_stateEbbT6_jjT7_P12ihipStream_tbENKUlT_T0_SE_SJ_E_clIS8_S8_S9_S9_EEDaSX_SY_SE_SJ_EUlSX_E_NS1_11comp_targetILNS1_3genE5ELNS1_11target_archE942ELNS1_3gpuE9ELNS1_3repE0EEENS1_47radix_sort_onesweep_sort_config_static_selectorELNS0_4arch9wavefront6targetE1EEEvSE_: ; @_ZN7rocprim17ROCPRIM_400000_NS6detail17trampoline_kernelINS0_14default_configENS1_35radix_sort_onesweep_config_selectorIyNS0_10empty_typeEEEZZNS1_29radix_sort_onesweep_iterationIS3_Lb1EPyS8_PS5_S9_mNS0_19identity_decomposerENS1_16block_id_wrapperIjLb1EEEEE10hipError_tT1_PNSt15iterator_traitsISE_E10value_typeET2_T3_PNSF_ISK_E10value_typeET4_T5_PSP_SQ_PNS1_23onesweep_lookback_stateEbbT6_jjT7_P12ihipStream_tbENKUlT_T0_SE_SJ_E_clIS8_S8_S9_S9_EEDaSX_SY_SE_SJ_EUlSX_E_NS1_11comp_targetILNS1_3genE5ELNS1_11target_archE942ELNS1_3gpuE9ELNS1_3repE0EEENS1_47radix_sort_onesweep_sort_config_static_selectorELNS0_4arch9wavefront6targetE1EEEvSE_
; %bb.0:
	.section	.rodata,"a",@progbits
	.p2align	6, 0x0
	.amdhsa_kernel _ZN7rocprim17ROCPRIM_400000_NS6detail17trampoline_kernelINS0_14default_configENS1_35radix_sort_onesweep_config_selectorIyNS0_10empty_typeEEEZZNS1_29radix_sort_onesweep_iterationIS3_Lb1EPyS8_PS5_S9_mNS0_19identity_decomposerENS1_16block_id_wrapperIjLb1EEEEE10hipError_tT1_PNSt15iterator_traitsISE_E10value_typeET2_T3_PNSF_ISK_E10value_typeET4_T5_PSP_SQ_PNS1_23onesweep_lookback_stateEbbT6_jjT7_P12ihipStream_tbENKUlT_T0_SE_SJ_E_clIS8_S8_S9_S9_EEDaSX_SY_SE_SJ_EUlSX_E_NS1_11comp_targetILNS1_3genE5ELNS1_11target_archE942ELNS1_3gpuE9ELNS1_3repE0EEENS1_47radix_sort_onesweep_sort_config_static_selectorELNS0_4arch9wavefront6targetE1EEEvSE_
		.amdhsa_group_segment_fixed_size 0
		.amdhsa_private_segment_fixed_size 0
		.amdhsa_kernarg_size 88
		.amdhsa_user_sgpr_count 6
		.amdhsa_user_sgpr_private_segment_buffer 1
		.amdhsa_user_sgpr_dispatch_ptr 0
		.amdhsa_user_sgpr_queue_ptr 0
		.amdhsa_user_sgpr_kernarg_segment_ptr 1
		.amdhsa_user_sgpr_dispatch_id 0
		.amdhsa_user_sgpr_flat_scratch_init 0
		.amdhsa_user_sgpr_kernarg_preload_length 0
		.amdhsa_user_sgpr_kernarg_preload_offset 0
		.amdhsa_user_sgpr_private_segment_size 0
		.amdhsa_uses_dynamic_stack 0
		.amdhsa_system_sgpr_private_segment_wavefront_offset 0
		.amdhsa_system_sgpr_workgroup_id_x 1
		.amdhsa_system_sgpr_workgroup_id_y 0
		.amdhsa_system_sgpr_workgroup_id_z 0
		.amdhsa_system_sgpr_workgroup_info 0
		.amdhsa_system_vgpr_workitem_id 0
		.amdhsa_next_free_vgpr 1
		.amdhsa_next_free_sgpr 0
		.amdhsa_accum_offset 4
		.amdhsa_reserve_vcc 0
		.amdhsa_reserve_flat_scratch 0
		.amdhsa_float_round_mode_32 0
		.amdhsa_float_round_mode_16_64 0
		.amdhsa_float_denorm_mode_32 3
		.amdhsa_float_denorm_mode_16_64 3
		.amdhsa_dx10_clamp 1
		.amdhsa_ieee_mode 1
		.amdhsa_fp16_overflow 0
		.amdhsa_tg_split 0
		.amdhsa_exception_fp_ieee_invalid_op 0
		.amdhsa_exception_fp_denorm_src 0
		.amdhsa_exception_fp_ieee_div_zero 0
		.amdhsa_exception_fp_ieee_overflow 0
		.amdhsa_exception_fp_ieee_underflow 0
		.amdhsa_exception_fp_ieee_inexact 0
		.amdhsa_exception_int_div_zero 0
	.end_amdhsa_kernel
	.section	.text._ZN7rocprim17ROCPRIM_400000_NS6detail17trampoline_kernelINS0_14default_configENS1_35radix_sort_onesweep_config_selectorIyNS0_10empty_typeEEEZZNS1_29radix_sort_onesweep_iterationIS3_Lb1EPyS8_PS5_S9_mNS0_19identity_decomposerENS1_16block_id_wrapperIjLb1EEEEE10hipError_tT1_PNSt15iterator_traitsISE_E10value_typeET2_T3_PNSF_ISK_E10value_typeET4_T5_PSP_SQ_PNS1_23onesweep_lookback_stateEbbT6_jjT7_P12ihipStream_tbENKUlT_T0_SE_SJ_E_clIS8_S8_S9_S9_EEDaSX_SY_SE_SJ_EUlSX_E_NS1_11comp_targetILNS1_3genE5ELNS1_11target_archE942ELNS1_3gpuE9ELNS1_3repE0EEENS1_47radix_sort_onesweep_sort_config_static_selectorELNS0_4arch9wavefront6targetE1EEEvSE_,"axG",@progbits,_ZN7rocprim17ROCPRIM_400000_NS6detail17trampoline_kernelINS0_14default_configENS1_35radix_sort_onesweep_config_selectorIyNS0_10empty_typeEEEZZNS1_29radix_sort_onesweep_iterationIS3_Lb1EPyS8_PS5_S9_mNS0_19identity_decomposerENS1_16block_id_wrapperIjLb1EEEEE10hipError_tT1_PNSt15iterator_traitsISE_E10value_typeET2_T3_PNSF_ISK_E10value_typeET4_T5_PSP_SQ_PNS1_23onesweep_lookback_stateEbbT6_jjT7_P12ihipStream_tbENKUlT_T0_SE_SJ_E_clIS8_S8_S9_S9_EEDaSX_SY_SE_SJ_EUlSX_E_NS1_11comp_targetILNS1_3genE5ELNS1_11target_archE942ELNS1_3gpuE9ELNS1_3repE0EEENS1_47radix_sort_onesweep_sort_config_static_selectorELNS0_4arch9wavefront6targetE1EEEvSE_,comdat
.Lfunc_end2479:
	.size	_ZN7rocprim17ROCPRIM_400000_NS6detail17trampoline_kernelINS0_14default_configENS1_35radix_sort_onesweep_config_selectorIyNS0_10empty_typeEEEZZNS1_29radix_sort_onesweep_iterationIS3_Lb1EPyS8_PS5_S9_mNS0_19identity_decomposerENS1_16block_id_wrapperIjLb1EEEEE10hipError_tT1_PNSt15iterator_traitsISE_E10value_typeET2_T3_PNSF_ISK_E10value_typeET4_T5_PSP_SQ_PNS1_23onesweep_lookback_stateEbbT6_jjT7_P12ihipStream_tbENKUlT_T0_SE_SJ_E_clIS8_S8_S9_S9_EEDaSX_SY_SE_SJ_EUlSX_E_NS1_11comp_targetILNS1_3genE5ELNS1_11target_archE942ELNS1_3gpuE9ELNS1_3repE0EEENS1_47radix_sort_onesweep_sort_config_static_selectorELNS0_4arch9wavefront6targetE1EEEvSE_, .Lfunc_end2479-_ZN7rocprim17ROCPRIM_400000_NS6detail17trampoline_kernelINS0_14default_configENS1_35radix_sort_onesweep_config_selectorIyNS0_10empty_typeEEEZZNS1_29radix_sort_onesweep_iterationIS3_Lb1EPyS8_PS5_S9_mNS0_19identity_decomposerENS1_16block_id_wrapperIjLb1EEEEE10hipError_tT1_PNSt15iterator_traitsISE_E10value_typeET2_T3_PNSF_ISK_E10value_typeET4_T5_PSP_SQ_PNS1_23onesweep_lookback_stateEbbT6_jjT7_P12ihipStream_tbENKUlT_T0_SE_SJ_E_clIS8_S8_S9_S9_EEDaSX_SY_SE_SJ_EUlSX_E_NS1_11comp_targetILNS1_3genE5ELNS1_11target_archE942ELNS1_3gpuE9ELNS1_3repE0EEENS1_47radix_sort_onesweep_sort_config_static_selectorELNS0_4arch9wavefront6targetE1EEEvSE_
                                        ; -- End function
	.section	.AMDGPU.csdata,"",@progbits
; Kernel info:
; codeLenInByte = 0
; NumSgprs: 4
; NumVgprs: 0
; NumAgprs: 0
; TotalNumVgprs: 0
; ScratchSize: 0
; MemoryBound: 0
; FloatMode: 240
; IeeeMode: 1
; LDSByteSize: 0 bytes/workgroup (compile time only)
; SGPRBlocks: 0
; VGPRBlocks: 0
; NumSGPRsForWavesPerEU: 4
; NumVGPRsForWavesPerEU: 1
; AccumOffset: 4
; Occupancy: 8
; WaveLimiterHint : 0
; COMPUTE_PGM_RSRC2:SCRATCH_EN: 0
; COMPUTE_PGM_RSRC2:USER_SGPR: 6
; COMPUTE_PGM_RSRC2:TRAP_HANDLER: 0
; COMPUTE_PGM_RSRC2:TGID_X_EN: 1
; COMPUTE_PGM_RSRC2:TGID_Y_EN: 0
; COMPUTE_PGM_RSRC2:TGID_Z_EN: 0
; COMPUTE_PGM_RSRC2:TIDIG_COMP_CNT: 0
; COMPUTE_PGM_RSRC3_GFX90A:ACCUM_OFFSET: 0
; COMPUTE_PGM_RSRC3_GFX90A:TG_SPLIT: 0
	.section	.text._ZN7rocprim17ROCPRIM_400000_NS6detail17trampoline_kernelINS0_14default_configENS1_35radix_sort_onesweep_config_selectorIyNS0_10empty_typeEEEZZNS1_29radix_sort_onesweep_iterationIS3_Lb1EPyS8_PS5_S9_mNS0_19identity_decomposerENS1_16block_id_wrapperIjLb1EEEEE10hipError_tT1_PNSt15iterator_traitsISE_E10value_typeET2_T3_PNSF_ISK_E10value_typeET4_T5_PSP_SQ_PNS1_23onesweep_lookback_stateEbbT6_jjT7_P12ihipStream_tbENKUlT_T0_SE_SJ_E_clIS8_S8_S9_S9_EEDaSX_SY_SE_SJ_EUlSX_E_NS1_11comp_targetILNS1_3genE2ELNS1_11target_archE906ELNS1_3gpuE6ELNS1_3repE0EEENS1_47radix_sort_onesweep_sort_config_static_selectorELNS0_4arch9wavefront6targetE1EEEvSE_,"axG",@progbits,_ZN7rocprim17ROCPRIM_400000_NS6detail17trampoline_kernelINS0_14default_configENS1_35radix_sort_onesweep_config_selectorIyNS0_10empty_typeEEEZZNS1_29radix_sort_onesweep_iterationIS3_Lb1EPyS8_PS5_S9_mNS0_19identity_decomposerENS1_16block_id_wrapperIjLb1EEEEE10hipError_tT1_PNSt15iterator_traitsISE_E10value_typeET2_T3_PNSF_ISK_E10value_typeET4_T5_PSP_SQ_PNS1_23onesweep_lookback_stateEbbT6_jjT7_P12ihipStream_tbENKUlT_T0_SE_SJ_E_clIS8_S8_S9_S9_EEDaSX_SY_SE_SJ_EUlSX_E_NS1_11comp_targetILNS1_3genE2ELNS1_11target_archE906ELNS1_3gpuE6ELNS1_3repE0EEENS1_47radix_sort_onesweep_sort_config_static_selectorELNS0_4arch9wavefront6targetE1EEEvSE_,comdat
	.protected	_ZN7rocprim17ROCPRIM_400000_NS6detail17trampoline_kernelINS0_14default_configENS1_35radix_sort_onesweep_config_selectorIyNS0_10empty_typeEEEZZNS1_29radix_sort_onesweep_iterationIS3_Lb1EPyS8_PS5_S9_mNS0_19identity_decomposerENS1_16block_id_wrapperIjLb1EEEEE10hipError_tT1_PNSt15iterator_traitsISE_E10value_typeET2_T3_PNSF_ISK_E10value_typeET4_T5_PSP_SQ_PNS1_23onesweep_lookback_stateEbbT6_jjT7_P12ihipStream_tbENKUlT_T0_SE_SJ_E_clIS8_S8_S9_S9_EEDaSX_SY_SE_SJ_EUlSX_E_NS1_11comp_targetILNS1_3genE2ELNS1_11target_archE906ELNS1_3gpuE6ELNS1_3repE0EEENS1_47radix_sort_onesweep_sort_config_static_selectorELNS0_4arch9wavefront6targetE1EEEvSE_ ; -- Begin function _ZN7rocprim17ROCPRIM_400000_NS6detail17trampoline_kernelINS0_14default_configENS1_35radix_sort_onesweep_config_selectorIyNS0_10empty_typeEEEZZNS1_29radix_sort_onesweep_iterationIS3_Lb1EPyS8_PS5_S9_mNS0_19identity_decomposerENS1_16block_id_wrapperIjLb1EEEEE10hipError_tT1_PNSt15iterator_traitsISE_E10value_typeET2_T3_PNSF_ISK_E10value_typeET4_T5_PSP_SQ_PNS1_23onesweep_lookback_stateEbbT6_jjT7_P12ihipStream_tbENKUlT_T0_SE_SJ_E_clIS8_S8_S9_S9_EEDaSX_SY_SE_SJ_EUlSX_E_NS1_11comp_targetILNS1_3genE2ELNS1_11target_archE906ELNS1_3gpuE6ELNS1_3repE0EEENS1_47radix_sort_onesweep_sort_config_static_selectorELNS0_4arch9wavefront6targetE1EEEvSE_
	.globl	_ZN7rocprim17ROCPRIM_400000_NS6detail17trampoline_kernelINS0_14default_configENS1_35radix_sort_onesweep_config_selectorIyNS0_10empty_typeEEEZZNS1_29radix_sort_onesweep_iterationIS3_Lb1EPyS8_PS5_S9_mNS0_19identity_decomposerENS1_16block_id_wrapperIjLb1EEEEE10hipError_tT1_PNSt15iterator_traitsISE_E10value_typeET2_T3_PNSF_ISK_E10value_typeET4_T5_PSP_SQ_PNS1_23onesweep_lookback_stateEbbT6_jjT7_P12ihipStream_tbENKUlT_T0_SE_SJ_E_clIS8_S8_S9_S9_EEDaSX_SY_SE_SJ_EUlSX_E_NS1_11comp_targetILNS1_3genE2ELNS1_11target_archE906ELNS1_3gpuE6ELNS1_3repE0EEENS1_47radix_sort_onesweep_sort_config_static_selectorELNS0_4arch9wavefront6targetE1EEEvSE_
	.p2align	8
	.type	_ZN7rocprim17ROCPRIM_400000_NS6detail17trampoline_kernelINS0_14default_configENS1_35radix_sort_onesweep_config_selectorIyNS0_10empty_typeEEEZZNS1_29radix_sort_onesweep_iterationIS3_Lb1EPyS8_PS5_S9_mNS0_19identity_decomposerENS1_16block_id_wrapperIjLb1EEEEE10hipError_tT1_PNSt15iterator_traitsISE_E10value_typeET2_T3_PNSF_ISK_E10value_typeET4_T5_PSP_SQ_PNS1_23onesweep_lookback_stateEbbT6_jjT7_P12ihipStream_tbENKUlT_T0_SE_SJ_E_clIS8_S8_S9_S9_EEDaSX_SY_SE_SJ_EUlSX_E_NS1_11comp_targetILNS1_3genE2ELNS1_11target_archE906ELNS1_3gpuE6ELNS1_3repE0EEENS1_47radix_sort_onesweep_sort_config_static_selectorELNS0_4arch9wavefront6targetE1EEEvSE_,@function
_ZN7rocprim17ROCPRIM_400000_NS6detail17trampoline_kernelINS0_14default_configENS1_35radix_sort_onesweep_config_selectorIyNS0_10empty_typeEEEZZNS1_29radix_sort_onesweep_iterationIS3_Lb1EPyS8_PS5_S9_mNS0_19identity_decomposerENS1_16block_id_wrapperIjLb1EEEEE10hipError_tT1_PNSt15iterator_traitsISE_E10value_typeET2_T3_PNSF_ISK_E10value_typeET4_T5_PSP_SQ_PNS1_23onesweep_lookback_stateEbbT6_jjT7_P12ihipStream_tbENKUlT_T0_SE_SJ_E_clIS8_S8_S9_S9_EEDaSX_SY_SE_SJ_EUlSX_E_NS1_11comp_targetILNS1_3genE2ELNS1_11target_archE906ELNS1_3gpuE6ELNS1_3repE0EEENS1_47radix_sort_onesweep_sort_config_static_selectorELNS0_4arch9wavefront6targetE1EEEvSE_: ; @_ZN7rocprim17ROCPRIM_400000_NS6detail17trampoline_kernelINS0_14default_configENS1_35radix_sort_onesweep_config_selectorIyNS0_10empty_typeEEEZZNS1_29radix_sort_onesweep_iterationIS3_Lb1EPyS8_PS5_S9_mNS0_19identity_decomposerENS1_16block_id_wrapperIjLb1EEEEE10hipError_tT1_PNSt15iterator_traitsISE_E10value_typeET2_T3_PNSF_ISK_E10value_typeET4_T5_PSP_SQ_PNS1_23onesweep_lookback_stateEbbT6_jjT7_P12ihipStream_tbENKUlT_T0_SE_SJ_E_clIS8_S8_S9_S9_EEDaSX_SY_SE_SJ_EUlSX_E_NS1_11comp_targetILNS1_3genE2ELNS1_11target_archE906ELNS1_3gpuE6ELNS1_3repE0EEENS1_47radix_sort_onesweep_sort_config_static_selectorELNS0_4arch9wavefront6targetE1EEEvSE_
; %bb.0:
	.section	.rodata,"a",@progbits
	.p2align	6, 0x0
	.amdhsa_kernel _ZN7rocprim17ROCPRIM_400000_NS6detail17trampoline_kernelINS0_14default_configENS1_35radix_sort_onesweep_config_selectorIyNS0_10empty_typeEEEZZNS1_29radix_sort_onesweep_iterationIS3_Lb1EPyS8_PS5_S9_mNS0_19identity_decomposerENS1_16block_id_wrapperIjLb1EEEEE10hipError_tT1_PNSt15iterator_traitsISE_E10value_typeET2_T3_PNSF_ISK_E10value_typeET4_T5_PSP_SQ_PNS1_23onesweep_lookback_stateEbbT6_jjT7_P12ihipStream_tbENKUlT_T0_SE_SJ_E_clIS8_S8_S9_S9_EEDaSX_SY_SE_SJ_EUlSX_E_NS1_11comp_targetILNS1_3genE2ELNS1_11target_archE906ELNS1_3gpuE6ELNS1_3repE0EEENS1_47radix_sort_onesweep_sort_config_static_selectorELNS0_4arch9wavefront6targetE1EEEvSE_
		.amdhsa_group_segment_fixed_size 0
		.amdhsa_private_segment_fixed_size 0
		.amdhsa_kernarg_size 88
		.amdhsa_user_sgpr_count 6
		.amdhsa_user_sgpr_private_segment_buffer 1
		.amdhsa_user_sgpr_dispatch_ptr 0
		.amdhsa_user_sgpr_queue_ptr 0
		.amdhsa_user_sgpr_kernarg_segment_ptr 1
		.amdhsa_user_sgpr_dispatch_id 0
		.amdhsa_user_sgpr_flat_scratch_init 0
		.amdhsa_user_sgpr_kernarg_preload_length 0
		.amdhsa_user_sgpr_kernarg_preload_offset 0
		.amdhsa_user_sgpr_private_segment_size 0
		.amdhsa_uses_dynamic_stack 0
		.amdhsa_system_sgpr_private_segment_wavefront_offset 0
		.amdhsa_system_sgpr_workgroup_id_x 1
		.amdhsa_system_sgpr_workgroup_id_y 0
		.amdhsa_system_sgpr_workgroup_id_z 0
		.amdhsa_system_sgpr_workgroup_info 0
		.amdhsa_system_vgpr_workitem_id 0
		.amdhsa_next_free_vgpr 1
		.amdhsa_next_free_sgpr 0
		.amdhsa_accum_offset 4
		.amdhsa_reserve_vcc 0
		.amdhsa_reserve_flat_scratch 0
		.amdhsa_float_round_mode_32 0
		.amdhsa_float_round_mode_16_64 0
		.amdhsa_float_denorm_mode_32 3
		.amdhsa_float_denorm_mode_16_64 3
		.amdhsa_dx10_clamp 1
		.amdhsa_ieee_mode 1
		.amdhsa_fp16_overflow 0
		.amdhsa_tg_split 0
		.amdhsa_exception_fp_ieee_invalid_op 0
		.amdhsa_exception_fp_denorm_src 0
		.amdhsa_exception_fp_ieee_div_zero 0
		.amdhsa_exception_fp_ieee_overflow 0
		.amdhsa_exception_fp_ieee_underflow 0
		.amdhsa_exception_fp_ieee_inexact 0
		.amdhsa_exception_int_div_zero 0
	.end_amdhsa_kernel
	.section	.text._ZN7rocprim17ROCPRIM_400000_NS6detail17trampoline_kernelINS0_14default_configENS1_35radix_sort_onesweep_config_selectorIyNS0_10empty_typeEEEZZNS1_29radix_sort_onesweep_iterationIS3_Lb1EPyS8_PS5_S9_mNS0_19identity_decomposerENS1_16block_id_wrapperIjLb1EEEEE10hipError_tT1_PNSt15iterator_traitsISE_E10value_typeET2_T3_PNSF_ISK_E10value_typeET4_T5_PSP_SQ_PNS1_23onesweep_lookback_stateEbbT6_jjT7_P12ihipStream_tbENKUlT_T0_SE_SJ_E_clIS8_S8_S9_S9_EEDaSX_SY_SE_SJ_EUlSX_E_NS1_11comp_targetILNS1_3genE2ELNS1_11target_archE906ELNS1_3gpuE6ELNS1_3repE0EEENS1_47radix_sort_onesweep_sort_config_static_selectorELNS0_4arch9wavefront6targetE1EEEvSE_,"axG",@progbits,_ZN7rocprim17ROCPRIM_400000_NS6detail17trampoline_kernelINS0_14default_configENS1_35radix_sort_onesweep_config_selectorIyNS0_10empty_typeEEEZZNS1_29radix_sort_onesweep_iterationIS3_Lb1EPyS8_PS5_S9_mNS0_19identity_decomposerENS1_16block_id_wrapperIjLb1EEEEE10hipError_tT1_PNSt15iterator_traitsISE_E10value_typeET2_T3_PNSF_ISK_E10value_typeET4_T5_PSP_SQ_PNS1_23onesweep_lookback_stateEbbT6_jjT7_P12ihipStream_tbENKUlT_T0_SE_SJ_E_clIS8_S8_S9_S9_EEDaSX_SY_SE_SJ_EUlSX_E_NS1_11comp_targetILNS1_3genE2ELNS1_11target_archE906ELNS1_3gpuE6ELNS1_3repE0EEENS1_47radix_sort_onesweep_sort_config_static_selectorELNS0_4arch9wavefront6targetE1EEEvSE_,comdat
.Lfunc_end2480:
	.size	_ZN7rocprim17ROCPRIM_400000_NS6detail17trampoline_kernelINS0_14default_configENS1_35radix_sort_onesweep_config_selectorIyNS0_10empty_typeEEEZZNS1_29radix_sort_onesweep_iterationIS3_Lb1EPyS8_PS5_S9_mNS0_19identity_decomposerENS1_16block_id_wrapperIjLb1EEEEE10hipError_tT1_PNSt15iterator_traitsISE_E10value_typeET2_T3_PNSF_ISK_E10value_typeET4_T5_PSP_SQ_PNS1_23onesweep_lookback_stateEbbT6_jjT7_P12ihipStream_tbENKUlT_T0_SE_SJ_E_clIS8_S8_S9_S9_EEDaSX_SY_SE_SJ_EUlSX_E_NS1_11comp_targetILNS1_3genE2ELNS1_11target_archE906ELNS1_3gpuE6ELNS1_3repE0EEENS1_47radix_sort_onesweep_sort_config_static_selectorELNS0_4arch9wavefront6targetE1EEEvSE_, .Lfunc_end2480-_ZN7rocprim17ROCPRIM_400000_NS6detail17trampoline_kernelINS0_14default_configENS1_35radix_sort_onesweep_config_selectorIyNS0_10empty_typeEEEZZNS1_29radix_sort_onesweep_iterationIS3_Lb1EPyS8_PS5_S9_mNS0_19identity_decomposerENS1_16block_id_wrapperIjLb1EEEEE10hipError_tT1_PNSt15iterator_traitsISE_E10value_typeET2_T3_PNSF_ISK_E10value_typeET4_T5_PSP_SQ_PNS1_23onesweep_lookback_stateEbbT6_jjT7_P12ihipStream_tbENKUlT_T0_SE_SJ_E_clIS8_S8_S9_S9_EEDaSX_SY_SE_SJ_EUlSX_E_NS1_11comp_targetILNS1_3genE2ELNS1_11target_archE906ELNS1_3gpuE6ELNS1_3repE0EEENS1_47radix_sort_onesweep_sort_config_static_selectorELNS0_4arch9wavefront6targetE1EEEvSE_
                                        ; -- End function
	.section	.AMDGPU.csdata,"",@progbits
; Kernel info:
; codeLenInByte = 0
; NumSgprs: 4
; NumVgprs: 0
; NumAgprs: 0
; TotalNumVgprs: 0
; ScratchSize: 0
; MemoryBound: 0
; FloatMode: 240
; IeeeMode: 1
; LDSByteSize: 0 bytes/workgroup (compile time only)
; SGPRBlocks: 0
; VGPRBlocks: 0
; NumSGPRsForWavesPerEU: 4
; NumVGPRsForWavesPerEU: 1
; AccumOffset: 4
; Occupancy: 8
; WaveLimiterHint : 0
; COMPUTE_PGM_RSRC2:SCRATCH_EN: 0
; COMPUTE_PGM_RSRC2:USER_SGPR: 6
; COMPUTE_PGM_RSRC2:TRAP_HANDLER: 0
; COMPUTE_PGM_RSRC2:TGID_X_EN: 1
; COMPUTE_PGM_RSRC2:TGID_Y_EN: 0
; COMPUTE_PGM_RSRC2:TGID_Z_EN: 0
; COMPUTE_PGM_RSRC2:TIDIG_COMP_CNT: 0
; COMPUTE_PGM_RSRC3_GFX90A:ACCUM_OFFSET: 0
; COMPUTE_PGM_RSRC3_GFX90A:TG_SPLIT: 0
	.section	.text._ZN7rocprim17ROCPRIM_400000_NS6detail17trampoline_kernelINS0_14default_configENS1_35radix_sort_onesweep_config_selectorIyNS0_10empty_typeEEEZZNS1_29radix_sort_onesweep_iterationIS3_Lb1EPyS8_PS5_S9_mNS0_19identity_decomposerENS1_16block_id_wrapperIjLb1EEEEE10hipError_tT1_PNSt15iterator_traitsISE_E10value_typeET2_T3_PNSF_ISK_E10value_typeET4_T5_PSP_SQ_PNS1_23onesweep_lookback_stateEbbT6_jjT7_P12ihipStream_tbENKUlT_T0_SE_SJ_E_clIS8_S8_S9_S9_EEDaSX_SY_SE_SJ_EUlSX_E_NS1_11comp_targetILNS1_3genE4ELNS1_11target_archE910ELNS1_3gpuE8ELNS1_3repE0EEENS1_47radix_sort_onesweep_sort_config_static_selectorELNS0_4arch9wavefront6targetE1EEEvSE_,"axG",@progbits,_ZN7rocprim17ROCPRIM_400000_NS6detail17trampoline_kernelINS0_14default_configENS1_35radix_sort_onesweep_config_selectorIyNS0_10empty_typeEEEZZNS1_29radix_sort_onesweep_iterationIS3_Lb1EPyS8_PS5_S9_mNS0_19identity_decomposerENS1_16block_id_wrapperIjLb1EEEEE10hipError_tT1_PNSt15iterator_traitsISE_E10value_typeET2_T3_PNSF_ISK_E10value_typeET4_T5_PSP_SQ_PNS1_23onesweep_lookback_stateEbbT6_jjT7_P12ihipStream_tbENKUlT_T0_SE_SJ_E_clIS8_S8_S9_S9_EEDaSX_SY_SE_SJ_EUlSX_E_NS1_11comp_targetILNS1_3genE4ELNS1_11target_archE910ELNS1_3gpuE8ELNS1_3repE0EEENS1_47radix_sort_onesweep_sort_config_static_selectorELNS0_4arch9wavefront6targetE1EEEvSE_,comdat
	.protected	_ZN7rocprim17ROCPRIM_400000_NS6detail17trampoline_kernelINS0_14default_configENS1_35radix_sort_onesweep_config_selectorIyNS0_10empty_typeEEEZZNS1_29radix_sort_onesweep_iterationIS3_Lb1EPyS8_PS5_S9_mNS0_19identity_decomposerENS1_16block_id_wrapperIjLb1EEEEE10hipError_tT1_PNSt15iterator_traitsISE_E10value_typeET2_T3_PNSF_ISK_E10value_typeET4_T5_PSP_SQ_PNS1_23onesweep_lookback_stateEbbT6_jjT7_P12ihipStream_tbENKUlT_T0_SE_SJ_E_clIS8_S8_S9_S9_EEDaSX_SY_SE_SJ_EUlSX_E_NS1_11comp_targetILNS1_3genE4ELNS1_11target_archE910ELNS1_3gpuE8ELNS1_3repE0EEENS1_47radix_sort_onesweep_sort_config_static_selectorELNS0_4arch9wavefront6targetE1EEEvSE_ ; -- Begin function _ZN7rocprim17ROCPRIM_400000_NS6detail17trampoline_kernelINS0_14default_configENS1_35radix_sort_onesweep_config_selectorIyNS0_10empty_typeEEEZZNS1_29radix_sort_onesweep_iterationIS3_Lb1EPyS8_PS5_S9_mNS0_19identity_decomposerENS1_16block_id_wrapperIjLb1EEEEE10hipError_tT1_PNSt15iterator_traitsISE_E10value_typeET2_T3_PNSF_ISK_E10value_typeET4_T5_PSP_SQ_PNS1_23onesweep_lookback_stateEbbT6_jjT7_P12ihipStream_tbENKUlT_T0_SE_SJ_E_clIS8_S8_S9_S9_EEDaSX_SY_SE_SJ_EUlSX_E_NS1_11comp_targetILNS1_3genE4ELNS1_11target_archE910ELNS1_3gpuE8ELNS1_3repE0EEENS1_47radix_sort_onesweep_sort_config_static_selectorELNS0_4arch9wavefront6targetE1EEEvSE_
	.globl	_ZN7rocprim17ROCPRIM_400000_NS6detail17trampoline_kernelINS0_14default_configENS1_35radix_sort_onesweep_config_selectorIyNS0_10empty_typeEEEZZNS1_29radix_sort_onesweep_iterationIS3_Lb1EPyS8_PS5_S9_mNS0_19identity_decomposerENS1_16block_id_wrapperIjLb1EEEEE10hipError_tT1_PNSt15iterator_traitsISE_E10value_typeET2_T3_PNSF_ISK_E10value_typeET4_T5_PSP_SQ_PNS1_23onesweep_lookback_stateEbbT6_jjT7_P12ihipStream_tbENKUlT_T0_SE_SJ_E_clIS8_S8_S9_S9_EEDaSX_SY_SE_SJ_EUlSX_E_NS1_11comp_targetILNS1_3genE4ELNS1_11target_archE910ELNS1_3gpuE8ELNS1_3repE0EEENS1_47radix_sort_onesweep_sort_config_static_selectorELNS0_4arch9wavefront6targetE1EEEvSE_
	.p2align	8
	.type	_ZN7rocprim17ROCPRIM_400000_NS6detail17trampoline_kernelINS0_14default_configENS1_35radix_sort_onesweep_config_selectorIyNS0_10empty_typeEEEZZNS1_29radix_sort_onesweep_iterationIS3_Lb1EPyS8_PS5_S9_mNS0_19identity_decomposerENS1_16block_id_wrapperIjLb1EEEEE10hipError_tT1_PNSt15iterator_traitsISE_E10value_typeET2_T3_PNSF_ISK_E10value_typeET4_T5_PSP_SQ_PNS1_23onesweep_lookback_stateEbbT6_jjT7_P12ihipStream_tbENKUlT_T0_SE_SJ_E_clIS8_S8_S9_S9_EEDaSX_SY_SE_SJ_EUlSX_E_NS1_11comp_targetILNS1_3genE4ELNS1_11target_archE910ELNS1_3gpuE8ELNS1_3repE0EEENS1_47radix_sort_onesweep_sort_config_static_selectorELNS0_4arch9wavefront6targetE1EEEvSE_,@function
_ZN7rocprim17ROCPRIM_400000_NS6detail17trampoline_kernelINS0_14default_configENS1_35radix_sort_onesweep_config_selectorIyNS0_10empty_typeEEEZZNS1_29radix_sort_onesweep_iterationIS3_Lb1EPyS8_PS5_S9_mNS0_19identity_decomposerENS1_16block_id_wrapperIjLb1EEEEE10hipError_tT1_PNSt15iterator_traitsISE_E10value_typeET2_T3_PNSF_ISK_E10value_typeET4_T5_PSP_SQ_PNS1_23onesweep_lookback_stateEbbT6_jjT7_P12ihipStream_tbENKUlT_T0_SE_SJ_E_clIS8_S8_S9_S9_EEDaSX_SY_SE_SJ_EUlSX_E_NS1_11comp_targetILNS1_3genE4ELNS1_11target_archE910ELNS1_3gpuE8ELNS1_3repE0EEENS1_47radix_sort_onesweep_sort_config_static_selectorELNS0_4arch9wavefront6targetE1EEEvSE_: ; @_ZN7rocprim17ROCPRIM_400000_NS6detail17trampoline_kernelINS0_14default_configENS1_35radix_sort_onesweep_config_selectorIyNS0_10empty_typeEEEZZNS1_29radix_sort_onesweep_iterationIS3_Lb1EPyS8_PS5_S9_mNS0_19identity_decomposerENS1_16block_id_wrapperIjLb1EEEEE10hipError_tT1_PNSt15iterator_traitsISE_E10value_typeET2_T3_PNSF_ISK_E10value_typeET4_T5_PSP_SQ_PNS1_23onesweep_lookback_stateEbbT6_jjT7_P12ihipStream_tbENKUlT_T0_SE_SJ_E_clIS8_S8_S9_S9_EEDaSX_SY_SE_SJ_EUlSX_E_NS1_11comp_targetILNS1_3genE4ELNS1_11target_archE910ELNS1_3gpuE8ELNS1_3repE0EEENS1_47radix_sort_onesweep_sort_config_static_selectorELNS0_4arch9wavefront6targetE1EEEvSE_
; %bb.0:
	s_load_dwordx4 s[16:19], s[4:5], 0x28
	s_load_dwordx2 s[14:15], s[4:5], 0x38
	s_load_dwordx4 s[20:23], s[4:5], 0x44
	v_and_b32_e32 v2, 0x3ff, v0
	v_cmp_eq_u32_e64 s[0:1], 0, v2
	s_and_saveexec_b64 s[2:3], s[0:1]
	s_cbranch_execz .LBB2481_4
; %bb.1:
	s_mov_b64 s[10:11], exec
	v_mbcnt_lo_u32_b32 v1, s10, 0
	v_mbcnt_hi_u32_b32 v1, s11, v1
	v_cmp_eq_u32_e32 vcc, 0, v1
                                        ; implicit-def: $vgpr3
	s_and_saveexec_b64 s[8:9], vcc
	s_cbranch_execz .LBB2481_3
; %bb.2:
	s_load_dwordx2 s[12:13], s[4:5], 0x50
	s_bcnt1_i32_b64 s7, s[10:11]
	v_mov_b32_e32 v3, 0
	v_mov_b32_e32 v4, s7
	s_waitcnt lgkmcnt(0)
	global_atomic_add v3, v3, v4, s[12:13] glc
.LBB2481_3:
	s_or_b64 exec, exec, s[8:9]
	s_waitcnt vmcnt(0)
	v_readfirstlane_b32 s7, v3
	v_add_u32_e32 v1, s7, v1
	v_mov_b32_e32 v3, 0
	ds_write_b32 v3, v1 offset:20544
.LBB2481_4:
	s_or_b64 exec, exec, s[2:3]
	v_mov_b32_e32 v1, 0
	s_load_dwordx4 s[24:27], s[4:5], 0x0
	s_load_dword s2, s[4:5], 0x20
	s_waitcnt lgkmcnt(0)
	s_barrier
	ds_read_b32 v1, v1 offset:20544
	v_mbcnt_lo_u32_b32 v29, -1, 0
	v_lshlrev_b32_e32 v28, 3, v2
	s_waitcnt lgkmcnt(0)
	s_barrier
	v_cmp_le_u32_e32 vcc, s22, v1
	v_readfirstlane_b32 s28, v1
	s_cbranch_vccz .LBB2481_65
; %bb.5:
	s_lshl_b32 s3, s22, 13
	s_sub_i32 s7, s2, s3
	s_lshl_b32 s2, s28, 13
	s_mov_b32 s3, 0
	s_lshl_b64 s[2:3], s[2:3], 3
	v_mbcnt_hi_u32_b32 v1, -1, v29
	s_add_u32 s2, s24, s2
	v_and_b32_e32 v3, 63, v1
	s_addc_u32 s3, s25, s3
	v_lshlrev_b32_e32 v5, 3, v3
	v_and_b32_e32 v4, 0x1e00, v28
	v_mov_b32_e32 v6, s3
	v_add_co_u32_e32 v5, vcc, s2, v5
	v_addc_co_u32_e32 v6, vcc, 0, v6, vcc
	v_lshlrev_b32_e32 v7, 3, v4
	v_add_co_u32_e32 v20, vcc, v5, v7
	v_addc_co_u32_e32 v21, vcc, 0, v6, vcc
	v_or_b32_e32 v3, v3, v4
	v_pk_mov_b32 v[6:7], 0, 0
	v_cmp_gt_u32_e32 vcc, s7, v3
	v_pk_mov_b32 v[4:5], v[6:7], v[6:7] op_sel:[0,1]
	s_and_saveexec_b64 s[2:3], vcc
	s_cbranch_execz .LBB2481_7
; %bb.6:
	global_load_dwordx2 v[4:5], v[20:21], off
.LBB2481_7:
	s_or_b64 exec, exec, s[2:3]
	v_or_b32_e32 v8, 64, v3
	v_cmp_gt_u32_e32 vcc, s7, v8
	s_and_saveexec_b64 s[2:3], vcc
	s_cbranch_execz .LBB2481_9
; %bb.8:
	global_load_dwordx2 v[6:7], v[20:21], off offset:512
.LBB2481_9:
	s_or_b64 exec, exec, s[2:3]
	v_or_b32_e32 v8, 0x80, v3
	v_pk_mov_b32 v[10:11], 0, 0
	v_cmp_gt_u32_e32 vcc, s7, v8
	v_pk_mov_b32 v[8:9], v[10:11], v[10:11] op_sel:[0,1]
	s_and_saveexec_b64 s[2:3], vcc
	s_cbranch_execz .LBB2481_11
; %bb.10:
	global_load_dwordx2 v[8:9], v[20:21], off offset:1024
.LBB2481_11:
	s_or_b64 exec, exec, s[2:3]
	v_or_b32_e32 v12, 0xc0, v3
	v_cmp_gt_u32_e32 vcc, s7, v12
	s_and_saveexec_b64 s[2:3], vcc
	s_cbranch_execz .LBB2481_13
; %bb.12:
	global_load_dwordx2 v[10:11], v[20:21], off offset:1536
.LBB2481_13:
	s_or_b64 exec, exec, s[2:3]
	v_or_b32_e32 v12, 0x100, v3
	v_pk_mov_b32 v[16:17], 0, 0
	v_cmp_gt_u32_e32 vcc, s7, v12
	v_pk_mov_b32 v[12:13], v[16:17], v[16:17] op_sel:[0,1]
	s_and_saveexec_b64 s[2:3], vcc
	s_cbranch_execz .LBB2481_15
; %bb.14:
	global_load_dwordx2 v[12:13], v[20:21], off offset:2048
.LBB2481_15:
	s_or_b64 exec, exec, s[2:3]
	v_or_b32_e32 v14, 0x140, v3
	v_cmp_gt_u32_e32 vcc, s7, v14
	s_and_saveexec_b64 s[2:3], vcc
	s_cbranch_execz .LBB2481_17
; %bb.16:
	global_load_dwordx2 v[16:17], v[20:21], off offset:2560
.LBB2481_17:
	s_or_b64 exec, exec, s[2:3]
	v_or_b32_e32 v14, 0x180, v3
	v_cmp_gt_u32_e32 vcc, s7, v14
	v_pk_mov_b32 v[14:15], 0, 0
	v_pk_mov_b32 v[18:19], v[14:15], v[14:15] op_sel:[0,1]
	s_and_saveexec_b64 s[2:3], vcc
	s_cbranch_execz .LBB2481_19
; %bb.18:
	global_load_dwordx2 v[18:19], v[20:21], off offset:3072
.LBB2481_19:
	s_or_b64 exec, exec, s[2:3]
	v_or_b32_e32 v3, 0x1c0, v3
	v_cmp_gt_u32_e32 vcc, s7, v3
	s_and_saveexec_b64 s[2:3], vcc
	s_cbranch_execz .LBB2481_21
; %bb.20:
	global_load_dwordx2 v[14:15], v[20:21], off offset:3584
.LBB2481_21:
	s_or_b64 exec, exec, s[2:3]
	s_load_dword s2, s[4:5], 0x64
	s_load_dword s29, s[4:5], 0x58
	s_add_u32 s3, s4, 0x58
	s_addc_u32 s8, s5, 0
	v_mov_b32_e32 v20, 0
	s_waitcnt lgkmcnt(0)
	s_lshr_b32 s9, s2, 16
	s_cmp_lt_u32 s6, s29
	s_cselect_b32 s2, 12, 18
	s_add_u32 s2, s3, s2
	s_addc_u32 s3, s8, 0
	global_load_ushort v24, v20, s[2:3]
	s_waitcnt vmcnt(1)
	v_not_b32_e32 v5, v5
	v_not_b32_e32 v4, v4
	s_lshl_b32 s2, -1, s21
	v_lshrrev_b64 v[22:23], s20, v[4:5]
	s_not_b32 s30, s2
	v_and_b32_e32 v22, s30, v22
	v_and_b32_e32 v26, 1, v22
	v_bfe_u32 v21, v0, 10, 10
	v_bfe_u32 v25, v0, 20, 10
	v_add_co_u32_e32 v27, vcc, -1, v26
	v_mad_u32_u24 v23, v25, s9, v21
	v_lshlrev_b32_e32 v21, 30, v22
	v_addc_co_u32_e64 v30, s[2:3], 0, -1, vcc
	v_cmp_ne_u32_e32 vcc, 0, v26
	v_cmp_gt_i64_e64 s[2:3], 0, v[20:21]
	v_not_b32_e32 v26, v21
	v_lshlrev_b32_e32 v21, 29, v22
	v_xor_b32_e32 v30, vcc_hi, v30
	v_xor_b32_e32 v27, vcc_lo, v27
	v_ashrrev_i32_e32 v26, 31, v26
	v_cmp_gt_i64_e32 vcc, 0, v[20:21]
	v_not_b32_e32 v31, v21
	v_lshlrev_b32_e32 v21, 28, v22
	v_and_b32_e32 v30, exec_hi, v30
	v_and_b32_e32 v27, exec_lo, v27
	v_xor_b32_e32 v32, s3, v26
	v_xor_b32_e32 v26, s2, v26
	v_ashrrev_i32_e32 v31, 31, v31
	v_cmp_gt_i64_e64 s[2:3], 0, v[20:21]
	v_not_b32_e32 v33, v21
	v_lshlrev_b32_e32 v21, 27, v22
	v_and_b32_e32 v30, v30, v32
	v_and_b32_e32 v26, v27, v26
	v_xor_b32_e32 v27, vcc_hi, v31
	v_xor_b32_e32 v31, vcc_lo, v31
	v_ashrrev_i32_e32 v32, 31, v33
	v_cmp_gt_i64_e32 vcc, 0, v[20:21]
	v_not_b32_e32 v33, v21
	v_lshlrev_b32_e32 v21, 26, v22
	v_and_b32_e32 v27, v30, v27
	v_and_b32_e32 v26, v26, v31
	v_xor_b32_e32 v30, s3, v32
	v_xor_b32_e32 v31, s2, v32
	v_ashrrev_i32_e32 v32, 31, v33
	v_cmp_gt_i64_e64 s[2:3], 0, v[20:21]
	v_not_b32_e32 v33, v21
	v_lshlrev_b32_e32 v21, 25, v22
	v_and_b32_e32 v27, v27, v30
	v_and_b32_e32 v26, v26, v31
	v_xor_b32_e32 v30, vcc_hi, v32
	v_xor_b32_e32 v31, vcc_lo, v32
	v_ashrrev_i32_e32 v32, 31, v33
	v_not_b32_e32 v33, v21
	v_mul_u32_u24_e32 v3, 5, v2
	v_lshl_add_u32 v25, v22, 4, v22
	v_cmp_gt_i64_e32 vcc, 0, v[20:21]
	v_lshlrev_b32_e32 v21, 24, v22
	v_and_b32_e32 v22, v27, v30
	v_and_b32_e32 v26, v26, v31
	v_xor_b32_e32 v27, s3, v32
	v_ashrrev_i32_e32 v31, 31, v33
	v_lshlrev_b32_e32 v3, 2, v3
	v_xor_b32_e32 v30, s2, v32
	v_cmp_gt_i64_e64 s[2:3], 0, v[20:21]
	v_and_b32_e32 v22, v22, v27
	v_xor_b32_e32 v27, vcc_hi, v31
	v_not_b32_e32 v21, v21
	v_and_b32_e32 v26, v26, v30
	v_xor_b32_e32 v30, vcc_lo, v31
	v_and_b32_e32 v31, v22, v27
	v_ashrrev_i32_e32 v21, 31, v21
	v_and_b32_e32 v26, v26, v30
	ds_write2_b32 v3, v20, v20 offset0:16 offset1:17
	ds_write2_b32 v3, v20, v20 offset0:18 offset1:19
	ds_write_b32 v3, v20 offset:80
	s_waitcnt lgkmcnt(0)
	s_barrier
	s_waitcnt vmcnt(0)
	v_mad_u64_u32 v[22:23], s[8:9], v23, v24, v[2:3]
	v_lshrrev_b32_e32 v27, 6, v22
	v_xor_b32_e32 v22, s3, v21
	v_xor_b32_e32 v21, s2, v21
	v_and_b32_e32 v23, v31, v22
	v_and_b32_e32 v22, v26, v21
	v_mbcnt_lo_u32_b32 v21, v22, 0
	v_mbcnt_hi_u32_b32 v30, v23, v21
	v_cmp_eq_u32_e32 vcc, 0, v30
	v_cmp_ne_u64_e64 s[2:3], 0, v[22:23]
	v_add_lshl_u32 v24, v27, v25, 2
	s_and_b64 s[8:9], s[2:3], vcc
	; wave barrier
	s_and_saveexec_b64 s[2:3], s[8:9]
	s_cbranch_execz .LBB2481_23
; %bb.22:
	v_bcnt_u32_b32 v21, v22, 0
	v_bcnt_u32_b32 v21, v23, v21
	ds_write_b32 v24, v21 offset:64
.LBB2481_23:
	s_or_b64 exec, exec, s[2:3]
	v_not_b32_e32 v7, v7
	v_not_b32_e32 v6, v6
	v_lshrrev_b64 v[22:23], s20, v[6:7]
	v_and_b32_e32 v22, s30, v22
	v_lshl_add_u32 v21, v22, 4, v22
	v_add_lshl_u32 v25, v27, v21, 2
	v_and_b32_e32 v21, 1, v22
	v_add_co_u32_e32 v23, vcc, -1, v21
	v_addc_co_u32_e64 v26, s[2:3], 0, -1, vcc
	v_cmp_ne_u32_e32 vcc, 0, v21
	v_xor_b32_e32 v21, vcc_hi, v26
	v_and_b32_e32 v26, exec_hi, v21
	v_lshlrev_b32_e32 v21, 30, v22
	v_xor_b32_e32 v23, vcc_lo, v23
	v_cmp_gt_i64_e32 vcc, 0, v[20:21]
	v_not_b32_e32 v21, v21
	v_ashrrev_i32_e32 v21, 31, v21
	v_and_b32_e32 v23, exec_lo, v23
	v_xor_b32_e32 v32, vcc_hi, v21
	v_xor_b32_e32 v21, vcc_lo, v21
	v_and_b32_e32 v23, v23, v21
	v_lshlrev_b32_e32 v21, 29, v22
	v_cmp_gt_i64_e32 vcc, 0, v[20:21]
	v_not_b32_e32 v21, v21
	v_ashrrev_i32_e32 v21, 31, v21
	v_and_b32_e32 v26, v26, v32
	v_xor_b32_e32 v32, vcc_hi, v21
	v_xor_b32_e32 v21, vcc_lo, v21
	v_and_b32_e32 v23, v23, v21
	v_lshlrev_b32_e32 v21, 28, v22
	v_cmp_gt_i64_e32 vcc, 0, v[20:21]
	v_not_b32_e32 v21, v21
	v_ashrrev_i32_e32 v21, 31, v21
	v_and_b32_e32 v26, v26, v32
	;; [unrolled: 8-line block ×5, first 2 shown]
	v_xor_b32_e32 v32, vcc_hi, v21
	v_xor_b32_e32 v21, vcc_lo, v21
	v_and_b32_e32 v23, v23, v21
	v_lshlrev_b32_e32 v21, 24, v22
	v_cmp_gt_i64_e32 vcc, 0, v[20:21]
	v_not_b32_e32 v20, v21
	v_ashrrev_i32_e32 v20, 31, v20
	v_xor_b32_e32 v21, vcc_hi, v20
	v_xor_b32_e32 v20, vcc_lo, v20
	; wave barrier
	ds_read_b32 v31, v25 offset:64
	v_and_b32_e32 v26, v26, v32
	v_and_b32_e32 v20, v23, v20
	;; [unrolled: 1-line block ×3, first 2 shown]
	v_mbcnt_lo_u32_b32 v22, v20, 0
	v_mbcnt_hi_u32_b32 v32, v21, v22
	v_cmp_eq_u32_e32 vcc, 0, v32
	v_cmp_ne_u64_e64 s[2:3], 0, v[20:21]
	s_and_b64 s[8:9], s[2:3], vcc
	; wave barrier
	s_and_saveexec_b64 s[2:3], s[8:9]
	s_cbranch_execz .LBB2481_25
; %bb.24:
	v_bcnt_u32_b32 v20, v20, 0
	v_bcnt_u32_b32 v20, v21, v20
	s_waitcnt lgkmcnt(0)
	v_add_u32_e32 v20, v31, v20
	ds_write_b32 v25, v20 offset:64
.LBB2481_25:
	s_or_b64 exec, exec, s[2:3]
	v_not_b32_e32 v9, v9
	v_not_b32_e32 v8, v8
	v_lshrrev_b64 v[20:21], s20, v[8:9]
	v_and_b32_e32 v22, s30, v20
	v_and_b32_e32 v21, 1, v22
	v_add_co_u32_e32 v23, vcc, -1, v21
	v_addc_co_u32_e64 v34, s[2:3], 0, -1, vcc
	v_cmp_ne_u32_e32 vcc, 0, v21
	v_lshl_add_u32 v20, v22, 4, v22
	v_xor_b32_e32 v21, vcc_hi, v34
	v_add_lshl_u32 v26, v27, v20, 2
	v_mov_b32_e32 v20, 0
	v_and_b32_e32 v34, exec_hi, v21
	v_lshlrev_b32_e32 v21, 30, v22
	v_xor_b32_e32 v23, vcc_lo, v23
	v_cmp_gt_i64_e32 vcc, 0, v[20:21]
	v_not_b32_e32 v21, v21
	v_ashrrev_i32_e32 v21, 31, v21
	v_and_b32_e32 v23, exec_lo, v23
	v_xor_b32_e32 v35, vcc_hi, v21
	v_xor_b32_e32 v21, vcc_lo, v21
	v_and_b32_e32 v23, v23, v21
	v_lshlrev_b32_e32 v21, 29, v22
	v_cmp_gt_i64_e32 vcc, 0, v[20:21]
	v_not_b32_e32 v21, v21
	v_ashrrev_i32_e32 v21, 31, v21
	v_and_b32_e32 v34, v34, v35
	v_xor_b32_e32 v35, vcc_hi, v21
	v_xor_b32_e32 v21, vcc_lo, v21
	v_and_b32_e32 v23, v23, v21
	v_lshlrev_b32_e32 v21, 28, v22
	v_cmp_gt_i64_e32 vcc, 0, v[20:21]
	v_not_b32_e32 v21, v21
	v_ashrrev_i32_e32 v21, 31, v21
	v_and_b32_e32 v34, v34, v35
	;; [unrolled: 8-line block ×5, first 2 shown]
	v_xor_b32_e32 v35, vcc_hi, v21
	v_xor_b32_e32 v21, vcc_lo, v21
	v_and_b32_e32 v34, v34, v35
	v_and_b32_e32 v35, v23, v21
	v_lshlrev_b32_e32 v21, 24, v22
	v_cmp_gt_i64_e32 vcc, 0, v[20:21]
	v_not_b32_e32 v21, v21
	v_ashrrev_i32_e32 v21, 31, v21
	v_xor_b32_e32 v22, vcc_hi, v21
	v_xor_b32_e32 v21, vcc_lo, v21
	; wave barrier
	ds_read_b32 v33, v26 offset:64
	v_and_b32_e32 v23, v34, v22
	v_and_b32_e32 v22, v35, v21
	v_mbcnt_lo_u32_b32 v21, v22, 0
	v_mbcnt_hi_u32_b32 v34, v23, v21
	v_cmp_eq_u32_e32 vcc, 0, v34
	v_cmp_ne_u64_e64 s[2:3], 0, v[22:23]
	s_and_b64 s[8:9], s[2:3], vcc
	; wave barrier
	s_and_saveexec_b64 s[2:3], s[8:9]
	s_cbranch_execz .LBB2481_27
; %bb.26:
	v_bcnt_u32_b32 v21, v22, 0
	v_bcnt_u32_b32 v21, v23, v21
	s_waitcnt lgkmcnt(0)
	v_add_u32_e32 v21, v33, v21
	ds_write_b32 v26, v21 offset:64
.LBB2481_27:
	s_or_b64 exec, exec, s[2:3]
	v_not_b32_e32 v11, v11
	v_not_b32_e32 v10, v10
	v_lshrrev_b64 v[22:23], s20, v[10:11]
	v_and_b32_e32 v22, s30, v22
	v_lshl_add_u32 v21, v22, 4, v22
	v_add_lshl_u32 v38, v27, v21, 2
	v_and_b32_e32 v21, 1, v22
	v_add_co_u32_e32 v23, vcc, -1, v21
	v_addc_co_u32_e64 v36, s[2:3], 0, -1, vcc
	v_cmp_ne_u32_e32 vcc, 0, v21
	v_xor_b32_e32 v21, vcc_hi, v36
	v_and_b32_e32 v36, exec_hi, v21
	v_lshlrev_b32_e32 v21, 30, v22
	v_xor_b32_e32 v23, vcc_lo, v23
	v_cmp_gt_i64_e32 vcc, 0, v[20:21]
	v_not_b32_e32 v21, v21
	v_ashrrev_i32_e32 v21, 31, v21
	v_and_b32_e32 v23, exec_lo, v23
	v_xor_b32_e32 v37, vcc_hi, v21
	v_xor_b32_e32 v21, vcc_lo, v21
	v_and_b32_e32 v23, v23, v21
	v_lshlrev_b32_e32 v21, 29, v22
	v_cmp_gt_i64_e32 vcc, 0, v[20:21]
	v_not_b32_e32 v21, v21
	v_ashrrev_i32_e32 v21, 31, v21
	v_and_b32_e32 v36, v36, v37
	v_xor_b32_e32 v37, vcc_hi, v21
	v_xor_b32_e32 v21, vcc_lo, v21
	v_and_b32_e32 v23, v23, v21
	v_lshlrev_b32_e32 v21, 28, v22
	v_cmp_gt_i64_e32 vcc, 0, v[20:21]
	v_not_b32_e32 v21, v21
	v_ashrrev_i32_e32 v21, 31, v21
	v_and_b32_e32 v36, v36, v37
	;; [unrolled: 8-line block ×5, first 2 shown]
	v_xor_b32_e32 v37, vcc_hi, v21
	v_xor_b32_e32 v21, vcc_lo, v21
	v_and_b32_e32 v23, v23, v21
	v_lshlrev_b32_e32 v21, 24, v22
	v_cmp_gt_i64_e32 vcc, 0, v[20:21]
	v_not_b32_e32 v20, v21
	v_ashrrev_i32_e32 v20, 31, v20
	v_xor_b32_e32 v21, vcc_hi, v20
	v_xor_b32_e32 v20, vcc_lo, v20
	; wave barrier
	ds_read_b32 v35, v38 offset:64
	v_and_b32_e32 v36, v36, v37
	v_and_b32_e32 v20, v23, v20
	;; [unrolled: 1-line block ×3, first 2 shown]
	v_mbcnt_lo_u32_b32 v22, v20, 0
	v_mbcnt_hi_u32_b32 v36, v21, v22
	v_cmp_eq_u32_e32 vcc, 0, v36
	v_cmp_ne_u64_e64 s[2:3], 0, v[20:21]
	s_and_b64 s[8:9], s[2:3], vcc
	; wave barrier
	s_and_saveexec_b64 s[2:3], s[8:9]
	s_cbranch_execz .LBB2481_29
; %bb.28:
	v_bcnt_u32_b32 v20, v20, 0
	v_bcnt_u32_b32 v20, v21, v20
	s_waitcnt lgkmcnt(0)
	v_add_u32_e32 v20, v35, v20
	ds_write_b32 v38, v20 offset:64
.LBB2481_29:
	s_or_b64 exec, exec, s[2:3]
	v_not_b32_e32 v13, v13
	v_not_b32_e32 v12, v12
	v_lshrrev_b64 v[20:21], s20, v[12:13]
	v_and_b32_e32 v22, s30, v20
	v_and_b32_e32 v21, 1, v22
	v_add_co_u32_e32 v23, vcc, -1, v21
	v_addc_co_u32_e64 v39, s[2:3], 0, -1, vcc
	v_cmp_ne_u32_e32 vcc, 0, v21
	v_lshl_add_u32 v20, v22, 4, v22
	v_xor_b32_e32 v21, vcc_hi, v39
	v_add_lshl_u32 v42, v27, v20, 2
	v_mov_b32_e32 v20, 0
	v_and_b32_e32 v39, exec_hi, v21
	v_lshlrev_b32_e32 v21, 30, v22
	v_xor_b32_e32 v23, vcc_lo, v23
	v_cmp_gt_i64_e32 vcc, 0, v[20:21]
	v_not_b32_e32 v21, v21
	v_ashrrev_i32_e32 v21, 31, v21
	v_and_b32_e32 v23, exec_lo, v23
	v_xor_b32_e32 v40, vcc_hi, v21
	v_xor_b32_e32 v21, vcc_lo, v21
	v_and_b32_e32 v23, v23, v21
	v_lshlrev_b32_e32 v21, 29, v22
	v_cmp_gt_i64_e32 vcc, 0, v[20:21]
	v_not_b32_e32 v21, v21
	v_ashrrev_i32_e32 v21, 31, v21
	v_and_b32_e32 v39, v39, v40
	v_xor_b32_e32 v40, vcc_hi, v21
	v_xor_b32_e32 v21, vcc_lo, v21
	v_and_b32_e32 v23, v23, v21
	v_lshlrev_b32_e32 v21, 28, v22
	v_cmp_gt_i64_e32 vcc, 0, v[20:21]
	v_not_b32_e32 v21, v21
	v_ashrrev_i32_e32 v21, 31, v21
	v_and_b32_e32 v39, v39, v40
	;; [unrolled: 8-line block ×5, first 2 shown]
	v_xor_b32_e32 v40, vcc_hi, v21
	v_xor_b32_e32 v21, vcc_lo, v21
	v_and_b32_e32 v39, v39, v40
	v_and_b32_e32 v40, v23, v21
	v_lshlrev_b32_e32 v21, 24, v22
	v_cmp_gt_i64_e32 vcc, 0, v[20:21]
	v_not_b32_e32 v21, v21
	v_ashrrev_i32_e32 v21, 31, v21
	v_xor_b32_e32 v22, vcc_hi, v21
	v_xor_b32_e32 v21, vcc_lo, v21
	; wave barrier
	ds_read_b32 v37, v42 offset:64
	v_and_b32_e32 v23, v39, v22
	v_and_b32_e32 v22, v40, v21
	v_mbcnt_lo_u32_b32 v21, v22, 0
	v_mbcnt_hi_u32_b32 v39, v23, v21
	v_cmp_eq_u32_e32 vcc, 0, v39
	v_cmp_ne_u64_e64 s[2:3], 0, v[22:23]
	s_and_b64 s[8:9], s[2:3], vcc
	; wave barrier
	s_and_saveexec_b64 s[2:3], s[8:9]
	s_cbranch_execz .LBB2481_31
; %bb.30:
	v_bcnt_u32_b32 v21, v22, 0
	v_bcnt_u32_b32 v21, v23, v21
	s_waitcnt lgkmcnt(0)
	v_add_u32_e32 v21, v37, v21
	ds_write_b32 v42, v21 offset:64
.LBB2481_31:
	s_or_b64 exec, exec, s[2:3]
	v_not_b32_e32 v17, v17
	v_not_b32_e32 v16, v16
	v_lshrrev_b64 v[22:23], s20, v[16:17]
	v_and_b32_e32 v22, s30, v22
	v_lshl_add_u32 v21, v22, 4, v22
	v_add_lshl_u32 v45, v27, v21, 2
	v_and_b32_e32 v21, 1, v22
	v_add_co_u32_e32 v23, vcc, -1, v21
	v_addc_co_u32_e64 v41, s[2:3], 0, -1, vcc
	v_cmp_ne_u32_e32 vcc, 0, v21
	v_xor_b32_e32 v21, vcc_hi, v41
	v_and_b32_e32 v41, exec_hi, v21
	v_lshlrev_b32_e32 v21, 30, v22
	v_xor_b32_e32 v23, vcc_lo, v23
	v_cmp_gt_i64_e32 vcc, 0, v[20:21]
	v_not_b32_e32 v21, v21
	v_ashrrev_i32_e32 v21, 31, v21
	v_and_b32_e32 v23, exec_lo, v23
	v_xor_b32_e32 v43, vcc_hi, v21
	v_xor_b32_e32 v21, vcc_lo, v21
	v_and_b32_e32 v23, v23, v21
	v_lshlrev_b32_e32 v21, 29, v22
	v_cmp_gt_i64_e32 vcc, 0, v[20:21]
	v_not_b32_e32 v21, v21
	v_ashrrev_i32_e32 v21, 31, v21
	v_and_b32_e32 v41, v41, v43
	v_xor_b32_e32 v43, vcc_hi, v21
	v_xor_b32_e32 v21, vcc_lo, v21
	v_and_b32_e32 v23, v23, v21
	v_lshlrev_b32_e32 v21, 28, v22
	v_cmp_gt_i64_e32 vcc, 0, v[20:21]
	v_not_b32_e32 v21, v21
	v_ashrrev_i32_e32 v21, 31, v21
	v_and_b32_e32 v41, v41, v43
	;; [unrolled: 8-line block ×5, first 2 shown]
	v_xor_b32_e32 v43, vcc_hi, v21
	v_xor_b32_e32 v21, vcc_lo, v21
	v_and_b32_e32 v23, v23, v21
	v_lshlrev_b32_e32 v21, 24, v22
	v_cmp_gt_i64_e32 vcc, 0, v[20:21]
	v_not_b32_e32 v20, v21
	v_ashrrev_i32_e32 v20, 31, v20
	v_xor_b32_e32 v21, vcc_hi, v20
	v_xor_b32_e32 v20, vcc_lo, v20
	; wave barrier
	ds_read_b32 v40, v45 offset:64
	v_and_b32_e32 v41, v41, v43
	v_and_b32_e32 v20, v23, v20
	v_and_b32_e32 v21, v41, v21
	v_mbcnt_lo_u32_b32 v22, v20, 0
	v_mbcnt_hi_u32_b32 v41, v21, v22
	v_cmp_eq_u32_e32 vcc, 0, v41
	v_cmp_ne_u64_e64 s[2:3], 0, v[20:21]
	s_and_b64 s[8:9], s[2:3], vcc
	; wave barrier
	s_and_saveexec_b64 s[2:3], s[8:9]
	s_cbranch_execz .LBB2481_33
; %bb.32:
	v_bcnt_u32_b32 v20, v20, 0
	v_bcnt_u32_b32 v20, v21, v20
	s_waitcnt lgkmcnt(0)
	v_add_u32_e32 v20, v40, v20
	ds_write_b32 v45, v20 offset:64
.LBB2481_33:
	s_or_b64 exec, exec, s[2:3]
	v_not_b32_e32 v21, v19
	v_not_b32_e32 v20, v18
	v_lshrrev_b64 v[18:19], s20, v[20:21]
	v_and_b32_e32 v22, s30, v18
	v_and_b32_e32 v19, 1, v22
	v_add_co_u32_e32 v23, vcc, -1, v19
	v_addc_co_u32_e64 v44, s[2:3], 0, -1, vcc
	v_cmp_ne_u32_e32 vcc, 0, v19
	v_lshl_add_u32 v18, v22, 4, v22
	v_xor_b32_e32 v19, vcc_hi, v44
	v_add_lshl_u32 v47, v27, v18, 2
	v_mov_b32_e32 v18, 0
	v_and_b32_e32 v44, exec_hi, v19
	v_lshlrev_b32_e32 v19, 30, v22
	v_xor_b32_e32 v23, vcc_lo, v23
	v_cmp_gt_i64_e32 vcc, 0, v[18:19]
	v_not_b32_e32 v19, v19
	v_ashrrev_i32_e32 v19, 31, v19
	v_and_b32_e32 v23, exec_lo, v23
	v_xor_b32_e32 v46, vcc_hi, v19
	v_xor_b32_e32 v19, vcc_lo, v19
	v_and_b32_e32 v23, v23, v19
	v_lshlrev_b32_e32 v19, 29, v22
	v_cmp_gt_i64_e32 vcc, 0, v[18:19]
	v_not_b32_e32 v19, v19
	v_ashrrev_i32_e32 v19, 31, v19
	v_and_b32_e32 v44, v44, v46
	v_xor_b32_e32 v46, vcc_hi, v19
	v_xor_b32_e32 v19, vcc_lo, v19
	v_and_b32_e32 v23, v23, v19
	v_lshlrev_b32_e32 v19, 28, v22
	v_cmp_gt_i64_e32 vcc, 0, v[18:19]
	v_not_b32_e32 v19, v19
	v_ashrrev_i32_e32 v19, 31, v19
	v_and_b32_e32 v44, v44, v46
	;; [unrolled: 8-line block ×5, first 2 shown]
	v_xor_b32_e32 v46, vcc_hi, v19
	v_xor_b32_e32 v19, vcc_lo, v19
	v_and_b32_e32 v44, v44, v46
	v_and_b32_e32 v46, v23, v19
	v_lshlrev_b32_e32 v19, 24, v22
	v_cmp_gt_i64_e32 vcc, 0, v[18:19]
	v_not_b32_e32 v19, v19
	v_ashrrev_i32_e32 v19, 31, v19
	v_xor_b32_e32 v22, vcc_hi, v19
	v_xor_b32_e32 v19, vcc_lo, v19
	; wave barrier
	ds_read_b32 v43, v47 offset:64
	v_and_b32_e32 v23, v44, v22
	v_and_b32_e32 v22, v46, v19
	v_mbcnt_lo_u32_b32 v19, v22, 0
	v_mbcnt_hi_u32_b32 v44, v23, v19
	v_cmp_eq_u32_e32 vcc, 0, v44
	v_cmp_ne_u64_e64 s[2:3], 0, v[22:23]
	s_and_b64 s[8:9], s[2:3], vcc
	; wave barrier
	s_and_saveexec_b64 s[2:3], s[8:9]
	s_cbranch_execz .LBB2481_35
; %bb.34:
	v_bcnt_u32_b32 v19, v22, 0
	v_bcnt_u32_b32 v19, v23, v19
	s_waitcnt lgkmcnt(0)
	v_add_u32_e32 v19, v43, v19
	ds_write_b32 v47, v19 offset:64
.LBB2481_35:
	s_or_b64 exec, exec, s[2:3]
	v_not_b32_e32 v15, v15
	v_not_b32_e32 v14, v14
	v_lshrrev_b64 v[22:23], s20, v[14:15]
	v_and_b32_e32 v22, s30, v22
	v_lshl_add_u32 v19, v22, 4, v22
	v_add_lshl_u32 v27, v27, v19, 2
	v_and_b32_e32 v19, 1, v22
	v_add_co_u32_e32 v23, vcc, -1, v19
	v_addc_co_u32_e64 v48, s[2:3], 0, -1, vcc
	v_cmp_ne_u32_e32 vcc, 0, v19
	v_xor_b32_e32 v19, vcc_hi, v48
	v_and_b32_e32 v48, exec_hi, v19
	v_lshlrev_b32_e32 v19, 30, v22
	v_xor_b32_e32 v23, vcc_lo, v23
	v_cmp_gt_i64_e32 vcc, 0, v[18:19]
	v_not_b32_e32 v19, v19
	v_ashrrev_i32_e32 v19, 31, v19
	v_and_b32_e32 v23, exec_lo, v23
	v_xor_b32_e32 v50, vcc_hi, v19
	v_xor_b32_e32 v19, vcc_lo, v19
	v_and_b32_e32 v23, v23, v19
	v_lshlrev_b32_e32 v19, 29, v22
	v_cmp_gt_i64_e32 vcc, 0, v[18:19]
	v_not_b32_e32 v19, v19
	v_ashrrev_i32_e32 v19, 31, v19
	v_and_b32_e32 v48, v48, v50
	v_xor_b32_e32 v50, vcc_hi, v19
	v_xor_b32_e32 v19, vcc_lo, v19
	v_and_b32_e32 v23, v23, v19
	v_lshlrev_b32_e32 v19, 28, v22
	v_cmp_gt_i64_e32 vcc, 0, v[18:19]
	v_not_b32_e32 v19, v19
	v_ashrrev_i32_e32 v19, 31, v19
	v_and_b32_e32 v48, v48, v50
	;; [unrolled: 8-line block ×5, first 2 shown]
	v_xor_b32_e32 v50, vcc_hi, v19
	v_xor_b32_e32 v19, vcc_lo, v19
	v_and_b32_e32 v23, v23, v19
	v_lshlrev_b32_e32 v19, 24, v22
	v_cmp_gt_i64_e32 vcc, 0, v[18:19]
	v_not_b32_e32 v18, v19
	v_ashrrev_i32_e32 v18, 31, v18
	v_xor_b32_e32 v19, vcc_hi, v18
	v_xor_b32_e32 v18, vcc_lo, v18
	; wave barrier
	ds_read_b32 v46, v27 offset:64
	v_and_b32_e32 v48, v48, v50
	v_and_b32_e32 v18, v23, v18
	;; [unrolled: 1-line block ×3, first 2 shown]
	v_mbcnt_lo_u32_b32 v22, v18, 0
	v_mbcnt_hi_u32_b32 v48, v19, v22
	v_cmp_eq_u32_e32 vcc, 0, v48
	v_cmp_ne_u64_e64 s[2:3], 0, v[18:19]
	v_add_u32_e32 v49, 64, v3
	s_and_b64 s[8:9], s[2:3], vcc
	; wave barrier
	s_and_saveexec_b64 s[2:3], s[8:9]
	s_cbranch_execz .LBB2481_37
; %bb.36:
	v_bcnt_u32_b32 v18, v18, 0
	v_bcnt_u32_b32 v18, v19, v18
	s_waitcnt lgkmcnt(0)
	v_add_u32_e32 v18, v46, v18
	ds_write_b32 v27, v18 offset:64
.LBB2481_37:
	s_or_b64 exec, exec, s[2:3]
	; wave barrier
	s_waitcnt lgkmcnt(0)
	s_barrier
	ds_read2_b32 v[22:23], v3 offset0:16 offset1:17
	ds_read2_b32 v[18:19], v49 offset0:2 offset1:3
	ds_read_b32 v50, v49 offset:16
	v_cmp_lt_u32_e64 s[12:13], 31, v1
	s_waitcnt lgkmcnt(1)
	v_add3_u32 v51, v23, v22, v18
	s_waitcnt lgkmcnt(0)
	v_add3_u32 v50, v51, v19, v50
	v_and_b32_e32 v51, 15, v1
	v_cmp_eq_u32_e32 vcc, 0, v51
	v_mov_b32_dpp v52, v50 row_shr:1 row_mask:0xf bank_mask:0xf
	v_cndmask_b32_e64 v52, v52, 0, vcc
	v_add_u32_e32 v50, v52, v50
	v_cmp_lt_u32_e64 s[2:3], 1, v51
	v_cmp_lt_u32_e64 s[10:11], 3, v51
	v_mov_b32_dpp v52, v50 row_shr:2 row_mask:0xf bank_mask:0xf
	v_cndmask_b32_e64 v52, 0, v52, s[2:3]
	v_add_u32_e32 v50, v50, v52
	v_cmp_lt_u32_e64 s[8:9], 7, v51
	s_nop 0
	v_mov_b32_dpp v52, v50 row_shr:4 row_mask:0xf bank_mask:0xf
	v_cndmask_b32_e64 v52, 0, v52, s[10:11]
	v_add_u32_e32 v50, v50, v52
	s_nop 1
	v_mov_b32_dpp v52, v50 row_shr:8 row_mask:0xf bank_mask:0xf
	v_cndmask_b32_e64 v51, 0, v52, s[8:9]
	v_add_u32_e32 v50, v50, v51
	v_bfe_i32 v52, v1, 4, 1
	s_nop 0
	v_mov_b32_dpp v51, v50 row_bcast:15 row_mask:0xf bank_mask:0xf
	v_and_b32_e32 v51, v52, v51
	v_add_u32_e32 v50, v50, v51
	v_and_b32_e32 v52, 63, v2
	s_nop 0
	v_mov_b32_dpp v51, v50 row_bcast:31 row_mask:0xf bank_mask:0xf
	v_cndmask_b32_e64 v51, 0, v51, s[12:13]
	v_add_u32_e32 v50, v50, v51
	v_lshrrev_b32_e32 v51, 6, v2
	v_cmp_eq_u32_e64 s[12:13], 63, v52
	s_and_saveexec_b64 s[22:23], s[12:13]
	s_cbranch_execz .LBB2481_39
; %bb.38:
	v_lshlrev_b32_e32 v52, 2, v51
	ds_write_b32 v52, v50
.LBB2481_39:
	s_or_b64 exec, exec, s[22:23]
	v_cmp_gt_u32_e64 s[12:13], 16, v2
	s_waitcnt lgkmcnt(0)
	s_barrier
	s_and_saveexec_b64 s[22:23], s[12:13]
	s_cbranch_execz .LBB2481_41
; %bb.40:
	v_lshlrev_b32_e32 v52, 2, v2
	ds_read_b32 v53, v52
	s_waitcnt lgkmcnt(0)
	s_nop 0
	v_mov_b32_dpp v54, v53 row_shr:1 row_mask:0xf bank_mask:0xf
	v_cndmask_b32_e64 v54, v54, 0, vcc
	v_add_u32_e32 v53, v54, v53
	s_nop 1
	v_mov_b32_dpp v54, v53 row_shr:2 row_mask:0xf bank_mask:0xf
	v_cndmask_b32_e64 v54, 0, v54, s[2:3]
	v_add_u32_e32 v53, v53, v54
	s_nop 1
	v_mov_b32_dpp v54, v53 row_shr:4 row_mask:0xf bank_mask:0xf
	v_cndmask_b32_e64 v54, 0, v54, s[10:11]
	;; [unrolled: 4-line block ×3, first 2 shown]
	v_add_u32_e32 v53, v53, v54
	ds_write_b32 v52, v53
.LBB2481_41:
	s_or_b64 exec, exec, s[22:23]
	v_cmp_lt_u32_e32 vcc, 63, v2
	v_mov_b32_e32 v52, 0
	s_waitcnt lgkmcnt(0)
	s_barrier
	s_and_saveexec_b64 s[2:3], vcc
	s_cbranch_execz .LBB2481_43
; %bb.42:
	v_lshl_add_u32 v51, v51, 2, -4
	ds_read_b32 v52, v51
.LBB2481_43:
	s_or_b64 exec, exec, s[2:3]
	v_add_u32_e32 v51, -1, v1
	v_and_b32_e32 v53, 64, v1
	v_cmp_lt_i32_e32 vcc, v51, v53
	v_cndmask_b32_e32 v51, v51, v1, vcc
	s_waitcnt lgkmcnt(0)
	v_add_u32_e32 v50, v52, v50
	v_lshlrev_b32_e32 v51, 2, v51
	ds_bpermute_b32 v50, v51, v50
	v_cmp_eq_u32_e32 vcc, 0, v1
	s_movk_i32 s8, 0xff
	s_movk_i32 s2, 0x100
	v_cmp_gt_u32_e64 s[2:3], s2, v2
	s_waitcnt lgkmcnt(0)
	v_cndmask_b32_e32 v1, v50, v52, vcc
	v_cndmask_b32_e64 v1, v1, 0, s[0:1]
	v_add_u32_e32 v22, v1, v22
	v_add_u32_e32 v23, v22, v23
	;; [unrolled: 1-line block ×4, first 2 shown]
	ds_write2_b32 v3, v1, v22 offset0:16 offset1:17
	ds_write2_b32 v49, v23, v18 offset0:2 offset1:3
	ds_write_b32 v49, v19 offset:16
	s_waitcnt lgkmcnt(0)
	s_barrier
	ds_read_b32 v51, v24 offset:64
	ds_read_b32 v1, v25 offset:64
	;; [unrolled: 1-line block ×8, first 2 shown]
	v_cmp_lt_u32_e32 vcc, s8, v2
	v_pk_mov_b32 v[18:19], 0, 0
                                        ; implicit-def: $vgpr38
	s_and_saveexec_b64 s[10:11], s[2:3]
	s_cbranch_execz .LBB2481_47
; %bb.44:
	v_mul_u32_u24_e32 v3, 17, v2
	v_lshlrev_b32_e32 v19, 2, v3
	ds_read_b32 v18, v19 offset:64
	v_cmp_ne_u32_e64 s[8:9], s8, v2
	v_mov_b32_e32 v3, 0x2000
	s_and_saveexec_b64 s[12:13], s[8:9]
	s_cbranch_execz .LBB2481_46
; %bb.45:
	ds_read_b32 v3, v19 offset:132
.LBB2481_46:
	s_or_b64 exec, exec, s[12:13]
	s_waitcnt lgkmcnt(0)
	v_sub_u32_e32 v38, v3, v18
	v_mov_b32_e32 v19, 0
.LBB2481_47:
	s_or_b64 exec, exec, s[10:11]
	s_waitcnt lgkmcnt(0)
	s_barrier
	s_and_saveexec_b64 s[8:9], vcc
	s_xor_b64 s[8:9], exec, s[8:9]
; %bb.48:
	v_mov_b32_e32 v3, 0
; %bb.49:
	s_andn2_saveexec_b64 s[8:9], s[8:9]
	s_cbranch_execz .LBB2481_59
; %bb.50:
	v_lshl_or_b32 v22, s28, 8, v2
	v_mov_b32_e32 v23, 0
	v_lshlrev_b64 v[24:25], 2, v[22:23]
	v_mov_b32_e32 v3, s15
	v_add_co_u32_e32 v24, vcc, s14, v24
	v_addc_co_u32_e32 v25, vcc, v3, v25, vcc
	v_or_b32_e32 v22, 2.0, v38
	s_mov_b64 s[10:11], 0
	s_brev_b32 s31, 1
	s_mov_b32 s33, s28
	v_mov_b32_e32 v53, 0
	global_store_dword v[24:25], v22, off
                                        ; implicit-def: $sgpr12_sgpr13
	s_branch .LBB2481_52
.LBB2481_51:                            ;   in Loop: Header=BB2481_52 Depth=1
	s_or_b64 exec, exec, s[12:13]
	v_and_b32_e32 v26, 0x3fffffff, v54
	v_add_u32_e32 v53, v26, v53
	v_cmp_eq_u32_e64 s[12:13], s31, v22
	s_and_b64 s[22:23], exec, s[12:13]
	s_or_b64 s[10:11], s[22:23], s[10:11]
	s_andn2_b64 exec, exec, s[10:11]
	s_cbranch_execz .LBB2481_58
.LBB2481_52:                            ; =>This Loop Header: Depth=1
                                        ;     Child Loop BB2481_55 Depth 2
	s_or_b64 s[12:13], s[12:13], exec
	s_cmp_eq_u32 s33, 0
	s_cbranch_scc1 .LBB2481_57
; %bb.53:                               ;   in Loop: Header=BB2481_52 Depth=1
	s_add_i32 s33, s33, -1
	v_lshl_or_b32 v22, s33, 8, v2
	v_lshlrev_b64 v[26:27], 2, v[22:23]
	v_add_co_u32_e32 v26, vcc, s14, v26
	v_addc_co_u32_e32 v27, vcc, v3, v27, vcc
	global_load_dword v54, v[26:27], off glc
	s_waitcnt vmcnt(0)
	v_and_b32_e32 v22, -2.0, v54
	v_cmp_eq_u32_e32 vcc, 0, v22
	s_and_saveexec_b64 s[12:13], vcc
	s_cbranch_execz .LBB2481_51
; %bb.54:                               ;   in Loop: Header=BB2481_52 Depth=1
	s_mov_b64 s[22:23], 0
.LBB2481_55:                            ;   Parent Loop BB2481_52 Depth=1
                                        ; =>  This Inner Loop Header: Depth=2
	global_load_dword v54, v[26:27], off glc
	s_waitcnt vmcnt(0)
	v_and_b32_e32 v22, -2.0, v54
	v_cmp_ne_u32_e32 vcc, 0, v22
	s_or_b64 s[22:23], vcc, s[22:23]
	s_andn2_b64 exec, exec, s[22:23]
	s_cbranch_execnz .LBB2481_55
; %bb.56:                               ;   in Loop: Header=BB2481_52 Depth=1
	s_or_b64 exec, exec, s[22:23]
	s_branch .LBB2481_51
.LBB2481_57:                            ;   in Loop: Header=BB2481_52 Depth=1
                                        ; implicit-def: $sgpr33
	s_and_b64 s[22:23], exec, s[12:13]
	s_or_b64 s[10:11], s[22:23], s[10:11]
	s_andn2_b64 exec, exec, s[10:11]
	s_cbranch_execnz .LBB2481_52
.LBB2481_58:
	s_or_b64 exec, exec, s[10:11]
	v_add_u32_e32 v3, v53, v38
	v_or_b32_e32 v3, 0x80000000, v3
	global_store_dword v[24:25], v3, off
	global_load_dwordx2 v[22:23], v28, s[16:17]
	v_sub_co_u32_e32 v24, vcc, v53, v18
	v_subb_co_u32_e32 v25, vcc, 0, v19, vcc
	v_mov_b32_e32 v3, 0
	s_waitcnt vmcnt(0)
	v_add_co_u32_e32 v22, vcc, v24, v22
	v_addc_co_u32_e32 v23, vcc, v25, v23, vcc
	ds_write_b64 v28, v[22:23]
.LBB2481_59:
	s_or_b64 exec, exec, s[8:9]
	v_add_u32_e32 v23, v51, v30
	v_add3_u32 v30, v39, v42, v37
	v_add3_u32 v35, v36, v50, v35
	v_lshlrev_b64 v[36:37], 3, v[2:3]
	v_add3_u32 v31, v32, v1, v31
	v_mov_b32_e32 v1, s27
	v_add_co_u32_e32 v22, vcc, s26, v36
	v_add_u32_e32 v24, 0x800, v28
	v_add3_u32 v25, v48, v52, v46
	v_add3_u32 v26, v44, v47, v43
	;; [unrolled: 1-line block ×4, first 2 shown]
	v_addc_co_u32_e32 v1, vcc, v1, v37, vcc
	s_mov_b32 s10, 0
	v_mov_b32_e32 v32, v2
	s_branch .LBB2481_61
.LBB2481_60:                            ;   in Loop: Header=BB2481_61 Depth=1
	s_or_b64 exec, exec, s[8:9]
	s_addk_i32 s10, 0xf800
	v_add_co_u32_e32 v22, vcc, 0x4000, v22
	v_addc_co_u32_e32 v1, vcc, 0, v1, vcc
	s_cmpk_eq_i32 s10, 0xe000
	v_add_u32_e32 v32, 0x800, v32
	s_barrier
	s_cbranch_scc1 .LBB2481_66
.LBB2481_61:                            ; =>This Inner Loop Header: Depth=1
	v_add_u32_e32 v34, s10, v23
	v_min_u32_e32 v34, 0x800, v34
	v_lshlrev_b32_e32 v34, 3, v34
	ds_write_b64 v34, v[4:5] offset:2048
	v_add_u32_e32 v34, s10, v31
	v_min_u32_e32 v34, 0x800, v34
	v_lshlrev_b32_e32 v34, 3, v34
	ds_write_b64 v34, v[6:7] offset:2048
	v_add_u32_e32 v34, s10, v33
	v_min_u32_e32 v34, 0x800, v34
	v_lshlrev_b32_e32 v34, 3, v34
	ds_write_b64 v34, v[8:9] offset:2048
	v_add_u32_e32 v34, s10, v35
	v_min_u32_e32 v34, 0x800, v34
	v_lshlrev_b32_e32 v34, 3, v34
	ds_write_b64 v34, v[10:11] offset:2048
	v_add_u32_e32 v34, s10, v30
	v_min_u32_e32 v34, 0x800, v34
	v_lshlrev_b32_e32 v34, 3, v34
	ds_write_b64 v34, v[12:13] offset:2048
	v_add_u32_e32 v34, s10, v27
	v_min_u32_e32 v34, 0x800, v34
	v_lshlrev_b32_e32 v34, 3, v34
	ds_write_b64 v34, v[16:17] offset:2048
	v_add_u32_e32 v34, s10, v26
	v_min_u32_e32 v34, 0x800, v34
	v_lshlrev_b32_e32 v34, 3, v34
	ds_write_b64 v34, v[20:21] offset:2048
	v_add_u32_e32 v34, s10, v25
	v_min_u32_e32 v34, 0x800, v34
	v_lshlrev_b32_e32 v34, 3, v34
	v_cmp_gt_u32_e32 vcc, s7, v32
	ds_write_b64 v34, v[14:15] offset:2048
	s_waitcnt lgkmcnt(0)
	s_barrier
	s_and_saveexec_b64 s[8:9], vcc
	s_cbranch_execz .LBB2481_63
; %bb.62:                               ;   in Loop: Header=BB2481_61 Depth=1
	ds_read_b64 v[36:37], v28 offset:2048
	s_waitcnt lgkmcnt(0)
	v_lshrrev_b64 v[40:41], s20, v[36:37]
	v_and_b32_e32 v34, s30, v40
	v_lshlrev_b32_e32 v34, 3, v34
	ds_read_b64 v[40:41], v34
	v_not_b32_e32 v37, v37
	v_not_b32_e32 v36, v36
	s_waitcnt lgkmcnt(0)
	v_lshlrev_b64 v[40:41], 3, v[40:41]
	v_add_co_u32_e32 v40, vcc, v22, v40
	v_addc_co_u32_e32 v41, vcc, v1, v41, vcc
	global_store_dwordx2 v[40:41], v[36:37], off
.LBB2481_63:                            ;   in Loop: Header=BB2481_61 Depth=1
	s_or_b64 exec, exec, s[8:9]
	v_add_u32_e32 v34, 0x400, v32
	v_cmp_gt_u32_e32 vcc, s7, v34
	s_and_saveexec_b64 s[8:9], vcc
	s_cbranch_execz .LBB2481_60
; %bb.64:                               ;   in Loop: Header=BB2481_61 Depth=1
	ds_read_b64 v[36:37], v24 offset:8192
	s_waitcnt lgkmcnt(0)
	v_lshrrev_b64 v[40:41], s20, v[36:37]
	v_and_b32_e32 v34, s30, v40
	v_lshlrev_b32_e32 v34, 3, v34
	ds_read_b64 v[40:41], v34
	v_not_b32_e32 v37, v37
	v_not_b32_e32 v36, v36
	s_waitcnt lgkmcnt(0)
	v_lshlrev_b64 v[40:41], 3, v[40:41]
	v_add_co_u32_e32 v34, vcc, v22, v40
	v_addc_co_u32_e32 v39, vcc, v1, v41, vcc
	v_add_co_u32_e32 v40, vcc, 0x2000, v34
	v_addc_co_u32_e32 v41, vcc, 0, v39, vcc
	global_store_dwordx2 v[40:41], v[36:37], off
	s_branch .LBB2481_60
.LBB2481_65:
	s_mov_b64 s[2:3], 0
                                        ; implicit-def: $vgpr18_vgpr19
                                        ; implicit-def: $vgpr38
	s_cbranch_execnz .LBB2481_67
	s_branch .LBB2481_108
.LBB2481_66:
	s_add_i32 s29, s29, -1
	s_cmp_eq_u32 s29, s28
	s_cselect_b64 s[8:9], -1, 0
	s_and_b64 s[2:3], s[2:3], s[8:9]
	s_branch .LBB2481_108
.LBB2481_67:
	s_lshl_b32 s2, s28, 13
	s_mov_b32 s3, 0
	v_mbcnt_hi_u32_b32 v3, -1, v29
	s_lshl_b64 s[2:3], s[2:3], 3
	v_and_b32_e32 v1, 63, v3
	s_add_u32 s2, s24, s2
	v_lshlrev_b32_e32 v1, 3, v1
	v_add_co_u32_e32 v1, vcc, s2, v1
	s_load_dword s12, s[4:5], 0x58
	s_load_dword s2, s[4:5], 0x64
	s_addc_u32 s3, s25, s3
	v_mov_b32_e32 v4, s3
	v_lshlrev_b32_e32 v5, 6, v2
	v_addc_co_u32_e32 v4, vcc, 0, v4, vcc
	v_and_b32_e32 v5, 0xf000, v5
	s_add_u32 s3, s4, 0x58
	v_add_co_u32_e32 v20, vcc, v1, v5
	s_addc_u32 s4, s5, 0
	s_waitcnt lgkmcnt(0)
	s_lshr_b32 s5, s2, 16
	v_addc_co_u32_e32 v21, vcc, 0, v4, vcc
	s_cmp_lt_u32 s6, s12
	global_load_dwordx2 v[24:25], v[20:21], off
	s_cselect_b32 s2, 12, 18
	s_add_u32 s2, s3, s2
	v_mov_b32_e32 v6, 0
	s_addc_u32 s3, s4, 0
	global_load_ushort v7, v6, s[2:3]
	v_mul_u32_u24_e32 v4, 5, v2
	v_lshlrev_b32_e32 v22, 2, v4
	ds_write2_b32 v22, v6, v6 offset0:16 offset1:17
	ds_write2_b32 v22, v6, v6 offset0:18 offset1:19
	ds_write_b32 v22, v6 offset:80
	global_load_dwordx2 v[4:5], v[20:21], off offset:512
	global_load_dwordx2 v[18:19], v[20:21], off offset:1024
	;; [unrolled: 1-line block ×7, first 2 shown]
	v_bfe_u32 v1, v0, 10, 10
	v_bfe_u32 v0, v0, 20, 10
	v_mad_u32_u24 v23, v0, s5, v1
	s_lshl_b32 s2, -1, s21
	s_not_b32 s13, s2
	s_waitcnt lgkmcnt(0)
	s_barrier
	s_waitcnt lgkmcnt(0)
	; wave barrier
	s_waitcnt vmcnt(8)
	v_not_b32_e32 v1, v25
	v_not_b32_e32 v0, v24
	v_lshrrev_b64 v[20:21], s20, v[0:1]
	v_and_b32_e32 v24, s13, v20
	s_waitcnt vmcnt(7)
	v_mad_u64_u32 v[20:21], s[2:3], v23, v7, v[2:3]
	v_and_b32_e32 v23, 1, v24
	v_lshrrev_b32_e32 v25, 6, v20
	v_add_co_u32_e32 v20, vcc, -1, v23
	v_lshlrev_b32_e32 v7, 30, v24
	v_addc_co_u32_e64 v26, s[2:3], 0, -1, vcc
	v_lshl_add_u32 v21, v24, 4, v24
	v_cmp_ne_u32_e32 vcc, 0, v23
	v_cmp_gt_i64_e64 s[2:3], 0, v[6:7]
	v_not_b32_e32 v27, v7
	v_lshlrev_b32_e32 v7, 29, v24
	v_add_lshl_u32 v23, v25, v21, 2
	v_xor_b32_e32 v21, vcc_hi, v26
	v_xor_b32_e32 v20, vcc_lo, v20
	v_ashrrev_i32_e32 v26, 31, v27
	v_cmp_gt_i64_e32 vcc, 0, v[6:7]
	v_not_b32_e32 v27, v7
	v_lshlrev_b32_e32 v7, 28, v24
	v_and_b32_e32 v21, exec_hi, v21
	v_and_b32_e32 v20, exec_lo, v20
	v_xor_b32_e32 v29, s3, v26
	v_xor_b32_e32 v26, s2, v26
	v_ashrrev_i32_e32 v27, 31, v27
	v_cmp_gt_i64_e64 s[2:3], 0, v[6:7]
	v_not_b32_e32 v30, v7
	v_lshlrev_b32_e32 v7, 27, v24
	v_and_b32_e32 v21, v21, v29
	v_and_b32_e32 v20, v20, v26
	v_xor_b32_e32 v26, vcc_hi, v27
	v_xor_b32_e32 v27, vcc_lo, v27
	v_ashrrev_i32_e32 v29, 31, v30
	v_cmp_gt_i64_e32 vcc, 0, v[6:7]
	v_not_b32_e32 v7, v7
	v_and_b32_e32 v21, v21, v26
	v_and_b32_e32 v20, v20, v27
	v_xor_b32_e32 v26, s3, v29
	v_xor_b32_e32 v27, s2, v29
	v_ashrrev_i32_e32 v7, 31, v7
	v_and_b32_e32 v21, v21, v26
	v_and_b32_e32 v20, v20, v27
	v_xor_b32_e32 v26, vcc_hi, v7
	v_xor_b32_e32 v7, vcc_lo, v7
	v_and_b32_e32 v20, v20, v7
	v_lshlrev_b32_e32 v7, 26, v24
	v_cmp_gt_i64_e32 vcc, 0, v[6:7]
	v_not_b32_e32 v7, v7
	v_ashrrev_i32_e32 v7, 31, v7
	v_and_b32_e32 v21, v21, v26
	v_xor_b32_e32 v26, vcc_hi, v7
	v_xor_b32_e32 v7, vcc_lo, v7
	v_and_b32_e32 v20, v20, v7
	v_lshlrev_b32_e32 v7, 25, v24
	v_cmp_gt_i64_e32 vcc, 0, v[6:7]
	v_not_b32_e32 v7, v7
	v_ashrrev_i32_e32 v7, 31, v7
	;; [unrolled: 8-line block ×3, first 2 shown]
	v_xor_b32_e32 v24, vcc_hi, v7
	v_xor_b32_e32 v7, vcc_lo, v7
	v_and_b32_e32 v21, v21, v26
	v_and_b32_e32 v20, v20, v7
	;; [unrolled: 1-line block ×3, first 2 shown]
	v_mbcnt_lo_u32_b32 v7, v20, 0
	v_mbcnt_hi_u32_b32 v26, v21, v7
	v_cmp_eq_u32_e32 vcc, 0, v26
	v_cmp_ne_u64_e64 s[2:3], 0, v[20:21]
	s_and_b64 s[4:5], s[2:3], vcc
	s_and_saveexec_b64 s[2:3], s[4:5]
	s_cbranch_execz .LBB2481_69
; %bb.68:
	v_bcnt_u32_b32 v7, v20, 0
	v_bcnt_u32_b32 v7, v21, v7
	ds_write_b32 v23, v7 offset:64
.LBB2481_69:
	s_or_b64 exec, exec, s[2:3]
	s_waitcnt vmcnt(6)
	v_not_b32_e32 v5, v5
	v_not_b32_e32 v4, v4
	v_lshrrev_b64 v[20:21], s20, v[4:5]
	v_and_b32_e32 v20, s13, v20
	v_lshl_add_u32 v7, v20, 4, v20
	v_add_lshl_u32 v24, v25, v7, 2
	v_and_b32_e32 v7, 1, v20
	v_add_co_u32_e32 v21, vcc, -1, v7
	v_addc_co_u32_e64 v29, s[2:3], 0, -1, vcc
	v_cmp_ne_u32_e32 vcc, 0, v7
	v_xor_b32_e32 v7, vcc_hi, v29
	v_and_b32_e32 v29, exec_hi, v7
	v_lshlrev_b32_e32 v7, 30, v20
	v_xor_b32_e32 v21, vcc_lo, v21
	v_cmp_gt_i64_e32 vcc, 0, v[6:7]
	v_not_b32_e32 v7, v7
	v_ashrrev_i32_e32 v7, 31, v7
	v_and_b32_e32 v21, exec_lo, v21
	v_xor_b32_e32 v30, vcc_hi, v7
	v_xor_b32_e32 v7, vcc_lo, v7
	v_and_b32_e32 v21, v21, v7
	v_lshlrev_b32_e32 v7, 29, v20
	v_cmp_gt_i64_e32 vcc, 0, v[6:7]
	v_not_b32_e32 v7, v7
	v_ashrrev_i32_e32 v7, 31, v7
	v_and_b32_e32 v29, v29, v30
	v_xor_b32_e32 v30, vcc_hi, v7
	v_xor_b32_e32 v7, vcc_lo, v7
	v_and_b32_e32 v21, v21, v7
	v_lshlrev_b32_e32 v7, 28, v20
	v_cmp_gt_i64_e32 vcc, 0, v[6:7]
	v_not_b32_e32 v7, v7
	v_ashrrev_i32_e32 v7, 31, v7
	v_and_b32_e32 v29, v29, v30
	;; [unrolled: 8-line block ×5, first 2 shown]
	v_xor_b32_e32 v30, vcc_hi, v7
	v_xor_b32_e32 v7, vcc_lo, v7
	v_and_b32_e32 v21, v21, v7
	v_lshlrev_b32_e32 v7, 24, v20
	v_cmp_gt_i64_e32 vcc, 0, v[6:7]
	v_not_b32_e32 v6, v7
	v_ashrrev_i32_e32 v6, 31, v6
	v_xor_b32_e32 v7, vcc_hi, v6
	v_xor_b32_e32 v6, vcc_lo, v6
	; wave barrier
	ds_read_b32 v27, v24 offset:64
	v_and_b32_e32 v29, v29, v30
	v_and_b32_e32 v6, v21, v6
	;; [unrolled: 1-line block ×3, first 2 shown]
	v_mbcnt_lo_u32_b32 v20, v6, 0
	v_mbcnt_hi_u32_b32 v29, v7, v20
	v_cmp_eq_u32_e32 vcc, 0, v29
	v_cmp_ne_u64_e64 s[2:3], 0, v[6:7]
	s_and_b64 s[4:5], s[2:3], vcc
	; wave barrier
	s_and_saveexec_b64 s[2:3], s[4:5]
	s_cbranch_execz .LBB2481_71
; %bb.70:
	v_bcnt_u32_b32 v6, v6, 0
	v_bcnt_u32_b32 v6, v7, v6
	s_waitcnt lgkmcnt(0)
	v_add_u32_e32 v6, v27, v6
	ds_write_b32 v24, v6 offset:64
.LBB2481_71:
	s_or_b64 exec, exec, s[2:3]
	s_waitcnt vmcnt(5)
	v_not_b32_e32 v7, v19
	v_not_b32_e32 v6, v18
	v_lshrrev_b64 v[18:19], s20, v[6:7]
	v_and_b32_e32 v20, s13, v18
	v_and_b32_e32 v19, 1, v20
	v_add_co_u32_e32 v21, vcc, -1, v19
	v_addc_co_u32_e64 v31, s[2:3], 0, -1, vcc
	v_cmp_ne_u32_e32 vcc, 0, v19
	v_lshl_add_u32 v18, v20, 4, v20
	v_xor_b32_e32 v19, vcc_hi, v31
	v_add_lshl_u32 v34, v25, v18, 2
	v_mov_b32_e32 v18, 0
	v_and_b32_e32 v31, exec_hi, v19
	v_lshlrev_b32_e32 v19, 30, v20
	v_xor_b32_e32 v21, vcc_lo, v21
	v_cmp_gt_i64_e32 vcc, 0, v[18:19]
	v_not_b32_e32 v19, v19
	v_ashrrev_i32_e32 v19, 31, v19
	v_and_b32_e32 v21, exec_lo, v21
	v_xor_b32_e32 v32, vcc_hi, v19
	v_xor_b32_e32 v19, vcc_lo, v19
	v_and_b32_e32 v21, v21, v19
	v_lshlrev_b32_e32 v19, 29, v20
	v_cmp_gt_i64_e32 vcc, 0, v[18:19]
	v_not_b32_e32 v19, v19
	v_ashrrev_i32_e32 v19, 31, v19
	v_and_b32_e32 v31, v31, v32
	v_xor_b32_e32 v32, vcc_hi, v19
	v_xor_b32_e32 v19, vcc_lo, v19
	v_and_b32_e32 v21, v21, v19
	v_lshlrev_b32_e32 v19, 28, v20
	v_cmp_gt_i64_e32 vcc, 0, v[18:19]
	v_not_b32_e32 v19, v19
	v_ashrrev_i32_e32 v19, 31, v19
	v_and_b32_e32 v31, v31, v32
	;; [unrolled: 8-line block ×5, first 2 shown]
	v_xor_b32_e32 v32, vcc_hi, v19
	v_xor_b32_e32 v19, vcc_lo, v19
	v_and_b32_e32 v31, v31, v32
	v_and_b32_e32 v32, v21, v19
	v_lshlrev_b32_e32 v19, 24, v20
	v_cmp_gt_i64_e32 vcc, 0, v[18:19]
	v_not_b32_e32 v19, v19
	v_ashrrev_i32_e32 v19, 31, v19
	v_xor_b32_e32 v20, vcc_hi, v19
	v_xor_b32_e32 v19, vcc_lo, v19
	; wave barrier
	ds_read_b32 v30, v34 offset:64
	v_and_b32_e32 v21, v31, v20
	v_and_b32_e32 v20, v32, v19
	v_mbcnt_lo_u32_b32 v19, v20, 0
	v_mbcnt_hi_u32_b32 v31, v21, v19
	v_cmp_eq_u32_e32 vcc, 0, v31
	v_cmp_ne_u64_e64 s[2:3], 0, v[20:21]
	s_and_b64 s[4:5], s[2:3], vcc
	; wave barrier
	s_and_saveexec_b64 s[2:3], s[4:5]
	s_cbranch_execz .LBB2481_73
; %bb.72:
	v_bcnt_u32_b32 v19, v20, 0
	v_bcnt_u32_b32 v19, v21, v19
	s_waitcnt lgkmcnt(0)
	v_add_u32_e32 v19, v30, v19
	ds_write_b32 v34, v19 offset:64
.LBB2481_73:
	s_or_b64 exec, exec, s[2:3]
	s_waitcnt vmcnt(4)
	v_not_b32_e32 v9, v9
	v_not_b32_e32 v8, v8
	v_lshrrev_b64 v[20:21], s20, v[8:9]
	v_and_b32_e32 v20, s13, v20
	v_lshl_add_u32 v19, v20, 4, v20
	v_add_lshl_u32 v37, v25, v19, 2
	v_and_b32_e32 v19, 1, v20
	v_add_co_u32_e32 v21, vcc, -1, v19
	v_addc_co_u32_e64 v33, s[2:3], 0, -1, vcc
	v_cmp_ne_u32_e32 vcc, 0, v19
	v_xor_b32_e32 v19, vcc_hi, v33
	v_and_b32_e32 v33, exec_hi, v19
	v_lshlrev_b32_e32 v19, 30, v20
	v_xor_b32_e32 v21, vcc_lo, v21
	v_cmp_gt_i64_e32 vcc, 0, v[18:19]
	v_not_b32_e32 v19, v19
	v_ashrrev_i32_e32 v19, 31, v19
	v_and_b32_e32 v21, exec_lo, v21
	v_xor_b32_e32 v35, vcc_hi, v19
	v_xor_b32_e32 v19, vcc_lo, v19
	v_and_b32_e32 v21, v21, v19
	v_lshlrev_b32_e32 v19, 29, v20
	v_cmp_gt_i64_e32 vcc, 0, v[18:19]
	v_not_b32_e32 v19, v19
	v_ashrrev_i32_e32 v19, 31, v19
	v_and_b32_e32 v33, v33, v35
	v_xor_b32_e32 v35, vcc_hi, v19
	v_xor_b32_e32 v19, vcc_lo, v19
	v_and_b32_e32 v21, v21, v19
	v_lshlrev_b32_e32 v19, 28, v20
	v_cmp_gt_i64_e32 vcc, 0, v[18:19]
	v_not_b32_e32 v19, v19
	v_ashrrev_i32_e32 v19, 31, v19
	v_and_b32_e32 v33, v33, v35
	;; [unrolled: 8-line block ×5, first 2 shown]
	v_xor_b32_e32 v35, vcc_hi, v19
	v_xor_b32_e32 v19, vcc_lo, v19
	v_and_b32_e32 v21, v21, v19
	v_lshlrev_b32_e32 v19, 24, v20
	v_cmp_gt_i64_e32 vcc, 0, v[18:19]
	v_not_b32_e32 v18, v19
	v_ashrrev_i32_e32 v18, 31, v18
	v_xor_b32_e32 v19, vcc_hi, v18
	v_xor_b32_e32 v18, vcc_lo, v18
	; wave barrier
	ds_read_b32 v32, v37 offset:64
	v_and_b32_e32 v33, v33, v35
	v_and_b32_e32 v18, v21, v18
	v_and_b32_e32 v19, v33, v19
	v_mbcnt_lo_u32_b32 v20, v18, 0
	v_mbcnt_hi_u32_b32 v33, v19, v20
	v_cmp_eq_u32_e32 vcc, 0, v33
	v_cmp_ne_u64_e64 s[2:3], 0, v[18:19]
	s_and_b64 s[4:5], s[2:3], vcc
	; wave barrier
	s_and_saveexec_b64 s[2:3], s[4:5]
	s_cbranch_execz .LBB2481_75
; %bb.74:
	v_bcnt_u32_b32 v18, v18, 0
	v_bcnt_u32_b32 v18, v19, v18
	s_waitcnt lgkmcnt(0)
	v_add_u32_e32 v18, v32, v18
	ds_write_b32 v37, v18 offset:64
.LBB2481_75:
	s_or_b64 exec, exec, s[2:3]
	s_waitcnt vmcnt(3)
	v_not_b32_e32 v11, v11
	v_not_b32_e32 v10, v10
	v_lshrrev_b64 v[18:19], s20, v[10:11]
	v_and_b32_e32 v20, s13, v18
	v_and_b32_e32 v19, 1, v20
	v_add_co_u32_e32 v21, vcc, -1, v19
	v_addc_co_u32_e64 v36, s[2:3], 0, -1, vcc
	v_cmp_ne_u32_e32 vcc, 0, v19
	v_lshl_add_u32 v18, v20, 4, v20
	v_xor_b32_e32 v19, vcc_hi, v36
	v_add_lshl_u32 v38, v25, v18, 2
	v_mov_b32_e32 v18, 0
	v_and_b32_e32 v36, exec_hi, v19
	v_lshlrev_b32_e32 v19, 30, v20
	v_xor_b32_e32 v21, vcc_lo, v21
	v_cmp_gt_i64_e32 vcc, 0, v[18:19]
	v_not_b32_e32 v19, v19
	v_ashrrev_i32_e32 v19, 31, v19
	v_and_b32_e32 v21, exec_lo, v21
	v_xor_b32_e32 v39, vcc_hi, v19
	v_xor_b32_e32 v19, vcc_lo, v19
	v_and_b32_e32 v21, v21, v19
	v_lshlrev_b32_e32 v19, 29, v20
	v_cmp_gt_i64_e32 vcc, 0, v[18:19]
	v_not_b32_e32 v19, v19
	v_ashrrev_i32_e32 v19, 31, v19
	v_and_b32_e32 v36, v36, v39
	v_xor_b32_e32 v39, vcc_hi, v19
	v_xor_b32_e32 v19, vcc_lo, v19
	v_and_b32_e32 v21, v21, v19
	v_lshlrev_b32_e32 v19, 28, v20
	v_cmp_gt_i64_e32 vcc, 0, v[18:19]
	v_not_b32_e32 v19, v19
	v_ashrrev_i32_e32 v19, 31, v19
	v_and_b32_e32 v36, v36, v39
	;; [unrolled: 8-line block ×5, first 2 shown]
	v_xor_b32_e32 v39, vcc_hi, v19
	v_xor_b32_e32 v19, vcc_lo, v19
	v_and_b32_e32 v36, v36, v39
	v_and_b32_e32 v39, v21, v19
	v_lshlrev_b32_e32 v19, 24, v20
	v_cmp_gt_i64_e32 vcc, 0, v[18:19]
	v_not_b32_e32 v19, v19
	v_ashrrev_i32_e32 v19, 31, v19
	v_xor_b32_e32 v20, vcc_hi, v19
	v_xor_b32_e32 v19, vcc_lo, v19
	; wave barrier
	ds_read_b32 v35, v38 offset:64
	v_and_b32_e32 v21, v36, v20
	v_and_b32_e32 v20, v39, v19
	v_mbcnt_lo_u32_b32 v19, v20, 0
	v_mbcnt_hi_u32_b32 v36, v21, v19
	v_cmp_eq_u32_e32 vcc, 0, v36
	v_cmp_ne_u64_e64 s[2:3], 0, v[20:21]
	s_and_b64 s[4:5], s[2:3], vcc
	; wave barrier
	s_and_saveexec_b64 s[2:3], s[4:5]
	s_cbranch_execz .LBB2481_77
; %bb.76:
	v_bcnt_u32_b32 v19, v20, 0
	v_bcnt_u32_b32 v19, v21, v19
	s_waitcnt lgkmcnt(0)
	v_add_u32_e32 v19, v35, v19
	ds_write_b32 v38, v19 offset:64
.LBB2481_77:
	s_or_b64 exec, exec, s[2:3]
	s_waitcnt vmcnt(2)
	v_not_b32_e32 v15, v15
	v_not_b32_e32 v14, v14
	v_lshrrev_b64 v[20:21], s20, v[14:15]
	v_and_b32_e32 v20, s13, v20
	v_lshl_add_u32 v19, v20, 4, v20
	v_add_lshl_u32 v43, v25, v19, 2
	v_and_b32_e32 v19, 1, v20
	v_add_co_u32_e32 v21, vcc, -1, v19
	v_addc_co_u32_e64 v40, s[2:3], 0, -1, vcc
	v_cmp_ne_u32_e32 vcc, 0, v19
	v_xor_b32_e32 v19, vcc_hi, v40
	v_and_b32_e32 v40, exec_hi, v19
	v_lshlrev_b32_e32 v19, 30, v20
	v_xor_b32_e32 v21, vcc_lo, v21
	v_cmp_gt_i64_e32 vcc, 0, v[18:19]
	v_not_b32_e32 v19, v19
	v_ashrrev_i32_e32 v19, 31, v19
	v_and_b32_e32 v21, exec_lo, v21
	v_xor_b32_e32 v41, vcc_hi, v19
	v_xor_b32_e32 v19, vcc_lo, v19
	v_and_b32_e32 v21, v21, v19
	v_lshlrev_b32_e32 v19, 29, v20
	v_cmp_gt_i64_e32 vcc, 0, v[18:19]
	v_not_b32_e32 v19, v19
	v_ashrrev_i32_e32 v19, 31, v19
	v_and_b32_e32 v40, v40, v41
	v_xor_b32_e32 v41, vcc_hi, v19
	v_xor_b32_e32 v19, vcc_lo, v19
	v_and_b32_e32 v21, v21, v19
	v_lshlrev_b32_e32 v19, 28, v20
	v_cmp_gt_i64_e32 vcc, 0, v[18:19]
	v_not_b32_e32 v19, v19
	v_ashrrev_i32_e32 v19, 31, v19
	v_and_b32_e32 v40, v40, v41
	;; [unrolled: 8-line block ×5, first 2 shown]
	v_xor_b32_e32 v41, vcc_hi, v19
	v_xor_b32_e32 v19, vcc_lo, v19
	v_and_b32_e32 v21, v21, v19
	v_lshlrev_b32_e32 v19, 24, v20
	v_cmp_gt_i64_e32 vcc, 0, v[18:19]
	v_not_b32_e32 v18, v19
	v_ashrrev_i32_e32 v18, 31, v18
	v_xor_b32_e32 v19, vcc_hi, v18
	v_xor_b32_e32 v18, vcc_lo, v18
	; wave barrier
	ds_read_b32 v39, v43 offset:64
	v_and_b32_e32 v40, v40, v41
	v_and_b32_e32 v18, v21, v18
	;; [unrolled: 1-line block ×3, first 2 shown]
	v_mbcnt_lo_u32_b32 v20, v18, 0
	v_mbcnt_hi_u32_b32 v40, v19, v20
	v_cmp_eq_u32_e32 vcc, 0, v40
	v_cmp_ne_u64_e64 s[2:3], 0, v[18:19]
	s_and_b64 s[4:5], s[2:3], vcc
	; wave barrier
	s_and_saveexec_b64 s[2:3], s[4:5]
	s_cbranch_execz .LBB2481_79
; %bb.78:
	v_bcnt_u32_b32 v18, v18, 0
	v_bcnt_u32_b32 v18, v19, v18
	s_waitcnt lgkmcnt(0)
	v_add_u32_e32 v18, v39, v18
	ds_write_b32 v43, v18 offset:64
.LBB2481_79:
	s_or_b64 exec, exec, s[2:3]
	s_waitcnt vmcnt(1)
	v_not_b32_e32 v17, v17
	v_not_b32_e32 v16, v16
	v_lshrrev_b64 v[18:19], s20, v[16:17]
	v_and_b32_e32 v20, s13, v18
	v_and_b32_e32 v19, 1, v20
	v_add_co_u32_e32 v21, vcc, -1, v19
	v_addc_co_u32_e64 v42, s[2:3], 0, -1, vcc
	v_cmp_ne_u32_e32 vcc, 0, v19
	v_lshl_add_u32 v18, v20, 4, v20
	v_xor_b32_e32 v19, vcc_hi, v42
	v_add_lshl_u32 v46, v25, v18, 2
	v_mov_b32_e32 v18, 0
	v_and_b32_e32 v42, exec_hi, v19
	v_lshlrev_b32_e32 v19, 30, v20
	v_xor_b32_e32 v21, vcc_lo, v21
	v_cmp_gt_i64_e32 vcc, 0, v[18:19]
	v_not_b32_e32 v19, v19
	v_ashrrev_i32_e32 v19, 31, v19
	v_and_b32_e32 v21, exec_lo, v21
	v_xor_b32_e32 v44, vcc_hi, v19
	v_xor_b32_e32 v19, vcc_lo, v19
	v_and_b32_e32 v21, v21, v19
	v_lshlrev_b32_e32 v19, 29, v20
	v_cmp_gt_i64_e32 vcc, 0, v[18:19]
	v_not_b32_e32 v19, v19
	v_ashrrev_i32_e32 v19, 31, v19
	v_and_b32_e32 v42, v42, v44
	v_xor_b32_e32 v44, vcc_hi, v19
	v_xor_b32_e32 v19, vcc_lo, v19
	v_and_b32_e32 v21, v21, v19
	v_lshlrev_b32_e32 v19, 28, v20
	v_cmp_gt_i64_e32 vcc, 0, v[18:19]
	v_not_b32_e32 v19, v19
	v_ashrrev_i32_e32 v19, 31, v19
	v_and_b32_e32 v42, v42, v44
	;; [unrolled: 8-line block ×5, first 2 shown]
	v_xor_b32_e32 v44, vcc_hi, v19
	v_xor_b32_e32 v19, vcc_lo, v19
	v_and_b32_e32 v42, v42, v44
	v_and_b32_e32 v44, v21, v19
	v_lshlrev_b32_e32 v19, 24, v20
	v_cmp_gt_i64_e32 vcc, 0, v[18:19]
	v_not_b32_e32 v19, v19
	v_ashrrev_i32_e32 v19, 31, v19
	v_xor_b32_e32 v20, vcc_hi, v19
	v_xor_b32_e32 v19, vcc_lo, v19
	; wave barrier
	ds_read_b32 v41, v46 offset:64
	v_and_b32_e32 v21, v42, v20
	v_and_b32_e32 v20, v44, v19
	v_mbcnt_lo_u32_b32 v19, v20, 0
	v_mbcnt_hi_u32_b32 v42, v21, v19
	v_cmp_eq_u32_e32 vcc, 0, v42
	v_cmp_ne_u64_e64 s[2:3], 0, v[20:21]
	s_and_b64 s[4:5], s[2:3], vcc
	; wave barrier
	s_and_saveexec_b64 s[2:3], s[4:5]
	s_cbranch_execz .LBB2481_81
; %bb.80:
	v_bcnt_u32_b32 v19, v20, 0
	v_bcnt_u32_b32 v19, v21, v19
	s_waitcnt lgkmcnt(0)
	v_add_u32_e32 v19, v41, v19
	ds_write_b32 v46, v19 offset:64
.LBB2481_81:
	s_or_b64 exec, exec, s[2:3]
	s_waitcnt vmcnt(0)
	v_not_b32_e32 v13, v13
	v_not_b32_e32 v12, v12
	v_lshrrev_b64 v[20:21], s20, v[12:13]
	v_and_b32_e32 v20, s13, v20
	v_lshl_add_u32 v19, v20, 4, v20
	v_add_lshl_u32 v25, v25, v19, 2
	v_and_b32_e32 v19, 1, v20
	v_add_co_u32_e32 v21, vcc, -1, v19
	v_addc_co_u32_e64 v45, s[2:3], 0, -1, vcc
	v_cmp_ne_u32_e32 vcc, 0, v19
	v_xor_b32_e32 v19, vcc_hi, v45
	v_and_b32_e32 v45, exec_hi, v19
	v_lshlrev_b32_e32 v19, 30, v20
	v_xor_b32_e32 v21, vcc_lo, v21
	v_cmp_gt_i64_e32 vcc, 0, v[18:19]
	v_not_b32_e32 v19, v19
	v_ashrrev_i32_e32 v19, 31, v19
	v_and_b32_e32 v21, exec_lo, v21
	v_xor_b32_e32 v48, vcc_hi, v19
	v_xor_b32_e32 v19, vcc_lo, v19
	v_and_b32_e32 v21, v21, v19
	v_lshlrev_b32_e32 v19, 29, v20
	v_cmp_gt_i64_e32 vcc, 0, v[18:19]
	v_not_b32_e32 v19, v19
	v_ashrrev_i32_e32 v19, 31, v19
	v_and_b32_e32 v45, v45, v48
	v_xor_b32_e32 v48, vcc_hi, v19
	v_xor_b32_e32 v19, vcc_lo, v19
	v_and_b32_e32 v21, v21, v19
	v_lshlrev_b32_e32 v19, 28, v20
	v_cmp_gt_i64_e32 vcc, 0, v[18:19]
	v_not_b32_e32 v19, v19
	v_ashrrev_i32_e32 v19, 31, v19
	v_and_b32_e32 v45, v45, v48
	;; [unrolled: 8-line block ×5, first 2 shown]
	v_xor_b32_e32 v48, vcc_hi, v19
	v_xor_b32_e32 v19, vcc_lo, v19
	v_and_b32_e32 v21, v21, v19
	v_lshlrev_b32_e32 v19, 24, v20
	v_cmp_gt_i64_e32 vcc, 0, v[18:19]
	v_not_b32_e32 v18, v19
	v_ashrrev_i32_e32 v18, 31, v18
	v_xor_b32_e32 v19, vcc_hi, v18
	v_xor_b32_e32 v18, vcc_lo, v18
	; wave barrier
	ds_read_b32 v44, v25 offset:64
	v_and_b32_e32 v45, v45, v48
	v_and_b32_e32 v18, v21, v18
	;; [unrolled: 1-line block ×3, first 2 shown]
	v_mbcnt_lo_u32_b32 v20, v18, 0
	v_mbcnt_hi_u32_b32 v45, v19, v20
	v_cmp_eq_u32_e32 vcc, 0, v45
	v_cmp_ne_u64_e64 s[2:3], 0, v[18:19]
	v_add_u32_e32 v47, 64, v22
	s_and_b64 s[4:5], s[2:3], vcc
	; wave barrier
	s_and_saveexec_b64 s[2:3], s[4:5]
	s_cbranch_execz .LBB2481_83
; %bb.82:
	v_bcnt_u32_b32 v18, v18, 0
	v_bcnt_u32_b32 v18, v19, v18
	s_waitcnt lgkmcnt(0)
	v_add_u32_e32 v18, v44, v18
	ds_write_b32 v25, v18 offset:64
.LBB2481_83:
	s_or_b64 exec, exec, s[2:3]
	; wave barrier
	s_waitcnt lgkmcnt(0)
	s_barrier
	ds_read2_b32 v[20:21], v22 offset0:16 offset1:17
	ds_read2_b32 v[18:19], v47 offset0:2 offset1:3
	ds_read_b32 v48, v47 offset:16
	v_cmp_lt_u32_e64 s[8:9], 31, v3
	s_waitcnt lgkmcnt(1)
	v_add3_u32 v49, v21, v20, v18
	s_waitcnt lgkmcnt(0)
	v_add3_u32 v48, v49, v19, v48
	v_and_b32_e32 v49, 15, v3
	v_cmp_eq_u32_e32 vcc, 0, v49
	v_mov_b32_dpp v50, v48 row_shr:1 row_mask:0xf bank_mask:0xf
	v_cndmask_b32_e64 v50, v50, 0, vcc
	v_add_u32_e32 v48, v50, v48
	v_cmp_lt_u32_e64 s[2:3], 1, v49
	v_cmp_lt_u32_e64 s[4:5], 3, v49
	v_mov_b32_dpp v50, v48 row_shr:2 row_mask:0xf bank_mask:0xf
	v_cndmask_b32_e64 v50, 0, v50, s[2:3]
	v_add_u32_e32 v48, v48, v50
	v_cmp_lt_u32_e64 s[6:7], 7, v49
	s_nop 0
	v_mov_b32_dpp v50, v48 row_shr:4 row_mask:0xf bank_mask:0xf
	v_cndmask_b32_e64 v50, 0, v50, s[4:5]
	v_add_u32_e32 v48, v48, v50
	s_nop 1
	v_mov_b32_dpp v50, v48 row_shr:8 row_mask:0xf bank_mask:0xf
	v_cndmask_b32_e64 v49, 0, v50, s[6:7]
	v_add_u32_e32 v48, v48, v49
	v_bfe_i32 v50, v3, 4, 1
	s_nop 0
	v_mov_b32_dpp v49, v48 row_bcast:15 row_mask:0xf bank_mask:0xf
	v_and_b32_e32 v49, v50, v49
	v_add_u32_e32 v48, v48, v49
	v_and_b32_e32 v50, 63, v2
	s_nop 0
	v_mov_b32_dpp v49, v48 row_bcast:31 row_mask:0xf bank_mask:0xf
	v_cndmask_b32_e64 v49, 0, v49, s[8:9]
	v_add_u32_e32 v48, v48, v49
	v_lshrrev_b32_e32 v49, 6, v2
	v_cmp_eq_u32_e64 s[8:9], 63, v50
	s_and_saveexec_b64 s[10:11], s[8:9]
	s_cbranch_execz .LBB2481_85
; %bb.84:
	v_lshlrev_b32_e32 v50, 2, v49
	ds_write_b32 v50, v48
.LBB2481_85:
	s_or_b64 exec, exec, s[10:11]
	v_cmp_gt_u32_e64 s[8:9], 16, v2
	s_waitcnt lgkmcnt(0)
	s_barrier
	s_and_saveexec_b64 s[10:11], s[8:9]
	s_cbranch_execz .LBB2481_87
; %bb.86:
	v_lshlrev_b32_e32 v50, 2, v2
	ds_read_b32 v51, v50
	s_waitcnt lgkmcnt(0)
	s_nop 0
	v_mov_b32_dpp v52, v51 row_shr:1 row_mask:0xf bank_mask:0xf
	v_cndmask_b32_e64 v52, v52, 0, vcc
	v_add_u32_e32 v51, v52, v51
	s_nop 1
	v_mov_b32_dpp v52, v51 row_shr:2 row_mask:0xf bank_mask:0xf
	v_cndmask_b32_e64 v52, 0, v52, s[2:3]
	v_add_u32_e32 v51, v51, v52
	s_nop 1
	v_mov_b32_dpp v52, v51 row_shr:4 row_mask:0xf bank_mask:0xf
	v_cndmask_b32_e64 v52, 0, v52, s[4:5]
	;; [unrolled: 4-line block ×3, first 2 shown]
	v_add_u32_e32 v51, v51, v52
	ds_write_b32 v50, v51
.LBB2481_87:
	s_or_b64 exec, exec, s[10:11]
	v_cmp_lt_u32_e32 vcc, 63, v2
	v_mov_b32_e32 v50, 0
	s_waitcnt lgkmcnt(0)
	s_barrier
	s_and_saveexec_b64 s[2:3], vcc
	s_cbranch_execz .LBB2481_89
; %bb.88:
	v_lshl_add_u32 v49, v49, 2, -4
	ds_read_b32 v50, v49
.LBB2481_89:
	s_or_b64 exec, exec, s[2:3]
	v_add_u32_e32 v49, -1, v3
	v_and_b32_e32 v51, 64, v3
	v_cmp_lt_i32_e32 vcc, v49, v51
	v_cndmask_b32_e32 v49, v49, v3, vcc
	s_waitcnt lgkmcnt(0)
	v_add_u32_e32 v48, v50, v48
	v_lshlrev_b32_e32 v49, 2, v49
	ds_bpermute_b32 v48, v49, v48
	v_cmp_eq_u32_e32 vcc, 0, v3
	s_movk_i32 s2, 0xff
	s_waitcnt lgkmcnt(0)
	v_cndmask_b32_e32 v3, v48, v50, vcc
	v_cndmask_b32_e64 v3, v3, 0, s[0:1]
	v_add_u32_e32 v20, v3, v20
	v_add_u32_e32 v21, v20, v21
	;; [unrolled: 1-line block ×4, first 2 shown]
	ds_write2_b32 v22, v3, v20 offset0:16 offset1:17
	ds_write2_b32 v47, v21, v18 offset0:2 offset1:3
	ds_write_b32 v47, v19 offset:16
	s_waitcnt lgkmcnt(0)
	s_barrier
	ds_read_b32 v49, v23 offset:64
	ds_read_b32 v47, v24 offset:64
	;; [unrolled: 1-line block ×8, first 2 shown]
	s_movk_i32 s0, 0x100
	v_cmp_lt_u32_e32 vcc, s2, v2
	v_cmp_gt_u32_e64 s[0:1], s0, v2
	v_pk_mov_b32 v[18:19], 0, 0
                                        ; implicit-def: $vgpr38
	s_and_saveexec_b64 s[4:5], s[0:1]
	s_cbranch_execz .LBB2481_93
; %bb.90:
	v_mul_u32_u24_e32 v3, 17, v2
	v_lshlrev_b32_e32 v19, 2, v3
	ds_read_b32 v18, v19 offset:64
	v_cmp_ne_u32_e64 s[2:3], s2, v2
	v_mov_b32_e32 v3, 0x2000
	s_and_saveexec_b64 s[6:7], s[2:3]
	s_cbranch_execz .LBB2481_92
; %bb.91:
	ds_read_b32 v3, v19 offset:132
.LBB2481_92:
	s_or_b64 exec, exec, s[6:7]
	s_waitcnt lgkmcnt(0)
	v_sub_u32_e32 v38, v3, v18
	v_mov_b32_e32 v19, 0
.LBB2481_93:
	s_or_b64 exec, exec, s[4:5]
	s_waitcnt lgkmcnt(0)
	s_barrier
	s_and_saveexec_b64 s[2:3], vcc
	s_xor_b64 s[2:3], exec, s[2:3]
; %bb.94:
	v_mov_b32_e32 v3, 0
; %bb.95:
	s_andn2_saveexec_b64 s[2:3], s[2:3]
	s_cbranch_execz .LBB2481_105
; %bb.96:
	v_lshl_or_b32 v20, s28, 8, v2
	v_mov_b32_e32 v21, 0
	v_lshlrev_b64 v[22:23], 2, v[20:21]
	v_mov_b32_e32 v3, s15
	v_add_co_u32_e32 v22, vcc, s14, v22
	v_addc_co_u32_e32 v23, vcc, v3, v23, vcc
	v_or_b32_e32 v20, 2.0, v38
	s_mov_b64 s[4:5], 0
	s_brev_b32 s10, 1
	s_mov_b32 s11, s28
	v_mov_b32_e32 v51, 0
	global_store_dword v[22:23], v20, off
                                        ; implicit-def: $sgpr6_sgpr7
	s_branch .LBB2481_99
.LBB2481_97:                            ;   in Loop: Header=BB2481_99 Depth=1
	s_or_b64 exec, exec, s[8:9]
.LBB2481_98:                            ;   in Loop: Header=BB2481_99 Depth=1
	s_or_b64 exec, exec, s[6:7]
	v_and_b32_e32 v24, 0x3fffffff, v52
	v_add_u32_e32 v51, v24, v51
	v_cmp_eq_u32_e64 s[6:7], s10, v20
	s_and_b64 s[8:9], exec, s[6:7]
	s_or_b64 s[4:5], s[8:9], s[4:5]
	s_andn2_b64 exec, exec, s[4:5]
	s_cbranch_execz .LBB2481_104
.LBB2481_99:                            ; =>This Loop Header: Depth=1
                                        ;     Child Loop BB2481_102 Depth 2
	s_or_b64 s[6:7], s[6:7], exec
	s_cmp_eq_u32 s11, 0
	s_cbranch_scc1 .LBB2481_103
; %bb.100:                              ;   in Loop: Header=BB2481_99 Depth=1
	s_add_i32 s11, s11, -1
	v_lshl_or_b32 v20, s11, 8, v2
	v_lshlrev_b64 v[24:25], 2, v[20:21]
	v_add_co_u32_e32 v24, vcc, s14, v24
	v_addc_co_u32_e32 v25, vcc, v3, v25, vcc
	global_load_dword v52, v[24:25], off glc
	s_waitcnt vmcnt(0)
	v_and_b32_e32 v20, -2.0, v52
	v_cmp_eq_u32_e32 vcc, 0, v20
	s_and_saveexec_b64 s[6:7], vcc
	s_cbranch_execz .LBB2481_98
; %bb.101:                              ;   in Loop: Header=BB2481_99 Depth=1
	s_mov_b64 s[8:9], 0
.LBB2481_102:                           ;   Parent Loop BB2481_99 Depth=1
                                        ; =>  This Inner Loop Header: Depth=2
	global_load_dword v52, v[24:25], off glc
	s_waitcnt vmcnt(0)
	v_and_b32_e32 v20, -2.0, v52
	v_cmp_ne_u32_e32 vcc, 0, v20
	s_or_b64 s[8:9], vcc, s[8:9]
	s_andn2_b64 exec, exec, s[8:9]
	s_cbranch_execnz .LBB2481_102
	s_branch .LBB2481_97
.LBB2481_103:                           ;   in Loop: Header=BB2481_99 Depth=1
                                        ; implicit-def: $sgpr11
	s_and_b64 s[8:9], exec, s[6:7]
	s_or_b64 s[4:5], s[8:9], s[4:5]
	s_andn2_b64 exec, exec, s[4:5]
	s_cbranch_execnz .LBB2481_99
.LBB2481_104:
	s_or_b64 exec, exec, s[4:5]
	v_add_u32_e32 v3, v51, v38
	v_or_b32_e32 v3, 0x80000000, v3
	global_store_dword v[22:23], v3, off
	global_load_dwordx2 v[20:21], v28, s[16:17]
	v_sub_co_u32_e32 v22, vcc, v51, v18
	v_subb_co_u32_e32 v23, vcc, 0, v19, vcc
	v_mov_b32_e32 v3, 0
	s_waitcnt vmcnt(0)
	v_add_co_u32_e32 v20, vcc, v22, v20
	v_addc_co_u32_e32 v21, vcc, v23, v21, vcc
	ds_write_b64 v28, v[20:21]
.LBB2481_105:
	s_or_b64 exec, exec, s[2:3]
	v_lshlrev_b64 v[20:21], 3, v[2:3]
	v_add3_u32 v27, v29, v47, v27
	v_mov_b32_e32 v29, s27
	v_add_co_u32_e32 v20, vcc, s26, v20
	v_add_u32_e32 v22, v49, v26
	v_add_u32_e32 v23, 0x800, v28
	v_add3_u32 v24, v45, v50, v44
	v_add3_u32 v25, v42, v46, v41
	v_add3_u32 v26, v40, v43, v39
	v_add3_u32 v35, v36, v48, v35
	v_add3_u32 v32, v33, v37, v32
	v_add3_u32 v30, v31, v34, v30
	v_addc_co_u32_e32 v21, vcc, v29, v21, vcc
	s_mov_b32 s2, 0
.LBB2481_106:                           ; =>This Inner Loop Header: Depth=1
	v_add_u32_e32 v29, s2, v22
	v_add_u32_e32 v36, s2, v35
	;; [unrolled: 1-line block ×8, first 2 shown]
	v_min_u32_e32 v29, 0x800, v29
	v_min_u32_e32 v36, 0x800, v36
	;; [unrolled: 1-line block ×8, first 2 shown]
	v_lshlrev_b32_e32 v29, 3, v29
	v_lshlrev_b32_e32 v36, 3, v36
	;; [unrolled: 1-line block ×8, first 2 shown]
	ds_write_b64 v29, v[0:1] offset:2048
	ds_write_b64 v31, v[4:5] offset:2048
	;; [unrolled: 1-line block ×8, first 2 shown]
	s_waitcnt lgkmcnt(0)
	s_barrier
	ds_read_b64 v[36:37], v28 offset:2048
	s_addk_i32 s2, 0xf800
	s_cmpk_lg_i32 s2, 0xe000
	s_waitcnt lgkmcnt(0)
	v_lshrrev_b64 v[40:41], s20, v[36:37]
	v_and_b32_e32 v29, s13, v40
	v_lshlrev_b32_e32 v29, 3, v29
	ds_read_b64 v[40:41], v29
	ds_read_b64 v[42:43], v23 offset:8192
	v_not_b32_e32 v37, v37
	v_not_b32_e32 v36, v36
	s_waitcnt lgkmcnt(1)
	v_lshlrev_b64 v[40:41], 3, v[40:41]
	s_waitcnt lgkmcnt(0)
	v_lshrrev_b64 v[44:45], s20, v[42:43]
	v_add_co_u32_e32 v40, vcc, v20, v40
	v_and_b32_e32 v29, s13, v44
	v_addc_co_u32_e32 v41, vcc, v21, v41, vcc
	v_lshlrev_b32_e32 v29, 3, v29
	global_store_dwordx2 v[40:41], v[36:37], off
	ds_read_b64 v[36:37], v29
	v_not_b32_e32 v43, v43
	v_not_b32_e32 v42, v42
	s_waitcnt lgkmcnt(0)
	v_lshlrev_b64 v[36:37], 3, v[36:37]
	v_add_co_u32_e32 v29, vcc, v20, v36
	v_addc_co_u32_e32 v31, vcc, v21, v37, vcc
	v_add_co_u32_e32 v36, vcc, 0x2000, v29
	v_addc_co_u32_e32 v37, vcc, 0, v31, vcc
	;; [unrolled: 2-line block ×3, first 2 shown]
	global_store_dwordx2 v[36:37], v[42:43], off
	s_barrier
	s_cbranch_scc1 .LBB2481_106
; %bb.107:
	s_add_i32 s12, s12, -1
	s_cmp_eq_u32 s12, s28
	s_cselect_b64 s[2:3], -1, 0
	s_and_b64 s[2:3], s[0:1], s[2:3]
.LBB2481_108:
	s_and_saveexec_b64 s[0:1], s[2:3]
	s_cbranch_execnz .LBB2481_110
; %bb.109:
	s_endpgm
.LBB2481_110:
	v_lshlrev_b64 v[0:1], 3, v[2:3]
	ds_read_b64 v[2:3], v28
	v_add_co_u32_e32 v4, vcc, v18, v38
	v_addc_co_u32_e32 v5, vcc, 0, v19, vcc
	v_mov_b32_e32 v6, s19
	v_add_co_u32_e32 v0, vcc, s18, v0
	v_addc_co_u32_e32 v1, vcc, v6, v1, vcc
	s_waitcnt lgkmcnt(0)
	v_add_co_u32_e32 v2, vcc, v4, v2
	v_addc_co_u32_e32 v3, vcc, v5, v3, vcc
	global_store_dwordx2 v[0:1], v[2:3], off
	s_endpgm
	.section	.rodata,"a",@progbits
	.p2align	6, 0x0
	.amdhsa_kernel _ZN7rocprim17ROCPRIM_400000_NS6detail17trampoline_kernelINS0_14default_configENS1_35radix_sort_onesweep_config_selectorIyNS0_10empty_typeEEEZZNS1_29radix_sort_onesweep_iterationIS3_Lb1EPyS8_PS5_S9_mNS0_19identity_decomposerENS1_16block_id_wrapperIjLb1EEEEE10hipError_tT1_PNSt15iterator_traitsISE_E10value_typeET2_T3_PNSF_ISK_E10value_typeET4_T5_PSP_SQ_PNS1_23onesweep_lookback_stateEbbT6_jjT7_P12ihipStream_tbENKUlT_T0_SE_SJ_E_clIS8_S8_S9_S9_EEDaSX_SY_SE_SJ_EUlSX_E_NS1_11comp_targetILNS1_3genE4ELNS1_11target_archE910ELNS1_3gpuE8ELNS1_3repE0EEENS1_47radix_sort_onesweep_sort_config_static_selectorELNS0_4arch9wavefront6targetE1EEEvSE_
		.amdhsa_group_segment_fixed_size 20552
		.amdhsa_private_segment_fixed_size 0
		.amdhsa_kernarg_size 344
		.amdhsa_user_sgpr_count 6
		.amdhsa_user_sgpr_private_segment_buffer 1
		.amdhsa_user_sgpr_dispatch_ptr 0
		.amdhsa_user_sgpr_queue_ptr 0
		.amdhsa_user_sgpr_kernarg_segment_ptr 1
		.amdhsa_user_sgpr_dispatch_id 0
		.amdhsa_user_sgpr_flat_scratch_init 0
		.amdhsa_user_sgpr_kernarg_preload_length 0
		.amdhsa_user_sgpr_kernarg_preload_offset 0
		.amdhsa_user_sgpr_private_segment_size 0
		.amdhsa_uses_dynamic_stack 0
		.amdhsa_system_sgpr_private_segment_wavefront_offset 0
		.amdhsa_system_sgpr_workgroup_id_x 1
		.amdhsa_system_sgpr_workgroup_id_y 0
		.amdhsa_system_sgpr_workgroup_id_z 0
		.amdhsa_system_sgpr_workgroup_info 0
		.amdhsa_system_vgpr_workitem_id 2
		.amdhsa_next_free_vgpr 55
		.amdhsa_next_free_sgpr 34
		.amdhsa_accum_offset 56
		.amdhsa_reserve_vcc 1
		.amdhsa_reserve_flat_scratch 0
		.amdhsa_float_round_mode_32 0
		.amdhsa_float_round_mode_16_64 0
		.amdhsa_float_denorm_mode_32 3
		.amdhsa_float_denorm_mode_16_64 3
		.amdhsa_dx10_clamp 1
		.amdhsa_ieee_mode 1
		.amdhsa_fp16_overflow 0
		.amdhsa_tg_split 0
		.amdhsa_exception_fp_ieee_invalid_op 0
		.amdhsa_exception_fp_denorm_src 0
		.amdhsa_exception_fp_ieee_div_zero 0
		.amdhsa_exception_fp_ieee_overflow 0
		.amdhsa_exception_fp_ieee_underflow 0
		.amdhsa_exception_fp_ieee_inexact 0
		.amdhsa_exception_int_div_zero 0
	.end_amdhsa_kernel
	.section	.text._ZN7rocprim17ROCPRIM_400000_NS6detail17trampoline_kernelINS0_14default_configENS1_35radix_sort_onesweep_config_selectorIyNS0_10empty_typeEEEZZNS1_29radix_sort_onesweep_iterationIS3_Lb1EPyS8_PS5_S9_mNS0_19identity_decomposerENS1_16block_id_wrapperIjLb1EEEEE10hipError_tT1_PNSt15iterator_traitsISE_E10value_typeET2_T3_PNSF_ISK_E10value_typeET4_T5_PSP_SQ_PNS1_23onesweep_lookback_stateEbbT6_jjT7_P12ihipStream_tbENKUlT_T0_SE_SJ_E_clIS8_S8_S9_S9_EEDaSX_SY_SE_SJ_EUlSX_E_NS1_11comp_targetILNS1_3genE4ELNS1_11target_archE910ELNS1_3gpuE8ELNS1_3repE0EEENS1_47radix_sort_onesweep_sort_config_static_selectorELNS0_4arch9wavefront6targetE1EEEvSE_,"axG",@progbits,_ZN7rocprim17ROCPRIM_400000_NS6detail17trampoline_kernelINS0_14default_configENS1_35radix_sort_onesweep_config_selectorIyNS0_10empty_typeEEEZZNS1_29radix_sort_onesweep_iterationIS3_Lb1EPyS8_PS5_S9_mNS0_19identity_decomposerENS1_16block_id_wrapperIjLb1EEEEE10hipError_tT1_PNSt15iterator_traitsISE_E10value_typeET2_T3_PNSF_ISK_E10value_typeET4_T5_PSP_SQ_PNS1_23onesweep_lookback_stateEbbT6_jjT7_P12ihipStream_tbENKUlT_T0_SE_SJ_E_clIS8_S8_S9_S9_EEDaSX_SY_SE_SJ_EUlSX_E_NS1_11comp_targetILNS1_3genE4ELNS1_11target_archE910ELNS1_3gpuE8ELNS1_3repE0EEENS1_47radix_sort_onesweep_sort_config_static_selectorELNS0_4arch9wavefront6targetE1EEEvSE_,comdat
.Lfunc_end2481:
	.size	_ZN7rocprim17ROCPRIM_400000_NS6detail17trampoline_kernelINS0_14default_configENS1_35radix_sort_onesweep_config_selectorIyNS0_10empty_typeEEEZZNS1_29radix_sort_onesweep_iterationIS3_Lb1EPyS8_PS5_S9_mNS0_19identity_decomposerENS1_16block_id_wrapperIjLb1EEEEE10hipError_tT1_PNSt15iterator_traitsISE_E10value_typeET2_T3_PNSF_ISK_E10value_typeET4_T5_PSP_SQ_PNS1_23onesweep_lookback_stateEbbT6_jjT7_P12ihipStream_tbENKUlT_T0_SE_SJ_E_clIS8_S8_S9_S9_EEDaSX_SY_SE_SJ_EUlSX_E_NS1_11comp_targetILNS1_3genE4ELNS1_11target_archE910ELNS1_3gpuE8ELNS1_3repE0EEENS1_47radix_sort_onesweep_sort_config_static_selectorELNS0_4arch9wavefront6targetE1EEEvSE_, .Lfunc_end2481-_ZN7rocprim17ROCPRIM_400000_NS6detail17trampoline_kernelINS0_14default_configENS1_35radix_sort_onesweep_config_selectorIyNS0_10empty_typeEEEZZNS1_29radix_sort_onesweep_iterationIS3_Lb1EPyS8_PS5_S9_mNS0_19identity_decomposerENS1_16block_id_wrapperIjLb1EEEEE10hipError_tT1_PNSt15iterator_traitsISE_E10value_typeET2_T3_PNSF_ISK_E10value_typeET4_T5_PSP_SQ_PNS1_23onesweep_lookback_stateEbbT6_jjT7_P12ihipStream_tbENKUlT_T0_SE_SJ_E_clIS8_S8_S9_S9_EEDaSX_SY_SE_SJ_EUlSX_E_NS1_11comp_targetILNS1_3genE4ELNS1_11target_archE910ELNS1_3gpuE8ELNS1_3repE0EEENS1_47radix_sort_onesweep_sort_config_static_selectorELNS0_4arch9wavefront6targetE1EEEvSE_
                                        ; -- End function
	.section	.AMDGPU.csdata,"",@progbits
; Kernel info:
; codeLenInByte = 10448
; NumSgprs: 38
; NumVgprs: 55
; NumAgprs: 0
; TotalNumVgprs: 55
; ScratchSize: 0
; MemoryBound: 0
; FloatMode: 240
; IeeeMode: 1
; LDSByteSize: 20552 bytes/workgroup (compile time only)
; SGPRBlocks: 4
; VGPRBlocks: 6
; NumSGPRsForWavesPerEU: 38
; NumVGPRsForWavesPerEU: 55
; AccumOffset: 56
; Occupancy: 8
; WaveLimiterHint : 1
; COMPUTE_PGM_RSRC2:SCRATCH_EN: 0
; COMPUTE_PGM_RSRC2:USER_SGPR: 6
; COMPUTE_PGM_RSRC2:TRAP_HANDLER: 0
; COMPUTE_PGM_RSRC2:TGID_X_EN: 1
; COMPUTE_PGM_RSRC2:TGID_Y_EN: 0
; COMPUTE_PGM_RSRC2:TGID_Z_EN: 0
; COMPUTE_PGM_RSRC2:TIDIG_COMP_CNT: 2
; COMPUTE_PGM_RSRC3_GFX90A:ACCUM_OFFSET: 13
; COMPUTE_PGM_RSRC3_GFX90A:TG_SPLIT: 0
	.section	.text._ZN7rocprim17ROCPRIM_400000_NS6detail17trampoline_kernelINS0_14default_configENS1_35radix_sort_onesweep_config_selectorIyNS0_10empty_typeEEEZZNS1_29radix_sort_onesweep_iterationIS3_Lb1EPyS8_PS5_S9_mNS0_19identity_decomposerENS1_16block_id_wrapperIjLb1EEEEE10hipError_tT1_PNSt15iterator_traitsISE_E10value_typeET2_T3_PNSF_ISK_E10value_typeET4_T5_PSP_SQ_PNS1_23onesweep_lookback_stateEbbT6_jjT7_P12ihipStream_tbENKUlT_T0_SE_SJ_E_clIS8_S8_S9_S9_EEDaSX_SY_SE_SJ_EUlSX_E_NS1_11comp_targetILNS1_3genE3ELNS1_11target_archE908ELNS1_3gpuE7ELNS1_3repE0EEENS1_47radix_sort_onesweep_sort_config_static_selectorELNS0_4arch9wavefront6targetE1EEEvSE_,"axG",@progbits,_ZN7rocprim17ROCPRIM_400000_NS6detail17trampoline_kernelINS0_14default_configENS1_35radix_sort_onesweep_config_selectorIyNS0_10empty_typeEEEZZNS1_29radix_sort_onesweep_iterationIS3_Lb1EPyS8_PS5_S9_mNS0_19identity_decomposerENS1_16block_id_wrapperIjLb1EEEEE10hipError_tT1_PNSt15iterator_traitsISE_E10value_typeET2_T3_PNSF_ISK_E10value_typeET4_T5_PSP_SQ_PNS1_23onesweep_lookback_stateEbbT6_jjT7_P12ihipStream_tbENKUlT_T0_SE_SJ_E_clIS8_S8_S9_S9_EEDaSX_SY_SE_SJ_EUlSX_E_NS1_11comp_targetILNS1_3genE3ELNS1_11target_archE908ELNS1_3gpuE7ELNS1_3repE0EEENS1_47radix_sort_onesweep_sort_config_static_selectorELNS0_4arch9wavefront6targetE1EEEvSE_,comdat
	.protected	_ZN7rocprim17ROCPRIM_400000_NS6detail17trampoline_kernelINS0_14default_configENS1_35radix_sort_onesweep_config_selectorIyNS0_10empty_typeEEEZZNS1_29radix_sort_onesweep_iterationIS3_Lb1EPyS8_PS5_S9_mNS0_19identity_decomposerENS1_16block_id_wrapperIjLb1EEEEE10hipError_tT1_PNSt15iterator_traitsISE_E10value_typeET2_T3_PNSF_ISK_E10value_typeET4_T5_PSP_SQ_PNS1_23onesweep_lookback_stateEbbT6_jjT7_P12ihipStream_tbENKUlT_T0_SE_SJ_E_clIS8_S8_S9_S9_EEDaSX_SY_SE_SJ_EUlSX_E_NS1_11comp_targetILNS1_3genE3ELNS1_11target_archE908ELNS1_3gpuE7ELNS1_3repE0EEENS1_47radix_sort_onesweep_sort_config_static_selectorELNS0_4arch9wavefront6targetE1EEEvSE_ ; -- Begin function _ZN7rocprim17ROCPRIM_400000_NS6detail17trampoline_kernelINS0_14default_configENS1_35radix_sort_onesweep_config_selectorIyNS0_10empty_typeEEEZZNS1_29radix_sort_onesweep_iterationIS3_Lb1EPyS8_PS5_S9_mNS0_19identity_decomposerENS1_16block_id_wrapperIjLb1EEEEE10hipError_tT1_PNSt15iterator_traitsISE_E10value_typeET2_T3_PNSF_ISK_E10value_typeET4_T5_PSP_SQ_PNS1_23onesweep_lookback_stateEbbT6_jjT7_P12ihipStream_tbENKUlT_T0_SE_SJ_E_clIS8_S8_S9_S9_EEDaSX_SY_SE_SJ_EUlSX_E_NS1_11comp_targetILNS1_3genE3ELNS1_11target_archE908ELNS1_3gpuE7ELNS1_3repE0EEENS1_47radix_sort_onesweep_sort_config_static_selectorELNS0_4arch9wavefront6targetE1EEEvSE_
	.globl	_ZN7rocprim17ROCPRIM_400000_NS6detail17trampoline_kernelINS0_14default_configENS1_35radix_sort_onesweep_config_selectorIyNS0_10empty_typeEEEZZNS1_29radix_sort_onesweep_iterationIS3_Lb1EPyS8_PS5_S9_mNS0_19identity_decomposerENS1_16block_id_wrapperIjLb1EEEEE10hipError_tT1_PNSt15iterator_traitsISE_E10value_typeET2_T3_PNSF_ISK_E10value_typeET4_T5_PSP_SQ_PNS1_23onesweep_lookback_stateEbbT6_jjT7_P12ihipStream_tbENKUlT_T0_SE_SJ_E_clIS8_S8_S9_S9_EEDaSX_SY_SE_SJ_EUlSX_E_NS1_11comp_targetILNS1_3genE3ELNS1_11target_archE908ELNS1_3gpuE7ELNS1_3repE0EEENS1_47radix_sort_onesweep_sort_config_static_selectorELNS0_4arch9wavefront6targetE1EEEvSE_
	.p2align	8
	.type	_ZN7rocprim17ROCPRIM_400000_NS6detail17trampoline_kernelINS0_14default_configENS1_35radix_sort_onesweep_config_selectorIyNS0_10empty_typeEEEZZNS1_29radix_sort_onesweep_iterationIS3_Lb1EPyS8_PS5_S9_mNS0_19identity_decomposerENS1_16block_id_wrapperIjLb1EEEEE10hipError_tT1_PNSt15iterator_traitsISE_E10value_typeET2_T3_PNSF_ISK_E10value_typeET4_T5_PSP_SQ_PNS1_23onesweep_lookback_stateEbbT6_jjT7_P12ihipStream_tbENKUlT_T0_SE_SJ_E_clIS8_S8_S9_S9_EEDaSX_SY_SE_SJ_EUlSX_E_NS1_11comp_targetILNS1_3genE3ELNS1_11target_archE908ELNS1_3gpuE7ELNS1_3repE0EEENS1_47radix_sort_onesweep_sort_config_static_selectorELNS0_4arch9wavefront6targetE1EEEvSE_,@function
_ZN7rocprim17ROCPRIM_400000_NS6detail17trampoline_kernelINS0_14default_configENS1_35radix_sort_onesweep_config_selectorIyNS0_10empty_typeEEEZZNS1_29radix_sort_onesweep_iterationIS3_Lb1EPyS8_PS5_S9_mNS0_19identity_decomposerENS1_16block_id_wrapperIjLb1EEEEE10hipError_tT1_PNSt15iterator_traitsISE_E10value_typeET2_T3_PNSF_ISK_E10value_typeET4_T5_PSP_SQ_PNS1_23onesweep_lookback_stateEbbT6_jjT7_P12ihipStream_tbENKUlT_T0_SE_SJ_E_clIS8_S8_S9_S9_EEDaSX_SY_SE_SJ_EUlSX_E_NS1_11comp_targetILNS1_3genE3ELNS1_11target_archE908ELNS1_3gpuE7ELNS1_3repE0EEENS1_47radix_sort_onesweep_sort_config_static_selectorELNS0_4arch9wavefront6targetE1EEEvSE_: ; @_ZN7rocprim17ROCPRIM_400000_NS6detail17trampoline_kernelINS0_14default_configENS1_35radix_sort_onesweep_config_selectorIyNS0_10empty_typeEEEZZNS1_29radix_sort_onesweep_iterationIS3_Lb1EPyS8_PS5_S9_mNS0_19identity_decomposerENS1_16block_id_wrapperIjLb1EEEEE10hipError_tT1_PNSt15iterator_traitsISE_E10value_typeET2_T3_PNSF_ISK_E10value_typeET4_T5_PSP_SQ_PNS1_23onesweep_lookback_stateEbbT6_jjT7_P12ihipStream_tbENKUlT_T0_SE_SJ_E_clIS8_S8_S9_S9_EEDaSX_SY_SE_SJ_EUlSX_E_NS1_11comp_targetILNS1_3genE3ELNS1_11target_archE908ELNS1_3gpuE7ELNS1_3repE0EEENS1_47radix_sort_onesweep_sort_config_static_selectorELNS0_4arch9wavefront6targetE1EEEvSE_
; %bb.0:
	.section	.rodata,"a",@progbits
	.p2align	6, 0x0
	.amdhsa_kernel _ZN7rocprim17ROCPRIM_400000_NS6detail17trampoline_kernelINS0_14default_configENS1_35radix_sort_onesweep_config_selectorIyNS0_10empty_typeEEEZZNS1_29radix_sort_onesweep_iterationIS3_Lb1EPyS8_PS5_S9_mNS0_19identity_decomposerENS1_16block_id_wrapperIjLb1EEEEE10hipError_tT1_PNSt15iterator_traitsISE_E10value_typeET2_T3_PNSF_ISK_E10value_typeET4_T5_PSP_SQ_PNS1_23onesweep_lookback_stateEbbT6_jjT7_P12ihipStream_tbENKUlT_T0_SE_SJ_E_clIS8_S8_S9_S9_EEDaSX_SY_SE_SJ_EUlSX_E_NS1_11comp_targetILNS1_3genE3ELNS1_11target_archE908ELNS1_3gpuE7ELNS1_3repE0EEENS1_47radix_sort_onesweep_sort_config_static_selectorELNS0_4arch9wavefront6targetE1EEEvSE_
		.amdhsa_group_segment_fixed_size 0
		.amdhsa_private_segment_fixed_size 0
		.amdhsa_kernarg_size 88
		.amdhsa_user_sgpr_count 6
		.amdhsa_user_sgpr_private_segment_buffer 1
		.amdhsa_user_sgpr_dispatch_ptr 0
		.amdhsa_user_sgpr_queue_ptr 0
		.amdhsa_user_sgpr_kernarg_segment_ptr 1
		.amdhsa_user_sgpr_dispatch_id 0
		.amdhsa_user_sgpr_flat_scratch_init 0
		.amdhsa_user_sgpr_kernarg_preload_length 0
		.amdhsa_user_sgpr_kernarg_preload_offset 0
		.amdhsa_user_sgpr_private_segment_size 0
		.amdhsa_uses_dynamic_stack 0
		.amdhsa_system_sgpr_private_segment_wavefront_offset 0
		.amdhsa_system_sgpr_workgroup_id_x 1
		.amdhsa_system_sgpr_workgroup_id_y 0
		.amdhsa_system_sgpr_workgroup_id_z 0
		.amdhsa_system_sgpr_workgroup_info 0
		.amdhsa_system_vgpr_workitem_id 0
		.amdhsa_next_free_vgpr 1
		.amdhsa_next_free_sgpr 0
		.amdhsa_accum_offset 4
		.amdhsa_reserve_vcc 0
		.amdhsa_reserve_flat_scratch 0
		.amdhsa_float_round_mode_32 0
		.amdhsa_float_round_mode_16_64 0
		.amdhsa_float_denorm_mode_32 3
		.amdhsa_float_denorm_mode_16_64 3
		.amdhsa_dx10_clamp 1
		.amdhsa_ieee_mode 1
		.amdhsa_fp16_overflow 0
		.amdhsa_tg_split 0
		.amdhsa_exception_fp_ieee_invalid_op 0
		.amdhsa_exception_fp_denorm_src 0
		.amdhsa_exception_fp_ieee_div_zero 0
		.amdhsa_exception_fp_ieee_overflow 0
		.amdhsa_exception_fp_ieee_underflow 0
		.amdhsa_exception_fp_ieee_inexact 0
		.amdhsa_exception_int_div_zero 0
	.end_amdhsa_kernel
	.section	.text._ZN7rocprim17ROCPRIM_400000_NS6detail17trampoline_kernelINS0_14default_configENS1_35radix_sort_onesweep_config_selectorIyNS0_10empty_typeEEEZZNS1_29radix_sort_onesweep_iterationIS3_Lb1EPyS8_PS5_S9_mNS0_19identity_decomposerENS1_16block_id_wrapperIjLb1EEEEE10hipError_tT1_PNSt15iterator_traitsISE_E10value_typeET2_T3_PNSF_ISK_E10value_typeET4_T5_PSP_SQ_PNS1_23onesweep_lookback_stateEbbT6_jjT7_P12ihipStream_tbENKUlT_T0_SE_SJ_E_clIS8_S8_S9_S9_EEDaSX_SY_SE_SJ_EUlSX_E_NS1_11comp_targetILNS1_3genE3ELNS1_11target_archE908ELNS1_3gpuE7ELNS1_3repE0EEENS1_47radix_sort_onesweep_sort_config_static_selectorELNS0_4arch9wavefront6targetE1EEEvSE_,"axG",@progbits,_ZN7rocprim17ROCPRIM_400000_NS6detail17trampoline_kernelINS0_14default_configENS1_35radix_sort_onesweep_config_selectorIyNS0_10empty_typeEEEZZNS1_29radix_sort_onesweep_iterationIS3_Lb1EPyS8_PS5_S9_mNS0_19identity_decomposerENS1_16block_id_wrapperIjLb1EEEEE10hipError_tT1_PNSt15iterator_traitsISE_E10value_typeET2_T3_PNSF_ISK_E10value_typeET4_T5_PSP_SQ_PNS1_23onesweep_lookback_stateEbbT6_jjT7_P12ihipStream_tbENKUlT_T0_SE_SJ_E_clIS8_S8_S9_S9_EEDaSX_SY_SE_SJ_EUlSX_E_NS1_11comp_targetILNS1_3genE3ELNS1_11target_archE908ELNS1_3gpuE7ELNS1_3repE0EEENS1_47radix_sort_onesweep_sort_config_static_selectorELNS0_4arch9wavefront6targetE1EEEvSE_,comdat
.Lfunc_end2482:
	.size	_ZN7rocprim17ROCPRIM_400000_NS6detail17trampoline_kernelINS0_14default_configENS1_35radix_sort_onesweep_config_selectorIyNS0_10empty_typeEEEZZNS1_29radix_sort_onesweep_iterationIS3_Lb1EPyS8_PS5_S9_mNS0_19identity_decomposerENS1_16block_id_wrapperIjLb1EEEEE10hipError_tT1_PNSt15iterator_traitsISE_E10value_typeET2_T3_PNSF_ISK_E10value_typeET4_T5_PSP_SQ_PNS1_23onesweep_lookback_stateEbbT6_jjT7_P12ihipStream_tbENKUlT_T0_SE_SJ_E_clIS8_S8_S9_S9_EEDaSX_SY_SE_SJ_EUlSX_E_NS1_11comp_targetILNS1_3genE3ELNS1_11target_archE908ELNS1_3gpuE7ELNS1_3repE0EEENS1_47radix_sort_onesweep_sort_config_static_selectorELNS0_4arch9wavefront6targetE1EEEvSE_, .Lfunc_end2482-_ZN7rocprim17ROCPRIM_400000_NS6detail17trampoline_kernelINS0_14default_configENS1_35radix_sort_onesweep_config_selectorIyNS0_10empty_typeEEEZZNS1_29radix_sort_onesweep_iterationIS3_Lb1EPyS8_PS5_S9_mNS0_19identity_decomposerENS1_16block_id_wrapperIjLb1EEEEE10hipError_tT1_PNSt15iterator_traitsISE_E10value_typeET2_T3_PNSF_ISK_E10value_typeET4_T5_PSP_SQ_PNS1_23onesweep_lookback_stateEbbT6_jjT7_P12ihipStream_tbENKUlT_T0_SE_SJ_E_clIS8_S8_S9_S9_EEDaSX_SY_SE_SJ_EUlSX_E_NS1_11comp_targetILNS1_3genE3ELNS1_11target_archE908ELNS1_3gpuE7ELNS1_3repE0EEENS1_47radix_sort_onesweep_sort_config_static_selectorELNS0_4arch9wavefront6targetE1EEEvSE_
                                        ; -- End function
	.section	.AMDGPU.csdata,"",@progbits
; Kernel info:
; codeLenInByte = 0
; NumSgprs: 4
; NumVgprs: 0
; NumAgprs: 0
; TotalNumVgprs: 0
; ScratchSize: 0
; MemoryBound: 0
; FloatMode: 240
; IeeeMode: 1
; LDSByteSize: 0 bytes/workgroup (compile time only)
; SGPRBlocks: 0
; VGPRBlocks: 0
; NumSGPRsForWavesPerEU: 4
; NumVGPRsForWavesPerEU: 1
; AccumOffset: 4
; Occupancy: 8
; WaveLimiterHint : 0
; COMPUTE_PGM_RSRC2:SCRATCH_EN: 0
; COMPUTE_PGM_RSRC2:USER_SGPR: 6
; COMPUTE_PGM_RSRC2:TRAP_HANDLER: 0
; COMPUTE_PGM_RSRC2:TGID_X_EN: 1
; COMPUTE_PGM_RSRC2:TGID_Y_EN: 0
; COMPUTE_PGM_RSRC2:TGID_Z_EN: 0
; COMPUTE_PGM_RSRC2:TIDIG_COMP_CNT: 0
; COMPUTE_PGM_RSRC3_GFX90A:ACCUM_OFFSET: 0
; COMPUTE_PGM_RSRC3_GFX90A:TG_SPLIT: 0
	.section	.text._ZN7rocprim17ROCPRIM_400000_NS6detail17trampoline_kernelINS0_14default_configENS1_35radix_sort_onesweep_config_selectorIyNS0_10empty_typeEEEZZNS1_29radix_sort_onesweep_iterationIS3_Lb1EPyS8_PS5_S9_mNS0_19identity_decomposerENS1_16block_id_wrapperIjLb1EEEEE10hipError_tT1_PNSt15iterator_traitsISE_E10value_typeET2_T3_PNSF_ISK_E10value_typeET4_T5_PSP_SQ_PNS1_23onesweep_lookback_stateEbbT6_jjT7_P12ihipStream_tbENKUlT_T0_SE_SJ_E_clIS8_S8_S9_S9_EEDaSX_SY_SE_SJ_EUlSX_E_NS1_11comp_targetILNS1_3genE10ELNS1_11target_archE1201ELNS1_3gpuE5ELNS1_3repE0EEENS1_47radix_sort_onesweep_sort_config_static_selectorELNS0_4arch9wavefront6targetE1EEEvSE_,"axG",@progbits,_ZN7rocprim17ROCPRIM_400000_NS6detail17trampoline_kernelINS0_14default_configENS1_35radix_sort_onesweep_config_selectorIyNS0_10empty_typeEEEZZNS1_29radix_sort_onesweep_iterationIS3_Lb1EPyS8_PS5_S9_mNS0_19identity_decomposerENS1_16block_id_wrapperIjLb1EEEEE10hipError_tT1_PNSt15iterator_traitsISE_E10value_typeET2_T3_PNSF_ISK_E10value_typeET4_T5_PSP_SQ_PNS1_23onesweep_lookback_stateEbbT6_jjT7_P12ihipStream_tbENKUlT_T0_SE_SJ_E_clIS8_S8_S9_S9_EEDaSX_SY_SE_SJ_EUlSX_E_NS1_11comp_targetILNS1_3genE10ELNS1_11target_archE1201ELNS1_3gpuE5ELNS1_3repE0EEENS1_47radix_sort_onesweep_sort_config_static_selectorELNS0_4arch9wavefront6targetE1EEEvSE_,comdat
	.protected	_ZN7rocprim17ROCPRIM_400000_NS6detail17trampoline_kernelINS0_14default_configENS1_35radix_sort_onesweep_config_selectorIyNS0_10empty_typeEEEZZNS1_29radix_sort_onesweep_iterationIS3_Lb1EPyS8_PS5_S9_mNS0_19identity_decomposerENS1_16block_id_wrapperIjLb1EEEEE10hipError_tT1_PNSt15iterator_traitsISE_E10value_typeET2_T3_PNSF_ISK_E10value_typeET4_T5_PSP_SQ_PNS1_23onesweep_lookback_stateEbbT6_jjT7_P12ihipStream_tbENKUlT_T0_SE_SJ_E_clIS8_S8_S9_S9_EEDaSX_SY_SE_SJ_EUlSX_E_NS1_11comp_targetILNS1_3genE10ELNS1_11target_archE1201ELNS1_3gpuE5ELNS1_3repE0EEENS1_47radix_sort_onesweep_sort_config_static_selectorELNS0_4arch9wavefront6targetE1EEEvSE_ ; -- Begin function _ZN7rocprim17ROCPRIM_400000_NS6detail17trampoline_kernelINS0_14default_configENS1_35radix_sort_onesweep_config_selectorIyNS0_10empty_typeEEEZZNS1_29radix_sort_onesweep_iterationIS3_Lb1EPyS8_PS5_S9_mNS0_19identity_decomposerENS1_16block_id_wrapperIjLb1EEEEE10hipError_tT1_PNSt15iterator_traitsISE_E10value_typeET2_T3_PNSF_ISK_E10value_typeET4_T5_PSP_SQ_PNS1_23onesweep_lookback_stateEbbT6_jjT7_P12ihipStream_tbENKUlT_T0_SE_SJ_E_clIS8_S8_S9_S9_EEDaSX_SY_SE_SJ_EUlSX_E_NS1_11comp_targetILNS1_3genE10ELNS1_11target_archE1201ELNS1_3gpuE5ELNS1_3repE0EEENS1_47radix_sort_onesweep_sort_config_static_selectorELNS0_4arch9wavefront6targetE1EEEvSE_
	.globl	_ZN7rocprim17ROCPRIM_400000_NS6detail17trampoline_kernelINS0_14default_configENS1_35radix_sort_onesweep_config_selectorIyNS0_10empty_typeEEEZZNS1_29radix_sort_onesweep_iterationIS3_Lb1EPyS8_PS5_S9_mNS0_19identity_decomposerENS1_16block_id_wrapperIjLb1EEEEE10hipError_tT1_PNSt15iterator_traitsISE_E10value_typeET2_T3_PNSF_ISK_E10value_typeET4_T5_PSP_SQ_PNS1_23onesweep_lookback_stateEbbT6_jjT7_P12ihipStream_tbENKUlT_T0_SE_SJ_E_clIS8_S8_S9_S9_EEDaSX_SY_SE_SJ_EUlSX_E_NS1_11comp_targetILNS1_3genE10ELNS1_11target_archE1201ELNS1_3gpuE5ELNS1_3repE0EEENS1_47radix_sort_onesweep_sort_config_static_selectorELNS0_4arch9wavefront6targetE1EEEvSE_
	.p2align	8
	.type	_ZN7rocprim17ROCPRIM_400000_NS6detail17trampoline_kernelINS0_14default_configENS1_35radix_sort_onesweep_config_selectorIyNS0_10empty_typeEEEZZNS1_29radix_sort_onesweep_iterationIS3_Lb1EPyS8_PS5_S9_mNS0_19identity_decomposerENS1_16block_id_wrapperIjLb1EEEEE10hipError_tT1_PNSt15iterator_traitsISE_E10value_typeET2_T3_PNSF_ISK_E10value_typeET4_T5_PSP_SQ_PNS1_23onesweep_lookback_stateEbbT6_jjT7_P12ihipStream_tbENKUlT_T0_SE_SJ_E_clIS8_S8_S9_S9_EEDaSX_SY_SE_SJ_EUlSX_E_NS1_11comp_targetILNS1_3genE10ELNS1_11target_archE1201ELNS1_3gpuE5ELNS1_3repE0EEENS1_47radix_sort_onesweep_sort_config_static_selectorELNS0_4arch9wavefront6targetE1EEEvSE_,@function
_ZN7rocprim17ROCPRIM_400000_NS6detail17trampoline_kernelINS0_14default_configENS1_35radix_sort_onesweep_config_selectorIyNS0_10empty_typeEEEZZNS1_29radix_sort_onesweep_iterationIS3_Lb1EPyS8_PS5_S9_mNS0_19identity_decomposerENS1_16block_id_wrapperIjLb1EEEEE10hipError_tT1_PNSt15iterator_traitsISE_E10value_typeET2_T3_PNSF_ISK_E10value_typeET4_T5_PSP_SQ_PNS1_23onesweep_lookback_stateEbbT6_jjT7_P12ihipStream_tbENKUlT_T0_SE_SJ_E_clIS8_S8_S9_S9_EEDaSX_SY_SE_SJ_EUlSX_E_NS1_11comp_targetILNS1_3genE10ELNS1_11target_archE1201ELNS1_3gpuE5ELNS1_3repE0EEENS1_47radix_sort_onesweep_sort_config_static_selectorELNS0_4arch9wavefront6targetE1EEEvSE_: ; @_ZN7rocprim17ROCPRIM_400000_NS6detail17trampoline_kernelINS0_14default_configENS1_35radix_sort_onesweep_config_selectorIyNS0_10empty_typeEEEZZNS1_29radix_sort_onesweep_iterationIS3_Lb1EPyS8_PS5_S9_mNS0_19identity_decomposerENS1_16block_id_wrapperIjLb1EEEEE10hipError_tT1_PNSt15iterator_traitsISE_E10value_typeET2_T3_PNSF_ISK_E10value_typeET4_T5_PSP_SQ_PNS1_23onesweep_lookback_stateEbbT6_jjT7_P12ihipStream_tbENKUlT_T0_SE_SJ_E_clIS8_S8_S9_S9_EEDaSX_SY_SE_SJ_EUlSX_E_NS1_11comp_targetILNS1_3genE10ELNS1_11target_archE1201ELNS1_3gpuE5ELNS1_3repE0EEENS1_47radix_sort_onesweep_sort_config_static_selectorELNS0_4arch9wavefront6targetE1EEEvSE_
; %bb.0:
	.section	.rodata,"a",@progbits
	.p2align	6, 0x0
	.amdhsa_kernel _ZN7rocprim17ROCPRIM_400000_NS6detail17trampoline_kernelINS0_14default_configENS1_35radix_sort_onesweep_config_selectorIyNS0_10empty_typeEEEZZNS1_29radix_sort_onesweep_iterationIS3_Lb1EPyS8_PS5_S9_mNS0_19identity_decomposerENS1_16block_id_wrapperIjLb1EEEEE10hipError_tT1_PNSt15iterator_traitsISE_E10value_typeET2_T3_PNSF_ISK_E10value_typeET4_T5_PSP_SQ_PNS1_23onesweep_lookback_stateEbbT6_jjT7_P12ihipStream_tbENKUlT_T0_SE_SJ_E_clIS8_S8_S9_S9_EEDaSX_SY_SE_SJ_EUlSX_E_NS1_11comp_targetILNS1_3genE10ELNS1_11target_archE1201ELNS1_3gpuE5ELNS1_3repE0EEENS1_47radix_sort_onesweep_sort_config_static_selectorELNS0_4arch9wavefront6targetE1EEEvSE_
		.amdhsa_group_segment_fixed_size 0
		.amdhsa_private_segment_fixed_size 0
		.amdhsa_kernarg_size 88
		.amdhsa_user_sgpr_count 6
		.amdhsa_user_sgpr_private_segment_buffer 1
		.amdhsa_user_sgpr_dispatch_ptr 0
		.amdhsa_user_sgpr_queue_ptr 0
		.amdhsa_user_sgpr_kernarg_segment_ptr 1
		.amdhsa_user_sgpr_dispatch_id 0
		.amdhsa_user_sgpr_flat_scratch_init 0
		.amdhsa_user_sgpr_kernarg_preload_length 0
		.amdhsa_user_sgpr_kernarg_preload_offset 0
		.amdhsa_user_sgpr_private_segment_size 0
		.amdhsa_uses_dynamic_stack 0
		.amdhsa_system_sgpr_private_segment_wavefront_offset 0
		.amdhsa_system_sgpr_workgroup_id_x 1
		.amdhsa_system_sgpr_workgroup_id_y 0
		.amdhsa_system_sgpr_workgroup_id_z 0
		.amdhsa_system_sgpr_workgroup_info 0
		.amdhsa_system_vgpr_workitem_id 0
		.amdhsa_next_free_vgpr 1
		.amdhsa_next_free_sgpr 0
		.amdhsa_accum_offset 4
		.amdhsa_reserve_vcc 0
		.amdhsa_reserve_flat_scratch 0
		.amdhsa_float_round_mode_32 0
		.amdhsa_float_round_mode_16_64 0
		.amdhsa_float_denorm_mode_32 3
		.amdhsa_float_denorm_mode_16_64 3
		.amdhsa_dx10_clamp 1
		.amdhsa_ieee_mode 1
		.amdhsa_fp16_overflow 0
		.amdhsa_tg_split 0
		.amdhsa_exception_fp_ieee_invalid_op 0
		.amdhsa_exception_fp_denorm_src 0
		.amdhsa_exception_fp_ieee_div_zero 0
		.amdhsa_exception_fp_ieee_overflow 0
		.amdhsa_exception_fp_ieee_underflow 0
		.amdhsa_exception_fp_ieee_inexact 0
		.amdhsa_exception_int_div_zero 0
	.end_amdhsa_kernel
	.section	.text._ZN7rocprim17ROCPRIM_400000_NS6detail17trampoline_kernelINS0_14default_configENS1_35radix_sort_onesweep_config_selectorIyNS0_10empty_typeEEEZZNS1_29radix_sort_onesweep_iterationIS3_Lb1EPyS8_PS5_S9_mNS0_19identity_decomposerENS1_16block_id_wrapperIjLb1EEEEE10hipError_tT1_PNSt15iterator_traitsISE_E10value_typeET2_T3_PNSF_ISK_E10value_typeET4_T5_PSP_SQ_PNS1_23onesweep_lookback_stateEbbT6_jjT7_P12ihipStream_tbENKUlT_T0_SE_SJ_E_clIS8_S8_S9_S9_EEDaSX_SY_SE_SJ_EUlSX_E_NS1_11comp_targetILNS1_3genE10ELNS1_11target_archE1201ELNS1_3gpuE5ELNS1_3repE0EEENS1_47radix_sort_onesweep_sort_config_static_selectorELNS0_4arch9wavefront6targetE1EEEvSE_,"axG",@progbits,_ZN7rocprim17ROCPRIM_400000_NS6detail17trampoline_kernelINS0_14default_configENS1_35radix_sort_onesweep_config_selectorIyNS0_10empty_typeEEEZZNS1_29radix_sort_onesweep_iterationIS3_Lb1EPyS8_PS5_S9_mNS0_19identity_decomposerENS1_16block_id_wrapperIjLb1EEEEE10hipError_tT1_PNSt15iterator_traitsISE_E10value_typeET2_T3_PNSF_ISK_E10value_typeET4_T5_PSP_SQ_PNS1_23onesweep_lookback_stateEbbT6_jjT7_P12ihipStream_tbENKUlT_T0_SE_SJ_E_clIS8_S8_S9_S9_EEDaSX_SY_SE_SJ_EUlSX_E_NS1_11comp_targetILNS1_3genE10ELNS1_11target_archE1201ELNS1_3gpuE5ELNS1_3repE0EEENS1_47radix_sort_onesweep_sort_config_static_selectorELNS0_4arch9wavefront6targetE1EEEvSE_,comdat
.Lfunc_end2483:
	.size	_ZN7rocprim17ROCPRIM_400000_NS6detail17trampoline_kernelINS0_14default_configENS1_35radix_sort_onesweep_config_selectorIyNS0_10empty_typeEEEZZNS1_29radix_sort_onesweep_iterationIS3_Lb1EPyS8_PS5_S9_mNS0_19identity_decomposerENS1_16block_id_wrapperIjLb1EEEEE10hipError_tT1_PNSt15iterator_traitsISE_E10value_typeET2_T3_PNSF_ISK_E10value_typeET4_T5_PSP_SQ_PNS1_23onesweep_lookback_stateEbbT6_jjT7_P12ihipStream_tbENKUlT_T0_SE_SJ_E_clIS8_S8_S9_S9_EEDaSX_SY_SE_SJ_EUlSX_E_NS1_11comp_targetILNS1_3genE10ELNS1_11target_archE1201ELNS1_3gpuE5ELNS1_3repE0EEENS1_47radix_sort_onesweep_sort_config_static_selectorELNS0_4arch9wavefront6targetE1EEEvSE_, .Lfunc_end2483-_ZN7rocprim17ROCPRIM_400000_NS6detail17trampoline_kernelINS0_14default_configENS1_35radix_sort_onesweep_config_selectorIyNS0_10empty_typeEEEZZNS1_29radix_sort_onesweep_iterationIS3_Lb1EPyS8_PS5_S9_mNS0_19identity_decomposerENS1_16block_id_wrapperIjLb1EEEEE10hipError_tT1_PNSt15iterator_traitsISE_E10value_typeET2_T3_PNSF_ISK_E10value_typeET4_T5_PSP_SQ_PNS1_23onesweep_lookback_stateEbbT6_jjT7_P12ihipStream_tbENKUlT_T0_SE_SJ_E_clIS8_S8_S9_S9_EEDaSX_SY_SE_SJ_EUlSX_E_NS1_11comp_targetILNS1_3genE10ELNS1_11target_archE1201ELNS1_3gpuE5ELNS1_3repE0EEENS1_47radix_sort_onesweep_sort_config_static_selectorELNS0_4arch9wavefront6targetE1EEEvSE_
                                        ; -- End function
	.section	.AMDGPU.csdata,"",@progbits
; Kernel info:
; codeLenInByte = 0
; NumSgprs: 4
; NumVgprs: 0
; NumAgprs: 0
; TotalNumVgprs: 0
; ScratchSize: 0
; MemoryBound: 0
; FloatMode: 240
; IeeeMode: 1
; LDSByteSize: 0 bytes/workgroup (compile time only)
; SGPRBlocks: 0
; VGPRBlocks: 0
; NumSGPRsForWavesPerEU: 4
; NumVGPRsForWavesPerEU: 1
; AccumOffset: 4
; Occupancy: 8
; WaveLimiterHint : 0
; COMPUTE_PGM_RSRC2:SCRATCH_EN: 0
; COMPUTE_PGM_RSRC2:USER_SGPR: 6
; COMPUTE_PGM_RSRC2:TRAP_HANDLER: 0
; COMPUTE_PGM_RSRC2:TGID_X_EN: 1
; COMPUTE_PGM_RSRC2:TGID_Y_EN: 0
; COMPUTE_PGM_RSRC2:TGID_Z_EN: 0
; COMPUTE_PGM_RSRC2:TIDIG_COMP_CNT: 0
; COMPUTE_PGM_RSRC3_GFX90A:ACCUM_OFFSET: 0
; COMPUTE_PGM_RSRC3_GFX90A:TG_SPLIT: 0
	.section	.text._ZN7rocprim17ROCPRIM_400000_NS6detail17trampoline_kernelINS0_14default_configENS1_35radix_sort_onesweep_config_selectorIyNS0_10empty_typeEEEZZNS1_29radix_sort_onesweep_iterationIS3_Lb1EPyS8_PS5_S9_mNS0_19identity_decomposerENS1_16block_id_wrapperIjLb1EEEEE10hipError_tT1_PNSt15iterator_traitsISE_E10value_typeET2_T3_PNSF_ISK_E10value_typeET4_T5_PSP_SQ_PNS1_23onesweep_lookback_stateEbbT6_jjT7_P12ihipStream_tbENKUlT_T0_SE_SJ_E_clIS8_S8_S9_S9_EEDaSX_SY_SE_SJ_EUlSX_E_NS1_11comp_targetILNS1_3genE9ELNS1_11target_archE1100ELNS1_3gpuE3ELNS1_3repE0EEENS1_47radix_sort_onesweep_sort_config_static_selectorELNS0_4arch9wavefront6targetE1EEEvSE_,"axG",@progbits,_ZN7rocprim17ROCPRIM_400000_NS6detail17trampoline_kernelINS0_14default_configENS1_35radix_sort_onesweep_config_selectorIyNS0_10empty_typeEEEZZNS1_29radix_sort_onesweep_iterationIS3_Lb1EPyS8_PS5_S9_mNS0_19identity_decomposerENS1_16block_id_wrapperIjLb1EEEEE10hipError_tT1_PNSt15iterator_traitsISE_E10value_typeET2_T3_PNSF_ISK_E10value_typeET4_T5_PSP_SQ_PNS1_23onesweep_lookback_stateEbbT6_jjT7_P12ihipStream_tbENKUlT_T0_SE_SJ_E_clIS8_S8_S9_S9_EEDaSX_SY_SE_SJ_EUlSX_E_NS1_11comp_targetILNS1_3genE9ELNS1_11target_archE1100ELNS1_3gpuE3ELNS1_3repE0EEENS1_47radix_sort_onesweep_sort_config_static_selectorELNS0_4arch9wavefront6targetE1EEEvSE_,comdat
	.protected	_ZN7rocprim17ROCPRIM_400000_NS6detail17trampoline_kernelINS0_14default_configENS1_35radix_sort_onesweep_config_selectorIyNS0_10empty_typeEEEZZNS1_29radix_sort_onesweep_iterationIS3_Lb1EPyS8_PS5_S9_mNS0_19identity_decomposerENS1_16block_id_wrapperIjLb1EEEEE10hipError_tT1_PNSt15iterator_traitsISE_E10value_typeET2_T3_PNSF_ISK_E10value_typeET4_T5_PSP_SQ_PNS1_23onesweep_lookback_stateEbbT6_jjT7_P12ihipStream_tbENKUlT_T0_SE_SJ_E_clIS8_S8_S9_S9_EEDaSX_SY_SE_SJ_EUlSX_E_NS1_11comp_targetILNS1_3genE9ELNS1_11target_archE1100ELNS1_3gpuE3ELNS1_3repE0EEENS1_47radix_sort_onesweep_sort_config_static_selectorELNS0_4arch9wavefront6targetE1EEEvSE_ ; -- Begin function _ZN7rocprim17ROCPRIM_400000_NS6detail17trampoline_kernelINS0_14default_configENS1_35radix_sort_onesweep_config_selectorIyNS0_10empty_typeEEEZZNS1_29radix_sort_onesweep_iterationIS3_Lb1EPyS8_PS5_S9_mNS0_19identity_decomposerENS1_16block_id_wrapperIjLb1EEEEE10hipError_tT1_PNSt15iterator_traitsISE_E10value_typeET2_T3_PNSF_ISK_E10value_typeET4_T5_PSP_SQ_PNS1_23onesweep_lookback_stateEbbT6_jjT7_P12ihipStream_tbENKUlT_T0_SE_SJ_E_clIS8_S8_S9_S9_EEDaSX_SY_SE_SJ_EUlSX_E_NS1_11comp_targetILNS1_3genE9ELNS1_11target_archE1100ELNS1_3gpuE3ELNS1_3repE0EEENS1_47radix_sort_onesweep_sort_config_static_selectorELNS0_4arch9wavefront6targetE1EEEvSE_
	.globl	_ZN7rocprim17ROCPRIM_400000_NS6detail17trampoline_kernelINS0_14default_configENS1_35radix_sort_onesweep_config_selectorIyNS0_10empty_typeEEEZZNS1_29radix_sort_onesweep_iterationIS3_Lb1EPyS8_PS5_S9_mNS0_19identity_decomposerENS1_16block_id_wrapperIjLb1EEEEE10hipError_tT1_PNSt15iterator_traitsISE_E10value_typeET2_T3_PNSF_ISK_E10value_typeET4_T5_PSP_SQ_PNS1_23onesweep_lookback_stateEbbT6_jjT7_P12ihipStream_tbENKUlT_T0_SE_SJ_E_clIS8_S8_S9_S9_EEDaSX_SY_SE_SJ_EUlSX_E_NS1_11comp_targetILNS1_3genE9ELNS1_11target_archE1100ELNS1_3gpuE3ELNS1_3repE0EEENS1_47radix_sort_onesweep_sort_config_static_selectorELNS0_4arch9wavefront6targetE1EEEvSE_
	.p2align	8
	.type	_ZN7rocprim17ROCPRIM_400000_NS6detail17trampoline_kernelINS0_14default_configENS1_35radix_sort_onesweep_config_selectorIyNS0_10empty_typeEEEZZNS1_29radix_sort_onesweep_iterationIS3_Lb1EPyS8_PS5_S9_mNS0_19identity_decomposerENS1_16block_id_wrapperIjLb1EEEEE10hipError_tT1_PNSt15iterator_traitsISE_E10value_typeET2_T3_PNSF_ISK_E10value_typeET4_T5_PSP_SQ_PNS1_23onesweep_lookback_stateEbbT6_jjT7_P12ihipStream_tbENKUlT_T0_SE_SJ_E_clIS8_S8_S9_S9_EEDaSX_SY_SE_SJ_EUlSX_E_NS1_11comp_targetILNS1_3genE9ELNS1_11target_archE1100ELNS1_3gpuE3ELNS1_3repE0EEENS1_47radix_sort_onesweep_sort_config_static_selectorELNS0_4arch9wavefront6targetE1EEEvSE_,@function
_ZN7rocprim17ROCPRIM_400000_NS6detail17trampoline_kernelINS0_14default_configENS1_35radix_sort_onesweep_config_selectorIyNS0_10empty_typeEEEZZNS1_29radix_sort_onesweep_iterationIS3_Lb1EPyS8_PS5_S9_mNS0_19identity_decomposerENS1_16block_id_wrapperIjLb1EEEEE10hipError_tT1_PNSt15iterator_traitsISE_E10value_typeET2_T3_PNSF_ISK_E10value_typeET4_T5_PSP_SQ_PNS1_23onesweep_lookback_stateEbbT6_jjT7_P12ihipStream_tbENKUlT_T0_SE_SJ_E_clIS8_S8_S9_S9_EEDaSX_SY_SE_SJ_EUlSX_E_NS1_11comp_targetILNS1_3genE9ELNS1_11target_archE1100ELNS1_3gpuE3ELNS1_3repE0EEENS1_47radix_sort_onesweep_sort_config_static_selectorELNS0_4arch9wavefront6targetE1EEEvSE_: ; @_ZN7rocprim17ROCPRIM_400000_NS6detail17trampoline_kernelINS0_14default_configENS1_35radix_sort_onesweep_config_selectorIyNS0_10empty_typeEEEZZNS1_29radix_sort_onesweep_iterationIS3_Lb1EPyS8_PS5_S9_mNS0_19identity_decomposerENS1_16block_id_wrapperIjLb1EEEEE10hipError_tT1_PNSt15iterator_traitsISE_E10value_typeET2_T3_PNSF_ISK_E10value_typeET4_T5_PSP_SQ_PNS1_23onesweep_lookback_stateEbbT6_jjT7_P12ihipStream_tbENKUlT_T0_SE_SJ_E_clIS8_S8_S9_S9_EEDaSX_SY_SE_SJ_EUlSX_E_NS1_11comp_targetILNS1_3genE9ELNS1_11target_archE1100ELNS1_3gpuE3ELNS1_3repE0EEENS1_47radix_sort_onesweep_sort_config_static_selectorELNS0_4arch9wavefront6targetE1EEEvSE_
; %bb.0:
	.section	.rodata,"a",@progbits
	.p2align	6, 0x0
	.amdhsa_kernel _ZN7rocprim17ROCPRIM_400000_NS6detail17trampoline_kernelINS0_14default_configENS1_35radix_sort_onesweep_config_selectorIyNS0_10empty_typeEEEZZNS1_29radix_sort_onesweep_iterationIS3_Lb1EPyS8_PS5_S9_mNS0_19identity_decomposerENS1_16block_id_wrapperIjLb1EEEEE10hipError_tT1_PNSt15iterator_traitsISE_E10value_typeET2_T3_PNSF_ISK_E10value_typeET4_T5_PSP_SQ_PNS1_23onesweep_lookback_stateEbbT6_jjT7_P12ihipStream_tbENKUlT_T0_SE_SJ_E_clIS8_S8_S9_S9_EEDaSX_SY_SE_SJ_EUlSX_E_NS1_11comp_targetILNS1_3genE9ELNS1_11target_archE1100ELNS1_3gpuE3ELNS1_3repE0EEENS1_47radix_sort_onesweep_sort_config_static_selectorELNS0_4arch9wavefront6targetE1EEEvSE_
		.amdhsa_group_segment_fixed_size 0
		.amdhsa_private_segment_fixed_size 0
		.amdhsa_kernarg_size 88
		.amdhsa_user_sgpr_count 6
		.amdhsa_user_sgpr_private_segment_buffer 1
		.amdhsa_user_sgpr_dispatch_ptr 0
		.amdhsa_user_sgpr_queue_ptr 0
		.amdhsa_user_sgpr_kernarg_segment_ptr 1
		.amdhsa_user_sgpr_dispatch_id 0
		.amdhsa_user_sgpr_flat_scratch_init 0
		.amdhsa_user_sgpr_kernarg_preload_length 0
		.amdhsa_user_sgpr_kernarg_preload_offset 0
		.amdhsa_user_sgpr_private_segment_size 0
		.amdhsa_uses_dynamic_stack 0
		.amdhsa_system_sgpr_private_segment_wavefront_offset 0
		.amdhsa_system_sgpr_workgroup_id_x 1
		.amdhsa_system_sgpr_workgroup_id_y 0
		.amdhsa_system_sgpr_workgroup_id_z 0
		.amdhsa_system_sgpr_workgroup_info 0
		.amdhsa_system_vgpr_workitem_id 0
		.amdhsa_next_free_vgpr 1
		.amdhsa_next_free_sgpr 0
		.amdhsa_accum_offset 4
		.amdhsa_reserve_vcc 0
		.amdhsa_reserve_flat_scratch 0
		.amdhsa_float_round_mode_32 0
		.amdhsa_float_round_mode_16_64 0
		.amdhsa_float_denorm_mode_32 3
		.amdhsa_float_denorm_mode_16_64 3
		.amdhsa_dx10_clamp 1
		.amdhsa_ieee_mode 1
		.amdhsa_fp16_overflow 0
		.amdhsa_tg_split 0
		.amdhsa_exception_fp_ieee_invalid_op 0
		.amdhsa_exception_fp_denorm_src 0
		.amdhsa_exception_fp_ieee_div_zero 0
		.amdhsa_exception_fp_ieee_overflow 0
		.amdhsa_exception_fp_ieee_underflow 0
		.amdhsa_exception_fp_ieee_inexact 0
		.amdhsa_exception_int_div_zero 0
	.end_amdhsa_kernel
	.section	.text._ZN7rocprim17ROCPRIM_400000_NS6detail17trampoline_kernelINS0_14default_configENS1_35radix_sort_onesweep_config_selectorIyNS0_10empty_typeEEEZZNS1_29radix_sort_onesweep_iterationIS3_Lb1EPyS8_PS5_S9_mNS0_19identity_decomposerENS1_16block_id_wrapperIjLb1EEEEE10hipError_tT1_PNSt15iterator_traitsISE_E10value_typeET2_T3_PNSF_ISK_E10value_typeET4_T5_PSP_SQ_PNS1_23onesweep_lookback_stateEbbT6_jjT7_P12ihipStream_tbENKUlT_T0_SE_SJ_E_clIS8_S8_S9_S9_EEDaSX_SY_SE_SJ_EUlSX_E_NS1_11comp_targetILNS1_3genE9ELNS1_11target_archE1100ELNS1_3gpuE3ELNS1_3repE0EEENS1_47radix_sort_onesweep_sort_config_static_selectorELNS0_4arch9wavefront6targetE1EEEvSE_,"axG",@progbits,_ZN7rocprim17ROCPRIM_400000_NS6detail17trampoline_kernelINS0_14default_configENS1_35radix_sort_onesweep_config_selectorIyNS0_10empty_typeEEEZZNS1_29radix_sort_onesweep_iterationIS3_Lb1EPyS8_PS5_S9_mNS0_19identity_decomposerENS1_16block_id_wrapperIjLb1EEEEE10hipError_tT1_PNSt15iterator_traitsISE_E10value_typeET2_T3_PNSF_ISK_E10value_typeET4_T5_PSP_SQ_PNS1_23onesweep_lookback_stateEbbT6_jjT7_P12ihipStream_tbENKUlT_T0_SE_SJ_E_clIS8_S8_S9_S9_EEDaSX_SY_SE_SJ_EUlSX_E_NS1_11comp_targetILNS1_3genE9ELNS1_11target_archE1100ELNS1_3gpuE3ELNS1_3repE0EEENS1_47radix_sort_onesweep_sort_config_static_selectorELNS0_4arch9wavefront6targetE1EEEvSE_,comdat
.Lfunc_end2484:
	.size	_ZN7rocprim17ROCPRIM_400000_NS6detail17trampoline_kernelINS0_14default_configENS1_35radix_sort_onesweep_config_selectorIyNS0_10empty_typeEEEZZNS1_29radix_sort_onesweep_iterationIS3_Lb1EPyS8_PS5_S9_mNS0_19identity_decomposerENS1_16block_id_wrapperIjLb1EEEEE10hipError_tT1_PNSt15iterator_traitsISE_E10value_typeET2_T3_PNSF_ISK_E10value_typeET4_T5_PSP_SQ_PNS1_23onesweep_lookback_stateEbbT6_jjT7_P12ihipStream_tbENKUlT_T0_SE_SJ_E_clIS8_S8_S9_S9_EEDaSX_SY_SE_SJ_EUlSX_E_NS1_11comp_targetILNS1_3genE9ELNS1_11target_archE1100ELNS1_3gpuE3ELNS1_3repE0EEENS1_47radix_sort_onesweep_sort_config_static_selectorELNS0_4arch9wavefront6targetE1EEEvSE_, .Lfunc_end2484-_ZN7rocprim17ROCPRIM_400000_NS6detail17trampoline_kernelINS0_14default_configENS1_35radix_sort_onesweep_config_selectorIyNS0_10empty_typeEEEZZNS1_29radix_sort_onesweep_iterationIS3_Lb1EPyS8_PS5_S9_mNS0_19identity_decomposerENS1_16block_id_wrapperIjLb1EEEEE10hipError_tT1_PNSt15iterator_traitsISE_E10value_typeET2_T3_PNSF_ISK_E10value_typeET4_T5_PSP_SQ_PNS1_23onesweep_lookback_stateEbbT6_jjT7_P12ihipStream_tbENKUlT_T0_SE_SJ_E_clIS8_S8_S9_S9_EEDaSX_SY_SE_SJ_EUlSX_E_NS1_11comp_targetILNS1_3genE9ELNS1_11target_archE1100ELNS1_3gpuE3ELNS1_3repE0EEENS1_47radix_sort_onesweep_sort_config_static_selectorELNS0_4arch9wavefront6targetE1EEEvSE_
                                        ; -- End function
	.section	.AMDGPU.csdata,"",@progbits
; Kernel info:
; codeLenInByte = 0
; NumSgprs: 4
; NumVgprs: 0
; NumAgprs: 0
; TotalNumVgprs: 0
; ScratchSize: 0
; MemoryBound: 0
; FloatMode: 240
; IeeeMode: 1
; LDSByteSize: 0 bytes/workgroup (compile time only)
; SGPRBlocks: 0
; VGPRBlocks: 0
; NumSGPRsForWavesPerEU: 4
; NumVGPRsForWavesPerEU: 1
; AccumOffset: 4
; Occupancy: 8
; WaveLimiterHint : 0
; COMPUTE_PGM_RSRC2:SCRATCH_EN: 0
; COMPUTE_PGM_RSRC2:USER_SGPR: 6
; COMPUTE_PGM_RSRC2:TRAP_HANDLER: 0
; COMPUTE_PGM_RSRC2:TGID_X_EN: 1
; COMPUTE_PGM_RSRC2:TGID_Y_EN: 0
; COMPUTE_PGM_RSRC2:TGID_Z_EN: 0
; COMPUTE_PGM_RSRC2:TIDIG_COMP_CNT: 0
; COMPUTE_PGM_RSRC3_GFX90A:ACCUM_OFFSET: 0
; COMPUTE_PGM_RSRC3_GFX90A:TG_SPLIT: 0
	.section	.text._ZN7rocprim17ROCPRIM_400000_NS6detail17trampoline_kernelINS0_14default_configENS1_35radix_sort_onesweep_config_selectorIyNS0_10empty_typeEEEZZNS1_29radix_sort_onesweep_iterationIS3_Lb1EPyS8_PS5_S9_mNS0_19identity_decomposerENS1_16block_id_wrapperIjLb1EEEEE10hipError_tT1_PNSt15iterator_traitsISE_E10value_typeET2_T3_PNSF_ISK_E10value_typeET4_T5_PSP_SQ_PNS1_23onesweep_lookback_stateEbbT6_jjT7_P12ihipStream_tbENKUlT_T0_SE_SJ_E_clIS8_S8_S9_S9_EEDaSX_SY_SE_SJ_EUlSX_E_NS1_11comp_targetILNS1_3genE8ELNS1_11target_archE1030ELNS1_3gpuE2ELNS1_3repE0EEENS1_47radix_sort_onesweep_sort_config_static_selectorELNS0_4arch9wavefront6targetE1EEEvSE_,"axG",@progbits,_ZN7rocprim17ROCPRIM_400000_NS6detail17trampoline_kernelINS0_14default_configENS1_35radix_sort_onesweep_config_selectorIyNS0_10empty_typeEEEZZNS1_29radix_sort_onesweep_iterationIS3_Lb1EPyS8_PS5_S9_mNS0_19identity_decomposerENS1_16block_id_wrapperIjLb1EEEEE10hipError_tT1_PNSt15iterator_traitsISE_E10value_typeET2_T3_PNSF_ISK_E10value_typeET4_T5_PSP_SQ_PNS1_23onesweep_lookback_stateEbbT6_jjT7_P12ihipStream_tbENKUlT_T0_SE_SJ_E_clIS8_S8_S9_S9_EEDaSX_SY_SE_SJ_EUlSX_E_NS1_11comp_targetILNS1_3genE8ELNS1_11target_archE1030ELNS1_3gpuE2ELNS1_3repE0EEENS1_47radix_sort_onesweep_sort_config_static_selectorELNS0_4arch9wavefront6targetE1EEEvSE_,comdat
	.protected	_ZN7rocprim17ROCPRIM_400000_NS6detail17trampoline_kernelINS0_14default_configENS1_35radix_sort_onesweep_config_selectorIyNS0_10empty_typeEEEZZNS1_29radix_sort_onesweep_iterationIS3_Lb1EPyS8_PS5_S9_mNS0_19identity_decomposerENS1_16block_id_wrapperIjLb1EEEEE10hipError_tT1_PNSt15iterator_traitsISE_E10value_typeET2_T3_PNSF_ISK_E10value_typeET4_T5_PSP_SQ_PNS1_23onesweep_lookback_stateEbbT6_jjT7_P12ihipStream_tbENKUlT_T0_SE_SJ_E_clIS8_S8_S9_S9_EEDaSX_SY_SE_SJ_EUlSX_E_NS1_11comp_targetILNS1_3genE8ELNS1_11target_archE1030ELNS1_3gpuE2ELNS1_3repE0EEENS1_47radix_sort_onesweep_sort_config_static_selectorELNS0_4arch9wavefront6targetE1EEEvSE_ ; -- Begin function _ZN7rocprim17ROCPRIM_400000_NS6detail17trampoline_kernelINS0_14default_configENS1_35radix_sort_onesweep_config_selectorIyNS0_10empty_typeEEEZZNS1_29radix_sort_onesweep_iterationIS3_Lb1EPyS8_PS5_S9_mNS0_19identity_decomposerENS1_16block_id_wrapperIjLb1EEEEE10hipError_tT1_PNSt15iterator_traitsISE_E10value_typeET2_T3_PNSF_ISK_E10value_typeET4_T5_PSP_SQ_PNS1_23onesweep_lookback_stateEbbT6_jjT7_P12ihipStream_tbENKUlT_T0_SE_SJ_E_clIS8_S8_S9_S9_EEDaSX_SY_SE_SJ_EUlSX_E_NS1_11comp_targetILNS1_3genE8ELNS1_11target_archE1030ELNS1_3gpuE2ELNS1_3repE0EEENS1_47radix_sort_onesweep_sort_config_static_selectorELNS0_4arch9wavefront6targetE1EEEvSE_
	.globl	_ZN7rocprim17ROCPRIM_400000_NS6detail17trampoline_kernelINS0_14default_configENS1_35radix_sort_onesweep_config_selectorIyNS0_10empty_typeEEEZZNS1_29radix_sort_onesweep_iterationIS3_Lb1EPyS8_PS5_S9_mNS0_19identity_decomposerENS1_16block_id_wrapperIjLb1EEEEE10hipError_tT1_PNSt15iterator_traitsISE_E10value_typeET2_T3_PNSF_ISK_E10value_typeET4_T5_PSP_SQ_PNS1_23onesweep_lookback_stateEbbT6_jjT7_P12ihipStream_tbENKUlT_T0_SE_SJ_E_clIS8_S8_S9_S9_EEDaSX_SY_SE_SJ_EUlSX_E_NS1_11comp_targetILNS1_3genE8ELNS1_11target_archE1030ELNS1_3gpuE2ELNS1_3repE0EEENS1_47radix_sort_onesweep_sort_config_static_selectorELNS0_4arch9wavefront6targetE1EEEvSE_
	.p2align	8
	.type	_ZN7rocprim17ROCPRIM_400000_NS6detail17trampoline_kernelINS0_14default_configENS1_35radix_sort_onesweep_config_selectorIyNS0_10empty_typeEEEZZNS1_29radix_sort_onesweep_iterationIS3_Lb1EPyS8_PS5_S9_mNS0_19identity_decomposerENS1_16block_id_wrapperIjLb1EEEEE10hipError_tT1_PNSt15iterator_traitsISE_E10value_typeET2_T3_PNSF_ISK_E10value_typeET4_T5_PSP_SQ_PNS1_23onesweep_lookback_stateEbbT6_jjT7_P12ihipStream_tbENKUlT_T0_SE_SJ_E_clIS8_S8_S9_S9_EEDaSX_SY_SE_SJ_EUlSX_E_NS1_11comp_targetILNS1_3genE8ELNS1_11target_archE1030ELNS1_3gpuE2ELNS1_3repE0EEENS1_47radix_sort_onesweep_sort_config_static_selectorELNS0_4arch9wavefront6targetE1EEEvSE_,@function
_ZN7rocprim17ROCPRIM_400000_NS6detail17trampoline_kernelINS0_14default_configENS1_35radix_sort_onesweep_config_selectorIyNS0_10empty_typeEEEZZNS1_29radix_sort_onesweep_iterationIS3_Lb1EPyS8_PS5_S9_mNS0_19identity_decomposerENS1_16block_id_wrapperIjLb1EEEEE10hipError_tT1_PNSt15iterator_traitsISE_E10value_typeET2_T3_PNSF_ISK_E10value_typeET4_T5_PSP_SQ_PNS1_23onesweep_lookback_stateEbbT6_jjT7_P12ihipStream_tbENKUlT_T0_SE_SJ_E_clIS8_S8_S9_S9_EEDaSX_SY_SE_SJ_EUlSX_E_NS1_11comp_targetILNS1_3genE8ELNS1_11target_archE1030ELNS1_3gpuE2ELNS1_3repE0EEENS1_47radix_sort_onesweep_sort_config_static_selectorELNS0_4arch9wavefront6targetE1EEEvSE_: ; @_ZN7rocprim17ROCPRIM_400000_NS6detail17trampoline_kernelINS0_14default_configENS1_35radix_sort_onesweep_config_selectorIyNS0_10empty_typeEEEZZNS1_29radix_sort_onesweep_iterationIS3_Lb1EPyS8_PS5_S9_mNS0_19identity_decomposerENS1_16block_id_wrapperIjLb1EEEEE10hipError_tT1_PNSt15iterator_traitsISE_E10value_typeET2_T3_PNSF_ISK_E10value_typeET4_T5_PSP_SQ_PNS1_23onesweep_lookback_stateEbbT6_jjT7_P12ihipStream_tbENKUlT_T0_SE_SJ_E_clIS8_S8_S9_S9_EEDaSX_SY_SE_SJ_EUlSX_E_NS1_11comp_targetILNS1_3genE8ELNS1_11target_archE1030ELNS1_3gpuE2ELNS1_3repE0EEENS1_47radix_sort_onesweep_sort_config_static_selectorELNS0_4arch9wavefront6targetE1EEEvSE_
; %bb.0:
	.section	.rodata,"a",@progbits
	.p2align	6, 0x0
	.amdhsa_kernel _ZN7rocprim17ROCPRIM_400000_NS6detail17trampoline_kernelINS0_14default_configENS1_35radix_sort_onesweep_config_selectorIyNS0_10empty_typeEEEZZNS1_29radix_sort_onesweep_iterationIS3_Lb1EPyS8_PS5_S9_mNS0_19identity_decomposerENS1_16block_id_wrapperIjLb1EEEEE10hipError_tT1_PNSt15iterator_traitsISE_E10value_typeET2_T3_PNSF_ISK_E10value_typeET4_T5_PSP_SQ_PNS1_23onesweep_lookback_stateEbbT6_jjT7_P12ihipStream_tbENKUlT_T0_SE_SJ_E_clIS8_S8_S9_S9_EEDaSX_SY_SE_SJ_EUlSX_E_NS1_11comp_targetILNS1_3genE8ELNS1_11target_archE1030ELNS1_3gpuE2ELNS1_3repE0EEENS1_47radix_sort_onesweep_sort_config_static_selectorELNS0_4arch9wavefront6targetE1EEEvSE_
		.amdhsa_group_segment_fixed_size 0
		.amdhsa_private_segment_fixed_size 0
		.amdhsa_kernarg_size 88
		.amdhsa_user_sgpr_count 6
		.amdhsa_user_sgpr_private_segment_buffer 1
		.amdhsa_user_sgpr_dispatch_ptr 0
		.amdhsa_user_sgpr_queue_ptr 0
		.amdhsa_user_sgpr_kernarg_segment_ptr 1
		.amdhsa_user_sgpr_dispatch_id 0
		.amdhsa_user_sgpr_flat_scratch_init 0
		.amdhsa_user_sgpr_kernarg_preload_length 0
		.amdhsa_user_sgpr_kernarg_preload_offset 0
		.amdhsa_user_sgpr_private_segment_size 0
		.amdhsa_uses_dynamic_stack 0
		.amdhsa_system_sgpr_private_segment_wavefront_offset 0
		.amdhsa_system_sgpr_workgroup_id_x 1
		.amdhsa_system_sgpr_workgroup_id_y 0
		.amdhsa_system_sgpr_workgroup_id_z 0
		.amdhsa_system_sgpr_workgroup_info 0
		.amdhsa_system_vgpr_workitem_id 0
		.amdhsa_next_free_vgpr 1
		.amdhsa_next_free_sgpr 0
		.amdhsa_accum_offset 4
		.amdhsa_reserve_vcc 0
		.amdhsa_reserve_flat_scratch 0
		.amdhsa_float_round_mode_32 0
		.amdhsa_float_round_mode_16_64 0
		.amdhsa_float_denorm_mode_32 3
		.amdhsa_float_denorm_mode_16_64 3
		.amdhsa_dx10_clamp 1
		.amdhsa_ieee_mode 1
		.amdhsa_fp16_overflow 0
		.amdhsa_tg_split 0
		.amdhsa_exception_fp_ieee_invalid_op 0
		.amdhsa_exception_fp_denorm_src 0
		.amdhsa_exception_fp_ieee_div_zero 0
		.amdhsa_exception_fp_ieee_overflow 0
		.amdhsa_exception_fp_ieee_underflow 0
		.amdhsa_exception_fp_ieee_inexact 0
		.amdhsa_exception_int_div_zero 0
	.end_amdhsa_kernel
	.section	.text._ZN7rocprim17ROCPRIM_400000_NS6detail17trampoline_kernelINS0_14default_configENS1_35radix_sort_onesweep_config_selectorIyNS0_10empty_typeEEEZZNS1_29radix_sort_onesweep_iterationIS3_Lb1EPyS8_PS5_S9_mNS0_19identity_decomposerENS1_16block_id_wrapperIjLb1EEEEE10hipError_tT1_PNSt15iterator_traitsISE_E10value_typeET2_T3_PNSF_ISK_E10value_typeET4_T5_PSP_SQ_PNS1_23onesweep_lookback_stateEbbT6_jjT7_P12ihipStream_tbENKUlT_T0_SE_SJ_E_clIS8_S8_S9_S9_EEDaSX_SY_SE_SJ_EUlSX_E_NS1_11comp_targetILNS1_3genE8ELNS1_11target_archE1030ELNS1_3gpuE2ELNS1_3repE0EEENS1_47radix_sort_onesweep_sort_config_static_selectorELNS0_4arch9wavefront6targetE1EEEvSE_,"axG",@progbits,_ZN7rocprim17ROCPRIM_400000_NS6detail17trampoline_kernelINS0_14default_configENS1_35radix_sort_onesweep_config_selectorIyNS0_10empty_typeEEEZZNS1_29radix_sort_onesweep_iterationIS3_Lb1EPyS8_PS5_S9_mNS0_19identity_decomposerENS1_16block_id_wrapperIjLb1EEEEE10hipError_tT1_PNSt15iterator_traitsISE_E10value_typeET2_T3_PNSF_ISK_E10value_typeET4_T5_PSP_SQ_PNS1_23onesweep_lookback_stateEbbT6_jjT7_P12ihipStream_tbENKUlT_T0_SE_SJ_E_clIS8_S8_S9_S9_EEDaSX_SY_SE_SJ_EUlSX_E_NS1_11comp_targetILNS1_3genE8ELNS1_11target_archE1030ELNS1_3gpuE2ELNS1_3repE0EEENS1_47radix_sort_onesweep_sort_config_static_selectorELNS0_4arch9wavefront6targetE1EEEvSE_,comdat
.Lfunc_end2485:
	.size	_ZN7rocprim17ROCPRIM_400000_NS6detail17trampoline_kernelINS0_14default_configENS1_35radix_sort_onesweep_config_selectorIyNS0_10empty_typeEEEZZNS1_29radix_sort_onesweep_iterationIS3_Lb1EPyS8_PS5_S9_mNS0_19identity_decomposerENS1_16block_id_wrapperIjLb1EEEEE10hipError_tT1_PNSt15iterator_traitsISE_E10value_typeET2_T3_PNSF_ISK_E10value_typeET4_T5_PSP_SQ_PNS1_23onesweep_lookback_stateEbbT6_jjT7_P12ihipStream_tbENKUlT_T0_SE_SJ_E_clIS8_S8_S9_S9_EEDaSX_SY_SE_SJ_EUlSX_E_NS1_11comp_targetILNS1_3genE8ELNS1_11target_archE1030ELNS1_3gpuE2ELNS1_3repE0EEENS1_47radix_sort_onesweep_sort_config_static_selectorELNS0_4arch9wavefront6targetE1EEEvSE_, .Lfunc_end2485-_ZN7rocprim17ROCPRIM_400000_NS6detail17trampoline_kernelINS0_14default_configENS1_35radix_sort_onesweep_config_selectorIyNS0_10empty_typeEEEZZNS1_29radix_sort_onesweep_iterationIS3_Lb1EPyS8_PS5_S9_mNS0_19identity_decomposerENS1_16block_id_wrapperIjLb1EEEEE10hipError_tT1_PNSt15iterator_traitsISE_E10value_typeET2_T3_PNSF_ISK_E10value_typeET4_T5_PSP_SQ_PNS1_23onesweep_lookback_stateEbbT6_jjT7_P12ihipStream_tbENKUlT_T0_SE_SJ_E_clIS8_S8_S9_S9_EEDaSX_SY_SE_SJ_EUlSX_E_NS1_11comp_targetILNS1_3genE8ELNS1_11target_archE1030ELNS1_3gpuE2ELNS1_3repE0EEENS1_47radix_sort_onesweep_sort_config_static_selectorELNS0_4arch9wavefront6targetE1EEEvSE_
                                        ; -- End function
	.section	.AMDGPU.csdata,"",@progbits
; Kernel info:
; codeLenInByte = 0
; NumSgprs: 4
; NumVgprs: 0
; NumAgprs: 0
; TotalNumVgprs: 0
; ScratchSize: 0
; MemoryBound: 0
; FloatMode: 240
; IeeeMode: 1
; LDSByteSize: 0 bytes/workgroup (compile time only)
; SGPRBlocks: 0
; VGPRBlocks: 0
; NumSGPRsForWavesPerEU: 4
; NumVGPRsForWavesPerEU: 1
; AccumOffset: 4
; Occupancy: 8
; WaveLimiterHint : 0
; COMPUTE_PGM_RSRC2:SCRATCH_EN: 0
; COMPUTE_PGM_RSRC2:USER_SGPR: 6
; COMPUTE_PGM_RSRC2:TRAP_HANDLER: 0
; COMPUTE_PGM_RSRC2:TGID_X_EN: 1
; COMPUTE_PGM_RSRC2:TGID_Y_EN: 0
; COMPUTE_PGM_RSRC2:TGID_Z_EN: 0
; COMPUTE_PGM_RSRC2:TIDIG_COMP_CNT: 0
; COMPUTE_PGM_RSRC3_GFX90A:ACCUM_OFFSET: 0
; COMPUTE_PGM_RSRC3_GFX90A:TG_SPLIT: 0
	.section	.text._ZN7rocprim17ROCPRIM_400000_NS6detail17trampoline_kernelINS0_14default_configENS1_35radix_sort_onesweep_config_selectorIyNS0_10empty_typeEEEZZNS1_29radix_sort_onesweep_iterationIS3_Lb1EPyS8_PS5_S9_mNS0_19identity_decomposerENS1_16block_id_wrapperIjLb0EEEEE10hipError_tT1_PNSt15iterator_traitsISE_E10value_typeET2_T3_PNSF_ISK_E10value_typeET4_T5_PSP_SQ_PNS1_23onesweep_lookback_stateEbbT6_jjT7_P12ihipStream_tbENKUlT_T0_SE_SJ_E_clIS8_S8_S9_S9_EEDaSX_SY_SE_SJ_EUlSX_E_NS1_11comp_targetILNS1_3genE0ELNS1_11target_archE4294967295ELNS1_3gpuE0ELNS1_3repE0EEENS1_47radix_sort_onesweep_sort_config_static_selectorELNS0_4arch9wavefront6targetE1EEEvSE_,"axG",@progbits,_ZN7rocprim17ROCPRIM_400000_NS6detail17trampoline_kernelINS0_14default_configENS1_35radix_sort_onesweep_config_selectorIyNS0_10empty_typeEEEZZNS1_29radix_sort_onesweep_iterationIS3_Lb1EPyS8_PS5_S9_mNS0_19identity_decomposerENS1_16block_id_wrapperIjLb0EEEEE10hipError_tT1_PNSt15iterator_traitsISE_E10value_typeET2_T3_PNSF_ISK_E10value_typeET4_T5_PSP_SQ_PNS1_23onesweep_lookback_stateEbbT6_jjT7_P12ihipStream_tbENKUlT_T0_SE_SJ_E_clIS8_S8_S9_S9_EEDaSX_SY_SE_SJ_EUlSX_E_NS1_11comp_targetILNS1_3genE0ELNS1_11target_archE4294967295ELNS1_3gpuE0ELNS1_3repE0EEENS1_47radix_sort_onesweep_sort_config_static_selectorELNS0_4arch9wavefront6targetE1EEEvSE_,comdat
	.protected	_ZN7rocprim17ROCPRIM_400000_NS6detail17trampoline_kernelINS0_14default_configENS1_35radix_sort_onesweep_config_selectorIyNS0_10empty_typeEEEZZNS1_29radix_sort_onesweep_iterationIS3_Lb1EPyS8_PS5_S9_mNS0_19identity_decomposerENS1_16block_id_wrapperIjLb0EEEEE10hipError_tT1_PNSt15iterator_traitsISE_E10value_typeET2_T3_PNSF_ISK_E10value_typeET4_T5_PSP_SQ_PNS1_23onesweep_lookback_stateEbbT6_jjT7_P12ihipStream_tbENKUlT_T0_SE_SJ_E_clIS8_S8_S9_S9_EEDaSX_SY_SE_SJ_EUlSX_E_NS1_11comp_targetILNS1_3genE0ELNS1_11target_archE4294967295ELNS1_3gpuE0ELNS1_3repE0EEENS1_47radix_sort_onesweep_sort_config_static_selectorELNS0_4arch9wavefront6targetE1EEEvSE_ ; -- Begin function _ZN7rocprim17ROCPRIM_400000_NS6detail17trampoline_kernelINS0_14default_configENS1_35radix_sort_onesweep_config_selectorIyNS0_10empty_typeEEEZZNS1_29radix_sort_onesweep_iterationIS3_Lb1EPyS8_PS5_S9_mNS0_19identity_decomposerENS1_16block_id_wrapperIjLb0EEEEE10hipError_tT1_PNSt15iterator_traitsISE_E10value_typeET2_T3_PNSF_ISK_E10value_typeET4_T5_PSP_SQ_PNS1_23onesweep_lookback_stateEbbT6_jjT7_P12ihipStream_tbENKUlT_T0_SE_SJ_E_clIS8_S8_S9_S9_EEDaSX_SY_SE_SJ_EUlSX_E_NS1_11comp_targetILNS1_3genE0ELNS1_11target_archE4294967295ELNS1_3gpuE0ELNS1_3repE0EEENS1_47radix_sort_onesweep_sort_config_static_selectorELNS0_4arch9wavefront6targetE1EEEvSE_
	.globl	_ZN7rocprim17ROCPRIM_400000_NS6detail17trampoline_kernelINS0_14default_configENS1_35radix_sort_onesweep_config_selectorIyNS0_10empty_typeEEEZZNS1_29radix_sort_onesweep_iterationIS3_Lb1EPyS8_PS5_S9_mNS0_19identity_decomposerENS1_16block_id_wrapperIjLb0EEEEE10hipError_tT1_PNSt15iterator_traitsISE_E10value_typeET2_T3_PNSF_ISK_E10value_typeET4_T5_PSP_SQ_PNS1_23onesweep_lookback_stateEbbT6_jjT7_P12ihipStream_tbENKUlT_T0_SE_SJ_E_clIS8_S8_S9_S9_EEDaSX_SY_SE_SJ_EUlSX_E_NS1_11comp_targetILNS1_3genE0ELNS1_11target_archE4294967295ELNS1_3gpuE0ELNS1_3repE0EEENS1_47radix_sort_onesweep_sort_config_static_selectorELNS0_4arch9wavefront6targetE1EEEvSE_
	.p2align	8
	.type	_ZN7rocprim17ROCPRIM_400000_NS6detail17trampoline_kernelINS0_14default_configENS1_35radix_sort_onesweep_config_selectorIyNS0_10empty_typeEEEZZNS1_29radix_sort_onesweep_iterationIS3_Lb1EPyS8_PS5_S9_mNS0_19identity_decomposerENS1_16block_id_wrapperIjLb0EEEEE10hipError_tT1_PNSt15iterator_traitsISE_E10value_typeET2_T3_PNSF_ISK_E10value_typeET4_T5_PSP_SQ_PNS1_23onesweep_lookback_stateEbbT6_jjT7_P12ihipStream_tbENKUlT_T0_SE_SJ_E_clIS8_S8_S9_S9_EEDaSX_SY_SE_SJ_EUlSX_E_NS1_11comp_targetILNS1_3genE0ELNS1_11target_archE4294967295ELNS1_3gpuE0ELNS1_3repE0EEENS1_47radix_sort_onesweep_sort_config_static_selectorELNS0_4arch9wavefront6targetE1EEEvSE_,@function
_ZN7rocprim17ROCPRIM_400000_NS6detail17trampoline_kernelINS0_14default_configENS1_35radix_sort_onesweep_config_selectorIyNS0_10empty_typeEEEZZNS1_29radix_sort_onesweep_iterationIS3_Lb1EPyS8_PS5_S9_mNS0_19identity_decomposerENS1_16block_id_wrapperIjLb0EEEEE10hipError_tT1_PNSt15iterator_traitsISE_E10value_typeET2_T3_PNSF_ISK_E10value_typeET4_T5_PSP_SQ_PNS1_23onesweep_lookback_stateEbbT6_jjT7_P12ihipStream_tbENKUlT_T0_SE_SJ_E_clIS8_S8_S9_S9_EEDaSX_SY_SE_SJ_EUlSX_E_NS1_11comp_targetILNS1_3genE0ELNS1_11target_archE4294967295ELNS1_3gpuE0ELNS1_3repE0EEENS1_47radix_sort_onesweep_sort_config_static_selectorELNS0_4arch9wavefront6targetE1EEEvSE_: ; @_ZN7rocprim17ROCPRIM_400000_NS6detail17trampoline_kernelINS0_14default_configENS1_35radix_sort_onesweep_config_selectorIyNS0_10empty_typeEEEZZNS1_29radix_sort_onesweep_iterationIS3_Lb1EPyS8_PS5_S9_mNS0_19identity_decomposerENS1_16block_id_wrapperIjLb0EEEEE10hipError_tT1_PNSt15iterator_traitsISE_E10value_typeET2_T3_PNSF_ISK_E10value_typeET4_T5_PSP_SQ_PNS1_23onesweep_lookback_stateEbbT6_jjT7_P12ihipStream_tbENKUlT_T0_SE_SJ_E_clIS8_S8_S9_S9_EEDaSX_SY_SE_SJ_EUlSX_E_NS1_11comp_targetILNS1_3genE0ELNS1_11target_archE4294967295ELNS1_3gpuE0ELNS1_3repE0EEENS1_47radix_sort_onesweep_sort_config_static_selectorELNS0_4arch9wavefront6targetE1EEEvSE_
; %bb.0:
	.section	.rodata,"a",@progbits
	.p2align	6, 0x0
	.amdhsa_kernel _ZN7rocprim17ROCPRIM_400000_NS6detail17trampoline_kernelINS0_14default_configENS1_35radix_sort_onesweep_config_selectorIyNS0_10empty_typeEEEZZNS1_29radix_sort_onesweep_iterationIS3_Lb1EPyS8_PS5_S9_mNS0_19identity_decomposerENS1_16block_id_wrapperIjLb0EEEEE10hipError_tT1_PNSt15iterator_traitsISE_E10value_typeET2_T3_PNSF_ISK_E10value_typeET4_T5_PSP_SQ_PNS1_23onesweep_lookback_stateEbbT6_jjT7_P12ihipStream_tbENKUlT_T0_SE_SJ_E_clIS8_S8_S9_S9_EEDaSX_SY_SE_SJ_EUlSX_E_NS1_11comp_targetILNS1_3genE0ELNS1_11target_archE4294967295ELNS1_3gpuE0ELNS1_3repE0EEENS1_47radix_sort_onesweep_sort_config_static_selectorELNS0_4arch9wavefront6targetE1EEEvSE_
		.amdhsa_group_segment_fixed_size 0
		.amdhsa_private_segment_fixed_size 0
		.amdhsa_kernarg_size 88
		.amdhsa_user_sgpr_count 6
		.amdhsa_user_sgpr_private_segment_buffer 1
		.amdhsa_user_sgpr_dispatch_ptr 0
		.amdhsa_user_sgpr_queue_ptr 0
		.amdhsa_user_sgpr_kernarg_segment_ptr 1
		.amdhsa_user_sgpr_dispatch_id 0
		.amdhsa_user_sgpr_flat_scratch_init 0
		.amdhsa_user_sgpr_kernarg_preload_length 0
		.amdhsa_user_sgpr_kernarg_preload_offset 0
		.amdhsa_user_sgpr_private_segment_size 0
		.amdhsa_uses_dynamic_stack 0
		.amdhsa_system_sgpr_private_segment_wavefront_offset 0
		.amdhsa_system_sgpr_workgroup_id_x 1
		.amdhsa_system_sgpr_workgroup_id_y 0
		.amdhsa_system_sgpr_workgroup_id_z 0
		.amdhsa_system_sgpr_workgroup_info 0
		.amdhsa_system_vgpr_workitem_id 0
		.amdhsa_next_free_vgpr 1
		.amdhsa_next_free_sgpr 0
		.amdhsa_accum_offset 4
		.amdhsa_reserve_vcc 0
		.amdhsa_reserve_flat_scratch 0
		.amdhsa_float_round_mode_32 0
		.amdhsa_float_round_mode_16_64 0
		.amdhsa_float_denorm_mode_32 3
		.amdhsa_float_denorm_mode_16_64 3
		.amdhsa_dx10_clamp 1
		.amdhsa_ieee_mode 1
		.amdhsa_fp16_overflow 0
		.amdhsa_tg_split 0
		.amdhsa_exception_fp_ieee_invalid_op 0
		.amdhsa_exception_fp_denorm_src 0
		.amdhsa_exception_fp_ieee_div_zero 0
		.amdhsa_exception_fp_ieee_overflow 0
		.amdhsa_exception_fp_ieee_underflow 0
		.amdhsa_exception_fp_ieee_inexact 0
		.amdhsa_exception_int_div_zero 0
	.end_amdhsa_kernel
	.section	.text._ZN7rocprim17ROCPRIM_400000_NS6detail17trampoline_kernelINS0_14default_configENS1_35radix_sort_onesweep_config_selectorIyNS0_10empty_typeEEEZZNS1_29radix_sort_onesweep_iterationIS3_Lb1EPyS8_PS5_S9_mNS0_19identity_decomposerENS1_16block_id_wrapperIjLb0EEEEE10hipError_tT1_PNSt15iterator_traitsISE_E10value_typeET2_T3_PNSF_ISK_E10value_typeET4_T5_PSP_SQ_PNS1_23onesweep_lookback_stateEbbT6_jjT7_P12ihipStream_tbENKUlT_T0_SE_SJ_E_clIS8_S8_S9_S9_EEDaSX_SY_SE_SJ_EUlSX_E_NS1_11comp_targetILNS1_3genE0ELNS1_11target_archE4294967295ELNS1_3gpuE0ELNS1_3repE0EEENS1_47radix_sort_onesweep_sort_config_static_selectorELNS0_4arch9wavefront6targetE1EEEvSE_,"axG",@progbits,_ZN7rocprim17ROCPRIM_400000_NS6detail17trampoline_kernelINS0_14default_configENS1_35radix_sort_onesweep_config_selectorIyNS0_10empty_typeEEEZZNS1_29radix_sort_onesweep_iterationIS3_Lb1EPyS8_PS5_S9_mNS0_19identity_decomposerENS1_16block_id_wrapperIjLb0EEEEE10hipError_tT1_PNSt15iterator_traitsISE_E10value_typeET2_T3_PNSF_ISK_E10value_typeET4_T5_PSP_SQ_PNS1_23onesweep_lookback_stateEbbT6_jjT7_P12ihipStream_tbENKUlT_T0_SE_SJ_E_clIS8_S8_S9_S9_EEDaSX_SY_SE_SJ_EUlSX_E_NS1_11comp_targetILNS1_3genE0ELNS1_11target_archE4294967295ELNS1_3gpuE0ELNS1_3repE0EEENS1_47radix_sort_onesweep_sort_config_static_selectorELNS0_4arch9wavefront6targetE1EEEvSE_,comdat
.Lfunc_end2486:
	.size	_ZN7rocprim17ROCPRIM_400000_NS6detail17trampoline_kernelINS0_14default_configENS1_35radix_sort_onesweep_config_selectorIyNS0_10empty_typeEEEZZNS1_29radix_sort_onesweep_iterationIS3_Lb1EPyS8_PS5_S9_mNS0_19identity_decomposerENS1_16block_id_wrapperIjLb0EEEEE10hipError_tT1_PNSt15iterator_traitsISE_E10value_typeET2_T3_PNSF_ISK_E10value_typeET4_T5_PSP_SQ_PNS1_23onesweep_lookback_stateEbbT6_jjT7_P12ihipStream_tbENKUlT_T0_SE_SJ_E_clIS8_S8_S9_S9_EEDaSX_SY_SE_SJ_EUlSX_E_NS1_11comp_targetILNS1_3genE0ELNS1_11target_archE4294967295ELNS1_3gpuE0ELNS1_3repE0EEENS1_47radix_sort_onesweep_sort_config_static_selectorELNS0_4arch9wavefront6targetE1EEEvSE_, .Lfunc_end2486-_ZN7rocprim17ROCPRIM_400000_NS6detail17trampoline_kernelINS0_14default_configENS1_35radix_sort_onesweep_config_selectorIyNS0_10empty_typeEEEZZNS1_29radix_sort_onesweep_iterationIS3_Lb1EPyS8_PS5_S9_mNS0_19identity_decomposerENS1_16block_id_wrapperIjLb0EEEEE10hipError_tT1_PNSt15iterator_traitsISE_E10value_typeET2_T3_PNSF_ISK_E10value_typeET4_T5_PSP_SQ_PNS1_23onesweep_lookback_stateEbbT6_jjT7_P12ihipStream_tbENKUlT_T0_SE_SJ_E_clIS8_S8_S9_S9_EEDaSX_SY_SE_SJ_EUlSX_E_NS1_11comp_targetILNS1_3genE0ELNS1_11target_archE4294967295ELNS1_3gpuE0ELNS1_3repE0EEENS1_47radix_sort_onesweep_sort_config_static_selectorELNS0_4arch9wavefront6targetE1EEEvSE_
                                        ; -- End function
	.section	.AMDGPU.csdata,"",@progbits
; Kernel info:
; codeLenInByte = 0
; NumSgprs: 4
; NumVgprs: 0
; NumAgprs: 0
; TotalNumVgprs: 0
; ScratchSize: 0
; MemoryBound: 0
; FloatMode: 240
; IeeeMode: 1
; LDSByteSize: 0 bytes/workgroup (compile time only)
; SGPRBlocks: 0
; VGPRBlocks: 0
; NumSGPRsForWavesPerEU: 4
; NumVGPRsForWavesPerEU: 1
; AccumOffset: 4
; Occupancy: 8
; WaveLimiterHint : 0
; COMPUTE_PGM_RSRC2:SCRATCH_EN: 0
; COMPUTE_PGM_RSRC2:USER_SGPR: 6
; COMPUTE_PGM_RSRC2:TRAP_HANDLER: 0
; COMPUTE_PGM_RSRC2:TGID_X_EN: 1
; COMPUTE_PGM_RSRC2:TGID_Y_EN: 0
; COMPUTE_PGM_RSRC2:TGID_Z_EN: 0
; COMPUTE_PGM_RSRC2:TIDIG_COMP_CNT: 0
; COMPUTE_PGM_RSRC3_GFX90A:ACCUM_OFFSET: 0
; COMPUTE_PGM_RSRC3_GFX90A:TG_SPLIT: 0
	.section	.text._ZN7rocprim17ROCPRIM_400000_NS6detail17trampoline_kernelINS0_14default_configENS1_35radix_sort_onesweep_config_selectorIyNS0_10empty_typeEEEZZNS1_29radix_sort_onesweep_iterationIS3_Lb1EPyS8_PS5_S9_mNS0_19identity_decomposerENS1_16block_id_wrapperIjLb0EEEEE10hipError_tT1_PNSt15iterator_traitsISE_E10value_typeET2_T3_PNSF_ISK_E10value_typeET4_T5_PSP_SQ_PNS1_23onesweep_lookback_stateEbbT6_jjT7_P12ihipStream_tbENKUlT_T0_SE_SJ_E_clIS8_S8_S9_S9_EEDaSX_SY_SE_SJ_EUlSX_E_NS1_11comp_targetILNS1_3genE6ELNS1_11target_archE950ELNS1_3gpuE13ELNS1_3repE0EEENS1_47radix_sort_onesweep_sort_config_static_selectorELNS0_4arch9wavefront6targetE1EEEvSE_,"axG",@progbits,_ZN7rocprim17ROCPRIM_400000_NS6detail17trampoline_kernelINS0_14default_configENS1_35radix_sort_onesweep_config_selectorIyNS0_10empty_typeEEEZZNS1_29radix_sort_onesweep_iterationIS3_Lb1EPyS8_PS5_S9_mNS0_19identity_decomposerENS1_16block_id_wrapperIjLb0EEEEE10hipError_tT1_PNSt15iterator_traitsISE_E10value_typeET2_T3_PNSF_ISK_E10value_typeET4_T5_PSP_SQ_PNS1_23onesweep_lookback_stateEbbT6_jjT7_P12ihipStream_tbENKUlT_T0_SE_SJ_E_clIS8_S8_S9_S9_EEDaSX_SY_SE_SJ_EUlSX_E_NS1_11comp_targetILNS1_3genE6ELNS1_11target_archE950ELNS1_3gpuE13ELNS1_3repE0EEENS1_47radix_sort_onesweep_sort_config_static_selectorELNS0_4arch9wavefront6targetE1EEEvSE_,comdat
	.protected	_ZN7rocprim17ROCPRIM_400000_NS6detail17trampoline_kernelINS0_14default_configENS1_35radix_sort_onesweep_config_selectorIyNS0_10empty_typeEEEZZNS1_29radix_sort_onesweep_iterationIS3_Lb1EPyS8_PS5_S9_mNS0_19identity_decomposerENS1_16block_id_wrapperIjLb0EEEEE10hipError_tT1_PNSt15iterator_traitsISE_E10value_typeET2_T3_PNSF_ISK_E10value_typeET4_T5_PSP_SQ_PNS1_23onesweep_lookback_stateEbbT6_jjT7_P12ihipStream_tbENKUlT_T0_SE_SJ_E_clIS8_S8_S9_S9_EEDaSX_SY_SE_SJ_EUlSX_E_NS1_11comp_targetILNS1_3genE6ELNS1_11target_archE950ELNS1_3gpuE13ELNS1_3repE0EEENS1_47radix_sort_onesweep_sort_config_static_selectorELNS0_4arch9wavefront6targetE1EEEvSE_ ; -- Begin function _ZN7rocprim17ROCPRIM_400000_NS6detail17trampoline_kernelINS0_14default_configENS1_35radix_sort_onesweep_config_selectorIyNS0_10empty_typeEEEZZNS1_29radix_sort_onesweep_iterationIS3_Lb1EPyS8_PS5_S9_mNS0_19identity_decomposerENS1_16block_id_wrapperIjLb0EEEEE10hipError_tT1_PNSt15iterator_traitsISE_E10value_typeET2_T3_PNSF_ISK_E10value_typeET4_T5_PSP_SQ_PNS1_23onesweep_lookback_stateEbbT6_jjT7_P12ihipStream_tbENKUlT_T0_SE_SJ_E_clIS8_S8_S9_S9_EEDaSX_SY_SE_SJ_EUlSX_E_NS1_11comp_targetILNS1_3genE6ELNS1_11target_archE950ELNS1_3gpuE13ELNS1_3repE0EEENS1_47radix_sort_onesweep_sort_config_static_selectorELNS0_4arch9wavefront6targetE1EEEvSE_
	.globl	_ZN7rocprim17ROCPRIM_400000_NS6detail17trampoline_kernelINS0_14default_configENS1_35radix_sort_onesweep_config_selectorIyNS0_10empty_typeEEEZZNS1_29radix_sort_onesweep_iterationIS3_Lb1EPyS8_PS5_S9_mNS0_19identity_decomposerENS1_16block_id_wrapperIjLb0EEEEE10hipError_tT1_PNSt15iterator_traitsISE_E10value_typeET2_T3_PNSF_ISK_E10value_typeET4_T5_PSP_SQ_PNS1_23onesweep_lookback_stateEbbT6_jjT7_P12ihipStream_tbENKUlT_T0_SE_SJ_E_clIS8_S8_S9_S9_EEDaSX_SY_SE_SJ_EUlSX_E_NS1_11comp_targetILNS1_3genE6ELNS1_11target_archE950ELNS1_3gpuE13ELNS1_3repE0EEENS1_47radix_sort_onesweep_sort_config_static_selectorELNS0_4arch9wavefront6targetE1EEEvSE_
	.p2align	8
	.type	_ZN7rocprim17ROCPRIM_400000_NS6detail17trampoline_kernelINS0_14default_configENS1_35radix_sort_onesweep_config_selectorIyNS0_10empty_typeEEEZZNS1_29radix_sort_onesweep_iterationIS3_Lb1EPyS8_PS5_S9_mNS0_19identity_decomposerENS1_16block_id_wrapperIjLb0EEEEE10hipError_tT1_PNSt15iterator_traitsISE_E10value_typeET2_T3_PNSF_ISK_E10value_typeET4_T5_PSP_SQ_PNS1_23onesweep_lookback_stateEbbT6_jjT7_P12ihipStream_tbENKUlT_T0_SE_SJ_E_clIS8_S8_S9_S9_EEDaSX_SY_SE_SJ_EUlSX_E_NS1_11comp_targetILNS1_3genE6ELNS1_11target_archE950ELNS1_3gpuE13ELNS1_3repE0EEENS1_47radix_sort_onesweep_sort_config_static_selectorELNS0_4arch9wavefront6targetE1EEEvSE_,@function
_ZN7rocprim17ROCPRIM_400000_NS6detail17trampoline_kernelINS0_14default_configENS1_35radix_sort_onesweep_config_selectorIyNS0_10empty_typeEEEZZNS1_29radix_sort_onesweep_iterationIS3_Lb1EPyS8_PS5_S9_mNS0_19identity_decomposerENS1_16block_id_wrapperIjLb0EEEEE10hipError_tT1_PNSt15iterator_traitsISE_E10value_typeET2_T3_PNSF_ISK_E10value_typeET4_T5_PSP_SQ_PNS1_23onesweep_lookback_stateEbbT6_jjT7_P12ihipStream_tbENKUlT_T0_SE_SJ_E_clIS8_S8_S9_S9_EEDaSX_SY_SE_SJ_EUlSX_E_NS1_11comp_targetILNS1_3genE6ELNS1_11target_archE950ELNS1_3gpuE13ELNS1_3repE0EEENS1_47radix_sort_onesweep_sort_config_static_selectorELNS0_4arch9wavefront6targetE1EEEvSE_: ; @_ZN7rocprim17ROCPRIM_400000_NS6detail17trampoline_kernelINS0_14default_configENS1_35radix_sort_onesweep_config_selectorIyNS0_10empty_typeEEEZZNS1_29radix_sort_onesweep_iterationIS3_Lb1EPyS8_PS5_S9_mNS0_19identity_decomposerENS1_16block_id_wrapperIjLb0EEEEE10hipError_tT1_PNSt15iterator_traitsISE_E10value_typeET2_T3_PNSF_ISK_E10value_typeET4_T5_PSP_SQ_PNS1_23onesweep_lookback_stateEbbT6_jjT7_P12ihipStream_tbENKUlT_T0_SE_SJ_E_clIS8_S8_S9_S9_EEDaSX_SY_SE_SJ_EUlSX_E_NS1_11comp_targetILNS1_3genE6ELNS1_11target_archE950ELNS1_3gpuE13ELNS1_3repE0EEENS1_47radix_sort_onesweep_sort_config_static_selectorELNS0_4arch9wavefront6targetE1EEEvSE_
; %bb.0:
	.section	.rodata,"a",@progbits
	.p2align	6, 0x0
	.amdhsa_kernel _ZN7rocprim17ROCPRIM_400000_NS6detail17trampoline_kernelINS0_14default_configENS1_35radix_sort_onesweep_config_selectorIyNS0_10empty_typeEEEZZNS1_29radix_sort_onesweep_iterationIS3_Lb1EPyS8_PS5_S9_mNS0_19identity_decomposerENS1_16block_id_wrapperIjLb0EEEEE10hipError_tT1_PNSt15iterator_traitsISE_E10value_typeET2_T3_PNSF_ISK_E10value_typeET4_T5_PSP_SQ_PNS1_23onesweep_lookback_stateEbbT6_jjT7_P12ihipStream_tbENKUlT_T0_SE_SJ_E_clIS8_S8_S9_S9_EEDaSX_SY_SE_SJ_EUlSX_E_NS1_11comp_targetILNS1_3genE6ELNS1_11target_archE950ELNS1_3gpuE13ELNS1_3repE0EEENS1_47radix_sort_onesweep_sort_config_static_selectorELNS0_4arch9wavefront6targetE1EEEvSE_
		.amdhsa_group_segment_fixed_size 0
		.amdhsa_private_segment_fixed_size 0
		.amdhsa_kernarg_size 88
		.amdhsa_user_sgpr_count 6
		.amdhsa_user_sgpr_private_segment_buffer 1
		.amdhsa_user_sgpr_dispatch_ptr 0
		.amdhsa_user_sgpr_queue_ptr 0
		.amdhsa_user_sgpr_kernarg_segment_ptr 1
		.amdhsa_user_sgpr_dispatch_id 0
		.amdhsa_user_sgpr_flat_scratch_init 0
		.amdhsa_user_sgpr_kernarg_preload_length 0
		.amdhsa_user_sgpr_kernarg_preload_offset 0
		.amdhsa_user_sgpr_private_segment_size 0
		.amdhsa_uses_dynamic_stack 0
		.amdhsa_system_sgpr_private_segment_wavefront_offset 0
		.amdhsa_system_sgpr_workgroup_id_x 1
		.amdhsa_system_sgpr_workgroup_id_y 0
		.amdhsa_system_sgpr_workgroup_id_z 0
		.amdhsa_system_sgpr_workgroup_info 0
		.amdhsa_system_vgpr_workitem_id 0
		.amdhsa_next_free_vgpr 1
		.amdhsa_next_free_sgpr 0
		.amdhsa_accum_offset 4
		.amdhsa_reserve_vcc 0
		.amdhsa_reserve_flat_scratch 0
		.amdhsa_float_round_mode_32 0
		.amdhsa_float_round_mode_16_64 0
		.amdhsa_float_denorm_mode_32 3
		.amdhsa_float_denorm_mode_16_64 3
		.amdhsa_dx10_clamp 1
		.amdhsa_ieee_mode 1
		.amdhsa_fp16_overflow 0
		.amdhsa_tg_split 0
		.amdhsa_exception_fp_ieee_invalid_op 0
		.amdhsa_exception_fp_denorm_src 0
		.amdhsa_exception_fp_ieee_div_zero 0
		.amdhsa_exception_fp_ieee_overflow 0
		.amdhsa_exception_fp_ieee_underflow 0
		.amdhsa_exception_fp_ieee_inexact 0
		.amdhsa_exception_int_div_zero 0
	.end_amdhsa_kernel
	.section	.text._ZN7rocprim17ROCPRIM_400000_NS6detail17trampoline_kernelINS0_14default_configENS1_35radix_sort_onesweep_config_selectorIyNS0_10empty_typeEEEZZNS1_29radix_sort_onesweep_iterationIS3_Lb1EPyS8_PS5_S9_mNS0_19identity_decomposerENS1_16block_id_wrapperIjLb0EEEEE10hipError_tT1_PNSt15iterator_traitsISE_E10value_typeET2_T3_PNSF_ISK_E10value_typeET4_T5_PSP_SQ_PNS1_23onesweep_lookback_stateEbbT6_jjT7_P12ihipStream_tbENKUlT_T0_SE_SJ_E_clIS8_S8_S9_S9_EEDaSX_SY_SE_SJ_EUlSX_E_NS1_11comp_targetILNS1_3genE6ELNS1_11target_archE950ELNS1_3gpuE13ELNS1_3repE0EEENS1_47radix_sort_onesweep_sort_config_static_selectorELNS0_4arch9wavefront6targetE1EEEvSE_,"axG",@progbits,_ZN7rocprim17ROCPRIM_400000_NS6detail17trampoline_kernelINS0_14default_configENS1_35radix_sort_onesweep_config_selectorIyNS0_10empty_typeEEEZZNS1_29radix_sort_onesweep_iterationIS3_Lb1EPyS8_PS5_S9_mNS0_19identity_decomposerENS1_16block_id_wrapperIjLb0EEEEE10hipError_tT1_PNSt15iterator_traitsISE_E10value_typeET2_T3_PNSF_ISK_E10value_typeET4_T5_PSP_SQ_PNS1_23onesweep_lookback_stateEbbT6_jjT7_P12ihipStream_tbENKUlT_T0_SE_SJ_E_clIS8_S8_S9_S9_EEDaSX_SY_SE_SJ_EUlSX_E_NS1_11comp_targetILNS1_3genE6ELNS1_11target_archE950ELNS1_3gpuE13ELNS1_3repE0EEENS1_47radix_sort_onesweep_sort_config_static_selectorELNS0_4arch9wavefront6targetE1EEEvSE_,comdat
.Lfunc_end2487:
	.size	_ZN7rocprim17ROCPRIM_400000_NS6detail17trampoline_kernelINS0_14default_configENS1_35radix_sort_onesweep_config_selectorIyNS0_10empty_typeEEEZZNS1_29radix_sort_onesweep_iterationIS3_Lb1EPyS8_PS5_S9_mNS0_19identity_decomposerENS1_16block_id_wrapperIjLb0EEEEE10hipError_tT1_PNSt15iterator_traitsISE_E10value_typeET2_T3_PNSF_ISK_E10value_typeET4_T5_PSP_SQ_PNS1_23onesweep_lookback_stateEbbT6_jjT7_P12ihipStream_tbENKUlT_T0_SE_SJ_E_clIS8_S8_S9_S9_EEDaSX_SY_SE_SJ_EUlSX_E_NS1_11comp_targetILNS1_3genE6ELNS1_11target_archE950ELNS1_3gpuE13ELNS1_3repE0EEENS1_47radix_sort_onesweep_sort_config_static_selectorELNS0_4arch9wavefront6targetE1EEEvSE_, .Lfunc_end2487-_ZN7rocprim17ROCPRIM_400000_NS6detail17trampoline_kernelINS0_14default_configENS1_35radix_sort_onesweep_config_selectorIyNS0_10empty_typeEEEZZNS1_29radix_sort_onesweep_iterationIS3_Lb1EPyS8_PS5_S9_mNS0_19identity_decomposerENS1_16block_id_wrapperIjLb0EEEEE10hipError_tT1_PNSt15iterator_traitsISE_E10value_typeET2_T3_PNSF_ISK_E10value_typeET4_T5_PSP_SQ_PNS1_23onesweep_lookback_stateEbbT6_jjT7_P12ihipStream_tbENKUlT_T0_SE_SJ_E_clIS8_S8_S9_S9_EEDaSX_SY_SE_SJ_EUlSX_E_NS1_11comp_targetILNS1_3genE6ELNS1_11target_archE950ELNS1_3gpuE13ELNS1_3repE0EEENS1_47radix_sort_onesweep_sort_config_static_selectorELNS0_4arch9wavefront6targetE1EEEvSE_
                                        ; -- End function
	.section	.AMDGPU.csdata,"",@progbits
; Kernel info:
; codeLenInByte = 0
; NumSgprs: 4
; NumVgprs: 0
; NumAgprs: 0
; TotalNumVgprs: 0
; ScratchSize: 0
; MemoryBound: 0
; FloatMode: 240
; IeeeMode: 1
; LDSByteSize: 0 bytes/workgroup (compile time only)
; SGPRBlocks: 0
; VGPRBlocks: 0
; NumSGPRsForWavesPerEU: 4
; NumVGPRsForWavesPerEU: 1
; AccumOffset: 4
; Occupancy: 8
; WaveLimiterHint : 0
; COMPUTE_PGM_RSRC2:SCRATCH_EN: 0
; COMPUTE_PGM_RSRC2:USER_SGPR: 6
; COMPUTE_PGM_RSRC2:TRAP_HANDLER: 0
; COMPUTE_PGM_RSRC2:TGID_X_EN: 1
; COMPUTE_PGM_RSRC2:TGID_Y_EN: 0
; COMPUTE_PGM_RSRC2:TGID_Z_EN: 0
; COMPUTE_PGM_RSRC2:TIDIG_COMP_CNT: 0
; COMPUTE_PGM_RSRC3_GFX90A:ACCUM_OFFSET: 0
; COMPUTE_PGM_RSRC3_GFX90A:TG_SPLIT: 0
	.section	.text._ZN7rocprim17ROCPRIM_400000_NS6detail17trampoline_kernelINS0_14default_configENS1_35radix_sort_onesweep_config_selectorIyNS0_10empty_typeEEEZZNS1_29radix_sort_onesweep_iterationIS3_Lb1EPyS8_PS5_S9_mNS0_19identity_decomposerENS1_16block_id_wrapperIjLb0EEEEE10hipError_tT1_PNSt15iterator_traitsISE_E10value_typeET2_T3_PNSF_ISK_E10value_typeET4_T5_PSP_SQ_PNS1_23onesweep_lookback_stateEbbT6_jjT7_P12ihipStream_tbENKUlT_T0_SE_SJ_E_clIS8_S8_S9_S9_EEDaSX_SY_SE_SJ_EUlSX_E_NS1_11comp_targetILNS1_3genE5ELNS1_11target_archE942ELNS1_3gpuE9ELNS1_3repE0EEENS1_47radix_sort_onesweep_sort_config_static_selectorELNS0_4arch9wavefront6targetE1EEEvSE_,"axG",@progbits,_ZN7rocprim17ROCPRIM_400000_NS6detail17trampoline_kernelINS0_14default_configENS1_35radix_sort_onesweep_config_selectorIyNS0_10empty_typeEEEZZNS1_29radix_sort_onesweep_iterationIS3_Lb1EPyS8_PS5_S9_mNS0_19identity_decomposerENS1_16block_id_wrapperIjLb0EEEEE10hipError_tT1_PNSt15iterator_traitsISE_E10value_typeET2_T3_PNSF_ISK_E10value_typeET4_T5_PSP_SQ_PNS1_23onesweep_lookback_stateEbbT6_jjT7_P12ihipStream_tbENKUlT_T0_SE_SJ_E_clIS8_S8_S9_S9_EEDaSX_SY_SE_SJ_EUlSX_E_NS1_11comp_targetILNS1_3genE5ELNS1_11target_archE942ELNS1_3gpuE9ELNS1_3repE0EEENS1_47radix_sort_onesweep_sort_config_static_selectorELNS0_4arch9wavefront6targetE1EEEvSE_,comdat
	.protected	_ZN7rocprim17ROCPRIM_400000_NS6detail17trampoline_kernelINS0_14default_configENS1_35radix_sort_onesweep_config_selectorIyNS0_10empty_typeEEEZZNS1_29radix_sort_onesweep_iterationIS3_Lb1EPyS8_PS5_S9_mNS0_19identity_decomposerENS1_16block_id_wrapperIjLb0EEEEE10hipError_tT1_PNSt15iterator_traitsISE_E10value_typeET2_T3_PNSF_ISK_E10value_typeET4_T5_PSP_SQ_PNS1_23onesweep_lookback_stateEbbT6_jjT7_P12ihipStream_tbENKUlT_T0_SE_SJ_E_clIS8_S8_S9_S9_EEDaSX_SY_SE_SJ_EUlSX_E_NS1_11comp_targetILNS1_3genE5ELNS1_11target_archE942ELNS1_3gpuE9ELNS1_3repE0EEENS1_47radix_sort_onesweep_sort_config_static_selectorELNS0_4arch9wavefront6targetE1EEEvSE_ ; -- Begin function _ZN7rocprim17ROCPRIM_400000_NS6detail17trampoline_kernelINS0_14default_configENS1_35radix_sort_onesweep_config_selectorIyNS0_10empty_typeEEEZZNS1_29radix_sort_onesweep_iterationIS3_Lb1EPyS8_PS5_S9_mNS0_19identity_decomposerENS1_16block_id_wrapperIjLb0EEEEE10hipError_tT1_PNSt15iterator_traitsISE_E10value_typeET2_T3_PNSF_ISK_E10value_typeET4_T5_PSP_SQ_PNS1_23onesweep_lookback_stateEbbT6_jjT7_P12ihipStream_tbENKUlT_T0_SE_SJ_E_clIS8_S8_S9_S9_EEDaSX_SY_SE_SJ_EUlSX_E_NS1_11comp_targetILNS1_3genE5ELNS1_11target_archE942ELNS1_3gpuE9ELNS1_3repE0EEENS1_47radix_sort_onesweep_sort_config_static_selectorELNS0_4arch9wavefront6targetE1EEEvSE_
	.globl	_ZN7rocprim17ROCPRIM_400000_NS6detail17trampoline_kernelINS0_14default_configENS1_35radix_sort_onesweep_config_selectorIyNS0_10empty_typeEEEZZNS1_29radix_sort_onesweep_iterationIS3_Lb1EPyS8_PS5_S9_mNS0_19identity_decomposerENS1_16block_id_wrapperIjLb0EEEEE10hipError_tT1_PNSt15iterator_traitsISE_E10value_typeET2_T3_PNSF_ISK_E10value_typeET4_T5_PSP_SQ_PNS1_23onesweep_lookback_stateEbbT6_jjT7_P12ihipStream_tbENKUlT_T0_SE_SJ_E_clIS8_S8_S9_S9_EEDaSX_SY_SE_SJ_EUlSX_E_NS1_11comp_targetILNS1_3genE5ELNS1_11target_archE942ELNS1_3gpuE9ELNS1_3repE0EEENS1_47radix_sort_onesweep_sort_config_static_selectorELNS0_4arch9wavefront6targetE1EEEvSE_
	.p2align	8
	.type	_ZN7rocprim17ROCPRIM_400000_NS6detail17trampoline_kernelINS0_14default_configENS1_35radix_sort_onesweep_config_selectorIyNS0_10empty_typeEEEZZNS1_29radix_sort_onesweep_iterationIS3_Lb1EPyS8_PS5_S9_mNS0_19identity_decomposerENS1_16block_id_wrapperIjLb0EEEEE10hipError_tT1_PNSt15iterator_traitsISE_E10value_typeET2_T3_PNSF_ISK_E10value_typeET4_T5_PSP_SQ_PNS1_23onesweep_lookback_stateEbbT6_jjT7_P12ihipStream_tbENKUlT_T0_SE_SJ_E_clIS8_S8_S9_S9_EEDaSX_SY_SE_SJ_EUlSX_E_NS1_11comp_targetILNS1_3genE5ELNS1_11target_archE942ELNS1_3gpuE9ELNS1_3repE0EEENS1_47radix_sort_onesweep_sort_config_static_selectorELNS0_4arch9wavefront6targetE1EEEvSE_,@function
_ZN7rocprim17ROCPRIM_400000_NS6detail17trampoline_kernelINS0_14default_configENS1_35radix_sort_onesweep_config_selectorIyNS0_10empty_typeEEEZZNS1_29radix_sort_onesweep_iterationIS3_Lb1EPyS8_PS5_S9_mNS0_19identity_decomposerENS1_16block_id_wrapperIjLb0EEEEE10hipError_tT1_PNSt15iterator_traitsISE_E10value_typeET2_T3_PNSF_ISK_E10value_typeET4_T5_PSP_SQ_PNS1_23onesweep_lookback_stateEbbT6_jjT7_P12ihipStream_tbENKUlT_T0_SE_SJ_E_clIS8_S8_S9_S9_EEDaSX_SY_SE_SJ_EUlSX_E_NS1_11comp_targetILNS1_3genE5ELNS1_11target_archE942ELNS1_3gpuE9ELNS1_3repE0EEENS1_47radix_sort_onesweep_sort_config_static_selectorELNS0_4arch9wavefront6targetE1EEEvSE_: ; @_ZN7rocprim17ROCPRIM_400000_NS6detail17trampoline_kernelINS0_14default_configENS1_35radix_sort_onesweep_config_selectorIyNS0_10empty_typeEEEZZNS1_29radix_sort_onesweep_iterationIS3_Lb1EPyS8_PS5_S9_mNS0_19identity_decomposerENS1_16block_id_wrapperIjLb0EEEEE10hipError_tT1_PNSt15iterator_traitsISE_E10value_typeET2_T3_PNSF_ISK_E10value_typeET4_T5_PSP_SQ_PNS1_23onesweep_lookback_stateEbbT6_jjT7_P12ihipStream_tbENKUlT_T0_SE_SJ_E_clIS8_S8_S9_S9_EEDaSX_SY_SE_SJ_EUlSX_E_NS1_11comp_targetILNS1_3genE5ELNS1_11target_archE942ELNS1_3gpuE9ELNS1_3repE0EEENS1_47radix_sort_onesweep_sort_config_static_selectorELNS0_4arch9wavefront6targetE1EEEvSE_
; %bb.0:
	.section	.rodata,"a",@progbits
	.p2align	6, 0x0
	.amdhsa_kernel _ZN7rocprim17ROCPRIM_400000_NS6detail17trampoline_kernelINS0_14default_configENS1_35radix_sort_onesweep_config_selectorIyNS0_10empty_typeEEEZZNS1_29radix_sort_onesweep_iterationIS3_Lb1EPyS8_PS5_S9_mNS0_19identity_decomposerENS1_16block_id_wrapperIjLb0EEEEE10hipError_tT1_PNSt15iterator_traitsISE_E10value_typeET2_T3_PNSF_ISK_E10value_typeET4_T5_PSP_SQ_PNS1_23onesweep_lookback_stateEbbT6_jjT7_P12ihipStream_tbENKUlT_T0_SE_SJ_E_clIS8_S8_S9_S9_EEDaSX_SY_SE_SJ_EUlSX_E_NS1_11comp_targetILNS1_3genE5ELNS1_11target_archE942ELNS1_3gpuE9ELNS1_3repE0EEENS1_47radix_sort_onesweep_sort_config_static_selectorELNS0_4arch9wavefront6targetE1EEEvSE_
		.amdhsa_group_segment_fixed_size 0
		.amdhsa_private_segment_fixed_size 0
		.amdhsa_kernarg_size 88
		.amdhsa_user_sgpr_count 6
		.amdhsa_user_sgpr_private_segment_buffer 1
		.amdhsa_user_sgpr_dispatch_ptr 0
		.amdhsa_user_sgpr_queue_ptr 0
		.amdhsa_user_sgpr_kernarg_segment_ptr 1
		.amdhsa_user_sgpr_dispatch_id 0
		.amdhsa_user_sgpr_flat_scratch_init 0
		.amdhsa_user_sgpr_kernarg_preload_length 0
		.amdhsa_user_sgpr_kernarg_preload_offset 0
		.amdhsa_user_sgpr_private_segment_size 0
		.amdhsa_uses_dynamic_stack 0
		.amdhsa_system_sgpr_private_segment_wavefront_offset 0
		.amdhsa_system_sgpr_workgroup_id_x 1
		.amdhsa_system_sgpr_workgroup_id_y 0
		.amdhsa_system_sgpr_workgroup_id_z 0
		.amdhsa_system_sgpr_workgroup_info 0
		.amdhsa_system_vgpr_workitem_id 0
		.amdhsa_next_free_vgpr 1
		.amdhsa_next_free_sgpr 0
		.amdhsa_accum_offset 4
		.amdhsa_reserve_vcc 0
		.amdhsa_reserve_flat_scratch 0
		.amdhsa_float_round_mode_32 0
		.amdhsa_float_round_mode_16_64 0
		.amdhsa_float_denorm_mode_32 3
		.amdhsa_float_denorm_mode_16_64 3
		.amdhsa_dx10_clamp 1
		.amdhsa_ieee_mode 1
		.amdhsa_fp16_overflow 0
		.amdhsa_tg_split 0
		.amdhsa_exception_fp_ieee_invalid_op 0
		.amdhsa_exception_fp_denorm_src 0
		.amdhsa_exception_fp_ieee_div_zero 0
		.amdhsa_exception_fp_ieee_overflow 0
		.amdhsa_exception_fp_ieee_underflow 0
		.amdhsa_exception_fp_ieee_inexact 0
		.amdhsa_exception_int_div_zero 0
	.end_amdhsa_kernel
	.section	.text._ZN7rocprim17ROCPRIM_400000_NS6detail17trampoline_kernelINS0_14default_configENS1_35radix_sort_onesweep_config_selectorIyNS0_10empty_typeEEEZZNS1_29radix_sort_onesweep_iterationIS3_Lb1EPyS8_PS5_S9_mNS0_19identity_decomposerENS1_16block_id_wrapperIjLb0EEEEE10hipError_tT1_PNSt15iterator_traitsISE_E10value_typeET2_T3_PNSF_ISK_E10value_typeET4_T5_PSP_SQ_PNS1_23onesweep_lookback_stateEbbT6_jjT7_P12ihipStream_tbENKUlT_T0_SE_SJ_E_clIS8_S8_S9_S9_EEDaSX_SY_SE_SJ_EUlSX_E_NS1_11comp_targetILNS1_3genE5ELNS1_11target_archE942ELNS1_3gpuE9ELNS1_3repE0EEENS1_47radix_sort_onesweep_sort_config_static_selectorELNS0_4arch9wavefront6targetE1EEEvSE_,"axG",@progbits,_ZN7rocprim17ROCPRIM_400000_NS6detail17trampoline_kernelINS0_14default_configENS1_35radix_sort_onesweep_config_selectorIyNS0_10empty_typeEEEZZNS1_29radix_sort_onesweep_iterationIS3_Lb1EPyS8_PS5_S9_mNS0_19identity_decomposerENS1_16block_id_wrapperIjLb0EEEEE10hipError_tT1_PNSt15iterator_traitsISE_E10value_typeET2_T3_PNSF_ISK_E10value_typeET4_T5_PSP_SQ_PNS1_23onesweep_lookback_stateEbbT6_jjT7_P12ihipStream_tbENKUlT_T0_SE_SJ_E_clIS8_S8_S9_S9_EEDaSX_SY_SE_SJ_EUlSX_E_NS1_11comp_targetILNS1_3genE5ELNS1_11target_archE942ELNS1_3gpuE9ELNS1_3repE0EEENS1_47radix_sort_onesweep_sort_config_static_selectorELNS0_4arch9wavefront6targetE1EEEvSE_,comdat
.Lfunc_end2488:
	.size	_ZN7rocprim17ROCPRIM_400000_NS6detail17trampoline_kernelINS0_14default_configENS1_35radix_sort_onesweep_config_selectorIyNS0_10empty_typeEEEZZNS1_29radix_sort_onesweep_iterationIS3_Lb1EPyS8_PS5_S9_mNS0_19identity_decomposerENS1_16block_id_wrapperIjLb0EEEEE10hipError_tT1_PNSt15iterator_traitsISE_E10value_typeET2_T3_PNSF_ISK_E10value_typeET4_T5_PSP_SQ_PNS1_23onesweep_lookback_stateEbbT6_jjT7_P12ihipStream_tbENKUlT_T0_SE_SJ_E_clIS8_S8_S9_S9_EEDaSX_SY_SE_SJ_EUlSX_E_NS1_11comp_targetILNS1_3genE5ELNS1_11target_archE942ELNS1_3gpuE9ELNS1_3repE0EEENS1_47radix_sort_onesweep_sort_config_static_selectorELNS0_4arch9wavefront6targetE1EEEvSE_, .Lfunc_end2488-_ZN7rocprim17ROCPRIM_400000_NS6detail17trampoline_kernelINS0_14default_configENS1_35radix_sort_onesweep_config_selectorIyNS0_10empty_typeEEEZZNS1_29radix_sort_onesweep_iterationIS3_Lb1EPyS8_PS5_S9_mNS0_19identity_decomposerENS1_16block_id_wrapperIjLb0EEEEE10hipError_tT1_PNSt15iterator_traitsISE_E10value_typeET2_T3_PNSF_ISK_E10value_typeET4_T5_PSP_SQ_PNS1_23onesweep_lookback_stateEbbT6_jjT7_P12ihipStream_tbENKUlT_T0_SE_SJ_E_clIS8_S8_S9_S9_EEDaSX_SY_SE_SJ_EUlSX_E_NS1_11comp_targetILNS1_3genE5ELNS1_11target_archE942ELNS1_3gpuE9ELNS1_3repE0EEENS1_47radix_sort_onesweep_sort_config_static_selectorELNS0_4arch9wavefront6targetE1EEEvSE_
                                        ; -- End function
	.section	.AMDGPU.csdata,"",@progbits
; Kernel info:
; codeLenInByte = 0
; NumSgprs: 4
; NumVgprs: 0
; NumAgprs: 0
; TotalNumVgprs: 0
; ScratchSize: 0
; MemoryBound: 0
; FloatMode: 240
; IeeeMode: 1
; LDSByteSize: 0 bytes/workgroup (compile time only)
; SGPRBlocks: 0
; VGPRBlocks: 0
; NumSGPRsForWavesPerEU: 4
; NumVGPRsForWavesPerEU: 1
; AccumOffset: 4
; Occupancy: 8
; WaveLimiterHint : 0
; COMPUTE_PGM_RSRC2:SCRATCH_EN: 0
; COMPUTE_PGM_RSRC2:USER_SGPR: 6
; COMPUTE_PGM_RSRC2:TRAP_HANDLER: 0
; COMPUTE_PGM_RSRC2:TGID_X_EN: 1
; COMPUTE_PGM_RSRC2:TGID_Y_EN: 0
; COMPUTE_PGM_RSRC2:TGID_Z_EN: 0
; COMPUTE_PGM_RSRC2:TIDIG_COMP_CNT: 0
; COMPUTE_PGM_RSRC3_GFX90A:ACCUM_OFFSET: 0
; COMPUTE_PGM_RSRC3_GFX90A:TG_SPLIT: 0
	.section	.text._ZN7rocprim17ROCPRIM_400000_NS6detail17trampoline_kernelINS0_14default_configENS1_35radix_sort_onesweep_config_selectorIyNS0_10empty_typeEEEZZNS1_29radix_sort_onesweep_iterationIS3_Lb1EPyS8_PS5_S9_mNS0_19identity_decomposerENS1_16block_id_wrapperIjLb0EEEEE10hipError_tT1_PNSt15iterator_traitsISE_E10value_typeET2_T3_PNSF_ISK_E10value_typeET4_T5_PSP_SQ_PNS1_23onesweep_lookback_stateEbbT6_jjT7_P12ihipStream_tbENKUlT_T0_SE_SJ_E_clIS8_S8_S9_S9_EEDaSX_SY_SE_SJ_EUlSX_E_NS1_11comp_targetILNS1_3genE2ELNS1_11target_archE906ELNS1_3gpuE6ELNS1_3repE0EEENS1_47radix_sort_onesweep_sort_config_static_selectorELNS0_4arch9wavefront6targetE1EEEvSE_,"axG",@progbits,_ZN7rocprim17ROCPRIM_400000_NS6detail17trampoline_kernelINS0_14default_configENS1_35radix_sort_onesweep_config_selectorIyNS0_10empty_typeEEEZZNS1_29radix_sort_onesweep_iterationIS3_Lb1EPyS8_PS5_S9_mNS0_19identity_decomposerENS1_16block_id_wrapperIjLb0EEEEE10hipError_tT1_PNSt15iterator_traitsISE_E10value_typeET2_T3_PNSF_ISK_E10value_typeET4_T5_PSP_SQ_PNS1_23onesweep_lookback_stateEbbT6_jjT7_P12ihipStream_tbENKUlT_T0_SE_SJ_E_clIS8_S8_S9_S9_EEDaSX_SY_SE_SJ_EUlSX_E_NS1_11comp_targetILNS1_3genE2ELNS1_11target_archE906ELNS1_3gpuE6ELNS1_3repE0EEENS1_47radix_sort_onesweep_sort_config_static_selectorELNS0_4arch9wavefront6targetE1EEEvSE_,comdat
	.protected	_ZN7rocprim17ROCPRIM_400000_NS6detail17trampoline_kernelINS0_14default_configENS1_35radix_sort_onesweep_config_selectorIyNS0_10empty_typeEEEZZNS1_29radix_sort_onesweep_iterationIS3_Lb1EPyS8_PS5_S9_mNS0_19identity_decomposerENS1_16block_id_wrapperIjLb0EEEEE10hipError_tT1_PNSt15iterator_traitsISE_E10value_typeET2_T3_PNSF_ISK_E10value_typeET4_T5_PSP_SQ_PNS1_23onesweep_lookback_stateEbbT6_jjT7_P12ihipStream_tbENKUlT_T0_SE_SJ_E_clIS8_S8_S9_S9_EEDaSX_SY_SE_SJ_EUlSX_E_NS1_11comp_targetILNS1_3genE2ELNS1_11target_archE906ELNS1_3gpuE6ELNS1_3repE0EEENS1_47radix_sort_onesweep_sort_config_static_selectorELNS0_4arch9wavefront6targetE1EEEvSE_ ; -- Begin function _ZN7rocprim17ROCPRIM_400000_NS6detail17trampoline_kernelINS0_14default_configENS1_35radix_sort_onesweep_config_selectorIyNS0_10empty_typeEEEZZNS1_29radix_sort_onesweep_iterationIS3_Lb1EPyS8_PS5_S9_mNS0_19identity_decomposerENS1_16block_id_wrapperIjLb0EEEEE10hipError_tT1_PNSt15iterator_traitsISE_E10value_typeET2_T3_PNSF_ISK_E10value_typeET4_T5_PSP_SQ_PNS1_23onesweep_lookback_stateEbbT6_jjT7_P12ihipStream_tbENKUlT_T0_SE_SJ_E_clIS8_S8_S9_S9_EEDaSX_SY_SE_SJ_EUlSX_E_NS1_11comp_targetILNS1_3genE2ELNS1_11target_archE906ELNS1_3gpuE6ELNS1_3repE0EEENS1_47radix_sort_onesweep_sort_config_static_selectorELNS0_4arch9wavefront6targetE1EEEvSE_
	.globl	_ZN7rocprim17ROCPRIM_400000_NS6detail17trampoline_kernelINS0_14default_configENS1_35radix_sort_onesweep_config_selectorIyNS0_10empty_typeEEEZZNS1_29radix_sort_onesweep_iterationIS3_Lb1EPyS8_PS5_S9_mNS0_19identity_decomposerENS1_16block_id_wrapperIjLb0EEEEE10hipError_tT1_PNSt15iterator_traitsISE_E10value_typeET2_T3_PNSF_ISK_E10value_typeET4_T5_PSP_SQ_PNS1_23onesweep_lookback_stateEbbT6_jjT7_P12ihipStream_tbENKUlT_T0_SE_SJ_E_clIS8_S8_S9_S9_EEDaSX_SY_SE_SJ_EUlSX_E_NS1_11comp_targetILNS1_3genE2ELNS1_11target_archE906ELNS1_3gpuE6ELNS1_3repE0EEENS1_47radix_sort_onesweep_sort_config_static_selectorELNS0_4arch9wavefront6targetE1EEEvSE_
	.p2align	8
	.type	_ZN7rocprim17ROCPRIM_400000_NS6detail17trampoline_kernelINS0_14default_configENS1_35radix_sort_onesweep_config_selectorIyNS0_10empty_typeEEEZZNS1_29radix_sort_onesweep_iterationIS3_Lb1EPyS8_PS5_S9_mNS0_19identity_decomposerENS1_16block_id_wrapperIjLb0EEEEE10hipError_tT1_PNSt15iterator_traitsISE_E10value_typeET2_T3_PNSF_ISK_E10value_typeET4_T5_PSP_SQ_PNS1_23onesweep_lookback_stateEbbT6_jjT7_P12ihipStream_tbENKUlT_T0_SE_SJ_E_clIS8_S8_S9_S9_EEDaSX_SY_SE_SJ_EUlSX_E_NS1_11comp_targetILNS1_3genE2ELNS1_11target_archE906ELNS1_3gpuE6ELNS1_3repE0EEENS1_47radix_sort_onesweep_sort_config_static_selectorELNS0_4arch9wavefront6targetE1EEEvSE_,@function
_ZN7rocprim17ROCPRIM_400000_NS6detail17trampoline_kernelINS0_14default_configENS1_35radix_sort_onesweep_config_selectorIyNS0_10empty_typeEEEZZNS1_29radix_sort_onesweep_iterationIS3_Lb1EPyS8_PS5_S9_mNS0_19identity_decomposerENS1_16block_id_wrapperIjLb0EEEEE10hipError_tT1_PNSt15iterator_traitsISE_E10value_typeET2_T3_PNSF_ISK_E10value_typeET4_T5_PSP_SQ_PNS1_23onesweep_lookback_stateEbbT6_jjT7_P12ihipStream_tbENKUlT_T0_SE_SJ_E_clIS8_S8_S9_S9_EEDaSX_SY_SE_SJ_EUlSX_E_NS1_11comp_targetILNS1_3genE2ELNS1_11target_archE906ELNS1_3gpuE6ELNS1_3repE0EEENS1_47radix_sort_onesweep_sort_config_static_selectorELNS0_4arch9wavefront6targetE1EEEvSE_: ; @_ZN7rocprim17ROCPRIM_400000_NS6detail17trampoline_kernelINS0_14default_configENS1_35radix_sort_onesweep_config_selectorIyNS0_10empty_typeEEEZZNS1_29radix_sort_onesweep_iterationIS3_Lb1EPyS8_PS5_S9_mNS0_19identity_decomposerENS1_16block_id_wrapperIjLb0EEEEE10hipError_tT1_PNSt15iterator_traitsISE_E10value_typeET2_T3_PNSF_ISK_E10value_typeET4_T5_PSP_SQ_PNS1_23onesweep_lookback_stateEbbT6_jjT7_P12ihipStream_tbENKUlT_T0_SE_SJ_E_clIS8_S8_S9_S9_EEDaSX_SY_SE_SJ_EUlSX_E_NS1_11comp_targetILNS1_3genE2ELNS1_11target_archE906ELNS1_3gpuE6ELNS1_3repE0EEENS1_47radix_sort_onesweep_sort_config_static_selectorELNS0_4arch9wavefront6targetE1EEEvSE_
; %bb.0:
	.section	.rodata,"a",@progbits
	.p2align	6, 0x0
	.amdhsa_kernel _ZN7rocprim17ROCPRIM_400000_NS6detail17trampoline_kernelINS0_14default_configENS1_35radix_sort_onesweep_config_selectorIyNS0_10empty_typeEEEZZNS1_29radix_sort_onesweep_iterationIS3_Lb1EPyS8_PS5_S9_mNS0_19identity_decomposerENS1_16block_id_wrapperIjLb0EEEEE10hipError_tT1_PNSt15iterator_traitsISE_E10value_typeET2_T3_PNSF_ISK_E10value_typeET4_T5_PSP_SQ_PNS1_23onesweep_lookback_stateEbbT6_jjT7_P12ihipStream_tbENKUlT_T0_SE_SJ_E_clIS8_S8_S9_S9_EEDaSX_SY_SE_SJ_EUlSX_E_NS1_11comp_targetILNS1_3genE2ELNS1_11target_archE906ELNS1_3gpuE6ELNS1_3repE0EEENS1_47radix_sort_onesweep_sort_config_static_selectorELNS0_4arch9wavefront6targetE1EEEvSE_
		.amdhsa_group_segment_fixed_size 0
		.amdhsa_private_segment_fixed_size 0
		.amdhsa_kernarg_size 88
		.amdhsa_user_sgpr_count 6
		.amdhsa_user_sgpr_private_segment_buffer 1
		.amdhsa_user_sgpr_dispatch_ptr 0
		.amdhsa_user_sgpr_queue_ptr 0
		.amdhsa_user_sgpr_kernarg_segment_ptr 1
		.amdhsa_user_sgpr_dispatch_id 0
		.amdhsa_user_sgpr_flat_scratch_init 0
		.amdhsa_user_sgpr_kernarg_preload_length 0
		.amdhsa_user_sgpr_kernarg_preload_offset 0
		.amdhsa_user_sgpr_private_segment_size 0
		.amdhsa_uses_dynamic_stack 0
		.amdhsa_system_sgpr_private_segment_wavefront_offset 0
		.amdhsa_system_sgpr_workgroup_id_x 1
		.amdhsa_system_sgpr_workgroup_id_y 0
		.amdhsa_system_sgpr_workgroup_id_z 0
		.amdhsa_system_sgpr_workgroup_info 0
		.amdhsa_system_vgpr_workitem_id 0
		.amdhsa_next_free_vgpr 1
		.amdhsa_next_free_sgpr 0
		.amdhsa_accum_offset 4
		.amdhsa_reserve_vcc 0
		.amdhsa_reserve_flat_scratch 0
		.amdhsa_float_round_mode_32 0
		.amdhsa_float_round_mode_16_64 0
		.amdhsa_float_denorm_mode_32 3
		.amdhsa_float_denorm_mode_16_64 3
		.amdhsa_dx10_clamp 1
		.amdhsa_ieee_mode 1
		.amdhsa_fp16_overflow 0
		.amdhsa_tg_split 0
		.amdhsa_exception_fp_ieee_invalid_op 0
		.amdhsa_exception_fp_denorm_src 0
		.amdhsa_exception_fp_ieee_div_zero 0
		.amdhsa_exception_fp_ieee_overflow 0
		.amdhsa_exception_fp_ieee_underflow 0
		.amdhsa_exception_fp_ieee_inexact 0
		.amdhsa_exception_int_div_zero 0
	.end_amdhsa_kernel
	.section	.text._ZN7rocprim17ROCPRIM_400000_NS6detail17trampoline_kernelINS0_14default_configENS1_35radix_sort_onesweep_config_selectorIyNS0_10empty_typeEEEZZNS1_29radix_sort_onesweep_iterationIS3_Lb1EPyS8_PS5_S9_mNS0_19identity_decomposerENS1_16block_id_wrapperIjLb0EEEEE10hipError_tT1_PNSt15iterator_traitsISE_E10value_typeET2_T3_PNSF_ISK_E10value_typeET4_T5_PSP_SQ_PNS1_23onesweep_lookback_stateEbbT6_jjT7_P12ihipStream_tbENKUlT_T0_SE_SJ_E_clIS8_S8_S9_S9_EEDaSX_SY_SE_SJ_EUlSX_E_NS1_11comp_targetILNS1_3genE2ELNS1_11target_archE906ELNS1_3gpuE6ELNS1_3repE0EEENS1_47radix_sort_onesweep_sort_config_static_selectorELNS0_4arch9wavefront6targetE1EEEvSE_,"axG",@progbits,_ZN7rocprim17ROCPRIM_400000_NS6detail17trampoline_kernelINS0_14default_configENS1_35radix_sort_onesweep_config_selectorIyNS0_10empty_typeEEEZZNS1_29radix_sort_onesweep_iterationIS3_Lb1EPyS8_PS5_S9_mNS0_19identity_decomposerENS1_16block_id_wrapperIjLb0EEEEE10hipError_tT1_PNSt15iterator_traitsISE_E10value_typeET2_T3_PNSF_ISK_E10value_typeET4_T5_PSP_SQ_PNS1_23onesweep_lookback_stateEbbT6_jjT7_P12ihipStream_tbENKUlT_T0_SE_SJ_E_clIS8_S8_S9_S9_EEDaSX_SY_SE_SJ_EUlSX_E_NS1_11comp_targetILNS1_3genE2ELNS1_11target_archE906ELNS1_3gpuE6ELNS1_3repE0EEENS1_47radix_sort_onesweep_sort_config_static_selectorELNS0_4arch9wavefront6targetE1EEEvSE_,comdat
.Lfunc_end2489:
	.size	_ZN7rocprim17ROCPRIM_400000_NS6detail17trampoline_kernelINS0_14default_configENS1_35radix_sort_onesweep_config_selectorIyNS0_10empty_typeEEEZZNS1_29radix_sort_onesweep_iterationIS3_Lb1EPyS8_PS5_S9_mNS0_19identity_decomposerENS1_16block_id_wrapperIjLb0EEEEE10hipError_tT1_PNSt15iterator_traitsISE_E10value_typeET2_T3_PNSF_ISK_E10value_typeET4_T5_PSP_SQ_PNS1_23onesweep_lookback_stateEbbT6_jjT7_P12ihipStream_tbENKUlT_T0_SE_SJ_E_clIS8_S8_S9_S9_EEDaSX_SY_SE_SJ_EUlSX_E_NS1_11comp_targetILNS1_3genE2ELNS1_11target_archE906ELNS1_3gpuE6ELNS1_3repE0EEENS1_47radix_sort_onesweep_sort_config_static_selectorELNS0_4arch9wavefront6targetE1EEEvSE_, .Lfunc_end2489-_ZN7rocprim17ROCPRIM_400000_NS6detail17trampoline_kernelINS0_14default_configENS1_35radix_sort_onesweep_config_selectorIyNS0_10empty_typeEEEZZNS1_29radix_sort_onesweep_iterationIS3_Lb1EPyS8_PS5_S9_mNS0_19identity_decomposerENS1_16block_id_wrapperIjLb0EEEEE10hipError_tT1_PNSt15iterator_traitsISE_E10value_typeET2_T3_PNSF_ISK_E10value_typeET4_T5_PSP_SQ_PNS1_23onesweep_lookback_stateEbbT6_jjT7_P12ihipStream_tbENKUlT_T0_SE_SJ_E_clIS8_S8_S9_S9_EEDaSX_SY_SE_SJ_EUlSX_E_NS1_11comp_targetILNS1_3genE2ELNS1_11target_archE906ELNS1_3gpuE6ELNS1_3repE0EEENS1_47radix_sort_onesweep_sort_config_static_selectorELNS0_4arch9wavefront6targetE1EEEvSE_
                                        ; -- End function
	.section	.AMDGPU.csdata,"",@progbits
; Kernel info:
; codeLenInByte = 0
; NumSgprs: 4
; NumVgprs: 0
; NumAgprs: 0
; TotalNumVgprs: 0
; ScratchSize: 0
; MemoryBound: 0
; FloatMode: 240
; IeeeMode: 1
; LDSByteSize: 0 bytes/workgroup (compile time only)
; SGPRBlocks: 0
; VGPRBlocks: 0
; NumSGPRsForWavesPerEU: 4
; NumVGPRsForWavesPerEU: 1
; AccumOffset: 4
; Occupancy: 8
; WaveLimiterHint : 0
; COMPUTE_PGM_RSRC2:SCRATCH_EN: 0
; COMPUTE_PGM_RSRC2:USER_SGPR: 6
; COMPUTE_PGM_RSRC2:TRAP_HANDLER: 0
; COMPUTE_PGM_RSRC2:TGID_X_EN: 1
; COMPUTE_PGM_RSRC2:TGID_Y_EN: 0
; COMPUTE_PGM_RSRC2:TGID_Z_EN: 0
; COMPUTE_PGM_RSRC2:TIDIG_COMP_CNT: 0
; COMPUTE_PGM_RSRC3_GFX90A:ACCUM_OFFSET: 0
; COMPUTE_PGM_RSRC3_GFX90A:TG_SPLIT: 0
	.section	.text._ZN7rocprim17ROCPRIM_400000_NS6detail17trampoline_kernelINS0_14default_configENS1_35radix_sort_onesweep_config_selectorIyNS0_10empty_typeEEEZZNS1_29radix_sort_onesweep_iterationIS3_Lb1EPyS8_PS5_S9_mNS0_19identity_decomposerENS1_16block_id_wrapperIjLb0EEEEE10hipError_tT1_PNSt15iterator_traitsISE_E10value_typeET2_T3_PNSF_ISK_E10value_typeET4_T5_PSP_SQ_PNS1_23onesweep_lookback_stateEbbT6_jjT7_P12ihipStream_tbENKUlT_T0_SE_SJ_E_clIS8_S8_S9_S9_EEDaSX_SY_SE_SJ_EUlSX_E_NS1_11comp_targetILNS1_3genE4ELNS1_11target_archE910ELNS1_3gpuE8ELNS1_3repE0EEENS1_47radix_sort_onesweep_sort_config_static_selectorELNS0_4arch9wavefront6targetE1EEEvSE_,"axG",@progbits,_ZN7rocprim17ROCPRIM_400000_NS6detail17trampoline_kernelINS0_14default_configENS1_35radix_sort_onesweep_config_selectorIyNS0_10empty_typeEEEZZNS1_29radix_sort_onesweep_iterationIS3_Lb1EPyS8_PS5_S9_mNS0_19identity_decomposerENS1_16block_id_wrapperIjLb0EEEEE10hipError_tT1_PNSt15iterator_traitsISE_E10value_typeET2_T3_PNSF_ISK_E10value_typeET4_T5_PSP_SQ_PNS1_23onesweep_lookback_stateEbbT6_jjT7_P12ihipStream_tbENKUlT_T0_SE_SJ_E_clIS8_S8_S9_S9_EEDaSX_SY_SE_SJ_EUlSX_E_NS1_11comp_targetILNS1_3genE4ELNS1_11target_archE910ELNS1_3gpuE8ELNS1_3repE0EEENS1_47radix_sort_onesweep_sort_config_static_selectorELNS0_4arch9wavefront6targetE1EEEvSE_,comdat
	.protected	_ZN7rocprim17ROCPRIM_400000_NS6detail17trampoline_kernelINS0_14default_configENS1_35radix_sort_onesweep_config_selectorIyNS0_10empty_typeEEEZZNS1_29radix_sort_onesweep_iterationIS3_Lb1EPyS8_PS5_S9_mNS0_19identity_decomposerENS1_16block_id_wrapperIjLb0EEEEE10hipError_tT1_PNSt15iterator_traitsISE_E10value_typeET2_T3_PNSF_ISK_E10value_typeET4_T5_PSP_SQ_PNS1_23onesweep_lookback_stateEbbT6_jjT7_P12ihipStream_tbENKUlT_T0_SE_SJ_E_clIS8_S8_S9_S9_EEDaSX_SY_SE_SJ_EUlSX_E_NS1_11comp_targetILNS1_3genE4ELNS1_11target_archE910ELNS1_3gpuE8ELNS1_3repE0EEENS1_47radix_sort_onesweep_sort_config_static_selectorELNS0_4arch9wavefront6targetE1EEEvSE_ ; -- Begin function _ZN7rocprim17ROCPRIM_400000_NS6detail17trampoline_kernelINS0_14default_configENS1_35radix_sort_onesweep_config_selectorIyNS0_10empty_typeEEEZZNS1_29radix_sort_onesweep_iterationIS3_Lb1EPyS8_PS5_S9_mNS0_19identity_decomposerENS1_16block_id_wrapperIjLb0EEEEE10hipError_tT1_PNSt15iterator_traitsISE_E10value_typeET2_T3_PNSF_ISK_E10value_typeET4_T5_PSP_SQ_PNS1_23onesweep_lookback_stateEbbT6_jjT7_P12ihipStream_tbENKUlT_T0_SE_SJ_E_clIS8_S8_S9_S9_EEDaSX_SY_SE_SJ_EUlSX_E_NS1_11comp_targetILNS1_3genE4ELNS1_11target_archE910ELNS1_3gpuE8ELNS1_3repE0EEENS1_47radix_sort_onesweep_sort_config_static_selectorELNS0_4arch9wavefront6targetE1EEEvSE_
	.globl	_ZN7rocprim17ROCPRIM_400000_NS6detail17trampoline_kernelINS0_14default_configENS1_35radix_sort_onesweep_config_selectorIyNS0_10empty_typeEEEZZNS1_29radix_sort_onesweep_iterationIS3_Lb1EPyS8_PS5_S9_mNS0_19identity_decomposerENS1_16block_id_wrapperIjLb0EEEEE10hipError_tT1_PNSt15iterator_traitsISE_E10value_typeET2_T3_PNSF_ISK_E10value_typeET4_T5_PSP_SQ_PNS1_23onesweep_lookback_stateEbbT6_jjT7_P12ihipStream_tbENKUlT_T0_SE_SJ_E_clIS8_S8_S9_S9_EEDaSX_SY_SE_SJ_EUlSX_E_NS1_11comp_targetILNS1_3genE4ELNS1_11target_archE910ELNS1_3gpuE8ELNS1_3repE0EEENS1_47radix_sort_onesweep_sort_config_static_selectorELNS0_4arch9wavefront6targetE1EEEvSE_
	.p2align	8
	.type	_ZN7rocprim17ROCPRIM_400000_NS6detail17trampoline_kernelINS0_14default_configENS1_35radix_sort_onesweep_config_selectorIyNS0_10empty_typeEEEZZNS1_29radix_sort_onesweep_iterationIS3_Lb1EPyS8_PS5_S9_mNS0_19identity_decomposerENS1_16block_id_wrapperIjLb0EEEEE10hipError_tT1_PNSt15iterator_traitsISE_E10value_typeET2_T3_PNSF_ISK_E10value_typeET4_T5_PSP_SQ_PNS1_23onesweep_lookback_stateEbbT6_jjT7_P12ihipStream_tbENKUlT_T0_SE_SJ_E_clIS8_S8_S9_S9_EEDaSX_SY_SE_SJ_EUlSX_E_NS1_11comp_targetILNS1_3genE4ELNS1_11target_archE910ELNS1_3gpuE8ELNS1_3repE0EEENS1_47radix_sort_onesweep_sort_config_static_selectorELNS0_4arch9wavefront6targetE1EEEvSE_,@function
_ZN7rocprim17ROCPRIM_400000_NS6detail17trampoline_kernelINS0_14default_configENS1_35radix_sort_onesweep_config_selectorIyNS0_10empty_typeEEEZZNS1_29radix_sort_onesweep_iterationIS3_Lb1EPyS8_PS5_S9_mNS0_19identity_decomposerENS1_16block_id_wrapperIjLb0EEEEE10hipError_tT1_PNSt15iterator_traitsISE_E10value_typeET2_T3_PNSF_ISK_E10value_typeET4_T5_PSP_SQ_PNS1_23onesweep_lookback_stateEbbT6_jjT7_P12ihipStream_tbENKUlT_T0_SE_SJ_E_clIS8_S8_S9_S9_EEDaSX_SY_SE_SJ_EUlSX_E_NS1_11comp_targetILNS1_3genE4ELNS1_11target_archE910ELNS1_3gpuE8ELNS1_3repE0EEENS1_47radix_sort_onesweep_sort_config_static_selectorELNS0_4arch9wavefront6targetE1EEEvSE_: ; @_ZN7rocprim17ROCPRIM_400000_NS6detail17trampoline_kernelINS0_14default_configENS1_35radix_sort_onesweep_config_selectorIyNS0_10empty_typeEEEZZNS1_29radix_sort_onesweep_iterationIS3_Lb1EPyS8_PS5_S9_mNS0_19identity_decomposerENS1_16block_id_wrapperIjLb0EEEEE10hipError_tT1_PNSt15iterator_traitsISE_E10value_typeET2_T3_PNSF_ISK_E10value_typeET4_T5_PSP_SQ_PNS1_23onesweep_lookback_stateEbbT6_jjT7_P12ihipStream_tbENKUlT_T0_SE_SJ_E_clIS8_S8_S9_S9_EEDaSX_SY_SE_SJ_EUlSX_E_NS1_11comp_targetILNS1_3genE4ELNS1_11target_archE910ELNS1_3gpuE8ELNS1_3repE0EEENS1_47radix_sort_onesweep_sort_config_static_selectorELNS0_4arch9wavefront6targetE1EEEvSE_
; %bb.0:
	s_load_dwordx2 s[24:25], s[4:5], 0x38
	s_load_dwordx4 s[16:19], s[4:5], 0x44
	s_load_dwordx4 s[20:23], s[4:5], 0x0
	;; [unrolled: 1-line block ×3, first 2 shown]
	v_mbcnt_lo_u32_b32 v28, -1, 0
	s_waitcnt lgkmcnt(0)
	s_cmp_ge_u32 s6, s18
	s_cbranch_scc0 .LBB2490_61
; %bb.1:
	s_load_dword s2, s[4:5], 0x20
	s_lshl_b32 s3, s18, 13
	s_lshl_b32 s0, s6, 13
	s_mov_b32 s1, 0
	s_lshl_b64 s[0:1], s[0:1], 3
	s_waitcnt lgkmcnt(0)
	s_sub_i32 s7, s2, s3
	v_mbcnt_hi_u32_b32 v1, -1, v28
	v_and_b32_e32 v2, 0x3ff, v0
	s_add_u32 s0, s20, s0
	v_and_b32_e32 v3, 63, v1
	s_addc_u32 s1, s21, s1
	v_lshlrev_b32_e32 v29, 3, v2
	v_lshlrev_b32_e32 v5, 3, v3
	v_and_b32_e32 v4, 0x1e00, v29
	v_mov_b32_e32 v6, s1
	v_add_co_u32_e32 v5, vcc, s0, v5
	v_addc_co_u32_e32 v6, vcc, 0, v6, vcc
	v_lshlrev_b32_e32 v7, 3, v4
	v_add_co_u32_e32 v20, vcc, v5, v7
	v_addc_co_u32_e32 v21, vcc, 0, v6, vcc
	v_or_b32_e32 v3, v3, v4
	v_pk_mov_b32 v[6:7], 0, 0
	v_cmp_gt_u32_e32 vcc, s7, v3
	v_pk_mov_b32 v[4:5], v[6:7], v[6:7] op_sel:[0,1]
	s_and_saveexec_b64 s[0:1], vcc
	s_cbranch_execz .LBB2490_3
; %bb.2:
	global_load_dwordx2 v[4:5], v[20:21], off
.LBB2490_3:
	s_or_b64 exec, exec, s[0:1]
	v_or_b32_e32 v8, 64, v3
	v_cmp_gt_u32_e32 vcc, s7, v8
	s_and_saveexec_b64 s[0:1], vcc
	s_cbranch_execz .LBB2490_5
; %bb.4:
	global_load_dwordx2 v[6:7], v[20:21], off offset:512
.LBB2490_5:
	s_or_b64 exec, exec, s[0:1]
	v_or_b32_e32 v8, 0x80, v3
	v_pk_mov_b32 v[10:11], 0, 0
	v_cmp_gt_u32_e32 vcc, s7, v8
	v_pk_mov_b32 v[8:9], v[10:11], v[10:11] op_sel:[0,1]
	s_and_saveexec_b64 s[0:1], vcc
	s_cbranch_execz .LBB2490_7
; %bb.6:
	global_load_dwordx2 v[8:9], v[20:21], off offset:1024
.LBB2490_7:
	s_or_b64 exec, exec, s[0:1]
	v_or_b32_e32 v12, 0xc0, v3
	v_cmp_gt_u32_e32 vcc, s7, v12
	s_and_saveexec_b64 s[0:1], vcc
	s_cbranch_execz .LBB2490_9
; %bb.8:
	global_load_dwordx2 v[10:11], v[20:21], off offset:1536
.LBB2490_9:
	s_or_b64 exec, exec, s[0:1]
	v_or_b32_e32 v12, 0x100, v3
	v_pk_mov_b32 v[16:17], 0, 0
	v_cmp_gt_u32_e32 vcc, s7, v12
	v_pk_mov_b32 v[12:13], v[16:17], v[16:17] op_sel:[0,1]
	s_and_saveexec_b64 s[0:1], vcc
	s_cbranch_execz .LBB2490_11
; %bb.10:
	global_load_dwordx2 v[12:13], v[20:21], off offset:2048
.LBB2490_11:
	s_or_b64 exec, exec, s[0:1]
	v_or_b32_e32 v14, 0x140, v3
	v_cmp_gt_u32_e32 vcc, s7, v14
	s_and_saveexec_b64 s[0:1], vcc
	s_cbranch_execz .LBB2490_13
; %bb.12:
	global_load_dwordx2 v[16:17], v[20:21], off offset:2560
.LBB2490_13:
	s_or_b64 exec, exec, s[0:1]
	v_or_b32_e32 v14, 0x180, v3
	v_cmp_gt_u32_e32 vcc, s7, v14
	v_pk_mov_b32 v[14:15], 0, 0
	v_pk_mov_b32 v[18:19], v[14:15], v[14:15] op_sel:[0,1]
	s_and_saveexec_b64 s[0:1], vcc
	s_cbranch_execz .LBB2490_15
; %bb.14:
	global_load_dwordx2 v[18:19], v[20:21], off offset:3072
.LBB2490_15:
	s_or_b64 exec, exec, s[0:1]
	v_or_b32_e32 v3, 0x1c0, v3
	v_cmp_gt_u32_e32 vcc, s7, v3
	s_and_saveexec_b64 s[0:1], vcc
	s_cbranch_execz .LBB2490_17
; %bb.16:
	global_load_dwordx2 v[14:15], v[20:21], off offset:3584
.LBB2490_17:
	s_or_b64 exec, exec, s[0:1]
	s_load_dword s0, s[4:5], 0x64
	s_load_dword s26, s[4:5], 0x58
	s_add_u32 s1, s4, 0x58
	s_addc_u32 s2, s5, 0
	v_mov_b32_e32 v20, 0
	s_waitcnt lgkmcnt(0)
	s_lshr_b32 s3, s0, 16
	s_cmp_lt_u32 s6, s26
	s_cselect_b32 s0, 12, 18
	s_add_u32 s0, s1, s0
	s_addc_u32 s1, s2, 0
	global_load_ushort v24, v20, s[0:1]
	s_waitcnt vmcnt(1)
	v_not_b32_e32 v5, v5
	v_not_b32_e32 v4, v4
	s_lshl_b32 s0, -1, s17
	v_lshrrev_b64 v[22:23], s16, v[4:5]
	s_not_b32 s27, s0
	v_and_b32_e32 v22, s27, v22
	v_and_b32_e32 v26, 1, v22
	v_bfe_u32 v21, v0, 10, 10
	v_bfe_u32 v25, v0, 20, 10
	v_add_co_u32_e32 v27, vcc, -1, v26
	v_mad_u32_u24 v23, v25, s3, v21
	v_lshlrev_b32_e32 v21, 30, v22
	v_addc_co_u32_e64 v30, s[0:1], 0, -1, vcc
	v_cmp_ne_u32_e32 vcc, 0, v26
	v_cmp_gt_i64_e64 s[0:1], 0, v[20:21]
	v_not_b32_e32 v26, v21
	v_lshlrev_b32_e32 v21, 29, v22
	v_xor_b32_e32 v30, vcc_hi, v30
	v_xor_b32_e32 v27, vcc_lo, v27
	v_ashrrev_i32_e32 v26, 31, v26
	v_cmp_gt_i64_e32 vcc, 0, v[20:21]
	v_not_b32_e32 v31, v21
	v_lshlrev_b32_e32 v21, 28, v22
	v_and_b32_e32 v30, exec_hi, v30
	v_and_b32_e32 v27, exec_lo, v27
	v_xor_b32_e32 v32, s1, v26
	v_xor_b32_e32 v26, s0, v26
	v_ashrrev_i32_e32 v31, 31, v31
	v_cmp_gt_i64_e64 s[0:1], 0, v[20:21]
	v_not_b32_e32 v33, v21
	v_lshlrev_b32_e32 v21, 27, v22
	v_and_b32_e32 v30, v30, v32
	v_and_b32_e32 v26, v27, v26
	v_xor_b32_e32 v27, vcc_hi, v31
	v_xor_b32_e32 v31, vcc_lo, v31
	v_ashrrev_i32_e32 v32, 31, v33
	v_cmp_gt_i64_e32 vcc, 0, v[20:21]
	v_not_b32_e32 v33, v21
	v_lshlrev_b32_e32 v21, 26, v22
	v_and_b32_e32 v27, v30, v27
	v_and_b32_e32 v26, v26, v31
	v_xor_b32_e32 v30, s1, v32
	v_xor_b32_e32 v31, s0, v32
	v_ashrrev_i32_e32 v32, 31, v33
	v_cmp_gt_i64_e64 s[0:1], 0, v[20:21]
	v_not_b32_e32 v33, v21
	v_lshlrev_b32_e32 v21, 25, v22
	v_and_b32_e32 v27, v27, v30
	v_and_b32_e32 v26, v26, v31
	v_xor_b32_e32 v30, vcc_hi, v32
	v_xor_b32_e32 v31, vcc_lo, v32
	v_ashrrev_i32_e32 v32, 31, v33
	v_not_b32_e32 v33, v21
	v_mul_u32_u24_e32 v3, 5, v2
	v_lshl_add_u32 v25, v22, 4, v22
	v_cmp_gt_i64_e32 vcc, 0, v[20:21]
	v_lshlrev_b32_e32 v21, 24, v22
	v_and_b32_e32 v22, v27, v30
	v_and_b32_e32 v26, v26, v31
	v_xor_b32_e32 v27, s1, v32
	v_ashrrev_i32_e32 v31, 31, v33
	v_lshlrev_b32_e32 v3, 2, v3
	v_xor_b32_e32 v30, s0, v32
	v_cmp_gt_i64_e64 s[0:1], 0, v[20:21]
	v_and_b32_e32 v22, v22, v27
	v_xor_b32_e32 v27, vcc_hi, v31
	v_not_b32_e32 v21, v21
	v_and_b32_e32 v26, v26, v30
	v_xor_b32_e32 v30, vcc_lo, v31
	v_and_b32_e32 v31, v22, v27
	v_ashrrev_i32_e32 v21, 31, v21
	v_and_b32_e32 v26, v26, v30
	ds_write2_b32 v3, v20, v20 offset0:16 offset1:17
	ds_write2_b32 v3, v20, v20 offset0:18 offset1:19
	ds_write_b32 v3, v20 offset:80
	s_waitcnt lgkmcnt(0)
	s_barrier
	s_waitcnt vmcnt(0)
	v_mad_u64_u32 v[22:23], s[2:3], v23, v24, v[2:3]
	v_lshrrev_b32_e32 v27, 6, v22
	v_xor_b32_e32 v22, s1, v21
	v_xor_b32_e32 v21, s0, v21
	v_and_b32_e32 v23, v31, v22
	v_and_b32_e32 v22, v26, v21
	v_mbcnt_lo_u32_b32 v21, v22, 0
	v_mbcnt_hi_u32_b32 v30, v23, v21
	v_cmp_eq_u32_e32 vcc, 0, v30
	v_cmp_ne_u64_e64 s[0:1], 0, v[22:23]
	v_add_lshl_u32 v24, v27, v25, 2
	s_and_b64 s[2:3], s[0:1], vcc
	; wave barrier
	s_and_saveexec_b64 s[0:1], s[2:3]
	s_cbranch_execz .LBB2490_19
; %bb.18:
	v_bcnt_u32_b32 v21, v22, 0
	v_bcnt_u32_b32 v21, v23, v21
	ds_write_b32 v24, v21 offset:64
.LBB2490_19:
	s_or_b64 exec, exec, s[0:1]
	v_not_b32_e32 v7, v7
	v_not_b32_e32 v6, v6
	v_lshrrev_b64 v[22:23], s16, v[6:7]
	v_and_b32_e32 v22, s27, v22
	v_lshl_add_u32 v21, v22, 4, v22
	v_add_lshl_u32 v25, v27, v21, 2
	v_and_b32_e32 v21, 1, v22
	v_add_co_u32_e32 v23, vcc, -1, v21
	v_addc_co_u32_e64 v26, s[0:1], 0, -1, vcc
	v_cmp_ne_u32_e32 vcc, 0, v21
	v_xor_b32_e32 v21, vcc_hi, v26
	v_and_b32_e32 v26, exec_hi, v21
	v_lshlrev_b32_e32 v21, 30, v22
	v_xor_b32_e32 v23, vcc_lo, v23
	v_cmp_gt_i64_e32 vcc, 0, v[20:21]
	v_not_b32_e32 v21, v21
	v_ashrrev_i32_e32 v21, 31, v21
	v_and_b32_e32 v23, exec_lo, v23
	v_xor_b32_e32 v32, vcc_hi, v21
	v_xor_b32_e32 v21, vcc_lo, v21
	v_and_b32_e32 v23, v23, v21
	v_lshlrev_b32_e32 v21, 29, v22
	v_cmp_gt_i64_e32 vcc, 0, v[20:21]
	v_not_b32_e32 v21, v21
	v_ashrrev_i32_e32 v21, 31, v21
	v_and_b32_e32 v26, v26, v32
	v_xor_b32_e32 v32, vcc_hi, v21
	v_xor_b32_e32 v21, vcc_lo, v21
	v_and_b32_e32 v23, v23, v21
	v_lshlrev_b32_e32 v21, 28, v22
	v_cmp_gt_i64_e32 vcc, 0, v[20:21]
	v_not_b32_e32 v21, v21
	v_ashrrev_i32_e32 v21, 31, v21
	v_and_b32_e32 v26, v26, v32
	;; [unrolled: 8-line block ×5, first 2 shown]
	v_xor_b32_e32 v32, vcc_hi, v21
	v_xor_b32_e32 v21, vcc_lo, v21
	v_and_b32_e32 v23, v23, v21
	v_lshlrev_b32_e32 v21, 24, v22
	v_cmp_gt_i64_e32 vcc, 0, v[20:21]
	v_not_b32_e32 v20, v21
	v_ashrrev_i32_e32 v20, 31, v20
	v_xor_b32_e32 v21, vcc_hi, v20
	v_xor_b32_e32 v20, vcc_lo, v20
	; wave barrier
	ds_read_b32 v31, v25 offset:64
	v_and_b32_e32 v26, v26, v32
	v_and_b32_e32 v20, v23, v20
	;; [unrolled: 1-line block ×3, first 2 shown]
	v_mbcnt_lo_u32_b32 v22, v20, 0
	v_mbcnt_hi_u32_b32 v32, v21, v22
	v_cmp_eq_u32_e32 vcc, 0, v32
	v_cmp_ne_u64_e64 s[0:1], 0, v[20:21]
	s_and_b64 s[2:3], s[0:1], vcc
	; wave barrier
	s_and_saveexec_b64 s[0:1], s[2:3]
	s_cbranch_execz .LBB2490_21
; %bb.20:
	v_bcnt_u32_b32 v20, v20, 0
	v_bcnt_u32_b32 v20, v21, v20
	s_waitcnt lgkmcnt(0)
	v_add_u32_e32 v20, v31, v20
	ds_write_b32 v25, v20 offset:64
.LBB2490_21:
	s_or_b64 exec, exec, s[0:1]
	v_not_b32_e32 v9, v9
	v_not_b32_e32 v8, v8
	v_lshrrev_b64 v[20:21], s16, v[8:9]
	v_and_b32_e32 v22, s27, v20
	v_and_b32_e32 v21, 1, v22
	v_add_co_u32_e32 v23, vcc, -1, v21
	v_addc_co_u32_e64 v34, s[0:1], 0, -1, vcc
	v_cmp_ne_u32_e32 vcc, 0, v21
	v_lshl_add_u32 v20, v22, 4, v22
	v_xor_b32_e32 v21, vcc_hi, v34
	v_add_lshl_u32 v26, v27, v20, 2
	v_mov_b32_e32 v20, 0
	v_and_b32_e32 v34, exec_hi, v21
	v_lshlrev_b32_e32 v21, 30, v22
	v_xor_b32_e32 v23, vcc_lo, v23
	v_cmp_gt_i64_e32 vcc, 0, v[20:21]
	v_not_b32_e32 v21, v21
	v_ashrrev_i32_e32 v21, 31, v21
	v_and_b32_e32 v23, exec_lo, v23
	v_xor_b32_e32 v35, vcc_hi, v21
	v_xor_b32_e32 v21, vcc_lo, v21
	v_and_b32_e32 v23, v23, v21
	v_lshlrev_b32_e32 v21, 29, v22
	v_cmp_gt_i64_e32 vcc, 0, v[20:21]
	v_not_b32_e32 v21, v21
	v_ashrrev_i32_e32 v21, 31, v21
	v_and_b32_e32 v34, v34, v35
	v_xor_b32_e32 v35, vcc_hi, v21
	v_xor_b32_e32 v21, vcc_lo, v21
	v_and_b32_e32 v23, v23, v21
	v_lshlrev_b32_e32 v21, 28, v22
	v_cmp_gt_i64_e32 vcc, 0, v[20:21]
	v_not_b32_e32 v21, v21
	v_ashrrev_i32_e32 v21, 31, v21
	v_and_b32_e32 v34, v34, v35
	;; [unrolled: 8-line block ×5, first 2 shown]
	v_xor_b32_e32 v35, vcc_hi, v21
	v_xor_b32_e32 v21, vcc_lo, v21
	v_and_b32_e32 v34, v34, v35
	v_and_b32_e32 v35, v23, v21
	v_lshlrev_b32_e32 v21, 24, v22
	v_cmp_gt_i64_e32 vcc, 0, v[20:21]
	v_not_b32_e32 v21, v21
	v_ashrrev_i32_e32 v21, 31, v21
	v_xor_b32_e32 v22, vcc_hi, v21
	v_xor_b32_e32 v21, vcc_lo, v21
	; wave barrier
	ds_read_b32 v33, v26 offset:64
	v_and_b32_e32 v23, v34, v22
	v_and_b32_e32 v22, v35, v21
	v_mbcnt_lo_u32_b32 v21, v22, 0
	v_mbcnt_hi_u32_b32 v34, v23, v21
	v_cmp_eq_u32_e32 vcc, 0, v34
	v_cmp_ne_u64_e64 s[0:1], 0, v[22:23]
	s_and_b64 s[2:3], s[0:1], vcc
	; wave barrier
	s_and_saveexec_b64 s[0:1], s[2:3]
	s_cbranch_execz .LBB2490_23
; %bb.22:
	v_bcnt_u32_b32 v21, v22, 0
	v_bcnt_u32_b32 v21, v23, v21
	s_waitcnt lgkmcnt(0)
	v_add_u32_e32 v21, v33, v21
	ds_write_b32 v26, v21 offset:64
.LBB2490_23:
	s_or_b64 exec, exec, s[0:1]
	v_not_b32_e32 v11, v11
	v_not_b32_e32 v10, v10
	v_lshrrev_b64 v[22:23], s16, v[10:11]
	v_and_b32_e32 v22, s27, v22
	v_lshl_add_u32 v21, v22, 4, v22
	v_add_lshl_u32 v38, v27, v21, 2
	v_and_b32_e32 v21, 1, v22
	v_add_co_u32_e32 v23, vcc, -1, v21
	v_addc_co_u32_e64 v36, s[0:1], 0, -1, vcc
	v_cmp_ne_u32_e32 vcc, 0, v21
	v_xor_b32_e32 v21, vcc_hi, v36
	v_and_b32_e32 v36, exec_hi, v21
	v_lshlrev_b32_e32 v21, 30, v22
	v_xor_b32_e32 v23, vcc_lo, v23
	v_cmp_gt_i64_e32 vcc, 0, v[20:21]
	v_not_b32_e32 v21, v21
	v_ashrrev_i32_e32 v21, 31, v21
	v_and_b32_e32 v23, exec_lo, v23
	v_xor_b32_e32 v37, vcc_hi, v21
	v_xor_b32_e32 v21, vcc_lo, v21
	v_and_b32_e32 v23, v23, v21
	v_lshlrev_b32_e32 v21, 29, v22
	v_cmp_gt_i64_e32 vcc, 0, v[20:21]
	v_not_b32_e32 v21, v21
	v_ashrrev_i32_e32 v21, 31, v21
	v_and_b32_e32 v36, v36, v37
	v_xor_b32_e32 v37, vcc_hi, v21
	v_xor_b32_e32 v21, vcc_lo, v21
	v_and_b32_e32 v23, v23, v21
	v_lshlrev_b32_e32 v21, 28, v22
	v_cmp_gt_i64_e32 vcc, 0, v[20:21]
	v_not_b32_e32 v21, v21
	v_ashrrev_i32_e32 v21, 31, v21
	v_and_b32_e32 v36, v36, v37
	v_xor_b32_e32 v37, vcc_hi, v21
	v_xor_b32_e32 v21, vcc_lo, v21
	v_and_b32_e32 v23, v23, v21
	v_lshlrev_b32_e32 v21, 27, v22
	v_cmp_gt_i64_e32 vcc, 0, v[20:21]
	v_not_b32_e32 v21, v21
	v_ashrrev_i32_e32 v21, 31, v21
	v_and_b32_e32 v36, v36, v37
	v_xor_b32_e32 v37, vcc_hi, v21
	v_xor_b32_e32 v21, vcc_lo, v21
	v_and_b32_e32 v23, v23, v21
	v_lshlrev_b32_e32 v21, 26, v22
	v_cmp_gt_i64_e32 vcc, 0, v[20:21]
	v_not_b32_e32 v21, v21
	v_ashrrev_i32_e32 v21, 31, v21
	v_and_b32_e32 v36, v36, v37
	v_xor_b32_e32 v37, vcc_hi, v21
	v_xor_b32_e32 v21, vcc_lo, v21
	v_and_b32_e32 v23, v23, v21
	v_lshlrev_b32_e32 v21, 25, v22
	v_cmp_gt_i64_e32 vcc, 0, v[20:21]
	v_not_b32_e32 v21, v21
	v_ashrrev_i32_e32 v21, 31, v21
	v_and_b32_e32 v36, v36, v37
	v_xor_b32_e32 v37, vcc_hi, v21
	v_xor_b32_e32 v21, vcc_lo, v21
	v_and_b32_e32 v23, v23, v21
	v_lshlrev_b32_e32 v21, 24, v22
	v_cmp_gt_i64_e32 vcc, 0, v[20:21]
	v_not_b32_e32 v20, v21
	v_ashrrev_i32_e32 v20, 31, v20
	v_xor_b32_e32 v21, vcc_hi, v20
	v_xor_b32_e32 v20, vcc_lo, v20
	; wave barrier
	ds_read_b32 v35, v38 offset:64
	v_and_b32_e32 v36, v36, v37
	v_and_b32_e32 v20, v23, v20
	;; [unrolled: 1-line block ×3, first 2 shown]
	v_mbcnt_lo_u32_b32 v22, v20, 0
	v_mbcnt_hi_u32_b32 v36, v21, v22
	v_cmp_eq_u32_e32 vcc, 0, v36
	v_cmp_ne_u64_e64 s[0:1], 0, v[20:21]
	s_and_b64 s[2:3], s[0:1], vcc
	; wave barrier
	s_and_saveexec_b64 s[0:1], s[2:3]
	s_cbranch_execz .LBB2490_25
; %bb.24:
	v_bcnt_u32_b32 v20, v20, 0
	v_bcnt_u32_b32 v20, v21, v20
	s_waitcnt lgkmcnt(0)
	v_add_u32_e32 v20, v35, v20
	ds_write_b32 v38, v20 offset:64
.LBB2490_25:
	s_or_b64 exec, exec, s[0:1]
	v_not_b32_e32 v13, v13
	v_not_b32_e32 v12, v12
	v_lshrrev_b64 v[20:21], s16, v[12:13]
	v_and_b32_e32 v22, s27, v20
	v_and_b32_e32 v21, 1, v22
	v_add_co_u32_e32 v23, vcc, -1, v21
	v_addc_co_u32_e64 v39, s[0:1], 0, -1, vcc
	v_cmp_ne_u32_e32 vcc, 0, v21
	v_lshl_add_u32 v20, v22, 4, v22
	v_xor_b32_e32 v21, vcc_hi, v39
	v_add_lshl_u32 v42, v27, v20, 2
	v_mov_b32_e32 v20, 0
	v_and_b32_e32 v39, exec_hi, v21
	v_lshlrev_b32_e32 v21, 30, v22
	v_xor_b32_e32 v23, vcc_lo, v23
	v_cmp_gt_i64_e32 vcc, 0, v[20:21]
	v_not_b32_e32 v21, v21
	v_ashrrev_i32_e32 v21, 31, v21
	v_and_b32_e32 v23, exec_lo, v23
	v_xor_b32_e32 v40, vcc_hi, v21
	v_xor_b32_e32 v21, vcc_lo, v21
	v_and_b32_e32 v23, v23, v21
	v_lshlrev_b32_e32 v21, 29, v22
	v_cmp_gt_i64_e32 vcc, 0, v[20:21]
	v_not_b32_e32 v21, v21
	v_ashrrev_i32_e32 v21, 31, v21
	v_and_b32_e32 v39, v39, v40
	v_xor_b32_e32 v40, vcc_hi, v21
	v_xor_b32_e32 v21, vcc_lo, v21
	v_and_b32_e32 v23, v23, v21
	v_lshlrev_b32_e32 v21, 28, v22
	v_cmp_gt_i64_e32 vcc, 0, v[20:21]
	v_not_b32_e32 v21, v21
	v_ashrrev_i32_e32 v21, 31, v21
	v_and_b32_e32 v39, v39, v40
	;; [unrolled: 8-line block ×5, first 2 shown]
	v_xor_b32_e32 v40, vcc_hi, v21
	v_xor_b32_e32 v21, vcc_lo, v21
	v_and_b32_e32 v39, v39, v40
	v_and_b32_e32 v40, v23, v21
	v_lshlrev_b32_e32 v21, 24, v22
	v_cmp_gt_i64_e32 vcc, 0, v[20:21]
	v_not_b32_e32 v21, v21
	v_ashrrev_i32_e32 v21, 31, v21
	v_xor_b32_e32 v22, vcc_hi, v21
	v_xor_b32_e32 v21, vcc_lo, v21
	; wave barrier
	ds_read_b32 v37, v42 offset:64
	v_and_b32_e32 v23, v39, v22
	v_and_b32_e32 v22, v40, v21
	v_mbcnt_lo_u32_b32 v21, v22, 0
	v_mbcnt_hi_u32_b32 v39, v23, v21
	v_cmp_eq_u32_e32 vcc, 0, v39
	v_cmp_ne_u64_e64 s[0:1], 0, v[22:23]
	s_and_b64 s[2:3], s[0:1], vcc
	; wave barrier
	s_and_saveexec_b64 s[0:1], s[2:3]
	s_cbranch_execz .LBB2490_27
; %bb.26:
	v_bcnt_u32_b32 v21, v22, 0
	v_bcnt_u32_b32 v21, v23, v21
	s_waitcnt lgkmcnt(0)
	v_add_u32_e32 v21, v37, v21
	ds_write_b32 v42, v21 offset:64
.LBB2490_27:
	s_or_b64 exec, exec, s[0:1]
	v_not_b32_e32 v17, v17
	v_not_b32_e32 v16, v16
	v_lshrrev_b64 v[22:23], s16, v[16:17]
	v_and_b32_e32 v22, s27, v22
	v_lshl_add_u32 v21, v22, 4, v22
	v_add_lshl_u32 v45, v27, v21, 2
	v_and_b32_e32 v21, 1, v22
	v_add_co_u32_e32 v23, vcc, -1, v21
	v_addc_co_u32_e64 v41, s[0:1], 0, -1, vcc
	v_cmp_ne_u32_e32 vcc, 0, v21
	v_xor_b32_e32 v21, vcc_hi, v41
	v_and_b32_e32 v41, exec_hi, v21
	v_lshlrev_b32_e32 v21, 30, v22
	v_xor_b32_e32 v23, vcc_lo, v23
	v_cmp_gt_i64_e32 vcc, 0, v[20:21]
	v_not_b32_e32 v21, v21
	v_ashrrev_i32_e32 v21, 31, v21
	v_and_b32_e32 v23, exec_lo, v23
	v_xor_b32_e32 v43, vcc_hi, v21
	v_xor_b32_e32 v21, vcc_lo, v21
	v_and_b32_e32 v23, v23, v21
	v_lshlrev_b32_e32 v21, 29, v22
	v_cmp_gt_i64_e32 vcc, 0, v[20:21]
	v_not_b32_e32 v21, v21
	v_ashrrev_i32_e32 v21, 31, v21
	v_and_b32_e32 v41, v41, v43
	v_xor_b32_e32 v43, vcc_hi, v21
	v_xor_b32_e32 v21, vcc_lo, v21
	v_and_b32_e32 v23, v23, v21
	v_lshlrev_b32_e32 v21, 28, v22
	v_cmp_gt_i64_e32 vcc, 0, v[20:21]
	v_not_b32_e32 v21, v21
	v_ashrrev_i32_e32 v21, 31, v21
	v_and_b32_e32 v41, v41, v43
	;; [unrolled: 8-line block ×5, first 2 shown]
	v_xor_b32_e32 v43, vcc_hi, v21
	v_xor_b32_e32 v21, vcc_lo, v21
	v_and_b32_e32 v23, v23, v21
	v_lshlrev_b32_e32 v21, 24, v22
	v_cmp_gt_i64_e32 vcc, 0, v[20:21]
	v_not_b32_e32 v20, v21
	v_ashrrev_i32_e32 v20, 31, v20
	v_xor_b32_e32 v21, vcc_hi, v20
	v_xor_b32_e32 v20, vcc_lo, v20
	; wave barrier
	ds_read_b32 v40, v45 offset:64
	v_and_b32_e32 v41, v41, v43
	v_and_b32_e32 v20, v23, v20
	;; [unrolled: 1-line block ×3, first 2 shown]
	v_mbcnt_lo_u32_b32 v22, v20, 0
	v_mbcnt_hi_u32_b32 v41, v21, v22
	v_cmp_eq_u32_e32 vcc, 0, v41
	v_cmp_ne_u64_e64 s[0:1], 0, v[20:21]
	s_and_b64 s[2:3], s[0:1], vcc
	; wave barrier
	s_and_saveexec_b64 s[0:1], s[2:3]
	s_cbranch_execz .LBB2490_29
; %bb.28:
	v_bcnt_u32_b32 v20, v20, 0
	v_bcnt_u32_b32 v20, v21, v20
	s_waitcnt lgkmcnt(0)
	v_add_u32_e32 v20, v40, v20
	ds_write_b32 v45, v20 offset:64
.LBB2490_29:
	s_or_b64 exec, exec, s[0:1]
	v_not_b32_e32 v21, v19
	v_not_b32_e32 v20, v18
	v_lshrrev_b64 v[18:19], s16, v[20:21]
	v_and_b32_e32 v22, s27, v18
	v_and_b32_e32 v19, 1, v22
	v_add_co_u32_e32 v23, vcc, -1, v19
	v_addc_co_u32_e64 v44, s[0:1], 0, -1, vcc
	v_cmp_ne_u32_e32 vcc, 0, v19
	v_lshl_add_u32 v18, v22, 4, v22
	v_xor_b32_e32 v19, vcc_hi, v44
	v_add_lshl_u32 v47, v27, v18, 2
	v_mov_b32_e32 v18, 0
	v_and_b32_e32 v44, exec_hi, v19
	v_lshlrev_b32_e32 v19, 30, v22
	v_xor_b32_e32 v23, vcc_lo, v23
	v_cmp_gt_i64_e32 vcc, 0, v[18:19]
	v_not_b32_e32 v19, v19
	v_ashrrev_i32_e32 v19, 31, v19
	v_and_b32_e32 v23, exec_lo, v23
	v_xor_b32_e32 v46, vcc_hi, v19
	v_xor_b32_e32 v19, vcc_lo, v19
	v_and_b32_e32 v23, v23, v19
	v_lshlrev_b32_e32 v19, 29, v22
	v_cmp_gt_i64_e32 vcc, 0, v[18:19]
	v_not_b32_e32 v19, v19
	v_ashrrev_i32_e32 v19, 31, v19
	v_and_b32_e32 v44, v44, v46
	v_xor_b32_e32 v46, vcc_hi, v19
	v_xor_b32_e32 v19, vcc_lo, v19
	v_and_b32_e32 v23, v23, v19
	v_lshlrev_b32_e32 v19, 28, v22
	v_cmp_gt_i64_e32 vcc, 0, v[18:19]
	v_not_b32_e32 v19, v19
	v_ashrrev_i32_e32 v19, 31, v19
	v_and_b32_e32 v44, v44, v46
	;; [unrolled: 8-line block ×5, first 2 shown]
	v_xor_b32_e32 v46, vcc_hi, v19
	v_xor_b32_e32 v19, vcc_lo, v19
	v_and_b32_e32 v44, v44, v46
	v_and_b32_e32 v46, v23, v19
	v_lshlrev_b32_e32 v19, 24, v22
	v_cmp_gt_i64_e32 vcc, 0, v[18:19]
	v_not_b32_e32 v19, v19
	v_ashrrev_i32_e32 v19, 31, v19
	v_xor_b32_e32 v22, vcc_hi, v19
	v_xor_b32_e32 v19, vcc_lo, v19
	; wave barrier
	ds_read_b32 v43, v47 offset:64
	v_and_b32_e32 v23, v44, v22
	v_and_b32_e32 v22, v46, v19
	v_mbcnt_lo_u32_b32 v19, v22, 0
	v_mbcnt_hi_u32_b32 v44, v23, v19
	v_cmp_eq_u32_e32 vcc, 0, v44
	v_cmp_ne_u64_e64 s[0:1], 0, v[22:23]
	s_and_b64 s[2:3], s[0:1], vcc
	; wave barrier
	s_and_saveexec_b64 s[0:1], s[2:3]
	s_cbranch_execz .LBB2490_31
; %bb.30:
	v_bcnt_u32_b32 v19, v22, 0
	v_bcnt_u32_b32 v19, v23, v19
	s_waitcnt lgkmcnt(0)
	v_add_u32_e32 v19, v43, v19
	ds_write_b32 v47, v19 offset:64
.LBB2490_31:
	s_or_b64 exec, exec, s[0:1]
	v_not_b32_e32 v15, v15
	v_not_b32_e32 v14, v14
	v_lshrrev_b64 v[22:23], s16, v[14:15]
	v_and_b32_e32 v22, s27, v22
	v_lshl_add_u32 v19, v22, 4, v22
	v_add_lshl_u32 v27, v27, v19, 2
	v_and_b32_e32 v19, 1, v22
	v_add_co_u32_e32 v23, vcc, -1, v19
	v_addc_co_u32_e64 v48, s[0:1], 0, -1, vcc
	v_cmp_ne_u32_e32 vcc, 0, v19
	v_xor_b32_e32 v19, vcc_hi, v48
	v_and_b32_e32 v48, exec_hi, v19
	v_lshlrev_b32_e32 v19, 30, v22
	v_xor_b32_e32 v23, vcc_lo, v23
	v_cmp_gt_i64_e32 vcc, 0, v[18:19]
	v_not_b32_e32 v19, v19
	v_ashrrev_i32_e32 v19, 31, v19
	v_and_b32_e32 v23, exec_lo, v23
	v_xor_b32_e32 v50, vcc_hi, v19
	v_xor_b32_e32 v19, vcc_lo, v19
	v_and_b32_e32 v23, v23, v19
	v_lshlrev_b32_e32 v19, 29, v22
	v_cmp_gt_i64_e32 vcc, 0, v[18:19]
	v_not_b32_e32 v19, v19
	v_ashrrev_i32_e32 v19, 31, v19
	v_and_b32_e32 v48, v48, v50
	v_xor_b32_e32 v50, vcc_hi, v19
	v_xor_b32_e32 v19, vcc_lo, v19
	v_and_b32_e32 v23, v23, v19
	v_lshlrev_b32_e32 v19, 28, v22
	v_cmp_gt_i64_e32 vcc, 0, v[18:19]
	v_not_b32_e32 v19, v19
	v_ashrrev_i32_e32 v19, 31, v19
	v_and_b32_e32 v48, v48, v50
	;; [unrolled: 8-line block ×5, first 2 shown]
	v_xor_b32_e32 v50, vcc_hi, v19
	v_xor_b32_e32 v19, vcc_lo, v19
	v_and_b32_e32 v23, v23, v19
	v_lshlrev_b32_e32 v19, 24, v22
	v_cmp_gt_i64_e32 vcc, 0, v[18:19]
	v_not_b32_e32 v18, v19
	v_ashrrev_i32_e32 v18, 31, v18
	v_xor_b32_e32 v19, vcc_hi, v18
	v_xor_b32_e32 v18, vcc_lo, v18
	; wave barrier
	ds_read_b32 v46, v27 offset:64
	v_and_b32_e32 v48, v48, v50
	v_and_b32_e32 v18, v23, v18
	;; [unrolled: 1-line block ×3, first 2 shown]
	v_mbcnt_lo_u32_b32 v22, v18, 0
	v_mbcnt_hi_u32_b32 v48, v19, v22
	v_cmp_eq_u32_e32 vcc, 0, v48
	v_cmp_ne_u64_e64 s[0:1], 0, v[18:19]
	v_add_u32_e32 v49, 64, v3
	s_and_b64 s[2:3], s[0:1], vcc
	; wave barrier
	s_and_saveexec_b64 s[0:1], s[2:3]
	s_cbranch_execz .LBB2490_33
; %bb.32:
	v_bcnt_u32_b32 v18, v18, 0
	v_bcnt_u32_b32 v18, v19, v18
	s_waitcnt lgkmcnt(0)
	v_add_u32_e32 v18, v46, v18
	ds_write_b32 v27, v18 offset:64
.LBB2490_33:
	s_or_b64 exec, exec, s[0:1]
	; wave barrier
	s_waitcnt lgkmcnt(0)
	s_barrier
	ds_read2_b32 v[22:23], v3 offset0:16 offset1:17
	ds_read2_b32 v[18:19], v49 offset0:2 offset1:3
	ds_read_b32 v50, v49 offset:16
	v_cmp_lt_u32_e64 s[10:11], 31, v1
	s_waitcnt lgkmcnt(1)
	v_add3_u32 v51, v23, v22, v18
	s_waitcnt lgkmcnt(0)
	v_add3_u32 v50, v51, v19, v50
	v_and_b32_e32 v51, 15, v1
	v_cmp_eq_u32_e32 vcc, 0, v51
	v_mov_b32_dpp v52, v50 row_shr:1 row_mask:0xf bank_mask:0xf
	v_cndmask_b32_e64 v52, v52, 0, vcc
	v_add_u32_e32 v50, v52, v50
	v_cmp_lt_u32_e64 s[0:1], 1, v51
	v_cmp_lt_u32_e64 s[2:3], 3, v51
	v_mov_b32_dpp v52, v50 row_shr:2 row_mask:0xf bank_mask:0xf
	v_cndmask_b32_e64 v52, 0, v52, s[0:1]
	v_add_u32_e32 v50, v50, v52
	v_cmp_lt_u32_e64 s[8:9], 7, v51
	s_nop 0
	v_mov_b32_dpp v52, v50 row_shr:4 row_mask:0xf bank_mask:0xf
	v_cndmask_b32_e64 v52, 0, v52, s[2:3]
	v_add_u32_e32 v50, v50, v52
	s_nop 1
	v_mov_b32_dpp v52, v50 row_shr:8 row_mask:0xf bank_mask:0xf
	v_cndmask_b32_e64 v51, 0, v52, s[8:9]
	v_add_u32_e32 v50, v50, v51
	v_bfe_i32 v52, v1, 4, 1
	s_nop 0
	v_mov_b32_dpp v51, v50 row_bcast:15 row_mask:0xf bank_mask:0xf
	v_and_b32_e32 v51, v52, v51
	v_add_u32_e32 v50, v50, v51
	v_and_b32_e32 v52, 63, v2
	s_nop 0
	v_mov_b32_dpp v51, v50 row_bcast:31 row_mask:0xf bank_mask:0xf
	v_cndmask_b32_e64 v51, 0, v51, s[10:11]
	v_add_u32_e32 v50, v50, v51
	v_lshrrev_b32_e32 v51, 6, v2
	v_cmp_eq_u32_e64 s[10:11], 63, v52
	s_and_saveexec_b64 s[18:19], s[10:11]
	s_cbranch_execz .LBB2490_35
; %bb.34:
	v_lshlrev_b32_e32 v52, 2, v51
	ds_write_b32 v52, v50
.LBB2490_35:
	s_or_b64 exec, exec, s[18:19]
	v_cmp_gt_u32_e64 s[10:11], 16, v2
	s_waitcnt lgkmcnt(0)
	s_barrier
	s_and_saveexec_b64 s[18:19], s[10:11]
	s_cbranch_execz .LBB2490_37
; %bb.36:
	v_lshlrev_b32_e32 v52, 2, v2
	ds_read_b32 v53, v52
	s_waitcnt lgkmcnt(0)
	s_nop 0
	v_mov_b32_dpp v54, v53 row_shr:1 row_mask:0xf bank_mask:0xf
	v_cndmask_b32_e64 v54, v54, 0, vcc
	v_add_u32_e32 v53, v54, v53
	s_nop 1
	v_mov_b32_dpp v54, v53 row_shr:2 row_mask:0xf bank_mask:0xf
	v_cndmask_b32_e64 v54, 0, v54, s[0:1]
	v_add_u32_e32 v53, v53, v54
	s_nop 1
	v_mov_b32_dpp v54, v53 row_shr:4 row_mask:0xf bank_mask:0xf
	v_cndmask_b32_e64 v54, 0, v54, s[2:3]
	;; [unrolled: 4-line block ×3, first 2 shown]
	v_add_u32_e32 v53, v53, v54
	ds_write_b32 v52, v53
.LBB2490_37:
	s_or_b64 exec, exec, s[18:19]
	v_cmp_lt_u32_e32 vcc, 63, v2
	v_mov_b32_e32 v52, 0
	s_waitcnt lgkmcnt(0)
	s_barrier
	s_and_saveexec_b64 s[0:1], vcc
	s_cbranch_execz .LBB2490_39
; %bb.38:
	v_lshl_add_u32 v51, v51, 2, -4
	ds_read_b32 v52, v51
.LBB2490_39:
	s_or_b64 exec, exec, s[0:1]
	v_add_u32_e32 v51, -1, v1
	v_and_b32_e32 v53, 64, v1
	v_cmp_lt_i32_e32 vcc, v51, v53
	v_cndmask_b32_e32 v51, v51, v1, vcc
	s_waitcnt lgkmcnt(0)
	v_add_u32_e32 v50, v52, v50
	v_lshlrev_b32_e32 v51, 2, v51
	ds_bpermute_b32 v50, v51, v50
	v_cmp_eq_u32_e32 vcc, 0, v1
	s_movk_i32 s2, 0xff
	s_movk_i32 s0, 0x100
	v_cmp_gt_u32_e64 s[0:1], s0, v2
	s_waitcnt lgkmcnt(0)
	v_cndmask_b32_e32 v1, v50, v52, vcc
	v_cmp_ne_u32_e32 vcc, 0, v2
	v_cndmask_b32_e32 v1, 0, v1, vcc
	v_add_u32_e32 v22, v1, v22
	v_add_u32_e32 v23, v22, v23
	;; [unrolled: 1-line block ×4, first 2 shown]
	ds_write2_b32 v3, v1, v22 offset0:16 offset1:17
	ds_write2_b32 v49, v23, v18 offset0:2 offset1:3
	ds_write_b32 v49, v19 offset:16
	s_waitcnt lgkmcnt(0)
	s_barrier
	ds_read_b32 v51, v24 offset:64
	ds_read_b32 v1, v25 offset:64
	;; [unrolled: 1-line block ×8, first 2 shown]
	v_cmp_lt_u32_e32 vcc, s2, v2
	v_pk_mov_b32 v[18:19], 0, 0
                                        ; implicit-def: $vgpr38
	s_and_saveexec_b64 s[8:9], s[0:1]
	s_cbranch_execz .LBB2490_43
; %bb.40:
	v_mul_u32_u24_e32 v3, 17, v2
	v_lshlrev_b32_e32 v19, 2, v3
	ds_read_b32 v18, v19 offset:64
	v_cmp_ne_u32_e64 s[2:3], s2, v2
	v_mov_b32_e32 v3, 0x2000
	s_and_saveexec_b64 s[10:11], s[2:3]
	s_cbranch_execz .LBB2490_42
; %bb.41:
	ds_read_b32 v3, v19 offset:132
.LBB2490_42:
	s_or_b64 exec, exec, s[10:11]
	s_waitcnt lgkmcnt(0)
	v_sub_u32_e32 v38, v3, v18
	v_mov_b32_e32 v19, 0
.LBB2490_43:
	s_or_b64 exec, exec, s[8:9]
	s_waitcnt lgkmcnt(0)
	s_barrier
	s_and_saveexec_b64 s[2:3], vcc
	s_xor_b64 s[2:3], exec, s[2:3]
; %bb.44:
	v_mov_b32_e32 v3, 0
; %bb.45:
	s_andn2_saveexec_b64 s[2:3], s[2:3]
	s_cbranch_execz .LBB2490_55
; %bb.46:
	v_lshl_or_b32 v22, s6, 8, v2
	v_mov_b32_e32 v23, 0
	v_lshlrev_b64 v[24:25], 2, v[22:23]
	v_mov_b32_e32 v3, s25
	v_add_co_u32_e32 v24, vcc, s24, v24
	v_addc_co_u32_e32 v25, vcc, v3, v25, vcc
	v_or_b32_e32 v22, 2.0, v38
	s_mov_b64 s[8:9], 0
	s_brev_b32 s28, 1
	s_mov_b32 s29, s6
	v_mov_b32_e32 v53, 0
	global_store_dword v[24:25], v22, off
                                        ; implicit-def: $sgpr10_sgpr11
	s_branch .LBB2490_48
.LBB2490_47:                            ;   in Loop: Header=BB2490_48 Depth=1
	s_or_b64 exec, exec, s[10:11]
	v_and_b32_e32 v26, 0x3fffffff, v54
	v_add_u32_e32 v53, v26, v53
	v_cmp_eq_u32_e64 s[10:11], s28, v22
	s_and_b64 s[18:19], exec, s[10:11]
	s_or_b64 s[8:9], s[18:19], s[8:9]
	s_andn2_b64 exec, exec, s[8:9]
	s_cbranch_execz .LBB2490_54
.LBB2490_48:                            ; =>This Loop Header: Depth=1
                                        ;     Child Loop BB2490_51 Depth 2
	s_or_b64 s[10:11], s[10:11], exec
	s_cmp_eq_u32 s29, 0
	s_cbranch_scc1 .LBB2490_53
; %bb.49:                               ;   in Loop: Header=BB2490_48 Depth=1
	s_add_i32 s29, s29, -1
	v_lshl_or_b32 v22, s29, 8, v2
	v_lshlrev_b64 v[26:27], 2, v[22:23]
	v_add_co_u32_e32 v26, vcc, s24, v26
	v_addc_co_u32_e32 v27, vcc, v3, v27, vcc
	global_load_dword v54, v[26:27], off glc
	s_waitcnt vmcnt(0)
	v_and_b32_e32 v22, -2.0, v54
	v_cmp_eq_u32_e32 vcc, 0, v22
	s_and_saveexec_b64 s[10:11], vcc
	s_cbranch_execz .LBB2490_47
; %bb.50:                               ;   in Loop: Header=BB2490_48 Depth=1
	s_mov_b64 s[18:19], 0
.LBB2490_51:                            ;   Parent Loop BB2490_48 Depth=1
                                        ; =>  This Inner Loop Header: Depth=2
	global_load_dword v54, v[26:27], off glc
	s_waitcnt vmcnt(0)
	v_and_b32_e32 v22, -2.0, v54
	v_cmp_ne_u32_e32 vcc, 0, v22
	s_or_b64 s[18:19], vcc, s[18:19]
	s_andn2_b64 exec, exec, s[18:19]
	s_cbranch_execnz .LBB2490_51
; %bb.52:                               ;   in Loop: Header=BB2490_48 Depth=1
	s_or_b64 exec, exec, s[18:19]
	s_branch .LBB2490_47
.LBB2490_53:                            ;   in Loop: Header=BB2490_48 Depth=1
                                        ; implicit-def: $sgpr29
	s_and_b64 s[18:19], exec, s[10:11]
	s_or_b64 s[8:9], s[18:19], s[8:9]
	s_andn2_b64 exec, exec, s[8:9]
	s_cbranch_execnz .LBB2490_48
.LBB2490_54:
	s_or_b64 exec, exec, s[8:9]
	v_add_u32_e32 v3, v53, v38
	v_or_b32_e32 v3, 0x80000000, v3
	global_store_dword v[24:25], v3, off
	global_load_dwordx2 v[22:23], v29, s[12:13]
	v_sub_co_u32_e32 v24, vcc, v53, v18
	v_subb_co_u32_e32 v25, vcc, 0, v19, vcc
	v_mov_b32_e32 v3, 0
	s_waitcnt vmcnt(0)
	v_add_co_u32_e32 v22, vcc, v24, v22
	v_addc_co_u32_e32 v23, vcc, v25, v23, vcc
	ds_write_b64 v29, v[22:23]
.LBB2490_55:
	s_or_b64 exec, exec, s[2:3]
	v_add_u32_e32 v23, v51, v30
	v_add3_u32 v30, v39, v42, v37
	v_add3_u32 v35, v36, v50, v35
	v_lshlrev_b64 v[36:37], 3, v[2:3]
	v_add3_u32 v31, v32, v1, v31
	v_mov_b32_e32 v1, s23
	v_add_co_u32_e32 v22, vcc, s22, v36
	v_add_u32_e32 v24, 0x800, v29
	v_add3_u32 v25, v48, v52, v46
	v_add3_u32 v26, v44, v47, v43
	;; [unrolled: 1-line block ×4, first 2 shown]
	v_addc_co_u32_e32 v1, vcc, v1, v37, vcc
	s_mov_b32 s8, 0
	v_mov_b32_e32 v32, v2
	s_branch .LBB2490_57
.LBB2490_56:                            ;   in Loop: Header=BB2490_57 Depth=1
	s_or_b64 exec, exec, s[2:3]
	s_addk_i32 s8, 0xf800
	v_add_co_u32_e32 v22, vcc, 0x4000, v22
	v_addc_co_u32_e32 v1, vcc, 0, v1, vcc
	s_cmpk_eq_i32 s8, 0xe000
	v_add_u32_e32 v32, 0x800, v32
	s_barrier
	s_cbranch_scc1 .LBB2490_62
.LBB2490_57:                            ; =>This Inner Loop Header: Depth=1
	v_add_u32_e32 v34, s8, v23
	v_min_u32_e32 v34, 0x800, v34
	v_lshlrev_b32_e32 v34, 3, v34
	ds_write_b64 v34, v[4:5] offset:2048
	v_add_u32_e32 v34, s8, v31
	v_min_u32_e32 v34, 0x800, v34
	v_lshlrev_b32_e32 v34, 3, v34
	ds_write_b64 v34, v[6:7] offset:2048
	;; [unrolled: 4-line block ×7, first 2 shown]
	v_add_u32_e32 v34, s8, v25
	v_min_u32_e32 v34, 0x800, v34
	v_lshlrev_b32_e32 v34, 3, v34
	v_cmp_gt_u32_e32 vcc, s7, v32
	ds_write_b64 v34, v[14:15] offset:2048
	s_waitcnt lgkmcnt(0)
	s_barrier
	s_and_saveexec_b64 s[2:3], vcc
	s_cbranch_execz .LBB2490_59
; %bb.58:                               ;   in Loop: Header=BB2490_57 Depth=1
	ds_read_b64 v[36:37], v29 offset:2048
	s_waitcnt lgkmcnt(0)
	v_lshrrev_b64 v[40:41], s16, v[36:37]
	v_and_b32_e32 v34, s27, v40
	v_lshlrev_b32_e32 v34, 3, v34
	ds_read_b64 v[40:41], v34
	v_not_b32_e32 v37, v37
	v_not_b32_e32 v36, v36
	s_waitcnt lgkmcnt(0)
	v_lshlrev_b64 v[40:41], 3, v[40:41]
	v_add_co_u32_e32 v40, vcc, v22, v40
	v_addc_co_u32_e32 v41, vcc, v1, v41, vcc
	global_store_dwordx2 v[40:41], v[36:37], off
.LBB2490_59:                            ;   in Loop: Header=BB2490_57 Depth=1
	s_or_b64 exec, exec, s[2:3]
	v_add_u32_e32 v34, 0x400, v32
	v_cmp_gt_u32_e32 vcc, s7, v34
	s_and_saveexec_b64 s[2:3], vcc
	s_cbranch_execz .LBB2490_56
; %bb.60:                               ;   in Loop: Header=BB2490_57 Depth=1
	ds_read_b64 v[36:37], v24 offset:8192
	s_waitcnt lgkmcnt(0)
	v_lshrrev_b64 v[40:41], s16, v[36:37]
	v_and_b32_e32 v34, s27, v40
	v_lshlrev_b32_e32 v34, 3, v34
	ds_read_b64 v[40:41], v34
	v_not_b32_e32 v37, v37
	v_not_b32_e32 v36, v36
	s_waitcnt lgkmcnt(0)
	v_lshlrev_b64 v[40:41], 3, v[40:41]
	v_add_co_u32_e32 v34, vcc, v22, v40
	v_addc_co_u32_e32 v39, vcc, v1, v41, vcc
	v_add_co_u32_e32 v40, vcc, 0x2000, v34
	v_addc_co_u32_e32 v41, vcc, 0, v39, vcc
	global_store_dwordx2 v[40:41], v[36:37], off
	s_branch .LBB2490_56
.LBB2490_61:
	s_mov_b64 s[0:1], 0
                                        ; implicit-def: $vgpr2
                                        ; implicit-def: $vgpr18_vgpr19
                                        ; implicit-def: $vgpr38
	s_cbranch_execnz .LBB2490_63
	s_branch .LBB2490_104
.LBB2490_62:
	s_add_i32 s26, s26, -1
	s_cmp_eq_u32 s26, s6
	s_cselect_b64 s[2:3], -1, 0
	s_and_b64 s[0:1], s[0:1], s[2:3]
	s_branch .LBB2490_104
.LBB2490_63:
	s_lshl_b32 s0, s6, 13
	s_mov_b32 s1, 0
	v_mbcnt_hi_u32_b32 v3, -1, v28
	s_lshl_b64 s[0:1], s[0:1], 3
	v_and_b32_e32 v1, 63, v3
	s_add_u32 s0, s20, s0
	v_lshlrev_b32_e32 v1, 3, v1
	v_add_co_u32_e32 v1, vcc, s0, v1
	s_load_dword s7, s[4:5], 0x58
	s_load_dword s0, s[4:5], 0x64
	v_and_b32_e32 v2, 0x3ff, v0
	s_addc_u32 s1, s21, s1
	v_mov_b32_e32 v4, s1
	v_lshlrev_b32_e32 v5, 6, v2
	v_addc_co_u32_e32 v4, vcc, 0, v4, vcc
	v_and_b32_e32 v5, 0xf000, v5
	s_add_u32 s1, s4, 0x58
	v_add_co_u32_e32 v20, vcc, v1, v5
	s_addc_u32 s2, s5, 0
	s_waitcnt lgkmcnt(0)
	s_lshr_b32 s3, s0, 16
	v_addc_co_u32_e32 v21, vcc, 0, v4, vcc
	s_cmp_lt_u32 s6, s7
	global_load_dwordx2 v[24:25], v[20:21], off
	s_cselect_b32 s0, 12, 18
	s_add_u32 s0, s1, s0
	v_mov_b32_e32 v6, 0
	s_addc_u32 s1, s2, 0
	global_load_ushort v7, v6, s[0:1]
	v_mul_u32_u24_e32 v4, 5, v2
	v_lshlrev_b32_e32 v22, 2, v4
	ds_write2_b32 v22, v6, v6 offset0:16 offset1:17
	ds_write2_b32 v22, v6, v6 offset0:18 offset1:19
	ds_write_b32 v22, v6 offset:80
	global_load_dwordx2 v[4:5], v[20:21], off offset:512
	global_load_dwordx2 v[18:19], v[20:21], off offset:1024
	;; [unrolled: 1-line block ×7, first 2 shown]
	v_bfe_u32 v1, v0, 10, 10
	v_bfe_u32 v0, v0, 20, 10
	v_mad_u32_u24 v23, v0, s3, v1
	s_lshl_b32 s0, -1, s17
	s_not_b32 s17, s0
	s_waitcnt lgkmcnt(0)
	s_barrier
	s_waitcnt lgkmcnt(0)
	; wave barrier
	s_waitcnt vmcnt(8)
	v_not_b32_e32 v1, v25
	v_not_b32_e32 v0, v24
	v_lshrrev_b64 v[20:21], s16, v[0:1]
	v_and_b32_e32 v24, s17, v20
	s_waitcnt vmcnt(7)
	v_mad_u64_u32 v[20:21], s[0:1], v23, v7, v[2:3]
	v_and_b32_e32 v23, 1, v24
	v_lshrrev_b32_e32 v25, 6, v20
	v_add_co_u32_e32 v20, vcc, -1, v23
	v_lshlrev_b32_e32 v7, 30, v24
	v_addc_co_u32_e64 v26, s[0:1], 0, -1, vcc
	v_lshl_add_u32 v21, v24, 4, v24
	v_cmp_ne_u32_e32 vcc, 0, v23
	v_cmp_gt_i64_e64 s[0:1], 0, v[6:7]
	v_not_b32_e32 v27, v7
	v_lshlrev_b32_e32 v7, 29, v24
	v_add_lshl_u32 v23, v25, v21, 2
	v_xor_b32_e32 v21, vcc_hi, v26
	v_xor_b32_e32 v20, vcc_lo, v20
	v_ashrrev_i32_e32 v26, 31, v27
	v_cmp_gt_i64_e32 vcc, 0, v[6:7]
	v_not_b32_e32 v27, v7
	v_lshlrev_b32_e32 v7, 28, v24
	v_and_b32_e32 v21, exec_hi, v21
	v_and_b32_e32 v20, exec_lo, v20
	v_xor_b32_e32 v28, s1, v26
	v_xor_b32_e32 v26, s0, v26
	v_ashrrev_i32_e32 v27, 31, v27
	v_cmp_gt_i64_e64 s[0:1], 0, v[6:7]
	v_not_b32_e32 v29, v7
	v_lshlrev_b32_e32 v7, 27, v24
	v_and_b32_e32 v21, v21, v28
	v_and_b32_e32 v20, v20, v26
	v_xor_b32_e32 v26, vcc_hi, v27
	v_xor_b32_e32 v27, vcc_lo, v27
	v_ashrrev_i32_e32 v28, 31, v29
	v_cmp_gt_i64_e32 vcc, 0, v[6:7]
	v_not_b32_e32 v7, v7
	v_and_b32_e32 v21, v21, v26
	v_and_b32_e32 v20, v20, v27
	v_xor_b32_e32 v26, s1, v28
	v_xor_b32_e32 v27, s0, v28
	v_ashrrev_i32_e32 v7, 31, v7
	v_and_b32_e32 v21, v21, v26
	v_and_b32_e32 v20, v20, v27
	v_xor_b32_e32 v26, vcc_hi, v7
	v_xor_b32_e32 v7, vcc_lo, v7
	v_and_b32_e32 v20, v20, v7
	v_lshlrev_b32_e32 v7, 26, v24
	v_cmp_gt_i64_e32 vcc, 0, v[6:7]
	v_not_b32_e32 v7, v7
	v_ashrrev_i32_e32 v7, 31, v7
	v_and_b32_e32 v21, v21, v26
	v_xor_b32_e32 v26, vcc_hi, v7
	v_xor_b32_e32 v7, vcc_lo, v7
	v_and_b32_e32 v20, v20, v7
	v_lshlrev_b32_e32 v7, 25, v24
	v_cmp_gt_i64_e32 vcc, 0, v[6:7]
	v_not_b32_e32 v7, v7
	v_ashrrev_i32_e32 v7, 31, v7
	;; [unrolled: 8-line block ×3, first 2 shown]
	v_xor_b32_e32 v24, vcc_hi, v7
	v_xor_b32_e32 v7, vcc_lo, v7
	v_and_b32_e32 v21, v21, v26
	v_and_b32_e32 v20, v20, v7
	;; [unrolled: 1-line block ×3, first 2 shown]
	v_mbcnt_lo_u32_b32 v7, v20, 0
	v_mbcnt_hi_u32_b32 v26, v21, v7
	v_cmp_eq_u32_e32 vcc, 0, v26
	v_cmp_ne_u64_e64 s[0:1], 0, v[20:21]
	s_and_b64 s[2:3], s[0:1], vcc
	s_and_saveexec_b64 s[0:1], s[2:3]
	s_cbranch_execz .LBB2490_65
; %bb.64:
	v_bcnt_u32_b32 v7, v20, 0
	v_bcnt_u32_b32 v7, v21, v7
	ds_write_b32 v23, v7 offset:64
.LBB2490_65:
	s_or_b64 exec, exec, s[0:1]
	s_waitcnt vmcnt(6)
	v_not_b32_e32 v5, v5
	v_not_b32_e32 v4, v4
	v_lshrrev_b64 v[20:21], s16, v[4:5]
	v_and_b32_e32 v20, s17, v20
	v_lshl_add_u32 v7, v20, 4, v20
	v_add_lshl_u32 v24, v25, v7, 2
	v_and_b32_e32 v7, 1, v20
	v_add_co_u32_e32 v21, vcc, -1, v7
	v_addc_co_u32_e64 v28, s[0:1], 0, -1, vcc
	v_cmp_ne_u32_e32 vcc, 0, v7
	v_xor_b32_e32 v7, vcc_hi, v28
	v_and_b32_e32 v28, exec_hi, v7
	v_lshlrev_b32_e32 v7, 30, v20
	v_xor_b32_e32 v21, vcc_lo, v21
	v_cmp_gt_i64_e32 vcc, 0, v[6:7]
	v_not_b32_e32 v7, v7
	v_ashrrev_i32_e32 v7, 31, v7
	v_and_b32_e32 v21, exec_lo, v21
	v_xor_b32_e32 v29, vcc_hi, v7
	v_xor_b32_e32 v7, vcc_lo, v7
	v_and_b32_e32 v21, v21, v7
	v_lshlrev_b32_e32 v7, 29, v20
	v_cmp_gt_i64_e32 vcc, 0, v[6:7]
	v_not_b32_e32 v7, v7
	v_ashrrev_i32_e32 v7, 31, v7
	v_and_b32_e32 v28, v28, v29
	v_xor_b32_e32 v29, vcc_hi, v7
	v_xor_b32_e32 v7, vcc_lo, v7
	v_and_b32_e32 v21, v21, v7
	v_lshlrev_b32_e32 v7, 28, v20
	v_cmp_gt_i64_e32 vcc, 0, v[6:7]
	v_not_b32_e32 v7, v7
	v_ashrrev_i32_e32 v7, 31, v7
	v_and_b32_e32 v28, v28, v29
	;; [unrolled: 8-line block ×5, first 2 shown]
	v_xor_b32_e32 v29, vcc_hi, v7
	v_xor_b32_e32 v7, vcc_lo, v7
	v_and_b32_e32 v21, v21, v7
	v_lshlrev_b32_e32 v7, 24, v20
	v_cmp_gt_i64_e32 vcc, 0, v[6:7]
	v_not_b32_e32 v6, v7
	v_ashrrev_i32_e32 v6, 31, v6
	v_xor_b32_e32 v7, vcc_hi, v6
	v_xor_b32_e32 v6, vcc_lo, v6
	; wave barrier
	ds_read_b32 v27, v24 offset:64
	v_and_b32_e32 v28, v28, v29
	v_and_b32_e32 v6, v21, v6
	;; [unrolled: 1-line block ×3, first 2 shown]
	v_mbcnt_lo_u32_b32 v20, v6, 0
	v_mbcnt_hi_u32_b32 v28, v7, v20
	v_cmp_eq_u32_e32 vcc, 0, v28
	v_cmp_ne_u64_e64 s[0:1], 0, v[6:7]
	s_and_b64 s[2:3], s[0:1], vcc
	; wave barrier
	s_and_saveexec_b64 s[0:1], s[2:3]
	s_cbranch_execz .LBB2490_67
; %bb.66:
	v_bcnt_u32_b32 v6, v6, 0
	v_bcnt_u32_b32 v6, v7, v6
	s_waitcnt lgkmcnt(0)
	v_add_u32_e32 v6, v27, v6
	ds_write_b32 v24, v6 offset:64
.LBB2490_67:
	s_or_b64 exec, exec, s[0:1]
	s_waitcnt vmcnt(5)
	v_not_b32_e32 v7, v19
	v_not_b32_e32 v6, v18
	v_lshrrev_b64 v[18:19], s16, v[6:7]
	v_and_b32_e32 v20, s17, v18
	v_and_b32_e32 v19, 1, v20
	v_add_co_u32_e32 v21, vcc, -1, v19
	v_addc_co_u32_e64 v30, s[0:1], 0, -1, vcc
	v_cmp_ne_u32_e32 vcc, 0, v19
	v_lshl_add_u32 v18, v20, 4, v20
	v_xor_b32_e32 v19, vcc_hi, v30
	v_add_lshl_u32 v33, v25, v18, 2
	v_mov_b32_e32 v18, 0
	v_and_b32_e32 v30, exec_hi, v19
	v_lshlrev_b32_e32 v19, 30, v20
	v_xor_b32_e32 v21, vcc_lo, v21
	v_cmp_gt_i64_e32 vcc, 0, v[18:19]
	v_not_b32_e32 v19, v19
	v_ashrrev_i32_e32 v19, 31, v19
	v_and_b32_e32 v21, exec_lo, v21
	v_xor_b32_e32 v31, vcc_hi, v19
	v_xor_b32_e32 v19, vcc_lo, v19
	v_and_b32_e32 v21, v21, v19
	v_lshlrev_b32_e32 v19, 29, v20
	v_cmp_gt_i64_e32 vcc, 0, v[18:19]
	v_not_b32_e32 v19, v19
	v_ashrrev_i32_e32 v19, 31, v19
	v_and_b32_e32 v30, v30, v31
	v_xor_b32_e32 v31, vcc_hi, v19
	v_xor_b32_e32 v19, vcc_lo, v19
	v_and_b32_e32 v21, v21, v19
	v_lshlrev_b32_e32 v19, 28, v20
	v_cmp_gt_i64_e32 vcc, 0, v[18:19]
	v_not_b32_e32 v19, v19
	v_ashrrev_i32_e32 v19, 31, v19
	v_and_b32_e32 v30, v30, v31
	v_xor_b32_e32 v31, vcc_hi, v19
	v_xor_b32_e32 v19, vcc_lo, v19
	v_and_b32_e32 v21, v21, v19
	v_lshlrev_b32_e32 v19, 27, v20
	v_cmp_gt_i64_e32 vcc, 0, v[18:19]
	v_not_b32_e32 v19, v19
	v_ashrrev_i32_e32 v19, 31, v19
	v_and_b32_e32 v30, v30, v31
	v_xor_b32_e32 v31, vcc_hi, v19
	v_xor_b32_e32 v19, vcc_lo, v19
	v_and_b32_e32 v21, v21, v19
	v_lshlrev_b32_e32 v19, 26, v20
	v_cmp_gt_i64_e32 vcc, 0, v[18:19]
	v_not_b32_e32 v19, v19
	v_ashrrev_i32_e32 v19, 31, v19
	v_and_b32_e32 v30, v30, v31
	v_xor_b32_e32 v31, vcc_hi, v19
	v_xor_b32_e32 v19, vcc_lo, v19
	v_and_b32_e32 v21, v21, v19
	v_lshlrev_b32_e32 v19, 25, v20
	v_cmp_gt_i64_e32 vcc, 0, v[18:19]
	v_not_b32_e32 v19, v19
	v_ashrrev_i32_e32 v19, 31, v19
	v_and_b32_e32 v30, v30, v31
	v_xor_b32_e32 v31, vcc_hi, v19
	v_xor_b32_e32 v19, vcc_lo, v19
	v_and_b32_e32 v30, v30, v31
	v_and_b32_e32 v31, v21, v19
	v_lshlrev_b32_e32 v19, 24, v20
	v_cmp_gt_i64_e32 vcc, 0, v[18:19]
	v_not_b32_e32 v19, v19
	v_ashrrev_i32_e32 v19, 31, v19
	v_xor_b32_e32 v20, vcc_hi, v19
	v_xor_b32_e32 v19, vcc_lo, v19
	; wave barrier
	ds_read_b32 v29, v33 offset:64
	v_and_b32_e32 v21, v30, v20
	v_and_b32_e32 v20, v31, v19
	v_mbcnt_lo_u32_b32 v19, v20, 0
	v_mbcnt_hi_u32_b32 v30, v21, v19
	v_cmp_eq_u32_e32 vcc, 0, v30
	v_cmp_ne_u64_e64 s[0:1], 0, v[20:21]
	s_and_b64 s[2:3], s[0:1], vcc
	; wave barrier
	s_and_saveexec_b64 s[0:1], s[2:3]
	s_cbranch_execz .LBB2490_69
; %bb.68:
	v_bcnt_u32_b32 v19, v20, 0
	v_bcnt_u32_b32 v19, v21, v19
	s_waitcnt lgkmcnt(0)
	v_add_u32_e32 v19, v29, v19
	ds_write_b32 v33, v19 offset:64
.LBB2490_69:
	s_or_b64 exec, exec, s[0:1]
	s_waitcnt vmcnt(4)
	v_not_b32_e32 v9, v9
	v_not_b32_e32 v8, v8
	v_lshrrev_b64 v[20:21], s16, v[8:9]
	v_and_b32_e32 v20, s17, v20
	v_lshl_add_u32 v19, v20, 4, v20
	v_add_lshl_u32 v36, v25, v19, 2
	v_and_b32_e32 v19, 1, v20
	v_add_co_u32_e32 v21, vcc, -1, v19
	v_addc_co_u32_e64 v32, s[0:1], 0, -1, vcc
	v_cmp_ne_u32_e32 vcc, 0, v19
	v_xor_b32_e32 v19, vcc_hi, v32
	v_and_b32_e32 v32, exec_hi, v19
	v_lshlrev_b32_e32 v19, 30, v20
	v_xor_b32_e32 v21, vcc_lo, v21
	v_cmp_gt_i64_e32 vcc, 0, v[18:19]
	v_not_b32_e32 v19, v19
	v_ashrrev_i32_e32 v19, 31, v19
	v_and_b32_e32 v21, exec_lo, v21
	v_xor_b32_e32 v34, vcc_hi, v19
	v_xor_b32_e32 v19, vcc_lo, v19
	v_and_b32_e32 v21, v21, v19
	v_lshlrev_b32_e32 v19, 29, v20
	v_cmp_gt_i64_e32 vcc, 0, v[18:19]
	v_not_b32_e32 v19, v19
	v_ashrrev_i32_e32 v19, 31, v19
	v_and_b32_e32 v32, v32, v34
	v_xor_b32_e32 v34, vcc_hi, v19
	v_xor_b32_e32 v19, vcc_lo, v19
	v_and_b32_e32 v21, v21, v19
	v_lshlrev_b32_e32 v19, 28, v20
	v_cmp_gt_i64_e32 vcc, 0, v[18:19]
	v_not_b32_e32 v19, v19
	v_ashrrev_i32_e32 v19, 31, v19
	v_and_b32_e32 v32, v32, v34
	;; [unrolled: 8-line block ×5, first 2 shown]
	v_xor_b32_e32 v34, vcc_hi, v19
	v_xor_b32_e32 v19, vcc_lo, v19
	v_and_b32_e32 v21, v21, v19
	v_lshlrev_b32_e32 v19, 24, v20
	v_cmp_gt_i64_e32 vcc, 0, v[18:19]
	v_not_b32_e32 v18, v19
	v_ashrrev_i32_e32 v18, 31, v18
	v_xor_b32_e32 v19, vcc_hi, v18
	v_xor_b32_e32 v18, vcc_lo, v18
	; wave barrier
	ds_read_b32 v31, v36 offset:64
	v_and_b32_e32 v32, v32, v34
	v_and_b32_e32 v18, v21, v18
	;; [unrolled: 1-line block ×3, first 2 shown]
	v_mbcnt_lo_u32_b32 v20, v18, 0
	v_mbcnt_hi_u32_b32 v32, v19, v20
	v_cmp_eq_u32_e32 vcc, 0, v32
	v_cmp_ne_u64_e64 s[0:1], 0, v[18:19]
	s_and_b64 s[2:3], s[0:1], vcc
	; wave barrier
	s_and_saveexec_b64 s[0:1], s[2:3]
	s_cbranch_execz .LBB2490_71
; %bb.70:
	v_bcnt_u32_b32 v18, v18, 0
	v_bcnt_u32_b32 v18, v19, v18
	s_waitcnt lgkmcnt(0)
	v_add_u32_e32 v18, v31, v18
	ds_write_b32 v36, v18 offset:64
.LBB2490_71:
	s_or_b64 exec, exec, s[0:1]
	s_waitcnt vmcnt(3)
	v_not_b32_e32 v11, v11
	v_not_b32_e32 v10, v10
	v_lshrrev_b64 v[18:19], s16, v[10:11]
	v_and_b32_e32 v20, s17, v18
	v_and_b32_e32 v19, 1, v20
	v_add_co_u32_e32 v21, vcc, -1, v19
	v_addc_co_u32_e64 v35, s[0:1], 0, -1, vcc
	v_cmp_ne_u32_e32 vcc, 0, v19
	v_lshl_add_u32 v18, v20, 4, v20
	v_xor_b32_e32 v19, vcc_hi, v35
	v_add_lshl_u32 v38, v25, v18, 2
	v_mov_b32_e32 v18, 0
	v_and_b32_e32 v35, exec_hi, v19
	v_lshlrev_b32_e32 v19, 30, v20
	v_xor_b32_e32 v21, vcc_lo, v21
	v_cmp_gt_i64_e32 vcc, 0, v[18:19]
	v_not_b32_e32 v19, v19
	v_ashrrev_i32_e32 v19, 31, v19
	v_and_b32_e32 v21, exec_lo, v21
	v_xor_b32_e32 v37, vcc_hi, v19
	v_xor_b32_e32 v19, vcc_lo, v19
	v_and_b32_e32 v21, v21, v19
	v_lshlrev_b32_e32 v19, 29, v20
	v_cmp_gt_i64_e32 vcc, 0, v[18:19]
	v_not_b32_e32 v19, v19
	v_ashrrev_i32_e32 v19, 31, v19
	v_and_b32_e32 v35, v35, v37
	v_xor_b32_e32 v37, vcc_hi, v19
	v_xor_b32_e32 v19, vcc_lo, v19
	v_and_b32_e32 v21, v21, v19
	v_lshlrev_b32_e32 v19, 28, v20
	v_cmp_gt_i64_e32 vcc, 0, v[18:19]
	v_not_b32_e32 v19, v19
	v_ashrrev_i32_e32 v19, 31, v19
	v_and_b32_e32 v35, v35, v37
	v_xor_b32_e32 v37, vcc_hi, v19
	v_xor_b32_e32 v19, vcc_lo, v19
	v_and_b32_e32 v21, v21, v19
	v_lshlrev_b32_e32 v19, 27, v20
	v_cmp_gt_i64_e32 vcc, 0, v[18:19]
	v_not_b32_e32 v19, v19
	v_ashrrev_i32_e32 v19, 31, v19
	v_and_b32_e32 v35, v35, v37
	v_xor_b32_e32 v37, vcc_hi, v19
	v_xor_b32_e32 v19, vcc_lo, v19
	v_and_b32_e32 v21, v21, v19
	v_lshlrev_b32_e32 v19, 26, v20
	v_cmp_gt_i64_e32 vcc, 0, v[18:19]
	v_not_b32_e32 v19, v19
	v_ashrrev_i32_e32 v19, 31, v19
	v_and_b32_e32 v35, v35, v37
	v_xor_b32_e32 v37, vcc_hi, v19
	v_xor_b32_e32 v19, vcc_lo, v19
	v_and_b32_e32 v21, v21, v19
	v_lshlrev_b32_e32 v19, 25, v20
	v_cmp_gt_i64_e32 vcc, 0, v[18:19]
	v_not_b32_e32 v19, v19
	v_ashrrev_i32_e32 v19, 31, v19
	v_and_b32_e32 v35, v35, v37
	v_xor_b32_e32 v37, vcc_hi, v19
	v_xor_b32_e32 v19, vcc_lo, v19
	v_and_b32_e32 v35, v35, v37
	v_and_b32_e32 v37, v21, v19
	v_lshlrev_b32_e32 v19, 24, v20
	v_cmp_gt_i64_e32 vcc, 0, v[18:19]
	v_not_b32_e32 v19, v19
	v_ashrrev_i32_e32 v19, 31, v19
	v_xor_b32_e32 v20, vcc_hi, v19
	v_xor_b32_e32 v19, vcc_lo, v19
	; wave barrier
	ds_read_b32 v34, v38 offset:64
	v_and_b32_e32 v21, v35, v20
	v_and_b32_e32 v20, v37, v19
	v_mbcnt_lo_u32_b32 v19, v20, 0
	v_mbcnt_hi_u32_b32 v35, v21, v19
	v_cmp_eq_u32_e32 vcc, 0, v35
	v_cmp_ne_u64_e64 s[0:1], 0, v[20:21]
	s_and_b64 s[2:3], s[0:1], vcc
	; wave barrier
	s_and_saveexec_b64 s[0:1], s[2:3]
	s_cbranch_execz .LBB2490_73
; %bb.72:
	v_bcnt_u32_b32 v19, v20, 0
	v_bcnt_u32_b32 v19, v21, v19
	s_waitcnt lgkmcnt(0)
	v_add_u32_e32 v19, v34, v19
	ds_write_b32 v38, v19 offset:64
.LBB2490_73:
	s_or_b64 exec, exec, s[0:1]
	s_waitcnt vmcnt(2)
	v_not_b32_e32 v15, v15
	v_not_b32_e32 v14, v14
	v_lshrrev_b64 v[20:21], s16, v[14:15]
	v_and_b32_e32 v20, s17, v20
	v_lshl_add_u32 v19, v20, 4, v20
	v_add_lshl_u32 v42, v25, v19, 2
	v_and_b32_e32 v19, 1, v20
	v_add_co_u32_e32 v21, vcc, -1, v19
	v_addc_co_u32_e64 v39, s[0:1], 0, -1, vcc
	v_cmp_ne_u32_e32 vcc, 0, v19
	v_xor_b32_e32 v19, vcc_hi, v39
	v_and_b32_e32 v39, exec_hi, v19
	v_lshlrev_b32_e32 v19, 30, v20
	v_xor_b32_e32 v21, vcc_lo, v21
	v_cmp_gt_i64_e32 vcc, 0, v[18:19]
	v_not_b32_e32 v19, v19
	v_ashrrev_i32_e32 v19, 31, v19
	v_and_b32_e32 v21, exec_lo, v21
	v_xor_b32_e32 v40, vcc_hi, v19
	v_xor_b32_e32 v19, vcc_lo, v19
	v_and_b32_e32 v21, v21, v19
	v_lshlrev_b32_e32 v19, 29, v20
	v_cmp_gt_i64_e32 vcc, 0, v[18:19]
	v_not_b32_e32 v19, v19
	v_ashrrev_i32_e32 v19, 31, v19
	v_and_b32_e32 v39, v39, v40
	v_xor_b32_e32 v40, vcc_hi, v19
	v_xor_b32_e32 v19, vcc_lo, v19
	v_and_b32_e32 v21, v21, v19
	v_lshlrev_b32_e32 v19, 28, v20
	v_cmp_gt_i64_e32 vcc, 0, v[18:19]
	v_not_b32_e32 v19, v19
	v_ashrrev_i32_e32 v19, 31, v19
	v_and_b32_e32 v39, v39, v40
	;; [unrolled: 8-line block ×5, first 2 shown]
	v_xor_b32_e32 v40, vcc_hi, v19
	v_xor_b32_e32 v19, vcc_lo, v19
	v_and_b32_e32 v21, v21, v19
	v_lshlrev_b32_e32 v19, 24, v20
	v_cmp_gt_i64_e32 vcc, 0, v[18:19]
	v_not_b32_e32 v18, v19
	v_ashrrev_i32_e32 v18, 31, v18
	v_xor_b32_e32 v19, vcc_hi, v18
	v_xor_b32_e32 v18, vcc_lo, v18
	; wave barrier
	ds_read_b32 v37, v42 offset:64
	v_and_b32_e32 v39, v39, v40
	v_and_b32_e32 v18, v21, v18
	;; [unrolled: 1-line block ×3, first 2 shown]
	v_mbcnt_lo_u32_b32 v20, v18, 0
	v_mbcnt_hi_u32_b32 v39, v19, v20
	v_cmp_eq_u32_e32 vcc, 0, v39
	v_cmp_ne_u64_e64 s[0:1], 0, v[18:19]
	s_and_b64 s[2:3], s[0:1], vcc
	; wave barrier
	s_and_saveexec_b64 s[0:1], s[2:3]
	s_cbranch_execz .LBB2490_75
; %bb.74:
	v_bcnt_u32_b32 v18, v18, 0
	v_bcnt_u32_b32 v18, v19, v18
	s_waitcnt lgkmcnt(0)
	v_add_u32_e32 v18, v37, v18
	ds_write_b32 v42, v18 offset:64
.LBB2490_75:
	s_or_b64 exec, exec, s[0:1]
	s_waitcnt vmcnt(1)
	v_not_b32_e32 v17, v17
	v_not_b32_e32 v16, v16
	v_lshrrev_b64 v[18:19], s16, v[16:17]
	v_and_b32_e32 v20, s17, v18
	v_and_b32_e32 v19, 1, v20
	v_add_co_u32_e32 v21, vcc, -1, v19
	v_addc_co_u32_e64 v41, s[0:1], 0, -1, vcc
	v_cmp_ne_u32_e32 vcc, 0, v19
	v_lshl_add_u32 v18, v20, 4, v20
	v_xor_b32_e32 v19, vcc_hi, v41
	v_add_lshl_u32 v44, v25, v18, 2
	v_mov_b32_e32 v18, 0
	v_and_b32_e32 v41, exec_hi, v19
	v_lshlrev_b32_e32 v19, 30, v20
	v_xor_b32_e32 v21, vcc_lo, v21
	v_cmp_gt_i64_e32 vcc, 0, v[18:19]
	v_not_b32_e32 v19, v19
	v_ashrrev_i32_e32 v19, 31, v19
	v_and_b32_e32 v21, exec_lo, v21
	v_xor_b32_e32 v43, vcc_hi, v19
	v_xor_b32_e32 v19, vcc_lo, v19
	v_and_b32_e32 v21, v21, v19
	v_lshlrev_b32_e32 v19, 29, v20
	v_cmp_gt_i64_e32 vcc, 0, v[18:19]
	v_not_b32_e32 v19, v19
	v_ashrrev_i32_e32 v19, 31, v19
	v_and_b32_e32 v41, v41, v43
	v_xor_b32_e32 v43, vcc_hi, v19
	v_xor_b32_e32 v19, vcc_lo, v19
	v_and_b32_e32 v21, v21, v19
	v_lshlrev_b32_e32 v19, 28, v20
	v_cmp_gt_i64_e32 vcc, 0, v[18:19]
	v_not_b32_e32 v19, v19
	v_ashrrev_i32_e32 v19, 31, v19
	v_and_b32_e32 v41, v41, v43
	;; [unrolled: 8-line block ×5, first 2 shown]
	v_xor_b32_e32 v43, vcc_hi, v19
	v_xor_b32_e32 v19, vcc_lo, v19
	v_and_b32_e32 v41, v41, v43
	v_and_b32_e32 v43, v21, v19
	v_lshlrev_b32_e32 v19, 24, v20
	v_cmp_gt_i64_e32 vcc, 0, v[18:19]
	v_not_b32_e32 v19, v19
	v_ashrrev_i32_e32 v19, 31, v19
	v_xor_b32_e32 v20, vcc_hi, v19
	v_xor_b32_e32 v19, vcc_lo, v19
	; wave barrier
	ds_read_b32 v40, v44 offset:64
	v_and_b32_e32 v21, v41, v20
	v_and_b32_e32 v20, v43, v19
	v_mbcnt_lo_u32_b32 v19, v20, 0
	v_mbcnt_hi_u32_b32 v41, v21, v19
	v_cmp_eq_u32_e32 vcc, 0, v41
	v_cmp_ne_u64_e64 s[0:1], 0, v[20:21]
	s_and_b64 s[2:3], s[0:1], vcc
	; wave barrier
	s_and_saveexec_b64 s[0:1], s[2:3]
	s_cbranch_execz .LBB2490_77
; %bb.76:
	v_bcnt_u32_b32 v19, v20, 0
	v_bcnt_u32_b32 v19, v21, v19
	s_waitcnt lgkmcnt(0)
	v_add_u32_e32 v19, v40, v19
	ds_write_b32 v44, v19 offset:64
.LBB2490_77:
	s_or_b64 exec, exec, s[0:1]
	s_waitcnt vmcnt(0)
	v_not_b32_e32 v13, v13
	v_not_b32_e32 v12, v12
	v_lshrrev_b64 v[20:21], s16, v[12:13]
	v_and_b32_e32 v20, s17, v20
	v_lshl_add_u32 v19, v20, 4, v20
	v_add_lshl_u32 v25, v25, v19, 2
	v_and_b32_e32 v19, 1, v20
	v_add_co_u32_e32 v21, vcc, -1, v19
	v_addc_co_u32_e64 v45, s[0:1], 0, -1, vcc
	v_cmp_ne_u32_e32 vcc, 0, v19
	v_xor_b32_e32 v19, vcc_hi, v45
	v_and_b32_e32 v45, exec_hi, v19
	v_lshlrev_b32_e32 v19, 30, v20
	v_xor_b32_e32 v21, vcc_lo, v21
	v_cmp_gt_i64_e32 vcc, 0, v[18:19]
	v_not_b32_e32 v19, v19
	v_ashrrev_i32_e32 v19, 31, v19
	v_and_b32_e32 v21, exec_lo, v21
	v_xor_b32_e32 v47, vcc_hi, v19
	v_xor_b32_e32 v19, vcc_lo, v19
	v_and_b32_e32 v21, v21, v19
	v_lshlrev_b32_e32 v19, 29, v20
	v_cmp_gt_i64_e32 vcc, 0, v[18:19]
	v_not_b32_e32 v19, v19
	v_ashrrev_i32_e32 v19, 31, v19
	v_and_b32_e32 v45, v45, v47
	v_xor_b32_e32 v47, vcc_hi, v19
	v_xor_b32_e32 v19, vcc_lo, v19
	v_and_b32_e32 v21, v21, v19
	v_lshlrev_b32_e32 v19, 28, v20
	v_cmp_gt_i64_e32 vcc, 0, v[18:19]
	v_not_b32_e32 v19, v19
	v_ashrrev_i32_e32 v19, 31, v19
	v_and_b32_e32 v45, v45, v47
	;; [unrolled: 8-line block ×5, first 2 shown]
	v_xor_b32_e32 v47, vcc_hi, v19
	v_xor_b32_e32 v19, vcc_lo, v19
	v_and_b32_e32 v21, v21, v19
	v_lshlrev_b32_e32 v19, 24, v20
	v_cmp_gt_i64_e32 vcc, 0, v[18:19]
	v_not_b32_e32 v18, v19
	v_ashrrev_i32_e32 v18, 31, v18
	v_xor_b32_e32 v19, vcc_hi, v18
	v_xor_b32_e32 v18, vcc_lo, v18
	; wave barrier
	ds_read_b32 v43, v25 offset:64
	v_and_b32_e32 v45, v45, v47
	v_and_b32_e32 v18, v21, v18
	;; [unrolled: 1-line block ×3, first 2 shown]
	v_mbcnt_lo_u32_b32 v20, v18, 0
	v_mbcnt_hi_u32_b32 v45, v19, v20
	v_cmp_eq_u32_e32 vcc, 0, v45
	v_cmp_ne_u64_e64 s[0:1], 0, v[18:19]
	v_add_u32_e32 v46, 64, v22
	s_and_b64 s[2:3], s[0:1], vcc
	; wave barrier
	s_and_saveexec_b64 s[0:1], s[2:3]
	s_cbranch_execz .LBB2490_79
; %bb.78:
	v_bcnt_u32_b32 v18, v18, 0
	v_bcnt_u32_b32 v18, v19, v18
	s_waitcnt lgkmcnt(0)
	v_add_u32_e32 v18, v43, v18
	ds_write_b32 v25, v18 offset:64
.LBB2490_79:
	s_or_b64 exec, exec, s[0:1]
	; wave barrier
	s_waitcnt lgkmcnt(0)
	s_barrier
	ds_read2_b32 v[20:21], v22 offset0:16 offset1:17
	ds_read2_b32 v[18:19], v46 offset0:2 offset1:3
	ds_read_b32 v47, v46 offset:16
	v_cmp_lt_u32_e64 s[8:9], 31, v3
	s_waitcnt lgkmcnt(1)
	v_add3_u32 v48, v21, v20, v18
	s_waitcnt lgkmcnt(0)
	v_add3_u32 v47, v48, v19, v47
	v_and_b32_e32 v48, 15, v3
	v_cmp_eq_u32_e32 vcc, 0, v48
	v_mov_b32_dpp v49, v47 row_shr:1 row_mask:0xf bank_mask:0xf
	v_cndmask_b32_e64 v49, v49, 0, vcc
	v_add_u32_e32 v47, v49, v47
	v_cmp_lt_u32_e64 s[0:1], 1, v48
	v_cmp_lt_u32_e64 s[2:3], 3, v48
	v_mov_b32_dpp v49, v47 row_shr:2 row_mask:0xf bank_mask:0xf
	v_cndmask_b32_e64 v49, 0, v49, s[0:1]
	v_add_u32_e32 v47, v47, v49
	v_cmp_lt_u32_e64 s[4:5], 7, v48
	s_nop 0
	v_mov_b32_dpp v49, v47 row_shr:4 row_mask:0xf bank_mask:0xf
	v_cndmask_b32_e64 v49, 0, v49, s[2:3]
	v_add_u32_e32 v47, v47, v49
	s_nop 1
	v_mov_b32_dpp v49, v47 row_shr:8 row_mask:0xf bank_mask:0xf
	v_cndmask_b32_e64 v48, 0, v49, s[4:5]
	v_add_u32_e32 v47, v47, v48
	v_bfe_i32 v49, v3, 4, 1
	s_nop 0
	v_mov_b32_dpp v48, v47 row_bcast:15 row_mask:0xf bank_mask:0xf
	v_and_b32_e32 v48, v49, v48
	v_add_u32_e32 v47, v47, v48
	v_and_b32_e32 v49, 63, v2
	s_nop 0
	v_mov_b32_dpp v48, v47 row_bcast:31 row_mask:0xf bank_mask:0xf
	v_cndmask_b32_e64 v48, 0, v48, s[8:9]
	v_add_u32_e32 v47, v47, v48
	v_lshrrev_b32_e32 v48, 6, v2
	v_cmp_eq_u32_e64 s[8:9], 63, v49
	s_and_saveexec_b64 s[10:11], s[8:9]
	s_cbranch_execz .LBB2490_81
; %bb.80:
	v_lshlrev_b32_e32 v49, 2, v48
	ds_write_b32 v49, v47
.LBB2490_81:
	s_or_b64 exec, exec, s[10:11]
	v_cmp_gt_u32_e64 s[8:9], 16, v2
	s_waitcnt lgkmcnt(0)
	s_barrier
	s_and_saveexec_b64 s[10:11], s[8:9]
	s_cbranch_execz .LBB2490_83
; %bb.82:
	v_lshlrev_b32_e32 v49, 2, v2
	ds_read_b32 v50, v49
	s_waitcnt lgkmcnt(0)
	s_nop 0
	v_mov_b32_dpp v51, v50 row_shr:1 row_mask:0xf bank_mask:0xf
	v_cndmask_b32_e64 v51, v51, 0, vcc
	v_add_u32_e32 v50, v51, v50
	s_nop 1
	v_mov_b32_dpp v51, v50 row_shr:2 row_mask:0xf bank_mask:0xf
	v_cndmask_b32_e64 v51, 0, v51, s[0:1]
	v_add_u32_e32 v50, v50, v51
	s_nop 1
	v_mov_b32_dpp v51, v50 row_shr:4 row_mask:0xf bank_mask:0xf
	v_cndmask_b32_e64 v51, 0, v51, s[2:3]
	;; [unrolled: 4-line block ×3, first 2 shown]
	v_add_u32_e32 v50, v50, v51
	ds_write_b32 v49, v50
.LBB2490_83:
	s_or_b64 exec, exec, s[10:11]
	v_cmp_lt_u32_e32 vcc, 63, v2
	v_mov_b32_e32 v49, 0
	s_waitcnt lgkmcnt(0)
	s_barrier
	s_and_saveexec_b64 s[0:1], vcc
	s_cbranch_execz .LBB2490_85
; %bb.84:
	v_lshl_add_u32 v48, v48, 2, -4
	ds_read_b32 v49, v48
.LBB2490_85:
	s_or_b64 exec, exec, s[0:1]
	v_add_u32_e32 v48, -1, v3
	v_and_b32_e32 v50, 64, v3
	v_cmp_lt_i32_e32 vcc, v48, v50
	v_cndmask_b32_e32 v48, v48, v3, vcc
	s_waitcnt lgkmcnt(0)
	v_add_u32_e32 v47, v49, v47
	v_lshlrev_b32_e32 v48, 2, v48
	ds_bpermute_b32 v47, v48, v47
	v_cmp_eq_u32_e32 vcc, 0, v3
	s_movk_i32 s2, 0xff
	s_movk_i32 s0, 0x100
	v_cmp_gt_u32_e64 s[0:1], s0, v2
	s_waitcnt lgkmcnt(0)
	v_cndmask_b32_e32 v3, v47, v49, vcc
	v_cmp_ne_u32_e32 vcc, 0, v2
	v_cndmask_b32_e32 v3, 0, v3, vcc
	v_add_u32_e32 v20, v3, v20
	v_add_u32_e32 v21, v20, v21
	;; [unrolled: 1-line block ×4, first 2 shown]
	ds_write2_b32 v22, v3, v20 offset0:16 offset1:17
	ds_write2_b32 v46, v21, v18 offset0:2 offset1:3
	ds_write_b32 v46, v19 offset:16
	s_waitcnt lgkmcnt(0)
	s_barrier
	ds_read_b32 v48, v23 offset:64
	ds_read_b32 v46, v24 offset:64
	;; [unrolled: 1-line block ×8, first 2 shown]
	v_cmp_lt_u32_e32 vcc, s2, v2
	v_pk_mov_b32 v[18:19], 0, 0
                                        ; implicit-def: $vgpr38
	s_and_saveexec_b64 s[4:5], s[0:1]
	s_cbranch_execz .LBB2490_89
; %bb.86:
	v_mul_u32_u24_e32 v3, 17, v2
	v_lshlrev_b32_e32 v19, 2, v3
	ds_read_b32 v18, v19 offset:64
	v_cmp_ne_u32_e64 s[2:3], s2, v2
	v_mov_b32_e32 v3, 0x2000
	s_and_saveexec_b64 s[8:9], s[2:3]
	s_cbranch_execz .LBB2490_88
; %bb.87:
	ds_read_b32 v3, v19 offset:132
.LBB2490_88:
	s_or_b64 exec, exec, s[8:9]
	s_waitcnt lgkmcnt(0)
	v_sub_u32_e32 v38, v3, v18
	v_mov_b32_e32 v19, 0
.LBB2490_89:
	s_or_b64 exec, exec, s[4:5]
	s_waitcnt lgkmcnt(0)
	s_barrier
	s_and_saveexec_b64 s[2:3], vcc
	s_xor_b64 s[2:3], exec, s[2:3]
; %bb.90:
	v_mov_b32_e32 v3, 0
; %bb.91:
	s_andn2_saveexec_b64 s[2:3], s[2:3]
	s_cbranch_execz .LBB2490_101
; %bb.92:
	v_lshl_or_b32 v20, s6, 8, v2
	v_mov_b32_e32 v21, 0
	v_lshlrev_b64 v[22:23], 2, v[20:21]
	v_mov_b32_e32 v3, s25
	v_add_co_u32_e32 v22, vcc, s24, v22
	v_addc_co_u32_e32 v23, vcc, v3, v23, vcc
	v_or_b32_e32 v20, 2.0, v38
	s_mov_b64 s[4:5], 0
	s_brev_b32 s18, 1
	s_mov_b32 s19, s6
	v_mov_b32_e32 v50, 0
	global_store_dword v[22:23], v20, off
                                        ; implicit-def: $sgpr8_sgpr9
	s_branch .LBB2490_95
.LBB2490_93:                            ;   in Loop: Header=BB2490_95 Depth=1
	s_or_b64 exec, exec, s[10:11]
.LBB2490_94:                            ;   in Loop: Header=BB2490_95 Depth=1
	s_or_b64 exec, exec, s[8:9]
	v_and_b32_e32 v24, 0x3fffffff, v51
	v_add_u32_e32 v50, v24, v50
	v_cmp_eq_u32_e64 s[8:9], s18, v20
	s_and_b64 s[10:11], exec, s[8:9]
	s_or_b64 s[4:5], s[10:11], s[4:5]
	s_andn2_b64 exec, exec, s[4:5]
	s_cbranch_execz .LBB2490_100
.LBB2490_95:                            ; =>This Loop Header: Depth=1
                                        ;     Child Loop BB2490_98 Depth 2
	s_or_b64 s[8:9], s[8:9], exec
	s_cmp_eq_u32 s19, 0
	s_cbranch_scc1 .LBB2490_99
; %bb.96:                               ;   in Loop: Header=BB2490_95 Depth=1
	s_add_i32 s19, s19, -1
	v_lshl_or_b32 v20, s19, 8, v2
	v_lshlrev_b64 v[24:25], 2, v[20:21]
	v_add_co_u32_e32 v24, vcc, s24, v24
	v_addc_co_u32_e32 v25, vcc, v3, v25, vcc
	global_load_dword v51, v[24:25], off glc
	s_waitcnt vmcnt(0)
	v_and_b32_e32 v20, -2.0, v51
	v_cmp_eq_u32_e32 vcc, 0, v20
	s_and_saveexec_b64 s[8:9], vcc
	s_cbranch_execz .LBB2490_94
; %bb.97:                               ;   in Loop: Header=BB2490_95 Depth=1
	s_mov_b64 s[10:11], 0
.LBB2490_98:                            ;   Parent Loop BB2490_95 Depth=1
                                        ; =>  This Inner Loop Header: Depth=2
	global_load_dword v51, v[24:25], off glc
	s_waitcnt vmcnt(0)
	v_and_b32_e32 v20, -2.0, v51
	v_cmp_ne_u32_e32 vcc, 0, v20
	s_or_b64 s[10:11], vcc, s[10:11]
	s_andn2_b64 exec, exec, s[10:11]
	s_cbranch_execnz .LBB2490_98
	s_branch .LBB2490_93
.LBB2490_99:                            ;   in Loop: Header=BB2490_95 Depth=1
                                        ; implicit-def: $sgpr19
	s_and_b64 s[10:11], exec, s[8:9]
	s_or_b64 s[4:5], s[10:11], s[4:5]
	s_andn2_b64 exec, exec, s[4:5]
	s_cbranch_execnz .LBB2490_95
.LBB2490_100:
	s_or_b64 exec, exec, s[4:5]
	v_add_u32_e32 v3, v50, v38
	v_or_b32_e32 v3, 0x80000000, v3
	global_store_dword v[22:23], v3, off
	v_lshlrev_b32_e32 v22, 3, v2
	global_load_dwordx2 v[20:21], v22, s[12:13]
	v_sub_co_u32_e32 v23, vcc, v50, v18
	v_subb_co_u32_e32 v24, vcc, 0, v19, vcc
	v_mov_b32_e32 v3, 0
	s_waitcnt vmcnt(0)
	v_add_co_u32_e32 v20, vcc, v23, v20
	v_addc_co_u32_e32 v21, vcc, v24, v21, vcc
	ds_write_b64 v22, v[20:21]
.LBB2490_101:
	s_or_b64 exec, exec, s[2:3]
	v_lshlrev_b64 v[20:21], 3, v[2:3]
	v_lshlrev_b32_e32 v23, 3, v2
	v_add3_u32 v27, v28, v46, v27
	v_mov_b32_e32 v28, s23
	v_add_co_u32_e32 v20, vcc, s22, v20
	v_add_u32_e32 v22, v48, v26
	v_add_u32_e32 v24, 0x800, v23
	v_add3_u32 v25, v45, v49, v43
	v_add3_u32 v26, v41, v44, v40
	;; [unrolled: 1-line block ×6, first 2 shown]
	v_addc_co_u32_e32 v21, vcc, v28, v21, vcc
	s_mov_b32 s2, 0
.LBB2490_102:                           ; =>This Inner Loop Header: Depth=1
	v_add_u32_e32 v28, s2, v22
	v_add_u32_e32 v32, s2, v29
	;; [unrolled: 1-line block ×8, first 2 shown]
	v_min_u32_e32 v28, 0x800, v28
	v_min_u32_e32 v32, 0x800, v32
	;; [unrolled: 1-line block ×8, first 2 shown]
	v_lshlrev_b32_e32 v28, 3, v28
	v_lshlrev_b32_e32 v32, 3, v32
	;; [unrolled: 1-line block ×8, first 2 shown]
	ds_write_b64 v28, v[0:1] offset:2048
	ds_write_b64 v30, v[4:5] offset:2048
	;; [unrolled: 1-line block ×8, first 2 shown]
	s_waitcnt lgkmcnt(0)
	s_barrier
	ds_read_b64 v[32:33], v23 offset:2048
	ds_read_b64 v[40:41], v24 offset:8192
	s_addk_i32 s2, 0xf800
	s_cmpk_lg_i32 s2, 0xe000
	s_waitcnt lgkmcnt(1)
	v_lshrrev_b64 v[42:43], s16, v[32:33]
	s_waitcnt lgkmcnt(0)
	v_lshrrev_b64 v[44:45], s16, v[40:41]
	v_and_b32_e32 v28, s17, v42
	v_and_b32_e32 v30, s17, v44
	v_lshlrev_b32_e32 v28, 3, v28
	v_lshlrev_b32_e32 v30, 3, v30
	ds_read_b64 v[42:43], v28
	ds_read_b64 v[44:45], v30
	v_not_b32_e32 v33, v33
	v_not_b32_e32 v32, v32
	;; [unrolled: 1-line block ×3, first 2 shown]
	s_waitcnt lgkmcnt(1)
	v_lshlrev_b64 v[42:43], 3, v[42:43]
	v_add_co_u32_e32 v42, vcc, v20, v42
	s_waitcnt lgkmcnt(0)
	v_lshlrev_b64 v[44:45], 3, v[44:45]
	v_addc_co_u32_e32 v43, vcc, v21, v43, vcc
	v_add_co_u32_e32 v28, vcc, v20, v44
	v_addc_co_u32_e32 v30, vcc, v21, v45, vcc
	global_store_dwordx2 v[42:43], v[32:33], off
	v_add_co_u32_e32 v32, vcc, 0x2000, v28
	v_addc_co_u32_e32 v33, vcc, 0, v30, vcc
	v_add_co_u32_e32 v20, vcc, 0x4000, v20
	v_not_b32_e32 v40, v40
	v_addc_co_u32_e32 v21, vcc, 0, v21, vcc
	global_store_dwordx2 v[32:33], v[40:41], off
	s_barrier
	s_cbranch_scc1 .LBB2490_102
; %bb.103:
	s_add_i32 s7, s7, -1
	s_cmp_eq_u32 s7, s6
	s_cselect_b64 s[2:3], -1, 0
	s_and_b64 s[0:1], s[0:1], s[2:3]
.LBB2490_104:
	s_and_saveexec_b64 s[2:3], s[0:1]
	s_cbranch_execnz .LBB2490_106
; %bb.105:
	s_endpgm
.LBB2490_106:
	v_lshlrev_b32_e32 v6, 3, v2
	v_lshlrev_b64 v[0:1], 3, v[2:3]
	ds_read_b64 v[2:3], v6
	v_add_co_u32_e32 v4, vcc, v18, v38
	v_addc_co_u32_e32 v5, vcc, 0, v19, vcc
	v_mov_b32_e32 v7, s15
	v_add_co_u32_e32 v0, vcc, s14, v0
	v_addc_co_u32_e32 v1, vcc, v7, v1, vcc
	s_waitcnt lgkmcnt(0)
	v_add_co_u32_e32 v2, vcc, v4, v2
	v_addc_co_u32_e32 v3, vcc, v5, v3, vcc
	global_store_dwordx2 v[0:1], v[2:3], off
	s_endpgm
	.section	.rodata,"a",@progbits
	.p2align	6, 0x0
	.amdhsa_kernel _ZN7rocprim17ROCPRIM_400000_NS6detail17trampoline_kernelINS0_14default_configENS1_35radix_sort_onesweep_config_selectorIyNS0_10empty_typeEEEZZNS1_29radix_sort_onesweep_iterationIS3_Lb1EPyS8_PS5_S9_mNS0_19identity_decomposerENS1_16block_id_wrapperIjLb0EEEEE10hipError_tT1_PNSt15iterator_traitsISE_E10value_typeET2_T3_PNSF_ISK_E10value_typeET4_T5_PSP_SQ_PNS1_23onesweep_lookback_stateEbbT6_jjT7_P12ihipStream_tbENKUlT_T0_SE_SJ_E_clIS8_S8_S9_S9_EEDaSX_SY_SE_SJ_EUlSX_E_NS1_11comp_targetILNS1_3genE4ELNS1_11target_archE910ELNS1_3gpuE8ELNS1_3repE0EEENS1_47radix_sort_onesweep_sort_config_static_selectorELNS0_4arch9wavefront6targetE1EEEvSE_
		.amdhsa_group_segment_fixed_size 20552
		.amdhsa_private_segment_fixed_size 0
		.amdhsa_kernarg_size 344
		.amdhsa_user_sgpr_count 6
		.amdhsa_user_sgpr_private_segment_buffer 1
		.amdhsa_user_sgpr_dispatch_ptr 0
		.amdhsa_user_sgpr_queue_ptr 0
		.amdhsa_user_sgpr_kernarg_segment_ptr 1
		.amdhsa_user_sgpr_dispatch_id 0
		.amdhsa_user_sgpr_flat_scratch_init 0
		.amdhsa_user_sgpr_kernarg_preload_length 0
		.amdhsa_user_sgpr_kernarg_preload_offset 0
		.amdhsa_user_sgpr_private_segment_size 0
		.amdhsa_uses_dynamic_stack 0
		.amdhsa_system_sgpr_private_segment_wavefront_offset 0
		.amdhsa_system_sgpr_workgroup_id_x 1
		.amdhsa_system_sgpr_workgroup_id_y 0
		.amdhsa_system_sgpr_workgroup_id_z 0
		.amdhsa_system_sgpr_workgroup_info 0
		.amdhsa_system_vgpr_workitem_id 2
		.amdhsa_next_free_vgpr 55
		.amdhsa_next_free_sgpr 30
		.amdhsa_accum_offset 56
		.amdhsa_reserve_vcc 1
		.amdhsa_reserve_flat_scratch 0
		.amdhsa_float_round_mode_32 0
		.amdhsa_float_round_mode_16_64 0
		.amdhsa_float_denorm_mode_32 3
		.amdhsa_float_denorm_mode_16_64 3
		.amdhsa_dx10_clamp 1
		.amdhsa_ieee_mode 1
		.amdhsa_fp16_overflow 0
		.amdhsa_tg_split 0
		.amdhsa_exception_fp_ieee_invalid_op 0
		.amdhsa_exception_fp_denorm_src 0
		.amdhsa_exception_fp_ieee_div_zero 0
		.amdhsa_exception_fp_ieee_overflow 0
		.amdhsa_exception_fp_ieee_underflow 0
		.amdhsa_exception_fp_ieee_inexact 0
		.amdhsa_exception_int_div_zero 0
	.end_amdhsa_kernel
	.section	.text._ZN7rocprim17ROCPRIM_400000_NS6detail17trampoline_kernelINS0_14default_configENS1_35radix_sort_onesweep_config_selectorIyNS0_10empty_typeEEEZZNS1_29radix_sort_onesweep_iterationIS3_Lb1EPyS8_PS5_S9_mNS0_19identity_decomposerENS1_16block_id_wrapperIjLb0EEEEE10hipError_tT1_PNSt15iterator_traitsISE_E10value_typeET2_T3_PNSF_ISK_E10value_typeET4_T5_PSP_SQ_PNS1_23onesweep_lookback_stateEbbT6_jjT7_P12ihipStream_tbENKUlT_T0_SE_SJ_E_clIS8_S8_S9_S9_EEDaSX_SY_SE_SJ_EUlSX_E_NS1_11comp_targetILNS1_3genE4ELNS1_11target_archE910ELNS1_3gpuE8ELNS1_3repE0EEENS1_47radix_sort_onesweep_sort_config_static_selectorELNS0_4arch9wavefront6targetE1EEEvSE_,"axG",@progbits,_ZN7rocprim17ROCPRIM_400000_NS6detail17trampoline_kernelINS0_14default_configENS1_35radix_sort_onesweep_config_selectorIyNS0_10empty_typeEEEZZNS1_29radix_sort_onesweep_iterationIS3_Lb1EPyS8_PS5_S9_mNS0_19identity_decomposerENS1_16block_id_wrapperIjLb0EEEEE10hipError_tT1_PNSt15iterator_traitsISE_E10value_typeET2_T3_PNSF_ISK_E10value_typeET4_T5_PSP_SQ_PNS1_23onesweep_lookback_stateEbbT6_jjT7_P12ihipStream_tbENKUlT_T0_SE_SJ_E_clIS8_S8_S9_S9_EEDaSX_SY_SE_SJ_EUlSX_E_NS1_11comp_targetILNS1_3genE4ELNS1_11target_archE910ELNS1_3gpuE8ELNS1_3repE0EEENS1_47radix_sort_onesweep_sort_config_static_selectorELNS0_4arch9wavefront6targetE1EEEvSE_,comdat
.Lfunc_end2490:
	.size	_ZN7rocprim17ROCPRIM_400000_NS6detail17trampoline_kernelINS0_14default_configENS1_35radix_sort_onesweep_config_selectorIyNS0_10empty_typeEEEZZNS1_29radix_sort_onesweep_iterationIS3_Lb1EPyS8_PS5_S9_mNS0_19identity_decomposerENS1_16block_id_wrapperIjLb0EEEEE10hipError_tT1_PNSt15iterator_traitsISE_E10value_typeET2_T3_PNSF_ISK_E10value_typeET4_T5_PSP_SQ_PNS1_23onesweep_lookback_stateEbbT6_jjT7_P12ihipStream_tbENKUlT_T0_SE_SJ_E_clIS8_S8_S9_S9_EEDaSX_SY_SE_SJ_EUlSX_E_NS1_11comp_targetILNS1_3genE4ELNS1_11target_archE910ELNS1_3gpuE8ELNS1_3repE0EEENS1_47radix_sort_onesweep_sort_config_static_selectorELNS0_4arch9wavefront6targetE1EEEvSE_, .Lfunc_end2490-_ZN7rocprim17ROCPRIM_400000_NS6detail17trampoline_kernelINS0_14default_configENS1_35radix_sort_onesweep_config_selectorIyNS0_10empty_typeEEEZZNS1_29radix_sort_onesweep_iterationIS3_Lb1EPyS8_PS5_S9_mNS0_19identity_decomposerENS1_16block_id_wrapperIjLb0EEEEE10hipError_tT1_PNSt15iterator_traitsISE_E10value_typeET2_T3_PNSF_ISK_E10value_typeET4_T5_PSP_SQ_PNS1_23onesweep_lookback_stateEbbT6_jjT7_P12ihipStream_tbENKUlT_T0_SE_SJ_E_clIS8_S8_S9_S9_EEDaSX_SY_SE_SJ_EUlSX_E_NS1_11comp_targetILNS1_3genE4ELNS1_11target_archE910ELNS1_3gpuE8ELNS1_3repE0EEENS1_47radix_sort_onesweep_sort_config_static_selectorELNS0_4arch9wavefront6targetE1EEEvSE_
                                        ; -- End function
	.section	.AMDGPU.csdata,"",@progbits
; Kernel info:
; codeLenInByte = 10332
; NumSgprs: 34
; NumVgprs: 55
; NumAgprs: 0
; TotalNumVgprs: 55
; ScratchSize: 0
; MemoryBound: 0
; FloatMode: 240
; IeeeMode: 1
; LDSByteSize: 20552 bytes/workgroup (compile time only)
; SGPRBlocks: 4
; VGPRBlocks: 6
; NumSGPRsForWavesPerEU: 34
; NumVGPRsForWavesPerEU: 55
; AccumOffset: 56
; Occupancy: 8
; WaveLimiterHint : 1
; COMPUTE_PGM_RSRC2:SCRATCH_EN: 0
; COMPUTE_PGM_RSRC2:USER_SGPR: 6
; COMPUTE_PGM_RSRC2:TRAP_HANDLER: 0
; COMPUTE_PGM_RSRC2:TGID_X_EN: 1
; COMPUTE_PGM_RSRC2:TGID_Y_EN: 0
; COMPUTE_PGM_RSRC2:TGID_Z_EN: 0
; COMPUTE_PGM_RSRC2:TIDIG_COMP_CNT: 2
; COMPUTE_PGM_RSRC3_GFX90A:ACCUM_OFFSET: 13
; COMPUTE_PGM_RSRC3_GFX90A:TG_SPLIT: 0
	.section	.text._ZN7rocprim17ROCPRIM_400000_NS6detail17trampoline_kernelINS0_14default_configENS1_35radix_sort_onesweep_config_selectorIyNS0_10empty_typeEEEZZNS1_29radix_sort_onesweep_iterationIS3_Lb1EPyS8_PS5_S9_mNS0_19identity_decomposerENS1_16block_id_wrapperIjLb0EEEEE10hipError_tT1_PNSt15iterator_traitsISE_E10value_typeET2_T3_PNSF_ISK_E10value_typeET4_T5_PSP_SQ_PNS1_23onesweep_lookback_stateEbbT6_jjT7_P12ihipStream_tbENKUlT_T0_SE_SJ_E_clIS8_S8_S9_S9_EEDaSX_SY_SE_SJ_EUlSX_E_NS1_11comp_targetILNS1_3genE3ELNS1_11target_archE908ELNS1_3gpuE7ELNS1_3repE0EEENS1_47radix_sort_onesweep_sort_config_static_selectorELNS0_4arch9wavefront6targetE1EEEvSE_,"axG",@progbits,_ZN7rocprim17ROCPRIM_400000_NS6detail17trampoline_kernelINS0_14default_configENS1_35radix_sort_onesweep_config_selectorIyNS0_10empty_typeEEEZZNS1_29radix_sort_onesweep_iterationIS3_Lb1EPyS8_PS5_S9_mNS0_19identity_decomposerENS1_16block_id_wrapperIjLb0EEEEE10hipError_tT1_PNSt15iterator_traitsISE_E10value_typeET2_T3_PNSF_ISK_E10value_typeET4_T5_PSP_SQ_PNS1_23onesweep_lookback_stateEbbT6_jjT7_P12ihipStream_tbENKUlT_T0_SE_SJ_E_clIS8_S8_S9_S9_EEDaSX_SY_SE_SJ_EUlSX_E_NS1_11comp_targetILNS1_3genE3ELNS1_11target_archE908ELNS1_3gpuE7ELNS1_3repE0EEENS1_47radix_sort_onesweep_sort_config_static_selectorELNS0_4arch9wavefront6targetE1EEEvSE_,comdat
	.protected	_ZN7rocprim17ROCPRIM_400000_NS6detail17trampoline_kernelINS0_14default_configENS1_35radix_sort_onesweep_config_selectorIyNS0_10empty_typeEEEZZNS1_29radix_sort_onesweep_iterationIS3_Lb1EPyS8_PS5_S9_mNS0_19identity_decomposerENS1_16block_id_wrapperIjLb0EEEEE10hipError_tT1_PNSt15iterator_traitsISE_E10value_typeET2_T3_PNSF_ISK_E10value_typeET4_T5_PSP_SQ_PNS1_23onesweep_lookback_stateEbbT6_jjT7_P12ihipStream_tbENKUlT_T0_SE_SJ_E_clIS8_S8_S9_S9_EEDaSX_SY_SE_SJ_EUlSX_E_NS1_11comp_targetILNS1_3genE3ELNS1_11target_archE908ELNS1_3gpuE7ELNS1_3repE0EEENS1_47radix_sort_onesweep_sort_config_static_selectorELNS0_4arch9wavefront6targetE1EEEvSE_ ; -- Begin function _ZN7rocprim17ROCPRIM_400000_NS6detail17trampoline_kernelINS0_14default_configENS1_35radix_sort_onesweep_config_selectorIyNS0_10empty_typeEEEZZNS1_29radix_sort_onesweep_iterationIS3_Lb1EPyS8_PS5_S9_mNS0_19identity_decomposerENS1_16block_id_wrapperIjLb0EEEEE10hipError_tT1_PNSt15iterator_traitsISE_E10value_typeET2_T3_PNSF_ISK_E10value_typeET4_T5_PSP_SQ_PNS1_23onesweep_lookback_stateEbbT6_jjT7_P12ihipStream_tbENKUlT_T0_SE_SJ_E_clIS8_S8_S9_S9_EEDaSX_SY_SE_SJ_EUlSX_E_NS1_11comp_targetILNS1_3genE3ELNS1_11target_archE908ELNS1_3gpuE7ELNS1_3repE0EEENS1_47radix_sort_onesweep_sort_config_static_selectorELNS0_4arch9wavefront6targetE1EEEvSE_
	.globl	_ZN7rocprim17ROCPRIM_400000_NS6detail17trampoline_kernelINS0_14default_configENS1_35radix_sort_onesweep_config_selectorIyNS0_10empty_typeEEEZZNS1_29radix_sort_onesweep_iterationIS3_Lb1EPyS8_PS5_S9_mNS0_19identity_decomposerENS1_16block_id_wrapperIjLb0EEEEE10hipError_tT1_PNSt15iterator_traitsISE_E10value_typeET2_T3_PNSF_ISK_E10value_typeET4_T5_PSP_SQ_PNS1_23onesweep_lookback_stateEbbT6_jjT7_P12ihipStream_tbENKUlT_T0_SE_SJ_E_clIS8_S8_S9_S9_EEDaSX_SY_SE_SJ_EUlSX_E_NS1_11comp_targetILNS1_3genE3ELNS1_11target_archE908ELNS1_3gpuE7ELNS1_3repE0EEENS1_47radix_sort_onesweep_sort_config_static_selectorELNS0_4arch9wavefront6targetE1EEEvSE_
	.p2align	8
	.type	_ZN7rocprim17ROCPRIM_400000_NS6detail17trampoline_kernelINS0_14default_configENS1_35radix_sort_onesweep_config_selectorIyNS0_10empty_typeEEEZZNS1_29radix_sort_onesweep_iterationIS3_Lb1EPyS8_PS5_S9_mNS0_19identity_decomposerENS1_16block_id_wrapperIjLb0EEEEE10hipError_tT1_PNSt15iterator_traitsISE_E10value_typeET2_T3_PNSF_ISK_E10value_typeET4_T5_PSP_SQ_PNS1_23onesweep_lookback_stateEbbT6_jjT7_P12ihipStream_tbENKUlT_T0_SE_SJ_E_clIS8_S8_S9_S9_EEDaSX_SY_SE_SJ_EUlSX_E_NS1_11comp_targetILNS1_3genE3ELNS1_11target_archE908ELNS1_3gpuE7ELNS1_3repE0EEENS1_47radix_sort_onesweep_sort_config_static_selectorELNS0_4arch9wavefront6targetE1EEEvSE_,@function
_ZN7rocprim17ROCPRIM_400000_NS6detail17trampoline_kernelINS0_14default_configENS1_35radix_sort_onesweep_config_selectorIyNS0_10empty_typeEEEZZNS1_29radix_sort_onesweep_iterationIS3_Lb1EPyS8_PS5_S9_mNS0_19identity_decomposerENS1_16block_id_wrapperIjLb0EEEEE10hipError_tT1_PNSt15iterator_traitsISE_E10value_typeET2_T3_PNSF_ISK_E10value_typeET4_T5_PSP_SQ_PNS1_23onesweep_lookback_stateEbbT6_jjT7_P12ihipStream_tbENKUlT_T0_SE_SJ_E_clIS8_S8_S9_S9_EEDaSX_SY_SE_SJ_EUlSX_E_NS1_11comp_targetILNS1_3genE3ELNS1_11target_archE908ELNS1_3gpuE7ELNS1_3repE0EEENS1_47radix_sort_onesweep_sort_config_static_selectorELNS0_4arch9wavefront6targetE1EEEvSE_: ; @_ZN7rocprim17ROCPRIM_400000_NS6detail17trampoline_kernelINS0_14default_configENS1_35radix_sort_onesweep_config_selectorIyNS0_10empty_typeEEEZZNS1_29radix_sort_onesweep_iterationIS3_Lb1EPyS8_PS5_S9_mNS0_19identity_decomposerENS1_16block_id_wrapperIjLb0EEEEE10hipError_tT1_PNSt15iterator_traitsISE_E10value_typeET2_T3_PNSF_ISK_E10value_typeET4_T5_PSP_SQ_PNS1_23onesweep_lookback_stateEbbT6_jjT7_P12ihipStream_tbENKUlT_T0_SE_SJ_E_clIS8_S8_S9_S9_EEDaSX_SY_SE_SJ_EUlSX_E_NS1_11comp_targetILNS1_3genE3ELNS1_11target_archE908ELNS1_3gpuE7ELNS1_3repE0EEENS1_47radix_sort_onesweep_sort_config_static_selectorELNS0_4arch9wavefront6targetE1EEEvSE_
; %bb.0:
	.section	.rodata,"a",@progbits
	.p2align	6, 0x0
	.amdhsa_kernel _ZN7rocprim17ROCPRIM_400000_NS6detail17trampoline_kernelINS0_14default_configENS1_35radix_sort_onesweep_config_selectorIyNS0_10empty_typeEEEZZNS1_29radix_sort_onesweep_iterationIS3_Lb1EPyS8_PS5_S9_mNS0_19identity_decomposerENS1_16block_id_wrapperIjLb0EEEEE10hipError_tT1_PNSt15iterator_traitsISE_E10value_typeET2_T3_PNSF_ISK_E10value_typeET4_T5_PSP_SQ_PNS1_23onesweep_lookback_stateEbbT6_jjT7_P12ihipStream_tbENKUlT_T0_SE_SJ_E_clIS8_S8_S9_S9_EEDaSX_SY_SE_SJ_EUlSX_E_NS1_11comp_targetILNS1_3genE3ELNS1_11target_archE908ELNS1_3gpuE7ELNS1_3repE0EEENS1_47radix_sort_onesweep_sort_config_static_selectorELNS0_4arch9wavefront6targetE1EEEvSE_
		.amdhsa_group_segment_fixed_size 0
		.amdhsa_private_segment_fixed_size 0
		.amdhsa_kernarg_size 88
		.amdhsa_user_sgpr_count 6
		.amdhsa_user_sgpr_private_segment_buffer 1
		.amdhsa_user_sgpr_dispatch_ptr 0
		.amdhsa_user_sgpr_queue_ptr 0
		.amdhsa_user_sgpr_kernarg_segment_ptr 1
		.amdhsa_user_sgpr_dispatch_id 0
		.amdhsa_user_sgpr_flat_scratch_init 0
		.amdhsa_user_sgpr_kernarg_preload_length 0
		.amdhsa_user_sgpr_kernarg_preload_offset 0
		.amdhsa_user_sgpr_private_segment_size 0
		.amdhsa_uses_dynamic_stack 0
		.amdhsa_system_sgpr_private_segment_wavefront_offset 0
		.amdhsa_system_sgpr_workgroup_id_x 1
		.amdhsa_system_sgpr_workgroup_id_y 0
		.amdhsa_system_sgpr_workgroup_id_z 0
		.amdhsa_system_sgpr_workgroup_info 0
		.amdhsa_system_vgpr_workitem_id 0
		.amdhsa_next_free_vgpr 1
		.amdhsa_next_free_sgpr 0
		.amdhsa_accum_offset 4
		.amdhsa_reserve_vcc 0
		.amdhsa_reserve_flat_scratch 0
		.amdhsa_float_round_mode_32 0
		.amdhsa_float_round_mode_16_64 0
		.amdhsa_float_denorm_mode_32 3
		.amdhsa_float_denorm_mode_16_64 3
		.amdhsa_dx10_clamp 1
		.amdhsa_ieee_mode 1
		.amdhsa_fp16_overflow 0
		.amdhsa_tg_split 0
		.amdhsa_exception_fp_ieee_invalid_op 0
		.amdhsa_exception_fp_denorm_src 0
		.amdhsa_exception_fp_ieee_div_zero 0
		.amdhsa_exception_fp_ieee_overflow 0
		.amdhsa_exception_fp_ieee_underflow 0
		.amdhsa_exception_fp_ieee_inexact 0
		.amdhsa_exception_int_div_zero 0
	.end_amdhsa_kernel
	.section	.text._ZN7rocprim17ROCPRIM_400000_NS6detail17trampoline_kernelINS0_14default_configENS1_35radix_sort_onesweep_config_selectorIyNS0_10empty_typeEEEZZNS1_29radix_sort_onesweep_iterationIS3_Lb1EPyS8_PS5_S9_mNS0_19identity_decomposerENS1_16block_id_wrapperIjLb0EEEEE10hipError_tT1_PNSt15iterator_traitsISE_E10value_typeET2_T3_PNSF_ISK_E10value_typeET4_T5_PSP_SQ_PNS1_23onesweep_lookback_stateEbbT6_jjT7_P12ihipStream_tbENKUlT_T0_SE_SJ_E_clIS8_S8_S9_S9_EEDaSX_SY_SE_SJ_EUlSX_E_NS1_11comp_targetILNS1_3genE3ELNS1_11target_archE908ELNS1_3gpuE7ELNS1_3repE0EEENS1_47radix_sort_onesweep_sort_config_static_selectorELNS0_4arch9wavefront6targetE1EEEvSE_,"axG",@progbits,_ZN7rocprim17ROCPRIM_400000_NS6detail17trampoline_kernelINS0_14default_configENS1_35radix_sort_onesweep_config_selectorIyNS0_10empty_typeEEEZZNS1_29radix_sort_onesweep_iterationIS3_Lb1EPyS8_PS5_S9_mNS0_19identity_decomposerENS1_16block_id_wrapperIjLb0EEEEE10hipError_tT1_PNSt15iterator_traitsISE_E10value_typeET2_T3_PNSF_ISK_E10value_typeET4_T5_PSP_SQ_PNS1_23onesweep_lookback_stateEbbT6_jjT7_P12ihipStream_tbENKUlT_T0_SE_SJ_E_clIS8_S8_S9_S9_EEDaSX_SY_SE_SJ_EUlSX_E_NS1_11comp_targetILNS1_3genE3ELNS1_11target_archE908ELNS1_3gpuE7ELNS1_3repE0EEENS1_47radix_sort_onesweep_sort_config_static_selectorELNS0_4arch9wavefront6targetE1EEEvSE_,comdat
.Lfunc_end2491:
	.size	_ZN7rocprim17ROCPRIM_400000_NS6detail17trampoline_kernelINS0_14default_configENS1_35radix_sort_onesweep_config_selectorIyNS0_10empty_typeEEEZZNS1_29radix_sort_onesweep_iterationIS3_Lb1EPyS8_PS5_S9_mNS0_19identity_decomposerENS1_16block_id_wrapperIjLb0EEEEE10hipError_tT1_PNSt15iterator_traitsISE_E10value_typeET2_T3_PNSF_ISK_E10value_typeET4_T5_PSP_SQ_PNS1_23onesweep_lookback_stateEbbT6_jjT7_P12ihipStream_tbENKUlT_T0_SE_SJ_E_clIS8_S8_S9_S9_EEDaSX_SY_SE_SJ_EUlSX_E_NS1_11comp_targetILNS1_3genE3ELNS1_11target_archE908ELNS1_3gpuE7ELNS1_3repE0EEENS1_47radix_sort_onesweep_sort_config_static_selectorELNS0_4arch9wavefront6targetE1EEEvSE_, .Lfunc_end2491-_ZN7rocprim17ROCPRIM_400000_NS6detail17trampoline_kernelINS0_14default_configENS1_35radix_sort_onesweep_config_selectorIyNS0_10empty_typeEEEZZNS1_29radix_sort_onesweep_iterationIS3_Lb1EPyS8_PS5_S9_mNS0_19identity_decomposerENS1_16block_id_wrapperIjLb0EEEEE10hipError_tT1_PNSt15iterator_traitsISE_E10value_typeET2_T3_PNSF_ISK_E10value_typeET4_T5_PSP_SQ_PNS1_23onesweep_lookback_stateEbbT6_jjT7_P12ihipStream_tbENKUlT_T0_SE_SJ_E_clIS8_S8_S9_S9_EEDaSX_SY_SE_SJ_EUlSX_E_NS1_11comp_targetILNS1_3genE3ELNS1_11target_archE908ELNS1_3gpuE7ELNS1_3repE0EEENS1_47radix_sort_onesweep_sort_config_static_selectorELNS0_4arch9wavefront6targetE1EEEvSE_
                                        ; -- End function
	.section	.AMDGPU.csdata,"",@progbits
; Kernel info:
; codeLenInByte = 0
; NumSgprs: 4
; NumVgprs: 0
; NumAgprs: 0
; TotalNumVgprs: 0
; ScratchSize: 0
; MemoryBound: 0
; FloatMode: 240
; IeeeMode: 1
; LDSByteSize: 0 bytes/workgroup (compile time only)
; SGPRBlocks: 0
; VGPRBlocks: 0
; NumSGPRsForWavesPerEU: 4
; NumVGPRsForWavesPerEU: 1
; AccumOffset: 4
; Occupancy: 8
; WaveLimiterHint : 0
; COMPUTE_PGM_RSRC2:SCRATCH_EN: 0
; COMPUTE_PGM_RSRC2:USER_SGPR: 6
; COMPUTE_PGM_RSRC2:TRAP_HANDLER: 0
; COMPUTE_PGM_RSRC2:TGID_X_EN: 1
; COMPUTE_PGM_RSRC2:TGID_Y_EN: 0
; COMPUTE_PGM_RSRC2:TGID_Z_EN: 0
; COMPUTE_PGM_RSRC2:TIDIG_COMP_CNT: 0
; COMPUTE_PGM_RSRC3_GFX90A:ACCUM_OFFSET: 0
; COMPUTE_PGM_RSRC3_GFX90A:TG_SPLIT: 0
	.section	.text._ZN7rocprim17ROCPRIM_400000_NS6detail17trampoline_kernelINS0_14default_configENS1_35radix_sort_onesweep_config_selectorIyNS0_10empty_typeEEEZZNS1_29radix_sort_onesweep_iterationIS3_Lb1EPyS8_PS5_S9_mNS0_19identity_decomposerENS1_16block_id_wrapperIjLb0EEEEE10hipError_tT1_PNSt15iterator_traitsISE_E10value_typeET2_T3_PNSF_ISK_E10value_typeET4_T5_PSP_SQ_PNS1_23onesweep_lookback_stateEbbT6_jjT7_P12ihipStream_tbENKUlT_T0_SE_SJ_E_clIS8_S8_S9_S9_EEDaSX_SY_SE_SJ_EUlSX_E_NS1_11comp_targetILNS1_3genE10ELNS1_11target_archE1201ELNS1_3gpuE5ELNS1_3repE0EEENS1_47radix_sort_onesweep_sort_config_static_selectorELNS0_4arch9wavefront6targetE1EEEvSE_,"axG",@progbits,_ZN7rocprim17ROCPRIM_400000_NS6detail17trampoline_kernelINS0_14default_configENS1_35radix_sort_onesweep_config_selectorIyNS0_10empty_typeEEEZZNS1_29radix_sort_onesweep_iterationIS3_Lb1EPyS8_PS5_S9_mNS0_19identity_decomposerENS1_16block_id_wrapperIjLb0EEEEE10hipError_tT1_PNSt15iterator_traitsISE_E10value_typeET2_T3_PNSF_ISK_E10value_typeET4_T5_PSP_SQ_PNS1_23onesweep_lookback_stateEbbT6_jjT7_P12ihipStream_tbENKUlT_T0_SE_SJ_E_clIS8_S8_S9_S9_EEDaSX_SY_SE_SJ_EUlSX_E_NS1_11comp_targetILNS1_3genE10ELNS1_11target_archE1201ELNS1_3gpuE5ELNS1_3repE0EEENS1_47radix_sort_onesweep_sort_config_static_selectorELNS0_4arch9wavefront6targetE1EEEvSE_,comdat
	.protected	_ZN7rocprim17ROCPRIM_400000_NS6detail17trampoline_kernelINS0_14default_configENS1_35radix_sort_onesweep_config_selectorIyNS0_10empty_typeEEEZZNS1_29radix_sort_onesweep_iterationIS3_Lb1EPyS8_PS5_S9_mNS0_19identity_decomposerENS1_16block_id_wrapperIjLb0EEEEE10hipError_tT1_PNSt15iterator_traitsISE_E10value_typeET2_T3_PNSF_ISK_E10value_typeET4_T5_PSP_SQ_PNS1_23onesweep_lookback_stateEbbT6_jjT7_P12ihipStream_tbENKUlT_T0_SE_SJ_E_clIS8_S8_S9_S9_EEDaSX_SY_SE_SJ_EUlSX_E_NS1_11comp_targetILNS1_3genE10ELNS1_11target_archE1201ELNS1_3gpuE5ELNS1_3repE0EEENS1_47radix_sort_onesweep_sort_config_static_selectorELNS0_4arch9wavefront6targetE1EEEvSE_ ; -- Begin function _ZN7rocprim17ROCPRIM_400000_NS6detail17trampoline_kernelINS0_14default_configENS1_35radix_sort_onesweep_config_selectorIyNS0_10empty_typeEEEZZNS1_29radix_sort_onesweep_iterationIS3_Lb1EPyS8_PS5_S9_mNS0_19identity_decomposerENS1_16block_id_wrapperIjLb0EEEEE10hipError_tT1_PNSt15iterator_traitsISE_E10value_typeET2_T3_PNSF_ISK_E10value_typeET4_T5_PSP_SQ_PNS1_23onesweep_lookback_stateEbbT6_jjT7_P12ihipStream_tbENKUlT_T0_SE_SJ_E_clIS8_S8_S9_S9_EEDaSX_SY_SE_SJ_EUlSX_E_NS1_11comp_targetILNS1_3genE10ELNS1_11target_archE1201ELNS1_3gpuE5ELNS1_3repE0EEENS1_47radix_sort_onesweep_sort_config_static_selectorELNS0_4arch9wavefront6targetE1EEEvSE_
	.globl	_ZN7rocprim17ROCPRIM_400000_NS6detail17trampoline_kernelINS0_14default_configENS1_35radix_sort_onesweep_config_selectorIyNS0_10empty_typeEEEZZNS1_29radix_sort_onesweep_iterationIS3_Lb1EPyS8_PS5_S9_mNS0_19identity_decomposerENS1_16block_id_wrapperIjLb0EEEEE10hipError_tT1_PNSt15iterator_traitsISE_E10value_typeET2_T3_PNSF_ISK_E10value_typeET4_T5_PSP_SQ_PNS1_23onesweep_lookback_stateEbbT6_jjT7_P12ihipStream_tbENKUlT_T0_SE_SJ_E_clIS8_S8_S9_S9_EEDaSX_SY_SE_SJ_EUlSX_E_NS1_11comp_targetILNS1_3genE10ELNS1_11target_archE1201ELNS1_3gpuE5ELNS1_3repE0EEENS1_47radix_sort_onesweep_sort_config_static_selectorELNS0_4arch9wavefront6targetE1EEEvSE_
	.p2align	8
	.type	_ZN7rocprim17ROCPRIM_400000_NS6detail17trampoline_kernelINS0_14default_configENS1_35radix_sort_onesweep_config_selectorIyNS0_10empty_typeEEEZZNS1_29radix_sort_onesweep_iterationIS3_Lb1EPyS8_PS5_S9_mNS0_19identity_decomposerENS1_16block_id_wrapperIjLb0EEEEE10hipError_tT1_PNSt15iterator_traitsISE_E10value_typeET2_T3_PNSF_ISK_E10value_typeET4_T5_PSP_SQ_PNS1_23onesweep_lookback_stateEbbT6_jjT7_P12ihipStream_tbENKUlT_T0_SE_SJ_E_clIS8_S8_S9_S9_EEDaSX_SY_SE_SJ_EUlSX_E_NS1_11comp_targetILNS1_3genE10ELNS1_11target_archE1201ELNS1_3gpuE5ELNS1_3repE0EEENS1_47radix_sort_onesweep_sort_config_static_selectorELNS0_4arch9wavefront6targetE1EEEvSE_,@function
_ZN7rocprim17ROCPRIM_400000_NS6detail17trampoline_kernelINS0_14default_configENS1_35radix_sort_onesweep_config_selectorIyNS0_10empty_typeEEEZZNS1_29radix_sort_onesweep_iterationIS3_Lb1EPyS8_PS5_S9_mNS0_19identity_decomposerENS1_16block_id_wrapperIjLb0EEEEE10hipError_tT1_PNSt15iterator_traitsISE_E10value_typeET2_T3_PNSF_ISK_E10value_typeET4_T5_PSP_SQ_PNS1_23onesweep_lookback_stateEbbT6_jjT7_P12ihipStream_tbENKUlT_T0_SE_SJ_E_clIS8_S8_S9_S9_EEDaSX_SY_SE_SJ_EUlSX_E_NS1_11comp_targetILNS1_3genE10ELNS1_11target_archE1201ELNS1_3gpuE5ELNS1_3repE0EEENS1_47radix_sort_onesweep_sort_config_static_selectorELNS0_4arch9wavefront6targetE1EEEvSE_: ; @_ZN7rocprim17ROCPRIM_400000_NS6detail17trampoline_kernelINS0_14default_configENS1_35radix_sort_onesweep_config_selectorIyNS0_10empty_typeEEEZZNS1_29radix_sort_onesweep_iterationIS3_Lb1EPyS8_PS5_S9_mNS0_19identity_decomposerENS1_16block_id_wrapperIjLb0EEEEE10hipError_tT1_PNSt15iterator_traitsISE_E10value_typeET2_T3_PNSF_ISK_E10value_typeET4_T5_PSP_SQ_PNS1_23onesweep_lookback_stateEbbT6_jjT7_P12ihipStream_tbENKUlT_T0_SE_SJ_E_clIS8_S8_S9_S9_EEDaSX_SY_SE_SJ_EUlSX_E_NS1_11comp_targetILNS1_3genE10ELNS1_11target_archE1201ELNS1_3gpuE5ELNS1_3repE0EEENS1_47radix_sort_onesweep_sort_config_static_selectorELNS0_4arch9wavefront6targetE1EEEvSE_
; %bb.0:
	.section	.rodata,"a",@progbits
	.p2align	6, 0x0
	.amdhsa_kernel _ZN7rocprim17ROCPRIM_400000_NS6detail17trampoline_kernelINS0_14default_configENS1_35radix_sort_onesweep_config_selectorIyNS0_10empty_typeEEEZZNS1_29radix_sort_onesweep_iterationIS3_Lb1EPyS8_PS5_S9_mNS0_19identity_decomposerENS1_16block_id_wrapperIjLb0EEEEE10hipError_tT1_PNSt15iterator_traitsISE_E10value_typeET2_T3_PNSF_ISK_E10value_typeET4_T5_PSP_SQ_PNS1_23onesweep_lookback_stateEbbT6_jjT7_P12ihipStream_tbENKUlT_T0_SE_SJ_E_clIS8_S8_S9_S9_EEDaSX_SY_SE_SJ_EUlSX_E_NS1_11comp_targetILNS1_3genE10ELNS1_11target_archE1201ELNS1_3gpuE5ELNS1_3repE0EEENS1_47radix_sort_onesweep_sort_config_static_selectorELNS0_4arch9wavefront6targetE1EEEvSE_
		.amdhsa_group_segment_fixed_size 0
		.amdhsa_private_segment_fixed_size 0
		.amdhsa_kernarg_size 88
		.amdhsa_user_sgpr_count 6
		.amdhsa_user_sgpr_private_segment_buffer 1
		.amdhsa_user_sgpr_dispatch_ptr 0
		.amdhsa_user_sgpr_queue_ptr 0
		.amdhsa_user_sgpr_kernarg_segment_ptr 1
		.amdhsa_user_sgpr_dispatch_id 0
		.amdhsa_user_sgpr_flat_scratch_init 0
		.amdhsa_user_sgpr_kernarg_preload_length 0
		.amdhsa_user_sgpr_kernarg_preload_offset 0
		.amdhsa_user_sgpr_private_segment_size 0
		.amdhsa_uses_dynamic_stack 0
		.amdhsa_system_sgpr_private_segment_wavefront_offset 0
		.amdhsa_system_sgpr_workgroup_id_x 1
		.amdhsa_system_sgpr_workgroup_id_y 0
		.amdhsa_system_sgpr_workgroup_id_z 0
		.amdhsa_system_sgpr_workgroup_info 0
		.amdhsa_system_vgpr_workitem_id 0
		.amdhsa_next_free_vgpr 1
		.amdhsa_next_free_sgpr 0
		.amdhsa_accum_offset 4
		.amdhsa_reserve_vcc 0
		.amdhsa_reserve_flat_scratch 0
		.amdhsa_float_round_mode_32 0
		.amdhsa_float_round_mode_16_64 0
		.amdhsa_float_denorm_mode_32 3
		.amdhsa_float_denorm_mode_16_64 3
		.amdhsa_dx10_clamp 1
		.amdhsa_ieee_mode 1
		.amdhsa_fp16_overflow 0
		.amdhsa_tg_split 0
		.amdhsa_exception_fp_ieee_invalid_op 0
		.amdhsa_exception_fp_denorm_src 0
		.amdhsa_exception_fp_ieee_div_zero 0
		.amdhsa_exception_fp_ieee_overflow 0
		.amdhsa_exception_fp_ieee_underflow 0
		.amdhsa_exception_fp_ieee_inexact 0
		.amdhsa_exception_int_div_zero 0
	.end_amdhsa_kernel
	.section	.text._ZN7rocprim17ROCPRIM_400000_NS6detail17trampoline_kernelINS0_14default_configENS1_35radix_sort_onesweep_config_selectorIyNS0_10empty_typeEEEZZNS1_29radix_sort_onesweep_iterationIS3_Lb1EPyS8_PS5_S9_mNS0_19identity_decomposerENS1_16block_id_wrapperIjLb0EEEEE10hipError_tT1_PNSt15iterator_traitsISE_E10value_typeET2_T3_PNSF_ISK_E10value_typeET4_T5_PSP_SQ_PNS1_23onesweep_lookback_stateEbbT6_jjT7_P12ihipStream_tbENKUlT_T0_SE_SJ_E_clIS8_S8_S9_S9_EEDaSX_SY_SE_SJ_EUlSX_E_NS1_11comp_targetILNS1_3genE10ELNS1_11target_archE1201ELNS1_3gpuE5ELNS1_3repE0EEENS1_47radix_sort_onesweep_sort_config_static_selectorELNS0_4arch9wavefront6targetE1EEEvSE_,"axG",@progbits,_ZN7rocprim17ROCPRIM_400000_NS6detail17trampoline_kernelINS0_14default_configENS1_35radix_sort_onesweep_config_selectorIyNS0_10empty_typeEEEZZNS1_29radix_sort_onesweep_iterationIS3_Lb1EPyS8_PS5_S9_mNS0_19identity_decomposerENS1_16block_id_wrapperIjLb0EEEEE10hipError_tT1_PNSt15iterator_traitsISE_E10value_typeET2_T3_PNSF_ISK_E10value_typeET4_T5_PSP_SQ_PNS1_23onesweep_lookback_stateEbbT6_jjT7_P12ihipStream_tbENKUlT_T0_SE_SJ_E_clIS8_S8_S9_S9_EEDaSX_SY_SE_SJ_EUlSX_E_NS1_11comp_targetILNS1_3genE10ELNS1_11target_archE1201ELNS1_3gpuE5ELNS1_3repE0EEENS1_47radix_sort_onesweep_sort_config_static_selectorELNS0_4arch9wavefront6targetE1EEEvSE_,comdat
.Lfunc_end2492:
	.size	_ZN7rocprim17ROCPRIM_400000_NS6detail17trampoline_kernelINS0_14default_configENS1_35radix_sort_onesweep_config_selectorIyNS0_10empty_typeEEEZZNS1_29radix_sort_onesweep_iterationIS3_Lb1EPyS8_PS5_S9_mNS0_19identity_decomposerENS1_16block_id_wrapperIjLb0EEEEE10hipError_tT1_PNSt15iterator_traitsISE_E10value_typeET2_T3_PNSF_ISK_E10value_typeET4_T5_PSP_SQ_PNS1_23onesweep_lookback_stateEbbT6_jjT7_P12ihipStream_tbENKUlT_T0_SE_SJ_E_clIS8_S8_S9_S9_EEDaSX_SY_SE_SJ_EUlSX_E_NS1_11comp_targetILNS1_3genE10ELNS1_11target_archE1201ELNS1_3gpuE5ELNS1_3repE0EEENS1_47radix_sort_onesweep_sort_config_static_selectorELNS0_4arch9wavefront6targetE1EEEvSE_, .Lfunc_end2492-_ZN7rocprim17ROCPRIM_400000_NS6detail17trampoline_kernelINS0_14default_configENS1_35radix_sort_onesweep_config_selectorIyNS0_10empty_typeEEEZZNS1_29radix_sort_onesweep_iterationIS3_Lb1EPyS8_PS5_S9_mNS0_19identity_decomposerENS1_16block_id_wrapperIjLb0EEEEE10hipError_tT1_PNSt15iterator_traitsISE_E10value_typeET2_T3_PNSF_ISK_E10value_typeET4_T5_PSP_SQ_PNS1_23onesweep_lookback_stateEbbT6_jjT7_P12ihipStream_tbENKUlT_T0_SE_SJ_E_clIS8_S8_S9_S9_EEDaSX_SY_SE_SJ_EUlSX_E_NS1_11comp_targetILNS1_3genE10ELNS1_11target_archE1201ELNS1_3gpuE5ELNS1_3repE0EEENS1_47radix_sort_onesweep_sort_config_static_selectorELNS0_4arch9wavefront6targetE1EEEvSE_
                                        ; -- End function
	.section	.AMDGPU.csdata,"",@progbits
; Kernel info:
; codeLenInByte = 0
; NumSgprs: 4
; NumVgprs: 0
; NumAgprs: 0
; TotalNumVgprs: 0
; ScratchSize: 0
; MemoryBound: 0
; FloatMode: 240
; IeeeMode: 1
; LDSByteSize: 0 bytes/workgroup (compile time only)
; SGPRBlocks: 0
; VGPRBlocks: 0
; NumSGPRsForWavesPerEU: 4
; NumVGPRsForWavesPerEU: 1
; AccumOffset: 4
; Occupancy: 8
; WaveLimiterHint : 0
; COMPUTE_PGM_RSRC2:SCRATCH_EN: 0
; COMPUTE_PGM_RSRC2:USER_SGPR: 6
; COMPUTE_PGM_RSRC2:TRAP_HANDLER: 0
; COMPUTE_PGM_RSRC2:TGID_X_EN: 1
; COMPUTE_PGM_RSRC2:TGID_Y_EN: 0
; COMPUTE_PGM_RSRC2:TGID_Z_EN: 0
; COMPUTE_PGM_RSRC2:TIDIG_COMP_CNT: 0
; COMPUTE_PGM_RSRC3_GFX90A:ACCUM_OFFSET: 0
; COMPUTE_PGM_RSRC3_GFX90A:TG_SPLIT: 0
	.section	.text._ZN7rocprim17ROCPRIM_400000_NS6detail17trampoline_kernelINS0_14default_configENS1_35radix_sort_onesweep_config_selectorIyNS0_10empty_typeEEEZZNS1_29radix_sort_onesweep_iterationIS3_Lb1EPyS8_PS5_S9_mNS0_19identity_decomposerENS1_16block_id_wrapperIjLb0EEEEE10hipError_tT1_PNSt15iterator_traitsISE_E10value_typeET2_T3_PNSF_ISK_E10value_typeET4_T5_PSP_SQ_PNS1_23onesweep_lookback_stateEbbT6_jjT7_P12ihipStream_tbENKUlT_T0_SE_SJ_E_clIS8_S8_S9_S9_EEDaSX_SY_SE_SJ_EUlSX_E_NS1_11comp_targetILNS1_3genE9ELNS1_11target_archE1100ELNS1_3gpuE3ELNS1_3repE0EEENS1_47radix_sort_onesweep_sort_config_static_selectorELNS0_4arch9wavefront6targetE1EEEvSE_,"axG",@progbits,_ZN7rocprim17ROCPRIM_400000_NS6detail17trampoline_kernelINS0_14default_configENS1_35radix_sort_onesweep_config_selectorIyNS0_10empty_typeEEEZZNS1_29radix_sort_onesweep_iterationIS3_Lb1EPyS8_PS5_S9_mNS0_19identity_decomposerENS1_16block_id_wrapperIjLb0EEEEE10hipError_tT1_PNSt15iterator_traitsISE_E10value_typeET2_T3_PNSF_ISK_E10value_typeET4_T5_PSP_SQ_PNS1_23onesweep_lookback_stateEbbT6_jjT7_P12ihipStream_tbENKUlT_T0_SE_SJ_E_clIS8_S8_S9_S9_EEDaSX_SY_SE_SJ_EUlSX_E_NS1_11comp_targetILNS1_3genE9ELNS1_11target_archE1100ELNS1_3gpuE3ELNS1_3repE0EEENS1_47radix_sort_onesweep_sort_config_static_selectorELNS0_4arch9wavefront6targetE1EEEvSE_,comdat
	.protected	_ZN7rocprim17ROCPRIM_400000_NS6detail17trampoline_kernelINS0_14default_configENS1_35radix_sort_onesweep_config_selectorIyNS0_10empty_typeEEEZZNS1_29radix_sort_onesweep_iterationIS3_Lb1EPyS8_PS5_S9_mNS0_19identity_decomposerENS1_16block_id_wrapperIjLb0EEEEE10hipError_tT1_PNSt15iterator_traitsISE_E10value_typeET2_T3_PNSF_ISK_E10value_typeET4_T5_PSP_SQ_PNS1_23onesweep_lookback_stateEbbT6_jjT7_P12ihipStream_tbENKUlT_T0_SE_SJ_E_clIS8_S8_S9_S9_EEDaSX_SY_SE_SJ_EUlSX_E_NS1_11comp_targetILNS1_3genE9ELNS1_11target_archE1100ELNS1_3gpuE3ELNS1_3repE0EEENS1_47radix_sort_onesweep_sort_config_static_selectorELNS0_4arch9wavefront6targetE1EEEvSE_ ; -- Begin function _ZN7rocprim17ROCPRIM_400000_NS6detail17trampoline_kernelINS0_14default_configENS1_35radix_sort_onesweep_config_selectorIyNS0_10empty_typeEEEZZNS1_29radix_sort_onesweep_iterationIS3_Lb1EPyS8_PS5_S9_mNS0_19identity_decomposerENS1_16block_id_wrapperIjLb0EEEEE10hipError_tT1_PNSt15iterator_traitsISE_E10value_typeET2_T3_PNSF_ISK_E10value_typeET4_T5_PSP_SQ_PNS1_23onesweep_lookback_stateEbbT6_jjT7_P12ihipStream_tbENKUlT_T0_SE_SJ_E_clIS8_S8_S9_S9_EEDaSX_SY_SE_SJ_EUlSX_E_NS1_11comp_targetILNS1_3genE9ELNS1_11target_archE1100ELNS1_3gpuE3ELNS1_3repE0EEENS1_47radix_sort_onesweep_sort_config_static_selectorELNS0_4arch9wavefront6targetE1EEEvSE_
	.globl	_ZN7rocprim17ROCPRIM_400000_NS6detail17trampoline_kernelINS0_14default_configENS1_35radix_sort_onesweep_config_selectorIyNS0_10empty_typeEEEZZNS1_29radix_sort_onesweep_iterationIS3_Lb1EPyS8_PS5_S9_mNS0_19identity_decomposerENS1_16block_id_wrapperIjLb0EEEEE10hipError_tT1_PNSt15iterator_traitsISE_E10value_typeET2_T3_PNSF_ISK_E10value_typeET4_T5_PSP_SQ_PNS1_23onesweep_lookback_stateEbbT6_jjT7_P12ihipStream_tbENKUlT_T0_SE_SJ_E_clIS8_S8_S9_S9_EEDaSX_SY_SE_SJ_EUlSX_E_NS1_11comp_targetILNS1_3genE9ELNS1_11target_archE1100ELNS1_3gpuE3ELNS1_3repE0EEENS1_47radix_sort_onesweep_sort_config_static_selectorELNS0_4arch9wavefront6targetE1EEEvSE_
	.p2align	8
	.type	_ZN7rocprim17ROCPRIM_400000_NS6detail17trampoline_kernelINS0_14default_configENS1_35radix_sort_onesweep_config_selectorIyNS0_10empty_typeEEEZZNS1_29radix_sort_onesweep_iterationIS3_Lb1EPyS8_PS5_S9_mNS0_19identity_decomposerENS1_16block_id_wrapperIjLb0EEEEE10hipError_tT1_PNSt15iterator_traitsISE_E10value_typeET2_T3_PNSF_ISK_E10value_typeET4_T5_PSP_SQ_PNS1_23onesweep_lookback_stateEbbT6_jjT7_P12ihipStream_tbENKUlT_T0_SE_SJ_E_clIS8_S8_S9_S9_EEDaSX_SY_SE_SJ_EUlSX_E_NS1_11comp_targetILNS1_3genE9ELNS1_11target_archE1100ELNS1_3gpuE3ELNS1_3repE0EEENS1_47radix_sort_onesweep_sort_config_static_selectorELNS0_4arch9wavefront6targetE1EEEvSE_,@function
_ZN7rocprim17ROCPRIM_400000_NS6detail17trampoline_kernelINS0_14default_configENS1_35radix_sort_onesweep_config_selectorIyNS0_10empty_typeEEEZZNS1_29radix_sort_onesweep_iterationIS3_Lb1EPyS8_PS5_S9_mNS0_19identity_decomposerENS1_16block_id_wrapperIjLb0EEEEE10hipError_tT1_PNSt15iterator_traitsISE_E10value_typeET2_T3_PNSF_ISK_E10value_typeET4_T5_PSP_SQ_PNS1_23onesweep_lookback_stateEbbT6_jjT7_P12ihipStream_tbENKUlT_T0_SE_SJ_E_clIS8_S8_S9_S9_EEDaSX_SY_SE_SJ_EUlSX_E_NS1_11comp_targetILNS1_3genE9ELNS1_11target_archE1100ELNS1_3gpuE3ELNS1_3repE0EEENS1_47radix_sort_onesweep_sort_config_static_selectorELNS0_4arch9wavefront6targetE1EEEvSE_: ; @_ZN7rocprim17ROCPRIM_400000_NS6detail17trampoline_kernelINS0_14default_configENS1_35radix_sort_onesweep_config_selectorIyNS0_10empty_typeEEEZZNS1_29radix_sort_onesweep_iterationIS3_Lb1EPyS8_PS5_S9_mNS0_19identity_decomposerENS1_16block_id_wrapperIjLb0EEEEE10hipError_tT1_PNSt15iterator_traitsISE_E10value_typeET2_T3_PNSF_ISK_E10value_typeET4_T5_PSP_SQ_PNS1_23onesweep_lookback_stateEbbT6_jjT7_P12ihipStream_tbENKUlT_T0_SE_SJ_E_clIS8_S8_S9_S9_EEDaSX_SY_SE_SJ_EUlSX_E_NS1_11comp_targetILNS1_3genE9ELNS1_11target_archE1100ELNS1_3gpuE3ELNS1_3repE0EEENS1_47radix_sort_onesweep_sort_config_static_selectorELNS0_4arch9wavefront6targetE1EEEvSE_
; %bb.0:
	.section	.rodata,"a",@progbits
	.p2align	6, 0x0
	.amdhsa_kernel _ZN7rocprim17ROCPRIM_400000_NS6detail17trampoline_kernelINS0_14default_configENS1_35radix_sort_onesweep_config_selectorIyNS0_10empty_typeEEEZZNS1_29radix_sort_onesweep_iterationIS3_Lb1EPyS8_PS5_S9_mNS0_19identity_decomposerENS1_16block_id_wrapperIjLb0EEEEE10hipError_tT1_PNSt15iterator_traitsISE_E10value_typeET2_T3_PNSF_ISK_E10value_typeET4_T5_PSP_SQ_PNS1_23onesweep_lookback_stateEbbT6_jjT7_P12ihipStream_tbENKUlT_T0_SE_SJ_E_clIS8_S8_S9_S9_EEDaSX_SY_SE_SJ_EUlSX_E_NS1_11comp_targetILNS1_3genE9ELNS1_11target_archE1100ELNS1_3gpuE3ELNS1_3repE0EEENS1_47radix_sort_onesweep_sort_config_static_selectorELNS0_4arch9wavefront6targetE1EEEvSE_
		.amdhsa_group_segment_fixed_size 0
		.amdhsa_private_segment_fixed_size 0
		.amdhsa_kernarg_size 88
		.amdhsa_user_sgpr_count 6
		.amdhsa_user_sgpr_private_segment_buffer 1
		.amdhsa_user_sgpr_dispatch_ptr 0
		.amdhsa_user_sgpr_queue_ptr 0
		.amdhsa_user_sgpr_kernarg_segment_ptr 1
		.amdhsa_user_sgpr_dispatch_id 0
		.amdhsa_user_sgpr_flat_scratch_init 0
		.amdhsa_user_sgpr_kernarg_preload_length 0
		.amdhsa_user_sgpr_kernarg_preload_offset 0
		.amdhsa_user_sgpr_private_segment_size 0
		.amdhsa_uses_dynamic_stack 0
		.amdhsa_system_sgpr_private_segment_wavefront_offset 0
		.amdhsa_system_sgpr_workgroup_id_x 1
		.amdhsa_system_sgpr_workgroup_id_y 0
		.amdhsa_system_sgpr_workgroup_id_z 0
		.amdhsa_system_sgpr_workgroup_info 0
		.amdhsa_system_vgpr_workitem_id 0
		.amdhsa_next_free_vgpr 1
		.amdhsa_next_free_sgpr 0
		.amdhsa_accum_offset 4
		.amdhsa_reserve_vcc 0
		.amdhsa_reserve_flat_scratch 0
		.amdhsa_float_round_mode_32 0
		.amdhsa_float_round_mode_16_64 0
		.amdhsa_float_denorm_mode_32 3
		.amdhsa_float_denorm_mode_16_64 3
		.amdhsa_dx10_clamp 1
		.amdhsa_ieee_mode 1
		.amdhsa_fp16_overflow 0
		.amdhsa_tg_split 0
		.amdhsa_exception_fp_ieee_invalid_op 0
		.amdhsa_exception_fp_denorm_src 0
		.amdhsa_exception_fp_ieee_div_zero 0
		.amdhsa_exception_fp_ieee_overflow 0
		.amdhsa_exception_fp_ieee_underflow 0
		.amdhsa_exception_fp_ieee_inexact 0
		.amdhsa_exception_int_div_zero 0
	.end_amdhsa_kernel
	.section	.text._ZN7rocprim17ROCPRIM_400000_NS6detail17trampoline_kernelINS0_14default_configENS1_35radix_sort_onesweep_config_selectorIyNS0_10empty_typeEEEZZNS1_29radix_sort_onesweep_iterationIS3_Lb1EPyS8_PS5_S9_mNS0_19identity_decomposerENS1_16block_id_wrapperIjLb0EEEEE10hipError_tT1_PNSt15iterator_traitsISE_E10value_typeET2_T3_PNSF_ISK_E10value_typeET4_T5_PSP_SQ_PNS1_23onesweep_lookback_stateEbbT6_jjT7_P12ihipStream_tbENKUlT_T0_SE_SJ_E_clIS8_S8_S9_S9_EEDaSX_SY_SE_SJ_EUlSX_E_NS1_11comp_targetILNS1_3genE9ELNS1_11target_archE1100ELNS1_3gpuE3ELNS1_3repE0EEENS1_47radix_sort_onesweep_sort_config_static_selectorELNS0_4arch9wavefront6targetE1EEEvSE_,"axG",@progbits,_ZN7rocprim17ROCPRIM_400000_NS6detail17trampoline_kernelINS0_14default_configENS1_35radix_sort_onesweep_config_selectorIyNS0_10empty_typeEEEZZNS1_29radix_sort_onesweep_iterationIS3_Lb1EPyS8_PS5_S9_mNS0_19identity_decomposerENS1_16block_id_wrapperIjLb0EEEEE10hipError_tT1_PNSt15iterator_traitsISE_E10value_typeET2_T3_PNSF_ISK_E10value_typeET4_T5_PSP_SQ_PNS1_23onesweep_lookback_stateEbbT6_jjT7_P12ihipStream_tbENKUlT_T0_SE_SJ_E_clIS8_S8_S9_S9_EEDaSX_SY_SE_SJ_EUlSX_E_NS1_11comp_targetILNS1_3genE9ELNS1_11target_archE1100ELNS1_3gpuE3ELNS1_3repE0EEENS1_47radix_sort_onesweep_sort_config_static_selectorELNS0_4arch9wavefront6targetE1EEEvSE_,comdat
.Lfunc_end2493:
	.size	_ZN7rocprim17ROCPRIM_400000_NS6detail17trampoline_kernelINS0_14default_configENS1_35radix_sort_onesweep_config_selectorIyNS0_10empty_typeEEEZZNS1_29radix_sort_onesweep_iterationIS3_Lb1EPyS8_PS5_S9_mNS0_19identity_decomposerENS1_16block_id_wrapperIjLb0EEEEE10hipError_tT1_PNSt15iterator_traitsISE_E10value_typeET2_T3_PNSF_ISK_E10value_typeET4_T5_PSP_SQ_PNS1_23onesweep_lookback_stateEbbT6_jjT7_P12ihipStream_tbENKUlT_T0_SE_SJ_E_clIS8_S8_S9_S9_EEDaSX_SY_SE_SJ_EUlSX_E_NS1_11comp_targetILNS1_3genE9ELNS1_11target_archE1100ELNS1_3gpuE3ELNS1_3repE0EEENS1_47radix_sort_onesweep_sort_config_static_selectorELNS0_4arch9wavefront6targetE1EEEvSE_, .Lfunc_end2493-_ZN7rocprim17ROCPRIM_400000_NS6detail17trampoline_kernelINS0_14default_configENS1_35radix_sort_onesweep_config_selectorIyNS0_10empty_typeEEEZZNS1_29radix_sort_onesweep_iterationIS3_Lb1EPyS8_PS5_S9_mNS0_19identity_decomposerENS1_16block_id_wrapperIjLb0EEEEE10hipError_tT1_PNSt15iterator_traitsISE_E10value_typeET2_T3_PNSF_ISK_E10value_typeET4_T5_PSP_SQ_PNS1_23onesweep_lookback_stateEbbT6_jjT7_P12ihipStream_tbENKUlT_T0_SE_SJ_E_clIS8_S8_S9_S9_EEDaSX_SY_SE_SJ_EUlSX_E_NS1_11comp_targetILNS1_3genE9ELNS1_11target_archE1100ELNS1_3gpuE3ELNS1_3repE0EEENS1_47radix_sort_onesweep_sort_config_static_selectorELNS0_4arch9wavefront6targetE1EEEvSE_
                                        ; -- End function
	.section	.AMDGPU.csdata,"",@progbits
; Kernel info:
; codeLenInByte = 0
; NumSgprs: 4
; NumVgprs: 0
; NumAgprs: 0
; TotalNumVgprs: 0
; ScratchSize: 0
; MemoryBound: 0
; FloatMode: 240
; IeeeMode: 1
; LDSByteSize: 0 bytes/workgroup (compile time only)
; SGPRBlocks: 0
; VGPRBlocks: 0
; NumSGPRsForWavesPerEU: 4
; NumVGPRsForWavesPerEU: 1
; AccumOffset: 4
; Occupancy: 8
; WaveLimiterHint : 0
; COMPUTE_PGM_RSRC2:SCRATCH_EN: 0
; COMPUTE_PGM_RSRC2:USER_SGPR: 6
; COMPUTE_PGM_RSRC2:TRAP_HANDLER: 0
; COMPUTE_PGM_RSRC2:TGID_X_EN: 1
; COMPUTE_PGM_RSRC2:TGID_Y_EN: 0
; COMPUTE_PGM_RSRC2:TGID_Z_EN: 0
; COMPUTE_PGM_RSRC2:TIDIG_COMP_CNT: 0
; COMPUTE_PGM_RSRC3_GFX90A:ACCUM_OFFSET: 0
; COMPUTE_PGM_RSRC3_GFX90A:TG_SPLIT: 0
	.section	.text._ZN7rocprim17ROCPRIM_400000_NS6detail17trampoline_kernelINS0_14default_configENS1_35radix_sort_onesweep_config_selectorIyNS0_10empty_typeEEEZZNS1_29radix_sort_onesweep_iterationIS3_Lb1EPyS8_PS5_S9_mNS0_19identity_decomposerENS1_16block_id_wrapperIjLb0EEEEE10hipError_tT1_PNSt15iterator_traitsISE_E10value_typeET2_T3_PNSF_ISK_E10value_typeET4_T5_PSP_SQ_PNS1_23onesweep_lookback_stateEbbT6_jjT7_P12ihipStream_tbENKUlT_T0_SE_SJ_E_clIS8_S8_S9_S9_EEDaSX_SY_SE_SJ_EUlSX_E_NS1_11comp_targetILNS1_3genE8ELNS1_11target_archE1030ELNS1_3gpuE2ELNS1_3repE0EEENS1_47radix_sort_onesweep_sort_config_static_selectorELNS0_4arch9wavefront6targetE1EEEvSE_,"axG",@progbits,_ZN7rocprim17ROCPRIM_400000_NS6detail17trampoline_kernelINS0_14default_configENS1_35radix_sort_onesweep_config_selectorIyNS0_10empty_typeEEEZZNS1_29radix_sort_onesweep_iterationIS3_Lb1EPyS8_PS5_S9_mNS0_19identity_decomposerENS1_16block_id_wrapperIjLb0EEEEE10hipError_tT1_PNSt15iterator_traitsISE_E10value_typeET2_T3_PNSF_ISK_E10value_typeET4_T5_PSP_SQ_PNS1_23onesweep_lookback_stateEbbT6_jjT7_P12ihipStream_tbENKUlT_T0_SE_SJ_E_clIS8_S8_S9_S9_EEDaSX_SY_SE_SJ_EUlSX_E_NS1_11comp_targetILNS1_3genE8ELNS1_11target_archE1030ELNS1_3gpuE2ELNS1_3repE0EEENS1_47radix_sort_onesweep_sort_config_static_selectorELNS0_4arch9wavefront6targetE1EEEvSE_,comdat
	.protected	_ZN7rocprim17ROCPRIM_400000_NS6detail17trampoline_kernelINS0_14default_configENS1_35radix_sort_onesweep_config_selectorIyNS0_10empty_typeEEEZZNS1_29radix_sort_onesweep_iterationIS3_Lb1EPyS8_PS5_S9_mNS0_19identity_decomposerENS1_16block_id_wrapperIjLb0EEEEE10hipError_tT1_PNSt15iterator_traitsISE_E10value_typeET2_T3_PNSF_ISK_E10value_typeET4_T5_PSP_SQ_PNS1_23onesweep_lookback_stateEbbT6_jjT7_P12ihipStream_tbENKUlT_T0_SE_SJ_E_clIS8_S8_S9_S9_EEDaSX_SY_SE_SJ_EUlSX_E_NS1_11comp_targetILNS1_3genE8ELNS1_11target_archE1030ELNS1_3gpuE2ELNS1_3repE0EEENS1_47radix_sort_onesweep_sort_config_static_selectorELNS0_4arch9wavefront6targetE1EEEvSE_ ; -- Begin function _ZN7rocprim17ROCPRIM_400000_NS6detail17trampoline_kernelINS0_14default_configENS1_35radix_sort_onesweep_config_selectorIyNS0_10empty_typeEEEZZNS1_29radix_sort_onesweep_iterationIS3_Lb1EPyS8_PS5_S9_mNS0_19identity_decomposerENS1_16block_id_wrapperIjLb0EEEEE10hipError_tT1_PNSt15iterator_traitsISE_E10value_typeET2_T3_PNSF_ISK_E10value_typeET4_T5_PSP_SQ_PNS1_23onesweep_lookback_stateEbbT6_jjT7_P12ihipStream_tbENKUlT_T0_SE_SJ_E_clIS8_S8_S9_S9_EEDaSX_SY_SE_SJ_EUlSX_E_NS1_11comp_targetILNS1_3genE8ELNS1_11target_archE1030ELNS1_3gpuE2ELNS1_3repE0EEENS1_47radix_sort_onesweep_sort_config_static_selectorELNS0_4arch9wavefront6targetE1EEEvSE_
	.globl	_ZN7rocprim17ROCPRIM_400000_NS6detail17trampoline_kernelINS0_14default_configENS1_35radix_sort_onesweep_config_selectorIyNS0_10empty_typeEEEZZNS1_29radix_sort_onesweep_iterationIS3_Lb1EPyS8_PS5_S9_mNS0_19identity_decomposerENS1_16block_id_wrapperIjLb0EEEEE10hipError_tT1_PNSt15iterator_traitsISE_E10value_typeET2_T3_PNSF_ISK_E10value_typeET4_T5_PSP_SQ_PNS1_23onesweep_lookback_stateEbbT6_jjT7_P12ihipStream_tbENKUlT_T0_SE_SJ_E_clIS8_S8_S9_S9_EEDaSX_SY_SE_SJ_EUlSX_E_NS1_11comp_targetILNS1_3genE8ELNS1_11target_archE1030ELNS1_3gpuE2ELNS1_3repE0EEENS1_47radix_sort_onesweep_sort_config_static_selectorELNS0_4arch9wavefront6targetE1EEEvSE_
	.p2align	8
	.type	_ZN7rocprim17ROCPRIM_400000_NS6detail17trampoline_kernelINS0_14default_configENS1_35radix_sort_onesweep_config_selectorIyNS0_10empty_typeEEEZZNS1_29radix_sort_onesweep_iterationIS3_Lb1EPyS8_PS5_S9_mNS0_19identity_decomposerENS1_16block_id_wrapperIjLb0EEEEE10hipError_tT1_PNSt15iterator_traitsISE_E10value_typeET2_T3_PNSF_ISK_E10value_typeET4_T5_PSP_SQ_PNS1_23onesweep_lookback_stateEbbT6_jjT7_P12ihipStream_tbENKUlT_T0_SE_SJ_E_clIS8_S8_S9_S9_EEDaSX_SY_SE_SJ_EUlSX_E_NS1_11comp_targetILNS1_3genE8ELNS1_11target_archE1030ELNS1_3gpuE2ELNS1_3repE0EEENS1_47radix_sort_onesweep_sort_config_static_selectorELNS0_4arch9wavefront6targetE1EEEvSE_,@function
_ZN7rocprim17ROCPRIM_400000_NS6detail17trampoline_kernelINS0_14default_configENS1_35radix_sort_onesweep_config_selectorIyNS0_10empty_typeEEEZZNS1_29radix_sort_onesweep_iterationIS3_Lb1EPyS8_PS5_S9_mNS0_19identity_decomposerENS1_16block_id_wrapperIjLb0EEEEE10hipError_tT1_PNSt15iterator_traitsISE_E10value_typeET2_T3_PNSF_ISK_E10value_typeET4_T5_PSP_SQ_PNS1_23onesweep_lookback_stateEbbT6_jjT7_P12ihipStream_tbENKUlT_T0_SE_SJ_E_clIS8_S8_S9_S9_EEDaSX_SY_SE_SJ_EUlSX_E_NS1_11comp_targetILNS1_3genE8ELNS1_11target_archE1030ELNS1_3gpuE2ELNS1_3repE0EEENS1_47radix_sort_onesweep_sort_config_static_selectorELNS0_4arch9wavefront6targetE1EEEvSE_: ; @_ZN7rocprim17ROCPRIM_400000_NS6detail17trampoline_kernelINS0_14default_configENS1_35radix_sort_onesweep_config_selectorIyNS0_10empty_typeEEEZZNS1_29radix_sort_onesweep_iterationIS3_Lb1EPyS8_PS5_S9_mNS0_19identity_decomposerENS1_16block_id_wrapperIjLb0EEEEE10hipError_tT1_PNSt15iterator_traitsISE_E10value_typeET2_T3_PNSF_ISK_E10value_typeET4_T5_PSP_SQ_PNS1_23onesweep_lookback_stateEbbT6_jjT7_P12ihipStream_tbENKUlT_T0_SE_SJ_E_clIS8_S8_S9_S9_EEDaSX_SY_SE_SJ_EUlSX_E_NS1_11comp_targetILNS1_3genE8ELNS1_11target_archE1030ELNS1_3gpuE2ELNS1_3repE0EEENS1_47radix_sort_onesweep_sort_config_static_selectorELNS0_4arch9wavefront6targetE1EEEvSE_
; %bb.0:
	.section	.rodata,"a",@progbits
	.p2align	6, 0x0
	.amdhsa_kernel _ZN7rocprim17ROCPRIM_400000_NS6detail17trampoline_kernelINS0_14default_configENS1_35radix_sort_onesweep_config_selectorIyNS0_10empty_typeEEEZZNS1_29radix_sort_onesweep_iterationIS3_Lb1EPyS8_PS5_S9_mNS0_19identity_decomposerENS1_16block_id_wrapperIjLb0EEEEE10hipError_tT1_PNSt15iterator_traitsISE_E10value_typeET2_T3_PNSF_ISK_E10value_typeET4_T5_PSP_SQ_PNS1_23onesweep_lookback_stateEbbT6_jjT7_P12ihipStream_tbENKUlT_T0_SE_SJ_E_clIS8_S8_S9_S9_EEDaSX_SY_SE_SJ_EUlSX_E_NS1_11comp_targetILNS1_3genE8ELNS1_11target_archE1030ELNS1_3gpuE2ELNS1_3repE0EEENS1_47radix_sort_onesweep_sort_config_static_selectorELNS0_4arch9wavefront6targetE1EEEvSE_
		.amdhsa_group_segment_fixed_size 0
		.amdhsa_private_segment_fixed_size 0
		.amdhsa_kernarg_size 88
		.amdhsa_user_sgpr_count 6
		.amdhsa_user_sgpr_private_segment_buffer 1
		.amdhsa_user_sgpr_dispatch_ptr 0
		.amdhsa_user_sgpr_queue_ptr 0
		.amdhsa_user_sgpr_kernarg_segment_ptr 1
		.amdhsa_user_sgpr_dispatch_id 0
		.amdhsa_user_sgpr_flat_scratch_init 0
		.amdhsa_user_sgpr_kernarg_preload_length 0
		.amdhsa_user_sgpr_kernarg_preload_offset 0
		.amdhsa_user_sgpr_private_segment_size 0
		.amdhsa_uses_dynamic_stack 0
		.amdhsa_system_sgpr_private_segment_wavefront_offset 0
		.amdhsa_system_sgpr_workgroup_id_x 1
		.amdhsa_system_sgpr_workgroup_id_y 0
		.amdhsa_system_sgpr_workgroup_id_z 0
		.amdhsa_system_sgpr_workgroup_info 0
		.amdhsa_system_vgpr_workitem_id 0
		.amdhsa_next_free_vgpr 1
		.amdhsa_next_free_sgpr 0
		.amdhsa_accum_offset 4
		.amdhsa_reserve_vcc 0
		.amdhsa_reserve_flat_scratch 0
		.amdhsa_float_round_mode_32 0
		.amdhsa_float_round_mode_16_64 0
		.amdhsa_float_denorm_mode_32 3
		.amdhsa_float_denorm_mode_16_64 3
		.amdhsa_dx10_clamp 1
		.amdhsa_ieee_mode 1
		.amdhsa_fp16_overflow 0
		.amdhsa_tg_split 0
		.amdhsa_exception_fp_ieee_invalid_op 0
		.amdhsa_exception_fp_denorm_src 0
		.amdhsa_exception_fp_ieee_div_zero 0
		.amdhsa_exception_fp_ieee_overflow 0
		.amdhsa_exception_fp_ieee_underflow 0
		.amdhsa_exception_fp_ieee_inexact 0
		.amdhsa_exception_int_div_zero 0
	.end_amdhsa_kernel
	.section	.text._ZN7rocprim17ROCPRIM_400000_NS6detail17trampoline_kernelINS0_14default_configENS1_35radix_sort_onesweep_config_selectorIyNS0_10empty_typeEEEZZNS1_29radix_sort_onesweep_iterationIS3_Lb1EPyS8_PS5_S9_mNS0_19identity_decomposerENS1_16block_id_wrapperIjLb0EEEEE10hipError_tT1_PNSt15iterator_traitsISE_E10value_typeET2_T3_PNSF_ISK_E10value_typeET4_T5_PSP_SQ_PNS1_23onesweep_lookback_stateEbbT6_jjT7_P12ihipStream_tbENKUlT_T0_SE_SJ_E_clIS8_S8_S9_S9_EEDaSX_SY_SE_SJ_EUlSX_E_NS1_11comp_targetILNS1_3genE8ELNS1_11target_archE1030ELNS1_3gpuE2ELNS1_3repE0EEENS1_47radix_sort_onesweep_sort_config_static_selectorELNS0_4arch9wavefront6targetE1EEEvSE_,"axG",@progbits,_ZN7rocprim17ROCPRIM_400000_NS6detail17trampoline_kernelINS0_14default_configENS1_35radix_sort_onesweep_config_selectorIyNS0_10empty_typeEEEZZNS1_29radix_sort_onesweep_iterationIS3_Lb1EPyS8_PS5_S9_mNS0_19identity_decomposerENS1_16block_id_wrapperIjLb0EEEEE10hipError_tT1_PNSt15iterator_traitsISE_E10value_typeET2_T3_PNSF_ISK_E10value_typeET4_T5_PSP_SQ_PNS1_23onesweep_lookback_stateEbbT6_jjT7_P12ihipStream_tbENKUlT_T0_SE_SJ_E_clIS8_S8_S9_S9_EEDaSX_SY_SE_SJ_EUlSX_E_NS1_11comp_targetILNS1_3genE8ELNS1_11target_archE1030ELNS1_3gpuE2ELNS1_3repE0EEENS1_47radix_sort_onesweep_sort_config_static_selectorELNS0_4arch9wavefront6targetE1EEEvSE_,comdat
.Lfunc_end2494:
	.size	_ZN7rocprim17ROCPRIM_400000_NS6detail17trampoline_kernelINS0_14default_configENS1_35radix_sort_onesweep_config_selectorIyNS0_10empty_typeEEEZZNS1_29radix_sort_onesweep_iterationIS3_Lb1EPyS8_PS5_S9_mNS0_19identity_decomposerENS1_16block_id_wrapperIjLb0EEEEE10hipError_tT1_PNSt15iterator_traitsISE_E10value_typeET2_T3_PNSF_ISK_E10value_typeET4_T5_PSP_SQ_PNS1_23onesweep_lookback_stateEbbT6_jjT7_P12ihipStream_tbENKUlT_T0_SE_SJ_E_clIS8_S8_S9_S9_EEDaSX_SY_SE_SJ_EUlSX_E_NS1_11comp_targetILNS1_3genE8ELNS1_11target_archE1030ELNS1_3gpuE2ELNS1_3repE0EEENS1_47radix_sort_onesweep_sort_config_static_selectorELNS0_4arch9wavefront6targetE1EEEvSE_, .Lfunc_end2494-_ZN7rocprim17ROCPRIM_400000_NS6detail17trampoline_kernelINS0_14default_configENS1_35radix_sort_onesweep_config_selectorIyNS0_10empty_typeEEEZZNS1_29radix_sort_onesweep_iterationIS3_Lb1EPyS8_PS5_S9_mNS0_19identity_decomposerENS1_16block_id_wrapperIjLb0EEEEE10hipError_tT1_PNSt15iterator_traitsISE_E10value_typeET2_T3_PNSF_ISK_E10value_typeET4_T5_PSP_SQ_PNS1_23onesweep_lookback_stateEbbT6_jjT7_P12ihipStream_tbENKUlT_T0_SE_SJ_E_clIS8_S8_S9_S9_EEDaSX_SY_SE_SJ_EUlSX_E_NS1_11comp_targetILNS1_3genE8ELNS1_11target_archE1030ELNS1_3gpuE2ELNS1_3repE0EEENS1_47radix_sort_onesweep_sort_config_static_selectorELNS0_4arch9wavefront6targetE1EEEvSE_
                                        ; -- End function
	.section	.AMDGPU.csdata,"",@progbits
; Kernel info:
; codeLenInByte = 0
; NumSgprs: 4
; NumVgprs: 0
; NumAgprs: 0
; TotalNumVgprs: 0
; ScratchSize: 0
; MemoryBound: 0
; FloatMode: 240
; IeeeMode: 1
; LDSByteSize: 0 bytes/workgroup (compile time only)
; SGPRBlocks: 0
; VGPRBlocks: 0
; NumSGPRsForWavesPerEU: 4
; NumVGPRsForWavesPerEU: 1
; AccumOffset: 4
; Occupancy: 8
; WaveLimiterHint : 0
; COMPUTE_PGM_RSRC2:SCRATCH_EN: 0
; COMPUTE_PGM_RSRC2:USER_SGPR: 6
; COMPUTE_PGM_RSRC2:TRAP_HANDLER: 0
; COMPUTE_PGM_RSRC2:TGID_X_EN: 1
; COMPUTE_PGM_RSRC2:TGID_Y_EN: 0
; COMPUTE_PGM_RSRC2:TGID_Z_EN: 0
; COMPUTE_PGM_RSRC2:TIDIG_COMP_CNT: 0
; COMPUTE_PGM_RSRC3_GFX90A:ACCUM_OFFSET: 0
; COMPUTE_PGM_RSRC3_GFX90A:TG_SPLIT: 0
	.section	.text._ZN7rocprim17ROCPRIM_400000_NS6detail17trampoline_kernelINS0_13kernel_configILj256ELj4ELj4294967295EEENS1_37radix_sort_block_sort_config_selectorIfNS0_10empty_typeEEEZNS1_21radix_sort_block_sortIS4_Lb1EPfS9_PS6_SA_NS0_19identity_decomposerEEE10hipError_tT1_T2_T3_T4_jRjT5_jjP12ihipStream_tbEUlT_E_NS1_11comp_targetILNS1_3genE0ELNS1_11target_archE4294967295ELNS1_3gpuE0ELNS1_3repE0EEENS1_44radix_sort_block_sort_config_static_selectorELNS0_4arch9wavefront6targetE1EEEvSD_,"axG",@progbits,_ZN7rocprim17ROCPRIM_400000_NS6detail17trampoline_kernelINS0_13kernel_configILj256ELj4ELj4294967295EEENS1_37radix_sort_block_sort_config_selectorIfNS0_10empty_typeEEEZNS1_21radix_sort_block_sortIS4_Lb1EPfS9_PS6_SA_NS0_19identity_decomposerEEE10hipError_tT1_T2_T3_T4_jRjT5_jjP12ihipStream_tbEUlT_E_NS1_11comp_targetILNS1_3genE0ELNS1_11target_archE4294967295ELNS1_3gpuE0ELNS1_3repE0EEENS1_44radix_sort_block_sort_config_static_selectorELNS0_4arch9wavefront6targetE1EEEvSD_,comdat
	.protected	_ZN7rocprim17ROCPRIM_400000_NS6detail17trampoline_kernelINS0_13kernel_configILj256ELj4ELj4294967295EEENS1_37radix_sort_block_sort_config_selectorIfNS0_10empty_typeEEEZNS1_21radix_sort_block_sortIS4_Lb1EPfS9_PS6_SA_NS0_19identity_decomposerEEE10hipError_tT1_T2_T3_T4_jRjT5_jjP12ihipStream_tbEUlT_E_NS1_11comp_targetILNS1_3genE0ELNS1_11target_archE4294967295ELNS1_3gpuE0ELNS1_3repE0EEENS1_44radix_sort_block_sort_config_static_selectorELNS0_4arch9wavefront6targetE1EEEvSD_ ; -- Begin function _ZN7rocprim17ROCPRIM_400000_NS6detail17trampoline_kernelINS0_13kernel_configILj256ELj4ELj4294967295EEENS1_37radix_sort_block_sort_config_selectorIfNS0_10empty_typeEEEZNS1_21radix_sort_block_sortIS4_Lb1EPfS9_PS6_SA_NS0_19identity_decomposerEEE10hipError_tT1_T2_T3_T4_jRjT5_jjP12ihipStream_tbEUlT_E_NS1_11comp_targetILNS1_3genE0ELNS1_11target_archE4294967295ELNS1_3gpuE0ELNS1_3repE0EEENS1_44radix_sort_block_sort_config_static_selectorELNS0_4arch9wavefront6targetE1EEEvSD_
	.globl	_ZN7rocprim17ROCPRIM_400000_NS6detail17trampoline_kernelINS0_13kernel_configILj256ELj4ELj4294967295EEENS1_37radix_sort_block_sort_config_selectorIfNS0_10empty_typeEEEZNS1_21radix_sort_block_sortIS4_Lb1EPfS9_PS6_SA_NS0_19identity_decomposerEEE10hipError_tT1_T2_T3_T4_jRjT5_jjP12ihipStream_tbEUlT_E_NS1_11comp_targetILNS1_3genE0ELNS1_11target_archE4294967295ELNS1_3gpuE0ELNS1_3repE0EEENS1_44radix_sort_block_sort_config_static_selectorELNS0_4arch9wavefront6targetE1EEEvSD_
	.p2align	8
	.type	_ZN7rocprim17ROCPRIM_400000_NS6detail17trampoline_kernelINS0_13kernel_configILj256ELj4ELj4294967295EEENS1_37radix_sort_block_sort_config_selectorIfNS0_10empty_typeEEEZNS1_21radix_sort_block_sortIS4_Lb1EPfS9_PS6_SA_NS0_19identity_decomposerEEE10hipError_tT1_T2_T3_T4_jRjT5_jjP12ihipStream_tbEUlT_E_NS1_11comp_targetILNS1_3genE0ELNS1_11target_archE4294967295ELNS1_3gpuE0ELNS1_3repE0EEENS1_44radix_sort_block_sort_config_static_selectorELNS0_4arch9wavefront6targetE1EEEvSD_,@function
_ZN7rocprim17ROCPRIM_400000_NS6detail17trampoline_kernelINS0_13kernel_configILj256ELj4ELj4294967295EEENS1_37radix_sort_block_sort_config_selectorIfNS0_10empty_typeEEEZNS1_21radix_sort_block_sortIS4_Lb1EPfS9_PS6_SA_NS0_19identity_decomposerEEE10hipError_tT1_T2_T3_T4_jRjT5_jjP12ihipStream_tbEUlT_E_NS1_11comp_targetILNS1_3genE0ELNS1_11target_archE4294967295ELNS1_3gpuE0ELNS1_3repE0EEENS1_44radix_sort_block_sort_config_static_selectorELNS0_4arch9wavefront6targetE1EEEvSD_: ; @_ZN7rocprim17ROCPRIM_400000_NS6detail17trampoline_kernelINS0_13kernel_configILj256ELj4ELj4294967295EEENS1_37radix_sort_block_sort_config_selectorIfNS0_10empty_typeEEEZNS1_21radix_sort_block_sortIS4_Lb1EPfS9_PS6_SA_NS0_19identity_decomposerEEE10hipError_tT1_T2_T3_T4_jRjT5_jjP12ihipStream_tbEUlT_E_NS1_11comp_targetILNS1_3genE0ELNS1_11target_archE4294967295ELNS1_3gpuE0ELNS1_3repE0EEENS1_44radix_sort_block_sort_config_static_selectorELNS0_4arch9wavefront6targetE1EEEvSD_
; %bb.0:
	.section	.rodata,"a",@progbits
	.p2align	6, 0x0
	.amdhsa_kernel _ZN7rocprim17ROCPRIM_400000_NS6detail17trampoline_kernelINS0_13kernel_configILj256ELj4ELj4294967295EEENS1_37radix_sort_block_sort_config_selectorIfNS0_10empty_typeEEEZNS1_21radix_sort_block_sortIS4_Lb1EPfS9_PS6_SA_NS0_19identity_decomposerEEE10hipError_tT1_T2_T3_T4_jRjT5_jjP12ihipStream_tbEUlT_E_NS1_11comp_targetILNS1_3genE0ELNS1_11target_archE4294967295ELNS1_3gpuE0ELNS1_3repE0EEENS1_44radix_sort_block_sort_config_static_selectorELNS0_4arch9wavefront6targetE1EEEvSD_
		.amdhsa_group_segment_fixed_size 0
		.amdhsa_private_segment_fixed_size 0
		.amdhsa_kernarg_size 48
		.amdhsa_user_sgpr_count 6
		.amdhsa_user_sgpr_private_segment_buffer 1
		.amdhsa_user_sgpr_dispatch_ptr 0
		.amdhsa_user_sgpr_queue_ptr 0
		.amdhsa_user_sgpr_kernarg_segment_ptr 1
		.amdhsa_user_sgpr_dispatch_id 0
		.amdhsa_user_sgpr_flat_scratch_init 0
		.amdhsa_user_sgpr_kernarg_preload_length 0
		.amdhsa_user_sgpr_kernarg_preload_offset 0
		.amdhsa_user_sgpr_private_segment_size 0
		.amdhsa_uses_dynamic_stack 0
		.amdhsa_system_sgpr_private_segment_wavefront_offset 0
		.amdhsa_system_sgpr_workgroup_id_x 1
		.amdhsa_system_sgpr_workgroup_id_y 0
		.amdhsa_system_sgpr_workgroup_id_z 0
		.amdhsa_system_sgpr_workgroup_info 0
		.amdhsa_system_vgpr_workitem_id 0
		.amdhsa_next_free_vgpr 1
		.amdhsa_next_free_sgpr 0
		.amdhsa_accum_offset 4
		.amdhsa_reserve_vcc 0
		.amdhsa_reserve_flat_scratch 0
		.amdhsa_float_round_mode_32 0
		.amdhsa_float_round_mode_16_64 0
		.amdhsa_float_denorm_mode_32 3
		.amdhsa_float_denorm_mode_16_64 3
		.amdhsa_dx10_clamp 1
		.amdhsa_ieee_mode 1
		.amdhsa_fp16_overflow 0
		.amdhsa_tg_split 0
		.amdhsa_exception_fp_ieee_invalid_op 0
		.amdhsa_exception_fp_denorm_src 0
		.amdhsa_exception_fp_ieee_div_zero 0
		.amdhsa_exception_fp_ieee_overflow 0
		.amdhsa_exception_fp_ieee_underflow 0
		.amdhsa_exception_fp_ieee_inexact 0
		.amdhsa_exception_int_div_zero 0
	.end_amdhsa_kernel
	.section	.text._ZN7rocprim17ROCPRIM_400000_NS6detail17trampoline_kernelINS0_13kernel_configILj256ELj4ELj4294967295EEENS1_37radix_sort_block_sort_config_selectorIfNS0_10empty_typeEEEZNS1_21radix_sort_block_sortIS4_Lb1EPfS9_PS6_SA_NS0_19identity_decomposerEEE10hipError_tT1_T2_T3_T4_jRjT5_jjP12ihipStream_tbEUlT_E_NS1_11comp_targetILNS1_3genE0ELNS1_11target_archE4294967295ELNS1_3gpuE0ELNS1_3repE0EEENS1_44radix_sort_block_sort_config_static_selectorELNS0_4arch9wavefront6targetE1EEEvSD_,"axG",@progbits,_ZN7rocprim17ROCPRIM_400000_NS6detail17trampoline_kernelINS0_13kernel_configILj256ELj4ELj4294967295EEENS1_37radix_sort_block_sort_config_selectorIfNS0_10empty_typeEEEZNS1_21radix_sort_block_sortIS4_Lb1EPfS9_PS6_SA_NS0_19identity_decomposerEEE10hipError_tT1_T2_T3_T4_jRjT5_jjP12ihipStream_tbEUlT_E_NS1_11comp_targetILNS1_3genE0ELNS1_11target_archE4294967295ELNS1_3gpuE0ELNS1_3repE0EEENS1_44radix_sort_block_sort_config_static_selectorELNS0_4arch9wavefront6targetE1EEEvSD_,comdat
.Lfunc_end2495:
	.size	_ZN7rocprim17ROCPRIM_400000_NS6detail17trampoline_kernelINS0_13kernel_configILj256ELj4ELj4294967295EEENS1_37radix_sort_block_sort_config_selectorIfNS0_10empty_typeEEEZNS1_21radix_sort_block_sortIS4_Lb1EPfS9_PS6_SA_NS0_19identity_decomposerEEE10hipError_tT1_T2_T3_T4_jRjT5_jjP12ihipStream_tbEUlT_E_NS1_11comp_targetILNS1_3genE0ELNS1_11target_archE4294967295ELNS1_3gpuE0ELNS1_3repE0EEENS1_44radix_sort_block_sort_config_static_selectorELNS0_4arch9wavefront6targetE1EEEvSD_, .Lfunc_end2495-_ZN7rocprim17ROCPRIM_400000_NS6detail17trampoline_kernelINS0_13kernel_configILj256ELj4ELj4294967295EEENS1_37radix_sort_block_sort_config_selectorIfNS0_10empty_typeEEEZNS1_21radix_sort_block_sortIS4_Lb1EPfS9_PS6_SA_NS0_19identity_decomposerEEE10hipError_tT1_T2_T3_T4_jRjT5_jjP12ihipStream_tbEUlT_E_NS1_11comp_targetILNS1_3genE0ELNS1_11target_archE4294967295ELNS1_3gpuE0ELNS1_3repE0EEENS1_44radix_sort_block_sort_config_static_selectorELNS0_4arch9wavefront6targetE1EEEvSD_
                                        ; -- End function
	.section	.AMDGPU.csdata,"",@progbits
; Kernel info:
; codeLenInByte = 0
; NumSgprs: 4
; NumVgprs: 0
; NumAgprs: 0
; TotalNumVgprs: 0
; ScratchSize: 0
; MemoryBound: 0
; FloatMode: 240
; IeeeMode: 1
; LDSByteSize: 0 bytes/workgroup (compile time only)
; SGPRBlocks: 0
; VGPRBlocks: 0
; NumSGPRsForWavesPerEU: 4
; NumVGPRsForWavesPerEU: 1
; AccumOffset: 4
; Occupancy: 8
; WaveLimiterHint : 0
; COMPUTE_PGM_RSRC2:SCRATCH_EN: 0
; COMPUTE_PGM_RSRC2:USER_SGPR: 6
; COMPUTE_PGM_RSRC2:TRAP_HANDLER: 0
; COMPUTE_PGM_RSRC2:TGID_X_EN: 1
; COMPUTE_PGM_RSRC2:TGID_Y_EN: 0
; COMPUTE_PGM_RSRC2:TGID_Z_EN: 0
; COMPUTE_PGM_RSRC2:TIDIG_COMP_CNT: 0
; COMPUTE_PGM_RSRC3_GFX90A:ACCUM_OFFSET: 0
; COMPUTE_PGM_RSRC3_GFX90A:TG_SPLIT: 0
	.section	.text._ZN7rocprim17ROCPRIM_400000_NS6detail17trampoline_kernelINS0_13kernel_configILj256ELj4ELj4294967295EEENS1_37radix_sort_block_sort_config_selectorIfNS0_10empty_typeEEEZNS1_21radix_sort_block_sortIS4_Lb1EPfS9_PS6_SA_NS0_19identity_decomposerEEE10hipError_tT1_T2_T3_T4_jRjT5_jjP12ihipStream_tbEUlT_E_NS1_11comp_targetILNS1_3genE5ELNS1_11target_archE942ELNS1_3gpuE9ELNS1_3repE0EEENS1_44radix_sort_block_sort_config_static_selectorELNS0_4arch9wavefront6targetE1EEEvSD_,"axG",@progbits,_ZN7rocprim17ROCPRIM_400000_NS6detail17trampoline_kernelINS0_13kernel_configILj256ELj4ELj4294967295EEENS1_37radix_sort_block_sort_config_selectorIfNS0_10empty_typeEEEZNS1_21radix_sort_block_sortIS4_Lb1EPfS9_PS6_SA_NS0_19identity_decomposerEEE10hipError_tT1_T2_T3_T4_jRjT5_jjP12ihipStream_tbEUlT_E_NS1_11comp_targetILNS1_3genE5ELNS1_11target_archE942ELNS1_3gpuE9ELNS1_3repE0EEENS1_44radix_sort_block_sort_config_static_selectorELNS0_4arch9wavefront6targetE1EEEvSD_,comdat
	.protected	_ZN7rocprim17ROCPRIM_400000_NS6detail17trampoline_kernelINS0_13kernel_configILj256ELj4ELj4294967295EEENS1_37radix_sort_block_sort_config_selectorIfNS0_10empty_typeEEEZNS1_21radix_sort_block_sortIS4_Lb1EPfS9_PS6_SA_NS0_19identity_decomposerEEE10hipError_tT1_T2_T3_T4_jRjT5_jjP12ihipStream_tbEUlT_E_NS1_11comp_targetILNS1_3genE5ELNS1_11target_archE942ELNS1_3gpuE9ELNS1_3repE0EEENS1_44radix_sort_block_sort_config_static_selectorELNS0_4arch9wavefront6targetE1EEEvSD_ ; -- Begin function _ZN7rocprim17ROCPRIM_400000_NS6detail17trampoline_kernelINS0_13kernel_configILj256ELj4ELj4294967295EEENS1_37radix_sort_block_sort_config_selectorIfNS0_10empty_typeEEEZNS1_21radix_sort_block_sortIS4_Lb1EPfS9_PS6_SA_NS0_19identity_decomposerEEE10hipError_tT1_T2_T3_T4_jRjT5_jjP12ihipStream_tbEUlT_E_NS1_11comp_targetILNS1_3genE5ELNS1_11target_archE942ELNS1_3gpuE9ELNS1_3repE0EEENS1_44radix_sort_block_sort_config_static_selectorELNS0_4arch9wavefront6targetE1EEEvSD_
	.globl	_ZN7rocprim17ROCPRIM_400000_NS6detail17trampoline_kernelINS0_13kernel_configILj256ELj4ELj4294967295EEENS1_37radix_sort_block_sort_config_selectorIfNS0_10empty_typeEEEZNS1_21radix_sort_block_sortIS4_Lb1EPfS9_PS6_SA_NS0_19identity_decomposerEEE10hipError_tT1_T2_T3_T4_jRjT5_jjP12ihipStream_tbEUlT_E_NS1_11comp_targetILNS1_3genE5ELNS1_11target_archE942ELNS1_3gpuE9ELNS1_3repE0EEENS1_44radix_sort_block_sort_config_static_selectorELNS0_4arch9wavefront6targetE1EEEvSD_
	.p2align	8
	.type	_ZN7rocprim17ROCPRIM_400000_NS6detail17trampoline_kernelINS0_13kernel_configILj256ELj4ELj4294967295EEENS1_37radix_sort_block_sort_config_selectorIfNS0_10empty_typeEEEZNS1_21radix_sort_block_sortIS4_Lb1EPfS9_PS6_SA_NS0_19identity_decomposerEEE10hipError_tT1_T2_T3_T4_jRjT5_jjP12ihipStream_tbEUlT_E_NS1_11comp_targetILNS1_3genE5ELNS1_11target_archE942ELNS1_3gpuE9ELNS1_3repE0EEENS1_44radix_sort_block_sort_config_static_selectorELNS0_4arch9wavefront6targetE1EEEvSD_,@function
_ZN7rocprim17ROCPRIM_400000_NS6detail17trampoline_kernelINS0_13kernel_configILj256ELj4ELj4294967295EEENS1_37radix_sort_block_sort_config_selectorIfNS0_10empty_typeEEEZNS1_21radix_sort_block_sortIS4_Lb1EPfS9_PS6_SA_NS0_19identity_decomposerEEE10hipError_tT1_T2_T3_T4_jRjT5_jjP12ihipStream_tbEUlT_E_NS1_11comp_targetILNS1_3genE5ELNS1_11target_archE942ELNS1_3gpuE9ELNS1_3repE0EEENS1_44radix_sort_block_sort_config_static_selectorELNS0_4arch9wavefront6targetE1EEEvSD_: ; @_ZN7rocprim17ROCPRIM_400000_NS6detail17trampoline_kernelINS0_13kernel_configILj256ELj4ELj4294967295EEENS1_37radix_sort_block_sort_config_selectorIfNS0_10empty_typeEEEZNS1_21radix_sort_block_sortIS4_Lb1EPfS9_PS6_SA_NS0_19identity_decomposerEEE10hipError_tT1_T2_T3_T4_jRjT5_jjP12ihipStream_tbEUlT_E_NS1_11comp_targetILNS1_3genE5ELNS1_11target_archE942ELNS1_3gpuE9ELNS1_3repE0EEENS1_44radix_sort_block_sort_config_static_selectorELNS0_4arch9wavefront6targetE1EEEvSD_
; %bb.0:
	.section	.rodata,"a",@progbits
	.p2align	6, 0x0
	.amdhsa_kernel _ZN7rocprim17ROCPRIM_400000_NS6detail17trampoline_kernelINS0_13kernel_configILj256ELj4ELj4294967295EEENS1_37radix_sort_block_sort_config_selectorIfNS0_10empty_typeEEEZNS1_21radix_sort_block_sortIS4_Lb1EPfS9_PS6_SA_NS0_19identity_decomposerEEE10hipError_tT1_T2_T3_T4_jRjT5_jjP12ihipStream_tbEUlT_E_NS1_11comp_targetILNS1_3genE5ELNS1_11target_archE942ELNS1_3gpuE9ELNS1_3repE0EEENS1_44radix_sort_block_sort_config_static_selectorELNS0_4arch9wavefront6targetE1EEEvSD_
		.amdhsa_group_segment_fixed_size 0
		.amdhsa_private_segment_fixed_size 0
		.amdhsa_kernarg_size 48
		.amdhsa_user_sgpr_count 6
		.amdhsa_user_sgpr_private_segment_buffer 1
		.amdhsa_user_sgpr_dispatch_ptr 0
		.amdhsa_user_sgpr_queue_ptr 0
		.amdhsa_user_sgpr_kernarg_segment_ptr 1
		.amdhsa_user_sgpr_dispatch_id 0
		.amdhsa_user_sgpr_flat_scratch_init 0
		.amdhsa_user_sgpr_kernarg_preload_length 0
		.amdhsa_user_sgpr_kernarg_preload_offset 0
		.amdhsa_user_sgpr_private_segment_size 0
		.amdhsa_uses_dynamic_stack 0
		.amdhsa_system_sgpr_private_segment_wavefront_offset 0
		.amdhsa_system_sgpr_workgroup_id_x 1
		.amdhsa_system_sgpr_workgroup_id_y 0
		.amdhsa_system_sgpr_workgroup_id_z 0
		.amdhsa_system_sgpr_workgroup_info 0
		.amdhsa_system_vgpr_workitem_id 0
		.amdhsa_next_free_vgpr 1
		.amdhsa_next_free_sgpr 0
		.amdhsa_accum_offset 4
		.amdhsa_reserve_vcc 0
		.amdhsa_reserve_flat_scratch 0
		.amdhsa_float_round_mode_32 0
		.amdhsa_float_round_mode_16_64 0
		.amdhsa_float_denorm_mode_32 3
		.amdhsa_float_denorm_mode_16_64 3
		.amdhsa_dx10_clamp 1
		.amdhsa_ieee_mode 1
		.amdhsa_fp16_overflow 0
		.amdhsa_tg_split 0
		.amdhsa_exception_fp_ieee_invalid_op 0
		.amdhsa_exception_fp_denorm_src 0
		.amdhsa_exception_fp_ieee_div_zero 0
		.amdhsa_exception_fp_ieee_overflow 0
		.amdhsa_exception_fp_ieee_underflow 0
		.amdhsa_exception_fp_ieee_inexact 0
		.amdhsa_exception_int_div_zero 0
	.end_amdhsa_kernel
	.section	.text._ZN7rocprim17ROCPRIM_400000_NS6detail17trampoline_kernelINS0_13kernel_configILj256ELj4ELj4294967295EEENS1_37radix_sort_block_sort_config_selectorIfNS0_10empty_typeEEEZNS1_21radix_sort_block_sortIS4_Lb1EPfS9_PS6_SA_NS0_19identity_decomposerEEE10hipError_tT1_T2_T3_T4_jRjT5_jjP12ihipStream_tbEUlT_E_NS1_11comp_targetILNS1_3genE5ELNS1_11target_archE942ELNS1_3gpuE9ELNS1_3repE0EEENS1_44radix_sort_block_sort_config_static_selectorELNS0_4arch9wavefront6targetE1EEEvSD_,"axG",@progbits,_ZN7rocprim17ROCPRIM_400000_NS6detail17trampoline_kernelINS0_13kernel_configILj256ELj4ELj4294967295EEENS1_37radix_sort_block_sort_config_selectorIfNS0_10empty_typeEEEZNS1_21radix_sort_block_sortIS4_Lb1EPfS9_PS6_SA_NS0_19identity_decomposerEEE10hipError_tT1_T2_T3_T4_jRjT5_jjP12ihipStream_tbEUlT_E_NS1_11comp_targetILNS1_3genE5ELNS1_11target_archE942ELNS1_3gpuE9ELNS1_3repE0EEENS1_44radix_sort_block_sort_config_static_selectorELNS0_4arch9wavefront6targetE1EEEvSD_,comdat
.Lfunc_end2496:
	.size	_ZN7rocprim17ROCPRIM_400000_NS6detail17trampoline_kernelINS0_13kernel_configILj256ELj4ELj4294967295EEENS1_37radix_sort_block_sort_config_selectorIfNS0_10empty_typeEEEZNS1_21radix_sort_block_sortIS4_Lb1EPfS9_PS6_SA_NS0_19identity_decomposerEEE10hipError_tT1_T2_T3_T4_jRjT5_jjP12ihipStream_tbEUlT_E_NS1_11comp_targetILNS1_3genE5ELNS1_11target_archE942ELNS1_3gpuE9ELNS1_3repE0EEENS1_44radix_sort_block_sort_config_static_selectorELNS0_4arch9wavefront6targetE1EEEvSD_, .Lfunc_end2496-_ZN7rocprim17ROCPRIM_400000_NS6detail17trampoline_kernelINS0_13kernel_configILj256ELj4ELj4294967295EEENS1_37radix_sort_block_sort_config_selectorIfNS0_10empty_typeEEEZNS1_21radix_sort_block_sortIS4_Lb1EPfS9_PS6_SA_NS0_19identity_decomposerEEE10hipError_tT1_T2_T3_T4_jRjT5_jjP12ihipStream_tbEUlT_E_NS1_11comp_targetILNS1_3genE5ELNS1_11target_archE942ELNS1_3gpuE9ELNS1_3repE0EEENS1_44radix_sort_block_sort_config_static_selectorELNS0_4arch9wavefront6targetE1EEEvSD_
                                        ; -- End function
	.section	.AMDGPU.csdata,"",@progbits
; Kernel info:
; codeLenInByte = 0
; NumSgprs: 4
; NumVgprs: 0
; NumAgprs: 0
; TotalNumVgprs: 0
; ScratchSize: 0
; MemoryBound: 0
; FloatMode: 240
; IeeeMode: 1
; LDSByteSize: 0 bytes/workgroup (compile time only)
; SGPRBlocks: 0
; VGPRBlocks: 0
; NumSGPRsForWavesPerEU: 4
; NumVGPRsForWavesPerEU: 1
; AccumOffset: 4
; Occupancy: 8
; WaveLimiterHint : 0
; COMPUTE_PGM_RSRC2:SCRATCH_EN: 0
; COMPUTE_PGM_RSRC2:USER_SGPR: 6
; COMPUTE_PGM_RSRC2:TRAP_HANDLER: 0
; COMPUTE_PGM_RSRC2:TGID_X_EN: 1
; COMPUTE_PGM_RSRC2:TGID_Y_EN: 0
; COMPUTE_PGM_RSRC2:TGID_Z_EN: 0
; COMPUTE_PGM_RSRC2:TIDIG_COMP_CNT: 0
; COMPUTE_PGM_RSRC3_GFX90A:ACCUM_OFFSET: 0
; COMPUTE_PGM_RSRC3_GFX90A:TG_SPLIT: 0
	.section	.text._ZN7rocprim17ROCPRIM_400000_NS6detail17trampoline_kernelINS0_13kernel_configILj256ELj4ELj4294967295EEENS1_37radix_sort_block_sort_config_selectorIfNS0_10empty_typeEEEZNS1_21radix_sort_block_sortIS4_Lb1EPfS9_PS6_SA_NS0_19identity_decomposerEEE10hipError_tT1_T2_T3_T4_jRjT5_jjP12ihipStream_tbEUlT_E_NS1_11comp_targetILNS1_3genE4ELNS1_11target_archE910ELNS1_3gpuE8ELNS1_3repE0EEENS1_44radix_sort_block_sort_config_static_selectorELNS0_4arch9wavefront6targetE1EEEvSD_,"axG",@progbits,_ZN7rocprim17ROCPRIM_400000_NS6detail17trampoline_kernelINS0_13kernel_configILj256ELj4ELj4294967295EEENS1_37radix_sort_block_sort_config_selectorIfNS0_10empty_typeEEEZNS1_21radix_sort_block_sortIS4_Lb1EPfS9_PS6_SA_NS0_19identity_decomposerEEE10hipError_tT1_T2_T3_T4_jRjT5_jjP12ihipStream_tbEUlT_E_NS1_11comp_targetILNS1_3genE4ELNS1_11target_archE910ELNS1_3gpuE8ELNS1_3repE0EEENS1_44radix_sort_block_sort_config_static_selectorELNS0_4arch9wavefront6targetE1EEEvSD_,comdat
	.protected	_ZN7rocprim17ROCPRIM_400000_NS6detail17trampoline_kernelINS0_13kernel_configILj256ELj4ELj4294967295EEENS1_37radix_sort_block_sort_config_selectorIfNS0_10empty_typeEEEZNS1_21radix_sort_block_sortIS4_Lb1EPfS9_PS6_SA_NS0_19identity_decomposerEEE10hipError_tT1_T2_T3_T4_jRjT5_jjP12ihipStream_tbEUlT_E_NS1_11comp_targetILNS1_3genE4ELNS1_11target_archE910ELNS1_3gpuE8ELNS1_3repE0EEENS1_44radix_sort_block_sort_config_static_selectorELNS0_4arch9wavefront6targetE1EEEvSD_ ; -- Begin function _ZN7rocprim17ROCPRIM_400000_NS6detail17trampoline_kernelINS0_13kernel_configILj256ELj4ELj4294967295EEENS1_37radix_sort_block_sort_config_selectorIfNS0_10empty_typeEEEZNS1_21radix_sort_block_sortIS4_Lb1EPfS9_PS6_SA_NS0_19identity_decomposerEEE10hipError_tT1_T2_T3_T4_jRjT5_jjP12ihipStream_tbEUlT_E_NS1_11comp_targetILNS1_3genE4ELNS1_11target_archE910ELNS1_3gpuE8ELNS1_3repE0EEENS1_44radix_sort_block_sort_config_static_selectorELNS0_4arch9wavefront6targetE1EEEvSD_
	.globl	_ZN7rocprim17ROCPRIM_400000_NS6detail17trampoline_kernelINS0_13kernel_configILj256ELj4ELj4294967295EEENS1_37radix_sort_block_sort_config_selectorIfNS0_10empty_typeEEEZNS1_21radix_sort_block_sortIS4_Lb1EPfS9_PS6_SA_NS0_19identity_decomposerEEE10hipError_tT1_T2_T3_T4_jRjT5_jjP12ihipStream_tbEUlT_E_NS1_11comp_targetILNS1_3genE4ELNS1_11target_archE910ELNS1_3gpuE8ELNS1_3repE0EEENS1_44radix_sort_block_sort_config_static_selectorELNS0_4arch9wavefront6targetE1EEEvSD_
	.p2align	8
	.type	_ZN7rocprim17ROCPRIM_400000_NS6detail17trampoline_kernelINS0_13kernel_configILj256ELj4ELj4294967295EEENS1_37radix_sort_block_sort_config_selectorIfNS0_10empty_typeEEEZNS1_21radix_sort_block_sortIS4_Lb1EPfS9_PS6_SA_NS0_19identity_decomposerEEE10hipError_tT1_T2_T3_T4_jRjT5_jjP12ihipStream_tbEUlT_E_NS1_11comp_targetILNS1_3genE4ELNS1_11target_archE910ELNS1_3gpuE8ELNS1_3repE0EEENS1_44radix_sort_block_sort_config_static_selectorELNS0_4arch9wavefront6targetE1EEEvSD_,@function
_ZN7rocprim17ROCPRIM_400000_NS6detail17trampoline_kernelINS0_13kernel_configILj256ELj4ELj4294967295EEENS1_37radix_sort_block_sort_config_selectorIfNS0_10empty_typeEEEZNS1_21radix_sort_block_sortIS4_Lb1EPfS9_PS6_SA_NS0_19identity_decomposerEEE10hipError_tT1_T2_T3_T4_jRjT5_jjP12ihipStream_tbEUlT_E_NS1_11comp_targetILNS1_3genE4ELNS1_11target_archE910ELNS1_3gpuE8ELNS1_3repE0EEENS1_44radix_sort_block_sort_config_static_selectorELNS0_4arch9wavefront6targetE1EEEvSD_: ; @_ZN7rocprim17ROCPRIM_400000_NS6detail17trampoline_kernelINS0_13kernel_configILj256ELj4ELj4294967295EEENS1_37radix_sort_block_sort_config_selectorIfNS0_10empty_typeEEEZNS1_21radix_sort_block_sortIS4_Lb1EPfS9_PS6_SA_NS0_19identity_decomposerEEE10hipError_tT1_T2_T3_T4_jRjT5_jjP12ihipStream_tbEUlT_E_NS1_11comp_targetILNS1_3genE4ELNS1_11target_archE910ELNS1_3gpuE8ELNS1_3repE0EEENS1_44radix_sort_block_sort_config_static_selectorELNS0_4arch9wavefront6targetE1EEEvSD_
; %bb.0:
	s_load_dword s7, s[4:5], 0x20
	s_load_dwordx4 s[28:31], s[4:5], 0x0
	s_lshl_b32 s0, s6, 10
	s_mov_b32 s1, 0
	v_mbcnt_lo_u32_b32 v1, -1, 0
	s_waitcnt lgkmcnt(0)
	s_lshr_b32 s2, s7, 10
	s_cmp_lg_u32 s6, s2
	s_cselect_b64 s[34:35], -1, 0
	s_lshl_b64 s[36:37], s[0:1], 2
	v_mbcnt_hi_u32_b32 v1, -1, v1
	v_and_b32_e32 v6, 0x3ff, v0
	s_add_u32 s1, s28, s36
	v_and_b32_e32 v10, 63, v1
	s_addc_u32 s3, s29, s37
	v_lshlrev_b32_e32 v7, 2, v6
	v_lshlrev_b32_e32 v2, 2, v10
	v_and_b32_e32 v11, 0x300, v7
	v_mov_b32_e32 v3, s3
	v_add_co_u32_e32 v2, vcc, s1, v2
	v_addc_co_u32_e32 v3, vcc, 0, v3, vcc
	v_lshlrev_b32_e32 v4, 2, v11
	v_add_co_u32_e32 v8, vcc, v2, v4
	s_cmp_eq_u32 s6, s2
	v_addc_co_u32_e32 v9, vcc, 0, v3, vcc
	v_or_b32_e32 v12, v10, v11
	s_cbranch_scc1 .LBB2497_2
; %bb.1:
	global_load_dword v2, v[8:9], off
	global_load_dword v3, v[8:9], off offset:256
	global_load_dword v4, v[8:9], off offset:512
	global_load_dword v5, v[8:9], off offset:768
	v_or_b32_e32 v19, v10, v11
	v_or_b32_e32 v10, 64, v19
	;; [unrolled: 1-line block ×4, first 2 shown]
	s_load_dwordx2 s[28:29], s[4:5], 0x28
	s_sub_i32 s33, s7, s0
	s_cbranch_execz .LBB2497_3
	s_branch .LBB2497_12
.LBB2497_2:
                                        ; implicit-def: $vgpr2_vgpr3_vgpr4_vgpr5
                                        ; implicit-def: $vgpr19
                                        ; implicit-def: $vgpr10
                                        ; implicit-def: $vgpr11
                                        ; implicit-def: $vgpr22
	s_load_dwordx2 s[28:29], s[4:5], 0x28
	s_sub_i32 s33, s7, s0
.LBB2497_3:
	s_mov_b32 s0, -1
	s_mov_b32 s2, s0
	s_mov_b32 s3, s0
	;; [unrolled: 1-line block ×3, first 2 shown]
	s_waitcnt vmcnt(0)
	v_pk_mov_b32 v[4:5], s[2:3], s[2:3] op_sel:[0,1]
	v_cmp_gt_u32_e32 vcc, s33, v12
	v_pk_mov_b32 v[2:3], s[0:1], s[0:1] op_sel:[0,1]
	s_and_saveexec_b64 s[0:1], vcc
	s_cbranch_execz .LBB2497_5
; %bb.4:
	global_load_dword v2, v[8:9], off
	v_mov_b32_e32 v3, -1
	v_mov_b32_e32 v4, v3
	v_mov_b32_e32 v5, v3
.LBB2497_5:
	s_or_b64 exec, exec, s[0:1]
	v_or_b32_e32 v10, 64, v12
	v_cmp_gt_u32_e32 vcc, s33, v10
	s_and_saveexec_b64 s[0:1], vcc
	s_cbranch_execz .LBB2497_7
; %bb.6:
	global_load_dword v3, v[8:9], off offset:256
.LBB2497_7:
	s_or_b64 exec, exec, s[0:1]
	v_or_b32_e32 v11, 0x80, v12
	v_cmp_gt_u32_e32 vcc, s33, v11
	s_and_saveexec_b64 s[0:1], vcc
	s_cbranch_execz .LBB2497_9
; %bb.8:
	global_load_dword v4, v[8:9], off offset:512
.LBB2497_9:
	;; [unrolled: 8-line block ×3, first 2 shown]
	s_or_b64 exec, exec, s[0:1]
	v_mov_b32_e32 v19, v12
.LBB2497_12:
	v_bfrev_b32_e32 v12, -2
	s_waitcnt vmcnt(0)
	v_cmp_gt_i32_e32 vcc, 0, v2
	s_load_dword s2, s[4:5], 0x3c
	v_cndmask_b32_e64 v8, v12, 0, vcc
	v_cmp_gt_i32_e32 vcc, 0, v3
	v_xor_b32_e32 v2, v8, v2
	v_cndmask_b32_e64 v8, v12, 0, vcc
	v_cmp_gt_i32_e32 vcc, 0, v4
	s_waitcnt lgkmcnt(0)
	s_add_i32 s38, s29, s28
	v_xor_b32_e32 v3, v8, v3
	v_cndmask_b32_e64 v8, v12, 0, vcc
	v_cmp_gt_i32_e32 vcc, 0, v5
	v_xor_b32_e32 v27, v8, v4
	v_cndmask_b32_e64 v4, v12, 0, vcc
	s_getpc_b64 s[0:1]
	s_add_u32 s0, s0, _ZN7rocprim17ROCPRIM_400000_NS16block_radix_sortIfLj256ELj4ENS0_10empty_typeELj1ELj1ELj0ELNS0_26block_radix_rank_algorithmE1ELNS0_18block_padding_hintE2ELNS0_4arch9wavefront6targetE1EE19radix_bits_per_passE@rel32@lo+4
	s_addc_u32 s1, s1, _ZN7rocprim17ROCPRIM_400000_NS16block_radix_sortIfLj256ELj4ENS0_10empty_typeELj1ELj1ELj0ELNS0_26block_radix_rank_algorithmE1ELNS0_18block_padding_hintE2ELNS0_4arch9wavefront6targetE1EE19radix_bits_per_passE@rel32@hi+12
	v_xor_b32_e32 v28, v4, v5
	s_load_dword s39, s[0:1], 0x0
	s_lshr_b32 s0, s2, 16
	v_bfe_u32 v4, v0, 10, 10
	v_bfe_u32 v0, v0, 20, 10
	s_and_b32 s1, s2, 0xffff
	v_mad_u32_u24 v0, v0, s0, v4
	v_mad_u64_u32 v[4:5], s[0:1], v0, s1, v[6:7]
	v_and_b32_e32 v0, 15, v1
	v_cmp_eq_u32_e64 s[0:1], 0, v0
	v_cmp_lt_u32_e64 s[2:3], 1, v0
	v_cmp_lt_u32_e64 s[4:5], 3, v0
	;; [unrolled: 1-line block ×3, first 2 shown]
	v_and_b32_e32 v0, 16, v1
	v_cmp_eq_u32_e64 s[8:9], 0, v0
	v_and_b32_e32 v0, 0x3c0, v6
	v_min_u32_e32 v0, 0xc0, v0
	v_or_b32_e32 v0, 63, v0
	v_lshrrev_b32_e32 v14, 6, v4
	v_cmp_eq_u32_e64 s[12:13], v0, v6
	v_add_u32_e32 v0, -1, v1
	v_and_b32_e32 v4, 64, v1
	v_cmp_lt_i32_e32 vcc, v0, v4
	v_cndmask_b32_e32 v0, v0, v1, vcc
	s_mov_b32 s26, 0
	v_lshlrev_b32_e32 v16, 2, v0
	v_lshrrev_b32_e32 v0, 4, v6
	v_and_b32_e32 v17, 60, v0
	v_and_b32_e32 v0, 3, v1
	s_mov_b32 s27, s26
	s_mov_b32 s40, s26
	;; [unrolled: 1-line block ×3, first 2 shown]
	v_lshlrev_b32_e32 v13, 2, v7
	v_cmp_lt_u32_e64 s[10:11], 31, v1
	v_cmp_gt_u32_e64 s[14:15], 4, v6
	v_cmp_lt_u32_e64 s[16:17], 63, v6
	v_cmp_eq_u32_e64 s[18:19], 0, v1
	v_cmp_eq_u32_e64 s[20:21], 0, v6
	v_mul_i32_i24_e32 v15, -12, v6
	v_cmp_eq_u32_e64 s[22:23], 0, v0
	v_cmp_lt_u32_e64 s[24:25], 1, v0
	v_add_u32_e32 v18, -4, v17
	v_lshlrev_b32_e32 v19, 2, v19
	v_lshlrev_b32_e32 v20, 2, v10
	;; [unrolled: 1-line block ×4, first 2 shown]
	v_pk_mov_b32 v[4:5], s[26:27], s[26:27] op_sel:[0,1]
	v_pk_mov_b32 v[8:9], s[40:41], s[40:41] op_sel:[0,1]
	s_brev_b32 s40, 1
	v_mov_b32_e32 v10, 0
	s_branch .LBB2497_14
.LBB2497_13:                            ;   in Loop: Header=BB2497_14 Depth=1
	s_barrier
	ds_write_b32 v0, v26
	ds_write_b32 v1, v25
	;; [unrolled: 1-line block ×4, first 2 shown]
	s_waitcnt lgkmcnt(0)
	s_barrier
	ds_read_b32 v2, v19
	ds_read_b32 v3, v20
	;; [unrolled: 1-line block ×4, first 2 shown]
	s_add_i32 s29, s29, -8
	s_waitcnt lgkmcnt(0)
	s_barrier
	s_cbranch_execz .LBB2497_30
.LBB2497_14:                            ; =>This Inner Loop Header: Depth=1
	v_mov_b32_e32 v26, v2
	s_waitcnt lgkmcnt(0)
	s_min_u32 s26, s39, s29
	v_cmp_ne_u32_e32 vcc, s40, v26
	s_lshl_b32 s26, -1, s26
	v_cndmask_b32_e32 v0, v12, v26, vcc
	s_not_b32 s41, s26
	v_lshrrev_b32_e32 v0, s28, v0
	v_and_b32_e32 v0, s41, v0
	v_lshl_add_u32 v1, v0, 2, v14
	v_mov_b32_e32 v24, v27
	v_lshl_add_u32 v27, v1, 2, 16
	v_and_b32_e32 v1, 1, v0
	v_add_co_u32_e32 v2, vcc, -1, v1
	v_mov_b32_e32 v25, v3
	v_addc_co_u32_e64 v3, s[26:27], 0, -1, vcc
	v_cmp_ne_u32_e32 vcc, 0, v1
	v_lshlrev_b32_e32 v11, 30, v0
	v_xor_b32_e32 v1, vcc_hi, v3
	v_not_b32_e32 v3, v11
	v_xor_b32_e32 v2, vcc_lo, v2
	v_cmp_gt_i64_e32 vcc, 0, v[10:11]
	v_ashrrev_i32_e32 v3, 31, v3
	v_and_b32_e32 v1, exec_hi, v1
	v_xor_b32_e32 v11, vcc_hi, v3
	v_and_b32_e32 v2, exec_lo, v2
	v_xor_b32_e32 v3, vcc_lo, v3
	v_and_b32_e32 v1, v1, v11
	v_lshlrev_b32_e32 v11, 29, v0
	v_and_b32_e32 v2, v2, v3
	v_not_b32_e32 v3, v11
	v_cmp_gt_i64_e32 vcc, 0, v[10:11]
	v_ashrrev_i32_e32 v3, 31, v3
	v_xor_b32_e32 v11, vcc_hi, v3
	v_xor_b32_e32 v3, vcc_lo, v3
	v_and_b32_e32 v1, v1, v11
	v_lshlrev_b32_e32 v11, 28, v0
	v_and_b32_e32 v2, v2, v3
	v_not_b32_e32 v3, v11
	v_cmp_gt_i64_e32 vcc, 0, v[10:11]
	v_ashrrev_i32_e32 v3, 31, v3
	v_xor_b32_e32 v11, vcc_hi, v3
	;; [unrolled: 8-line block ×5, first 2 shown]
	v_and_b32_e32 v1, v1, v11
	v_lshlrev_b32_e32 v11, 24, v0
	v_not_b32_e32 v0, v11
	v_xor_b32_e32 v3, vcc_lo, v3
	v_cmp_gt_i64_e32 vcc, 0, v[10:11]
	v_ashrrev_i32_e32 v0, 31, v0
	v_and_b32_e32 v2, v2, v3
	v_xor_b32_e32 v3, vcc_hi, v0
	v_xor_b32_e32 v0, vcc_lo, v0
	v_and_b32_e32 v0, v2, v0
	v_and_b32_e32 v1, v1, v3
	v_mbcnt_lo_u32_b32 v2, v0, 0
	v_mov_b32_e32 v23, v28
	v_mbcnt_hi_u32_b32 v28, v1, v2
	v_cmp_eq_u32_e32 vcc, 0, v28
	v_cmp_ne_u64_e64 s[26:27], 0, v[0:1]
	s_and_b64 s[42:43], s[26:27], vcc
	ds_write2_b64 v13, v[4:5], v[8:9] offset0:2 offset1:3
	s_waitcnt lgkmcnt(0)
	s_barrier
	s_waitcnt lgkmcnt(0)
	; wave barrier
	s_and_saveexec_b64 s[26:27], s[42:43]
	s_cbranch_execz .LBB2497_16
; %bb.15:                               ;   in Loop: Header=BB2497_14 Depth=1
	v_bcnt_u32_b32 v0, v0, 0
	v_bcnt_u32_b32 v0, v1, v0
	ds_write_b32 v27, v0
.LBB2497_16:                            ;   in Loop: Header=BB2497_14 Depth=1
	s_or_b64 exec, exec, s[26:27]
	v_cmp_ne_u32_e32 vcc, s40, v25
	v_cndmask_b32_e32 v0, v12, v25, vcc
	v_lshrrev_b32_e32 v0, s28, v0
	v_and_b32_e32 v0, s41, v0
	v_lshlrev_b32_e32 v1, 2, v0
	v_add_lshl_u32 v1, v1, v14, 2
	; wave barrier
	v_add_u32_e32 v30, 16, v1
	ds_read_b32 v29, v1 offset:16
	v_and_b32_e32 v1, 1, v0
	v_add_co_u32_e32 v2, vcc, -1, v1
	v_addc_co_u32_e64 v3, s[26:27], 0, -1, vcc
	v_cmp_ne_u32_e32 vcc, 0, v1
	v_lshlrev_b32_e32 v11, 30, v0
	v_xor_b32_e32 v1, vcc_hi, v3
	v_not_b32_e32 v3, v11
	v_xor_b32_e32 v2, vcc_lo, v2
	v_cmp_gt_i64_e32 vcc, 0, v[10:11]
	v_ashrrev_i32_e32 v3, 31, v3
	v_and_b32_e32 v1, exec_hi, v1
	v_xor_b32_e32 v11, vcc_hi, v3
	v_and_b32_e32 v2, exec_lo, v2
	v_xor_b32_e32 v3, vcc_lo, v3
	v_and_b32_e32 v1, v1, v11
	v_lshlrev_b32_e32 v11, 29, v0
	v_and_b32_e32 v2, v2, v3
	v_not_b32_e32 v3, v11
	v_cmp_gt_i64_e32 vcc, 0, v[10:11]
	v_ashrrev_i32_e32 v3, 31, v3
	v_xor_b32_e32 v11, vcc_hi, v3
	v_xor_b32_e32 v3, vcc_lo, v3
	v_and_b32_e32 v1, v1, v11
	v_lshlrev_b32_e32 v11, 28, v0
	v_and_b32_e32 v2, v2, v3
	v_not_b32_e32 v3, v11
	v_cmp_gt_i64_e32 vcc, 0, v[10:11]
	v_ashrrev_i32_e32 v3, 31, v3
	v_xor_b32_e32 v11, vcc_hi, v3
	;; [unrolled: 8-line block ×5, first 2 shown]
	v_and_b32_e32 v1, v1, v11
	v_lshlrev_b32_e32 v11, 24, v0
	v_not_b32_e32 v0, v11
	v_xor_b32_e32 v3, vcc_lo, v3
	v_cmp_gt_i64_e32 vcc, 0, v[10:11]
	v_ashrrev_i32_e32 v0, 31, v0
	v_and_b32_e32 v2, v2, v3
	v_xor_b32_e32 v3, vcc_hi, v0
	v_xor_b32_e32 v0, vcc_lo, v0
	v_and_b32_e32 v0, v2, v0
	v_and_b32_e32 v1, v1, v3
	v_mbcnt_lo_u32_b32 v2, v0, 0
	v_mbcnt_hi_u32_b32 v31, v1, v2
	v_cmp_eq_u32_e32 vcc, 0, v31
	v_cmp_ne_u64_e64 s[26:27], 0, v[0:1]
	s_and_b64 s[42:43], s[26:27], vcc
	; wave barrier
	s_and_saveexec_b64 s[26:27], s[42:43]
	s_cbranch_execz .LBB2497_18
; %bb.17:                               ;   in Loop: Header=BB2497_14 Depth=1
	v_bcnt_u32_b32 v0, v0, 0
	v_bcnt_u32_b32 v0, v1, v0
	s_waitcnt lgkmcnt(0)
	v_add_u32_e32 v0, v29, v0
	ds_write_b32 v30, v0
.LBB2497_18:                            ;   in Loop: Header=BB2497_14 Depth=1
	s_or_b64 exec, exec, s[26:27]
	v_cmp_ne_u32_e32 vcc, s40, v24
	v_cndmask_b32_e32 v0, v12, v24, vcc
	v_lshrrev_b32_e32 v0, s28, v0
	v_and_b32_e32 v0, s41, v0
	v_lshlrev_b32_e32 v1, 2, v0
	v_add_lshl_u32 v1, v1, v14, 2
	; wave barrier
	v_add_u32_e32 v33, 16, v1
	ds_read_b32 v32, v1 offset:16
	v_and_b32_e32 v1, 1, v0
	v_add_co_u32_e32 v2, vcc, -1, v1
	v_addc_co_u32_e64 v3, s[26:27], 0, -1, vcc
	v_cmp_ne_u32_e32 vcc, 0, v1
	v_lshlrev_b32_e32 v11, 30, v0
	v_xor_b32_e32 v1, vcc_hi, v3
	v_not_b32_e32 v3, v11
	v_xor_b32_e32 v2, vcc_lo, v2
	v_cmp_gt_i64_e32 vcc, 0, v[10:11]
	v_ashrrev_i32_e32 v3, 31, v3
	v_and_b32_e32 v1, exec_hi, v1
	v_xor_b32_e32 v11, vcc_hi, v3
	v_and_b32_e32 v2, exec_lo, v2
	v_xor_b32_e32 v3, vcc_lo, v3
	v_and_b32_e32 v1, v1, v11
	v_lshlrev_b32_e32 v11, 29, v0
	v_and_b32_e32 v2, v2, v3
	v_not_b32_e32 v3, v11
	v_cmp_gt_i64_e32 vcc, 0, v[10:11]
	v_ashrrev_i32_e32 v3, 31, v3
	v_xor_b32_e32 v11, vcc_hi, v3
	v_xor_b32_e32 v3, vcc_lo, v3
	v_and_b32_e32 v1, v1, v11
	v_lshlrev_b32_e32 v11, 28, v0
	v_and_b32_e32 v2, v2, v3
	v_not_b32_e32 v3, v11
	v_cmp_gt_i64_e32 vcc, 0, v[10:11]
	v_ashrrev_i32_e32 v3, 31, v3
	v_xor_b32_e32 v11, vcc_hi, v3
	;; [unrolled: 8-line block ×5, first 2 shown]
	v_and_b32_e32 v1, v1, v11
	v_lshlrev_b32_e32 v11, 24, v0
	v_not_b32_e32 v0, v11
	v_xor_b32_e32 v3, vcc_lo, v3
	v_cmp_gt_i64_e32 vcc, 0, v[10:11]
	v_ashrrev_i32_e32 v0, 31, v0
	v_and_b32_e32 v2, v2, v3
	v_xor_b32_e32 v3, vcc_hi, v0
	v_xor_b32_e32 v0, vcc_lo, v0
	v_and_b32_e32 v0, v2, v0
	v_and_b32_e32 v1, v1, v3
	v_mbcnt_lo_u32_b32 v2, v0, 0
	v_mbcnt_hi_u32_b32 v34, v1, v2
	v_cmp_eq_u32_e32 vcc, 0, v34
	v_cmp_ne_u64_e64 s[26:27], 0, v[0:1]
	s_and_b64 s[42:43], s[26:27], vcc
	; wave barrier
	s_and_saveexec_b64 s[26:27], s[42:43]
	s_cbranch_execz .LBB2497_20
; %bb.19:                               ;   in Loop: Header=BB2497_14 Depth=1
	v_bcnt_u32_b32 v0, v0, 0
	v_bcnt_u32_b32 v0, v1, v0
	s_waitcnt lgkmcnt(0)
	v_add_u32_e32 v0, v32, v0
	ds_write_b32 v33, v0
.LBB2497_20:                            ;   in Loop: Header=BB2497_14 Depth=1
	s_or_b64 exec, exec, s[26:27]
	v_cmp_ne_u32_e32 vcc, s40, v23
	v_cndmask_b32_e32 v0, v12, v23, vcc
	v_lshrrev_b32_e32 v0, s28, v0
	v_and_b32_e32 v0, s41, v0
	v_lshlrev_b32_e32 v1, 2, v0
	v_add_lshl_u32 v1, v1, v14, 2
	; wave barrier
	v_add_u32_e32 v36, 16, v1
	ds_read_b32 v35, v1 offset:16
	v_and_b32_e32 v1, 1, v0
	v_add_co_u32_e32 v2, vcc, -1, v1
	v_addc_co_u32_e64 v3, s[26:27], 0, -1, vcc
	v_cmp_ne_u32_e32 vcc, 0, v1
	v_lshlrev_b32_e32 v11, 30, v0
	v_xor_b32_e32 v1, vcc_hi, v3
	v_not_b32_e32 v3, v11
	v_xor_b32_e32 v2, vcc_lo, v2
	v_cmp_gt_i64_e32 vcc, 0, v[10:11]
	v_ashrrev_i32_e32 v3, 31, v3
	v_and_b32_e32 v1, exec_hi, v1
	v_xor_b32_e32 v11, vcc_hi, v3
	v_and_b32_e32 v2, exec_lo, v2
	v_xor_b32_e32 v3, vcc_lo, v3
	v_and_b32_e32 v1, v1, v11
	v_lshlrev_b32_e32 v11, 29, v0
	v_and_b32_e32 v2, v2, v3
	v_not_b32_e32 v3, v11
	v_cmp_gt_i64_e32 vcc, 0, v[10:11]
	v_ashrrev_i32_e32 v3, 31, v3
	v_xor_b32_e32 v11, vcc_hi, v3
	v_xor_b32_e32 v3, vcc_lo, v3
	v_and_b32_e32 v1, v1, v11
	v_lshlrev_b32_e32 v11, 28, v0
	v_and_b32_e32 v2, v2, v3
	v_not_b32_e32 v3, v11
	v_cmp_gt_i64_e32 vcc, 0, v[10:11]
	v_ashrrev_i32_e32 v3, 31, v3
	v_xor_b32_e32 v11, vcc_hi, v3
	;; [unrolled: 8-line block ×5, first 2 shown]
	v_and_b32_e32 v1, v1, v11
	v_lshlrev_b32_e32 v11, 24, v0
	v_not_b32_e32 v0, v11
	v_xor_b32_e32 v3, vcc_lo, v3
	v_cmp_gt_i64_e32 vcc, 0, v[10:11]
	v_ashrrev_i32_e32 v0, 31, v0
	v_and_b32_e32 v2, v2, v3
	v_xor_b32_e32 v3, vcc_hi, v0
	v_xor_b32_e32 v0, vcc_lo, v0
	v_and_b32_e32 v0, v2, v0
	v_and_b32_e32 v1, v1, v3
	v_mbcnt_lo_u32_b32 v2, v0, 0
	v_mbcnt_hi_u32_b32 v11, v1, v2
	v_cmp_eq_u32_e32 vcc, 0, v11
	v_cmp_ne_u64_e64 s[26:27], 0, v[0:1]
	s_and_b64 s[42:43], s[26:27], vcc
	; wave barrier
	s_and_saveexec_b64 s[26:27], s[42:43]
	s_cbranch_execz .LBB2497_22
; %bb.21:                               ;   in Loop: Header=BB2497_14 Depth=1
	v_bcnt_u32_b32 v0, v0, 0
	v_bcnt_u32_b32 v0, v1, v0
	s_waitcnt lgkmcnt(0)
	v_add_u32_e32 v0, v35, v0
	ds_write_b32 v36, v0
.LBB2497_22:                            ;   in Loop: Header=BB2497_14 Depth=1
	s_or_b64 exec, exec, s[26:27]
	; wave barrier
	s_waitcnt lgkmcnt(0)
	s_barrier
	ds_read2_b64 v[0:3], v13 offset0:2 offset1:3
	s_waitcnt lgkmcnt(0)
	v_add_u32_e32 v37, v1, v0
	v_add3_u32 v3, v37, v2, v3
	s_nop 1
	v_mov_b32_dpp v37, v3 row_shr:1 row_mask:0xf bank_mask:0xf
	v_cndmask_b32_e64 v37, v37, 0, s[0:1]
	v_add_u32_e32 v3, v37, v3
	s_nop 1
	v_mov_b32_dpp v37, v3 row_shr:2 row_mask:0xf bank_mask:0xf
	v_cndmask_b32_e64 v37, 0, v37, s[2:3]
	v_add_u32_e32 v3, v3, v37
	;; [unrolled: 4-line block ×4, first 2 shown]
	s_nop 1
	v_mov_b32_dpp v37, v3 row_bcast:15 row_mask:0xf bank_mask:0xf
	v_cndmask_b32_e64 v37, v37, 0, s[8:9]
	v_add_u32_e32 v3, v3, v37
	s_nop 1
	v_mov_b32_dpp v37, v3 row_bcast:31 row_mask:0xf bank_mask:0xf
	v_cndmask_b32_e64 v37, 0, v37, s[10:11]
	v_add_u32_e32 v3, v3, v37
	s_and_saveexec_b64 s[26:27], s[12:13]
	s_cbranch_execz .LBB2497_24
; %bb.23:                               ;   in Loop: Header=BB2497_14 Depth=1
	ds_write_b32 v17, v3
.LBB2497_24:                            ;   in Loop: Header=BB2497_14 Depth=1
	s_or_b64 exec, exec, s[26:27]
	s_waitcnt lgkmcnt(0)
	s_barrier
	s_and_saveexec_b64 s[26:27], s[14:15]
	s_cbranch_execz .LBB2497_26
; %bb.25:                               ;   in Loop: Header=BB2497_14 Depth=1
	v_add_u32_e32 v37, v13, v15
	ds_read_b32 v38, v37
	s_waitcnt lgkmcnt(0)
	s_nop 0
	v_mov_b32_dpp v39, v38 row_shr:1 row_mask:0xf bank_mask:0xf
	v_cndmask_b32_e64 v39, v39, 0, s[22:23]
	v_add_u32_e32 v38, v39, v38
	s_nop 1
	v_mov_b32_dpp v39, v38 row_shr:2 row_mask:0xf bank_mask:0xf
	v_cndmask_b32_e64 v39, 0, v39, s[24:25]
	v_add_u32_e32 v38, v38, v39
	ds_write_b32 v37, v38
.LBB2497_26:                            ;   in Loop: Header=BB2497_14 Depth=1
	s_or_b64 exec, exec, s[26:27]
	v_mov_b32_e32 v37, 0
	s_waitcnt lgkmcnt(0)
	s_barrier
	s_and_saveexec_b64 s[26:27], s[16:17]
	s_cbranch_execz .LBB2497_28
; %bb.27:                               ;   in Loop: Header=BB2497_14 Depth=1
	ds_read_b32 v37, v18
.LBB2497_28:                            ;   in Loop: Header=BB2497_14 Depth=1
	s_or_b64 exec, exec, s[26:27]
	s_waitcnt lgkmcnt(0)
	v_add_u32_e32 v3, v37, v3
	ds_bpermute_b32 v3, v16, v3
	s_add_i32 s28, s28, 8
	s_cmp_ge_u32 s28, s38
	s_waitcnt lgkmcnt(0)
	v_cndmask_b32_e64 v3, v3, v37, s[18:19]
	v_cndmask_b32_e64 v38, v3, 0, s[20:21]
	v_add_u32_e32 v39, v38, v0
	v_add_u32_e32 v0, v39, v1
	;; [unrolled: 1-line block ×3, first 2 shown]
	ds_write2_b64 v13, v[38:39], v[0:1] offset0:2 offset1:3
	s_waitcnt lgkmcnt(0)
	s_barrier
	ds_read_b32 v0, v27
	ds_read_b32 v1, v30
	;; [unrolled: 1-line block ×4, first 2 shown]
	v_lshlrev_b32_e32 v27, 2, v28
	s_waitcnt lgkmcnt(3)
	v_lshl_add_u32 v0, v0, 2, v27
	v_lshlrev_b32_e32 v27, 2, v31
	v_lshlrev_b32_e32 v28, 2, v29
	s_waitcnt lgkmcnt(2)
	v_lshlrev_b32_e32 v1, 2, v1
	v_add3_u32 v1, v27, v28, v1
	v_lshlrev_b32_e32 v27, 2, v34
	v_lshlrev_b32_e32 v28, 2, v32
	s_waitcnt lgkmcnt(1)
	v_lshlrev_b32_e32 v2, 2, v2
	v_add3_u32 v29, v27, v28, v2
	;; [unrolled: 5-line block ×3, first 2 shown]
	s_cbranch_scc0 .LBB2497_13
; %bb.29:
                                        ; implicit-def: $vgpr28
                                        ; implicit-def: $vgpr27
                                        ; implicit-def: $vgpr3
                                        ; implicit-def: $vgpr2
                                        ; implicit-def: $sgpr28
.LBB2497_30:
	s_barrier
	ds_write_b32 v0, v26
	ds_write_b32 v1, v25
	;; [unrolled: 1-line block ×4, first 2 shown]
	v_add_u32_e32 v0, v13, v15
	s_waitcnt lgkmcnt(0)
	s_barrier
	ds_read_b32 v3, v0
	ds_read2st64_b32 v[0:1], v7 offset0:4 offset1:8
	ds_read_b32 v2, v7 offset:3072
	v_bfrev_b32_e32 v8, -2
	s_add_u32 s0, s30, s36
	s_waitcnt lgkmcnt(2)
	v_cmp_gt_i32_e32 vcc, 0, v3
	v_cndmask_b32_e64 v4, v8, 0, vcc
	s_waitcnt lgkmcnt(1)
	v_cmp_gt_i32_e32 vcc, 0, v0
	v_xor_b32_e32 v5, v4, v3
	v_cndmask_b32_e64 v3, v8, 0, vcc
	v_cmp_gt_i32_e32 vcc, 0, v1
	v_xor_b32_e32 v4, v3, v0
	v_cndmask_b32_e64 v0, v8, 0, vcc
	s_addc_u32 s1, s31, s37
	v_xor_b32_e32 v3, v0, v1
	v_mov_b32_e32 v1, s1
	v_add_co_u32_e64 v0, s[0:1], s0, v7
	s_andn2_b64 vcc, exec, s[34:35]
	v_addc_co_u32_e64 v1, s[0:1], 0, v1, s[0:1]
	s_cbranch_vccnz .LBB2497_32
; %bb.31:
	s_mov_b64 s[0:1], -1
	global_store_dword v[0:1], v5, off
	global_store_dword v[0:1], v4, off offset:1024
	global_store_dword v[0:1], v3, off offset:2048
	s_cbranch_execz .LBB2497_33
	s_branch .LBB2497_40
.LBB2497_32:
	s_mov_b64 s[0:1], 0
.LBB2497_33:
	v_cmp_gt_u32_e32 vcc, s33, v6
	s_and_saveexec_b64 s[0:1], vcc
	s_cbranch_execz .LBB2497_35
; %bb.34:
	global_store_dword v[0:1], v5, off
.LBB2497_35:
	s_or_b64 exec, exec, s[0:1]
	v_add_u32_e32 v5, 0x100, v6
	v_cmp_gt_u32_e32 vcc, s33, v5
	s_and_saveexec_b64 s[0:1], vcc
	s_cbranch_execz .LBB2497_37
; %bb.36:
	global_store_dword v[0:1], v4, off offset:1024
.LBB2497_37:
	s_or_b64 exec, exec, s[0:1]
	v_add_u32_e32 v4, 0x200, v6
	v_cmp_gt_u32_e32 vcc, s33, v4
	s_and_saveexec_b64 s[0:1], vcc
	s_cbranch_execz .LBB2497_39
; %bb.38:
	global_store_dword v[0:1], v3, off offset:2048
.LBB2497_39:
	s_or_b64 exec, exec, s[0:1]
	v_add_u32_e32 v3, 0x300, v6
	v_cmp_gt_u32_e64 s[0:1], s33, v3
.LBB2497_40:
	s_and_saveexec_b64 s[2:3], s[0:1]
	s_cbranch_execnz .LBB2497_42
; %bb.41:
	s_endpgm
.LBB2497_42:
	v_bfrev_b32_e32 v3, -2
	s_waitcnt lgkmcnt(0)
	v_cmp_gt_i32_e32 vcc, 0, v2
	v_cndmask_b32_e64 v3, v3, 0, vcc
	v_xor_b32_e32 v2, v3, v2
	global_store_dword v[0:1], v2, off offset:3072
	s_endpgm
	.section	.rodata,"a",@progbits
	.p2align	6, 0x0
	.amdhsa_kernel _ZN7rocprim17ROCPRIM_400000_NS6detail17trampoline_kernelINS0_13kernel_configILj256ELj4ELj4294967295EEENS1_37radix_sort_block_sort_config_selectorIfNS0_10empty_typeEEEZNS1_21radix_sort_block_sortIS4_Lb1EPfS9_PS6_SA_NS0_19identity_decomposerEEE10hipError_tT1_T2_T3_T4_jRjT5_jjP12ihipStream_tbEUlT_E_NS1_11comp_targetILNS1_3genE4ELNS1_11target_archE910ELNS1_3gpuE8ELNS1_3repE0EEENS1_44radix_sort_block_sort_config_static_selectorELNS0_4arch9wavefront6targetE1EEEvSD_
		.amdhsa_group_segment_fixed_size 4112
		.amdhsa_private_segment_fixed_size 0
		.amdhsa_kernarg_size 304
		.amdhsa_user_sgpr_count 6
		.amdhsa_user_sgpr_private_segment_buffer 1
		.amdhsa_user_sgpr_dispatch_ptr 0
		.amdhsa_user_sgpr_queue_ptr 0
		.amdhsa_user_sgpr_kernarg_segment_ptr 1
		.amdhsa_user_sgpr_dispatch_id 0
		.amdhsa_user_sgpr_flat_scratch_init 0
		.amdhsa_user_sgpr_kernarg_preload_length 0
		.amdhsa_user_sgpr_kernarg_preload_offset 0
		.amdhsa_user_sgpr_private_segment_size 0
		.amdhsa_uses_dynamic_stack 0
		.amdhsa_system_sgpr_private_segment_wavefront_offset 0
		.amdhsa_system_sgpr_workgroup_id_x 1
		.amdhsa_system_sgpr_workgroup_id_y 0
		.amdhsa_system_sgpr_workgroup_id_z 0
		.amdhsa_system_sgpr_workgroup_info 0
		.amdhsa_system_vgpr_workitem_id 2
		.amdhsa_next_free_vgpr 40
		.amdhsa_next_free_sgpr 44
		.amdhsa_accum_offset 40
		.amdhsa_reserve_vcc 1
		.amdhsa_reserve_flat_scratch 0
		.amdhsa_float_round_mode_32 0
		.amdhsa_float_round_mode_16_64 0
		.amdhsa_float_denorm_mode_32 3
		.amdhsa_float_denorm_mode_16_64 3
		.amdhsa_dx10_clamp 1
		.amdhsa_ieee_mode 1
		.amdhsa_fp16_overflow 0
		.amdhsa_tg_split 0
		.amdhsa_exception_fp_ieee_invalid_op 0
		.amdhsa_exception_fp_denorm_src 0
		.amdhsa_exception_fp_ieee_div_zero 0
		.amdhsa_exception_fp_ieee_overflow 0
		.amdhsa_exception_fp_ieee_underflow 0
		.amdhsa_exception_fp_ieee_inexact 0
		.amdhsa_exception_int_div_zero 0
	.end_amdhsa_kernel
	.section	.text._ZN7rocprim17ROCPRIM_400000_NS6detail17trampoline_kernelINS0_13kernel_configILj256ELj4ELj4294967295EEENS1_37radix_sort_block_sort_config_selectorIfNS0_10empty_typeEEEZNS1_21radix_sort_block_sortIS4_Lb1EPfS9_PS6_SA_NS0_19identity_decomposerEEE10hipError_tT1_T2_T3_T4_jRjT5_jjP12ihipStream_tbEUlT_E_NS1_11comp_targetILNS1_3genE4ELNS1_11target_archE910ELNS1_3gpuE8ELNS1_3repE0EEENS1_44radix_sort_block_sort_config_static_selectorELNS0_4arch9wavefront6targetE1EEEvSD_,"axG",@progbits,_ZN7rocprim17ROCPRIM_400000_NS6detail17trampoline_kernelINS0_13kernel_configILj256ELj4ELj4294967295EEENS1_37radix_sort_block_sort_config_selectorIfNS0_10empty_typeEEEZNS1_21radix_sort_block_sortIS4_Lb1EPfS9_PS6_SA_NS0_19identity_decomposerEEE10hipError_tT1_T2_T3_T4_jRjT5_jjP12ihipStream_tbEUlT_E_NS1_11comp_targetILNS1_3genE4ELNS1_11target_archE910ELNS1_3gpuE8ELNS1_3repE0EEENS1_44radix_sort_block_sort_config_static_selectorELNS0_4arch9wavefront6targetE1EEEvSD_,comdat
.Lfunc_end2497:
	.size	_ZN7rocprim17ROCPRIM_400000_NS6detail17trampoline_kernelINS0_13kernel_configILj256ELj4ELj4294967295EEENS1_37radix_sort_block_sort_config_selectorIfNS0_10empty_typeEEEZNS1_21radix_sort_block_sortIS4_Lb1EPfS9_PS6_SA_NS0_19identity_decomposerEEE10hipError_tT1_T2_T3_T4_jRjT5_jjP12ihipStream_tbEUlT_E_NS1_11comp_targetILNS1_3genE4ELNS1_11target_archE910ELNS1_3gpuE8ELNS1_3repE0EEENS1_44radix_sort_block_sort_config_static_selectorELNS0_4arch9wavefront6targetE1EEEvSD_, .Lfunc_end2497-_ZN7rocprim17ROCPRIM_400000_NS6detail17trampoline_kernelINS0_13kernel_configILj256ELj4ELj4294967295EEENS1_37radix_sort_block_sort_config_selectorIfNS0_10empty_typeEEEZNS1_21radix_sort_block_sortIS4_Lb1EPfS9_PS6_SA_NS0_19identity_decomposerEEE10hipError_tT1_T2_T3_T4_jRjT5_jjP12ihipStream_tbEUlT_E_NS1_11comp_targetILNS1_3genE4ELNS1_11target_archE910ELNS1_3gpuE8ELNS1_3repE0EEENS1_44radix_sort_block_sort_config_static_selectorELNS0_4arch9wavefront6targetE1EEEvSD_
                                        ; -- End function
	.section	.AMDGPU.csdata,"",@progbits
; Kernel info:
; codeLenInByte = 3296
; NumSgprs: 48
; NumVgprs: 40
; NumAgprs: 0
; TotalNumVgprs: 40
; ScratchSize: 0
; MemoryBound: 0
; FloatMode: 240
; IeeeMode: 1
; LDSByteSize: 4112 bytes/workgroup (compile time only)
; SGPRBlocks: 5
; VGPRBlocks: 4
; NumSGPRsForWavesPerEU: 48
; NumVGPRsForWavesPerEU: 40
; AccumOffset: 40
; Occupancy: 8
; WaveLimiterHint : 1
; COMPUTE_PGM_RSRC2:SCRATCH_EN: 0
; COMPUTE_PGM_RSRC2:USER_SGPR: 6
; COMPUTE_PGM_RSRC2:TRAP_HANDLER: 0
; COMPUTE_PGM_RSRC2:TGID_X_EN: 1
; COMPUTE_PGM_RSRC2:TGID_Y_EN: 0
; COMPUTE_PGM_RSRC2:TGID_Z_EN: 0
; COMPUTE_PGM_RSRC2:TIDIG_COMP_CNT: 2
; COMPUTE_PGM_RSRC3_GFX90A:ACCUM_OFFSET: 9
; COMPUTE_PGM_RSRC3_GFX90A:TG_SPLIT: 0
	.section	.text._ZN7rocprim17ROCPRIM_400000_NS6detail17trampoline_kernelINS0_13kernel_configILj256ELj4ELj4294967295EEENS1_37radix_sort_block_sort_config_selectorIfNS0_10empty_typeEEEZNS1_21radix_sort_block_sortIS4_Lb1EPfS9_PS6_SA_NS0_19identity_decomposerEEE10hipError_tT1_T2_T3_T4_jRjT5_jjP12ihipStream_tbEUlT_E_NS1_11comp_targetILNS1_3genE3ELNS1_11target_archE908ELNS1_3gpuE7ELNS1_3repE0EEENS1_44radix_sort_block_sort_config_static_selectorELNS0_4arch9wavefront6targetE1EEEvSD_,"axG",@progbits,_ZN7rocprim17ROCPRIM_400000_NS6detail17trampoline_kernelINS0_13kernel_configILj256ELj4ELj4294967295EEENS1_37radix_sort_block_sort_config_selectorIfNS0_10empty_typeEEEZNS1_21radix_sort_block_sortIS4_Lb1EPfS9_PS6_SA_NS0_19identity_decomposerEEE10hipError_tT1_T2_T3_T4_jRjT5_jjP12ihipStream_tbEUlT_E_NS1_11comp_targetILNS1_3genE3ELNS1_11target_archE908ELNS1_3gpuE7ELNS1_3repE0EEENS1_44radix_sort_block_sort_config_static_selectorELNS0_4arch9wavefront6targetE1EEEvSD_,comdat
	.protected	_ZN7rocprim17ROCPRIM_400000_NS6detail17trampoline_kernelINS0_13kernel_configILj256ELj4ELj4294967295EEENS1_37radix_sort_block_sort_config_selectorIfNS0_10empty_typeEEEZNS1_21radix_sort_block_sortIS4_Lb1EPfS9_PS6_SA_NS0_19identity_decomposerEEE10hipError_tT1_T2_T3_T4_jRjT5_jjP12ihipStream_tbEUlT_E_NS1_11comp_targetILNS1_3genE3ELNS1_11target_archE908ELNS1_3gpuE7ELNS1_3repE0EEENS1_44radix_sort_block_sort_config_static_selectorELNS0_4arch9wavefront6targetE1EEEvSD_ ; -- Begin function _ZN7rocprim17ROCPRIM_400000_NS6detail17trampoline_kernelINS0_13kernel_configILj256ELj4ELj4294967295EEENS1_37radix_sort_block_sort_config_selectorIfNS0_10empty_typeEEEZNS1_21radix_sort_block_sortIS4_Lb1EPfS9_PS6_SA_NS0_19identity_decomposerEEE10hipError_tT1_T2_T3_T4_jRjT5_jjP12ihipStream_tbEUlT_E_NS1_11comp_targetILNS1_3genE3ELNS1_11target_archE908ELNS1_3gpuE7ELNS1_3repE0EEENS1_44radix_sort_block_sort_config_static_selectorELNS0_4arch9wavefront6targetE1EEEvSD_
	.globl	_ZN7rocprim17ROCPRIM_400000_NS6detail17trampoline_kernelINS0_13kernel_configILj256ELj4ELj4294967295EEENS1_37radix_sort_block_sort_config_selectorIfNS0_10empty_typeEEEZNS1_21radix_sort_block_sortIS4_Lb1EPfS9_PS6_SA_NS0_19identity_decomposerEEE10hipError_tT1_T2_T3_T4_jRjT5_jjP12ihipStream_tbEUlT_E_NS1_11comp_targetILNS1_3genE3ELNS1_11target_archE908ELNS1_3gpuE7ELNS1_3repE0EEENS1_44radix_sort_block_sort_config_static_selectorELNS0_4arch9wavefront6targetE1EEEvSD_
	.p2align	8
	.type	_ZN7rocprim17ROCPRIM_400000_NS6detail17trampoline_kernelINS0_13kernel_configILj256ELj4ELj4294967295EEENS1_37radix_sort_block_sort_config_selectorIfNS0_10empty_typeEEEZNS1_21radix_sort_block_sortIS4_Lb1EPfS9_PS6_SA_NS0_19identity_decomposerEEE10hipError_tT1_T2_T3_T4_jRjT5_jjP12ihipStream_tbEUlT_E_NS1_11comp_targetILNS1_3genE3ELNS1_11target_archE908ELNS1_3gpuE7ELNS1_3repE0EEENS1_44radix_sort_block_sort_config_static_selectorELNS0_4arch9wavefront6targetE1EEEvSD_,@function
_ZN7rocprim17ROCPRIM_400000_NS6detail17trampoline_kernelINS0_13kernel_configILj256ELj4ELj4294967295EEENS1_37radix_sort_block_sort_config_selectorIfNS0_10empty_typeEEEZNS1_21radix_sort_block_sortIS4_Lb1EPfS9_PS6_SA_NS0_19identity_decomposerEEE10hipError_tT1_T2_T3_T4_jRjT5_jjP12ihipStream_tbEUlT_E_NS1_11comp_targetILNS1_3genE3ELNS1_11target_archE908ELNS1_3gpuE7ELNS1_3repE0EEENS1_44radix_sort_block_sort_config_static_selectorELNS0_4arch9wavefront6targetE1EEEvSD_: ; @_ZN7rocprim17ROCPRIM_400000_NS6detail17trampoline_kernelINS0_13kernel_configILj256ELj4ELj4294967295EEENS1_37radix_sort_block_sort_config_selectorIfNS0_10empty_typeEEEZNS1_21radix_sort_block_sortIS4_Lb1EPfS9_PS6_SA_NS0_19identity_decomposerEEE10hipError_tT1_T2_T3_T4_jRjT5_jjP12ihipStream_tbEUlT_E_NS1_11comp_targetILNS1_3genE3ELNS1_11target_archE908ELNS1_3gpuE7ELNS1_3repE0EEENS1_44radix_sort_block_sort_config_static_selectorELNS0_4arch9wavefront6targetE1EEEvSD_
; %bb.0:
	.section	.rodata,"a",@progbits
	.p2align	6, 0x0
	.amdhsa_kernel _ZN7rocprim17ROCPRIM_400000_NS6detail17trampoline_kernelINS0_13kernel_configILj256ELj4ELj4294967295EEENS1_37radix_sort_block_sort_config_selectorIfNS0_10empty_typeEEEZNS1_21radix_sort_block_sortIS4_Lb1EPfS9_PS6_SA_NS0_19identity_decomposerEEE10hipError_tT1_T2_T3_T4_jRjT5_jjP12ihipStream_tbEUlT_E_NS1_11comp_targetILNS1_3genE3ELNS1_11target_archE908ELNS1_3gpuE7ELNS1_3repE0EEENS1_44radix_sort_block_sort_config_static_selectorELNS0_4arch9wavefront6targetE1EEEvSD_
		.amdhsa_group_segment_fixed_size 0
		.amdhsa_private_segment_fixed_size 0
		.amdhsa_kernarg_size 48
		.amdhsa_user_sgpr_count 6
		.amdhsa_user_sgpr_private_segment_buffer 1
		.amdhsa_user_sgpr_dispatch_ptr 0
		.amdhsa_user_sgpr_queue_ptr 0
		.amdhsa_user_sgpr_kernarg_segment_ptr 1
		.amdhsa_user_sgpr_dispatch_id 0
		.amdhsa_user_sgpr_flat_scratch_init 0
		.amdhsa_user_sgpr_kernarg_preload_length 0
		.amdhsa_user_sgpr_kernarg_preload_offset 0
		.amdhsa_user_sgpr_private_segment_size 0
		.amdhsa_uses_dynamic_stack 0
		.amdhsa_system_sgpr_private_segment_wavefront_offset 0
		.amdhsa_system_sgpr_workgroup_id_x 1
		.amdhsa_system_sgpr_workgroup_id_y 0
		.amdhsa_system_sgpr_workgroup_id_z 0
		.amdhsa_system_sgpr_workgroup_info 0
		.amdhsa_system_vgpr_workitem_id 0
		.amdhsa_next_free_vgpr 1
		.amdhsa_next_free_sgpr 0
		.amdhsa_accum_offset 4
		.amdhsa_reserve_vcc 0
		.amdhsa_reserve_flat_scratch 0
		.amdhsa_float_round_mode_32 0
		.amdhsa_float_round_mode_16_64 0
		.amdhsa_float_denorm_mode_32 3
		.amdhsa_float_denorm_mode_16_64 3
		.amdhsa_dx10_clamp 1
		.amdhsa_ieee_mode 1
		.amdhsa_fp16_overflow 0
		.amdhsa_tg_split 0
		.amdhsa_exception_fp_ieee_invalid_op 0
		.amdhsa_exception_fp_denorm_src 0
		.amdhsa_exception_fp_ieee_div_zero 0
		.amdhsa_exception_fp_ieee_overflow 0
		.amdhsa_exception_fp_ieee_underflow 0
		.amdhsa_exception_fp_ieee_inexact 0
		.amdhsa_exception_int_div_zero 0
	.end_amdhsa_kernel
	.section	.text._ZN7rocprim17ROCPRIM_400000_NS6detail17trampoline_kernelINS0_13kernel_configILj256ELj4ELj4294967295EEENS1_37radix_sort_block_sort_config_selectorIfNS0_10empty_typeEEEZNS1_21radix_sort_block_sortIS4_Lb1EPfS9_PS6_SA_NS0_19identity_decomposerEEE10hipError_tT1_T2_T3_T4_jRjT5_jjP12ihipStream_tbEUlT_E_NS1_11comp_targetILNS1_3genE3ELNS1_11target_archE908ELNS1_3gpuE7ELNS1_3repE0EEENS1_44radix_sort_block_sort_config_static_selectorELNS0_4arch9wavefront6targetE1EEEvSD_,"axG",@progbits,_ZN7rocprim17ROCPRIM_400000_NS6detail17trampoline_kernelINS0_13kernel_configILj256ELj4ELj4294967295EEENS1_37radix_sort_block_sort_config_selectorIfNS0_10empty_typeEEEZNS1_21radix_sort_block_sortIS4_Lb1EPfS9_PS6_SA_NS0_19identity_decomposerEEE10hipError_tT1_T2_T3_T4_jRjT5_jjP12ihipStream_tbEUlT_E_NS1_11comp_targetILNS1_3genE3ELNS1_11target_archE908ELNS1_3gpuE7ELNS1_3repE0EEENS1_44radix_sort_block_sort_config_static_selectorELNS0_4arch9wavefront6targetE1EEEvSD_,comdat
.Lfunc_end2498:
	.size	_ZN7rocprim17ROCPRIM_400000_NS6detail17trampoline_kernelINS0_13kernel_configILj256ELj4ELj4294967295EEENS1_37radix_sort_block_sort_config_selectorIfNS0_10empty_typeEEEZNS1_21radix_sort_block_sortIS4_Lb1EPfS9_PS6_SA_NS0_19identity_decomposerEEE10hipError_tT1_T2_T3_T4_jRjT5_jjP12ihipStream_tbEUlT_E_NS1_11comp_targetILNS1_3genE3ELNS1_11target_archE908ELNS1_3gpuE7ELNS1_3repE0EEENS1_44radix_sort_block_sort_config_static_selectorELNS0_4arch9wavefront6targetE1EEEvSD_, .Lfunc_end2498-_ZN7rocprim17ROCPRIM_400000_NS6detail17trampoline_kernelINS0_13kernel_configILj256ELj4ELj4294967295EEENS1_37radix_sort_block_sort_config_selectorIfNS0_10empty_typeEEEZNS1_21radix_sort_block_sortIS4_Lb1EPfS9_PS6_SA_NS0_19identity_decomposerEEE10hipError_tT1_T2_T3_T4_jRjT5_jjP12ihipStream_tbEUlT_E_NS1_11comp_targetILNS1_3genE3ELNS1_11target_archE908ELNS1_3gpuE7ELNS1_3repE0EEENS1_44radix_sort_block_sort_config_static_selectorELNS0_4arch9wavefront6targetE1EEEvSD_
                                        ; -- End function
	.section	.AMDGPU.csdata,"",@progbits
; Kernel info:
; codeLenInByte = 0
; NumSgprs: 4
; NumVgprs: 0
; NumAgprs: 0
; TotalNumVgprs: 0
; ScratchSize: 0
; MemoryBound: 0
; FloatMode: 240
; IeeeMode: 1
; LDSByteSize: 0 bytes/workgroup (compile time only)
; SGPRBlocks: 0
; VGPRBlocks: 0
; NumSGPRsForWavesPerEU: 4
; NumVGPRsForWavesPerEU: 1
; AccumOffset: 4
; Occupancy: 8
; WaveLimiterHint : 0
; COMPUTE_PGM_RSRC2:SCRATCH_EN: 0
; COMPUTE_PGM_RSRC2:USER_SGPR: 6
; COMPUTE_PGM_RSRC2:TRAP_HANDLER: 0
; COMPUTE_PGM_RSRC2:TGID_X_EN: 1
; COMPUTE_PGM_RSRC2:TGID_Y_EN: 0
; COMPUTE_PGM_RSRC2:TGID_Z_EN: 0
; COMPUTE_PGM_RSRC2:TIDIG_COMP_CNT: 0
; COMPUTE_PGM_RSRC3_GFX90A:ACCUM_OFFSET: 0
; COMPUTE_PGM_RSRC3_GFX90A:TG_SPLIT: 0
	.section	.text._ZN7rocprim17ROCPRIM_400000_NS6detail17trampoline_kernelINS0_13kernel_configILj256ELj4ELj4294967295EEENS1_37radix_sort_block_sort_config_selectorIfNS0_10empty_typeEEEZNS1_21radix_sort_block_sortIS4_Lb1EPfS9_PS6_SA_NS0_19identity_decomposerEEE10hipError_tT1_T2_T3_T4_jRjT5_jjP12ihipStream_tbEUlT_E_NS1_11comp_targetILNS1_3genE2ELNS1_11target_archE906ELNS1_3gpuE6ELNS1_3repE0EEENS1_44radix_sort_block_sort_config_static_selectorELNS0_4arch9wavefront6targetE1EEEvSD_,"axG",@progbits,_ZN7rocprim17ROCPRIM_400000_NS6detail17trampoline_kernelINS0_13kernel_configILj256ELj4ELj4294967295EEENS1_37radix_sort_block_sort_config_selectorIfNS0_10empty_typeEEEZNS1_21radix_sort_block_sortIS4_Lb1EPfS9_PS6_SA_NS0_19identity_decomposerEEE10hipError_tT1_T2_T3_T4_jRjT5_jjP12ihipStream_tbEUlT_E_NS1_11comp_targetILNS1_3genE2ELNS1_11target_archE906ELNS1_3gpuE6ELNS1_3repE0EEENS1_44radix_sort_block_sort_config_static_selectorELNS0_4arch9wavefront6targetE1EEEvSD_,comdat
	.protected	_ZN7rocprim17ROCPRIM_400000_NS6detail17trampoline_kernelINS0_13kernel_configILj256ELj4ELj4294967295EEENS1_37radix_sort_block_sort_config_selectorIfNS0_10empty_typeEEEZNS1_21radix_sort_block_sortIS4_Lb1EPfS9_PS6_SA_NS0_19identity_decomposerEEE10hipError_tT1_T2_T3_T4_jRjT5_jjP12ihipStream_tbEUlT_E_NS1_11comp_targetILNS1_3genE2ELNS1_11target_archE906ELNS1_3gpuE6ELNS1_3repE0EEENS1_44radix_sort_block_sort_config_static_selectorELNS0_4arch9wavefront6targetE1EEEvSD_ ; -- Begin function _ZN7rocprim17ROCPRIM_400000_NS6detail17trampoline_kernelINS0_13kernel_configILj256ELj4ELj4294967295EEENS1_37radix_sort_block_sort_config_selectorIfNS0_10empty_typeEEEZNS1_21radix_sort_block_sortIS4_Lb1EPfS9_PS6_SA_NS0_19identity_decomposerEEE10hipError_tT1_T2_T3_T4_jRjT5_jjP12ihipStream_tbEUlT_E_NS1_11comp_targetILNS1_3genE2ELNS1_11target_archE906ELNS1_3gpuE6ELNS1_3repE0EEENS1_44radix_sort_block_sort_config_static_selectorELNS0_4arch9wavefront6targetE1EEEvSD_
	.globl	_ZN7rocprim17ROCPRIM_400000_NS6detail17trampoline_kernelINS0_13kernel_configILj256ELj4ELj4294967295EEENS1_37radix_sort_block_sort_config_selectorIfNS0_10empty_typeEEEZNS1_21radix_sort_block_sortIS4_Lb1EPfS9_PS6_SA_NS0_19identity_decomposerEEE10hipError_tT1_T2_T3_T4_jRjT5_jjP12ihipStream_tbEUlT_E_NS1_11comp_targetILNS1_3genE2ELNS1_11target_archE906ELNS1_3gpuE6ELNS1_3repE0EEENS1_44radix_sort_block_sort_config_static_selectorELNS0_4arch9wavefront6targetE1EEEvSD_
	.p2align	8
	.type	_ZN7rocprim17ROCPRIM_400000_NS6detail17trampoline_kernelINS0_13kernel_configILj256ELj4ELj4294967295EEENS1_37radix_sort_block_sort_config_selectorIfNS0_10empty_typeEEEZNS1_21radix_sort_block_sortIS4_Lb1EPfS9_PS6_SA_NS0_19identity_decomposerEEE10hipError_tT1_T2_T3_T4_jRjT5_jjP12ihipStream_tbEUlT_E_NS1_11comp_targetILNS1_3genE2ELNS1_11target_archE906ELNS1_3gpuE6ELNS1_3repE0EEENS1_44radix_sort_block_sort_config_static_selectorELNS0_4arch9wavefront6targetE1EEEvSD_,@function
_ZN7rocprim17ROCPRIM_400000_NS6detail17trampoline_kernelINS0_13kernel_configILj256ELj4ELj4294967295EEENS1_37radix_sort_block_sort_config_selectorIfNS0_10empty_typeEEEZNS1_21radix_sort_block_sortIS4_Lb1EPfS9_PS6_SA_NS0_19identity_decomposerEEE10hipError_tT1_T2_T3_T4_jRjT5_jjP12ihipStream_tbEUlT_E_NS1_11comp_targetILNS1_3genE2ELNS1_11target_archE906ELNS1_3gpuE6ELNS1_3repE0EEENS1_44radix_sort_block_sort_config_static_selectorELNS0_4arch9wavefront6targetE1EEEvSD_: ; @_ZN7rocprim17ROCPRIM_400000_NS6detail17trampoline_kernelINS0_13kernel_configILj256ELj4ELj4294967295EEENS1_37radix_sort_block_sort_config_selectorIfNS0_10empty_typeEEEZNS1_21radix_sort_block_sortIS4_Lb1EPfS9_PS6_SA_NS0_19identity_decomposerEEE10hipError_tT1_T2_T3_T4_jRjT5_jjP12ihipStream_tbEUlT_E_NS1_11comp_targetILNS1_3genE2ELNS1_11target_archE906ELNS1_3gpuE6ELNS1_3repE0EEENS1_44radix_sort_block_sort_config_static_selectorELNS0_4arch9wavefront6targetE1EEEvSD_
; %bb.0:
	.section	.rodata,"a",@progbits
	.p2align	6, 0x0
	.amdhsa_kernel _ZN7rocprim17ROCPRIM_400000_NS6detail17trampoline_kernelINS0_13kernel_configILj256ELj4ELj4294967295EEENS1_37radix_sort_block_sort_config_selectorIfNS0_10empty_typeEEEZNS1_21radix_sort_block_sortIS4_Lb1EPfS9_PS6_SA_NS0_19identity_decomposerEEE10hipError_tT1_T2_T3_T4_jRjT5_jjP12ihipStream_tbEUlT_E_NS1_11comp_targetILNS1_3genE2ELNS1_11target_archE906ELNS1_3gpuE6ELNS1_3repE0EEENS1_44radix_sort_block_sort_config_static_selectorELNS0_4arch9wavefront6targetE1EEEvSD_
		.amdhsa_group_segment_fixed_size 0
		.amdhsa_private_segment_fixed_size 0
		.amdhsa_kernarg_size 48
		.amdhsa_user_sgpr_count 6
		.amdhsa_user_sgpr_private_segment_buffer 1
		.amdhsa_user_sgpr_dispatch_ptr 0
		.amdhsa_user_sgpr_queue_ptr 0
		.amdhsa_user_sgpr_kernarg_segment_ptr 1
		.amdhsa_user_sgpr_dispatch_id 0
		.amdhsa_user_sgpr_flat_scratch_init 0
		.amdhsa_user_sgpr_kernarg_preload_length 0
		.amdhsa_user_sgpr_kernarg_preload_offset 0
		.amdhsa_user_sgpr_private_segment_size 0
		.amdhsa_uses_dynamic_stack 0
		.amdhsa_system_sgpr_private_segment_wavefront_offset 0
		.amdhsa_system_sgpr_workgroup_id_x 1
		.amdhsa_system_sgpr_workgroup_id_y 0
		.amdhsa_system_sgpr_workgroup_id_z 0
		.amdhsa_system_sgpr_workgroup_info 0
		.amdhsa_system_vgpr_workitem_id 0
		.amdhsa_next_free_vgpr 1
		.amdhsa_next_free_sgpr 0
		.amdhsa_accum_offset 4
		.amdhsa_reserve_vcc 0
		.amdhsa_reserve_flat_scratch 0
		.amdhsa_float_round_mode_32 0
		.amdhsa_float_round_mode_16_64 0
		.amdhsa_float_denorm_mode_32 3
		.amdhsa_float_denorm_mode_16_64 3
		.amdhsa_dx10_clamp 1
		.amdhsa_ieee_mode 1
		.amdhsa_fp16_overflow 0
		.amdhsa_tg_split 0
		.amdhsa_exception_fp_ieee_invalid_op 0
		.amdhsa_exception_fp_denorm_src 0
		.amdhsa_exception_fp_ieee_div_zero 0
		.amdhsa_exception_fp_ieee_overflow 0
		.amdhsa_exception_fp_ieee_underflow 0
		.amdhsa_exception_fp_ieee_inexact 0
		.amdhsa_exception_int_div_zero 0
	.end_amdhsa_kernel
	.section	.text._ZN7rocprim17ROCPRIM_400000_NS6detail17trampoline_kernelINS0_13kernel_configILj256ELj4ELj4294967295EEENS1_37radix_sort_block_sort_config_selectorIfNS0_10empty_typeEEEZNS1_21radix_sort_block_sortIS4_Lb1EPfS9_PS6_SA_NS0_19identity_decomposerEEE10hipError_tT1_T2_T3_T4_jRjT5_jjP12ihipStream_tbEUlT_E_NS1_11comp_targetILNS1_3genE2ELNS1_11target_archE906ELNS1_3gpuE6ELNS1_3repE0EEENS1_44radix_sort_block_sort_config_static_selectorELNS0_4arch9wavefront6targetE1EEEvSD_,"axG",@progbits,_ZN7rocprim17ROCPRIM_400000_NS6detail17trampoline_kernelINS0_13kernel_configILj256ELj4ELj4294967295EEENS1_37radix_sort_block_sort_config_selectorIfNS0_10empty_typeEEEZNS1_21radix_sort_block_sortIS4_Lb1EPfS9_PS6_SA_NS0_19identity_decomposerEEE10hipError_tT1_T2_T3_T4_jRjT5_jjP12ihipStream_tbEUlT_E_NS1_11comp_targetILNS1_3genE2ELNS1_11target_archE906ELNS1_3gpuE6ELNS1_3repE0EEENS1_44radix_sort_block_sort_config_static_selectorELNS0_4arch9wavefront6targetE1EEEvSD_,comdat
.Lfunc_end2499:
	.size	_ZN7rocprim17ROCPRIM_400000_NS6detail17trampoline_kernelINS0_13kernel_configILj256ELj4ELj4294967295EEENS1_37radix_sort_block_sort_config_selectorIfNS0_10empty_typeEEEZNS1_21radix_sort_block_sortIS4_Lb1EPfS9_PS6_SA_NS0_19identity_decomposerEEE10hipError_tT1_T2_T3_T4_jRjT5_jjP12ihipStream_tbEUlT_E_NS1_11comp_targetILNS1_3genE2ELNS1_11target_archE906ELNS1_3gpuE6ELNS1_3repE0EEENS1_44radix_sort_block_sort_config_static_selectorELNS0_4arch9wavefront6targetE1EEEvSD_, .Lfunc_end2499-_ZN7rocprim17ROCPRIM_400000_NS6detail17trampoline_kernelINS0_13kernel_configILj256ELj4ELj4294967295EEENS1_37radix_sort_block_sort_config_selectorIfNS0_10empty_typeEEEZNS1_21radix_sort_block_sortIS4_Lb1EPfS9_PS6_SA_NS0_19identity_decomposerEEE10hipError_tT1_T2_T3_T4_jRjT5_jjP12ihipStream_tbEUlT_E_NS1_11comp_targetILNS1_3genE2ELNS1_11target_archE906ELNS1_3gpuE6ELNS1_3repE0EEENS1_44radix_sort_block_sort_config_static_selectorELNS0_4arch9wavefront6targetE1EEEvSD_
                                        ; -- End function
	.section	.AMDGPU.csdata,"",@progbits
; Kernel info:
; codeLenInByte = 0
; NumSgprs: 4
; NumVgprs: 0
; NumAgprs: 0
; TotalNumVgprs: 0
; ScratchSize: 0
; MemoryBound: 0
; FloatMode: 240
; IeeeMode: 1
; LDSByteSize: 0 bytes/workgroup (compile time only)
; SGPRBlocks: 0
; VGPRBlocks: 0
; NumSGPRsForWavesPerEU: 4
; NumVGPRsForWavesPerEU: 1
; AccumOffset: 4
; Occupancy: 8
; WaveLimiterHint : 0
; COMPUTE_PGM_RSRC2:SCRATCH_EN: 0
; COMPUTE_PGM_RSRC2:USER_SGPR: 6
; COMPUTE_PGM_RSRC2:TRAP_HANDLER: 0
; COMPUTE_PGM_RSRC2:TGID_X_EN: 1
; COMPUTE_PGM_RSRC2:TGID_Y_EN: 0
; COMPUTE_PGM_RSRC2:TGID_Z_EN: 0
; COMPUTE_PGM_RSRC2:TIDIG_COMP_CNT: 0
; COMPUTE_PGM_RSRC3_GFX90A:ACCUM_OFFSET: 0
; COMPUTE_PGM_RSRC3_GFX90A:TG_SPLIT: 0
	.section	.text._ZN7rocprim17ROCPRIM_400000_NS6detail17trampoline_kernelINS0_13kernel_configILj256ELj4ELj4294967295EEENS1_37radix_sort_block_sort_config_selectorIfNS0_10empty_typeEEEZNS1_21radix_sort_block_sortIS4_Lb1EPfS9_PS6_SA_NS0_19identity_decomposerEEE10hipError_tT1_T2_T3_T4_jRjT5_jjP12ihipStream_tbEUlT_E_NS1_11comp_targetILNS1_3genE10ELNS1_11target_archE1201ELNS1_3gpuE5ELNS1_3repE0EEENS1_44radix_sort_block_sort_config_static_selectorELNS0_4arch9wavefront6targetE1EEEvSD_,"axG",@progbits,_ZN7rocprim17ROCPRIM_400000_NS6detail17trampoline_kernelINS0_13kernel_configILj256ELj4ELj4294967295EEENS1_37radix_sort_block_sort_config_selectorIfNS0_10empty_typeEEEZNS1_21radix_sort_block_sortIS4_Lb1EPfS9_PS6_SA_NS0_19identity_decomposerEEE10hipError_tT1_T2_T3_T4_jRjT5_jjP12ihipStream_tbEUlT_E_NS1_11comp_targetILNS1_3genE10ELNS1_11target_archE1201ELNS1_3gpuE5ELNS1_3repE0EEENS1_44radix_sort_block_sort_config_static_selectorELNS0_4arch9wavefront6targetE1EEEvSD_,comdat
	.protected	_ZN7rocprim17ROCPRIM_400000_NS6detail17trampoline_kernelINS0_13kernel_configILj256ELj4ELj4294967295EEENS1_37radix_sort_block_sort_config_selectorIfNS0_10empty_typeEEEZNS1_21radix_sort_block_sortIS4_Lb1EPfS9_PS6_SA_NS0_19identity_decomposerEEE10hipError_tT1_T2_T3_T4_jRjT5_jjP12ihipStream_tbEUlT_E_NS1_11comp_targetILNS1_3genE10ELNS1_11target_archE1201ELNS1_3gpuE5ELNS1_3repE0EEENS1_44radix_sort_block_sort_config_static_selectorELNS0_4arch9wavefront6targetE1EEEvSD_ ; -- Begin function _ZN7rocprim17ROCPRIM_400000_NS6detail17trampoline_kernelINS0_13kernel_configILj256ELj4ELj4294967295EEENS1_37radix_sort_block_sort_config_selectorIfNS0_10empty_typeEEEZNS1_21radix_sort_block_sortIS4_Lb1EPfS9_PS6_SA_NS0_19identity_decomposerEEE10hipError_tT1_T2_T3_T4_jRjT5_jjP12ihipStream_tbEUlT_E_NS1_11comp_targetILNS1_3genE10ELNS1_11target_archE1201ELNS1_3gpuE5ELNS1_3repE0EEENS1_44radix_sort_block_sort_config_static_selectorELNS0_4arch9wavefront6targetE1EEEvSD_
	.globl	_ZN7rocprim17ROCPRIM_400000_NS6detail17trampoline_kernelINS0_13kernel_configILj256ELj4ELj4294967295EEENS1_37radix_sort_block_sort_config_selectorIfNS0_10empty_typeEEEZNS1_21radix_sort_block_sortIS4_Lb1EPfS9_PS6_SA_NS0_19identity_decomposerEEE10hipError_tT1_T2_T3_T4_jRjT5_jjP12ihipStream_tbEUlT_E_NS1_11comp_targetILNS1_3genE10ELNS1_11target_archE1201ELNS1_3gpuE5ELNS1_3repE0EEENS1_44radix_sort_block_sort_config_static_selectorELNS0_4arch9wavefront6targetE1EEEvSD_
	.p2align	8
	.type	_ZN7rocprim17ROCPRIM_400000_NS6detail17trampoline_kernelINS0_13kernel_configILj256ELj4ELj4294967295EEENS1_37radix_sort_block_sort_config_selectorIfNS0_10empty_typeEEEZNS1_21radix_sort_block_sortIS4_Lb1EPfS9_PS6_SA_NS0_19identity_decomposerEEE10hipError_tT1_T2_T3_T4_jRjT5_jjP12ihipStream_tbEUlT_E_NS1_11comp_targetILNS1_3genE10ELNS1_11target_archE1201ELNS1_3gpuE5ELNS1_3repE0EEENS1_44radix_sort_block_sort_config_static_selectorELNS0_4arch9wavefront6targetE1EEEvSD_,@function
_ZN7rocprim17ROCPRIM_400000_NS6detail17trampoline_kernelINS0_13kernel_configILj256ELj4ELj4294967295EEENS1_37radix_sort_block_sort_config_selectorIfNS0_10empty_typeEEEZNS1_21radix_sort_block_sortIS4_Lb1EPfS9_PS6_SA_NS0_19identity_decomposerEEE10hipError_tT1_T2_T3_T4_jRjT5_jjP12ihipStream_tbEUlT_E_NS1_11comp_targetILNS1_3genE10ELNS1_11target_archE1201ELNS1_3gpuE5ELNS1_3repE0EEENS1_44radix_sort_block_sort_config_static_selectorELNS0_4arch9wavefront6targetE1EEEvSD_: ; @_ZN7rocprim17ROCPRIM_400000_NS6detail17trampoline_kernelINS0_13kernel_configILj256ELj4ELj4294967295EEENS1_37radix_sort_block_sort_config_selectorIfNS0_10empty_typeEEEZNS1_21radix_sort_block_sortIS4_Lb1EPfS9_PS6_SA_NS0_19identity_decomposerEEE10hipError_tT1_T2_T3_T4_jRjT5_jjP12ihipStream_tbEUlT_E_NS1_11comp_targetILNS1_3genE10ELNS1_11target_archE1201ELNS1_3gpuE5ELNS1_3repE0EEENS1_44radix_sort_block_sort_config_static_selectorELNS0_4arch9wavefront6targetE1EEEvSD_
; %bb.0:
	.section	.rodata,"a",@progbits
	.p2align	6, 0x0
	.amdhsa_kernel _ZN7rocprim17ROCPRIM_400000_NS6detail17trampoline_kernelINS0_13kernel_configILj256ELj4ELj4294967295EEENS1_37radix_sort_block_sort_config_selectorIfNS0_10empty_typeEEEZNS1_21radix_sort_block_sortIS4_Lb1EPfS9_PS6_SA_NS0_19identity_decomposerEEE10hipError_tT1_T2_T3_T4_jRjT5_jjP12ihipStream_tbEUlT_E_NS1_11comp_targetILNS1_3genE10ELNS1_11target_archE1201ELNS1_3gpuE5ELNS1_3repE0EEENS1_44radix_sort_block_sort_config_static_selectorELNS0_4arch9wavefront6targetE1EEEvSD_
		.amdhsa_group_segment_fixed_size 0
		.amdhsa_private_segment_fixed_size 0
		.amdhsa_kernarg_size 48
		.amdhsa_user_sgpr_count 6
		.amdhsa_user_sgpr_private_segment_buffer 1
		.amdhsa_user_sgpr_dispatch_ptr 0
		.amdhsa_user_sgpr_queue_ptr 0
		.amdhsa_user_sgpr_kernarg_segment_ptr 1
		.amdhsa_user_sgpr_dispatch_id 0
		.amdhsa_user_sgpr_flat_scratch_init 0
		.amdhsa_user_sgpr_kernarg_preload_length 0
		.amdhsa_user_sgpr_kernarg_preload_offset 0
		.amdhsa_user_sgpr_private_segment_size 0
		.amdhsa_uses_dynamic_stack 0
		.amdhsa_system_sgpr_private_segment_wavefront_offset 0
		.amdhsa_system_sgpr_workgroup_id_x 1
		.amdhsa_system_sgpr_workgroup_id_y 0
		.amdhsa_system_sgpr_workgroup_id_z 0
		.amdhsa_system_sgpr_workgroup_info 0
		.amdhsa_system_vgpr_workitem_id 0
		.amdhsa_next_free_vgpr 1
		.amdhsa_next_free_sgpr 0
		.amdhsa_accum_offset 4
		.amdhsa_reserve_vcc 0
		.amdhsa_reserve_flat_scratch 0
		.amdhsa_float_round_mode_32 0
		.amdhsa_float_round_mode_16_64 0
		.amdhsa_float_denorm_mode_32 3
		.amdhsa_float_denorm_mode_16_64 3
		.amdhsa_dx10_clamp 1
		.amdhsa_ieee_mode 1
		.amdhsa_fp16_overflow 0
		.amdhsa_tg_split 0
		.amdhsa_exception_fp_ieee_invalid_op 0
		.amdhsa_exception_fp_denorm_src 0
		.amdhsa_exception_fp_ieee_div_zero 0
		.amdhsa_exception_fp_ieee_overflow 0
		.amdhsa_exception_fp_ieee_underflow 0
		.amdhsa_exception_fp_ieee_inexact 0
		.amdhsa_exception_int_div_zero 0
	.end_amdhsa_kernel
	.section	.text._ZN7rocprim17ROCPRIM_400000_NS6detail17trampoline_kernelINS0_13kernel_configILj256ELj4ELj4294967295EEENS1_37radix_sort_block_sort_config_selectorIfNS0_10empty_typeEEEZNS1_21radix_sort_block_sortIS4_Lb1EPfS9_PS6_SA_NS0_19identity_decomposerEEE10hipError_tT1_T2_T3_T4_jRjT5_jjP12ihipStream_tbEUlT_E_NS1_11comp_targetILNS1_3genE10ELNS1_11target_archE1201ELNS1_3gpuE5ELNS1_3repE0EEENS1_44radix_sort_block_sort_config_static_selectorELNS0_4arch9wavefront6targetE1EEEvSD_,"axG",@progbits,_ZN7rocprim17ROCPRIM_400000_NS6detail17trampoline_kernelINS0_13kernel_configILj256ELj4ELj4294967295EEENS1_37radix_sort_block_sort_config_selectorIfNS0_10empty_typeEEEZNS1_21radix_sort_block_sortIS4_Lb1EPfS9_PS6_SA_NS0_19identity_decomposerEEE10hipError_tT1_T2_T3_T4_jRjT5_jjP12ihipStream_tbEUlT_E_NS1_11comp_targetILNS1_3genE10ELNS1_11target_archE1201ELNS1_3gpuE5ELNS1_3repE0EEENS1_44radix_sort_block_sort_config_static_selectorELNS0_4arch9wavefront6targetE1EEEvSD_,comdat
.Lfunc_end2500:
	.size	_ZN7rocprim17ROCPRIM_400000_NS6detail17trampoline_kernelINS0_13kernel_configILj256ELj4ELj4294967295EEENS1_37radix_sort_block_sort_config_selectorIfNS0_10empty_typeEEEZNS1_21radix_sort_block_sortIS4_Lb1EPfS9_PS6_SA_NS0_19identity_decomposerEEE10hipError_tT1_T2_T3_T4_jRjT5_jjP12ihipStream_tbEUlT_E_NS1_11comp_targetILNS1_3genE10ELNS1_11target_archE1201ELNS1_3gpuE5ELNS1_3repE0EEENS1_44radix_sort_block_sort_config_static_selectorELNS0_4arch9wavefront6targetE1EEEvSD_, .Lfunc_end2500-_ZN7rocprim17ROCPRIM_400000_NS6detail17trampoline_kernelINS0_13kernel_configILj256ELj4ELj4294967295EEENS1_37radix_sort_block_sort_config_selectorIfNS0_10empty_typeEEEZNS1_21radix_sort_block_sortIS4_Lb1EPfS9_PS6_SA_NS0_19identity_decomposerEEE10hipError_tT1_T2_T3_T4_jRjT5_jjP12ihipStream_tbEUlT_E_NS1_11comp_targetILNS1_3genE10ELNS1_11target_archE1201ELNS1_3gpuE5ELNS1_3repE0EEENS1_44radix_sort_block_sort_config_static_selectorELNS0_4arch9wavefront6targetE1EEEvSD_
                                        ; -- End function
	.section	.AMDGPU.csdata,"",@progbits
; Kernel info:
; codeLenInByte = 0
; NumSgprs: 4
; NumVgprs: 0
; NumAgprs: 0
; TotalNumVgprs: 0
; ScratchSize: 0
; MemoryBound: 0
; FloatMode: 240
; IeeeMode: 1
; LDSByteSize: 0 bytes/workgroup (compile time only)
; SGPRBlocks: 0
; VGPRBlocks: 0
; NumSGPRsForWavesPerEU: 4
; NumVGPRsForWavesPerEU: 1
; AccumOffset: 4
; Occupancy: 8
; WaveLimiterHint : 0
; COMPUTE_PGM_RSRC2:SCRATCH_EN: 0
; COMPUTE_PGM_RSRC2:USER_SGPR: 6
; COMPUTE_PGM_RSRC2:TRAP_HANDLER: 0
; COMPUTE_PGM_RSRC2:TGID_X_EN: 1
; COMPUTE_PGM_RSRC2:TGID_Y_EN: 0
; COMPUTE_PGM_RSRC2:TGID_Z_EN: 0
; COMPUTE_PGM_RSRC2:TIDIG_COMP_CNT: 0
; COMPUTE_PGM_RSRC3_GFX90A:ACCUM_OFFSET: 0
; COMPUTE_PGM_RSRC3_GFX90A:TG_SPLIT: 0
	.section	.text._ZN7rocprim17ROCPRIM_400000_NS6detail17trampoline_kernelINS0_13kernel_configILj256ELj4ELj4294967295EEENS1_37radix_sort_block_sort_config_selectorIfNS0_10empty_typeEEEZNS1_21radix_sort_block_sortIS4_Lb1EPfS9_PS6_SA_NS0_19identity_decomposerEEE10hipError_tT1_T2_T3_T4_jRjT5_jjP12ihipStream_tbEUlT_E_NS1_11comp_targetILNS1_3genE10ELNS1_11target_archE1200ELNS1_3gpuE4ELNS1_3repE0EEENS1_44radix_sort_block_sort_config_static_selectorELNS0_4arch9wavefront6targetE1EEEvSD_,"axG",@progbits,_ZN7rocprim17ROCPRIM_400000_NS6detail17trampoline_kernelINS0_13kernel_configILj256ELj4ELj4294967295EEENS1_37radix_sort_block_sort_config_selectorIfNS0_10empty_typeEEEZNS1_21radix_sort_block_sortIS4_Lb1EPfS9_PS6_SA_NS0_19identity_decomposerEEE10hipError_tT1_T2_T3_T4_jRjT5_jjP12ihipStream_tbEUlT_E_NS1_11comp_targetILNS1_3genE10ELNS1_11target_archE1200ELNS1_3gpuE4ELNS1_3repE0EEENS1_44radix_sort_block_sort_config_static_selectorELNS0_4arch9wavefront6targetE1EEEvSD_,comdat
	.protected	_ZN7rocprim17ROCPRIM_400000_NS6detail17trampoline_kernelINS0_13kernel_configILj256ELj4ELj4294967295EEENS1_37radix_sort_block_sort_config_selectorIfNS0_10empty_typeEEEZNS1_21radix_sort_block_sortIS4_Lb1EPfS9_PS6_SA_NS0_19identity_decomposerEEE10hipError_tT1_T2_T3_T4_jRjT5_jjP12ihipStream_tbEUlT_E_NS1_11comp_targetILNS1_3genE10ELNS1_11target_archE1200ELNS1_3gpuE4ELNS1_3repE0EEENS1_44radix_sort_block_sort_config_static_selectorELNS0_4arch9wavefront6targetE1EEEvSD_ ; -- Begin function _ZN7rocprim17ROCPRIM_400000_NS6detail17trampoline_kernelINS0_13kernel_configILj256ELj4ELj4294967295EEENS1_37radix_sort_block_sort_config_selectorIfNS0_10empty_typeEEEZNS1_21radix_sort_block_sortIS4_Lb1EPfS9_PS6_SA_NS0_19identity_decomposerEEE10hipError_tT1_T2_T3_T4_jRjT5_jjP12ihipStream_tbEUlT_E_NS1_11comp_targetILNS1_3genE10ELNS1_11target_archE1200ELNS1_3gpuE4ELNS1_3repE0EEENS1_44radix_sort_block_sort_config_static_selectorELNS0_4arch9wavefront6targetE1EEEvSD_
	.globl	_ZN7rocprim17ROCPRIM_400000_NS6detail17trampoline_kernelINS0_13kernel_configILj256ELj4ELj4294967295EEENS1_37radix_sort_block_sort_config_selectorIfNS0_10empty_typeEEEZNS1_21radix_sort_block_sortIS4_Lb1EPfS9_PS6_SA_NS0_19identity_decomposerEEE10hipError_tT1_T2_T3_T4_jRjT5_jjP12ihipStream_tbEUlT_E_NS1_11comp_targetILNS1_3genE10ELNS1_11target_archE1200ELNS1_3gpuE4ELNS1_3repE0EEENS1_44radix_sort_block_sort_config_static_selectorELNS0_4arch9wavefront6targetE1EEEvSD_
	.p2align	8
	.type	_ZN7rocprim17ROCPRIM_400000_NS6detail17trampoline_kernelINS0_13kernel_configILj256ELj4ELj4294967295EEENS1_37radix_sort_block_sort_config_selectorIfNS0_10empty_typeEEEZNS1_21radix_sort_block_sortIS4_Lb1EPfS9_PS6_SA_NS0_19identity_decomposerEEE10hipError_tT1_T2_T3_T4_jRjT5_jjP12ihipStream_tbEUlT_E_NS1_11comp_targetILNS1_3genE10ELNS1_11target_archE1200ELNS1_3gpuE4ELNS1_3repE0EEENS1_44radix_sort_block_sort_config_static_selectorELNS0_4arch9wavefront6targetE1EEEvSD_,@function
_ZN7rocprim17ROCPRIM_400000_NS6detail17trampoline_kernelINS0_13kernel_configILj256ELj4ELj4294967295EEENS1_37radix_sort_block_sort_config_selectorIfNS0_10empty_typeEEEZNS1_21radix_sort_block_sortIS4_Lb1EPfS9_PS6_SA_NS0_19identity_decomposerEEE10hipError_tT1_T2_T3_T4_jRjT5_jjP12ihipStream_tbEUlT_E_NS1_11comp_targetILNS1_3genE10ELNS1_11target_archE1200ELNS1_3gpuE4ELNS1_3repE0EEENS1_44radix_sort_block_sort_config_static_selectorELNS0_4arch9wavefront6targetE1EEEvSD_: ; @_ZN7rocprim17ROCPRIM_400000_NS6detail17trampoline_kernelINS0_13kernel_configILj256ELj4ELj4294967295EEENS1_37radix_sort_block_sort_config_selectorIfNS0_10empty_typeEEEZNS1_21radix_sort_block_sortIS4_Lb1EPfS9_PS6_SA_NS0_19identity_decomposerEEE10hipError_tT1_T2_T3_T4_jRjT5_jjP12ihipStream_tbEUlT_E_NS1_11comp_targetILNS1_3genE10ELNS1_11target_archE1200ELNS1_3gpuE4ELNS1_3repE0EEENS1_44radix_sort_block_sort_config_static_selectorELNS0_4arch9wavefront6targetE1EEEvSD_
; %bb.0:
	.section	.rodata,"a",@progbits
	.p2align	6, 0x0
	.amdhsa_kernel _ZN7rocprim17ROCPRIM_400000_NS6detail17trampoline_kernelINS0_13kernel_configILj256ELj4ELj4294967295EEENS1_37radix_sort_block_sort_config_selectorIfNS0_10empty_typeEEEZNS1_21radix_sort_block_sortIS4_Lb1EPfS9_PS6_SA_NS0_19identity_decomposerEEE10hipError_tT1_T2_T3_T4_jRjT5_jjP12ihipStream_tbEUlT_E_NS1_11comp_targetILNS1_3genE10ELNS1_11target_archE1200ELNS1_3gpuE4ELNS1_3repE0EEENS1_44radix_sort_block_sort_config_static_selectorELNS0_4arch9wavefront6targetE1EEEvSD_
		.amdhsa_group_segment_fixed_size 0
		.amdhsa_private_segment_fixed_size 0
		.amdhsa_kernarg_size 48
		.amdhsa_user_sgpr_count 6
		.amdhsa_user_sgpr_private_segment_buffer 1
		.amdhsa_user_sgpr_dispatch_ptr 0
		.amdhsa_user_sgpr_queue_ptr 0
		.amdhsa_user_sgpr_kernarg_segment_ptr 1
		.amdhsa_user_sgpr_dispatch_id 0
		.amdhsa_user_sgpr_flat_scratch_init 0
		.amdhsa_user_sgpr_kernarg_preload_length 0
		.amdhsa_user_sgpr_kernarg_preload_offset 0
		.amdhsa_user_sgpr_private_segment_size 0
		.amdhsa_uses_dynamic_stack 0
		.amdhsa_system_sgpr_private_segment_wavefront_offset 0
		.amdhsa_system_sgpr_workgroup_id_x 1
		.amdhsa_system_sgpr_workgroup_id_y 0
		.amdhsa_system_sgpr_workgroup_id_z 0
		.amdhsa_system_sgpr_workgroup_info 0
		.amdhsa_system_vgpr_workitem_id 0
		.amdhsa_next_free_vgpr 1
		.amdhsa_next_free_sgpr 0
		.amdhsa_accum_offset 4
		.amdhsa_reserve_vcc 0
		.amdhsa_reserve_flat_scratch 0
		.amdhsa_float_round_mode_32 0
		.amdhsa_float_round_mode_16_64 0
		.amdhsa_float_denorm_mode_32 3
		.amdhsa_float_denorm_mode_16_64 3
		.amdhsa_dx10_clamp 1
		.amdhsa_ieee_mode 1
		.amdhsa_fp16_overflow 0
		.amdhsa_tg_split 0
		.amdhsa_exception_fp_ieee_invalid_op 0
		.amdhsa_exception_fp_denorm_src 0
		.amdhsa_exception_fp_ieee_div_zero 0
		.amdhsa_exception_fp_ieee_overflow 0
		.amdhsa_exception_fp_ieee_underflow 0
		.amdhsa_exception_fp_ieee_inexact 0
		.amdhsa_exception_int_div_zero 0
	.end_amdhsa_kernel
	.section	.text._ZN7rocprim17ROCPRIM_400000_NS6detail17trampoline_kernelINS0_13kernel_configILj256ELj4ELj4294967295EEENS1_37radix_sort_block_sort_config_selectorIfNS0_10empty_typeEEEZNS1_21radix_sort_block_sortIS4_Lb1EPfS9_PS6_SA_NS0_19identity_decomposerEEE10hipError_tT1_T2_T3_T4_jRjT5_jjP12ihipStream_tbEUlT_E_NS1_11comp_targetILNS1_3genE10ELNS1_11target_archE1200ELNS1_3gpuE4ELNS1_3repE0EEENS1_44radix_sort_block_sort_config_static_selectorELNS0_4arch9wavefront6targetE1EEEvSD_,"axG",@progbits,_ZN7rocprim17ROCPRIM_400000_NS6detail17trampoline_kernelINS0_13kernel_configILj256ELj4ELj4294967295EEENS1_37radix_sort_block_sort_config_selectorIfNS0_10empty_typeEEEZNS1_21radix_sort_block_sortIS4_Lb1EPfS9_PS6_SA_NS0_19identity_decomposerEEE10hipError_tT1_T2_T3_T4_jRjT5_jjP12ihipStream_tbEUlT_E_NS1_11comp_targetILNS1_3genE10ELNS1_11target_archE1200ELNS1_3gpuE4ELNS1_3repE0EEENS1_44radix_sort_block_sort_config_static_selectorELNS0_4arch9wavefront6targetE1EEEvSD_,comdat
.Lfunc_end2501:
	.size	_ZN7rocprim17ROCPRIM_400000_NS6detail17trampoline_kernelINS0_13kernel_configILj256ELj4ELj4294967295EEENS1_37radix_sort_block_sort_config_selectorIfNS0_10empty_typeEEEZNS1_21radix_sort_block_sortIS4_Lb1EPfS9_PS6_SA_NS0_19identity_decomposerEEE10hipError_tT1_T2_T3_T4_jRjT5_jjP12ihipStream_tbEUlT_E_NS1_11comp_targetILNS1_3genE10ELNS1_11target_archE1200ELNS1_3gpuE4ELNS1_3repE0EEENS1_44radix_sort_block_sort_config_static_selectorELNS0_4arch9wavefront6targetE1EEEvSD_, .Lfunc_end2501-_ZN7rocprim17ROCPRIM_400000_NS6detail17trampoline_kernelINS0_13kernel_configILj256ELj4ELj4294967295EEENS1_37radix_sort_block_sort_config_selectorIfNS0_10empty_typeEEEZNS1_21radix_sort_block_sortIS4_Lb1EPfS9_PS6_SA_NS0_19identity_decomposerEEE10hipError_tT1_T2_T3_T4_jRjT5_jjP12ihipStream_tbEUlT_E_NS1_11comp_targetILNS1_3genE10ELNS1_11target_archE1200ELNS1_3gpuE4ELNS1_3repE0EEENS1_44radix_sort_block_sort_config_static_selectorELNS0_4arch9wavefront6targetE1EEEvSD_
                                        ; -- End function
	.section	.AMDGPU.csdata,"",@progbits
; Kernel info:
; codeLenInByte = 0
; NumSgprs: 4
; NumVgprs: 0
; NumAgprs: 0
; TotalNumVgprs: 0
; ScratchSize: 0
; MemoryBound: 0
; FloatMode: 240
; IeeeMode: 1
; LDSByteSize: 0 bytes/workgroup (compile time only)
; SGPRBlocks: 0
; VGPRBlocks: 0
; NumSGPRsForWavesPerEU: 4
; NumVGPRsForWavesPerEU: 1
; AccumOffset: 4
; Occupancy: 8
; WaveLimiterHint : 0
; COMPUTE_PGM_RSRC2:SCRATCH_EN: 0
; COMPUTE_PGM_RSRC2:USER_SGPR: 6
; COMPUTE_PGM_RSRC2:TRAP_HANDLER: 0
; COMPUTE_PGM_RSRC2:TGID_X_EN: 1
; COMPUTE_PGM_RSRC2:TGID_Y_EN: 0
; COMPUTE_PGM_RSRC2:TGID_Z_EN: 0
; COMPUTE_PGM_RSRC2:TIDIG_COMP_CNT: 0
; COMPUTE_PGM_RSRC3_GFX90A:ACCUM_OFFSET: 0
; COMPUTE_PGM_RSRC3_GFX90A:TG_SPLIT: 0
	.section	.text._ZN7rocprim17ROCPRIM_400000_NS6detail17trampoline_kernelINS0_13kernel_configILj256ELj4ELj4294967295EEENS1_37radix_sort_block_sort_config_selectorIfNS0_10empty_typeEEEZNS1_21radix_sort_block_sortIS4_Lb1EPfS9_PS6_SA_NS0_19identity_decomposerEEE10hipError_tT1_T2_T3_T4_jRjT5_jjP12ihipStream_tbEUlT_E_NS1_11comp_targetILNS1_3genE9ELNS1_11target_archE1100ELNS1_3gpuE3ELNS1_3repE0EEENS1_44radix_sort_block_sort_config_static_selectorELNS0_4arch9wavefront6targetE1EEEvSD_,"axG",@progbits,_ZN7rocprim17ROCPRIM_400000_NS6detail17trampoline_kernelINS0_13kernel_configILj256ELj4ELj4294967295EEENS1_37radix_sort_block_sort_config_selectorIfNS0_10empty_typeEEEZNS1_21radix_sort_block_sortIS4_Lb1EPfS9_PS6_SA_NS0_19identity_decomposerEEE10hipError_tT1_T2_T3_T4_jRjT5_jjP12ihipStream_tbEUlT_E_NS1_11comp_targetILNS1_3genE9ELNS1_11target_archE1100ELNS1_3gpuE3ELNS1_3repE0EEENS1_44radix_sort_block_sort_config_static_selectorELNS0_4arch9wavefront6targetE1EEEvSD_,comdat
	.protected	_ZN7rocprim17ROCPRIM_400000_NS6detail17trampoline_kernelINS0_13kernel_configILj256ELj4ELj4294967295EEENS1_37radix_sort_block_sort_config_selectorIfNS0_10empty_typeEEEZNS1_21radix_sort_block_sortIS4_Lb1EPfS9_PS6_SA_NS0_19identity_decomposerEEE10hipError_tT1_T2_T3_T4_jRjT5_jjP12ihipStream_tbEUlT_E_NS1_11comp_targetILNS1_3genE9ELNS1_11target_archE1100ELNS1_3gpuE3ELNS1_3repE0EEENS1_44radix_sort_block_sort_config_static_selectorELNS0_4arch9wavefront6targetE1EEEvSD_ ; -- Begin function _ZN7rocprim17ROCPRIM_400000_NS6detail17trampoline_kernelINS0_13kernel_configILj256ELj4ELj4294967295EEENS1_37radix_sort_block_sort_config_selectorIfNS0_10empty_typeEEEZNS1_21radix_sort_block_sortIS4_Lb1EPfS9_PS6_SA_NS0_19identity_decomposerEEE10hipError_tT1_T2_T3_T4_jRjT5_jjP12ihipStream_tbEUlT_E_NS1_11comp_targetILNS1_3genE9ELNS1_11target_archE1100ELNS1_3gpuE3ELNS1_3repE0EEENS1_44radix_sort_block_sort_config_static_selectorELNS0_4arch9wavefront6targetE1EEEvSD_
	.globl	_ZN7rocprim17ROCPRIM_400000_NS6detail17trampoline_kernelINS0_13kernel_configILj256ELj4ELj4294967295EEENS1_37radix_sort_block_sort_config_selectorIfNS0_10empty_typeEEEZNS1_21radix_sort_block_sortIS4_Lb1EPfS9_PS6_SA_NS0_19identity_decomposerEEE10hipError_tT1_T2_T3_T4_jRjT5_jjP12ihipStream_tbEUlT_E_NS1_11comp_targetILNS1_3genE9ELNS1_11target_archE1100ELNS1_3gpuE3ELNS1_3repE0EEENS1_44radix_sort_block_sort_config_static_selectorELNS0_4arch9wavefront6targetE1EEEvSD_
	.p2align	8
	.type	_ZN7rocprim17ROCPRIM_400000_NS6detail17trampoline_kernelINS0_13kernel_configILj256ELj4ELj4294967295EEENS1_37radix_sort_block_sort_config_selectorIfNS0_10empty_typeEEEZNS1_21radix_sort_block_sortIS4_Lb1EPfS9_PS6_SA_NS0_19identity_decomposerEEE10hipError_tT1_T2_T3_T4_jRjT5_jjP12ihipStream_tbEUlT_E_NS1_11comp_targetILNS1_3genE9ELNS1_11target_archE1100ELNS1_3gpuE3ELNS1_3repE0EEENS1_44radix_sort_block_sort_config_static_selectorELNS0_4arch9wavefront6targetE1EEEvSD_,@function
_ZN7rocprim17ROCPRIM_400000_NS6detail17trampoline_kernelINS0_13kernel_configILj256ELj4ELj4294967295EEENS1_37radix_sort_block_sort_config_selectorIfNS0_10empty_typeEEEZNS1_21radix_sort_block_sortIS4_Lb1EPfS9_PS6_SA_NS0_19identity_decomposerEEE10hipError_tT1_T2_T3_T4_jRjT5_jjP12ihipStream_tbEUlT_E_NS1_11comp_targetILNS1_3genE9ELNS1_11target_archE1100ELNS1_3gpuE3ELNS1_3repE0EEENS1_44radix_sort_block_sort_config_static_selectorELNS0_4arch9wavefront6targetE1EEEvSD_: ; @_ZN7rocprim17ROCPRIM_400000_NS6detail17trampoline_kernelINS0_13kernel_configILj256ELj4ELj4294967295EEENS1_37radix_sort_block_sort_config_selectorIfNS0_10empty_typeEEEZNS1_21radix_sort_block_sortIS4_Lb1EPfS9_PS6_SA_NS0_19identity_decomposerEEE10hipError_tT1_T2_T3_T4_jRjT5_jjP12ihipStream_tbEUlT_E_NS1_11comp_targetILNS1_3genE9ELNS1_11target_archE1100ELNS1_3gpuE3ELNS1_3repE0EEENS1_44radix_sort_block_sort_config_static_selectorELNS0_4arch9wavefront6targetE1EEEvSD_
; %bb.0:
	.section	.rodata,"a",@progbits
	.p2align	6, 0x0
	.amdhsa_kernel _ZN7rocprim17ROCPRIM_400000_NS6detail17trampoline_kernelINS0_13kernel_configILj256ELj4ELj4294967295EEENS1_37radix_sort_block_sort_config_selectorIfNS0_10empty_typeEEEZNS1_21radix_sort_block_sortIS4_Lb1EPfS9_PS6_SA_NS0_19identity_decomposerEEE10hipError_tT1_T2_T3_T4_jRjT5_jjP12ihipStream_tbEUlT_E_NS1_11comp_targetILNS1_3genE9ELNS1_11target_archE1100ELNS1_3gpuE3ELNS1_3repE0EEENS1_44radix_sort_block_sort_config_static_selectorELNS0_4arch9wavefront6targetE1EEEvSD_
		.amdhsa_group_segment_fixed_size 0
		.amdhsa_private_segment_fixed_size 0
		.amdhsa_kernarg_size 48
		.amdhsa_user_sgpr_count 6
		.amdhsa_user_sgpr_private_segment_buffer 1
		.amdhsa_user_sgpr_dispatch_ptr 0
		.amdhsa_user_sgpr_queue_ptr 0
		.amdhsa_user_sgpr_kernarg_segment_ptr 1
		.amdhsa_user_sgpr_dispatch_id 0
		.amdhsa_user_sgpr_flat_scratch_init 0
		.amdhsa_user_sgpr_kernarg_preload_length 0
		.amdhsa_user_sgpr_kernarg_preload_offset 0
		.amdhsa_user_sgpr_private_segment_size 0
		.amdhsa_uses_dynamic_stack 0
		.amdhsa_system_sgpr_private_segment_wavefront_offset 0
		.amdhsa_system_sgpr_workgroup_id_x 1
		.amdhsa_system_sgpr_workgroup_id_y 0
		.amdhsa_system_sgpr_workgroup_id_z 0
		.amdhsa_system_sgpr_workgroup_info 0
		.amdhsa_system_vgpr_workitem_id 0
		.amdhsa_next_free_vgpr 1
		.amdhsa_next_free_sgpr 0
		.amdhsa_accum_offset 4
		.amdhsa_reserve_vcc 0
		.amdhsa_reserve_flat_scratch 0
		.amdhsa_float_round_mode_32 0
		.amdhsa_float_round_mode_16_64 0
		.amdhsa_float_denorm_mode_32 3
		.amdhsa_float_denorm_mode_16_64 3
		.amdhsa_dx10_clamp 1
		.amdhsa_ieee_mode 1
		.amdhsa_fp16_overflow 0
		.amdhsa_tg_split 0
		.amdhsa_exception_fp_ieee_invalid_op 0
		.amdhsa_exception_fp_denorm_src 0
		.amdhsa_exception_fp_ieee_div_zero 0
		.amdhsa_exception_fp_ieee_overflow 0
		.amdhsa_exception_fp_ieee_underflow 0
		.amdhsa_exception_fp_ieee_inexact 0
		.amdhsa_exception_int_div_zero 0
	.end_amdhsa_kernel
	.section	.text._ZN7rocprim17ROCPRIM_400000_NS6detail17trampoline_kernelINS0_13kernel_configILj256ELj4ELj4294967295EEENS1_37radix_sort_block_sort_config_selectorIfNS0_10empty_typeEEEZNS1_21radix_sort_block_sortIS4_Lb1EPfS9_PS6_SA_NS0_19identity_decomposerEEE10hipError_tT1_T2_T3_T4_jRjT5_jjP12ihipStream_tbEUlT_E_NS1_11comp_targetILNS1_3genE9ELNS1_11target_archE1100ELNS1_3gpuE3ELNS1_3repE0EEENS1_44radix_sort_block_sort_config_static_selectorELNS0_4arch9wavefront6targetE1EEEvSD_,"axG",@progbits,_ZN7rocprim17ROCPRIM_400000_NS6detail17trampoline_kernelINS0_13kernel_configILj256ELj4ELj4294967295EEENS1_37radix_sort_block_sort_config_selectorIfNS0_10empty_typeEEEZNS1_21radix_sort_block_sortIS4_Lb1EPfS9_PS6_SA_NS0_19identity_decomposerEEE10hipError_tT1_T2_T3_T4_jRjT5_jjP12ihipStream_tbEUlT_E_NS1_11comp_targetILNS1_3genE9ELNS1_11target_archE1100ELNS1_3gpuE3ELNS1_3repE0EEENS1_44radix_sort_block_sort_config_static_selectorELNS0_4arch9wavefront6targetE1EEEvSD_,comdat
.Lfunc_end2502:
	.size	_ZN7rocprim17ROCPRIM_400000_NS6detail17trampoline_kernelINS0_13kernel_configILj256ELj4ELj4294967295EEENS1_37radix_sort_block_sort_config_selectorIfNS0_10empty_typeEEEZNS1_21radix_sort_block_sortIS4_Lb1EPfS9_PS6_SA_NS0_19identity_decomposerEEE10hipError_tT1_T2_T3_T4_jRjT5_jjP12ihipStream_tbEUlT_E_NS1_11comp_targetILNS1_3genE9ELNS1_11target_archE1100ELNS1_3gpuE3ELNS1_3repE0EEENS1_44radix_sort_block_sort_config_static_selectorELNS0_4arch9wavefront6targetE1EEEvSD_, .Lfunc_end2502-_ZN7rocprim17ROCPRIM_400000_NS6detail17trampoline_kernelINS0_13kernel_configILj256ELj4ELj4294967295EEENS1_37radix_sort_block_sort_config_selectorIfNS0_10empty_typeEEEZNS1_21radix_sort_block_sortIS4_Lb1EPfS9_PS6_SA_NS0_19identity_decomposerEEE10hipError_tT1_T2_T3_T4_jRjT5_jjP12ihipStream_tbEUlT_E_NS1_11comp_targetILNS1_3genE9ELNS1_11target_archE1100ELNS1_3gpuE3ELNS1_3repE0EEENS1_44radix_sort_block_sort_config_static_selectorELNS0_4arch9wavefront6targetE1EEEvSD_
                                        ; -- End function
	.section	.AMDGPU.csdata,"",@progbits
; Kernel info:
; codeLenInByte = 0
; NumSgprs: 4
; NumVgprs: 0
; NumAgprs: 0
; TotalNumVgprs: 0
; ScratchSize: 0
; MemoryBound: 0
; FloatMode: 240
; IeeeMode: 1
; LDSByteSize: 0 bytes/workgroup (compile time only)
; SGPRBlocks: 0
; VGPRBlocks: 0
; NumSGPRsForWavesPerEU: 4
; NumVGPRsForWavesPerEU: 1
; AccumOffset: 4
; Occupancy: 8
; WaveLimiterHint : 0
; COMPUTE_PGM_RSRC2:SCRATCH_EN: 0
; COMPUTE_PGM_RSRC2:USER_SGPR: 6
; COMPUTE_PGM_RSRC2:TRAP_HANDLER: 0
; COMPUTE_PGM_RSRC2:TGID_X_EN: 1
; COMPUTE_PGM_RSRC2:TGID_Y_EN: 0
; COMPUTE_PGM_RSRC2:TGID_Z_EN: 0
; COMPUTE_PGM_RSRC2:TIDIG_COMP_CNT: 0
; COMPUTE_PGM_RSRC3_GFX90A:ACCUM_OFFSET: 0
; COMPUTE_PGM_RSRC3_GFX90A:TG_SPLIT: 0
	.section	.text._ZN7rocprim17ROCPRIM_400000_NS6detail17trampoline_kernelINS0_13kernel_configILj256ELj4ELj4294967295EEENS1_37radix_sort_block_sort_config_selectorIfNS0_10empty_typeEEEZNS1_21radix_sort_block_sortIS4_Lb1EPfS9_PS6_SA_NS0_19identity_decomposerEEE10hipError_tT1_T2_T3_T4_jRjT5_jjP12ihipStream_tbEUlT_E_NS1_11comp_targetILNS1_3genE8ELNS1_11target_archE1030ELNS1_3gpuE2ELNS1_3repE0EEENS1_44radix_sort_block_sort_config_static_selectorELNS0_4arch9wavefront6targetE1EEEvSD_,"axG",@progbits,_ZN7rocprim17ROCPRIM_400000_NS6detail17trampoline_kernelINS0_13kernel_configILj256ELj4ELj4294967295EEENS1_37radix_sort_block_sort_config_selectorIfNS0_10empty_typeEEEZNS1_21radix_sort_block_sortIS4_Lb1EPfS9_PS6_SA_NS0_19identity_decomposerEEE10hipError_tT1_T2_T3_T4_jRjT5_jjP12ihipStream_tbEUlT_E_NS1_11comp_targetILNS1_3genE8ELNS1_11target_archE1030ELNS1_3gpuE2ELNS1_3repE0EEENS1_44radix_sort_block_sort_config_static_selectorELNS0_4arch9wavefront6targetE1EEEvSD_,comdat
	.protected	_ZN7rocprim17ROCPRIM_400000_NS6detail17trampoline_kernelINS0_13kernel_configILj256ELj4ELj4294967295EEENS1_37radix_sort_block_sort_config_selectorIfNS0_10empty_typeEEEZNS1_21radix_sort_block_sortIS4_Lb1EPfS9_PS6_SA_NS0_19identity_decomposerEEE10hipError_tT1_T2_T3_T4_jRjT5_jjP12ihipStream_tbEUlT_E_NS1_11comp_targetILNS1_3genE8ELNS1_11target_archE1030ELNS1_3gpuE2ELNS1_3repE0EEENS1_44radix_sort_block_sort_config_static_selectorELNS0_4arch9wavefront6targetE1EEEvSD_ ; -- Begin function _ZN7rocprim17ROCPRIM_400000_NS6detail17trampoline_kernelINS0_13kernel_configILj256ELj4ELj4294967295EEENS1_37radix_sort_block_sort_config_selectorIfNS0_10empty_typeEEEZNS1_21radix_sort_block_sortIS4_Lb1EPfS9_PS6_SA_NS0_19identity_decomposerEEE10hipError_tT1_T2_T3_T4_jRjT5_jjP12ihipStream_tbEUlT_E_NS1_11comp_targetILNS1_3genE8ELNS1_11target_archE1030ELNS1_3gpuE2ELNS1_3repE0EEENS1_44radix_sort_block_sort_config_static_selectorELNS0_4arch9wavefront6targetE1EEEvSD_
	.globl	_ZN7rocprim17ROCPRIM_400000_NS6detail17trampoline_kernelINS0_13kernel_configILj256ELj4ELj4294967295EEENS1_37radix_sort_block_sort_config_selectorIfNS0_10empty_typeEEEZNS1_21radix_sort_block_sortIS4_Lb1EPfS9_PS6_SA_NS0_19identity_decomposerEEE10hipError_tT1_T2_T3_T4_jRjT5_jjP12ihipStream_tbEUlT_E_NS1_11comp_targetILNS1_3genE8ELNS1_11target_archE1030ELNS1_3gpuE2ELNS1_3repE0EEENS1_44radix_sort_block_sort_config_static_selectorELNS0_4arch9wavefront6targetE1EEEvSD_
	.p2align	8
	.type	_ZN7rocprim17ROCPRIM_400000_NS6detail17trampoline_kernelINS0_13kernel_configILj256ELj4ELj4294967295EEENS1_37radix_sort_block_sort_config_selectorIfNS0_10empty_typeEEEZNS1_21radix_sort_block_sortIS4_Lb1EPfS9_PS6_SA_NS0_19identity_decomposerEEE10hipError_tT1_T2_T3_T4_jRjT5_jjP12ihipStream_tbEUlT_E_NS1_11comp_targetILNS1_3genE8ELNS1_11target_archE1030ELNS1_3gpuE2ELNS1_3repE0EEENS1_44radix_sort_block_sort_config_static_selectorELNS0_4arch9wavefront6targetE1EEEvSD_,@function
_ZN7rocprim17ROCPRIM_400000_NS6detail17trampoline_kernelINS0_13kernel_configILj256ELj4ELj4294967295EEENS1_37radix_sort_block_sort_config_selectorIfNS0_10empty_typeEEEZNS1_21radix_sort_block_sortIS4_Lb1EPfS9_PS6_SA_NS0_19identity_decomposerEEE10hipError_tT1_T2_T3_T4_jRjT5_jjP12ihipStream_tbEUlT_E_NS1_11comp_targetILNS1_3genE8ELNS1_11target_archE1030ELNS1_3gpuE2ELNS1_3repE0EEENS1_44radix_sort_block_sort_config_static_selectorELNS0_4arch9wavefront6targetE1EEEvSD_: ; @_ZN7rocprim17ROCPRIM_400000_NS6detail17trampoline_kernelINS0_13kernel_configILj256ELj4ELj4294967295EEENS1_37radix_sort_block_sort_config_selectorIfNS0_10empty_typeEEEZNS1_21radix_sort_block_sortIS4_Lb1EPfS9_PS6_SA_NS0_19identity_decomposerEEE10hipError_tT1_T2_T3_T4_jRjT5_jjP12ihipStream_tbEUlT_E_NS1_11comp_targetILNS1_3genE8ELNS1_11target_archE1030ELNS1_3gpuE2ELNS1_3repE0EEENS1_44radix_sort_block_sort_config_static_selectorELNS0_4arch9wavefront6targetE1EEEvSD_
; %bb.0:
	.section	.rodata,"a",@progbits
	.p2align	6, 0x0
	.amdhsa_kernel _ZN7rocprim17ROCPRIM_400000_NS6detail17trampoline_kernelINS0_13kernel_configILj256ELj4ELj4294967295EEENS1_37radix_sort_block_sort_config_selectorIfNS0_10empty_typeEEEZNS1_21radix_sort_block_sortIS4_Lb1EPfS9_PS6_SA_NS0_19identity_decomposerEEE10hipError_tT1_T2_T3_T4_jRjT5_jjP12ihipStream_tbEUlT_E_NS1_11comp_targetILNS1_3genE8ELNS1_11target_archE1030ELNS1_3gpuE2ELNS1_3repE0EEENS1_44radix_sort_block_sort_config_static_selectorELNS0_4arch9wavefront6targetE1EEEvSD_
		.amdhsa_group_segment_fixed_size 0
		.amdhsa_private_segment_fixed_size 0
		.amdhsa_kernarg_size 48
		.amdhsa_user_sgpr_count 6
		.amdhsa_user_sgpr_private_segment_buffer 1
		.amdhsa_user_sgpr_dispatch_ptr 0
		.amdhsa_user_sgpr_queue_ptr 0
		.amdhsa_user_sgpr_kernarg_segment_ptr 1
		.amdhsa_user_sgpr_dispatch_id 0
		.amdhsa_user_sgpr_flat_scratch_init 0
		.amdhsa_user_sgpr_kernarg_preload_length 0
		.amdhsa_user_sgpr_kernarg_preload_offset 0
		.amdhsa_user_sgpr_private_segment_size 0
		.amdhsa_uses_dynamic_stack 0
		.amdhsa_system_sgpr_private_segment_wavefront_offset 0
		.amdhsa_system_sgpr_workgroup_id_x 1
		.amdhsa_system_sgpr_workgroup_id_y 0
		.amdhsa_system_sgpr_workgroup_id_z 0
		.amdhsa_system_sgpr_workgroup_info 0
		.amdhsa_system_vgpr_workitem_id 0
		.amdhsa_next_free_vgpr 1
		.amdhsa_next_free_sgpr 0
		.amdhsa_accum_offset 4
		.amdhsa_reserve_vcc 0
		.amdhsa_reserve_flat_scratch 0
		.amdhsa_float_round_mode_32 0
		.amdhsa_float_round_mode_16_64 0
		.amdhsa_float_denorm_mode_32 3
		.amdhsa_float_denorm_mode_16_64 3
		.amdhsa_dx10_clamp 1
		.amdhsa_ieee_mode 1
		.amdhsa_fp16_overflow 0
		.amdhsa_tg_split 0
		.amdhsa_exception_fp_ieee_invalid_op 0
		.amdhsa_exception_fp_denorm_src 0
		.amdhsa_exception_fp_ieee_div_zero 0
		.amdhsa_exception_fp_ieee_overflow 0
		.amdhsa_exception_fp_ieee_underflow 0
		.amdhsa_exception_fp_ieee_inexact 0
		.amdhsa_exception_int_div_zero 0
	.end_amdhsa_kernel
	.section	.text._ZN7rocprim17ROCPRIM_400000_NS6detail17trampoline_kernelINS0_13kernel_configILj256ELj4ELj4294967295EEENS1_37radix_sort_block_sort_config_selectorIfNS0_10empty_typeEEEZNS1_21radix_sort_block_sortIS4_Lb1EPfS9_PS6_SA_NS0_19identity_decomposerEEE10hipError_tT1_T2_T3_T4_jRjT5_jjP12ihipStream_tbEUlT_E_NS1_11comp_targetILNS1_3genE8ELNS1_11target_archE1030ELNS1_3gpuE2ELNS1_3repE0EEENS1_44radix_sort_block_sort_config_static_selectorELNS0_4arch9wavefront6targetE1EEEvSD_,"axG",@progbits,_ZN7rocprim17ROCPRIM_400000_NS6detail17trampoline_kernelINS0_13kernel_configILj256ELj4ELj4294967295EEENS1_37radix_sort_block_sort_config_selectorIfNS0_10empty_typeEEEZNS1_21radix_sort_block_sortIS4_Lb1EPfS9_PS6_SA_NS0_19identity_decomposerEEE10hipError_tT1_T2_T3_T4_jRjT5_jjP12ihipStream_tbEUlT_E_NS1_11comp_targetILNS1_3genE8ELNS1_11target_archE1030ELNS1_3gpuE2ELNS1_3repE0EEENS1_44radix_sort_block_sort_config_static_selectorELNS0_4arch9wavefront6targetE1EEEvSD_,comdat
.Lfunc_end2503:
	.size	_ZN7rocprim17ROCPRIM_400000_NS6detail17trampoline_kernelINS0_13kernel_configILj256ELj4ELj4294967295EEENS1_37radix_sort_block_sort_config_selectorIfNS0_10empty_typeEEEZNS1_21radix_sort_block_sortIS4_Lb1EPfS9_PS6_SA_NS0_19identity_decomposerEEE10hipError_tT1_T2_T3_T4_jRjT5_jjP12ihipStream_tbEUlT_E_NS1_11comp_targetILNS1_3genE8ELNS1_11target_archE1030ELNS1_3gpuE2ELNS1_3repE0EEENS1_44radix_sort_block_sort_config_static_selectorELNS0_4arch9wavefront6targetE1EEEvSD_, .Lfunc_end2503-_ZN7rocprim17ROCPRIM_400000_NS6detail17trampoline_kernelINS0_13kernel_configILj256ELj4ELj4294967295EEENS1_37radix_sort_block_sort_config_selectorIfNS0_10empty_typeEEEZNS1_21radix_sort_block_sortIS4_Lb1EPfS9_PS6_SA_NS0_19identity_decomposerEEE10hipError_tT1_T2_T3_T4_jRjT5_jjP12ihipStream_tbEUlT_E_NS1_11comp_targetILNS1_3genE8ELNS1_11target_archE1030ELNS1_3gpuE2ELNS1_3repE0EEENS1_44radix_sort_block_sort_config_static_selectorELNS0_4arch9wavefront6targetE1EEEvSD_
                                        ; -- End function
	.section	.AMDGPU.csdata,"",@progbits
; Kernel info:
; codeLenInByte = 0
; NumSgprs: 4
; NumVgprs: 0
; NumAgprs: 0
; TotalNumVgprs: 0
; ScratchSize: 0
; MemoryBound: 0
; FloatMode: 240
; IeeeMode: 1
; LDSByteSize: 0 bytes/workgroup (compile time only)
; SGPRBlocks: 0
; VGPRBlocks: 0
; NumSGPRsForWavesPerEU: 4
; NumVGPRsForWavesPerEU: 1
; AccumOffset: 4
; Occupancy: 8
; WaveLimiterHint : 0
; COMPUTE_PGM_RSRC2:SCRATCH_EN: 0
; COMPUTE_PGM_RSRC2:USER_SGPR: 6
; COMPUTE_PGM_RSRC2:TRAP_HANDLER: 0
; COMPUTE_PGM_RSRC2:TGID_X_EN: 1
; COMPUTE_PGM_RSRC2:TGID_Y_EN: 0
; COMPUTE_PGM_RSRC2:TGID_Z_EN: 0
; COMPUTE_PGM_RSRC2:TIDIG_COMP_CNT: 0
; COMPUTE_PGM_RSRC3_GFX90A:ACCUM_OFFSET: 0
; COMPUTE_PGM_RSRC3_GFX90A:TG_SPLIT: 0
	.section	.text._ZN7rocprim17ROCPRIM_400000_NS6detail17trampoline_kernelINS0_14default_configENS1_38merge_sort_block_merge_config_selectorIfNS0_10empty_typeEEEZZNS1_27merge_sort_block_merge_implIS3_PfPS5_jNS1_19radix_merge_compareILb1ELb0EfNS0_19identity_decomposerEEEEE10hipError_tT0_T1_T2_jT3_P12ihipStream_tbPNSt15iterator_traitsISE_E10value_typeEPNSK_ISF_E10value_typeEPSG_NS1_7vsmem_tEENKUlT_SE_SF_SG_E_clIS8_S8_S9_S9_EESD_ST_SE_SF_SG_EUlST_E_NS1_11comp_targetILNS1_3genE0ELNS1_11target_archE4294967295ELNS1_3gpuE0ELNS1_3repE0EEENS1_48merge_mergepath_partition_config_static_selectorELNS0_4arch9wavefront6targetE1EEEvSF_,"axG",@progbits,_ZN7rocprim17ROCPRIM_400000_NS6detail17trampoline_kernelINS0_14default_configENS1_38merge_sort_block_merge_config_selectorIfNS0_10empty_typeEEEZZNS1_27merge_sort_block_merge_implIS3_PfPS5_jNS1_19radix_merge_compareILb1ELb0EfNS0_19identity_decomposerEEEEE10hipError_tT0_T1_T2_jT3_P12ihipStream_tbPNSt15iterator_traitsISE_E10value_typeEPNSK_ISF_E10value_typeEPSG_NS1_7vsmem_tEENKUlT_SE_SF_SG_E_clIS8_S8_S9_S9_EESD_ST_SE_SF_SG_EUlST_E_NS1_11comp_targetILNS1_3genE0ELNS1_11target_archE4294967295ELNS1_3gpuE0ELNS1_3repE0EEENS1_48merge_mergepath_partition_config_static_selectorELNS0_4arch9wavefront6targetE1EEEvSF_,comdat
	.protected	_ZN7rocprim17ROCPRIM_400000_NS6detail17trampoline_kernelINS0_14default_configENS1_38merge_sort_block_merge_config_selectorIfNS0_10empty_typeEEEZZNS1_27merge_sort_block_merge_implIS3_PfPS5_jNS1_19radix_merge_compareILb1ELb0EfNS0_19identity_decomposerEEEEE10hipError_tT0_T1_T2_jT3_P12ihipStream_tbPNSt15iterator_traitsISE_E10value_typeEPNSK_ISF_E10value_typeEPSG_NS1_7vsmem_tEENKUlT_SE_SF_SG_E_clIS8_S8_S9_S9_EESD_ST_SE_SF_SG_EUlST_E_NS1_11comp_targetILNS1_3genE0ELNS1_11target_archE4294967295ELNS1_3gpuE0ELNS1_3repE0EEENS1_48merge_mergepath_partition_config_static_selectorELNS0_4arch9wavefront6targetE1EEEvSF_ ; -- Begin function _ZN7rocprim17ROCPRIM_400000_NS6detail17trampoline_kernelINS0_14default_configENS1_38merge_sort_block_merge_config_selectorIfNS0_10empty_typeEEEZZNS1_27merge_sort_block_merge_implIS3_PfPS5_jNS1_19radix_merge_compareILb1ELb0EfNS0_19identity_decomposerEEEEE10hipError_tT0_T1_T2_jT3_P12ihipStream_tbPNSt15iterator_traitsISE_E10value_typeEPNSK_ISF_E10value_typeEPSG_NS1_7vsmem_tEENKUlT_SE_SF_SG_E_clIS8_S8_S9_S9_EESD_ST_SE_SF_SG_EUlST_E_NS1_11comp_targetILNS1_3genE0ELNS1_11target_archE4294967295ELNS1_3gpuE0ELNS1_3repE0EEENS1_48merge_mergepath_partition_config_static_selectorELNS0_4arch9wavefront6targetE1EEEvSF_
	.globl	_ZN7rocprim17ROCPRIM_400000_NS6detail17trampoline_kernelINS0_14default_configENS1_38merge_sort_block_merge_config_selectorIfNS0_10empty_typeEEEZZNS1_27merge_sort_block_merge_implIS3_PfPS5_jNS1_19radix_merge_compareILb1ELb0EfNS0_19identity_decomposerEEEEE10hipError_tT0_T1_T2_jT3_P12ihipStream_tbPNSt15iterator_traitsISE_E10value_typeEPNSK_ISF_E10value_typeEPSG_NS1_7vsmem_tEENKUlT_SE_SF_SG_E_clIS8_S8_S9_S9_EESD_ST_SE_SF_SG_EUlST_E_NS1_11comp_targetILNS1_3genE0ELNS1_11target_archE4294967295ELNS1_3gpuE0ELNS1_3repE0EEENS1_48merge_mergepath_partition_config_static_selectorELNS0_4arch9wavefront6targetE1EEEvSF_
	.p2align	8
	.type	_ZN7rocprim17ROCPRIM_400000_NS6detail17trampoline_kernelINS0_14default_configENS1_38merge_sort_block_merge_config_selectorIfNS0_10empty_typeEEEZZNS1_27merge_sort_block_merge_implIS3_PfPS5_jNS1_19radix_merge_compareILb1ELb0EfNS0_19identity_decomposerEEEEE10hipError_tT0_T1_T2_jT3_P12ihipStream_tbPNSt15iterator_traitsISE_E10value_typeEPNSK_ISF_E10value_typeEPSG_NS1_7vsmem_tEENKUlT_SE_SF_SG_E_clIS8_S8_S9_S9_EESD_ST_SE_SF_SG_EUlST_E_NS1_11comp_targetILNS1_3genE0ELNS1_11target_archE4294967295ELNS1_3gpuE0ELNS1_3repE0EEENS1_48merge_mergepath_partition_config_static_selectorELNS0_4arch9wavefront6targetE1EEEvSF_,@function
_ZN7rocprim17ROCPRIM_400000_NS6detail17trampoline_kernelINS0_14default_configENS1_38merge_sort_block_merge_config_selectorIfNS0_10empty_typeEEEZZNS1_27merge_sort_block_merge_implIS3_PfPS5_jNS1_19radix_merge_compareILb1ELb0EfNS0_19identity_decomposerEEEEE10hipError_tT0_T1_T2_jT3_P12ihipStream_tbPNSt15iterator_traitsISE_E10value_typeEPNSK_ISF_E10value_typeEPSG_NS1_7vsmem_tEENKUlT_SE_SF_SG_E_clIS8_S8_S9_S9_EESD_ST_SE_SF_SG_EUlST_E_NS1_11comp_targetILNS1_3genE0ELNS1_11target_archE4294967295ELNS1_3gpuE0ELNS1_3repE0EEENS1_48merge_mergepath_partition_config_static_selectorELNS0_4arch9wavefront6targetE1EEEvSF_: ; @_ZN7rocprim17ROCPRIM_400000_NS6detail17trampoline_kernelINS0_14default_configENS1_38merge_sort_block_merge_config_selectorIfNS0_10empty_typeEEEZZNS1_27merge_sort_block_merge_implIS3_PfPS5_jNS1_19radix_merge_compareILb1ELb0EfNS0_19identity_decomposerEEEEE10hipError_tT0_T1_T2_jT3_P12ihipStream_tbPNSt15iterator_traitsISE_E10value_typeEPNSK_ISF_E10value_typeEPSG_NS1_7vsmem_tEENKUlT_SE_SF_SG_E_clIS8_S8_S9_S9_EESD_ST_SE_SF_SG_EUlST_E_NS1_11comp_targetILNS1_3genE0ELNS1_11target_archE4294967295ELNS1_3gpuE0ELNS1_3repE0EEENS1_48merge_mergepath_partition_config_static_selectorELNS0_4arch9wavefront6targetE1EEEvSF_
; %bb.0:
	.section	.rodata,"a",@progbits
	.p2align	6, 0x0
	.amdhsa_kernel _ZN7rocprim17ROCPRIM_400000_NS6detail17trampoline_kernelINS0_14default_configENS1_38merge_sort_block_merge_config_selectorIfNS0_10empty_typeEEEZZNS1_27merge_sort_block_merge_implIS3_PfPS5_jNS1_19radix_merge_compareILb1ELb0EfNS0_19identity_decomposerEEEEE10hipError_tT0_T1_T2_jT3_P12ihipStream_tbPNSt15iterator_traitsISE_E10value_typeEPNSK_ISF_E10value_typeEPSG_NS1_7vsmem_tEENKUlT_SE_SF_SG_E_clIS8_S8_S9_S9_EESD_ST_SE_SF_SG_EUlST_E_NS1_11comp_targetILNS1_3genE0ELNS1_11target_archE4294967295ELNS1_3gpuE0ELNS1_3repE0EEENS1_48merge_mergepath_partition_config_static_selectorELNS0_4arch9wavefront6targetE1EEEvSF_
		.amdhsa_group_segment_fixed_size 0
		.amdhsa_private_segment_fixed_size 0
		.amdhsa_kernarg_size 40
		.amdhsa_user_sgpr_count 6
		.amdhsa_user_sgpr_private_segment_buffer 1
		.amdhsa_user_sgpr_dispatch_ptr 0
		.amdhsa_user_sgpr_queue_ptr 0
		.amdhsa_user_sgpr_kernarg_segment_ptr 1
		.amdhsa_user_sgpr_dispatch_id 0
		.amdhsa_user_sgpr_flat_scratch_init 0
		.amdhsa_user_sgpr_kernarg_preload_length 0
		.amdhsa_user_sgpr_kernarg_preload_offset 0
		.amdhsa_user_sgpr_private_segment_size 0
		.amdhsa_uses_dynamic_stack 0
		.amdhsa_system_sgpr_private_segment_wavefront_offset 0
		.amdhsa_system_sgpr_workgroup_id_x 1
		.amdhsa_system_sgpr_workgroup_id_y 0
		.amdhsa_system_sgpr_workgroup_id_z 0
		.amdhsa_system_sgpr_workgroup_info 0
		.amdhsa_system_vgpr_workitem_id 0
		.amdhsa_next_free_vgpr 1
		.amdhsa_next_free_sgpr 0
		.amdhsa_accum_offset 4
		.amdhsa_reserve_vcc 0
		.amdhsa_reserve_flat_scratch 0
		.amdhsa_float_round_mode_32 0
		.amdhsa_float_round_mode_16_64 0
		.amdhsa_float_denorm_mode_32 3
		.amdhsa_float_denorm_mode_16_64 3
		.amdhsa_dx10_clamp 1
		.amdhsa_ieee_mode 1
		.amdhsa_fp16_overflow 0
		.amdhsa_tg_split 0
		.amdhsa_exception_fp_ieee_invalid_op 0
		.amdhsa_exception_fp_denorm_src 0
		.amdhsa_exception_fp_ieee_div_zero 0
		.amdhsa_exception_fp_ieee_overflow 0
		.amdhsa_exception_fp_ieee_underflow 0
		.amdhsa_exception_fp_ieee_inexact 0
		.amdhsa_exception_int_div_zero 0
	.end_amdhsa_kernel
	.section	.text._ZN7rocprim17ROCPRIM_400000_NS6detail17trampoline_kernelINS0_14default_configENS1_38merge_sort_block_merge_config_selectorIfNS0_10empty_typeEEEZZNS1_27merge_sort_block_merge_implIS3_PfPS5_jNS1_19radix_merge_compareILb1ELb0EfNS0_19identity_decomposerEEEEE10hipError_tT0_T1_T2_jT3_P12ihipStream_tbPNSt15iterator_traitsISE_E10value_typeEPNSK_ISF_E10value_typeEPSG_NS1_7vsmem_tEENKUlT_SE_SF_SG_E_clIS8_S8_S9_S9_EESD_ST_SE_SF_SG_EUlST_E_NS1_11comp_targetILNS1_3genE0ELNS1_11target_archE4294967295ELNS1_3gpuE0ELNS1_3repE0EEENS1_48merge_mergepath_partition_config_static_selectorELNS0_4arch9wavefront6targetE1EEEvSF_,"axG",@progbits,_ZN7rocprim17ROCPRIM_400000_NS6detail17trampoline_kernelINS0_14default_configENS1_38merge_sort_block_merge_config_selectorIfNS0_10empty_typeEEEZZNS1_27merge_sort_block_merge_implIS3_PfPS5_jNS1_19radix_merge_compareILb1ELb0EfNS0_19identity_decomposerEEEEE10hipError_tT0_T1_T2_jT3_P12ihipStream_tbPNSt15iterator_traitsISE_E10value_typeEPNSK_ISF_E10value_typeEPSG_NS1_7vsmem_tEENKUlT_SE_SF_SG_E_clIS8_S8_S9_S9_EESD_ST_SE_SF_SG_EUlST_E_NS1_11comp_targetILNS1_3genE0ELNS1_11target_archE4294967295ELNS1_3gpuE0ELNS1_3repE0EEENS1_48merge_mergepath_partition_config_static_selectorELNS0_4arch9wavefront6targetE1EEEvSF_,comdat
.Lfunc_end2504:
	.size	_ZN7rocprim17ROCPRIM_400000_NS6detail17trampoline_kernelINS0_14default_configENS1_38merge_sort_block_merge_config_selectorIfNS0_10empty_typeEEEZZNS1_27merge_sort_block_merge_implIS3_PfPS5_jNS1_19radix_merge_compareILb1ELb0EfNS0_19identity_decomposerEEEEE10hipError_tT0_T1_T2_jT3_P12ihipStream_tbPNSt15iterator_traitsISE_E10value_typeEPNSK_ISF_E10value_typeEPSG_NS1_7vsmem_tEENKUlT_SE_SF_SG_E_clIS8_S8_S9_S9_EESD_ST_SE_SF_SG_EUlST_E_NS1_11comp_targetILNS1_3genE0ELNS1_11target_archE4294967295ELNS1_3gpuE0ELNS1_3repE0EEENS1_48merge_mergepath_partition_config_static_selectorELNS0_4arch9wavefront6targetE1EEEvSF_, .Lfunc_end2504-_ZN7rocprim17ROCPRIM_400000_NS6detail17trampoline_kernelINS0_14default_configENS1_38merge_sort_block_merge_config_selectorIfNS0_10empty_typeEEEZZNS1_27merge_sort_block_merge_implIS3_PfPS5_jNS1_19radix_merge_compareILb1ELb0EfNS0_19identity_decomposerEEEEE10hipError_tT0_T1_T2_jT3_P12ihipStream_tbPNSt15iterator_traitsISE_E10value_typeEPNSK_ISF_E10value_typeEPSG_NS1_7vsmem_tEENKUlT_SE_SF_SG_E_clIS8_S8_S9_S9_EESD_ST_SE_SF_SG_EUlST_E_NS1_11comp_targetILNS1_3genE0ELNS1_11target_archE4294967295ELNS1_3gpuE0ELNS1_3repE0EEENS1_48merge_mergepath_partition_config_static_selectorELNS0_4arch9wavefront6targetE1EEEvSF_
                                        ; -- End function
	.section	.AMDGPU.csdata,"",@progbits
; Kernel info:
; codeLenInByte = 0
; NumSgprs: 4
; NumVgprs: 0
; NumAgprs: 0
; TotalNumVgprs: 0
; ScratchSize: 0
; MemoryBound: 0
; FloatMode: 240
; IeeeMode: 1
; LDSByteSize: 0 bytes/workgroup (compile time only)
; SGPRBlocks: 0
; VGPRBlocks: 0
; NumSGPRsForWavesPerEU: 4
; NumVGPRsForWavesPerEU: 1
; AccumOffset: 4
; Occupancy: 8
; WaveLimiterHint : 0
; COMPUTE_PGM_RSRC2:SCRATCH_EN: 0
; COMPUTE_PGM_RSRC2:USER_SGPR: 6
; COMPUTE_PGM_RSRC2:TRAP_HANDLER: 0
; COMPUTE_PGM_RSRC2:TGID_X_EN: 1
; COMPUTE_PGM_RSRC2:TGID_Y_EN: 0
; COMPUTE_PGM_RSRC2:TGID_Z_EN: 0
; COMPUTE_PGM_RSRC2:TIDIG_COMP_CNT: 0
; COMPUTE_PGM_RSRC3_GFX90A:ACCUM_OFFSET: 0
; COMPUTE_PGM_RSRC3_GFX90A:TG_SPLIT: 0
	.section	.text._ZN7rocprim17ROCPRIM_400000_NS6detail17trampoline_kernelINS0_14default_configENS1_38merge_sort_block_merge_config_selectorIfNS0_10empty_typeEEEZZNS1_27merge_sort_block_merge_implIS3_PfPS5_jNS1_19radix_merge_compareILb1ELb0EfNS0_19identity_decomposerEEEEE10hipError_tT0_T1_T2_jT3_P12ihipStream_tbPNSt15iterator_traitsISE_E10value_typeEPNSK_ISF_E10value_typeEPSG_NS1_7vsmem_tEENKUlT_SE_SF_SG_E_clIS8_S8_S9_S9_EESD_ST_SE_SF_SG_EUlST_E_NS1_11comp_targetILNS1_3genE10ELNS1_11target_archE1201ELNS1_3gpuE5ELNS1_3repE0EEENS1_48merge_mergepath_partition_config_static_selectorELNS0_4arch9wavefront6targetE1EEEvSF_,"axG",@progbits,_ZN7rocprim17ROCPRIM_400000_NS6detail17trampoline_kernelINS0_14default_configENS1_38merge_sort_block_merge_config_selectorIfNS0_10empty_typeEEEZZNS1_27merge_sort_block_merge_implIS3_PfPS5_jNS1_19radix_merge_compareILb1ELb0EfNS0_19identity_decomposerEEEEE10hipError_tT0_T1_T2_jT3_P12ihipStream_tbPNSt15iterator_traitsISE_E10value_typeEPNSK_ISF_E10value_typeEPSG_NS1_7vsmem_tEENKUlT_SE_SF_SG_E_clIS8_S8_S9_S9_EESD_ST_SE_SF_SG_EUlST_E_NS1_11comp_targetILNS1_3genE10ELNS1_11target_archE1201ELNS1_3gpuE5ELNS1_3repE0EEENS1_48merge_mergepath_partition_config_static_selectorELNS0_4arch9wavefront6targetE1EEEvSF_,comdat
	.protected	_ZN7rocprim17ROCPRIM_400000_NS6detail17trampoline_kernelINS0_14default_configENS1_38merge_sort_block_merge_config_selectorIfNS0_10empty_typeEEEZZNS1_27merge_sort_block_merge_implIS3_PfPS5_jNS1_19radix_merge_compareILb1ELb0EfNS0_19identity_decomposerEEEEE10hipError_tT0_T1_T2_jT3_P12ihipStream_tbPNSt15iterator_traitsISE_E10value_typeEPNSK_ISF_E10value_typeEPSG_NS1_7vsmem_tEENKUlT_SE_SF_SG_E_clIS8_S8_S9_S9_EESD_ST_SE_SF_SG_EUlST_E_NS1_11comp_targetILNS1_3genE10ELNS1_11target_archE1201ELNS1_3gpuE5ELNS1_3repE0EEENS1_48merge_mergepath_partition_config_static_selectorELNS0_4arch9wavefront6targetE1EEEvSF_ ; -- Begin function _ZN7rocprim17ROCPRIM_400000_NS6detail17trampoline_kernelINS0_14default_configENS1_38merge_sort_block_merge_config_selectorIfNS0_10empty_typeEEEZZNS1_27merge_sort_block_merge_implIS3_PfPS5_jNS1_19radix_merge_compareILb1ELb0EfNS0_19identity_decomposerEEEEE10hipError_tT0_T1_T2_jT3_P12ihipStream_tbPNSt15iterator_traitsISE_E10value_typeEPNSK_ISF_E10value_typeEPSG_NS1_7vsmem_tEENKUlT_SE_SF_SG_E_clIS8_S8_S9_S9_EESD_ST_SE_SF_SG_EUlST_E_NS1_11comp_targetILNS1_3genE10ELNS1_11target_archE1201ELNS1_3gpuE5ELNS1_3repE0EEENS1_48merge_mergepath_partition_config_static_selectorELNS0_4arch9wavefront6targetE1EEEvSF_
	.globl	_ZN7rocprim17ROCPRIM_400000_NS6detail17trampoline_kernelINS0_14default_configENS1_38merge_sort_block_merge_config_selectorIfNS0_10empty_typeEEEZZNS1_27merge_sort_block_merge_implIS3_PfPS5_jNS1_19radix_merge_compareILb1ELb0EfNS0_19identity_decomposerEEEEE10hipError_tT0_T1_T2_jT3_P12ihipStream_tbPNSt15iterator_traitsISE_E10value_typeEPNSK_ISF_E10value_typeEPSG_NS1_7vsmem_tEENKUlT_SE_SF_SG_E_clIS8_S8_S9_S9_EESD_ST_SE_SF_SG_EUlST_E_NS1_11comp_targetILNS1_3genE10ELNS1_11target_archE1201ELNS1_3gpuE5ELNS1_3repE0EEENS1_48merge_mergepath_partition_config_static_selectorELNS0_4arch9wavefront6targetE1EEEvSF_
	.p2align	8
	.type	_ZN7rocprim17ROCPRIM_400000_NS6detail17trampoline_kernelINS0_14default_configENS1_38merge_sort_block_merge_config_selectorIfNS0_10empty_typeEEEZZNS1_27merge_sort_block_merge_implIS3_PfPS5_jNS1_19radix_merge_compareILb1ELb0EfNS0_19identity_decomposerEEEEE10hipError_tT0_T1_T2_jT3_P12ihipStream_tbPNSt15iterator_traitsISE_E10value_typeEPNSK_ISF_E10value_typeEPSG_NS1_7vsmem_tEENKUlT_SE_SF_SG_E_clIS8_S8_S9_S9_EESD_ST_SE_SF_SG_EUlST_E_NS1_11comp_targetILNS1_3genE10ELNS1_11target_archE1201ELNS1_3gpuE5ELNS1_3repE0EEENS1_48merge_mergepath_partition_config_static_selectorELNS0_4arch9wavefront6targetE1EEEvSF_,@function
_ZN7rocprim17ROCPRIM_400000_NS6detail17trampoline_kernelINS0_14default_configENS1_38merge_sort_block_merge_config_selectorIfNS0_10empty_typeEEEZZNS1_27merge_sort_block_merge_implIS3_PfPS5_jNS1_19radix_merge_compareILb1ELb0EfNS0_19identity_decomposerEEEEE10hipError_tT0_T1_T2_jT3_P12ihipStream_tbPNSt15iterator_traitsISE_E10value_typeEPNSK_ISF_E10value_typeEPSG_NS1_7vsmem_tEENKUlT_SE_SF_SG_E_clIS8_S8_S9_S9_EESD_ST_SE_SF_SG_EUlST_E_NS1_11comp_targetILNS1_3genE10ELNS1_11target_archE1201ELNS1_3gpuE5ELNS1_3repE0EEENS1_48merge_mergepath_partition_config_static_selectorELNS0_4arch9wavefront6targetE1EEEvSF_: ; @_ZN7rocprim17ROCPRIM_400000_NS6detail17trampoline_kernelINS0_14default_configENS1_38merge_sort_block_merge_config_selectorIfNS0_10empty_typeEEEZZNS1_27merge_sort_block_merge_implIS3_PfPS5_jNS1_19radix_merge_compareILb1ELb0EfNS0_19identity_decomposerEEEEE10hipError_tT0_T1_T2_jT3_P12ihipStream_tbPNSt15iterator_traitsISE_E10value_typeEPNSK_ISF_E10value_typeEPSG_NS1_7vsmem_tEENKUlT_SE_SF_SG_E_clIS8_S8_S9_S9_EESD_ST_SE_SF_SG_EUlST_E_NS1_11comp_targetILNS1_3genE10ELNS1_11target_archE1201ELNS1_3gpuE5ELNS1_3repE0EEENS1_48merge_mergepath_partition_config_static_selectorELNS0_4arch9wavefront6targetE1EEEvSF_
; %bb.0:
	.section	.rodata,"a",@progbits
	.p2align	6, 0x0
	.amdhsa_kernel _ZN7rocprim17ROCPRIM_400000_NS6detail17trampoline_kernelINS0_14default_configENS1_38merge_sort_block_merge_config_selectorIfNS0_10empty_typeEEEZZNS1_27merge_sort_block_merge_implIS3_PfPS5_jNS1_19radix_merge_compareILb1ELb0EfNS0_19identity_decomposerEEEEE10hipError_tT0_T1_T2_jT3_P12ihipStream_tbPNSt15iterator_traitsISE_E10value_typeEPNSK_ISF_E10value_typeEPSG_NS1_7vsmem_tEENKUlT_SE_SF_SG_E_clIS8_S8_S9_S9_EESD_ST_SE_SF_SG_EUlST_E_NS1_11comp_targetILNS1_3genE10ELNS1_11target_archE1201ELNS1_3gpuE5ELNS1_3repE0EEENS1_48merge_mergepath_partition_config_static_selectorELNS0_4arch9wavefront6targetE1EEEvSF_
		.amdhsa_group_segment_fixed_size 0
		.amdhsa_private_segment_fixed_size 0
		.amdhsa_kernarg_size 40
		.amdhsa_user_sgpr_count 6
		.amdhsa_user_sgpr_private_segment_buffer 1
		.amdhsa_user_sgpr_dispatch_ptr 0
		.amdhsa_user_sgpr_queue_ptr 0
		.amdhsa_user_sgpr_kernarg_segment_ptr 1
		.amdhsa_user_sgpr_dispatch_id 0
		.amdhsa_user_sgpr_flat_scratch_init 0
		.amdhsa_user_sgpr_kernarg_preload_length 0
		.amdhsa_user_sgpr_kernarg_preload_offset 0
		.amdhsa_user_sgpr_private_segment_size 0
		.amdhsa_uses_dynamic_stack 0
		.amdhsa_system_sgpr_private_segment_wavefront_offset 0
		.amdhsa_system_sgpr_workgroup_id_x 1
		.amdhsa_system_sgpr_workgroup_id_y 0
		.amdhsa_system_sgpr_workgroup_id_z 0
		.amdhsa_system_sgpr_workgroup_info 0
		.amdhsa_system_vgpr_workitem_id 0
		.amdhsa_next_free_vgpr 1
		.amdhsa_next_free_sgpr 0
		.amdhsa_accum_offset 4
		.amdhsa_reserve_vcc 0
		.amdhsa_reserve_flat_scratch 0
		.amdhsa_float_round_mode_32 0
		.amdhsa_float_round_mode_16_64 0
		.amdhsa_float_denorm_mode_32 3
		.amdhsa_float_denorm_mode_16_64 3
		.amdhsa_dx10_clamp 1
		.amdhsa_ieee_mode 1
		.amdhsa_fp16_overflow 0
		.amdhsa_tg_split 0
		.amdhsa_exception_fp_ieee_invalid_op 0
		.amdhsa_exception_fp_denorm_src 0
		.amdhsa_exception_fp_ieee_div_zero 0
		.amdhsa_exception_fp_ieee_overflow 0
		.amdhsa_exception_fp_ieee_underflow 0
		.amdhsa_exception_fp_ieee_inexact 0
		.amdhsa_exception_int_div_zero 0
	.end_amdhsa_kernel
	.section	.text._ZN7rocprim17ROCPRIM_400000_NS6detail17trampoline_kernelINS0_14default_configENS1_38merge_sort_block_merge_config_selectorIfNS0_10empty_typeEEEZZNS1_27merge_sort_block_merge_implIS3_PfPS5_jNS1_19radix_merge_compareILb1ELb0EfNS0_19identity_decomposerEEEEE10hipError_tT0_T1_T2_jT3_P12ihipStream_tbPNSt15iterator_traitsISE_E10value_typeEPNSK_ISF_E10value_typeEPSG_NS1_7vsmem_tEENKUlT_SE_SF_SG_E_clIS8_S8_S9_S9_EESD_ST_SE_SF_SG_EUlST_E_NS1_11comp_targetILNS1_3genE10ELNS1_11target_archE1201ELNS1_3gpuE5ELNS1_3repE0EEENS1_48merge_mergepath_partition_config_static_selectorELNS0_4arch9wavefront6targetE1EEEvSF_,"axG",@progbits,_ZN7rocprim17ROCPRIM_400000_NS6detail17trampoline_kernelINS0_14default_configENS1_38merge_sort_block_merge_config_selectorIfNS0_10empty_typeEEEZZNS1_27merge_sort_block_merge_implIS3_PfPS5_jNS1_19radix_merge_compareILb1ELb0EfNS0_19identity_decomposerEEEEE10hipError_tT0_T1_T2_jT3_P12ihipStream_tbPNSt15iterator_traitsISE_E10value_typeEPNSK_ISF_E10value_typeEPSG_NS1_7vsmem_tEENKUlT_SE_SF_SG_E_clIS8_S8_S9_S9_EESD_ST_SE_SF_SG_EUlST_E_NS1_11comp_targetILNS1_3genE10ELNS1_11target_archE1201ELNS1_3gpuE5ELNS1_3repE0EEENS1_48merge_mergepath_partition_config_static_selectorELNS0_4arch9wavefront6targetE1EEEvSF_,comdat
.Lfunc_end2505:
	.size	_ZN7rocprim17ROCPRIM_400000_NS6detail17trampoline_kernelINS0_14default_configENS1_38merge_sort_block_merge_config_selectorIfNS0_10empty_typeEEEZZNS1_27merge_sort_block_merge_implIS3_PfPS5_jNS1_19radix_merge_compareILb1ELb0EfNS0_19identity_decomposerEEEEE10hipError_tT0_T1_T2_jT3_P12ihipStream_tbPNSt15iterator_traitsISE_E10value_typeEPNSK_ISF_E10value_typeEPSG_NS1_7vsmem_tEENKUlT_SE_SF_SG_E_clIS8_S8_S9_S9_EESD_ST_SE_SF_SG_EUlST_E_NS1_11comp_targetILNS1_3genE10ELNS1_11target_archE1201ELNS1_3gpuE5ELNS1_3repE0EEENS1_48merge_mergepath_partition_config_static_selectorELNS0_4arch9wavefront6targetE1EEEvSF_, .Lfunc_end2505-_ZN7rocprim17ROCPRIM_400000_NS6detail17trampoline_kernelINS0_14default_configENS1_38merge_sort_block_merge_config_selectorIfNS0_10empty_typeEEEZZNS1_27merge_sort_block_merge_implIS3_PfPS5_jNS1_19radix_merge_compareILb1ELb0EfNS0_19identity_decomposerEEEEE10hipError_tT0_T1_T2_jT3_P12ihipStream_tbPNSt15iterator_traitsISE_E10value_typeEPNSK_ISF_E10value_typeEPSG_NS1_7vsmem_tEENKUlT_SE_SF_SG_E_clIS8_S8_S9_S9_EESD_ST_SE_SF_SG_EUlST_E_NS1_11comp_targetILNS1_3genE10ELNS1_11target_archE1201ELNS1_3gpuE5ELNS1_3repE0EEENS1_48merge_mergepath_partition_config_static_selectorELNS0_4arch9wavefront6targetE1EEEvSF_
                                        ; -- End function
	.section	.AMDGPU.csdata,"",@progbits
; Kernel info:
; codeLenInByte = 0
; NumSgprs: 4
; NumVgprs: 0
; NumAgprs: 0
; TotalNumVgprs: 0
; ScratchSize: 0
; MemoryBound: 0
; FloatMode: 240
; IeeeMode: 1
; LDSByteSize: 0 bytes/workgroup (compile time only)
; SGPRBlocks: 0
; VGPRBlocks: 0
; NumSGPRsForWavesPerEU: 4
; NumVGPRsForWavesPerEU: 1
; AccumOffset: 4
; Occupancy: 8
; WaveLimiterHint : 0
; COMPUTE_PGM_RSRC2:SCRATCH_EN: 0
; COMPUTE_PGM_RSRC2:USER_SGPR: 6
; COMPUTE_PGM_RSRC2:TRAP_HANDLER: 0
; COMPUTE_PGM_RSRC2:TGID_X_EN: 1
; COMPUTE_PGM_RSRC2:TGID_Y_EN: 0
; COMPUTE_PGM_RSRC2:TGID_Z_EN: 0
; COMPUTE_PGM_RSRC2:TIDIG_COMP_CNT: 0
; COMPUTE_PGM_RSRC3_GFX90A:ACCUM_OFFSET: 0
; COMPUTE_PGM_RSRC3_GFX90A:TG_SPLIT: 0
	.section	.text._ZN7rocprim17ROCPRIM_400000_NS6detail17trampoline_kernelINS0_14default_configENS1_38merge_sort_block_merge_config_selectorIfNS0_10empty_typeEEEZZNS1_27merge_sort_block_merge_implIS3_PfPS5_jNS1_19radix_merge_compareILb1ELb0EfNS0_19identity_decomposerEEEEE10hipError_tT0_T1_T2_jT3_P12ihipStream_tbPNSt15iterator_traitsISE_E10value_typeEPNSK_ISF_E10value_typeEPSG_NS1_7vsmem_tEENKUlT_SE_SF_SG_E_clIS8_S8_S9_S9_EESD_ST_SE_SF_SG_EUlST_E_NS1_11comp_targetILNS1_3genE5ELNS1_11target_archE942ELNS1_3gpuE9ELNS1_3repE0EEENS1_48merge_mergepath_partition_config_static_selectorELNS0_4arch9wavefront6targetE1EEEvSF_,"axG",@progbits,_ZN7rocprim17ROCPRIM_400000_NS6detail17trampoline_kernelINS0_14default_configENS1_38merge_sort_block_merge_config_selectorIfNS0_10empty_typeEEEZZNS1_27merge_sort_block_merge_implIS3_PfPS5_jNS1_19radix_merge_compareILb1ELb0EfNS0_19identity_decomposerEEEEE10hipError_tT0_T1_T2_jT3_P12ihipStream_tbPNSt15iterator_traitsISE_E10value_typeEPNSK_ISF_E10value_typeEPSG_NS1_7vsmem_tEENKUlT_SE_SF_SG_E_clIS8_S8_S9_S9_EESD_ST_SE_SF_SG_EUlST_E_NS1_11comp_targetILNS1_3genE5ELNS1_11target_archE942ELNS1_3gpuE9ELNS1_3repE0EEENS1_48merge_mergepath_partition_config_static_selectorELNS0_4arch9wavefront6targetE1EEEvSF_,comdat
	.protected	_ZN7rocprim17ROCPRIM_400000_NS6detail17trampoline_kernelINS0_14default_configENS1_38merge_sort_block_merge_config_selectorIfNS0_10empty_typeEEEZZNS1_27merge_sort_block_merge_implIS3_PfPS5_jNS1_19radix_merge_compareILb1ELb0EfNS0_19identity_decomposerEEEEE10hipError_tT0_T1_T2_jT3_P12ihipStream_tbPNSt15iterator_traitsISE_E10value_typeEPNSK_ISF_E10value_typeEPSG_NS1_7vsmem_tEENKUlT_SE_SF_SG_E_clIS8_S8_S9_S9_EESD_ST_SE_SF_SG_EUlST_E_NS1_11comp_targetILNS1_3genE5ELNS1_11target_archE942ELNS1_3gpuE9ELNS1_3repE0EEENS1_48merge_mergepath_partition_config_static_selectorELNS0_4arch9wavefront6targetE1EEEvSF_ ; -- Begin function _ZN7rocprim17ROCPRIM_400000_NS6detail17trampoline_kernelINS0_14default_configENS1_38merge_sort_block_merge_config_selectorIfNS0_10empty_typeEEEZZNS1_27merge_sort_block_merge_implIS3_PfPS5_jNS1_19radix_merge_compareILb1ELb0EfNS0_19identity_decomposerEEEEE10hipError_tT0_T1_T2_jT3_P12ihipStream_tbPNSt15iterator_traitsISE_E10value_typeEPNSK_ISF_E10value_typeEPSG_NS1_7vsmem_tEENKUlT_SE_SF_SG_E_clIS8_S8_S9_S9_EESD_ST_SE_SF_SG_EUlST_E_NS1_11comp_targetILNS1_3genE5ELNS1_11target_archE942ELNS1_3gpuE9ELNS1_3repE0EEENS1_48merge_mergepath_partition_config_static_selectorELNS0_4arch9wavefront6targetE1EEEvSF_
	.globl	_ZN7rocprim17ROCPRIM_400000_NS6detail17trampoline_kernelINS0_14default_configENS1_38merge_sort_block_merge_config_selectorIfNS0_10empty_typeEEEZZNS1_27merge_sort_block_merge_implIS3_PfPS5_jNS1_19radix_merge_compareILb1ELb0EfNS0_19identity_decomposerEEEEE10hipError_tT0_T1_T2_jT3_P12ihipStream_tbPNSt15iterator_traitsISE_E10value_typeEPNSK_ISF_E10value_typeEPSG_NS1_7vsmem_tEENKUlT_SE_SF_SG_E_clIS8_S8_S9_S9_EESD_ST_SE_SF_SG_EUlST_E_NS1_11comp_targetILNS1_3genE5ELNS1_11target_archE942ELNS1_3gpuE9ELNS1_3repE0EEENS1_48merge_mergepath_partition_config_static_selectorELNS0_4arch9wavefront6targetE1EEEvSF_
	.p2align	8
	.type	_ZN7rocprim17ROCPRIM_400000_NS6detail17trampoline_kernelINS0_14default_configENS1_38merge_sort_block_merge_config_selectorIfNS0_10empty_typeEEEZZNS1_27merge_sort_block_merge_implIS3_PfPS5_jNS1_19radix_merge_compareILb1ELb0EfNS0_19identity_decomposerEEEEE10hipError_tT0_T1_T2_jT3_P12ihipStream_tbPNSt15iterator_traitsISE_E10value_typeEPNSK_ISF_E10value_typeEPSG_NS1_7vsmem_tEENKUlT_SE_SF_SG_E_clIS8_S8_S9_S9_EESD_ST_SE_SF_SG_EUlST_E_NS1_11comp_targetILNS1_3genE5ELNS1_11target_archE942ELNS1_3gpuE9ELNS1_3repE0EEENS1_48merge_mergepath_partition_config_static_selectorELNS0_4arch9wavefront6targetE1EEEvSF_,@function
_ZN7rocprim17ROCPRIM_400000_NS6detail17trampoline_kernelINS0_14default_configENS1_38merge_sort_block_merge_config_selectorIfNS0_10empty_typeEEEZZNS1_27merge_sort_block_merge_implIS3_PfPS5_jNS1_19radix_merge_compareILb1ELb0EfNS0_19identity_decomposerEEEEE10hipError_tT0_T1_T2_jT3_P12ihipStream_tbPNSt15iterator_traitsISE_E10value_typeEPNSK_ISF_E10value_typeEPSG_NS1_7vsmem_tEENKUlT_SE_SF_SG_E_clIS8_S8_S9_S9_EESD_ST_SE_SF_SG_EUlST_E_NS1_11comp_targetILNS1_3genE5ELNS1_11target_archE942ELNS1_3gpuE9ELNS1_3repE0EEENS1_48merge_mergepath_partition_config_static_selectorELNS0_4arch9wavefront6targetE1EEEvSF_: ; @_ZN7rocprim17ROCPRIM_400000_NS6detail17trampoline_kernelINS0_14default_configENS1_38merge_sort_block_merge_config_selectorIfNS0_10empty_typeEEEZZNS1_27merge_sort_block_merge_implIS3_PfPS5_jNS1_19radix_merge_compareILb1ELb0EfNS0_19identity_decomposerEEEEE10hipError_tT0_T1_T2_jT3_P12ihipStream_tbPNSt15iterator_traitsISE_E10value_typeEPNSK_ISF_E10value_typeEPSG_NS1_7vsmem_tEENKUlT_SE_SF_SG_E_clIS8_S8_S9_S9_EESD_ST_SE_SF_SG_EUlST_E_NS1_11comp_targetILNS1_3genE5ELNS1_11target_archE942ELNS1_3gpuE9ELNS1_3repE0EEENS1_48merge_mergepath_partition_config_static_selectorELNS0_4arch9wavefront6targetE1EEEvSF_
; %bb.0:
	.section	.rodata,"a",@progbits
	.p2align	6, 0x0
	.amdhsa_kernel _ZN7rocprim17ROCPRIM_400000_NS6detail17trampoline_kernelINS0_14default_configENS1_38merge_sort_block_merge_config_selectorIfNS0_10empty_typeEEEZZNS1_27merge_sort_block_merge_implIS3_PfPS5_jNS1_19radix_merge_compareILb1ELb0EfNS0_19identity_decomposerEEEEE10hipError_tT0_T1_T2_jT3_P12ihipStream_tbPNSt15iterator_traitsISE_E10value_typeEPNSK_ISF_E10value_typeEPSG_NS1_7vsmem_tEENKUlT_SE_SF_SG_E_clIS8_S8_S9_S9_EESD_ST_SE_SF_SG_EUlST_E_NS1_11comp_targetILNS1_3genE5ELNS1_11target_archE942ELNS1_3gpuE9ELNS1_3repE0EEENS1_48merge_mergepath_partition_config_static_selectorELNS0_4arch9wavefront6targetE1EEEvSF_
		.amdhsa_group_segment_fixed_size 0
		.amdhsa_private_segment_fixed_size 0
		.amdhsa_kernarg_size 40
		.amdhsa_user_sgpr_count 6
		.amdhsa_user_sgpr_private_segment_buffer 1
		.amdhsa_user_sgpr_dispatch_ptr 0
		.amdhsa_user_sgpr_queue_ptr 0
		.amdhsa_user_sgpr_kernarg_segment_ptr 1
		.amdhsa_user_sgpr_dispatch_id 0
		.amdhsa_user_sgpr_flat_scratch_init 0
		.amdhsa_user_sgpr_kernarg_preload_length 0
		.amdhsa_user_sgpr_kernarg_preload_offset 0
		.amdhsa_user_sgpr_private_segment_size 0
		.amdhsa_uses_dynamic_stack 0
		.amdhsa_system_sgpr_private_segment_wavefront_offset 0
		.amdhsa_system_sgpr_workgroup_id_x 1
		.amdhsa_system_sgpr_workgroup_id_y 0
		.amdhsa_system_sgpr_workgroup_id_z 0
		.amdhsa_system_sgpr_workgroup_info 0
		.amdhsa_system_vgpr_workitem_id 0
		.amdhsa_next_free_vgpr 1
		.amdhsa_next_free_sgpr 0
		.amdhsa_accum_offset 4
		.amdhsa_reserve_vcc 0
		.amdhsa_reserve_flat_scratch 0
		.amdhsa_float_round_mode_32 0
		.amdhsa_float_round_mode_16_64 0
		.amdhsa_float_denorm_mode_32 3
		.amdhsa_float_denorm_mode_16_64 3
		.amdhsa_dx10_clamp 1
		.amdhsa_ieee_mode 1
		.amdhsa_fp16_overflow 0
		.amdhsa_tg_split 0
		.amdhsa_exception_fp_ieee_invalid_op 0
		.amdhsa_exception_fp_denorm_src 0
		.amdhsa_exception_fp_ieee_div_zero 0
		.amdhsa_exception_fp_ieee_overflow 0
		.amdhsa_exception_fp_ieee_underflow 0
		.amdhsa_exception_fp_ieee_inexact 0
		.amdhsa_exception_int_div_zero 0
	.end_amdhsa_kernel
	.section	.text._ZN7rocprim17ROCPRIM_400000_NS6detail17trampoline_kernelINS0_14default_configENS1_38merge_sort_block_merge_config_selectorIfNS0_10empty_typeEEEZZNS1_27merge_sort_block_merge_implIS3_PfPS5_jNS1_19radix_merge_compareILb1ELb0EfNS0_19identity_decomposerEEEEE10hipError_tT0_T1_T2_jT3_P12ihipStream_tbPNSt15iterator_traitsISE_E10value_typeEPNSK_ISF_E10value_typeEPSG_NS1_7vsmem_tEENKUlT_SE_SF_SG_E_clIS8_S8_S9_S9_EESD_ST_SE_SF_SG_EUlST_E_NS1_11comp_targetILNS1_3genE5ELNS1_11target_archE942ELNS1_3gpuE9ELNS1_3repE0EEENS1_48merge_mergepath_partition_config_static_selectorELNS0_4arch9wavefront6targetE1EEEvSF_,"axG",@progbits,_ZN7rocprim17ROCPRIM_400000_NS6detail17trampoline_kernelINS0_14default_configENS1_38merge_sort_block_merge_config_selectorIfNS0_10empty_typeEEEZZNS1_27merge_sort_block_merge_implIS3_PfPS5_jNS1_19radix_merge_compareILb1ELb0EfNS0_19identity_decomposerEEEEE10hipError_tT0_T1_T2_jT3_P12ihipStream_tbPNSt15iterator_traitsISE_E10value_typeEPNSK_ISF_E10value_typeEPSG_NS1_7vsmem_tEENKUlT_SE_SF_SG_E_clIS8_S8_S9_S9_EESD_ST_SE_SF_SG_EUlST_E_NS1_11comp_targetILNS1_3genE5ELNS1_11target_archE942ELNS1_3gpuE9ELNS1_3repE0EEENS1_48merge_mergepath_partition_config_static_selectorELNS0_4arch9wavefront6targetE1EEEvSF_,comdat
.Lfunc_end2506:
	.size	_ZN7rocprim17ROCPRIM_400000_NS6detail17trampoline_kernelINS0_14default_configENS1_38merge_sort_block_merge_config_selectorIfNS0_10empty_typeEEEZZNS1_27merge_sort_block_merge_implIS3_PfPS5_jNS1_19radix_merge_compareILb1ELb0EfNS0_19identity_decomposerEEEEE10hipError_tT0_T1_T2_jT3_P12ihipStream_tbPNSt15iterator_traitsISE_E10value_typeEPNSK_ISF_E10value_typeEPSG_NS1_7vsmem_tEENKUlT_SE_SF_SG_E_clIS8_S8_S9_S9_EESD_ST_SE_SF_SG_EUlST_E_NS1_11comp_targetILNS1_3genE5ELNS1_11target_archE942ELNS1_3gpuE9ELNS1_3repE0EEENS1_48merge_mergepath_partition_config_static_selectorELNS0_4arch9wavefront6targetE1EEEvSF_, .Lfunc_end2506-_ZN7rocprim17ROCPRIM_400000_NS6detail17trampoline_kernelINS0_14default_configENS1_38merge_sort_block_merge_config_selectorIfNS0_10empty_typeEEEZZNS1_27merge_sort_block_merge_implIS3_PfPS5_jNS1_19radix_merge_compareILb1ELb0EfNS0_19identity_decomposerEEEEE10hipError_tT0_T1_T2_jT3_P12ihipStream_tbPNSt15iterator_traitsISE_E10value_typeEPNSK_ISF_E10value_typeEPSG_NS1_7vsmem_tEENKUlT_SE_SF_SG_E_clIS8_S8_S9_S9_EESD_ST_SE_SF_SG_EUlST_E_NS1_11comp_targetILNS1_3genE5ELNS1_11target_archE942ELNS1_3gpuE9ELNS1_3repE0EEENS1_48merge_mergepath_partition_config_static_selectorELNS0_4arch9wavefront6targetE1EEEvSF_
                                        ; -- End function
	.section	.AMDGPU.csdata,"",@progbits
; Kernel info:
; codeLenInByte = 0
; NumSgprs: 4
; NumVgprs: 0
; NumAgprs: 0
; TotalNumVgprs: 0
; ScratchSize: 0
; MemoryBound: 0
; FloatMode: 240
; IeeeMode: 1
; LDSByteSize: 0 bytes/workgroup (compile time only)
; SGPRBlocks: 0
; VGPRBlocks: 0
; NumSGPRsForWavesPerEU: 4
; NumVGPRsForWavesPerEU: 1
; AccumOffset: 4
; Occupancy: 8
; WaveLimiterHint : 0
; COMPUTE_PGM_RSRC2:SCRATCH_EN: 0
; COMPUTE_PGM_RSRC2:USER_SGPR: 6
; COMPUTE_PGM_RSRC2:TRAP_HANDLER: 0
; COMPUTE_PGM_RSRC2:TGID_X_EN: 1
; COMPUTE_PGM_RSRC2:TGID_Y_EN: 0
; COMPUTE_PGM_RSRC2:TGID_Z_EN: 0
; COMPUTE_PGM_RSRC2:TIDIG_COMP_CNT: 0
; COMPUTE_PGM_RSRC3_GFX90A:ACCUM_OFFSET: 0
; COMPUTE_PGM_RSRC3_GFX90A:TG_SPLIT: 0
	.section	.text._ZN7rocprim17ROCPRIM_400000_NS6detail17trampoline_kernelINS0_14default_configENS1_38merge_sort_block_merge_config_selectorIfNS0_10empty_typeEEEZZNS1_27merge_sort_block_merge_implIS3_PfPS5_jNS1_19radix_merge_compareILb1ELb0EfNS0_19identity_decomposerEEEEE10hipError_tT0_T1_T2_jT3_P12ihipStream_tbPNSt15iterator_traitsISE_E10value_typeEPNSK_ISF_E10value_typeEPSG_NS1_7vsmem_tEENKUlT_SE_SF_SG_E_clIS8_S8_S9_S9_EESD_ST_SE_SF_SG_EUlST_E_NS1_11comp_targetILNS1_3genE4ELNS1_11target_archE910ELNS1_3gpuE8ELNS1_3repE0EEENS1_48merge_mergepath_partition_config_static_selectorELNS0_4arch9wavefront6targetE1EEEvSF_,"axG",@progbits,_ZN7rocprim17ROCPRIM_400000_NS6detail17trampoline_kernelINS0_14default_configENS1_38merge_sort_block_merge_config_selectorIfNS0_10empty_typeEEEZZNS1_27merge_sort_block_merge_implIS3_PfPS5_jNS1_19radix_merge_compareILb1ELb0EfNS0_19identity_decomposerEEEEE10hipError_tT0_T1_T2_jT3_P12ihipStream_tbPNSt15iterator_traitsISE_E10value_typeEPNSK_ISF_E10value_typeEPSG_NS1_7vsmem_tEENKUlT_SE_SF_SG_E_clIS8_S8_S9_S9_EESD_ST_SE_SF_SG_EUlST_E_NS1_11comp_targetILNS1_3genE4ELNS1_11target_archE910ELNS1_3gpuE8ELNS1_3repE0EEENS1_48merge_mergepath_partition_config_static_selectorELNS0_4arch9wavefront6targetE1EEEvSF_,comdat
	.protected	_ZN7rocprim17ROCPRIM_400000_NS6detail17trampoline_kernelINS0_14default_configENS1_38merge_sort_block_merge_config_selectorIfNS0_10empty_typeEEEZZNS1_27merge_sort_block_merge_implIS3_PfPS5_jNS1_19radix_merge_compareILb1ELb0EfNS0_19identity_decomposerEEEEE10hipError_tT0_T1_T2_jT3_P12ihipStream_tbPNSt15iterator_traitsISE_E10value_typeEPNSK_ISF_E10value_typeEPSG_NS1_7vsmem_tEENKUlT_SE_SF_SG_E_clIS8_S8_S9_S9_EESD_ST_SE_SF_SG_EUlST_E_NS1_11comp_targetILNS1_3genE4ELNS1_11target_archE910ELNS1_3gpuE8ELNS1_3repE0EEENS1_48merge_mergepath_partition_config_static_selectorELNS0_4arch9wavefront6targetE1EEEvSF_ ; -- Begin function _ZN7rocprim17ROCPRIM_400000_NS6detail17trampoline_kernelINS0_14default_configENS1_38merge_sort_block_merge_config_selectorIfNS0_10empty_typeEEEZZNS1_27merge_sort_block_merge_implIS3_PfPS5_jNS1_19radix_merge_compareILb1ELb0EfNS0_19identity_decomposerEEEEE10hipError_tT0_T1_T2_jT3_P12ihipStream_tbPNSt15iterator_traitsISE_E10value_typeEPNSK_ISF_E10value_typeEPSG_NS1_7vsmem_tEENKUlT_SE_SF_SG_E_clIS8_S8_S9_S9_EESD_ST_SE_SF_SG_EUlST_E_NS1_11comp_targetILNS1_3genE4ELNS1_11target_archE910ELNS1_3gpuE8ELNS1_3repE0EEENS1_48merge_mergepath_partition_config_static_selectorELNS0_4arch9wavefront6targetE1EEEvSF_
	.globl	_ZN7rocprim17ROCPRIM_400000_NS6detail17trampoline_kernelINS0_14default_configENS1_38merge_sort_block_merge_config_selectorIfNS0_10empty_typeEEEZZNS1_27merge_sort_block_merge_implIS3_PfPS5_jNS1_19radix_merge_compareILb1ELb0EfNS0_19identity_decomposerEEEEE10hipError_tT0_T1_T2_jT3_P12ihipStream_tbPNSt15iterator_traitsISE_E10value_typeEPNSK_ISF_E10value_typeEPSG_NS1_7vsmem_tEENKUlT_SE_SF_SG_E_clIS8_S8_S9_S9_EESD_ST_SE_SF_SG_EUlST_E_NS1_11comp_targetILNS1_3genE4ELNS1_11target_archE910ELNS1_3gpuE8ELNS1_3repE0EEENS1_48merge_mergepath_partition_config_static_selectorELNS0_4arch9wavefront6targetE1EEEvSF_
	.p2align	8
	.type	_ZN7rocprim17ROCPRIM_400000_NS6detail17trampoline_kernelINS0_14default_configENS1_38merge_sort_block_merge_config_selectorIfNS0_10empty_typeEEEZZNS1_27merge_sort_block_merge_implIS3_PfPS5_jNS1_19radix_merge_compareILb1ELb0EfNS0_19identity_decomposerEEEEE10hipError_tT0_T1_T2_jT3_P12ihipStream_tbPNSt15iterator_traitsISE_E10value_typeEPNSK_ISF_E10value_typeEPSG_NS1_7vsmem_tEENKUlT_SE_SF_SG_E_clIS8_S8_S9_S9_EESD_ST_SE_SF_SG_EUlST_E_NS1_11comp_targetILNS1_3genE4ELNS1_11target_archE910ELNS1_3gpuE8ELNS1_3repE0EEENS1_48merge_mergepath_partition_config_static_selectorELNS0_4arch9wavefront6targetE1EEEvSF_,@function
_ZN7rocprim17ROCPRIM_400000_NS6detail17trampoline_kernelINS0_14default_configENS1_38merge_sort_block_merge_config_selectorIfNS0_10empty_typeEEEZZNS1_27merge_sort_block_merge_implIS3_PfPS5_jNS1_19radix_merge_compareILb1ELb0EfNS0_19identity_decomposerEEEEE10hipError_tT0_T1_T2_jT3_P12ihipStream_tbPNSt15iterator_traitsISE_E10value_typeEPNSK_ISF_E10value_typeEPSG_NS1_7vsmem_tEENKUlT_SE_SF_SG_E_clIS8_S8_S9_S9_EESD_ST_SE_SF_SG_EUlST_E_NS1_11comp_targetILNS1_3genE4ELNS1_11target_archE910ELNS1_3gpuE8ELNS1_3repE0EEENS1_48merge_mergepath_partition_config_static_selectorELNS0_4arch9wavefront6targetE1EEEvSF_: ; @_ZN7rocprim17ROCPRIM_400000_NS6detail17trampoline_kernelINS0_14default_configENS1_38merge_sort_block_merge_config_selectorIfNS0_10empty_typeEEEZZNS1_27merge_sort_block_merge_implIS3_PfPS5_jNS1_19radix_merge_compareILb1ELb0EfNS0_19identity_decomposerEEEEE10hipError_tT0_T1_T2_jT3_P12ihipStream_tbPNSt15iterator_traitsISE_E10value_typeEPNSK_ISF_E10value_typeEPSG_NS1_7vsmem_tEENKUlT_SE_SF_SG_E_clIS8_S8_S9_S9_EESD_ST_SE_SF_SG_EUlST_E_NS1_11comp_targetILNS1_3genE4ELNS1_11target_archE910ELNS1_3gpuE8ELNS1_3repE0EEENS1_48merge_mergepath_partition_config_static_selectorELNS0_4arch9wavefront6targetE1EEEvSF_
; %bb.0:
	s_load_dword s0, s[4:5], 0x0
	v_lshl_or_b32 v0, s6, 7, v0
	s_waitcnt lgkmcnt(0)
	v_cmp_gt_u32_e32 vcc, s0, v0
	s_and_saveexec_b64 s[0:1], vcc
	s_cbranch_execz .LBB2507_6
; %bb.1:
	s_load_dwordx2 s[2:3], s[4:5], 0x4
	s_load_dwordx2 s[0:1], s[4:5], 0x20
	s_waitcnt lgkmcnt(0)
	s_lshr_b32 s6, s2, 9
	s_and_b32 s6, s6, 0x7ffffe
	s_add_i32 s7, s6, -1
	s_sub_i32 s6, 0, s6
	v_and_b32_e32 v1, s6, v0
	v_lshlrev_b32_e32 v1, 10, v1
	v_min_u32_e32 v2, s3, v1
	v_add_u32_e32 v1, s2, v1
	v_min_u32_e32 v4, s3, v1
	v_add_u32_e32 v1, s2, v4
	v_and_b32_e32 v3, s7, v0
	v_min_u32_e32 v1, s3, v1
	v_sub_u32_e32 v5, v1, v2
	v_lshlrev_b32_e32 v3, 10, v3
	v_min_u32_e32 v6, v5, v3
	v_sub_u32_e32 v3, v4, v2
	v_sub_u32_e32 v1, v1, v4
	v_sub_u32_e64 v1, v6, v1 clamp
	v_min_u32_e32 v7, v6, v3
	v_cmp_lt_u32_e32 vcc, v1, v7
	s_and_saveexec_b64 s[2:3], vcc
	s_cbranch_execz .LBB2507_5
; %bb.2:
	s_load_dwordx2 s[4:5], s[4:5], 0x10
	v_mov_b32_e32 v5, 0
	v_mov_b32_e32 v3, v5
	v_lshlrev_b64 v[8:9], 2, v[2:3]
	v_lshlrev_b64 v[10:11], 2, v[4:5]
	s_waitcnt lgkmcnt(0)
	v_mov_b32_e32 v12, s5
	v_add_co_u32_e32 v3, vcc, s4, v8
	v_addc_co_u32_e32 v8, vcc, v12, v9, vcc
	v_add_co_u32_e32 v9, vcc, s4, v10
	v_addc_co_u32_e32 v10, vcc, v12, v11, vcc
	s_mov_b64 s[4:5], 0
.LBB2507_3:                             ; =>This Inner Loop Header: Depth=1
	v_add_u32_e32 v4, v7, v1
	v_lshrrev_b32_e32 v4, 1, v4
	v_lshlrev_b64 v[14:15], 2, v[4:5]
	v_mov_b32_e32 v13, v5
	v_xad_u32 v12, v4, -1, v6
	v_add_co_u32_e32 v14, vcc, v3, v14
	v_addc_co_u32_e32 v15, vcc, v8, v15, vcc
	v_lshlrev_b64 v[12:13], 2, v[12:13]
	v_add_co_u32_e32 v12, vcc, v9, v12
	v_addc_co_u32_e32 v13, vcc, v10, v13, vcc
	global_load_dword v17, v[14:15], off
	global_load_dword v16, v[12:13], off
	v_add_u32_e32 v11, 1, v4
	s_waitcnt vmcnt(0)
	v_pk_add_f32 v[12:13], v[16:17], 0 op_sel_hi:[1,0]
	v_ashrrev_i32_e32 v14, 31, v13
	v_ashrrev_i32_e32 v15, 31, v12
	v_or_b32_e32 v15, 0x80000000, v15
	v_or_b32_e32 v14, 0x80000000, v14
	v_xor_b32_e32 v13, v14, v13
	v_xor_b32_e32 v12, v15, v12
	v_cmp_gt_u32_e32 vcc, v12, v13
	v_cndmask_b32_e32 v7, v7, v4, vcc
	v_cndmask_b32_e32 v1, v11, v1, vcc
	v_cmp_ge_u32_e32 vcc, v1, v7
	s_or_b64 s[4:5], vcc, s[4:5]
	s_andn2_b64 exec, exec, s[4:5]
	s_cbranch_execnz .LBB2507_3
; %bb.4:
	s_or_b64 exec, exec, s[4:5]
.LBB2507_5:
	s_or_b64 exec, exec, s[2:3]
	v_add_u32_e32 v2, v1, v2
	v_mov_b32_e32 v1, 0
	v_lshlrev_b64 v[0:1], 2, v[0:1]
	v_mov_b32_e32 v3, s1
	v_add_co_u32_e32 v0, vcc, s0, v0
	v_addc_co_u32_e32 v1, vcc, v3, v1, vcc
	global_store_dword v[0:1], v2, off
.LBB2507_6:
	s_endpgm
	.section	.rodata,"a",@progbits
	.p2align	6, 0x0
	.amdhsa_kernel _ZN7rocprim17ROCPRIM_400000_NS6detail17trampoline_kernelINS0_14default_configENS1_38merge_sort_block_merge_config_selectorIfNS0_10empty_typeEEEZZNS1_27merge_sort_block_merge_implIS3_PfPS5_jNS1_19radix_merge_compareILb1ELb0EfNS0_19identity_decomposerEEEEE10hipError_tT0_T1_T2_jT3_P12ihipStream_tbPNSt15iterator_traitsISE_E10value_typeEPNSK_ISF_E10value_typeEPSG_NS1_7vsmem_tEENKUlT_SE_SF_SG_E_clIS8_S8_S9_S9_EESD_ST_SE_SF_SG_EUlST_E_NS1_11comp_targetILNS1_3genE4ELNS1_11target_archE910ELNS1_3gpuE8ELNS1_3repE0EEENS1_48merge_mergepath_partition_config_static_selectorELNS0_4arch9wavefront6targetE1EEEvSF_
		.amdhsa_group_segment_fixed_size 0
		.amdhsa_private_segment_fixed_size 0
		.amdhsa_kernarg_size 40
		.amdhsa_user_sgpr_count 6
		.amdhsa_user_sgpr_private_segment_buffer 1
		.amdhsa_user_sgpr_dispatch_ptr 0
		.amdhsa_user_sgpr_queue_ptr 0
		.amdhsa_user_sgpr_kernarg_segment_ptr 1
		.amdhsa_user_sgpr_dispatch_id 0
		.amdhsa_user_sgpr_flat_scratch_init 0
		.amdhsa_user_sgpr_kernarg_preload_length 0
		.amdhsa_user_sgpr_kernarg_preload_offset 0
		.amdhsa_user_sgpr_private_segment_size 0
		.amdhsa_uses_dynamic_stack 0
		.amdhsa_system_sgpr_private_segment_wavefront_offset 0
		.amdhsa_system_sgpr_workgroup_id_x 1
		.amdhsa_system_sgpr_workgroup_id_y 0
		.amdhsa_system_sgpr_workgroup_id_z 0
		.amdhsa_system_sgpr_workgroup_info 0
		.amdhsa_system_vgpr_workitem_id 0
		.amdhsa_next_free_vgpr 18
		.amdhsa_next_free_sgpr 8
		.amdhsa_accum_offset 20
		.amdhsa_reserve_vcc 1
		.amdhsa_reserve_flat_scratch 0
		.amdhsa_float_round_mode_32 0
		.amdhsa_float_round_mode_16_64 0
		.amdhsa_float_denorm_mode_32 3
		.amdhsa_float_denorm_mode_16_64 3
		.amdhsa_dx10_clamp 1
		.amdhsa_ieee_mode 1
		.amdhsa_fp16_overflow 0
		.amdhsa_tg_split 0
		.amdhsa_exception_fp_ieee_invalid_op 0
		.amdhsa_exception_fp_denorm_src 0
		.amdhsa_exception_fp_ieee_div_zero 0
		.amdhsa_exception_fp_ieee_overflow 0
		.amdhsa_exception_fp_ieee_underflow 0
		.amdhsa_exception_fp_ieee_inexact 0
		.amdhsa_exception_int_div_zero 0
	.end_amdhsa_kernel
	.section	.text._ZN7rocprim17ROCPRIM_400000_NS6detail17trampoline_kernelINS0_14default_configENS1_38merge_sort_block_merge_config_selectorIfNS0_10empty_typeEEEZZNS1_27merge_sort_block_merge_implIS3_PfPS5_jNS1_19radix_merge_compareILb1ELb0EfNS0_19identity_decomposerEEEEE10hipError_tT0_T1_T2_jT3_P12ihipStream_tbPNSt15iterator_traitsISE_E10value_typeEPNSK_ISF_E10value_typeEPSG_NS1_7vsmem_tEENKUlT_SE_SF_SG_E_clIS8_S8_S9_S9_EESD_ST_SE_SF_SG_EUlST_E_NS1_11comp_targetILNS1_3genE4ELNS1_11target_archE910ELNS1_3gpuE8ELNS1_3repE0EEENS1_48merge_mergepath_partition_config_static_selectorELNS0_4arch9wavefront6targetE1EEEvSF_,"axG",@progbits,_ZN7rocprim17ROCPRIM_400000_NS6detail17trampoline_kernelINS0_14default_configENS1_38merge_sort_block_merge_config_selectorIfNS0_10empty_typeEEEZZNS1_27merge_sort_block_merge_implIS3_PfPS5_jNS1_19radix_merge_compareILb1ELb0EfNS0_19identity_decomposerEEEEE10hipError_tT0_T1_T2_jT3_P12ihipStream_tbPNSt15iterator_traitsISE_E10value_typeEPNSK_ISF_E10value_typeEPSG_NS1_7vsmem_tEENKUlT_SE_SF_SG_E_clIS8_S8_S9_S9_EESD_ST_SE_SF_SG_EUlST_E_NS1_11comp_targetILNS1_3genE4ELNS1_11target_archE910ELNS1_3gpuE8ELNS1_3repE0EEENS1_48merge_mergepath_partition_config_static_selectorELNS0_4arch9wavefront6targetE1EEEvSF_,comdat
.Lfunc_end2507:
	.size	_ZN7rocprim17ROCPRIM_400000_NS6detail17trampoline_kernelINS0_14default_configENS1_38merge_sort_block_merge_config_selectorIfNS0_10empty_typeEEEZZNS1_27merge_sort_block_merge_implIS3_PfPS5_jNS1_19radix_merge_compareILb1ELb0EfNS0_19identity_decomposerEEEEE10hipError_tT0_T1_T2_jT3_P12ihipStream_tbPNSt15iterator_traitsISE_E10value_typeEPNSK_ISF_E10value_typeEPSG_NS1_7vsmem_tEENKUlT_SE_SF_SG_E_clIS8_S8_S9_S9_EESD_ST_SE_SF_SG_EUlST_E_NS1_11comp_targetILNS1_3genE4ELNS1_11target_archE910ELNS1_3gpuE8ELNS1_3repE0EEENS1_48merge_mergepath_partition_config_static_selectorELNS0_4arch9wavefront6targetE1EEEvSF_, .Lfunc_end2507-_ZN7rocprim17ROCPRIM_400000_NS6detail17trampoline_kernelINS0_14default_configENS1_38merge_sort_block_merge_config_selectorIfNS0_10empty_typeEEEZZNS1_27merge_sort_block_merge_implIS3_PfPS5_jNS1_19radix_merge_compareILb1ELb0EfNS0_19identity_decomposerEEEEE10hipError_tT0_T1_T2_jT3_P12ihipStream_tbPNSt15iterator_traitsISE_E10value_typeEPNSK_ISF_E10value_typeEPSG_NS1_7vsmem_tEENKUlT_SE_SF_SG_E_clIS8_S8_S9_S9_EESD_ST_SE_SF_SG_EUlST_E_NS1_11comp_targetILNS1_3genE4ELNS1_11target_archE910ELNS1_3gpuE8ELNS1_3repE0EEENS1_48merge_mergepath_partition_config_static_selectorELNS0_4arch9wavefront6targetE1EEEvSF_
                                        ; -- End function
	.section	.AMDGPU.csdata,"",@progbits
; Kernel info:
; codeLenInByte = 400
; NumSgprs: 12
; NumVgprs: 18
; NumAgprs: 0
; TotalNumVgprs: 18
; ScratchSize: 0
; MemoryBound: 0
; FloatMode: 240
; IeeeMode: 1
; LDSByteSize: 0 bytes/workgroup (compile time only)
; SGPRBlocks: 1
; VGPRBlocks: 2
; NumSGPRsForWavesPerEU: 12
; NumVGPRsForWavesPerEU: 18
; AccumOffset: 20
; Occupancy: 8
; WaveLimiterHint : 0
; COMPUTE_PGM_RSRC2:SCRATCH_EN: 0
; COMPUTE_PGM_RSRC2:USER_SGPR: 6
; COMPUTE_PGM_RSRC2:TRAP_HANDLER: 0
; COMPUTE_PGM_RSRC2:TGID_X_EN: 1
; COMPUTE_PGM_RSRC2:TGID_Y_EN: 0
; COMPUTE_PGM_RSRC2:TGID_Z_EN: 0
; COMPUTE_PGM_RSRC2:TIDIG_COMP_CNT: 0
; COMPUTE_PGM_RSRC3_GFX90A:ACCUM_OFFSET: 4
; COMPUTE_PGM_RSRC3_GFX90A:TG_SPLIT: 0
	.section	.text._ZN7rocprim17ROCPRIM_400000_NS6detail17trampoline_kernelINS0_14default_configENS1_38merge_sort_block_merge_config_selectorIfNS0_10empty_typeEEEZZNS1_27merge_sort_block_merge_implIS3_PfPS5_jNS1_19radix_merge_compareILb1ELb0EfNS0_19identity_decomposerEEEEE10hipError_tT0_T1_T2_jT3_P12ihipStream_tbPNSt15iterator_traitsISE_E10value_typeEPNSK_ISF_E10value_typeEPSG_NS1_7vsmem_tEENKUlT_SE_SF_SG_E_clIS8_S8_S9_S9_EESD_ST_SE_SF_SG_EUlST_E_NS1_11comp_targetILNS1_3genE3ELNS1_11target_archE908ELNS1_3gpuE7ELNS1_3repE0EEENS1_48merge_mergepath_partition_config_static_selectorELNS0_4arch9wavefront6targetE1EEEvSF_,"axG",@progbits,_ZN7rocprim17ROCPRIM_400000_NS6detail17trampoline_kernelINS0_14default_configENS1_38merge_sort_block_merge_config_selectorIfNS0_10empty_typeEEEZZNS1_27merge_sort_block_merge_implIS3_PfPS5_jNS1_19radix_merge_compareILb1ELb0EfNS0_19identity_decomposerEEEEE10hipError_tT0_T1_T2_jT3_P12ihipStream_tbPNSt15iterator_traitsISE_E10value_typeEPNSK_ISF_E10value_typeEPSG_NS1_7vsmem_tEENKUlT_SE_SF_SG_E_clIS8_S8_S9_S9_EESD_ST_SE_SF_SG_EUlST_E_NS1_11comp_targetILNS1_3genE3ELNS1_11target_archE908ELNS1_3gpuE7ELNS1_3repE0EEENS1_48merge_mergepath_partition_config_static_selectorELNS0_4arch9wavefront6targetE1EEEvSF_,comdat
	.protected	_ZN7rocprim17ROCPRIM_400000_NS6detail17trampoline_kernelINS0_14default_configENS1_38merge_sort_block_merge_config_selectorIfNS0_10empty_typeEEEZZNS1_27merge_sort_block_merge_implIS3_PfPS5_jNS1_19radix_merge_compareILb1ELb0EfNS0_19identity_decomposerEEEEE10hipError_tT0_T1_T2_jT3_P12ihipStream_tbPNSt15iterator_traitsISE_E10value_typeEPNSK_ISF_E10value_typeEPSG_NS1_7vsmem_tEENKUlT_SE_SF_SG_E_clIS8_S8_S9_S9_EESD_ST_SE_SF_SG_EUlST_E_NS1_11comp_targetILNS1_3genE3ELNS1_11target_archE908ELNS1_3gpuE7ELNS1_3repE0EEENS1_48merge_mergepath_partition_config_static_selectorELNS0_4arch9wavefront6targetE1EEEvSF_ ; -- Begin function _ZN7rocprim17ROCPRIM_400000_NS6detail17trampoline_kernelINS0_14default_configENS1_38merge_sort_block_merge_config_selectorIfNS0_10empty_typeEEEZZNS1_27merge_sort_block_merge_implIS3_PfPS5_jNS1_19radix_merge_compareILb1ELb0EfNS0_19identity_decomposerEEEEE10hipError_tT0_T1_T2_jT3_P12ihipStream_tbPNSt15iterator_traitsISE_E10value_typeEPNSK_ISF_E10value_typeEPSG_NS1_7vsmem_tEENKUlT_SE_SF_SG_E_clIS8_S8_S9_S9_EESD_ST_SE_SF_SG_EUlST_E_NS1_11comp_targetILNS1_3genE3ELNS1_11target_archE908ELNS1_3gpuE7ELNS1_3repE0EEENS1_48merge_mergepath_partition_config_static_selectorELNS0_4arch9wavefront6targetE1EEEvSF_
	.globl	_ZN7rocprim17ROCPRIM_400000_NS6detail17trampoline_kernelINS0_14default_configENS1_38merge_sort_block_merge_config_selectorIfNS0_10empty_typeEEEZZNS1_27merge_sort_block_merge_implIS3_PfPS5_jNS1_19radix_merge_compareILb1ELb0EfNS0_19identity_decomposerEEEEE10hipError_tT0_T1_T2_jT3_P12ihipStream_tbPNSt15iterator_traitsISE_E10value_typeEPNSK_ISF_E10value_typeEPSG_NS1_7vsmem_tEENKUlT_SE_SF_SG_E_clIS8_S8_S9_S9_EESD_ST_SE_SF_SG_EUlST_E_NS1_11comp_targetILNS1_3genE3ELNS1_11target_archE908ELNS1_3gpuE7ELNS1_3repE0EEENS1_48merge_mergepath_partition_config_static_selectorELNS0_4arch9wavefront6targetE1EEEvSF_
	.p2align	8
	.type	_ZN7rocprim17ROCPRIM_400000_NS6detail17trampoline_kernelINS0_14default_configENS1_38merge_sort_block_merge_config_selectorIfNS0_10empty_typeEEEZZNS1_27merge_sort_block_merge_implIS3_PfPS5_jNS1_19radix_merge_compareILb1ELb0EfNS0_19identity_decomposerEEEEE10hipError_tT0_T1_T2_jT3_P12ihipStream_tbPNSt15iterator_traitsISE_E10value_typeEPNSK_ISF_E10value_typeEPSG_NS1_7vsmem_tEENKUlT_SE_SF_SG_E_clIS8_S8_S9_S9_EESD_ST_SE_SF_SG_EUlST_E_NS1_11comp_targetILNS1_3genE3ELNS1_11target_archE908ELNS1_3gpuE7ELNS1_3repE0EEENS1_48merge_mergepath_partition_config_static_selectorELNS0_4arch9wavefront6targetE1EEEvSF_,@function
_ZN7rocprim17ROCPRIM_400000_NS6detail17trampoline_kernelINS0_14default_configENS1_38merge_sort_block_merge_config_selectorIfNS0_10empty_typeEEEZZNS1_27merge_sort_block_merge_implIS3_PfPS5_jNS1_19radix_merge_compareILb1ELb0EfNS0_19identity_decomposerEEEEE10hipError_tT0_T1_T2_jT3_P12ihipStream_tbPNSt15iterator_traitsISE_E10value_typeEPNSK_ISF_E10value_typeEPSG_NS1_7vsmem_tEENKUlT_SE_SF_SG_E_clIS8_S8_S9_S9_EESD_ST_SE_SF_SG_EUlST_E_NS1_11comp_targetILNS1_3genE3ELNS1_11target_archE908ELNS1_3gpuE7ELNS1_3repE0EEENS1_48merge_mergepath_partition_config_static_selectorELNS0_4arch9wavefront6targetE1EEEvSF_: ; @_ZN7rocprim17ROCPRIM_400000_NS6detail17trampoline_kernelINS0_14default_configENS1_38merge_sort_block_merge_config_selectorIfNS0_10empty_typeEEEZZNS1_27merge_sort_block_merge_implIS3_PfPS5_jNS1_19radix_merge_compareILb1ELb0EfNS0_19identity_decomposerEEEEE10hipError_tT0_T1_T2_jT3_P12ihipStream_tbPNSt15iterator_traitsISE_E10value_typeEPNSK_ISF_E10value_typeEPSG_NS1_7vsmem_tEENKUlT_SE_SF_SG_E_clIS8_S8_S9_S9_EESD_ST_SE_SF_SG_EUlST_E_NS1_11comp_targetILNS1_3genE3ELNS1_11target_archE908ELNS1_3gpuE7ELNS1_3repE0EEENS1_48merge_mergepath_partition_config_static_selectorELNS0_4arch9wavefront6targetE1EEEvSF_
; %bb.0:
	.section	.rodata,"a",@progbits
	.p2align	6, 0x0
	.amdhsa_kernel _ZN7rocprim17ROCPRIM_400000_NS6detail17trampoline_kernelINS0_14default_configENS1_38merge_sort_block_merge_config_selectorIfNS0_10empty_typeEEEZZNS1_27merge_sort_block_merge_implIS3_PfPS5_jNS1_19radix_merge_compareILb1ELb0EfNS0_19identity_decomposerEEEEE10hipError_tT0_T1_T2_jT3_P12ihipStream_tbPNSt15iterator_traitsISE_E10value_typeEPNSK_ISF_E10value_typeEPSG_NS1_7vsmem_tEENKUlT_SE_SF_SG_E_clIS8_S8_S9_S9_EESD_ST_SE_SF_SG_EUlST_E_NS1_11comp_targetILNS1_3genE3ELNS1_11target_archE908ELNS1_3gpuE7ELNS1_3repE0EEENS1_48merge_mergepath_partition_config_static_selectorELNS0_4arch9wavefront6targetE1EEEvSF_
		.amdhsa_group_segment_fixed_size 0
		.amdhsa_private_segment_fixed_size 0
		.amdhsa_kernarg_size 40
		.amdhsa_user_sgpr_count 6
		.amdhsa_user_sgpr_private_segment_buffer 1
		.amdhsa_user_sgpr_dispatch_ptr 0
		.amdhsa_user_sgpr_queue_ptr 0
		.amdhsa_user_sgpr_kernarg_segment_ptr 1
		.amdhsa_user_sgpr_dispatch_id 0
		.amdhsa_user_sgpr_flat_scratch_init 0
		.amdhsa_user_sgpr_kernarg_preload_length 0
		.amdhsa_user_sgpr_kernarg_preload_offset 0
		.amdhsa_user_sgpr_private_segment_size 0
		.amdhsa_uses_dynamic_stack 0
		.amdhsa_system_sgpr_private_segment_wavefront_offset 0
		.amdhsa_system_sgpr_workgroup_id_x 1
		.amdhsa_system_sgpr_workgroup_id_y 0
		.amdhsa_system_sgpr_workgroup_id_z 0
		.amdhsa_system_sgpr_workgroup_info 0
		.amdhsa_system_vgpr_workitem_id 0
		.amdhsa_next_free_vgpr 1
		.amdhsa_next_free_sgpr 0
		.amdhsa_accum_offset 4
		.amdhsa_reserve_vcc 0
		.amdhsa_reserve_flat_scratch 0
		.amdhsa_float_round_mode_32 0
		.amdhsa_float_round_mode_16_64 0
		.amdhsa_float_denorm_mode_32 3
		.amdhsa_float_denorm_mode_16_64 3
		.amdhsa_dx10_clamp 1
		.amdhsa_ieee_mode 1
		.amdhsa_fp16_overflow 0
		.amdhsa_tg_split 0
		.amdhsa_exception_fp_ieee_invalid_op 0
		.amdhsa_exception_fp_denorm_src 0
		.amdhsa_exception_fp_ieee_div_zero 0
		.amdhsa_exception_fp_ieee_overflow 0
		.amdhsa_exception_fp_ieee_underflow 0
		.amdhsa_exception_fp_ieee_inexact 0
		.amdhsa_exception_int_div_zero 0
	.end_amdhsa_kernel
	.section	.text._ZN7rocprim17ROCPRIM_400000_NS6detail17trampoline_kernelINS0_14default_configENS1_38merge_sort_block_merge_config_selectorIfNS0_10empty_typeEEEZZNS1_27merge_sort_block_merge_implIS3_PfPS5_jNS1_19radix_merge_compareILb1ELb0EfNS0_19identity_decomposerEEEEE10hipError_tT0_T1_T2_jT3_P12ihipStream_tbPNSt15iterator_traitsISE_E10value_typeEPNSK_ISF_E10value_typeEPSG_NS1_7vsmem_tEENKUlT_SE_SF_SG_E_clIS8_S8_S9_S9_EESD_ST_SE_SF_SG_EUlST_E_NS1_11comp_targetILNS1_3genE3ELNS1_11target_archE908ELNS1_3gpuE7ELNS1_3repE0EEENS1_48merge_mergepath_partition_config_static_selectorELNS0_4arch9wavefront6targetE1EEEvSF_,"axG",@progbits,_ZN7rocprim17ROCPRIM_400000_NS6detail17trampoline_kernelINS0_14default_configENS1_38merge_sort_block_merge_config_selectorIfNS0_10empty_typeEEEZZNS1_27merge_sort_block_merge_implIS3_PfPS5_jNS1_19radix_merge_compareILb1ELb0EfNS0_19identity_decomposerEEEEE10hipError_tT0_T1_T2_jT3_P12ihipStream_tbPNSt15iterator_traitsISE_E10value_typeEPNSK_ISF_E10value_typeEPSG_NS1_7vsmem_tEENKUlT_SE_SF_SG_E_clIS8_S8_S9_S9_EESD_ST_SE_SF_SG_EUlST_E_NS1_11comp_targetILNS1_3genE3ELNS1_11target_archE908ELNS1_3gpuE7ELNS1_3repE0EEENS1_48merge_mergepath_partition_config_static_selectorELNS0_4arch9wavefront6targetE1EEEvSF_,comdat
.Lfunc_end2508:
	.size	_ZN7rocprim17ROCPRIM_400000_NS6detail17trampoline_kernelINS0_14default_configENS1_38merge_sort_block_merge_config_selectorIfNS0_10empty_typeEEEZZNS1_27merge_sort_block_merge_implIS3_PfPS5_jNS1_19radix_merge_compareILb1ELb0EfNS0_19identity_decomposerEEEEE10hipError_tT0_T1_T2_jT3_P12ihipStream_tbPNSt15iterator_traitsISE_E10value_typeEPNSK_ISF_E10value_typeEPSG_NS1_7vsmem_tEENKUlT_SE_SF_SG_E_clIS8_S8_S9_S9_EESD_ST_SE_SF_SG_EUlST_E_NS1_11comp_targetILNS1_3genE3ELNS1_11target_archE908ELNS1_3gpuE7ELNS1_3repE0EEENS1_48merge_mergepath_partition_config_static_selectorELNS0_4arch9wavefront6targetE1EEEvSF_, .Lfunc_end2508-_ZN7rocprim17ROCPRIM_400000_NS6detail17trampoline_kernelINS0_14default_configENS1_38merge_sort_block_merge_config_selectorIfNS0_10empty_typeEEEZZNS1_27merge_sort_block_merge_implIS3_PfPS5_jNS1_19radix_merge_compareILb1ELb0EfNS0_19identity_decomposerEEEEE10hipError_tT0_T1_T2_jT3_P12ihipStream_tbPNSt15iterator_traitsISE_E10value_typeEPNSK_ISF_E10value_typeEPSG_NS1_7vsmem_tEENKUlT_SE_SF_SG_E_clIS8_S8_S9_S9_EESD_ST_SE_SF_SG_EUlST_E_NS1_11comp_targetILNS1_3genE3ELNS1_11target_archE908ELNS1_3gpuE7ELNS1_3repE0EEENS1_48merge_mergepath_partition_config_static_selectorELNS0_4arch9wavefront6targetE1EEEvSF_
                                        ; -- End function
	.section	.AMDGPU.csdata,"",@progbits
; Kernel info:
; codeLenInByte = 0
; NumSgprs: 4
; NumVgprs: 0
; NumAgprs: 0
; TotalNumVgprs: 0
; ScratchSize: 0
; MemoryBound: 0
; FloatMode: 240
; IeeeMode: 1
; LDSByteSize: 0 bytes/workgroup (compile time only)
; SGPRBlocks: 0
; VGPRBlocks: 0
; NumSGPRsForWavesPerEU: 4
; NumVGPRsForWavesPerEU: 1
; AccumOffset: 4
; Occupancy: 8
; WaveLimiterHint : 0
; COMPUTE_PGM_RSRC2:SCRATCH_EN: 0
; COMPUTE_PGM_RSRC2:USER_SGPR: 6
; COMPUTE_PGM_RSRC2:TRAP_HANDLER: 0
; COMPUTE_PGM_RSRC2:TGID_X_EN: 1
; COMPUTE_PGM_RSRC2:TGID_Y_EN: 0
; COMPUTE_PGM_RSRC2:TGID_Z_EN: 0
; COMPUTE_PGM_RSRC2:TIDIG_COMP_CNT: 0
; COMPUTE_PGM_RSRC3_GFX90A:ACCUM_OFFSET: 0
; COMPUTE_PGM_RSRC3_GFX90A:TG_SPLIT: 0
	.section	.text._ZN7rocprim17ROCPRIM_400000_NS6detail17trampoline_kernelINS0_14default_configENS1_38merge_sort_block_merge_config_selectorIfNS0_10empty_typeEEEZZNS1_27merge_sort_block_merge_implIS3_PfPS5_jNS1_19radix_merge_compareILb1ELb0EfNS0_19identity_decomposerEEEEE10hipError_tT0_T1_T2_jT3_P12ihipStream_tbPNSt15iterator_traitsISE_E10value_typeEPNSK_ISF_E10value_typeEPSG_NS1_7vsmem_tEENKUlT_SE_SF_SG_E_clIS8_S8_S9_S9_EESD_ST_SE_SF_SG_EUlST_E_NS1_11comp_targetILNS1_3genE2ELNS1_11target_archE906ELNS1_3gpuE6ELNS1_3repE0EEENS1_48merge_mergepath_partition_config_static_selectorELNS0_4arch9wavefront6targetE1EEEvSF_,"axG",@progbits,_ZN7rocprim17ROCPRIM_400000_NS6detail17trampoline_kernelINS0_14default_configENS1_38merge_sort_block_merge_config_selectorIfNS0_10empty_typeEEEZZNS1_27merge_sort_block_merge_implIS3_PfPS5_jNS1_19radix_merge_compareILb1ELb0EfNS0_19identity_decomposerEEEEE10hipError_tT0_T1_T2_jT3_P12ihipStream_tbPNSt15iterator_traitsISE_E10value_typeEPNSK_ISF_E10value_typeEPSG_NS1_7vsmem_tEENKUlT_SE_SF_SG_E_clIS8_S8_S9_S9_EESD_ST_SE_SF_SG_EUlST_E_NS1_11comp_targetILNS1_3genE2ELNS1_11target_archE906ELNS1_3gpuE6ELNS1_3repE0EEENS1_48merge_mergepath_partition_config_static_selectorELNS0_4arch9wavefront6targetE1EEEvSF_,comdat
	.protected	_ZN7rocprim17ROCPRIM_400000_NS6detail17trampoline_kernelINS0_14default_configENS1_38merge_sort_block_merge_config_selectorIfNS0_10empty_typeEEEZZNS1_27merge_sort_block_merge_implIS3_PfPS5_jNS1_19radix_merge_compareILb1ELb0EfNS0_19identity_decomposerEEEEE10hipError_tT0_T1_T2_jT3_P12ihipStream_tbPNSt15iterator_traitsISE_E10value_typeEPNSK_ISF_E10value_typeEPSG_NS1_7vsmem_tEENKUlT_SE_SF_SG_E_clIS8_S8_S9_S9_EESD_ST_SE_SF_SG_EUlST_E_NS1_11comp_targetILNS1_3genE2ELNS1_11target_archE906ELNS1_3gpuE6ELNS1_3repE0EEENS1_48merge_mergepath_partition_config_static_selectorELNS0_4arch9wavefront6targetE1EEEvSF_ ; -- Begin function _ZN7rocprim17ROCPRIM_400000_NS6detail17trampoline_kernelINS0_14default_configENS1_38merge_sort_block_merge_config_selectorIfNS0_10empty_typeEEEZZNS1_27merge_sort_block_merge_implIS3_PfPS5_jNS1_19radix_merge_compareILb1ELb0EfNS0_19identity_decomposerEEEEE10hipError_tT0_T1_T2_jT3_P12ihipStream_tbPNSt15iterator_traitsISE_E10value_typeEPNSK_ISF_E10value_typeEPSG_NS1_7vsmem_tEENKUlT_SE_SF_SG_E_clIS8_S8_S9_S9_EESD_ST_SE_SF_SG_EUlST_E_NS1_11comp_targetILNS1_3genE2ELNS1_11target_archE906ELNS1_3gpuE6ELNS1_3repE0EEENS1_48merge_mergepath_partition_config_static_selectorELNS0_4arch9wavefront6targetE1EEEvSF_
	.globl	_ZN7rocprim17ROCPRIM_400000_NS6detail17trampoline_kernelINS0_14default_configENS1_38merge_sort_block_merge_config_selectorIfNS0_10empty_typeEEEZZNS1_27merge_sort_block_merge_implIS3_PfPS5_jNS1_19radix_merge_compareILb1ELb0EfNS0_19identity_decomposerEEEEE10hipError_tT0_T1_T2_jT3_P12ihipStream_tbPNSt15iterator_traitsISE_E10value_typeEPNSK_ISF_E10value_typeEPSG_NS1_7vsmem_tEENKUlT_SE_SF_SG_E_clIS8_S8_S9_S9_EESD_ST_SE_SF_SG_EUlST_E_NS1_11comp_targetILNS1_3genE2ELNS1_11target_archE906ELNS1_3gpuE6ELNS1_3repE0EEENS1_48merge_mergepath_partition_config_static_selectorELNS0_4arch9wavefront6targetE1EEEvSF_
	.p2align	8
	.type	_ZN7rocprim17ROCPRIM_400000_NS6detail17trampoline_kernelINS0_14default_configENS1_38merge_sort_block_merge_config_selectorIfNS0_10empty_typeEEEZZNS1_27merge_sort_block_merge_implIS3_PfPS5_jNS1_19radix_merge_compareILb1ELb0EfNS0_19identity_decomposerEEEEE10hipError_tT0_T1_T2_jT3_P12ihipStream_tbPNSt15iterator_traitsISE_E10value_typeEPNSK_ISF_E10value_typeEPSG_NS1_7vsmem_tEENKUlT_SE_SF_SG_E_clIS8_S8_S9_S9_EESD_ST_SE_SF_SG_EUlST_E_NS1_11comp_targetILNS1_3genE2ELNS1_11target_archE906ELNS1_3gpuE6ELNS1_3repE0EEENS1_48merge_mergepath_partition_config_static_selectorELNS0_4arch9wavefront6targetE1EEEvSF_,@function
_ZN7rocprim17ROCPRIM_400000_NS6detail17trampoline_kernelINS0_14default_configENS1_38merge_sort_block_merge_config_selectorIfNS0_10empty_typeEEEZZNS1_27merge_sort_block_merge_implIS3_PfPS5_jNS1_19radix_merge_compareILb1ELb0EfNS0_19identity_decomposerEEEEE10hipError_tT0_T1_T2_jT3_P12ihipStream_tbPNSt15iterator_traitsISE_E10value_typeEPNSK_ISF_E10value_typeEPSG_NS1_7vsmem_tEENKUlT_SE_SF_SG_E_clIS8_S8_S9_S9_EESD_ST_SE_SF_SG_EUlST_E_NS1_11comp_targetILNS1_3genE2ELNS1_11target_archE906ELNS1_3gpuE6ELNS1_3repE0EEENS1_48merge_mergepath_partition_config_static_selectorELNS0_4arch9wavefront6targetE1EEEvSF_: ; @_ZN7rocprim17ROCPRIM_400000_NS6detail17trampoline_kernelINS0_14default_configENS1_38merge_sort_block_merge_config_selectorIfNS0_10empty_typeEEEZZNS1_27merge_sort_block_merge_implIS3_PfPS5_jNS1_19radix_merge_compareILb1ELb0EfNS0_19identity_decomposerEEEEE10hipError_tT0_T1_T2_jT3_P12ihipStream_tbPNSt15iterator_traitsISE_E10value_typeEPNSK_ISF_E10value_typeEPSG_NS1_7vsmem_tEENKUlT_SE_SF_SG_E_clIS8_S8_S9_S9_EESD_ST_SE_SF_SG_EUlST_E_NS1_11comp_targetILNS1_3genE2ELNS1_11target_archE906ELNS1_3gpuE6ELNS1_3repE0EEENS1_48merge_mergepath_partition_config_static_selectorELNS0_4arch9wavefront6targetE1EEEvSF_
; %bb.0:
	.section	.rodata,"a",@progbits
	.p2align	6, 0x0
	.amdhsa_kernel _ZN7rocprim17ROCPRIM_400000_NS6detail17trampoline_kernelINS0_14default_configENS1_38merge_sort_block_merge_config_selectorIfNS0_10empty_typeEEEZZNS1_27merge_sort_block_merge_implIS3_PfPS5_jNS1_19radix_merge_compareILb1ELb0EfNS0_19identity_decomposerEEEEE10hipError_tT0_T1_T2_jT3_P12ihipStream_tbPNSt15iterator_traitsISE_E10value_typeEPNSK_ISF_E10value_typeEPSG_NS1_7vsmem_tEENKUlT_SE_SF_SG_E_clIS8_S8_S9_S9_EESD_ST_SE_SF_SG_EUlST_E_NS1_11comp_targetILNS1_3genE2ELNS1_11target_archE906ELNS1_3gpuE6ELNS1_3repE0EEENS1_48merge_mergepath_partition_config_static_selectorELNS0_4arch9wavefront6targetE1EEEvSF_
		.amdhsa_group_segment_fixed_size 0
		.amdhsa_private_segment_fixed_size 0
		.amdhsa_kernarg_size 40
		.amdhsa_user_sgpr_count 6
		.amdhsa_user_sgpr_private_segment_buffer 1
		.amdhsa_user_sgpr_dispatch_ptr 0
		.amdhsa_user_sgpr_queue_ptr 0
		.amdhsa_user_sgpr_kernarg_segment_ptr 1
		.amdhsa_user_sgpr_dispatch_id 0
		.amdhsa_user_sgpr_flat_scratch_init 0
		.amdhsa_user_sgpr_kernarg_preload_length 0
		.amdhsa_user_sgpr_kernarg_preload_offset 0
		.amdhsa_user_sgpr_private_segment_size 0
		.amdhsa_uses_dynamic_stack 0
		.amdhsa_system_sgpr_private_segment_wavefront_offset 0
		.amdhsa_system_sgpr_workgroup_id_x 1
		.amdhsa_system_sgpr_workgroup_id_y 0
		.amdhsa_system_sgpr_workgroup_id_z 0
		.amdhsa_system_sgpr_workgroup_info 0
		.amdhsa_system_vgpr_workitem_id 0
		.amdhsa_next_free_vgpr 1
		.amdhsa_next_free_sgpr 0
		.amdhsa_accum_offset 4
		.amdhsa_reserve_vcc 0
		.amdhsa_reserve_flat_scratch 0
		.amdhsa_float_round_mode_32 0
		.amdhsa_float_round_mode_16_64 0
		.amdhsa_float_denorm_mode_32 3
		.amdhsa_float_denorm_mode_16_64 3
		.amdhsa_dx10_clamp 1
		.amdhsa_ieee_mode 1
		.amdhsa_fp16_overflow 0
		.amdhsa_tg_split 0
		.amdhsa_exception_fp_ieee_invalid_op 0
		.amdhsa_exception_fp_denorm_src 0
		.amdhsa_exception_fp_ieee_div_zero 0
		.amdhsa_exception_fp_ieee_overflow 0
		.amdhsa_exception_fp_ieee_underflow 0
		.amdhsa_exception_fp_ieee_inexact 0
		.amdhsa_exception_int_div_zero 0
	.end_amdhsa_kernel
	.section	.text._ZN7rocprim17ROCPRIM_400000_NS6detail17trampoline_kernelINS0_14default_configENS1_38merge_sort_block_merge_config_selectorIfNS0_10empty_typeEEEZZNS1_27merge_sort_block_merge_implIS3_PfPS5_jNS1_19radix_merge_compareILb1ELb0EfNS0_19identity_decomposerEEEEE10hipError_tT0_T1_T2_jT3_P12ihipStream_tbPNSt15iterator_traitsISE_E10value_typeEPNSK_ISF_E10value_typeEPSG_NS1_7vsmem_tEENKUlT_SE_SF_SG_E_clIS8_S8_S9_S9_EESD_ST_SE_SF_SG_EUlST_E_NS1_11comp_targetILNS1_3genE2ELNS1_11target_archE906ELNS1_3gpuE6ELNS1_3repE0EEENS1_48merge_mergepath_partition_config_static_selectorELNS0_4arch9wavefront6targetE1EEEvSF_,"axG",@progbits,_ZN7rocprim17ROCPRIM_400000_NS6detail17trampoline_kernelINS0_14default_configENS1_38merge_sort_block_merge_config_selectorIfNS0_10empty_typeEEEZZNS1_27merge_sort_block_merge_implIS3_PfPS5_jNS1_19radix_merge_compareILb1ELb0EfNS0_19identity_decomposerEEEEE10hipError_tT0_T1_T2_jT3_P12ihipStream_tbPNSt15iterator_traitsISE_E10value_typeEPNSK_ISF_E10value_typeEPSG_NS1_7vsmem_tEENKUlT_SE_SF_SG_E_clIS8_S8_S9_S9_EESD_ST_SE_SF_SG_EUlST_E_NS1_11comp_targetILNS1_3genE2ELNS1_11target_archE906ELNS1_3gpuE6ELNS1_3repE0EEENS1_48merge_mergepath_partition_config_static_selectorELNS0_4arch9wavefront6targetE1EEEvSF_,comdat
.Lfunc_end2509:
	.size	_ZN7rocprim17ROCPRIM_400000_NS6detail17trampoline_kernelINS0_14default_configENS1_38merge_sort_block_merge_config_selectorIfNS0_10empty_typeEEEZZNS1_27merge_sort_block_merge_implIS3_PfPS5_jNS1_19radix_merge_compareILb1ELb0EfNS0_19identity_decomposerEEEEE10hipError_tT0_T1_T2_jT3_P12ihipStream_tbPNSt15iterator_traitsISE_E10value_typeEPNSK_ISF_E10value_typeEPSG_NS1_7vsmem_tEENKUlT_SE_SF_SG_E_clIS8_S8_S9_S9_EESD_ST_SE_SF_SG_EUlST_E_NS1_11comp_targetILNS1_3genE2ELNS1_11target_archE906ELNS1_3gpuE6ELNS1_3repE0EEENS1_48merge_mergepath_partition_config_static_selectorELNS0_4arch9wavefront6targetE1EEEvSF_, .Lfunc_end2509-_ZN7rocprim17ROCPRIM_400000_NS6detail17trampoline_kernelINS0_14default_configENS1_38merge_sort_block_merge_config_selectorIfNS0_10empty_typeEEEZZNS1_27merge_sort_block_merge_implIS3_PfPS5_jNS1_19radix_merge_compareILb1ELb0EfNS0_19identity_decomposerEEEEE10hipError_tT0_T1_T2_jT3_P12ihipStream_tbPNSt15iterator_traitsISE_E10value_typeEPNSK_ISF_E10value_typeEPSG_NS1_7vsmem_tEENKUlT_SE_SF_SG_E_clIS8_S8_S9_S9_EESD_ST_SE_SF_SG_EUlST_E_NS1_11comp_targetILNS1_3genE2ELNS1_11target_archE906ELNS1_3gpuE6ELNS1_3repE0EEENS1_48merge_mergepath_partition_config_static_selectorELNS0_4arch9wavefront6targetE1EEEvSF_
                                        ; -- End function
	.section	.AMDGPU.csdata,"",@progbits
; Kernel info:
; codeLenInByte = 0
; NumSgprs: 4
; NumVgprs: 0
; NumAgprs: 0
; TotalNumVgprs: 0
; ScratchSize: 0
; MemoryBound: 0
; FloatMode: 240
; IeeeMode: 1
; LDSByteSize: 0 bytes/workgroup (compile time only)
; SGPRBlocks: 0
; VGPRBlocks: 0
; NumSGPRsForWavesPerEU: 4
; NumVGPRsForWavesPerEU: 1
; AccumOffset: 4
; Occupancy: 8
; WaveLimiterHint : 0
; COMPUTE_PGM_RSRC2:SCRATCH_EN: 0
; COMPUTE_PGM_RSRC2:USER_SGPR: 6
; COMPUTE_PGM_RSRC2:TRAP_HANDLER: 0
; COMPUTE_PGM_RSRC2:TGID_X_EN: 1
; COMPUTE_PGM_RSRC2:TGID_Y_EN: 0
; COMPUTE_PGM_RSRC2:TGID_Z_EN: 0
; COMPUTE_PGM_RSRC2:TIDIG_COMP_CNT: 0
; COMPUTE_PGM_RSRC3_GFX90A:ACCUM_OFFSET: 0
; COMPUTE_PGM_RSRC3_GFX90A:TG_SPLIT: 0
	.section	.text._ZN7rocprim17ROCPRIM_400000_NS6detail17trampoline_kernelINS0_14default_configENS1_38merge_sort_block_merge_config_selectorIfNS0_10empty_typeEEEZZNS1_27merge_sort_block_merge_implIS3_PfPS5_jNS1_19radix_merge_compareILb1ELb0EfNS0_19identity_decomposerEEEEE10hipError_tT0_T1_T2_jT3_P12ihipStream_tbPNSt15iterator_traitsISE_E10value_typeEPNSK_ISF_E10value_typeEPSG_NS1_7vsmem_tEENKUlT_SE_SF_SG_E_clIS8_S8_S9_S9_EESD_ST_SE_SF_SG_EUlST_E_NS1_11comp_targetILNS1_3genE9ELNS1_11target_archE1100ELNS1_3gpuE3ELNS1_3repE0EEENS1_48merge_mergepath_partition_config_static_selectorELNS0_4arch9wavefront6targetE1EEEvSF_,"axG",@progbits,_ZN7rocprim17ROCPRIM_400000_NS6detail17trampoline_kernelINS0_14default_configENS1_38merge_sort_block_merge_config_selectorIfNS0_10empty_typeEEEZZNS1_27merge_sort_block_merge_implIS3_PfPS5_jNS1_19radix_merge_compareILb1ELb0EfNS0_19identity_decomposerEEEEE10hipError_tT0_T1_T2_jT3_P12ihipStream_tbPNSt15iterator_traitsISE_E10value_typeEPNSK_ISF_E10value_typeEPSG_NS1_7vsmem_tEENKUlT_SE_SF_SG_E_clIS8_S8_S9_S9_EESD_ST_SE_SF_SG_EUlST_E_NS1_11comp_targetILNS1_3genE9ELNS1_11target_archE1100ELNS1_3gpuE3ELNS1_3repE0EEENS1_48merge_mergepath_partition_config_static_selectorELNS0_4arch9wavefront6targetE1EEEvSF_,comdat
	.protected	_ZN7rocprim17ROCPRIM_400000_NS6detail17trampoline_kernelINS0_14default_configENS1_38merge_sort_block_merge_config_selectorIfNS0_10empty_typeEEEZZNS1_27merge_sort_block_merge_implIS3_PfPS5_jNS1_19radix_merge_compareILb1ELb0EfNS0_19identity_decomposerEEEEE10hipError_tT0_T1_T2_jT3_P12ihipStream_tbPNSt15iterator_traitsISE_E10value_typeEPNSK_ISF_E10value_typeEPSG_NS1_7vsmem_tEENKUlT_SE_SF_SG_E_clIS8_S8_S9_S9_EESD_ST_SE_SF_SG_EUlST_E_NS1_11comp_targetILNS1_3genE9ELNS1_11target_archE1100ELNS1_3gpuE3ELNS1_3repE0EEENS1_48merge_mergepath_partition_config_static_selectorELNS0_4arch9wavefront6targetE1EEEvSF_ ; -- Begin function _ZN7rocprim17ROCPRIM_400000_NS6detail17trampoline_kernelINS0_14default_configENS1_38merge_sort_block_merge_config_selectorIfNS0_10empty_typeEEEZZNS1_27merge_sort_block_merge_implIS3_PfPS5_jNS1_19radix_merge_compareILb1ELb0EfNS0_19identity_decomposerEEEEE10hipError_tT0_T1_T2_jT3_P12ihipStream_tbPNSt15iterator_traitsISE_E10value_typeEPNSK_ISF_E10value_typeEPSG_NS1_7vsmem_tEENKUlT_SE_SF_SG_E_clIS8_S8_S9_S9_EESD_ST_SE_SF_SG_EUlST_E_NS1_11comp_targetILNS1_3genE9ELNS1_11target_archE1100ELNS1_3gpuE3ELNS1_3repE0EEENS1_48merge_mergepath_partition_config_static_selectorELNS0_4arch9wavefront6targetE1EEEvSF_
	.globl	_ZN7rocprim17ROCPRIM_400000_NS6detail17trampoline_kernelINS0_14default_configENS1_38merge_sort_block_merge_config_selectorIfNS0_10empty_typeEEEZZNS1_27merge_sort_block_merge_implIS3_PfPS5_jNS1_19radix_merge_compareILb1ELb0EfNS0_19identity_decomposerEEEEE10hipError_tT0_T1_T2_jT3_P12ihipStream_tbPNSt15iterator_traitsISE_E10value_typeEPNSK_ISF_E10value_typeEPSG_NS1_7vsmem_tEENKUlT_SE_SF_SG_E_clIS8_S8_S9_S9_EESD_ST_SE_SF_SG_EUlST_E_NS1_11comp_targetILNS1_3genE9ELNS1_11target_archE1100ELNS1_3gpuE3ELNS1_3repE0EEENS1_48merge_mergepath_partition_config_static_selectorELNS0_4arch9wavefront6targetE1EEEvSF_
	.p2align	8
	.type	_ZN7rocprim17ROCPRIM_400000_NS6detail17trampoline_kernelINS0_14default_configENS1_38merge_sort_block_merge_config_selectorIfNS0_10empty_typeEEEZZNS1_27merge_sort_block_merge_implIS3_PfPS5_jNS1_19radix_merge_compareILb1ELb0EfNS0_19identity_decomposerEEEEE10hipError_tT0_T1_T2_jT3_P12ihipStream_tbPNSt15iterator_traitsISE_E10value_typeEPNSK_ISF_E10value_typeEPSG_NS1_7vsmem_tEENKUlT_SE_SF_SG_E_clIS8_S8_S9_S9_EESD_ST_SE_SF_SG_EUlST_E_NS1_11comp_targetILNS1_3genE9ELNS1_11target_archE1100ELNS1_3gpuE3ELNS1_3repE0EEENS1_48merge_mergepath_partition_config_static_selectorELNS0_4arch9wavefront6targetE1EEEvSF_,@function
_ZN7rocprim17ROCPRIM_400000_NS6detail17trampoline_kernelINS0_14default_configENS1_38merge_sort_block_merge_config_selectorIfNS0_10empty_typeEEEZZNS1_27merge_sort_block_merge_implIS3_PfPS5_jNS1_19radix_merge_compareILb1ELb0EfNS0_19identity_decomposerEEEEE10hipError_tT0_T1_T2_jT3_P12ihipStream_tbPNSt15iterator_traitsISE_E10value_typeEPNSK_ISF_E10value_typeEPSG_NS1_7vsmem_tEENKUlT_SE_SF_SG_E_clIS8_S8_S9_S9_EESD_ST_SE_SF_SG_EUlST_E_NS1_11comp_targetILNS1_3genE9ELNS1_11target_archE1100ELNS1_3gpuE3ELNS1_3repE0EEENS1_48merge_mergepath_partition_config_static_selectorELNS0_4arch9wavefront6targetE1EEEvSF_: ; @_ZN7rocprim17ROCPRIM_400000_NS6detail17trampoline_kernelINS0_14default_configENS1_38merge_sort_block_merge_config_selectorIfNS0_10empty_typeEEEZZNS1_27merge_sort_block_merge_implIS3_PfPS5_jNS1_19radix_merge_compareILb1ELb0EfNS0_19identity_decomposerEEEEE10hipError_tT0_T1_T2_jT3_P12ihipStream_tbPNSt15iterator_traitsISE_E10value_typeEPNSK_ISF_E10value_typeEPSG_NS1_7vsmem_tEENKUlT_SE_SF_SG_E_clIS8_S8_S9_S9_EESD_ST_SE_SF_SG_EUlST_E_NS1_11comp_targetILNS1_3genE9ELNS1_11target_archE1100ELNS1_3gpuE3ELNS1_3repE0EEENS1_48merge_mergepath_partition_config_static_selectorELNS0_4arch9wavefront6targetE1EEEvSF_
; %bb.0:
	.section	.rodata,"a",@progbits
	.p2align	6, 0x0
	.amdhsa_kernel _ZN7rocprim17ROCPRIM_400000_NS6detail17trampoline_kernelINS0_14default_configENS1_38merge_sort_block_merge_config_selectorIfNS0_10empty_typeEEEZZNS1_27merge_sort_block_merge_implIS3_PfPS5_jNS1_19radix_merge_compareILb1ELb0EfNS0_19identity_decomposerEEEEE10hipError_tT0_T1_T2_jT3_P12ihipStream_tbPNSt15iterator_traitsISE_E10value_typeEPNSK_ISF_E10value_typeEPSG_NS1_7vsmem_tEENKUlT_SE_SF_SG_E_clIS8_S8_S9_S9_EESD_ST_SE_SF_SG_EUlST_E_NS1_11comp_targetILNS1_3genE9ELNS1_11target_archE1100ELNS1_3gpuE3ELNS1_3repE0EEENS1_48merge_mergepath_partition_config_static_selectorELNS0_4arch9wavefront6targetE1EEEvSF_
		.amdhsa_group_segment_fixed_size 0
		.amdhsa_private_segment_fixed_size 0
		.amdhsa_kernarg_size 40
		.amdhsa_user_sgpr_count 6
		.amdhsa_user_sgpr_private_segment_buffer 1
		.amdhsa_user_sgpr_dispatch_ptr 0
		.amdhsa_user_sgpr_queue_ptr 0
		.amdhsa_user_sgpr_kernarg_segment_ptr 1
		.amdhsa_user_sgpr_dispatch_id 0
		.amdhsa_user_sgpr_flat_scratch_init 0
		.amdhsa_user_sgpr_kernarg_preload_length 0
		.amdhsa_user_sgpr_kernarg_preload_offset 0
		.amdhsa_user_sgpr_private_segment_size 0
		.amdhsa_uses_dynamic_stack 0
		.amdhsa_system_sgpr_private_segment_wavefront_offset 0
		.amdhsa_system_sgpr_workgroup_id_x 1
		.amdhsa_system_sgpr_workgroup_id_y 0
		.amdhsa_system_sgpr_workgroup_id_z 0
		.amdhsa_system_sgpr_workgroup_info 0
		.amdhsa_system_vgpr_workitem_id 0
		.amdhsa_next_free_vgpr 1
		.amdhsa_next_free_sgpr 0
		.amdhsa_accum_offset 4
		.amdhsa_reserve_vcc 0
		.amdhsa_reserve_flat_scratch 0
		.amdhsa_float_round_mode_32 0
		.amdhsa_float_round_mode_16_64 0
		.amdhsa_float_denorm_mode_32 3
		.amdhsa_float_denorm_mode_16_64 3
		.amdhsa_dx10_clamp 1
		.amdhsa_ieee_mode 1
		.amdhsa_fp16_overflow 0
		.amdhsa_tg_split 0
		.amdhsa_exception_fp_ieee_invalid_op 0
		.amdhsa_exception_fp_denorm_src 0
		.amdhsa_exception_fp_ieee_div_zero 0
		.amdhsa_exception_fp_ieee_overflow 0
		.amdhsa_exception_fp_ieee_underflow 0
		.amdhsa_exception_fp_ieee_inexact 0
		.amdhsa_exception_int_div_zero 0
	.end_amdhsa_kernel
	.section	.text._ZN7rocprim17ROCPRIM_400000_NS6detail17trampoline_kernelINS0_14default_configENS1_38merge_sort_block_merge_config_selectorIfNS0_10empty_typeEEEZZNS1_27merge_sort_block_merge_implIS3_PfPS5_jNS1_19radix_merge_compareILb1ELb0EfNS0_19identity_decomposerEEEEE10hipError_tT0_T1_T2_jT3_P12ihipStream_tbPNSt15iterator_traitsISE_E10value_typeEPNSK_ISF_E10value_typeEPSG_NS1_7vsmem_tEENKUlT_SE_SF_SG_E_clIS8_S8_S9_S9_EESD_ST_SE_SF_SG_EUlST_E_NS1_11comp_targetILNS1_3genE9ELNS1_11target_archE1100ELNS1_3gpuE3ELNS1_3repE0EEENS1_48merge_mergepath_partition_config_static_selectorELNS0_4arch9wavefront6targetE1EEEvSF_,"axG",@progbits,_ZN7rocprim17ROCPRIM_400000_NS6detail17trampoline_kernelINS0_14default_configENS1_38merge_sort_block_merge_config_selectorIfNS0_10empty_typeEEEZZNS1_27merge_sort_block_merge_implIS3_PfPS5_jNS1_19radix_merge_compareILb1ELb0EfNS0_19identity_decomposerEEEEE10hipError_tT0_T1_T2_jT3_P12ihipStream_tbPNSt15iterator_traitsISE_E10value_typeEPNSK_ISF_E10value_typeEPSG_NS1_7vsmem_tEENKUlT_SE_SF_SG_E_clIS8_S8_S9_S9_EESD_ST_SE_SF_SG_EUlST_E_NS1_11comp_targetILNS1_3genE9ELNS1_11target_archE1100ELNS1_3gpuE3ELNS1_3repE0EEENS1_48merge_mergepath_partition_config_static_selectorELNS0_4arch9wavefront6targetE1EEEvSF_,comdat
.Lfunc_end2510:
	.size	_ZN7rocprim17ROCPRIM_400000_NS6detail17trampoline_kernelINS0_14default_configENS1_38merge_sort_block_merge_config_selectorIfNS0_10empty_typeEEEZZNS1_27merge_sort_block_merge_implIS3_PfPS5_jNS1_19radix_merge_compareILb1ELb0EfNS0_19identity_decomposerEEEEE10hipError_tT0_T1_T2_jT3_P12ihipStream_tbPNSt15iterator_traitsISE_E10value_typeEPNSK_ISF_E10value_typeEPSG_NS1_7vsmem_tEENKUlT_SE_SF_SG_E_clIS8_S8_S9_S9_EESD_ST_SE_SF_SG_EUlST_E_NS1_11comp_targetILNS1_3genE9ELNS1_11target_archE1100ELNS1_3gpuE3ELNS1_3repE0EEENS1_48merge_mergepath_partition_config_static_selectorELNS0_4arch9wavefront6targetE1EEEvSF_, .Lfunc_end2510-_ZN7rocprim17ROCPRIM_400000_NS6detail17trampoline_kernelINS0_14default_configENS1_38merge_sort_block_merge_config_selectorIfNS0_10empty_typeEEEZZNS1_27merge_sort_block_merge_implIS3_PfPS5_jNS1_19radix_merge_compareILb1ELb0EfNS0_19identity_decomposerEEEEE10hipError_tT0_T1_T2_jT3_P12ihipStream_tbPNSt15iterator_traitsISE_E10value_typeEPNSK_ISF_E10value_typeEPSG_NS1_7vsmem_tEENKUlT_SE_SF_SG_E_clIS8_S8_S9_S9_EESD_ST_SE_SF_SG_EUlST_E_NS1_11comp_targetILNS1_3genE9ELNS1_11target_archE1100ELNS1_3gpuE3ELNS1_3repE0EEENS1_48merge_mergepath_partition_config_static_selectorELNS0_4arch9wavefront6targetE1EEEvSF_
                                        ; -- End function
	.section	.AMDGPU.csdata,"",@progbits
; Kernel info:
; codeLenInByte = 0
; NumSgprs: 4
; NumVgprs: 0
; NumAgprs: 0
; TotalNumVgprs: 0
; ScratchSize: 0
; MemoryBound: 0
; FloatMode: 240
; IeeeMode: 1
; LDSByteSize: 0 bytes/workgroup (compile time only)
; SGPRBlocks: 0
; VGPRBlocks: 0
; NumSGPRsForWavesPerEU: 4
; NumVGPRsForWavesPerEU: 1
; AccumOffset: 4
; Occupancy: 8
; WaveLimiterHint : 0
; COMPUTE_PGM_RSRC2:SCRATCH_EN: 0
; COMPUTE_PGM_RSRC2:USER_SGPR: 6
; COMPUTE_PGM_RSRC2:TRAP_HANDLER: 0
; COMPUTE_PGM_RSRC2:TGID_X_EN: 1
; COMPUTE_PGM_RSRC2:TGID_Y_EN: 0
; COMPUTE_PGM_RSRC2:TGID_Z_EN: 0
; COMPUTE_PGM_RSRC2:TIDIG_COMP_CNT: 0
; COMPUTE_PGM_RSRC3_GFX90A:ACCUM_OFFSET: 0
; COMPUTE_PGM_RSRC3_GFX90A:TG_SPLIT: 0
	.section	.text._ZN7rocprim17ROCPRIM_400000_NS6detail17trampoline_kernelINS0_14default_configENS1_38merge_sort_block_merge_config_selectorIfNS0_10empty_typeEEEZZNS1_27merge_sort_block_merge_implIS3_PfPS5_jNS1_19radix_merge_compareILb1ELb0EfNS0_19identity_decomposerEEEEE10hipError_tT0_T1_T2_jT3_P12ihipStream_tbPNSt15iterator_traitsISE_E10value_typeEPNSK_ISF_E10value_typeEPSG_NS1_7vsmem_tEENKUlT_SE_SF_SG_E_clIS8_S8_S9_S9_EESD_ST_SE_SF_SG_EUlST_E_NS1_11comp_targetILNS1_3genE8ELNS1_11target_archE1030ELNS1_3gpuE2ELNS1_3repE0EEENS1_48merge_mergepath_partition_config_static_selectorELNS0_4arch9wavefront6targetE1EEEvSF_,"axG",@progbits,_ZN7rocprim17ROCPRIM_400000_NS6detail17trampoline_kernelINS0_14default_configENS1_38merge_sort_block_merge_config_selectorIfNS0_10empty_typeEEEZZNS1_27merge_sort_block_merge_implIS3_PfPS5_jNS1_19radix_merge_compareILb1ELb0EfNS0_19identity_decomposerEEEEE10hipError_tT0_T1_T2_jT3_P12ihipStream_tbPNSt15iterator_traitsISE_E10value_typeEPNSK_ISF_E10value_typeEPSG_NS1_7vsmem_tEENKUlT_SE_SF_SG_E_clIS8_S8_S9_S9_EESD_ST_SE_SF_SG_EUlST_E_NS1_11comp_targetILNS1_3genE8ELNS1_11target_archE1030ELNS1_3gpuE2ELNS1_3repE0EEENS1_48merge_mergepath_partition_config_static_selectorELNS0_4arch9wavefront6targetE1EEEvSF_,comdat
	.protected	_ZN7rocprim17ROCPRIM_400000_NS6detail17trampoline_kernelINS0_14default_configENS1_38merge_sort_block_merge_config_selectorIfNS0_10empty_typeEEEZZNS1_27merge_sort_block_merge_implIS3_PfPS5_jNS1_19radix_merge_compareILb1ELb0EfNS0_19identity_decomposerEEEEE10hipError_tT0_T1_T2_jT3_P12ihipStream_tbPNSt15iterator_traitsISE_E10value_typeEPNSK_ISF_E10value_typeEPSG_NS1_7vsmem_tEENKUlT_SE_SF_SG_E_clIS8_S8_S9_S9_EESD_ST_SE_SF_SG_EUlST_E_NS1_11comp_targetILNS1_3genE8ELNS1_11target_archE1030ELNS1_3gpuE2ELNS1_3repE0EEENS1_48merge_mergepath_partition_config_static_selectorELNS0_4arch9wavefront6targetE1EEEvSF_ ; -- Begin function _ZN7rocprim17ROCPRIM_400000_NS6detail17trampoline_kernelINS0_14default_configENS1_38merge_sort_block_merge_config_selectorIfNS0_10empty_typeEEEZZNS1_27merge_sort_block_merge_implIS3_PfPS5_jNS1_19radix_merge_compareILb1ELb0EfNS0_19identity_decomposerEEEEE10hipError_tT0_T1_T2_jT3_P12ihipStream_tbPNSt15iterator_traitsISE_E10value_typeEPNSK_ISF_E10value_typeEPSG_NS1_7vsmem_tEENKUlT_SE_SF_SG_E_clIS8_S8_S9_S9_EESD_ST_SE_SF_SG_EUlST_E_NS1_11comp_targetILNS1_3genE8ELNS1_11target_archE1030ELNS1_3gpuE2ELNS1_3repE0EEENS1_48merge_mergepath_partition_config_static_selectorELNS0_4arch9wavefront6targetE1EEEvSF_
	.globl	_ZN7rocprim17ROCPRIM_400000_NS6detail17trampoline_kernelINS0_14default_configENS1_38merge_sort_block_merge_config_selectorIfNS0_10empty_typeEEEZZNS1_27merge_sort_block_merge_implIS3_PfPS5_jNS1_19radix_merge_compareILb1ELb0EfNS0_19identity_decomposerEEEEE10hipError_tT0_T1_T2_jT3_P12ihipStream_tbPNSt15iterator_traitsISE_E10value_typeEPNSK_ISF_E10value_typeEPSG_NS1_7vsmem_tEENKUlT_SE_SF_SG_E_clIS8_S8_S9_S9_EESD_ST_SE_SF_SG_EUlST_E_NS1_11comp_targetILNS1_3genE8ELNS1_11target_archE1030ELNS1_3gpuE2ELNS1_3repE0EEENS1_48merge_mergepath_partition_config_static_selectorELNS0_4arch9wavefront6targetE1EEEvSF_
	.p2align	8
	.type	_ZN7rocprim17ROCPRIM_400000_NS6detail17trampoline_kernelINS0_14default_configENS1_38merge_sort_block_merge_config_selectorIfNS0_10empty_typeEEEZZNS1_27merge_sort_block_merge_implIS3_PfPS5_jNS1_19radix_merge_compareILb1ELb0EfNS0_19identity_decomposerEEEEE10hipError_tT0_T1_T2_jT3_P12ihipStream_tbPNSt15iterator_traitsISE_E10value_typeEPNSK_ISF_E10value_typeEPSG_NS1_7vsmem_tEENKUlT_SE_SF_SG_E_clIS8_S8_S9_S9_EESD_ST_SE_SF_SG_EUlST_E_NS1_11comp_targetILNS1_3genE8ELNS1_11target_archE1030ELNS1_3gpuE2ELNS1_3repE0EEENS1_48merge_mergepath_partition_config_static_selectorELNS0_4arch9wavefront6targetE1EEEvSF_,@function
_ZN7rocprim17ROCPRIM_400000_NS6detail17trampoline_kernelINS0_14default_configENS1_38merge_sort_block_merge_config_selectorIfNS0_10empty_typeEEEZZNS1_27merge_sort_block_merge_implIS3_PfPS5_jNS1_19radix_merge_compareILb1ELb0EfNS0_19identity_decomposerEEEEE10hipError_tT0_T1_T2_jT3_P12ihipStream_tbPNSt15iterator_traitsISE_E10value_typeEPNSK_ISF_E10value_typeEPSG_NS1_7vsmem_tEENKUlT_SE_SF_SG_E_clIS8_S8_S9_S9_EESD_ST_SE_SF_SG_EUlST_E_NS1_11comp_targetILNS1_3genE8ELNS1_11target_archE1030ELNS1_3gpuE2ELNS1_3repE0EEENS1_48merge_mergepath_partition_config_static_selectorELNS0_4arch9wavefront6targetE1EEEvSF_: ; @_ZN7rocprim17ROCPRIM_400000_NS6detail17trampoline_kernelINS0_14default_configENS1_38merge_sort_block_merge_config_selectorIfNS0_10empty_typeEEEZZNS1_27merge_sort_block_merge_implIS3_PfPS5_jNS1_19radix_merge_compareILb1ELb0EfNS0_19identity_decomposerEEEEE10hipError_tT0_T1_T2_jT3_P12ihipStream_tbPNSt15iterator_traitsISE_E10value_typeEPNSK_ISF_E10value_typeEPSG_NS1_7vsmem_tEENKUlT_SE_SF_SG_E_clIS8_S8_S9_S9_EESD_ST_SE_SF_SG_EUlST_E_NS1_11comp_targetILNS1_3genE8ELNS1_11target_archE1030ELNS1_3gpuE2ELNS1_3repE0EEENS1_48merge_mergepath_partition_config_static_selectorELNS0_4arch9wavefront6targetE1EEEvSF_
; %bb.0:
	.section	.rodata,"a",@progbits
	.p2align	6, 0x0
	.amdhsa_kernel _ZN7rocprim17ROCPRIM_400000_NS6detail17trampoline_kernelINS0_14default_configENS1_38merge_sort_block_merge_config_selectorIfNS0_10empty_typeEEEZZNS1_27merge_sort_block_merge_implIS3_PfPS5_jNS1_19radix_merge_compareILb1ELb0EfNS0_19identity_decomposerEEEEE10hipError_tT0_T1_T2_jT3_P12ihipStream_tbPNSt15iterator_traitsISE_E10value_typeEPNSK_ISF_E10value_typeEPSG_NS1_7vsmem_tEENKUlT_SE_SF_SG_E_clIS8_S8_S9_S9_EESD_ST_SE_SF_SG_EUlST_E_NS1_11comp_targetILNS1_3genE8ELNS1_11target_archE1030ELNS1_3gpuE2ELNS1_3repE0EEENS1_48merge_mergepath_partition_config_static_selectorELNS0_4arch9wavefront6targetE1EEEvSF_
		.amdhsa_group_segment_fixed_size 0
		.amdhsa_private_segment_fixed_size 0
		.amdhsa_kernarg_size 40
		.amdhsa_user_sgpr_count 6
		.amdhsa_user_sgpr_private_segment_buffer 1
		.amdhsa_user_sgpr_dispatch_ptr 0
		.amdhsa_user_sgpr_queue_ptr 0
		.amdhsa_user_sgpr_kernarg_segment_ptr 1
		.amdhsa_user_sgpr_dispatch_id 0
		.amdhsa_user_sgpr_flat_scratch_init 0
		.amdhsa_user_sgpr_kernarg_preload_length 0
		.amdhsa_user_sgpr_kernarg_preload_offset 0
		.amdhsa_user_sgpr_private_segment_size 0
		.amdhsa_uses_dynamic_stack 0
		.amdhsa_system_sgpr_private_segment_wavefront_offset 0
		.amdhsa_system_sgpr_workgroup_id_x 1
		.amdhsa_system_sgpr_workgroup_id_y 0
		.amdhsa_system_sgpr_workgroup_id_z 0
		.amdhsa_system_sgpr_workgroup_info 0
		.amdhsa_system_vgpr_workitem_id 0
		.amdhsa_next_free_vgpr 1
		.amdhsa_next_free_sgpr 0
		.amdhsa_accum_offset 4
		.amdhsa_reserve_vcc 0
		.amdhsa_reserve_flat_scratch 0
		.amdhsa_float_round_mode_32 0
		.amdhsa_float_round_mode_16_64 0
		.amdhsa_float_denorm_mode_32 3
		.amdhsa_float_denorm_mode_16_64 3
		.amdhsa_dx10_clamp 1
		.amdhsa_ieee_mode 1
		.amdhsa_fp16_overflow 0
		.amdhsa_tg_split 0
		.amdhsa_exception_fp_ieee_invalid_op 0
		.amdhsa_exception_fp_denorm_src 0
		.amdhsa_exception_fp_ieee_div_zero 0
		.amdhsa_exception_fp_ieee_overflow 0
		.amdhsa_exception_fp_ieee_underflow 0
		.amdhsa_exception_fp_ieee_inexact 0
		.amdhsa_exception_int_div_zero 0
	.end_amdhsa_kernel
	.section	.text._ZN7rocprim17ROCPRIM_400000_NS6detail17trampoline_kernelINS0_14default_configENS1_38merge_sort_block_merge_config_selectorIfNS0_10empty_typeEEEZZNS1_27merge_sort_block_merge_implIS3_PfPS5_jNS1_19radix_merge_compareILb1ELb0EfNS0_19identity_decomposerEEEEE10hipError_tT0_T1_T2_jT3_P12ihipStream_tbPNSt15iterator_traitsISE_E10value_typeEPNSK_ISF_E10value_typeEPSG_NS1_7vsmem_tEENKUlT_SE_SF_SG_E_clIS8_S8_S9_S9_EESD_ST_SE_SF_SG_EUlST_E_NS1_11comp_targetILNS1_3genE8ELNS1_11target_archE1030ELNS1_3gpuE2ELNS1_3repE0EEENS1_48merge_mergepath_partition_config_static_selectorELNS0_4arch9wavefront6targetE1EEEvSF_,"axG",@progbits,_ZN7rocprim17ROCPRIM_400000_NS6detail17trampoline_kernelINS0_14default_configENS1_38merge_sort_block_merge_config_selectorIfNS0_10empty_typeEEEZZNS1_27merge_sort_block_merge_implIS3_PfPS5_jNS1_19radix_merge_compareILb1ELb0EfNS0_19identity_decomposerEEEEE10hipError_tT0_T1_T2_jT3_P12ihipStream_tbPNSt15iterator_traitsISE_E10value_typeEPNSK_ISF_E10value_typeEPSG_NS1_7vsmem_tEENKUlT_SE_SF_SG_E_clIS8_S8_S9_S9_EESD_ST_SE_SF_SG_EUlST_E_NS1_11comp_targetILNS1_3genE8ELNS1_11target_archE1030ELNS1_3gpuE2ELNS1_3repE0EEENS1_48merge_mergepath_partition_config_static_selectorELNS0_4arch9wavefront6targetE1EEEvSF_,comdat
.Lfunc_end2511:
	.size	_ZN7rocprim17ROCPRIM_400000_NS6detail17trampoline_kernelINS0_14default_configENS1_38merge_sort_block_merge_config_selectorIfNS0_10empty_typeEEEZZNS1_27merge_sort_block_merge_implIS3_PfPS5_jNS1_19radix_merge_compareILb1ELb0EfNS0_19identity_decomposerEEEEE10hipError_tT0_T1_T2_jT3_P12ihipStream_tbPNSt15iterator_traitsISE_E10value_typeEPNSK_ISF_E10value_typeEPSG_NS1_7vsmem_tEENKUlT_SE_SF_SG_E_clIS8_S8_S9_S9_EESD_ST_SE_SF_SG_EUlST_E_NS1_11comp_targetILNS1_3genE8ELNS1_11target_archE1030ELNS1_3gpuE2ELNS1_3repE0EEENS1_48merge_mergepath_partition_config_static_selectorELNS0_4arch9wavefront6targetE1EEEvSF_, .Lfunc_end2511-_ZN7rocprim17ROCPRIM_400000_NS6detail17trampoline_kernelINS0_14default_configENS1_38merge_sort_block_merge_config_selectorIfNS0_10empty_typeEEEZZNS1_27merge_sort_block_merge_implIS3_PfPS5_jNS1_19radix_merge_compareILb1ELb0EfNS0_19identity_decomposerEEEEE10hipError_tT0_T1_T2_jT3_P12ihipStream_tbPNSt15iterator_traitsISE_E10value_typeEPNSK_ISF_E10value_typeEPSG_NS1_7vsmem_tEENKUlT_SE_SF_SG_E_clIS8_S8_S9_S9_EESD_ST_SE_SF_SG_EUlST_E_NS1_11comp_targetILNS1_3genE8ELNS1_11target_archE1030ELNS1_3gpuE2ELNS1_3repE0EEENS1_48merge_mergepath_partition_config_static_selectorELNS0_4arch9wavefront6targetE1EEEvSF_
                                        ; -- End function
	.section	.AMDGPU.csdata,"",@progbits
; Kernel info:
; codeLenInByte = 0
; NumSgprs: 4
; NumVgprs: 0
; NumAgprs: 0
; TotalNumVgprs: 0
; ScratchSize: 0
; MemoryBound: 0
; FloatMode: 240
; IeeeMode: 1
; LDSByteSize: 0 bytes/workgroup (compile time only)
; SGPRBlocks: 0
; VGPRBlocks: 0
; NumSGPRsForWavesPerEU: 4
; NumVGPRsForWavesPerEU: 1
; AccumOffset: 4
; Occupancy: 8
; WaveLimiterHint : 0
; COMPUTE_PGM_RSRC2:SCRATCH_EN: 0
; COMPUTE_PGM_RSRC2:USER_SGPR: 6
; COMPUTE_PGM_RSRC2:TRAP_HANDLER: 0
; COMPUTE_PGM_RSRC2:TGID_X_EN: 1
; COMPUTE_PGM_RSRC2:TGID_Y_EN: 0
; COMPUTE_PGM_RSRC2:TGID_Z_EN: 0
; COMPUTE_PGM_RSRC2:TIDIG_COMP_CNT: 0
; COMPUTE_PGM_RSRC3_GFX90A:ACCUM_OFFSET: 0
; COMPUTE_PGM_RSRC3_GFX90A:TG_SPLIT: 0
	.section	.text._ZN7rocprim17ROCPRIM_400000_NS6detail17trampoline_kernelINS0_14default_configENS1_38merge_sort_block_merge_config_selectorIfNS0_10empty_typeEEEZZNS1_27merge_sort_block_merge_implIS3_PfPS5_jNS1_19radix_merge_compareILb1ELb0EfNS0_19identity_decomposerEEEEE10hipError_tT0_T1_T2_jT3_P12ihipStream_tbPNSt15iterator_traitsISE_E10value_typeEPNSK_ISF_E10value_typeEPSG_NS1_7vsmem_tEENKUlT_SE_SF_SG_E_clIS8_S8_S9_S9_EESD_ST_SE_SF_SG_EUlST_E0_NS1_11comp_targetILNS1_3genE0ELNS1_11target_archE4294967295ELNS1_3gpuE0ELNS1_3repE0EEENS1_38merge_mergepath_config_static_selectorELNS0_4arch9wavefront6targetE1EEEvSF_,"axG",@progbits,_ZN7rocprim17ROCPRIM_400000_NS6detail17trampoline_kernelINS0_14default_configENS1_38merge_sort_block_merge_config_selectorIfNS0_10empty_typeEEEZZNS1_27merge_sort_block_merge_implIS3_PfPS5_jNS1_19radix_merge_compareILb1ELb0EfNS0_19identity_decomposerEEEEE10hipError_tT0_T1_T2_jT3_P12ihipStream_tbPNSt15iterator_traitsISE_E10value_typeEPNSK_ISF_E10value_typeEPSG_NS1_7vsmem_tEENKUlT_SE_SF_SG_E_clIS8_S8_S9_S9_EESD_ST_SE_SF_SG_EUlST_E0_NS1_11comp_targetILNS1_3genE0ELNS1_11target_archE4294967295ELNS1_3gpuE0ELNS1_3repE0EEENS1_38merge_mergepath_config_static_selectorELNS0_4arch9wavefront6targetE1EEEvSF_,comdat
	.protected	_ZN7rocprim17ROCPRIM_400000_NS6detail17trampoline_kernelINS0_14default_configENS1_38merge_sort_block_merge_config_selectorIfNS0_10empty_typeEEEZZNS1_27merge_sort_block_merge_implIS3_PfPS5_jNS1_19radix_merge_compareILb1ELb0EfNS0_19identity_decomposerEEEEE10hipError_tT0_T1_T2_jT3_P12ihipStream_tbPNSt15iterator_traitsISE_E10value_typeEPNSK_ISF_E10value_typeEPSG_NS1_7vsmem_tEENKUlT_SE_SF_SG_E_clIS8_S8_S9_S9_EESD_ST_SE_SF_SG_EUlST_E0_NS1_11comp_targetILNS1_3genE0ELNS1_11target_archE4294967295ELNS1_3gpuE0ELNS1_3repE0EEENS1_38merge_mergepath_config_static_selectorELNS0_4arch9wavefront6targetE1EEEvSF_ ; -- Begin function _ZN7rocprim17ROCPRIM_400000_NS6detail17trampoline_kernelINS0_14default_configENS1_38merge_sort_block_merge_config_selectorIfNS0_10empty_typeEEEZZNS1_27merge_sort_block_merge_implIS3_PfPS5_jNS1_19radix_merge_compareILb1ELb0EfNS0_19identity_decomposerEEEEE10hipError_tT0_T1_T2_jT3_P12ihipStream_tbPNSt15iterator_traitsISE_E10value_typeEPNSK_ISF_E10value_typeEPSG_NS1_7vsmem_tEENKUlT_SE_SF_SG_E_clIS8_S8_S9_S9_EESD_ST_SE_SF_SG_EUlST_E0_NS1_11comp_targetILNS1_3genE0ELNS1_11target_archE4294967295ELNS1_3gpuE0ELNS1_3repE0EEENS1_38merge_mergepath_config_static_selectorELNS0_4arch9wavefront6targetE1EEEvSF_
	.globl	_ZN7rocprim17ROCPRIM_400000_NS6detail17trampoline_kernelINS0_14default_configENS1_38merge_sort_block_merge_config_selectorIfNS0_10empty_typeEEEZZNS1_27merge_sort_block_merge_implIS3_PfPS5_jNS1_19radix_merge_compareILb1ELb0EfNS0_19identity_decomposerEEEEE10hipError_tT0_T1_T2_jT3_P12ihipStream_tbPNSt15iterator_traitsISE_E10value_typeEPNSK_ISF_E10value_typeEPSG_NS1_7vsmem_tEENKUlT_SE_SF_SG_E_clIS8_S8_S9_S9_EESD_ST_SE_SF_SG_EUlST_E0_NS1_11comp_targetILNS1_3genE0ELNS1_11target_archE4294967295ELNS1_3gpuE0ELNS1_3repE0EEENS1_38merge_mergepath_config_static_selectorELNS0_4arch9wavefront6targetE1EEEvSF_
	.p2align	8
	.type	_ZN7rocprim17ROCPRIM_400000_NS6detail17trampoline_kernelINS0_14default_configENS1_38merge_sort_block_merge_config_selectorIfNS0_10empty_typeEEEZZNS1_27merge_sort_block_merge_implIS3_PfPS5_jNS1_19radix_merge_compareILb1ELb0EfNS0_19identity_decomposerEEEEE10hipError_tT0_T1_T2_jT3_P12ihipStream_tbPNSt15iterator_traitsISE_E10value_typeEPNSK_ISF_E10value_typeEPSG_NS1_7vsmem_tEENKUlT_SE_SF_SG_E_clIS8_S8_S9_S9_EESD_ST_SE_SF_SG_EUlST_E0_NS1_11comp_targetILNS1_3genE0ELNS1_11target_archE4294967295ELNS1_3gpuE0ELNS1_3repE0EEENS1_38merge_mergepath_config_static_selectorELNS0_4arch9wavefront6targetE1EEEvSF_,@function
_ZN7rocprim17ROCPRIM_400000_NS6detail17trampoline_kernelINS0_14default_configENS1_38merge_sort_block_merge_config_selectorIfNS0_10empty_typeEEEZZNS1_27merge_sort_block_merge_implIS3_PfPS5_jNS1_19radix_merge_compareILb1ELb0EfNS0_19identity_decomposerEEEEE10hipError_tT0_T1_T2_jT3_P12ihipStream_tbPNSt15iterator_traitsISE_E10value_typeEPNSK_ISF_E10value_typeEPSG_NS1_7vsmem_tEENKUlT_SE_SF_SG_E_clIS8_S8_S9_S9_EESD_ST_SE_SF_SG_EUlST_E0_NS1_11comp_targetILNS1_3genE0ELNS1_11target_archE4294967295ELNS1_3gpuE0ELNS1_3repE0EEENS1_38merge_mergepath_config_static_selectorELNS0_4arch9wavefront6targetE1EEEvSF_: ; @_ZN7rocprim17ROCPRIM_400000_NS6detail17trampoline_kernelINS0_14default_configENS1_38merge_sort_block_merge_config_selectorIfNS0_10empty_typeEEEZZNS1_27merge_sort_block_merge_implIS3_PfPS5_jNS1_19radix_merge_compareILb1ELb0EfNS0_19identity_decomposerEEEEE10hipError_tT0_T1_T2_jT3_P12ihipStream_tbPNSt15iterator_traitsISE_E10value_typeEPNSK_ISF_E10value_typeEPSG_NS1_7vsmem_tEENKUlT_SE_SF_SG_E_clIS8_S8_S9_S9_EESD_ST_SE_SF_SG_EUlST_E0_NS1_11comp_targetILNS1_3genE0ELNS1_11target_archE4294967295ELNS1_3gpuE0ELNS1_3repE0EEENS1_38merge_mergepath_config_static_selectorELNS0_4arch9wavefront6targetE1EEEvSF_
; %bb.0:
	.section	.rodata,"a",@progbits
	.p2align	6, 0x0
	.amdhsa_kernel _ZN7rocprim17ROCPRIM_400000_NS6detail17trampoline_kernelINS0_14default_configENS1_38merge_sort_block_merge_config_selectorIfNS0_10empty_typeEEEZZNS1_27merge_sort_block_merge_implIS3_PfPS5_jNS1_19radix_merge_compareILb1ELb0EfNS0_19identity_decomposerEEEEE10hipError_tT0_T1_T2_jT3_P12ihipStream_tbPNSt15iterator_traitsISE_E10value_typeEPNSK_ISF_E10value_typeEPSG_NS1_7vsmem_tEENKUlT_SE_SF_SG_E_clIS8_S8_S9_S9_EESD_ST_SE_SF_SG_EUlST_E0_NS1_11comp_targetILNS1_3genE0ELNS1_11target_archE4294967295ELNS1_3gpuE0ELNS1_3repE0EEENS1_38merge_mergepath_config_static_selectorELNS0_4arch9wavefront6targetE1EEEvSF_
		.amdhsa_group_segment_fixed_size 0
		.amdhsa_private_segment_fixed_size 0
		.amdhsa_kernarg_size 64
		.amdhsa_user_sgpr_count 6
		.amdhsa_user_sgpr_private_segment_buffer 1
		.amdhsa_user_sgpr_dispatch_ptr 0
		.amdhsa_user_sgpr_queue_ptr 0
		.amdhsa_user_sgpr_kernarg_segment_ptr 1
		.amdhsa_user_sgpr_dispatch_id 0
		.amdhsa_user_sgpr_flat_scratch_init 0
		.amdhsa_user_sgpr_kernarg_preload_length 0
		.amdhsa_user_sgpr_kernarg_preload_offset 0
		.amdhsa_user_sgpr_private_segment_size 0
		.amdhsa_uses_dynamic_stack 0
		.amdhsa_system_sgpr_private_segment_wavefront_offset 0
		.amdhsa_system_sgpr_workgroup_id_x 1
		.amdhsa_system_sgpr_workgroup_id_y 0
		.amdhsa_system_sgpr_workgroup_id_z 0
		.amdhsa_system_sgpr_workgroup_info 0
		.amdhsa_system_vgpr_workitem_id 0
		.amdhsa_next_free_vgpr 1
		.amdhsa_next_free_sgpr 0
		.amdhsa_accum_offset 4
		.amdhsa_reserve_vcc 0
		.amdhsa_reserve_flat_scratch 0
		.amdhsa_float_round_mode_32 0
		.amdhsa_float_round_mode_16_64 0
		.amdhsa_float_denorm_mode_32 3
		.amdhsa_float_denorm_mode_16_64 3
		.amdhsa_dx10_clamp 1
		.amdhsa_ieee_mode 1
		.amdhsa_fp16_overflow 0
		.amdhsa_tg_split 0
		.amdhsa_exception_fp_ieee_invalid_op 0
		.amdhsa_exception_fp_denorm_src 0
		.amdhsa_exception_fp_ieee_div_zero 0
		.amdhsa_exception_fp_ieee_overflow 0
		.amdhsa_exception_fp_ieee_underflow 0
		.amdhsa_exception_fp_ieee_inexact 0
		.amdhsa_exception_int_div_zero 0
	.end_amdhsa_kernel
	.section	.text._ZN7rocprim17ROCPRIM_400000_NS6detail17trampoline_kernelINS0_14default_configENS1_38merge_sort_block_merge_config_selectorIfNS0_10empty_typeEEEZZNS1_27merge_sort_block_merge_implIS3_PfPS5_jNS1_19radix_merge_compareILb1ELb0EfNS0_19identity_decomposerEEEEE10hipError_tT0_T1_T2_jT3_P12ihipStream_tbPNSt15iterator_traitsISE_E10value_typeEPNSK_ISF_E10value_typeEPSG_NS1_7vsmem_tEENKUlT_SE_SF_SG_E_clIS8_S8_S9_S9_EESD_ST_SE_SF_SG_EUlST_E0_NS1_11comp_targetILNS1_3genE0ELNS1_11target_archE4294967295ELNS1_3gpuE0ELNS1_3repE0EEENS1_38merge_mergepath_config_static_selectorELNS0_4arch9wavefront6targetE1EEEvSF_,"axG",@progbits,_ZN7rocprim17ROCPRIM_400000_NS6detail17trampoline_kernelINS0_14default_configENS1_38merge_sort_block_merge_config_selectorIfNS0_10empty_typeEEEZZNS1_27merge_sort_block_merge_implIS3_PfPS5_jNS1_19radix_merge_compareILb1ELb0EfNS0_19identity_decomposerEEEEE10hipError_tT0_T1_T2_jT3_P12ihipStream_tbPNSt15iterator_traitsISE_E10value_typeEPNSK_ISF_E10value_typeEPSG_NS1_7vsmem_tEENKUlT_SE_SF_SG_E_clIS8_S8_S9_S9_EESD_ST_SE_SF_SG_EUlST_E0_NS1_11comp_targetILNS1_3genE0ELNS1_11target_archE4294967295ELNS1_3gpuE0ELNS1_3repE0EEENS1_38merge_mergepath_config_static_selectorELNS0_4arch9wavefront6targetE1EEEvSF_,comdat
.Lfunc_end2512:
	.size	_ZN7rocprim17ROCPRIM_400000_NS6detail17trampoline_kernelINS0_14default_configENS1_38merge_sort_block_merge_config_selectorIfNS0_10empty_typeEEEZZNS1_27merge_sort_block_merge_implIS3_PfPS5_jNS1_19radix_merge_compareILb1ELb0EfNS0_19identity_decomposerEEEEE10hipError_tT0_T1_T2_jT3_P12ihipStream_tbPNSt15iterator_traitsISE_E10value_typeEPNSK_ISF_E10value_typeEPSG_NS1_7vsmem_tEENKUlT_SE_SF_SG_E_clIS8_S8_S9_S9_EESD_ST_SE_SF_SG_EUlST_E0_NS1_11comp_targetILNS1_3genE0ELNS1_11target_archE4294967295ELNS1_3gpuE0ELNS1_3repE0EEENS1_38merge_mergepath_config_static_selectorELNS0_4arch9wavefront6targetE1EEEvSF_, .Lfunc_end2512-_ZN7rocprim17ROCPRIM_400000_NS6detail17trampoline_kernelINS0_14default_configENS1_38merge_sort_block_merge_config_selectorIfNS0_10empty_typeEEEZZNS1_27merge_sort_block_merge_implIS3_PfPS5_jNS1_19radix_merge_compareILb1ELb0EfNS0_19identity_decomposerEEEEE10hipError_tT0_T1_T2_jT3_P12ihipStream_tbPNSt15iterator_traitsISE_E10value_typeEPNSK_ISF_E10value_typeEPSG_NS1_7vsmem_tEENKUlT_SE_SF_SG_E_clIS8_S8_S9_S9_EESD_ST_SE_SF_SG_EUlST_E0_NS1_11comp_targetILNS1_3genE0ELNS1_11target_archE4294967295ELNS1_3gpuE0ELNS1_3repE0EEENS1_38merge_mergepath_config_static_selectorELNS0_4arch9wavefront6targetE1EEEvSF_
                                        ; -- End function
	.section	.AMDGPU.csdata,"",@progbits
; Kernel info:
; codeLenInByte = 0
; NumSgprs: 4
; NumVgprs: 0
; NumAgprs: 0
; TotalNumVgprs: 0
; ScratchSize: 0
; MemoryBound: 0
; FloatMode: 240
; IeeeMode: 1
; LDSByteSize: 0 bytes/workgroup (compile time only)
; SGPRBlocks: 0
; VGPRBlocks: 0
; NumSGPRsForWavesPerEU: 4
; NumVGPRsForWavesPerEU: 1
; AccumOffset: 4
; Occupancy: 8
; WaveLimiterHint : 0
; COMPUTE_PGM_RSRC2:SCRATCH_EN: 0
; COMPUTE_PGM_RSRC2:USER_SGPR: 6
; COMPUTE_PGM_RSRC2:TRAP_HANDLER: 0
; COMPUTE_PGM_RSRC2:TGID_X_EN: 1
; COMPUTE_PGM_RSRC2:TGID_Y_EN: 0
; COMPUTE_PGM_RSRC2:TGID_Z_EN: 0
; COMPUTE_PGM_RSRC2:TIDIG_COMP_CNT: 0
; COMPUTE_PGM_RSRC3_GFX90A:ACCUM_OFFSET: 0
; COMPUTE_PGM_RSRC3_GFX90A:TG_SPLIT: 0
	.section	.text._ZN7rocprim17ROCPRIM_400000_NS6detail17trampoline_kernelINS0_14default_configENS1_38merge_sort_block_merge_config_selectorIfNS0_10empty_typeEEEZZNS1_27merge_sort_block_merge_implIS3_PfPS5_jNS1_19radix_merge_compareILb1ELb0EfNS0_19identity_decomposerEEEEE10hipError_tT0_T1_T2_jT3_P12ihipStream_tbPNSt15iterator_traitsISE_E10value_typeEPNSK_ISF_E10value_typeEPSG_NS1_7vsmem_tEENKUlT_SE_SF_SG_E_clIS8_S8_S9_S9_EESD_ST_SE_SF_SG_EUlST_E0_NS1_11comp_targetILNS1_3genE10ELNS1_11target_archE1201ELNS1_3gpuE5ELNS1_3repE0EEENS1_38merge_mergepath_config_static_selectorELNS0_4arch9wavefront6targetE1EEEvSF_,"axG",@progbits,_ZN7rocprim17ROCPRIM_400000_NS6detail17trampoline_kernelINS0_14default_configENS1_38merge_sort_block_merge_config_selectorIfNS0_10empty_typeEEEZZNS1_27merge_sort_block_merge_implIS3_PfPS5_jNS1_19radix_merge_compareILb1ELb0EfNS0_19identity_decomposerEEEEE10hipError_tT0_T1_T2_jT3_P12ihipStream_tbPNSt15iterator_traitsISE_E10value_typeEPNSK_ISF_E10value_typeEPSG_NS1_7vsmem_tEENKUlT_SE_SF_SG_E_clIS8_S8_S9_S9_EESD_ST_SE_SF_SG_EUlST_E0_NS1_11comp_targetILNS1_3genE10ELNS1_11target_archE1201ELNS1_3gpuE5ELNS1_3repE0EEENS1_38merge_mergepath_config_static_selectorELNS0_4arch9wavefront6targetE1EEEvSF_,comdat
	.protected	_ZN7rocprim17ROCPRIM_400000_NS6detail17trampoline_kernelINS0_14default_configENS1_38merge_sort_block_merge_config_selectorIfNS0_10empty_typeEEEZZNS1_27merge_sort_block_merge_implIS3_PfPS5_jNS1_19radix_merge_compareILb1ELb0EfNS0_19identity_decomposerEEEEE10hipError_tT0_T1_T2_jT3_P12ihipStream_tbPNSt15iterator_traitsISE_E10value_typeEPNSK_ISF_E10value_typeEPSG_NS1_7vsmem_tEENKUlT_SE_SF_SG_E_clIS8_S8_S9_S9_EESD_ST_SE_SF_SG_EUlST_E0_NS1_11comp_targetILNS1_3genE10ELNS1_11target_archE1201ELNS1_3gpuE5ELNS1_3repE0EEENS1_38merge_mergepath_config_static_selectorELNS0_4arch9wavefront6targetE1EEEvSF_ ; -- Begin function _ZN7rocprim17ROCPRIM_400000_NS6detail17trampoline_kernelINS0_14default_configENS1_38merge_sort_block_merge_config_selectorIfNS0_10empty_typeEEEZZNS1_27merge_sort_block_merge_implIS3_PfPS5_jNS1_19radix_merge_compareILb1ELb0EfNS0_19identity_decomposerEEEEE10hipError_tT0_T1_T2_jT3_P12ihipStream_tbPNSt15iterator_traitsISE_E10value_typeEPNSK_ISF_E10value_typeEPSG_NS1_7vsmem_tEENKUlT_SE_SF_SG_E_clIS8_S8_S9_S9_EESD_ST_SE_SF_SG_EUlST_E0_NS1_11comp_targetILNS1_3genE10ELNS1_11target_archE1201ELNS1_3gpuE5ELNS1_3repE0EEENS1_38merge_mergepath_config_static_selectorELNS0_4arch9wavefront6targetE1EEEvSF_
	.globl	_ZN7rocprim17ROCPRIM_400000_NS6detail17trampoline_kernelINS0_14default_configENS1_38merge_sort_block_merge_config_selectorIfNS0_10empty_typeEEEZZNS1_27merge_sort_block_merge_implIS3_PfPS5_jNS1_19radix_merge_compareILb1ELb0EfNS0_19identity_decomposerEEEEE10hipError_tT0_T1_T2_jT3_P12ihipStream_tbPNSt15iterator_traitsISE_E10value_typeEPNSK_ISF_E10value_typeEPSG_NS1_7vsmem_tEENKUlT_SE_SF_SG_E_clIS8_S8_S9_S9_EESD_ST_SE_SF_SG_EUlST_E0_NS1_11comp_targetILNS1_3genE10ELNS1_11target_archE1201ELNS1_3gpuE5ELNS1_3repE0EEENS1_38merge_mergepath_config_static_selectorELNS0_4arch9wavefront6targetE1EEEvSF_
	.p2align	8
	.type	_ZN7rocprim17ROCPRIM_400000_NS6detail17trampoline_kernelINS0_14default_configENS1_38merge_sort_block_merge_config_selectorIfNS0_10empty_typeEEEZZNS1_27merge_sort_block_merge_implIS3_PfPS5_jNS1_19radix_merge_compareILb1ELb0EfNS0_19identity_decomposerEEEEE10hipError_tT0_T1_T2_jT3_P12ihipStream_tbPNSt15iterator_traitsISE_E10value_typeEPNSK_ISF_E10value_typeEPSG_NS1_7vsmem_tEENKUlT_SE_SF_SG_E_clIS8_S8_S9_S9_EESD_ST_SE_SF_SG_EUlST_E0_NS1_11comp_targetILNS1_3genE10ELNS1_11target_archE1201ELNS1_3gpuE5ELNS1_3repE0EEENS1_38merge_mergepath_config_static_selectorELNS0_4arch9wavefront6targetE1EEEvSF_,@function
_ZN7rocprim17ROCPRIM_400000_NS6detail17trampoline_kernelINS0_14default_configENS1_38merge_sort_block_merge_config_selectorIfNS0_10empty_typeEEEZZNS1_27merge_sort_block_merge_implIS3_PfPS5_jNS1_19radix_merge_compareILb1ELb0EfNS0_19identity_decomposerEEEEE10hipError_tT0_T1_T2_jT3_P12ihipStream_tbPNSt15iterator_traitsISE_E10value_typeEPNSK_ISF_E10value_typeEPSG_NS1_7vsmem_tEENKUlT_SE_SF_SG_E_clIS8_S8_S9_S9_EESD_ST_SE_SF_SG_EUlST_E0_NS1_11comp_targetILNS1_3genE10ELNS1_11target_archE1201ELNS1_3gpuE5ELNS1_3repE0EEENS1_38merge_mergepath_config_static_selectorELNS0_4arch9wavefront6targetE1EEEvSF_: ; @_ZN7rocprim17ROCPRIM_400000_NS6detail17trampoline_kernelINS0_14default_configENS1_38merge_sort_block_merge_config_selectorIfNS0_10empty_typeEEEZZNS1_27merge_sort_block_merge_implIS3_PfPS5_jNS1_19radix_merge_compareILb1ELb0EfNS0_19identity_decomposerEEEEE10hipError_tT0_T1_T2_jT3_P12ihipStream_tbPNSt15iterator_traitsISE_E10value_typeEPNSK_ISF_E10value_typeEPSG_NS1_7vsmem_tEENKUlT_SE_SF_SG_E_clIS8_S8_S9_S9_EESD_ST_SE_SF_SG_EUlST_E0_NS1_11comp_targetILNS1_3genE10ELNS1_11target_archE1201ELNS1_3gpuE5ELNS1_3repE0EEENS1_38merge_mergepath_config_static_selectorELNS0_4arch9wavefront6targetE1EEEvSF_
; %bb.0:
	.section	.rodata,"a",@progbits
	.p2align	6, 0x0
	.amdhsa_kernel _ZN7rocprim17ROCPRIM_400000_NS6detail17trampoline_kernelINS0_14default_configENS1_38merge_sort_block_merge_config_selectorIfNS0_10empty_typeEEEZZNS1_27merge_sort_block_merge_implIS3_PfPS5_jNS1_19radix_merge_compareILb1ELb0EfNS0_19identity_decomposerEEEEE10hipError_tT0_T1_T2_jT3_P12ihipStream_tbPNSt15iterator_traitsISE_E10value_typeEPNSK_ISF_E10value_typeEPSG_NS1_7vsmem_tEENKUlT_SE_SF_SG_E_clIS8_S8_S9_S9_EESD_ST_SE_SF_SG_EUlST_E0_NS1_11comp_targetILNS1_3genE10ELNS1_11target_archE1201ELNS1_3gpuE5ELNS1_3repE0EEENS1_38merge_mergepath_config_static_selectorELNS0_4arch9wavefront6targetE1EEEvSF_
		.amdhsa_group_segment_fixed_size 0
		.amdhsa_private_segment_fixed_size 0
		.amdhsa_kernarg_size 64
		.amdhsa_user_sgpr_count 6
		.amdhsa_user_sgpr_private_segment_buffer 1
		.amdhsa_user_sgpr_dispatch_ptr 0
		.amdhsa_user_sgpr_queue_ptr 0
		.amdhsa_user_sgpr_kernarg_segment_ptr 1
		.amdhsa_user_sgpr_dispatch_id 0
		.amdhsa_user_sgpr_flat_scratch_init 0
		.amdhsa_user_sgpr_kernarg_preload_length 0
		.amdhsa_user_sgpr_kernarg_preload_offset 0
		.amdhsa_user_sgpr_private_segment_size 0
		.amdhsa_uses_dynamic_stack 0
		.amdhsa_system_sgpr_private_segment_wavefront_offset 0
		.amdhsa_system_sgpr_workgroup_id_x 1
		.amdhsa_system_sgpr_workgroup_id_y 0
		.amdhsa_system_sgpr_workgroup_id_z 0
		.amdhsa_system_sgpr_workgroup_info 0
		.amdhsa_system_vgpr_workitem_id 0
		.amdhsa_next_free_vgpr 1
		.amdhsa_next_free_sgpr 0
		.amdhsa_accum_offset 4
		.amdhsa_reserve_vcc 0
		.amdhsa_reserve_flat_scratch 0
		.amdhsa_float_round_mode_32 0
		.amdhsa_float_round_mode_16_64 0
		.amdhsa_float_denorm_mode_32 3
		.amdhsa_float_denorm_mode_16_64 3
		.amdhsa_dx10_clamp 1
		.amdhsa_ieee_mode 1
		.amdhsa_fp16_overflow 0
		.amdhsa_tg_split 0
		.amdhsa_exception_fp_ieee_invalid_op 0
		.amdhsa_exception_fp_denorm_src 0
		.amdhsa_exception_fp_ieee_div_zero 0
		.amdhsa_exception_fp_ieee_overflow 0
		.amdhsa_exception_fp_ieee_underflow 0
		.amdhsa_exception_fp_ieee_inexact 0
		.amdhsa_exception_int_div_zero 0
	.end_amdhsa_kernel
	.section	.text._ZN7rocprim17ROCPRIM_400000_NS6detail17trampoline_kernelINS0_14default_configENS1_38merge_sort_block_merge_config_selectorIfNS0_10empty_typeEEEZZNS1_27merge_sort_block_merge_implIS3_PfPS5_jNS1_19radix_merge_compareILb1ELb0EfNS0_19identity_decomposerEEEEE10hipError_tT0_T1_T2_jT3_P12ihipStream_tbPNSt15iterator_traitsISE_E10value_typeEPNSK_ISF_E10value_typeEPSG_NS1_7vsmem_tEENKUlT_SE_SF_SG_E_clIS8_S8_S9_S9_EESD_ST_SE_SF_SG_EUlST_E0_NS1_11comp_targetILNS1_3genE10ELNS1_11target_archE1201ELNS1_3gpuE5ELNS1_3repE0EEENS1_38merge_mergepath_config_static_selectorELNS0_4arch9wavefront6targetE1EEEvSF_,"axG",@progbits,_ZN7rocprim17ROCPRIM_400000_NS6detail17trampoline_kernelINS0_14default_configENS1_38merge_sort_block_merge_config_selectorIfNS0_10empty_typeEEEZZNS1_27merge_sort_block_merge_implIS3_PfPS5_jNS1_19radix_merge_compareILb1ELb0EfNS0_19identity_decomposerEEEEE10hipError_tT0_T1_T2_jT3_P12ihipStream_tbPNSt15iterator_traitsISE_E10value_typeEPNSK_ISF_E10value_typeEPSG_NS1_7vsmem_tEENKUlT_SE_SF_SG_E_clIS8_S8_S9_S9_EESD_ST_SE_SF_SG_EUlST_E0_NS1_11comp_targetILNS1_3genE10ELNS1_11target_archE1201ELNS1_3gpuE5ELNS1_3repE0EEENS1_38merge_mergepath_config_static_selectorELNS0_4arch9wavefront6targetE1EEEvSF_,comdat
.Lfunc_end2513:
	.size	_ZN7rocprim17ROCPRIM_400000_NS6detail17trampoline_kernelINS0_14default_configENS1_38merge_sort_block_merge_config_selectorIfNS0_10empty_typeEEEZZNS1_27merge_sort_block_merge_implIS3_PfPS5_jNS1_19radix_merge_compareILb1ELb0EfNS0_19identity_decomposerEEEEE10hipError_tT0_T1_T2_jT3_P12ihipStream_tbPNSt15iterator_traitsISE_E10value_typeEPNSK_ISF_E10value_typeEPSG_NS1_7vsmem_tEENKUlT_SE_SF_SG_E_clIS8_S8_S9_S9_EESD_ST_SE_SF_SG_EUlST_E0_NS1_11comp_targetILNS1_3genE10ELNS1_11target_archE1201ELNS1_3gpuE5ELNS1_3repE0EEENS1_38merge_mergepath_config_static_selectorELNS0_4arch9wavefront6targetE1EEEvSF_, .Lfunc_end2513-_ZN7rocprim17ROCPRIM_400000_NS6detail17trampoline_kernelINS0_14default_configENS1_38merge_sort_block_merge_config_selectorIfNS0_10empty_typeEEEZZNS1_27merge_sort_block_merge_implIS3_PfPS5_jNS1_19radix_merge_compareILb1ELb0EfNS0_19identity_decomposerEEEEE10hipError_tT0_T1_T2_jT3_P12ihipStream_tbPNSt15iterator_traitsISE_E10value_typeEPNSK_ISF_E10value_typeEPSG_NS1_7vsmem_tEENKUlT_SE_SF_SG_E_clIS8_S8_S9_S9_EESD_ST_SE_SF_SG_EUlST_E0_NS1_11comp_targetILNS1_3genE10ELNS1_11target_archE1201ELNS1_3gpuE5ELNS1_3repE0EEENS1_38merge_mergepath_config_static_selectorELNS0_4arch9wavefront6targetE1EEEvSF_
                                        ; -- End function
	.section	.AMDGPU.csdata,"",@progbits
; Kernel info:
; codeLenInByte = 0
; NumSgprs: 4
; NumVgprs: 0
; NumAgprs: 0
; TotalNumVgprs: 0
; ScratchSize: 0
; MemoryBound: 0
; FloatMode: 240
; IeeeMode: 1
; LDSByteSize: 0 bytes/workgroup (compile time only)
; SGPRBlocks: 0
; VGPRBlocks: 0
; NumSGPRsForWavesPerEU: 4
; NumVGPRsForWavesPerEU: 1
; AccumOffset: 4
; Occupancy: 8
; WaveLimiterHint : 0
; COMPUTE_PGM_RSRC2:SCRATCH_EN: 0
; COMPUTE_PGM_RSRC2:USER_SGPR: 6
; COMPUTE_PGM_RSRC2:TRAP_HANDLER: 0
; COMPUTE_PGM_RSRC2:TGID_X_EN: 1
; COMPUTE_PGM_RSRC2:TGID_Y_EN: 0
; COMPUTE_PGM_RSRC2:TGID_Z_EN: 0
; COMPUTE_PGM_RSRC2:TIDIG_COMP_CNT: 0
; COMPUTE_PGM_RSRC3_GFX90A:ACCUM_OFFSET: 0
; COMPUTE_PGM_RSRC3_GFX90A:TG_SPLIT: 0
	.section	.text._ZN7rocprim17ROCPRIM_400000_NS6detail17trampoline_kernelINS0_14default_configENS1_38merge_sort_block_merge_config_selectorIfNS0_10empty_typeEEEZZNS1_27merge_sort_block_merge_implIS3_PfPS5_jNS1_19radix_merge_compareILb1ELb0EfNS0_19identity_decomposerEEEEE10hipError_tT0_T1_T2_jT3_P12ihipStream_tbPNSt15iterator_traitsISE_E10value_typeEPNSK_ISF_E10value_typeEPSG_NS1_7vsmem_tEENKUlT_SE_SF_SG_E_clIS8_S8_S9_S9_EESD_ST_SE_SF_SG_EUlST_E0_NS1_11comp_targetILNS1_3genE5ELNS1_11target_archE942ELNS1_3gpuE9ELNS1_3repE0EEENS1_38merge_mergepath_config_static_selectorELNS0_4arch9wavefront6targetE1EEEvSF_,"axG",@progbits,_ZN7rocprim17ROCPRIM_400000_NS6detail17trampoline_kernelINS0_14default_configENS1_38merge_sort_block_merge_config_selectorIfNS0_10empty_typeEEEZZNS1_27merge_sort_block_merge_implIS3_PfPS5_jNS1_19radix_merge_compareILb1ELb0EfNS0_19identity_decomposerEEEEE10hipError_tT0_T1_T2_jT3_P12ihipStream_tbPNSt15iterator_traitsISE_E10value_typeEPNSK_ISF_E10value_typeEPSG_NS1_7vsmem_tEENKUlT_SE_SF_SG_E_clIS8_S8_S9_S9_EESD_ST_SE_SF_SG_EUlST_E0_NS1_11comp_targetILNS1_3genE5ELNS1_11target_archE942ELNS1_3gpuE9ELNS1_3repE0EEENS1_38merge_mergepath_config_static_selectorELNS0_4arch9wavefront6targetE1EEEvSF_,comdat
	.protected	_ZN7rocprim17ROCPRIM_400000_NS6detail17trampoline_kernelINS0_14default_configENS1_38merge_sort_block_merge_config_selectorIfNS0_10empty_typeEEEZZNS1_27merge_sort_block_merge_implIS3_PfPS5_jNS1_19radix_merge_compareILb1ELb0EfNS0_19identity_decomposerEEEEE10hipError_tT0_T1_T2_jT3_P12ihipStream_tbPNSt15iterator_traitsISE_E10value_typeEPNSK_ISF_E10value_typeEPSG_NS1_7vsmem_tEENKUlT_SE_SF_SG_E_clIS8_S8_S9_S9_EESD_ST_SE_SF_SG_EUlST_E0_NS1_11comp_targetILNS1_3genE5ELNS1_11target_archE942ELNS1_3gpuE9ELNS1_3repE0EEENS1_38merge_mergepath_config_static_selectorELNS0_4arch9wavefront6targetE1EEEvSF_ ; -- Begin function _ZN7rocprim17ROCPRIM_400000_NS6detail17trampoline_kernelINS0_14default_configENS1_38merge_sort_block_merge_config_selectorIfNS0_10empty_typeEEEZZNS1_27merge_sort_block_merge_implIS3_PfPS5_jNS1_19radix_merge_compareILb1ELb0EfNS0_19identity_decomposerEEEEE10hipError_tT0_T1_T2_jT3_P12ihipStream_tbPNSt15iterator_traitsISE_E10value_typeEPNSK_ISF_E10value_typeEPSG_NS1_7vsmem_tEENKUlT_SE_SF_SG_E_clIS8_S8_S9_S9_EESD_ST_SE_SF_SG_EUlST_E0_NS1_11comp_targetILNS1_3genE5ELNS1_11target_archE942ELNS1_3gpuE9ELNS1_3repE0EEENS1_38merge_mergepath_config_static_selectorELNS0_4arch9wavefront6targetE1EEEvSF_
	.globl	_ZN7rocprim17ROCPRIM_400000_NS6detail17trampoline_kernelINS0_14default_configENS1_38merge_sort_block_merge_config_selectorIfNS0_10empty_typeEEEZZNS1_27merge_sort_block_merge_implIS3_PfPS5_jNS1_19radix_merge_compareILb1ELb0EfNS0_19identity_decomposerEEEEE10hipError_tT0_T1_T2_jT3_P12ihipStream_tbPNSt15iterator_traitsISE_E10value_typeEPNSK_ISF_E10value_typeEPSG_NS1_7vsmem_tEENKUlT_SE_SF_SG_E_clIS8_S8_S9_S9_EESD_ST_SE_SF_SG_EUlST_E0_NS1_11comp_targetILNS1_3genE5ELNS1_11target_archE942ELNS1_3gpuE9ELNS1_3repE0EEENS1_38merge_mergepath_config_static_selectorELNS0_4arch9wavefront6targetE1EEEvSF_
	.p2align	8
	.type	_ZN7rocprim17ROCPRIM_400000_NS6detail17trampoline_kernelINS0_14default_configENS1_38merge_sort_block_merge_config_selectorIfNS0_10empty_typeEEEZZNS1_27merge_sort_block_merge_implIS3_PfPS5_jNS1_19radix_merge_compareILb1ELb0EfNS0_19identity_decomposerEEEEE10hipError_tT0_T1_T2_jT3_P12ihipStream_tbPNSt15iterator_traitsISE_E10value_typeEPNSK_ISF_E10value_typeEPSG_NS1_7vsmem_tEENKUlT_SE_SF_SG_E_clIS8_S8_S9_S9_EESD_ST_SE_SF_SG_EUlST_E0_NS1_11comp_targetILNS1_3genE5ELNS1_11target_archE942ELNS1_3gpuE9ELNS1_3repE0EEENS1_38merge_mergepath_config_static_selectorELNS0_4arch9wavefront6targetE1EEEvSF_,@function
_ZN7rocprim17ROCPRIM_400000_NS6detail17trampoline_kernelINS0_14default_configENS1_38merge_sort_block_merge_config_selectorIfNS0_10empty_typeEEEZZNS1_27merge_sort_block_merge_implIS3_PfPS5_jNS1_19radix_merge_compareILb1ELb0EfNS0_19identity_decomposerEEEEE10hipError_tT0_T1_T2_jT3_P12ihipStream_tbPNSt15iterator_traitsISE_E10value_typeEPNSK_ISF_E10value_typeEPSG_NS1_7vsmem_tEENKUlT_SE_SF_SG_E_clIS8_S8_S9_S9_EESD_ST_SE_SF_SG_EUlST_E0_NS1_11comp_targetILNS1_3genE5ELNS1_11target_archE942ELNS1_3gpuE9ELNS1_3repE0EEENS1_38merge_mergepath_config_static_selectorELNS0_4arch9wavefront6targetE1EEEvSF_: ; @_ZN7rocprim17ROCPRIM_400000_NS6detail17trampoline_kernelINS0_14default_configENS1_38merge_sort_block_merge_config_selectorIfNS0_10empty_typeEEEZZNS1_27merge_sort_block_merge_implIS3_PfPS5_jNS1_19radix_merge_compareILb1ELb0EfNS0_19identity_decomposerEEEEE10hipError_tT0_T1_T2_jT3_P12ihipStream_tbPNSt15iterator_traitsISE_E10value_typeEPNSK_ISF_E10value_typeEPSG_NS1_7vsmem_tEENKUlT_SE_SF_SG_E_clIS8_S8_S9_S9_EESD_ST_SE_SF_SG_EUlST_E0_NS1_11comp_targetILNS1_3genE5ELNS1_11target_archE942ELNS1_3gpuE9ELNS1_3repE0EEENS1_38merge_mergepath_config_static_selectorELNS0_4arch9wavefront6targetE1EEEvSF_
; %bb.0:
	.section	.rodata,"a",@progbits
	.p2align	6, 0x0
	.amdhsa_kernel _ZN7rocprim17ROCPRIM_400000_NS6detail17trampoline_kernelINS0_14default_configENS1_38merge_sort_block_merge_config_selectorIfNS0_10empty_typeEEEZZNS1_27merge_sort_block_merge_implIS3_PfPS5_jNS1_19radix_merge_compareILb1ELb0EfNS0_19identity_decomposerEEEEE10hipError_tT0_T1_T2_jT3_P12ihipStream_tbPNSt15iterator_traitsISE_E10value_typeEPNSK_ISF_E10value_typeEPSG_NS1_7vsmem_tEENKUlT_SE_SF_SG_E_clIS8_S8_S9_S9_EESD_ST_SE_SF_SG_EUlST_E0_NS1_11comp_targetILNS1_3genE5ELNS1_11target_archE942ELNS1_3gpuE9ELNS1_3repE0EEENS1_38merge_mergepath_config_static_selectorELNS0_4arch9wavefront6targetE1EEEvSF_
		.amdhsa_group_segment_fixed_size 0
		.amdhsa_private_segment_fixed_size 0
		.amdhsa_kernarg_size 64
		.amdhsa_user_sgpr_count 6
		.amdhsa_user_sgpr_private_segment_buffer 1
		.amdhsa_user_sgpr_dispatch_ptr 0
		.amdhsa_user_sgpr_queue_ptr 0
		.amdhsa_user_sgpr_kernarg_segment_ptr 1
		.amdhsa_user_sgpr_dispatch_id 0
		.amdhsa_user_sgpr_flat_scratch_init 0
		.amdhsa_user_sgpr_kernarg_preload_length 0
		.amdhsa_user_sgpr_kernarg_preload_offset 0
		.amdhsa_user_sgpr_private_segment_size 0
		.amdhsa_uses_dynamic_stack 0
		.amdhsa_system_sgpr_private_segment_wavefront_offset 0
		.amdhsa_system_sgpr_workgroup_id_x 1
		.amdhsa_system_sgpr_workgroup_id_y 0
		.amdhsa_system_sgpr_workgroup_id_z 0
		.amdhsa_system_sgpr_workgroup_info 0
		.amdhsa_system_vgpr_workitem_id 0
		.amdhsa_next_free_vgpr 1
		.amdhsa_next_free_sgpr 0
		.amdhsa_accum_offset 4
		.amdhsa_reserve_vcc 0
		.amdhsa_reserve_flat_scratch 0
		.amdhsa_float_round_mode_32 0
		.amdhsa_float_round_mode_16_64 0
		.amdhsa_float_denorm_mode_32 3
		.amdhsa_float_denorm_mode_16_64 3
		.amdhsa_dx10_clamp 1
		.amdhsa_ieee_mode 1
		.amdhsa_fp16_overflow 0
		.amdhsa_tg_split 0
		.amdhsa_exception_fp_ieee_invalid_op 0
		.amdhsa_exception_fp_denorm_src 0
		.amdhsa_exception_fp_ieee_div_zero 0
		.amdhsa_exception_fp_ieee_overflow 0
		.amdhsa_exception_fp_ieee_underflow 0
		.amdhsa_exception_fp_ieee_inexact 0
		.amdhsa_exception_int_div_zero 0
	.end_amdhsa_kernel
	.section	.text._ZN7rocprim17ROCPRIM_400000_NS6detail17trampoline_kernelINS0_14default_configENS1_38merge_sort_block_merge_config_selectorIfNS0_10empty_typeEEEZZNS1_27merge_sort_block_merge_implIS3_PfPS5_jNS1_19radix_merge_compareILb1ELb0EfNS0_19identity_decomposerEEEEE10hipError_tT0_T1_T2_jT3_P12ihipStream_tbPNSt15iterator_traitsISE_E10value_typeEPNSK_ISF_E10value_typeEPSG_NS1_7vsmem_tEENKUlT_SE_SF_SG_E_clIS8_S8_S9_S9_EESD_ST_SE_SF_SG_EUlST_E0_NS1_11comp_targetILNS1_3genE5ELNS1_11target_archE942ELNS1_3gpuE9ELNS1_3repE0EEENS1_38merge_mergepath_config_static_selectorELNS0_4arch9wavefront6targetE1EEEvSF_,"axG",@progbits,_ZN7rocprim17ROCPRIM_400000_NS6detail17trampoline_kernelINS0_14default_configENS1_38merge_sort_block_merge_config_selectorIfNS0_10empty_typeEEEZZNS1_27merge_sort_block_merge_implIS3_PfPS5_jNS1_19radix_merge_compareILb1ELb0EfNS0_19identity_decomposerEEEEE10hipError_tT0_T1_T2_jT3_P12ihipStream_tbPNSt15iterator_traitsISE_E10value_typeEPNSK_ISF_E10value_typeEPSG_NS1_7vsmem_tEENKUlT_SE_SF_SG_E_clIS8_S8_S9_S9_EESD_ST_SE_SF_SG_EUlST_E0_NS1_11comp_targetILNS1_3genE5ELNS1_11target_archE942ELNS1_3gpuE9ELNS1_3repE0EEENS1_38merge_mergepath_config_static_selectorELNS0_4arch9wavefront6targetE1EEEvSF_,comdat
.Lfunc_end2514:
	.size	_ZN7rocprim17ROCPRIM_400000_NS6detail17trampoline_kernelINS0_14default_configENS1_38merge_sort_block_merge_config_selectorIfNS0_10empty_typeEEEZZNS1_27merge_sort_block_merge_implIS3_PfPS5_jNS1_19radix_merge_compareILb1ELb0EfNS0_19identity_decomposerEEEEE10hipError_tT0_T1_T2_jT3_P12ihipStream_tbPNSt15iterator_traitsISE_E10value_typeEPNSK_ISF_E10value_typeEPSG_NS1_7vsmem_tEENKUlT_SE_SF_SG_E_clIS8_S8_S9_S9_EESD_ST_SE_SF_SG_EUlST_E0_NS1_11comp_targetILNS1_3genE5ELNS1_11target_archE942ELNS1_3gpuE9ELNS1_3repE0EEENS1_38merge_mergepath_config_static_selectorELNS0_4arch9wavefront6targetE1EEEvSF_, .Lfunc_end2514-_ZN7rocprim17ROCPRIM_400000_NS6detail17trampoline_kernelINS0_14default_configENS1_38merge_sort_block_merge_config_selectorIfNS0_10empty_typeEEEZZNS1_27merge_sort_block_merge_implIS3_PfPS5_jNS1_19radix_merge_compareILb1ELb0EfNS0_19identity_decomposerEEEEE10hipError_tT0_T1_T2_jT3_P12ihipStream_tbPNSt15iterator_traitsISE_E10value_typeEPNSK_ISF_E10value_typeEPSG_NS1_7vsmem_tEENKUlT_SE_SF_SG_E_clIS8_S8_S9_S9_EESD_ST_SE_SF_SG_EUlST_E0_NS1_11comp_targetILNS1_3genE5ELNS1_11target_archE942ELNS1_3gpuE9ELNS1_3repE0EEENS1_38merge_mergepath_config_static_selectorELNS0_4arch9wavefront6targetE1EEEvSF_
                                        ; -- End function
	.section	.AMDGPU.csdata,"",@progbits
; Kernel info:
; codeLenInByte = 0
; NumSgprs: 4
; NumVgprs: 0
; NumAgprs: 0
; TotalNumVgprs: 0
; ScratchSize: 0
; MemoryBound: 0
; FloatMode: 240
; IeeeMode: 1
; LDSByteSize: 0 bytes/workgroup (compile time only)
; SGPRBlocks: 0
; VGPRBlocks: 0
; NumSGPRsForWavesPerEU: 4
; NumVGPRsForWavesPerEU: 1
; AccumOffset: 4
; Occupancy: 8
; WaveLimiterHint : 0
; COMPUTE_PGM_RSRC2:SCRATCH_EN: 0
; COMPUTE_PGM_RSRC2:USER_SGPR: 6
; COMPUTE_PGM_RSRC2:TRAP_HANDLER: 0
; COMPUTE_PGM_RSRC2:TGID_X_EN: 1
; COMPUTE_PGM_RSRC2:TGID_Y_EN: 0
; COMPUTE_PGM_RSRC2:TGID_Z_EN: 0
; COMPUTE_PGM_RSRC2:TIDIG_COMP_CNT: 0
; COMPUTE_PGM_RSRC3_GFX90A:ACCUM_OFFSET: 0
; COMPUTE_PGM_RSRC3_GFX90A:TG_SPLIT: 0
	.section	.text._ZN7rocprim17ROCPRIM_400000_NS6detail17trampoline_kernelINS0_14default_configENS1_38merge_sort_block_merge_config_selectorIfNS0_10empty_typeEEEZZNS1_27merge_sort_block_merge_implIS3_PfPS5_jNS1_19radix_merge_compareILb1ELb0EfNS0_19identity_decomposerEEEEE10hipError_tT0_T1_T2_jT3_P12ihipStream_tbPNSt15iterator_traitsISE_E10value_typeEPNSK_ISF_E10value_typeEPSG_NS1_7vsmem_tEENKUlT_SE_SF_SG_E_clIS8_S8_S9_S9_EESD_ST_SE_SF_SG_EUlST_E0_NS1_11comp_targetILNS1_3genE4ELNS1_11target_archE910ELNS1_3gpuE8ELNS1_3repE0EEENS1_38merge_mergepath_config_static_selectorELNS0_4arch9wavefront6targetE1EEEvSF_,"axG",@progbits,_ZN7rocprim17ROCPRIM_400000_NS6detail17trampoline_kernelINS0_14default_configENS1_38merge_sort_block_merge_config_selectorIfNS0_10empty_typeEEEZZNS1_27merge_sort_block_merge_implIS3_PfPS5_jNS1_19radix_merge_compareILb1ELb0EfNS0_19identity_decomposerEEEEE10hipError_tT0_T1_T2_jT3_P12ihipStream_tbPNSt15iterator_traitsISE_E10value_typeEPNSK_ISF_E10value_typeEPSG_NS1_7vsmem_tEENKUlT_SE_SF_SG_E_clIS8_S8_S9_S9_EESD_ST_SE_SF_SG_EUlST_E0_NS1_11comp_targetILNS1_3genE4ELNS1_11target_archE910ELNS1_3gpuE8ELNS1_3repE0EEENS1_38merge_mergepath_config_static_selectorELNS0_4arch9wavefront6targetE1EEEvSF_,comdat
	.protected	_ZN7rocprim17ROCPRIM_400000_NS6detail17trampoline_kernelINS0_14default_configENS1_38merge_sort_block_merge_config_selectorIfNS0_10empty_typeEEEZZNS1_27merge_sort_block_merge_implIS3_PfPS5_jNS1_19radix_merge_compareILb1ELb0EfNS0_19identity_decomposerEEEEE10hipError_tT0_T1_T2_jT3_P12ihipStream_tbPNSt15iterator_traitsISE_E10value_typeEPNSK_ISF_E10value_typeEPSG_NS1_7vsmem_tEENKUlT_SE_SF_SG_E_clIS8_S8_S9_S9_EESD_ST_SE_SF_SG_EUlST_E0_NS1_11comp_targetILNS1_3genE4ELNS1_11target_archE910ELNS1_3gpuE8ELNS1_3repE0EEENS1_38merge_mergepath_config_static_selectorELNS0_4arch9wavefront6targetE1EEEvSF_ ; -- Begin function _ZN7rocprim17ROCPRIM_400000_NS6detail17trampoline_kernelINS0_14default_configENS1_38merge_sort_block_merge_config_selectorIfNS0_10empty_typeEEEZZNS1_27merge_sort_block_merge_implIS3_PfPS5_jNS1_19radix_merge_compareILb1ELb0EfNS0_19identity_decomposerEEEEE10hipError_tT0_T1_T2_jT3_P12ihipStream_tbPNSt15iterator_traitsISE_E10value_typeEPNSK_ISF_E10value_typeEPSG_NS1_7vsmem_tEENKUlT_SE_SF_SG_E_clIS8_S8_S9_S9_EESD_ST_SE_SF_SG_EUlST_E0_NS1_11comp_targetILNS1_3genE4ELNS1_11target_archE910ELNS1_3gpuE8ELNS1_3repE0EEENS1_38merge_mergepath_config_static_selectorELNS0_4arch9wavefront6targetE1EEEvSF_
	.globl	_ZN7rocprim17ROCPRIM_400000_NS6detail17trampoline_kernelINS0_14default_configENS1_38merge_sort_block_merge_config_selectorIfNS0_10empty_typeEEEZZNS1_27merge_sort_block_merge_implIS3_PfPS5_jNS1_19radix_merge_compareILb1ELb0EfNS0_19identity_decomposerEEEEE10hipError_tT0_T1_T2_jT3_P12ihipStream_tbPNSt15iterator_traitsISE_E10value_typeEPNSK_ISF_E10value_typeEPSG_NS1_7vsmem_tEENKUlT_SE_SF_SG_E_clIS8_S8_S9_S9_EESD_ST_SE_SF_SG_EUlST_E0_NS1_11comp_targetILNS1_3genE4ELNS1_11target_archE910ELNS1_3gpuE8ELNS1_3repE0EEENS1_38merge_mergepath_config_static_selectorELNS0_4arch9wavefront6targetE1EEEvSF_
	.p2align	8
	.type	_ZN7rocprim17ROCPRIM_400000_NS6detail17trampoline_kernelINS0_14default_configENS1_38merge_sort_block_merge_config_selectorIfNS0_10empty_typeEEEZZNS1_27merge_sort_block_merge_implIS3_PfPS5_jNS1_19radix_merge_compareILb1ELb0EfNS0_19identity_decomposerEEEEE10hipError_tT0_T1_T2_jT3_P12ihipStream_tbPNSt15iterator_traitsISE_E10value_typeEPNSK_ISF_E10value_typeEPSG_NS1_7vsmem_tEENKUlT_SE_SF_SG_E_clIS8_S8_S9_S9_EESD_ST_SE_SF_SG_EUlST_E0_NS1_11comp_targetILNS1_3genE4ELNS1_11target_archE910ELNS1_3gpuE8ELNS1_3repE0EEENS1_38merge_mergepath_config_static_selectorELNS0_4arch9wavefront6targetE1EEEvSF_,@function
_ZN7rocprim17ROCPRIM_400000_NS6detail17trampoline_kernelINS0_14default_configENS1_38merge_sort_block_merge_config_selectorIfNS0_10empty_typeEEEZZNS1_27merge_sort_block_merge_implIS3_PfPS5_jNS1_19radix_merge_compareILb1ELb0EfNS0_19identity_decomposerEEEEE10hipError_tT0_T1_T2_jT3_P12ihipStream_tbPNSt15iterator_traitsISE_E10value_typeEPNSK_ISF_E10value_typeEPSG_NS1_7vsmem_tEENKUlT_SE_SF_SG_E_clIS8_S8_S9_S9_EESD_ST_SE_SF_SG_EUlST_E0_NS1_11comp_targetILNS1_3genE4ELNS1_11target_archE910ELNS1_3gpuE8ELNS1_3repE0EEENS1_38merge_mergepath_config_static_selectorELNS0_4arch9wavefront6targetE1EEEvSF_: ; @_ZN7rocprim17ROCPRIM_400000_NS6detail17trampoline_kernelINS0_14default_configENS1_38merge_sort_block_merge_config_selectorIfNS0_10empty_typeEEEZZNS1_27merge_sort_block_merge_implIS3_PfPS5_jNS1_19radix_merge_compareILb1ELb0EfNS0_19identity_decomposerEEEEE10hipError_tT0_T1_T2_jT3_P12ihipStream_tbPNSt15iterator_traitsISE_E10value_typeEPNSK_ISF_E10value_typeEPSG_NS1_7vsmem_tEENKUlT_SE_SF_SG_E_clIS8_S8_S9_S9_EESD_ST_SE_SF_SG_EUlST_E0_NS1_11comp_targetILNS1_3genE4ELNS1_11target_archE910ELNS1_3gpuE8ELNS1_3repE0EEENS1_38merge_mergepath_config_static_selectorELNS0_4arch9wavefront6targetE1EEEvSF_
; %bb.0:
	s_load_dwordx2 s[14:15], s[4:5], 0x40
	s_load_dword s2, s[4:5], 0x30
	s_add_u32 s0, s4, 64
	s_addc_u32 s1, s5, 0
	s_waitcnt lgkmcnt(0)
	s_mul_i32 s3, s15, s8
	s_add_i32 s3, s3, s7
	s_mul_i32 s3, s3, s14
	s_add_i32 s12, s3, s6
	s_cmp_ge_u32 s12, s2
	s_cbranch_scc1 .LBB2515_73
; %bb.1:
	s_load_dwordx2 s[2:3], s[4:5], 0x28
	s_load_dwordx2 s[8:9], s[4:5], 0x38
	;; [unrolled: 1-line block ×3, first 2 shown]
	s_mov_b32 s13, 0
	s_mov_b32 s23, s13
	s_waitcnt lgkmcnt(0)
	s_lshr_b32 s7, s2, 10
	s_cmp_lg_u32 s12, s7
	s_cselect_b64 s[10:11], -1, 0
	s_lshl_b64 s[16:17], s[12:13], 2
	s_add_u32 s8, s8, s16
	s_addc_u32 s9, s9, s17
	s_load_dwordx2 s[16:17], s[8:9], 0x0
	s_lshr_b32 s8, s3, 9
	s_and_b32 s8, s8, 0x7ffffe
	s_sub_i32 s9, 0, s8
	s_and_b32 s15, s12, s9
	s_lshl_b32 s18, s15, 10
	s_lshl_b32 s8, s12, 10
	;; [unrolled: 1-line block ×3, first 2 shown]
	s_sub_i32 s19, s8, s18
	s_add_i32 s15, s15, s3
	s_add_i32 s19, s15, s19
	s_waitcnt lgkmcnt(0)
	s_sub_i32 s22, s19, s16
	s_sub_i32 s19, s19, s17
	;; [unrolled: 1-line block ×3, first 2 shown]
	s_min_u32 s22, s2, s22
	s_addk_i32 s19, 0x400
	s_or_b32 s9, s12, s9
	s_min_u32 s18, s2, s15
	s_add_i32 s15, s15, s3
	s_cmp_eq_u32 s9, -1
	s_cselect_b32 s3, s15, s19
	s_cselect_b32 s9, s18, s17
	s_min_u32 s15, s3, s2
	s_mov_b32 s17, s13
	s_sub_i32 s3, s9, s16
	s_sub_i32 s15, s15, s22
	s_lshl_b64 s[18:19], s[16:17], 2
	s_add_u32 s17, s20, s18
	s_addc_u32 s18, s21, s19
	s_lshl_b64 s[22:23], s[22:23], 2
	s_add_u32 s13, s20, s22
	s_addc_u32 s16, s21, s23
	s_cmp_lt_u32 s6, s14
	v_mov_b32_e32 v15, 0
	s_cselect_b32 s6, 12, 18
	global_load_dword v1, v15, s[0:1] offset:14
	s_add_u32 s0, s0, s6
	s_addc_u32 s1, s1, 0
	global_load_ushort v2, v15, s[0:1]
	s_cmp_eq_u32 s12, s7
	s_waitcnt vmcnt(1)
	v_lshrrev_b32_e32 v3, 16, v1
	v_and_b32_e32 v1, 0xffff, v1
	v_mul_lo_u32 v1, v1, v3
	s_waitcnt vmcnt(0)
	v_mul_lo_u32 v16, v1, v2
	v_add_u32_e32 v12, v16, v0
	v_lshlrev_b32_e32 v1, 2, v0
	v_add_u32_e32 v10, v12, v16
	s_cbranch_scc1 .LBB2515_3
; %bb.2:
	v_mov_b32_e32 v2, s18
	v_add_co_u32_e32 v4, vcc, s17, v1
	v_subrev_u32_e32 v14, s3, v0
	v_addc_co_u32_e32 v5, vcc, 0, v2, vcc
	v_lshlrev_b64 v[2:3], 2, v[14:15]
	v_mov_b32_e32 v6, s16
	v_add_co_u32_e32 v2, vcc, s13, v2
	v_addc_co_u32_e32 v3, vcc, v6, v3, vcc
	v_cmp_gt_u32_e32 vcc, s3, v0
	v_mov_b32_e32 v13, v15
	v_cndmask_b32_e32 v3, v3, v5, vcc
	v_cndmask_b32_e32 v2, v2, v4, vcc
	v_lshlrev_b64 v[4:5], 2, v[12:13]
	global_load_dword v2, v[2:3], off
	v_mov_b32_e32 v3, s18
	v_add_co_u32_e32 v6, vcc, s17, v4
	v_subrev_u32_e32 v14, s3, v12
	v_addc_co_u32_e32 v3, vcc, v3, v5, vcc
	v_lshlrev_b64 v[4:5], 2, v[14:15]
	v_mov_b32_e32 v7, s16
	v_add_co_u32_e32 v4, vcc, s13, v4
	v_addc_co_u32_e32 v5, vcc, v7, v5, vcc
	v_cmp_gt_u32_e32 vcc, s3, v12
	v_cndmask_b32_e32 v5, v5, v3, vcc
	v_cndmask_b32_e32 v4, v4, v6, vcc
	v_mov_b32_e32 v11, v15
	global_load_dword v3, v[4:5], off
	v_lshlrev_b64 v[4:5], 2, v[10:11]
	v_mov_b32_e32 v6, s18
	v_add_co_u32_e32 v7, vcc, s17, v4
	v_subrev_u32_e32 v14, s3, v10
	v_addc_co_u32_e32 v6, vcc, v6, v5, vcc
	v_lshlrev_b64 v[4:5], 2, v[14:15]
	v_mov_b32_e32 v8, s16
	v_add_co_u32_e32 v4, vcc, s13, v4
	v_addc_co_u32_e32 v5, vcc, v8, v5, vcc
	v_cmp_gt_u32_e32 vcc, s3, v10
	v_add_u32_e32 v14, v10, v16
	v_cndmask_b32_e32 v5, v5, v6, vcc
	v_cndmask_b32_e32 v4, v4, v7, vcc
	v_lshlrev_b64 v[6:7], 2, v[14:15]
	global_load_dword v4, v[4:5], off
	v_mov_b32_e32 v5, s18
	v_add_co_u32_e32 v8, vcc, s17, v6
	v_addc_co_u32_e32 v5, vcc, v5, v7, vcc
	v_subrev_u32_e32 v6, s3, v14
	v_mov_b32_e32 v7, v15
	v_lshlrev_b64 v[6:7], 2, v[6:7]
	v_mov_b32_e32 v9, s16
	v_add_co_u32_e32 v6, vcc, s13, v6
	v_addc_co_u32_e32 v7, vcc, v9, v7, vcc
	v_cmp_gt_u32_e32 vcc, s3, v14
	v_cndmask_b32_e32 v7, v7, v5, vcc
	v_cndmask_b32_e32 v6, v6, v8, vcc
	v_add_u32_e32 v14, v14, v16
	global_load_dword v5, v[6:7], off
	v_lshlrev_b64 v[6:7], 2, v[14:15]
	v_mov_b32_e32 v8, s18
	v_add_co_u32_e32 v9, vcc, s17, v6
	v_addc_co_u32_e32 v8, vcc, v8, v7, vcc
	v_subrev_u32_e32 v6, s3, v14
	v_mov_b32_e32 v7, v15
	v_lshlrev_b64 v[6:7], 2, v[6:7]
	v_mov_b32_e32 v11, s16
	v_add_co_u32_e32 v6, vcc, s13, v6
	v_addc_co_u32_e32 v7, vcc, v11, v7, vcc
	v_cmp_gt_u32_e32 vcc, s3, v14
	v_add_u32_e32 v14, v14, v16
	v_cndmask_b32_e32 v7, v7, v8, vcc
	v_cndmask_b32_e32 v6, v6, v9, vcc
	v_lshlrev_b64 v[8:9], 2, v[14:15]
	global_load_dword v6, v[6:7], off
	v_mov_b32_e32 v7, s18
	v_add_co_u32_e32 v11, vcc, s17, v8
	v_addc_co_u32_e32 v7, vcc, v7, v9, vcc
	v_subrev_u32_e32 v8, s3, v14
	v_mov_b32_e32 v9, v15
	v_lshlrev_b64 v[8:9], 2, v[8:9]
	v_mov_b32_e32 v13, s16
	v_add_co_u32_e32 v8, vcc, s13, v8
	v_addc_co_u32_e32 v9, vcc, v13, v9, vcc
	v_cmp_gt_u32_e32 vcc, s3, v14
	v_cndmask_b32_e32 v9, v9, v7, vcc
	v_cndmask_b32_e32 v8, v8, v11, vcc
	v_add_u32_e32 v14, v14, v16
	global_load_dword v7, v[8:9], off
	v_lshlrev_b64 v[8:9], 2, v[14:15]
	v_mov_b32_e32 v11, s18
	v_add_co_u32_e32 v13, vcc, s17, v8
	v_addc_co_u32_e32 v11, vcc, v11, v9, vcc
	v_subrev_u32_e32 v8, s3, v14
	v_mov_b32_e32 v9, v15
	v_lshlrev_b64 v[8:9], 2, v[8:9]
	v_mov_b32_e32 v17, s16
	v_add_co_u32_e32 v8, vcc, s13, v8
	v_addc_co_u32_e32 v9, vcc, v17, v9, vcc
	v_cmp_gt_u32_e32 vcc, s3, v14
	v_add_u32_e32 v14, v14, v16
	v_cndmask_b32_e32 v9, v9, v11, vcc
	v_cndmask_b32_e32 v8, v8, v13, vcc
	v_lshlrev_b64 v[18:19], 2, v[14:15]
	global_load_dword v8, v[8:9], off
	v_mov_b32_e32 v9, s18
	v_add_co_u32_e32 v11, vcc, s17, v18
	v_addc_co_u32_e32 v9, vcc, v9, v19, vcc
	v_cmp_gt_u32_e32 vcc, s3, v14
	v_subrev_u32_e32 v14, s3, v14
	v_lshlrev_b64 v[14:15], 2, v[14:15]
	v_mov_b32_e32 v13, s16
	v_add_co_u32_e64 v14, s[0:1], s13, v14
	v_addc_co_u32_e64 v13, s[0:1], v13, v15, s[0:1]
	v_cndmask_b32_e32 v15, v13, v9, vcc
	v_cndmask_b32_e32 v14, v14, v11, vcc
	global_load_dword v9, v[14:15], off
	s_add_i32 s9, s15, s3
	s_load_dwordx2 s[4:5], s[4:5], 0x10
	s_cbranch_execz .LBB2515_4
	s_branch .LBB2515_19
.LBB2515_3:
                                        ; implicit-def: $vgpr2_vgpr3_vgpr4_vgpr5_vgpr6_vgpr7_vgpr8_vgpr9
                                        ; implicit-def: $sgpr9
	s_load_dwordx2 s[4:5], s[4:5], 0x10
.LBB2515_4:
	s_add_i32 s9, s15, s3
	v_cmp_gt_u32_e32 vcc, s9, v0
                                        ; implicit-def: $vgpr2_vgpr3_vgpr4_vgpr5_vgpr6_vgpr7_vgpr8_vgpr9
	s_and_saveexec_b64 s[0:1], vcc
	s_cbranch_execnz .LBB2515_74
; %bb.5:
	s_or_b64 exec, exec, s[0:1]
	v_cmp_gt_u32_e32 vcc, s9, v12
	s_and_saveexec_b64 s[6:7], vcc
	s_cbranch_execnz .LBB2515_75
.LBB2515_6:
	s_or_b64 exec, exec, s[6:7]
	v_cmp_gt_u32_e32 vcc, s9, v10
	s_and_saveexec_b64 s[0:1], vcc
	s_cbranch_execz .LBB2515_8
.LBB2515_7:
	v_mov_b32_e32 v11, 0
	v_lshlrev_b64 v[12:13], 2, v[10:11]
	s_waitcnt vmcnt(5)
	v_mov_b32_e32 v4, s18
	v_add_co_u32_e32 v14, vcc, s17, v12
	v_addc_co_u32_e32 v4, vcc, v4, v13, vcc
	v_subrev_u32_e32 v12, s3, v10
	v_mov_b32_e32 v13, v11
	v_lshlrev_b64 v[12:13], 2, v[12:13]
	v_mov_b32_e32 v11, s16
	v_add_co_u32_e32 v12, vcc, s13, v12
	v_addc_co_u32_e32 v11, vcc, v11, v13, vcc
	v_cmp_gt_u32_e32 vcc, s3, v10
	v_cndmask_b32_e32 v13, v11, v4, vcc
	v_cndmask_b32_e32 v12, v12, v14, vcc
	global_load_dword v4, v[12:13], off
.LBB2515_8:
	s_or_b64 exec, exec, s[0:1]
	v_add_u32_e32 v10, v10, v16
	v_cmp_gt_u32_e32 vcc, s9, v10
	s_and_saveexec_b64 s[0:1], vcc
	s_cbranch_execz .LBB2515_10
; %bb.9:
	v_mov_b32_e32 v11, 0
	v_lshlrev_b64 v[12:13], 2, v[10:11]
	s_waitcnt vmcnt(4)
	v_mov_b32_e32 v5, s18
	v_add_co_u32_e32 v14, vcc, s17, v12
	v_addc_co_u32_e32 v5, vcc, v5, v13, vcc
	v_subrev_u32_e32 v12, s3, v10
	v_mov_b32_e32 v13, v11
	v_lshlrev_b64 v[12:13], 2, v[12:13]
	v_mov_b32_e32 v11, s16
	v_add_co_u32_e32 v12, vcc, s13, v12
	v_addc_co_u32_e32 v11, vcc, v11, v13, vcc
	v_cmp_gt_u32_e32 vcc, s3, v10
	v_cndmask_b32_e32 v13, v11, v5, vcc
	v_cndmask_b32_e32 v12, v12, v14, vcc
	global_load_dword v5, v[12:13], off
.LBB2515_10:
	s_or_b64 exec, exec, s[0:1]
	v_add_u32_e32 v10, v10, v16
	v_cmp_gt_u32_e32 vcc, s9, v10
	s_and_saveexec_b64 s[0:1], vcc
	s_cbranch_execz .LBB2515_12
; %bb.11:
	v_mov_b32_e32 v11, 0
	v_lshlrev_b64 v[12:13], 2, v[10:11]
	s_waitcnt vmcnt(3)
	v_mov_b32_e32 v6, s18
	v_add_co_u32_e32 v14, vcc, s17, v12
	v_addc_co_u32_e32 v6, vcc, v6, v13, vcc
	v_subrev_u32_e32 v12, s3, v10
	v_mov_b32_e32 v13, v11
	v_lshlrev_b64 v[12:13], 2, v[12:13]
	v_mov_b32_e32 v11, s16
	v_add_co_u32_e32 v12, vcc, s13, v12
	v_addc_co_u32_e32 v11, vcc, v11, v13, vcc
	v_cmp_gt_u32_e32 vcc, s3, v10
	v_cndmask_b32_e32 v13, v11, v6, vcc
	v_cndmask_b32_e32 v12, v12, v14, vcc
	global_load_dword v6, v[12:13], off
.LBB2515_12:
	;; [unrolled: 23-line block ×4, first 2 shown]
	s_or_b64 exec, exec, s[0:1]
	v_add_u32_e32 v10, v10, v16
	v_cmp_gt_u32_e32 vcc, s9, v10
	s_and_saveexec_b64 s[6:7], vcc
	s_cbranch_execz .LBB2515_18
; %bb.17:
	v_mov_b32_e32 v11, 0
	v_lshlrev_b64 v[12:13], 2, v[10:11]
	s_waitcnt vmcnt(0)
	v_mov_b32_e32 v9, s18
	v_add_co_u32_e32 v12, vcc, s17, v12
	v_addc_co_u32_e32 v9, vcc, v9, v13, vcc
	v_cmp_gt_u32_e32 vcc, s3, v10
	v_subrev_u32_e32 v10, s3, v10
	v_lshlrev_b64 v[10:11], 2, v[10:11]
	v_mov_b32_e32 v13, s16
	v_add_co_u32_e64 v10, s[0:1], s13, v10
	v_addc_co_u32_e64 v11, s[0:1], v13, v11, s[0:1]
	v_cndmask_b32_e32 v11, v11, v9, vcc
	v_cndmask_b32_e32 v10, v10, v12, vcc
	global_load_dword v9, v[10:11], off
.LBB2515_18:
	s_or_b64 exec, exec, s[6:7]
.LBB2515_19:
	v_lshlrev_b32_e32 v10, 3, v0
	v_min_u32_e32 v12, s9, v10
	v_sub_u32_e64 v11, v12, s15 clamp
	v_min_u32_e32 v13, s3, v12
	v_cmp_lt_u32_e32 vcc, v11, v13
	s_waitcnt vmcnt(0)
	ds_write2st64_b32 v1, v2, v3 offset1:2
	ds_write2st64_b32 v1, v4, v5 offset0:4 offset1:6
	ds_write2st64_b32 v1, v6, v7 offset0:8 offset1:10
	;; [unrolled: 1-line block ×3, first 2 shown]
	s_waitcnt lgkmcnt(0)
	s_barrier
	s_and_saveexec_b64 s[0:1], vcc
	s_cbranch_execz .LBB2515_23
; %bb.20:
	v_lshlrev_b32_e32 v14, 2, v12
	v_lshl_add_u32 v14, s3, 2, v14
	s_mov_b64 s[6:7], 0
.LBB2515_21:                            ; =>This Inner Loop Header: Depth=1
	v_add_u32_e32 v15, v13, v11
	v_lshrrev_b32_e32 v15, 1, v15
	v_not_b32_e32 v16, v15
	v_lshlrev_b32_e32 v17, 2, v15
	v_lshl_add_u32 v16, v16, 2, v14
	ds_read_b32 v17, v17
	ds_read_b32 v16, v16
	v_add_u32_e32 v18, 1, v15
	s_waitcnt lgkmcnt(0)
	v_pk_add_f32 v[16:17], v[16:17], 0 op_sel_hi:[1,0]
	v_ashrrev_i32_e32 v19, 31, v17
	v_ashrrev_i32_e32 v20, 31, v16
	v_or_b32_e32 v20, 0x80000000, v20
	v_or_b32_e32 v19, 0x80000000, v19
	v_xor_b32_e32 v17, v19, v17
	v_xor_b32_e32 v16, v20, v16
	v_cmp_gt_u32_e32 vcc, v16, v17
	v_cndmask_b32_e32 v13, v13, v15, vcc
	v_cndmask_b32_e32 v11, v18, v11, vcc
	v_cmp_ge_u32_e32 vcc, v11, v13
	s_or_b64 s[6:7], vcc, s[6:7]
	s_andn2_b64 exec, exec, s[6:7]
	s_cbranch_execnz .LBB2515_21
; %bb.22:
	s_or_b64 exec, exec, s[6:7]
.LBB2515_23:
	s_or_b64 exec, exec, s[0:1]
	v_sub_u32_e32 v12, v12, v11
	v_add_u32_e32 v12, s3, v12
	v_cmp_ge_u32_e32 vcc, s3, v11
	v_cmp_ge_u32_e64 s[0:1], s9, v12
	s_or_b64 s[0:1], vcc, s[0:1]
	s_and_saveexec_b64 s[6:7], s[0:1]
	s_xor_b64 s[6:7], exec, s[6:7]
	s_cbranch_execz .LBB2515_59
; %bb.24:
	v_cmp_le_u32_e32 vcc, s3, v11
	v_cmp_gt_u32_e64 s[0:1], s3, v11
                                        ; implicit-def: $vgpr9
	s_and_saveexec_b64 s[12:13], s[0:1]
	s_cbranch_execz .LBB2515_26
; %bb.25:
	v_lshlrev_b32_e32 v2, 2, v11
	ds_read_b32 v9, v2
.LBB2515_26:
	s_or_b64 exec, exec, s[12:13]
	v_cmp_le_u32_e64 s[12:13], s9, v12
	v_cmp_gt_u32_e64 s[0:1], s9, v12
	s_and_saveexec_b64 s[14:15], s[0:1]
	s_cbranch_execz .LBB2515_28
; %bb.27:
	v_lshlrev_b32_e32 v2, 2, v12
	ds_read_b32 v8, v2
.LBB2515_28:
	s_or_b64 exec, exec, s[14:15]
	s_or_b64 s[14:15], vcc, s[12:13]
	s_mov_b64 s[0:1], -1
	s_xor_b64 s[16:17], s[14:15], -1
	s_and_saveexec_b64 s[14:15], s[16:17]
	s_cbranch_execz .LBB2515_30
; %bb.29:
	s_waitcnt lgkmcnt(0)
	v_pk_add_f32 v[2:3], v[8:9], 0 op_sel_hi:[1,0]
	v_ashrrev_i32_e32 v4, 31, v3
	v_ashrrev_i32_e32 v5, 31, v2
	v_or_b32_e32 v5, 0x80000000, v5
	v_or_b32_e32 v4, 0x80000000, v4
	v_xor_b32_e32 v3, v4, v3
	v_xor_b32_e32 v2, v5, v2
	v_cmp_le_u32_e32 vcc, v2, v3
	s_andn2_b64 s[12:13], s[12:13], exec
	s_and_b64 s[16:17], vcc, exec
	s_or_b64 s[12:13], s[12:13], s[16:17]
.LBB2515_30:
	s_or_b64 exec, exec, s[14:15]
	v_mov_b32_e32 v3, s9
	v_mov_b32_e32 v4, s3
	v_cndmask_b32_e64 v2, v12, v11, s[12:13]
	v_cndmask_b32_e64 v3, v3, v4, s[12:13]
	v_add_u32_e32 v4, 1, v2
	v_add_u32_e32 v2, -1, v3
	v_min_u32_e32 v2, v4, v2
	v_lshlrev_b32_e32 v2, 2, v2
	ds_read_b32 v3, v2
	v_cndmask_b32_e64 v5, v4, v12, s[12:13]
	v_cndmask_b32_e64 v7, v11, v4, s[12:13]
	v_cmp_gt_u32_e32 vcc, s9, v5
	s_waitcnt lgkmcnt(0)
	v_cndmask_b32_e64 v2, v3, v8, s[12:13]
	v_cndmask_b32_e64 v3, v9, v3, s[12:13]
	s_and_saveexec_b64 s[14:15], vcc
	s_cbranch_execz .LBB2515_34
; %bb.31:
	v_cmp_gt_u32_e32 vcc, s3, v7
	s_mov_b64 s[16:17], 0
	s_and_saveexec_b64 s[0:1], vcc
; %bb.32:
	v_add_f32_e32 v4, 0, v2
	v_ashrrev_i32_e32 v11, 31, v4
	v_add_f32_e32 v6, 0, v3
	v_or_b32_e32 v11, 0x80000000, v11
	v_xor_b32_e32 v4, v11, v4
	v_ashrrev_i32_e32 v11, 31, v6
	v_or_b32_e32 v11, 0x80000000, v11
	v_xor_b32_e32 v6, v11, v6
	v_cmp_le_u32_e32 vcc, v4, v6
	s_and_b64 s[16:17], vcc, exec
; %bb.33:
	s_or_b64 exec, exec, s[0:1]
	s_orn2_b64 s[0:1], s[16:17], exec
.LBB2515_34:
	s_or_b64 exec, exec, s[14:15]
	v_mov_b32_e32 v6, s9
	v_mov_b32_e32 v11, s3
	v_cndmask_b32_e64 v4, v5, v7, s[0:1]
	v_cndmask_b32_e64 v6, v6, v11, s[0:1]
	v_add_u32_e32 v12, 1, v4
	v_add_u32_e32 v4, -1, v6
	v_min_u32_e32 v4, v12, v4
	v_lshlrev_b32_e32 v4, 2, v4
	ds_read_b32 v6, v4
	v_cndmask_b32_e64 v7, v7, v12, s[0:1]
	s_mov_b64 s[16:17], -1
	s_mov_b64 s[14:15], -1
	s_waitcnt lgkmcnt(0)
	v_cndmask_b32_e64 v4, v6, v2, s[0:1]
	v_cndmask_b32_e64 v11, v3, v6, s[0:1]
	;; [unrolled: 1-line block ×3, first 2 shown]
	v_cmp_gt_u32_e32 vcc, s9, v6
	s_and_saveexec_b64 s[18:19], vcc
	s_cbranch_execz .LBB2515_38
; %bb.35:
	v_cmp_gt_u32_e32 vcc, s3, v7
	s_mov_b64 s[20:21], 0
	s_and_saveexec_b64 s[14:15], vcc
; %bb.36:
	v_add_f32_e32 v5, 0, v4
	v_ashrrev_i32_e32 v13, 31, v5
	v_add_f32_e32 v12, 0, v11
	v_or_b32_e32 v13, 0x80000000, v13
	v_xor_b32_e32 v5, v13, v5
	v_ashrrev_i32_e32 v13, 31, v12
	v_or_b32_e32 v13, 0x80000000, v13
	v_xor_b32_e32 v12, v13, v12
	v_cmp_le_u32_e32 vcc, v5, v12
	s_and_b64 s[20:21], vcc, exec
; %bb.37:
	s_or_b64 exec, exec, s[14:15]
	s_orn2_b64 s[14:15], s[20:21], exec
.LBB2515_38:
	s_or_b64 exec, exec, s[18:19]
	v_mov_b32_e32 v12, s9
	v_mov_b32_e32 v13, s3
	v_cndmask_b32_e64 v5, v6, v7, s[14:15]
	v_cndmask_b32_e64 v12, v12, v13, s[14:15]
	v_add_u32_e32 v13, 1, v5
	v_add_u32_e32 v5, -1, v12
	v_min_u32_e32 v5, v13, v5
	v_lshlrev_b32_e32 v5, 2, v5
	ds_read_b32 v12, v5
	v_cndmask_b32_e64 v14, v13, v6, s[14:15]
	v_cndmask_b32_e64 v7, v7, v13, s[14:15]
	v_cmp_gt_u32_e32 vcc, s9, v14
	s_waitcnt lgkmcnt(0)
	v_cndmask_b32_e64 v5, v12, v4, s[14:15]
	v_cndmask_b32_e64 v12, v11, v12, s[14:15]
	s_and_saveexec_b64 s[18:19], vcc
	s_cbranch_execz .LBB2515_42
; %bb.39:
	v_cmp_gt_u32_e32 vcc, s3, v7
	s_mov_b64 s[20:21], 0
	s_and_saveexec_b64 s[16:17], vcc
; %bb.40:
	v_add_f32_e32 v6, 0, v5
	v_ashrrev_i32_e32 v15, 31, v6
	v_add_f32_e32 v13, 0, v12
	v_or_b32_e32 v15, 0x80000000, v15
	v_xor_b32_e32 v6, v15, v6
	v_ashrrev_i32_e32 v15, 31, v13
	v_or_b32_e32 v15, 0x80000000, v15
	v_xor_b32_e32 v13, v15, v13
	v_cmp_le_u32_e32 vcc, v6, v13
	s_and_b64 s[20:21], vcc, exec
; %bb.41:
	s_or_b64 exec, exec, s[16:17]
	s_orn2_b64 s[16:17], s[20:21], exec
.LBB2515_42:
	s_or_b64 exec, exec, s[18:19]
	v_mov_b32_e32 v13, s9
	v_mov_b32_e32 v15, s3
	v_cndmask_b32_e64 v6, v14, v7, s[16:17]
	v_cndmask_b32_e64 v13, v13, v15, s[16:17]
	v_add_u32_e32 v15, 1, v6
	v_add_u32_e32 v6, -1, v13
	v_min_u32_e32 v6, v15, v6
	v_lshlrev_b32_e32 v6, 2, v6
	ds_read_b32 v13, v6
	v_cndmask_b32_e64 v14, v15, v14, s[16:17]
	v_cndmask_b32_e64 v15, v7, v15, s[16:17]
	v_cmp_gt_u32_e32 vcc, s9, v14
	s_mov_b64 s[20:21], -1
	s_waitcnt lgkmcnt(0)
	v_cndmask_b32_e64 v6, v13, v5, s[16:17]
	v_cndmask_b32_e64 v13, v12, v13, s[16:17]
	s_mov_b64 s[18:19], -1
	s_and_saveexec_b64 s[22:23], vcc
	s_cbranch_execz .LBB2515_46
; %bb.43:
	v_cmp_gt_u32_e32 vcc, s3, v15
	s_mov_b64 s[24:25], 0
	s_and_saveexec_b64 s[18:19], vcc
; %bb.44:
	v_add_f32_e32 v7, 0, v6
	v_ashrrev_i32_e32 v17, 31, v7
	v_add_f32_e32 v16, 0, v13
	v_or_b32_e32 v17, 0x80000000, v17
	v_xor_b32_e32 v7, v17, v7
	v_ashrrev_i32_e32 v17, 31, v16
	v_or_b32_e32 v17, 0x80000000, v17
	v_xor_b32_e32 v16, v17, v16
	v_cmp_le_u32_e32 vcc, v7, v16
	s_and_b64 s[24:25], vcc, exec
; %bb.45:
	s_or_b64 exec, exec, s[18:19]
	s_orn2_b64 s[18:19], s[24:25], exec
.LBB2515_46:
	s_or_b64 exec, exec, s[22:23]
	v_mov_b32_e32 v16, s9
	v_mov_b32_e32 v17, s3
	v_cndmask_b32_e64 v7, v14, v15, s[18:19]
	v_cndmask_b32_e64 v16, v16, v17, s[18:19]
	v_add_u32_e32 v18, 1, v7
	v_add_u32_e32 v7, -1, v16
	v_min_u32_e32 v7, v18, v7
	v_lshlrev_b32_e32 v7, 2, v7
	ds_read_b32 v16, v7
	v_cndmask_b32_e64 v17, v18, v14, s[18:19]
	v_cndmask_b32_e64 v19, v15, v18, s[18:19]
	v_cmp_gt_u32_e32 vcc, s9, v17
	s_waitcnt lgkmcnt(0)
	v_cndmask_b32_e64 v7, v16, v6, s[18:19]
	v_cndmask_b32_e64 v16, v13, v16, s[18:19]
	s_and_saveexec_b64 s[22:23], vcc
	s_cbranch_execz .LBB2515_50
; %bb.47:
	v_cmp_gt_u32_e32 vcc, s3, v19
	s_mov_b64 s[24:25], 0
	s_and_saveexec_b64 s[20:21], vcc
; %bb.48:
	v_add_f32_e32 v14, 0, v7
	v_ashrrev_i32_e32 v18, 31, v14
	v_add_f32_e32 v15, 0, v16
	v_or_b32_e32 v18, 0x80000000, v18
	v_xor_b32_e32 v14, v18, v14
	v_ashrrev_i32_e32 v18, 31, v15
	v_or_b32_e32 v18, 0x80000000, v18
	v_xor_b32_e32 v15, v18, v15
	v_cmp_le_u32_e32 vcc, v14, v15
	s_and_b64 s[24:25], vcc, exec
; %bb.49:
	s_or_b64 exec, exec, s[20:21]
	s_orn2_b64 s[20:21], s[24:25], exec
.LBB2515_50:
	s_or_b64 exec, exec, s[22:23]
	v_mov_b32_e32 v15, s9
	v_mov_b32_e32 v18, s3
	v_cndmask_b32_e64 v14, v17, v19, s[20:21]
	v_cndmask_b32_e64 v15, v15, v18, s[20:21]
	v_add_u32_e32 v20, 1, v14
	v_add_u32_e32 v14, -1, v15
	v_min_u32_e32 v14, v20, v14
	v_lshlrev_b32_e32 v14, 2, v14
	ds_read_b32 v15, v14
	v_cndmask_b32_e64 v18, v20, v17, s[20:21]
	v_cndmask_b32_e64 v17, v19, v20, s[20:21]
	v_cmp_gt_u32_e32 vcc, s9, v18
	s_mov_b64 s[22:23], -1
	s_waitcnt lgkmcnt(0)
	v_cndmask_b32_e64 v14, v15, v7, s[20:21]
	v_cndmask_b32_e64 v15, v16, v15, s[20:21]
	s_and_saveexec_b64 s[24:25], vcc
	s_cbranch_execz .LBB2515_54
; %bb.51:
	v_cmp_gt_u32_e32 vcc, s3, v17
	s_mov_b64 s[26:27], 0
	s_and_saveexec_b64 s[22:23], vcc
; %bb.52:
	v_add_f32_e32 v19, 0, v14
	v_ashrrev_i32_e32 v21, 31, v19
	v_add_f32_e32 v20, 0, v15
	v_or_b32_e32 v21, 0x80000000, v21
	v_xor_b32_e32 v19, v21, v19
	v_ashrrev_i32_e32 v21, 31, v20
	v_or_b32_e32 v21, 0x80000000, v21
	v_xor_b32_e32 v20, v21, v20
	v_cmp_le_u32_e32 vcc, v19, v20
	s_and_b64 s[26:27], vcc, exec
; %bb.53:
	s_or_b64 exec, exec, s[22:23]
	s_orn2_b64 s[22:23], s[26:27], exec
.LBB2515_54:
	s_or_b64 exec, exec, s[24:25]
	v_cndmask_b32_e64 v7, v7, v16, s[20:21]
	v_mov_b32_e32 v16, s9
	v_mov_b32_e32 v19, s3
	v_cndmask_b32_e64 v6, v6, v13, s[18:19]
	v_cndmask_b32_e64 v13, v18, v17, s[22:23]
	;; [unrolled: 1-line block ×3, first 2 shown]
	v_add_u32_e32 v13, 1, v13
	v_add_u32_e32 v16, -1, v16
	v_min_u32_e32 v16, v13, v16
	v_lshlrev_b32_e32 v16, 2, v16
	ds_read_b32 v16, v16
	v_cndmask_b32_e64 v3, v2, v3, s[0:1]
	v_cndmask_b32_e64 v2, v8, v9, s[12:13]
	;; [unrolled: 1-line block ×5, first 2 shown]
	s_waitcnt lgkmcnt(0)
	v_cndmask_b32_e64 v9, v15, v16, s[22:23]
	v_cmp_gt_u32_e32 vcc, s9, v8
	s_and_saveexec_b64 s[0:1], vcc
	s_cbranch_execz .LBB2515_58
; %bb.55:
	v_cndmask_b32_e64 v11, v17, v13, s[22:23]
	v_cndmask_b32_e64 v8, v16, v14, s[22:23]
	v_cmp_gt_u32_e32 vcc, s3, v11
	s_and_saveexec_b64 s[12:13], vcc
; %bb.56:
	v_add_f32_e32 v11, 0, v8
	v_ashrrev_i32_e32 v13, 31, v11
	v_add_f32_e32 v12, 0, v9
	v_or_b32_e32 v13, 0x80000000, v13
	v_xor_b32_e32 v11, v13, v11
	v_ashrrev_i32_e32 v13, 31, v12
	v_or_b32_e32 v13, 0x80000000, v13
	v_xor_b32_e32 v12, v13, v12
	v_cmp_gt_u32_e32 vcc, v11, v12
	v_cndmask_b32_e32 v8, v9, v8, vcc
; %bb.57:
	s_or_b64 exec, exec, s[12:13]
	v_mov_b32_e32 v9, v8
.LBB2515_58:
	s_or_b64 exec, exec, s[0:1]
	v_cndmask_b32_e64 v8, v14, v15, s[22:23]
.LBB2515_59:
	s_andn2_saveexec_b64 s[0:1], s[6:7]
	s_or_b64 exec, exec, s[0:1]
	v_and_b32_e32 v11, 0x7c, v0
	v_lshl_add_u32 v10, v10, 2, v11
	s_barrier
	s_barrier
	ds_write2_b32 v10, v2, v3 offset1:1
	ds_write2_b32 v10, v4, v5 offset0:2 offset1:3
	ds_write2_b32 v10, v6, v7 offset0:4 offset1:5
	;; [unrolled: 1-line block ×3, first 2 shown]
	v_lshrrev_b32_e32 v2, 3, v0
	v_and_b32_e32 v2, 12, v2
	v_or_b32_e32 v10, 0x80, v0
	v_add_u32_e32 v11, v1, v2
	v_lshrrev_b32_e32 v2, 3, v10
	v_and_b32_e32 v2, 28, v2
	v_or_b32_e32 v9, 0x100, v0
	v_add_u32_e32 v12, v1, v2
	;; [unrolled: 4-line block ×5, first 2 shown]
	v_lshrrev_b32_e32 v2, 3, v6
	v_and_b32_e32 v2, 0x5c, v2
	v_or_b32_e32 v5, 0x300, v0
	s_mov_b32 s9, 0
	v_add_u32_e32 v16, v1, v2
	v_lshrrev_b32_e32 v2, 3, v5
	s_lshl_b64 s[0:1], s[8:9], 2
	v_and_b32_e32 v2, 0x6c, v2
	v_or_b32_e32 v4, 0x380, v0
	s_add_u32 s0, s4, s0
	v_add_u32_e32 v17, v1, v2
	v_lshrrev_b32_e32 v2, 3, v4
	s_addc_u32 s1, s5, s1
	v_and_b32_e32 v2, 0x7c, v2
	v_add_u32_e32 v18, v1, v2
	v_mov_b32_e32 v3, s1
	v_add_co_u32_e32 v2, vcc, s0, v1
	v_addc_co_u32_e32 v3, vcc, 0, v3, vcc
	s_and_b64 vcc, exec, s[10:11]
	s_waitcnt lgkmcnt(0)
	s_cbranch_vccz .LBB2515_61
; %bb.60:
	s_barrier
	ds_read_b32 v19, v11
	ds_read_b32 v20, v12 offset:512
	ds_read_b32 v21, v13 offset:1024
	;; [unrolled: 1-line block ×7, first 2 shown]
	s_waitcnt lgkmcnt(7)
	global_store_dword v[2:3], v19, off
	s_waitcnt lgkmcnt(6)
	global_store_dword v[2:3], v20, off offset:512
	s_waitcnt lgkmcnt(5)
	global_store_dword v[2:3], v21, off offset:1024
	;; [unrolled: 2-line block ×6, first 2 shown]
	s_mov_b64 s[0:1], -1
	s_cbranch_execz .LBB2515_62
	s_branch .LBB2515_71
.LBB2515_61:
	s_mov_b64 s[0:1], 0
                                        ; implicit-def: $vgpr1
.LBB2515_62:
	s_barrier
	s_waitcnt lgkmcnt(0)
	ds_read_b32 v21, v12 offset:512
	ds_read_b32 v20, v13 offset:1024
	;; [unrolled: 1-line block ×7, first 2 shown]
	s_sub_i32 s2, s2, s8
	v_cmp_gt_u32_e32 vcc, s2, v0
	s_and_saveexec_b64 s[0:1], vcc
	s_cbranch_execnz .LBB2515_76
; %bb.63:
	s_or_b64 exec, exec, s[0:1]
	v_cmp_gt_u32_e32 vcc, s2, v10
	s_and_saveexec_b64 s[0:1], vcc
	s_cbranch_execnz .LBB2515_77
.LBB2515_64:
	s_or_b64 exec, exec, s[0:1]
	v_cmp_gt_u32_e32 vcc, s2, v9
	s_and_saveexec_b64 s[0:1], vcc
	s_cbranch_execnz .LBB2515_78
.LBB2515_65:
	s_or_b64 exec, exec, s[0:1]
	v_cmp_gt_u32_e32 vcc, s2, v8
	s_and_saveexec_b64 s[0:1], vcc
	s_cbranch_execnz .LBB2515_79
.LBB2515_66:
	s_or_b64 exec, exec, s[0:1]
	v_cmp_gt_u32_e32 vcc, s2, v7
	s_and_saveexec_b64 s[0:1], vcc
	s_cbranch_execnz .LBB2515_80
.LBB2515_67:
	s_or_b64 exec, exec, s[0:1]
	v_cmp_gt_u32_e32 vcc, s2, v6
	s_and_saveexec_b64 s[0:1], vcc
	s_cbranch_execnz .LBB2515_81
.LBB2515_68:
	s_or_b64 exec, exec, s[0:1]
	v_cmp_gt_u32_e32 vcc, s2, v5
	s_and_saveexec_b64 s[0:1], vcc
	s_cbranch_execz .LBB2515_70
.LBB2515_69:
	s_waitcnt lgkmcnt(1)
	global_store_dword v[2:3], v12, off offset:3072
.LBB2515_70:
	s_or_b64 exec, exec, s[0:1]
	v_cmp_gt_u32_e64 s[0:1], s2, v4
.LBB2515_71:
	s_and_saveexec_b64 s[2:3], s[0:1]
	s_cbranch_execz .LBB2515_73
; %bb.72:
	s_waitcnt lgkmcnt(0)
	global_store_dword v[2:3], v1, off offset:3584
.LBB2515_73:
	s_endpgm
.LBB2515_74:
	s_waitcnt vmcnt(7)
	v_mov_b32_e32 v2, s18
	s_waitcnt vmcnt(5)
	v_add_co_u32_e32 v4, vcc, s17, v1
	v_mov_b32_e32 v3, 0
	s_waitcnt vmcnt(4)
	v_addc_co_u32_e32 v5, vcc, 0, v2, vcc
	v_subrev_u32_e32 v2, s3, v0
	v_lshlrev_b64 v[2:3], 2, v[2:3]
	s_waitcnt vmcnt(3)
	v_mov_b32_e32 v6, s16
	v_add_co_u32_e32 v2, vcc, s13, v2
	v_addc_co_u32_e32 v3, vcc, v6, v3, vcc
	v_cmp_gt_u32_e32 vcc, s3, v0
	v_cndmask_b32_e32 v3, v3, v5, vcc
	v_cndmask_b32_e32 v2, v2, v4, vcc
	global_load_dword v2, v[2:3], off
	s_or_b64 exec, exec, s[0:1]
	v_cmp_gt_u32_e32 vcc, s9, v12
	s_and_saveexec_b64 s[6:7], vcc
	s_cbranch_execz .LBB2515_6
.LBB2515_75:
	v_mov_b32_e32 v13, 0
	v_lshlrev_b64 v[14:15], 2, v[12:13]
	s_waitcnt vmcnt(6)
	v_mov_b32_e32 v3, s18
	v_add_co_u32_e32 v11, vcc, s17, v14
	v_addc_co_u32_e32 v3, vcc, v3, v15, vcc
	v_cmp_gt_u32_e32 vcc, s3, v12
	v_subrev_u32_e32 v12, s3, v12
	v_lshlrev_b64 v[12:13], 2, v[12:13]
	v_mov_b32_e32 v14, s16
	v_add_co_u32_e64 v12, s[0:1], s13, v12
	v_addc_co_u32_e64 v13, s[0:1], v14, v13, s[0:1]
	v_cndmask_b32_e32 v13, v13, v3, vcc
	v_cndmask_b32_e32 v12, v12, v11, vcc
	global_load_dword v3, v[12:13], off
	s_or_b64 exec, exec, s[6:7]
	v_cmp_gt_u32_e32 vcc, s9, v10
	s_and_saveexec_b64 s[0:1], vcc
	s_cbranch_execnz .LBB2515_7
	s_branch .LBB2515_8
.LBB2515_76:
	ds_read_b32 v0, v11
	s_waitcnt lgkmcnt(0)
	global_store_dword v[2:3], v0, off
	s_or_b64 exec, exec, s[0:1]
	v_cmp_gt_u32_e32 vcc, s2, v10
	s_and_saveexec_b64 s[0:1], vcc
	s_cbranch_execz .LBB2515_64
.LBB2515_77:
	s_waitcnt lgkmcnt(6)
	global_store_dword v[2:3], v21, off offset:512
	s_or_b64 exec, exec, s[0:1]
	v_cmp_gt_u32_e32 vcc, s2, v9
	s_and_saveexec_b64 s[0:1], vcc
	s_cbranch_execz .LBB2515_65
.LBB2515_78:
	s_waitcnt lgkmcnt(5)
	global_store_dword v[2:3], v20, off offset:1024
	s_or_b64 exec, exec, s[0:1]
	v_cmp_gt_u32_e32 vcc, s2, v8
	s_and_saveexec_b64 s[0:1], vcc
	s_cbranch_execz .LBB2515_66
.LBB2515_79:
	s_waitcnt lgkmcnt(4)
	global_store_dword v[2:3], v19, off offset:1536
	s_or_b64 exec, exec, s[0:1]
	v_cmp_gt_u32_e32 vcc, s2, v7
	s_and_saveexec_b64 s[0:1], vcc
	s_cbranch_execz .LBB2515_67
.LBB2515_80:
	s_waitcnt lgkmcnt(3)
	global_store_dword v[2:3], v14, off offset:2048
	s_or_b64 exec, exec, s[0:1]
	v_cmp_gt_u32_e32 vcc, s2, v6
	s_and_saveexec_b64 s[0:1], vcc
	s_cbranch_execz .LBB2515_68
.LBB2515_81:
	s_waitcnt lgkmcnt(2)
	global_store_dword v[2:3], v13, off offset:2560
	s_or_b64 exec, exec, s[0:1]
	v_cmp_gt_u32_e32 vcc, s2, v5
	s_and_saveexec_b64 s[0:1], vcc
	s_cbranch_execnz .LBB2515_69
	s_branch .LBB2515_70
	.section	.rodata,"a",@progbits
	.p2align	6, 0x0
	.amdhsa_kernel _ZN7rocprim17ROCPRIM_400000_NS6detail17trampoline_kernelINS0_14default_configENS1_38merge_sort_block_merge_config_selectorIfNS0_10empty_typeEEEZZNS1_27merge_sort_block_merge_implIS3_PfPS5_jNS1_19radix_merge_compareILb1ELb0EfNS0_19identity_decomposerEEEEE10hipError_tT0_T1_T2_jT3_P12ihipStream_tbPNSt15iterator_traitsISE_E10value_typeEPNSK_ISF_E10value_typeEPSG_NS1_7vsmem_tEENKUlT_SE_SF_SG_E_clIS8_S8_S9_S9_EESD_ST_SE_SF_SG_EUlST_E0_NS1_11comp_targetILNS1_3genE4ELNS1_11target_archE910ELNS1_3gpuE8ELNS1_3repE0EEENS1_38merge_mergepath_config_static_selectorELNS0_4arch9wavefront6targetE1EEEvSF_
		.amdhsa_group_segment_fixed_size 4224
		.amdhsa_private_segment_fixed_size 0
		.amdhsa_kernarg_size 320
		.amdhsa_user_sgpr_count 6
		.amdhsa_user_sgpr_private_segment_buffer 1
		.amdhsa_user_sgpr_dispatch_ptr 0
		.amdhsa_user_sgpr_queue_ptr 0
		.amdhsa_user_sgpr_kernarg_segment_ptr 1
		.amdhsa_user_sgpr_dispatch_id 0
		.amdhsa_user_sgpr_flat_scratch_init 0
		.amdhsa_user_sgpr_kernarg_preload_length 0
		.amdhsa_user_sgpr_kernarg_preload_offset 0
		.amdhsa_user_sgpr_private_segment_size 0
		.amdhsa_uses_dynamic_stack 0
		.amdhsa_system_sgpr_private_segment_wavefront_offset 0
		.amdhsa_system_sgpr_workgroup_id_x 1
		.amdhsa_system_sgpr_workgroup_id_y 1
		.amdhsa_system_sgpr_workgroup_id_z 1
		.amdhsa_system_sgpr_workgroup_info 0
		.amdhsa_system_vgpr_workitem_id 0
		.amdhsa_next_free_vgpr 26
		.amdhsa_next_free_sgpr 28
		.amdhsa_accum_offset 28
		.amdhsa_reserve_vcc 1
		.amdhsa_reserve_flat_scratch 0
		.amdhsa_float_round_mode_32 0
		.amdhsa_float_round_mode_16_64 0
		.amdhsa_float_denorm_mode_32 3
		.amdhsa_float_denorm_mode_16_64 3
		.amdhsa_dx10_clamp 1
		.amdhsa_ieee_mode 1
		.amdhsa_fp16_overflow 0
		.amdhsa_tg_split 0
		.amdhsa_exception_fp_ieee_invalid_op 0
		.amdhsa_exception_fp_denorm_src 0
		.amdhsa_exception_fp_ieee_div_zero 0
		.amdhsa_exception_fp_ieee_overflow 0
		.amdhsa_exception_fp_ieee_underflow 0
		.amdhsa_exception_fp_ieee_inexact 0
		.amdhsa_exception_int_div_zero 0
	.end_amdhsa_kernel
	.section	.text._ZN7rocprim17ROCPRIM_400000_NS6detail17trampoline_kernelINS0_14default_configENS1_38merge_sort_block_merge_config_selectorIfNS0_10empty_typeEEEZZNS1_27merge_sort_block_merge_implIS3_PfPS5_jNS1_19radix_merge_compareILb1ELb0EfNS0_19identity_decomposerEEEEE10hipError_tT0_T1_T2_jT3_P12ihipStream_tbPNSt15iterator_traitsISE_E10value_typeEPNSK_ISF_E10value_typeEPSG_NS1_7vsmem_tEENKUlT_SE_SF_SG_E_clIS8_S8_S9_S9_EESD_ST_SE_SF_SG_EUlST_E0_NS1_11comp_targetILNS1_3genE4ELNS1_11target_archE910ELNS1_3gpuE8ELNS1_3repE0EEENS1_38merge_mergepath_config_static_selectorELNS0_4arch9wavefront6targetE1EEEvSF_,"axG",@progbits,_ZN7rocprim17ROCPRIM_400000_NS6detail17trampoline_kernelINS0_14default_configENS1_38merge_sort_block_merge_config_selectorIfNS0_10empty_typeEEEZZNS1_27merge_sort_block_merge_implIS3_PfPS5_jNS1_19radix_merge_compareILb1ELb0EfNS0_19identity_decomposerEEEEE10hipError_tT0_T1_T2_jT3_P12ihipStream_tbPNSt15iterator_traitsISE_E10value_typeEPNSK_ISF_E10value_typeEPSG_NS1_7vsmem_tEENKUlT_SE_SF_SG_E_clIS8_S8_S9_S9_EESD_ST_SE_SF_SG_EUlST_E0_NS1_11comp_targetILNS1_3genE4ELNS1_11target_archE910ELNS1_3gpuE8ELNS1_3repE0EEENS1_38merge_mergepath_config_static_selectorELNS0_4arch9wavefront6targetE1EEEvSF_,comdat
.Lfunc_end2515:
	.size	_ZN7rocprim17ROCPRIM_400000_NS6detail17trampoline_kernelINS0_14default_configENS1_38merge_sort_block_merge_config_selectorIfNS0_10empty_typeEEEZZNS1_27merge_sort_block_merge_implIS3_PfPS5_jNS1_19radix_merge_compareILb1ELb0EfNS0_19identity_decomposerEEEEE10hipError_tT0_T1_T2_jT3_P12ihipStream_tbPNSt15iterator_traitsISE_E10value_typeEPNSK_ISF_E10value_typeEPSG_NS1_7vsmem_tEENKUlT_SE_SF_SG_E_clIS8_S8_S9_S9_EESD_ST_SE_SF_SG_EUlST_E0_NS1_11comp_targetILNS1_3genE4ELNS1_11target_archE910ELNS1_3gpuE8ELNS1_3repE0EEENS1_38merge_mergepath_config_static_selectorELNS0_4arch9wavefront6targetE1EEEvSF_, .Lfunc_end2515-_ZN7rocprim17ROCPRIM_400000_NS6detail17trampoline_kernelINS0_14default_configENS1_38merge_sort_block_merge_config_selectorIfNS0_10empty_typeEEEZZNS1_27merge_sort_block_merge_implIS3_PfPS5_jNS1_19radix_merge_compareILb1ELb0EfNS0_19identity_decomposerEEEEE10hipError_tT0_T1_T2_jT3_P12ihipStream_tbPNSt15iterator_traitsISE_E10value_typeEPNSK_ISF_E10value_typeEPSG_NS1_7vsmem_tEENKUlT_SE_SF_SG_E_clIS8_S8_S9_S9_EESD_ST_SE_SF_SG_EUlST_E0_NS1_11comp_targetILNS1_3genE4ELNS1_11target_archE910ELNS1_3gpuE8ELNS1_3repE0EEENS1_38merge_mergepath_config_static_selectorELNS0_4arch9wavefront6targetE1EEEvSF_
                                        ; -- End function
	.section	.AMDGPU.csdata,"",@progbits
; Kernel info:
; codeLenInByte = 4236
; NumSgprs: 32
; NumVgprs: 26
; NumAgprs: 0
; TotalNumVgprs: 26
; ScratchSize: 0
; MemoryBound: 0
; FloatMode: 240
; IeeeMode: 1
; LDSByteSize: 4224 bytes/workgroup (compile time only)
; SGPRBlocks: 3
; VGPRBlocks: 3
; NumSGPRsForWavesPerEU: 32
; NumVGPRsForWavesPerEU: 26
; AccumOffset: 28
; Occupancy: 8
; WaveLimiterHint : 1
; COMPUTE_PGM_RSRC2:SCRATCH_EN: 0
; COMPUTE_PGM_RSRC2:USER_SGPR: 6
; COMPUTE_PGM_RSRC2:TRAP_HANDLER: 0
; COMPUTE_PGM_RSRC2:TGID_X_EN: 1
; COMPUTE_PGM_RSRC2:TGID_Y_EN: 1
; COMPUTE_PGM_RSRC2:TGID_Z_EN: 1
; COMPUTE_PGM_RSRC2:TIDIG_COMP_CNT: 0
; COMPUTE_PGM_RSRC3_GFX90A:ACCUM_OFFSET: 6
; COMPUTE_PGM_RSRC3_GFX90A:TG_SPLIT: 0
	.section	.text._ZN7rocprim17ROCPRIM_400000_NS6detail17trampoline_kernelINS0_14default_configENS1_38merge_sort_block_merge_config_selectorIfNS0_10empty_typeEEEZZNS1_27merge_sort_block_merge_implIS3_PfPS5_jNS1_19radix_merge_compareILb1ELb0EfNS0_19identity_decomposerEEEEE10hipError_tT0_T1_T2_jT3_P12ihipStream_tbPNSt15iterator_traitsISE_E10value_typeEPNSK_ISF_E10value_typeEPSG_NS1_7vsmem_tEENKUlT_SE_SF_SG_E_clIS8_S8_S9_S9_EESD_ST_SE_SF_SG_EUlST_E0_NS1_11comp_targetILNS1_3genE3ELNS1_11target_archE908ELNS1_3gpuE7ELNS1_3repE0EEENS1_38merge_mergepath_config_static_selectorELNS0_4arch9wavefront6targetE1EEEvSF_,"axG",@progbits,_ZN7rocprim17ROCPRIM_400000_NS6detail17trampoline_kernelINS0_14default_configENS1_38merge_sort_block_merge_config_selectorIfNS0_10empty_typeEEEZZNS1_27merge_sort_block_merge_implIS3_PfPS5_jNS1_19radix_merge_compareILb1ELb0EfNS0_19identity_decomposerEEEEE10hipError_tT0_T1_T2_jT3_P12ihipStream_tbPNSt15iterator_traitsISE_E10value_typeEPNSK_ISF_E10value_typeEPSG_NS1_7vsmem_tEENKUlT_SE_SF_SG_E_clIS8_S8_S9_S9_EESD_ST_SE_SF_SG_EUlST_E0_NS1_11comp_targetILNS1_3genE3ELNS1_11target_archE908ELNS1_3gpuE7ELNS1_3repE0EEENS1_38merge_mergepath_config_static_selectorELNS0_4arch9wavefront6targetE1EEEvSF_,comdat
	.protected	_ZN7rocprim17ROCPRIM_400000_NS6detail17trampoline_kernelINS0_14default_configENS1_38merge_sort_block_merge_config_selectorIfNS0_10empty_typeEEEZZNS1_27merge_sort_block_merge_implIS3_PfPS5_jNS1_19radix_merge_compareILb1ELb0EfNS0_19identity_decomposerEEEEE10hipError_tT0_T1_T2_jT3_P12ihipStream_tbPNSt15iterator_traitsISE_E10value_typeEPNSK_ISF_E10value_typeEPSG_NS1_7vsmem_tEENKUlT_SE_SF_SG_E_clIS8_S8_S9_S9_EESD_ST_SE_SF_SG_EUlST_E0_NS1_11comp_targetILNS1_3genE3ELNS1_11target_archE908ELNS1_3gpuE7ELNS1_3repE0EEENS1_38merge_mergepath_config_static_selectorELNS0_4arch9wavefront6targetE1EEEvSF_ ; -- Begin function _ZN7rocprim17ROCPRIM_400000_NS6detail17trampoline_kernelINS0_14default_configENS1_38merge_sort_block_merge_config_selectorIfNS0_10empty_typeEEEZZNS1_27merge_sort_block_merge_implIS3_PfPS5_jNS1_19radix_merge_compareILb1ELb0EfNS0_19identity_decomposerEEEEE10hipError_tT0_T1_T2_jT3_P12ihipStream_tbPNSt15iterator_traitsISE_E10value_typeEPNSK_ISF_E10value_typeEPSG_NS1_7vsmem_tEENKUlT_SE_SF_SG_E_clIS8_S8_S9_S9_EESD_ST_SE_SF_SG_EUlST_E0_NS1_11comp_targetILNS1_3genE3ELNS1_11target_archE908ELNS1_3gpuE7ELNS1_3repE0EEENS1_38merge_mergepath_config_static_selectorELNS0_4arch9wavefront6targetE1EEEvSF_
	.globl	_ZN7rocprim17ROCPRIM_400000_NS6detail17trampoline_kernelINS0_14default_configENS1_38merge_sort_block_merge_config_selectorIfNS0_10empty_typeEEEZZNS1_27merge_sort_block_merge_implIS3_PfPS5_jNS1_19radix_merge_compareILb1ELb0EfNS0_19identity_decomposerEEEEE10hipError_tT0_T1_T2_jT3_P12ihipStream_tbPNSt15iterator_traitsISE_E10value_typeEPNSK_ISF_E10value_typeEPSG_NS1_7vsmem_tEENKUlT_SE_SF_SG_E_clIS8_S8_S9_S9_EESD_ST_SE_SF_SG_EUlST_E0_NS1_11comp_targetILNS1_3genE3ELNS1_11target_archE908ELNS1_3gpuE7ELNS1_3repE0EEENS1_38merge_mergepath_config_static_selectorELNS0_4arch9wavefront6targetE1EEEvSF_
	.p2align	8
	.type	_ZN7rocprim17ROCPRIM_400000_NS6detail17trampoline_kernelINS0_14default_configENS1_38merge_sort_block_merge_config_selectorIfNS0_10empty_typeEEEZZNS1_27merge_sort_block_merge_implIS3_PfPS5_jNS1_19radix_merge_compareILb1ELb0EfNS0_19identity_decomposerEEEEE10hipError_tT0_T1_T2_jT3_P12ihipStream_tbPNSt15iterator_traitsISE_E10value_typeEPNSK_ISF_E10value_typeEPSG_NS1_7vsmem_tEENKUlT_SE_SF_SG_E_clIS8_S8_S9_S9_EESD_ST_SE_SF_SG_EUlST_E0_NS1_11comp_targetILNS1_3genE3ELNS1_11target_archE908ELNS1_3gpuE7ELNS1_3repE0EEENS1_38merge_mergepath_config_static_selectorELNS0_4arch9wavefront6targetE1EEEvSF_,@function
_ZN7rocprim17ROCPRIM_400000_NS6detail17trampoline_kernelINS0_14default_configENS1_38merge_sort_block_merge_config_selectorIfNS0_10empty_typeEEEZZNS1_27merge_sort_block_merge_implIS3_PfPS5_jNS1_19radix_merge_compareILb1ELb0EfNS0_19identity_decomposerEEEEE10hipError_tT0_T1_T2_jT3_P12ihipStream_tbPNSt15iterator_traitsISE_E10value_typeEPNSK_ISF_E10value_typeEPSG_NS1_7vsmem_tEENKUlT_SE_SF_SG_E_clIS8_S8_S9_S9_EESD_ST_SE_SF_SG_EUlST_E0_NS1_11comp_targetILNS1_3genE3ELNS1_11target_archE908ELNS1_3gpuE7ELNS1_3repE0EEENS1_38merge_mergepath_config_static_selectorELNS0_4arch9wavefront6targetE1EEEvSF_: ; @_ZN7rocprim17ROCPRIM_400000_NS6detail17trampoline_kernelINS0_14default_configENS1_38merge_sort_block_merge_config_selectorIfNS0_10empty_typeEEEZZNS1_27merge_sort_block_merge_implIS3_PfPS5_jNS1_19radix_merge_compareILb1ELb0EfNS0_19identity_decomposerEEEEE10hipError_tT0_T1_T2_jT3_P12ihipStream_tbPNSt15iterator_traitsISE_E10value_typeEPNSK_ISF_E10value_typeEPSG_NS1_7vsmem_tEENKUlT_SE_SF_SG_E_clIS8_S8_S9_S9_EESD_ST_SE_SF_SG_EUlST_E0_NS1_11comp_targetILNS1_3genE3ELNS1_11target_archE908ELNS1_3gpuE7ELNS1_3repE0EEENS1_38merge_mergepath_config_static_selectorELNS0_4arch9wavefront6targetE1EEEvSF_
; %bb.0:
	.section	.rodata,"a",@progbits
	.p2align	6, 0x0
	.amdhsa_kernel _ZN7rocprim17ROCPRIM_400000_NS6detail17trampoline_kernelINS0_14default_configENS1_38merge_sort_block_merge_config_selectorIfNS0_10empty_typeEEEZZNS1_27merge_sort_block_merge_implIS3_PfPS5_jNS1_19radix_merge_compareILb1ELb0EfNS0_19identity_decomposerEEEEE10hipError_tT0_T1_T2_jT3_P12ihipStream_tbPNSt15iterator_traitsISE_E10value_typeEPNSK_ISF_E10value_typeEPSG_NS1_7vsmem_tEENKUlT_SE_SF_SG_E_clIS8_S8_S9_S9_EESD_ST_SE_SF_SG_EUlST_E0_NS1_11comp_targetILNS1_3genE3ELNS1_11target_archE908ELNS1_3gpuE7ELNS1_3repE0EEENS1_38merge_mergepath_config_static_selectorELNS0_4arch9wavefront6targetE1EEEvSF_
		.amdhsa_group_segment_fixed_size 0
		.amdhsa_private_segment_fixed_size 0
		.amdhsa_kernarg_size 64
		.amdhsa_user_sgpr_count 6
		.amdhsa_user_sgpr_private_segment_buffer 1
		.amdhsa_user_sgpr_dispatch_ptr 0
		.amdhsa_user_sgpr_queue_ptr 0
		.amdhsa_user_sgpr_kernarg_segment_ptr 1
		.amdhsa_user_sgpr_dispatch_id 0
		.amdhsa_user_sgpr_flat_scratch_init 0
		.amdhsa_user_sgpr_kernarg_preload_length 0
		.amdhsa_user_sgpr_kernarg_preload_offset 0
		.amdhsa_user_sgpr_private_segment_size 0
		.amdhsa_uses_dynamic_stack 0
		.amdhsa_system_sgpr_private_segment_wavefront_offset 0
		.amdhsa_system_sgpr_workgroup_id_x 1
		.amdhsa_system_sgpr_workgroup_id_y 0
		.amdhsa_system_sgpr_workgroup_id_z 0
		.amdhsa_system_sgpr_workgroup_info 0
		.amdhsa_system_vgpr_workitem_id 0
		.amdhsa_next_free_vgpr 1
		.amdhsa_next_free_sgpr 0
		.amdhsa_accum_offset 4
		.amdhsa_reserve_vcc 0
		.amdhsa_reserve_flat_scratch 0
		.amdhsa_float_round_mode_32 0
		.amdhsa_float_round_mode_16_64 0
		.amdhsa_float_denorm_mode_32 3
		.amdhsa_float_denorm_mode_16_64 3
		.amdhsa_dx10_clamp 1
		.amdhsa_ieee_mode 1
		.amdhsa_fp16_overflow 0
		.amdhsa_tg_split 0
		.amdhsa_exception_fp_ieee_invalid_op 0
		.amdhsa_exception_fp_denorm_src 0
		.amdhsa_exception_fp_ieee_div_zero 0
		.amdhsa_exception_fp_ieee_overflow 0
		.amdhsa_exception_fp_ieee_underflow 0
		.amdhsa_exception_fp_ieee_inexact 0
		.amdhsa_exception_int_div_zero 0
	.end_amdhsa_kernel
	.section	.text._ZN7rocprim17ROCPRIM_400000_NS6detail17trampoline_kernelINS0_14default_configENS1_38merge_sort_block_merge_config_selectorIfNS0_10empty_typeEEEZZNS1_27merge_sort_block_merge_implIS3_PfPS5_jNS1_19radix_merge_compareILb1ELb0EfNS0_19identity_decomposerEEEEE10hipError_tT0_T1_T2_jT3_P12ihipStream_tbPNSt15iterator_traitsISE_E10value_typeEPNSK_ISF_E10value_typeEPSG_NS1_7vsmem_tEENKUlT_SE_SF_SG_E_clIS8_S8_S9_S9_EESD_ST_SE_SF_SG_EUlST_E0_NS1_11comp_targetILNS1_3genE3ELNS1_11target_archE908ELNS1_3gpuE7ELNS1_3repE0EEENS1_38merge_mergepath_config_static_selectorELNS0_4arch9wavefront6targetE1EEEvSF_,"axG",@progbits,_ZN7rocprim17ROCPRIM_400000_NS6detail17trampoline_kernelINS0_14default_configENS1_38merge_sort_block_merge_config_selectorIfNS0_10empty_typeEEEZZNS1_27merge_sort_block_merge_implIS3_PfPS5_jNS1_19radix_merge_compareILb1ELb0EfNS0_19identity_decomposerEEEEE10hipError_tT0_T1_T2_jT3_P12ihipStream_tbPNSt15iterator_traitsISE_E10value_typeEPNSK_ISF_E10value_typeEPSG_NS1_7vsmem_tEENKUlT_SE_SF_SG_E_clIS8_S8_S9_S9_EESD_ST_SE_SF_SG_EUlST_E0_NS1_11comp_targetILNS1_3genE3ELNS1_11target_archE908ELNS1_3gpuE7ELNS1_3repE0EEENS1_38merge_mergepath_config_static_selectorELNS0_4arch9wavefront6targetE1EEEvSF_,comdat
.Lfunc_end2516:
	.size	_ZN7rocprim17ROCPRIM_400000_NS6detail17trampoline_kernelINS0_14default_configENS1_38merge_sort_block_merge_config_selectorIfNS0_10empty_typeEEEZZNS1_27merge_sort_block_merge_implIS3_PfPS5_jNS1_19radix_merge_compareILb1ELb0EfNS0_19identity_decomposerEEEEE10hipError_tT0_T1_T2_jT3_P12ihipStream_tbPNSt15iterator_traitsISE_E10value_typeEPNSK_ISF_E10value_typeEPSG_NS1_7vsmem_tEENKUlT_SE_SF_SG_E_clIS8_S8_S9_S9_EESD_ST_SE_SF_SG_EUlST_E0_NS1_11comp_targetILNS1_3genE3ELNS1_11target_archE908ELNS1_3gpuE7ELNS1_3repE0EEENS1_38merge_mergepath_config_static_selectorELNS0_4arch9wavefront6targetE1EEEvSF_, .Lfunc_end2516-_ZN7rocprim17ROCPRIM_400000_NS6detail17trampoline_kernelINS0_14default_configENS1_38merge_sort_block_merge_config_selectorIfNS0_10empty_typeEEEZZNS1_27merge_sort_block_merge_implIS3_PfPS5_jNS1_19radix_merge_compareILb1ELb0EfNS0_19identity_decomposerEEEEE10hipError_tT0_T1_T2_jT3_P12ihipStream_tbPNSt15iterator_traitsISE_E10value_typeEPNSK_ISF_E10value_typeEPSG_NS1_7vsmem_tEENKUlT_SE_SF_SG_E_clIS8_S8_S9_S9_EESD_ST_SE_SF_SG_EUlST_E0_NS1_11comp_targetILNS1_3genE3ELNS1_11target_archE908ELNS1_3gpuE7ELNS1_3repE0EEENS1_38merge_mergepath_config_static_selectorELNS0_4arch9wavefront6targetE1EEEvSF_
                                        ; -- End function
	.section	.AMDGPU.csdata,"",@progbits
; Kernel info:
; codeLenInByte = 0
; NumSgprs: 4
; NumVgprs: 0
; NumAgprs: 0
; TotalNumVgprs: 0
; ScratchSize: 0
; MemoryBound: 0
; FloatMode: 240
; IeeeMode: 1
; LDSByteSize: 0 bytes/workgroup (compile time only)
; SGPRBlocks: 0
; VGPRBlocks: 0
; NumSGPRsForWavesPerEU: 4
; NumVGPRsForWavesPerEU: 1
; AccumOffset: 4
; Occupancy: 8
; WaveLimiterHint : 0
; COMPUTE_PGM_RSRC2:SCRATCH_EN: 0
; COMPUTE_PGM_RSRC2:USER_SGPR: 6
; COMPUTE_PGM_RSRC2:TRAP_HANDLER: 0
; COMPUTE_PGM_RSRC2:TGID_X_EN: 1
; COMPUTE_PGM_RSRC2:TGID_Y_EN: 0
; COMPUTE_PGM_RSRC2:TGID_Z_EN: 0
; COMPUTE_PGM_RSRC2:TIDIG_COMP_CNT: 0
; COMPUTE_PGM_RSRC3_GFX90A:ACCUM_OFFSET: 0
; COMPUTE_PGM_RSRC3_GFX90A:TG_SPLIT: 0
	.section	.text._ZN7rocprim17ROCPRIM_400000_NS6detail17trampoline_kernelINS0_14default_configENS1_38merge_sort_block_merge_config_selectorIfNS0_10empty_typeEEEZZNS1_27merge_sort_block_merge_implIS3_PfPS5_jNS1_19radix_merge_compareILb1ELb0EfNS0_19identity_decomposerEEEEE10hipError_tT0_T1_T2_jT3_P12ihipStream_tbPNSt15iterator_traitsISE_E10value_typeEPNSK_ISF_E10value_typeEPSG_NS1_7vsmem_tEENKUlT_SE_SF_SG_E_clIS8_S8_S9_S9_EESD_ST_SE_SF_SG_EUlST_E0_NS1_11comp_targetILNS1_3genE2ELNS1_11target_archE906ELNS1_3gpuE6ELNS1_3repE0EEENS1_38merge_mergepath_config_static_selectorELNS0_4arch9wavefront6targetE1EEEvSF_,"axG",@progbits,_ZN7rocprim17ROCPRIM_400000_NS6detail17trampoline_kernelINS0_14default_configENS1_38merge_sort_block_merge_config_selectorIfNS0_10empty_typeEEEZZNS1_27merge_sort_block_merge_implIS3_PfPS5_jNS1_19radix_merge_compareILb1ELb0EfNS0_19identity_decomposerEEEEE10hipError_tT0_T1_T2_jT3_P12ihipStream_tbPNSt15iterator_traitsISE_E10value_typeEPNSK_ISF_E10value_typeEPSG_NS1_7vsmem_tEENKUlT_SE_SF_SG_E_clIS8_S8_S9_S9_EESD_ST_SE_SF_SG_EUlST_E0_NS1_11comp_targetILNS1_3genE2ELNS1_11target_archE906ELNS1_3gpuE6ELNS1_3repE0EEENS1_38merge_mergepath_config_static_selectorELNS0_4arch9wavefront6targetE1EEEvSF_,comdat
	.protected	_ZN7rocprim17ROCPRIM_400000_NS6detail17trampoline_kernelINS0_14default_configENS1_38merge_sort_block_merge_config_selectorIfNS0_10empty_typeEEEZZNS1_27merge_sort_block_merge_implIS3_PfPS5_jNS1_19radix_merge_compareILb1ELb0EfNS0_19identity_decomposerEEEEE10hipError_tT0_T1_T2_jT3_P12ihipStream_tbPNSt15iterator_traitsISE_E10value_typeEPNSK_ISF_E10value_typeEPSG_NS1_7vsmem_tEENKUlT_SE_SF_SG_E_clIS8_S8_S9_S9_EESD_ST_SE_SF_SG_EUlST_E0_NS1_11comp_targetILNS1_3genE2ELNS1_11target_archE906ELNS1_3gpuE6ELNS1_3repE0EEENS1_38merge_mergepath_config_static_selectorELNS0_4arch9wavefront6targetE1EEEvSF_ ; -- Begin function _ZN7rocprim17ROCPRIM_400000_NS6detail17trampoline_kernelINS0_14default_configENS1_38merge_sort_block_merge_config_selectorIfNS0_10empty_typeEEEZZNS1_27merge_sort_block_merge_implIS3_PfPS5_jNS1_19radix_merge_compareILb1ELb0EfNS0_19identity_decomposerEEEEE10hipError_tT0_T1_T2_jT3_P12ihipStream_tbPNSt15iterator_traitsISE_E10value_typeEPNSK_ISF_E10value_typeEPSG_NS1_7vsmem_tEENKUlT_SE_SF_SG_E_clIS8_S8_S9_S9_EESD_ST_SE_SF_SG_EUlST_E0_NS1_11comp_targetILNS1_3genE2ELNS1_11target_archE906ELNS1_3gpuE6ELNS1_3repE0EEENS1_38merge_mergepath_config_static_selectorELNS0_4arch9wavefront6targetE1EEEvSF_
	.globl	_ZN7rocprim17ROCPRIM_400000_NS6detail17trampoline_kernelINS0_14default_configENS1_38merge_sort_block_merge_config_selectorIfNS0_10empty_typeEEEZZNS1_27merge_sort_block_merge_implIS3_PfPS5_jNS1_19radix_merge_compareILb1ELb0EfNS0_19identity_decomposerEEEEE10hipError_tT0_T1_T2_jT3_P12ihipStream_tbPNSt15iterator_traitsISE_E10value_typeEPNSK_ISF_E10value_typeEPSG_NS1_7vsmem_tEENKUlT_SE_SF_SG_E_clIS8_S8_S9_S9_EESD_ST_SE_SF_SG_EUlST_E0_NS1_11comp_targetILNS1_3genE2ELNS1_11target_archE906ELNS1_3gpuE6ELNS1_3repE0EEENS1_38merge_mergepath_config_static_selectorELNS0_4arch9wavefront6targetE1EEEvSF_
	.p2align	8
	.type	_ZN7rocprim17ROCPRIM_400000_NS6detail17trampoline_kernelINS0_14default_configENS1_38merge_sort_block_merge_config_selectorIfNS0_10empty_typeEEEZZNS1_27merge_sort_block_merge_implIS3_PfPS5_jNS1_19radix_merge_compareILb1ELb0EfNS0_19identity_decomposerEEEEE10hipError_tT0_T1_T2_jT3_P12ihipStream_tbPNSt15iterator_traitsISE_E10value_typeEPNSK_ISF_E10value_typeEPSG_NS1_7vsmem_tEENKUlT_SE_SF_SG_E_clIS8_S8_S9_S9_EESD_ST_SE_SF_SG_EUlST_E0_NS1_11comp_targetILNS1_3genE2ELNS1_11target_archE906ELNS1_3gpuE6ELNS1_3repE0EEENS1_38merge_mergepath_config_static_selectorELNS0_4arch9wavefront6targetE1EEEvSF_,@function
_ZN7rocprim17ROCPRIM_400000_NS6detail17trampoline_kernelINS0_14default_configENS1_38merge_sort_block_merge_config_selectorIfNS0_10empty_typeEEEZZNS1_27merge_sort_block_merge_implIS3_PfPS5_jNS1_19radix_merge_compareILb1ELb0EfNS0_19identity_decomposerEEEEE10hipError_tT0_T1_T2_jT3_P12ihipStream_tbPNSt15iterator_traitsISE_E10value_typeEPNSK_ISF_E10value_typeEPSG_NS1_7vsmem_tEENKUlT_SE_SF_SG_E_clIS8_S8_S9_S9_EESD_ST_SE_SF_SG_EUlST_E0_NS1_11comp_targetILNS1_3genE2ELNS1_11target_archE906ELNS1_3gpuE6ELNS1_3repE0EEENS1_38merge_mergepath_config_static_selectorELNS0_4arch9wavefront6targetE1EEEvSF_: ; @_ZN7rocprim17ROCPRIM_400000_NS6detail17trampoline_kernelINS0_14default_configENS1_38merge_sort_block_merge_config_selectorIfNS0_10empty_typeEEEZZNS1_27merge_sort_block_merge_implIS3_PfPS5_jNS1_19radix_merge_compareILb1ELb0EfNS0_19identity_decomposerEEEEE10hipError_tT0_T1_T2_jT3_P12ihipStream_tbPNSt15iterator_traitsISE_E10value_typeEPNSK_ISF_E10value_typeEPSG_NS1_7vsmem_tEENKUlT_SE_SF_SG_E_clIS8_S8_S9_S9_EESD_ST_SE_SF_SG_EUlST_E0_NS1_11comp_targetILNS1_3genE2ELNS1_11target_archE906ELNS1_3gpuE6ELNS1_3repE0EEENS1_38merge_mergepath_config_static_selectorELNS0_4arch9wavefront6targetE1EEEvSF_
; %bb.0:
	.section	.rodata,"a",@progbits
	.p2align	6, 0x0
	.amdhsa_kernel _ZN7rocprim17ROCPRIM_400000_NS6detail17trampoline_kernelINS0_14default_configENS1_38merge_sort_block_merge_config_selectorIfNS0_10empty_typeEEEZZNS1_27merge_sort_block_merge_implIS3_PfPS5_jNS1_19radix_merge_compareILb1ELb0EfNS0_19identity_decomposerEEEEE10hipError_tT0_T1_T2_jT3_P12ihipStream_tbPNSt15iterator_traitsISE_E10value_typeEPNSK_ISF_E10value_typeEPSG_NS1_7vsmem_tEENKUlT_SE_SF_SG_E_clIS8_S8_S9_S9_EESD_ST_SE_SF_SG_EUlST_E0_NS1_11comp_targetILNS1_3genE2ELNS1_11target_archE906ELNS1_3gpuE6ELNS1_3repE0EEENS1_38merge_mergepath_config_static_selectorELNS0_4arch9wavefront6targetE1EEEvSF_
		.amdhsa_group_segment_fixed_size 0
		.amdhsa_private_segment_fixed_size 0
		.amdhsa_kernarg_size 64
		.amdhsa_user_sgpr_count 6
		.amdhsa_user_sgpr_private_segment_buffer 1
		.amdhsa_user_sgpr_dispatch_ptr 0
		.amdhsa_user_sgpr_queue_ptr 0
		.amdhsa_user_sgpr_kernarg_segment_ptr 1
		.amdhsa_user_sgpr_dispatch_id 0
		.amdhsa_user_sgpr_flat_scratch_init 0
		.amdhsa_user_sgpr_kernarg_preload_length 0
		.amdhsa_user_sgpr_kernarg_preload_offset 0
		.amdhsa_user_sgpr_private_segment_size 0
		.amdhsa_uses_dynamic_stack 0
		.amdhsa_system_sgpr_private_segment_wavefront_offset 0
		.amdhsa_system_sgpr_workgroup_id_x 1
		.amdhsa_system_sgpr_workgroup_id_y 0
		.amdhsa_system_sgpr_workgroup_id_z 0
		.amdhsa_system_sgpr_workgroup_info 0
		.amdhsa_system_vgpr_workitem_id 0
		.amdhsa_next_free_vgpr 1
		.amdhsa_next_free_sgpr 0
		.amdhsa_accum_offset 4
		.amdhsa_reserve_vcc 0
		.amdhsa_reserve_flat_scratch 0
		.amdhsa_float_round_mode_32 0
		.amdhsa_float_round_mode_16_64 0
		.amdhsa_float_denorm_mode_32 3
		.amdhsa_float_denorm_mode_16_64 3
		.amdhsa_dx10_clamp 1
		.amdhsa_ieee_mode 1
		.amdhsa_fp16_overflow 0
		.amdhsa_tg_split 0
		.amdhsa_exception_fp_ieee_invalid_op 0
		.amdhsa_exception_fp_denorm_src 0
		.amdhsa_exception_fp_ieee_div_zero 0
		.amdhsa_exception_fp_ieee_overflow 0
		.amdhsa_exception_fp_ieee_underflow 0
		.amdhsa_exception_fp_ieee_inexact 0
		.amdhsa_exception_int_div_zero 0
	.end_amdhsa_kernel
	.section	.text._ZN7rocprim17ROCPRIM_400000_NS6detail17trampoline_kernelINS0_14default_configENS1_38merge_sort_block_merge_config_selectorIfNS0_10empty_typeEEEZZNS1_27merge_sort_block_merge_implIS3_PfPS5_jNS1_19radix_merge_compareILb1ELb0EfNS0_19identity_decomposerEEEEE10hipError_tT0_T1_T2_jT3_P12ihipStream_tbPNSt15iterator_traitsISE_E10value_typeEPNSK_ISF_E10value_typeEPSG_NS1_7vsmem_tEENKUlT_SE_SF_SG_E_clIS8_S8_S9_S9_EESD_ST_SE_SF_SG_EUlST_E0_NS1_11comp_targetILNS1_3genE2ELNS1_11target_archE906ELNS1_3gpuE6ELNS1_3repE0EEENS1_38merge_mergepath_config_static_selectorELNS0_4arch9wavefront6targetE1EEEvSF_,"axG",@progbits,_ZN7rocprim17ROCPRIM_400000_NS6detail17trampoline_kernelINS0_14default_configENS1_38merge_sort_block_merge_config_selectorIfNS0_10empty_typeEEEZZNS1_27merge_sort_block_merge_implIS3_PfPS5_jNS1_19radix_merge_compareILb1ELb0EfNS0_19identity_decomposerEEEEE10hipError_tT0_T1_T2_jT3_P12ihipStream_tbPNSt15iterator_traitsISE_E10value_typeEPNSK_ISF_E10value_typeEPSG_NS1_7vsmem_tEENKUlT_SE_SF_SG_E_clIS8_S8_S9_S9_EESD_ST_SE_SF_SG_EUlST_E0_NS1_11comp_targetILNS1_3genE2ELNS1_11target_archE906ELNS1_3gpuE6ELNS1_3repE0EEENS1_38merge_mergepath_config_static_selectorELNS0_4arch9wavefront6targetE1EEEvSF_,comdat
.Lfunc_end2517:
	.size	_ZN7rocprim17ROCPRIM_400000_NS6detail17trampoline_kernelINS0_14default_configENS1_38merge_sort_block_merge_config_selectorIfNS0_10empty_typeEEEZZNS1_27merge_sort_block_merge_implIS3_PfPS5_jNS1_19radix_merge_compareILb1ELb0EfNS0_19identity_decomposerEEEEE10hipError_tT0_T1_T2_jT3_P12ihipStream_tbPNSt15iterator_traitsISE_E10value_typeEPNSK_ISF_E10value_typeEPSG_NS1_7vsmem_tEENKUlT_SE_SF_SG_E_clIS8_S8_S9_S9_EESD_ST_SE_SF_SG_EUlST_E0_NS1_11comp_targetILNS1_3genE2ELNS1_11target_archE906ELNS1_3gpuE6ELNS1_3repE0EEENS1_38merge_mergepath_config_static_selectorELNS0_4arch9wavefront6targetE1EEEvSF_, .Lfunc_end2517-_ZN7rocprim17ROCPRIM_400000_NS6detail17trampoline_kernelINS0_14default_configENS1_38merge_sort_block_merge_config_selectorIfNS0_10empty_typeEEEZZNS1_27merge_sort_block_merge_implIS3_PfPS5_jNS1_19radix_merge_compareILb1ELb0EfNS0_19identity_decomposerEEEEE10hipError_tT0_T1_T2_jT3_P12ihipStream_tbPNSt15iterator_traitsISE_E10value_typeEPNSK_ISF_E10value_typeEPSG_NS1_7vsmem_tEENKUlT_SE_SF_SG_E_clIS8_S8_S9_S9_EESD_ST_SE_SF_SG_EUlST_E0_NS1_11comp_targetILNS1_3genE2ELNS1_11target_archE906ELNS1_3gpuE6ELNS1_3repE0EEENS1_38merge_mergepath_config_static_selectorELNS0_4arch9wavefront6targetE1EEEvSF_
                                        ; -- End function
	.section	.AMDGPU.csdata,"",@progbits
; Kernel info:
; codeLenInByte = 0
; NumSgprs: 4
; NumVgprs: 0
; NumAgprs: 0
; TotalNumVgprs: 0
; ScratchSize: 0
; MemoryBound: 0
; FloatMode: 240
; IeeeMode: 1
; LDSByteSize: 0 bytes/workgroup (compile time only)
; SGPRBlocks: 0
; VGPRBlocks: 0
; NumSGPRsForWavesPerEU: 4
; NumVGPRsForWavesPerEU: 1
; AccumOffset: 4
; Occupancy: 8
; WaveLimiterHint : 0
; COMPUTE_PGM_RSRC2:SCRATCH_EN: 0
; COMPUTE_PGM_RSRC2:USER_SGPR: 6
; COMPUTE_PGM_RSRC2:TRAP_HANDLER: 0
; COMPUTE_PGM_RSRC2:TGID_X_EN: 1
; COMPUTE_PGM_RSRC2:TGID_Y_EN: 0
; COMPUTE_PGM_RSRC2:TGID_Z_EN: 0
; COMPUTE_PGM_RSRC2:TIDIG_COMP_CNT: 0
; COMPUTE_PGM_RSRC3_GFX90A:ACCUM_OFFSET: 0
; COMPUTE_PGM_RSRC3_GFX90A:TG_SPLIT: 0
	.section	.text._ZN7rocprim17ROCPRIM_400000_NS6detail17trampoline_kernelINS0_14default_configENS1_38merge_sort_block_merge_config_selectorIfNS0_10empty_typeEEEZZNS1_27merge_sort_block_merge_implIS3_PfPS5_jNS1_19radix_merge_compareILb1ELb0EfNS0_19identity_decomposerEEEEE10hipError_tT0_T1_T2_jT3_P12ihipStream_tbPNSt15iterator_traitsISE_E10value_typeEPNSK_ISF_E10value_typeEPSG_NS1_7vsmem_tEENKUlT_SE_SF_SG_E_clIS8_S8_S9_S9_EESD_ST_SE_SF_SG_EUlST_E0_NS1_11comp_targetILNS1_3genE9ELNS1_11target_archE1100ELNS1_3gpuE3ELNS1_3repE0EEENS1_38merge_mergepath_config_static_selectorELNS0_4arch9wavefront6targetE1EEEvSF_,"axG",@progbits,_ZN7rocprim17ROCPRIM_400000_NS6detail17trampoline_kernelINS0_14default_configENS1_38merge_sort_block_merge_config_selectorIfNS0_10empty_typeEEEZZNS1_27merge_sort_block_merge_implIS3_PfPS5_jNS1_19radix_merge_compareILb1ELb0EfNS0_19identity_decomposerEEEEE10hipError_tT0_T1_T2_jT3_P12ihipStream_tbPNSt15iterator_traitsISE_E10value_typeEPNSK_ISF_E10value_typeEPSG_NS1_7vsmem_tEENKUlT_SE_SF_SG_E_clIS8_S8_S9_S9_EESD_ST_SE_SF_SG_EUlST_E0_NS1_11comp_targetILNS1_3genE9ELNS1_11target_archE1100ELNS1_3gpuE3ELNS1_3repE0EEENS1_38merge_mergepath_config_static_selectorELNS0_4arch9wavefront6targetE1EEEvSF_,comdat
	.protected	_ZN7rocprim17ROCPRIM_400000_NS6detail17trampoline_kernelINS0_14default_configENS1_38merge_sort_block_merge_config_selectorIfNS0_10empty_typeEEEZZNS1_27merge_sort_block_merge_implIS3_PfPS5_jNS1_19radix_merge_compareILb1ELb0EfNS0_19identity_decomposerEEEEE10hipError_tT0_T1_T2_jT3_P12ihipStream_tbPNSt15iterator_traitsISE_E10value_typeEPNSK_ISF_E10value_typeEPSG_NS1_7vsmem_tEENKUlT_SE_SF_SG_E_clIS8_S8_S9_S9_EESD_ST_SE_SF_SG_EUlST_E0_NS1_11comp_targetILNS1_3genE9ELNS1_11target_archE1100ELNS1_3gpuE3ELNS1_3repE0EEENS1_38merge_mergepath_config_static_selectorELNS0_4arch9wavefront6targetE1EEEvSF_ ; -- Begin function _ZN7rocprim17ROCPRIM_400000_NS6detail17trampoline_kernelINS0_14default_configENS1_38merge_sort_block_merge_config_selectorIfNS0_10empty_typeEEEZZNS1_27merge_sort_block_merge_implIS3_PfPS5_jNS1_19radix_merge_compareILb1ELb0EfNS0_19identity_decomposerEEEEE10hipError_tT0_T1_T2_jT3_P12ihipStream_tbPNSt15iterator_traitsISE_E10value_typeEPNSK_ISF_E10value_typeEPSG_NS1_7vsmem_tEENKUlT_SE_SF_SG_E_clIS8_S8_S9_S9_EESD_ST_SE_SF_SG_EUlST_E0_NS1_11comp_targetILNS1_3genE9ELNS1_11target_archE1100ELNS1_3gpuE3ELNS1_3repE0EEENS1_38merge_mergepath_config_static_selectorELNS0_4arch9wavefront6targetE1EEEvSF_
	.globl	_ZN7rocprim17ROCPRIM_400000_NS6detail17trampoline_kernelINS0_14default_configENS1_38merge_sort_block_merge_config_selectorIfNS0_10empty_typeEEEZZNS1_27merge_sort_block_merge_implIS3_PfPS5_jNS1_19radix_merge_compareILb1ELb0EfNS0_19identity_decomposerEEEEE10hipError_tT0_T1_T2_jT3_P12ihipStream_tbPNSt15iterator_traitsISE_E10value_typeEPNSK_ISF_E10value_typeEPSG_NS1_7vsmem_tEENKUlT_SE_SF_SG_E_clIS8_S8_S9_S9_EESD_ST_SE_SF_SG_EUlST_E0_NS1_11comp_targetILNS1_3genE9ELNS1_11target_archE1100ELNS1_3gpuE3ELNS1_3repE0EEENS1_38merge_mergepath_config_static_selectorELNS0_4arch9wavefront6targetE1EEEvSF_
	.p2align	8
	.type	_ZN7rocprim17ROCPRIM_400000_NS6detail17trampoline_kernelINS0_14default_configENS1_38merge_sort_block_merge_config_selectorIfNS0_10empty_typeEEEZZNS1_27merge_sort_block_merge_implIS3_PfPS5_jNS1_19radix_merge_compareILb1ELb0EfNS0_19identity_decomposerEEEEE10hipError_tT0_T1_T2_jT3_P12ihipStream_tbPNSt15iterator_traitsISE_E10value_typeEPNSK_ISF_E10value_typeEPSG_NS1_7vsmem_tEENKUlT_SE_SF_SG_E_clIS8_S8_S9_S9_EESD_ST_SE_SF_SG_EUlST_E0_NS1_11comp_targetILNS1_3genE9ELNS1_11target_archE1100ELNS1_3gpuE3ELNS1_3repE0EEENS1_38merge_mergepath_config_static_selectorELNS0_4arch9wavefront6targetE1EEEvSF_,@function
_ZN7rocprim17ROCPRIM_400000_NS6detail17trampoline_kernelINS0_14default_configENS1_38merge_sort_block_merge_config_selectorIfNS0_10empty_typeEEEZZNS1_27merge_sort_block_merge_implIS3_PfPS5_jNS1_19radix_merge_compareILb1ELb0EfNS0_19identity_decomposerEEEEE10hipError_tT0_T1_T2_jT3_P12ihipStream_tbPNSt15iterator_traitsISE_E10value_typeEPNSK_ISF_E10value_typeEPSG_NS1_7vsmem_tEENKUlT_SE_SF_SG_E_clIS8_S8_S9_S9_EESD_ST_SE_SF_SG_EUlST_E0_NS1_11comp_targetILNS1_3genE9ELNS1_11target_archE1100ELNS1_3gpuE3ELNS1_3repE0EEENS1_38merge_mergepath_config_static_selectorELNS0_4arch9wavefront6targetE1EEEvSF_: ; @_ZN7rocprim17ROCPRIM_400000_NS6detail17trampoline_kernelINS0_14default_configENS1_38merge_sort_block_merge_config_selectorIfNS0_10empty_typeEEEZZNS1_27merge_sort_block_merge_implIS3_PfPS5_jNS1_19radix_merge_compareILb1ELb0EfNS0_19identity_decomposerEEEEE10hipError_tT0_T1_T2_jT3_P12ihipStream_tbPNSt15iterator_traitsISE_E10value_typeEPNSK_ISF_E10value_typeEPSG_NS1_7vsmem_tEENKUlT_SE_SF_SG_E_clIS8_S8_S9_S9_EESD_ST_SE_SF_SG_EUlST_E0_NS1_11comp_targetILNS1_3genE9ELNS1_11target_archE1100ELNS1_3gpuE3ELNS1_3repE0EEENS1_38merge_mergepath_config_static_selectorELNS0_4arch9wavefront6targetE1EEEvSF_
; %bb.0:
	.section	.rodata,"a",@progbits
	.p2align	6, 0x0
	.amdhsa_kernel _ZN7rocprim17ROCPRIM_400000_NS6detail17trampoline_kernelINS0_14default_configENS1_38merge_sort_block_merge_config_selectorIfNS0_10empty_typeEEEZZNS1_27merge_sort_block_merge_implIS3_PfPS5_jNS1_19radix_merge_compareILb1ELb0EfNS0_19identity_decomposerEEEEE10hipError_tT0_T1_T2_jT3_P12ihipStream_tbPNSt15iterator_traitsISE_E10value_typeEPNSK_ISF_E10value_typeEPSG_NS1_7vsmem_tEENKUlT_SE_SF_SG_E_clIS8_S8_S9_S9_EESD_ST_SE_SF_SG_EUlST_E0_NS1_11comp_targetILNS1_3genE9ELNS1_11target_archE1100ELNS1_3gpuE3ELNS1_3repE0EEENS1_38merge_mergepath_config_static_selectorELNS0_4arch9wavefront6targetE1EEEvSF_
		.amdhsa_group_segment_fixed_size 0
		.amdhsa_private_segment_fixed_size 0
		.amdhsa_kernarg_size 64
		.amdhsa_user_sgpr_count 6
		.amdhsa_user_sgpr_private_segment_buffer 1
		.amdhsa_user_sgpr_dispatch_ptr 0
		.amdhsa_user_sgpr_queue_ptr 0
		.amdhsa_user_sgpr_kernarg_segment_ptr 1
		.amdhsa_user_sgpr_dispatch_id 0
		.amdhsa_user_sgpr_flat_scratch_init 0
		.amdhsa_user_sgpr_kernarg_preload_length 0
		.amdhsa_user_sgpr_kernarg_preload_offset 0
		.amdhsa_user_sgpr_private_segment_size 0
		.amdhsa_uses_dynamic_stack 0
		.amdhsa_system_sgpr_private_segment_wavefront_offset 0
		.amdhsa_system_sgpr_workgroup_id_x 1
		.amdhsa_system_sgpr_workgroup_id_y 0
		.amdhsa_system_sgpr_workgroup_id_z 0
		.amdhsa_system_sgpr_workgroup_info 0
		.amdhsa_system_vgpr_workitem_id 0
		.amdhsa_next_free_vgpr 1
		.amdhsa_next_free_sgpr 0
		.amdhsa_accum_offset 4
		.amdhsa_reserve_vcc 0
		.amdhsa_reserve_flat_scratch 0
		.amdhsa_float_round_mode_32 0
		.amdhsa_float_round_mode_16_64 0
		.amdhsa_float_denorm_mode_32 3
		.amdhsa_float_denorm_mode_16_64 3
		.amdhsa_dx10_clamp 1
		.amdhsa_ieee_mode 1
		.amdhsa_fp16_overflow 0
		.amdhsa_tg_split 0
		.amdhsa_exception_fp_ieee_invalid_op 0
		.amdhsa_exception_fp_denorm_src 0
		.amdhsa_exception_fp_ieee_div_zero 0
		.amdhsa_exception_fp_ieee_overflow 0
		.amdhsa_exception_fp_ieee_underflow 0
		.amdhsa_exception_fp_ieee_inexact 0
		.amdhsa_exception_int_div_zero 0
	.end_amdhsa_kernel
	.section	.text._ZN7rocprim17ROCPRIM_400000_NS6detail17trampoline_kernelINS0_14default_configENS1_38merge_sort_block_merge_config_selectorIfNS0_10empty_typeEEEZZNS1_27merge_sort_block_merge_implIS3_PfPS5_jNS1_19radix_merge_compareILb1ELb0EfNS0_19identity_decomposerEEEEE10hipError_tT0_T1_T2_jT3_P12ihipStream_tbPNSt15iterator_traitsISE_E10value_typeEPNSK_ISF_E10value_typeEPSG_NS1_7vsmem_tEENKUlT_SE_SF_SG_E_clIS8_S8_S9_S9_EESD_ST_SE_SF_SG_EUlST_E0_NS1_11comp_targetILNS1_3genE9ELNS1_11target_archE1100ELNS1_3gpuE3ELNS1_3repE0EEENS1_38merge_mergepath_config_static_selectorELNS0_4arch9wavefront6targetE1EEEvSF_,"axG",@progbits,_ZN7rocprim17ROCPRIM_400000_NS6detail17trampoline_kernelINS0_14default_configENS1_38merge_sort_block_merge_config_selectorIfNS0_10empty_typeEEEZZNS1_27merge_sort_block_merge_implIS3_PfPS5_jNS1_19radix_merge_compareILb1ELb0EfNS0_19identity_decomposerEEEEE10hipError_tT0_T1_T2_jT3_P12ihipStream_tbPNSt15iterator_traitsISE_E10value_typeEPNSK_ISF_E10value_typeEPSG_NS1_7vsmem_tEENKUlT_SE_SF_SG_E_clIS8_S8_S9_S9_EESD_ST_SE_SF_SG_EUlST_E0_NS1_11comp_targetILNS1_3genE9ELNS1_11target_archE1100ELNS1_3gpuE3ELNS1_3repE0EEENS1_38merge_mergepath_config_static_selectorELNS0_4arch9wavefront6targetE1EEEvSF_,comdat
.Lfunc_end2518:
	.size	_ZN7rocprim17ROCPRIM_400000_NS6detail17trampoline_kernelINS0_14default_configENS1_38merge_sort_block_merge_config_selectorIfNS0_10empty_typeEEEZZNS1_27merge_sort_block_merge_implIS3_PfPS5_jNS1_19radix_merge_compareILb1ELb0EfNS0_19identity_decomposerEEEEE10hipError_tT0_T1_T2_jT3_P12ihipStream_tbPNSt15iterator_traitsISE_E10value_typeEPNSK_ISF_E10value_typeEPSG_NS1_7vsmem_tEENKUlT_SE_SF_SG_E_clIS8_S8_S9_S9_EESD_ST_SE_SF_SG_EUlST_E0_NS1_11comp_targetILNS1_3genE9ELNS1_11target_archE1100ELNS1_3gpuE3ELNS1_3repE0EEENS1_38merge_mergepath_config_static_selectorELNS0_4arch9wavefront6targetE1EEEvSF_, .Lfunc_end2518-_ZN7rocprim17ROCPRIM_400000_NS6detail17trampoline_kernelINS0_14default_configENS1_38merge_sort_block_merge_config_selectorIfNS0_10empty_typeEEEZZNS1_27merge_sort_block_merge_implIS3_PfPS5_jNS1_19radix_merge_compareILb1ELb0EfNS0_19identity_decomposerEEEEE10hipError_tT0_T1_T2_jT3_P12ihipStream_tbPNSt15iterator_traitsISE_E10value_typeEPNSK_ISF_E10value_typeEPSG_NS1_7vsmem_tEENKUlT_SE_SF_SG_E_clIS8_S8_S9_S9_EESD_ST_SE_SF_SG_EUlST_E0_NS1_11comp_targetILNS1_3genE9ELNS1_11target_archE1100ELNS1_3gpuE3ELNS1_3repE0EEENS1_38merge_mergepath_config_static_selectorELNS0_4arch9wavefront6targetE1EEEvSF_
                                        ; -- End function
	.section	.AMDGPU.csdata,"",@progbits
; Kernel info:
; codeLenInByte = 0
; NumSgprs: 4
; NumVgprs: 0
; NumAgprs: 0
; TotalNumVgprs: 0
; ScratchSize: 0
; MemoryBound: 0
; FloatMode: 240
; IeeeMode: 1
; LDSByteSize: 0 bytes/workgroup (compile time only)
; SGPRBlocks: 0
; VGPRBlocks: 0
; NumSGPRsForWavesPerEU: 4
; NumVGPRsForWavesPerEU: 1
; AccumOffset: 4
; Occupancy: 8
; WaveLimiterHint : 0
; COMPUTE_PGM_RSRC2:SCRATCH_EN: 0
; COMPUTE_PGM_RSRC2:USER_SGPR: 6
; COMPUTE_PGM_RSRC2:TRAP_HANDLER: 0
; COMPUTE_PGM_RSRC2:TGID_X_EN: 1
; COMPUTE_PGM_RSRC2:TGID_Y_EN: 0
; COMPUTE_PGM_RSRC2:TGID_Z_EN: 0
; COMPUTE_PGM_RSRC2:TIDIG_COMP_CNT: 0
; COMPUTE_PGM_RSRC3_GFX90A:ACCUM_OFFSET: 0
; COMPUTE_PGM_RSRC3_GFX90A:TG_SPLIT: 0
	.section	.text._ZN7rocprim17ROCPRIM_400000_NS6detail17trampoline_kernelINS0_14default_configENS1_38merge_sort_block_merge_config_selectorIfNS0_10empty_typeEEEZZNS1_27merge_sort_block_merge_implIS3_PfPS5_jNS1_19radix_merge_compareILb1ELb0EfNS0_19identity_decomposerEEEEE10hipError_tT0_T1_T2_jT3_P12ihipStream_tbPNSt15iterator_traitsISE_E10value_typeEPNSK_ISF_E10value_typeEPSG_NS1_7vsmem_tEENKUlT_SE_SF_SG_E_clIS8_S8_S9_S9_EESD_ST_SE_SF_SG_EUlST_E0_NS1_11comp_targetILNS1_3genE8ELNS1_11target_archE1030ELNS1_3gpuE2ELNS1_3repE0EEENS1_38merge_mergepath_config_static_selectorELNS0_4arch9wavefront6targetE1EEEvSF_,"axG",@progbits,_ZN7rocprim17ROCPRIM_400000_NS6detail17trampoline_kernelINS0_14default_configENS1_38merge_sort_block_merge_config_selectorIfNS0_10empty_typeEEEZZNS1_27merge_sort_block_merge_implIS3_PfPS5_jNS1_19radix_merge_compareILb1ELb0EfNS0_19identity_decomposerEEEEE10hipError_tT0_T1_T2_jT3_P12ihipStream_tbPNSt15iterator_traitsISE_E10value_typeEPNSK_ISF_E10value_typeEPSG_NS1_7vsmem_tEENKUlT_SE_SF_SG_E_clIS8_S8_S9_S9_EESD_ST_SE_SF_SG_EUlST_E0_NS1_11comp_targetILNS1_3genE8ELNS1_11target_archE1030ELNS1_3gpuE2ELNS1_3repE0EEENS1_38merge_mergepath_config_static_selectorELNS0_4arch9wavefront6targetE1EEEvSF_,comdat
	.protected	_ZN7rocprim17ROCPRIM_400000_NS6detail17trampoline_kernelINS0_14default_configENS1_38merge_sort_block_merge_config_selectorIfNS0_10empty_typeEEEZZNS1_27merge_sort_block_merge_implIS3_PfPS5_jNS1_19radix_merge_compareILb1ELb0EfNS0_19identity_decomposerEEEEE10hipError_tT0_T1_T2_jT3_P12ihipStream_tbPNSt15iterator_traitsISE_E10value_typeEPNSK_ISF_E10value_typeEPSG_NS1_7vsmem_tEENKUlT_SE_SF_SG_E_clIS8_S8_S9_S9_EESD_ST_SE_SF_SG_EUlST_E0_NS1_11comp_targetILNS1_3genE8ELNS1_11target_archE1030ELNS1_3gpuE2ELNS1_3repE0EEENS1_38merge_mergepath_config_static_selectorELNS0_4arch9wavefront6targetE1EEEvSF_ ; -- Begin function _ZN7rocprim17ROCPRIM_400000_NS6detail17trampoline_kernelINS0_14default_configENS1_38merge_sort_block_merge_config_selectorIfNS0_10empty_typeEEEZZNS1_27merge_sort_block_merge_implIS3_PfPS5_jNS1_19radix_merge_compareILb1ELb0EfNS0_19identity_decomposerEEEEE10hipError_tT0_T1_T2_jT3_P12ihipStream_tbPNSt15iterator_traitsISE_E10value_typeEPNSK_ISF_E10value_typeEPSG_NS1_7vsmem_tEENKUlT_SE_SF_SG_E_clIS8_S8_S9_S9_EESD_ST_SE_SF_SG_EUlST_E0_NS1_11comp_targetILNS1_3genE8ELNS1_11target_archE1030ELNS1_3gpuE2ELNS1_3repE0EEENS1_38merge_mergepath_config_static_selectorELNS0_4arch9wavefront6targetE1EEEvSF_
	.globl	_ZN7rocprim17ROCPRIM_400000_NS6detail17trampoline_kernelINS0_14default_configENS1_38merge_sort_block_merge_config_selectorIfNS0_10empty_typeEEEZZNS1_27merge_sort_block_merge_implIS3_PfPS5_jNS1_19radix_merge_compareILb1ELb0EfNS0_19identity_decomposerEEEEE10hipError_tT0_T1_T2_jT3_P12ihipStream_tbPNSt15iterator_traitsISE_E10value_typeEPNSK_ISF_E10value_typeEPSG_NS1_7vsmem_tEENKUlT_SE_SF_SG_E_clIS8_S8_S9_S9_EESD_ST_SE_SF_SG_EUlST_E0_NS1_11comp_targetILNS1_3genE8ELNS1_11target_archE1030ELNS1_3gpuE2ELNS1_3repE0EEENS1_38merge_mergepath_config_static_selectorELNS0_4arch9wavefront6targetE1EEEvSF_
	.p2align	8
	.type	_ZN7rocprim17ROCPRIM_400000_NS6detail17trampoline_kernelINS0_14default_configENS1_38merge_sort_block_merge_config_selectorIfNS0_10empty_typeEEEZZNS1_27merge_sort_block_merge_implIS3_PfPS5_jNS1_19radix_merge_compareILb1ELb0EfNS0_19identity_decomposerEEEEE10hipError_tT0_T1_T2_jT3_P12ihipStream_tbPNSt15iterator_traitsISE_E10value_typeEPNSK_ISF_E10value_typeEPSG_NS1_7vsmem_tEENKUlT_SE_SF_SG_E_clIS8_S8_S9_S9_EESD_ST_SE_SF_SG_EUlST_E0_NS1_11comp_targetILNS1_3genE8ELNS1_11target_archE1030ELNS1_3gpuE2ELNS1_3repE0EEENS1_38merge_mergepath_config_static_selectorELNS0_4arch9wavefront6targetE1EEEvSF_,@function
_ZN7rocprim17ROCPRIM_400000_NS6detail17trampoline_kernelINS0_14default_configENS1_38merge_sort_block_merge_config_selectorIfNS0_10empty_typeEEEZZNS1_27merge_sort_block_merge_implIS3_PfPS5_jNS1_19radix_merge_compareILb1ELb0EfNS0_19identity_decomposerEEEEE10hipError_tT0_T1_T2_jT3_P12ihipStream_tbPNSt15iterator_traitsISE_E10value_typeEPNSK_ISF_E10value_typeEPSG_NS1_7vsmem_tEENKUlT_SE_SF_SG_E_clIS8_S8_S9_S9_EESD_ST_SE_SF_SG_EUlST_E0_NS1_11comp_targetILNS1_3genE8ELNS1_11target_archE1030ELNS1_3gpuE2ELNS1_3repE0EEENS1_38merge_mergepath_config_static_selectorELNS0_4arch9wavefront6targetE1EEEvSF_: ; @_ZN7rocprim17ROCPRIM_400000_NS6detail17trampoline_kernelINS0_14default_configENS1_38merge_sort_block_merge_config_selectorIfNS0_10empty_typeEEEZZNS1_27merge_sort_block_merge_implIS3_PfPS5_jNS1_19radix_merge_compareILb1ELb0EfNS0_19identity_decomposerEEEEE10hipError_tT0_T1_T2_jT3_P12ihipStream_tbPNSt15iterator_traitsISE_E10value_typeEPNSK_ISF_E10value_typeEPSG_NS1_7vsmem_tEENKUlT_SE_SF_SG_E_clIS8_S8_S9_S9_EESD_ST_SE_SF_SG_EUlST_E0_NS1_11comp_targetILNS1_3genE8ELNS1_11target_archE1030ELNS1_3gpuE2ELNS1_3repE0EEENS1_38merge_mergepath_config_static_selectorELNS0_4arch9wavefront6targetE1EEEvSF_
; %bb.0:
	.section	.rodata,"a",@progbits
	.p2align	6, 0x0
	.amdhsa_kernel _ZN7rocprim17ROCPRIM_400000_NS6detail17trampoline_kernelINS0_14default_configENS1_38merge_sort_block_merge_config_selectorIfNS0_10empty_typeEEEZZNS1_27merge_sort_block_merge_implIS3_PfPS5_jNS1_19radix_merge_compareILb1ELb0EfNS0_19identity_decomposerEEEEE10hipError_tT0_T1_T2_jT3_P12ihipStream_tbPNSt15iterator_traitsISE_E10value_typeEPNSK_ISF_E10value_typeEPSG_NS1_7vsmem_tEENKUlT_SE_SF_SG_E_clIS8_S8_S9_S9_EESD_ST_SE_SF_SG_EUlST_E0_NS1_11comp_targetILNS1_3genE8ELNS1_11target_archE1030ELNS1_3gpuE2ELNS1_3repE0EEENS1_38merge_mergepath_config_static_selectorELNS0_4arch9wavefront6targetE1EEEvSF_
		.amdhsa_group_segment_fixed_size 0
		.amdhsa_private_segment_fixed_size 0
		.amdhsa_kernarg_size 64
		.amdhsa_user_sgpr_count 6
		.amdhsa_user_sgpr_private_segment_buffer 1
		.amdhsa_user_sgpr_dispatch_ptr 0
		.amdhsa_user_sgpr_queue_ptr 0
		.amdhsa_user_sgpr_kernarg_segment_ptr 1
		.amdhsa_user_sgpr_dispatch_id 0
		.amdhsa_user_sgpr_flat_scratch_init 0
		.amdhsa_user_sgpr_kernarg_preload_length 0
		.amdhsa_user_sgpr_kernarg_preload_offset 0
		.amdhsa_user_sgpr_private_segment_size 0
		.amdhsa_uses_dynamic_stack 0
		.amdhsa_system_sgpr_private_segment_wavefront_offset 0
		.amdhsa_system_sgpr_workgroup_id_x 1
		.amdhsa_system_sgpr_workgroup_id_y 0
		.amdhsa_system_sgpr_workgroup_id_z 0
		.amdhsa_system_sgpr_workgroup_info 0
		.amdhsa_system_vgpr_workitem_id 0
		.amdhsa_next_free_vgpr 1
		.amdhsa_next_free_sgpr 0
		.amdhsa_accum_offset 4
		.amdhsa_reserve_vcc 0
		.amdhsa_reserve_flat_scratch 0
		.amdhsa_float_round_mode_32 0
		.amdhsa_float_round_mode_16_64 0
		.amdhsa_float_denorm_mode_32 3
		.amdhsa_float_denorm_mode_16_64 3
		.amdhsa_dx10_clamp 1
		.amdhsa_ieee_mode 1
		.amdhsa_fp16_overflow 0
		.amdhsa_tg_split 0
		.amdhsa_exception_fp_ieee_invalid_op 0
		.amdhsa_exception_fp_denorm_src 0
		.amdhsa_exception_fp_ieee_div_zero 0
		.amdhsa_exception_fp_ieee_overflow 0
		.amdhsa_exception_fp_ieee_underflow 0
		.amdhsa_exception_fp_ieee_inexact 0
		.amdhsa_exception_int_div_zero 0
	.end_amdhsa_kernel
	.section	.text._ZN7rocprim17ROCPRIM_400000_NS6detail17trampoline_kernelINS0_14default_configENS1_38merge_sort_block_merge_config_selectorIfNS0_10empty_typeEEEZZNS1_27merge_sort_block_merge_implIS3_PfPS5_jNS1_19radix_merge_compareILb1ELb0EfNS0_19identity_decomposerEEEEE10hipError_tT0_T1_T2_jT3_P12ihipStream_tbPNSt15iterator_traitsISE_E10value_typeEPNSK_ISF_E10value_typeEPSG_NS1_7vsmem_tEENKUlT_SE_SF_SG_E_clIS8_S8_S9_S9_EESD_ST_SE_SF_SG_EUlST_E0_NS1_11comp_targetILNS1_3genE8ELNS1_11target_archE1030ELNS1_3gpuE2ELNS1_3repE0EEENS1_38merge_mergepath_config_static_selectorELNS0_4arch9wavefront6targetE1EEEvSF_,"axG",@progbits,_ZN7rocprim17ROCPRIM_400000_NS6detail17trampoline_kernelINS0_14default_configENS1_38merge_sort_block_merge_config_selectorIfNS0_10empty_typeEEEZZNS1_27merge_sort_block_merge_implIS3_PfPS5_jNS1_19radix_merge_compareILb1ELb0EfNS0_19identity_decomposerEEEEE10hipError_tT0_T1_T2_jT3_P12ihipStream_tbPNSt15iterator_traitsISE_E10value_typeEPNSK_ISF_E10value_typeEPSG_NS1_7vsmem_tEENKUlT_SE_SF_SG_E_clIS8_S8_S9_S9_EESD_ST_SE_SF_SG_EUlST_E0_NS1_11comp_targetILNS1_3genE8ELNS1_11target_archE1030ELNS1_3gpuE2ELNS1_3repE0EEENS1_38merge_mergepath_config_static_selectorELNS0_4arch9wavefront6targetE1EEEvSF_,comdat
.Lfunc_end2519:
	.size	_ZN7rocprim17ROCPRIM_400000_NS6detail17trampoline_kernelINS0_14default_configENS1_38merge_sort_block_merge_config_selectorIfNS0_10empty_typeEEEZZNS1_27merge_sort_block_merge_implIS3_PfPS5_jNS1_19radix_merge_compareILb1ELb0EfNS0_19identity_decomposerEEEEE10hipError_tT0_T1_T2_jT3_P12ihipStream_tbPNSt15iterator_traitsISE_E10value_typeEPNSK_ISF_E10value_typeEPSG_NS1_7vsmem_tEENKUlT_SE_SF_SG_E_clIS8_S8_S9_S9_EESD_ST_SE_SF_SG_EUlST_E0_NS1_11comp_targetILNS1_3genE8ELNS1_11target_archE1030ELNS1_3gpuE2ELNS1_3repE0EEENS1_38merge_mergepath_config_static_selectorELNS0_4arch9wavefront6targetE1EEEvSF_, .Lfunc_end2519-_ZN7rocprim17ROCPRIM_400000_NS6detail17trampoline_kernelINS0_14default_configENS1_38merge_sort_block_merge_config_selectorIfNS0_10empty_typeEEEZZNS1_27merge_sort_block_merge_implIS3_PfPS5_jNS1_19radix_merge_compareILb1ELb0EfNS0_19identity_decomposerEEEEE10hipError_tT0_T1_T2_jT3_P12ihipStream_tbPNSt15iterator_traitsISE_E10value_typeEPNSK_ISF_E10value_typeEPSG_NS1_7vsmem_tEENKUlT_SE_SF_SG_E_clIS8_S8_S9_S9_EESD_ST_SE_SF_SG_EUlST_E0_NS1_11comp_targetILNS1_3genE8ELNS1_11target_archE1030ELNS1_3gpuE2ELNS1_3repE0EEENS1_38merge_mergepath_config_static_selectorELNS0_4arch9wavefront6targetE1EEEvSF_
                                        ; -- End function
	.section	.AMDGPU.csdata,"",@progbits
; Kernel info:
; codeLenInByte = 0
; NumSgprs: 4
; NumVgprs: 0
; NumAgprs: 0
; TotalNumVgprs: 0
; ScratchSize: 0
; MemoryBound: 0
; FloatMode: 240
; IeeeMode: 1
; LDSByteSize: 0 bytes/workgroup (compile time only)
; SGPRBlocks: 0
; VGPRBlocks: 0
; NumSGPRsForWavesPerEU: 4
; NumVGPRsForWavesPerEU: 1
; AccumOffset: 4
; Occupancy: 8
; WaveLimiterHint : 0
; COMPUTE_PGM_RSRC2:SCRATCH_EN: 0
; COMPUTE_PGM_RSRC2:USER_SGPR: 6
; COMPUTE_PGM_RSRC2:TRAP_HANDLER: 0
; COMPUTE_PGM_RSRC2:TGID_X_EN: 1
; COMPUTE_PGM_RSRC2:TGID_Y_EN: 0
; COMPUTE_PGM_RSRC2:TGID_Z_EN: 0
; COMPUTE_PGM_RSRC2:TIDIG_COMP_CNT: 0
; COMPUTE_PGM_RSRC3_GFX90A:ACCUM_OFFSET: 0
; COMPUTE_PGM_RSRC3_GFX90A:TG_SPLIT: 0
	.section	.text._ZN7rocprim17ROCPRIM_400000_NS6detail17trampoline_kernelINS0_14default_configENS1_38merge_sort_block_merge_config_selectorIfNS0_10empty_typeEEEZZNS1_27merge_sort_block_merge_implIS3_PfPS5_jNS1_19radix_merge_compareILb1ELb0EfNS0_19identity_decomposerEEEEE10hipError_tT0_T1_T2_jT3_P12ihipStream_tbPNSt15iterator_traitsISE_E10value_typeEPNSK_ISF_E10value_typeEPSG_NS1_7vsmem_tEENKUlT_SE_SF_SG_E_clIS8_S8_S9_S9_EESD_ST_SE_SF_SG_EUlST_E1_NS1_11comp_targetILNS1_3genE0ELNS1_11target_archE4294967295ELNS1_3gpuE0ELNS1_3repE0EEENS1_36merge_oddeven_config_static_selectorELNS0_4arch9wavefront6targetE1EEEvSF_,"axG",@progbits,_ZN7rocprim17ROCPRIM_400000_NS6detail17trampoline_kernelINS0_14default_configENS1_38merge_sort_block_merge_config_selectorIfNS0_10empty_typeEEEZZNS1_27merge_sort_block_merge_implIS3_PfPS5_jNS1_19radix_merge_compareILb1ELb0EfNS0_19identity_decomposerEEEEE10hipError_tT0_T1_T2_jT3_P12ihipStream_tbPNSt15iterator_traitsISE_E10value_typeEPNSK_ISF_E10value_typeEPSG_NS1_7vsmem_tEENKUlT_SE_SF_SG_E_clIS8_S8_S9_S9_EESD_ST_SE_SF_SG_EUlST_E1_NS1_11comp_targetILNS1_3genE0ELNS1_11target_archE4294967295ELNS1_3gpuE0ELNS1_3repE0EEENS1_36merge_oddeven_config_static_selectorELNS0_4arch9wavefront6targetE1EEEvSF_,comdat
	.protected	_ZN7rocprim17ROCPRIM_400000_NS6detail17trampoline_kernelINS0_14default_configENS1_38merge_sort_block_merge_config_selectorIfNS0_10empty_typeEEEZZNS1_27merge_sort_block_merge_implIS3_PfPS5_jNS1_19radix_merge_compareILb1ELb0EfNS0_19identity_decomposerEEEEE10hipError_tT0_T1_T2_jT3_P12ihipStream_tbPNSt15iterator_traitsISE_E10value_typeEPNSK_ISF_E10value_typeEPSG_NS1_7vsmem_tEENKUlT_SE_SF_SG_E_clIS8_S8_S9_S9_EESD_ST_SE_SF_SG_EUlST_E1_NS1_11comp_targetILNS1_3genE0ELNS1_11target_archE4294967295ELNS1_3gpuE0ELNS1_3repE0EEENS1_36merge_oddeven_config_static_selectorELNS0_4arch9wavefront6targetE1EEEvSF_ ; -- Begin function _ZN7rocprim17ROCPRIM_400000_NS6detail17trampoline_kernelINS0_14default_configENS1_38merge_sort_block_merge_config_selectorIfNS0_10empty_typeEEEZZNS1_27merge_sort_block_merge_implIS3_PfPS5_jNS1_19radix_merge_compareILb1ELb0EfNS0_19identity_decomposerEEEEE10hipError_tT0_T1_T2_jT3_P12ihipStream_tbPNSt15iterator_traitsISE_E10value_typeEPNSK_ISF_E10value_typeEPSG_NS1_7vsmem_tEENKUlT_SE_SF_SG_E_clIS8_S8_S9_S9_EESD_ST_SE_SF_SG_EUlST_E1_NS1_11comp_targetILNS1_3genE0ELNS1_11target_archE4294967295ELNS1_3gpuE0ELNS1_3repE0EEENS1_36merge_oddeven_config_static_selectorELNS0_4arch9wavefront6targetE1EEEvSF_
	.globl	_ZN7rocprim17ROCPRIM_400000_NS6detail17trampoline_kernelINS0_14default_configENS1_38merge_sort_block_merge_config_selectorIfNS0_10empty_typeEEEZZNS1_27merge_sort_block_merge_implIS3_PfPS5_jNS1_19radix_merge_compareILb1ELb0EfNS0_19identity_decomposerEEEEE10hipError_tT0_T1_T2_jT3_P12ihipStream_tbPNSt15iterator_traitsISE_E10value_typeEPNSK_ISF_E10value_typeEPSG_NS1_7vsmem_tEENKUlT_SE_SF_SG_E_clIS8_S8_S9_S9_EESD_ST_SE_SF_SG_EUlST_E1_NS1_11comp_targetILNS1_3genE0ELNS1_11target_archE4294967295ELNS1_3gpuE0ELNS1_3repE0EEENS1_36merge_oddeven_config_static_selectorELNS0_4arch9wavefront6targetE1EEEvSF_
	.p2align	8
	.type	_ZN7rocprim17ROCPRIM_400000_NS6detail17trampoline_kernelINS0_14default_configENS1_38merge_sort_block_merge_config_selectorIfNS0_10empty_typeEEEZZNS1_27merge_sort_block_merge_implIS3_PfPS5_jNS1_19radix_merge_compareILb1ELb0EfNS0_19identity_decomposerEEEEE10hipError_tT0_T1_T2_jT3_P12ihipStream_tbPNSt15iterator_traitsISE_E10value_typeEPNSK_ISF_E10value_typeEPSG_NS1_7vsmem_tEENKUlT_SE_SF_SG_E_clIS8_S8_S9_S9_EESD_ST_SE_SF_SG_EUlST_E1_NS1_11comp_targetILNS1_3genE0ELNS1_11target_archE4294967295ELNS1_3gpuE0ELNS1_3repE0EEENS1_36merge_oddeven_config_static_selectorELNS0_4arch9wavefront6targetE1EEEvSF_,@function
_ZN7rocprim17ROCPRIM_400000_NS6detail17trampoline_kernelINS0_14default_configENS1_38merge_sort_block_merge_config_selectorIfNS0_10empty_typeEEEZZNS1_27merge_sort_block_merge_implIS3_PfPS5_jNS1_19radix_merge_compareILb1ELb0EfNS0_19identity_decomposerEEEEE10hipError_tT0_T1_T2_jT3_P12ihipStream_tbPNSt15iterator_traitsISE_E10value_typeEPNSK_ISF_E10value_typeEPSG_NS1_7vsmem_tEENKUlT_SE_SF_SG_E_clIS8_S8_S9_S9_EESD_ST_SE_SF_SG_EUlST_E1_NS1_11comp_targetILNS1_3genE0ELNS1_11target_archE4294967295ELNS1_3gpuE0ELNS1_3repE0EEENS1_36merge_oddeven_config_static_selectorELNS0_4arch9wavefront6targetE1EEEvSF_: ; @_ZN7rocprim17ROCPRIM_400000_NS6detail17trampoline_kernelINS0_14default_configENS1_38merge_sort_block_merge_config_selectorIfNS0_10empty_typeEEEZZNS1_27merge_sort_block_merge_implIS3_PfPS5_jNS1_19radix_merge_compareILb1ELb0EfNS0_19identity_decomposerEEEEE10hipError_tT0_T1_T2_jT3_P12ihipStream_tbPNSt15iterator_traitsISE_E10value_typeEPNSK_ISF_E10value_typeEPSG_NS1_7vsmem_tEENKUlT_SE_SF_SG_E_clIS8_S8_S9_S9_EESD_ST_SE_SF_SG_EUlST_E1_NS1_11comp_targetILNS1_3genE0ELNS1_11target_archE4294967295ELNS1_3gpuE0ELNS1_3repE0EEENS1_36merge_oddeven_config_static_selectorELNS0_4arch9wavefront6targetE1EEEvSF_
; %bb.0:
	.section	.rodata,"a",@progbits
	.p2align	6, 0x0
	.amdhsa_kernel _ZN7rocprim17ROCPRIM_400000_NS6detail17trampoline_kernelINS0_14default_configENS1_38merge_sort_block_merge_config_selectorIfNS0_10empty_typeEEEZZNS1_27merge_sort_block_merge_implIS3_PfPS5_jNS1_19radix_merge_compareILb1ELb0EfNS0_19identity_decomposerEEEEE10hipError_tT0_T1_T2_jT3_P12ihipStream_tbPNSt15iterator_traitsISE_E10value_typeEPNSK_ISF_E10value_typeEPSG_NS1_7vsmem_tEENKUlT_SE_SF_SG_E_clIS8_S8_S9_S9_EESD_ST_SE_SF_SG_EUlST_E1_NS1_11comp_targetILNS1_3genE0ELNS1_11target_archE4294967295ELNS1_3gpuE0ELNS1_3repE0EEENS1_36merge_oddeven_config_static_selectorELNS0_4arch9wavefront6targetE1EEEvSF_
		.amdhsa_group_segment_fixed_size 0
		.amdhsa_private_segment_fixed_size 0
		.amdhsa_kernarg_size 48
		.amdhsa_user_sgpr_count 6
		.amdhsa_user_sgpr_private_segment_buffer 1
		.amdhsa_user_sgpr_dispatch_ptr 0
		.amdhsa_user_sgpr_queue_ptr 0
		.amdhsa_user_sgpr_kernarg_segment_ptr 1
		.amdhsa_user_sgpr_dispatch_id 0
		.amdhsa_user_sgpr_flat_scratch_init 0
		.amdhsa_user_sgpr_kernarg_preload_length 0
		.amdhsa_user_sgpr_kernarg_preload_offset 0
		.amdhsa_user_sgpr_private_segment_size 0
		.amdhsa_uses_dynamic_stack 0
		.amdhsa_system_sgpr_private_segment_wavefront_offset 0
		.amdhsa_system_sgpr_workgroup_id_x 1
		.amdhsa_system_sgpr_workgroup_id_y 0
		.amdhsa_system_sgpr_workgroup_id_z 0
		.amdhsa_system_sgpr_workgroup_info 0
		.amdhsa_system_vgpr_workitem_id 0
		.amdhsa_next_free_vgpr 1
		.amdhsa_next_free_sgpr 0
		.amdhsa_accum_offset 4
		.amdhsa_reserve_vcc 0
		.amdhsa_reserve_flat_scratch 0
		.amdhsa_float_round_mode_32 0
		.amdhsa_float_round_mode_16_64 0
		.amdhsa_float_denorm_mode_32 3
		.amdhsa_float_denorm_mode_16_64 3
		.amdhsa_dx10_clamp 1
		.amdhsa_ieee_mode 1
		.amdhsa_fp16_overflow 0
		.amdhsa_tg_split 0
		.amdhsa_exception_fp_ieee_invalid_op 0
		.amdhsa_exception_fp_denorm_src 0
		.amdhsa_exception_fp_ieee_div_zero 0
		.amdhsa_exception_fp_ieee_overflow 0
		.amdhsa_exception_fp_ieee_underflow 0
		.amdhsa_exception_fp_ieee_inexact 0
		.amdhsa_exception_int_div_zero 0
	.end_amdhsa_kernel
	.section	.text._ZN7rocprim17ROCPRIM_400000_NS6detail17trampoline_kernelINS0_14default_configENS1_38merge_sort_block_merge_config_selectorIfNS0_10empty_typeEEEZZNS1_27merge_sort_block_merge_implIS3_PfPS5_jNS1_19radix_merge_compareILb1ELb0EfNS0_19identity_decomposerEEEEE10hipError_tT0_T1_T2_jT3_P12ihipStream_tbPNSt15iterator_traitsISE_E10value_typeEPNSK_ISF_E10value_typeEPSG_NS1_7vsmem_tEENKUlT_SE_SF_SG_E_clIS8_S8_S9_S9_EESD_ST_SE_SF_SG_EUlST_E1_NS1_11comp_targetILNS1_3genE0ELNS1_11target_archE4294967295ELNS1_3gpuE0ELNS1_3repE0EEENS1_36merge_oddeven_config_static_selectorELNS0_4arch9wavefront6targetE1EEEvSF_,"axG",@progbits,_ZN7rocprim17ROCPRIM_400000_NS6detail17trampoline_kernelINS0_14default_configENS1_38merge_sort_block_merge_config_selectorIfNS0_10empty_typeEEEZZNS1_27merge_sort_block_merge_implIS3_PfPS5_jNS1_19radix_merge_compareILb1ELb0EfNS0_19identity_decomposerEEEEE10hipError_tT0_T1_T2_jT3_P12ihipStream_tbPNSt15iterator_traitsISE_E10value_typeEPNSK_ISF_E10value_typeEPSG_NS1_7vsmem_tEENKUlT_SE_SF_SG_E_clIS8_S8_S9_S9_EESD_ST_SE_SF_SG_EUlST_E1_NS1_11comp_targetILNS1_3genE0ELNS1_11target_archE4294967295ELNS1_3gpuE0ELNS1_3repE0EEENS1_36merge_oddeven_config_static_selectorELNS0_4arch9wavefront6targetE1EEEvSF_,comdat
.Lfunc_end2520:
	.size	_ZN7rocprim17ROCPRIM_400000_NS6detail17trampoline_kernelINS0_14default_configENS1_38merge_sort_block_merge_config_selectorIfNS0_10empty_typeEEEZZNS1_27merge_sort_block_merge_implIS3_PfPS5_jNS1_19radix_merge_compareILb1ELb0EfNS0_19identity_decomposerEEEEE10hipError_tT0_T1_T2_jT3_P12ihipStream_tbPNSt15iterator_traitsISE_E10value_typeEPNSK_ISF_E10value_typeEPSG_NS1_7vsmem_tEENKUlT_SE_SF_SG_E_clIS8_S8_S9_S9_EESD_ST_SE_SF_SG_EUlST_E1_NS1_11comp_targetILNS1_3genE0ELNS1_11target_archE4294967295ELNS1_3gpuE0ELNS1_3repE0EEENS1_36merge_oddeven_config_static_selectorELNS0_4arch9wavefront6targetE1EEEvSF_, .Lfunc_end2520-_ZN7rocprim17ROCPRIM_400000_NS6detail17trampoline_kernelINS0_14default_configENS1_38merge_sort_block_merge_config_selectorIfNS0_10empty_typeEEEZZNS1_27merge_sort_block_merge_implIS3_PfPS5_jNS1_19radix_merge_compareILb1ELb0EfNS0_19identity_decomposerEEEEE10hipError_tT0_T1_T2_jT3_P12ihipStream_tbPNSt15iterator_traitsISE_E10value_typeEPNSK_ISF_E10value_typeEPSG_NS1_7vsmem_tEENKUlT_SE_SF_SG_E_clIS8_S8_S9_S9_EESD_ST_SE_SF_SG_EUlST_E1_NS1_11comp_targetILNS1_3genE0ELNS1_11target_archE4294967295ELNS1_3gpuE0ELNS1_3repE0EEENS1_36merge_oddeven_config_static_selectorELNS0_4arch9wavefront6targetE1EEEvSF_
                                        ; -- End function
	.section	.AMDGPU.csdata,"",@progbits
; Kernel info:
; codeLenInByte = 0
; NumSgprs: 4
; NumVgprs: 0
; NumAgprs: 0
; TotalNumVgprs: 0
; ScratchSize: 0
; MemoryBound: 0
; FloatMode: 240
; IeeeMode: 1
; LDSByteSize: 0 bytes/workgroup (compile time only)
; SGPRBlocks: 0
; VGPRBlocks: 0
; NumSGPRsForWavesPerEU: 4
; NumVGPRsForWavesPerEU: 1
; AccumOffset: 4
; Occupancy: 8
; WaveLimiterHint : 0
; COMPUTE_PGM_RSRC2:SCRATCH_EN: 0
; COMPUTE_PGM_RSRC2:USER_SGPR: 6
; COMPUTE_PGM_RSRC2:TRAP_HANDLER: 0
; COMPUTE_PGM_RSRC2:TGID_X_EN: 1
; COMPUTE_PGM_RSRC2:TGID_Y_EN: 0
; COMPUTE_PGM_RSRC2:TGID_Z_EN: 0
; COMPUTE_PGM_RSRC2:TIDIG_COMP_CNT: 0
; COMPUTE_PGM_RSRC3_GFX90A:ACCUM_OFFSET: 0
; COMPUTE_PGM_RSRC3_GFX90A:TG_SPLIT: 0
	.section	.text._ZN7rocprim17ROCPRIM_400000_NS6detail17trampoline_kernelINS0_14default_configENS1_38merge_sort_block_merge_config_selectorIfNS0_10empty_typeEEEZZNS1_27merge_sort_block_merge_implIS3_PfPS5_jNS1_19radix_merge_compareILb1ELb0EfNS0_19identity_decomposerEEEEE10hipError_tT0_T1_T2_jT3_P12ihipStream_tbPNSt15iterator_traitsISE_E10value_typeEPNSK_ISF_E10value_typeEPSG_NS1_7vsmem_tEENKUlT_SE_SF_SG_E_clIS8_S8_S9_S9_EESD_ST_SE_SF_SG_EUlST_E1_NS1_11comp_targetILNS1_3genE10ELNS1_11target_archE1201ELNS1_3gpuE5ELNS1_3repE0EEENS1_36merge_oddeven_config_static_selectorELNS0_4arch9wavefront6targetE1EEEvSF_,"axG",@progbits,_ZN7rocprim17ROCPRIM_400000_NS6detail17trampoline_kernelINS0_14default_configENS1_38merge_sort_block_merge_config_selectorIfNS0_10empty_typeEEEZZNS1_27merge_sort_block_merge_implIS3_PfPS5_jNS1_19radix_merge_compareILb1ELb0EfNS0_19identity_decomposerEEEEE10hipError_tT0_T1_T2_jT3_P12ihipStream_tbPNSt15iterator_traitsISE_E10value_typeEPNSK_ISF_E10value_typeEPSG_NS1_7vsmem_tEENKUlT_SE_SF_SG_E_clIS8_S8_S9_S9_EESD_ST_SE_SF_SG_EUlST_E1_NS1_11comp_targetILNS1_3genE10ELNS1_11target_archE1201ELNS1_3gpuE5ELNS1_3repE0EEENS1_36merge_oddeven_config_static_selectorELNS0_4arch9wavefront6targetE1EEEvSF_,comdat
	.protected	_ZN7rocprim17ROCPRIM_400000_NS6detail17trampoline_kernelINS0_14default_configENS1_38merge_sort_block_merge_config_selectorIfNS0_10empty_typeEEEZZNS1_27merge_sort_block_merge_implIS3_PfPS5_jNS1_19radix_merge_compareILb1ELb0EfNS0_19identity_decomposerEEEEE10hipError_tT0_T1_T2_jT3_P12ihipStream_tbPNSt15iterator_traitsISE_E10value_typeEPNSK_ISF_E10value_typeEPSG_NS1_7vsmem_tEENKUlT_SE_SF_SG_E_clIS8_S8_S9_S9_EESD_ST_SE_SF_SG_EUlST_E1_NS1_11comp_targetILNS1_3genE10ELNS1_11target_archE1201ELNS1_3gpuE5ELNS1_3repE0EEENS1_36merge_oddeven_config_static_selectorELNS0_4arch9wavefront6targetE1EEEvSF_ ; -- Begin function _ZN7rocprim17ROCPRIM_400000_NS6detail17trampoline_kernelINS0_14default_configENS1_38merge_sort_block_merge_config_selectorIfNS0_10empty_typeEEEZZNS1_27merge_sort_block_merge_implIS3_PfPS5_jNS1_19radix_merge_compareILb1ELb0EfNS0_19identity_decomposerEEEEE10hipError_tT0_T1_T2_jT3_P12ihipStream_tbPNSt15iterator_traitsISE_E10value_typeEPNSK_ISF_E10value_typeEPSG_NS1_7vsmem_tEENKUlT_SE_SF_SG_E_clIS8_S8_S9_S9_EESD_ST_SE_SF_SG_EUlST_E1_NS1_11comp_targetILNS1_3genE10ELNS1_11target_archE1201ELNS1_3gpuE5ELNS1_3repE0EEENS1_36merge_oddeven_config_static_selectorELNS0_4arch9wavefront6targetE1EEEvSF_
	.globl	_ZN7rocprim17ROCPRIM_400000_NS6detail17trampoline_kernelINS0_14default_configENS1_38merge_sort_block_merge_config_selectorIfNS0_10empty_typeEEEZZNS1_27merge_sort_block_merge_implIS3_PfPS5_jNS1_19radix_merge_compareILb1ELb0EfNS0_19identity_decomposerEEEEE10hipError_tT0_T1_T2_jT3_P12ihipStream_tbPNSt15iterator_traitsISE_E10value_typeEPNSK_ISF_E10value_typeEPSG_NS1_7vsmem_tEENKUlT_SE_SF_SG_E_clIS8_S8_S9_S9_EESD_ST_SE_SF_SG_EUlST_E1_NS1_11comp_targetILNS1_3genE10ELNS1_11target_archE1201ELNS1_3gpuE5ELNS1_3repE0EEENS1_36merge_oddeven_config_static_selectorELNS0_4arch9wavefront6targetE1EEEvSF_
	.p2align	8
	.type	_ZN7rocprim17ROCPRIM_400000_NS6detail17trampoline_kernelINS0_14default_configENS1_38merge_sort_block_merge_config_selectorIfNS0_10empty_typeEEEZZNS1_27merge_sort_block_merge_implIS3_PfPS5_jNS1_19radix_merge_compareILb1ELb0EfNS0_19identity_decomposerEEEEE10hipError_tT0_T1_T2_jT3_P12ihipStream_tbPNSt15iterator_traitsISE_E10value_typeEPNSK_ISF_E10value_typeEPSG_NS1_7vsmem_tEENKUlT_SE_SF_SG_E_clIS8_S8_S9_S9_EESD_ST_SE_SF_SG_EUlST_E1_NS1_11comp_targetILNS1_3genE10ELNS1_11target_archE1201ELNS1_3gpuE5ELNS1_3repE0EEENS1_36merge_oddeven_config_static_selectorELNS0_4arch9wavefront6targetE1EEEvSF_,@function
_ZN7rocprim17ROCPRIM_400000_NS6detail17trampoline_kernelINS0_14default_configENS1_38merge_sort_block_merge_config_selectorIfNS0_10empty_typeEEEZZNS1_27merge_sort_block_merge_implIS3_PfPS5_jNS1_19radix_merge_compareILb1ELb0EfNS0_19identity_decomposerEEEEE10hipError_tT0_T1_T2_jT3_P12ihipStream_tbPNSt15iterator_traitsISE_E10value_typeEPNSK_ISF_E10value_typeEPSG_NS1_7vsmem_tEENKUlT_SE_SF_SG_E_clIS8_S8_S9_S9_EESD_ST_SE_SF_SG_EUlST_E1_NS1_11comp_targetILNS1_3genE10ELNS1_11target_archE1201ELNS1_3gpuE5ELNS1_3repE0EEENS1_36merge_oddeven_config_static_selectorELNS0_4arch9wavefront6targetE1EEEvSF_: ; @_ZN7rocprim17ROCPRIM_400000_NS6detail17trampoline_kernelINS0_14default_configENS1_38merge_sort_block_merge_config_selectorIfNS0_10empty_typeEEEZZNS1_27merge_sort_block_merge_implIS3_PfPS5_jNS1_19radix_merge_compareILb1ELb0EfNS0_19identity_decomposerEEEEE10hipError_tT0_T1_T2_jT3_P12ihipStream_tbPNSt15iterator_traitsISE_E10value_typeEPNSK_ISF_E10value_typeEPSG_NS1_7vsmem_tEENKUlT_SE_SF_SG_E_clIS8_S8_S9_S9_EESD_ST_SE_SF_SG_EUlST_E1_NS1_11comp_targetILNS1_3genE10ELNS1_11target_archE1201ELNS1_3gpuE5ELNS1_3repE0EEENS1_36merge_oddeven_config_static_selectorELNS0_4arch9wavefront6targetE1EEEvSF_
; %bb.0:
	.section	.rodata,"a",@progbits
	.p2align	6, 0x0
	.amdhsa_kernel _ZN7rocprim17ROCPRIM_400000_NS6detail17trampoline_kernelINS0_14default_configENS1_38merge_sort_block_merge_config_selectorIfNS0_10empty_typeEEEZZNS1_27merge_sort_block_merge_implIS3_PfPS5_jNS1_19radix_merge_compareILb1ELb0EfNS0_19identity_decomposerEEEEE10hipError_tT0_T1_T2_jT3_P12ihipStream_tbPNSt15iterator_traitsISE_E10value_typeEPNSK_ISF_E10value_typeEPSG_NS1_7vsmem_tEENKUlT_SE_SF_SG_E_clIS8_S8_S9_S9_EESD_ST_SE_SF_SG_EUlST_E1_NS1_11comp_targetILNS1_3genE10ELNS1_11target_archE1201ELNS1_3gpuE5ELNS1_3repE0EEENS1_36merge_oddeven_config_static_selectorELNS0_4arch9wavefront6targetE1EEEvSF_
		.amdhsa_group_segment_fixed_size 0
		.amdhsa_private_segment_fixed_size 0
		.amdhsa_kernarg_size 48
		.amdhsa_user_sgpr_count 6
		.amdhsa_user_sgpr_private_segment_buffer 1
		.amdhsa_user_sgpr_dispatch_ptr 0
		.amdhsa_user_sgpr_queue_ptr 0
		.amdhsa_user_sgpr_kernarg_segment_ptr 1
		.amdhsa_user_sgpr_dispatch_id 0
		.amdhsa_user_sgpr_flat_scratch_init 0
		.amdhsa_user_sgpr_kernarg_preload_length 0
		.amdhsa_user_sgpr_kernarg_preload_offset 0
		.amdhsa_user_sgpr_private_segment_size 0
		.amdhsa_uses_dynamic_stack 0
		.amdhsa_system_sgpr_private_segment_wavefront_offset 0
		.amdhsa_system_sgpr_workgroup_id_x 1
		.amdhsa_system_sgpr_workgroup_id_y 0
		.amdhsa_system_sgpr_workgroup_id_z 0
		.amdhsa_system_sgpr_workgroup_info 0
		.amdhsa_system_vgpr_workitem_id 0
		.amdhsa_next_free_vgpr 1
		.amdhsa_next_free_sgpr 0
		.amdhsa_accum_offset 4
		.amdhsa_reserve_vcc 0
		.amdhsa_reserve_flat_scratch 0
		.amdhsa_float_round_mode_32 0
		.amdhsa_float_round_mode_16_64 0
		.amdhsa_float_denorm_mode_32 3
		.amdhsa_float_denorm_mode_16_64 3
		.amdhsa_dx10_clamp 1
		.amdhsa_ieee_mode 1
		.amdhsa_fp16_overflow 0
		.amdhsa_tg_split 0
		.amdhsa_exception_fp_ieee_invalid_op 0
		.amdhsa_exception_fp_denorm_src 0
		.amdhsa_exception_fp_ieee_div_zero 0
		.amdhsa_exception_fp_ieee_overflow 0
		.amdhsa_exception_fp_ieee_underflow 0
		.amdhsa_exception_fp_ieee_inexact 0
		.amdhsa_exception_int_div_zero 0
	.end_amdhsa_kernel
	.section	.text._ZN7rocprim17ROCPRIM_400000_NS6detail17trampoline_kernelINS0_14default_configENS1_38merge_sort_block_merge_config_selectorIfNS0_10empty_typeEEEZZNS1_27merge_sort_block_merge_implIS3_PfPS5_jNS1_19radix_merge_compareILb1ELb0EfNS0_19identity_decomposerEEEEE10hipError_tT0_T1_T2_jT3_P12ihipStream_tbPNSt15iterator_traitsISE_E10value_typeEPNSK_ISF_E10value_typeEPSG_NS1_7vsmem_tEENKUlT_SE_SF_SG_E_clIS8_S8_S9_S9_EESD_ST_SE_SF_SG_EUlST_E1_NS1_11comp_targetILNS1_3genE10ELNS1_11target_archE1201ELNS1_3gpuE5ELNS1_3repE0EEENS1_36merge_oddeven_config_static_selectorELNS0_4arch9wavefront6targetE1EEEvSF_,"axG",@progbits,_ZN7rocprim17ROCPRIM_400000_NS6detail17trampoline_kernelINS0_14default_configENS1_38merge_sort_block_merge_config_selectorIfNS0_10empty_typeEEEZZNS1_27merge_sort_block_merge_implIS3_PfPS5_jNS1_19radix_merge_compareILb1ELb0EfNS0_19identity_decomposerEEEEE10hipError_tT0_T1_T2_jT3_P12ihipStream_tbPNSt15iterator_traitsISE_E10value_typeEPNSK_ISF_E10value_typeEPSG_NS1_7vsmem_tEENKUlT_SE_SF_SG_E_clIS8_S8_S9_S9_EESD_ST_SE_SF_SG_EUlST_E1_NS1_11comp_targetILNS1_3genE10ELNS1_11target_archE1201ELNS1_3gpuE5ELNS1_3repE0EEENS1_36merge_oddeven_config_static_selectorELNS0_4arch9wavefront6targetE1EEEvSF_,comdat
.Lfunc_end2521:
	.size	_ZN7rocprim17ROCPRIM_400000_NS6detail17trampoline_kernelINS0_14default_configENS1_38merge_sort_block_merge_config_selectorIfNS0_10empty_typeEEEZZNS1_27merge_sort_block_merge_implIS3_PfPS5_jNS1_19radix_merge_compareILb1ELb0EfNS0_19identity_decomposerEEEEE10hipError_tT0_T1_T2_jT3_P12ihipStream_tbPNSt15iterator_traitsISE_E10value_typeEPNSK_ISF_E10value_typeEPSG_NS1_7vsmem_tEENKUlT_SE_SF_SG_E_clIS8_S8_S9_S9_EESD_ST_SE_SF_SG_EUlST_E1_NS1_11comp_targetILNS1_3genE10ELNS1_11target_archE1201ELNS1_3gpuE5ELNS1_3repE0EEENS1_36merge_oddeven_config_static_selectorELNS0_4arch9wavefront6targetE1EEEvSF_, .Lfunc_end2521-_ZN7rocprim17ROCPRIM_400000_NS6detail17trampoline_kernelINS0_14default_configENS1_38merge_sort_block_merge_config_selectorIfNS0_10empty_typeEEEZZNS1_27merge_sort_block_merge_implIS3_PfPS5_jNS1_19radix_merge_compareILb1ELb0EfNS0_19identity_decomposerEEEEE10hipError_tT0_T1_T2_jT3_P12ihipStream_tbPNSt15iterator_traitsISE_E10value_typeEPNSK_ISF_E10value_typeEPSG_NS1_7vsmem_tEENKUlT_SE_SF_SG_E_clIS8_S8_S9_S9_EESD_ST_SE_SF_SG_EUlST_E1_NS1_11comp_targetILNS1_3genE10ELNS1_11target_archE1201ELNS1_3gpuE5ELNS1_3repE0EEENS1_36merge_oddeven_config_static_selectorELNS0_4arch9wavefront6targetE1EEEvSF_
                                        ; -- End function
	.section	.AMDGPU.csdata,"",@progbits
; Kernel info:
; codeLenInByte = 0
; NumSgprs: 4
; NumVgprs: 0
; NumAgprs: 0
; TotalNumVgprs: 0
; ScratchSize: 0
; MemoryBound: 0
; FloatMode: 240
; IeeeMode: 1
; LDSByteSize: 0 bytes/workgroup (compile time only)
; SGPRBlocks: 0
; VGPRBlocks: 0
; NumSGPRsForWavesPerEU: 4
; NumVGPRsForWavesPerEU: 1
; AccumOffset: 4
; Occupancy: 8
; WaveLimiterHint : 0
; COMPUTE_PGM_RSRC2:SCRATCH_EN: 0
; COMPUTE_PGM_RSRC2:USER_SGPR: 6
; COMPUTE_PGM_RSRC2:TRAP_HANDLER: 0
; COMPUTE_PGM_RSRC2:TGID_X_EN: 1
; COMPUTE_PGM_RSRC2:TGID_Y_EN: 0
; COMPUTE_PGM_RSRC2:TGID_Z_EN: 0
; COMPUTE_PGM_RSRC2:TIDIG_COMP_CNT: 0
; COMPUTE_PGM_RSRC3_GFX90A:ACCUM_OFFSET: 0
; COMPUTE_PGM_RSRC3_GFX90A:TG_SPLIT: 0
	.section	.text._ZN7rocprim17ROCPRIM_400000_NS6detail17trampoline_kernelINS0_14default_configENS1_38merge_sort_block_merge_config_selectorIfNS0_10empty_typeEEEZZNS1_27merge_sort_block_merge_implIS3_PfPS5_jNS1_19radix_merge_compareILb1ELb0EfNS0_19identity_decomposerEEEEE10hipError_tT0_T1_T2_jT3_P12ihipStream_tbPNSt15iterator_traitsISE_E10value_typeEPNSK_ISF_E10value_typeEPSG_NS1_7vsmem_tEENKUlT_SE_SF_SG_E_clIS8_S8_S9_S9_EESD_ST_SE_SF_SG_EUlST_E1_NS1_11comp_targetILNS1_3genE5ELNS1_11target_archE942ELNS1_3gpuE9ELNS1_3repE0EEENS1_36merge_oddeven_config_static_selectorELNS0_4arch9wavefront6targetE1EEEvSF_,"axG",@progbits,_ZN7rocprim17ROCPRIM_400000_NS6detail17trampoline_kernelINS0_14default_configENS1_38merge_sort_block_merge_config_selectorIfNS0_10empty_typeEEEZZNS1_27merge_sort_block_merge_implIS3_PfPS5_jNS1_19radix_merge_compareILb1ELb0EfNS0_19identity_decomposerEEEEE10hipError_tT0_T1_T2_jT3_P12ihipStream_tbPNSt15iterator_traitsISE_E10value_typeEPNSK_ISF_E10value_typeEPSG_NS1_7vsmem_tEENKUlT_SE_SF_SG_E_clIS8_S8_S9_S9_EESD_ST_SE_SF_SG_EUlST_E1_NS1_11comp_targetILNS1_3genE5ELNS1_11target_archE942ELNS1_3gpuE9ELNS1_3repE0EEENS1_36merge_oddeven_config_static_selectorELNS0_4arch9wavefront6targetE1EEEvSF_,comdat
	.protected	_ZN7rocprim17ROCPRIM_400000_NS6detail17trampoline_kernelINS0_14default_configENS1_38merge_sort_block_merge_config_selectorIfNS0_10empty_typeEEEZZNS1_27merge_sort_block_merge_implIS3_PfPS5_jNS1_19radix_merge_compareILb1ELb0EfNS0_19identity_decomposerEEEEE10hipError_tT0_T1_T2_jT3_P12ihipStream_tbPNSt15iterator_traitsISE_E10value_typeEPNSK_ISF_E10value_typeEPSG_NS1_7vsmem_tEENKUlT_SE_SF_SG_E_clIS8_S8_S9_S9_EESD_ST_SE_SF_SG_EUlST_E1_NS1_11comp_targetILNS1_3genE5ELNS1_11target_archE942ELNS1_3gpuE9ELNS1_3repE0EEENS1_36merge_oddeven_config_static_selectorELNS0_4arch9wavefront6targetE1EEEvSF_ ; -- Begin function _ZN7rocprim17ROCPRIM_400000_NS6detail17trampoline_kernelINS0_14default_configENS1_38merge_sort_block_merge_config_selectorIfNS0_10empty_typeEEEZZNS1_27merge_sort_block_merge_implIS3_PfPS5_jNS1_19radix_merge_compareILb1ELb0EfNS0_19identity_decomposerEEEEE10hipError_tT0_T1_T2_jT3_P12ihipStream_tbPNSt15iterator_traitsISE_E10value_typeEPNSK_ISF_E10value_typeEPSG_NS1_7vsmem_tEENKUlT_SE_SF_SG_E_clIS8_S8_S9_S9_EESD_ST_SE_SF_SG_EUlST_E1_NS1_11comp_targetILNS1_3genE5ELNS1_11target_archE942ELNS1_3gpuE9ELNS1_3repE0EEENS1_36merge_oddeven_config_static_selectorELNS0_4arch9wavefront6targetE1EEEvSF_
	.globl	_ZN7rocprim17ROCPRIM_400000_NS6detail17trampoline_kernelINS0_14default_configENS1_38merge_sort_block_merge_config_selectorIfNS0_10empty_typeEEEZZNS1_27merge_sort_block_merge_implIS3_PfPS5_jNS1_19radix_merge_compareILb1ELb0EfNS0_19identity_decomposerEEEEE10hipError_tT0_T1_T2_jT3_P12ihipStream_tbPNSt15iterator_traitsISE_E10value_typeEPNSK_ISF_E10value_typeEPSG_NS1_7vsmem_tEENKUlT_SE_SF_SG_E_clIS8_S8_S9_S9_EESD_ST_SE_SF_SG_EUlST_E1_NS1_11comp_targetILNS1_3genE5ELNS1_11target_archE942ELNS1_3gpuE9ELNS1_3repE0EEENS1_36merge_oddeven_config_static_selectorELNS0_4arch9wavefront6targetE1EEEvSF_
	.p2align	8
	.type	_ZN7rocprim17ROCPRIM_400000_NS6detail17trampoline_kernelINS0_14default_configENS1_38merge_sort_block_merge_config_selectorIfNS0_10empty_typeEEEZZNS1_27merge_sort_block_merge_implIS3_PfPS5_jNS1_19radix_merge_compareILb1ELb0EfNS0_19identity_decomposerEEEEE10hipError_tT0_T1_T2_jT3_P12ihipStream_tbPNSt15iterator_traitsISE_E10value_typeEPNSK_ISF_E10value_typeEPSG_NS1_7vsmem_tEENKUlT_SE_SF_SG_E_clIS8_S8_S9_S9_EESD_ST_SE_SF_SG_EUlST_E1_NS1_11comp_targetILNS1_3genE5ELNS1_11target_archE942ELNS1_3gpuE9ELNS1_3repE0EEENS1_36merge_oddeven_config_static_selectorELNS0_4arch9wavefront6targetE1EEEvSF_,@function
_ZN7rocprim17ROCPRIM_400000_NS6detail17trampoline_kernelINS0_14default_configENS1_38merge_sort_block_merge_config_selectorIfNS0_10empty_typeEEEZZNS1_27merge_sort_block_merge_implIS3_PfPS5_jNS1_19radix_merge_compareILb1ELb0EfNS0_19identity_decomposerEEEEE10hipError_tT0_T1_T2_jT3_P12ihipStream_tbPNSt15iterator_traitsISE_E10value_typeEPNSK_ISF_E10value_typeEPSG_NS1_7vsmem_tEENKUlT_SE_SF_SG_E_clIS8_S8_S9_S9_EESD_ST_SE_SF_SG_EUlST_E1_NS1_11comp_targetILNS1_3genE5ELNS1_11target_archE942ELNS1_3gpuE9ELNS1_3repE0EEENS1_36merge_oddeven_config_static_selectorELNS0_4arch9wavefront6targetE1EEEvSF_: ; @_ZN7rocprim17ROCPRIM_400000_NS6detail17trampoline_kernelINS0_14default_configENS1_38merge_sort_block_merge_config_selectorIfNS0_10empty_typeEEEZZNS1_27merge_sort_block_merge_implIS3_PfPS5_jNS1_19radix_merge_compareILb1ELb0EfNS0_19identity_decomposerEEEEE10hipError_tT0_T1_T2_jT3_P12ihipStream_tbPNSt15iterator_traitsISE_E10value_typeEPNSK_ISF_E10value_typeEPSG_NS1_7vsmem_tEENKUlT_SE_SF_SG_E_clIS8_S8_S9_S9_EESD_ST_SE_SF_SG_EUlST_E1_NS1_11comp_targetILNS1_3genE5ELNS1_11target_archE942ELNS1_3gpuE9ELNS1_3repE0EEENS1_36merge_oddeven_config_static_selectorELNS0_4arch9wavefront6targetE1EEEvSF_
; %bb.0:
	.section	.rodata,"a",@progbits
	.p2align	6, 0x0
	.amdhsa_kernel _ZN7rocprim17ROCPRIM_400000_NS6detail17trampoline_kernelINS0_14default_configENS1_38merge_sort_block_merge_config_selectorIfNS0_10empty_typeEEEZZNS1_27merge_sort_block_merge_implIS3_PfPS5_jNS1_19radix_merge_compareILb1ELb0EfNS0_19identity_decomposerEEEEE10hipError_tT0_T1_T2_jT3_P12ihipStream_tbPNSt15iterator_traitsISE_E10value_typeEPNSK_ISF_E10value_typeEPSG_NS1_7vsmem_tEENKUlT_SE_SF_SG_E_clIS8_S8_S9_S9_EESD_ST_SE_SF_SG_EUlST_E1_NS1_11comp_targetILNS1_3genE5ELNS1_11target_archE942ELNS1_3gpuE9ELNS1_3repE0EEENS1_36merge_oddeven_config_static_selectorELNS0_4arch9wavefront6targetE1EEEvSF_
		.amdhsa_group_segment_fixed_size 0
		.amdhsa_private_segment_fixed_size 0
		.amdhsa_kernarg_size 48
		.amdhsa_user_sgpr_count 6
		.amdhsa_user_sgpr_private_segment_buffer 1
		.amdhsa_user_sgpr_dispatch_ptr 0
		.amdhsa_user_sgpr_queue_ptr 0
		.amdhsa_user_sgpr_kernarg_segment_ptr 1
		.amdhsa_user_sgpr_dispatch_id 0
		.amdhsa_user_sgpr_flat_scratch_init 0
		.amdhsa_user_sgpr_kernarg_preload_length 0
		.amdhsa_user_sgpr_kernarg_preload_offset 0
		.amdhsa_user_sgpr_private_segment_size 0
		.amdhsa_uses_dynamic_stack 0
		.amdhsa_system_sgpr_private_segment_wavefront_offset 0
		.amdhsa_system_sgpr_workgroup_id_x 1
		.amdhsa_system_sgpr_workgroup_id_y 0
		.amdhsa_system_sgpr_workgroup_id_z 0
		.amdhsa_system_sgpr_workgroup_info 0
		.amdhsa_system_vgpr_workitem_id 0
		.amdhsa_next_free_vgpr 1
		.amdhsa_next_free_sgpr 0
		.amdhsa_accum_offset 4
		.amdhsa_reserve_vcc 0
		.amdhsa_reserve_flat_scratch 0
		.amdhsa_float_round_mode_32 0
		.amdhsa_float_round_mode_16_64 0
		.amdhsa_float_denorm_mode_32 3
		.amdhsa_float_denorm_mode_16_64 3
		.amdhsa_dx10_clamp 1
		.amdhsa_ieee_mode 1
		.amdhsa_fp16_overflow 0
		.amdhsa_tg_split 0
		.amdhsa_exception_fp_ieee_invalid_op 0
		.amdhsa_exception_fp_denorm_src 0
		.amdhsa_exception_fp_ieee_div_zero 0
		.amdhsa_exception_fp_ieee_overflow 0
		.amdhsa_exception_fp_ieee_underflow 0
		.amdhsa_exception_fp_ieee_inexact 0
		.amdhsa_exception_int_div_zero 0
	.end_amdhsa_kernel
	.section	.text._ZN7rocprim17ROCPRIM_400000_NS6detail17trampoline_kernelINS0_14default_configENS1_38merge_sort_block_merge_config_selectorIfNS0_10empty_typeEEEZZNS1_27merge_sort_block_merge_implIS3_PfPS5_jNS1_19radix_merge_compareILb1ELb0EfNS0_19identity_decomposerEEEEE10hipError_tT0_T1_T2_jT3_P12ihipStream_tbPNSt15iterator_traitsISE_E10value_typeEPNSK_ISF_E10value_typeEPSG_NS1_7vsmem_tEENKUlT_SE_SF_SG_E_clIS8_S8_S9_S9_EESD_ST_SE_SF_SG_EUlST_E1_NS1_11comp_targetILNS1_3genE5ELNS1_11target_archE942ELNS1_3gpuE9ELNS1_3repE0EEENS1_36merge_oddeven_config_static_selectorELNS0_4arch9wavefront6targetE1EEEvSF_,"axG",@progbits,_ZN7rocprim17ROCPRIM_400000_NS6detail17trampoline_kernelINS0_14default_configENS1_38merge_sort_block_merge_config_selectorIfNS0_10empty_typeEEEZZNS1_27merge_sort_block_merge_implIS3_PfPS5_jNS1_19radix_merge_compareILb1ELb0EfNS0_19identity_decomposerEEEEE10hipError_tT0_T1_T2_jT3_P12ihipStream_tbPNSt15iterator_traitsISE_E10value_typeEPNSK_ISF_E10value_typeEPSG_NS1_7vsmem_tEENKUlT_SE_SF_SG_E_clIS8_S8_S9_S9_EESD_ST_SE_SF_SG_EUlST_E1_NS1_11comp_targetILNS1_3genE5ELNS1_11target_archE942ELNS1_3gpuE9ELNS1_3repE0EEENS1_36merge_oddeven_config_static_selectorELNS0_4arch9wavefront6targetE1EEEvSF_,comdat
.Lfunc_end2522:
	.size	_ZN7rocprim17ROCPRIM_400000_NS6detail17trampoline_kernelINS0_14default_configENS1_38merge_sort_block_merge_config_selectorIfNS0_10empty_typeEEEZZNS1_27merge_sort_block_merge_implIS3_PfPS5_jNS1_19radix_merge_compareILb1ELb0EfNS0_19identity_decomposerEEEEE10hipError_tT0_T1_T2_jT3_P12ihipStream_tbPNSt15iterator_traitsISE_E10value_typeEPNSK_ISF_E10value_typeEPSG_NS1_7vsmem_tEENKUlT_SE_SF_SG_E_clIS8_S8_S9_S9_EESD_ST_SE_SF_SG_EUlST_E1_NS1_11comp_targetILNS1_3genE5ELNS1_11target_archE942ELNS1_3gpuE9ELNS1_3repE0EEENS1_36merge_oddeven_config_static_selectorELNS0_4arch9wavefront6targetE1EEEvSF_, .Lfunc_end2522-_ZN7rocprim17ROCPRIM_400000_NS6detail17trampoline_kernelINS0_14default_configENS1_38merge_sort_block_merge_config_selectorIfNS0_10empty_typeEEEZZNS1_27merge_sort_block_merge_implIS3_PfPS5_jNS1_19radix_merge_compareILb1ELb0EfNS0_19identity_decomposerEEEEE10hipError_tT0_T1_T2_jT3_P12ihipStream_tbPNSt15iterator_traitsISE_E10value_typeEPNSK_ISF_E10value_typeEPSG_NS1_7vsmem_tEENKUlT_SE_SF_SG_E_clIS8_S8_S9_S9_EESD_ST_SE_SF_SG_EUlST_E1_NS1_11comp_targetILNS1_3genE5ELNS1_11target_archE942ELNS1_3gpuE9ELNS1_3repE0EEENS1_36merge_oddeven_config_static_selectorELNS0_4arch9wavefront6targetE1EEEvSF_
                                        ; -- End function
	.section	.AMDGPU.csdata,"",@progbits
; Kernel info:
; codeLenInByte = 0
; NumSgprs: 4
; NumVgprs: 0
; NumAgprs: 0
; TotalNumVgprs: 0
; ScratchSize: 0
; MemoryBound: 0
; FloatMode: 240
; IeeeMode: 1
; LDSByteSize: 0 bytes/workgroup (compile time only)
; SGPRBlocks: 0
; VGPRBlocks: 0
; NumSGPRsForWavesPerEU: 4
; NumVGPRsForWavesPerEU: 1
; AccumOffset: 4
; Occupancy: 8
; WaveLimiterHint : 0
; COMPUTE_PGM_RSRC2:SCRATCH_EN: 0
; COMPUTE_PGM_RSRC2:USER_SGPR: 6
; COMPUTE_PGM_RSRC2:TRAP_HANDLER: 0
; COMPUTE_PGM_RSRC2:TGID_X_EN: 1
; COMPUTE_PGM_RSRC2:TGID_Y_EN: 0
; COMPUTE_PGM_RSRC2:TGID_Z_EN: 0
; COMPUTE_PGM_RSRC2:TIDIG_COMP_CNT: 0
; COMPUTE_PGM_RSRC3_GFX90A:ACCUM_OFFSET: 0
; COMPUTE_PGM_RSRC3_GFX90A:TG_SPLIT: 0
	.section	.text._ZN7rocprim17ROCPRIM_400000_NS6detail17trampoline_kernelINS0_14default_configENS1_38merge_sort_block_merge_config_selectorIfNS0_10empty_typeEEEZZNS1_27merge_sort_block_merge_implIS3_PfPS5_jNS1_19radix_merge_compareILb1ELb0EfNS0_19identity_decomposerEEEEE10hipError_tT0_T1_T2_jT3_P12ihipStream_tbPNSt15iterator_traitsISE_E10value_typeEPNSK_ISF_E10value_typeEPSG_NS1_7vsmem_tEENKUlT_SE_SF_SG_E_clIS8_S8_S9_S9_EESD_ST_SE_SF_SG_EUlST_E1_NS1_11comp_targetILNS1_3genE4ELNS1_11target_archE910ELNS1_3gpuE8ELNS1_3repE0EEENS1_36merge_oddeven_config_static_selectorELNS0_4arch9wavefront6targetE1EEEvSF_,"axG",@progbits,_ZN7rocprim17ROCPRIM_400000_NS6detail17trampoline_kernelINS0_14default_configENS1_38merge_sort_block_merge_config_selectorIfNS0_10empty_typeEEEZZNS1_27merge_sort_block_merge_implIS3_PfPS5_jNS1_19radix_merge_compareILb1ELb0EfNS0_19identity_decomposerEEEEE10hipError_tT0_T1_T2_jT3_P12ihipStream_tbPNSt15iterator_traitsISE_E10value_typeEPNSK_ISF_E10value_typeEPSG_NS1_7vsmem_tEENKUlT_SE_SF_SG_E_clIS8_S8_S9_S9_EESD_ST_SE_SF_SG_EUlST_E1_NS1_11comp_targetILNS1_3genE4ELNS1_11target_archE910ELNS1_3gpuE8ELNS1_3repE0EEENS1_36merge_oddeven_config_static_selectorELNS0_4arch9wavefront6targetE1EEEvSF_,comdat
	.protected	_ZN7rocprim17ROCPRIM_400000_NS6detail17trampoline_kernelINS0_14default_configENS1_38merge_sort_block_merge_config_selectorIfNS0_10empty_typeEEEZZNS1_27merge_sort_block_merge_implIS3_PfPS5_jNS1_19radix_merge_compareILb1ELb0EfNS0_19identity_decomposerEEEEE10hipError_tT0_T1_T2_jT3_P12ihipStream_tbPNSt15iterator_traitsISE_E10value_typeEPNSK_ISF_E10value_typeEPSG_NS1_7vsmem_tEENKUlT_SE_SF_SG_E_clIS8_S8_S9_S9_EESD_ST_SE_SF_SG_EUlST_E1_NS1_11comp_targetILNS1_3genE4ELNS1_11target_archE910ELNS1_3gpuE8ELNS1_3repE0EEENS1_36merge_oddeven_config_static_selectorELNS0_4arch9wavefront6targetE1EEEvSF_ ; -- Begin function _ZN7rocprim17ROCPRIM_400000_NS6detail17trampoline_kernelINS0_14default_configENS1_38merge_sort_block_merge_config_selectorIfNS0_10empty_typeEEEZZNS1_27merge_sort_block_merge_implIS3_PfPS5_jNS1_19radix_merge_compareILb1ELb0EfNS0_19identity_decomposerEEEEE10hipError_tT0_T1_T2_jT3_P12ihipStream_tbPNSt15iterator_traitsISE_E10value_typeEPNSK_ISF_E10value_typeEPSG_NS1_7vsmem_tEENKUlT_SE_SF_SG_E_clIS8_S8_S9_S9_EESD_ST_SE_SF_SG_EUlST_E1_NS1_11comp_targetILNS1_3genE4ELNS1_11target_archE910ELNS1_3gpuE8ELNS1_3repE0EEENS1_36merge_oddeven_config_static_selectorELNS0_4arch9wavefront6targetE1EEEvSF_
	.globl	_ZN7rocprim17ROCPRIM_400000_NS6detail17trampoline_kernelINS0_14default_configENS1_38merge_sort_block_merge_config_selectorIfNS0_10empty_typeEEEZZNS1_27merge_sort_block_merge_implIS3_PfPS5_jNS1_19radix_merge_compareILb1ELb0EfNS0_19identity_decomposerEEEEE10hipError_tT0_T1_T2_jT3_P12ihipStream_tbPNSt15iterator_traitsISE_E10value_typeEPNSK_ISF_E10value_typeEPSG_NS1_7vsmem_tEENKUlT_SE_SF_SG_E_clIS8_S8_S9_S9_EESD_ST_SE_SF_SG_EUlST_E1_NS1_11comp_targetILNS1_3genE4ELNS1_11target_archE910ELNS1_3gpuE8ELNS1_3repE0EEENS1_36merge_oddeven_config_static_selectorELNS0_4arch9wavefront6targetE1EEEvSF_
	.p2align	8
	.type	_ZN7rocprim17ROCPRIM_400000_NS6detail17trampoline_kernelINS0_14default_configENS1_38merge_sort_block_merge_config_selectorIfNS0_10empty_typeEEEZZNS1_27merge_sort_block_merge_implIS3_PfPS5_jNS1_19radix_merge_compareILb1ELb0EfNS0_19identity_decomposerEEEEE10hipError_tT0_T1_T2_jT3_P12ihipStream_tbPNSt15iterator_traitsISE_E10value_typeEPNSK_ISF_E10value_typeEPSG_NS1_7vsmem_tEENKUlT_SE_SF_SG_E_clIS8_S8_S9_S9_EESD_ST_SE_SF_SG_EUlST_E1_NS1_11comp_targetILNS1_3genE4ELNS1_11target_archE910ELNS1_3gpuE8ELNS1_3repE0EEENS1_36merge_oddeven_config_static_selectorELNS0_4arch9wavefront6targetE1EEEvSF_,@function
_ZN7rocprim17ROCPRIM_400000_NS6detail17trampoline_kernelINS0_14default_configENS1_38merge_sort_block_merge_config_selectorIfNS0_10empty_typeEEEZZNS1_27merge_sort_block_merge_implIS3_PfPS5_jNS1_19radix_merge_compareILb1ELb0EfNS0_19identity_decomposerEEEEE10hipError_tT0_T1_T2_jT3_P12ihipStream_tbPNSt15iterator_traitsISE_E10value_typeEPNSK_ISF_E10value_typeEPSG_NS1_7vsmem_tEENKUlT_SE_SF_SG_E_clIS8_S8_S9_S9_EESD_ST_SE_SF_SG_EUlST_E1_NS1_11comp_targetILNS1_3genE4ELNS1_11target_archE910ELNS1_3gpuE8ELNS1_3repE0EEENS1_36merge_oddeven_config_static_selectorELNS0_4arch9wavefront6targetE1EEEvSF_: ; @_ZN7rocprim17ROCPRIM_400000_NS6detail17trampoline_kernelINS0_14default_configENS1_38merge_sort_block_merge_config_selectorIfNS0_10empty_typeEEEZZNS1_27merge_sort_block_merge_implIS3_PfPS5_jNS1_19radix_merge_compareILb1ELb0EfNS0_19identity_decomposerEEEEE10hipError_tT0_T1_T2_jT3_P12ihipStream_tbPNSt15iterator_traitsISE_E10value_typeEPNSK_ISF_E10value_typeEPSG_NS1_7vsmem_tEENKUlT_SE_SF_SG_E_clIS8_S8_S9_S9_EESD_ST_SE_SF_SG_EUlST_E1_NS1_11comp_targetILNS1_3genE4ELNS1_11target_archE910ELNS1_3gpuE8ELNS1_3repE0EEENS1_36merge_oddeven_config_static_selectorELNS0_4arch9wavefront6targetE1EEEvSF_
; %bb.0:
	s_load_dword s18, s[4:5], 0x20
	s_waitcnt lgkmcnt(0)
	s_lshr_b32 s0, s18, 8
	s_cmp_lg_u32 s6, s0
	s_cselect_b64 s[14:15], -1, 0
	s_cmp_eq_u32 s6, s0
	s_cselect_b64 s[12:13], -1, 0
	s_lshl_b32 s16, s6, 8
	s_sub_i32 s0, s18, s16
	v_cmp_gt_u32_e64 s[2:3], s0, v0
	s_or_b64 s[0:1], s[14:15], s[2:3]
	s_and_saveexec_b64 s[8:9], s[0:1]
	s_cbranch_execz .LBB2523_20
; %bb.1:
	s_load_dwordx4 s[8:11], s[4:5], 0x0
	s_load_dword s19, s[4:5], 0x24
	s_mov_b32 s17, 0
	s_lshl_b64 s[0:1], s[16:17], 2
	v_lshlrev_b32_e32 v1, 2, v0
	s_waitcnt lgkmcnt(0)
	s_add_u32 s0, s8, s0
	s_addc_u32 s1, s9, s1
	global_load_dword v2, v1, s[0:1]
	s_lshr_b32 s0, s19, 8
	s_sub_i32 s1, 0, s0
	s_and_b32 s1, s6, s1
	s_and_b32 s0, s1, s0
	s_lshl_b32 s20, s1, 8
	s_sub_i32 s6, 0, s19
	s_cmp_eq_u32 s0, 0
	s_cselect_b64 s[0:1], -1, 0
	s_and_b64 s[4:5], s[0:1], exec
	s_cselect_b32 s17, s19, s6
	s_add_i32 s17, s17, s20
	s_cmp_lt_u32 s17, s18
	v_add_u32_e32 v0, s16, v0
	s_cbranch_scc1 .LBB2523_3
; %bb.2:
	v_cmp_gt_u32_e32 vcc, s18, v0
	s_or_b64 s[4:5], vcc, s[14:15]
	s_and_b64 s[4:5], s[4:5], exec
	s_cbranch_execz .LBB2523_4
	s_branch .LBB2523_18
.LBB2523_3:
	s_mov_b64 s[4:5], 0
.LBB2523_4:
	s_min_u32 s14, s17, s18
	s_add_i32 s6, s14, s19
	s_min_u32 s15, s6, s18
	s_min_u32 s6, s20, s14
	s_add_i32 s20, s20, s14
	v_subrev_u32_e32 v0, s20, v0
	v_add_u32_e32 v3, s6, v0
	s_and_b64 vcc, exec, s[12:13]
	s_cbranch_vccz .LBB2523_12
; %bb.5:
                                        ; implicit-def: $vgpr0
	s_and_saveexec_b64 s[6:7], s[2:3]
	s_cbranch_execz .LBB2523_11
; %bb.6:
	s_cmp_ge_u32 s17, s15
	v_mov_b32_e32 v4, s14
	s_cbranch_scc1 .LBB2523_10
; %bb.7:
	s_waitcnt vmcnt(0)
	v_add_f32_e32 v0, 0, v2
	v_ashrrev_i32_e32 v1, 31, v0
	v_or_b32_e32 v1, 0x80000000, v1
	v_xor_b32_e32 v5, v1, v0
	s_mov_b64 s[2:3], 0
	v_mov_b32_e32 v6, s15
	v_mov_b32_e32 v4, s14
	;; [unrolled: 1-line block ×4, first 2 shown]
.LBB2523_8:                             ; =>This Inner Loop Header: Depth=1
	v_add_u32_e32 v0, v4, v6
	v_lshrrev_b32_e32 v0, 1, v0
	v_lshlrev_b64 v[8:9], 2, v[0:1]
	v_add_co_u32_e32 v8, vcc, s8, v8
	v_addc_co_u32_e32 v9, vcc, v7, v9, vcc
	global_load_dword v8, v[8:9], off
	v_add_u32_e32 v9, 1, v0
	s_waitcnt vmcnt(0)
	v_add_f32_e32 v8, 0, v8
	v_ashrrev_i32_e32 v10, 31, v8
	v_or_b32_e32 v10, 0x80000000, v10
	v_xor_b32_e32 v8, v10, v8
	v_cmp_gt_u32_e32 vcc, v8, v5
	v_cndmask_b32_e64 v10, 0, 1, vcc
	v_cmp_le_u32_e32 vcc, v5, v8
	v_cndmask_b32_e64 v8, 0, 1, vcc
	v_cndmask_b32_e64 v8, v8, v10, s[0:1]
	v_and_b32_e32 v8, 1, v8
	v_cmp_eq_u32_e32 vcc, 1, v8
	v_cndmask_b32_e32 v6, v0, v6, vcc
	v_cndmask_b32_e32 v4, v4, v9, vcc
	v_cmp_ge_u32_e32 vcc, v4, v6
	s_or_b64 s[2:3], vcc, s[2:3]
	s_andn2_b64 exec, exec, s[2:3]
	s_cbranch_execnz .LBB2523_8
; %bb.9:
	s_or_b64 exec, exec, s[2:3]
.LBB2523_10:
	v_add_u32_e32 v0, v4, v3
	s_or_b64 s[4:5], s[4:5], exec
.LBB2523_11:
	s_or_b64 exec, exec, s[6:7]
	s_branch .LBB2523_18
.LBB2523_12:
                                        ; implicit-def: $vgpr0
	s_cbranch_execz .LBB2523_18
; %bb.13:
	s_cmp_ge_u32 s17, s15
	v_mov_b32_e32 v4, s14
	s_cbranch_scc1 .LBB2523_17
; %bb.14:
	s_waitcnt vmcnt(0)
	v_add_f32_e32 v0, 0, v2
	v_ashrrev_i32_e32 v1, 31, v0
	v_or_b32_e32 v1, 0x80000000, v1
	v_xor_b32_e32 v5, v1, v0
	s_mov_b64 s[2:3], 0
	v_mov_b32_e32 v6, s15
	v_mov_b32_e32 v4, s14
	;; [unrolled: 1-line block ×4, first 2 shown]
.LBB2523_15:                            ; =>This Inner Loop Header: Depth=1
	v_add_u32_e32 v0, v4, v6
	v_lshrrev_b32_e32 v0, 1, v0
	v_lshlrev_b64 v[8:9], 2, v[0:1]
	v_add_co_u32_e32 v8, vcc, s8, v8
	v_addc_co_u32_e32 v9, vcc, v7, v9, vcc
	global_load_dword v8, v[8:9], off
	v_add_u32_e32 v9, 1, v0
	s_waitcnt vmcnt(0)
	v_add_f32_e32 v8, 0, v8
	v_ashrrev_i32_e32 v10, 31, v8
	v_or_b32_e32 v10, 0x80000000, v10
	v_xor_b32_e32 v8, v10, v8
	v_cmp_gt_u32_e32 vcc, v8, v5
	v_cndmask_b32_e64 v10, 0, 1, vcc
	v_cmp_le_u32_e32 vcc, v5, v8
	v_cndmask_b32_e64 v8, 0, 1, vcc
	v_cndmask_b32_e64 v8, v8, v10, s[0:1]
	v_and_b32_e32 v8, 1, v8
	v_cmp_eq_u32_e32 vcc, 1, v8
	v_cndmask_b32_e32 v6, v0, v6, vcc
	v_cndmask_b32_e32 v4, v4, v9, vcc
	v_cmp_ge_u32_e32 vcc, v4, v6
	s_or_b64 s[2:3], vcc, s[2:3]
	s_andn2_b64 exec, exec, s[2:3]
	s_cbranch_execnz .LBB2523_15
; %bb.16:
	s_or_b64 exec, exec, s[2:3]
.LBB2523_17:
	v_add_u32_e32 v0, v4, v3
	s_mov_b64 s[4:5], -1
.LBB2523_18:
	s_and_b64 exec, exec, s[4:5]
	s_cbranch_execz .LBB2523_20
; %bb.19:
	v_mov_b32_e32 v1, 0
	v_lshlrev_b64 v[0:1], 2, v[0:1]
	v_mov_b32_e32 v3, s11
	v_add_co_u32_e32 v0, vcc, s10, v0
	v_addc_co_u32_e32 v1, vcc, v3, v1, vcc
	s_waitcnt vmcnt(0)
	global_store_dword v[0:1], v2, off
.LBB2523_20:
	s_endpgm
	.section	.rodata,"a",@progbits
	.p2align	6, 0x0
	.amdhsa_kernel _ZN7rocprim17ROCPRIM_400000_NS6detail17trampoline_kernelINS0_14default_configENS1_38merge_sort_block_merge_config_selectorIfNS0_10empty_typeEEEZZNS1_27merge_sort_block_merge_implIS3_PfPS5_jNS1_19radix_merge_compareILb1ELb0EfNS0_19identity_decomposerEEEEE10hipError_tT0_T1_T2_jT3_P12ihipStream_tbPNSt15iterator_traitsISE_E10value_typeEPNSK_ISF_E10value_typeEPSG_NS1_7vsmem_tEENKUlT_SE_SF_SG_E_clIS8_S8_S9_S9_EESD_ST_SE_SF_SG_EUlST_E1_NS1_11comp_targetILNS1_3genE4ELNS1_11target_archE910ELNS1_3gpuE8ELNS1_3repE0EEENS1_36merge_oddeven_config_static_selectorELNS0_4arch9wavefront6targetE1EEEvSF_
		.amdhsa_group_segment_fixed_size 0
		.amdhsa_private_segment_fixed_size 0
		.amdhsa_kernarg_size 48
		.amdhsa_user_sgpr_count 6
		.amdhsa_user_sgpr_private_segment_buffer 1
		.amdhsa_user_sgpr_dispatch_ptr 0
		.amdhsa_user_sgpr_queue_ptr 0
		.amdhsa_user_sgpr_kernarg_segment_ptr 1
		.amdhsa_user_sgpr_dispatch_id 0
		.amdhsa_user_sgpr_flat_scratch_init 0
		.amdhsa_user_sgpr_kernarg_preload_length 0
		.amdhsa_user_sgpr_kernarg_preload_offset 0
		.amdhsa_user_sgpr_private_segment_size 0
		.amdhsa_uses_dynamic_stack 0
		.amdhsa_system_sgpr_private_segment_wavefront_offset 0
		.amdhsa_system_sgpr_workgroup_id_x 1
		.amdhsa_system_sgpr_workgroup_id_y 0
		.amdhsa_system_sgpr_workgroup_id_z 0
		.amdhsa_system_sgpr_workgroup_info 0
		.amdhsa_system_vgpr_workitem_id 0
		.amdhsa_next_free_vgpr 11
		.amdhsa_next_free_sgpr 21
		.amdhsa_accum_offset 12
		.amdhsa_reserve_vcc 1
		.amdhsa_reserve_flat_scratch 0
		.amdhsa_float_round_mode_32 0
		.amdhsa_float_round_mode_16_64 0
		.amdhsa_float_denorm_mode_32 3
		.amdhsa_float_denorm_mode_16_64 3
		.amdhsa_dx10_clamp 1
		.amdhsa_ieee_mode 1
		.amdhsa_fp16_overflow 0
		.amdhsa_tg_split 0
		.amdhsa_exception_fp_ieee_invalid_op 0
		.amdhsa_exception_fp_denorm_src 0
		.amdhsa_exception_fp_ieee_div_zero 0
		.amdhsa_exception_fp_ieee_overflow 0
		.amdhsa_exception_fp_ieee_underflow 0
		.amdhsa_exception_fp_ieee_inexact 0
		.amdhsa_exception_int_div_zero 0
	.end_amdhsa_kernel
	.section	.text._ZN7rocprim17ROCPRIM_400000_NS6detail17trampoline_kernelINS0_14default_configENS1_38merge_sort_block_merge_config_selectorIfNS0_10empty_typeEEEZZNS1_27merge_sort_block_merge_implIS3_PfPS5_jNS1_19radix_merge_compareILb1ELb0EfNS0_19identity_decomposerEEEEE10hipError_tT0_T1_T2_jT3_P12ihipStream_tbPNSt15iterator_traitsISE_E10value_typeEPNSK_ISF_E10value_typeEPSG_NS1_7vsmem_tEENKUlT_SE_SF_SG_E_clIS8_S8_S9_S9_EESD_ST_SE_SF_SG_EUlST_E1_NS1_11comp_targetILNS1_3genE4ELNS1_11target_archE910ELNS1_3gpuE8ELNS1_3repE0EEENS1_36merge_oddeven_config_static_selectorELNS0_4arch9wavefront6targetE1EEEvSF_,"axG",@progbits,_ZN7rocprim17ROCPRIM_400000_NS6detail17trampoline_kernelINS0_14default_configENS1_38merge_sort_block_merge_config_selectorIfNS0_10empty_typeEEEZZNS1_27merge_sort_block_merge_implIS3_PfPS5_jNS1_19radix_merge_compareILb1ELb0EfNS0_19identity_decomposerEEEEE10hipError_tT0_T1_T2_jT3_P12ihipStream_tbPNSt15iterator_traitsISE_E10value_typeEPNSK_ISF_E10value_typeEPSG_NS1_7vsmem_tEENKUlT_SE_SF_SG_E_clIS8_S8_S9_S9_EESD_ST_SE_SF_SG_EUlST_E1_NS1_11comp_targetILNS1_3genE4ELNS1_11target_archE910ELNS1_3gpuE8ELNS1_3repE0EEENS1_36merge_oddeven_config_static_selectorELNS0_4arch9wavefront6targetE1EEEvSF_,comdat
.Lfunc_end2523:
	.size	_ZN7rocprim17ROCPRIM_400000_NS6detail17trampoline_kernelINS0_14default_configENS1_38merge_sort_block_merge_config_selectorIfNS0_10empty_typeEEEZZNS1_27merge_sort_block_merge_implIS3_PfPS5_jNS1_19radix_merge_compareILb1ELb0EfNS0_19identity_decomposerEEEEE10hipError_tT0_T1_T2_jT3_P12ihipStream_tbPNSt15iterator_traitsISE_E10value_typeEPNSK_ISF_E10value_typeEPSG_NS1_7vsmem_tEENKUlT_SE_SF_SG_E_clIS8_S8_S9_S9_EESD_ST_SE_SF_SG_EUlST_E1_NS1_11comp_targetILNS1_3genE4ELNS1_11target_archE910ELNS1_3gpuE8ELNS1_3repE0EEENS1_36merge_oddeven_config_static_selectorELNS0_4arch9wavefront6targetE1EEEvSF_, .Lfunc_end2523-_ZN7rocprim17ROCPRIM_400000_NS6detail17trampoline_kernelINS0_14default_configENS1_38merge_sort_block_merge_config_selectorIfNS0_10empty_typeEEEZZNS1_27merge_sort_block_merge_implIS3_PfPS5_jNS1_19radix_merge_compareILb1ELb0EfNS0_19identity_decomposerEEEEE10hipError_tT0_T1_T2_jT3_P12ihipStream_tbPNSt15iterator_traitsISE_E10value_typeEPNSK_ISF_E10value_typeEPSG_NS1_7vsmem_tEENKUlT_SE_SF_SG_E_clIS8_S8_S9_S9_EESD_ST_SE_SF_SG_EUlST_E1_NS1_11comp_targetILNS1_3genE4ELNS1_11target_archE910ELNS1_3gpuE8ELNS1_3repE0EEENS1_36merge_oddeven_config_static_selectorELNS0_4arch9wavefront6targetE1EEEvSF_
                                        ; -- End function
	.section	.AMDGPU.csdata,"",@progbits
; Kernel info:
; codeLenInByte = 676
; NumSgprs: 25
; NumVgprs: 11
; NumAgprs: 0
; TotalNumVgprs: 11
; ScratchSize: 0
; MemoryBound: 0
; FloatMode: 240
; IeeeMode: 1
; LDSByteSize: 0 bytes/workgroup (compile time only)
; SGPRBlocks: 3
; VGPRBlocks: 1
; NumSGPRsForWavesPerEU: 25
; NumVGPRsForWavesPerEU: 11
; AccumOffset: 12
; Occupancy: 8
; WaveLimiterHint : 0
; COMPUTE_PGM_RSRC2:SCRATCH_EN: 0
; COMPUTE_PGM_RSRC2:USER_SGPR: 6
; COMPUTE_PGM_RSRC2:TRAP_HANDLER: 0
; COMPUTE_PGM_RSRC2:TGID_X_EN: 1
; COMPUTE_PGM_RSRC2:TGID_Y_EN: 0
; COMPUTE_PGM_RSRC2:TGID_Z_EN: 0
; COMPUTE_PGM_RSRC2:TIDIG_COMP_CNT: 0
; COMPUTE_PGM_RSRC3_GFX90A:ACCUM_OFFSET: 2
; COMPUTE_PGM_RSRC3_GFX90A:TG_SPLIT: 0
	.section	.text._ZN7rocprim17ROCPRIM_400000_NS6detail17trampoline_kernelINS0_14default_configENS1_38merge_sort_block_merge_config_selectorIfNS0_10empty_typeEEEZZNS1_27merge_sort_block_merge_implIS3_PfPS5_jNS1_19radix_merge_compareILb1ELb0EfNS0_19identity_decomposerEEEEE10hipError_tT0_T1_T2_jT3_P12ihipStream_tbPNSt15iterator_traitsISE_E10value_typeEPNSK_ISF_E10value_typeEPSG_NS1_7vsmem_tEENKUlT_SE_SF_SG_E_clIS8_S8_S9_S9_EESD_ST_SE_SF_SG_EUlST_E1_NS1_11comp_targetILNS1_3genE3ELNS1_11target_archE908ELNS1_3gpuE7ELNS1_3repE0EEENS1_36merge_oddeven_config_static_selectorELNS0_4arch9wavefront6targetE1EEEvSF_,"axG",@progbits,_ZN7rocprim17ROCPRIM_400000_NS6detail17trampoline_kernelINS0_14default_configENS1_38merge_sort_block_merge_config_selectorIfNS0_10empty_typeEEEZZNS1_27merge_sort_block_merge_implIS3_PfPS5_jNS1_19radix_merge_compareILb1ELb0EfNS0_19identity_decomposerEEEEE10hipError_tT0_T1_T2_jT3_P12ihipStream_tbPNSt15iterator_traitsISE_E10value_typeEPNSK_ISF_E10value_typeEPSG_NS1_7vsmem_tEENKUlT_SE_SF_SG_E_clIS8_S8_S9_S9_EESD_ST_SE_SF_SG_EUlST_E1_NS1_11comp_targetILNS1_3genE3ELNS1_11target_archE908ELNS1_3gpuE7ELNS1_3repE0EEENS1_36merge_oddeven_config_static_selectorELNS0_4arch9wavefront6targetE1EEEvSF_,comdat
	.protected	_ZN7rocprim17ROCPRIM_400000_NS6detail17trampoline_kernelINS0_14default_configENS1_38merge_sort_block_merge_config_selectorIfNS0_10empty_typeEEEZZNS1_27merge_sort_block_merge_implIS3_PfPS5_jNS1_19radix_merge_compareILb1ELb0EfNS0_19identity_decomposerEEEEE10hipError_tT0_T1_T2_jT3_P12ihipStream_tbPNSt15iterator_traitsISE_E10value_typeEPNSK_ISF_E10value_typeEPSG_NS1_7vsmem_tEENKUlT_SE_SF_SG_E_clIS8_S8_S9_S9_EESD_ST_SE_SF_SG_EUlST_E1_NS1_11comp_targetILNS1_3genE3ELNS1_11target_archE908ELNS1_3gpuE7ELNS1_3repE0EEENS1_36merge_oddeven_config_static_selectorELNS0_4arch9wavefront6targetE1EEEvSF_ ; -- Begin function _ZN7rocprim17ROCPRIM_400000_NS6detail17trampoline_kernelINS0_14default_configENS1_38merge_sort_block_merge_config_selectorIfNS0_10empty_typeEEEZZNS1_27merge_sort_block_merge_implIS3_PfPS5_jNS1_19radix_merge_compareILb1ELb0EfNS0_19identity_decomposerEEEEE10hipError_tT0_T1_T2_jT3_P12ihipStream_tbPNSt15iterator_traitsISE_E10value_typeEPNSK_ISF_E10value_typeEPSG_NS1_7vsmem_tEENKUlT_SE_SF_SG_E_clIS8_S8_S9_S9_EESD_ST_SE_SF_SG_EUlST_E1_NS1_11comp_targetILNS1_3genE3ELNS1_11target_archE908ELNS1_3gpuE7ELNS1_3repE0EEENS1_36merge_oddeven_config_static_selectorELNS0_4arch9wavefront6targetE1EEEvSF_
	.globl	_ZN7rocprim17ROCPRIM_400000_NS6detail17trampoline_kernelINS0_14default_configENS1_38merge_sort_block_merge_config_selectorIfNS0_10empty_typeEEEZZNS1_27merge_sort_block_merge_implIS3_PfPS5_jNS1_19radix_merge_compareILb1ELb0EfNS0_19identity_decomposerEEEEE10hipError_tT0_T1_T2_jT3_P12ihipStream_tbPNSt15iterator_traitsISE_E10value_typeEPNSK_ISF_E10value_typeEPSG_NS1_7vsmem_tEENKUlT_SE_SF_SG_E_clIS8_S8_S9_S9_EESD_ST_SE_SF_SG_EUlST_E1_NS1_11comp_targetILNS1_3genE3ELNS1_11target_archE908ELNS1_3gpuE7ELNS1_3repE0EEENS1_36merge_oddeven_config_static_selectorELNS0_4arch9wavefront6targetE1EEEvSF_
	.p2align	8
	.type	_ZN7rocprim17ROCPRIM_400000_NS6detail17trampoline_kernelINS0_14default_configENS1_38merge_sort_block_merge_config_selectorIfNS0_10empty_typeEEEZZNS1_27merge_sort_block_merge_implIS3_PfPS5_jNS1_19radix_merge_compareILb1ELb0EfNS0_19identity_decomposerEEEEE10hipError_tT0_T1_T2_jT3_P12ihipStream_tbPNSt15iterator_traitsISE_E10value_typeEPNSK_ISF_E10value_typeEPSG_NS1_7vsmem_tEENKUlT_SE_SF_SG_E_clIS8_S8_S9_S9_EESD_ST_SE_SF_SG_EUlST_E1_NS1_11comp_targetILNS1_3genE3ELNS1_11target_archE908ELNS1_3gpuE7ELNS1_3repE0EEENS1_36merge_oddeven_config_static_selectorELNS0_4arch9wavefront6targetE1EEEvSF_,@function
_ZN7rocprim17ROCPRIM_400000_NS6detail17trampoline_kernelINS0_14default_configENS1_38merge_sort_block_merge_config_selectorIfNS0_10empty_typeEEEZZNS1_27merge_sort_block_merge_implIS3_PfPS5_jNS1_19radix_merge_compareILb1ELb0EfNS0_19identity_decomposerEEEEE10hipError_tT0_T1_T2_jT3_P12ihipStream_tbPNSt15iterator_traitsISE_E10value_typeEPNSK_ISF_E10value_typeEPSG_NS1_7vsmem_tEENKUlT_SE_SF_SG_E_clIS8_S8_S9_S9_EESD_ST_SE_SF_SG_EUlST_E1_NS1_11comp_targetILNS1_3genE3ELNS1_11target_archE908ELNS1_3gpuE7ELNS1_3repE0EEENS1_36merge_oddeven_config_static_selectorELNS0_4arch9wavefront6targetE1EEEvSF_: ; @_ZN7rocprim17ROCPRIM_400000_NS6detail17trampoline_kernelINS0_14default_configENS1_38merge_sort_block_merge_config_selectorIfNS0_10empty_typeEEEZZNS1_27merge_sort_block_merge_implIS3_PfPS5_jNS1_19radix_merge_compareILb1ELb0EfNS0_19identity_decomposerEEEEE10hipError_tT0_T1_T2_jT3_P12ihipStream_tbPNSt15iterator_traitsISE_E10value_typeEPNSK_ISF_E10value_typeEPSG_NS1_7vsmem_tEENKUlT_SE_SF_SG_E_clIS8_S8_S9_S9_EESD_ST_SE_SF_SG_EUlST_E1_NS1_11comp_targetILNS1_3genE3ELNS1_11target_archE908ELNS1_3gpuE7ELNS1_3repE0EEENS1_36merge_oddeven_config_static_selectorELNS0_4arch9wavefront6targetE1EEEvSF_
; %bb.0:
	.section	.rodata,"a",@progbits
	.p2align	6, 0x0
	.amdhsa_kernel _ZN7rocprim17ROCPRIM_400000_NS6detail17trampoline_kernelINS0_14default_configENS1_38merge_sort_block_merge_config_selectorIfNS0_10empty_typeEEEZZNS1_27merge_sort_block_merge_implIS3_PfPS5_jNS1_19radix_merge_compareILb1ELb0EfNS0_19identity_decomposerEEEEE10hipError_tT0_T1_T2_jT3_P12ihipStream_tbPNSt15iterator_traitsISE_E10value_typeEPNSK_ISF_E10value_typeEPSG_NS1_7vsmem_tEENKUlT_SE_SF_SG_E_clIS8_S8_S9_S9_EESD_ST_SE_SF_SG_EUlST_E1_NS1_11comp_targetILNS1_3genE3ELNS1_11target_archE908ELNS1_3gpuE7ELNS1_3repE0EEENS1_36merge_oddeven_config_static_selectorELNS0_4arch9wavefront6targetE1EEEvSF_
		.amdhsa_group_segment_fixed_size 0
		.amdhsa_private_segment_fixed_size 0
		.amdhsa_kernarg_size 48
		.amdhsa_user_sgpr_count 6
		.amdhsa_user_sgpr_private_segment_buffer 1
		.amdhsa_user_sgpr_dispatch_ptr 0
		.amdhsa_user_sgpr_queue_ptr 0
		.amdhsa_user_sgpr_kernarg_segment_ptr 1
		.amdhsa_user_sgpr_dispatch_id 0
		.amdhsa_user_sgpr_flat_scratch_init 0
		.amdhsa_user_sgpr_kernarg_preload_length 0
		.amdhsa_user_sgpr_kernarg_preload_offset 0
		.amdhsa_user_sgpr_private_segment_size 0
		.amdhsa_uses_dynamic_stack 0
		.amdhsa_system_sgpr_private_segment_wavefront_offset 0
		.amdhsa_system_sgpr_workgroup_id_x 1
		.amdhsa_system_sgpr_workgroup_id_y 0
		.amdhsa_system_sgpr_workgroup_id_z 0
		.amdhsa_system_sgpr_workgroup_info 0
		.amdhsa_system_vgpr_workitem_id 0
		.amdhsa_next_free_vgpr 1
		.amdhsa_next_free_sgpr 0
		.amdhsa_accum_offset 4
		.amdhsa_reserve_vcc 0
		.amdhsa_reserve_flat_scratch 0
		.amdhsa_float_round_mode_32 0
		.amdhsa_float_round_mode_16_64 0
		.amdhsa_float_denorm_mode_32 3
		.amdhsa_float_denorm_mode_16_64 3
		.amdhsa_dx10_clamp 1
		.amdhsa_ieee_mode 1
		.amdhsa_fp16_overflow 0
		.amdhsa_tg_split 0
		.amdhsa_exception_fp_ieee_invalid_op 0
		.amdhsa_exception_fp_denorm_src 0
		.amdhsa_exception_fp_ieee_div_zero 0
		.amdhsa_exception_fp_ieee_overflow 0
		.amdhsa_exception_fp_ieee_underflow 0
		.amdhsa_exception_fp_ieee_inexact 0
		.amdhsa_exception_int_div_zero 0
	.end_amdhsa_kernel
	.section	.text._ZN7rocprim17ROCPRIM_400000_NS6detail17trampoline_kernelINS0_14default_configENS1_38merge_sort_block_merge_config_selectorIfNS0_10empty_typeEEEZZNS1_27merge_sort_block_merge_implIS3_PfPS5_jNS1_19radix_merge_compareILb1ELb0EfNS0_19identity_decomposerEEEEE10hipError_tT0_T1_T2_jT3_P12ihipStream_tbPNSt15iterator_traitsISE_E10value_typeEPNSK_ISF_E10value_typeEPSG_NS1_7vsmem_tEENKUlT_SE_SF_SG_E_clIS8_S8_S9_S9_EESD_ST_SE_SF_SG_EUlST_E1_NS1_11comp_targetILNS1_3genE3ELNS1_11target_archE908ELNS1_3gpuE7ELNS1_3repE0EEENS1_36merge_oddeven_config_static_selectorELNS0_4arch9wavefront6targetE1EEEvSF_,"axG",@progbits,_ZN7rocprim17ROCPRIM_400000_NS6detail17trampoline_kernelINS0_14default_configENS1_38merge_sort_block_merge_config_selectorIfNS0_10empty_typeEEEZZNS1_27merge_sort_block_merge_implIS3_PfPS5_jNS1_19radix_merge_compareILb1ELb0EfNS0_19identity_decomposerEEEEE10hipError_tT0_T1_T2_jT3_P12ihipStream_tbPNSt15iterator_traitsISE_E10value_typeEPNSK_ISF_E10value_typeEPSG_NS1_7vsmem_tEENKUlT_SE_SF_SG_E_clIS8_S8_S9_S9_EESD_ST_SE_SF_SG_EUlST_E1_NS1_11comp_targetILNS1_3genE3ELNS1_11target_archE908ELNS1_3gpuE7ELNS1_3repE0EEENS1_36merge_oddeven_config_static_selectorELNS0_4arch9wavefront6targetE1EEEvSF_,comdat
.Lfunc_end2524:
	.size	_ZN7rocprim17ROCPRIM_400000_NS6detail17trampoline_kernelINS0_14default_configENS1_38merge_sort_block_merge_config_selectorIfNS0_10empty_typeEEEZZNS1_27merge_sort_block_merge_implIS3_PfPS5_jNS1_19radix_merge_compareILb1ELb0EfNS0_19identity_decomposerEEEEE10hipError_tT0_T1_T2_jT3_P12ihipStream_tbPNSt15iterator_traitsISE_E10value_typeEPNSK_ISF_E10value_typeEPSG_NS1_7vsmem_tEENKUlT_SE_SF_SG_E_clIS8_S8_S9_S9_EESD_ST_SE_SF_SG_EUlST_E1_NS1_11comp_targetILNS1_3genE3ELNS1_11target_archE908ELNS1_3gpuE7ELNS1_3repE0EEENS1_36merge_oddeven_config_static_selectorELNS0_4arch9wavefront6targetE1EEEvSF_, .Lfunc_end2524-_ZN7rocprim17ROCPRIM_400000_NS6detail17trampoline_kernelINS0_14default_configENS1_38merge_sort_block_merge_config_selectorIfNS0_10empty_typeEEEZZNS1_27merge_sort_block_merge_implIS3_PfPS5_jNS1_19radix_merge_compareILb1ELb0EfNS0_19identity_decomposerEEEEE10hipError_tT0_T1_T2_jT3_P12ihipStream_tbPNSt15iterator_traitsISE_E10value_typeEPNSK_ISF_E10value_typeEPSG_NS1_7vsmem_tEENKUlT_SE_SF_SG_E_clIS8_S8_S9_S9_EESD_ST_SE_SF_SG_EUlST_E1_NS1_11comp_targetILNS1_3genE3ELNS1_11target_archE908ELNS1_3gpuE7ELNS1_3repE0EEENS1_36merge_oddeven_config_static_selectorELNS0_4arch9wavefront6targetE1EEEvSF_
                                        ; -- End function
	.section	.AMDGPU.csdata,"",@progbits
; Kernel info:
; codeLenInByte = 0
; NumSgprs: 4
; NumVgprs: 0
; NumAgprs: 0
; TotalNumVgprs: 0
; ScratchSize: 0
; MemoryBound: 0
; FloatMode: 240
; IeeeMode: 1
; LDSByteSize: 0 bytes/workgroup (compile time only)
; SGPRBlocks: 0
; VGPRBlocks: 0
; NumSGPRsForWavesPerEU: 4
; NumVGPRsForWavesPerEU: 1
; AccumOffset: 4
; Occupancy: 8
; WaveLimiterHint : 0
; COMPUTE_PGM_RSRC2:SCRATCH_EN: 0
; COMPUTE_PGM_RSRC2:USER_SGPR: 6
; COMPUTE_PGM_RSRC2:TRAP_HANDLER: 0
; COMPUTE_PGM_RSRC2:TGID_X_EN: 1
; COMPUTE_PGM_RSRC2:TGID_Y_EN: 0
; COMPUTE_PGM_RSRC2:TGID_Z_EN: 0
; COMPUTE_PGM_RSRC2:TIDIG_COMP_CNT: 0
; COMPUTE_PGM_RSRC3_GFX90A:ACCUM_OFFSET: 0
; COMPUTE_PGM_RSRC3_GFX90A:TG_SPLIT: 0
	.section	.text._ZN7rocprim17ROCPRIM_400000_NS6detail17trampoline_kernelINS0_14default_configENS1_38merge_sort_block_merge_config_selectorIfNS0_10empty_typeEEEZZNS1_27merge_sort_block_merge_implIS3_PfPS5_jNS1_19radix_merge_compareILb1ELb0EfNS0_19identity_decomposerEEEEE10hipError_tT0_T1_T2_jT3_P12ihipStream_tbPNSt15iterator_traitsISE_E10value_typeEPNSK_ISF_E10value_typeEPSG_NS1_7vsmem_tEENKUlT_SE_SF_SG_E_clIS8_S8_S9_S9_EESD_ST_SE_SF_SG_EUlST_E1_NS1_11comp_targetILNS1_3genE2ELNS1_11target_archE906ELNS1_3gpuE6ELNS1_3repE0EEENS1_36merge_oddeven_config_static_selectorELNS0_4arch9wavefront6targetE1EEEvSF_,"axG",@progbits,_ZN7rocprim17ROCPRIM_400000_NS6detail17trampoline_kernelINS0_14default_configENS1_38merge_sort_block_merge_config_selectorIfNS0_10empty_typeEEEZZNS1_27merge_sort_block_merge_implIS3_PfPS5_jNS1_19radix_merge_compareILb1ELb0EfNS0_19identity_decomposerEEEEE10hipError_tT0_T1_T2_jT3_P12ihipStream_tbPNSt15iterator_traitsISE_E10value_typeEPNSK_ISF_E10value_typeEPSG_NS1_7vsmem_tEENKUlT_SE_SF_SG_E_clIS8_S8_S9_S9_EESD_ST_SE_SF_SG_EUlST_E1_NS1_11comp_targetILNS1_3genE2ELNS1_11target_archE906ELNS1_3gpuE6ELNS1_3repE0EEENS1_36merge_oddeven_config_static_selectorELNS0_4arch9wavefront6targetE1EEEvSF_,comdat
	.protected	_ZN7rocprim17ROCPRIM_400000_NS6detail17trampoline_kernelINS0_14default_configENS1_38merge_sort_block_merge_config_selectorIfNS0_10empty_typeEEEZZNS1_27merge_sort_block_merge_implIS3_PfPS5_jNS1_19radix_merge_compareILb1ELb0EfNS0_19identity_decomposerEEEEE10hipError_tT0_T1_T2_jT3_P12ihipStream_tbPNSt15iterator_traitsISE_E10value_typeEPNSK_ISF_E10value_typeEPSG_NS1_7vsmem_tEENKUlT_SE_SF_SG_E_clIS8_S8_S9_S9_EESD_ST_SE_SF_SG_EUlST_E1_NS1_11comp_targetILNS1_3genE2ELNS1_11target_archE906ELNS1_3gpuE6ELNS1_3repE0EEENS1_36merge_oddeven_config_static_selectorELNS0_4arch9wavefront6targetE1EEEvSF_ ; -- Begin function _ZN7rocprim17ROCPRIM_400000_NS6detail17trampoline_kernelINS0_14default_configENS1_38merge_sort_block_merge_config_selectorIfNS0_10empty_typeEEEZZNS1_27merge_sort_block_merge_implIS3_PfPS5_jNS1_19radix_merge_compareILb1ELb0EfNS0_19identity_decomposerEEEEE10hipError_tT0_T1_T2_jT3_P12ihipStream_tbPNSt15iterator_traitsISE_E10value_typeEPNSK_ISF_E10value_typeEPSG_NS1_7vsmem_tEENKUlT_SE_SF_SG_E_clIS8_S8_S9_S9_EESD_ST_SE_SF_SG_EUlST_E1_NS1_11comp_targetILNS1_3genE2ELNS1_11target_archE906ELNS1_3gpuE6ELNS1_3repE0EEENS1_36merge_oddeven_config_static_selectorELNS0_4arch9wavefront6targetE1EEEvSF_
	.globl	_ZN7rocprim17ROCPRIM_400000_NS6detail17trampoline_kernelINS0_14default_configENS1_38merge_sort_block_merge_config_selectorIfNS0_10empty_typeEEEZZNS1_27merge_sort_block_merge_implIS3_PfPS5_jNS1_19radix_merge_compareILb1ELb0EfNS0_19identity_decomposerEEEEE10hipError_tT0_T1_T2_jT3_P12ihipStream_tbPNSt15iterator_traitsISE_E10value_typeEPNSK_ISF_E10value_typeEPSG_NS1_7vsmem_tEENKUlT_SE_SF_SG_E_clIS8_S8_S9_S9_EESD_ST_SE_SF_SG_EUlST_E1_NS1_11comp_targetILNS1_3genE2ELNS1_11target_archE906ELNS1_3gpuE6ELNS1_3repE0EEENS1_36merge_oddeven_config_static_selectorELNS0_4arch9wavefront6targetE1EEEvSF_
	.p2align	8
	.type	_ZN7rocprim17ROCPRIM_400000_NS6detail17trampoline_kernelINS0_14default_configENS1_38merge_sort_block_merge_config_selectorIfNS0_10empty_typeEEEZZNS1_27merge_sort_block_merge_implIS3_PfPS5_jNS1_19radix_merge_compareILb1ELb0EfNS0_19identity_decomposerEEEEE10hipError_tT0_T1_T2_jT3_P12ihipStream_tbPNSt15iterator_traitsISE_E10value_typeEPNSK_ISF_E10value_typeEPSG_NS1_7vsmem_tEENKUlT_SE_SF_SG_E_clIS8_S8_S9_S9_EESD_ST_SE_SF_SG_EUlST_E1_NS1_11comp_targetILNS1_3genE2ELNS1_11target_archE906ELNS1_3gpuE6ELNS1_3repE0EEENS1_36merge_oddeven_config_static_selectorELNS0_4arch9wavefront6targetE1EEEvSF_,@function
_ZN7rocprim17ROCPRIM_400000_NS6detail17trampoline_kernelINS0_14default_configENS1_38merge_sort_block_merge_config_selectorIfNS0_10empty_typeEEEZZNS1_27merge_sort_block_merge_implIS3_PfPS5_jNS1_19radix_merge_compareILb1ELb0EfNS0_19identity_decomposerEEEEE10hipError_tT0_T1_T2_jT3_P12ihipStream_tbPNSt15iterator_traitsISE_E10value_typeEPNSK_ISF_E10value_typeEPSG_NS1_7vsmem_tEENKUlT_SE_SF_SG_E_clIS8_S8_S9_S9_EESD_ST_SE_SF_SG_EUlST_E1_NS1_11comp_targetILNS1_3genE2ELNS1_11target_archE906ELNS1_3gpuE6ELNS1_3repE0EEENS1_36merge_oddeven_config_static_selectorELNS0_4arch9wavefront6targetE1EEEvSF_: ; @_ZN7rocprim17ROCPRIM_400000_NS6detail17trampoline_kernelINS0_14default_configENS1_38merge_sort_block_merge_config_selectorIfNS0_10empty_typeEEEZZNS1_27merge_sort_block_merge_implIS3_PfPS5_jNS1_19radix_merge_compareILb1ELb0EfNS0_19identity_decomposerEEEEE10hipError_tT0_T1_T2_jT3_P12ihipStream_tbPNSt15iterator_traitsISE_E10value_typeEPNSK_ISF_E10value_typeEPSG_NS1_7vsmem_tEENKUlT_SE_SF_SG_E_clIS8_S8_S9_S9_EESD_ST_SE_SF_SG_EUlST_E1_NS1_11comp_targetILNS1_3genE2ELNS1_11target_archE906ELNS1_3gpuE6ELNS1_3repE0EEENS1_36merge_oddeven_config_static_selectorELNS0_4arch9wavefront6targetE1EEEvSF_
; %bb.0:
	.section	.rodata,"a",@progbits
	.p2align	6, 0x0
	.amdhsa_kernel _ZN7rocprim17ROCPRIM_400000_NS6detail17trampoline_kernelINS0_14default_configENS1_38merge_sort_block_merge_config_selectorIfNS0_10empty_typeEEEZZNS1_27merge_sort_block_merge_implIS3_PfPS5_jNS1_19radix_merge_compareILb1ELb0EfNS0_19identity_decomposerEEEEE10hipError_tT0_T1_T2_jT3_P12ihipStream_tbPNSt15iterator_traitsISE_E10value_typeEPNSK_ISF_E10value_typeEPSG_NS1_7vsmem_tEENKUlT_SE_SF_SG_E_clIS8_S8_S9_S9_EESD_ST_SE_SF_SG_EUlST_E1_NS1_11comp_targetILNS1_3genE2ELNS1_11target_archE906ELNS1_3gpuE6ELNS1_3repE0EEENS1_36merge_oddeven_config_static_selectorELNS0_4arch9wavefront6targetE1EEEvSF_
		.amdhsa_group_segment_fixed_size 0
		.amdhsa_private_segment_fixed_size 0
		.amdhsa_kernarg_size 48
		.amdhsa_user_sgpr_count 6
		.amdhsa_user_sgpr_private_segment_buffer 1
		.amdhsa_user_sgpr_dispatch_ptr 0
		.amdhsa_user_sgpr_queue_ptr 0
		.amdhsa_user_sgpr_kernarg_segment_ptr 1
		.amdhsa_user_sgpr_dispatch_id 0
		.amdhsa_user_sgpr_flat_scratch_init 0
		.amdhsa_user_sgpr_kernarg_preload_length 0
		.amdhsa_user_sgpr_kernarg_preload_offset 0
		.amdhsa_user_sgpr_private_segment_size 0
		.amdhsa_uses_dynamic_stack 0
		.amdhsa_system_sgpr_private_segment_wavefront_offset 0
		.amdhsa_system_sgpr_workgroup_id_x 1
		.amdhsa_system_sgpr_workgroup_id_y 0
		.amdhsa_system_sgpr_workgroup_id_z 0
		.amdhsa_system_sgpr_workgroup_info 0
		.amdhsa_system_vgpr_workitem_id 0
		.amdhsa_next_free_vgpr 1
		.amdhsa_next_free_sgpr 0
		.amdhsa_accum_offset 4
		.amdhsa_reserve_vcc 0
		.amdhsa_reserve_flat_scratch 0
		.amdhsa_float_round_mode_32 0
		.amdhsa_float_round_mode_16_64 0
		.amdhsa_float_denorm_mode_32 3
		.amdhsa_float_denorm_mode_16_64 3
		.amdhsa_dx10_clamp 1
		.amdhsa_ieee_mode 1
		.amdhsa_fp16_overflow 0
		.amdhsa_tg_split 0
		.amdhsa_exception_fp_ieee_invalid_op 0
		.amdhsa_exception_fp_denorm_src 0
		.amdhsa_exception_fp_ieee_div_zero 0
		.amdhsa_exception_fp_ieee_overflow 0
		.amdhsa_exception_fp_ieee_underflow 0
		.amdhsa_exception_fp_ieee_inexact 0
		.amdhsa_exception_int_div_zero 0
	.end_amdhsa_kernel
	.section	.text._ZN7rocprim17ROCPRIM_400000_NS6detail17trampoline_kernelINS0_14default_configENS1_38merge_sort_block_merge_config_selectorIfNS0_10empty_typeEEEZZNS1_27merge_sort_block_merge_implIS3_PfPS5_jNS1_19radix_merge_compareILb1ELb0EfNS0_19identity_decomposerEEEEE10hipError_tT0_T1_T2_jT3_P12ihipStream_tbPNSt15iterator_traitsISE_E10value_typeEPNSK_ISF_E10value_typeEPSG_NS1_7vsmem_tEENKUlT_SE_SF_SG_E_clIS8_S8_S9_S9_EESD_ST_SE_SF_SG_EUlST_E1_NS1_11comp_targetILNS1_3genE2ELNS1_11target_archE906ELNS1_3gpuE6ELNS1_3repE0EEENS1_36merge_oddeven_config_static_selectorELNS0_4arch9wavefront6targetE1EEEvSF_,"axG",@progbits,_ZN7rocprim17ROCPRIM_400000_NS6detail17trampoline_kernelINS0_14default_configENS1_38merge_sort_block_merge_config_selectorIfNS0_10empty_typeEEEZZNS1_27merge_sort_block_merge_implIS3_PfPS5_jNS1_19radix_merge_compareILb1ELb0EfNS0_19identity_decomposerEEEEE10hipError_tT0_T1_T2_jT3_P12ihipStream_tbPNSt15iterator_traitsISE_E10value_typeEPNSK_ISF_E10value_typeEPSG_NS1_7vsmem_tEENKUlT_SE_SF_SG_E_clIS8_S8_S9_S9_EESD_ST_SE_SF_SG_EUlST_E1_NS1_11comp_targetILNS1_3genE2ELNS1_11target_archE906ELNS1_3gpuE6ELNS1_3repE0EEENS1_36merge_oddeven_config_static_selectorELNS0_4arch9wavefront6targetE1EEEvSF_,comdat
.Lfunc_end2525:
	.size	_ZN7rocprim17ROCPRIM_400000_NS6detail17trampoline_kernelINS0_14default_configENS1_38merge_sort_block_merge_config_selectorIfNS0_10empty_typeEEEZZNS1_27merge_sort_block_merge_implIS3_PfPS5_jNS1_19radix_merge_compareILb1ELb0EfNS0_19identity_decomposerEEEEE10hipError_tT0_T1_T2_jT3_P12ihipStream_tbPNSt15iterator_traitsISE_E10value_typeEPNSK_ISF_E10value_typeEPSG_NS1_7vsmem_tEENKUlT_SE_SF_SG_E_clIS8_S8_S9_S9_EESD_ST_SE_SF_SG_EUlST_E1_NS1_11comp_targetILNS1_3genE2ELNS1_11target_archE906ELNS1_3gpuE6ELNS1_3repE0EEENS1_36merge_oddeven_config_static_selectorELNS0_4arch9wavefront6targetE1EEEvSF_, .Lfunc_end2525-_ZN7rocprim17ROCPRIM_400000_NS6detail17trampoline_kernelINS0_14default_configENS1_38merge_sort_block_merge_config_selectorIfNS0_10empty_typeEEEZZNS1_27merge_sort_block_merge_implIS3_PfPS5_jNS1_19radix_merge_compareILb1ELb0EfNS0_19identity_decomposerEEEEE10hipError_tT0_T1_T2_jT3_P12ihipStream_tbPNSt15iterator_traitsISE_E10value_typeEPNSK_ISF_E10value_typeEPSG_NS1_7vsmem_tEENKUlT_SE_SF_SG_E_clIS8_S8_S9_S9_EESD_ST_SE_SF_SG_EUlST_E1_NS1_11comp_targetILNS1_3genE2ELNS1_11target_archE906ELNS1_3gpuE6ELNS1_3repE0EEENS1_36merge_oddeven_config_static_selectorELNS0_4arch9wavefront6targetE1EEEvSF_
                                        ; -- End function
	.section	.AMDGPU.csdata,"",@progbits
; Kernel info:
; codeLenInByte = 0
; NumSgprs: 4
; NumVgprs: 0
; NumAgprs: 0
; TotalNumVgprs: 0
; ScratchSize: 0
; MemoryBound: 0
; FloatMode: 240
; IeeeMode: 1
; LDSByteSize: 0 bytes/workgroup (compile time only)
; SGPRBlocks: 0
; VGPRBlocks: 0
; NumSGPRsForWavesPerEU: 4
; NumVGPRsForWavesPerEU: 1
; AccumOffset: 4
; Occupancy: 8
; WaveLimiterHint : 0
; COMPUTE_PGM_RSRC2:SCRATCH_EN: 0
; COMPUTE_PGM_RSRC2:USER_SGPR: 6
; COMPUTE_PGM_RSRC2:TRAP_HANDLER: 0
; COMPUTE_PGM_RSRC2:TGID_X_EN: 1
; COMPUTE_PGM_RSRC2:TGID_Y_EN: 0
; COMPUTE_PGM_RSRC2:TGID_Z_EN: 0
; COMPUTE_PGM_RSRC2:TIDIG_COMP_CNT: 0
; COMPUTE_PGM_RSRC3_GFX90A:ACCUM_OFFSET: 0
; COMPUTE_PGM_RSRC3_GFX90A:TG_SPLIT: 0
	.section	.text._ZN7rocprim17ROCPRIM_400000_NS6detail17trampoline_kernelINS0_14default_configENS1_38merge_sort_block_merge_config_selectorIfNS0_10empty_typeEEEZZNS1_27merge_sort_block_merge_implIS3_PfPS5_jNS1_19radix_merge_compareILb1ELb0EfNS0_19identity_decomposerEEEEE10hipError_tT0_T1_T2_jT3_P12ihipStream_tbPNSt15iterator_traitsISE_E10value_typeEPNSK_ISF_E10value_typeEPSG_NS1_7vsmem_tEENKUlT_SE_SF_SG_E_clIS8_S8_S9_S9_EESD_ST_SE_SF_SG_EUlST_E1_NS1_11comp_targetILNS1_3genE9ELNS1_11target_archE1100ELNS1_3gpuE3ELNS1_3repE0EEENS1_36merge_oddeven_config_static_selectorELNS0_4arch9wavefront6targetE1EEEvSF_,"axG",@progbits,_ZN7rocprim17ROCPRIM_400000_NS6detail17trampoline_kernelINS0_14default_configENS1_38merge_sort_block_merge_config_selectorIfNS0_10empty_typeEEEZZNS1_27merge_sort_block_merge_implIS3_PfPS5_jNS1_19radix_merge_compareILb1ELb0EfNS0_19identity_decomposerEEEEE10hipError_tT0_T1_T2_jT3_P12ihipStream_tbPNSt15iterator_traitsISE_E10value_typeEPNSK_ISF_E10value_typeEPSG_NS1_7vsmem_tEENKUlT_SE_SF_SG_E_clIS8_S8_S9_S9_EESD_ST_SE_SF_SG_EUlST_E1_NS1_11comp_targetILNS1_3genE9ELNS1_11target_archE1100ELNS1_3gpuE3ELNS1_3repE0EEENS1_36merge_oddeven_config_static_selectorELNS0_4arch9wavefront6targetE1EEEvSF_,comdat
	.protected	_ZN7rocprim17ROCPRIM_400000_NS6detail17trampoline_kernelINS0_14default_configENS1_38merge_sort_block_merge_config_selectorIfNS0_10empty_typeEEEZZNS1_27merge_sort_block_merge_implIS3_PfPS5_jNS1_19radix_merge_compareILb1ELb0EfNS0_19identity_decomposerEEEEE10hipError_tT0_T1_T2_jT3_P12ihipStream_tbPNSt15iterator_traitsISE_E10value_typeEPNSK_ISF_E10value_typeEPSG_NS1_7vsmem_tEENKUlT_SE_SF_SG_E_clIS8_S8_S9_S9_EESD_ST_SE_SF_SG_EUlST_E1_NS1_11comp_targetILNS1_3genE9ELNS1_11target_archE1100ELNS1_3gpuE3ELNS1_3repE0EEENS1_36merge_oddeven_config_static_selectorELNS0_4arch9wavefront6targetE1EEEvSF_ ; -- Begin function _ZN7rocprim17ROCPRIM_400000_NS6detail17trampoline_kernelINS0_14default_configENS1_38merge_sort_block_merge_config_selectorIfNS0_10empty_typeEEEZZNS1_27merge_sort_block_merge_implIS3_PfPS5_jNS1_19radix_merge_compareILb1ELb0EfNS0_19identity_decomposerEEEEE10hipError_tT0_T1_T2_jT3_P12ihipStream_tbPNSt15iterator_traitsISE_E10value_typeEPNSK_ISF_E10value_typeEPSG_NS1_7vsmem_tEENKUlT_SE_SF_SG_E_clIS8_S8_S9_S9_EESD_ST_SE_SF_SG_EUlST_E1_NS1_11comp_targetILNS1_3genE9ELNS1_11target_archE1100ELNS1_3gpuE3ELNS1_3repE0EEENS1_36merge_oddeven_config_static_selectorELNS0_4arch9wavefront6targetE1EEEvSF_
	.globl	_ZN7rocprim17ROCPRIM_400000_NS6detail17trampoline_kernelINS0_14default_configENS1_38merge_sort_block_merge_config_selectorIfNS0_10empty_typeEEEZZNS1_27merge_sort_block_merge_implIS3_PfPS5_jNS1_19radix_merge_compareILb1ELb0EfNS0_19identity_decomposerEEEEE10hipError_tT0_T1_T2_jT3_P12ihipStream_tbPNSt15iterator_traitsISE_E10value_typeEPNSK_ISF_E10value_typeEPSG_NS1_7vsmem_tEENKUlT_SE_SF_SG_E_clIS8_S8_S9_S9_EESD_ST_SE_SF_SG_EUlST_E1_NS1_11comp_targetILNS1_3genE9ELNS1_11target_archE1100ELNS1_3gpuE3ELNS1_3repE0EEENS1_36merge_oddeven_config_static_selectorELNS0_4arch9wavefront6targetE1EEEvSF_
	.p2align	8
	.type	_ZN7rocprim17ROCPRIM_400000_NS6detail17trampoline_kernelINS0_14default_configENS1_38merge_sort_block_merge_config_selectorIfNS0_10empty_typeEEEZZNS1_27merge_sort_block_merge_implIS3_PfPS5_jNS1_19radix_merge_compareILb1ELb0EfNS0_19identity_decomposerEEEEE10hipError_tT0_T1_T2_jT3_P12ihipStream_tbPNSt15iterator_traitsISE_E10value_typeEPNSK_ISF_E10value_typeEPSG_NS1_7vsmem_tEENKUlT_SE_SF_SG_E_clIS8_S8_S9_S9_EESD_ST_SE_SF_SG_EUlST_E1_NS1_11comp_targetILNS1_3genE9ELNS1_11target_archE1100ELNS1_3gpuE3ELNS1_3repE0EEENS1_36merge_oddeven_config_static_selectorELNS0_4arch9wavefront6targetE1EEEvSF_,@function
_ZN7rocprim17ROCPRIM_400000_NS6detail17trampoline_kernelINS0_14default_configENS1_38merge_sort_block_merge_config_selectorIfNS0_10empty_typeEEEZZNS1_27merge_sort_block_merge_implIS3_PfPS5_jNS1_19radix_merge_compareILb1ELb0EfNS0_19identity_decomposerEEEEE10hipError_tT0_T1_T2_jT3_P12ihipStream_tbPNSt15iterator_traitsISE_E10value_typeEPNSK_ISF_E10value_typeEPSG_NS1_7vsmem_tEENKUlT_SE_SF_SG_E_clIS8_S8_S9_S9_EESD_ST_SE_SF_SG_EUlST_E1_NS1_11comp_targetILNS1_3genE9ELNS1_11target_archE1100ELNS1_3gpuE3ELNS1_3repE0EEENS1_36merge_oddeven_config_static_selectorELNS0_4arch9wavefront6targetE1EEEvSF_: ; @_ZN7rocprim17ROCPRIM_400000_NS6detail17trampoline_kernelINS0_14default_configENS1_38merge_sort_block_merge_config_selectorIfNS0_10empty_typeEEEZZNS1_27merge_sort_block_merge_implIS3_PfPS5_jNS1_19radix_merge_compareILb1ELb0EfNS0_19identity_decomposerEEEEE10hipError_tT0_T1_T2_jT3_P12ihipStream_tbPNSt15iterator_traitsISE_E10value_typeEPNSK_ISF_E10value_typeEPSG_NS1_7vsmem_tEENKUlT_SE_SF_SG_E_clIS8_S8_S9_S9_EESD_ST_SE_SF_SG_EUlST_E1_NS1_11comp_targetILNS1_3genE9ELNS1_11target_archE1100ELNS1_3gpuE3ELNS1_3repE0EEENS1_36merge_oddeven_config_static_selectorELNS0_4arch9wavefront6targetE1EEEvSF_
; %bb.0:
	.section	.rodata,"a",@progbits
	.p2align	6, 0x0
	.amdhsa_kernel _ZN7rocprim17ROCPRIM_400000_NS6detail17trampoline_kernelINS0_14default_configENS1_38merge_sort_block_merge_config_selectorIfNS0_10empty_typeEEEZZNS1_27merge_sort_block_merge_implIS3_PfPS5_jNS1_19radix_merge_compareILb1ELb0EfNS0_19identity_decomposerEEEEE10hipError_tT0_T1_T2_jT3_P12ihipStream_tbPNSt15iterator_traitsISE_E10value_typeEPNSK_ISF_E10value_typeEPSG_NS1_7vsmem_tEENKUlT_SE_SF_SG_E_clIS8_S8_S9_S9_EESD_ST_SE_SF_SG_EUlST_E1_NS1_11comp_targetILNS1_3genE9ELNS1_11target_archE1100ELNS1_3gpuE3ELNS1_3repE0EEENS1_36merge_oddeven_config_static_selectorELNS0_4arch9wavefront6targetE1EEEvSF_
		.amdhsa_group_segment_fixed_size 0
		.amdhsa_private_segment_fixed_size 0
		.amdhsa_kernarg_size 48
		.amdhsa_user_sgpr_count 6
		.amdhsa_user_sgpr_private_segment_buffer 1
		.amdhsa_user_sgpr_dispatch_ptr 0
		.amdhsa_user_sgpr_queue_ptr 0
		.amdhsa_user_sgpr_kernarg_segment_ptr 1
		.amdhsa_user_sgpr_dispatch_id 0
		.amdhsa_user_sgpr_flat_scratch_init 0
		.amdhsa_user_sgpr_kernarg_preload_length 0
		.amdhsa_user_sgpr_kernarg_preload_offset 0
		.amdhsa_user_sgpr_private_segment_size 0
		.amdhsa_uses_dynamic_stack 0
		.amdhsa_system_sgpr_private_segment_wavefront_offset 0
		.amdhsa_system_sgpr_workgroup_id_x 1
		.amdhsa_system_sgpr_workgroup_id_y 0
		.amdhsa_system_sgpr_workgroup_id_z 0
		.amdhsa_system_sgpr_workgroup_info 0
		.amdhsa_system_vgpr_workitem_id 0
		.amdhsa_next_free_vgpr 1
		.amdhsa_next_free_sgpr 0
		.amdhsa_accum_offset 4
		.amdhsa_reserve_vcc 0
		.amdhsa_reserve_flat_scratch 0
		.amdhsa_float_round_mode_32 0
		.amdhsa_float_round_mode_16_64 0
		.amdhsa_float_denorm_mode_32 3
		.amdhsa_float_denorm_mode_16_64 3
		.amdhsa_dx10_clamp 1
		.amdhsa_ieee_mode 1
		.amdhsa_fp16_overflow 0
		.amdhsa_tg_split 0
		.amdhsa_exception_fp_ieee_invalid_op 0
		.amdhsa_exception_fp_denorm_src 0
		.amdhsa_exception_fp_ieee_div_zero 0
		.amdhsa_exception_fp_ieee_overflow 0
		.amdhsa_exception_fp_ieee_underflow 0
		.amdhsa_exception_fp_ieee_inexact 0
		.amdhsa_exception_int_div_zero 0
	.end_amdhsa_kernel
	.section	.text._ZN7rocprim17ROCPRIM_400000_NS6detail17trampoline_kernelINS0_14default_configENS1_38merge_sort_block_merge_config_selectorIfNS0_10empty_typeEEEZZNS1_27merge_sort_block_merge_implIS3_PfPS5_jNS1_19radix_merge_compareILb1ELb0EfNS0_19identity_decomposerEEEEE10hipError_tT0_T1_T2_jT3_P12ihipStream_tbPNSt15iterator_traitsISE_E10value_typeEPNSK_ISF_E10value_typeEPSG_NS1_7vsmem_tEENKUlT_SE_SF_SG_E_clIS8_S8_S9_S9_EESD_ST_SE_SF_SG_EUlST_E1_NS1_11comp_targetILNS1_3genE9ELNS1_11target_archE1100ELNS1_3gpuE3ELNS1_3repE0EEENS1_36merge_oddeven_config_static_selectorELNS0_4arch9wavefront6targetE1EEEvSF_,"axG",@progbits,_ZN7rocprim17ROCPRIM_400000_NS6detail17trampoline_kernelINS0_14default_configENS1_38merge_sort_block_merge_config_selectorIfNS0_10empty_typeEEEZZNS1_27merge_sort_block_merge_implIS3_PfPS5_jNS1_19radix_merge_compareILb1ELb0EfNS0_19identity_decomposerEEEEE10hipError_tT0_T1_T2_jT3_P12ihipStream_tbPNSt15iterator_traitsISE_E10value_typeEPNSK_ISF_E10value_typeEPSG_NS1_7vsmem_tEENKUlT_SE_SF_SG_E_clIS8_S8_S9_S9_EESD_ST_SE_SF_SG_EUlST_E1_NS1_11comp_targetILNS1_3genE9ELNS1_11target_archE1100ELNS1_3gpuE3ELNS1_3repE0EEENS1_36merge_oddeven_config_static_selectorELNS0_4arch9wavefront6targetE1EEEvSF_,comdat
.Lfunc_end2526:
	.size	_ZN7rocprim17ROCPRIM_400000_NS6detail17trampoline_kernelINS0_14default_configENS1_38merge_sort_block_merge_config_selectorIfNS0_10empty_typeEEEZZNS1_27merge_sort_block_merge_implIS3_PfPS5_jNS1_19radix_merge_compareILb1ELb0EfNS0_19identity_decomposerEEEEE10hipError_tT0_T1_T2_jT3_P12ihipStream_tbPNSt15iterator_traitsISE_E10value_typeEPNSK_ISF_E10value_typeEPSG_NS1_7vsmem_tEENKUlT_SE_SF_SG_E_clIS8_S8_S9_S9_EESD_ST_SE_SF_SG_EUlST_E1_NS1_11comp_targetILNS1_3genE9ELNS1_11target_archE1100ELNS1_3gpuE3ELNS1_3repE0EEENS1_36merge_oddeven_config_static_selectorELNS0_4arch9wavefront6targetE1EEEvSF_, .Lfunc_end2526-_ZN7rocprim17ROCPRIM_400000_NS6detail17trampoline_kernelINS0_14default_configENS1_38merge_sort_block_merge_config_selectorIfNS0_10empty_typeEEEZZNS1_27merge_sort_block_merge_implIS3_PfPS5_jNS1_19radix_merge_compareILb1ELb0EfNS0_19identity_decomposerEEEEE10hipError_tT0_T1_T2_jT3_P12ihipStream_tbPNSt15iterator_traitsISE_E10value_typeEPNSK_ISF_E10value_typeEPSG_NS1_7vsmem_tEENKUlT_SE_SF_SG_E_clIS8_S8_S9_S9_EESD_ST_SE_SF_SG_EUlST_E1_NS1_11comp_targetILNS1_3genE9ELNS1_11target_archE1100ELNS1_3gpuE3ELNS1_3repE0EEENS1_36merge_oddeven_config_static_selectorELNS0_4arch9wavefront6targetE1EEEvSF_
                                        ; -- End function
	.section	.AMDGPU.csdata,"",@progbits
; Kernel info:
; codeLenInByte = 0
; NumSgprs: 4
; NumVgprs: 0
; NumAgprs: 0
; TotalNumVgprs: 0
; ScratchSize: 0
; MemoryBound: 0
; FloatMode: 240
; IeeeMode: 1
; LDSByteSize: 0 bytes/workgroup (compile time only)
; SGPRBlocks: 0
; VGPRBlocks: 0
; NumSGPRsForWavesPerEU: 4
; NumVGPRsForWavesPerEU: 1
; AccumOffset: 4
; Occupancy: 8
; WaveLimiterHint : 0
; COMPUTE_PGM_RSRC2:SCRATCH_EN: 0
; COMPUTE_PGM_RSRC2:USER_SGPR: 6
; COMPUTE_PGM_RSRC2:TRAP_HANDLER: 0
; COMPUTE_PGM_RSRC2:TGID_X_EN: 1
; COMPUTE_PGM_RSRC2:TGID_Y_EN: 0
; COMPUTE_PGM_RSRC2:TGID_Z_EN: 0
; COMPUTE_PGM_RSRC2:TIDIG_COMP_CNT: 0
; COMPUTE_PGM_RSRC3_GFX90A:ACCUM_OFFSET: 0
; COMPUTE_PGM_RSRC3_GFX90A:TG_SPLIT: 0
	.section	.text._ZN7rocprim17ROCPRIM_400000_NS6detail17trampoline_kernelINS0_14default_configENS1_38merge_sort_block_merge_config_selectorIfNS0_10empty_typeEEEZZNS1_27merge_sort_block_merge_implIS3_PfPS5_jNS1_19radix_merge_compareILb1ELb0EfNS0_19identity_decomposerEEEEE10hipError_tT0_T1_T2_jT3_P12ihipStream_tbPNSt15iterator_traitsISE_E10value_typeEPNSK_ISF_E10value_typeEPSG_NS1_7vsmem_tEENKUlT_SE_SF_SG_E_clIS8_S8_S9_S9_EESD_ST_SE_SF_SG_EUlST_E1_NS1_11comp_targetILNS1_3genE8ELNS1_11target_archE1030ELNS1_3gpuE2ELNS1_3repE0EEENS1_36merge_oddeven_config_static_selectorELNS0_4arch9wavefront6targetE1EEEvSF_,"axG",@progbits,_ZN7rocprim17ROCPRIM_400000_NS6detail17trampoline_kernelINS0_14default_configENS1_38merge_sort_block_merge_config_selectorIfNS0_10empty_typeEEEZZNS1_27merge_sort_block_merge_implIS3_PfPS5_jNS1_19radix_merge_compareILb1ELb0EfNS0_19identity_decomposerEEEEE10hipError_tT0_T1_T2_jT3_P12ihipStream_tbPNSt15iterator_traitsISE_E10value_typeEPNSK_ISF_E10value_typeEPSG_NS1_7vsmem_tEENKUlT_SE_SF_SG_E_clIS8_S8_S9_S9_EESD_ST_SE_SF_SG_EUlST_E1_NS1_11comp_targetILNS1_3genE8ELNS1_11target_archE1030ELNS1_3gpuE2ELNS1_3repE0EEENS1_36merge_oddeven_config_static_selectorELNS0_4arch9wavefront6targetE1EEEvSF_,comdat
	.protected	_ZN7rocprim17ROCPRIM_400000_NS6detail17trampoline_kernelINS0_14default_configENS1_38merge_sort_block_merge_config_selectorIfNS0_10empty_typeEEEZZNS1_27merge_sort_block_merge_implIS3_PfPS5_jNS1_19radix_merge_compareILb1ELb0EfNS0_19identity_decomposerEEEEE10hipError_tT0_T1_T2_jT3_P12ihipStream_tbPNSt15iterator_traitsISE_E10value_typeEPNSK_ISF_E10value_typeEPSG_NS1_7vsmem_tEENKUlT_SE_SF_SG_E_clIS8_S8_S9_S9_EESD_ST_SE_SF_SG_EUlST_E1_NS1_11comp_targetILNS1_3genE8ELNS1_11target_archE1030ELNS1_3gpuE2ELNS1_3repE0EEENS1_36merge_oddeven_config_static_selectorELNS0_4arch9wavefront6targetE1EEEvSF_ ; -- Begin function _ZN7rocprim17ROCPRIM_400000_NS6detail17trampoline_kernelINS0_14default_configENS1_38merge_sort_block_merge_config_selectorIfNS0_10empty_typeEEEZZNS1_27merge_sort_block_merge_implIS3_PfPS5_jNS1_19radix_merge_compareILb1ELb0EfNS0_19identity_decomposerEEEEE10hipError_tT0_T1_T2_jT3_P12ihipStream_tbPNSt15iterator_traitsISE_E10value_typeEPNSK_ISF_E10value_typeEPSG_NS1_7vsmem_tEENKUlT_SE_SF_SG_E_clIS8_S8_S9_S9_EESD_ST_SE_SF_SG_EUlST_E1_NS1_11comp_targetILNS1_3genE8ELNS1_11target_archE1030ELNS1_3gpuE2ELNS1_3repE0EEENS1_36merge_oddeven_config_static_selectorELNS0_4arch9wavefront6targetE1EEEvSF_
	.globl	_ZN7rocprim17ROCPRIM_400000_NS6detail17trampoline_kernelINS0_14default_configENS1_38merge_sort_block_merge_config_selectorIfNS0_10empty_typeEEEZZNS1_27merge_sort_block_merge_implIS3_PfPS5_jNS1_19radix_merge_compareILb1ELb0EfNS0_19identity_decomposerEEEEE10hipError_tT0_T1_T2_jT3_P12ihipStream_tbPNSt15iterator_traitsISE_E10value_typeEPNSK_ISF_E10value_typeEPSG_NS1_7vsmem_tEENKUlT_SE_SF_SG_E_clIS8_S8_S9_S9_EESD_ST_SE_SF_SG_EUlST_E1_NS1_11comp_targetILNS1_3genE8ELNS1_11target_archE1030ELNS1_3gpuE2ELNS1_3repE0EEENS1_36merge_oddeven_config_static_selectorELNS0_4arch9wavefront6targetE1EEEvSF_
	.p2align	8
	.type	_ZN7rocprim17ROCPRIM_400000_NS6detail17trampoline_kernelINS0_14default_configENS1_38merge_sort_block_merge_config_selectorIfNS0_10empty_typeEEEZZNS1_27merge_sort_block_merge_implIS3_PfPS5_jNS1_19radix_merge_compareILb1ELb0EfNS0_19identity_decomposerEEEEE10hipError_tT0_T1_T2_jT3_P12ihipStream_tbPNSt15iterator_traitsISE_E10value_typeEPNSK_ISF_E10value_typeEPSG_NS1_7vsmem_tEENKUlT_SE_SF_SG_E_clIS8_S8_S9_S9_EESD_ST_SE_SF_SG_EUlST_E1_NS1_11comp_targetILNS1_3genE8ELNS1_11target_archE1030ELNS1_3gpuE2ELNS1_3repE0EEENS1_36merge_oddeven_config_static_selectorELNS0_4arch9wavefront6targetE1EEEvSF_,@function
_ZN7rocprim17ROCPRIM_400000_NS6detail17trampoline_kernelINS0_14default_configENS1_38merge_sort_block_merge_config_selectorIfNS0_10empty_typeEEEZZNS1_27merge_sort_block_merge_implIS3_PfPS5_jNS1_19radix_merge_compareILb1ELb0EfNS0_19identity_decomposerEEEEE10hipError_tT0_T1_T2_jT3_P12ihipStream_tbPNSt15iterator_traitsISE_E10value_typeEPNSK_ISF_E10value_typeEPSG_NS1_7vsmem_tEENKUlT_SE_SF_SG_E_clIS8_S8_S9_S9_EESD_ST_SE_SF_SG_EUlST_E1_NS1_11comp_targetILNS1_3genE8ELNS1_11target_archE1030ELNS1_3gpuE2ELNS1_3repE0EEENS1_36merge_oddeven_config_static_selectorELNS0_4arch9wavefront6targetE1EEEvSF_: ; @_ZN7rocprim17ROCPRIM_400000_NS6detail17trampoline_kernelINS0_14default_configENS1_38merge_sort_block_merge_config_selectorIfNS0_10empty_typeEEEZZNS1_27merge_sort_block_merge_implIS3_PfPS5_jNS1_19radix_merge_compareILb1ELb0EfNS0_19identity_decomposerEEEEE10hipError_tT0_T1_T2_jT3_P12ihipStream_tbPNSt15iterator_traitsISE_E10value_typeEPNSK_ISF_E10value_typeEPSG_NS1_7vsmem_tEENKUlT_SE_SF_SG_E_clIS8_S8_S9_S9_EESD_ST_SE_SF_SG_EUlST_E1_NS1_11comp_targetILNS1_3genE8ELNS1_11target_archE1030ELNS1_3gpuE2ELNS1_3repE0EEENS1_36merge_oddeven_config_static_selectorELNS0_4arch9wavefront6targetE1EEEvSF_
; %bb.0:
	.section	.rodata,"a",@progbits
	.p2align	6, 0x0
	.amdhsa_kernel _ZN7rocprim17ROCPRIM_400000_NS6detail17trampoline_kernelINS0_14default_configENS1_38merge_sort_block_merge_config_selectorIfNS0_10empty_typeEEEZZNS1_27merge_sort_block_merge_implIS3_PfPS5_jNS1_19radix_merge_compareILb1ELb0EfNS0_19identity_decomposerEEEEE10hipError_tT0_T1_T2_jT3_P12ihipStream_tbPNSt15iterator_traitsISE_E10value_typeEPNSK_ISF_E10value_typeEPSG_NS1_7vsmem_tEENKUlT_SE_SF_SG_E_clIS8_S8_S9_S9_EESD_ST_SE_SF_SG_EUlST_E1_NS1_11comp_targetILNS1_3genE8ELNS1_11target_archE1030ELNS1_3gpuE2ELNS1_3repE0EEENS1_36merge_oddeven_config_static_selectorELNS0_4arch9wavefront6targetE1EEEvSF_
		.amdhsa_group_segment_fixed_size 0
		.amdhsa_private_segment_fixed_size 0
		.amdhsa_kernarg_size 48
		.amdhsa_user_sgpr_count 6
		.amdhsa_user_sgpr_private_segment_buffer 1
		.amdhsa_user_sgpr_dispatch_ptr 0
		.amdhsa_user_sgpr_queue_ptr 0
		.amdhsa_user_sgpr_kernarg_segment_ptr 1
		.amdhsa_user_sgpr_dispatch_id 0
		.amdhsa_user_sgpr_flat_scratch_init 0
		.amdhsa_user_sgpr_kernarg_preload_length 0
		.amdhsa_user_sgpr_kernarg_preload_offset 0
		.amdhsa_user_sgpr_private_segment_size 0
		.amdhsa_uses_dynamic_stack 0
		.amdhsa_system_sgpr_private_segment_wavefront_offset 0
		.amdhsa_system_sgpr_workgroup_id_x 1
		.amdhsa_system_sgpr_workgroup_id_y 0
		.amdhsa_system_sgpr_workgroup_id_z 0
		.amdhsa_system_sgpr_workgroup_info 0
		.amdhsa_system_vgpr_workitem_id 0
		.amdhsa_next_free_vgpr 1
		.amdhsa_next_free_sgpr 0
		.amdhsa_accum_offset 4
		.amdhsa_reserve_vcc 0
		.amdhsa_reserve_flat_scratch 0
		.amdhsa_float_round_mode_32 0
		.amdhsa_float_round_mode_16_64 0
		.amdhsa_float_denorm_mode_32 3
		.amdhsa_float_denorm_mode_16_64 3
		.amdhsa_dx10_clamp 1
		.amdhsa_ieee_mode 1
		.amdhsa_fp16_overflow 0
		.amdhsa_tg_split 0
		.amdhsa_exception_fp_ieee_invalid_op 0
		.amdhsa_exception_fp_denorm_src 0
		.amdhsa_exception_fp_ieee_div_zero 0
		.amdhsa_exception_fp_ieee_overflow 0
		.amdhsa_exception_fp_ieee_underflow 0
		.amdhsa_exception_fp_ieee_inexact 0
		.amdhsa_exception_int_div_zero 0
	.end_amdhsa_kernel
	.section	.text._ZN7rocprim17ROCPRIM_400000_NS6detail17trampoline_kernelINS0_14default_configENS1_38merge_sort_block_merge_config_selectorIfNS0_10empty_typeEEEZZNS1_27merge_sort_block_merge_implIS3_PfPS5_jNS1_19radix_merge_compareILb1ELb0EfNS0_19identity_decomposerEEEEE10hipError_tT0_T1_T2_jT3_P12ihipStream_tbPNSt15iterator_traitsISE_E10value_typeEPNSK_ISF_E10value_typeEPSG_NS1_7vsmem_tEENKUlT_SE_SF_SG_E_clIS8_S8_S9_S9_EESD_ST_SE_SF_SG_EUlST_E1_NS1_11comp_targetILNS1_3genE8ELNS1_11target_archE1030ELNS1_3gpuE2ELNS1_3repE0EEENS1_36merge_oddeven_config_static_selectorELNS0_4arch9wavefront6targetE1EEEvSF_,"axG",@progbits,_ZN7rocprim17ROCPRIM_400000_NS6detail17trampoline_kernelINS0_14default_configENS1_38merge_sort_block_merge_config_selectorIfNS0_10empty_typeEEEZZNS1_27merge_sort_block_merge_implIS3_PfPS5_jNS1_19radix_merge_compareILb1ELb0EfNS0_19identity_decomposerEEEEE10hipError_tT0_T1_T2_jT3_P12ihipStream_tbPNSt15iterator_traitsISE_E10value_typeEPNSK_ISF_E10value_typeEPSG_NS1_7vsmem_tEENKUlT_SE_SF_SG_E_clIS8_S8_S9_S9_EESD_ST_SE_SF_SG_EUlST_E1_NS1_11comp_targetILNS1_3genE8ELNS1_11target_archE1030ELNS1_3gpuE2ELNS1_3repE0EEENS1_36merge_oddeven_config_static_selectorELNS0_4arch9wavefront6targetE1EEEvSF_,comdat
.Lfunc_end2527:
	.size	_ZN7rocprim17ROCPRIM_400000_NS6detail17trampoline_kernelINS0_14default_configENS1_38merge_sort_block_merge_config_selectorIfNS0_10empty_typeEEEZZNS1_27merge_sort_block_merge_implIS3_PfPS5_jNS1_19radix_merge_compareILb1ELb0EfNS0_19identity_decomposerEEEEE10hipError_tT0_T1_T2_jT3_P12ihipStream_tbPNSt15iterator_traitsISE_E10value_typeEPNSK_ISF_E10value_typeEPSG_NS1_7vsmem_tEENKUlT_SE_SF_SG_E_clIS8_S8_S9_S9_EESD_ST_SE_SF_SG_EUlST_E1_NS1_11comp_targetILNS1_3genE8ELNS1_11target_archE1030ELNS1_3gpuE2ELNS1_3repE0EEENS1_36merge_oddeven_config_static_selectorELNS0_4arch9wavefront6targetE1EEEvSF_, .Lfunc_end2527-_ZN7rocprim17ROCPRIM_400000_NS6detail17trampoline_kernelINS0_14default_configENS1_38merge_sort_block_merge_config_selectorIfNS0_10empty_typeEEEZZNS1_27merge_sort_block_merge_implIS3_PfPS5_jNS1_19radix_merge_compareILb1ELb0EfNS0_19identity_decomposerEEEEE10hipError_tT0_T1_T2_jT3_P12ihipStream_tbPNSt15iterator_traitsISE_E10value_typeEPNSK_ISF_E10value_typeEPSG_NS1_7vsmem_tEENKUlT_SE_SF_SG_E_clIS8_S8_S9_S9_EESD_ST_SE_SF_SG_EUlST_E1_NS1_11comp_targetILNS1_3genE8ELNS1_11target_archE1030ELNS1_3gpuE2ELNS1_3repE0EEENS1_36merge_oddeven_config_static_selectorELNS0_4arch9wavefront6targetE1EEEvSF_
                                        ; -- End function
	.section	.AMDGPU.csdata,"",@progbits
; Kernel info:
; codeLenInByte = 0
; NumSgprs: 4
; NumVgprs: 0
; NumAgprs: 0
; TotalNumVgprs: 0
; ScratchSize: 0
; MemoryBound: 0
; FloatMode: 240
; IeeeMode: 1
; LDSByteSize: 0 bytes/workgroup (compile time only)
; SGPRBlocks: 0
; VGPRBlocks: 0
; NumSGPRsForWavesPerEU: 4
; NumVGPRsForWavesPerEU: 1
; AccumOffset: 4
; Occupancy: 8
; WaveLimiterHint : 0
; COMPUTE_PGM_RSRC2:SCRATCH_EN: 0
; COMPUTE_PGM_RSRC2:USER_SGPR: 6
; COMPUTE_PGM_RSRC2:TRAP_HANDLER: 0
; COMPUTE_PGM_RSRC2:TGID_X_EN: 1
; COMPUTE_PGM_RSRC2:TGID_Y_EN: 0
; COMPUTE_PGM_RSRC2:TGID_Z_EN: 0
; COMPUTE_PGM_RSRC2:TIDIG_COMP_CNT: 0
; COMPUTE_PGM_RSRC3_GFX90A:ACCUM_OFFSET: 0
; COMPUTE_PGM_RSRC3_GFX90A:TG_SPLIT: 0
	.section	.text._ZN7rocprim17ROCPRIM_400000_NS6detail17trampoline_kernelINS0_14default_configENS1_35radix_sort_onesweep_config_selectorIfNS0_10empty_typeEEEZNS1_34radix_sort_onesweep_global_offsetsIS3_Lb1EPfPS5_mNS0_19identity_decomposerEEE10hipError_tT1_T2_PT3_SE_jT4_jjP12ihipStream_tbEUlT_E_NS1_11comp_targetILNS1_3genE0ELNS1_11target_archE4294967295ELNS1_3gpuE0ELNS1_3repE0EEENS1_52radix_sort_onesweep_histogram_config_static_selectorELNS0_4arch9wavefront6targetE1EEEvSC_,"axG",@progbits,_ZN7rocprim17ROCPRIM_400000_NS6detail17trampoline_kernelINS0_14default_configENS1_35radix_sort_onesweep_config_selectorIfNS0_10empty_typeEEEZNS1_34radix_sort_onesweep_global_offsetsIS3_Lb1EPfPS5_mNS0_19identity_decomposerEEE10hipError_tT1_T2_PT3_SE_jT4_jjP12ihipStream_tbEUlT_E_NS1_11comp_targetILNS1_3genE0ELNS1_11target_archE4294967295ELNS1_3gpuE0ELNS1_3repE0EEENS1_52radix_sort_onesweep_histogram_config_static_selectorELNS0_4arch9wavefront6targetE1EEEvSC_,comdat
	.protected	_ZN7rocprim17ROCPRIM_400000_NS6detail17trampoline_kernelINS0_14default_configENS1_35radix_sort_onesweep_config_selectorIfNS0_10empty_typeEEEZNS1_34radix_sort_onesweep_global_offsetsIS3_Lb1EPfPS5_mNS0_19identity_decomposerEEE10hipError_tT1_T2_PT3_SE_jT4_jjP12ihipStream_tbEUlT_E_NS1_11comp_targetILNS1_3genE0ELNS1_11target_archE4294967295ELNS1_3gpuE0ELNS1_3repE0EEENS1_52radix_sort_onesweep_histogram_config_static_selectorELNS0_4arch9wavefront6targetE1EEEvSC_ ; -- Begin function _ZN7rocprim17ROCPRIM_400000_NS6detail17trampoline_kernelINS0_14default_configENS1_35radix_sort_onesweep_config_selectorIfNS0_10empty_typeEEEZNS1_34radix_sort_onesweep_global_offsetsIS3_Lb1EPfPS5_mNS0_19identity_decomposerEEE10hipError_tT1_T2_PT3_SE_jT4_jjP12ihipStream_tbEUlT_E_NS1_11comp_targetILNS1_3genE0ELNS1_11target_archE4294967295ELNS1_3gpuE0ELNS1_3repE0EEENS1_52radix_sort_onesweep_histogram_config_static_selectorELNS0_4arch9wavefront6targetE1EEEvSC_
	.globl	_ZN7rocprim17ROCPRIM_400000_NS6detail17trampoline_kernelINS0_14default_configENS1_35radix_sort_onesweep_config_selectorIfNS0_10empty_typeEEEZNS1_34radix_sort_onesweep_global_offsetsIS3_Lb1EPfPS5_mNS0_19identity_decomposerEEE10hipError_tT1_T2_PT3_SE_jT4_jjP12ihipStream_tbEUlT_E_NS1_11comp_targetILNS1_3genE0ELNS1_11target_archE4294967295ELNS1_3gpuE0ELNS1_3repE0EEENS1_52radix_sort_onesweep_histogram_config_static_selectorELNS0_4arch9wavefront6targetE1EEEvSC_
	.p2align	8
	.type	_ZN7rocprim17ROCPRIM_400000_NS6detail17trampoline_kernelINS0_14default_configENS1_35radix_sort_onesweep_config_selectorIfNS0_10empty_typeEEEZNS1_34radix_sort_onesweep_global_offsetsIS3_Lb1EPfPS5_mNS0_19identity_decomposerEEE10hipError_tT1_T2_PT3_SE_jT4_jjP12ihipStream_tbEUlT_E_NS1_11comp_targetILNS1_3genE0ELNS1_11target_archE4294967295ELNS1_3gpuE0ELNS1_3repE0EEENS1_52radix_sort_onesweep_histogram_config_static_selectorELNS0_4arch9wavefront6targetE1EEEvSC_,@function
_ZN7rocprim17ROCPRIM_400000_NS6detail17trampoline_kernelINS0_14default_configENS1_35radix_sort_onesweep_config_selectorIfNS0_10empty_typeEEEZNS1_34radix_sort_onesweep_global_offsetsIS3_Lb1EPfPS5_mNS0_19identity_decomposerEEE10hipError_tT1_T2_PT3_SE_jT4_jjP12ihipStream_tbEUlT_E_NS1_11comp_targetILNS1_3genE0ELNS1_11target_archE4294967295ELNS1_3gpuE0ELNS1_3repE0EEENS1_52radix_sort_onesweep_histogram_config_static_selectorELNS0_4arch9wavefront6targetE1EEEvSC_: ; @_ZN7rocprim17ROCPRIM_400000_NS6detail17trampoline_kernelINS0_14default_configENS1_35radix_sort_onesweep_config_selectorIfNS0_10empty_typeEEEZNS1_34radix_sort_onesweep_global_offsetsIS3_Lb1EPfPS5_mNS0_19identity_decomposerEEE10hipError_tT1_T2_PT3_SE_jT4_jjP12ihipStream_tbEUlT_E_NS1_11comp_targetILNS1_3genE0ELNS1_11target_archE4294967295ELNS1_3gpuE0ELNS1_3repE0EEENS1_52radix_sort_onesweep_histogram_config_static_selectorELNS0_4arch9wavefront6targetE1EEEvSC_
; %bb.0:
	.section	.rodata,"a",@progbits
	.p2align	6, 0x0
	.amdhsa_kernel _ZN7rocprim17ROCPRIM_400000_NS6detail17trampoline_kernelINS0_14default_configENS1_35radix_sort_onesweep_config_selectorIfNS0_10empty_typeEEEZNS1_34radix_sort_onesweep_global_offsetsIS3_Lb1EPfPS5_mNS0_19identity_decomposerEEE10hipError_tT1_T2_PT3_SE_jT4_jjP12ihipStream_tbEUlT_E_NS1_11comp_targetILNS1_3genE0ELNS1_11target_archE4294967295ELNS1_3gpuE0ELNS1_3repE0EEENS1_52radix_sort_onesweep_histogram_config_static_selectorELNS0_4arch9wavefront6targetE1EEEvSC_
		.amdhsa_group_segment_fixed_size 0
		.amdhsa_private_segment_fixed_size 0
		.amdhsa_kernarg_size 48
		.amdhsa_user_sgpr_count 6
		.amdhsa_user_sgpr_private_segment_buffer 1
		.amdhsa_user_sgpr_dispatch_ptr 0
		.amdhsa_user_sgpr_queue_ptr 0
		.amdhsa_user_sgpr_kernarg_segment_ptr 1
		.amdhsa_user_sgpr_dispatch_id 0
		.amdhsa_user_sgpr_flat_scratch_init 0
		.amdhsa_user_sgpr_kernarg_preload_length 0
		.amdhsa_user_sgpr_kernarg_preload_offset 0
		.amdhsa_user_sgpr_private_segment_size 0
		.amdhsa_uses_dynamic_stack 0
		.amdhsa_system_sgpr_private_segment_wavefront_offset 0
		.amdhsa_system_sgpr_workgroup_id_x 1
		.amdhsa_system_sgpr_workgroup_id_y 0
		.amdhsa_system_sgpr_workgroup_id_z 0
		.amdhsa_system_sgpr_workgroup_info 0
		.amdhsa_system_vgpr_workitem_id 0
		.amdhsa_next_free_vgpr 1
		.amdhsa_next_free_sgpr 0
		.amdhsa_accum_offset 4
		.amdhsa_reserve_vcc 0
		.amdhsa_reserve_flat_scratch 0
		.amdhsa_float_round_mode_32 0
		.amdhsa_float_round_mode_16_64 0
		.amdhsa_float_denorm_mode_32 3
		.amdhsa_float_denorm_mode_16_64 3
		.amdhsa_dx10_clamp 1
		.amdhsa_ieee_mode 1
		.amdhsa_fp16_overflow 0
		.amdhsa_tg_split 0
		.amdhsa_exception_fp_ieee_invalid_op 0
		.amdhsa_exception_fp_denorm_src 0
		.amdhsa_exception_fp_ieee_div_zero 0
		.amdhsa_exception_fp_ieee_overflow 0
		.amdhsa_exception_fp_ieee_underflow 0
		.amdhsa_exception_fp_ieee_inexact 0
		.amdhsa_exception_int_div_zero 0
	.end_amdhsa_kernel
	.section	.text._ZN7rocprim17ROCPRIM_400000_NS6detail17trampoline_kernelINS0_14default_configENS1_35radix_sort_onesweep_config_selectorIfNS0_10empty_typeEEEZNS1_34radix_sort_onesweep_global_offsetsIS3_Lb1EPfPS5_mNS0_19identity_decomposerEEE10hipError_tT1_T2_PT3_SE_jT4_jjP12ihipStream_tbEUlT_E_NS1_11comp_targetILNS1_3genE0ELNS1_11target_archE4294967295ELNS1_3gpuE0ELNS1_3repE0EEENS1_52radix_sort_onesweep_histogram_config_static_selectorELNS0_4arch9wavefront6targetE1EEEvSC_,"axG",@progbits,_ZN7rocprim17ROCPRIM_400000_NS6detail17trampoline_kernelINS0_14default_configENS1_35radix_sort_onesweep_config_selectorIfNS0_10empty_typeEEEZNS1_34radix_sort_onesweep_global_offsetsIS3_Lb1EPfPS5_mNS0_19identity_decomposerEEE10hipError_tT1_T2_PT3_SE_jT4_jjP12ihipStream_tbEUlT_E_NS1_11comp_targetILNS1_3genE0ELNS1_11target_archE4294967295ELNS1_3gpuE0ELNS1_3repE0EEENS1_52radix_sort_onesweep_histogram_config_static_selectorELNS0_4arch9wavefront6targetE1EEEvSC_,comdat
.Lfunc_end2528:
	.size	_ZN7rocprim17ROCPRIM_400000_NS6detail17trampoline_kernelINS0_14default_configENS1_35radix_sort_onesweep_config_selectorIfNS0_10empty_typeEEEZNS1_34radix_sort_onesweep_global_offsetsIS3_Lb1EPfPS5_mNS0_19identity_decomposerEEE10hipError_tT1_T2_PT3_SE_jT4_jjP12ihipStream_tbEUlT_E_NS1_11comp_targetILNS1_3genE0ELNS1_11target_archE4294967295ELNS1_3gpuE0ELNS1_3repE0EEENS1_52radix_sort_onesweep_histogram_config_static_selectorELNS0_4arch9wavefront6targetE1EEEvSC_, .Lfunc_end2528-_ZN7rocprim17ROCPRIM_400000_NS6detail17trampoline_kernelINS0_14default_configENS1_35radix_sort_onesweep_config_selectorIfNS0_10empty_typeEEEZNS1_34radix_sort_onesweep_global_offsetsIS3_Lb1EPfPS5_mNS0_19identity_decomposerEEE10hipError_tT1_T2_PT3_SE_jT4_jjP12ihipStream_tbEUlT_E_NS1_11comp_targetILNS1_3genE0ELNS1_11target_archE4294967295ELNS1_3gpuE0ELNS1_3repE0EEENS1_52radix_sort_onesweep_histogram_config_static_selectorELNS0_4arch9wavefront6targetE1EEEvSC_
                                        ; -- End function
	.section	.AMDGPU.csdata,"",@progbits
; Kernel info:
; codeLenInByte = 0
; NumSgprs: 4
; NumVgprs: 0
; NumAgprs: 0
; TotalNumVgprs: 0
; ScratchSize: 0
; MemoryBound: 0
; FloatMode: 240
; IeeeMode: 1
; LDSByteSize: 0 bytes/workgroup (compile time only)
; SGPRBlocks: 0
; VGPRBlocks: 0
; NumSGPRsForWavesPerEU: 4
; NumVGPRsForWavesPerEU: 1
; AccumOffset: 4
; Occupancy: 8
; WaveLimiterHint : 0
; COMPUTE_PGM_RSRC2:SCRATCH_EN: 0
; COMPUTE_PGM_RSRC2:USER_SGPR: 6
; COMPUTE_PGM_RSRC2:TRAP_HANDLER: 0
; COMPUTE_PGM_RSRC2:TGID_X_EN: 1
; COMPUTE_PGM_RSRC2:TGID_Y_EN: 0
; COMPUTE_PGM_RSRC2:TGID_Z_EN: 0
; COMPUTE_PGM_RSRC2:TIDIG_COMP_CNT: 0
; COMPUTE_PGM_RSRC3_GFX90A:ACCUM_OFFSET: 0
; COMPUTE_PGM_RSRC3_GFX90A:TG_SPLIT: 0
	.section	.text._ZN7rocprim17ROCPRIM_400000_NS6detail17trampoline_kernelINS0_14default_configENS1_35radix_sort_onesweep_config_selectorIfNS0_10empty_typeEEEZNS1_34radix_sort_onesweep_global_offsetsIS3_Lb1EPfPS5_mNS0_19identity_decomposerEEE10hipError_tT1_T2_PT3_SE_jT4_jjP12ihipStream_tbEUlT_E_NS1_11comp_targetILNS1_3genE6ELNS1_11target_archE950ELNS1_3gpuE13ELNS1_3repE0EEENS1_52radix_sort_onesweep_histogram_config_static_selectorELNS0_4arch9wavefront6targetE1EEEvSC_,"axG",@progbits,_ZN7rocprim17ROCPRIM_400000_NS6detail17trampoline_kernelINS0_14default_configENS1_35radix_sort_onesweep_config_selectorIfNS0_10empty_typeEEEZNS1_34radix_sort_onesweep_global_offsetsIS3_Lb1EPfPS5_mNS0_19identity_decomposerEEE10hipError_tT1_T2_PT3_SE_jT4_jjP12ihipStream_tbEUlT_E_NS1_11comp_targetILNS1_3genE6ELNS1_11target_archE950ELNS1_3gpuE13ELNS1_3repE0EEENS1_52radix_sort_onesweep_histogram_config_static_selectorELNS0_4arch9wavefront6targetE1EEEvSC_,comdat
	.protected	_ZN7rocprim17ROCPRIM_400000_NS6detail17trampoline_kernelINS0_14default_configENS1_35radix_sort_onesweep_config_selectorIfNS0_10empty_typeEEEZNS1_34radix_sort_onesweep_global_offsetsIS3_Lb1EPfPS5_mNS0_19identity_decomposerEEE10hipError_tT1_T2_PT3_SE_jT4_jjP12ihipStream_tbEUlT_E_NS1_11comp_targetILNS1_3genE6ELNS1_11target_archE950ELNS1_3gpuE13ELNS1_3repE0EEENS1_52radix_sort_onesweep_histogram_config_static_selectorELNS0_4arch9wavefront6targetE1EEEvSC_ ; -- Begin function _ZN7rocprim17ROCPRIM_400000_NS6detail17trampoline_kernelINS0_14default_configENS1_35radix_sort_onesweep_config_selectorIfNS0_10empty_typeEEEZNS1_34radix_sort_onesweep_global_offsetsIS3_Lb1EPfPS5_mNS0_19identity_decomposerEEE10hipError_tT1_T2_PT3_SE_jT4_jjP12ihipStream_tbEUlT_E_NS1_11comp_targetILNS1_3genE6ELNS1_11target_archE950ELNS1_3gpuE13ELNS1_3repE0EEENS1_52radix_sort_onesweep_histogram_config_static_selectorELNS0_4arch9wavefront6targetE1EEEvSC_
	.globl	_ZN7rocprim17ROCPRIM_400000_NS6detail17trampoline_kernelINS0_14default_configENS1_35radix_sort_onesweep_config_selectorIfNS0_10empty_typeEEEZNS1_34radix_sort_onesweep_global_offsetsIS3_Lb1EPfPS5_mNS0_19identity_decomposerEEE10hipError_tT1_T2_PT3_SE_jT4_jjP12ihipStream_tbEUlT_E_NS1_11comp_targetILNS1_3genE6ELNS1_11target_archE950ELNS1_3gpuE13ELNS1_3repE0EEENS1_52radix_sort_onesweep_histogram_config_static_selectorELNS0_4arch9wavefront6targetE1EEEvSC_
	.p2align	8
	.type	_ZN7rocprim17ROCPRIM_400000_NS6detail17trampoline_kernelINS0_14default_configENS1_35radix_sort_onesweep_config_selectorIfNS0_10empty_typeEEEZNS1_34radix_sort_onesweep_global_offsetsIS3_Lb1EPfPS5_mNS0_19identity_decomposerEEE10hipError_tT1_T2_PT3_SE_jT4_jjP12ihipStream_tbEUlT_E_NS1_11comp_targetILNS1_3genE6ELNS1_11target_archE950ELNS1_3gpuE13ELNS1_3repE0EEENS1_52radix_sort_onesweep_histogram_config_static_selectorELNS0_4arch9wavefront6targetE1EEEvSC_,@function
_ZN7rocprim17ROCPRIM_400000_NS6detail17trampoline_kernelINS0_14default_configENS1_35radix_sort_onesweep_config_selectorIfNS0_10empty_typeEEEZNS1_34radix_sort_onesweep_global_offsetsIS3_Lb1EPfPS5_mNS0_19identity_decomposerEEE10hipError_tT1_T2_PT3_SE_jT4_jjP12ihipStream_tbEUlT_E_NS1_11comp_targetILNS1_3genE6ELNS1_11target_archE950ELNS1_3gpuE13ELNS1_3repE0EEENS1_52radix_sort_onesweep_histogram_config_static_selectorELNS0_4arch9wavefront6targetE1EEEvSC_: ; @_ZN7rocprim17ROCPRIM_400000_NS6detail17trampoline_kernelINS0_14default_configENS1_35radix_sort_onesweep_config_selectorIfNS0_10empty_typeEEEZNS1_34radix_sort_onesweep_global_offsetsIS3_Lb1EPfPS5_mNS0_19identity_decomposerEEE10hipError_tT1_T2_PT3_SE_jT4_jjP12ihipStream_tbEUlT_E_NS1_11comp_targetILNS1_3genE6ELNS1_11target_archE950ELNS1_3gpuE13ELNS1_3repE0EEENS1_52radix_sort_onesweep_histogram_config_static_selectorELNS0_4arch9wavefront6targetE1EEEvSC_
; %bb.0:
	.section	.rodata,"a",@progbits
	.p2align	6, 0x0
	.amdhsa_kernel _ZN7rocprim17ROCPRIM_400000_NS6detail17trampoline_kernelINS0_14default_configENS1_35radix_sort_onesweep_config_selectorIfNS0_10empty_typeEEEZNS1_34radix_sort_onesweep_global_offsetsIS3_Lb1EPfPS5_mNS0_19identity_decomposerEEE10hipError_tT1_T2_PT3_SE_jT4_jjP12ihipStream_tbEUlT_E_NS1_11comp_targetILNS1_3genE6ELNS1_11target_archE950ELNS1_3gpuE13ELNS1_3repE0EEENS1_52radix_sort_onesweep_histogram_config_static_selectorELNS0_4arch9wavefront6targetE1EEEvSC_
		.amdhsa_group_segment_fixed_size 0
		.amdhsa_private_segment_fixed_size 0
		.amdhsa_kernarg_size 48
		.amdhsa_user_sgpr_count 6
		.amdhsa_user_sgpr_private_segment_buffer 1
		.amdhsa_user_sgpr_dispatch_ptr 0
		.amdhsa_user_sgpr_queue_ptr 0
		.amdhsa_user_sgpr_kernarg_segment_ptr 1
		.amdhsa_user_sgpr_dispatch_id 0
		.amdhsa_user_sgpr_flat_scratch_init 0
		.amdhsa_user_sgpr_kernarg_preload_length 0
		.amdhsa_user_sgpr_kernarg_preload_offset 0
		.amdhsa_user_sgpr_private_segment_size 0
		.amdhsa_uses_dynamic_stack 0
		.amdhsa_system_sgpr_private_segment_wavefront_offset 0
		.amdhsa_system_sgpr_workgroup_id_x 1
		.amdhsa_system_sgpr_workgroup_id_y 0
		.amdhsa_system_sgpr_workgroup_id_z 0
		.amdhsa_system_sgpr_workgroup_info 0
		.amdhsa_system_vgpr_workitem_id 0
		.amdhsa_next_free_vgpr 1
		.amdhsa_next_free_sgpr 0
		.amdhsa_accum_offset 4
		.amdhsa_reserve_vcc 0
		.amdhsa_reserve_flat_scratch 0
		.amdhsa_float_round_mode_32 0
		.amdhsa_float_round_mode_16_64 0
		.amdhsa_float_denorm_mode_32 3
		.amdhsa_float_denorm_mode_16_64 3
		.amdhsa_dx10_clamp 1
		.amdhsa_ieee_mode 1
		.amdhsa_fp16_overflow 0
		.amdhsa_tg_split 0
		.amdhsa_exception_fp_ieee_invalid_op 0
		.amdhsa_exception_fp_denorm_src 0
		.amdhsa_exception_fp_ieee_div_zero 0
		.amdhsa_exception_fp_ieee_overflow 0
		.amdhsa_exception_fp_ieee_underflow 0
		.amdhsa_exception_fp_ieee_inexact 0
		.amdhsa_exception_int_div_zero 0
	.end_amdhsa_kernel
	.section	.text._ZN7rocprim17ROCPRIM_400000_NS6detail17trampoline_kernelINS0_14default_configENS1_35radix_sort_onesweep_config_selectorIfNS0_10empty_typeEEEZNS1_34radix_sort_onesweep_global_offsetsIS3_Lb1EPfPS5_mNS0_19identity_decomposerEEE10hipError_tT1_T2_PT3_SE_jT4_jjP12ihipStream_tbEUlT_E_NS1_11comp_targetILNS1_3genE6ELNS1_11target_archE950ELNS1_3gpuE13ELNS1_3repE0EEENS1_52radix_sort_onesweep_histogram_config_static_selectorELNS0_4arch9wavefront6targetE1EEEvSC_,"axG",@progbits,_ZN7rocprim17ROCPRIM_400000_NS6detail17trampoline_kernelINS0_14default_configENS1_35radix_sort_onesweep_config_selectorIfNS0_10empty_typeEEEZNS1_34radix_sort_onesweep_global_offsetsIS3_Lb1EPfPS5_mNS0_19identity_decomposerEEE10hipError_tT1_T2_PT3_SE_jT4_jjP12ihipStream_tbEUlT_E_NS1_11comp_targetILNS1_3genE6ELNS1_11target_archE950ELNS1_3gpuE13ELNS1_3repE0EEENS1_52radix_sort_onesweep_histogram_config_static_selectorELNS0_4arch9wavefront6targetE1EEEvSC_,comdat
.Lfunc_end2529:
	.size	_ZN7rocprim17ROCPRIM_400000_NS6detail17trampoline_kernelINS0_14default_configENS1_35radix_sort_onesweep_config_selectorIfNS0_10empty_typeEEEZNS1_34radix_sort_onesweep_global_offsetsIS3_Lb1EPfPS5_mNS0_19identity_decomposerEEE10hipError_tT1_T2_PT3_SE_jT4_jjP12ihipStream_tbEUlT_E_NS1_11comp_targetILNS1_3genE6ELNS1_11target_archE950ELNS1_3gpuE13ELNS1_3repE0EEENS1_52radix_sort_onesweep_histogram_config_static_selectorELNS0_4arch9wavefront6targetE1EEEvSC_, .Lfunc_end2529-_ZN7rocprim17ROCPRIM_400000_NS6detail17trampoline_kernelINS0_14default_configENS1_35radix_sort_onesweep_config_selectorIfNS0_10empty_typeEEEZNS1_34radix_sort_onesweep_global_offsetsIS3_Lb1EPfPS5_mNS0_19identity_decomposerEEE10hipError_tT1_T2_PT3_SE_jT4_jjP12ihipStream_tbEUlT_E_NS1_11comp_targetILNS1_3genE6ELNS1_11target_archE950ELNS1_3gpuE13ELNS1_3repE0EEENS1_52radix_sort_onesweep_histogram_config_static_selectorELNS0_4arch9wavefront6targetE1EEEvSC_
                                        ; -- End function
	.section	.AMDGPU.csdata,"",@progbits
; Kernel info:
; codeLenInByte = 0
; NumSgprs: 4
; NumVgprs: 0
; NumAgprs: 0
; TotalNumVgprs: 0
; ScratchSize: 0
; MemoryBound: 0
; FloatMode: 240
; IeeeMode: 1
; LDSByteSize: 0 bytes/workgroup (compile time only)
; SGPRBlocks: 0
; VGPRBlocks: 0
; NumSGPRsForWavesPerEU: 4
; NumVGPRsForWavesPerEU: 1
; AccumOffset: 4
; Occupancy: 8
; WaveLimiterHint : 0
; COMPUTE_PGM_RSRC2:SCRATCH_EN: 0
; COMPUTE_PGM_RSRC2:USER_SGPR: 6
; COMPUTE_PGM_RSRC2:TRAP_HANDLER: 0
; COMPUTE_PGM_RSRC2:TGID_X_EN: 1
; COMPUTE_PGM_RSRC2:TGID_Y_EN: 0
; COMPUTE_PGM_RSRC2:TGID_Z_EN: 0
; COMPUTE_PGM_RSRC2:TIDIG_COMP_CNT: 0
; COMPUTE_PGM_RSRC3_GFX90A:ACCUM_OFFSET: 0
; COMPUTE_PGM_RSRC3_GFX90A:TG_SPLIT: 0
	.section	.text._ZN7rocprim17ROCPRIM_400000_NS6detail17trampoline_kernelINS0_14default_configENS1_35radix_sort_onesweep_config_selectorIfNS0_10empty_typeEEEZNS1_34radix_sort_onesweep_global_offsetsIS3_Lb1EPfPS5_mNS0_19identity_decomposerEEE10hipError_tT1_T2_PT3_SE_jT4_jjP12ihipStream_tbEUlT_E_NS1_11comp_targetILNS1_3genE5ELNS1_11target_archE942ELNS1_3gpuE9ELNS1_3repE0EEENS1_52radix_sort_onesweep_histogram_config_static_selectorELNS0_4arch9wavefront6targetE1EEEvSC_,"axG",@progbits,_ZN7rocprim17ROCPRIM_400000_NS6detail17trampoline_kernelINS0_14default_configENS1_35radix_sort_onesweep_config_selectorIfNS0_10empty_typeEEEZNS1_34radix_sort_onesweep_global_offsetsIS3_Lb1EPfPS5_mNS0_19identity_decomposerEEE10hipError_tT1_T2_PT3_SE_jT4_jjP12ihipStream_tbEUlT_E_NS1_11comp_targetILNS1_3genE5ELNS1_11target_archE942ELNS1_3gpuE9ELNS1_3repE0EEENS1_52radix_sort_onesweep_histogram_config_static_selectorELNS0_4arch9wavefront6targetE1EEEvSC_,comdat
	.protected	_ZN7rocprim17ROCPRIM_400000_NS6detail17trampoline_kernelINS0_14default_configENS1_35radix_sort_onesweep_config_selectorIfNS0_10empty_typeEEEZNS1_34radix_sort_onesweep_global_offsetsIS3_Lb1EPfPS5_mNS0_19identity_decomposerEEE10hipError_tT1_T2_PT3_SE_jT4_jjP12ihipStream_tbEUlT_E_NS1_11comp_targetILNS1_3genE5ELNS1_11target_archE942ELNS1_3gpuE9ELNS1_3repE0EEENS1_52radix_sort_onesweep_histogram_config_static_selectorELNS0_4arch9wavefront6targetE1EEEvSC_ ; -- Begin function _ZN7rocprim17ROCPRIM_400000_NS6detail17trampoline_kernelINS0_14default_configENS1_35radix_sort_onesweep_config_selectorIfNS0_10empty_typeEEEZNS1_34radix_sort_onesweep_global_offsetsIS3_Lb1EPfPS5_mNS0_19identity_decomposerEEE10hipError_tT1_T2_PT3_SE_jT4_jjP12ihipStream_tbEUlT_E_NS1_11comp_targetILNS1_3genE5ELNS1_11target_archE942ELNS1_3gpuE9ELNS1_3repE0EEENS1_52radix_sort_onesweep_histogram_config_static_selectorELNS0_4arch9wavefront6targetE1EEEvSC_
	.globl	_ZN7rocprim17ROCPRIM_400000_NS6detail17trampoline_kernelINS0_14default_configENS1_35radix_sort_onesweep_config_selectorIfNS0_10empty_typeEEEZNS1_34radix_sort_onesweep_global_offsetsIS3_Lb1EPfPS5_mNS0_19identity_decomposerEEE10hipError_tT1_T2_PT3_SE_jT4_jjP12ihipStream_tbEUlT_E_NS1_11comp_targetILNS1_3genE5ELNS1_11target_archE942ELNS1_3gpuE9ELNS1_3repE0EEENS1_52radix_sort_onesweep_histogram_config_static_selectorELNS0_4arch9wavefront6targetE1EEEvSC_
	.p2align	8
	.type	_ZN7rocprim17ROCPRIM_400000_NS6detail17trampoline_kernelINS0_14default_configENS1_35radix_sort_onesweep_config_selectorIfNS0_10empty_typeEEEZNS1_34radix_sort_onesweep_global_offsetsIS3_Lb1EPfPS5_mNS0_19identity_decomposerEEE10hipError_tT1_T2_PT3_SE_jT4_jjP12ihipStream_tbEUlT_E_NS1_11comp_targetILNS1_3genE5ELNS1_11target_archE942ELNS1_3gpuE9ELNS1_3repE0EEENS1_52radix_sort_onesweep_histogram_config_static_selectorELNS0_4arch9wavefront6targetE1EEEvSC_,@function
_ZN7rocprim17ROCPRIM_400000_NS6detail17trampoline_kernelINS0_14default_configENS1_35radix_sort_onesweep_config_selectorIfNS0_10empty_typeEEEZNS1_34radix_sort_onesweep_global_offsetsIS3_Lb1EPfPS5_mNS0_19identity_decomposerEEE10hipError_tT1_T2_PT3_SE_jT4_jjP12ihipStream_tbEUlT_E_NS1_11comp_targetILNS1_3genE5ELNS1_11target_archE942ELNS1_3gpuE9ELNS1_3repE0EEENS1_52radix_sort_onesweep_histogram_config_static_selectorELNS0_4arch9wavefront6targetE1EEEvSC_: ; @_ZN7rocprim17ROCPRIM_400000_NS6detail17trampoline_kernelINS0_14default_configENS1_35radix_sort_onesweep_config_selectorIfNS0_10empty_typeEEEZNS1_34radix_sort_onesweep_global_offsetsIS3_Lb1EPfPS5_mNS0_19identity_decomposerEEE10hipError_tT1_T2_PT3_SE_jT4_jjP12ihipStream_tbEUlT_E_NS1_11comp_targetILNS1_3genE5ELNS1_11target_archE942ELNS1_3gpuE9ELNS1_3repE0EEENS1_52radix_sort_onesweep_histogram_config_static_selectorELNS0_4arch9wavefront6targetE1EEEvSC_
; %bb.0:
	.section	.rodata,"a",@progbits
	.p2align	6, 0x0
	.amdhsa_kernel _ZN7rocprim17ROCPRIM_400000_NS6detail17trampoline_kernelINS0_14default_configENS1_35radix_sort_onesweep_config_selectorIfNS0_10empty_typeEEEZNS1_34radix_sort_onesweep_global_offsetsIS3_Lb1EPfPS5_mNS0_19identity_decomposerEEE10hipError_tT1_T2_PT3_SE_jT4_jjP12ihipStream_tbEUlT_E_NS1_11comp_targetILNS1_3genE5ELNS1_11target_archE942ELNS1_3gpuE9ELNS1_3repE0EEENS1_52radix_sort_onesweep_histogram_config_static_selectorELNS0_4arch9wavefront6targetE1EEEvSC_
		.amdhsa_group_segment_fixed_size 0
		.amdhsa_private_segment_fixed_size 0
		.amdhsa_kernarg_size 48
		.amdhsa_user_sgpr_count 6
		.amdhsa_user_sgpr_private_segment_buffer 1
		.amdhsa_user_sgpr_dispatch_ptr 0
		.amdhsa_user_sgpr_queue_ptr 0
		.amdhsa_user_sgpr_kernarg_segment_ptr 1
		.amdhsa_user_sgpr_dispatch_id 0
		.amdhsa_user_sgpr_flat_scratch_init 0
		.amdhsa_user_sgpr_kernarg_preload_length 0
		.amdhsa_user_sgpr_kernarg_preload_offset 0
		.amdhsa_user_sgpr_private_segment_size 0
		.amdhsa_uses_dynamic_stack 0
		.amdhsa_system_sgpr_private_segment_wavefront_offset 0
		.amdhsa_system_sgpr_workgroup_id_x 1
		.amdhsa_system_sgpr_workgroup_id_y 0
		.amdhsa_system_sgpr_workgroup_id_z 0
		.amdhsa_system_sgpr_workgroup_info 0
		.amdhsa_system_vgpr_workitem_id 0
		.amdhsa_next_free_vgpr 1
		.amdhsa_next_free_sgpr 0
		.amdhsa_accum_offset 4
		.amdhsa_reserve_vcc 0
		.amdhsa_reserve_flat_scratch 0
		.amdhsa_float_round_mode_32 0
		.amdhsa_float_round_mode_16_64 0
		.amdhsa_float_denorm_mode_32 3
		.amdhsa_float_denorm_mode_16_64 3
		.amdhsa_dx10_clamp 1
		.amdhsa_ieee_mode 1
		.amdhsa_fp16_overflow 0
		.amdhsa_tg_split 0
		.amdhsa_exception_fp_ieee_invalid_op 0
		.amdhsa_exception_fp_denorm_src 0
		.amdhsa_exception_fp_ieee_div_zero 0
		.amdhsa_exception_fp_ieee_overflow 0
		.amdhsa_exception_fp_ieee_underflow 0
		.amdhsa_exception_fp_ieee_inexact 0
		.amdhsa_exception_int_div_zero 0
	.end_amdhsa_kernel
	.section	.text._ZN7rocprim17ROCPRIM_400000_NS6detail17trampoline_kernelINS0_14default_configENS1_35radix_sort_onesweep_config_selectorIfNS0_10empty_typeEEEZNS1_34radix_sort_onesweep_global_offsetsIS3_Lb1EPfPS5_mNS0_19identity_decomposerEEE10hipError_tT1_T2_PT3_SE_jT4_jjP12ihipStream_tbEUlT_E_NS1_11comp_targetILNS1_3genE5ELNS1_11target_archE942ELNS1_3gpuE9ELNS1_3repE0EEENS1_52radix_sort_onesweep_histogram_config_static_selectorELNS0_4arch9wavefront6targetE1EEEvSC_,"axG",@progbits,_ZN7rocprim17ROCPRIM_400000_NS6detail17trampoline_kernelINS0_14default_configENS1_35radix_sort_onesweep_config_selectorIfNS0_10empty_typeEEEZNS1_34radix_sort_onesweep_global_offsetsIS3_Lb1EPfPS5_mNS0_19identity_decomposerEEE10hipError_tT1_T2_PT3_SE_jT4_jjP12ihipStream_tbEUlT_E_NS1_11comp_targetILNS1_3genE5ELNS1_11target_archE942ELNS1_3gpuE9ELNS1_3repE0EEENS1_52radix_sort_onesweep_histogram_config_static_selectorELNS0_4arch9wavefront6targetE1EEEvSC_,comdat
.Lfunc_end2530:
	.size	_ZN7rocprim17ROCPRIM_400000_NS6detail17trampoline_kernelINS0_14default_configENS1_35radix_sort_onesweep_config_selectorIfNS0_10empty_typeEEEZNS1_34radix_sort_onesweep_global_offsetsIS3_Lb1EPfPS5_mNS0_19identity_decomposerEEE10hipError_tT1_T2_PT3_SE_jT4_jjP12ihipStream_tbEUlT_E_NS1_11comp_targetILNS1_3genE5ELNS1_11target_archE942ELNS1_3gpuE9ELNS1_3repE0EEENS1_52radix_sort_onesweep_histogram_config_static_selectorELNS0_4arch9wavefront6targetE1EEEvSC_, .Lfunc_end2530-_ZN7rocprim17ROCPRIM_400000_NS6detail17trampoline_kernelINS0_14default_configENS1_35radix_sort_onesweep_config_selectorIfNS0_10empty_typeEEEZNS1_34radix_sort_onesweep_global_offsetsIS3_Lb1EPfPS5_mNS0_19identity_decomposerEEE10hipError_tT1_T2_PT3_SE_jT4_jjP12ihipStream_tbEUlT_E_NS1_11comp_targetILNS1_3genE5ELNS1_11target_archE942ELNS1_3gpuE9ELNS1_3repE0EEENS1_52radix_sort_onesweep_histogram_config_static_selectorELNS0_4arch9wavefront6targetE1EEEvSC_
                                        ; -- End function
	.section	.AMDGPU.csdata,"",@progbits
; Kernel info:
; codeLenInByte = 0
; NumSgprs: 4
; NumVgprs: 0
; NumAgprs: 0
; TotalNumVgprs: 0
; ScratchSize: 0
; MemoryBound: 0
; FloatMode: 240
; IeeeMode: 1
; LDSByteSize: 0 bytes/workgroup (compile time only)
; SGPRBlocks: 0
; VGPRBlocks: 0
; NumSGPRsForWavesPerEU: 4
; NumVGPRsForWavesPerEU: 1
; AccumOffset: 4
; Occupancy: 8
; WaveLimiterHint : 0
; COMPUTE_PGM_RSRC2:SCRATCH_EN: 0
; COMPUTE_PGM_RSRC2:USER_SGPR: 6
; COMPUTE_PGM_RSRC2:TRAP_HANDLER: 0
; COMPUTE_PGM_RSRC2:TGID_X_EN: 1
; COMPUTE_PGM_RSRC2:TGID_Y_EN: 0
; COMPUTE_PGM_RSRC2:TGID_Z_EN: 0
; COMPUTE_PGM_RSRC2:TIDIG_COMP_CNT: 0
; COMPUTE_PGM_RSRC3_GFX90A:ACCUM_OFFSET: 0
; COMPUTE_PGM_RSRC3_GFX90A:TG_SPLIT: 0
	.section	.text._ZN7rocprim17ROCPRIM_400000_NS6detail17trampoline_kernelINS0_14default_configENS1_35radix_sort_onesweep_config_selectorIfNS0_10empty_typeEEEZNS1_34radix_sort_onesweep_global_offsetsIS3_Lb1EPfPS5_mNS0_19identity_decomposerEEE10hipError_tT1_T2_PT3_SE_jT4_jjP12ihipStream_tbEUlT_E_NS1_11comp_targetILNS1_3genE2ELNS1_11target_archE906ELNS1_3gpuE6ELNS1_3repE0EEENS1_52radix_sort_onesweep_histogram_config_static_selectorELNS0_4arch9wavefront6targetE1EEEvSC_,"axG",@progbits,_ZN7rocprim17ROCPRIM_400000_NS6detail17trampoline_kernelINS0_14default_configENS1_35radix_sort_onesweep_config_selectorIfNS0_10empty_typeEEEZNS1_34radix_sort_onesweep_global_offsetsIS3_Lb1EPfPS5_mNS0_19identity_decomposerEEE10hipError_tT1_T2_PT3_SE_jT4_jjP12ihipStream_tbEUlT_E_NS1_11comp_targetILNS1_3genE2ELNS1_11target_archE906ELNS1_3gpuE6ELNS1_3repE0EEENS1_52radix_sort_onesweep_histogram_config_static_selectorELNS0_4arch9wavefront6targetE1EEEvSC_,comdat
	.protected	_ZN7rocprim17ROCPRIM_400000_NS6detail17trampoline_kernelINS0_14default_configENS1_35radix_sort_onesweep_config_selectorIfNS0_10empty_typeEEEZNS1_34radix_sort_onesweep_global_offsetsIS3_Lb1EPfPS5_mNS0_19identity_decomposerEEE10hipError_tT1_T2_PT3_SE_jT4_jjP12ihipStream_tbEUlT_E_NS1_11comp_targetILNS1_3genE2ELNS1_11target_archE906ELNS1_3gpuE6ELNS1_3repE0EEENS1_52radix_sort_onesweep_histogram_config_static_selectorELNS0_4arch9wavefront6targetE1EEEvSC_ ; -- Begin function _ZN7rocprim17ROCPRIM_400000_NS6detail17trampoline_kernelINS0_14default_configENS1_35radix_sort_onesweep_config_selectorIfNS0_10empty_typeEEEZNS1_34radix_sort_onesweep_global_offsetsIS3_Lb1EPfPS5_mNS0_19identity_decomposerEEE10hipError_tT1_T2_PT3_SE_jT4_jjP12ihipStream_tbEUlT_E_NS1_11comp_targetILNS1_3genE2ELNS1_11target_archE906ELNS1_3gpuE6ELNS1_3repE0EEENS1_52radix_sort_onesweep_histogram_config_static_selectorELNS0_4arch9wavefront6targetE1EEEvSC_
	.globl	_ZN7rocprim17ROCPRIM_400000_NS6detail17trampoline_kernelINS0_14default_configENS1_35radix_sort_onesweep_config_selectorIfNS0_10empty_typeEEEZNS1_34radix_sort_onesweep_global_offsetsIS3_Lb1EPfPS5_mNS0_19identity_decomposerEEE10hipError_tT1_T2_PT3_SE_jT4_jjP12ihipStream_tbEUlT_E_NS1_11comp_targetILNS1_3genE2ELNS1_11target_archE906ELNS1_3gpuE6ELNS1_3repE0EEENS1_52radix_sort_onesweep_histogram_config_static_selectorELNS0_4arch9wavefront6targetE1EEEvSC_
	.p2align	8
	.type	_ZN7rocprim17ROCPRIM_400000_NS6detail17trampoline_kernelINS0_14default_configENS1_35radix_sort_onesweep_config_selectorIfNS0_10empty_typeEEEZNS1_34radix_sort_onesweep_global_offsetsIS3_Lb1EPfPS5_mNS0_19identity_decomposerEEE10hipError_tT1_T2_PT3_SE_jT4_jjP12ihipStream_tbEUlT_E_NS1_11comp_targetILNS1_3genE2ELNS1_11target_archE906ELNS1_3gpuE6ELNS1_3repE0EEENS1_52radix_sort_onesweep_histogram_config_static_selectorELNS0_4arch9wavefront6targetE1EEEvSC_,@function
_ZN7rocprim17ROCPRIM_400000_NS6detail17trampoline_kernelINS0_14default_configENS1_35radix_sort_onesweep_config_selectorIfNS0_10empty_typeEEEZNS1_34radix_sort_onesweep_global_offsetsIS3_Lb1EPfPS5_mNS0_19identity_decomposerEEE10hipError_tT1_T2_PT3_SE_jT4_jjP12ihipStream_tbEUlT_E_NS1_11comp_targetILNS1_3genE2ELNS1_11target_archE906ELNS1_3gpuE6ELNS1_3repE0EEENS1_52radix_sort_onesweep_histogram_config_static_selectorELNS0_4arch9wavefront6targetE1EEEvSC_: ; @_ZN7rocprim17ROCPRIM_400000_NS6detail17trampoline_kernelINS0_14default_configENS1_35radix_sort_onesweep_config_selectorIfNS0_10empty_typeEEEZNS1_34radix_sort_onesweep_global_offsetsIS3_Lb1EPfPS5_mNS0_19identity_decomposerEEE10hipError_tT1_T2_PT3_SE_jT4_jjP12ihipStream_tbEUlT_E_NS1_11comp_targetILNS1_3genE2ELNS1_11target_archE906ELNS1_3gpuE6ELNS1_3repE0EEENS1_52radix_sort_onesweep_histogram_config_static_selectorELNS0_4arch9wavefront6targetE1EEEvSC_
; %bb.0:
	.section	.rodata,"a",@progbits
	.p2align	6, 0x0
	.amdhsa_kernel _ZN7rocprim17ROCPRIM_400000_NS6detail17trampoline_kernelINS0_14default_configENS1_35radix_sort_onesweep_config_selectorIfNS0_10empty_typeEEEZNS1_34radix_sort_onesweep_global_offsetsIS3_Lb1EPfPS5_mNS0_19identity_decomposerEEE10hipError_tT1_T2_PT3_SE_jT4_jjP12ihipStream_tbEUlT_E_NS1_11comp_targetILNS1_3genE2ELNS1_11target_archE906ELNS1_3gpuE6ELNS1_3repE0EEENS1_52radix_sort_onesweep_histogram_config_static_selectorELNS0_4arch9wavefront6targetE1EEEvSC_
		.amdhsa_group_segment_fixed_size 0
		.amdhsa_private_segment_fixed_size 0
		.amdhsa_kernarg_size 48
		.amdhsa_user_sgpr_count 6
		.amdhsa_user_sgpr_private_segment_buffer 1
		.amdhsa_user_sgpr_dispatch_ptr 0
		.amdhsa_user_sgpr_queue_ptr 0
		.amdhsa_user_sgpr_kernarg_segment_ptr 1
		.amdhsa_user_sgpr_dispatch_id 0
		.amdhsa_user_sgpr_flat_scratch_init 0
		.amdhsa_user_sgpr_kernarg_preload_length 0
		.amdhsa_user_sgpr_kernarg_preload_offset 0
		.amdhsa_user_sgpr_private_segment_size 0
		.amdhsa_uses_dynamic_stack 0
		.amdhsa_system_sgpr_private_segment_wavefront_offset 0
		.amdhsa_system_sgpr_workgroup_id_x 1
		.amdhsa_system_sgpr_workgroup_id_y 0
		.amdhsa_system_sgpr_workgroup_id_z 0
		.amdhsa_system_sgpr_workgroup_info 0
		.amdhsa_system_vgpr_workitem_id 0
		.amdhsa_next_free_vgpr 1
		.amdhsa_next_free_sgpr 0
		.amdhsa_accum_offset 4
		.amdhsa_reserve_vcc 0
		.amdhsa_reserve_flat_scratch 0
		.amdhsa_float_round_mode_32 0
		.amdhsa_float_round_mode_16_64 0
		.amdhsa_float_denorm_mode_32 3
		.amdhsa_float_denorm_mode_16_64 3
		.amdhsa_dx10_clamp 1
		.amdhsa_ieee_mode 1
		.amdhsa_fp16_overflow 0
		.amdhsa_tg_split 0
		.amdhsa_exception_fp_ieee_invalid_op 0
		.amdhsa_exception_fp_denorm_src 0
		.amdhsa_exception_fp_ieee_div_zero 0
		.amdhsa_exception_fp_ieee_overflow 0
		.amdhsa_exception_fp_ieee_underflow 0
		.amdhsa_exception_fp_ieee_inexact 0
		.amdhsa_exception_int_div_zero 0
	.end_amdhsa_kernel
	.section	.text._ZN7rocprim17ROCPRIM_400000_NS6detail17trampoline_kernelINS0_14default_configENS1_35radix_sort_onesweep_config_selectorIfNS0_10empty_typeEEEZNS1_34radix_sort_onesweep_global_offsetsIS3_Lb1EPfPS5_mNS0_19identity_decomposerEEE10hipError_tT1_T2_PT3_SE_jT4_jjP12ihipStream_tbEUlT_E_NS1_11comp_targetILNS1_3genE2ELNS1_11target_archE906ELNS1_3gpuE6ELNS1_3repE0EEENS1_52radix_sort_onesweep_histogram_config_static_selectorELNS0_4arch9wavefront6targetE1EEEvSC_,"axG",@progbits,_ZN7rocprim17ROCPRIM_400000_NS6detail17trampoline_kernelINS0_14default_configENS1_35radix_sort_onesweep_config_selectorIfNS0_10empty_typeEEEZNS1_34radix_sort_onesweep_global_offsetsIS3_Lb1EPfPS5_mNS0_19identity_decomposerEEE10hipError_tT1_T2_PT3_SE_jT4_jjP12ihipStream_tbEUlT_E_NS1_11comp_targetILNS1_3genE2ELNS1_11target_archE906ELNS1_3gpuE6ELNS1_3repE0EEENS1_52radix_sort_onesweep_histogram_config_static_selectorELNS0_4arch9wavefront6targetE1EEEvSC_,comdat
.Lfunc_end2531:
	.size	_ZN7rocprim17ROCPRIM_400000_NS6detail17trampoline_kernelINS0_14default_configENS1_35radix_sort_onesweep_config_selectorIfNS0_10empty_typeEEEZNS1_34radix_sort_onesweep_global_offsetsIS3_Lb1EPfPS5_mNS0_19identity_decomposerEEE10hipError_tT1_T2_PT3_SE_jT4_jjP12ihipStream_tbEUlT_E_NS1_11comp_targetILNS1_3genE2ELNS1_11target_archE906ELNS1_3gpuE6ELNS1_3repE0EEENS1_52radix_sort_onesweep_histogram_config_static_selectorELNS0_4arch9wavefront6targetE1EEEvSC_, .Lfunc_end2531-_ZN7rocprim17ROCPRIM_400000_NS6detail17trampoline_kernelINS0_14default_configENS1_35radix_sort_onesweep_config_selectorIfNS0_10empty_typeEEEZNS1_34radix_sort_onesweep_global_offsetsIS3_Lb1EPfPS5_mNS0_19identity_decomposerEEE10hipError_tT1_T2_PT3_SE_jT4_jjP12ihipStream_tbEUlT_E_NS1_11comp_targetILNS1_3genE2ELNS1_11target_archE906ELNS1_3gpuE6ELNS1_3repE0EEENS1_52radix_sort_onesweep_histogram_config_static_selectorELNS0_4arch9wavefront6targetE1EEEvSC_
                                        ; -- End function
	.section	.AMDGPU.csdata,"",@progbits
; Kernel info:
; codeLenInByte = 0
; NumSgprs: 4
; NumVgprs: 0
; NumAgprs: 0
; TotalNumVgprs: 0
; ScratchSize: 0
; MemoryBound: 0
; FloatMode: 240
; IeeeMode: 1
; LDSByteSize: 0 bytes/workgroup (compile time only)
; SGPRBlocks: 0
; VGPRBlocks: 0
; NumSGPRsForWavesPerEU: 4
; NumVGPRsForWavesPerEU: 1
; AccumOffset: 4
; Occupancy: 8
; WaveLimiterHint : 0
; COMPUTE_PGM_RSRC2:SCRATCH_EN: 0
; COMPUTE_PGM_RSRC2:USER_SGPR: 6
; COMPUTE_PGM_RSRC2:TRAP_HANDLER: 0
; COMPUTE_PGM_RSRC2:TGID_X_EN: 1
; COMPUTE_PGM_RSRC2:TGID_Y_EN: 0
; COMPUTE_PGM_RSRC2:TGID_Z_EN: 0
; COMPUTE_PGM_RSRC2:TIDIG_COMP_CNT: 0
; COMPUTE_PGM_RSRC3_GFX90A:ACCUM_OFFSET: 0
; COMPUTE_PGM_RSRC3_GFX90A:TG_SPLIT: 0
	.section	.text._ZN7rocprim17ROCPRIM_400000_NS6detail17trampoline_kernelINS0_14default_configENS1_35radix_sort_onesweep_config_selectorIfNS0_10empty_typeEEEZNS1_34radix_sort_onesweep_global_offsetsIS3_Lb1EPfPS5_mNS0_19identity_decomposerEEE10hipError_tT1_T2_PT3_SE_jT4_jjP12ihipStream_tbEUlT_E_NS1_11comp_targetILNS1_3genE4ELNS1_11target_archE910ELNS1_3gpuE8ELNS1_3repE0EEENS1_52radix_sort_onesweep_histogram_config_static_selectorELNS0_4arch9wavefront6targetE1EEEvSC_,"axG",@progbits,_ZN7rocprim17ROCPRIM_400000_NS6detail17trampoline_kernelINS0_14default_configENS1_35radix_sort_onesweep_config_selectorIfNS0_10empty_typeEEEZNS1_34radix_sort_onesweep_global_offsetsIS3_Lb1EPfPS5_mNS0_19identity_decomposerEEE10hipError_tT1_T2_PT3_SE_jT4_jjP12ihipStream_tbEUlT_E_NS1_11comp_targetILNS1_3genE4ELNS1_11target_archE910ELNS1_3gpuE8ELNS1_3repE0EEENS1_52radix_sort_onesweep_histogram_config_static_selectorELNS0_4arch9wavefront6targetE1EEEvSC_,comdat
	.protected	_ZN7rocprim17ROCPRIM_400000_NS6detail17trampoline_kernelINS0_14default_configENS1_35radix_sort_onesweep_config_selectorIfNS0_10empty_typeEEEZNS1_34radix_sort_onesweep_global_offsetsIS3_Lb1EPfPS5_mNS0_19identity_decomposerEEE10hipError_tT1_T2_PT3_SE_jT4_jjP12ihipStream_tbEUlT_E_NS1_11comp_targetILNS1_3genE4ELNS1_11target_archE910ELNS1_3gpuE8ELNS1_3repE0EEENS1_52radix_sort_onesweep_histogram_config_static_selectorELNS0_4arch9wavefront6targetE1EEEvSC_ ; -- Begin function _ZN7rocprim17ROCPRIM_400000_NS6detail17trampoline_kernelINS0_14default_configENS1_35radix_sort_onesweep_config_selectorIfNS0_10empty_typeEEEZNS1_34radix_sort_onesweep_global_offsetsIS3_Lb1EPfPS5_mNS0_19identity_decomposerEEE10hipError_tT1_T2_PT3_SE_jT4_jjP12ihipStream_tbEUlT_E_NS1_11comp_targetILNS1_3genE4ELNS1_11target_archE910ELNS1_3gpuE8ELNS1_3repE0EEENS1_52radix_sort_onesweep_histogram_config_static_selectorELNS0_4arch9wavefront6targetE1EEEvSC_
	.globl	_ZN7rocprim17ROCPRIM_400000_NS6detail17trampoline_kernelINS0_14default_configENS1_35radix_sort_onesweep_config_selectorIfNS0_10empty_typeEEEZNS1_34radix_sort_onesweep_global_offsetsIS3_Lb1EPfPS5_mNS0_19identity_decomposerEEE10hipError_tT1_T2_PT3_SE_jT4_jjP12ihipStream_tbEUlT_E_NS1_11comp_targetILNS1_3genE4ELNS1_11target_archE910ELNS1_3gpuE8ELNS1_3repE0EEENS1_52radix_sort_onesweep_histogram_config_static_selectorELNS0_4arch9wavefront6targetE1EEEvSC_
	.p2align	8
	.type	_ZN7rocprim17ROCPRIM_400000_NS6detail17trampoline_kernelINS0_14default_configENS1_35radix_sort_onesweep_config_selectorIfNS0_10empty_typeEEEZNS1_34radix_sort_onesweep_global_offsetsIS3_Lb1EPfPS5_mNS0_19identity_decomposerEEE10hipError_tT1_T2_PT3_SE_jT4_jjP12ihipStream_tbEUlT_E_NS1_11comp_targetILNS1_3genE4ELNS1_11target_archE910ELNS1_3gpuE8ELNS1_3repE0EEENS1_52radix_sort_onesweep_histogram_config_static_selectorELNS0_4arch9wavefront6targetE1EEEvSC_,@function
_ZN7rocprim17ROCPRIM_400000_NS6detail17trampoline_kernelINS0_14default_configENS1_35radix_sort_onesweep_config_selectorIfNS0_10empty_typeEEEZNS1_34radix_sort_onesweep_global_offsetsIS3_Lb1EPfPS5_mNS0_19identity_decomposerEEE10hipError_tT1_T2_PT3_SE_jT4_jjP12ihipStream_tbEUlT_E_NS1_11comp_targetILNS1_3genE4ELNS1_11target_archE910ELNS1_3gpuE8ELNS1_3repE0EEENS1_52radix_sort_onesweep_histogram_config_static_selectorELNS0_4arch9wavefront6targetE1EEEvSC_: ; @_ZN7rocprim17ROCPRIM_400000_NS6detail17trampoline_kernelINS0_14default_configENS1_35radix_sort_onesweep_config_selectorIfNS0_10empty_typeEEEZNS1_34radix_sort_onesweep_global_offsetsIS3_Lb1EPfPS5_mNS0_19identity_decomposerEEE10hipError_tT1_T2_PT3_SE_jT4_jjP12ihipStream_tbEUlT_E_NS1_11comp_targetILNS1_3genE4ELNS1_11target_archE910ELNS1_3gpuE8ELNS1_3repE0EEENS1_52radix_sort_onesweep_histogram_config_static_selectorELNS0_4arch9wavefront6targetE1EEEvSC_
; %bb.0:
	s_load_dwordx2 s[10:11], s[4:5], 0x18
	s_load_dwordx4 s[0:3], s[4:5], 0x0
	s_load_dwordx2 s[8:9], s[4:5], 0x24
	v_mov_b32_e32 v2, s6
	v_mov_b32_e32 v3, 0
	s_mul_hi_u32 s7, s6, 0xc000
	s_mul_i32 s6, s6, 0xc000
	s_waitcnt lgkmcnt(0)
	v_cmp_le_u64_e32 vcc, s[10:11], v[2:3]
	s_add_u32 s6, s0, s6
	s_addc_u32 s7, s1, s7
	s_mov_b64 s[0:1], -1
	s_cbranch_vccz .LBB2532_235
; %bb.1:
	s_load_dword s16, s[4:5], 0x10
	s_mul_i32 s0, s10, 0xffffd000
                                        ; implicit-def: $vgpr24
	s_waitcnt lgkmcnt(0)
	s_add_i32 s16, s16, s0
	v_cmp_gt_u32_e32 vcc, s16, v0
	s_and_saveexec_b64 s[0:1], vcc
	s_cbranch_execz .LBB2532_3
; %bb.2:
	v_lshlrev_b32_e32 v1, 2, v0
	global_load_dword v24, v1, s[6:7]
.LBB2532_3:
	s_or_b64 exec, exec, s[0:1]
	v_or_b32_e32 v22, 0x400, v0
	v_cmp_gt_u32_e32 vcc, s16, v22
                                        ; implicit-def: $vgpr23
	s_and_saveexec_b64 s[0:1], vcc
	s_cbranch_execz .LBB2532_5
; %bb.4:
	v_lshlrev_b32_e32 v1, 2, v22
	global_load_dword v23, v1, s[6:7]
.LBB2532_5:
	s_or_b64 exec, exec, s[0:1]
	v_or_b32_e32 v20, 0x800, v0
	v_cmp_gt_u32_e32 vcc, s16, v20
                                        ; implicit-def: $vgpr21
	s_and_saveexec_b64 s[0:1], vcc
	s_cbranch_execz .LBB2532_7
; %bb.6:
	v_lshlrev_b32_e32 v1, 2, v20
	global_load_dword v21, v1, s[6:7]
.LBB2532_7:
	s_or_b64 exec, exec, s[0:1]
	v_or_b32_e32 v18, 0xc00, v0
	v_cmp_gt_u32_e32 vcc, s16, v18
                                        ; implicit-def: $vgpr19
	s_and_saveexec_b64 s[0:1], vcc
	s_cbranch_execz .LBB2532_9
; %bb.8:
	v_lshlrev_b32_e32 v1, 2, v18
	global_load_dword v19, v1, s[6:7]
.LBB2532_9:
	s_or_b64 exec, exec, s[0:1]
	v_or_b32_e32 v16, 0x1000, v0
	v_cmp_gt_u32_e32 vcc, s16, v16
                                        ; implicit-def: $vgpr17
	s_and_saveexec_b64 s[0:1], vcc
	s_cbranch_execz .LBB2532_11
; %bb.10:
	v_lshlrev_b32_e32 v1, 2, v16
	global_load_dword v17, v1, s[6:7]
.LBB2532_11:
	s_or_b64 exec, exec, s[0:1]
	v_or_b32_e32 v14, 0x1400, v0
	v_cmp_gt_u32_e32 vcc, s16, v14
                                        ; implicit-def: $vgpr15
	s_and_saveexec_b64 s[0:1], vcc
	s_cbranch_execz .LBB2532_13
; %bb.12:
	v_lshlrev_b32_e32 v1, 2, v14
	global_load_dword v15, v1, s[6:7]
.LBB2532_13:
	s_or_b64 exec, exec, s[0:1]
	v_or_b32_e32 v12, 0x1800, v0
	v_cmp_gt_u32_e32 vcc, s16, v12
                                        ; implicit-def: $vgpr13
	s_and_saveexec_b64 s[0:1], vcc
	s_cbranch_execz .LBB2532_15
; %bb.14:
	v_lshlrev_b32_e32 v1, 2, v12
	global_load_dword v13, v1, s[6:7]
.LBB2532_15:
	s_or_b64 exec, exec, s[0:1]
	v_or_b32_e32 v10, 0x1c00, v0
	v_cmp_gt_u32_e32 vcc, s16, v10
                                        ; implicit-def: $vgpr11
	s_and_saveexec_b64 s[0:1], vcc
	s_cbranch_execz .LBB2532_17
; %bb.16:
	v_lshlrev_b32_e32 v1, 2, v10
	global_load_dword v11, v1, s[6:7]
.LBB2532_17:
	s_or_b64 exec, exec, s[0:1]
	v_or_b32_e32 v8, 0x2000, v0
	v_cmp_gt_u32_e32 vcc, s16, v8
                                        ; implicit-def: $vgpr9
	s_and_saveexec_b64 s[0:1], vcc
	s_cbranch_execz .LBB2532_19
; %bb.18:
	v_lshlrev_b32_e32 v1, 2, v8
	global_load_dword v9, v1, s[6:7]
.LBB2532_19:
	s_or_b64 exec, exec, s[0:1]
	v_or_b32_e32 v6, 0x2400, v0
	v_cmp_gt_u32_e32 vcc, s16, v6
                                        ; implicit-def: $vgpr7
	s_and_saveexec_b64 s[0:1], vcc
	s_cbranch_execz .LBB2532_21
; %bb.20:
	v_lshlrev_b32_e32 v1, 2, v6
	global_load_dword v7, v1, s[6:7]
.LBB2532_21:
	s_or_b64 exec, exec, s[0:1]
	v_or_b32_e32 v4, 0x2800, v0
	v_cmp_gt_u32_e32 vcc, s16, v4
                                        ; implicit-def: $vgpr5
	s_and_saveexec_b64 s[0:1], vcc
	s_cbranch_execz .LBB2532_23
; %bb.22:
	v_lshlrev_b32_e32 v1, 2, v4
	global_load_dword v5, v1, s[6:7]
.LBB2532_23:
	s_or_b64 exec, exec, s[0:1]
	v_or_b32_e32 v2, 0x2c00, v0
	v_cmp_gt_u32_e32 vcc, s16, v2
                                        ; implicit-def: $vgpr3
	s_and_saveexec_b64 s[0:1], vcc
	s_cbranch_execz .LBB2532_25
; %bb.24:
	v_lshlrev_b32_e32 v1, 2, v2
	global_load_dword v3, v1, s[6:7]
.LBB2532_25:
	s_or_b64 exec, exec, s[0:1]
	v_lshlrev_b32_e32 v25, 2, v0
	v_mov_b32_e32 v26, 0
	s_cmp_le_u32 s9, s8
	ds_write2st64_b32 v25, v26, v26 offset1:16
	ds_write2st64_b32 v25, v26, v26 offset0:32 offset1:48
	v_bfrev_b32_e32 v25, -2
	s_waitcnt vmcnt(0)
	v_cmp_gt_i32_e32 vcc, 0, v24
	s_cselect_b64 s[4:5], -1, 0
	v_cndmask_b32_e64 v26, v25, 0, vcc
	v_cmp_le_u32_e32 vcc, s16, v0
	s_and_b64 s[0:1], s[4:5], exec
	s_cselect_b32 s17, 8, 10
	s_or_b64 s[0:1], s[4:5], vcc
	v_and_b32_e32 v1, 3, v0
	v_xor_b32_e32 v24, v26, v24
	s_xor_b64 s[0:1], s[0:1], -1
	v_mov_b32_e32 v26, s17
	s_waitcnt lgkmcnt(0)
	s_barrier
	s_and_saveexec_b64 s[10:11], s[0:1]
	s_cbranch_execz .LBB2532_27
; %bb.26:
	s_sub_i32 s0, s9, s8
	s_min_u32 s12, s0, 8
	s_brev_b32 s0, 1
	v_cmp_ne_u32_e64 s[0:1], s0, v24
	v_cndmask_b32_e64 v25, v25, v24, s[0:1]
	v_lshrrev_b32_e32 v25, s8, v25
	v_bfe_u32 v25, v25, 0, s12
	v_lshlrev_b32_e32 v26, 2, v1
	v_lshl_or_b32 v25, v25, 4, v26
	v_mov_b32_e32 v26, 1
	ds_add_u32 v25, v26
	v_mov_b32_e32 v26, 0
.LBB2532_27:
	s_or_b64 exec, exec, s[10:11]
	v_cmp_gt_i32_e64 s[0:1], 10, v26
	s_mov_b64 s[12:13], -1
	s_and_saveexec_b64 s[10:11], s[0:1]
; %bb.28:
	v_cmp_eq_u32_e64 s[0:1], 0, v26
	s_orn2_b64 s[12:13], s[0:1], exec
; %bb.29:
	s_or_b64 exec, exec, s[10:11]
	s_and_saveexec_b64 s[10:11], s[12:13]
	s_cbranch_execz .LBB2532_42
; %bb.30:
	s_add_i32 s14, s8, 8
	s_cmp_le_u32 s9, s14
	s_cselect_b64 s[0:1], -1, 0
	s_and_b64 s[12:13], s[0:1], exec
	s_cselect_b32 s12, 8, 10
	s_or_b64 s[0:1], s[0:1], vcc
	s_xor_b64 s[0:1], s[0:1], -1
	v_mov_b32_e32 v25, s12
	s_and_saveexec_b64 s[12:13], s[0:1]
	s_cbranch_execz .LBB2532_32
; %bb.31:
	s_sub_i32 s0, s9, s14
	s_min_u32 s15, s0, 8
	s_brev_b32 s0, 1
	v_bfrev_b32_e32 v25, -2
	v_cmp_ne_u32_e64 s[0:1], s0, v24
	v_cndmask_b32_e64 v25, v25, v24, s[0:1]
	v_lshrrev_b32_e32 v25, s14, v25
	v_bfe_u32 v25, v25, 0, s15
	v_lshlrev_b32_e32 v26, 2, v1
	v_lshl_or_b32 v25, v25, 4, v26
	v_mov_b32_e32 v26, 1
	ds_add_u32 v25, v26 offset:4096
	v_mov_b32_e32 v25, 0
.LBB2532_32:
	s_or_b64 exec, exec, s[12:13]
	v_cmp_gt_i32_e64 s[0:1], 10, v25
	s_mov_b64 s[12:13], -1
	s_and_saveexec_b64 s[14:15], s[0:1]
; %bb.33:
	v_cmp_eq_u32_e64 s[0:1], 0, v25
	s_orn2_b64 s[12:13], s[0:1], exec
; %bb.34:
	s_or_b64 exec, exec, s[14:15]
	s_and_b64 exec, exec, s[12:13]
	s_cbranch_execz .LBB2532_42
; %bb.35:
	s_add_i32 s14, s8, 16
	s_cmp_le_u32 s9, s14
	s_cselect_b64 s[0:1], -1, 0
	s_and_b64 s[12:13], s[0:1], exec
	s_cselect_b32 s12, 8, 10
	s_or_b64 s[0:1], s[0:1], vcc
	s_xor_b64 s[0:1], s[0:1], -1
	v_mov_b32_e32 v25, s12
	s_and_saveexec_b64 s[12:13], s[0:1]
	s_cbranch_execz .LBB2532_37
; %bb.36:
	s_sub_i32 s0, s9, s14
	s_min_u32 s15, s0, 8
	s_brev_b32 s0, 1
	v_bfrev_b32_e32 v25, -2
	v_cmp_ne_u32_e64 s[0:1], s0, v24
	v_cndmask_b32_e64 v25, v25, v24, s[0:1]
	v_lshrrev_b32_e32 v25, s14, v25
	v_bfe_u32 v25, v25, 0, s15
	v_lshlrev_b32_e32 v26, 2, v1
	v_lshl_or_b32 v25, v25, 4, v26
	v_mov_b32_e32 v26, 1
	ds_add_u32 v25, v26 offset:8192
	v_mov_b32_e32 v25, 0
.LBB2532_37:
	s_or_b64 exec, exec, s[12:13]
	v_cmp_gt_i32_e64 s[0:1], 10, v25
	s_mov_b64 s[12:13], -1
	s_and_saveexec_b64 s[14:15], s[0:1]
; %bb.38:
	v_cmp_eq_u32_e64 s[0:1], 0, v25
	s_orn2_b64 s[12:13], s[0:1], exec
; %bb.39:
	s_or_b64 exec, exec, s[14:15]
	s_and_b64 exec, exec, s[12:13]
	s_cbranch_execz .LBB2532_42
; %bb.40:
	s_add_i32 s0, s8, 24
	s_cmp_gt_u32 s9, s0
	s_cselect_b64 s[12:13], -1, 0
	s_xor_b64 s[14:15], vcc, -1
	s_and_b64 s[12:13], s[12:13], s[14:15]
	s_and_b64 exec, exec, s[12:13]
	s_cbranch_execz .LBB2532_42
; %bb.41:
	s_brev_b32 s12, 1
	v_bfrev_b32_e32 v25, -2
	v_cmp_ne_u32_e32 vcc, s12, v24
	s_sub_i32 s1, s9, s0
	v_cndmask_b32_e32 v24, v25, v24, vcc
	s_min_u32 s1, s1, 8
	v_lshrrev_b32_e32 v24, s0, v24
	v_bfe_u32 v24, v24, 0, s1
	v_lshlrev_b32_e32 v25, 2, v1
	v_lshl_or_b32 v24, v24, 4, v25
	v_mov_b32_e32 v25, 1
	ds_add_u32 v24, v25 offset:12288
.LBB2532_42:
	s_or_b64 exec, exec, s[10:11]
	v_bfrev_b32_e32 v24, -2
	v_cmp_gt_i32_e32 vcc, 0, v23
	v_cndmask_b32_e64 v25, v24, 0, vcc
	v_cmp_le_u32_e32 vcc, s16, v22
	s_or_b64 s[0:1], s[4:5], vcc
	v_xor_b32_e32 v23, v25, v23
	s_xor_b64 s[0:1], s[0:1], -1
	v_mov_b32_e32 v22, s17
	s_and_saveexec_b64 s[10:11], s[0:1]
	s_cbranch_execz .LBB2532_44
; %bb.43:
	s_sub_i32 s0, s9, s8
	s_min_u32 s12, s0, 8
	s_brev_b32 s0, 1
	v_cmp_ne_u32_e64 s[0:1], s0, v23
	v_cndmask_b32_e64 v22, v24, v23, s[0:1]
	v_lshrrev_b32_e32 v22, s8, v22
	v_bfe_u32 v22, v22, 0, s12
	v_lshlrev_b32_e32 v24, 2, v1
	v_lshl_or_b32 v22, v22, 4, v24
	v_mov_b32_e32 v24, 1
	ds_add_u32 v22, v24
	v_mov_b32_e32 v22, 0
.LBB2532_44:
	s_or_b64 exec, exec, s[10:11]
	v_cmp_gt_i32_e64 s[0:1], 10, v22
	s_mov_b64 s[12:13], -1
	s_and_saveexec_b64 s[10:11], s[0:1]
; %bb.45:
	v_cmp_eq_u32_e64 s[0:1], 0, v22
	s_orn2_b64 s[12:13], s[0:1], exec
; %bb.46:
	s_or_b64 exec, exec, s[10:11]
	s_and_saveexec_b64 s[10:11], s[12:13]
	s_cbranch_execz .LBB2532_59
; %bb.47:
	s_add_i32 s14, s8, 8
	s_cmp_le_u32 s9, s14
	s_cselect_b64 s[0:1], -1, 0
	s_and_b64 s[12:13], s[0:1], exec
	s_cselect_b32 s12, 8, 10
	s_or_b64 s[0:1], s[0:1], vcc
	s_xor_b64 s[0:1], s[0:1], -1
	v_mov_b32_e32 v22, s12
	s_and_saveexec_b64 s[12:13], s[0:1]
	s_cbranch_execz .LBB2532_49
; %bb.48:
	s_sub_i32 s0, s9, s14
	s_min_u32 s15, s0, 8
	s_brev_b32 s0, 1
	v_bfrev_b32_e32 v22, -2
	v_cmp_ne_u32_e64 s[0:1], s0, v23
	v_cndmask_b32_e64 v22, v22, v23, s[0:1]
	v_lshrrev_b32_e32 v22, s14, v22
	v_bfe_u32 v22, v22, 0, s15
	v_lshlrev_b32_e32 v24, 2, v1
	v_lshl_or_b32 v22, v22, 4, v24
	v_mov_b32_e32 v24, 1
	ds_add_u32 v22, v24 offset:4096
	v_mov_b32_e32 v22, 0
.LBB2532_49:
	s_or_b64 exec, exec, s[12:13]
	v_cmp_gt_i32_e64 s[0:1], 10, v22
	s_mov_b64 s[12:13], -1
	s_and_saveexec_b64 s[14:15], s[0:1]
; %bb.50:
	v_cmp_eq_u32_e64 s[0:1], 0, v22
	s_orn2_b64 s[12:13], s[0:1], exec
; %bb.51:
	s_or_b64 exec, exec, s[14:15]
	s_and_b64 exec, exec, s[12:13]
	s_cbranch_execz .LBB2532_59
; %bb.52:
	s_add_i32 s14, s8, 16
	s_cmp_le_u32 s9, s14
	s_cselect_b64 s[0:1], -1, 0
	s_and_b64 s[12:13], s[0:1], exec
	s_cselect_b32 s12, 8, 10
	s_or_b64 s[0:1], s[0:1], vcc
	s_xor_b64 s[0:1], s[0:1], -1
	v_mov_b32_e32 v22, s12
	s_and_saveexec_b64 s[12:13], s[0:1]
	s_cbranch_execz .LBB2532_54
; %bb.53:
	s_sub_i32 s0, s9, s14
	s_min_u32 s15, s0, 8
	s_brev_b32 s0, 1
	v_bfrev_b32_e32 v22, -2
	v_cmp_ne_u32_e64 s[0:1], s0, v23
	v_cndmask_b32_e64 v22, v22, v23, s[0:1]
	v_lshrrev_b32_e32 v22, s14, v22
	v_bfe_u32 v22, v22, 0, s15
	v_lshlrev_b32_e32 v24, 2, v1
	v_lshl_or_b32 v22, v22, 4, v24
	v_mov_b32_e32 v24, 1
	ds_add_u32 v22, v24 offset:8192
	v_mov_b32_e32 v22, 0
.LBB2532_54:
	s_or_b64 exec, exec, s[12:13]
	v_cmp_gt_i32_e64 s[0:1], 10, v22
	s_mov_b64 s[12:13], -1
	s_and_saveexec_b64 s[14:15], s[0:1]
; %bb.55:
	v_cmp_eq_u32_e64 s[0:1], 0, v22
	s_orn2_b64 s[12:13], s[0:1], exec
; %bb.56:
	s_or_b64 exec, exec, s[14:15]
	s_and_b64 exec, exec, s[12:13]
	s_cbranch_execz .LBB2532_59
; %bb.57:
	s_add_i32 s0, s8, 24
	s_cmp_gt_u32 s9, s0
	s_cselect_b64 s[12:13], -1, 0
	s_xor_b64 s[14:15], vcc, -1
	s_and_b64 s[12:13], s[12:13], s[14:15]
	s_and_b64 exec, exec, s[12:13]
	s_cbranch_execz .LBB2532_59
; %bb.58:
	s_brev_b32 s12, 1
	v_bfrev_b32_e32 v22, -2
	v_cmp_ne_u32_e32 vcc, s12, v23
	s_sub_i32 s1, s9, s0
	v_cndmask_b32_e32 v22, v22, v23, vcc
	s_min_u32 s1, s1, 8
	v_lshrrev_b32_e32 v22, s0, v22
	v_bfe_u32 v22, v22, 0, s1
	v_lshlrev_b32_e32 v23, 2, v1
	v_lshl_or_b32 v22, v22, 4, v23
	v_mov_b32_e32 v23, 1
	ds_add_u32 v22, v23 offset:12288
.LBB2532_59:
	s_or_b64 exec, exec, s[10:11]
	v_bfrev_b32_e32 v22, -2
	v_cmp_gt_i32_e32 vcc, 0, v21
	v_cndmask_b32_e64 v23, v22, 0, vcc
	v_cmp_le_u32_e32 vcc, s16, v20
	s_or_b64 s[0:1], s[4:5], vcc
	v_xor_b32_e32 v21, v23, v21
	s_xor_b64 s[0:1], s[0:1], -1
	v_mov_b32_e32 v20, s17
	s_and_saveexec_b64 s[10:11], s[0:1]
	s_cbranch_execz .LBB2532_61
; %bb.60:
	s_sub_i32 s0, s9, s8
	s_min_u32 s12, s0, 8
	s_brev_b32 s0, 1
	v_cmp_ne_u32_e64 s[0:1], s0, v21
	v_cndmask_b32_e64 v20, v22, v21, s[0:1]
	v_lshrrev_b32_e32 v20, s8, v20
	v_bfe_u32 v20, v20, 0, s12
	v_lshlrev_b32_e32 v22, 2, v1
	v_lshl_or_b32 v20, v20, 4, v22
	v_mov_b32_e32 v22, 1
	ds_add_u32 v20, v22
	v_mov_b32_e32 v20, 0
.LBB2532_61:
	s_or_b64 exec, exec, s[10:11]
	v_cmp_gt_i32_e64 s[0:1], 10, v20
	s_mov_b64 s[12:13], -1
	s_and_saveexec_b64 s[10:11], s[0:1]
; %bb.62:
	v_cmp_eq_u32_e64 s[0:1], 0, v20
	s_orn2_b64 s[12:13], s[0:1], exec
; %bb.63:
	s_or_b64 exec, exec, s[10:11]
	s_and_saveexec_b64 s[10:11], s[12:13]
	s_cbranch_execz .LBB2532_76
; %bb.64:
	s_add_i32 s14, s8, 8
	s_cmp_le_u32 s9, s14
	s_cselect_b64 s[0:1], -1, 0
	s_and_b64 s[12:13], s[0:1], exec
	s_cselect_b32 s12, 8, 10
	s_or_b64 s[0:1], s[0:1], vcc
	s_xor_b64 s[0:1], s[0:1], -1
	v_mov_b32_e32 v20, s12
	s_and_saveexec_b64 s[12:13], s[0:1]
	s_cbranch_execz .LBB2532_66
; %bb.65:
	s_sub_i32 s0, s9, s14
	s_min_u32 s15, s0, 8
	s_brev_b32 s0, 1
	v_bfrev_b32_e32 v20, -2
	v_cmp_ne_u32_e64 s[0:1], s0, v21
	v_cndmask_b32_e64 v20, v20, v21, s[0:1]
	v_lshrrev_b32_e32 v20, s14, v20
	v_bfe_u32 v20, v20, 0, s15
	v_lshlrev_b32_e32 v22, 2, v1
	v_lshl_or_b32 v20, v20, 4, v22
	v_mov_b32_e32 v22, 1
	ds_add_u32 v20, v22 offset:4096
	v_mov_b32_e32 v20, 0
.LBB2532_66:
	s_or_b64 exec, exec, s[12:13]
	v_cmp_gt_i32_e64 s[0:1], 10, v20
	s_mov_b64 s[12:13], -1
	s_and_saveexec_b64 s[14:15], s[0:1]
; %bb.67:
	v_cmp_eq_u32_e64 s[0:1], 0, v20
	s_orn2_b64 s[12:13], s[0:1], exec
; %bb.68:
	s_or_b64 exec, exec, s[14:15]
	s_and_b64 exec, exec, s[12:13]
	s_cbranch_execz .LBB2532_76
; %bb.69:
	s_add_i32 s14, s8, 16
	s_cmp_le_u32 s9, s14
	s_cselect_b64 s[0:1], -1, 0
	s_and_b64 s[12:13], s[0:1], exec
	s_cselect_b32 s12, 8, 10
	s_or_b64 s[0:1], s[0:1], vcc
	s_xor_b64 s[0:1], s[0:1], -1
	v_mov_b32_e32 v20, s12
	s_and_saveexec_b64 s[12:13], s[0:1]
	s_cbranch_execz .LBB2532_71
; %bb.70:
	s_sub_i32 s0, s9, s14
	s_min_u32 s15, s0, 8
	s_brev_b32 s0, 1
	v_bfrev_b32_e32 v20, -2
	v_cmp_ne_u32_e64 s[0:1], s0, v21
	v_cndmask_b32_e64 v20, v20, v21, s[0:1]
	v_lshrrev_b32_e32 v20, s14, v20
	v_bfe_u32 v20, v20, 0, s15
	v_lshlrev_b32_e32 v22, 2, v1
	v_lshl_or_b32 v20, v20, 4, v22
	v_mov_b32_e32 v22, 1
	ds_add_u32 v20, v22 offset:8192
	v_mov_b32_e32 v20, 0
.LBB2532_71:
	s_or_b64 exec, exec, s[12:13]
	v_cmp_gt_i32_e64 s[0:1], 10, v20
	s_mov_b64 s[12:13], -1
	s_and_saveexec_b64 s[14:15], s[0:1]
; %bb.72:
	v_cmp_eq_u32_e64 s[0:1], 0, v20
	s_orn2_b64 s[12:13], s[0:1], exec
; %bb.73:
	s_or_b64 exec, exec, s[14:15]
	s_and_b64 exec, exec, s[12:13]
	s_cbranch_execz .LBB2532_76
; %bb.74:
	s_add_i32 s0, s8, 24
	s_cmp_gt_u32 s9, s0
	s_cselect_b64 s[12:13], -1, 0
	s_xor_b64 s[14:15], vcc, -1
	s_and_b64 s[12:13], s[12:13], s[14:15]
	s_and_b64 exec, exec, s[12:13]
	s_cbranch_execz .LBB2532_76
; %bb.75:
	s_brev_b32 s12, 1
	v_bfrev_b32_e32 v20, -2
	v_cmp_ne_u32_e32 vcc, s12, v21
	s_sub_i32 s1, s9, s0
	v_cndmask_b32_e32 v20, v20, v21, vcc
	s_min_u32 s1, s1, 8
	v_lshrrev_b32_e32 v20, s0, v20
	v_bfe_u32 v20, v20, 0, s1
	v_lshlrev_b32_e32 v21, 2, v1
	v_lshl_or_b32 v20, v20, 4, v21
	v_mov_b32_e32 v21, 1
	ds_add_u32 v20, v21 offset:12288
.LBB2532_76:
	s_or_b64 exec, exec, s[10:11]
	v_bfrev_b32_e32 v20, -2
	v_cmp_gt_i32_e32 vcc, 0, v19
	v_cndmask_b32_e64 v21, v20, 0, vcc
	v_cmp_le_u32_e32 vcc, s16, v18
	s_or_b64 s[0:1], s[4:5], vcc
	v_xor_b32_e32 v19, v21, v19
	s_xor_b64 s[0:1], s[0:1], -1
	v_mov_b32_e32 v18, s17
	s_and_saveexec_b64 s[10:11], s[0:1]
	s_cbranch_execz .LBB2532_78
; %bb.77:
	s_sub_i32 s0, s9, s8
	s_min_u32 s12, s0, 8
	s_brev_b32 s0, 1
	v_cmp_ne_u32_e64 s[0:1], s0, v19
	v_cndmask_b32_e64 v18, v20, v19, s[0:1]
	v_lshrrev_b32_e32 v18, s8, v18
	v_bfe_u32 v18, v18, 0, s12
	v_lshlrev_b32_e32 v20, 2, v1
	v_lshl_or_b32 v18, v18, 4, v20
	v_mov_b32_e32 v20, 1
	ds_add_u32 v18, v20
	v_mov_b32_e32 v18, 0
.LBB2532_78:
	s_or_b64 exec, exec, s[10:11]
	v_cmp_gt_i32_e64 s[0:1], 10, v18
	s_mov_b64 s[12:13], -1
	s_and_saveexec_b64 s[10:11], s[0:1]
; %bb.79:
	v_cmp_eq_u32_e64 s[0:1], 0, v18
	s_orn2_b64 s[12:13], s[0:1], exec
; %bb.80:
	s_or_b64 exec, exec, s[10:11]
	s_and_saveexec_b64 s[10:11], s[12:13]
	s_cbranch_execz .LBB2532_93
; %bb.81:
	s_add_i32 s14, s8, 8
	s_cmp_le_u32 s9, s14
	s_cselect_b64 s[0:1], -1, 0
	s_and_b64 s[12:13], s[0:1], exec
	s_cselect_b32 s12, 8, 10
	s_or_b64 s[0:1], s[0:1], vcc
	s_xor_b64 s[0:1], s[0:1], -1
	v_mov_b32_e32 v18, s12
	s_and_saveexec_b64 s[12:13], s[0:1]
	s_cbranch_execz .LBB2532_83
; %bb.82:
	s_sub_i32 s0, s9, s14
	s_min_u32 s15, s0, 8
	s_brev_b32 s0, 1
	v_bfrev_b32_e32 v18, -2
	v_cmp_ne_u32_e64 s[0:1], s0, v19
	v_cndmask_b32_e64 v18, v18, v19, s[0:1]
	v_lshrrev_b32_e32 v18, s14, v18
	v_bfe_u32 v18, v18, 0, s15
	v_lshlrev_b32_e32 v20, 2, v1
	v_lshl_or_b32 v18, v18, 4, v20
	v_mov_b32_e32 v20, 1
	ds_add_u32 v18, v20 offset:4096
	v_mov_b32_e32 v18, 0
.LBB2532_83:
	s_or_b64 exec, exec, s[12:13]
	v_cmp_gt_i32_e64 s[0:1], 10, v18
	s_mov_b64 s[12:13], -1
	s_and_saveexec_b64 s[14:15], s[0:1]
; %bb.84:
	v_cmp_eq_u32_e64 s[0:1], 0, v18
	s_orn2_b64 s[12:13], s[0:1], exec
; %bb.85:
	s_or_b64 exec, exec, s[14:15]
	s_and_b64 exec, exec, s[12:13]
	s_cbranch_execz .LBB2532_93
; %bb.86:
	s_add_i32 s14, s8, 16
	s_cmp_le_u32 s9, s14
	s_cselect_b64 s[0:1], -1, 0
	s_and_b64 s[12:13], s[0:1], exec
	s_cselect_b32 s12, 8, 10
	s_or_b64 s[0:1], s[0:1], vcc
	s_xor_b64 s[0:1], s[0:1], -1
	v_mov_b32_e32 v18, s12
	s_and_saveexec_b64 s[12:13], s[0:1]
	s_cbranch_execz .LBB2532_88
; %bb.87:
	s_sub_i32 s0, s9, s14
	s_min_u32 s15, s0, 8
	s_brev_b32 s0, 1
	v_bfrev_b32_e32 v18, -2
	v_cmp_ne_u32_e64 s[0:1], s0, v19
	v_cndmask_b32_e64 v18, v18, v19, s[0:1]
	v_lshrrev_b32_e32 v18, s14, v18
	v_bfe_u32 v18, v18, 0, s15
	v_lshlrev_b32_e32 v20, 2, v1
	v_lshl_or_b32 v18, v18, 4, v20
	v_mov_b32_e32 v20, 1
	ds_add_u32 v18, v20 offset:8192
	v_mov_b32_e32 v18, 0
.LBB2532_88:
	s_or_b64 exec, exec, s[12:13]
	v_cmp_gt_i32_e64 s[0:1], 10, v18
	s_mov_b64 s[12:13], -1
	s_and_saveexec_b64 s[14:15], s[0:1]
; %bb.89:
	v_cmp_eq_u32_e64 s[0:1], 0, v18
	s_orn2_b64 s[12:13], s[0:1], exec
; %bb.90:
	s_or_b64 exec, exec, s[14:15]
	s_and_b64 exec, exec, s[12:13]
	s_cbranch_execz .LBB2532_93
; %bb.91:
	s_add_i32 s0, s8, 24
	s_cmp_gt_u32 s9, s0
	s_cselect_b64 s[12:13], -1, 0
	s_xor_b64 s[14:15], vcc, -1
	s_and_b64 s[12:13], s[12:13], s[14:15]
	s_and_b64 exec, exec, s[12:13]
	s_cbranch_execz .LBB2532_93
; %bb.92:
	s_brev_b32 s12, 1
	v_bfrev_b32_e32 v18, -2
	v_cmp_ne_u32_e32 vcc, s12, v19
	s_sub_i32 s1, s9, s0
	v_cndmask_b32_e32 v18, v18, v19, vcc
	s_min_u32 s1, s1, 8
	v_lshrrev_b32_e32 v18, s0, v18
	v_bfe_u32 v18, v18, 0, s1
	v_lshlrev_b32_e32 v19, 2, v1
	v_lshl_or_b32 v18, v18, 4, v19
	v_mov_b32_e32 v19, 1
	ds_add_u32 v18, v19 offset:12288
.LBB2532_93:
	s_or_b64 exec, exec, s[10:11]
	v_bfrev_b32_e32 v18, -2
	v_cmp_gt_i32_e32 vcc, 0, v17
	v_cndmask_b32_e64 v19, v18, 0, vcc
	v_cmp_le_u32_e32 vcc, s16, v16
	s_or_b64 s[0:1], s[4:5], vcc
	v_xor_b32_e32 v17, v19, v17
	s_xor_b64 s[0:1], s[0:1], -1
	v_mov_b32_e32 v16, s17
	s_and_saveexec_b64 s[10:11], s[0:1]
	s_cbranch_execz .LBB2532_95
; %bb.94:
	s_sub_i32 s0, s9, s8
	s_min_u32 s12, s0, 8
	s_brev_b32 s0, 1
	v_cmp_ne_u32_e64 s[0:1], s0, v17
	v_cndmask_b32_e64 v16, v18, v17, s[0:1]
	v_lshrrev_b32_e32 v16, s8, v16
	v_bfe_u32 v16, v16, 0, s12
	v_lshlrev_b32_e32 v18, 2, v1
	v_lshl_or_b32 v16, v16, 4, v18
	v_mov_b32_e32 v18, 1
	ds_add_u32 v16, v18
	v_mov_b32_e32 v16, 0
.LBB2532_95:
	s_or_b64 exec, exec, s[10:11]
	v_cmp_gt_i32_e64 s[0:1], 10, v16
	s_mov_b64 s[12:13], -1
	s_and_saveexec_b64 s[10:11], s[0:1]
; %bb.96:
	v_cmp_eq_u32_e64 s[0:1], 0, v16
	s_orn2_b64 s[12:13], s[0:1], exec
; %bb.97:
	s_or_b64 exec, exec, s[10:11]
	s_and_saveexec_b64 s[10:11], s[12:13]
	s_cbranch_execz .LBB2532_110
; %bb.98:
	s_add_i32 s14, s8, 8
	s_cmp_le_u32 s9, s14
	s_cselect_b64 s[0:1], -1, 0
	s_and_b64 s[12:13], s[0:1], exec
	s_cselect_b32 s12, 8, 10
	s_or_b64 s[0:1], s[0:1], vcc
	s_xor_b64 s[0:1], s[0:1], -1
	v_mov_b32_e32 v16, s12
	s_and_saveexec_b64 s[12:13], s[0:1]
	s_cbranch_execz .LBB2532_100
; %bb.99:
	s_sub_i32 s0, s9, s14
	s_min_u32 s15, s0, 8
	s_brev_b32 s0, 1
	v_bfrev_b32_e32 v16, -2
	v_cmp_ne_u32_e64 s[0:1], s0, v17
	v_cndmask_b32_e64 v16, v16, v17, s[0:1]
	v_lshrrev_b32_e32 v16, s14, v16
	v_bfe_u32 v16, v16, 0, s15
	v_lshlrev_b32_e32 v18, 2, v1
	v_lshl_or_b32 v16, v16, 4, v18
	v_mov_b32_e32 v18, 1
	ds_add_u32 v16, v18 offset:4096
	v_mov_b32_e32 v16, 0
.LBB2532_100:
	s_or_b64 exec, exec, s[12:13]
	v_cmp_gt_i32_e64 s[0:1], 10, v16
	s_mov_b64 s[12:13], -1
	s_and_saveexec_b64 s[14:15], s[0:1]
; %bb.101:
	v_cmp_eq_u32_e64 s[0:1], 0, v16
	s_orn2_b64 s[12:13], s[0:1], exec
; %bb.102:
	s_or_b64 exec, exec, s[14:15]
	s_and_b64 exec, exec, s[12:13]
	s_cbranch_execz .LBB2532_110
; %bb.103:
	s_add_i32 s14, s8, 16
	s_cmp_le_u32 s9, s14
	s_cselect_b64 s[0:1], -1, 0
	s_and_b64 s[12:13], s[0:1], exec
	s_cselect_b32 s12, 8, 10
	s_or_b64 s[0:1], s[0:1], vcc
	s_xor_b64 s[0:1], s[0:1], -1
	v_mov_b32_e32 v16, s12
	s_and_saveexec_b64 s[12:13], s[0:1]
	s_cbranch_execz .LBB2532_105
; %bb.104:
	s_sub_i32 s0, s9, s14
	s_min_u32 s15, s0, 8
	s_brev_b32 s0, 1
	v_bfrev_b32_e32 v16, -2
	v_cmp_ne_u32_e64 s[0:1], s0, v17
	v_cndmask_b32_e64 v16, v16, v17, s[0:1]
	v_lshrrev_b32_e32 v16, s14, v16
	v_bfe_u32 v16, v16, 0, s15
	v_lshlrev_b32_e32 v18, 2, v1
	v_lshl_or_b32 v16, v16, 4, v18
	v_mov_b32_e32 v18, 1
	ds_add_u32 v16, v18 offset:8192
	v_mov_b32_e32 v16, 0
.LBB2532_105:
	s_or_b64 exec, exec, s[12:13]
	v_cmp_gt_i32_e64 s[0:1], 10, v16
	s_mov_b64 s[12:13], -1
	s_and_saveexec_b64 s[14:15], s[0:1]
; %bb.106:
	v_cmp_eq_u32_e64 s[0:1], 0, v16
	s_orn2_b64 s[12:13], s[0:1], exec
; %bb.107:
	s_or_b64 exec, exec, s[14:15]
	s_and_b64 exec, exec, s[12:13]
	s_cbranch_execz .LBB2532_110
; %bb.108:
	s_add_i32 s0, s8, 24
	s_cmp_gt_u32 s9, s0
	s_cselect_b64 s[12:13], -1, 0
	s_xor_b64 s[14:15], vcc, -1
	s_and_b64 s[12:13], s[12:13], s[14:15]
	s_and_b64 exec, exec, s[12:13]
	s_cbranch_execz .LBB2532_110
; %bb.109:
	s_brev_b32 s12, 1
	v_bfrev_b32_e32 v16, -2
	v_cmp_ne_u32_e32 vcc, s12, v17
	s_sub_i32 s1, s9, s0
	v_cndmask_b32_e32 v16, v16, v17, vcc
	s_min_u32 s1, s1, 8
	v_lshrrev_b32_e32 v16, s0, v16
	v_bfe_u32 v16, v16, 0, s1
	v_lshlrev_b32_e32 v17, 2, v1
	v_lshl_or_b32 v16, v16, 4, v17
	v_mov_b32_e32 v17, 1
	ds_add_u32 v16, v17 offset:12288
.LBB2532_110:
	s_or_b64 exec, exec, s[10:11]
	v_bfrev_b32_e32 v16, -2
	v_cmp_gt_i32_e32 vcc, 0, v15
	v_cndmask_b32_e64 v17, v16, 0, vcc
	v_cmp_le_u32_e32 vcc, s16, v14
	s_or_b64 s[0:1], s[4:5], vcc
	v_xor_b32_e32 v15, v17, v15
	s_xor_b64 s[0:1], s[0:1], -1
	v_mov_b32_e32 v14, s17
	s_and_saveexec_b64 s[10:11], s[0:1]
	s_cbranch_execz .LBB2532_112
; %bb.111:
	s_sub_i32 s0, s9, s8
	s_min_u32 s12, s0, 8
	s_brev_b32 s0, 1
	v_cmp_ne_u32_e64 s[0:1], s0, v15
	v_cndmask_b32_e64 v14, v16, v15, s[0:1]
	v_lshrrev_b32_e32 v14, s8, v14
	v_bfe_u32 v14, v14, 0, s12
	v_lshlrev_b32_e32 v16, 2, v1
	v_lshl_or_b32 v14, v14, 4, v16
	v_mov_b32_e32 v16, 1
	ds_add_u32 v14, v16
	v_mov_b32_e32 v14, 0
.LBB2532_112:
	s_or_b64 exec, exec, s[10:11]
	v_cmp_gt_i32_e64 s[0:1], 10, v14
	s_mov_b64 s[12:13], -1
	s_and_saveexec_b64 s[10:11], s[0:1]
; %bb.113:
	v_cmp_eq_u32_e64 s[0:1], 0, v14
	s_orn2_b64 s[12:13], s[0:1], exec
; %bb.114:
	s_or_b64 exec, exec, s[10:11]
	s_and_saveexec_b64 s[10:11], s[12:13]
	s_cbranch_execz .LBB2532_127
; %bb.115:
	s_add_i32 s14, s8, 8
	s_cmp_le_u32 s9, s14
	s_cselect_b64 s[0:1], -1, 0
	s_and_b64 s[12:13], s[0:1], exec
	s_cselect_b32 s12, 8, 10
	s_or_b64 s[0:1], s[0:1], vcc
	s_xor_b64 s[0:1], s[0:1], -1
	v_mov_b32_e32 v14, s12
	s_and_saveexec_b64 s[12:13], s[0:1]
	s_cbranch_execz .LBB2532_117
; %bb.116:
	s_sub_i32 s0, s9, s14
	s_min_u32 s15, s0, 8
	s_brev_b32 s0, 1
	v_bfrev_b32_e32 v14, -2
	v_cmp_ne_u32_e64 s[0:1], s0, v15
	v_cndmask_b32_e64 v14, v14, v15, s[0:1]
	v_lshrrev_b32_e32 v14, s14, v14
	v_bfe_u32 v14, v14, 0, s15
	v_lshlrev_b32_e32 v16, 2, v1
	v_lshl_or_b32 v14, v14, 4, v16
	v_mov_b32_e32 v16, 1
	ds_add_u32 v14, v16 offset:4096
	v_mov_b32_e32 v14, 0
.LBB2532_117:
	s_or_b64 exec, exec, s[12:13]
	v_cmp_gt_i32_e64 s[0:1], 10, v14
	s_mov_b64 s[12:13], -1
	s_and_saveexec_b64 s[14:15], s[0:1]
; %bb.118:
	v_cmp_eq_u32_e64 s[0:1], 0, v14
	s_orn2_b64 s[12:13], s[0:1], exec
; %bb.119:
	s_or_b64 exec, exec, s[14:15]
	s_and_b64 exec, exec, s[12:13]
	s_cbranch_execz .LBB2532_127
; %bb.120:
	s_add_i32 s14, s8, 16
	s_cmp_le_u32 s9, s14
	s_cselect_b64 s[0:1], -1, 0
	s_and_b64 s[12:13], s[0:1], exec
	s_cselect_b32 s12, 8, 10
	s_or_b64 s[0:1], s[0:1], vcc
	s_xor_b64 s[0:1], s[0:1], -1
	v_mov_b32_e32 v14, s12
	s_and_saveexec_b64 s[12:13], s[0:1]
	s_cbranch_execz .LBB2532_122
; %bb.121:
	s_sub_i32 s0, s9, s14
	s_min_u32 s15, s0, 8
	s_brev_b32 s0, 1
	v_bfrev_b32_e32 v14, -2
	v_cmp_ne_u32_e64 s[0:1], s0, v15
	v_cndmask_b32_e64 v14, v14, v15, s[0:1]
	v_lshrrev_b32_e32 v14, s14, v14
	v_bfe_u32 v14, v14, 0, s15
	v_lshlrev_b32_e32 v16, 2, v1
	v_lshl_or_b32 v14, v14, 4, v16
	v_mov_b32_e32 v16, 1
	ds_add_u32 v14, v16 offset:8192
	v_mov_b32_e32 v14, 0
.LBB2532_122:
	s_or_b64 exec, exec, s[12:13]
	v_cmp_gt_i32_e64 s[0:1], 10, v14
	s_mov_b64 s[12:13], -1
	s_and_saveexec_b64 s[14:15], s[0:1]
; %bb.123:
	v_cmp_eq_u32_e64 s[0:1], 0, v14
	s_orn2_b64 s[12:13], s[0:1], exec
; %bb.124:
	s_or_b64 exec, exec, s[14:15]
	s_and_b64 exec, exec, s[12:13]
	s_cbranch_execz .LBB2532_127
; %bb.125:
	s_add_i32 s0, s8, 24
	s_cmp_gt_u32 s9, s0
	s_cselect_b64 s[12:13], -1, 0
	s_xor_b64 s[14:15], vcc, -1
	s_and_b64 s[12:13], s[12:13], s[14:15]
	s_and_b64 exec, exec, s[12:13]
	s_cbranch_execz .LBB2532_127
; %bb.126:
	s_brev_b32 s12, 1
	v_bfrev_b32_e32 v14, -2
	v_cmp_ne_u32_e32 vcc, s12, v15
	s_sub_i32 s1, s9, s0
	v_cndmask_b32_e32 v14, v14, v15, vcc
	s_min_u32 s1, s1, 8
	v_lshrrev_b32_e32 v14, s0, v14
	v_bfe_u32 v14, v14, 0, s1
	v_lshlrev_b32_e32 v15, 2, v1
	v_lshl_or_b32 v14, v14, 4, v15
	v_mov_b32_e32 v15, 1
	ds_add_u32 v14, v15 offset:12288
.LBB2532_127:
	s_or_b64 exec, exec, s[10:11]
	v_bfrev_b32_e32 v14, -2
	v_cmp_gt_i32_e32 vcc, 0, v13
	v_cndmask_b32_e64 v15, v14, 0, vcc
	v_cmp_le_u32_e32 vcc, s16, v12
	s_or_b64 s[0:1], s[4:5], vcc
	v_xor_b32_e32 v13, v15, v13
	s_xor_b64 s[0:1], s[0:1], -1
	v_mov_b32_e32 v12, s17
	s_and_saveexec_b64 s[10:11], s[0:1]
	s_cbranch_execz .LBB2532_129
; %bb.128:
	s_sub_i32 s0, s9, s8
	s_min_u32 s12, s0, 8
	s_brev_b32 s0, 1
	v_cmp_ne_u32_e64 s[0:1], s0, v13
	v_cndmask_b32_e64 v12, v14, v13, s[0:1]
	v_lshrrev_b32_e32 v12, s8, v12
	v_bfe_u32 v12, v12, 0, s12
	v_lshlrev_b32_e32 v14, 2, v1
	v_lshl_or_b32 v12, v12, 4, v14
	v_mov_b32_e32 v14, 1
	ds_add_u32 v12, v14
	v_mov_b32_e32 v12, 0
.LBB2532_129:
	s_or_b64 exec, exec, s[10:11]
	v_cmp_gt_i32_e64 s[0:1], 10, v12
	s_mov_b64 s[12:13], -1
	s_and_saveexec_b64 s[10:11], s[0:1]
; %bb.130:
	v_cmp_eq_u32_e64 s[0:1], 0, v12
	s_orn2_b64 s[12:13], s[0:1], exec
; %bb.131:
	s_or_b64 exec, exec, s[10:11]
	s_and_saveexec_b64 s[10:11], s[12:13]
	s_cbranch_execz .LBB2532_144
; %bb.132:
	s_add_i32 s14, s8, 8
	s_cmp_le_u32 s9, s14
	s_cselect_b64 s[0:1], -1, 0
	s_and_b64 s[12:13], s[0:1], exec
	s_cselect_b32 s12, 8, 10
	s_or_b64 s[0:1], s[0:1], vcc
	s_xor_b64 s[0:1], s[0:1], -1
	v_mov_b32_e32 v12, s12
	s_and_saveexec_b64 s[12:13], s[0:1]
	s_cbranch_execz .LBB2532_134
; %bb.133:
	s_sub_i32 s0, s9, s14
	s_min_u32 s15, s0, 8
	s_brev_b32 s0, 1
	v_bfrev_b32_e32 v12, -2
	v_cmp_ne_u32_e64 s[0:1], s0, v13
	v_cndmask_b32_e64 v12, v12, v13, s[0:1]
	v_lshrrev_b32_e32 v12, s14, v12
	v_bfe_u32 v12, v12, 0, s15
	v_lshlrev_b32_e32 v14, 2, v1
	v_lshl_or_b32 v12, v12, 4, v14
	v_mov_b32_e32 v14, 1
	ds_add_u32 v12, v14 offset:4096
	v_mov_b32_e32 v12, 0
.LBB2532_134:
	s_or_b64 exec, exec, s[12:13]
	v_cmp_gt_i32_e64 s[0:1], 10, v12
	s_mov_b64 s[12:13], -1
	s_and_saveexec_b64 s[14:15], s[0:1]
; %bb.135:
	v_cmp_eq_u32_e64 s[0:1], 0, v12
	s_orn2_b64 s[12:13], s[0:1], exec
; %bb.136:
	s_or_b64 exec, exec, s[14:15]
	s_and_b64 exec, exec, s[12:13]
	s_cbranch_execz .LBB2532_144
; %bb.137:
	s_add_i32 s14, s8, 16
	s_cmp_le_u32 s9, s14
	s_cselect_b64 s[0:1], -1, 0
	s_and_b64 s[12:13], s[0:1], exec
	s_cselect_b32 s12, 8, 10
	s_or_b64 s[0:1], s[0:1], vcc
	s_xor_b64 s[0:1], s[0:1], -1
	v_mov_b32_e32 v12, s12
	s_and_saveexec_b64 s[12:13], s[0:1]
	s_cbranch_execz .LBB2532_139
; %bb.138:
	s_sub_i32 s0, s9, s14
	s_min_u32 s15, s0, 8
	s_brev_b32 s0, 1
	v_bfrev_b32_e32 v12, -2
	v_cmp_ne_u32_e64 s[0:1], s0, v13
	v_cndmask_b32_e64 v12, v12, v13, s[0:1]
	v_lshrrev_b32_e32 v12, s14, v12
	v_bfe_u32 v12, v12, 0, s15
	v_lshlrev_b32_e32 v14, 2, v1
	v_lshl_or_b32 v12, v12, 4, v14
	v_mov_b32_e32 v14, 1
	ds_add_u32 v12, v14 offset:8192
	v_mov_b32_e32 v12, 0
.LBB2532_139:
	s_or_b64 exec, exec, s[12:13]
	v_cmp_gt_i32_e64 s[0:1], 10, v12
	s_mov_b64 s[12:13], -1
	s_and_saveexec_b64 s[14:15], s[0:1]
; %bb.140:
	v_cmp_eq_u32_e64 s[0:1], 0, v12
	s_orn2_b64 s[12:13], s[0:1], exec
; %bb.141:
	s_or_b64 exec, exec, s[14:15]
	s_and_b64 exec, exec, s[12:13]
	s_cbranch_execz .LBB2532_144
; %bb.142:
	s_add_i32 s0, s8, 24
	s_cmp_gt_u32 s9, s0
	s_cselect_b64 s[12:13], -1, 0
	s_xor_b64 s[14:15], vcc, -1
	s_and_b64 s[12:13], s[12:13], s[14:15]
	s_and_b64 exec, exec, s[12:13]
	s_cbranch_execz .LBB2532_144
; %bb.143:
	s_brev_b32 s12, 1
	v_bfrev_b32_e32 v12, -2
	v_cmp_ne_u32_e32 vcc, s12, v13
	s_sub_i32 s1, s9, s0
	v_cndmask_b32_e32 v12, v12, v13, vcc
	s_min_u32 s1, s1, 8
	v_lshrrev_b32_e32 v12, s0, v12
	v_bfe_u32 v12, v12, 0, s1
	v_lshlrev_b32_e32 v13, 2, v1
	v_lshl_or_b32 v12, v12, 4, v13
	v_mov_b32_e32 v13, 1
	ds_add_u32 v12, v13 offset:12288
.LBB2532_144:
	s_or_b64 exec, exec, s[10:11]
	v_bfrev_b32_e32 v12, -2
	v_cmp_gt_i32_e32 vcc, 0, v11
	v_cndmask_b32_e64 v13, v12, 0, vcc
	v_cmp_le_u32_e32 vcc, s16, v10
	s_or_b64 s[0:1], s[4:5], vcc
	v_xor_b32_e32 v11, v13, v11
	s_xor_b64 s[0:1], s[0:1], -1
	v_mov_b32_e32 v10, s17
	s_and_saveexec_b64 s[10:11], s[0:1]
	s_cbranch_execz .LBB2532_146
; %bb.145:
	s_sub_i32 s0, s9, s8
	s_min_u32 s12, s0, 8
	s_brev_b32 s0, 1
	v_cmp_ne_u32_e64 s[0:1], s0, v11
	v_cndmask_b32_e64 v10, v12, v11, s[0:1]
	v_lshrrev_b32_e32 v10, s8, v10
	v_bfe_u32 v10, v10, 0, s12
	v_lshlrev_b32_e32 v12, 2, v1
	v_lshl_or_b32 v10, v10, 4, v12
	v_mov_b32_e32 v12, 1
	ds_add_u32 v10, v12
	v_mov_b32_e32 v10, 0
.LBB2532_146:
	s_or_b64 exec, exec, s[10:11]
	v_cmp_gt_i32_e64 s[0:1], 10, v10
	s_mov_b64 s[12:13], -1
	s_and_saveexec_b64 s[10:11], s[0:1]
; %bb.147:
	v_cmp_eq_u32_e64 s[0:1], 0, v10
	s_orn2_b64 s[12:13], s[0:1], exec
; %bb.148:
	s_or_b64 exec, exec, s[10:11]
	s_and_saveexec_b64 s[10:11], s[12:13]
	s_cbranch_execz .LBB2532_161
; %bb.149:
	s_add_i32 s14, s8, 8
	s_cmp_le_u32 s9, s14
	s_cselect_b64 s[0:1], -1, 0
	s_and_b64 s[12:13], s[0:1], exec
	s_cselect_b32 s12, 8, 10
	s_or_b64 s[0:1], s[0:1], vcc
	s_xor_b64 s[0:1], s[0:1], -1
	v_mov_b32_e32 v10, s12
	s_and_saveexec_b64 s[12:13], s[0:1]
	s_cbranch_execz .LBB2532_151
; %bb.150:
	s_sub_i32 s0, s9, s14
	s_min_u32 s15, s0, 8
	s_brev_b32 s0, 1
	v_bfrev_b32_e32 v10, -2
	v_cmp_ne_u32_e64 s[0:1], s0, v11
	v_cndmask_b32_e64 v10, v10, v11, s[0:1]
	v_lshrrev_b32_e32 v10, s14, v10
	v_bfe_u32 v10, v10, 0, s15
	v_lshlrev_b32_e32 v12, 2, v1
	v_lshl_or_b32 v10, v10, 4, v12
	v_mov_b32_e32 v12, 1
	ds_add_u32 v10, v12 offset:4096
	v_mov_b32_e32 v10, 0
.LBB2532_151:
	s_or_b64 exec, exec, s[12:13]
	v_cmp_gt_i32_e64 s[0:1], 10, v10
	s_mov_b64 s[12:13], -1
	s_and_saveexec_b64 s[14:15], s[0:1]
; %bb.152:
	v_cmp_eq_u32_e64 s[0:1], 0, v10
	s_orn2_b64 s[12:13], s[0:1], exec
; %bb.153:
	s_or_b64 exec, exec, s[14:15]
	s_and_b64 exec, exec, s[12:13]
	s_cbranch_execz .LBB2532_161
; %bb.154:
	s_add_i32 s14, s8, 16
	s_cmp_le_u32 s9, s14
	s_cselect_b64 s[0:1], -1, 0
	s_and_b64 s[12:13], s[0:1], exec
	s_cselect_b32 s12, 8, 10
	s_or_b64 s[0:1], s[0:1], vcc
	s_xor_b64 s[0:1], s[0:1], -1
	v_mov_b32_e32 v10, s12
	s_and_saveexec_b64 s[12:13], s[0:1]
	s_cbranch_execz .LBB2532_156
; %bb.155:
	s_sub_i32 s0, s9, s14
	s_min_u32 s15, s0, 8
	s_brev_b32 s0, 1
	v_bfrev_b32_e32 v10, -2
	v_cmp_ne_u32_e64 s[0:1], s0, v11
	v_cndmask_b32_e64 v10, v10, v11, s[0:1]
	v_lshrrev_b32_e32 v10, s14, v10
	v_bfe_u32 v10, v10, 0, s15
	v_lshlrev_b32_e32 v12, 2, v1
	v_lshl_or_b32 v10, v10, 4, v12
	v_mov_b32_e32 v12, 1
	ds_add_u32 v10, v12 offset:8192
	v_mov_b32_e32 v10, 0
.LBB2532_156:
	s_or_b64 exec, exec, s[12:13]
	v_cmp_gt_i32_e64 s[0:1], 10, v10
	s_mov_b64 s[12:13], -1
	s_and_saveexec_b64 s[14:15], s[0:1]
; %bb.157:
	v_cmp_eq_u32_e64 s[0:1], 0, v10
	s_orn2_b64 s[12:13], s[0:1], exec
; %bb.158:
	s_or_b64 exec, exec, s[14:15]
	s_and_b64 exec, exec, s[12:13]
	s_cbranch_execz .LBB2532_161
; %bb.159:
	s_add_i32 s0, s8, 24
	s_cmp_gt_u32 s9, s0
	s_cselect_b64 s[12:13], -1, 0
	s_xor_b64 s[14:15], vcc, -1
	s_and_b64 s[12:13], s[12:13], s[14:15]
	s_and_b64 exec, exec, s[12:13]
	s_cbranch_execz .LBB2532_161
; %bb.160:
	s_brev_b32 s12, 1
	v_bfrev_b32_e32 v10, -2
	v_cmp_ne_u32_e32 vcc, s12, v11
	s_sub_i32 s1, s9, s0
	v_cndmask_b32_e32 v10, v10, v11, vcc
	s_min_u32 s1, s1, 8
	v_lshrrev_b32_e32 v10, s0, v10
	v_bfe_u32 v10, v10, 0, s1
	v_lshlrev_b32_e32 v11, 2, v1
	v_lshl_or_b32 v10, v10, 4, v11
	v_mov_b32_e32 v11, 1
	ds_add_u32 v10, v11 offset:12288
.LBB2532_161:
	s_or_b64 exec, exec, s[10:11]
	v_bfrev_b32_e32 v10, -2
	v_cmp_gt_i32_e32 vcc, 0, v9
	v_cndmask_b32_e64 v11, v10, 0, vcc
	v_cmp_le_u32_e32 vcc, s16, v8
	s_or_b64 s[0:1], s[4:5], vcc
	v_xor_b32_e32 v9, v11, v9
	s_xor_b64 s[0:1], s[0:1], -1
	v_mov_b32_e32 v8, s17
	s_and_saveexec_b64 s[10:11], s[0:1]
	s_cbranch_execz .LBB2532_163
; %bb.162:
	s_sub_i32 s0, s9, s8
	s_min_u32 s12, s0, 8
	s_brev_b32 s0, 1
	v_cmp_ne_u32_e64 s[0:1], s0, v9
	v_cndmask_b32_e64 v8, v10, v9, s[0:1]
	v_lshrrev_b32_e32 v8, s8, v8
	v_bfe_u32 v8, v8, 0, s12
	v_lshlrev_b32_e32 v10, 2, v1
	v_lshl_or_b32 v8, v8, 4, v10
	v_mov_b32_e32 v10, 1
	ds_add_u32 v8, v10
	v_mov_b32_e32 v8, 0
.LBB2532_163:
	s_or_b64 exec, exec, s[10:11]
	v_cmp_gt_i32_e64 s[0:1], 10, v8
	s_mov_b64 s[12:13], -1
	s_and_saveexec_b64 s[10:11], s[0:1]
; %bb.164:
	v_cmp_eq_u32_e64 s[0:1], 0, v8
	s_orn2_b64 s[12:13], s[0:1], exec
; %bb.165:
	s_or_b64 exec, exec, s[10:11]
	s_and_saveexec_b64 s[10:11], s[12:13]
	s_cbranch_execz .LBB2532_178
; %bb.166:
	s_add_i32 s14, s8, 8
	s_cmp_le_u32 s9, s14
	s_cselect_b64 s[0:1], -1, 0
	s_and_b64 s[12:13], s[0:1], exec
	s_cselect_b32 s12, 8, 10
	s_or_b64 s[0:1], s[0:1], vcc
	s_xor_b64 s[0:1], s[0:1], -1
	v_mov_b32_e32 v8, s12
	s_and_saveexec_b64 s[12:13], s[0:1]
	s_cbranch_execz .LBB2532_168
; %bb.167:
	s_sub_i32 s0, s9, s14
	s_min_u32 s15, s0, 8
	s_brev_b32 s0, 1
	v_bfrev_b32_e32 v8, -2
	v_cmp_ne_u32_e64 s[0:1], s0, v9
	v_cndmask_b32_e64 v8, v8, v9, s[0:1]
	v_lshrrev_b32_e32 v8, s14, v8
	v_bfe_u32 v8, v8, 0, s15
	v_lshlrev_b32_e32 v10, 2, v1
	v_lshl_or_b32 v8, v8, 4, v10
	v_mov_b32_e32 v10, 1
	ds_add_u32 v8, v10 offset:4096
	v_mov_b32_e32 v8, 0
.LBB2532_168:
	s_or_b64 exec, exec, s[12:13]
	v_cmp_gt_i32_e64 s[0:1], 10, v8
	s_mov_b64 s[12:13], -1
	s_and_saveexec_b64 s[14:15], s[0:1]
; %bb.169:
	v_cmp_eq_u32_e64 s[0:1], 0, v8
	s_orn2_b64 s[12:13], s[0:1], exec
; %bb.170:
	s_or_b64 exec, exec, s[14:15]
	s_and_b64 exec, exec, s[12:13]
	s_cbranch_execz .LBB2532_178
; %bb.171:
	s_add_i32 s14, s8, 16
	s_cmp_le_u32 s9, s14
	s_cselect_b64 s[0:1], -1, 0
	s_and_b64 s[12:13], s[0:1], exec
	s_cselect_b32 s12, 8, 10
	s_or_b64 s[0:1], s[0:1], vcc
	s_xor_b64 s[0:1], s[0:1], -1
	v_mov_b32_e32 v8, s12
	s_and_saveexec_b64 s[12:13], s[0:1]
	s_cbranch_execz .LBB2532_173
; %bb.172:
	s_sub_i32 s0, s9, s14
	s_min_u32 s15, s0, 8
	s_brev_b32 s0, 1
	v_bfrev_b32_e32 v8, -2
	v_cmp_ne_u32_e64 s[0:1], s0, v9
	v_cndmask_b32_e64 v8, v8, v9, s[0:1]
	v_lshrrev_b32_e32 v8, s14, v8
	v_bfe_u32 v8, v8, 0, s15
	v_lshlrev_b32_e32 v10, 2, v1
	v_lshl_or_b32 v8, v8, 4, v10
	v_mov_b32_e32 v10, 1
	ds_add_u32 v8, v10 offset:8192
	v_mov_b32_e32 v8, 0
.LBB2532_173:
	s_or_b64 exec, exec, s[12:13]
	v_cmp_gt_i32_e64 s[0:1], 10, v8
	s_mov_b64 s[12:13], -1
	s_and_saveexec_b64 s[14:15], s[0:1]
; %bb.174:
	v_cmp_eq_u32_e64 s[0:1], 0, v8
	s_orn2_b64 s[12:13], s[0:1], exec
; %bb.175:
	s_or_b64 exec, exec, s[14:15]
	s_and_b64 exec, exec, s[12:13]
	s_cbranch_execz .LBB2532_178
; %bb.176:
	s_add_i32 s0, s8, 24
	s_cmp_gt_u32 s9, s0
	s_cselect_b64 s[12:13], -1, 0
	s_xor_b64 s[14:15], vcc, -1
	s_and_b64 s[12:13], s[12:13], s[14:15]
	s_and_b64 exec, exec, s[12:13]
	s_cbranch_execz .LBB2532_178
; %bb.177:
	s_brev_b32 s12, 1
	v_bfrev_b32_e32 v8, -2
	v_cmp_ne_u32_e32 vcc, s12, v9
	s_sub_i32 s1, s9, s0
	v_cndmask_b32_e32 v8, v8, v9, vcc
	s_min_u32 s1, s1, 8
	v_lshrrev_b32_e32 v8, s0, v8
	v_bfe_u32 v8, v8, 0, s1
	v_lshlrev_b32_e32 v9, 2, v1
	v_lshl_or_b32 v8, v8, 4, v9
	v_mov_b32_e32 v9, 1
	ds_add_u32 v8, v9 offset:12288
.LBB2532_178:
	s_or_b64 exec, exec, s[10:11]
	v_bfrev_b32_e32 v8, -2
	v_cmp_gt_i32_e32 vcc, 0, v7
	v_cndmask_b32_e64 v9, v8, 0, vcc
	v_cmp_le_u32_e32 vcc, s16, v6
	s_or_b64 s[0:1], s[4:5], vcc
	v_xor_b32_e32 v7, v9, v7
	s_xor_b64 s[0:1], s[0:1], -1
	v_mov_b32_e32 v6, s17
	s_and_saveexec_b64 s[10:11], s[0:1]
	s_cbranch_execz .LBB2532_180
; %bb.179:
	s_sub_i32 s0, s9, s8
	s_min_u32 s12, s0, 8
	s_brev_b32 s0, 1
	v_cmp_ne_u32_e64 s[0:1], s0, v7
	v_cndmask_b32_e64 v6, v8, v7, s[0:1]
	v_lshrrev_b32_e32 v6, s8, v6
	v_bfe_u32 v6, v6, 0, s12
	v_lshlrev_b32_e32 v8, 2, v1
	v_lshl_or_b32 v6, v6, 4, v8
	v_mov_b32_e32 v8, 1
	ds_add_u32 v6, v8
	v_mov_b32_e32 v6, 0
.LBB2532_180:
	s_or_b64 exec, exec, s[10:11]
	v_cmp_gt_i32_e64 s[0:1], 10, v6
	s_mov_b64 s[12:13], -1
	s_and_saveexec_b64 s[10:11], s[0:1]
; %bb.181:
	v_cmp_eq_u32_e64 s[0:1], 0, v6
	s_orn2_b64 s[12:13], s[0:1], exec
; %bb.182:
	s_or_b64 exec, exec, s[10:11]
	s_and_saveexec_b64 s[10:11], s[12:13]
	s_cbranch_execz .LBB2532_195
; %bb.183:
	s_add_i32 s14, s8, 8
	s_cmp_le_u32 s9, s14
	s_cselect_b64 s[0:1], -1, 0
	s_and_b64 s[12:13], s[0:1], exec
	s_cselect_b32 s12, 8, 10
	s_or_b64 s[0:1], s[0:1], vcc
	s_xor_b64 s[0:1], s[0:1], -1
	v_mov_b32_e32 v6, s12
	s_and_saveexec_b64 s[12:13], s[0:1]
	s_cbranch_execz .LBB2532_185
; %bb.184:
	s_sub_i32 s0, s9, s14
	s_min_u32 s15, s0, 8
	s_brev_b32 s0, 1
	v_bfrev_b32_e32 v6, -2
	v_cmp_ne_u32_e64 s[0:1], s0, v7
	v_cndmask_b32_e64 v6, v6, v7, s[0:1]
	v_lshrrev_b32_e32 v6, s14, v6
	v_bfe_u32 v6, v6, 0, s15
	v_lshlrev_b32_e32 v8, 2, v1
	v_lshl_or_b32 v6, v6, 4, v8
	v_mov_b32_e32 v8, 1
	ds_add_u32 v6, v8 offset:4096
	v_mov_b32_e32 v6, 0
.LBB2532_185:
	s_or_b64 exec, exec, s[12:13]
	v_cmp_gt_i32_e64 s[0:1], 10, v6
	s_mov_b64 s[12:13], -1
	s_and_saveexec_b64 s[14:15], s[0:1]
; %bb.186:
	v_cmp_eq_u32_e64 s[0:1], 0, v6
	s_orn2_b64 s[12:13], s[0:1], exec
; %bb.187:
	s_or_b64 exec, exec, s[14:15]
	s_and_b64 exec, exec, s[12:13]
	s_cbranch_execz .LBB2532_195
; %bb.188:
	s_add_i32 s14, s8, 16
	s_cmp_le_u32 s9, s14
	s_cselect_b64 s[0:1], -1, 0
	s_and_b64 s[12:13], s[0:1], exec
	s_cselect_b32 s12, 8, 10
	s_or_b64 s[0:1], s[0:1], vcc
	s_xor_b64 s[0:1], s[0:1], -1
	v_mov_b32_e32 v6, s12
	s_and_saveexec_b64 s[12:13], s[0:1]
	s_cbranch_execz .LBB2532_190
; %bb.189:
	s_sub_i32 s0, s9, s14
	s_min_u32 s15, s0, 8
	s_brev_b32 s0, 1
	v_bfrev_b32_e32 v6, -2
	v_cmp_ne_u32_e64 s[0:1], s0, v7
	v_cndmask_b32_e64 v6, v6, v7, s[0:1]
	v_lshrrev_b32_e32 v6, s14, v6
	v_bfe_u32 v6, v6, 0, s15
	v_lshlrev_b32_e32 v8, 2, v1
	v_lshl_or_b32 v6, v6, 4, v8
	v_mov_b32_e32 v8, 1
	ds_add_u32 v6, v8 offset:8192
	v_mov_b32_e32 v6, 0
.LBB2532_190:
	s_or_b64 exec, exec, s[12:13]
	v_cmp_gt_i32_e64 s[0:1], 10, v6
	s_mov_b64 s[12:13], -1
	s_and_saveexec_b64 s[14:15], s[0:1]
; %bb.191:
	v_cmp_eq_u32_e64 s[0:1], 0, v6
	s_orn2_b64 s[12:13], s[0:1], exec
; %bb.192:
	s_or_b64 exec, exec, s[14:15]
	s_and_b64 exec, exec, s[12:13]
	s_cbranch_execz .LBB2532_195
; %bb.193:
	s_add_i32 s0, s8, 24
	s_cmp_gt_u32 s9, s0
	s_cselect_b64 s[12:13], -1, 0
	s_xor_b64 s[14:15], vcc, -1
	s_and_b64 s[12:13], s[12:13], s[14:15]
	s_and_b64 exec, exec, s[12:13]
	s_cbranch_execz .LBB2532_195
; %bb.194:
	s_brev_b32 s12, 1
	v_bfrev_b32_e32 v6, -2
	v_cmp_ne_u32_e32 vcc, s12, v7
	s_sub_i32 s1, s9, s0
	v_cndmask_b32_e32 v6, v6, v7, vcc
	s_min_u32 s1, s1, 8
	v_lshrrev_b32_e32 v6, s0, v6
	v_bfe_u32 v6, v6, 0, s1
	v_lshlrev_b32_e32 v7, 2, v1
	v_lshl_or_b32 v6, v6, 4, v7
	v_mov_b32_e32 v7, 1
	ds_add_u32 v6, v7 offset:12288
.LBB2532_195:
	s_or_b64 exec, exec, s[10:11]
	v_bfrev_b32_e32 v6, -2
	v_cmp_gt_i32_e32 vcc, 0, v5
	v_cndmask_b32_e64 v7, v6, 0, vcc
	v_cmp_le_u32_e32 vcc, s16, v4
	s_or_b64 s[0:1], s[4:5], vcc
	v_xor_b32_e32 v5, v7, v5
	s_xor_b64 s[0:1], s[0:1], -1
	v_mov_b32_e32 v4, s17
	s_and_saveexec_b64 s[10:11], s[0:1]
	s_cbranch_execz .LBB2532_197
; %bb.196:
	s_sub_i32 s0, s9, s8
	s_min_u32 s12, s0, 8
	s_brev_b32 s0, 1
	v_cmp_ne_u32_e64 s[0:1], s0, v5
	v_cndmask_b32_e64 v4, v6, v5, s[0:1]
	v_lshrrev_b32_e32 v4, s8, v4
	v_bfe_u32 v4, v4, 0, s12
	v_lshlrev_b32_e32 v6, 2, v1
	v_lshl_or_b32 v4, v4, 4, v6
	v_mov_b32_e32 v6, 1
	ds_add_u32 v4, v6
	v_mov_b32_e32 v4, 0
.LBB2532_197:
	s_or_b64 exec, exec, s[10:11]
	v_cmp_gt_i32_e64 s[0:1], 10, v4
	s_mov_b64 s[12:13], -1
	s_and_saveexec_b64 s[10:11], s[0:1]
; %bb.198:
	v_cmp_eq_u32_e64 s[0:1], 0, v4
	s_orn2_b64 s[12:13], s[0:1], exec
; %bb.199:
	s_or_b64 exec, exec, s[10:11]
	s_and_saveexec_b64 s[10:11], s[12:13]
	s_cbranch_execz .LBB2532_212
; %bb.200:
	s_add_i32 s14, s8, 8
	s_cmp_le_u32 s9, s14
	s_cselect_b64 s[0:1], -1, 0
	s_and_b64 s[12:13], s[0:1], exec
	s_cselect_b32 s12, 8, 10
	s_or_b64 s[0:1], s[0:1], vcc
	s_xor_b64 s[0:1], s[0:1], -1
	v_mov_b32_e32 v4, s12
	s_and_saveexec_b64 s[12:13], s[0:1]
	s_cbranch_execz .LBB2532_202
; %bb.201:
	s_sub_i32 s0, s9, s14
	s_min_u32 s15, s0, 8
	s_brev_b32 s0, 1
	v_bfrev_b32_e32 v4, -2
	v_cmp_ne_u32_e64 s[0:1], s0, v5
	v_cndmask_b32_e64 v4, v4, v5, s[0:1]
	v_lshrrev_b32_e32 v4, s14, v4
	v_bfe_u32 v4, v4, 0, s15
	v_lshlrev_b32_e32 v6, 2, v1
	v_lshl_or_b32 v4, v4, 4, v6
	v_mov_b32_e32 v6, 1
	ds_add_u32 v4, v6 offset:4096
	v_mov_b32_e32 v4, 0
.LBB2532_202:
	s_or_b64 exec, exec, s[12:13]
	v_cmp_gt_i32_e64 s[0:1], 10, v4
	s_mov_b64 s[12:13], -1
	s_and_saveexec_b64 s[14:15], s[0:1]
; %bb.203:
	v_cmp_eq_u32_e64 s[0:1], 0, v4
	s_orn2_b64 s[12:13], s[0:1], exec
; %bb.204:
	s_or_b64 exec, exec, s[14:15]
	s_and_b64 exec, exec, s[12:13]
	s_cbranch_execz .LBB2532_212
; %bb.205:
	s_add_i32 s14, s8, 16
	s_cmp_le_u32 s9, s14
	s_cselect_b64 s[0:1], -1, 0
	s_and_b64 s[12:13], s[0:1], exec
	s_cselect_b32 s12, 8, 10
	s_or_b64 s[0:1], s[0:1], vcc
	s_xor_b64 s[0:1], s[0:1], -1
	v_mov_b32_e32 v4, s12
	s_and_saveexec_b64 s[12:13], s[0:1]
	s_cbranch_execz .LBB2532_207
; %bb.206:
	s_sub_i32 s0, s9, s14
	s_min_u32 s15, s0, 8
	s_brev_b32 s0, 1
	v_bfrev_b32_e32 v4, -2
	v_cmp_ne_u32_e64 s[0:1], s0, v5
	v_cndmask_b32_e64 v4, v4, v5, s[0:1]
	v_lshrrev_b32_e32 v4, s14, v4
	v_bfe_u32 v4, v4, 0, s15
	v_lshlrev_b32_e32 v6, 2, v1
	v_lshl_or_b32 v4, v4, 4, v6
	v_mov_b32_e32 v6, 1
	ds_add_u32 v4, v6 offset:8192
	v_mov_b32_e32 v4, 0
.LBB2532_207:
	s_or_b64 exec, exec, s[12:13]
	v_cmp_gt_i32_e64 s[0:1], 10, v4
	s_mov_b64 s[12:13], -1
	s_and_saveexec_b64 s[14:15], s[0:1]
; %bb.208:
	v_cmp_eq_u32_e64 s[0:1], 0, v4
	s_orn2_b64 s[12:13], s[0:1], exec
; %bb.209:
	s_or_b64 exec, exec, s[14:15]
	s_and_b64 exec, exec, s[12:13]
	s_cbranch_execz .LBB2532_212
; %bb.210:
	s_add_i32 s0, s8, 24
	s_cmp_gt_u32 s9, s0
	s_cselect_b64 s[12:13], -1, 0
	s_xor_b64 s[14:15], vcc, -1
	s_and_b64 s[12:13], s[12:13], s[14:15]
	s_and_b64 exec, exec, s[12:13]
	s_cbranch_execz .LBB2532_212
; %bb.211:
	s_brev_b32 s12, 1
	v_bfrev_b32_e32 v4, -2
	v_cmp_ne_u32_e32 vcc, s12, v5
	s_sub_i32 s1, s9, s0
	v_cndmask_b32_e32 v4, v4, v5, vcc
	s_min_u32 s1, s1, 8
	v_lshrrev_b32_e32 v4, s0, v4
	v_bfe_u32 v4, v4, 0, s1
	v_lshlrev_b32_e32 v5, 2, v1
	v_lshl_or_b32 v4, v4, 4, v5
	v_mov_b32_e32 v5, 1
	ds_add_u32 v4, v5 offset:12288
.LBB2532_212:
	s_or_b64 exec, exec, s[10:11]
	v_bfrev_b32_e32 v4, -2
	v_cmp_gt_i32_e32 vcc, 0, v3
	v_cndmask_b32_e64 v5, v4, 0, vcc
	v_cmp_le_u32_e32 vcc, s16, v2
	s_or_b64 s[0:1], s[4:5], vcc
	v_xor_b32_e32 v3, v5, v3
	s_xor_b64 s[0:1], s[0:1], -1
	v_mov_b32_e32 v2, s17
	s_and_saveexec_b64 s[4:5], s[0:1]
	s_cbranch_execz .LBB2532_214
; %bb.213:
	s_sub_i32 s0, s9, s8
	s_min_u32 s10, s0, 8
	s_brev_b32 s0, 1
	v_cmp_ne_u32_e64 s[0:1], s0, v3
	v_cndmask_b32_e64 v2, v4, v3, s[0:1]
	v_lshrrev_b32_e32 v2, s8, v2
	v_bfe_u32 v2, v2, 0, s10
	v_lshlrev_b32_e32 v4, 2, v1
	v_lshl_or_b32 v2, v2, 4, v4
	v_mov_b32_e32 v4, 1
	ds_add_u32 v2, v4
	v_mov_b32_e32 v2, 0
.LBB2532_214:
	s_or_b64 exec, exec, s[4:5]
	v_cmp_gt_i32_e64 s[0:1], 10, v2
	s_mov_b64 s[10:11], -1
	s_and_saveexec_b64 s[4:5], s[0:1]
; %bb.215:
	v_cmp_eq_u32_e64 s[0:1], 0, v2
	s_orn2_b64 s[10:11], s[0:1], exec
; %bb.216:
	s_or_b64 exec, exec, s[4:5]
	s_and_saveexec_b64 s[4:5], s[10:11]
	s_cbranch_execz .LBB2532_229
; %bb.217:
	s_add_i32 s12, s8, 8
	s_cmp_le_u32 s9, s12
	s_cselect_b64 s[0:1], -1, 0
	s_and_b64 s[10:11], s[0:1], exec
	s_cselect_b32 s10, 8, 10
	s_or_b64 s[0:1], s[0:1], vcc
	s_xor_b64 s[0:1], s[0:1], -1
	v_mov_b32_e32 v2, s10
	s_and_saveexec_b64 s[10:11], s[0:1]
	s_cbranch_execz .LBB2532_219
; %bb.218:
	s_sub_i32 s0, s9, s12
	s_min_u32 s13, s0, 8
	s_brev_b32 s0, 1
	v_bfrev_b32_e32 v2, -2
	v_cmp_ne_u32_e64 s[0:1], s0, v3
	v_cndmask_b32_e64 v2, v2, v3, s[0:1]
	v_lshrrev_b32_e32 v2, s12, v2
	v_bfe_u32 v2, v2, 0, s13
	v_lshlrev_b32_e32 v4, 2, v1
	v_lshl_or_b32 v2, v2, 4, v4
	v_mov_b32_e32 v4, 1
	ds_add_u32 v2, v4 offset:4096
	v_mov_b32_e32 v2, 0
.LBB2532_219:
	s_or_b64 exec, exec, s[10:11]
	v_cmp_gt_i32_e64 s[0:1], 10, v2
	s_mov_b64 s[10:11], -1
	s_and_saveexec_b64 s[12:13], s[0:1]
; %bb.220:
	v_cmp_eq_u32_e64 s[0:1], 0, v2
	s_orn2_b64 s[10:11], s[0:1], exec
; %bb.221:
	s_or_b64 exec, exec, s[12:13]
	s_and_b64 exec, exec, s[10:11]
	s_cbranch_execz .LBB2532_229
; %bb.222:
	s_add_i32 s12, s8, 16
	s_cmp_le_u32 s9, s12
	s_cselect_b64 s[0:1], -1, 0
	s_and_b64 s[10:11], s[0:1], exec
	s_cselect_b32 s10, 8, 10
	s_or_b64 s[0:1], s[0:1], vcc
	s_xor_b64 s[0:1], s[0:1], -1
	v_mov_b32_e32 v2, s10
	s_and_saveexec_b64 s[10:11], s[0:1]
	s_cbranch_execz .LBB2532_224
; %bb.223:
	s_sub_i32 s0, s9, s12
	s_min_u32 s13, s0, 8
	s_brev_b32 s0, 1
	v_bfrev_b32_e32 v2, -2
	v_cmp_ne_u32_e64 s[0:1], s0, v3
	v_cndmask_b32_e64 v2, v2, v3, s[0:1]
	v_lshrrev_b32_e32 v2, s12, v2
	v_bfe_u32 v2, v2, 0, s13
	v_lshlrev_b32_e32 v4, 2, v1
	v_lshl_or_b32 v2, v2, 4, v4
	v_mov_b32_e32 v4, 1
	ds_add_u32 v2, v4 offset:8192
	v_mov_b32_e32 v2, 0
.LBB2532_224:
	s_or_b64 exec, exec, s[10:11]
	v_cmp_gt_i32_e64 s[0:1], 10, v2
	s_mov_b64 s[10:11], -1
	s_and_saveexec_b64 s[12:13], s[0:1]
; %bb.225:
	v_cmp_eq_u32_e64 s[0:1], 0, v2
	s_orn2_b64 s[10:11], s[0:1], exec
; %bb.226:
	s_or_b64 exec, exec, s[12:13]
	s_and_b64 exec, exec, s[10:11]
	s_cbranch_execz .LBB2532_229
; %bb.227:
	s_add_i32 s0, s8, 24
	s_cmp_gt_u32 s9, s0
	s_cselect_b64 s[10:11], -1, 0
	s_xor_b64 s[12:13], vcc, -1
	s_and_b64 s[10:11], s[10:11], s[12:13]
	s_and_b64 exec, exec, s[10:11]
	s_cbranch_execz .LBB2532_229
; %bb.228:
	s_brev_b32 s10, 1
	v_bfrev_b32_e32 v2, -2
	v_cmp_ne_u32_e32 vcc, s10, v3
	s_sub_i32 s1, s9, s0
	v_cndmask_b32_e32 v2, v2, v3, vcc
	s_min_u32 s1, s1, 8
	v_lshrrev_b32_e32 v2, s0, v2
	v_bfe_u32 v2, v2, 0, s1
	v_lshlrev_b32_e32 v1, 2, v1
	v_lshl_or_b32 v1, v2, 4, v1
	v_mov_b32_e32 v2, 1
	ds_add_u32 v1, v2 offset:12288
.LBB2532_229:
	s_or_b64 exec, exec, s[4:5]
	s_cmp_gt_u32 s9, s8
	s_waitcnt lgkmcnt(0)
	s_barrier
	s_cbranch_scc0 .LBB2532_234
; %bb.230:
	s_movk_i32 s0, 0x100
	v_cmp_gt_u32_e32 vcc, s0, v0
	v_lshlrev_b32_e32 v1, 4, v0
	v_mov_b32_e32 v3, 0
	v_mov_b32_e32 v2, v0
	s_mov_b32 s10, s8
	s_branch .LBB2532_232
.LBB2532_231:                           ;   in Loop: Header=BB2532_232 Depth=1
	s_or_b64 exec, exec, s[4:5]
	s_add_i32 s10, s10, 8
	v_add_u32_e32 v2, 0x100, v2
	s_cmp_lt_u32 s10, s9
	v_add_u32_e32 v1, 0x1000, v1
	s_cbranch_scc0 .LBB2532_234
.LBB2532_232:                           ; =>This Inner Loop Header: Depth=1
	s_and_saveexec_b64 s[4:5], vcc
	s_cbranch_execz .LBB2532_231
; %bb.233:                              ;   in Loop: Header=BB2532_232 Depth=1
	ds_read2_b32 v[4:5], v1 offset1:1
	ds_read2_b32 v[6:7], v1 offset0:2 offset1:3
	v_lshlrev_b64 v[8:9], 3, v[2:3]
	v_mov_b32_e32 v10, s3
	s_waitcnt lgkmcnt(1)
	v_add_u32_e32 v4, v5, v4
	s_waitcnt lgkmcnt(0)
	v_add3_u32 v4, v4, v6, v7
	v_add_co_u32_e64 v6, s[0:1], s2, v8
	v_addc_co_u32_e64 v7, s[0:1], v10, v9, s[0:1]
	v_mov_b32_e32 v5, v3
	global_atomic_add_x2 v[6:7], v[4:5], off
	s_branch .LBB2532_231
.LBB2532_234:
	s_mov_b64 s[0:1], 0
.LBB2532_235:
	s_and_b64 vcc, exec, s[0:1]
	s_cbranch_vccz .LBB2532_295
; %bb.236:
	v_lshlrev_b32_e32 v4, 2, v0
	v_mov_b32_e32 v1, s7
	v_add_co_u32_e32 v13, vcc, s6, v4
	v_addc_co_u32_e32 v1, vcc, 0, v1, vcc
	v_add_co_u32_e32 v2, vcc, 0x1000, v13
	v_addc_co_u32_e32 v3, vcc, 0, v1, vcc
	;; [unrolled: 2-line block ×8, first 2 shown]
	global_load_dword v12, v4, s[6:7]
	global_load_dword v11, v[2:3], off
	global_load_dword v10, v[14:15], off
	global_load_dword v9, v[16:17], off
	global_load_dword v8, v[18:19], off
	global_load_dword v7, v[20:21], off
	global_load_dword v5, v[22:23], off
	global_load_dword v6, v[24:25], off
	v_add_co_u32_e32 v2, vcc, 0x8000, v13
	v_addc_co_u32_e32 v3, vcc, 0, v1, vcc
	v_add_co_u32_e32 v18, vcc, 0x9000, v13
	v_addc_co_u32_e32 v19, vcc, 0, v1, vcc
	;; [unrolled: 2-line block ×4, first 2 shown]
	global_load_dword v16, v[2:3], off
	global_load_dword v15, v[18:19], off
	;; [unrolled: 1-line block ×4, first 2 shown]
	s_cmp_eq_u32 s8, 0
	s_cselect_b64 s[0:1], -1, 0
	s_cmp_eq_u32 s9, 32
	s_cselect_b64 s[4:5], -1, 0
	s_and_b64 s[4:5], s[0:1], s[4:5]
	s_mov_b64 s[0:1], -1
	s_and_b64 vcc, exec, s[4:5]
	s_cbranch_vccnz .LBB2532_292
; %bb.237:
	s_cmp_gt_u32 s9, s8
	s_cselect_b64 s[4:5], -1, 0
	v_mov_b32_e32 v1, 0
	s_and_b64 vcc, exec, s[4:5]
	ds_write2st64_b32 v4, v1, v1 offset1:16
	ds_write2st64_b32 v4, v1, v1 offset0:32 offset1:48
	s_waitcnt lgkmcnt(0)
	s_barrier
	s_cbranch_vccz .LBB2532_286
; %bb.238:
	s_sub_i32 s0, s9, s8
	v_bfrev_b32_e32 v2, -2
	s_waitcnt vmcnt(11)
	v_cmp_gt_i32_e32 vcc, 0, v12
	s_min_u32 s0, s0, 8
	v_cndmask_b32_e64 v3, v2, 0, vcc
	s_lshl_b32 s0, -1, s0
	v_xor_b32_e32 v3, v3, v12
	s_not_b32 s10, s0
	s_brev_b32 s0, 1
	v_cmp_ne_u32_e32 vcc, s0, v3
	v_cndmask_b32_e32 v17, v2, v3, vcc
	v_and_b32_e32 v1, 3, v0
	v_lshrrev_b32_e32 v3, s8, v17
	v_and_b32_e32 v3, s10, v3
	v_lshlrev_b32_e32 v1, 2, v1
	v_lshl_or_b32 v18, v3, 4, v1
	v_mov_b32_e32 v3, 1
	ds_add_u32 v18, v3
	s_add_i32 s11, s8, 8
	s_cmp_gt_u32 s9, s11
	s_cselect_b64 s[6:7], -1, 0
	s_cmp_le_u32 s9, s11
	s_cbranch_scc1 .LBB2532_242
; %bb.239:
	s_sub_i32 s1, s9, s11
	s_min_u32 s1, s1, 8
	v_lshrrev_b32_e32 v18, s11, v17
	v_bfe_u32 v18, v18, 0, s1
	v_lshl_or_b32 v18, v18, 4, v1
	ds_add_u32 v18, v3 offset:4096
	s_add_i32 s1, s8, 16
	s_cmp_le_u32 s9, s1
	s_cbranch_scc1 .LBB2532_242
; %bb.240:
	s_sub_i32 s12, s9, s1
	s_min_u32 s12, s12, 8
	v_lshrrev_b32_e32 v18, s1, v17
	v_bfe_u32 v18, v18, 0, s12
	v_lshl_or_b32 v19, v18, 4, v1
	v_mov_b32_e32 v18, 1
	ds_add_u32 v19, v18 offset:8192
	s_add_i32 s1, s8, 24
	s_cmp_le_u32 s9, s1
	s_cbranch_scc1 .LBB2532_242
; %bb.241:
	s_sub_i32 s12, s9, s1
	s_min_u32 s12, s12, 8
	v_lshrrev_b32_e32 v17, s1, v17
	v_bfe_u32 v17, v17, 0, s12
	v_lshl_or_b32 v17, v17, 4, v1
	ds_add_u32 v17, v18 offset:12288
.LBB2532_242:
	s_waitcnt vmcnt(10)
	v_cmp_gt_i32_e32 vcc, 0, v11
	v_cndmask_b32_e64 v17, v2, 0, vcc
	v_xor_b32_e32 v17, v17, v11
	v_cmp_ne_u32_e32 vcc, s0, v17
	v_cndmask_b32_e32 v2, v2, v17, vcc
	v_lshrrev_b32_e32 v17, s8, v2
	v_and_b32_e32 v17, s10, v17
	v_lshl_or_b32 v17, v17, 4, v1
	ds_add_u32 v17, v3
	v_cndmask_b32_e64 v3, 0, 1, s[6:7]
	v_cmp_ne_u32_e64 s[0:1], 1, v3
	s_andn2_b64 vcc, exec, s[6:7]
	s_cbranch_vccnz .LBB2532_246
; %bb.243:
	s_sub_i32 s6, s9, s11
	s_min_u32 s6, s6, 8
	v_lshrrev_b32_e32 v3, s11, v2
	v_bfe_u32 v3, v3, 0, s6
	v_lshl_or_b32 v17, v3, 4, v1
	v_mov_b32_e32 v3, 1
	ds_add_u32 v17, v3 offset:4096
	s_add_i32 s6, s8, 16
	s_cmp_le_u32 s9, s6
	s_cbranch_scc1 .LBB2532_246
; %bb.244:
	s_sub_i32 s7, s9, s6
	s_min_u32 s7, s7, 8
	v_lshrrev_b32_e32 v17, s6, v2
	v_bfe_u32 v17, v17, 0, s7
	v_lshl_or_b32 v17, v17, 4, v1
	ds_add_u32 v17, v3 offset:8192
	s_add_i32 s6, s8, 24
	s_cmp_le_u32 s9, s6
	s_cbranch_scc1 .LBB2532_246
; %bb.245:
	s_sub_i32 s7, s9, s6
	s_min_u32 s7, s7, 8
	v_lshrrev_b32_e32 v2, s6, v2
	v_bfe_u32 v2, v2, 0, s7
	v_lshl_or_b32 v2, v2, 4, v1
	v_mov_b32_e32 v3, 1
	ds_add_u32 v2, v3 offset:12288
.LBB2532_246:
	v_bfrev_b32_e32 v2, -2
	s_waitcnt vmcnt(9)
	v_cmp_gt_i32_e32 vcc, 0, v10
	v_cndmask_b32_e64 v3, v2, 0, vcc
	v_xor_b32_e32 v3, v3, v10
	s_brev_b32 s6, 1
	v_cmp_ne_u32_e32 vcc, s6, v3
	v_cndmask_b32_e32 v17, v2, v3, vcc
	v_lshrrev_b32_e32 v3, s8, v17
	v_and_b32_e32 v3, s10, v3
	v_lshl_or_b32 v18, v3, 4, v1
	v_mov_b32_e32 v3, 1
	ds_add_u32 v18, v3
	s_and_b64 vcc, exec, s[0:1]
	s_cbranch_vccnz .LBB2532_250
; %bb.247:
	s_sub_i32 s7, s9, s11
	s_min_u32 s7, s7, 8
	v_lshrrev_b32_e32 v18, s11, v17
	v_bfe_u32 v18, v18, 0, s7
	v_lshl_or_b32 v18, v18, 4, v1
	ds_add_u32 v18, v3 offset:4096
	s_add_i32 s7, s8, 16
	s_cmp_le_u32 s9, s7
	s_cbranch_scc1 .LBB2532_250
; %bb.248:
	s_sub_i32 s12, s9, s7
	s_min_u32 s12, s12, 8
	v_lshrrev_b32_e32 v18, s7, v17
	v_bfe_u32 v18, v18, 0, s12
	v_lshl_or_b32 v18, v18, 4, v1
	ds_add_u32 v18, v3 offset:8192
	s_add_i32 s7, s8, 24
	s_cmp_le_u32 s9, s7
	s_cbranch_scc1 .LBB2532_250
; %bb.249:
	s_sub_i32 s12, s9, s7
	s_min_u32 s12, s12, 8
	v_lshrrev_b32_e32 v17, s7, v17
	v_bfe_u32 v17, v17, 0, s12
	v_lshl_or_b32 v17, v17, 4, v1
	v_mov_b32_e32 v18, 1
	ds_add_u32 v17, v18 offset:12288
.LBB2532_250:
	s_waitcnt vmcnt(8)
	v_cmp_gt_i32_e32 vcc, 0, v9
	v_cndmask_b32_e64 v17, v2, 0, vcc
	v_xor_b32_e32 v17, v17, v9
	v_cmp_ne_u32_e32 vcc, s6, v17
	v_cndmask_b32_e32 v2, v2, v17, vcc
	v_lshrrev_b32_e32 v17, s8, v2
	v_and_b32_e32 v17, s10, v17
	v_lshl_or_b32 v17, v17, 4, v1
	ds_add_u32 v17, v3
	s_and_b64 vcc, exec, s[0:1]
	s_cbranch_vccnz .LBB2532_254
; %bb.251:
	s_sub_i32 s6, s9, s11
	s_min_u32 s6, s6, 8
	v_lshrrev_b32_e32 v3, s11, v2
	v_bfe_u32 v3, v3, 0, s6
	v_lshl_or_b32 v17, v3, 4, v1
	v_mov_b32_e32 v3, 1
	ds_add_u32 v17, v3 offset:4096
	s_add_i32 s6, s8, 16
	s_cmp_le_u32 s9, s6
	s_cbranch_scc1 .LBB2532_254
; %bb.252:
	s_sub_i32 s7, s9, s6
	s_min_u32 s7, s7, 8
	v_lshrrev_b32_e32 v17, s6, v2
	v_bfe_u32 v17, v17, 0, s7
	v_lshl_or_b32 v17, v17, 4, v1
	ds_add_u32 v17, v3 offset:8192
	s_add_i32 s6, s8, 24
	s_cmp_le_u32 s9, s6
	s_cbranch_scc1 .LBB2532_254
; %bb.253:
	s_sub_i32 s7, s9, s6
	s_min_u32 s7, s7, 8
	v_lshrrev_b32_e32 v2, s6, v2
	v_bfe_u32 v2, v2, 0, s7
	v_lshl_or_b32 v2, v2, 4, v1
	v_mov_b32_e32 v3, 1
	ds_add_u32 v2, v3 offset:12288
.LBB2532_254:
	v_bfrev_b32_e32 v2, -2
	s_waitcnt vmcnt(7)
	v_cmp_gt_i32_e32 vcc, 0, v8
	v_cndmask_b32_e64 v3, v2, 0, vcc
	v_xor_b32_e32 v3, v3, v8
	s_brev_b32 s6, 1
	v_cmp_ne_u32_e32 vcc, s6, v3
	v_cndmask_b32_e32 v17, v2, v3, vcc
	v_lshrrev_b32_e32 v3, s8, v17
	v_and_b32_e32 v3, s10, v3
	v_lshl_or_b32 v18, v3, 4, v1
	v_mov_b32_e32 v3, 1
	ds_add_u32 v18, v3
	s_and_b64 vcc, exec, s[0:1]
	s_cbranch_vccnz .LBB2532_258
; %bb.255:
	s_sub_i32 s7, s9, s11
	s_min_u32 s7, s7, 8
	v_lshrrev_b32_e32 v18, s11, v17
	v_bfe_u32 v18, v18, 0, s7
	v_lshl_or_b32 v18, v18, 4, v1
	ds_add_u32 v18, v3 offset:4096
	s_add_i32 s7, s8, 16
	s_cmp_le_u32 s9, s7
	s_cbranch_scc1 .LBB2532_258
; %bb.256:
	s_sub_i32 s12, s9, s7
	s_min_u32 s12, s12, 8
	v_lshrrev_b32_e32 v18, s7, v17
	v_bfe_u32 v18, v18, 0, s12
	v_lshl_or_b32 v18, v18, 4, v1
	ds_add_u32 v18, v3 offset:8192
	s_add_i32 s7, s8, 24
	s_cmp_le_u32 s9, s7
	s_cbranch_scc1 .LBB2532_258
; %bb.257:
	s_sub_i32 s12, s9, s7
	s_min_u32 s12, s12, 8
	v_lshrrev_b32_e32 v17, s7, v17
	v_bfe_u32 v17, v17, 0, s12
	v_lshl_or_b32 v17, v17, 4, v1
	v_mov_b32_e32 v18, 1
	ds_add_u32 v17, v18 offset:12288
.LBB2532_258:
	s_waitcnt vmcnt(6)
	v_cmp_gt_i32_e32 vcc, 0, v7
	v_cndmask_b32_e64 v17, v2, 0, vcc
	v_xor_b32_e32 v17, v17, v7
	v_cmp_ne_u32_e32 vcc, s6, v17
	v_cndmask_b32_e32 v2, v2, v17, vcc
	v_lshrrev_b32_e32 v17, s8, v2
	v_and_b32_e32 v17, s10, v17
	v_lshl_or_b32 v17, v17, 4, v1
	ds_add_u32 v17, v3
	s_and_b64 vcc, exec, s[0:1]
	s_cbranch_vccnz .LBB2532_262
; %bb.259:
	s_sub_i32 s6, s9, s11
	s_min_u32 s6, s6, 8
	v_lshrrev_b32_e32 v3, s11, v2
	v_bfe_u32 v3, v3, 0, s6
	v_lshl_or_b32 v17, v3, 4, v1
	v_mov_b32_e32 v3, 1
	ds_add_u32 v17, v3 offset:4096
	s_add_i32 s6, s8, 16
	s_cmp_le_u32 s9, s6
	s_cbranch_scc1 .LBB2532_262
; %bb.260:
	s_sub_i32 s7, s9, s6
	s_min_u32 s7, s7, 8
	v_lshrrev_b32_e32 v17, s6, v2
	v_bfe_u32 v17, v17, 0, s7
	v_lshl_or_b32 v17, v17, 4, v1
	ds_add_u32 v17, v3 offset:8192
	s_add_i32 s6, s8, 24
	s_cmp_le_u32 s9, s6
	s_cbranch_scc1 .LBB2532_262
; %bb.261:
	s_sub_i32 s7, s9, s6
	s_min_u32 s7, s7, 8
	v_lshrrev_b32_e32 v2, s6, v2
	v_bfe_u32 v2, v2, 0, s7
	v_lshl_or_b32 v2, v2, 4, v1
	v_mov_b32_e32 v3, 1
	ds_add_u32 v2, v3 offset:12288
.LBB2532_262:
	v_bfrev_b32_e32 v2, -2
	s_waitcnt vmcnt(5)
	v_cmp_gt_i32_e32 vcc, 0, v5
	v_cndmask_b32_e64 v3, v2, 0, vcc
	v_xor_b32_e32 v3, v3, v5
	s_brev_b32 s6, 1
	v_cmp_ne_u32_e32 vcc, s6, v3
	v_cndmask_b32_e32 v17, v2, v3, vcc
	v_lshrrev_b32_e32 v3, s8, v17
	v_and_b32_e32 v3, s10, v3
	v_lshl_or_b32 v18, v3, 4, v1
	v_mov_b32_e32 v3, 1
	ds_add_u32 v18, v3
	s_and_b64 vcc, exec, s[0:1]
	s_cbranch_vccnz .LBB2532_266
; %bb.263:
	s_sub_i32 s7, s9, s11
	s_min_u32 s7, s7, 8
	v_lshrrev_b32_e32 v18, s11, v17
	v_bfe_u32 v18, v18, 0, s7
	v_lshl_or_b32 v18, v18, 4, v1
	ds_add_u32 v18, v3 offset:4096
	s_add_i32 s7, s8, 16
	s_cmp_le_u32 s9, s7
	s_cbranch_scc1 .LBB2532_266
; %bb.264:
	s_sub_i32 s12, s9, s7
	s_min_u32 s12, s12, 8
	v_lshrrev_b32_e32 v18, s7, v17
	v_bfe_u32 v18, v18, 0, s12
	v_lshl_or_b32 v18, v18, 4, v1
	ds_add_u32 v18, v3 offset:8192
	s_add_i32 s7, s8, 24
	s_cmp_le_u32 s9, s7
	s_cbranch_scc1 .LBB2532_266
; %bb.265:
	s_sub_i32 s12, s9, s7
	s_min_u32 s12, s12, 8
	v_lshrrev_b32_e32 v17, s7, v17
	v_bfe_u32 v17, v17, 0, s12
	v_lshl_or_b32 v17, v17, 4, v1
	v_mov_b32_e32 v18, 1
	ds_add_u32 v17, v18 offset:12288
.LBB2532_266:
	s_waitcnt vmcnt(4)
	v_cmp_gt_i32_e32 vcc, 0, v6
	v_cndmask_b32_e64 v17, v2, 0, vcc
	v_xor_b32_e32 v17, v17, v6
	v_cmp_ne_u32_e32 vcc, s6, v17
	v_cndmask_b32_e32 v2, v2, v17, vcc
	v_lshrrev_b32_e32 v17, s8, v2
	v_and_b32_e32 v17, s10, v17
	v_lshl_or_b32 v17, v17, 4, v1
	ds_add_u32 v17, v3
	s_and_b64 vcc, exec, s[0:1]
	s_cbranch_vccnz .LBB2532_270
; %bb.267:
	s_sub_i32 s6, s9, s11
	s_min_u32 s6, s6, 8
	v_lshrrev_b32_e32 v3, s11, v2
	v_bfe_u32 v3, v3, 0, s6
	v_lshl_or_b32 v17, v3, 4, v1
	v_mov_b32_e32 v3, 1
	ds_add_u32 v17, v3 offset:4096
	s_add_i32 s6, s8, 16
	s_cmp_le_u32 s9, s6
	s_cbranch_scc1 .LBB2532_270
; %bb.268:
	s_sub_i32 s7, s9, s6
	s_min_u32 s7, s7, 8
	v_lshrrev_b32_e32 v17, s6, v2
	v_bfe_u32 v17, v17, 0, s7
	v_lshl_or_b32 v17, v17, 4, v1
	ds_add_u32 v17, v3 offset:8192
	s_add_i32 s6, s8, 24
	s_cmp_le_u32 s9, s6
	s_cbranch_scc1 .LBB2532_270
; %bb.269:
	s_sub_i32 s7, s9, s6
	s_min_u32 s7, s7, 8
	v_lshrrev_b32_e32 v2, s6, v2
	v_bfe_u32 v2, v2, 0, s7
	v_lshl_or_b32 v2, v2, 4, v1
	v_mov_b32_e32 v3, 1
	ds_add_u32 v2, v3 offset:12288
.LBB2532_270:
	v_bfrev_b32_e32 v2, -2
	s_waitcnt vmcnt(3)
	v_cmp_gt_i32_e32 vcc, 0, v16
	v_cndmask_b32_e64 v3, v2, 0, vcc
	v_xor_b32_e32 v3, v3, v16
	s_brev_b32 s6, 1
	v_cmp_ne_u32_e32 vcc, s6, v3
	v_cndmask_b32_e32 v17, v2, v3, vcc
	v_lshrrev_b32_e32 v3, s8, v17
	v_and_b32_e32 v3, s10, v3
	v_lshl_or_b32 v18, v3, 4, v1
	v_mov_b32_e32 v3, 1
	ds_add_u32 v18, v3
	s_and_b64 vcc, exec, s[0:1]
	s_cbranch_vccnz .LBB2532_274
; %bb.271:
	s_sub_i32 s7, s9, s11
	s_min_u32 s7, s7, 8
	v_lshrrev_b32_e32 v18, s11, v17
	v_bfe_u32 v18, v18, 0, s7
	v_lshl_or_b32 v18, v18, 4, v1
	ds_add_u32 v18, v3 offset:4096
	s_add_i32 s7, s8, 16
	s_cmp_le_u32 s9, s7
	s_cbranch_scc1 .LBB2532_274
; %bb.272:
	s_sub_i32 s12, s9, s7
	s_min_u32 s12, s12, 8
	v_lshrrev_b32_e32 v18, s7, v17
	v_bfe_u32 v18, v18, 0, s12
	v_lshl_or_b32 v18, v18, 4, v1
	ds_add_u32 v18, v3 offset:8192
	s_add_i32 s7, s8, 24
	s_cmp_le_u32 s9, s7
	s_cbranch_scc1 .LBB2532_274
; %bb.273:
	s_sub_i32 s12, s9, s7
	s_min_u32 s12, s12, 8
	v_lshrrev_b32_e32 v17, s7, v17
	v_bfe_u32 v17, v17, 0, s12
	v_lshl_or_b32 v17, v17, 4, v1
	v_mov_b32_e32 v18, 1
	ds_add_u32 v17, v18 offset:12288
.LBB2532_274:
	s_waitcnt vmcnt(2)
	v_cmp_gt_i32_e32 vcc, 0, v15
	v_cndmask_b32_e64 v17, v2, 0, vcc
	v_xor_b32_e32 v17, v17, v15
	v_cmp_ne_u32_e32 vcc, s6, v17
	v_cndmask_b32_e32 v2, v2, v17, vcc
	v_lshrrev_b32_e32 v17, s8, v2
	v_and_b32_e32 v17, s10, v17
	v_lshl_or_b32 v17, v17, 4, v1
	ds_add_u32 v17, v3
	s_and_b64 vcc, exec, s[0:1]
	s_cbranch_vccnz .LBB2532_278
; %bb.275:
	s_sub_i32 s6, s9, s11
	s_min_u32 s6, s6, 8
	v_lshrrev_b32_e32 v3, s11, v2
	v_bfe_u32 v3, v3, 0, s6
	v_lshl_or_b32 v17, v3, 4, v1
	v_mov_b32_e32 v3, 1
	ds_add_u32 v17, v3 offset:4096
	s_add_i32 s6, s8, 16
	s_cmp_le_u32 s9, s6
	s_cbranch_scc1 .LBB2532_278
; %bb.276:
	s_sub_i32 s7, s9, s6
	s_min_u32 s7, s7, 8
	v_lshrrev_b32_e32 v17, s6, v2
	v_bfe_u32 v17, v17, 0, s7
	v_lshl_or_b32 v17, v17, 4, v1
	ds_add_u32 v17, v3 offset:8192
	s_add_i32 s6, s8, 24
	s_cmp_le_u32 s9, s6
	s_cbranch_scc1 .LBB2532_278
; %bb.277:
	s_sub_i32 s7, s9, s6
	s_min_u32 s7, s7, 8
	v_lshrrev_b32_e32 v2, s6, v2
	v_bfe_u32 v2, v2, 0, s7
	v_lshl_or_b32 v2, v2, 4, v1
	v_mov_b32_e32 v3, 1
	ds_add_u32 v2, v3 offset:12288
.LBB2532_278:
	v_bfrev_b32_e32 v2, -2
	s_waitcnt vmcnt(1)
	v_cmp_gt_i32_e32 vcc, 0, v13
	v_cndmask_b32_e64 v3, v2, 0, vcc
	v_xor_b32_e32 v3, v3, v13
	s_brev_b32 s6, 1
	v_cmp_ne_u32_e32 vcc, s6, v3
	v_cndmask_b32_e32 v17, v2, v3, vcc
	v_lshrrev_b32_e32 v3, s8, v17
	v_and_b32_e32 v3, s10, v3
	v_lshl_or_b32 v18, v3, 4, v1
	v_mov_b32_e32 v3, 1
	ds_add_u32 v18, v3
	s_and_b64 vcc, exec, s[0:1]
	s_cbranch_vccnz .LBB2532_282
; %bb.279:
	s_sub_i32 s7, s9, s11
	s_min_u32 s7, s7, 8
	v_lshrrev_b32_e32 v18, s11, v17
	v_bfe_u32 v18, v18, 0, s7
	v_lshl_or_b32 v18, v18, 4, v1
	ds_add_u32 v18, v3 offset:4096
	s_add_i32 s7, s8, 16
	s_cmp_le_u32 s9, s7
	s_cbranch_scc1 .LBB2532_282
; %bb.280:
	s_sub_i32 s12, s9, s7
	s_min_u32 s12, s12, 8
	v_lshrrev_b32_e32 v18, s7, v17
	v_bfe_u32 v18, v18, 0, s12
	v_lshl_or_b32 v18, v18, 4, v1
	ds_add_u32 v18, v3 offset:8192
	s_add_i32 s7, s8, 24
	s_cmp_le_u32 s9, s7
	s_cbranch_scc1 .LBB2532_282
; %bb.281:
	s_sub_i32 s12, s9, s7
	s_min_u32 s12, s12, 8
	v_lshrrev_b32_e32 v17, s7, v17
	v_bfe_u32 v17, v17, 0, s12
	v_lshl_or_b32 v17, v17, 4, v1
	v_mov_b32_e32 v18, 1
	ds_add_u32 v17, v18 offset:12288
.LBB2532_282:
	s_waitcnt vmcnt(0)
	v_cmp_gt_i32_e32 vcc, 0, v14
	v_cndmask_b32_e64 v17, v2, 0, vcc
	v_xor_b32_e32 v17, v17, v14
	v_cmp_ne_u32_e32 vcc, s6, v17
	v_cndmask_b32_e32 v2, v2, v17, vcc
	v_lshrrev_b32_e32 v17, s8, v2
	v_and_b32_e32 v17, s10, v17
	v_lshl_or_b32 v17, v17, 4, v1
	ds_add_u32 v17, v3
	s_and_b64 vcc, exec, s[0:1]
	s_cbranch_vccnz .LBB2532_286
; %bb.283:
	s_sub_i32 s0, s9, s11
	s_min_u32 s0, s0, 8
	v_lshrrev_b32_e32 v3, s11, v2
	v_bfe_u32 v3, v3, 0, s0
	v_lshl_or_b32 v17, v3, 4, v1
	v_mov_b32_e32 v3, 1
	ds_add_u32 v17, v3 offset:4096
	s_add_i32 s0, s8, 16
	s_cmp_le_u32 s9, s0
	s_cbranch_scc1 .LBB2532_286
; %bb.284:
	s_sub_i32 s1, s9, s0
	s_min_u32 s1, s1, 8
	v_lshrrev_b32_e32 v17, s0, v2
	v_bfe_u32 v17, v17, 0, s1
	v_lshl_or_b32 v17, v17, 4, v1
	ds_add_u32 v17, v3 offset:8192
	s_add_i32 s0, s8, 24
	s_cmp_le_u32 s9, s0
	s_cbranch_scc1 .LBB2532_286
; %bb.285:
	s_sub_i32 s1, s9, s0
	s_min_u32 s1, s1, 8
	v_lshrrev_b32_e32 v2, s0, v2
	v_bfe_u32 v2, v2, 0, s1
	v_lshl_or_b32 v1, v2, 4, v1
	v_mov_b32_e32 v2, 1
	ds_add_u32 v1, v2 offset:12288
.LBB2532_286:
	s_and_b64 vcc, exec, s[4:5]
	s_waitcnt lgkmcnt(0)
	s_barrier
	s_cbranch_vccz .LBB2532_291
; %bb.287:
	s_movk_i32 s0, 0x100
	v_cmp_gt_u32_e32 vcc, s0, v0
	v_lshlrev_b32_e32 v1, 4, v0
	v_mov_b32_e32 v3, 0
	v_mov_b32_e32 v2, v0
	s_branch .LBB2532_289
.LBB2532_288:                           ;   in Loop: Header=BB2532_289 Depth=1
	s_or_b64 exec, exec, s[4:5]
	s_add_i32 s8, s8, 8
	v_add_u32_e32 v2, 0x100, v2
	s_cmp_ge_u32 s8, s9
	v_add_u32_e32 v1, 0x1000, v1
	s_cbranch_scc1 .LBB2532_291
.LBB2532_289:                           ; =>This Inner Loop Header: Depth=1
	s_and_saveexec_b64 s[4:5], vcc
	s_cbranch_execz .LBB2532_288
; %bb.290:                              ;   in Loop: Header=BB2532_289 Depth=1
	ds_read2_b32 v[18:19], v1 offset1:1
	ds_read2_b32 v[20:21], v1 offset0:2 offset1:3
	v_lshlrev_b64 v[22:23], 3, v[2:3]
	v_mov_b32_e32 v17, s3
	s_waitcnt lgkmcnt(1)
	v_add_u32_e32 v18, v19, v18
	s_waitcnt lgkmcnt(0)
	v_add3_u32 v18, v18, v20, v21
	v_add_co_u32_e64 v20, s[0:1], s2, v22
	v_addc_co_u32_e64 v21, s[0:1], v17, v23, s[0:1]
	v_mov_b32_e32 v19, v3
	global_atomic_add_x2 v[20:21], v[18:19], off
	s_branch .LBB2532_288
.LBB2532_291:
	s_mov_b64 s[0:1], 0
.LBB2532_292:
	s_and_b64 vcc, exec, s[0:1]
	s_cbranch_vccz .LBB2532_295
; %bb.293:
	v_bfrev_b32_e32 v2, -2
	s_waitcnt vmcnt(11)
	v_cmp_gt_i32_e32 vcc, 0, v12
	v_mov_b32_e32 v1, 0
	v_cndmask_b32_e64 v3, v2, 0, vcc
	s_waitcnt vmcnt(10)
	v_cmp_gt_i32_e32 vcc, 0, v11
	ds_write2st64_b32 v4, v1, v1 offset1:16
	ds_write2st64_b32 v4, v1, v1 offset0:32 offset1:48
	v_cndmask_b32_e64 v4, v2, 0, vcc
	s_waitcnt vmcnt(9)
	v_cmp_gt_i32_e32 vcc, 0, v10
	v_xor_b32_e32 v4, v4, v11
	v_cndmask_b32_e64 v11, v2, 0, vcc
	s_waitcnt vmcnt(8)
	v_cmp_gt_i32_e32 vcc, 0, v9
	v_xor_b32_e32 v10, v11, v10
	;; [unrolled: 4-line block ×9, first 2 shown]
	v_cndmask_b32_e64 v15, v2, 0, vcc
	s_waitcnt vmcnt(0)
	v_cmp_gt_i32_e32 vcc, 0, v14
	s_brev_b32 s0, 1
	v_xor_b32_e32 v13, v15, v13
	v_cndmask_b32_e64 v15, v2, 0, vcc
	v_cmp_ne_u32_e32 vcc, s0, v3
	v_cndmask_b32_e32 v3, v2, v3, vcc
	v_xor_b32_e32 v11, v11, v16
	v_xor_b32_e32 v14, v15, v14
	v_and_b32_e32 v15, 3, v0
	v_lshlrev_b32_e32 v16, 2, v3
	s_movk_i32 s1, 0x3fc
	v_and_or_b32 v16, v16, s1, v15
	v_lshlrev_b32_e32 v16, 2, v16
	v_mov_b32_e32 v17, 1
	s_waitcnt lgkmcnt(0)
	s_barrier
	ds_add_u32 v16, v17
	v_bfe_u32 v16, v3, 8, 8
	v_lshl_or_b32 v16, v16, 2, v15
	v_lshlrev_b32_e32 v16, 2, v16
	ds_add_u32 v16, v17 offset:4096
	v_bfe_u32 v16, v3, 16, 8
	v_lshl_or_b32 v16, v16, 2, v15
	v_lshrrev_b32_e32 v3, 24, v3
	v_lshlrev_b32_e32 v16, 2, v16
	v_lshl_or_b32 v3, v3, 2, v15
	ds_add_u32 v16, v17 offset:8192
	v_lshlrev_b32_e32 v3, 2, v3
	v_cmp_ne_u32_e32 vcc, s0, v4
	ds_add_u32 v3, v17 offset:12288
	v_cndmask_b32_e32 v3, v2, v4, vcc
	v_lshlrev_b32_e32 v4, 2, v3
	v_and_or_b32 v4, v4, s1, v15
	v_lshlrev_b32_e32 v4, 2, v4
	ds_add_u32 v4, v17
	v_bfe_u32 v4, v3, 8, 8
	v_lshl_or_b32 v4, v4, 2, v15
	v_lshlrev_b32_e32 v4, 2, v4
	ds_add_u32 v4, v17 offset:4096
	v_bfe_u32 v4, v3, 16, 8
	v_lshl_or_b32 v4, v4, 2, v15
	v_lshrrev_b32_e32 v3, 24, v3
	v_lshlrev_b32_e32 v4, 2, v4
	v_lshl_or_b32 v3, v3, 2, v15
	ds_add_u32 v4, v17 offset:8192
	v_lshlrev_b32_e32 v3, 2, v3
	v_cmp_ne_u32_e32 vcc, s0, v10
	ds_add_u32 v3, v17 offset:12288
	v_cndmask_b32_e32 v3, v2, v10, vcc
	v_lshlrev_b32_e32 v4, 2, v3
	v_and_or_b32 v4, v4, s1, v15
	v_lshlrev_b32_e32 v4, 2, v4
	;; [unrolled: 18-line block ×10, first 2 shown]
	ds_add_u32 v4, v17
	v_bfe_u32 v4, v3, 8, 8
	v_lshl_or_b32 v4, v4, 2, v15
	v_lshlrev_b32_e32 v4, 2, v4
	ds_add_u32 v4, v17 offset:4096
	v_bfe_u32 v4, v3, 16, 8
	v_lshl_or_b32 v4, v4, 2, v15
	v_lshrrev_b32_e32 v3, 24, v3
	v_lshlrev_b32_e32 v4, 2, v4
	v_lshl_or_b32 v3, v3, 2, v15
	v_cmp_ne_u32_e32 vcc, s0, v14
	ds_add_u32 v4, v17 offset:8192
	v_lshlrev_b32_e32 v3, 2, v3
	v_cndmask_b32_e32 v2, v2, v14, vcc
	ds_add_u32 v3, v17 offset:12288
	v_lshlrev_b32_e32 v3, 2, v2
	v_and_or_b32 v3, v3, s1, v15
	v_lshlrev_b32_e32 v3, 2, v3
	ds_add_u32 v3, v17
	v_bfe_u32 v3, v2, 8, 8
	v_lshl_or_b32 v3, v3, 2, v15
	v_lshlrev_b32_e32 v3, 2, v3
	ds_add_u32 v3, v17 offset:4096
	v_bfe_u32 v3, v2, 16, 8
	v_lshl_or_b32 v3, v3, 2, v15
	v_lshrrev_b32_e32 v2, 24, v2
	v_lshlrev_b32_e32 v3, 2, v3
	v_lshl_or_b32 v2, v2, 2, v15
	ds_add_u32 v3, v17 offset:8192
	v_lshlrev_b32_e32 v2, 2, v2
	ds_add_u32 v2, v17 offset:12288
	s_movk_i32 s0, 0x100
	v_cmp_gt_u32_e32 vcc, s0, v0
	s_waitcnt lgkmcnt(0)
	s_barrier
	s_and_saveexec_b64 s[0:1], vcc
	s_cbranch_execz .LBB2532_295
; %bb.294:
	v_lshlrev_b32_e32 v6, 4, v0
	ds_read2_b32 v[2:3], v6 offset1:1
	ds_read2_b32 v[4:5], v6 offset0:2 offset1:3
	v_lshlrev_b32_e32 v7, 3, v0
	v_add_u32_e32 v8, 0x1000, v6
	v_add_u32_e32 v9, 0x1008, v6
	s_waitcnt lgkmcnt(1)
	v_add_u32_e32 v0, v3, v2
	s_waitcnt lgkmcnt(0)
	v_add3_u32 v0, v0, v4, v5
	global_atomic_add_x2 v7, v[0:1], s[2:3]
	ds_read2_b32 v[2:3], v8 offset1:1
	ds_read2_b32 v[4:5], v9 offset1:1
	v_add_u32_e32 v8, 0x2000, v6
	v_add_u32_e32 v9, 0x2008, v6
	s_waitcnt lgkmcnt(1)
	v_add_u32_e32 v0, v3, v2
	s_waitcnt lgkmcnt(0)
	v_add3_u32 v0, v0, v4, v5
	global_atomic_add_x2 v7, v[0:1], s[2:3] offset:2048
	ds_read2_b32 v[2:3], v8 offset1:1
	ds_read2_b32 v[4:5], v9 offset1:1
	v_or_b32_e32 v8, 0x1000, v7
	v_add_u32_e32 v9, 0x3000, v6
	v_add_u32_e32 v6, 0x3008, v6
	s_waitcnt lgkmcnt(1)
	v_add_u32_e32 v0, v3, v2
	s_waitcnt lgkmcnt(0)
	v_add3_u32 v0, v0, v4, v5
	global_atomic_add_x2 v8, v[0:1], s[2:3]
	ds_read2_b32 v[2:3], v9 offset1:1
	ds_read2_b32 v[4:5], v6 offset1:1
	s_waitcnt lgkmcnt(1)
	v_add_u32_e32 v0, v3, v2
	s_waitcnt lgkmcnt(0)
	v_add3_u32 v0, v0, v4, v5
	v_or_b32_e32 v2, 0x1800, v7
	global_atomic_add_x2 v2, v[0:1], s[2:3]
.LBB2532_295:
	s_endpgm
	.section	.rodata,"a",@progbits
	.p2align	6, 0x0
	.amdhsa_kernel _ZN7rocprim17ROCPRIM_400000_NS6detail17trampoline_kernelINS0_14default_configENS1_35radix_sort_onesweep_config_selectorIfNS0_10empty_typeEEEZNS1_34radix_sort_onesweep_global_offsetsIS3_Lb1EPfPS5_mNS0_19identity_decomposerEEE10hipError_tT1_T2_PT3_SE_jT4_jjP12ihipStream_tbEUlT_E_NS1_11comp_targetILNS1_3genE4ELNS1_11target_archE910ELNS1_3gpuE8ELNS1_3repE0EEENS1_52radix_sort_onesweep_histogram_config_static_selectorELNS0_4arch9wavefront6targetE1EEEvSC_
		.amdhsa_group_segment_fixed_size 16384
		.amdhsa_private_segment_fixed_size 0
		.amdhsa_kernarg_size 48
		.amdhsa_user_sgpr_count 6
		.amdhsa_user_sgpr_private_segment_buffer 1
		.amdhsa_user_sgpr_dispatch_ptr 0
		.amdhsa_user_sgpr_queue_ptr 0
		.amdhsa_user_sgpr_kernarg_segment_ptr 1
		.amdhsa_user_sgpr_dispatch_id 0
		.amdhsa_user_sgpr_flat_scratch_init 0
		.amdhsa_user_sgpr_kernarg_preload_length 0
		.amdhsa_user_sgpr_kernarg_preload_offset 0
		.amdhsa_user_sgpr_private_segment_size 0
		.amdhsa_uses_dynamic_stack 0
		.amdhsa_system_sgpr_private_segment_wavefront_offset 0
		.amdhsa_system_sgpr_workgroup_id_x 1
		.amdhsa_system_sgpr_workgroup_id_y 0
		.amdhsa_system_sgpr_workgroup_id_z 0
		.amdhsa_system_sgpr_workgroup_info 0
		.amdhsa_system_vgpr_workitem_id 0
		.amdhsa_next_free_vgpr 27
		.amdhsa_next_free_sgpr 18
		.amdhsa_accum_offset 28
		.amdhsa_reserve_vcc 1
		.amdhsa_reserve_flat_scratch 0
		.amdhsa_float_round_mode_32 0
		.amdhsa_float_round_mode_16_64 0
		.amdhsa_float_denorm_mode_32 3
		.amdhsa_float_denorm_mode_16_64 3
		.amdhsa_dx10_clamp 1
		.amdhsa_ieee_mode 1
		.amdhsa_fp16_overflow 0
		.amdhsa_tg_split 0
		.amdhsa_exception_fp_ieee_invalid_op 0
		.amdhsa_exception_fp_denorm_src 0
		.amdhsa_exception_fp_ieee_div_zero 0
		.amdhsa_exception_fp_ieee_overflow 0
		.amdhsa_exception_fp_ieee_underflow 0
		.amdhsa_exception_fp_ieee_inexact 0
		.amdhsa_exception_int_div_zero 0
	.end_amdhsa_kernel
	.section	.text._ZN7rocprim17ROCPRIM_400000_NS6detail17trampoline_kernelINS0_14default_configENS1_35radix_sort_onesweep_config_selectorIfNS0_10empty_typeEEEZNS1_34radix_sort_onesweep_global_offsetsIS3_Lb1EPfPS5_mNS0_19identity_decomposerEEE10hipError_tT1_T2_PT3_SE_jT4_jjP12ihipStream_tbEUlT_E_NS1_11comp_targetILNS1_3genE4ELNS1_11target_archE910ELNS1_3gpuE8ELNS1_3repE0EEENS1_52radix_sort_onesweep_histogram_config_static_selectorELNS0_4arch9wavefront6targetE1EEEvSC_,"axG",@progbits,_ZN7rocprim17ROCPRIM_400000_NS6detail17trampoline_kernelINS0_14default_configENS1_35radix_sort_onesweep_config_selectorIfNS0_10empty_typeEEEZNS1_34radix_sort_onesweep_global_offsetsIS3_Lb1EPfPS5_mNS0_19identity_decomposerEEE10hipError_tT1_T2_PT3_SE_jT4_jjP12ihipStream_tbEUlT_E_NS1_11comp_targetILNS1_3genE4ELNS1_11target_archE910ELNS1_3gpuE8ELNS1_3repE0EEENS1_52radix_sort_onesweep_histogram_config_static_selectorELNS0_4arch9wavefront6targetE1EEEvSC_,comdat
.Lfunc_end2532:
	.size	_ZN7rocprim17ROCPRIM_400000_NS6detail17trampoline_kernelINS0_14default_configENS1_35radix_sort_onesweep_config_selectorIfNS0_10empty_typeEEEZNS1_34radix_sort_onesweep_global_offsetsIS3_Lb1EPfPS5_mNS0_19identity_decomposerEEE10hipError_tT1_T2_PT3_SE_jT4_jjP12ihipStream_tbEUlT_E_NS1_11comp_targetILNS1_3genE4ELNS1_11target_archE910ELNS1_3gpuE8ELNS1_3repE0EEENS1_52radix_sort_onesweep_histogram_config_static_selectorELNS0_4arch9wavefront6targetE1EEEvSC_, .Lfunc_end2532-_ZN7rocprim17ROCPRIM_400000_NS6detail17trampoline_kernelINS0_14default_configENS1_35radix_sort_onesweep_config_selectorIfNS0_10empty_typeEEEZNS1_34radix_sort_onesweep_global_offsetsIS3_Lb1EPfPS5_mNS0_19identity_decomposerEEE10hipError_tT1_T2_PT3_SE_jT4_jjP12ihipStream_tbEUlT_E_NS1_11comp_targetILNS1_3genE4ELNS1_11target_archE910ELNS1_3gpuE8ELNS1_3repE0EEENS1_52radix_sort_onesweep_histogram_config_static_selectorELNS0_4arch9wavefront6targetE1EEEvSC_
                                        ; -- End function
	.section	.AMDGPU.csdata,"",@progbits
; Kernel info:
; codeLenInByte = 12372
; NumSgprs: 22
; NumVgprs: 27
; NumAgprs: 0
; TotalNumVgprs: 27
; ScratchSize: 0
; MemoryBound: 0
; FloatMode: 240
; IeeeMode: 1
; LDSByteSize: 16384 bytes/workgroup (compile time only)
; SGPRBlocks: 2
; VGPRBlocks: 3
; NumSGPRsForWavesPerEU: 22
; NumVGPRsForWavesPerEU: 27
; AccumOffset: 28
; Occupancy: 8
; WaveLimiterHint : 1
; COMPUTE_PGM_RSRC2:SCRATCH_EN: 0
; COMPUTE_PGM_RSRC2:USER_SGPR: 6
; COMPUTE_PGM_RSRC2:TRAP_HANDLER: 0
; COMPUTE_PGM_RSRC2:TGID_X_EN: 1
; COMPUTE_PGM_RSRC2:TGID_Y_EN: 0
; COMPUTE_PGM_RSRC2:TGID_Z_EN: 0
; COMPUTE_PGM_RSRC2:TIDIG_COMP_CNT: 0
; COMPUTE_PGM_RSRC3_GFX90A:ACCUM_OFFSET: 6
; COMPUTE_PGM_RSRC3_GFX90A:TG_SPLIT: 0
	.section	.text._ZN7rocprim17ROCPRIM_400000_NS6detail17trampoline_kernelINS0_14default_configENS1_35radix_sort_onesweep_config_selectorIfNS0_10empty_typeEEEZNS1_34radix_sort_onesweep_global_offsetsIS3_Lb1EPfPS5_mNS0_19identity_decomposerEEE10hipError_tT1_T2_PT3_SE_jT4_jjP12ihipStream_tbEUlT_E_NS1_11comp_targetILNS1_3genE3ELNS1_11target_archE908ELNS1_3gpuE7ELNS1_3repE0EEENS1_52radix_sort_onesweep_histogram_config_static_selectorELNS0_4arch9wavefront6targetE1EEEvSC_,"axG",@progbits,_ZN7rocprim17ROCPRIM_400000_NS6detail17trampoline_kernelINS0_14default_configENS1_35radix_sort_onesweep_config_selectorIfNS0_10empty_typeEEEZNS1_34radix_sort_onesweep_global_offsetsIS3_Lb1EPfPS5_mNS0_19identity_decomposerEEE10hipError_tT1_T2_PT3_SE_jT4_jjP12ihipStream_tbEUlT_E_NS1_11comp_targetILNS1_3genE3ELNS1_11target_archE908ELNS1_3gpuE7ELNS1_3repE0EEENS1_52radix_sort_onesweep_histogram_config_static_selectorELNS0_4arch9wavefront6targetE1EEEvSC_,comdat
	.protected	_ZN7rocprim17ROCPRIM_400000_NS6detail17trampoline_kernelINS0_14default_configENS1_35radix_sort_onesweep_config_selectorIfNS0_10empty_typeEEEZNS1_34radix_sort_onesweep_global_offsetsIS3_Lb1EPfPS5_mNS0_19identity_decomposerEEE10hipError_tT1_T2_PT3_SE_jT4_jjP12ihipStream_tbEUlT_E_NS1_11comp_targetILNS1_3genE3ELNS1_11target_archE908ELNS1_3gpuE7ELNS1_3repE0EEENS1_52radix_sort_onesweep_histogram_config_static_selectorELNS0_4arch9wavefront6targetE1EEEvSC_ ; -- Begin function _ZN7rocprim17ROCPRIM_400000_NS6detail17trampoline_kernelINS0_14default_configENS1_35radix_sort_onesweep_config_selectorIfNS0_10empty_typeEEEZNS1_34radix_sort_onesweep_global_offsetsIS3_Lb1EPfPS5_mNS0_19identity_decomposerEEE10hipError_tT1_T2_PT3_SE_jT4_jjP12ihipStream_tbEUlT_E_NS1_11comp_targetILNS1_3genE3ELNS1_11target_archE908ELNS1_3gpuE7ELNS1_3repE0EEENS1_52radix_sort_onesweep_histogram_config_static_selectorELNS0_4arch9wavefront6targetE1EEEvSC_
	.globl	_ZN7rocprim17ROCPRIM_400000_NS6detail17trampoline_kernelINS0_14default_configENS1_35radix_sort_onesweep_config_selectorIfNS0_10empty_typeEEEZNS1_34radix_sort_onesweep_global_offsetsIS3_Lb1EPfPS5_mNS0_19identity_decomposerEEE10hipError_tT1_T2_PT3_SE_jT4_jjP12ihipStream_tbEUlT_E_NS1_11comp_targetILNS1_3genE3ELNS1_11target_archE908ELNS1_3gpuE7ELNS1_3repE0EEENS1_52radix_sort_onesweep_histogram_config_static_selectorELNS0_4arch9wavefront6targetE1EEEvSC_
	.p2align	8
	.type	_ZN7rocprim17ROCPRIM_400000_NS6detail17trampoline_kernelINS0_14default_configENS1_35radix_sort_onesweep_config_selectorIfNS0_10empty_typeEEEZNS1_34radix_sort_onesweep_global_offsetsIS3_Lb1EPfPS5_mNS0_19identity_decomposerEEE10hipError_tT1_T2_PT3_SE_jT4_jjP12ihipStream_tbEUlT_E_NS1_11comp_targetILNS1_3genE3ELNS1_11target_archE908ELNS1_3gpuE7ELNS1_3repE0EEENS1_52radix_sort_onesweep_histogram_config_static_selectorELNS0_4arch9wavefront6targetE1EEEvSC_,@function
_ZN7rocprim17ROCPRIM_400000_NS6detail17trampoline_kernelINS0_14default_configENS1_35radix_sort_onesweep_config_selectorIfNS0_10empty_typeEEEZNS1_34radix_sort_onesweep_global_offsetsIS3_Lb1EPfPS5_mNS0_19identity_decomposerEEE10hipError_tT1_T2_PT3_SE_jT4_jjP12ihipStream_tbEUlT_E_NS1_11comp_targetILNS1_3genE3ELNS1_11target_archE908ELNS1_3gpuE7ELNS1_3repE0EEENS1_52radix_sort_onesweep_histogram_config_static_selectorELNS0_4arch9wavefront6targetE1EEEvSC_: ; @_ZN7rocprim17ROCPRIM_400000_NS6detail17trampoline_kernelINS0_14default_configENS1_35radix_sort_onesweep_config_selectorIfNS0_10empty_typeEEEZNS1_34radix_sort_onesweep_global_offsetsIS3_Lb1EPfPS5_mNS0_19identity_decomposerEEE10hipError_tT1_T2_PT3_SE_jT4_jjP12ihipStream_tbEUlT_E_NS1_11comp_targetILNS1_3genE3ELNS1_11target_archE908ELNS1_3gpuE7ELNS1_3repE0EEENS1_52radix_sort_onesweep_histogram_config_static_selectorELNS0_4arch9wavefront6targetE1EEEvSC_
; %bb.0:
	.section	.rodata,"a",@progbits
	.p2align	6, 0x0
	.amdhsa_kernel _ZN7rocprim17ROCPRIM_400000_NS6detail17trampoline_kernelINS0_14default_configENS1_35radix_sort_onesweep_config_selectorIfNS0_10empty_typeEEEZNS1_34radix_sort_onesweep_global_offsetsIS3_Lb1EPfPS5_mNS0_19identity_decomposerEEE10hipError_tT1_T2_PT3_SE_jT4_jjP12ihipStream_tbEUlT_E_NS1_11comp_targetILNS1_3genE3ELNS1_11target_archE908ELNS1_3gpuE7ELNS1_3repE0EEENS1_52radix_sort_onesweep_histogram_config_static_selectorELNS0_4arch9wavefront6targetE1EEEvSC_
		.amdhsa_group_segment_fixed_size 0
		.amdhsa_private_segment_fixed_size 0
		.amdhsa_kernarg_size 48
		.amdhsa_user_sgpr_count 6
		.amdhsa_user_sgpr_private_segment_buffer 1
		.amdhsa_user_sgpr_dispatch_ptr 0
		.amdhsa_user_sgpr_queue_ptr 0
		.amdhsa_user_sgpr_kernarg_segment_ptr 1
		.amdhsa_user_sgpr_dispatch_id 0
		.amdhsa_user_sgpr_flat_scratch_init 0
		.amdhsa_user_sgpr_kernarg_preload_length 0
		.amdhsa_user_sgpr_kernarg_preload_offset 0
		.amdhsa_user_sgpr_private_segment_size 0
		.amdhsa_uses_dynamic_stack 0
		.amdhsa_system_sgpr_private_segment_wavefront_offset 0
		.amdhsa_system_sgpr_workgroup_id_x 1
		.amdhsa_system_sgpr_workgroup_id_y 0
		.amdhsa_system_sgpr_workgroup_id_z 0
		.amdhsa_system_sgpr_workgroup_info 0
		.amdhsa_system_vgpr_workitem_id 0
		.amdhsa_next_free_vgpr 1
		.amdhsa_next_free_sgpr 0
		.amdhsa_accum_offset 4
		.amdhsa_reserve_vcc 0
		.amdhsa_reserve_flat_scratch 0
		.amdhsa_float_round_mode_32 0
		.amdhsa_float_round_mode_16_64 0
		.amdhsa_float_denorm_mode_32 3
		.amdhsa_float_denorm_mode_16_64 3
		.amdhsa_dx10_clamp 1
		.amdhsa_ieee_mode 1
		.amdhsa_fp16_overflow 0
		.amdhsa_tg_split 0
		.amdhsa_exception_fp_ieee_invalid_op 0
		.amdhsa_exception_fp_denorm_src 0
		.amdhsa_exception_fp_ieee_div_zero 0
		.amdhsa_exception_fp_ieee_overflow 0
		.amdhsa_exception_fp_ieee_underflow 0
		.amdhsa_exception_fp_ieee_inexact 0
		.amdhsa_exception_int_div_zero 0
	.end_amdhsa_kernel
	.section	.text._ZN7rocprim17ROCPRIM_400000_NS6detail17trampoline_kernelINS0_14default_configENS1_35radix_sort_onesweep_config_selectorIfNS0_10empty_typeEEEZNS1_34radix_sort_onesweep_global_offsetsIS3_Lb1EPfPS5_mNS0_19identity_decomposerEEE10hipError_tT1_T2_PT3_SE_jT4_jjP12ihipStream_tbEUlT_E_NS1_11comp_targetILNS1_3genE3ELNS1_11target_archE908ELNS1_3gpuE7ELNS1_3repE0EEENS1_52radix_sort_onesweep_histogram_config_static_selectorELNS0_4arch9wavefront6targetE1EEEvSC_,"axG",@progbits,_ZN7rocprim17ROCPRIM_400000_NS6detail17trampoline_kernelINS0_14default_configENS1_35radix_sort_onesweep_config_selectorIfNS0_10empty_typeEEEZNS1_34radix_sort_onesweep_global_offsetsIS3_Lb1EPfPS5_mNS0_19identity_decomposerEEE10hipError_tT1_T2_PT3_SE_jT4_jjP12ihipStream_tbEUlT_E_NS1_11comp_targetILNS1_3genE3ELNS1_11target_archE908ELNS1_3gpuE7ELNS1_3repE0EEENS1_52radix_sort_onesweep_histogram_config_static_selectorELNS0_4arch9wavefront6targetE1EEEvSC_,comdat
.Lfunc_end2533:
	.size	_ZN7rocprim17ROCPRIM_400000_NS6detail17trampoline_kernelINS0_14default_configENS1_35radix_sort_onesweep_config_selectorIfNS0_10empty_typeEEEZNS1_34radix_sort_onesweep_global_offsetsIS3_Lb1EPfPS5_mNS0_19identity_decomposerEEE10hipError_tT1_T2_PT3_SE_jT4_jjP12ihipStream_tbEUlT_E_NS1_11comp_targetILNS1_3genE3ELNS1_11target_archE908ELNS1_3gpuE7ELNS1_3repE0EEENS1_52radix_sort_onesweep_histogram_config_static_selectorELNS0_4arch9wavefront6targetE1EEEvSC_, .Lfunc_end2533-_ZN7rocprim17ROCPRIM_400000_NS6detail17trampoline_kernelINS0_14default_configENS1_35radix_sort_onesweep_config_selectorIfNS0_10empty_typeEEEZNS1_34radix_sort_onesweep_global_offsetsIS3_Lb1EPfPS5_mNS0_19identity_decomposerEEE10hipError_tT1_T2_PT3_SE_jT4_jjP12ihipStream_tbEUlT_E_NS1_11comp_targetILNS1_3genE3ELNS1_11target_archE908ELNS1_3gpuE7ELNS1_3repE0EEENS1_52radix_sort_onesweep_histogram_config_static_selectorELNS0_4arch9wavefront6targetE1EEEvSC_
                                        ; -- End function
	.section	.AMDGPU.csdata,"",@progbits
; Kernel info:
; codeLenInByte = 0
; NumSgprs: 4
; NumVgprs: 0
; NumAgprs: 0
; TotalNumVgprs: 0
; ScratchSize: 0
; MemoryBound: 0
; FloatMode: 240
; IeeeMode: 1
; LDSByteSize: 0 bytes/workgroup (compile time only)
; SGPRBlocks: 0
; VGPRBlocks: 0
; NumSGPRsForWavesPerEU: 4
; NumVGPRsForWavesPerEU: 1
; AccumOffset: 4
; Occupancy: 8
; WaveLimiterHint : 0
; COMPUTE_PGM_RSRC2:SCRATCH_EN: 0
; COMPUTE_PGM_RSRC2:USER_SGPR: 6
; COMPUTE_PGM_RSRC2:TRAP_HANDLER: 0
; COMPUTE_PGM_RSRC2:TGID_X_EN: 1
; COMPUTE_PGM_RSRC2:TGID_Y_EN: 0
; COMPUTE_PGM_RSRC2:TGID_Z_EN: 0
; COMPUTE_PGM_RSRC2:TIDIG_COMP_CNT: 0
; COMPUTE_PGM_RSRC3_GFX90A:ACCUM_OFFSET: 0
; COMPUTE_PGM_RSRC3_GFX90A:TG_SPLIT: 0
	.section	.text._ZN7rocprim17ROCPRIM_400000_NS6detail17trampoline_kernelINS0_14default_configENS1_35radix_sort_onesweep_config_selectorIfNS0_10empty_typeEEEZNS1_34radix_sort_onesweep_global_offsetsIS3_Lb1EPfPS5_mNS0_19identity_decomposerEEE10hipError_tT1_T2_PT3_SE_jT4_jjP12ihipStream_tbEUlT_E_NS1_11comp_targetILNS1_3genE10ELNS1_11target_archE1201ELNS1_3gpuE5ELNS1_3repE0EEENS1_52radix_sort_onesweep_histogram_config_static_selectorELNS0_4arch9wavefront6targetE1EEEvSC_,"axG",@progbits,_ZN7rocprim17ROCPRIM_400000_NS6detail17trampoline_kernelINS0_14default_configENS1_35radix_sort_onesweep_config_selectorIfNS0_10empty_typeEEEZNS1_34radix_sort_onesweep_global_offsetsIS3_Lb1EPfPS5_mNS0_19identity_decomposerEEE10hipError_tT1_T2_PT3_SE_jT4_jjP12ihipStream_tbEUlT_E_NS1_11comp_targetILNS1_3genE10ELNS1_11target_archE1201ELNS1_3gpuE5ELNS1_3repE0EEENS1_52radix_sort_onesweep_histogram_config_static_selectorELNS0_4arch9wavefront6targetE1EEEvSC_,comdat
	.protected	_ZN7rocprim17ROCPRIM_400000_NS6detail17trampoline_kernelINS0_14default_configENS1_35radix_sort_onesweep_config_selectorIfNS0_10empty_typeEEEZNS1_34radix_sort_onesweep_global_offsetsIS3_Lb1EPfPS5_mNS0_19identity_decomposerEEE10hipError_tT1_T2_PT3_SE_jT4_jjP12ihipStream_tbEUlT_E_NS1_11comp_targetILNS1_3genE10ELNS1_11target_archE1201ELNS1_3gpuE5ELNS1_3repE0EEENS1_52radix_sort_onesweep_histogram_config_static_selectorELNS0_4arch9wavefront6targetE1EEEvSC_ ; -- Begin function _ZN7rocprim17ROCPRIM_400000_NS6detail17trampoline_kernelINS0_14default_configENS1_35radix_sort_onesweep_config_selectorIfNS0_10empty_typeEEEZNS1_34radix_sort_onesweep_global_offsetsIS3_Lb1EPfPS5_mNS0_19identity_decomposerEEE10hipError_tT1_T2_PT3_SE_jT4_jjP12ihipStream_tbEUlT_E_NS1_11comp_targetILNS1_3genE10ELNS1_11target_archE1201ELNS1_3gpuE5ELNS1_3repE0EEENS1_52radix_sort_onesweep_histogram_config_static_selectorELNS0_4arch9wavefront6targetE1EEEvSC_
	.globl	_ZN7rocprim17ROCPRIM_400000_NS6detail17trampoline_kernelINS0_14default_configENS1_35radix_sort_onesweep_config_selectorIfNS0_10empty_typeEEEZNS1_34radix_sort_onesweep_global_offsetsIS3_Lb1EPfPS5_mNS0_19identity_decomposerEEE10hipError_tT1_T2_PT3_SE_jT4_jjP12ihipStream_tbEUlT_E_NS1_11comp_targetILNS1_3genE10ELNS1_11target_archE1201ELNS1_3gpuE5ELNS1_3repE0EEENS1_52radix_sort_onesweep_histogram_config_static_selectorELNS0_4arch9wavefront6targetE1EEEvSC_
	.p2align	8
	.type	_ZN7rocprim17ROCPRIM_400000_NS6detail17trampoline_kernelINS0_14default_configENS1_35radix_sort_onesweep_config_selectorIfNS0_10empty_typeEEEZNS1_34radix_sort_onesweep_global_offsetsIS3_Lb1EPfPS5_mNS0_19identity_decomposerEEE10hipError_tT1_T2_PT3_SE_jT4_jjP12ihipStream_tbEUlT_E_NS1_11comp_targetILNS1_3genE10ELNS1_11target_archE1201ELNS1_3gpuE5ELNS1_3repE0EEENS1_52radix_sort_onesweep_histogram_config_static_selectorELNS0_4arch9wavefront6targetE1EEEvSC_,@function
_ZN7rocprim17ROCPRIM_400000_NS6detail17trampoline_kernelINS0_14default_configENS1_35radix_sort_onesweep_config_selectorIfNS0_10empty_typeEEEZNS1_34radix_sort_onesweep_global_offsetsIS3_Lb1EPfPS5_mNS0_19identity_decomposerEEE10hipError_tT1_T2_PT3_SE_jT4_jjP12ihipStream_tbEUlT_E_NS1_11comp_targetILNS1_3genE10ELNS1_11target_archE1201ELNS1_3gpuE5ELNS1_3repE0EEENS1_52radix_sort_onesweep_histogram_config_static_selectorELNS0_4arch9wavefront6targetE1EEEvSC_: ; @_ZN7rocprim17ROCPRIM_400000_NS6detail17trampoline_kernelINS0_14default_configENS1_35radix_sort_onesweep_config_selectorIfNS0_10empty_typeEEEZNS1_34radix_sort_onesweep_global_offsetsIS3_Lb1EPfPS5_mNS0_19identity_decomposerEEE10hipError_tT1_T2_PT3_SE_jT4_jjP12ihipStream_tbEUlT_E_NS1_11comp_targetILNS1_3genE10ELNS1_11target_archE1201ELNS1_3gpuE5ELNS1_3repE0EEENS1_52radix_sort_onesweep_histogram_config_static_selectorELNS0_4arch9wavefront6targetE1EEEvSC_
; %bb.0:
	.section	.rodata,"a",@progbits
	.p2align	6, 0x0
	.amdhsa_kernel _ZN7rocprim17ROCPRIM_400000_NS6detail17trampoline_kernelINS0_14default_configENS1_35radix_sort_onesweep_config_selectorIfNS0_10empty_typeEEEZNS1_34radix_sort_onesweep_global_offsetsIS3_Lb1EPfPS5_mNS0_19identity_decomposerEEE10hipError_tT1_T2_PT3_SE_jT4_jjP12ihipStream_tbEUlT_E_NS1_11comp_targetILNS1_3genE10ELNS1_11target_archE1201ELNS1_3gpuE5ELNS1_3repE0EEENS1_52radix_sort_onesweep_histogram_config_static_selectorELNS0_4arch9wavefront6targetE1EEEvSC_
		.amdhsa_group_segment_fixed_size 0
		.amdhsa_private_segment_fixed_size 0
		.amdhsa_kernarg_size 48
		.amdhsa_user_sgpr_count 6
		.amdhsa_user_sgpr_private_segment_buffer 1
		.amdhsa_user_sgpr_dispatch_ptr 0
		.amdhsa_user_sgpr_queue_ptr 0
		.amdhsa_user_sgpr_kernarg_segment_ptr 1
		.amdhsa_user_sgpr_dispatch_id 0
		.amdhsa_user_sgpr_flat_scratch_init 0
		.amdhsa_user_sgpr_kernarg_preload_length 0
		.amdhsa_user_sgpr_kernarg_preload_offset 0
		.amdhsa_user_sgpr_private_segment_size 0
		.amdhsa_uses_dynamic_stack 0
		.amdhsa_system_sgpr_private_segment_wavefront_offset 0
		.amdhsa_system_sgpr_workgroup_id_x 1
		.amdhsa_system_sgpr_workgroup_id_y 0
		.amdhsa_system_sgpr_workgroup_id_z 0
		.amdhsa_system_sgpr_workgroup_info 0
		.amdhsa_system_vgpr_workitem_id 0
		.amdhsa_next_free_vgpr 1
		.amdhsa_next_free_sgpr 0
		.amdhsa_accum_offset 4
		.amdhsa_reserve_vcc 0
		.amdhsa_reserve_flat_scratch 0
		.amdhsa_float_round_mode_32 0
		.amdhsa_float_round_mode_16_64 0
		.amdhsa_float_denorm_mode_32 3
		.amdhsa_float_denorm_mode_16_64 3
		.amdhsa_dx10_clamp 1
		.amdhsa_ieee_mode 1
		.amdhsa_fp16_overflow 0
		.amdhsa_tg_split 0
		.amdhsa_exception_fp_ieee_invalid_op 0
		.amdhsa_exception_fp_denorm_src 0
		.amdhsa_exception_fp_ieee_div_zero 0
		.amdhsa_exception_fp_ieee_overflow 0
		.amdhsa_exception_fp_ieee_underflow 0
		.amdhsa_exception_fp_ieee_inexact 0
		.amdhsa_exception_int_div_zero 0
	.end_amdhsa_kernel
	.section	.text._ZN7rocprim17ROCPRIM_400000_NS6detail17trampoline_kernelINS0_14default_configENS1_35radix_sort_onesweep_config_selectorIfNS0_10empty_typeEEEZNS1_34radix_sort_onesweep_global_offsetsIS3_Lb1EPfPS5_mNS0_19identity_decomposerEEE10hipError_tT1_T2_PT3_SE_jT4_jjP12ihipStream_tbEUlT_E_NS1_11comp_targetILNS1_3genE10ELNS1_11target_archE1201ELNS1_3gpuE5ELNS1_3repE0EEENS1_52radix_sort_onesweep_histogram_config_static_selectorELNS0_4arch9wavefront6targetE1EEEvSC_,"axG",@progbits,_ZN7rocprim17ROCPRIM_400000_NS6detail17trampoline_kernelINS0_14default_configENS1_35radix_sort_onesweep_config_selectorIfNS0_10empty_typeEEEZNS1_34radix_sort_onesweep_global_offsetsIS3_Lb1EPfPS5_mNS0_19identity_decomposerEEE10hipError_tT1_T2_PT3_SE_jT4_jjP12ihipStream_tbEUlT_E_NS1_11comp_targetILNS1_3genE10ELNS1_11target_archE1201ELNS1_3gpuE5ELNS1_3repE0EEENS1_52radix_sort_onesweep_histogram_config_static_selectorELNS0_4arch9wavefront6targetE1EEEvSC_,comdat
.Lfunc_end2534:
	.size	_ZN7rocprim17ROCPRIM_400000_NS6detail17trampoline_kernelINS0_14default_configENS1_35radix_sort_onesweep_config_selectorIfNS0_10empty_typeEEEZNS1_34radix_sort_onesweep_global_offsetsIS3_Lb1EPfPS5_mNS0_19identity_decomposerEEE10hipError_tT1_T2_PT3_SE_jT4_jjP12ihipStream_tbEUlT_E_NS1_11comp_targetILNS1_3genE10ELNS1_11target_archE1201ELNS1_3gpuE5ELNS1_3repE0EEENS1_52radix_sort_onesweep_histogram_config_static_selectorELNS0_4arch9wavefront6targetE1EEEvSC_, .Lfunc_end2534-_ZN7rocprim17ROCPRIM_400000_NS6detail17trampoline_kernelINS0_14default_configENS1_35radix_sort_onesweep_config_selectorIfNS0_10empty_typeEEEZNS1_34radix_sort_onesweep_global_offsetsIS3_Lb1EPfPS5_mNS0_19identity_decomposerEEE10hipError_tT1_T2_PT3_SE_jT4_jjP12ihipStream_tbEUlT_E_NS1_11comp_targetILNS1_3genE10ELNS1_11target_archE1201ELNS1_3gpuE5ELNS1_3repE0EEENS1_52radix_sort_onesweep_histogram_config_static_selectorELNS0_4arch9wavefront6targetE1EEEvSC_
                                        ; -- End function
	.section	.AMDGPU.csdata,"",@progbits
; Kernel info:
; codeLenInByte = 0
; NumSgprs: 4
; NumVgprs: 0
; NumAgprs: 0
; TotalNumVgprs: 0
; ScratchSize: 0
; MemoryBound: 0
; FloatMode: 240
; IeeeMode: 1
; LDSByteSize: 0 bytes/workgroup (compile time only)
; SGPRBlocks: 0
; VGPRBlocks: 0
; NumSGPRsForWavesPerEU: 4
; NumVGPRsForWavesPerEU: 1
; AccumOffset: 4
; Occupancy: 8
; WaveLimiterHint : 0
; COMPUTE_PGM_RSRC2:SCRATCH_EN: 0
; COMPUTE_PGM_RSRC2:USER_SGPR: 6
; COMPUTE_PGM_RSRC2:TRAP_HANDLER: 0
; COMPUTE_PGM_RSRC2:TGID_X_EN: 1
; COMPUTE_PGM_RSRC2:TGID_Y_EN: 0
; COMPUTE_PGM_RSRC2:TGID_Z_EN: 0
; COMPUTE_PGM_RSRC2:TIDIG_COMP_CNT: 0
; COMPUTE_PGM_RSRC3_GFX90A:ACCUM_OFFSET: 0
; COMPUTE_PGM_RSRC3_GFX90A:TG_SPLIT: 0
	.section	.text._ZN7rocprim17ROCPRIM_400000_NS6detail17trampoline_kernelINS0_14default_configENS1_35radix_sort_onesweep_config_selectorIfNS0_10empty_typeEEEZNS1_34radix_sort_onesweep_global_offsetsIS3_Lb1EPfPS5_mNS0_19identity_decomposerEEE10hipError_tT1_T2_PT3_SE_jT4_jjP12ihipStream_tbEUlT_E_NS1_11comp_targetILNS1_3genE9ELNS1_11target_archE1100ELNS1_3gpuE3ELNS1_3repE0EEENS1_52radix_sort_onesweep_histogram_config_static_selectorELNS0_4arch9wavefront6targetE1EEEvSC_,"axG",@progbits,_ZN7rocprim17ROCPRIM_400000_NS6detail17trampoline_kernelINS0_14default_configENS1_35radix_sort_onesweep_config_selectorIfNS0_10empty_typeEEEZNS1_34radix_sort_onesweep_global_offsetsIS3_Lb1EPfPS5_mNS0_19identity_decomposerEEE10hipError_tT1_T2_PT3_SE_jT4_jjP12ihipStream_tbEUlT_E_NS1_11comp_targetILNS1_3genE9ELNS1_11target_archE1100ELNS1_3gpuE3ELNS1_3repE0EEENS1_52radix_sort_onesweep_histogram_config_static_selectorELNS0_4arch9wavefront6targetE1EEEvSC_,comdat
	.protected	_ZN7rocprim17ROCPRIM_400000_NS6detail17trampoline_kernelINS0_14default_configENS1_35radix_sort_onesweep_config_selectorIfNS0_10empty_typeEEEZNS1_34radix_sort_onesweep_global_offsetsIS3_Lb1EPfPS5_mNS0_19identity_decomposerEEE10hipError_tT1_T2_PT3_SE_jT4_jjP12ihipStream_tbEUlT_E_NS1_11comp_targetILNS1_3genE9ELNS1_11target_archE1100ELNS1_3gpuE3ELNS1_3repE0EEENS1_52radix_sort_onesweep_histogram_config_static_selectorELNS0_4arch9wavefront6targetE1EEEvSC_ ; -- Begin function _ZN7rocprim17ROCPRIM_400000_NS6detail17trampoline_kernelINS0_14default_configENS1_35radix_sort_onesweep_config_selectorIfNS0_10empty_typeEEEZNS1_34radix_sort_onesweep_global_offsetsIS3_Lb1EPfPS5_mNS0_19identity_decomposerEEE10hipError_tT1_T2_PT3_SE_jT4_jjP12ihipStream_tbEUlT_E_NS1_11comp_targetILNS1_3genE9ELNS1_11target_archE1100ELNS1_3gpuE3ELNS1_3repE0EEENS1_52radix_sort_onesweep_histogram_config_static_selectorELNS0_4arch9wavefront6targetE1EEEvSC_
	.globl	_ZN7rocprim17ROCPRIM_400000_NS6detail17trampoline_kernelINS0_14default_configENS1_35radix_sort_onesweep_config_selectorIfNS0_10empty_typeEEEZNS1_34radix_sort_onesweep_global_offsetsIS3_Lb1EPfPS5_mNS0_19identity_decomposerEEE10hipError_tT1_T2_PT3_SE_jT4_jjP12ihipStream_tbEUlT_E_NS1_11comp_targetILNS1_3genE9ELNS1_11target_archE1100ELNS1_3gpuE3ELNS1_3repE0EEENS1_52radix_sort_onesweep_histogram_config_static_selectorELNS0_4arch9wavefront6targetE1EEEvSC_
	.p2align	8
	.type	_ZN7rocprim17ROCPRIM_400000_NS6detail17trampoline_kernelINS0_14default_configENS1_35radix_sort_onesweep_config_selectorIfNS0_10empty_typeEEEZNS1_34radix_sort_onesweep_global_offsetsIS3_Lb1EPfPS5_mNS0_19identity_decomposerEEE10hipError_tT1_T2_PT3_SE_jT4_jjP12ihipStream_tbEUlT_E_NS1_11comp_targetILNS1_3genE9ELNS1_11target_archE1100ELNS1_3gpuE3ELNS1_3repE0EEENS1_52radix_sort_onesweep_histogram_config_static_selectorELNS0_4arch9wavefront6targetE1EEEvSC_,@function
_ZN7rocprim17ROCPRIM_400000_NS6detail17trampoline_kernelINS0_14default_configENS1_35radix_sort_onesweep_config_selectorIfNS0_10empty_typeEEEZNS1_34radix_sort_onesweep_global_offsetsIS3_Lb1EPfPS5_mNS0_19identity_decomposerEEE10hipError_tT1_T2_PT3_SE_jT4_jjP12ihipStream_tbEUlT_E_NS1_11comp_targetILNS1_3genE9ELNS1_11target_archE1100ELNS1_3gpuE3ELNS1_3repE0EEENS1_52radix_sort_onesweep_histogram_config_static_selectorELNS0_4arch9wavefront6targetE1EEEvSC_: ; @_ZN7rocprim17ROCPRIM_400000_NS6detail17trampoline_kernelINS0_14default_configENS1_35radix_sort_onesweep_config_selectorIfNS0_10empty_typeEEEZNS1_34radix_sort_onesweep_global_offsetsIS3_Lb1EPfPS5_mNS0_19identity_decomposerEEE10hipError_tT1_T2_PT3_SE_jT4_jjP12ihipStream_tbEUlT_E_NS1_11comp_targetILNS1_3genE9ELNS1_11target_archE1100ELNS1_3gpuE3ELNS1_3repE0EEENS1_52radix_sort_onesweep_histogram_config_static_selectorELNS0_4arch9wavefront6targetE1EEEvSC_
; %bb.0:
	.section	.rodata,"a",@progbits
	.p2align	6, 0x0
	.amdhsa_kernel _ZN7rocprim17ROCPRIM_400000_NS6detail17trampoline_kernelINS0_14default_configENS1_35radix_sort_onesweep_config_selectorIfNS0_10empty_typeEEEZNS1_34radix_sort_onesweep_global_offsetsIS3_Lb1EPfPS5_mNS0_19identity_decomposerEEE10hipError_tT1_T2_PT3_SE_jT4_jjP12ihipStream_tbEUlT_E_NS1_11comp_targetILNS1_3genE9ELNS1_11target_archE1100ELNS1_3gpuE3ELNS1_3repE0EEENS1_52radix_sort_onesweep_histogram_config_static_selectorELNS0_4arch9wavefront6targetE1EEEvSC_
		.amdhsa_group_segment_fixed_size 0
		.amdhsa_private_segment_fixed_size 0
		.amdhsa_kernarg_size 48
		.amdhsa_user_sgpr_count 6
		.amdhsa_user_sgpr_private_segment_buffer 1
		.amdhsa_user_sgpr_dispatch_ptr 0
		.amdhsa_user_sgpr_queue_ptr 0
		.amdhsa_user_sgpr_kernarg_segment_ptr 1
		.amdhsa_user_sgpr_dispatch_id 0
		.amdhsa_user_sgpr_flat_scratch_init 0
		.amdhsa_user_sgpr_kernarg_preload_length 0
		.amdhsa_user_sgpr_kernarg_preload_offset 0
		.amdhsa_user_sgpr_private_segment_size 0
		.amdhsa_uses_dynamic_stack 0
		.amdhsa_system_sgpr_private_segment_wavefront_offset 0
		.amdhsa_system_sgpr_workgroup_id_x 1
		.amdhsa_system_sgpr_workgroup_id_y 0
		.amdhsa_system_sgpr_workgroup_id_z 0
		.amdhsa_system_sgpr_workgroup_info 0
		.amdhsa_system_vgpr_workitem_id 0
		.amdhsa_next_free_vgpr 1
		.amdhsa_next_free_sgpr 0
		.amdhsa_accum_offset 4
		.amdhsa_reserve_vcc 0
		.amdhsa_reserve_flat_scratch 0
		.amdhsa_float_round_mode_32 0
		.amdhsa_float_round_mode_16_64 0
		.amdhsa_float_denorm_mode_32 3
		.amdhsa_float_denorm_mode_16_64 3
		.amdhsa_dx10_clamp 1
		.amdhsa_ieee_mode 1
		.amdhsa_fp16_overflow 0
		.amdhsa_tg_split 0
		.amdhsa_exception_fp_ieee_invalid_op 0
		.amdhsa_exception_fp_denorm_src 0
		.amdhsa_exception_fp_ieee_div_zero 0
		.amdhsa_exception_fp_ieee_overflow 0
		.amdhsa_exception_fp_ieee_underflow 0
		.amdhsa_exception_fp_ieee_inexact 0
		.amdhsa_exception_int_div_zero 0
	.end_amdhsa_kernel
	.section	.text._ZN7rocprim17ROCPRIM_400000_NS6detail17trampoline_kernelINS0_14default_configENS1_35radix_sort_onesweep_config_selectorIfNS0_10empty_typeEEEZNS1_34radix_sort_onesweep_global_offsetsIS3_Lb1EPfPS5_mNS0_19identity_decomposerEEE10hipError_tT1_T2_PT3_SE_jT4_jjP12ihipStream_tbEUlT_E_NS1_11comp_targetILNS1_3genE9ELNS1_11target_archE1100ELNS1_3gpuE3ELNS1_3repE0EEENS1_52radix_sort_onesweep_histogram_config_static_selectorELNS0_4arch9wavefront6targetE1EEEvSC_,"axG",@progbits,_ZN7rocprim17ROCPRIM_400000_NS6detail17trampoline_kernelINS0_14default_configENS1_35radix_sort_onesweep_config_selectorIfNS0_10empty_typeEEEZNS1_34radix_sort_onesweep_global_offsetsIS3_Lb1EPfPS5_mNS0_19identity_decomposerEEE10hipError_tT1_T2_PT3_SE_jT4_jjP12ihipStream_tbEUlT_E_NS1_11comp_targetILNS1_3genE9ELNS1_11target_archE1100ELNS1_3gpuE3ELNS1_3repE0EEENS1_52radix_sort_onesweep_histogram_config_static_selectorELNS0_4arch9wavefront6targetE1EEEvSC_,comdat
.Lfunc_end2535:
	.size	_ZN7rocprim17ROCPRIM_400000_NS6detail17trampoline_kernelINS0_14default_configENS1_35radix_sort_onesweep_config_selectorIfNS0_10empty_typeEEEZNS1_34radix_sort_onesweep_global_offsetsIS3_Lb1EPfPS5_mNS0_19identity_decomposerEEE10hipError_tT1_T2_PT3_SE_jT4_jjP12ihipStream_tbEUlT_E_NS1_11comp_targetILNS1_3genE9ELNS1_11target_archE1100ELNS1_3gpuE3ELNS1_3repE0EEENS1_52radix_sort_onesweep_histogram_config_static_selectorELNS0_4arch9wavefront6targetE1EEEvSC_, .Lfunc_end2535-_ZN7rocprim17ROCPRIM_400000_NS6detail17trampoline_kernelINS0_14default_configENS1_35radix_sort_onesweep_config_selectorIfNS0_10empty_typeEEEZNS1_34radix_sort_onesweep_global_offsetsIS3_Lb1EPfPS5_mNS0_19identity_decomposerEEE10hipError_tT1_T2_PT3_SE_jT4_jjP12ihipStream_tbEUlT_E_NS1_11comp_targetILNS1_3genE9ELNS1_11target_archE1100ELNS1_3gpuE3ELNS1_3repE0EEENS1_52radix_sort_onesweep_histogram_config_static_selectorELNS0_4arch9wavefront6targetE1EEEvSC_
                                        ; -- End function
	.section	.AMDGPU.csdata,"",@progbits
; Kernel info:
; codeLenInByte = 0
; NumSgprs: 4
; NumVgprs: 0
; NumAgprs: 0
; TotalNumVgprs: 0
; ScratchSize: 0
; MemoryBound: 0
; FloatMode: 240
; IeeeMode: 1
; LDSByteSize: 0 bytes/workgroup (compile time only)
; SGPRBlocks: 0
; VGPRBlocks: 0
; NumSGPRsForWavesPerEU: 4
; NumVGPRsForWavesPerEU: 1
; AccumOffset: 4
; Occupancy: 8
; WaveLimiterHint : 0
; COMPUTE_PGM_RSRC2:SCRATCH_EN: 0
; COMPUTE_PGM_RSRC2:USER_SGPR: 6
; COMPUTE_PGM_RSRC2:TRAP_HANDLER: 0
; COMPUTE_PGM_RSRC2:TGID_X_EN: 1
; COMPUTE_PGM_RSRC2:TGID_Y_EN: 0
; COMPUTE_PGM_RSRC2:TGID_Z_EN: 0
; COMPUTE_PGM_RSRC2:TIDIG_COMP_CNT: 0
; COMPUTE_PGM_RSRC3_GFX90A:ACCUM_OFFSET: 0
; COMPUTE_PGM_RSRC3_GFX90A:TG_SPLIT: 0
	.section	.text._ZN7rocprim17ROCPRIM_400000_NS6detail17trampoline_kernelINS0_14default_configENS1_35radix_sort_onesweep_config_selectorIfNS0_10empty_typeEEEZNS1_34radix_sort_onesweep_global_offsetsIS3_Lb1EPfPS5_mNS0_19identity_decomposerEEE10hipError_tT1_T2_PT3_SE_jT4_jjP12ihipStream_tbEUlT_E_NS1_11comp_targetILNS1_3genE8ELNS1_11target_archE1030ELNS1_3gpuE2ELNS1_3repE0EEENS1_52radix_sort_onesweep_histogram_config_static_selectorELNS0_4arch9wavefront6targetE1EEEvSC_,"axG",@progbits,_ZN7rocprim17ROCPRIM_400000_NS6detail17trampoline_kernelINS0_14default_configENS1_35radix_sort_onesweep_config_selectorIfNS0_10empty_typeEEEZNS1_34radix_sort_onesweep_global_offsetsIS3_Lb1EPfPS5_mNS0_19identity_decomposerEEE10hipError_tT1_T2_PT3_SE_jT4_jjP12ihipStream_tbEUlT_E_NS1_11comp_targetILNS1_3genE8ELNS1_11target_archE1030ELNS1_3gpuE2ELNS1_3repE0EEENS1_52radix_sort_onesweep_histogram_config_static_selectorELNS0_4arch9wavefront6targetE1EEEvSC_,comdat
	.protected	_ZN7rocprim17ROCPRIM_400000_NS6detail17trampoline_kernelINS0_14default_configENS1_35radix_sort_onesweep_config_selectorIfNS0_10empty_typeEEEZNS1_34radix_sort_onesweep_global_offsetsIS3_Lb1EPfPS5_mNS0_19identity_decomposerEEE10hipError_tT1_T2_PT3_SE_jT4_jjP12ihipStream_tbEUlT_E_NS1_11comp_targetILNS1_3genE8ELNS1_11target_archE1030ELNS1_3gpuE2ELNS1_3repE0EEENS1_52radix_sort_onesweep_histogram_config_static_selectorELNS0_4arch9wavefront6targetE1EEEvSC_ ; -- Begin function _ZN7rocprim17ROCPRIM_400000_NS6detail17trampoline_kernelINS0_14default_configENS1_35radix_sort_onesweep_config_selectorIfNS0_10empty_typeEEEZNS1_34radix_sort_onesweep_global_offsetsIS3_Lb1EPfPS5_mNS0_19identity_decomposerEEE10hipError_tT1_T2_PT3_SE_jT4_jjP12ihipStream_tbEUlT_E_NS1_11comp_targetILNS1_3genE8ELNS1_11target_archE1030ELNS1_3gpuE2ELNS1_3repE0EEENS1_52radix_sort_onesweep_histogram_config_static_selectorELNS0_4arch9wavefront6targetE1EEEvSC_
	.globl	_ZN7rocprim17ROCPRIM_400000_NS6detail17trampoline_kernelINS0_14default_configENS1_35radix_sort_onesweep_config_selectorIfNS0_10empty_typeEEEZNS1_34radix_sort_onesweep_global_offsetsIS3_Lb1EPfPS5_mNS0_19identity_decomposerEEE10hipError_tT1_T2_PT3_SE_jT4_jjP12ihipStream_tbEUlT_E_NS1_11comp_targetILNS1_3genE8ELNS1_11target_archE1030ELNS1_3gpuE2ELNS1_3repE0EEENS1_52radix_sort_onesweep_histogram_config_static_selectorELNS0_4arch9wavefront6targetE1EEEvSC_
	.p2align	8
	.type	_ZN7rocprim17ROCPRIM_400000_NS6detail17trampoline_kernelINS0_14default_configENS1_35radix_sort_onesweep_config_selectorIfNS0_10empty_typeEEEZNS1_34radix_sort_onesweep_global_offsetsIS3_Lb1EPfPS5_mNS0_19identity_decomposerEEE10hipError_tT1_T2_PT3_SE_jT4_jjP12ihipStream_tbEUlT_E_NS1_11comp_targetILNS1_3genE8ELNS1_11target_archE1030ELNS1_3gpuE2ELNS1_3repE0EEENS1_52radix_sort_onesweep_histogram_config_static_selectorELNS0_4arch9wavefront6targetE1EEEvSC_,@function
_ZN7rocprim17ROCPRIM_400000_NS6detail17trampoline_kernelINS0_14default_configENS1_35radix_sort_onesweep_config_selectorIfNS0_10empty_typeEEEZNS1_34radix_sort_onesweep_global_offsetsIS3_Lb1EPfPS5_mNS0_19identity_decomposerEEE10hipError_tT1_T2_PT3_SE_jT4_jjP12ihipStream_tbEUlT_E_NS1_11comp_targetILNS1_3genE8ELNS1_11target_archE1030ELNS1_3gpuE2ELNS1_3repE0EEENS1_52radix_sort_onesweep_histogram_config_static_selectorELNS0_4arch9wavefront6targetE1EEEvSC_: ; @_ZN7rocprim17ROCPRIM_400000_NS6detail17trampoline_kernelINS0_14default_configENS1_35radix_sort_onesweep_config_selectorIfNS0_10empty_typeEEEZNS1_34radix_sort_onesweep_global_offsetsIS3_Lb1EPfPS5_mNS0_19identity_decomposerEEE10hipError_tT1_T2_PT3_SE_jT4_jjP12ihipStream_tbEUlT_E_NS1_11comp_targetILNS1_3genE8ELNS1_11target_archE1030ELNS1_3gpuE2ELNS1_3repE0EEENS1_52radix_sort_onesweep_histogram_config_static_selectorELNS0_4arch9wavefront6targetE1EEEvSC_
; %bb.0:
	.section	.rodata,"a",@progbits
	.p2align	6, 0x0
	.amdhsa_kernel _ZN7rocprim17ROCPRIM_400000_NS6detail17trampoline_kernelINS0_14default_configENS1_35radix_sort_onesweep_config_selectorIfNS0_10empty_typeEEEZNS1_34radix_sort_onesweep_global_offsetsIS3_Lb1EPfPS5_mNS0_19identity_decomposerEEE10hipError_tT1_T2_PT3_SE_jT4_jjP12ihipStream_tbEUlT_E_NS1_11comp_targetILNS1_3genE8ELNS1_11target_archE1030ELNS1_3gpuE2ELNS1_3repE0EEENS1_52radix_sort_onesweep_histogram_config_static_selectorELNS0_4arch9wavefront6targetE1EEEvSC_
		.amdhsa_group_segment_fixed_size 0
		.amdhsa_private_segment_fixed_size 0
		.amdhsa_kernarg_size 48
		.amdhsa_user_sgpr_count 6
		.amdhsa_user_sgpr_private_segment_buffer 1
		.amdhsa_user_sgpr_dispatch_ptr 0
		.amdhsa_user_sgpr_queue_ptr 0
		.amdhsa_user_sgpr_kernarg_segment_ptr 1
		.amdhsa_user_sgpr_dispatch_id 0
		.amdhsa_user_sgpr_flat_scratch_init 0
		.amdhsa_user_sgpr_kernarg_preload_length 0
		.amdhsa_user_sgpr_kernarg_preload_offset 0
		.amdhsa_user_sgpr_private_segment_size 0
		.amdhsa_uses_dynamic_stack 0
		.amdhsa_system_sgpr_private_segment_wavefront_offset 0
		.amdhsa_system_sgpr_workgroup_id_x 1
		.amdhsa_system_sgpr_workgroup_id_y 0
		.amdhsa_system_sgpr_workgroup_id_z 0
		.amdhsa_system_sgpr_workgroup_info 0
		.amdhsa_system_vgpr_workitem_id 0
		.amdhsa_next_free_vgpr 1
		.amdhsa_next_free_sgpr 0
		.amdhsa_accum_offset 4
		.amdhsa_reserve_vcc 0
		.amdhsa_reserve_flat_scratch 0
		.amdhsa_float_round_mode_32 0
		.amdhsa_float_round_mode_16_64 0
		.amdhsa_float_denorm_mode_32 3
		.amdhsa_float_denorm_mode_16_64 3
		.amdhsa_dx10_clamp 1
		.amdhsa_ieee_mode 1
		.amdhsa_fp16_overflow 0
		.amdhsa_tg_split 0
		.amdhsa_exception_fp_ieee_invalid_op 0
		.amdhsa_exception_fp_denorm_src 0
		.amdhsa_exception_fp_ieee_div_zero 0
		.amdhsa_exception_fp_ieee_overflow 0
		.amdhsa_exception_fp_ieee_underflow 0
		.amdhsa_exception_fp_ieee_inexact 0
		.amdhsa_exception_int_div_zero 0
	.end_amdhsa_kernel
	.section	.text._ZN7rocprim17ROCPRIM_400000_NS6detail17trampoline_kernelINS0_14default_configENS1_35radix_sort_onesweep_config_selectorIfNS0_10empty_typeEEEZNS1_34radix_sort_onesweep_global_offsetsIS3_Lb1EPfPS5_mNS0_19identity_decomposerEEE10hipError_tT1_T2_PT3_SE_jT4_jjP12ihipStream_tbEUlT_E_NS1_11comp_targetILNS1_3genE8ELNS1_11target_archE1030ELNS1_3gpuE2ELNS1_3repE0EEENS1_52radix_sort_onesweep_histogram_config_static_selectorELNS0_4arch9wavefront6targetE1EEEvSC_,"axG",@progbits,_ZN7rocprim17ROCPRIM_400000_NS6detail17trampoline_kernelINS0_14default_configENS1_35radix_sort_onesweep_config_selectorIfNS0_10empty_typeEEEZNS1_34radix_sort_onesweep_global_offsetsIS3_Lb1EPfPS5_mNS0_19identity_decomposerEEE10hipError_tT1_T2_PT3_SE_jT4_jjP12ihipStream_tbEUlT_E_NS1_11comp_targetILNS1_3genE8ELNS1_11target_archE1030ELNS1_3gpuE2ELNS1_3repE0EEENS1_52radix_sort_onesweep_histogram_config_static_selectorELNS0_4arch9wavefront6targetE1EEEvSC_,comdat
.Lfunc_end2536:
	.size	_ZN7rocprim17ROCPRIM_400000_NS6detail17trampoline_kernelINS0_14default_configENS1_35radix_sort_onesweep_config_selectorIfNS0_10empty_typeEEEZNS1_34radix_sort_onesweep_global_offsetsIS3_Lb1EPfPS5_mNS0_19identity_decomposerEEE10hipError_tT1_T2_PT3_SE_jT4_jjP12ihipStream_tbEUlT_E_NS1_11comp_targetILNS1_3genE8ELNS1_11target_archE1030ELNS1_3gpuE2ELNS1_3repE0EEENS1_52radix_sort_onesweep_histogram_config_static_selectorELNS0_4arch9wavefront6targetE1EEEvSC_, .Lfunc_end2536-_ZN7rocprim17ROCPRIM_400000_NS6detail17trampoline_kernelINS0_14default_configENS1_35radix_sort_onesweep_config_selectorIfNS0_10empty_typeEEEZNS1_34radix_sort_onesweep_global_offsetsIS3_Lb1EPfPS5_mNS0_19identity_decomposerEEE10hipError_tT1_T2_PT3_SE_jT4_jjP12ihipStream_tbEUlT_E_NS1_11comp_targetILNS1_3genE8ELNS1_11target_archE1030ELNS1_3gpuE2ELNS1_3repE0EEENS1_52radix_sort_onesweep_histogram_config_static_selectorELNS0_4arch9wavefront6targetE1EEEvSC_
                                        ; -- End function
	.section	.AMDGPU.csdata,"",@progbits
; Kernel info:
; codeLenInByte = 0
; NumSgprs: 4
; NumVgprs: 0
; NumAgprs: 0
; TotalNumVgprs: 0
; ScratchSize: 0
; MemoryBound: 0
; FloatMode: 240
; IeeeMode: 1
; LDSByteSize: 0 bytes/workgroup (compile time only)
; SGPRBlocks: 0
; VGPRBlocks: 0
; NumSGPRsForWavesPerEU: 4
; NumVGPRsForWavesPerEU: 1
; AccumOffset: 4
; Occupancy: 8
; WaveLimiterHint : 0
; COMPUTE_PGM_RSRC2:SCRATCH_EN: 0
; COMPUTE_PGM_RSRC2:USER_SGPR: 6
; COMPUTE_PGM_RSRC2:TRAP_HANDLER: 0
; COMPUTE_PGM_RSRC2:TGID_X_EN: 1
; COMPUTE_PGM_RSRC2:TGID_Y_EN: 0
; COMPUTE_PGM_RSRC2:TGID_Z_EN: 0
; COMPUTE_PGM_RSRC2:TIDIG_COMP_CNT: 0
; COMPUTE_PGM_RSRC3_GFX90A:ACCUM_OFFSET: 0
; COMPUTE_PGM_RSRC3_GFX90A:TG_SPLIT: 0
	.section	.text._ZN7rocprim17ROCPRIM_400000_NS6detail17trampoline_kernelINS0_14default_configENS1_35radix_sort_onesweep_config_selectorIfNS0_10empty_typeEEEZNS1_34radix_sort_onesweep_global_offsetsIS3_Lb1EPfPS5_mNS0_19identity_decomposerEEE10hipError_tT1_T2_PT3_SE_jT4_jjP12ihipStream_tbEUlT_E0_NS1_11comp_targetILNS1_3genE0ELNS1_11target_archE4294967295ELNS1_3gpuE0ELNS1_3repE0EEENS1_52radix_sort_onesweep_histogram_config_static_selectorELNS0_4arch9wavefront6targetE1EEEvSC_,"axG",@progbits,_ZN7rocprim17ROCPRIM_400000_NS6detail17trampoline_kernelINS0_14default_configENS1_35radix_sort_onesweep_config_selectorIfNS0_10empty_typeEEEZNS1_34radix_sort_onesweep_global_offsetsIS3_Lb1EPfPS5_mNS0_19identity_decomposerEEE10hipError_tT1_T2_PT3_SE_jT4_jjP12ihipStream_tbEUlT_E0_NS1_11comp_targetILNS1_3genE0ELNS1_11target_archE4294967295ELNS1_3gpuE0ELNS1_3repE0EEENS1_52radix_sort_onesweep_histogram_config_static_selectorELNS0_4arch9wavefront6targetE1EEEvSC_,comdat
	.protected	_ZN7rocprim17ROCPRIM_400000_NS6detail17trampoline_kernelINS0_14default_configENS1_35radix_sort_onesweep_config_selectorIfNS0_10empty_typeEEEZNS1_34radix_sort_onesweep_global_offsetsIS3_Lb1EPfPS5_mNS0_19identity_decomposerEEE10hipError_tT1_T2_PT3_SE_jT4_jjP12ihipStream_tbEUlT_E0_NS1_11comp_targetILNS1_3genE0ELNS1_11target_archE4294967295ELNS1_3gpuE0ELNS1_3repE0EEENS1_52radix_sort_onesweep_histogram_config_static_selectorELNS0_4arch9wavefront6targetE1EEEvSC_ ; -- Begin function _ZN7rocprim17ROCPRIM_400000_NS6detail17trampoline_kernelINS0_14default_configENS1_35radix_sort_onesweep_config_selectorIfNS0_10empty_typeEEEZNS1_34radix_sort_onesweep_global_offsetsIS3_Lb1EPfPS5_mNS0_19identity_decomposerEEE10hipError_tT1_T2_PT3_SE_jT4_jjP12ihipStream_tbEUlT_E0_NS1_11comp_targetILNS1_3genE0ELNS1_11target_archE4294967295ELNS1_3gpuE0ELNS1_3repE0EEENS1_52radix_sort_onesweep_histogram_config_static_selectorELNS0_4arch9wavefront6targetE1EEEvSC_
	.globl	_ZN7rocprim17ROCPRIM_400000_NS6detail17trampoline_kernelINS0_14default_configENS1_35radix_sort_onesweep_config_selectorIfNS0_10empty_typeEEEZNS1_34radix_sort_onesweep_global_offsetsIS3_Lb1EPfPS5_mNS0_19identity_decomposerEEE10hipError_tT1_T2_PT3_SE_jT4_jjP12ihipStream_tbEUlT_E0_NS1_11comp_targetILNS1_3genE0ELNS1_11target_archE4294967295ELNS1_3gpuE0ELNS1_3repE0EEENS1_52radix_sort_onesweep_histogram_config_static_selectorELNS0_4arch9wavefront6targetE1EEEvSC_
	.p2align	8
	.type	_ZN7rocprim17ROCPRIM_400000_NS6detail17trampoline_kernelINS0_14default_configENS1_35radix_sort_onesweep_config_selectorIfNS0_10empty_typeEEEZNS1_34radix_sort_onesweep_global_offsetsIS3_Lb1EPfPS5_mNS0_19identity_decomposerEEE10hipError_tT1_T2_PT3_SE_jT4_jjP12ihipStream_tbEUlT_E0_NS1_11comp_targetILNS1_3genE0ELNS1_11target_archE4294967295ELNS1_3gpuE0ELNS1_3repE0EEENS1_52radix_sort_onesweep_histogram_config_static_selectorELNS0_4arch9wavefront6targetE1EEEvSC_,@function
_ZN7rocprim17ROCPRIM_400000_NS6detail17trampoline_kernelINS0_14default_configENS1_35radix_sort_onesweep_config_selectorIfNS0_10empty_typeEEEZNS1_34radix_sort_onesweep_global_offsetsIS3_Lb1EPfPS5_mNS0_19identity_decomposerEEE10hipError_tT1_T2_PT3_SE_jT4_jjP12ihipStream_tbEUlT_E0_NS1_11comp_targetILNS1_3genE0ELNS1_11target_archE4294967295ELNS1_3gpuE0ELNS1_3repE0EEENS1_52radix_sort_onesweep_histogram_config_static_selectorELNS0_4arch9wavefront6targetE1EEEvSC_: ; @_ZN7rocprim17ROCPRIM_400000_NS6detail17trampoline_kernelINS0_14default_configENS1_35radix_sort_onesweep_config_selectorIfNS0_10empty_typeEEEZNS1_34radix_sort_onesweep_global_offsetsIS3_Lb1EPfPS5_mNS0_19identity_decomposerEEE10hipError_tT1_T2_PT3_SE_jT4_jjP12ihipStream_tbEUlT_E0_NS1_11comp_targetILNS1_3genE0ELNS1_11target_archE4294967295ELNS1_3gpuE0ELNS1_3repE0EEENS1_52radix_sort_onesweep_histogram_config_static_selectorELNS0_4arch9wavefront6targetE1EEEvSC_
; %bb.0:
	.section	.rodata,"a",@progbits
	.p2align	6, 0x0
	.amdhsa_kernel _ZN7rocprim17ROCPRIM_400000_NS6detail17trampoline_kernelINS0_14default_configENS1_35radix_sort_onesweep_config_selectorIfNS0_10empty_typeEEEZNS1_34radix_sort_onesweep_global_offsetsIS3_Lb1EPfPS5_mNS0_19identity_decomposerEEE10hipError_tT1_T2_PT3_SE_jT4_jjP12ihipStream_tbEUlT_E0_NS1_11comp_targetILNS1_3genE0ELNS1_11target_archE4294967295ELNS1_3gpuE0ELNS1_3repE0EEENS1_52radix_sort_onesweep_histogram_config_static_selectorELNS0_4arch9wavefront6targetE1EEEvSC_
		.amdhsa_group_segment_fixed_size 0
		.amdhsa_private_segment_fixed_size 0
		.amdhsa_kernarg_size 8
		.amdhsa_user_sgpr_count 6
		.amdhsa_user_sgpr_private_segment_buffer 1
		.amdhsa_user_sgpr_dispatch_ptr 0
		.amdhsa_user_sgpr_queue_ptr 0
		.amdhsa_user_sgpr_kernarg_segment_ptr 1
		.amdhsa_user_sgpr_dispatch_id 0
		.amdhsa_user_sgpr_flat_scratch_init 0
		.amdhsa_user_sgpr_kernarg_preload_length 0
		.amdhsa_user_sgpr_kernarg_preload_offset 0
		.amdhsa_user_sgpr_private_segment_size 0
		.amdhsa_uses_dynamic_stack 0
		.amdhsa_system_sgpr_private_segment_wavefront_offset 0
		.amdhsa_system_sgpr_workgroup_id_x 1
		.amdhsa_system_sgpr_workgroup_id_y 0
		.amdhsa_system_sgpr_workgroup_id_z 0
		.amdhsa_system_sgpr_workgroup_info 0
		.amdhsa_system_vgpr_workitem_id 0
		.amdhsa_next_free_vgpr 1
		.amdhsa_next_free_sgpr 0
		.amdhsa_accum_offset 4
		.amdhsa_reserve_vcc 0
		.amdhsa_reserve_flat_scratch 0
		.amdhsa_float_round_mode_32 0
		.amdhsa_float_round_mode_16_64 0
		.amdhsa_float_denorm_mode_32 3
		.amdhsa_float_denorm_mode_16_64 3
		.amdhsa_dx10_clamp 1
		.amdhsa_ieee_mode 1
		.amdhsa_fp16_overflow 0
		.amdhsa_tg_split 0
		.amdhsa_exception_fp_ieee_invalid_op 0
		.amdhsa_exception_fp_denorm_src 0
		.amdhsa_exception_fp_ieee_div_zero 0
		.amdhsa_exception_fp_ieee_overflow 0
		.amdhsa_exception_fp_ieee_underflow 0
		.amdhsa_exception_fp_ieee_inexact 0
		.amdhsa_exception_int_div_zero 0
	.end_amdhsa_kernel
	.section	.text._ZN7rocprim17ROCPRIM_400000_NS6detail17trampoline_kernelINS0_14default_configENS1_35radix_sort_onesweep_config_selectorIfNS0_10empty_typeEEEZNS1_34radix_sort_onesweep_global_offsetsIS3_Lb1EPfPS5_mNS0_19identity_decomposerEEE10hipError_tT1_T2_PT3_SE_jT4_jjP12ihipStream_tbEUlT_E0_NS1_11comp_targetILNS1_3genE0ELNS1_11target_archE4294967295ELNS1_3gpuE0ELNS1_3repE0EEENS1_52radix_sort_onesweep_histogram_config_static_selectorELNS0_4arch9wavefront6targetE1EEEvSC_,"axG",@progbits,_ZN7rocprim17ROCPRIM_400000_NS6detail17trampoline_kernelINS0_14default_configENS1_35radix_sort_onesweep_config_selectorIfNS0_10empty_typeEEEZNS1_34radix_sort_onesweep_global_offsetsIS3_Lb1EPfPS5_mNS0_19identity_decomposerEEE10hipError_tT1_T2_PT3_SE_jT4_jjP12ihipStream_tbEUlT_E0_NS1_11comp_targetILNS1_3genE0ELNS1_11target_archE4294967295ELNS1_3gpuE0ELNS1_3repE0EEENS1_52radix_sort_onesweep_histogram_config_static_selectorELNS0_4arch9wavefront6targetE1EEEvSC_,comdat
.Lfunc_end2537:
	.size	_ZN7rocprim17ROCPRIM_400000_NS6detail17trampoline_kernelINS0_14default_configENS1_35radix_sort_onesweep_config_selectorIfNS0_10empty_typeEEEZNS1_34radix_sort_onesweep_global_offsetsIS3_Lb1EPfPS5_mNS0_19identity_decomposerEEE10hipError_tT1_T2_PT3_SE_jT4_jjP12ihipStream_tbEUlT_E0_NS1_11comp_targetILNS1_3genE0ELNS1_11target_archE4294967295ELNS1_3gpuE0ELNS1_3repE0EEENS1_52radix_sort_onesweep_histogram_config_static_selectorELNS0_4arch9wavefront6targetE1EEEvSC_, .Lfunc_end2537-_ZN7rocprim17ROCPRIM_400000_NS6detail17trampoline_kernelINS0_14default_configENS1_35radix_sort_onesweep_config_selectorIfNS0_10empty_typeEEEZNS1_34radix_sort_onesweep_global_offsetsIS3_Lb1EPfPS5_mNS0_19identity_decomposerEEE10hipError_tT1_T2_PT3_SE_jT4_jjP12ihipStream_tbEUlT_E0_NS1_11comp_targetILNS1_3genE0ELNS1_11target_archE4294967295ELNS1_3gpuE0ELNS1_3repE0EEENS1_52radix_sort_onesweep_histogram_config_static_selectorELNS0_4arch9wavefront6targetE1EEEvSC_
                                        ; -- End function
	.section	.AMDGPU.csdata,"",@progbits
; Kernel info:
; codeLenInByte = 0
; NumSgprs: 4
; NumVgprs: 0
; NumAgprs: 0
; TotalNumVgprs: 0
; ScratchSize: 0
; MemoryBound: 0
; FloatMode: 240
; IeeeMode: 1
; LDSByteSize: 0 bytes/workgroup (compile time only)
; SGPRBlocks: 0
; VGPRBlocks: 0
; NumSGPRsForWavesPerEU: 4
; NumVGPRsForWavesPerEU: 1
; AccumOffset: 4
; Occupancy: 8
; WaveLimiterHint : 0
; COMPUTE_PGM_RSRC2:SCRATCH_EN: 0
; COMPUTE_PGM_RSRC2:USER_SGPR: 6
; COMPUTE_PGM_RSRC2:TRAP_HANDLER: 0
; COMPUTE_PGM_RSRC2:TGID_X_EN: 1
; COMPUTE_PGM_RSRC2:TGID_Y_EN: 0
; COMPUTE_PGM_RSRC2:TGID_Z_EN: 0
; COMPUTE_PGM_RSRC2:TIDIG_COMP_CNT: 0
; COMPUTE_PGM_RSRC3_GFX90A:ACCUM_OFFSET: 0
; COMPUTE_PGM_RSRC3_GFX90A:TG_SPLIT: 0
	.section	.text._ZN7rocprim17ROCPRIM_400000_NS6detail17trampoline_kernelINS0_14default_configENS1_35radix_sort_onesweep_config_selectorIfNS0_10empty_typeEEEZNS1_34radix_sort_onesweep_global_offsetsIS3_Lb1EPfPS5_mNS0_19identity_decomposerEEE10hipError_tT1_T2_PT3_SE_jT4_jjP12ihipStream_tbEUlT_E0_NS1_11comp_targetILNS1_3genE6ELNS1_11target_archE950ELNS1_3gpuE13ELNS1_3repE0EEENS1_52radix_sort_onesweep_histogram_config_static_selectorELNS0_4arch9wavefront6targetE1EEEvSC_,"axG",@progbits,_ZN7rocprim17ROCPRIM_400000_NS6detail17trampoline_kernelINS0_14default_configENS1_35radix_sort_onesweep_config_selectorIfNS0_10empty_typeEEEZNS1_34radix_sort_onesweep_global_offsetsIS3_Lb1EPfPS5_mNS0_19identity_decomposerEEE10hipError_tT1_T2_PT3_SE_jT4_jjP12ihipStream_tbEUlT_E0_NS1_11comp_targetILNS1_3genE6ELNS1_11target_archE950ELNS1_3gpuE13ELNS1_3repE0EEENS1_52radix_sort_onesweep_histogram_config_static_selectorELNS0_4arch9wavefront6targetE1EEEvSC_,comdat
	.protected	_ZN7rocprim17ROCPRIM_400000_NS6detail17trampoline_kernelINS0_14default_configENS1_35radix_sort_onesweep_config_selectorIfNS0_10empty_typeEEEZNS1_34radix_sort_onesweep_global_offsetsIS3_Lb1EPfPS5_mNS0_19identity_decomposerEEE10hipError_tT1_T2_PT3_SE_jT4_jjP12ihipStream_tbEUlT_E0_NS1_11comp_targetILNS1_3genE6ELNS1_11target_archE950ELNS1_3gpuE13ELNS1_3repE0EEENS1_52radix_sort_onesweep_histogram_config_static_selectorELNS0_4arch9wavefront6targetE1EEEvSC_ ; -- Begin function _ZN7rocprim17ROCPRIM_400000_NS6detail17trampoline_kernelINS0_14default_configENS1_35radix_sort_onesweep_config_selectorIfNS0_10empty_typeEEEZNS1_34radix_sort_onesweep_global_offsetsIS3_Lb1EPfPS5_mNS0_19identity_decomposerEEE10hipError_tT1_T2_PT3_SE_jT4_jjP12ihipStream_tbEUlT_E0_NS1_11comp_targetILNS1_3genE6ELNS1_11target_archE950ELNS1_3gpuE13ELNS1_3repE0EEENS1_52radix_sort_onesweep_histogram_config_static_selectorELNS0_4arch9wavefront6targetE1EEEvSC_
	.globl	_ZN7rocprim17ROCPRIM_400000_NS6detail17trampoline_kernelINS0_14default_configENS1_35radix_sort_onesweep_config_selectorIfNS0_10empty_typeEEEZNS1_34radix_sort_onesweep_global_offsetsIS3_Lb1EPfPS5_mNS0_19identity_decomposerEEE10hipError_tT1_T2_PT3_SE_jT4_jjP12ihipStream_tbEUlT_E0_NS1_11comp_targetILNS1_3genE6ELNS1_11target_archE950ELNS1_3gpuE13ELNS1_3repE0EEENS1_52radix_sort_onesweep_histogram_config_static_selectorELNS0_4arch9wavefront6targetE1EEEvSC_
	.p2align	8
	.type	_ZN7rocprim17ROCPRIM_400000_NS6detail17trampoline_kernelINS0_14default_configENS1_35radix_sort_onesweep_config_selectorIfNS0_10empty_typeEEEZNS1_34radix_sort_onesweep_global_offsetsIS3_Lb1EPfPS5_mNS0_19identity_decomposerEEE10hipError_tT1_T2_PT3_SE_jT4_jjP12ihipStream_tbEUlT_E0_NS1_11comp_targetILNS1_3genE6ELNS1_11target_archE950ELNS1_3gpuE13ELNS1_3repE0EEENS1_52radix_sort_onesweep_histogram_config_static_selectorELNS0_4arch9wavefront6targetE1EEEvSC_,@function
_ZN7rocprim17ROCPRIM_400000_NS6detail17trampoline_kernelINS0_14default_configENS1_35radix_sort_onesweep_config_selectorIfNS0_10empty_typeEEEZNS1_34radix_sort_onesweep_global_offsetsIS3_Lb1EPfPS5_mNS0_19identity_decomposerEEE10hipError_tT1_T2_PT3_SE_jT4_jjP12ihipStream_tbEUlT_E0_NS1_11comp_targetILNS1_3genE6ELNS1_11target_archE950ELNS1_3gpuE13ELNS1_3repE0EEENS1_52radix_sort_onesweep_histogram_config_static_selectorELNS0_4arch9wavefront6targetE1EEEvSC_: ; @_ZN7rocprim17ROCPRIM_400000_NS6detail17trampoline_kernelINS0_14default_configENS1_35radix_sort_onesweep_config_selectorIfNS0_10empty_typeEEEZNS1_34radix_sort_onesweep_global_offsetsIS3_Lb1EPfPS5_mNS0_19identity_decomposerEEE10hipError_tT1_T2_PT3_SE_jT4_jjP12ihipStream_tbEUlT_E0_NS1_11comp_targetILNS1_3genE6ELNS1_11target_archE950ELNS1_3gpuE13ELNS1_3repE0EEENS1_52radix_sort_onesweep_histogram_config_static_selectorELNS0_4arch9wavefront6targetE1EEEvSC_
; %bb.0:
	.section	.rodata,"a",@progbits
	.p2align	6, 0x0
	.amdhsa_kernel _ZN7rocprim17ROCPRIM_400000_NS6detail17trampoline_kernelINS0_14default_configENS1_35radix_sort_onesweep_config_selectorIfNS0_10empty_typeEEEZNS1_34radix_sort_onesweep_global_offsetsIS3_Lb1EPfPS5_mNS0_19identity_decomposerEEE10hipError_tT1_T2_PT3_SE_jT4_jjP12ihipStream_tbEUlT_E0_NS1_11comp_targetILNS1_3genE6ELNS1_11target_archE950ELNS1_3gpuE13ELNS1_3repE0EEENS1_52radix_sort_onesweep_histogram_config_static_selectorELNS0_4arch9wavefront6targetE1EEEvSC_
		.amdhsa_group_segment_fixed_size 0
		.amdhsa_private_segment_fixed_size 0
		.amdhsa_kernarg_size 8
		.amdhsa_user_sgpr_count 6
		.amdhsa_user_sgpr_private_segment_buffer 1
		.amdhsa_user_sgpr_dispatch_ptr 0
		.amdhsa_user_sgpr_queue_ptr 0
		.amdhsa_user_sgpr_kernarg_segment_ptr 1
		.amdhsa_user_sgpr_dispatch_id 0
		.amdhsa_user_sgpr_flat_scratch_init 0
		.amdhsa_user_sgpr_kernarg_preload_length 0
		.amdhsa_user_sgpr_kernarg_preload_offset 0
		.amdhsa_user_sgpr_private_segment_size 0
		.amdhsa_uses_dynamic_stack 0
		.amdhsa_system_sgpr_private_segment_wavefront_offset 0
		.amdhsa_system_sgpr_workgroup_id_x 1
		.amdhsa_system_sgpr_workgroup_id_y 0
		.amdhsa_system_sgpr_workgroup_id_z 0
		.amdhsa_system_sgpr_workgroup_info 0
		.amdhsa_system_vgpr_workitem_id 0
		.amdhsa_next_free_vgpr 1
		.amdhsa_next_free_sgpr 0
		.amdhsa_accum_offset 4
		.amdhsa_reserve_vcc 0
		.amdhsa_reserve_flat_scratch 0
		.amdhsa_float_round_mode_32 0
		.amdhsa_float_round_mode_16_64 0
		.amdhsa_float_denorm_mode_32 3
		.amdhsa_float_denorm_mode_16_64 3
		.amdhsa_dx10_clamp 1
		.amdhsa_ieee_mode 1
		.amdhsa_fp16_overflow 0
		.amdhsa_tg_split 0
		.amdhsa_exception_fp_ieee_invalid_op 0
		.amdhsa_exception_fp_denorm_src 0
		.amdhsa_exception_fp_ieee_div_zero 0
		.amdhsa_exception_fp_ieee_overflow 0
		.amdhsa_exception_fp_ieee_underflow 0
		.amdhsa_exception_fp_ieee_inexact 0
		.amdhsa_exception_int_div_zero 0
	.end_amdhsa_kernel
	.section	.text._ZN7rocprim17ROCPRIM_400000_NS6detail17trampoline_kernelINS0_14default_configENS1_35radix_sort_onesweep_config_selectorIfNS0_10empty_typeEEEZNS1_34radix_sort_onesweep_global_offsetsIS3_Lb1EPfPS5_mNS0_19identity_decomposerEEE10hipError_tT1_T2_PT3_SE_jT4_jjP12ihipStream_tbEUlT_E0_NS1_11comp_targetILNS1_3genE6ELNS1_11target_archE950ELNS1_3gpuE13ELNS1_3repE0EEENS1_52radix_sort_onesweep_histogram_config_static_selectorELNS0_4arch9wavefront6targetE1EEEvSC_,"axG",@progbits,_ZN7rocprim17ROCPRIM_400000_NS6detail17trampoline_kernelINS0_14default_configENS1_35radix_sort_onesweep_config_selectorIfNS0_10empty_typeEEEZNS1_34radix_sort_onesweep_global_offsetsIS3_Lb1EPfPS5_mNS0_19identity_decomposerEEE10hipError_tT1_T2_PT3_SE_jT4_jjP12ihipStream_tbEUlT_E0_NS1_11comp_targetILNS1_3genE6ELNS1_11target_archE950ELNS1_3gpuE13ELNS1_3repE0EEENS1_52radix_sort_onesweep_histogram_config_static_selectorELNS0_4arch9wavefront6targetE1EEEvSC_,comdat
.Lfunc_end2538:
	.size	_ZN7rocprim17ROCPRIM_400000_NS6detail17trampoline_kernelINS0_14default_configENS1_35radix_sort_onesweep_config_selectorIfNS0_10empty_typeEEEZNS1_34radix_sort_onesweep_global_offsetsIS3_Lb1EPfPS5_mNS0_19identity_decomposerEEE10hipError_tT1_T2_PT3_SE_jT4_jjP12ihipStream_tbEUlT_E0_NS1_11comp_targetILNS1_3genE6ELNS1_11target_archE950ELNS1_3gpuE13ELNS1_3repE0EEENS1_52radix_sort_onesweep_histogram_config_static_selectorELNS0_4arch9wavefront6targetE1EEEvSC_, .Lfunc_end2538-_ZN7rocprim17ROCPRIM_400000_NS6detail17trampoline_kernelINS0_14default_configENS1_35radix_sort_onesweep_config_selectorIfNS0_10empty_typeEEEZNS1_34radix_sort_onesweep_global_offsetsIS3_Lb1EPfPS5_mNS0_19identity_decomposerEEE10hipError_tT1_T2_PT3_SE_jT4_jjP12ihipStream_tbEUlT_E0_NS1_11comp_targetILNS1_3genE6ELNS1_11target_archE950ELNS1_3gpuE13ELNS1_3repE0EEENS1_52radix_sort_onesweep_histogram_config_static_selectorELNS0_4arch9wavefront6targetE1EEEvSC_
                                        ; -- End function
	.section	.AMDGPU.csdata,"",@progbits
; Kernel info:
; codeLenInByte = 0
; NumSgprs: 4
; NumVgprs: 0
; NumAgprs: 0
; TotalNumVgprs: 0
; ScratchSize: 0
; MemoryBound: 0
; FloatMode: 240
; IeeeMode: 1
; LDSByteSize: 0 bytes/workgroup (compile time only)
; SGPRBlocks: 0
; VGPRBlocks: 0
; NumSGPRsForWavesPerEU: 4
; NumVGPRsForWavesPerEU: 1
; AccumOffset: 4
; Occupancy: 8
; WaveLimiterHint : 0
; COMPUTE_PGM_RSRC2:SCRATCH_EN: 0
; COMPUTE_PGM_RSRC2:USER_SGPR: 6
; COMPUTE_PGM_RSRC2:TRAP_HANDLER: 0
; COMPUTE_PGM_RSRC2:TGID_X_EN: 1
; COMPUTE_PGM_RSRC2:TGID_Y_EN: 0
; COMPUTE_PGM_RSRC2:TGID_Z_EN: 0
; COMPUTE_PGM_RSRC2:TIDIG_COMP_CNT: 0
; COMPUTE_PGM_RSRC3_GFX90A:ACCUM_OFFSET: 0
; COMPUTE_PGM_RSRC3_GFX90A:TG_SPLIT: 0
	.section	.text._ZN7rocprim17ROCPRIM_400000_NS6detail17trampoline_kernelINS0_14default_configENS1_35radix_sort_onesweep_config_selectorIfNS0_10empty_typeEEEZNS1_34radix_sort_onesweep_global_offsetsIS3_Lb1EPfPS5_mNS0_19identity_decomposerEEE10hipError_tT1_T2_PT3_SE_jT4_jjP12ihipStream_tbEUlT_E0_NS1_11comp_targetILNS1_3genE5ELNS1_11target_archE942ELNS1_3gpuE9ELNS1_3repE0EEENS1_52radix_sort_onesweep_histogram_config_static_selectorELNS0_4arch9wavefront6targetE1EEEvSC_,"axG",@progbits,_ZN7rocprim17ROCPRIM_400000_NS6detail17trampoline_kernelINS0_14default_configENS1_35radix_sort_onesweep_config_selectorIfNS0_10empty_typeEEEZNS1_34radix_sort_onesweep_global_offsetsIS3_Lb1EPfPS5_mNS0_19identity_decomposerEEE10hipError_tT1_T2_PT3_SE_jT4_jjP12ihipStream_tbEUlT_E0_NS1_11comp_targetILNS1_3genE5ELNS1_11target_archE942ELNS1_3gpuE9ELNS1_3repE0EEENS1_52radix_sort_onesweep_histogram_config_static_selectorELNS0_4arch9wavefront6targetE1EEEvSC_,comdat
	.protected	_ZN7rocprim17ROCPRIM_400000_NS6detail17trampoline_kernelINS0_14default_configENS1_35radix_sort_onesweep_config_selectorIfNS0_10empty_typeEEEZNS1_34radix_sort_onesweep_global_offsetsIS3_Lb1EPfPS5_mNS0_19identity_decomposerEEE10hipError_tT1_T2_PT3_SE_jT4_jjP12ihipStream_tbEUlT_E0_NS1_11comp_targetILNS1_3genE5ELNS1_11target_archE942ELNS1_3gpuE9ELNS1_3repE0EEENS1_52radix_sort_onesweep_histogram_config_static_selectorELNS0_4arch9wavefront6targetE1EEEvSC_ ; -- Begin function _ZN7rocprim17ROCPRIM_400000_NS6detail17trampoline_kernelINS0_14default_configENS1_35radix_sort_onesweep_config_selectorIfNS0_10empty_typeEEEZNS1_34radix_sort_onesweep_global_offsetsIS3_Lb1EPfPS5_mNS0_19identity_decomposerEEE10hipError_tT1_T2_PT3_SE_jT4_jjP12ihipStream_tbEUlT_E0_NS1_11comp_targetILNS1_3genE5ELNS1_11target_archE942ELNS1_3gpuE9ELNS1_3repE0EEENS1_52radix_sort_onesweep_histogram_config_static_selectorELNS0_4arch9wavefront6targetE1EEEvSC_
	.globl	_ZN7rocprim17ROCPRIM_400000_NS6detail17trampoline_kernelINS0_14default_configENS1_35radix_sort_onesweep_config_selectorIfNS0_10empty_typeEEEZNS1_34radix_sort_onesweep_global_offsetsIS3_Lb1EPfPS5_mNS0_19identity_decomposerEEE10hipError_tT1_T2_PT3_SE_jT4_jjP12ihipStream_tbEUlT_E0_NS1_11comp_targetILNS1_3genE5ELNS1_11target_archE942ELNS1_3gpuE9ELNS1_3repE0EEENS1_52radix_sort_onesweep_histogram_config_static_selectorELNS0_4arch9wavefront6targetE1EEEvSC_
	.p2align	8
	.type	_ZN7rocprim17ROCPRIM_400000_NS6detail17trampoline_kernelINS0_14default_configENS1_35radix_sort_onesweep_config_selectorIfNS0_10empty_typeEEEZNS1_34radix_sort_onesweep_global_offsetsIS3_Lb1EPfPS5_mNS0_19identity_decomposerEEE10hipError_tT1_T2_PT3_SE_jT4_jjP12ihipStream_tbEUlT_E0_NS1_11comp_targetILNS1_3genE5ELNS1_11target_archE942ELNS1_3gpuE9ELNS1_3repE0EEENS1_52radix_sort_onesweep_histogram_config_static_selectorELNS0_4arch9wavefront6targetE1EEEvSC_,@function
_ZN7rocprim17ROCPRIM_400000_NS6detail17trampoline_kernelINS0_14default_configENS1_35radix_sort_onesweep_config_selectorIfNS0_10empty_typeEEEZNS1_34radix_sort_onesweep_global_offsetsIS3_Lb1EPfPS5_mNS0_19identity_decomposerEEE10hipError_tT1_T2_PT3_SE_jT4_jjP12ihipStream_tbEUlT_E0_NS1_11comp_targetILNS1_3genE5ELNS1_11target_archE942ELNS1_3gpuE9ELNS1_3repE0EEENS1_52radix_sort_onesweep_histogram_config_static_selectorELNS0_4arch9wavefront6targetE1EEEvSC_: ; @_ZN7rocprim17ROCPRIM_400000_NS6detail17trampoline_kernelINS0_14default_configENS1_35radix_sort_onesweep_config_selectorIfNS0_10empty_typeEEEZNS1_34radix_sort_onesweep_global_offsetsIS3_Lb1EPfPS5_mNS0_19identity_decomposerEEE10hipError_tT1_T2_PT3_SE_jT4_jjP12ihipStream_tbEUlT_E0_NS1_11comp_targetILNS1_3genE5ELNS1_11target_archE942ELNS1_3gpuE9ELNS1_3repE0EEENS1_52radix_sort_onesweep_histogram_config_static_selectorELNS0_4arch9wavefront6targetE1EEEvSC_
; %bb.0:
	.section	.rodata,"a",@progbits
	.p2align	6, 0x0
	.amdhsa_kernel _ZN7rocprim17ROCPRIM_400000_NS6detail17trampoline_kernelINS0_14default_configENS1_35radix_sort_onesweep_config_selectorIfNS0_10empty_typeEEEZNS1_34radix_sort_onesweep_global_offsetsIS3_Lb1EPfPS5_mNS0_19identity_decomposerEEE10hipError_tT1_T2_PT3_SE_jT4_jjP12ihipStream_tbEUlT_E0_NS1_11comp_targetILNS1_3genE5ELNS1_11target_archE942ELNS1_3gpuE9ELNS1_3repE0EEENS1_52radix_sort_onesweep_histogram_config_static_selectorELNS0_4arch9wavefront6targetE1EEEvSC_
		.amdhsa_group_segment_fixed_size 0
		.amdhsa_private_segment_fixed_size 0
		.amdhsa_kernarg_size 8
		.amdhsa_user_sgpr_count 6
		.amdhsa_user_sgpr_private_segment_buffer 1
		.amdhsa_user_sgpr_dispatch_ptr 0
		.amdhsa_user_sgpr_queue_ptr 0
		.amdhsa_user_sgpr_kernarg_segment_ptr 1
		.amdhsa_user_sgpr_dispatch_id 0
		.amdhsa_user_sgpr_flat_scratch_init 0
		.amdhsa_user_sgpr_kernarg_preload_length 0
		.amdhsa_user_sgpr_kernarg_preload_offset 0
		.amdhsa_user_sgpr_private_segment_size 0
		.amdhsa_uses_dynamic_stack 0
		.amdhsa_system_sgpr_private_segment_wavefront_offset 0
		.amdhsa_system_sgpr_workgroup_id_x 1
		.amdhsa_system_sgpr_workgroup_id_y 0
		.amdhsa_system_sgpr_workgroup_id_z 0
		.amdhsa_system_sgpr_workgroup_info 0
		.amdhsa_system_vgpr_workitem_id 0
		.amdhsa_next_free_vgpr 1
		.amdhsa_next_free_sgpr 0
		.amdhsa_accum_offset 4
		.amdhsa_reserve_vcc 0
		.amdhsa_reserve_flat_scratch 0
		.amdhsa_float_round_mode_32 0
		.amdhsa_float_round_mode_16_64 0
		.amdhsa_float_denorm_mode_32 3
		.amdhsa_float_denorm_mode_16_64 3
		.amdhsa_dx10_clamp 1
		.amdhsa_ieee_mode 1
		.amdhsa_fp16_overflow 0
		.amdhsa_tg_split 0
		.amdhsa_exception_fp_ieee_invalid_op 0
		.amdhsa_exception_fp_denorm_src 0
		.amdhsa_exception_fp_ieee_div_zero 0
		.amdhsa_exception_fp_ieee_overflow 0
		.amdhsa_exception_fp_ieee_underflow 0
		.amdhsa_exception_fp_ieee_inexact 0
		.amdhsa_exception_int_div_zero 0
	.end_amdhsa_kernel
	.section	.text._ZN7rocprim17ROCPRIM_400000_NS6detail17trampoline_kernelINS0_14default_configENS1_35radix_sort_onesweep_config_selectorIfNS0_10empty_typeEEEZNS1_34radix_sort_onesweep_global_offsetsIS3_Lb1EPfPS5_mNS0_19identity_decomposerEEE10hipError_tT1_T2_PT3_SE_jT4_jjP12ihipStream_tbEUlT_E0_NS1_11comp_targetILNS1_3genE5ELNS1_11target_archE942ELNS1_3gpuE9ELNS1_3repE0EEENS1_52radix_sort_onesweep_histogram_config_static_selectorELNS0_4arch9wavefront6targetE1EEEvSC_,"axG",@progbits,_ZN7rocprim17ROCPRIM_400000_NS6detail17trampoline_kernelINS0_14default_configENS1_35radix_sort_onesweep_config_selectorIfNS0_10empty_typeEEEZNS1_34radix_sort_onesweep_global_offsetsIS3_Lb1EPfPS5_mNS0_19identity_decomposerEEE10hipError_tT1_T2_PT3_SE_jT4_jjP12ihipStream_tbEUlT_E0_NS1_11comp_targetILNS1_3genE5ELNS1_11target_archE942ELNS1_3gpuE9ELNS1_3repE0EEENS1_52radix_sort_onesweep_histogram_config_static_selectorELNS0_4arch9wavefront6targetE1EEEvSC_,comdat
.Lfunc_end2539:
	.size	_ZN7rocprim17ROCPRIM_400000_NS6detail17trampoline_kernelINS0_14default_configENS1_35radix_sort_onesweep_config_selectorIfNS0_10empty_typeEEEZNS1_34radix_sort_onesweep_global_offsetsIS3_Lb1EPfPS5_mNS0_19identity_decomposerEEE10hipError_tT1_T2_PT3_SE_jT4_jjP12ihipStream_tbEUlT_E0_NS1_11comp_targetILNS1_3genE5ELNS1_11target_archE942ELNS1_3gpuE9ELNS1_3repE0EEENS1_52radix_sort_onesweep_histogram_config_static_selectorELNS0_4arch9wavefront6targetE1EEEvSC_, .Lfunc_end2539-_ZN7rocprim17ROCPRIM_400000_NS6detail17trampoline_kernelINS0_14default_configENS1_35radix_sort_onesweep_config_selectorIfNS0_10empty_typeEEEZNS1_34radix_sort_onesweep_global_offsetsIS3_Lb1EPfPS5_mNS0_19identity_decomposerEEE10hipError_tT1_T2_PT3_SE_jT4_jjP12ihipStream_tbEUlT_E0_NS1_11comp_targetILNS1_3genE5ELNS1_11target_archE942ELNS1_3gpuE9ELNS1_3repE0EEENS1_52radix_sort_onesweep_histogram_config_static_selectorELNS0_4arch9wavefront6targetE1EEEvSC_
                                        ; -- End function
	.section	.AMDGPU.csdata,"",@progbits
; Kernel info:
; codeLenInByte = 0
; NumSgprs: 4
; NumVgprs: 0
; NumAgprs: 0
; TotalNumVgprs: 0
; ScratchSize: 0
; MemoryBound: 0
; FloatMode: 240
; IeeeMode: 1
; LDSByteSize: 0 bytes/workgroup (compile time only)
; SGPRBlocks: 0
; VGPRBlocks: 0
; NumSGPRsForWavesPerEU: 4
; NumVGPRsForWavesPerEU: 1
; AccumOffset: 4
; Occupancy: 8
; WaveLimiterHint : 0
; COMPUTE_PGM_RSRC2:SCRATCH_EN: 0
; COMPUTE_PGM_RSRC2:USER_SGPR: 6
; COMPUTE_PGM_RSRC2:TRAP_HANDLER: 0
; COMPUTE_PGM_RSRC2:TGID_X_EN: 1
; COMPUTE_PGM_RSRC2:TGID_Y_EN: 0
; COMPUTE_PGM_RSRC2:TGID_Z_EN: 0
; COMPUTE_PGM_RSRC2:TIDIG_COMP_CNT: 0
; COMPUTE_PGM_RSRC3_GFX90A:ACCUM_OFFSET: 0
; COMPUTE_PGM_RSRC3_GFX90A:TG_SPLIT: 0
	.section	.text._ZN7rocprim17ROCPRIM_400000_NS6detail17trampoline_kernelINS0_14default_configENS1_35radix_sort_onesweep_config_selectorIfNS0_10empty_typeEEEZNS1_34radix_sort_onesweep_global_offsetsIS3_Lb1EPfPS5_mNS0_19identity_decomposerEEE10hipError_tT1_T2_PT3_SE_jT4_jjP12ihipStream_tbEUlT_E0_NS1_11comp_targetILNS1_3genE2ELNS1_11target_archE906ELNS1_3gpuE6ELNS1_3repE0EEENS1_52radix_sort_onesweep_histogram_config_static_selectorELNS0_4arch9wavefront6targetE1EEEvSC_,"axG",@progbits,_ZN7rocprim17ROCPRIM_400000_NS6detail17trampoline_kernelINS0_14default_configENS1_35radix_sort_onesweep_config_selectorIfNS0_10empty_typeEEEZNS1_34radix_sort_onesweep_global_offsetsIS3_Lb1EPfPS5_mNS0_19identity_decomposerEEE10hipError_tT1_T2_PT3_SE_jT4_jjP12ihipStream_tbEUlT_E0_NS1_11comp_targetILNS1_3genE2ELNS1_11target_archE906ELNS1_3gpuE6ELNS1_3repE0EEENS1_52radix_sort_onesweep_histogram_config_static_selectorELNS0_4arch9wavefront6targetE1EEEvSC_,comdat
	.protected	_ZN7rocprim17ROCPRIM_400000_NS6detail17trampoline_kernelINS0_14default_configENS1_35radix_sort_onesweep_config_selectorIfNS0_10empty_typeEEEZNS1_34radix_sort_onesweep_global_offsetsIS3_Lb1EPfPS5_mNS0_19identity_decomposerEEE10hipError_tT1_T2_PT3_SE_jT4_jjP12ihipStream_tbEUlT_E0_NS1_11comp_targetILNS1_3genE2ELNS1_11target_archE906ELNS1_3gpuE6ELNS1_3repE0EEENS1_52radix_sort_onesweep_histogram_config_static_selectorELNS0_4arch9wavefront6targetE1EEEvSC_ ; -- Begin function _ZN7rocprim17ROCPRIM_400000_NS6detail17trampoline_kernelINS0_14default_configENS1_35radix_sort_onesweep_config_selectorIfNS0_10empty_typeEEEZNS1_34radix_sort_onesweep_global_offsetsIS3_Lb1EPfPS5_mNS0_19identity_decomposerEEE10hipError_tT1_T2_PT3_SE_jT4_jjP12ihipStream_tbEUlT_E0_NS1_11comp_targetILNS1_3genE2ELNS1_11target_archE906ELNS1_3gpuE6ELNS1_3repE0EEENS1_52radix_sort_onesweep_histogram_config_static_selectorELNS0_4arch9wavefront6targetE1EEEvSC_
	.globl	_ZN7rocprim17ROCPRIM_400000_NS6detail17trampoline_kernelINS0_14default_configENS1_35radix_sort_onesweep_config_selectorIfNS0_10empty_typeEEEZNS1_34radix_sort_onesweep_global_offsetsIS3_Lb1EPfPS5_mNS0_19identity_decomposerEEE10hipError_tT1_T2_PT3_SE_jT4_jjP12ihipStream_tbEUlT_E0_NS1_11comp_targetILNS1_3genE2ELNS1_11target_archE906ELNS1_3gpuE6ELNS1_3repE0EEENS1_52radix_sort_onesweep_histogram_config_static_selectorELNS0_4arch9wavefront6targetE1EEEvSC_
	.p2align	8
	.type	_ZN7rocprim17ROCPRIM_400000_NS6detail17trampoline_kernelINS0_14default_configENS1_35radix_sort_onesweep_config_selectorIfNS0_10empty_typeEEEZNS1_34radix_sort_onesweep_global_offsetsIS3_Lb1EPfPS5_mNS0_19identity_decomposerEEE10hipError_tT1_T2_PT3_SE_jT4_jjP12ihipStream_tbEUlT_E0_NS1_11comp_targetILNS1_3genE2ELNS1_11target_archE906ELNS1_3gpuE6ELNS1_3repE0EEENS1_52radix_sort_onesweep_histogram_config_static_selectorELNS0_4arch9wavefront6targetE1EEEvSC_,@function
_ZN7rocprim17ROCPRIM_400000_NS6detail17trampoline_kernelINS0_14default_configENS1_35radix_sort_onesweep_config_selectorIfNS0_10empty_typeEEEZNS1_34radix_sort_onesweep_global_offsetsIS3_Lb1EPfPS5_mNS0_19identity_decomposerEEE10hipError_tT1_T2_PT3_SE_jT4_jjP12ihipStream_tbEUlT_E0_NS1_11comp_targetILNS1_3genE2ELNS1_11target_archE906ELNS1_3gpuE6ELNS1_3repE0EEENS1_52radix_sort_onesweep_histogram_config_static_selectorELNS0_4arch9wavefront6targetE1EEEvSC_: ; @_ZN7rocprim17ROCPRIM_400000_NS6detail17trampoline_kernelINS0_14default_configENS1_35radix_sort_onesweep_config_selectorIfNS0_10empty_typeEEEZNS1_34radix_sort_onesweep_global_offsetsIS3_Lb1EPfPS5_mNS0_19identity_decomposerEEE10hipError_tT1_T2_PT3_SE_jT4_jjP12ihipStream_tbEUlT_E0_NS1_11comp_targetILNS1_3genE2ELNS1_11target_archE906ELNS1_3gpuE6ELNS1_3repE0EEENS1_52radix_sort_onesweep_histogram_config_static_selectorELNS0_4arch9wavefront6targetE1EEEvSC_
; %bb.0:
	.section	.rodata,"a",@progbits
	.p2align	6, 0x0
	.amdhsa_kernel _ZN7rocprim17ROCPRIM_400000_NS6detail17trampoline_kernelINS0_14default_configENS1_35radix_sort_onesweep_config_selectorIfNS0_10empty_typeEEEZNS1_34radix_sort_onesweep_global_offsetsIS3_Lb1EPfPS5_mNS0_19identity_decomposerEEE10hipError_tT1_T2_PT3_SE_jT4_jjP12ihipStream_tbEUlT_E0_NS1_11comp_targetILNS1_3genE2ELNS1_11target_archE906ELNS1_3gpuE6ELNS1_3repE0EEENS1_52radix_sort_onesweep_histogram_config_static_selectorELNS0_4arch9wavefront6targetE1EEEvSC_
		.amdhsa_group_segment_fixed_size 0
		.amdhsa_private_segment_fixed_size 0
		.amdhsa_kernarg_size 8
		.amdhsa_user_sgpr_count 6
		.amdhsa_user_sgpr_private_segment_buffer 1
		.amdhsa_user_sgpr_dispatch_ptr 0
		.amdhsa_user_sgpr_queue_ptr 0
		.amdhsa_user_sgpr_kernarg_segment_ptr 1
		.amdhsa_user_sgpr_dispatch_id 0
		.amdhsa_user_sgpr_flat_scratch_init 0
		.amdhsa_user_sgpr_kernarg_preload_length 0
		.amdhsa_user_sgpr_kernarg_preload_offset 0
		.amdhsa_user_sgpr_private_segment_size 0
		.amdhsa_uses_dynamic_stack 0
		.amdhsa_system_sgpr_private_segment_wavefront_offset 0
		.amdhsa_system_sgpr_workgroup_id_x 1
		.amdhsa_system_sgpr_workgroup_id_y 0
		.amdhsa_system_sgpr_workgroup_id_z 0
		.amdhsa_system_sgpr_workgroup_info 0
		.amdhsa_system_vgpr_workitem_id 0
		.amdhsa_next_free_vgpr 1
		.amdhsa_next_free_sgpr 0
		.amdhsa_accum_offset 4
		.amdhsa_reserve_vcc 0
		.amdhsa_reserve_flat_scratch 0
		.amdhsa_float_round_mode_32 0
		.amdhsa_float_round_mode_16_64 0
		.amdhsa_float_denorm_mode_32 3
		.amdhsa_float_denorm_mode_16_64 3
		.amdhsa_dx10_clamp 1
		.amdhsa_ieee_mode 1
		.amdhsa_fp16_overflow 0
		.amdhsa_tg_split 0
		.amdhsa_exception_fp_ieee_invalid_op 0
		.amdhsa_exception_fp_denorm_src 0
		.amdhsa_exception_fp_ieee_div_zero 0
		.amdhsa_exception_fp_ieee_overflow 0
		.amdhsa_exception_fp_ieee_underflow 0
		.amdhsa_exception_fp_ieee_inexact 0
		.amdhsa_exception_int_div_zero 0
	.end_amdhsa_kernel
	.section	.text._ZN7rocprim17ROCPRIM_400000_NS6detail17trampoline_kernelINS0_14default_configENS1_35radix_sort_onesweep_config_selectorIfNS0_10empty_typeEEEZNS1_34radix_sort_onesweep_global_offsetsIS3_Lb1EPfPS5_mNS0_19identity_decomposerEEE10hipError_tT1_T2_PT3_SE_jT4_jjP12ihipStream_tbEUlT_E0_NS1_11comp_targetILNS1_3genE2ELNS1_11target_archE906ELNS1_3gpuE6ELNS1_3repE0EEENS1_52radix_sort_onesweep_histogram_config_static_selectorELNS0_4arch9wavefront6targetE1EEEvSC_,"axG",@progbits,_ZN7rocprim17ROCPRIM_400000_NS6detail17trampoline_kernelINS0_14default_configENS1_35radix_sort_onesweep_config_selectorIfNS0_10empty_typeEEEZNS1_34radix_sort_onesweep_global_offsetsIS3_Lb1EPfPS5_mNS0_19identity_decomposerEEE10hipError_tT1_T2_PT3_SE_jT4_jjP12ihipStream_tbEUlT_E0_NS1_11comp_targetILNS1_3genE2ELNS1_11target_archE906ELNS1_3gpuE6ELNS1_3repE0EEENS1_52radix_sort_onesweep_histogram_config_static_selectorELNS0_4arch9wavefront6targetE1EEEvSC_,comdat
.Lfunc_end2540:
	.size	_ZN7rocprim17ROCPRIM_400000_NS6detail17trampoline_kernelINS0_14default_configENS1_35radix_sort_onesweep_config_selectorIfNS0_10empty_typeEEEZNS1_34radix_sort_onesweep_global_offsetsIS3_Lb1EPfPS5_mNS0_19identity_decomposerEEE10hipError_tT1_T2_PT3_SE_jT4_jjP12ihipStream_tbEUlT_E0_NS1_11comp_targetILNS1_3genE2ELNS1_11target_archE906ELNS1_3gpuE6ELNS1_3repE0EEENS1_52radix_sort_onesweep_histogram_config_static_selectorELNS0_4arch9wavefront6targetE1EEEvSC_, .Lfunc_end2540-_ZN7rocprim17ROCPRIM_400000_NS6detail17trampoline_kernelINS0_14default_configENS1_35radix_sort_onesweep_config_selectorIfNS0_10empty_typeEEEZNS1_34radix_sort_onesweep_global_offsetsIS3_Lb1EPfPS5_mNS0_19identity_decomposerEEE10hipError_tT1_T2_PT3_SE_jT4_jjP12ihipStream_tbEUlT_E0_NS1_11comp_targetILNS1_3genE2ELNS1_11target_archE906ELNS1_3gpuE6ELNS1_3repE0EEENS1_52radix_sort_onesweep_histogram_config_static_selectorELNS0_4arch9wavefront6targetE1EEEvSC_
                                        ; -- End function
	.section	.AMDGPU.csdata,"",@progbits
; Kernel info:
; codeLenInByte = 0
; NumSgprs: 4
; NumVgprs: 0
; NumAgprs: 0
; TotalNumVgprs: 0
; ScratchSize: 0
; MemoryBound: 0
; FloatMode: 240
; IeeeMode: 1
; LDSByteSize: 0 bytes/workgroup (compile time only)
; SGPRBlocks: 0
; VGPRBlocks: 0
; NumSGPRsForWavesPerEU: 4
; NumVGPRsForWavesPerEU: 1
; AccumOffset: 4
; Occupancy: 8
; WaveLimiterHint : 0
; COMPUTE_PGM_RSRC2:SCRATCH_EN: 0
; COMPUTE_PGM_RSRC2:USER_SGPR: 6
; COMPUTE_PGM_RSRC2:TRAP_HANDLER: 0
; COMPUTE_PGM_RSRC2:TGID_X_EN: 1
; COMPUTE_PGM_RSRC2:TGID_Y_EN: 0
; COMPUTE_PGM_RSRC2:TGID_Z_EN: 0
; COMPUTE_PGM_RSRC2:TIDIG_COMP_CNT: 0
; COMPUTE_PGM_RSRC3_GFX90A:ACCUM_OFFSET: 0
; COMPUTE_PGM_RSRC3_GFX90A:TG_SPLIT: 0
	.section	.text._ZN7rocprim17ROCPRIM_400000_NS6detail17trampoline_kernelINS0_14default_configENS1_35radix_sort_onesweep_config_selectorIfNS0_10empty_typeEEEZNS1_34radix_sort_onesweep_global_offsetsIS3_Lb1EPfPS5_mNS0_19identity_decomposerEEE10hipError_tT1_T2_PT3_SE_jT4_jjP12ihipStream_tbEUlT_E0_NS1_11comp_targetILNS1_3genE4ELNS1_11target_archE910ELNS1_3gpuE8ELNS1_3repE0EEENS1_52radix_sort_onesweep_histogram_config_static_selectorELNS0_4arch9wavefront6targetE1EEEvSC_,"axG",@progbits,_ZN7rocprim17ROCPRIM_400000_NS6detail17trampoline_kernelINS0_14default_configENS1_35radix_sort_onesweep_config_selectorIfNS0_10empty_typeEEEZNS1_34radix_sort_onesweep_global_offsetsIS3_Lb1EPfPS5_mNS0_19identity_decomposerEEE10hipError_tT1_T2_PT3_SE_jT4_jjP12ihipStream_tbEUlT_E0_NS1_11comp_targetILNS1_3genE4ELNS1_11target_archE910ELNS1_3gpuE8ELNS1_3repE0EEENS1_52radix_sort_onesweep_histogram_config_static_selectorELNS0_4arch9wavefront6targetE1EEEvSC_,comdat
	.protected	_ZN7rocprim17ROCPRIM_400000_NS6detail17trampoline_kernelINS0_14default_configENS1_35radix_sort_onesweep_config_selectorIfNS0_10empty_typeEEEZNS1_34radix_sort_onesweep_global_offsetsIS3_Lb1EPfPS5_mNS0_19identity_decomposerEEE10hipError_tT1_T2_PT3_SE_jT4_jjP12ihipStream_tbEUlT_E0_NS1_11comp_targetILNS1_3genE4ELNS1_11target_archE910ELNS1_3gpuE8ELNS1_3repE0EEENS1_52radix_sort_onesweep_histogram_config_static_selectorELNS0_4arch9wavefront6targetE1EEEvSC_ ; -- Begin function _ZN7rocprim17ROCPRIM_400000_NS6detail17trampoline_kernelINS0_14default_configENS1_35radix_sort_onesweep_config_selectorIfNS0_10empty_typeEEEZNS1_34radix_sort_onesweep_global_offsetsIS3_Lb1EPfPS5_mNS0_19identity_decomposerEEE10hipError_tT1_T2_PT3_SE_jT4_jjP12ihipStream_tbEUlT_E0_NS1_11comp_targetILNS1_3genE4ELNS1_11target_archE910ELNS1_3gpuE8ELNS1_3repE0EEENS1_52radix_sort_onesweep_histogram_config_static_selectorELNS0_4arch9wavefront6targetE1EEEvSC_
	.globl	_ZN7rocprim17ROCPRIM_400000_NS6detail17trampoline_kernelINS0_14default_configENS1_35radix_sort_onesweep_config_selectorIfNS0_10empty_typeEEEZNS1_34radix_sort_onesweep_global_offsetsIS3_Lb1EPfPS5_mNS0_19identity_decomposerEEE10hipError_tT1_T2_PT3_SE_jT4_jjP12ihipStream_tbEUlT_E0_NS1_11comp_targetILNS1_3genE4ELNS1_11target_archE910ELNS1_3gpuE8ELNS1_3repE0EEENS1_52radix_sort_onesweep_histogram_config_static_selectorELNS0_4arch9wavefront6targetE1EEEvSC_
	.p2align	8
	.type	_ZN7rocprim17ROCPRIM_400000_NS6detail17trampoline_kernelINS0_14default_configENS1_35radix_sort_onesweep_config_selectorIfNS0_10empty_typeEEEZNS1_34radix_sort_onesweep_global_offsetsIS3_Lb1EPfPS5_mNS0_19identity_decomposerEEE10hipError_tT1_T2_PT3_SE_jT4_jjP12ihipStream_tbEUlT_E0_NS1_11comp_targetILNS1_3genE4ELNS1_11target_archE910ELNS1_3gpuE8ELNS1_3repE0EEENS1_52radix_sort_onesweep_histogram_config_static_selectorELNS0_4arch9wavefront6targetE1EEEvSC_,@function
_ZN7rocprim17ROCPRIM_400000_NS6detail17trampoline_kernelINS0_14default_configENS1_35radix_sort_onesweep_config_selectorIfNS0_10empty_typeEEEZNS1_34radix_sort_onesweep_global_offsetsIS3_Lb1EPfPS5_mNS0_19identity_decomposerEEE10hipError_tT1_T2_PT3_SE_jT4_jjP12ihipStream_tbEUlT_E0_NS1_11comp_targetILNS1_3genE4ELNS1_11target_archE910ELNS1_3gpuE8ELNS1_3repE0EEENS1_52radix_sort_onesweep_histogram_config_static_selectorELNS0_4arch9wavefront6targetE1EEEvSC_: ; @_ZN7rocprim17ROCPRIM_400000_NS6detail17trampoline_kernelINS0_14default_configENS1_35radix_sort_onesweep_config_selectorIfNS0_10empty_typeEEEZNS1_34radix_sort_onesweep_global_offsetsIS3_Lb1EPfPS5_mNS0_19identity_decomposerEEE10hipError_tT1_T2_PT3_SE_jT4_jjP12ihipStream_tbEUlT_E0_NS1_11comp_targetILNS1_3genE4ELNS1_11target_archE910ELNS1_3gpuE8ELNS1_3repE0EEENS1_52radix_sort_onesweep_histogram_config_static_selectorELNS0_4arch9wavefront6targetE1EEEvSC_
; %bb.0:
	s_load_dwordx2 s[0:1], s[4:5], 0x0
	s_lshl_b32 s2, s6, 8
	s_mov_b32 s3, 0
	s_lshl_b64 s[2:3], s[2:3], 3
	v_lshlrev_b32_e32 v5, 3, v0
	s_waitcnt lgkmcnt(0)
	s_add_u32 s14, s0, s2
	s_movk_i32 s0, 0x100
	s_addc_u32 s15, s1, s3
	v_cmp_gt_u32_e32 vcc, s0, v0
                                        ; implicit-def: $vgpr2_vgpr3
	s_and_saveexec_b64 s[0:1], vcc
	s_cbranch_execz .LBB2541_2
; %bb.1:
	global_load_dwordx2 v[2:3], v5, s[14:15]
.LBB2541_2:
	s_or_b64 exec, exec, s[0:1]
	s_waitcnt vmcnt(0)
	v_mov_b32_dpp v4, v2 row_shr:1 row_mask:0xf bank_mask:0xf
	v_add_co_u32_e64 v4, s[0:1], v2, v4
	v_mbcnt_lo_u32_b32 v1, -1, 0
	v_addc_co_u32_e64 v8, s[0:1], 0, v3, s[0:1]
	v_mbcnt_hi_u32_b32 v6, -1, v1
	v_mov_b32_dpp v7, v3 row_shr:1 row_mask:0xf bank_mask:0xf
	v_add_co_u32_e64 v9, s[0:1], 0, v4
	v_and_b32_e32 v1, 15, v6
	v_addc_co_u32_e64 v7, s[0:1], v7, v8, s[0:1]
	v_cmp_eq_u32_e64 s[0:1], 0, v1
	v_cndmask_b32_e64 v4, v4, v2, s[0:1]
	v_cndmask_b32_e64 v7, v7, v3, s[0:1]
	v_cndmask_b32_e64 v8, v9, v2, s[0:1]
	v_mov_b32_dpp v9, v4 row_shr:2 row_mask:0xf bank_mask:0xf
	v_mov_b32_dpp v10, v7 row_shr:2 row_mask:0xf bank_mask:0xf
	v_add_co_u32_e64 v9, s[2:3], v9, v8
	v_cmp_lt_u32_e64 s[4:5], 1, v1
	v_addc_co_u32_e64 v10, s[2:3], v10, v7, s[2:3]
	v_cndmask_b32_e64 v4, v4, v9, s[4:5]
	v_cndmask_b32_e64 v7, v7, v10, s[4:5]
	v_cndmask_b32_e64 v8, v8, v9, s[4:5]
	v_mov_b32_dpp v9, v4 row_shr:4 row_mask:0xf bank_mask:0xf
	v_mov_b32_dpp v10, v7 row_shr:4 row_mask:0xf bank_mask:0xf
	v_add_co_u32_e64 v9, s[2:3], v9, v8
	v_cmp_lt_u32_e64 s[6:7], 3, v1
	v_addc_co_u32_e64 v10, s[2:3], v10, v7, s[2:3]
	;; [unrolled: 8-line block ×3, first 2 shown]
	v_cndmask_b32_e64 v11, v4, v9, s[8:9]
	v_cndmask_b32_e64 v1, v7, v10, s[8:9]
	;; [unrolled: 1-line block ×3, first 2 shown]
	v_mov_b32_dpp v7, v11 row_bcast:15 row_mask:0xf bank_mask:0xf
	v_mov_b32_dpp v8, v1 row_bcast:15 row_mask:0xf bank_mask:0xf
	v_and_b32_e32 v10, 16, v6
	v_add_co_u32_e64 v7, s[2:3], v7, v4
	v_addc_co_u32_e64 v9, s[2:3], v8, v1, s[2:3]
	v_cmp_eq_u32_e64 s[10:11], 0, v10
	v_cndmask_b32_e64 v10, v9, v1, s[10:11]
	v_cndmask_b32_e64 v8, v7, v11, s[10:11]
	v_cmp_eq_u32_e64 s[2:3], 0, v6
	v_mov_b32_dpp v10, v10 row_bcast:31 row_mask:0xf bank_mask:0xf
	v_mov_b32_dpp v8, v8 row_bcast:31 row_mask:0xf bank_mask:0xf
	v_cmp_ne_u32_e64 s[12:13], 0, v6
	s_and_saveexec_b64 s[16:17], s[12:13]
; %bb.3:
	v_cndmask_b32_e64 v1, v9, v1, s[10:11]
	v_cndmask_b32_e64 v2, v7, v4, s[10:11]
	v_cmp_lt_u32_e64 s[10:11], 31, v6
	v_cndmask_b32_e64 v4, 0, v8, s[10:11]
	v_cndmask_b32_e64 v3, 0, v10, s[10:11]
	v_add_co_u32_e64 v2, s[10:11], v4, v2
	v_addc_co_u32_e64 v3, s[10:11], v3, v1, s[10:11]
; %bb.4:
	s_or_b64 exec, exec, s[16:17]
	v_and_b32_e32 v1, 63, v0
	v_lshrrev_b32_e32 v4, 6, v0
	v_cmp_eq_u32_e64 s[10:11], 63, v1
	s_and_saveexec_b64 s[12:13], s[10:11]
	s_cbranch_execz .LBB2541_6
; %bb.5:
	v_lshlrev_b32_e32 v1, 3, v4
	ds_write_b64 v1, v[2:3]
.LBB2541_6:
	s_or_b64 exec, exec, s[12:13]
	v_cmp_gt_u32_e64 s[10:11], 16, v0
	s_waitcnt lgkmcnt(0)
	s_barrier
	s_and_saveexec_b64 s[12:13], s[10:11]
	s_cbranch_execz .LBB2541_8
; %bb.7:
	ds_read_b64 v[8:9], v5
	s_waitcnt lgkmcnt(0)
	s_nop 0
	v_mov_b32_dpp v1, v8 row_shr:1 row_mask:0xf bank_mask:0xf
	v_add_co_u32_e64 v1, s[10:11], v8, v1
	v_addc_co_u32_e64 v10, s[10:11], 0, v9, s[10:11]
	v_mov_b32_dpp v7, v9 row_shr:1 row_mask:0xf bank_mask:0xf
	v_add_co_u32_e64 v11, s[10:11], 0, v1
	v_addc_co_u32_e64 v7, s[10:11], v7, v10, s[10:11]
	v_cndmask_b32_e64 v1, v1, v8, s[0:1]
	v_cndmask_b32_e64 v7, v7, v9, s[0:1]
	v_cndmask_b32_e64 v10, v11, v8, s[0:1]
	v_mov_b32_dpp v11, v1 row_shr:2 row_mask:0xf bank_mask:0xf
	v_mov_b32_dpp v12, v7 row_shr:2 row_mask:0xf bank_mask:0xf
	v_add_co_u32_e64 v11, s[10:11], v11, v10
	v_addc_co_u32_e64 v12, s[10:11], v12, v7, s[10:11]
	v_cndmask_b32_e64 v1, v1, v11, s[4:5]
	v_cndmask_b32_e64 v7, v7, v12, s[4:5]
	v_cndmask_b32_e64 v10, v10, v11, s[4:5]
	v_mov_b32_dpp v11, v1 row_shr:4 row_mask:0xf bank_mask:0xf
	;; [unrolled: 7-line block ×3, first 2 shown]
	v_mov_b32_dpp v12, v7 row_shr:8 row_mask:0xf bank_mask:0xf
	v_cndmask_b32_e64 v1, 0, v1, s[8:9]
	v_cndmask_b32_e64 v11, 0, v12, s[8:9]
	v_add_co_u32_e64 v1, s[4:5], v1, v10
	v_addc_co_u32_e64 v7, s[4:5], v11, v7, s[4:5]
	v_cndmask_b32_e64 v9, v7, v9, s[0:1]
	v_cndmask_b32_e64 v8, v1, v8, s[0:1]
	ds_write_b64 v5, v[8:9]
.LBB2541_8:
	s_or_b64 exec, exec, s[12:13]
	v_cmp_lt_u32_e64 s[0:1], 63, v0
	v_pk_mov_b32 v[0:1], 0, 0
	s_waitcnt lgkmcnt(0)
	s_barrier
	s_and_saveexec_b64 s[4:5], s[0:1]
	s_cbranch_execz .LBB2541_10
; %bb.9:
	v_lshl_add_u32 v0, v4, 3, -8
	ds_read_b64 v[0:1], v0
.LBB2541_10:
	s_or_b64 exec, exec, s[4:5]
	s_waitcnt lgkmcnt(0)
	v_add_co_u32_e64 v2, s[0:1], v0, v2
	v_addc_co_u32_e64 v3, s[0:1], v1, v3, s[0:1]
	v_add_u32_e32 v4, -1, v6
	v_and_b32_e32 v7, 64, v6
	v_cmp_lt_i32_e64 s[0:1], v4, v7
	v_cndmask_b32_e64 v4, v4, v6, s[0:1]
	v_lshlrev_b32_e32 v4, 2, v4
	ds_bpermute_b32 v2, v4, v2
	ds_bpermute_b32 v3, v4, v3
	s_and_saveexec_b64 s[0:1], vcc
	s_cbranch_execz .LBB2541_12
; %bb.11:
	s_waitcnt lgkmcnt(0)
	v_cndmask_b32_e64 v1, v3, v1, s[2:3]
	v_cndmask_b32_e64 v0, v2, v0, s[2:3]
	global_store_dwordx2 v5, v[0:1], s[14:15]
.LBB2541_12:
	s_endpgm
	.section	.rodata,"a",@progbits
	.p2align	6, 0x0
	.amdhsa_kernel _ZN7rocprim17ROCPRIM_400000_NS6detail17trampoline_kernelINS0_14default_configENS1_35radix_sort_onesweep_config_selectorIfNS0_10empty_typeEEEZNS1_34radix_sort_onesweep_global_offsetsIS3_Lb1EPfPS5_mNS0_19identity_decomposerEEE10hipError_tT1_T2_PT3_SE_jT4_jjP12ihipStream_tbEUlT_E0_NS1_11comp_targetILNS1_3genE4ELNS1_11target_archE910ELNS1_3gpuE8ELNS1_3repE0EEENS1_52radix_sort_onesweep_histogram_config_static_selectorELNS0_4arch9wavefront6targetE1EEEvSC_
		.amdhsa_group_segment_fixed_size 128
		.amdhsa_private_segment_fixed_size 0
		.amdhsa_kernarg_size 8
		.amdhsa_user_sgpr_count 6
		.amdhsa_user_sgpr_private_segment_buffer 1
		.amdhsa_user_sgpr_dispatch_ptr 0
		.amdhsa_user_sgpr_queue_ptr 0
		.amdhsa_user_sgpr_kernarg_segment_ptr 1
		.amdhsa_user_sgpr_dispatch_id 0
		.amdhsa_user_sgpr_flat_scratch_init 0
		.amdhsa_user_sgpr_kernarg_preload_length 0
		.amdhsa_user_sgpr_kernarg_preload_offset 0
		.amdhsa_user_sgpr_private_segment_size 0
		.amdhsa_uses_dynamic_stack 0
		.amdhsa_system_sgpr_private_segment_wavefront_offset 0
		.amdhsa_system_sgpr_workgroup_id_x 1
		.amdhsa_system_sgpr_workgroup_id_y 0
		.amdhsa_system_sgpr_workgroup_id_z 0
		.amdhsa_system_sgpr_workgroup_info 0
		.amdhsa_system_vgpr_workitem_id 0
		.amdhsa_next_free_vgpr 13
		.amdhsa_next_free_sgpr 18
		.amdhsa_accum_offset 16
		.amdhsa_reserve_vcc 1
		.amdhsa_reserve_flat_scratch 0
		.amdhsa_float_round_mode_32 0
		.amdhsa_float_round_mode_16_64 0
		.amdhsa_float_denorm_mode_32 3
		.amdhsa_float_denorm_mode_16_64 3
		.amdhsa_dx10_clamp 1
		.amdhsa_ieee_mode 1
		.amdhsa_fp16_overflow 0
		.amdhsa_tg_split 0
		.amdhsa_exception_fp_ieee_invalid_op 0
		.amdhsa_exception_fp_denorm_src 0
		.amdhsa_exception_fp_ieee_div_zero 0
		.amdhsa_exception_fp_ieee_overflow 0
		.amdhsa_exception_fp_ieee_underflow 0
		.amdhsa_exception_fp_ieee_inexact 0
		.amdhsa_exception_int_div_zero 0
	.end_amdhsa_kernel
	.section	.text._ZN7rocprim17ROCPRIM_400000_NS6detail17trampoline_kernelINS0_14default_configENS1_35radix_sort_onesweep_config_selectorIfNS0_10empty_typeEEEZNS1_34radix_sort_onesweep_global_offsetsIS3_Lb1EPfPS5_mNS0_19identity_decomposerEEE10hipError_tT1_T2_PT3_SE_jT4_jjP12ihipStream_tbEUlT_E0_NS1_11comp_targetILNS1_3genE4ELNS1_11target_archE910ELNS1_3gpuE8ELNS1_3repE0EEENS1_52radix_sort_onesweep_histogram_config_static_selectorELNS0_4arch9wavefront6targetE1EEEvSC_,"axG",@progbits,_ZN7rocprim17ROCPRIM_400000_NS6detail17trampoline_kernelINS0_14default_configENS1_35radix_sort_onesweep_config_selectorIfNS0_10empty_typeEEEZNS1_34radix_sort_onesweep_global_offsetsIS3_Lb1EPfPS5_mNS0_19identity_decomposerEEE10hipError_tT1_T2_PT3_SE_jT4_jjP12ihipStream_tbEUlT_E0_NS1_11comp_targetILNS1_3genE4ELNS1_11target_archE910ELNS1_3gpuE8ELNS1_3repE0EEENS1_52radix_sort_onesweep_histogram_config_static_selectorELNS0_4arch9wavefront6targetE1EEEvSC_,comdat
.Lfunc_end2541:
	.size	_ZN7rocprim17ROCPRIM_400000_NS6detail17trampoline_kernelINS0_14default_configENS1_35radix_sort_onesweep_config_selectorIfNS0_10empty_typeEEEZNS1_34radix_sort_onesweep_global_offsetsIS3_Lb1EPfPS5_mNS0_19identity_decomposerEEE10hipError_tT1_T2_PT3_SE_jT4_jjP12ihipStream_tbEUlT_E0_NS1_11comp_targetILNS1_3genE4ELNS1_11target_archE910ELNS1_3gpuE8ELNS1_3repE0EEENS1_52radix_sort_onesweep_histogram_config_static_selectorELNS0_4arch9wavefront6targetE1EEEvSC_, .Lfunc_end2541-_ZN7rocprim17ROCPRIM_400000_NS6detail17trampoline_kernelINS0_14default_configENS1_35radix_sort_onesweep_config_selectorIfNS0_10empty_typeEEEZNS1_34radix_sort_onesweep_global_offsetsIS3_Lb1EPfPS5_mNS0_19identity_decomposerEEE10hipError_tT1_T2_PT3_SE_jT4_jjP12ihipStream_tbEUlT_E0_NS1_11comp_targetILNS1_3genE4ELNS1_11target_archE910ELNS1_3gpuE8ELNS1_3repE0EEENS1_52radix_sort_onesweep_histogram_config_static_selectorELNS0_4arch9wavefront6targetE1EEEvSC_
                                        ; -- End function
	.section	.AMDGPU.csdata,"",@progbits
; Kernel info:
; codeLenInByte = 1012
; NumSgprs: 22
; NumVgprs: 13
; NumAgprs: 0
; TotalNumVgprs: 13
; ScratchSize: 0
; MemoryBound: 0
; FloatMode: 240
; IeeeMode: 1
; LDSByteSize: 128 bytes/workgroup (compile time only)
; SGPRBlocks: 2
; VGPRBlocks: 1
; NumSGPRsForWavesPerEU: 22
; NumVGPRsForWavesPerEU: 13
; AccumOffset: 16
; Occupancy: 8
; WaveLimiterHint : 0
; COMPUTE_PGM_RSRC2:SCRATCH_EN: 0
; COMPUTE_PGM_RSRC2:USER_SGPR: 6
; COMPUTE_PGM_RSRC2:TRAP_HANDLER: 0
; COMPUTE_PGM_RSRC2:TGID_X_EN: 1
; COMPUTE_PGM_RSRC2:TGID_Y_EN: 0
; COMPUTE_PGM_RSRC2:TGID_Z_EN: 0
; COMPUTE_PGM_RSRC2:TIDIG_COMP_CNT: 0
; COMPUTE_PGM_RSRC3_GFX90A:ACCUM_OFFSET: 3
; COMPUTE_PGM_RSRC3_GFX90A:TG_SPLIT: 0
	.section	.text._ZN7rocprim17ROCPRIM_400000_NS6detail17trampoline_kernelINS0_14default_configENS1_35radix_sort_onesweep_config_selectorIfNS0_10empty_typeEEEZNS1_34radix_sort_onesweep_global_offsetsIS3_Lb1EPfPS5_mNS0_19identity_decomposerEEE10hipError_tT1_T2_PT3_SE_jT4_jjP12ihipStream_tbEUlT_E0_NS1_11comp_targetILNS1_3genE3ELNS1_11target_archE908ELNS1_3gpuE7ELNS1_3repE0EEENS1_52radix_sort_onesweep_histogram_config_static_selectorELNS0_4arch9wavefront6targetE1EEEvSC_,"axG",@progbits,_ZN7rocprim17ROCPRIM_400000_NS6detail17trampoline_kernelINS0_14default_configENS1_35radix_sort_onesweep_config_selectorIfNS0_10empty_typeEEEZNS1_34radix_sort_onesweep_global_offsetsIS3_Lb1EPfPS5_mNS0_19identity_decomposerEEE10hipError_tT1_T2_PT3_SE_jT4_jjP12ihipStream_tbEUlT_E0_NS1_11comp_targetILNS1_3genE3ELNS1_11target_archE908ELNS1_3gpuE7ELNS1_3repE0EEENS1_52radix_sort_onesweep_histogram_config_static_selectorELNS0_4arch9wavefront6targetE1EEEvSC_,comdat
	.protected	_ZN7rocprim17ROCPRIM_400000_NS6detail17trampoline_kernelINS0_14default_configENS1_35radix_sort_onesweep_config_selectorIfNS0_10empty_typeEEEZNS1_34radix_sort_onesweep_global_offsetsIS3_Lb1EPfPS5_mNS0_19identity_decomposerEEE10hipError_tT1_T2_PT3_SE_jT4_jjP12ihipStream_tbEUlT_E0_NS1_11comp_targetILNS1_3genE3ELNS1_11target_archE908ELNS1_3gpuE7ELNS1_3repE0EEENS1_52radix_sort_onesweep_histogram_config_static_selectorELNS0_4arch9wavefront6targetE1EEEvSC_ ; -- Begin function _ZN7rocprim17ROCPRIM_400000_NS6detail17trampoline_kernelINS0_14default_configENS1_35radix_sort_onesweep_config_selectorIfNS0_10empty_typeEEEZNS1_34radix_sort_onesweep_global_offsetsIS3_Lb1EPfPS5_mNS0_19identity_decomposerEEE10hipError_tT1_T2_PT3_SE_jT4_jjP12ihipStream_tbEUlT_E0_NS1_11comp_targetILNS1_3genE3ELNS1_11target_archE908ELNS1_3gpuE7ELNS1_3repE0EEENS1_52radix_sort_onesweep_histogram_config_static_selectorELNS0_4arch9wavefront6targetE1EEEvSC_
	.globl	_ZN7rocprim17ROCPRIM_400000_NS6detail17trampoline_kernelINS0_14default_configENS1_35radix_sort_onesweep_config_selectorIfNS0_10empty_typeEEEZNS1_34radix_sort_onesweep_global_offsetsIS3_Lb1EPfPS5_mNS0_19identity_decomposerEEE10hipError_tT1_T2_PT3_SE_jT4_jjP12ihipStream_tbEUlT_E0_NS1_11comp_targetILNS1_3genE3ELNS1_11target_archE908ELNS1_3gpuE7ELNS1_3repE0EEENS1_52radix_sort_onesweep_histogram_config_static_selectorELNS0_4arch9wavefront6targetE1EEEvSC_
	.p2align	8
	.type	_ZN7rocprim17ROCPRIM_400000_NS6detail17trampoline_kernelINS0_14default_configENS1_35radix_sort_onesweep_config_selectorIfNS0_10empty_typeEEEZNS1_34radix_sort_onesweep_global_offsetsIS3_Lb1EPfPS5_mNS0_19identity_decomposerEEE10hipError_tT1_T2_PT3_SE_jT4_jjP12ihipStream_tbEUlT_E0_NS1_11comp_targetILNS1_3genE3ELNS1_11target_archE908ELNS1_3gpuE7ELNS1_3repE0EEENS1_52radix_sort_onesweep_histogram_config_static_selectorELNS0_4arch9wavefront6targetE1EEEvSC_,@function
_ZN7rocprim17ROCPRIM_400000_NS6detail17trampoline_kernelINS0_14default_configENS1_35radix_sort_onesweep_config_selectorIfNS0_10empty_typeEEEZNS1_34radix_sort_onesweep_global_offsetsIS3_Lb1EPfPS5_mNS0_19identity_decomposerEEE10hipError_tT1_T2_PT3_SE_jT4_jjP12ihipStream_tbEUlT_E0_NS1_11comp_targetILNS1_3genE3ELNS1_11target_archE908ELNS1_3gpuE7ELNS1_3repE0EEENS1_52radix_sort_onesweep_histogram_config_static_selectorELNS0_4arch9wavefront6targetE1EEEvSC_: ; @_ZN7rocprim17ROCPRIM_400000_NS6detail17trampoline_kernelINS0_14default_configENS1_35radix_sort_onesweep_config_selectorIfNS0_10empty_typeEEEZNS1_34radix_sort_onesweep_global_offsetsIS3_Lb1EPfPS5_mNS0_19identity_decomposerEEE10hipError_tT1_T2_PT3_SE_jT4_jjP12ihipStream_tbEUlT_E0_NS1_11comp_targetILNS1_3genE3ELNS1_11target_archE908ELNS1_3gpuE7ELNS1_3repE0EEENS1_52radix_sort_onesweep_histogram_config_static_selectorELNS0_4arch9wavefront6targetE1EEEvSC_
; %bb.0:
	.section	.rodata,"a",@progbits
	.p2align	6, 0x0
	.amdhsa_kernel _ZN7rocprim17ROCPRIM_400000_NS6detail17trampoline_kernelINS0_14default_configENS1_35radix_sort_onesweep_config_selectorIfNS0_10empty_typeEEEZNS1_34radix_sort_onesweep_global_offsetsIS3_Lb1EPfPS5_mNS0_19identity_decomposerEEE10hipError_tT1_T2_PT3_SE_jT4_jjP12ihipStream_tbEUlT_E0_NS1_11comp_targetILNS1_3genE3ELNS1_11target_archE908ELNS1_3gpuE7ELNS1_3repE0EEENS1_52radix_sort_onesweep_histogram_config_static_selectorELNS0_4arch9wavefront6targetE1EEEvSC_
		.amdhsa_group_segment_fixed_size 0
		.amdhsa_private_segment_fixed_size 0
		.amdhsa_kernarg_size 8
		.amdhsa_user_sgpr_count 6
		.amdhsa_user_sgpr_private_segment_buffer 1
		.amdhsa_user_sgpr_dispatch_ptr 0
		.amdhsa_user_sgpr_queue_ptr 0
		.amdhsa_user_sgpr_kernarg_segment_ptr 1
		.amdhsa_user_sgpr_dispatch_id 0
		.amdhsa_user_sgpr_flat_scratch_init 0
		.amdhsa_user_sgpr_kernarg_preload_length 0
		.amdhsa_user_sgpr_kernarg_preload_offset 0
		.amdhsa_user_sgpr_private_segment_size 0
		.amdhsa_uses_dynamic_stack 0
		.amdhsa_system_sgpr_private_segment_wavefront_offset 0
		.amdhsa_system_sgpr_workgroup_id_x 1
		.amdhsa_system_sgpr_workgroup_id_y 0
		.amdhsa_system_sgpr_workgroup_id_z 0
		.amdhsa_system_sgpr_workgroup_info 0
		.amdhsa_system_vgpr_workitem_id 0
		.amdhsa_next_free_vgpr 1
		.amdhsa_next_free_sgpr 0
		.amdhsa_accum_offset 4
		.amdhsa_reserve_vcc 0
		.amdhsa_reserve_flat_scratch 0
		.amdhsa_float_round_mode_32 0
		.amdhsa_float_round_mode_16_64 0
		.amdhsa_float_denorm_mode_32 3
		.amdhsa_float_denorm_mode_16_64 3
		.amdhsa_dx10_clamp 1
		.amdhsa_ieee_mode 1
		.amdhsa_fp16_overflow 0
		.amdhsa_tg_split 0
		.amdhsa_exception_fp_ieee_invalid_op 0
		.amdhsa_exception_fp_denorm_src 0
		.amdhsa_exception_fp_ieee_div_zero 0
		.amdhsa_exception_fp_ieee_overflow 0
		.amdhsa_exception_fp_ieee_underflow 0
		.amdhsa_exception_fp_ieee_inexact 0
		.amdhsa_exception_int_div_zero 0
	.end_amdhsa_kernel
	.section	.text._ZN7rocprim17ROCPRIM_400000_NS6detail17trampoline_kernelINS0_14default_configENS1_35radix_sort_onesweep_config_selectorIfNS0_10empty_typeEEEZNS1_34radix_sort_onesweep_global_offsetsIS3_Lb1EPfPS5_mNS0_19identity_decomposerEEE10hipError_tT1_T2_PT3_SE_jT4_jjP12ihipStream_tbEUlT_E0_NS1_11comp_targetILNS1_3genE3ELNS1_11target_archE908ELNS1_3gpuE7ELNS1_3repE0EEENS1_52radix_sort_onesweep_histogram_config_static_selectorELNS0_4arch9wavefront6targetE1EEEvSC_,"axG",@progbits,_ZN7rocprim17ROCPRIM_400000_NS6detail17trampoline_kernelINS0_14default_configENS1_35radix_sort_onesweep_config_selectorIfNS0_10empty_typeEEEZNS1_34radix_sort_onesweep_global_offsetsIS3_Lb1EPfPS5_mNS0_19identity_decomposerEEE10hipError_tT1_T2_PT3_SE_jT4_jjP12ihipStream_tbEUlT_E0_NS1_11comp_targetILNS1_3genE3ELNS1_11target_archE908ELNS1_3gpuE7ELNS1_3repE0EEENS1_52radix_sort_onesweep_histogram_config_static_selectorELNS0_4arch9wavefront6targetE1EEEvSC_,comdat
.Lfunc_end2542:
	.size	_ZN7rocprim17ROCPRIM_400000_NS6detail17trampoline_kernelINS0_14default_configENS1_35radix_sort_onesweep_config_selectorIfNS0_10empty_typeEEEZNS1_34radix_sort_onesweep_global_offsetsIS3_Lb1EPfPS5_mNS0_19identity_decomposerEEE10hipError_tT1_T2_PT3_SE_jT4_jjP12ihipStream_tbEUlT_E0_NS1_11comp_targetILNS1_3genE3ELNS1_11target_archE908ELNS1_3gpuE7ELNS1_3repE0EEENS1_52radix_sort_onesweep_histogram_config_static_selectorELNS0_4arch9wavefront6targetE1EEEvSC_, .Lfunc_end2542-_ZN7rocprim17ROCPRIM_400000_NS6detail17trampoline_kernelINS0_14default_configENS1_35radix_sort_onesweep_config_selectorIfNS0_10empty_typeEEEZNS1_34radix_sort_onesweep_global_offsetsIS3_Lb1EPfPS5_mNS0_19identity_decomposerEEE10hipError_tT1_T2_PT3_SE_jT4_jjP12ihipStream_tbEUlT_E0_NS1_11comp_targetILNS1_3genE3ELNS1_11target_archE908ELNS1_3gpuE7ELNS1_3repE0EEENS1_52radix_sort_onesweep_histogram_config_static_selectorELNS0_4arch9wavefront6targetE1EEEvSC_
                                        ; -- End function
	.section	.AMDGPU.csdata,"",@progbits
; Kernel info:
; codeLenInByte = 0
; NumSgprs: 4
; NumVgprs: 0
; NumAgprs: 0
; TotalNumVgprs: 0
; ScratchSize: 0
; MemoryBound: 0
; FloatMode: 240
; IeeeMode: 1
; LDSByteSize: 0 bytes/workgroup (compile time only)
; SGPRBlocks: 0
; VGPRBlocks: 0
; NumSGPRsForWavesPerEU: 4
; NumVGPRsForWavesPerEU: 1
; AccumOffset: 4
; Occupancy: 8
; WaveLimiterHint : 0
; COMPUTE_PGM_RSRC2:SCRATCH_EN: 0
; COMPUTE_PGM_RSRC2:USER_SGPR: 6
; COMPUTE_PGM_RSRC2:TRAP_HANDLER: 0
; COMPUTE_PGM_RSRC2:TGID_X_EN: 1
; COMPUTE_PGM_RSRC2:TGID_Y_EN: 0
; COMPUTE_PGM_RSRC2:TGID_Z_EN: 0
; COMPUTE_PGM_RSRC2:TIDIG_COMP_CNT: 0
; COMPUTE_PGM_RSRC3_GFX90A:ACCUM_OFFSET: 0
; COMPUTE_PGM_RSRC3_GFX90A:TG_SPLIT: 0
	.section	.text._ZN7rocprim17ROCPRIM_400000_NS6detail17trampoline_kernelINS0_14default_configENS1_35radix_sort_onesweep_config_selectorIfNS0_10empty_typeEEEZNS1_34radix_sort_onesweep_global_offsetsIS3_Lb1EPfPS5_mNS0_19identity_decomposerEEE10hipError_tT1_T2_PT3_SE_jT4_jjP12ihipStream_tbEUlT_E0_NS1_11comp_targetILNS1_3genE10ELNS1_11target_archE1201ELNS1_3gpuE5ELNS1_3repE0EEENS1_52radix_sort_onesweep_histogram_config_static_selectorELNS0_4arch9wavefront6targetE1EEEvSC_,"axG",@progbits,_ZN7rocprim17ROCPRIM_400000_NS6detail17trampoline_kernelINS0_14default_configENS1_35radix_sort_onesweep_config_selectorIfNS0_10empty_typeEEEZNS1_34radix_sort_onesweep_global_offsetsIS3_Lb1EPfPS5_mNS0_19identity_decomposerEEE10hipError_tT1_T2_PT3_SE_jT4_jjP12ihipStream_tbEUlT_E0_NS1_11comp_targetILNS1_3genE10ELNS1_11target_archE1201ELNS1_3gpuE5ELNS1_3repE0EEENS1_52radix_sort_onesweep_histogram_config_static_selectorELNS0_4arch9wavefront6targetE1EEEvSC_,comdat
	.protected	_ZN7rocprim17ROCPRIM_400000_NS6detail17trampoline_kernelINS0_14default_configENS1_35radix_sort_onesweep_config_selectorIfNS0_10empty_typeEEEZNS1_34radix_sort_onesweep_global_offsetsIS3_Lb1EPfPS5_mNS0_19identity_decomposerEEE10hipError_tT1_T2_PT3_SE_jT4_jjP12ihipStream_tbEUlT_E0_NS1_11comp_targetILNS1_3genE10ELNS1_11target_archE1201ELNS1_3gpuE5ELNS1_3repE0EEENS1_52radix_sort_onesweep_histogram_config_static_selectorELNS0_4arch9wavefront6targetE1EEEvSC_ ; -- Begin function _ZN7rocprim17ROCPRIM_400000_NS6detail17trampoline_kernelINS0_14default_configENS1_35radix_sort_onesweep_config_selectorIfNS0_10empty_typeEEEZNS1_34radix_sort_onesweep_global_offsetsIS3_Lb1EPfPS5_mNS0_19identity_decomposerEEE10hipError_tT1_T2_PT3_SE_jT4_jjP12ihipStream_tbEUlT_E0_NS1_11comp_targetILNS1_3genE10ELNS1_11target_archE1201ELNS1_3gpuE5ELNS1_3repE0EEENS1_52radix_sort_onesweep_histogram_config_static_selectorELNS0_4arch9wavefront6targetE1EEEvSC_
	.globl	_ZN7rocprim17ROCPRIM_400000_NS6detail17trampoline_kernelINS0_14default_configENS1_35radix_sort_onesweep_config_selectorIfNS0_10empty_typeEEEZNS1_34radix_sort_onesweep_global_offsetsIS3_Lb1EPfPS5_mNS0_19identity_decomposerEEE10hipError_tT1_T2_PT3_SE_jT4_jjP12ihipStream_tbEUlT_E0_NS1_11comp_targetILNS1_3genE10ELNS1_11target_archE1201ELNS1_3gpuE5ELNS1_3repE0EEENS1_52radix_sort_onesweep_histogram_config_static_selectorELNS0_4arch9wavefront6targetE1EEEvSC_
	.p2align	8
	.type	_ZN7rocprim17ROCPRIM_400000_NS6detail17trampoline_kernelINS0_14default_configENS1_35radix_sort_onesweep_config_selectorIfNS0_10empty_typeEEEZNS1_34radix_sort_onesweep_global_offsetsIS3_Lb1EPfPS5_mNS0_19identity_decomposerEEE10hipError_tT1_T2_PT3_SE_jT4_jjP12ihipStream_tbEUlT_E0_NS1_11comp_targetILNS1_3genE10ELNS1_11target_archE1201ELNS1_3gpuE5ELNS1_3repE0EEENS1_52radix_sort_onesweep_histogram_config_static_selectorELNS0_4arch9wavefront6targetE1EEEvSC_,@function
_ZN7rocprim17ROCPRIM_400000_NS6detail17trampoline_kernelINS0_14default_configENS1_35radix_sort_onesweep_config_selectorIfNS0_10empty_typeEEEZNS1_34radix_sort_onesweep_global_offsetsIS3_Lb1EPfPS5_mNS0_19identity_decomposerEEE10hipError_tT1_T2_PT3_SE_jT4_jjP12ihipStream_tbEUlT_E0_NS1_11comp_targetILNS1_3genE10ELNS1_11target_archE1201ELNS1_3gpuE5ELNS1_3repE0EEENS1_52radix_sort_onesweep_histogram_config_static_selectorELNS0_4arch9wavefront6targetE1EEEvSC_: ; @_ZN7rocprim17ROCPRIM_400000_NS6detail17trampoline_kernelINS0_14default_configENS1_35radix_sort_onesweep_config_selectorIfNS0_10empty_typeEEEZNS1_34radix_sort_onesweep_global_offsetsIS3_Lb1EPfPS5_mNS0_19identity_decomposerEEE10hipError_tT1_T2_PT3_SE_jT4_jjP12ihipStream_tbEUlT_E0_NS1_11comp_targetILNS1_3genE10ELNS1_11target_archE1201ELNS1_3gpuE5ELNS1_3repE0EEENS1_52radix_sort_onesweep_histogram_config_static_selectorELNS0_4arch9wavefront6targetE1EEEvSC_
; %bb.0:
	.section	.rodata,"a",@progbits
	.p2align	6, 0x0
	.amdhsa_kernel _ZN7rocprim17ROCPRIM_400000_NS6detail17trampoline_kernelINS0_14default_configENS1_35radix_sort_onesweep_config_selectorIfNS0_10empty_typeEEEZNS1_34radix_sort_onesweep_global_offsetsIS3_Lb1EPfPS5_mNS0_19identity_decomposerEEE10hipError_tT1_T2_PT3_SE_jT4_jjP12ihipStream_tbEUlT_E0_NS1_11comp_targetILNS1_3genE10ELNS1_11target_archE1201ELNS1_3gpuE5ELNS1_3repE0EEENS1_52radix_sort_onesweep_histogram_config_static_selectorELNS0_4arch9wavefront6targetE1EEEvSC_
		.amdhsa_group_segment_fixed_size 0
		.amdhsa_private_segment_fixed_size 0
		.amdhsa_kernarg_size 8
		.amdhsa_user_sgpr_count 6
		.amdhsa_user_sgpr_private_segment_buffer 1
		.amdhsa_user_sgpr_dispatch_ptr 0
		.amdhsa_user_sgpr_queue_ptr 0
		.amdhsa_user_sgpr_kernarg_segment_ptr 1
		.amdhsa_user_sgpr_dispatch_id 0
		.amdhsa_user_sgpr_flat_scratch_init 0
		.amdhsa_user_sgpr_kernarg_preload_length 0
		.amdhsa_user_sgpr_kernarg_preload_offset 0
		.amdhsa_user_sgpr_private_segment_size 0
		.amdhsa_uses_dynamic_stack 0
		.amdhsa_system_sgpr_private_segment_wavefront_offset 0
		.amdhsa_system_sgpr_workgroup_id_x 1
		.amdhsa_system_sgpr_workgroup_id_y 0
		.amdhsa_system_sgpr_workgroup_id_z 0
		.amdhsa_system_sgpr_workgroup_info 0
		.amdhsa_system_vgpr_workitem_id 0
		.amdhsa_next_free_vgpr 1
		.amdhsa_next_free_sgpr 0
		.amdhsa_accum_offset 4
		.amdhsa_reserve_vcc 0
		.amdhsa_reserve_flat_scratch 0
		.amdhsa_float_round_mode_32 0
		.amdhsa_float_round_mode_16_64 0
		.amdhsa_float_denorm_mode_32 3
		.amdhsa_float_denorm_mode_16_64 3
		.amdhsa_dx10_clamp 1
		.amdhsa_ieee_mode 1
		.amdhsa_fp16_overflow 0
		.amdhsa_tg_split 0
		.amdhsa_exception_fp_ieee_invalid_op 0
		.amdhsa_exception_fp_denorm_src 0
		.amdhsa_exception_fp_ieee_div_zero 0
		.amdhsa_exception_fp_ieee_overflow 0
		.amdhsa_exception_fp_ieee_underflow 0
		.amdhsa_exception_fp_ieee_inexact 0
		.amdhsa_exception_int_div_zero 0
	.end_amdhsa_kernel
	.section	.text._ZN7rocprim17ROCPRIM_400000_NS6detail17trampoline_kernelINS0_14default_configENS1_35radix_sort_onesweep_config_selectorIfNS0_10empty_typeEEEZNS1_34radix_sort_onesweep_global_offsetsIS3_Lb1EPfPS5_mNS0_19identity_decomposerEEE10hipError_tT1_T2_PT3_SE_jT4_jjP12ihipStream_tbEUlT_E0_NS1_11comp_targetILNS1_3genE10ELNS1_11target_archE1201ELNS1_3gpuE5ELNS1_3repE0EEENS1_52radix_sort_onesweep_histogram_config_static_selectorELNS0_4arch9wavefront6targetE1EEEvSC_,"axG",@progbits,_ZN7rocprim17ROCPRIM_400000_NS6detail17trampoline_kernelINS0_14default_configENS1_35radix_sort_onesweep_config_selectorIfNS0_10empty_typeEEEZNS1_34radix_sort_onesweep_global_offsetsIS3_Lb1EPfPS5_mNS0_19identity_decomposerEEE10hipError_tT1_T2_PT3_SE_jT4_jjP12ihipStream_tbEUlT_E0_NS1_11comp_targetILNS1_3genE10ELNS1_11target_archE1201ELNS1_3gpuE5ELNS1_3repE0EEENS1_52radix_sort_onesweep_histogram_config_static_selectorELNS0_4arch9wavefront6targetE1EEEvSC_,comdat
.Lfunc_end2543:
	.size	_ZN7rocprim17ROCPRIM_400000_NS6detail17trampoline_kernelINS0_14default_configENS1_35radix_sort_onesweep_config_selectorIfNS0_10empty_typeEEEZNS1_34radix_sort_onesweep_global_offsetsIS3_Lb1EPfPS5_mNS0_19identity_decomposerEEE10hipError_tT1_T2_PT3_SE_jT4_jjP12ihipStream_tbEUlT_E0_NS1_11comp_targetILNS1_3genE10ELNS1_11target_archE1201ELNS1_3gpuE5ELNS1_3repE0EEENS1_52radix_sort_onesweep_histogram_config_static_selectorELNS0_4arch9wavefront6targetE1EEEvSC_, .Lfunc_end2543-_ZN7rocprim17ROCPRIM_400000_NS6detail17trampoline_kernelINS0_14default_configENS1_35radix_sort_onesweep_config_selectorIfNS0_10empty_typeEEEZNS1_34radix_sort_onesweep_global_offsetsIS3_Lb1EPfPS5_mNS0_19identity_decomposerEEE10hipError_tT1_T2_PT3_SE_jT4_jjP12ihipStream_tbEUlT_E0_NS1_11comp_targetILNS1_3genE10ELNS1_11target_archE1201ELNS1_3gpuE5ELNS1_3repE0EEENS1_52radix_sort_onesweep_histogram_config_static_selectorELNS0_4arch9wavefront6targetE1EEEvSC_
                                        ; -- End function
	.section	.AMDGPU.csdata,"",@progbits
; Kernel info:
; codeLenInByte = 0
; NumSgprs: 4
; NumVgprs: 0
; NumAgprs: 0
; TotalNumVgprs: 0
; ScratchSize: 0
; MemoryBound: 0
; FloatMode: 240
; IeeeMode: 1
; LDSByteSize: 0 bytes/workgroup (compile time only)
; SGPRBlocks: 0
; VGPRBlocks: 0
; NumSGPRsForWavesPerEU: 4
; NumVGPRsForWavesPerEU: 1
; AccumOffset: 4
; Occupancy: 8
; WaveLimiterHint : 0
; COMPUTE_PGM_RSRC2:SCRATCH_EN: 0
; COMPUTE_PGM_RSRC2:USER_SGPR: 6
; COMPUTE_PGM_RSRC2:TRAP_HANDLER: 0
; COMPUTE_PGM_RSRC2:TGID_X_EN: 1
; COMPUTE_PGM_RSRC2:TGID_Y_EN: 0
; COMPUTE_PGM_RSRC2:TGID_Z_EN: 0
; COMPUTE_PGM_RSRC2:TIDIG_COMP_CNT: 0
; COMPUTE_PGM_RSRC3_GFX90A:ACCUM_OFFSET: 0
; COMPUTE_PGM_RSRC3_GFX90A:TG_SPLIT: 0
	.section	.text._ZN7rocprim17ROCPRIM_400000_NS6detail17trampoline_kernelINS0_14default_configENS1_35radix_sort_onesweep_config_selectorIfNS0_10empty_typeEEEZNS1_34radix_sort_onesweep_global_offsetsIS3_Lb1EPfPS5_mNS0_19identity_decomposerEEE10hipError_tT1_T2_PT3_SE_jT4_jjP12ihipStream_tbEUlT_E0_NS1_11comp_targetILNS1_3genE9ELNS1_11target_archE1100ELNS1_3gpuE3ELNS1_3repE0EEENS1_52radix_sort_onesweep_histogram_config_static_selectorELNS0_4arch9wavefront6targetE1EEEvSC_,"axG",@progbits,_ZN7rocprim17ROCPRIM_400000_NS6detail17trampoline_kernelINS0_14default_configENS1_35radix_sort_onesweep_config_selectorIfNS0_10empty_typeEEEZNS1_34radix_sort_onesweep_global_offsetsIS3_Lb1EPfPS5_mNS0_19identity_decomposerEEE10hipError_tT1_T2_PT3_SE_jT4_jjP12ihipStream_tbEUlT_E0_NS1_11comp_targetILNS1_3genE9ELNS1_11target_archE1100ELNS1_3gpuE3ELNS1_3repE0EEENS1_52radix_sort_onesweep_histogram_config_static_selectorELNS0_4arch9wavefront6targetE1EEEvSC_,comdat
	.protected	_ZN7rocprim17ROCPRIM_400000_NS6detail17trampoline_kernelINS0_14default_configENS1_35radix_sort_onesweep_config_selectorIfNS0_10empty_typeEEEZNS1_34radix_sort_onesweep_global_offsetsIS3_Lb1EPfPS5_mNS0_19identity_decomposerEEE10hipError_tT1_T2_PT3_SE_jT4_jjP12ihipStream_tbEUlT_E0_NS1_11comp_targetILNS1_3genE9ELNS1_11target_archE1100ELNS1_3gpuE3ELNS1_3repE0EEENS1_52radix_sort_onesweep_histogram_config_static_selectorELNS0_4arch9wavefront6targetE1EEEvSC_ ; -- Begin function _ZN7rocprim17ROCPRIM_400000_NS6detail17trampoline_kernelINS0_14default_configENS1_35radix_sort_onesweep_config_selectorIfNS0_10empty_typeEEEZNS1_34radix_sort_onesweep_global_offsetsIS3_Lb1EPfPS5_mNS0_19identity_decomposerEEE10hipError_tT1_T2_PT3_SE_jT4_jjP12ihipStream_tbEUlT_E0_NS1_11comp_targetILNS1_3genE9ELNS1_11target_archE1100ELNS1_3gpuE3ELNS1_3repE0EEENS1_52radix_sort_onesweep_histogram_config_static_selectorELNS0_4arch9wavefront6targetE1EEEvSC_
	.globl	_ZN7rocprim17ROCPRIM_400000_NS6detail17trampoline_kernelINS0_14default_configENS1_35radix_sort_onesweep_config_selectorIfNS0_10empty_typeEEEZNS1_34radix_sort_onesweep_global_offsetsIS3_Lb1EPfPS5_mNS0_19identity_decomposerEEE10hipError_tT1_T2_PT3_SE_jT4_jjP12ihipStream_tbEUlT_E0_NS1_11comp_targetILNS1_3genE9ELNS1_11target_archE1100ELNS1_3gpuE3ELNS1_3repE0EEENS1_52radix_sort_onesweep_histogram_config_static_selectorELNS0_4arch9wavefront6targetE1EEEvSC_
	.p2align	8
	.type	_ZN7rocprim17ROCPRIM_400000_NS6detail17trampoline_kernelINS0_14default_configENS1_35radix_sort_onesweep_config_selectorIfNS0_10empty_typeEEEZNS1_34radix_sort_onesweep_global_offsetsIS3_Lb1EPfPS5_mNS0_19identity_decomposerEEE10hipError_tT1_T2_PT3_SE_jT4_jjP12ihipStream_tbEUlT_E0_NS1_11comp_targetILNS1_3genE9ELNS1_11target_archE1100ELNS1_3gpuE3ELNS1_3repE0EEENS1_52radix_sort_onesweep_histogram_config_static_selectorELNS0_4arch9wavefront6targetE1EEEvSC_,@function
_ZN7rocprim17ROCPRIM_400000_NS6detail17trampoline_kernelINS0_14default_configENS1_35radix_sort_onesweep_config_selectorIfNS0_10empty_typeEEEZNS1_34radix_sort_onesweep_global_offsetsIS3_Lb1EPfPS5_mNS0_19identity_decomposerEEE10hipError_tT1_T2_PT3_SE_jT4_jjP12ihipStream_tbEUlT_E0_NS1_11comp_targetILNS1_3genE9ELNS1_11target_archE1100ELNS1_3gpuE3ELNS1_3repE0EEENS1_52radix_sort_onesweep_histogram_config_static_selectorELNS0_4arch9wavefront6targetE1EEEvSC_: ; @_ZN7rocprim17ROCPRIM_400000_NS6detail17trampoline_kernelINS0_14default_configENS1_35radix_sort_onesweep_config_selectorIfNS0_10empty_typeEEEZNS1_34radix_sort_onesweep_global_offsetsIS3_Lb1EPfPS5_mNS0_19identity_decomposerEEE10hipError_tT1_T2_PT3_SE_jT4_jjP12ihipStream_tbEUlT_E0_NS1_11comp_targetILNS1_3genE9ELNS1_11target_archE1100ELNS1_3gpuE3ELNS1_3repE0EEENS1_52radix_sort_onesweep_histogram_config_static_selectorELNS0_4arch9wavefront6targetE1EEEvSC_
; %bb.0:
	.section	.rodata,"a",@progbits
	.p2align	6, 0x0
	.amdhsa_kernel _ZN7rocprim17ROCPRIM_400000_NS6detail17trampoline_kernelINS0_14default_configENS1_35radix_sort_onesweep_config_selectorIfNS0_10empty_typeEEEZNS1_34radix_sort_onesweep_global_offsetsIS3_Lb1EPfPS5_mNS0_19identity_decomposerEEE10hipError_tT1_T2_PT3_SE_jT4_jjP12ihipStream_tbEUlT_E0_NS1_11comp_targetILNS1_3genE9ELNS1_11target_archE1100ELNS1_3gpuE3ELNS1_3repE0EEENS1_52radix_sort_onesweep_histogram_config_static_selectorELNS0_4arch9wavefront6targetE1EEEvSC_
		.amdhsa_group_segment_fixed_size 0
		.amdhsa_private_segment_fixed_size 0
		.amdhsa_kernarg_size 8
		.amdhsa_user_sgpr_count 6
		.amdhsa_user_sgpr_private_segment_buffer 1
		.amdhsa_user_sgpr_dispatch_ptr 0
		.amdhsa_user_sgpr_queue_ptr 0
		.amdhsa_user_sgpr_kernarg_segment_ptr 1
		.amdhsa_user_sgpr_dispatch_id 0
		.amdhsa_user_sgpr_flat_scratch_init 0
		.amdhsa_user_sgpr_kernarg_preload_length 0
		.amdhsa_user_sgpr_kernarg_preload_offset 0
		.amdhsa_user_sgpr_private_segment_size 0
		.amdhsa_uses_dynamic_stack 0
		.amdhsa_system_sgpr_private_segment_wavefront_offset 0
		.amdhsa_system_sgpr_workgroup_id_x 1
		.amdhsa_system_sgpr_workgroup_id_y 0
		.amdhsa_system_sgpr_workgroup_id_z 0
		.amdhsa_system_sgpr_workgroup_info 0
		.amdhsa_system_vgpr_workitem_id 0
		.amdhsa_next_free_vgpr 1
		.amdhsa_next_free_sgpr 0
		.amdhsa_accum_offset 4
		.amdhsa_reserve_vcc 0
		.amdhsa_reserve_flat_scratch 0
		.amdhsa_float_round_mode_32 0
		.amdhsa_float_round_mode_16_64 0
		.amdhsa_float_denorm_mode_32 3
		.amdhsa_float_denorm_mode_16_64 3
		.amdhsa_dx10_clamp 1
		.amdhsa_ieee_mode 1
		.amdhsa_fp16_overflow 0
		.amdhsa_tg_split 0
		.amdhsa_exception_fp_ieee_invalid_op 0
		.amdhsa_exception_fp_denorm_src 0
		.amdhsa_exception_fp_ieee_div_zero 0
		.amdhsa_exception_fp_ieee_overflow 0
		.amdhsa_exception_fp_ieee_underflow 0
		.amdhsa_exception_fp_ieee_inexact 0
		.amdhsa_exception_int_div_zero 0
	.end_amdhsa_kernel
	.section	.text._ZN7rocprim17ROCPRIM_400000_NS6detail17trampoline_kernelINS0_14default_configENS1_35radix_sort_onesweep_config_selectorIfNS0_10empty_typeEEEZNS1_34radix_sort_onesweep_global_offsetsIS3_Lb1EPfPS5_mNS0_19identity_decomposerEEE10hipError_tT1_T2_PT3_SE_jT4_jjP12ihipStream_tbEUlT_E0_NS1_11comp_targetILNS1_3genE9ELNS1_11target_archE1100ELNS1_3gpuE3ELNS1_3repE0EEENS1_52radix_sort_onesweep_histogram_config_static_selectorELNS0_4arch9wavefront6targetE1EEEvSC_,"axG",@progbits,_ZN7rocprim17ROCPRIM_400000_NS6detail17trampoline_kernelINS0_14default_configENS1_35radix_sort_onesweep_config_selectorIfNS0_10empty_typeEEEZNS1_34radix_sort_onesweep_global_offsetsIS3_Lb1EPfPS5_mNS0_19identity_decomposerEEE10hipError_tT1_T2_PT3_SE_jT4_jjP12ihipStream_tbEUlT_E0_NS1_11comp_targetILNS1_3genE9ELNS1_11target_archE1100ELNS1_3gpuE3ELNS1_3repE0EEENS1_52radix_sort_onesweep_histogram_config_static_selectorELNS0_4arch9wavefront6targetE1EEEvSC_,comdat
.Lfunc_end2544:
	.size	_ZN7rocprim17ROCPRIM_400000_NS6detail17trampoline_kernelINS0_14default_configENS1_35radix_sort_onesweep_config_selectorIfNS0_10empty_typeEEEZNS1_34radix_sort_onesweep_global_offsetsIS3_Lb1EPfPS5_mNS0_19identity_decomposerEEE10hipError_tT1_T2_PT3_SE_jT4_jjP12ihipStream_tbEUlT_E0_NS1_11comp_targetILNS1_3genE9ELNS1_11target_archE1100ELNS1_3gpuE3ELNS1_3repE0EEENS1_52radix_sort_onesweep_histogram_config_static_selectorELNS0_4arch9wavefront6targetE1EEEvSC_, .Lfunc_end2544-_ZN7rocprim17ROCPRIM_400000_NS6detail17trampoline_kernelINS0_14default_configENS1_35radix_sort_onesweep_config_selectorIfNS0_10empty_typeEEEZNS1_34radix_sort_onesweep_global_offsetsIS3_Lb1EPfPS5_mNS0_19identity_decomposerEEE10hipError_tT1_T2_PT3_SE_jT4_jjP12ihipStream_tbEUlT_E0_NS1_11comp_targetILNS1_3genE9ELNS1_11target_archE1100ELNS1_3gpuE3ELNS1_3repE0EEENS1_52radix_sort_onesweep_histogram_config_static_selectorELNS0_4arch9wavefront6targetE1EEEvSC_
                                        ; -- End function
	.section	.AMDGPU.csdata,"",@progbits
; Kernel info:
; codeLenInByte = 0
; NumSgprs: 4
; NumVgprs: 0
; NumAgprs: 0
; TotalNumVgprs: 0
; ScratchSize: 0
; MemoryBound: 0
; FloatMode: 240
; IeeeMode: 1
; LDSByteSize: 0 bytes/workgroup (compile time only)
; SGPRBlocks: 0
; VGPRBlocks: 0
; NumSGPRsForWavesPerEU: 4
; NumVGPRsForWavesPerEU: 1
; AccumOffset: 4
; Occupancy: 8
; WaveLimiterHint : 0
; COMPUTE_PGM_RSRC2:SCRATCH_EN: 0
; COMPUTE_PGM_RSRC2:USER_SGPR: 6
; COMPUTE_PGM_RSRC2:TRAP_HANDLER: 0
; COMPUTE_PGM_RSRC2:TGID_X_EN: 1
; COMPUTE_PGM_RSRC2:TGID_Y_EN: 0
; COMPUTE_PGM_RSRC2:TGID_Z_EN: 0
; COMPUTE_PGM_RSRC2:TIDIG_COMP_CNT: 0
; COMPUTE_PGM_RSRC3_GFX90A:ACCUM_OFFSET: 0
; COMPUTE_PGM_RSRC3_GFX90A:TG_SPLIT: 0
	.section	.text._ZN7rocprim17ROCPRIM_400000_NS6detail17trampoline_kernelINS0_14default_configENS1_35radix_sort_onesweep_config_selectorIfNS0_10empty_typeEEEZNS1_34radix_sort_onesweep_global_offsetsIS3_Lb1EPfPS5_mNS0_19identity_decomposerEEE10hipError_tT1_T2_PT3_SE_jT4_jjP12ihipStream_tbEUlT_E0_NS1_11comp_targetILNS1_3genE8ELNS1_11target_archE1030ELNS1_3gpuE2ELNS1_3repE0EEENS1_52radix_sort_onesweep_histogram_config_static_selectorELNS0_4arch9wavefront6targetE1EEEvSC_,"axG",@progbits,_ZN7rocprim17ROCPRIM_400000_NS6detail17trampoline_kernelINS0_14default_configENS1_35radix_sort_onesweep_config_selectorIfNS0_10empty_typeEEEZNS1_34radix_sort_onesweep_global_offsetsIS3_Lb1EPfPS5_mNS0_19identity_decomposerEEE10hipError_tT1_T2_PT3_SE_jT4_jjP12ihipStream_tbEUlT_E0_NS1_11comp_targetILNS1_3genE8ELNS1_11target_archE1030ELNS1_3gpuE2ELNS1_3repE0EEENS1_52radix_sort_onesweep_histogram_config_static_selectorELNS0_4arch9wavefront6targetE1EEEvSC_,comdat
	.protected	_ZN7rocprim17ROCPRIM_400000_NS6detail17trampoline_kernelINS0_14default_configENS1_35radix_sort_onesweep_config_selectorIfNS0_10empty_typeEEEZNS1_34radix_sort_onesweep_global_offsetsIS3_Lb1EPfPS5_mNS0_19identity_decomposerEEE10hipError_tT1_T2_PT3_SE_jT4_jjP12ihipStream_tbEUlT_E0_NS1_11comp_targetILNS1_3genE8ELNS1_11target_archE1030ELNS1_3gpuE2ELNS1_3repE0EEENS1_52radix_sort_onesweep_histogram_config_static_selectorELNS0_4arch9wavefront6targetE1EEEvSC_ ; -- Begin function _ZN7rocprim17ROCPRIM_400000_NS6detail17trampoline_kernelINS0_14default_configENS1_35radix_sort_onesweep_config_selectorIfNS0_10empty_typeEEEZNS1_34radix_sort_onesweep_global_offsetsIS3_Lb1EPfPS5_mNS0_19identity_decomposerEEE10hipError_tT1_T2_PT3_SE_jT4_jjP12ihipStream_tbEUlT_E0_NS1_11comp_targetILNS1_3genE8ELNS1_11target_archE1030ELNS1_3gpuE2ELNS1_3repE0EEENS1_52radix_sort_onesweep_histogram_config_static_selectorELNS0_4arch9wavefront6targetE1EEEvSC_
	.globl	_ZN7rocprim17ROCPRIM_400000_NS6detail17trampoline_kernelINS0_14default_configENS1_35radix_sort_onesweep_config_selectorIfNS0_10empty_typeEEEZNS1_34radix_sort_onesweep_global_offsetsIS3_Lb1EPfPS5_mNS0_19identity_decomposerEEE10hipError_tT1_T2_PT3_SE_jT4_jjP12ihipStream_tbEUlT_E0_NS1_11comp_targetILNS1_3genE8ELNS1_11target_archE1030ELNS1_3gpuE2ELNS1_3repE0EEENS1_52radix_sort_onesweep_histogram_config_static_selectorELNS0_4arch9wavefront6targetE1EEEvSC_
	.p2align	8
	.type	_ZN7rocprim17ROCPRIM_400000_NS6detail17trampoline_kernelINS0_14default_configENS1_35radix_sort_onesweep_config_selectorIfNS0_10empty_typeEEEZNS1_34radix_sort_onesweep_global_offsetsIS3_Lb1EPfPS5_mNS0_19identity_decomposerEEE10hipError_tT1_T2_PT3_SE_jT4_jjP12ihipStream_tbEUlT_E0_NS1_11comp_targetILNS1_3genE8ELNS1_11target_archE1030ELNS1_3gpuE2ELNS1_3repE0EEENS1_52radix_sort_onesweep_histogram_config_static_selectorELNS0_4arch9wavefront6targetE1EEEvSC_,@function
_ZN7rocprim17ROCPRIM_400000_NS6detail17trampoline_kernelINS0_14default_configENS1_35radix_sort_onesweep_config_selectorIfNS0_10empty_typeEEEZNS1_34radix_sort_onesweep_global_offsetsIS3_Lb1EPfPS5_mNS0_19identity_decomposerEEE10hipError_tT1_T2_PT3_SE_jT4_jjP12ihipStream_tbEUlT_E0_NS1_11comp_targetILNS1_3genE8ELNS1_11target_archE1030ELNS1_3gpuE2ELNS1_3repE0EEENS1_52radix_sort_onesweep_histogram_config_static_selectorELNS0_4arch9wavefront6targetE1EEEvSC_: ; @_ZN7rocprim17ROCPRIM_400000_NS6detail17trampoline_kernelINS0_14default_configENS1_35radix_sort_onesweep_config_selectorIfNS0_10empty_typeEEEZNS1_34radix_sort_onesweep_global_offsetsIS3_Lb1EPfPS5_mNS0_19identity_decomposerEEE10hipError_tT1_T2_PT3_SE_jT4_jjP12ihipStream_tbEUlT_E0_NS1_11comp_targetILNS1_3genE8ELNS1_11target_archE1030ELNS1_3gpuE2ELNS1_3repE0EEENS1_52radix_sort_onesweep_histogram_config_static_selectorELNS0_4arch9wavefront6targetE1EEEvSC_
; %bb.0:
	.section	.rodata,"a",@progbits
	.p2align	6, 0x0
	.amdhsa_kernel _ZN7rocprim17ROCPRIM_400000_NS6detail17trampoline_kernelINS0_14default_configENS1_35radix_sort_onesweep_config_selectorIfNS0_10empty_typeEEEZNS1_34radix_sort_onesweep_global_offsetsIS3_Lb1EPfPS5_mNS0_19identity_decomposerEEE10hipError_tT1_T2_PT3_SE_jT4_jjP12ihipStream_tbEUlT_E0_NS1_11comp_targetILNS1_3genE8ELNS1_11target_archE1030ELNS1_3gpuE2ELNS1_3repE0EEENS1_52radix_sort_onesweep_histogram_config_static_selectorELNS0_4arch9wavefront6targetE1EEEvSC_
		.amdhsa_group_segment_fixed_size 0
		.amdhsa_private_segment_fixed_size 0
		.amdhsa_kernarg_size 8
		.amdhsa_user_sgpr_count 6
		.amdhsa_user_sgpr_private_segment_buffer 1
		.amdhsa_user_sgpr_dispatch_ptr 0
		.amdhsa_user_sgpr_queue_ptr 0
		.amdhsa_user_sgpr_kernarg_segment_ptr 1
		.amdhsa_user_sgpr_dispatch_id 0
		.amdhsa_user_sgpr_flat_scratch_init 0
		.amdhsa_user_sgpr_kernarg_preload_length 0
		.amdhsa_user_sgpr_kernarg_preload_offset 0
		.amdhsa_user_sgpr_private_segment_size 0
		.amdhsa_uses_dynamic_stack 0
		.amdhsa_system_sgpr_private_segment_wavefront_offset 0
		.amdhsa_system_sgpr_workgroup_id_x 1
		.amdhsa_system_sgpr_workgroup_id_y 0
		.amdhsa_system_sgpr_workgroup_id_z 0
		.amdhsa_system_sgpr_workgroup_info 0
		.amdhsa_system_vgpr_workitem_id 0
		.amdhsa_next_free_vgpr 1
		.amdhsa_next_free_sgpr 0
		.amdhsa_accum_offset 4
		.amdhsa_reserve_vcc 0
		.amdhsa_reserve_flat_scratch 0
		.amdhsa_float_round_mode_32 0
		.amdhsa_float_round_mode_16_64 0
		.amdhsa_float_denorm_mode_32 3
		.amdhsa_float_denorm_mode_16_64 3
		.amdhsa_dx10_clamp 1
		.amdhsa_ieee_mode 1
		.amdhsa_fp16_overflow 0
		.amdhsa_tg_split 0
		.amdhsa_exception_fp_ieee_invalid_op 0
		.amdhsa_exception_fp_denorm_src 0
		.amdhsa_exception_fp_ieee_div_zero 0
		.amdhsa_exception_fp_ieee_overflow 0
		.amdhsa_exception_fp_ieee_underflow 0
		.amdhsa_exception_fp_ieee_inexact 0
		.amdhsa_exception_int_div_zero 0
	.end_amdhsa_kernel
	.section	.text._ZN7rocprim17ROCPRIM_400000_NS6detail17trampoline_kernelINS0_14default_configENS1_35radix_sort_onesweep_config_selectorIfNS0_10empty_typeEEEZNS1_34radix_sort_onesweep_global_offsetsIS3_Lb1EPfPS5_mNS0_19identity_decomposerEEE10hipError_tT1_T2_PT3_SE_jT4_jjP12ihipStream_tbEUlT_E0_NS1_11comp_targetILNS1_3genE8ELNS1_11target_archE1030ELNS1_3gpuE2ELNS1_3repE0EEENS1_52radix_sort_onesweep_histogram_config_static_selectorELNS0_4arch9wavefront6targetE1EEEvSC_,"axG",@progbits,_ZN7rocprim17ROCPRIM_400000_NS6detail17trampoline_kernelINS0_14default_configENS1_35radix_sort_onesweep_config_selectorIfNS0_10empty_typeEEEZNS1_34radix_sort_onesweep_global_offsetsIS3_Lb1EPfPS5_mNS0_19identity_decomposerEEE10hipError_tT1_T2_PT3_SE_jT4_jjP12ihipStream_tbEUlT_E0_NS1_11comp_targetILNS1_3genE8ELNS1_11target_archE1030ELNS1_3gpuE2ELNS1_3repE0EEENS1_52radix_sort_onesweep_histogram_config_static_selectorELNS0_4arch9wavefront6targetE1EEEvSC_,comdat
.Lfunc_end2545:
	.size	_ZN7rocprim17ROCPRIM_400000_NS6detail17trampoline_kernelINS0_14default_configENS1_35radix_sort_onesweep_config_selectorIfNS0_10empty_typeEEEZNS1_34radix_sort_onesweep_global_offsetsIS3_Lb1EPfPS5_mNS0_19identity_decomposerEEE10hipError_tT1_T2_PT3_SE_jT4_jjP12ihipStream_tbEUlT_E0_NS1_11comp_targetILNS1_3genE8ELNS1_11target_archE1030ELNS1_3gpuE2ELNS1_3repE0EEENS1_52radix_sort_onesweep_histogram_config_static_selectorELNS0_4arch9wavefront6targetE1EEEvSC_, .Lfunc_end2545-_ZN7rocprim17ROCPRIM_400000_NS6detail17trampoline_kernelINS0_14default_configENS1_35radix_sort_onesweep_config_selectorIfNS0_10empty_typeEEEZNS1_34radix_sort_onesweep_global_offsetsIS3_Lb1EPfPS5_mNS0_19identity_decomposerEEE10hipError_tT1_T2_PT3_SE_jT4_jjP12ihipStream_tbEUlT_E0_NS1_11comp_targetILNS1_3genE8ELNS1_11target_archE1030ELNS1_3gpuE2ELNS1_3repE0EEENS1_52radix_sort_onesweep_histogram_config_static_selectorELNS0_4arch9wavefront6targetE1EEEvSC_
                                        ; -- End function
	.section	.AMDGPU.csdata,"",@progbits
; Kernel info:
; codeLenInByte = 0
; NumSgprs: 4
; NumVgprs: 0
; NumAgprs: 0
; TotalNumVgprs: 0
; ScratchSize: 0
; MemoryBound: 0
; FloatMode: 240
; IeeeMode: 1
; LDSByteSize: 0 bytes/workgroup (compile time only)
; SGPRBlocks: 0
; VGPRBlocks: 0
; NumSGPRsForWavesPerEU: 4
; NumVGPRsForWavesPerEU: 1
; AccumOffset: 4
; Occupancy: 8
; WaveLimiterHint : 0
; COMPUTE_PGM_RSRC2:SCRATCH_EN: 0
; COMPUTE_PGM_RSRC2:USER_SGPR: 6
; COMPUTE_PGM_RSRC2:TRAP_HANDLER: 0
; COMPUTE_PGM_RSRC2:TGID_X_EN: 1
; COMPUTE_PGM_RSRC2:TGID_Y_EN: 0
; COMPUTE_PGM_RSRC2:TGID_Z_EN: 0
; COMPUTE_PGM_RSRC2:TIDIG_COMP_CNT: 0
; COMPUTE_PGM_RSRC3_GFX90A:ACCUM_OFFSET: 0
; COMPUTE_PGM_RSRC3_GFX90A:TG_SPLIT: 0
	.section	.text._ZN7rocprim17ROCPRIM_400000_NS6detail17trampoline_kernelINS0_14default_configENS1_35radix_sort_onesweep_config_selectorIfNS0_10empty_typeEEEZZNS1_29radix_sort_onesweep_iterationIS3_Lb1EPfS8_PS5_S9_mNS0_19identity_decomposerENS1_16block_id_wrapperIjLb1EEEEE10hipError_tT1_PNSt15iterator_traitsISE_E10value_typeET2_T3_PNSF_ISK_E10value_typeET4_T5_PSP_SQ_PNS1_23onesweep_lookback_stateEbbT6_jjT7_P12ihipStream_tbENKUlT_T0_SE_SJ_E_clIS8_S8_S9_S9_EEDaSX_SY_SE_SJ_EUlSX_E_NS1_11comp_targetILNS1_3genE0ELNS1_11target_archE4294967295ELNS1_3gpuE0ELNS1_3repE0EEENS1_47radix_sort_onesweep_sort_config_static_selectorELNS0_4arch9wavefront6targetE1EEEvSE_,"axG",@progbits,_ZN7rocprim17ROCPRIM_400000_NS6detail17trampoline_kernelINS0_14default_configENS1_35radix_sort_onesweep_config_selectorIfNS0_10empty_typeEEEZZNS1_29radix_sort_onesweep_iterationIS3_Lb1EPfS8_PS5_S9_mNS0_19identity_decomposerENS1_16block_id_wrapperIjLb1EEEEE10hipError_tT1_PNSt15iterator_traitsISE_E10value_typeET2_T3_PNSF_ISK_E10value_typeET4_T5_PSP_SQ_PNS1_23onesweep_lookback_stateEbbT6_jjT7_P12ihipStream_tbENKUlT_T0_SE_SJ_E_clIS8_S8_S9_S9_EEDaSX_SY_SE_SJ_EUlSX_E_NS1_11comp_targetILNS1_3genE0ELNS1_11target_archE4294967295ELNS1_3gpuE0ELNS1_3repE0EEENS1_47radix_sort_onesweep_sort_config_static_selectorELNS0_4arch9wavefront6targetE1EEEvSE_,comdat
	.protected	_ZN7rocprim17ROCPRIM_400000_NS6detail17trampoline_kernelINS0_14default_configENS1_35radix_sort_onesweep_config_selectorIfNS0_10empty_typeEEEZZNS1_29radix_sort_onesweep_iterationIS3_Lb1EPfS8_PS5_S9_mNS0_19identity_decomposerENS1_16block_id_wrapperIjLb1EEEEE10hipError_tT1_PNSt15iterator_traitsISE_E10value_typeET2_T3_PNSF_ISK_E10value_typeET4_T5_PSP_SQ_PNS1_23onesweep_lookback_stateEbbT6_jjT7_P12ihipStream_tbENKUlT_T0_SE_SJ_E_clIS8_S8_S9_S9_EEDaSX_SY_SE_SJ_EUlSX_E_NS1_11comp_targetILNS1_3genE0ELNS1_11target_archE4294967295ELNS1_3gpuE0ELNS1_3repE0EEENS1_47radix_sort_onesweep_sort_config_static_selectorELNS0_4arch9wavefront6targetE1EEEvSE_ ; -- Begin function _ZN7rocprim17ROCPRIM_400000_NS6detail17trampoline_kernelINS0_14default_configENS1_35radix_sort_onesweep_config_selectorIfNS0_10empty_typeEEEZZNS1_29radix_sort_onesweep_iterationIS3_Lb1EPfS8_PS5_S9_mNS0_19identity_decomposerENS1_16block_id_wrapperIjLb1EEEEE10hipError_tT1_PNSt15iterator_traitsISE_E10value_typeET2_T3_PNSF_ISK_E10value_typeET4_T5_PSP_SQ_PNS1_23onesweep_lookback_stateEbbT6_jjT7_P12ihipStream_tbENKUlT_T0_SE_SJ_E_clIS8_S8_S9_S9_EEDaSX_SY_SE_SJ_EUlSX_E_NS1_11comp_targetILNS1_3genE0ELNS1_11target_archE4294967295ELNS1_3gpuE0ELNS1_3repE0EEENS1_47radix_sort_onesweep_sort_config_static_selectorELNS0_4arch9wavefront6targetE1EEEvSE_
	.globl	_ZN7rocprim17ROCPRIM_400000_NS6detail17trampoline_kernelINS0_14default_configENS1_35radix_sort_onesweep_config_selectorIfNS0_10empty_typeEEEZZNS1_29radix_sort_onesweep_iterationIS3_Lb1EPfS8_PS5_S9_mNS0_19identity_decomposerENS1_16block_id_wrapperIjLb1EEEEE10hipError_tT1_PNSt15iterator_traitsISE_E10value_typeET2_T3_PNSF_ISK_E10value_typeET4_T5_PSP_SQ_PNS1_23onesweep_lookback_stateEbbT6_jjT7_P12ihipStream_tbENKUlT_T0_SE_SJ_E_clIS8_S8_S9_S9_EEDaSX_SY_SE_SJ_EUlSX_E_NS1_11comp_targetILNS1_3genE0ELNS1_11target_archE4294967295ELNS1_3gpuE0ELNS1_3repE0EEENS1_47radix_sort_onesweep_sort_config_static_selectorELNS0_4arch9wavefront6targetE1EEEvSE_
	.p2align	8
	.type	_ZN7rocprim17ROCPRIM_400000_NS6detail17trampoline_kernelINS0_14default_configENS1_35radix_sort_onesweep_config_selectorIfNS0_10empty_typeEEEZZNS1_29radix_sort_onesweep_iterationIS3_Lb1EPfS8_PS5_S9_mNS0_19identity_decomposerENS1_16block_id_wrapperIjLb1EEEEE10hipError_tT1_PNSt15iterator_traitsISE_E10value_typeET2_T3_PNSF_ISK_E10value_typeET4_T5_PSP_SQ_PNS1_23onesweep_lookback_stateEbbT6_jjT7_P12ihipStream_tbENKUlT_T0_SE_SJ_E_clIS8_S8_S9_S9_EEDaSX_SY_SE_SJ_EUlSX_E_NS1_11comp_targetILNS1_3genE0ELNS1_11target_archE4294967295ELNS1_3gpuE0ELNS1_3repE0EEENS1_47radix_sort_onesweep_sort_config_static_selectorELNS0_4arch9wavefront6targetE1EEEvSE_,@function
_ZN7rocprim17ROCPRIM_400000_NS6detail17trampoline_kernelINS0_14default_configENS1_35radix_sort_onesweep_config_selectorIfNS0_10empty_typeEEEZZNS1_29radix_sort_onesweep_iterationIS3_Lb1EPfS8_PS5_S9_mNS0_19identity_decomposerENS1_16block_id_wrapperIjLb1EEEEE10hipError_tT1_PNSt15iterator_traitsISE_E10value_typeET2_T3_PNSF_ISK_E10value_typeET4_T5_PSP_SQ_PNS1_23onesweep_lookback_stateEbbT6_jjT7_P12ihipStream_tbENKUlT_T0_SE_SJ_E_clIS8_S8_S9_S9_EEDaSX_SY_SE_SJ_EUlSX_E_NS1_11comp_targetILNS1_3genE0ELNS1_11target_archE4294967295ELNS1_3gpuE0ELNS1_3repE0EEENS1_47radix_sort_onesweep_sort_config_static_selectorELNS0_4arch9wavefront6targetE1EEEvSE_: ; @_ZN7rocprim17ROCPRIM_400000_NS6detail17trampoline_kernelINS0_14default_configENS1_35radix_sort_onesweep_config_selectorIfNS0_10empty_typeEEEZZNS1_29radix_sort_onesweep_iterationIS3_Lb1EPfS8_PS5_S9_mNS0_19identity_decomposerENS1_16block_id_wrapperIjLb1EEEEE10hipError_tT1_PNSt15iterator_traitsISE_E10value_typeET2_T3_PNSF_ISK_E10value_typeET4_T5_PSP_SQ_PNS1_23onesweep_lookback_stateEbbT6_jjT7_P12ihipStream_tbENKUlT_T0_SE_SJ_E_clIS8_S8_S9_S9_EEDaSX_SY_SE_SJ_EUlSX_E_NS1_11comp_targetILNS1_3genE0ELNS1_11target_archE4294967295ELNS1_3gpuE0ELNS1_3repE0EEENS1_47radix_sort_onesweep_sort_config_static_selectorELNS0_4arch9wavefront6targetE1EEEvSE_
; %bb.0:
	.section	.rodata,"a",@progbits
	.p2align	6, 0x0
	.amdhsa_kernel _ZN7rocprim17ROCPRIM_400000_NS6detail17trampoline_kernelINS0_14default_configENS1_35radix_sort_onesweep_config_selectorIfNS0_10empty_typeEEEZZNS1_29radix_sort_onesweep_iterationIS3_Lb1EPfS8_PS5_S9_mNS0_19identity_decomposerENS1_16block_id_wrapperIjLb1EEEEE10hipError_tT1_PNSt15iterator_traitsISE_E10value_typeET2_T3_PNSF_ISK_E10value_typeET4_T5_PSP_SQ_PNS1_23onesweep_lookback_stateEbbT6_jjT7_P12ihipStream_tbENKUlT_T0_SE_SJ_E_clIS8_S8_S9_S9_EEDaSX_SY_SE_SJ_EUlSX_E_NS1_11comp_targetILNS1_3genE0ELNS1_11target_archE4294967295ELNS1_3gpuE0ELNS1_3repE0EEENS1_47radix_sort_onesweep_sort_config_static_selectorELNS0_4arch9wavefront6targetE1EEEvSE_
		.amdhsa_group_segment_fixed_size 0
		.amdhsa_private_segment_fixed_size 0
		.amdhsa_kernarg_size 88
		.amdhsa_user_sgpr_count 6
		.amdhsa_user_sgpr_private_segment_buffer 1
		.amdhsa_user_sgpr_dispatch_ptr 0
		.amdhsa_user_sgpr_queue_ptr 0
		.amdhsa_user_sgpr_kernarg_segment_ptr 1
		.amdhsa_user_sgpr_dispatch_id 0
		.amdhsa_user_sgpr_flat_scratch_init 0
		.amdhsa_user_sgpr_kernarg_preload_length 0
		.amdhsa_user_sgpr_kernarg_preload_offset 0
		.amdhsa_user_sgpr_private_segment_size 0
		.amdhsa_uses_dynamic_stack 0
		.amdhsa_system_sgpr_private_segment_wavefront_offset 0
		.amdhsa_system_sgpr_workgroup_id_x 1
		.amdhsa_system_sgpr_workgroup_id_y 0
		.amdhsa_system_sgpr_workgroup_id_z 0
		.amdhsa_system_sgpr_workgroup_info 0
		.amdhsa_system_vgpr_workitem_id 0
		.amdhsa_next_free_vgpr 1
		.amdhsa_next_free_sgpr 0
		.amdhsa_accum_offset 4
		.amdhsa_reserve_vcc 0
		.amdhsa_reserve_flat_scratch 0
		.amdhsa_float_round_mode_32 0
		.amdhsa_float_round_mode_16_64 0
		.amdhsa_float_denorm_mode_32 3
		.amdhsa_float_denorm_mode_16_64 3
		.amdhsa_dx10_clamp 1
		.amdhsa_ieee_mode 1
		.amdhsa_fp16_overflow 0
		.amdhsa_tg_split 0
		.amdhsa_exception_fp_ieee_invalid_op 0
		.amdhsa_exception_fp_denorm_src 0
		.amdhsa_exception_fp_ieee_div_zero 0
		.amdhsa_exception_fp_ieee_overflow 0
		.amdhsa_exception_fp_ieee_underflow 0
		.amdhsa_exception_fp_ieee_inexact 0
		.amdhsa_exception_int_div_zero 0
	.end_amdhsa_kernel
	.section	.text._ZN7rocprim17ROCPRIM_400000_NS6detail17trampoline_kernelINS0_14default_configENS1_35radix_sort_onesweep_config_selectorIfNS0_10empty_typeEEEZZNS1_29radix_sort_onesweep_iterationIS3_Lb1EPfS8_PS5_S9_mNS0_19identity_decomposerENS1_16block_id_wrapperIjLb1EEEEE10hipError_tT1_PNSt15iterator_traitsISE_E10value_typeET2_T3_PNSF_ISK_E10value_typeET4_T5_PSP_SQ_PNS1_23onesweep_lookback_stateEbbT6_jjT7_P12ihipStream_tbENKUlT_T0_SE_SJ_E_clIS8_S8_S9_S9_EEDaSX_SY_SE_SJ_EUlSX_E_NS1_11comp_targetILNS1_3genE0ELNS1_11target_archE4294967295ELNS1_3gpuE0ELNS1_3repE0EEENS1_47radix_sort_onesweep_sort_config_static_selectorELNS0_4arch9wavefront6targetE1EEEvSE_,"axG",@progbits,_ZN7rocprim17ROCPRIM_400000_NS6detail17trampoline_kernelINS0_14default_configENS1_35radix_sort_onesweep_config_selectorIfNS0_10empty_typeEEEZZNS1_29radix_sort_onesweep_iterationIS3_Lb1EPfS8_PS5_S9_mNS0_19identity_decomposerENS1_16block_id_wrapperIjLb1EEEEE10hipError_tT1_PNSt15iterator_traitsISE_E10value_typeET2_T3_PNSF_ISK_E10value_typeET4_T5_PSP_SQ_PNS1_23onesweep_lookback_stateEbbT6_jjT7_P12ihipStream_tbENKUlT_T0_SE_SJ_E_clIS8_S8_S9_S9_EEDaSX_SY_SE_SJ_EUlSX_E_NS1_11comp_targetILNS1_3genE0ELNS1_11target_archE4294967295ELNS1_3gpuE0ELNS1_3repE0EEENS1_47radix_sort_onesweep_sort_config_static_selectorELNS0_4arch9wavefront6targetE1EEEvSE_,comdat
.Lfunc_end2546:
	.size	_ZN7rocprim17ROCPRIM_400000_NS6detail17trampoline_kernelINS0_14default_configENS1_35radix_sort_onesweep_config_selectorIfNS0_10empty_typeEEEZZNS1_29radix_sort_onesweep_iterationIS3_Lb1EPfS8_PS5_S9_mNS0_19identity_decomposerENS1_16block_id_wrapperIjLb1EEEEE10hipError_tT1_PNSt15iterator_traitsISE_E10value_typeET2_T3_PNSF_ISK_E10value_typeET4_T5_PSP_SQ_PNS1_23onesweep_lookback_stateEbbT6_jjT7_P12ihipStream_tbENKUlT_T0_SE_SJ_E_clIS8_S8_S9_S9_EEDaSX_SY_SE_SJ_EUlSX_E_NS1_11comp_targetILNS1_3genE0ELNS1_11target_archE4294967295ELNS1_3gpuE0ELNS1_3repE0EEENS1_47radix_sort_onesweep_sort_config_static_selectorELNS0_4arch9wavefront6targetE1EEEvSE_, .Lfunc_end2546-_ZN7rocprim17ROCPRIM_400000_NS6detail17trampoline_kernelINS0_14default_configENS1_35radix_sort_onesweep_config_selectorIfNS0_10empty_typeEEEZZNS1_29radix_sort_onesweep_iterationIS3_Lb1EPfS8_PS5_S9_mNS0_19identity_decomposerENS1_16block_id_wrapperIjLb1EEEEE10hipError_tT1_PNSt15iterator_traitsISE_E10value_typeET2_T3_PNSF_ISK_E10value_typeET4_T5_PSP_SQ_PNS1_23onesweep_lookback_stateEbbT6_jjT7_P12ihipStream_tbENKUlT_T0_SE_SJ_E_clIS8_S8_S9_S9_EEDaSX_SY_SE_SJ_EUlSX_E_NS1_11comp_targetILNS1_3genE0ELNS1_11target_archE4294967295ELNS1_3gpuE0ELNS1_3repE0EEENS1_47radix_sort_onesweep_sort_config_static_selectorELNS0_4arch9wavefront6targetE1EEEvSE_
                                        ; -- End function
	.section	.AMDGPU.csdata,"",@progbits
; Kernel info:
; codeLenInByte = 0
; NumSgprs: 4
; NumVgprs: 0
; NumAgprs: 0
; TotalNumVgprs: 0
; ScratchSize: 0
; MemoryBound: 0
; FloatMode: 240
; IeeeMode: 1
; LDSByteSize: 0 bytes/workgroup (compile time only)
; SGPRBlocks: 0
; VGPRBlocks: 0
; NumSGPRsForWavesPerEU: 4
; NumVGPRsForWavesPerEU: 1
; AccumOffset: 4
; Occupancy: 8
; WaveLimiterHint : 0
; COMPUTE_PGM_RSRC2:SCRATCH_EN: 0
; COMPUTE_PGM_RSRC2:USER_SGPR: 6
; COMPUTE_PGM_RSRC2:TRAP_HANDLER: 0
; COMPUTE_PGM_RSRC2:TGID_X_EN: 1
; COMPUTE_PGM_RSRC2:TGID_Y_EN: 0
; COMPUTE_PGM_RSRC2:TGID_Z_EN: 0
; COMPUTE_PGM_RSRC2:TIDIG_COMP_CNT: 0
; COMPUTE_PGM_RSRC3_GFX90A:ACCUM_OFFSET: 0
; COMPUTE_PGM_RSRC3_GFX90A:TG_SPLIT: 0
	.section	.text._ZN7rocprim17ROCPRIM_400000_NS6detail17trampoline_kernelINS0_14default_configENS1_35radix_sort_onesweep_config_selectorIfNS0_10empty_typeEEEZZNS1_29radix_sort_onesweep_iterationIS3_Lb1EPfS8_PS5_S9_mNS0_19identity_decomposerENS1_16block_id_wrapperIjLb1EEEEE10hipError_tT1_PNSt15iterator_traitsISE_E10value_typeET2_T3_PNSF_ISK_E10value_typeET4_T5_PSP_SQ_PNS1_23onesweep_lookback_stateEbbT6_jjT7_P12ihipStream_tbENKUlT_T0_SE_SJ_E_clIS8_S8_S9_S9_EEDaSX_SY_SE_SJ_EUlSX_E_NS1_11comp_targetILNS1_3genE6ELNS1_11target_archE950ELNS1_3gpuE13ELNS1_3repE0EEENS1_47radix_sort_onesweep_sort_config_static_selectorELNS0_4arch9wavefront6targetE1EEEvSE_,"axG",@progbits,_ZN7rocprim17ROCPRIM_400000_NS6detail17trampoline_kernelINS0_14default_configENS1_35radix_sort_onesweep_config_selectorIfNS0_10empty_typeEEEZZNS1_29radix_sort_onesweep_iterationIS3_Lb1EPfS8_PS5_S9_mNS0_19identity_decomposerENS1_16block_id_wrapperIjLb1EEEEE10hipError_tT1_PNSt15iterator_traitsISE_E10value_typeET2_T3_PNSF_ISK_E10value_typeET4_T5_PSP_SQ_PNS1_23onesweep_lookback_stateEbbT6_jjT7_P12ihipStream_tbENKUlT_T0_SE_SJ_E_clIS8_S8_S9_S9_EEDaSX_SY_SE_SJ_EUlSX_E_NS1_11comp_targetILNS1_3genE6ELNS1_11target_archE950ELNS1_3gpuE13ELNS1_3repE0EEENS1_47radix_sort_onesweep_sort_config_static_selectorELNS0_4arch9wavefront6targetE1EEEvSE_,comdat
	.protected	_ZN7rocprim17ROCPRIM_400000_NS6detail17trampoline_kernelINS0_14default_configENS1_35radix_sort_onesweep_config_selectorIfNS0_10empty_typeEEEZZNS1_29radix_sort_onesweep_iterationIS3_Lb1EPfS8_PS5_S9_mNS0_19identity_decomposerENS1_16block_id_wrapperIjLb1EEEEE10hipError_tT1_PNSt15iterator_traitsISE_E10value_typeET2_T3_PNSF_ISK_E10value_typeET4_T5_PSP_SQ_PNS1_23onesweep_lookback_stateEbbT6_jjT7_P12ihipStream_tbENKUlT_T0_SE_SJ_E_clIS8_S8_S9_S9_EEDaSX_SY_SE_SJ_EUlSX_E_NS1_11comp_targetILNS1_3genE6ELNS1_11target_archE950ELNS1_3gpuE13ELNS1_3repE0EEENS1_47radix_sort_onesweep_sort_config_static_selectorELNS0_4arch9wavefront6targetE1EEEvSE_ ; -- Begin function _ZN7rocprim17ROCPRIM_400000_NS6detail17trampoline_kernelINS0_14default_configENS1_35radix_sort_onesweep_config_selectorIfNS0_10empty_typeEEEZZNS1_29radix_sort_onesweep_iterationIS3_Lb1EPfS8_PS5_S9_mNS0_19identity_decomposerENS1_16block_id_wrapperIjLb1EEEEE10hipError_tT1_PNSt15iterator_traitsISE_E10value_typeET2_T3_PNSF_ISK_E10value_typeET4_T5_PSP_SQ_PNS1_23onesweep_lookback_stateEbbT6_jjT7_P12ihipStream_tbENKUlT_T0_SE_SJ_E_clIS8_S8_S9_S9_EEDaSX_SY_SE_SJ_EUlSX_E_NS1_11comp_targetILNS1_3genE6ELNS1_11target_archE950ELNS1_3gpuE13ELNS1_3repE0EEENS1_47radix_sort_onesweep_sort_config_static_selectorELNS0_4arch9wavefront6targetE1EEEvSE_
	.globl	_ZN7rocprim17ROCPRIM_400000_NS6detail17trampoline_kernelINS0_14default_configENS1_35radix_sort_onesweep_config_selectorIfNS0_10empty_typeEEEZZNS1_29radix_sort_onesweep_iterationIS3_Lb1EPfS8_PS5_S9_mNS0_19identity_decomposerENS1_16block_id_wrapperIjLb1EEEEE10hipError_tT1_PNSt15iterator_traitsISE_E10value_typeET2_T3_PNSF_ISK_E10value_typeET4_T5_PSP_SQ_PNS1_23onesweep_lookback_stateEbbT6_jjT7_P12ihipStream_tbENKUlT_T0_SE_SJ_E_clIS8_S8_S9_S9_EEDaSX_SY_SE_SJ_EUlSX_E_NS1_11comp_targetILNS1_3genE6ELNS1_11target_archE950ELNS1_3gpuE13ELNS1_3repE0EEENS1_47radix_sort_onesweep_sort_config_static_selectorELNS0_4arch9wavefront6targetE1EEEvSE_
	.p2align	8
	.type	_ZN7rocprim17ROCPRIM_400000_NS6detail17trampoline_kernelINS0_14default_configENS1_35radix_sort_onesweep_config_selectorIfNS0_10empty_typeEEEZZNS1_29radix_sort_onesweep_iterationIS3_Lb1EPfS8_PS5_S9_mNS0_19identity_decomposerENS1_16block_id_wrapperIjLb1EEEEE10hipError_tT1_PNSt15iterator_traitsISE_E10value_typeET2_T3_PNSF_ISK_E10value_typeET4_T5_PSP_SQ_PNS1_23onesweep_lookback_stateEbbT6_jjT7_P12ihipStream_tbENKUlT_T0_SE_SJ_E_clIS8_S8_S9_S9_EEDaSX_SY_SE_SJ_EUlSX_E_NS1_11comp_targetILNS1_3genE6ELNS1_11target_archE950ELNS1_3gpuE13ELNS1_3repE0EEENS1_47radix_sort_onesweep_sort_config_static_selectorELNS0_4arch9wavefront6targetE1EEEvSE_,@function
_ZN7rocprim17ROCPRIM_400000_NS6detail17trampoline_kernelINS0_14default_configENS1_35radix_sort_onesweep_config_selectorIfNS0_10empty_typeEEEZZNS1_29radix_sort_onesweep_iterationIS3_Lb1EPfS8_PS5_S9_mNS0_19identity_decomposerENS1_16block_id_wrapperIjLb1EEEEE10hipError_tT1_PNSt15iterator_traitsISE_E10value_typeET2_T3_PNSF_ISK_E10value_typeET4_T5_PSP_SQ_PNS1_23onesweep_lookback_stateEbbT6_jjT7_P12ihipStream_tbENKUlT_T0_SE_SJ_E_clIS8_S8_S9_S9_EEDaSX_SY_SE_SJ_EUlSX_E_NS1_11comp_targetILNS1_3genE6ELNS1_11target_archE950ELNS1_3gpuE13ELNS1_3repE0EEENS1_47radix_sort_onesweep_sort_config_static_selectorELNS0_4arch9wavefront6targetE1EEEvSE_: ; @_ZN7rocprim17ROCPRIM_400000_NS6detail17trampoline_kernelINS0_14default_configENS1_35radix_sort_onesweep_config_selectorIfNS0_10empty_typeEEEZZNS1_29radix_sort_onesweep_iterationIS3_Lb1EPfS8_PS5_S9_mNS0_19identity_decomposerENS1_16block_id_wrapperIjLb1EEEEE10hipError_tT1_PNSt15iterator_traitsISE_E10value_typeET2_T3_PNSF_ISK_E10value_typeET4_T5_PSP_SQ_PNS1_23onesweep_lookback_stateEbbT6_jjT7_P12ihipStream_tbENKUlT_T0_SE_SJ_E_clIS8_S8_S9_S9_EEDaSX_SY_SE_SJ_EUlSX_E_NS1_11comp_targetILNS1_3genE6ELNS1_11target_archE950ELNS1_3gpuE13ELNS1_3repE0EEENS1_47radix_sort_onesweep_sort_config_static_selectorELNS0_4arch9wavefront6targetE1EEEvSE_
; %bb.0:
	.section	.rodata,"a",@progbits
	.p2align	6, 0x0
	.amdhsa_kernel _ZN7rocprim17ROCPRIM_400000_NS6detail17trampoline_kernelINS0_14default_configENS1_35radix_sort_onesweep_config_selectorIfNS0_10empty_typeEEEZZNS1_29radix_sort_onesweep_iterationIS3_Lb1EPfS8_PS5_S9_mNS0_19identity_decomposerENS1_16block_id_wrapperIjLb1EEEEE10hipError_tT1_PNSt15iterator_traitsISE_E10value_typeET2_T3_PNSF_ISK_E10value_typeET4_T5_PSP_SQ_PNS1_23onesweep_lookback_stateEbbT6_jjT7_P12ihipStream_tbENKUlT_T0_SE_SJ_E_clIS8_S8_S9_S9_EEDaSX_SY_SE_SJ_EUlSX_E_NS1_11comp_targetILNS1_3genE6ELNS1_11target_archE950ELNS1_3gpuE13ELNS1_3repE0EEENS1_47radix_sort_onesweep_sort_config_static_selectorELNS0_4arch9wavefront6targetE1EEEvSE_
		.amdhsa_group_segment_fixed_size 0
		.amdhsa_private_segment_fixed_size 0
		.amdhsa_kernarg_size 88
		.amdhsa_user_sgpr_count 6
		.amdhsa_user_sgpr_private_segment_buffer 1
		.amdhsa_user_sgpr_dispatch_ptr 0
		.amdhsa_user_sgpr_queue_ptr 0
		.amdhsa_user_sgpr_kernarg_segment_ptr 1
		.amdhsa_user_sgpr_dispatch_id 0
		.amdhsa_user_sgpr_flat_scratch_init 0
		.amdhsa_user_sgpr_kernarg_preload_length 0
		.amdhsa_user_sgpr_kernarg_preload_offset 0
		.amdhsa_user_sgpr_private_segment_size 0
		.amdhsa_uses_dynamic_stack 0
		.amdhsa_system_sgpr_private_segment_wavefront_offset 0
		.amdhsa_system_sgpr_workgroup_id_x 1
		.amdhsa_system_sgpr_workgroup_id_y 0
		.amdhsa_system_sgpr_workgroup_id_z 0
		.amdhsa_system_sgpr_workgroup_info 0
		.amdhsa_system_vgpr_workitem_id 0
		.amdhsa_next_free_vgpr 1
		.amdhsa_next_free_sgpr 0
		.amdhsa_accum_offset 4
		.amdhsa_reserve_vcc 0
		.amdhsa_reserve_flat_scratch 0
		.amdhsa_float_round_mode_32 0
		.amdhsa_float_round_mode_16_64 0
		.amdhsa_float_denorm_mode_32 3
		.amdhsa_float_denorm_mode_16_64 3
		.amdhsa_dx10_clamp 1
		.amdhsa_ieee_mode 1
		.amdhsa_fp16_overflow 0
		.amdhsa_tg_split 0
		.amdhsa_exception_fp_ieee_invalid_op 0
		.amdhsa_exception_fp_denorm_src 0
		.amdhsa_exception_fp_ieee_div_zero 0
		.amdhsa_exception_fp_ieee_overflow 0
		.amdhsa_exception_fp_ieee_underflow 0
		.amdhsa_exception_fp_ieee_inexact 0
		.amdhsa_exception_int_div_zero 0
	.end_amdhsa_kernel
	.section	.text._ZN7rocprim17ROCPRIM_400000_NS6detail17trampoline_kernelINS0_14default_configENS1_35radix_sort_onesweep_config_selectorIfNS0_10empty_typeEEEZZNS1_29radix_sort_onesweep_iterationIS3_Lb1EPfS8_PS5_S9_mNS0_19identity_decomposerENS1_16block_id_wrapperIjLb1EEEEE10hipError_tT1_PNSt15iterator_traitsISE_E10value_typeET2_T3_PNSF_ISK_E10value_typeET4_T5_PSP_SQ_PNS1_23onesweep_lookback_stateEbbT6_jjT7_P12ihipStream_tbENKUlT_T0_SE_SJ_E_clIS8_S8_S9_S9_EEDaSX_SY_SE_SJ_EUlSX_E_NS1_11comp_targetILNS1_3genE6ELNS1_11target_archE950ELNS1_3gpuE13ELNS1_3repE0EEENS1_47radix_sort_onesweep_sort_config_static_selectorELNS0_4arch9wavefront6targetE1EEEvSE_,"axG",@progbits,_ZN7rocprim17ROCPRIM_400000_NS6detail17trampoline_kernelINS0_14default_configENS1_35radix_sort_onesweep_config_selectorIfNS0_10empty_typeEEEZZNS1_29radix_sort_onesweep_iterationIS3_Lb1EPfS8_PS5_S9_mNS0_19identity_decomposerENS1_16block_id_wrapperIjLb1EEEEE10hipError_tT1_PNSt15iterator_traitsISE_E10value_typeET2_T3_PNSF_ISK_E10value_typeET4_T5_PSP_SQ_PNS1_23onesweep_lookback_stateEbbT6_jjT7_P12ihipStream_tbENKUlT_T0_SE_SJ_E_clIS8_S8_S9_S9_EEDaSX_SY_SE_SJ_EUlSX_E_NS1_11comp_targetILNS1_3genE6ELNS1_11target_archE950ELNS1_3gpuE13ELNS1_3repE0EEENS1_47radix_sort_onesweep_sort_config_static_selectorELNS0_4arch9wavefront6targetE1EEEvSE_,comdat
.Lfunc_end2547:
	.size	_ZN7rocprim17ROCPRIM_400000_NS6detail17trampoline_kernelINS0_14default_configENS1_35radix_sort_onesweep_config_selectorIfNS0_10empty_typeEEEZZNS1_29radix_sort_onesweep_iterationIS3_Lb1EPfS8_PS5_S9_mNS0_19identity_decomposerENS1_16block_id_wrapperIjLb1EEEEE10hipError_tT1_PNSt15iterator_traitsISE_E10value_typeET2_T3_PNSF_ISK_E10value_typeET4_T5_PSP_SQ_PNS1_23onesweep_lookback_stateEbbT6_jjT7_P12ihipStream_tbENKUlT_T0_SE_SJ_E_clIS8_S8_S9_S9_EEDaSX_SY_SE_SJ_EUlSX_E_NS1_11comp_targetILNS1_3genE6ELNS1_11target_archE950ELNS1_3gpuE13ELNS1_3repE0EEENS1_47radix_sort_onesweep_sort_config_static_selectorELNS0_4arch9wavefront6targetE1EEEvSE_, .Lfunc_end2547-_ZN7rocprim17ROCPRIM_400000_NS6detail17trampoline_kernelINS0_14default_configENS1_35radix_sort_onesweep_config_selectorIfNS0_10empty_typeEEEZZNS1_29radix_sort_onesweep_iterationIS3_Lb1EPfS8_PS5_S9_mNS0_19identity_decomposerENS1_16block_id_wrapperIjLb1EEEEE10hipError_tT1_PNSt15iterator_traitsISE_E10value_typeET2_T3_PNSF_ISK_E10value_typeET4_T5_PSP_SQ_PNS1_23onesweep_lookback_stateEbbT6_jjT7_P12ihipStream_tbENKUlT_T0_SE_SJ_E_clIS8_S8_S9_S9_EEDaSX_SY_SE_SJ_EUlSX_E_NS1_11comp_targetILNS1_3genE6ELNS1_11target_archE950ELNS1_3gpuE13ELNS1_3repE0EEENS1_47radix_sort_onesweep_sort_config_static_selectorELNS0_4arch9wavefront6targetE1EEEvSE_
                                        ; -- End function
	.section	.AMDGPU.csdata,"",@progbits
; Kernel info:
; codeLenInByte = 0
; NumSgprs: 4
; NumVgprs: 0
; NumAgprs: 0
; TotalNumVgprs: 0
; ScratchSize: 0
; MemoryBound: 0
; FloatMode: 240
; IeeeMode: 1
; LDSByteSize: 0 bytes/workgroup (compile time only)
; SGPRBlocks: 0
; VGPRBlocks: 0
; NumSGPRsForWavesPerEU: 4
; NumVGPRsForWavesPerEU: 1
; AccumOffset: 4
; Occupancy: 8
; WaveLimiterHint : 0
; COMPUTE_PGM_RSRC2:SCRATCH_EN: 0
; COMPUTE_PGM_RSRC2:USER_SGPR: 6
; COMPUTE_PGM_RSRC2:TRAP_HANDLER: 0
; COMPUTE_PGM_RSRC2:TGID_X_EN: 1
; COMPUTE_PGM_RSRC2:TGID_Y_EN: 0
; COMPUTE_PGM_RSRC2:TGID_Z_EN: 0
; COMPUTE_PGM_RSRC2:TIDIG_COMP_CNT: 0
; COMPUTE_PGM_RSRC3_GFX90A:ACCUM_OFFSET: 0
; COMPUTE_PGM_RSRC3_GFX90A:TG_SPLIT: 0
	.section	.text._ZN7rocprim17ROCPRIM_400000_NS6detail17trampoline_kernelINS0_14default_configENS1_35radix_sort_onesweep_config_selectorIfNS0_10empty_typeEEEZZNS1_29radix_sort_onesweep_iterationIS3_Lb1EPfS8_PS5_S9_mNS0_19identity_decomposerENS1_16block_id_wrapperIjLb1EEEEE10hipError_tT1_PNSt15iterator_traitsISE_E10value_typeET2_T3_PNSF_ISK_E10value_typeET4_T5_PSP_SQ_PNS1_23onesweep_lookback_stateEbbT6_jjT7_P12ihipStream_tbENKUlT_T0_SE_SJ_E_clIS8_S8_S9_S9_EEDaSX_SY_SE_SJ_EUlSX_E_NS1_11comp_targetILNS1_3genE5ELNS1_11target_archE942ELNS1_3gpuE9ELNS1_3repE0EEENS1_47radix_sort_onesweep_sort_config_static_selectorELNS0_4arch9wavefront6targetE1EEEvSE_,"axG",@progbits,_ZN7rocprim17ROCPRIM_400000_NS6detail17trampoline_kernelINS0_14default_configENS1_35radix_sort_onesweep_config_selectorIfNS0_10empty_typeEEEZZNS1_29radix_sort_onesweep_iterationIS3_Lb1EPfS8_PS5_S9_mNS0_19identity_decomposerENS1_16block_id_wrapperIjLb1EEEEE10hipError_tT1_PNSt15iterator_traitsISE_E10value_typeET2_T3_PNSF_ISK_E10value_typeET4_T5_PSP_SQ_PNS1_23onesweep_lookback_stateEbbT6_jjT7_P12ihipStream_tbENKUlT_T0_SE_SJ_E_clIS8_S8_S9_S9_EEDaSX_SY_SE_SJ_EUlSX_E_NS1_11comp_targetILNS1_3genE5ELNS1_11target_archE942ELNS1_3gpuE9ELNS1_3repE0EEENS1_47radix_sort_onesweep_sort_config_static_selectorELNS0_4arch9wavefront6targetE1EEEvSE_,comdat
	.protected	_ZN7rocprim17ROCPRIM_400000_NS6detail17trampoline_kernelINS0_14default_configENS1_35radix_sort_onesweep_config_selectorIfNS0_10empty_typeEEEZZNS1_29radix_sort_onesweep_iterationIS3_Lb1EPfS8_PS5_S9_mNS0_19identity_decomposerENS1_16block_id_wrapperIjLb1EEEEE10hipError_tT1_PNSt15iterator_traitsISE_E10value_typeET2_T3_PNSF_ISK_E10value_typeET4_T5_PSP_SQ_PNS1_23onesweep_lookback_stateEbbT6_jjT7_P12ihipStream_tbENKUlT_T0_SE_SJ_E_clIS8_S8_S9_S9_EEDaSX_SY_SE_SJ_EUlSX_E_NS1_11comp_targetILNS1_3genE5ELNS1_11target_archE942ELNS1_3gpuE9ELNS1_3repE0EEENS1_47radix_sort_onesweep_sort_config_static_selectorELNS0_4arch9wavefront6targetE1EEEvSE_ ; -- Begin function _ZN7rocprim17ROCPRIM_400000_NS6detail17trampoline_kernelINS0_14default_configENS1_35radix_sort_onesweep_config_selectorIfNS0_10empty_typeEEEZZNS1_29radix_sort_onesweep_iterationIS3_Lb1EPfS8_PS5_S9_mNS0_19identity_decomposerENS1_16block_id_wrapperIjLb1EEEEE10hipError_tT1_PNSt15iterator_traitsISE_E10value_typeET2_T3_PNSF_ISK_E10value_typeET4_T5_PSP_SQ_PNS1_23onesweep_lookback_stateEbbT6_jjT7_P12ihipStream_tbENKUlT_T0_SE_SJ_E_clIS8_S8_S9_S9_EEDaSX_SY_SE_SJ_EUlSX_E_NS1_11comp_targetILNS1_3genE5ELNS1_11target_archE942ELNS1_3gpuE9ELNS1_3repE0EEENS1_47radix_sort_onesweep_sort_config_static_selectorELNS0_4arch9wavefront6targetE1EEEvSE_
	.globl	_ZN7rocprim17ROCPRIM_400000_NS6detail17trampoline_kernelINS0_14default_configENS1_35radix_sort_onesweep_config_selectorIfNS0_10empty_typeEEEZZNS1_29radix_sort_onesweep_iterationIS3_Lb1EPfS8_PS5_S9_mNS0_19identity_decomposerENS1_16block_id_wrapperIjLb1EEEEE10hipError_tT1_PNSt15iterator_traitsISE_E10value_typeET2_T3_PNSF_ISK_E10value_typeET4_T5_PSP_SQ_PNS1_23onesweep_lookback_stateEbbT6_jjT7_P12ihipStream_tbENKUlT_T0_SE_SJ_E_clIS8_S8_S9_S9_EEDaSX_SY_SE_SJ_EUlSX_E_NS1_11comp_targetILNS1_3genE5ELNS1_11target_archE942ELNS1_3gpuE9ELNS1_3repE0EEENS1_47radix_sort_onesweep_sort_config_static_selectorELNS0_4arch9wavefront6targetE1EEEvSE_
	.p2align	8
	.type	_ZN7rocprim17ROCPRIM_400000_NS6detail17trampoline_kernelINS0_14default_configENS1_35radix_sort_onesweep_config_selectorIfNS0_10empty_typeEEEZZNS1_29radix_sort_onesweep_iterationIS3_Lb1EPfS8_PS5_S9_mNS0_19identity_decomposerENS1_16block_id_wrapperIjLb1EEEEE10hipError_tT1_PNSt15iterator_traitsISE_E10value_typeET2_T3_PNSF_ISK_E10value_typeET4_T5_PSP_SQ_PNS1_23onesweep_lookback_stateEbbT6_jjT7_P12ihipStream_tbENKUlT_T0_SE_SJ_E_clIS8_S8_S9_S9_EEDaSX_SY_SE_SJ_EUlSX_E_NS1_11comp_targetILNS1_3genE5ELNS1_11target_archE942ELNS1_3gpuE9ELNS1_3repE0EEENS1_47radix_sort_onesweep_sort_config_static_selectorELNS0_4arch9wavefront6targetE1EEEvSE_,@function
_ZN7rocprim17ROCPRIM_400000_NS6detail17trampoline_kernelINS0_14default_configENS1_35radix_sort_onesweep_config_selectorIfNS0_10empty_typeEEEZZNS1_29radix_sort_onesweep_iterationIS3_Lb1EPfS8_PS5_S9_mNS0_19identity_decomposerENS1_16block_id_wrapperIjLb1EEEEE10hipError_tT1_PNSt15iterator_traitsISE_E10value_typeET2_T3_PNSF_ISK_E10value_typeET4_T5_PSP_SQ_PNS1_23onesweep_lookback_stateEbbT6_jjT7_P12ihipStream_tbENKUlT_T0_SE_SJ_E_clIS8_S8_S9_S9_EEDaSX_SY_SE_SJ_EUlSX_E_NS1_11comp_targetILNS1_3genE5ELNS1_11target_archE942ELNS1_3gpuE9ELNS1_3repE0EEENS1_47radix_sort_onesweep_sort_config_static_selectorELNS0_4arch9wavefront6targetE1EEEvSE_: ; @_ZN7rocprim17ROCPRIM_400000_NS6detail17trampoline_kernelINS0_14default_configENS1_35radix_sort_onesweep_config_selectorIfNS0_10empty_typeEEEZZNS1_29radix_sort_onesweep_iterationIS3_Lb1EPfS8_PS5_S9_mNS0_19identity_decomposerENS1_16block_id_wrapperIjLb1EEEEE10hipError_tT1_PNSt15iterator_traitsISE_E10value_typeET2_T3_PNSF_ISK_E10value_typeET4_T5_PSP_SQ_PNS1_23onesweep_lookback_stateEbbT6_jjT7_P12ihipStream_tbENKUlT_T0_SE_SJ_E_clIS8_S8_S9_S9_EEDaSX_SY_SE_SJ_EUlSX_E_NS1_11comp_targetILNS1_3genE5ELNS1_11target_archE942ELNS1_3gpuE9ELNS1_3repE0EEENS1_47radix_sort_onesweep_sort_config_static_selectorELNS0_4arch9wavefront6targetE1EEEvSE_
; %bb.0:
	.section	.rodata,"a",@progbits
	.p2align	6, 0x0
	.amdhsa_kernel _ZN7rocprim17ROCPRIM_400000_NS6detail17trampoline_kernelINS0_14default_configENS1_35radix_sort_onesweep_config_selectorIfNS0_10empty_typeEEEZZNS1_29radix_sort_onesweep_iterationIS3_Lb1EPfS8_PS5_S9_mNS0_19identity_decomposerENS1_16block_id_wrapperIjLb1EEEEE10hipError_tT1_PNSt15iterator_traitsISE_E10value_typeET2_T3_PNSF_ISK_E10value_typeET4_T5_PSP_SQ_PNS1_23onesweep_lookback_stateEbbT6_jjT7_P12ihipStream_tbENKUlT_T0_SE_SJ_E_clIS8_S8_S9_S9_EEDaSX_SY_SE_SJ_EUlSX_E_NS1_11comp_targetILNS1_3genE5ELNS1_11target_archE942ELNS1_3gpuE9ELNS1_3repE0EEENS1_47radix_sort_onesweep_sort_config_static_selectorELNS0_4arch9wavefront6targetE1EEEvSE_
		.amdhsa_group_segment_fixed_size 0
		.amdhsa_private_segment_fixed_size 0
		.amdhsa_kernarg_size 88
		.amdhsa_user_sgpr_count 6
		.amdhsa_user_sgpr_private_segment_buffer 1
		.amdhsa_user_sgpr_dispatch_ptr 0
		.amdhsa_user_sgpr_queue_ptr 0
		.amdhsa_user_sgpr_kernarg_segment_ptr 1
		.amdhsa_user_sgpr_dispatch_id 0
		.amdhsa_user_sgpr_flat_scratch_init 0
		.amdhsa_user_sgpr_kernarg_preload_length 0
		.amdhsa_user_sgpr_kernarg_preload_offset 0
		.amdhsa_user_sgpr_private_segment_size 0
		.amdhsa_uses_dynamic_stack 0
		.amdhsa_system_sgpr_private_segment_wavefront_offset 0
		.amdhsa_system_sgpr_workgroup_id_x 1
		.amdhsa_system_sgpr_workgroup_id_y 0
		.amdhsa_system_sgpr_workgroup_id_z 0
		.amdhsa_system_sgpr_workgroup_info 0
		.amdhsa_system_vgpr_workitem_id 0
		.amdhsa_next_free_vgpr 1
		.amdhsa_next_free_sgpr 0
		.amdhsa_accum_offset 4
		.amdhsa_reserve_vcc 0
		.amdhsa_reserve_flat_scratch 0
		.amdhsa_float_round_mode_32 0
		.amdhsa_float_round_mode_16_64 0
		.amdhsa_float_denorm_mode_32 3
		.amdhsa_float_denorm_mode_16_64 3
		.amdhsa_dx10_clamp 1
		.amdhsa_ieee_mode 1
		.amdhsa_fp16_overflow 0
		.amdhsa_tg_split 0
		.amdhsa_exception_fp_ieee_invalid_op 0
		.amdhsa_exception_fp_denorm_src 0
		.amdhsa_exception_fp_ieee_div_zero 0
		.amdhsa_exception_fp_ieee_overflow 0
		.amdhsa_exception_fp_ieee_underflow 0
		.amdhsa_exception_fp_ieee_inexact 0
		.amdhsa_exception_int_div_zero 0
	.end_amdhsa_kernel
	.section	.text._ZN7rocprim17ROCPRIM_400000_NS6detail17trampoline_kernelINS0_14default_configENS1_35radix_sort_onesweep_config_selectorIfNS0_10empty_typeEEEZZNS1_29radix_sort_onesweep_iterationIS3_Lb1EPfS8_PS5_S9_mNS0_19identity_decomposerENS1_16block_id_wrapperIjLb1EEEEE10hipError_tT1_PNSt15iterator_traitsISE_E10value_typeET2_T3_PNSF_ISK_E10value_typeET4_T5_PSP_SQ_PNS1_23onesweep_lookback_stateEbbT6_jjT7_P12ihipStream_tbENKUlT_T0_SE_SJ_E_clIS8_S8_S9_S9_EEDaSX_SY_SE_SJ_EUlSX_E_NS1_11comp_targetILNS1_3genE5ELNS1_11target_archE942ELNS1_3gpuE9ELNS1_3repE0EEENS1_47radix_sort_onesweep_sort_config_static_selectorELNS0_4arch9wavefront6targetE1EEEvSE_,"axG",@progbits,_ZN7rocprim17ROCPRIM_400000_NS6detail17trampoline_kernelINS0_14default_configENS1_35radix_sort_onesweep_config_selectorIfNS0_10empty_typeEEEZZNS1_29radix_sort_onesweep_iterationIS3_Lb1EPfS8_PS5_S9_mNS0_19identity_decomposerENS1_16block_id_wrapperIjLb1EEEEE10hipError_tT1_PNSt15iterator_traitsISE_E10value_typeET2_T3_PNSF_ISK_E10value_typeET4_T5_PSP_SQ_PNS1_23onesweep_lookback_stateEbbT6_jjT7_P12ihipStream_tbENKUlT_T0_SE_SJ_E_clIS8_S8_S9_S9_EEDaSX_SY_SE_SJ_EUlSX_E_NS1_11comp_targetILNS1_3genE5ELNS1_11target_archE942ELNS1_3gpuE9ELNS1_3repE0EEENS1_47radix_sort_onesweep_sort_config_static_selectorELNS0_4arch9wavefront6targetE1EEEvSE_,comdat
.Lfunc_end2548:
	.size	_ZN7rocprim17ROCPRIM_400000_NS6detail17trampoline_kernelINS0_14default_configENS1_35radix_sort_onesweep_config_selectorIfNS0_10empty_typeEEEZZNS1_29radix_sort_onesweep_iterationIS3_Lb1EPfS8_PS5_S9_mNS0_19identity_decomposerENS1_16block_id_wrapperIjLb1EEEEE10hipError_tT1_PNSt15iterator_traitsISE_E10value_typeET2_T3_PNSF_ISK_E10value_typeET4_T5_PSP_SQ_PNS1_23onesweep_lookback_stateEbbT6_jjT7_P12ihipStream_tbENKUlT_T0_SE_SJ_E_clIS8_S8_S9_S9_EEDaSX_SY_SE_SJ_EUlSX_E_NS1_11comp_targetILNS1_3genE5ELNS1_11target_archE942ELNS1_3gpuE9ELNS1_3repE0EEENS1_47radix_sort_onesweep_sort_config_static_selectorELNS0_4arch9wavefront6targetE1EEEvSE_, .Lfunc_end2548-_ZN7rocprim17ROCPRIM_400000_NS6detail17trampoline_kernelINS0_14default_configENS1_35radix_sort_onesweep_config_selectorIfNS0_10empty_typeEEEZZNS1_29radix_sort_onesweep_iterationIS3_Lb1EPfS8_PS5_S9_mNS0_19identity_decomposerENS1_16block_id_wrapperIjLb1EEEEE10hipError_tT1_PNSt15iterator_traitsISE_E10value_typeET2_T3_PNSF_ISK_E10value_typeET4_T5_PSP_SQ_PNS1_23onesweep_lookback_stateEbbT6_jjT7_P12ihipStream_tbENKUlT_T0_SE_SJ_E_clIS8_S8_S9_S9_EEDaSX_SY_SE_SJ_EUlSX_E_NS1_11comp_targetILNS1_3genE5ELNS1_11target_archE942ELNS1_3gpuE9ELNS1_3repE0EEENS1_47radix_sort_onesweep_sort_config_static_selectorELNS0_4arch9wavefront6targetE1EEEvSE_
                                        ; -- End function
	.section	.AMDGPU.csdata,"",@progbits
; Kernel info:
; codeLenInByte = 0
; NumSgprs: 4
; NumVgprs: 0
; NumAgprs: 0
; TotalNumVgprs: 0
; ScratchSize: 0
; MemoryBound: 0
; FloatMode: 240
; IeeeMode: 1
; LDSByteSize: 0 bytes/workgroup (compile time only)
; SGPRBlocks: 0
; VGPRBlocks: 0
; NumSGPRsForWavesPerEU: 4
; NumVGPRsForWavesPerEU: 1
; AccumOffset: 4
; Occupancy: 8
; WaveLimiterHint : 0
; COMPUTE_PGM_RSRC2:SCRATCH_EN: 0
; COMPUTE_PGM_RSRC2:USER_SGPR: 6
; COMPUTE_PGM_RSRC2:TRAP_HANDLER: 0
; COMPUTE_PGM_RSRC2:TGID_X_EN: 1
; COMPUTE_PGM_RSRC2:TGID_Y_EN: 0
; COMPUTE_PGM_RSRC2:TGID_Z_EN: 0
; COMPUTE_PGM_RSRC2:TIDIG_COMP_CNT: 0
; COMPUTE_PGM_RSRC3_GFX90A:ACCUM_OFFSET: 0
; COMPUTE_PGM_RSRC3_GFX90A:TG_SPLIT: 0
	.section	.text._ZN7rocprim17ROCPRIM_400000_NS6detail17trampoline_kernelINS0_14default_configENS1_35radix_sort_onesweep_config_selectorIfNS0_10empty_typeEEEZZNS1_29radix_sort_onesweep_iterationIS3_Lb1EPfS8_PS5_S9_mNS0_19identity_decomposerENS1_16block_id_wrapperIjLb1EEEEE10hipError_tT1_PNSt15iterator_traitsISE_E10value_typeET2_T3_PNSF_ISK_E10value_typeET4_T5_PSP_SQ_PNS1_23onesweep_lookback_stateEbbT6_jjT7_P12ihipStream_tbENKUlT_T0_SE_SJ_E_clIS8_S8_S9_S9_EEDaSX_SY_SE_SJ_EUlSX_E_NS1_11comp_targetILNS1_3genE2ELNS1_11target_archE906ELNS1_3gpuE6ELNS1_3repE0EEENS1_47radix_sort_onesweep_sort_config_static_selectorELNS0_4arch9wavefront6targetE1EEEvSE_,"axG",@progbits,_ZN7rocprim17ROCPRIM_400000_NS6detail17trampoline_kernelINS0_14default_configENS1_35radix_sort_onesweep_config_selectorIfNS0_10empty_typeEEEZZNS1_29radix_sort_onesweep_iterationIS3_Lb1EPfS8_PS5_S9_mNS0_19identity_decomposerENS1_16block_id_wrapperIjLb1EEEEE10hipError_tT1_PNSt15iterator_traitsISE_E10value_typeET2_T3_PNSF_ISK_E10value_typeET4_T5_PSP_SQ_PNS1_23onesweep_lookback_stateEbbT6_jjT7_P12ihipStream_tbENKUlT_T0_SE_SJ_E_clIS8_S8_S9_S9_EEDaSX_SY_SE_SJ_EUlSX_E_NS1_11comp_targetILNS1_3genE2ELNS1_11target_archE906ELNS1_3gpuE6ELNS1_3repE0EEENS1_47radix_sort_onesweep_sort_config_static_selectorELNS0_4arch9wavefront6targetE1EEEvSE_,comdat
	.protected	_ZN7rocprim17ROCPRIM_400000_NS6detail17trampoline_kernelINS0_14default_configENS1_35radix_sort_onesweep_config_selectorIfNS0_10empty_typeEEEZZNS1_29radix_sort_onesweep_iterationIS3_Lb1EPfS8_PS5_S9_mNS0_19identity_decomposerENS1_16block_id_wrapperIjLb1EEEEE10hipError_tT1_PNSt15iterator_traitsISE_E10value_typeET2_T3_PNSF_ISK_E10value_typeET4_T5_PSP_SQ_PNS1_23onesweep_lookback_stateEbbT6_jjT7_P12ihipStream_tbENKUlT_T0_SE_SJ_E_clIS8_S8_S9_S9_EEDaSX_SY_SE_SJ_EUlSX_E_NS1_11comp_targetILNS1_3genE2ELNS1_11target_archE906ELNS1_3gpuE6ELNS1_3repE0EEENS1_47radix_sort_onesweep_sort_config_static_selectorELNS0_4arch9wavefront6targetE1EEEvSE_ ; -- Begin function _ZN7rocprim17ROCPRIM_400000_NS6detail17trampoline_kernelINS0_14default_configENS1_35radix_sort_onesweep_config_selectorIfNS0_10empty_typeEEEZZNS1_29radix_sort_onesweep_iterationIS3_Lb1EPfS8_PS5_S9_mNS0_19identity_decomposerENS1_16block_id_wrapperIjLb1EEEEE10hipError_tT1_PNSt15iterator_traitsISE_E10value_typeET2_T3_PNSF_ISK_E10value_typeET4_T5_PSP_SQ_PNS1_23onesweep_lookback_stateEbbT6_jjT7_P12ihipStream_tbENKUlT_T0_SE_SJ_E_clIS8_S8_S9_S9_EEDaSX_SY_SE_SJ_EUlSX_E_NS1_11comp_targetILNS1_3genE2ELNS1_11target_archE906ELNS1_3gpuE6ELNS1_3repE0EEENS1_47radix_sort_onesweep_sort_config_static_selectorELNS0_4arch9wavefront6targetE1EEEvSE_
	.globl	_ZN7rocprim17ROCPRIM_400000_NS6detail17trampoline_kernelINS0_14default_configENS1_35radix_sort_onesweep_config_selectorIfNS0_10empty_typeEEEZZNS1_29radix_sort_onesweep_iterationIS3_Lb1EPfS8_PS5_S9_mNS0_19identity_decomposerENS1_16block_id_wrapperIjLb1EEEEE10hipError_tT1_PNSt15iterator_traitsISE_E10value_typeET2_T3_PNSF_ISK_E10value_typeET4_T5_PSP_SQ_PNS1_23onesweep_lookback_stateEbbT6_jjT7_P12ihipStream_tbENKUlT_T0_SE_SJ_E_clIS8_S8_S9_S9_EEDaSX_SY_SE_SJ_EUlSX_E_NS1_11comp_targetILNS1_3genE2ELNS1_11target_archE906ELNS1_3gpuE6ELNS1_3repE0EEENS1_47radix_sort_onesweep_sort_config_static_selectorELNS0_4arch9wavefront6targetE1EEEvSE_
	.p2align	8
	.type	_ZN7rocprim17ROCPRIM_400000_NS6detail17trampoline_kernelINS0_14default_configENS1_35radix_sort_onesweep_config_selectorIfNS0_10empty_typeEEEZZNS1_29radix_sort_onesweep_iterationIS3_Lb1EPfS8_PS5_S9_mNS0_19identity_decomposerENS1_16block_id_wrapperIjLb1EEEEE10hipError_tT1_PNSt15iterator_traitsISE_E10value_typeET2_T3_PNSF_ISK_E10value_typeET4_T5_PSP_SQ_PNS1_23onesweep_lookback_stateEbbT6_jjT7_P12ihipStream_tbENKUlT_T0_SE_SJ_E_clIS8_S8_S9_S9_EEDaSX_SY_SE_SJ_EUlSX_E_NS1_11comp_targetILNS1_3genE2ELNS1_11target_archE906ELNS1_3gpuE6ELNS1_3repE0EEENS1_47radix_sort_onesweep_sort_config_static_selectorELNS0_4arch9wavefront6targetE1EEEvSE_,@function
_ZN7rocprim17ROCPRIM_400000_NS6detail17trampoline_kernelINS0_14default_configENS1_35radix_sort_onesweep_config_selectorIfNS0_10empty_typeEEEZZNS1_29radix_sort_onesweep_iterationIS3_Lb1EPfS8_PS5_S9_mNS0_19identity_decomposerENS1_16block_id_wrapperIjLb1EEEEE10hipError_tT1_PNSt15iterator_traitsISE_E10value_typeET2_T3_PNSF_ISK_E10value_typeET4_T5_PSP_SQ_PNS1_23onesweep_lookback_stateEbbT6_jjT7_P12ihipStream_tbENKUlT_T0_SE_SJ_E_clIS8_S8_S9_S9_EEDaSX_SY_SE_SJ_EUlSX_E_NS1_11comp_targetILNS1_3genE2ELNS1_11target_archE906ELNS1_3gpuE6ELNS1_3repE0EEENS1_47radix_sort_onesweep_sort_config_static_selectorELNS0_4arch9wavefront6targetE1EEEvSE_: ; @_ZN7rocprim17ROCPRIM_400000_NS6detail17trampoline_kernelINS0_14default_configENS1_35radix_sort_onesweep_config_selectorIfNS0_10empty_typeEEEZZNS1_29radix_sort_onesweep_iterationIS3_Lb1EPfS8_PS5_S9_mNS0_19identity_decomposerENS1_16block_id_wrapperIjLb1EEEEE10hipError_tT1_PNSt15iterator_traitsISE_E10value_typeET2_T3_PNSF_ISK_E10value_typeET4_T5_PSP_SQ_PNS1_23onesweep_lookback_stateEbbT6_jjT7_P12ihipStream_tbENKUlT_T0_SE_SJ_E_clIS8_S8_S9_S9_EEDaSX_SY_SE_SJ_EUlSX_E_NS1_11comp_targetILNS1_3genE2ELNS1_11target_archE906ELNS1_3gpuE6ELNS1_3repE0EEENS1_47radix_sort_onesweep_sort_config_static_selectorELNS0_4arch9wavefront6targetE1EEEvSE_
; %bb.0:
	.section	.rodata,"a",@progbits
	.p2align	6, 0x0
	.amdhsa_kernel _ZN7rocprim17ROCPRIM_400000_NS6detail17trampoline_kernelINS0_14default_configENS1_35radix_sort_onesweep_config_selectorIfNS0_10empty_typeEEEZZNS1_29radix_sort_onesweep_iterationIS3_Lb1EPfS8_PS5_S9_mNS0_19identity_decomposerENS1_16block_id_wrapperIjLb1EEEEE10hipError_tT1_PNSt15iterator_traitsISE_E10value_typeET2_T3_PNSF_ISK_E10value_typeET4_T5_PSP_SQ_PNS1_23onesweep_lookback_stateEbbT6_jjT7_P12ihipStream_tbENKUlT_T0_SE_SJ_E_clIS8_S8_S9_S9_EEDaSX_SY_SE_SJ_EUlSX_E_NS1_11comp_targetILNS1_3genE2ELNS1_11target_archE906ELNS1_3gpuE6ELNS1_3repE0EEENS1_47radix_sort_onesweep_sort_config_static_selectorELNS0_4arch9wavefront6targetE1EEEvSE_
		.amdhsa_group_segment_fixed_size 0
		.amdhsa_private_segment_fixed_size 0
		.amdhsa_kernarg_size 88
		.amdhsa_user_sgpr_count 6
		.amdhsa_user_sgpr_private_segment_buffer 1
		.amdhsa_user_sgpr_dispatch_ptr 0
		.amdhsa_user_sgpr_queue_ptr 0
		.amdhsa_user_sgpr_kernarg_segment_ptr 1
		.amdhsa_user_sgpr_dispatch_id 0
		.amdhsa_user_sgpr_flat_scratch_init 0
		.amdhsa_user_sgpr_kernarg_preload_length 0
		.amdhsa_user_sgpr_kernarg_preload_offset 0
		.amdhsa_user_sgpr_private_segment_size 0
		.amdhsa_uses_dynamic_stack 0
		.amdhsa_system_sgpr_private_segment_wavefront_offset 0
		.amdhsa_system_sgpr_workgroup_id_x 1
		.amdhsa_system_sgpr_workgroup_id_y 0
		.amdhsa_system_sgpr_workgroup_id_z 0
		.amdhsa_system_sgpr_workgroup_info 0
		.amdhsa_system_vgpr_workitem_id 0
		.amdhsa_next_free_vgpr 1
		.amdhsa_next_free_sgpr 0
		.amdhsa_accum_offset 4
		.amdhsa_reserve_vcc 0
		.amdhsa_reserve_flat_scratch 0
		.amdhsa_float_round_mode_32 0
		.amdhsa_float_round_mode_16_64 0
		.amdhsa_float_denorm_mode_32 3
		.amdhsa_float_denorm_mode_16_64 3
		.amdhsa_dx10_clamp 1
		.amdhsa_ieee_mode 1
		.amdhsa_fp16_overflow 0
		.amdhsa_tg_split 0
		.amdhsa_exception_fp_ieee_invalid_op 0
		.amdhsa_exception_fp_denorm_src 0
		.amdhsa_exception_fp_ieee_div_zero 0
		.amdhsa_exception_fp_ieee_overflow 0
		.amdhsa_exception_fp_ieee_underflow 0
		.amdhsa_exception_fp_ieee_inexact 0
		.amdhsa_exception_int_div_zero 0
	.end_amdhsa_kernel
	.section	.text._ZN7rocprim17ROCPRIM_400000_NS6detail17trampoline_kernelINS0_14default_configENS1_35radix_sort_onesweep_config_selectorIfNS0_10empty_typeEEEZZNS1_29radix_sort_onesweep_iterationIS3_Lb1EPfS8_PS5_S9_mNS0_19identity_decomposerENS1_16block_id_wrapperIjLb1EEEEE10hipError_tT1_PNSt15iterator_traitsISE_E10value_typeET2_T3_PNSF_ISK_E10value_typeET4_T5_PSP_SQ_PNS1_23onesweep_lookback_stateEbbT6_jjT7_P12ihipStream_tbENKUlT_T0_SE_SJ_E_clIS8_S8_S9_S9_EEDaSX_SY_SE_SJ_EUlSX_E_NS1_11comp_targetILNS1_3genE2ELNS1_11target_archE906ELNS1_3gpuE6ELNS1_3repE0EEENS1_47radix_sort_onesweep_sort_config_static_selectorELNS0_4arch9wavefront6targetE1EEEvSE_,"axG",@progbits,_ZN7rocprim17ROCPRIM_400000_NS6detail17trampoline_kernelINS0_14default_configENS1_35radix_sort_onesweep_config_selectorIfNS0_10empty_typeEEEZZNS1_29radix_sort_onesweep_iterationIS3_Lb1EPfS8_PS5_S9_mNS0_19identity_decomposerENS1_16block_id_wrapperIjLb1EEEEE10hipError_tT1_PNSt15iterator_traitsISE_E10value_typeET2_T3_PNSF_ISK_E10value_typeET4_T5_PSP_SQ_PNS1_23onesweep_lookback_stateEbbT6_jjT7_P12ihipStream_tbENKUlT_T0_SE_SJ_E_clIS8_S8_S9_S9_EEDaSX_SY_SE_SJ_EUlSX_E_NS1_11comp_targetILNS1_3genE2ELNS1_11target_archE906ELNS1_3gpuE6ELNS1_3repE0EEENS1_47radix_sort_onesweep_sort_config_static_selectorELNS0_4arch9wavefront6targetE1EEEvSE_,comdat
.Lfunc_end2549:
	.size	_ZN7rocprim17ROCPRIM_400000_NS6detail17trampoline_kernelINS0_14default_configENS1_35radix_sort_onesweep_config_selectorIfNS0_10empty_typeEEEZZNS1_29radix_sort_onesweep_iterationIS3_Lb1EPfS8_PS5_S9_mNS0_19identity_decomposerENS1_16block_id_wrapperIjLb1EEEEE10hipError_tT1_PNSt15iterator_traitsISE_E10value_typeET2_T3_PNSF_ISK_E10value_typeET4_T5_PSP_SQ_PNS1_23onesweep_lookback_stateEbbT6_jjT7_P12ihipStream_tbENKUlT_T0_SE_SJ_E_clIS8_S8_S9_S9_EEDaSX_SY_SE_SJ_EUlSX_E_NS1_11comp_targetILNS1_3genE2ELNS1_11target_archE906ELNS1_3gpuE6ELNS1_3repE0EEENS1_47radix_sort_onesweep_sort_config_static_selectorELNS0_4arch9wavefront6targetE1EEEvSE_, .Lfunc_end2549-_ZN7rocprim17ROCPRIM_400000_NS6detail17trampoline_kernelINS0_14default_configENS1_35radix_sort_onesweep_config_selectorIfNS0_10empty_typeEEEZZNS1_29radix_sort_onesweep_iterationIS3_Lb1EPfS8_PS5_S9_mNS0_19identity_decomposerENS1_16block_id_wrapperIjLb1EEEEE10hipError_tT1_PNSt15iterator_traitsISE_E10value_typeET2_T3_PNSF_ISK_E10value_typeET4_T5_PSP_SQ_PNS1_23onesweep_lookback_stateEbbT6_jjT7_P12ihipStream_tbENKUlT_T0_SE_SJ_E_clIS8_S8_S9_S9_EEDaSX_SY_SE_SJ_EUlSX_E_NS1_11comp_targetILNS1_3genE2ELNS1_11target_archE906ELNS1_3gpuE6ELNS1_3repE0EEENS1_47radix_sort_onesweep_sort_config_static_selectorELNS0_4arch9wavefront6targetE1EEEvSE_
                                        ; -- End function
	.section	.AMDGPU.csdata,"",@progbits
; Kernel info:
; codeLenInByte = 0
; NumSgprs: 4
; NumVgprs: 0
; NumAgprs: 0
; TotalNumVgprs: 0
; ScratchSize: 0
; MemoryBound: 0
; FloatMode: 240
; IeeeMode: 1
; LDSByteSize: 0 bytes/workgroup (compile time only)
; SGPRBlocks: 0
; VGPRBlocks: 0
; NumSGPRsForWavesPerEU: 4
; NumVGPRsForWavesPerEU: 1
; AccumOffset: 4
; Occupancy: 8
; WaveLimiterHint : 0
; COMPUTE_PGM_RSRC2:SCRATCH_EN: 0
; COMPUTE_PGM_RSRC2:USER_SGPR: 6
; COMPUTE_PGM_RSRC2:TRAP_HANDLER: 0
; COMPUTE_PGM_RSRC2:TGID_X_EN: 1
; COMPUTE_PGM_RSRC2:TGID_Y_EN: 0
; COMPUTE_PGM_RSRC2:TGID_Z_EN: 0
; COMPUTE_PGM_RSRC2:TIDIG_COMP_CNT: 0
; COMPUTE_PGM_RSRC3_GFX90A:ACCUM_OFFSET: 0
; COMPUTE_PGM_RSRC3_GFX90A:TG_SPLIT: 0
	.section	.text._ZN7rocprim17ROCPRIM_400000_NS6detail17trampoline_kernelINS0_14default_configENS1_35radix_sort_onesweep_config_selectorIfNS0_10empty_typeEEEZZNS1_29radix_sort_onesweep_iterationIS3_Lb1EPfS8_PS5_S9_mNS0_19identity_decomposerENS1_16block_id_wrapperIjLb1EEEEE10hipError_tT1_PNSt15iterator_traitsISE_E10value_typeET2_T3_PNSF_ISK_E10value_typeET4_T5_PSP_SQ_PNS1_23onesweep_lookback_stateEbbT6_jjT7_P12ihipStream_tbENKUlT_T0_SE_SJ_E_clIS8_S8_S9_S9_EEDaSX_SY_SE_SJ_EUlSX_E_NS1_11comp_targetILNS1_3genE4ELNS1_11target_archE910ELNS1_3gpuE8ELNS1_3repE0EEENS1_47radix_sort_onesweep_sort_config_static_selectorELNS0_4arch9wavefront6targetE1EEEvSE_,"axG",@progbits,_ZN7rocprim17ROCPRIM_400000_NS6detail17trampoline_kernelINS0_14default_configENS1_35radix_sort_onesweep_config_selectorIfNS0_10empty_typeEEEZZNS1_29radix_sort_onesweep_iterationIS3_Lb1EPfS8_PS5_S9_mNS0_19identity_decomposerENS1_16block_id_wrapperIjLb1EEEEE10hipError_tT1_PNSt15iterator_traitsISE_E10value_typeET2_T3_PNSF_ISK_E10value_typeET4_T5_PSP_SQ_PNS1_23onesweep_lookback_stateEbbT6_jjT7_P12ihipStream_tbENKUlT_T0_SE_SJ_E_clIS8_S8_S9_S9_EEDaSX_SY_SE_SJ_EUlSX_E_NS1_11comp_targetILNS1_3genE4ELNS1_11target_archE910ELNS1_3gpuE8ELNS1_3repE0EEENS1_47radix_sort_onesweep_sort_config_static_selectorELNS0_4arch9wavefront6targetE1EEEvSE_,comdat
	.protected	_ZN7rocprim17ROCPRIM_400000_NS6detail17trampoline_kernelINS0_14default_configENS1_35radix_sort_onesweep_config_selectorIfNS0_10empty_typeEEEZZNS1_29radix_sort_onesweep_iterationIS3_Lb1EPfS8_PS5_S9_mNS0_19identity_decomposerENS1_16block_id_wrapperIjLb1EEEEE10hipError_tT1_PNSt15iterator_traitsISE_E10value_typeET2_T3_PNSF_ISK_E10value_typeET4_T5_PSP_SQ_PNS1_23onesweep_lookback_stateEbbT6_jjT7_P12ihipStream_tbENKUlT_T0_SE_SJ_E_clIS8_S8_S9_S9_EEDaSX_SY_SE_SJ_EUlSX_E_NS1_11comp_targetILNS1_3genE4ELNS1_11target_archE910ELNS1_3gpuE8ELNS1_3repE0EEENS1_47radix_sort_onesweep_sort_config_static_selectorELNS0_4arch9wavefront6targetE1EEEvSE_ ; -- Begin function _ZN7rocprim17ROCPRIM_400000_NS6detail17trampoline_kernelINS0_14default_configENS1_35radix_sort_onesweep_config_selectorIfNS0_10empty_typeEEEZZNS1_29radix_sort_onesweep_iterationIS3_Lb1EPfS8_PS5_S9_mNS0_19identity_decomposerENS1_16block_id_wrapperIjLb1EEEEE10hipError_tT1_PNSt15iterator_traitsISE_E10value_typeET2_T3_PNSF_ISK_E10value_typeET4_T5_PSP_SQ_PNS1_23onesweep_lookback_stateEbbT6_jjT7_P12ihipStream_tbENKUlT_T0_SE_SJ_E_clIS8_S8_S9_S9_EEDaSX_SY_SE_SJ_EUlSX_E_NS1_11comp_targetILNS1_3genE4ELNS1_11target_archE910ELNS1_3gpuE8ELNS1_3repE0EEENS1_47radix_sort_onesweep_sort_config_static_selectorELNS0_4arch9wavefront6targetE1EEEvSE_
	.globl	_ZN7rocprim17ROCPRIM_400000_NS6detail17trampoline_kernelINS0_14default_configENS1_35radix_sort_onesweep_config_selectorIfNS0_10empty_typeEEEZZNS1_29radix_sort_onesweep_iterationIS3_Lb1EPfS8_PS5_S9_mNS0_19identity_decomposerENS1_16block_id_wrapperIjLb1EEEEE10hipError_tT1_PNSt15iterator_traitsISE_E10value_typeET2_T3_PNSF_ISK_E10value_typeET4_T5_PSP_SQ_PNS1_23onesweep_lookback_stateEbbT6_jjT7_P12ihipStream_tbENKUlT_T0_SE_SJ_E_clIS8_S8_S9_S9_EEDaSX_SY_SE_SJ_EUlSX_E_NS1_11comp_targetILNS1_3genE4ELNS1_11target_archE910ELNS1_3gpuE8ELNS1_3repE0EEENS1_47radix_sort_onesweep_sort_config_static_selectorELNS0_4arch9wavefront6targetE1EEEvSE_
	.p2align	8
	.type	_ZN7rocprim17ROCPRIM_400000_NS6detail17trampoline_kernelINS0_14default_configENS1_35radix_sort_onesweep_config_selectorIfNS0_10empty_typeEEEZZNS1_29radix_sort_onesweep_iterationIS3_Lb1EPfS8_PS5_S9_mNS0_19identity_decomposerENS1_16block_id_wrapperIjLb1EEEEE10hipError_tT1_PNSt15iterator_traitsISE_E10value_typeET2_T3_PNSF_ISK_E10value_typeET4_T5_PSP_SQ_PNS1_23onesweep_lookback_stateEbbT6_jjT7_P12ihipStream_tbENKUlT_T0_SE_SJ_E_clIS8_S8_S9_S9_EEDaSX_SY_SE_SJ_EUlSX_E_NS1_11comp_targetILNS1_3genE4ELNS1_11target_archE910ELNS1_3gpuE8ELNS1_3repE0EEENS1_47radix_sort_onesweep_sort_config_static_selectorELNS0_4arch9wavefront6targetE1EEEvSE_,@function
_ZN7rocprim17ROCPRIM_400000_NS6detail17trampoline_kernelINS0_14default_configENS1_35radix_sort_onesweep_config_selectorIfNS0_10empty_typeEEEZZNS1_29radix_sort_onesweep_iterationIS3_Lb1EPfS8_PS5_S9_mNS0_19identity_decomposerENS1_16block_id_wrapperIjLb1EEEEE10hipError_tT1_PNSt15iterator_traitsISE_E10value_typeET2_T3_PNSF_ISK_E10value_typeET4_T5_PSP_SQ_PNS1_23onesweep_lookback_stateEbbT6_jjT7_P12ihipStream_tbENKUlT_T0_SE_SJ_E_clIS8_S8_S9_S9_EEDaSX_SY_SE_SJ_EUlSX_E_NS1_11comp_targetILNS1_3genE4ELNS1_11target_archE910ELNS1_3gpuE8ELNS1_3repE0EEENS1_47radix_sort_onesweep_sort_config_static_selectorELNS0_4arch9wavefront6targetE1EEEvSE_: ; @_ZN7rocprim17ROCPRIM_400000_NS6detail17trampoline_kernelINS0_14default_configENS1_35radix_sort_onesweep_config_selectorIfNS0_10empty_typeEEEZZNS1_29radix_sort_onesweep_iterationIS3_Lb1EPfS8_PS5_S9_mNS0_19identity_decomposerENS1_16block_id_wrapperIjLb1EEEEE10hipError_tT1_PNSt15iterator_traitsISE_E10value_typeET2_T3_PNSF_ISK_E10value_typeET4_T5_PSP_SQ_PNS1_23onesweep_lookback_stateEbbT6_jjT7_P12ihipStream_tbENKUlT_T0_SE_SJ_E_clIS8_S8_S9_S9_EEDaSX_SY_SE_SJ_EUlSX_E_NS1_11comp_targetILNS1_3genE4ELNS1_11target_archE910ELNS1_3gpuE8ELNS1_3repE0EEENS1_47radix_sort_onesweep_sort_config_static_selectorELNS0_4arch9wavefront6targetE1EEEvSE_
; %bb.0:
	s_load_dwordx4 s[16:19], s[4:5], 0x28
	s_load_dwordx2 s[14:15], s[4:5], 0x38
	s_load_dwordx4 s[20:23], s[4:5], 0x44
	v_and_b32_e32 v2, 0x3ff, v0
	v_cmp_eq_u32_e64 s[0:1], 0, v2
	s_and_saveexec_b64 s[2:3], s[0:1]
	s_cbranch_execz .LBB2550_4
; %bb.1:
	s_mov_b64 s[10:11], exec
	v_mbcnt_lo_u32_b32 v1, s10, 0
	v_mbcnt_hi_u32_b32 v1, s11, v1
	v_cmp_eq_u32_e32 vcc, 0, v1
                                        ; implicit-def: $vgpr3
	s_and_saveexec_b64 s[8:9], vcc
	s_cbranch_execz .LBB2550_3
; %bb.2:
	s_load_dwordx2 s[12:13], s[4:5], 0x50
	s_bcnt1_i32_b64 s7, s[10:11]
	v_mov_b32_e32 v3, 0
	v_mov_b32_e32 v4, s7
	s_waitcnt lgkmcnt(0)
	global_atomic_add v3, v3, v4, s[12:13] glc
.LBB2550_3:
	s_or_b64 exec, exec, s[8:9]
	s_waitcnt vmcnt(0)
	v_readfirstlane_b32 s7, v3
	v_add_u32_e32 v1, s7, v1
	v_mov_b32_e32 v3, 0
	ds_write_b32 v3, v1 offset:20544
.LBB2550_4:
	s_or_b64 exec, exec, s[2:3]
	v_mov_b32_e32 v1, 0
	s_load_dwordx4 s[24:27], s[4:5], 0x0
	s_load_dword s2, s[4:5], 0x20
	s_waitcnt lgkmcnt(0)
	s_barrier
	ds_read_b32 v1, v1 offset:20544
	v_mbcnt_lo_u32_b32 v12, -1, 0
	s_waitcnt lgkmcnt(0)
	s_barrier
	v_readfirstlane_b32 s30, v1
	v_cmp_le_u32_e32 vcc, s22, v1
	s_mul_i32 s28, s30, 0x3000
	s_cbranch_vccz .LBB2550_85
; %bb.5:
	s_mul_i32 s7, s22, 0xffffd000
	s_mov_b32 s29, 0
	s_add_i32 s7, s7, s2
	s_lshl_b64 s[2:3], s[28:29], 2
	v_mbcnt_hi_u32_b32 v1, -1, v12
	s_add_u32 s2, s24, s2
	v_and_b32_e32 v3, 63, v1
	v_and_b32_e32 v4, 0x3c0, v2
	s_addc_u32 s3, s25, s3
	v_mul_u32_u24_e32 v6, 12, v4
	v_lshlrev_b32_e32 v4, 2, v3
	v_mov_b32_e32 v5, s3
	v_add_co_u32_e32 v4, vcc, s2, v4
	v_addc_co_u32_e32 v5, vcc, 0, v5, vcc
	v_lshlrev_b32_e32 v7, 2, v6
	v_add_co_u32_e32 v4, vcc, v4, v7
	v_addc_co_u32_e32 v5, vcc, 0, v5, vcc
	v_or_b32_e32 v3, v3, v6
	v_cmp_gt_u32_e32 vcc, s7, v3
	v_mov_b32_e32 v15, -1
	v_mov_b32_e32 v6, -1
	s_and_saveexec_b64 s[2:3], vcc
	s_cbranch_execz .LBB2550_7
; %bb.6:
	global_load_dword v6, v[4:5], off
.LBB2550_7:
	s_or_b64 exec, exec, s[2:3]
	v_or_b32_e32 v7, 64, v3
	v_cmp_gt_u32_e32 vcc, s7, v7
	v_mov_b32_e32 v9, -1
	s_and_saveexec_b64 s[2:3], vcc
	s_cbranch_execz .LBB2550_9
; %bb.8:
	global_load_dword v9, v[4:5], off offset:256
.LBB2550_9:
	s_or_b64 exec, exec, s[2:3]
	v_or_b32_e32 v7, 0x80, v3
	v_cmp_gt_u32_e32 vcc, s7, v7
	s_and_saveexec_b64 s[2:3], vcc
	s_cbranch_execz .LBB2550_11
; %bb.10:
	global_load_dword v15, v[4:5], off offset:512
.LBB2550_11:
	s_or_b64 exec, exec, s[2:3]
	v_or_b32_e32 v7, 0xc0, v3
	v_cmp_gt_u32_e32 vcc, s7, v7
	v_mov_b32_e32 v21, -1
	v_mov_b32_e32 v18, -1
	s_and_saveexec_b64 s[2:3], vcc
	s_cbranch_execz .LBB2550_13
; %bb.12:
	global_load_dword v18, v[4:5], off offset:768
.LBB2550_13:
	s_or_b64 exec, exec, s[2:3]
	v_add_u32_e32 v7, 0x100, v3
	v_cmp_gt_u32_e32 vcc, s7, v7
	s_and_saveexec_b64 s[2:3], vcc
	s_cbranch_execz .LBB2550_15
; %bb.14:
	global_load_dword v21, v[4:5], off offset:1024
.LBB2550_15:
	s_or_b64 exec, exec, s[2:3]
	v_add_u32_e32 v7, 0x140, v3
	v_cmp_gt_u32_e32 vcc, s7, v7
	v_mov_b32_e32 v28, -1
	v_mov_b32_e32 v24, -1
	s_and_saveexec_b64 s[2:3], vcc
	s_cbranch_execz .LBB2550_17
; %bb.16:
	global_load_dword v24, v[4:5], off offset:1280
.LBB2550_17:
	s_or_b64 exec, exec, s[2:3]
	v_add_u32_e32 v7, 0x180, v3
	v_cmp_gt_u32_e32 vcc, s7, v7
	s_and_saveexec_b64 s[2:3], vcc
	s_cbranch_execz .LBB2550_19
; %bb.18:
	global_load_dword v28, v[4:5], off offset:1536
.LBB2550_19:
	s_or_b64 exec, exec, s[2:3]
	v_add_u32_e32 v7, 0x1c0, v3
	;; [unrolled: 18-line block ×4, first 2 shown]
	v_cmp_gt_u32_e32 vcc, s7, v3
	v_mov_b32_e32 v10, -1
	s_and_saveexec_b64 s[2:3], vcc
	s_cbranch_execz .LBB2550_29
; %bb.28:
	global_load_dword v10, v[4:5], off offset:2816
.LBB2550_29:
	s_or_b64 exec, exec, s[2:3]
	s_load_dword s2, s[4:5], 0x64
	s_load_dword s29, s[4:5], 0x58
	s_add_u32 s3, s4, 0x58
	s_addc_u32 s8, s5, 0
	v_mov_b32_e32 v4, 0
	s_waitcnt lgkmcnt(0)
	s_lshr_b32 s9, s2, 16
	s_cmp_lt_u32 s6, s29
	s_cselect_b32 s2, 12, 18
	s_add_u32 s2, s3, s2
	s_addc_u32 s3, s8, 0
	global_load_ushort v7, v4, s[2:3]
	v_bfrev_b32_e32 v17, -2
	s_waitcnt vmcnt(1)
	v_cmp_gt_i32_e32 vcc, 0, v6
	v_cndmask_b32_e64 v13, v17, 0, vcc
	s_brev_b32 s8, 1
	v_xor_b32_e32 v13, v13, v6
	v_cmp_ne_u32_e32 vcc, s8, v13
	v_cndmask_b32_e32 v6, v17, v13, vcc
	s_lshl_b32 s2, -1, s21
	v_lshrrev_b32_e32 v6, s20, v6
	s_not_b32 s31, s2
	v_and_b32_e32 v14, s31, v6
	v_and_b32_e32 v6, 1, v14
	v_bfe_u32 v5, v0, 10, 10
	v_bfe_u32 v8, v0, 20, 10
	v_add_co_u32_e32 v19, vcc, -1, v6
	v_mad_u32_u24 v8, v8, s9, v5
	v_lshlrev_b32_e32 v5, 30, v14
	v_addc_co_u32_e64 v20, s[2:3], 0, -1, vcc
	v_cmp_ne_u32_e32 vcc, 0, v6
	v_cmp_gt_i64_e64 s[2:3], 0, v[4:5]
	v_not_b32_e32 v6, v5
	v_lshlrev_b32_e32 v5, 29, v14
	v_xor_b32_e32 v20, vcc_hi, v20
	v_xor_b32_e32 v19, vcc_lo, v19
	v_ashrrev_i32_e32 v6, 31, v6
	v_cmp_gt_i64_e32 vcc, 0, v[4:5]
	v_not_b32_e32 v22, v5
	v_lshlrev_b32_e32 v5, 28, v14
	v_and_b32_e32 v20, exec_hi, v20
	v_and_b32_e32 v19, exec_lo, v19
	v_xor_b32_e32 v23, s3, v6
	v_xor_b32_e32 v6, s2, v6
	v_ashrrev_i32_e32 v22, 31, v22
	v_cmp_gt_i64_e64 s[2:3], 0, v[4:5]
	v_not_b32_e32 v25, v5
	v_lshlrev_b32_e32 v5, 27, v14
	v_and_b32_e32 v20, v20, v23
	v_and_b32_e32 v6, v19, v6
	v_xor_b32_e32 v19, vcc_hi, v22
	v_xor_b32_e32 v22, vcc_lo, v22
	v_ashrrev_i32_e32 v23, 31, v25
	v_cmp_gt_i64_e32 vcc, 0, v[4:5]
	v_not_b32_e32 v25, v5
	v_lshlrev_b32_e32 v5, 26, v14
	v_and_b32_e32 v19, v20, v19
	v_and_b32_e32 v6, v6, v22
	v_xor_b32_e32 v20, s3, v23
	v_xor_b32_e32 v22, s2, v23
	v_ashrrev_i32_e32 v23, 31, v25
	v_not_b32_e32 v25, v5
	v_mul_u32_u24_e32 v3, 5, v2
	v_cmp_gt_i64_e64 s[2:3], 0, v[4:5]
	v_lshlrev_b32_e32 v5, 25, v14
	v_and_b32_e32 v19, v19, v20
	v_and_b32_e32 v6, v6, v22
	v_xor_b32_e32 v20, vcc_hi, v23
	v_xor_b32_e32 v22, vcc_lo, v23
	v_ashrrev_i32_e32 v23, 31, v25
	v_lshlrev_b32_e32 v3, 2, v3
	v_cmp_gt_i64_e32 vcc, 0, v[4:5]
	v_not_b32_e32 v5, v5
	v_and_b32_e32 v19, v19, v20
	v_and_b32_e32 v6, v6, v22
	v_xor_b32_e32 v20, s3, v23
	v_xor_b32_e32 v22, s2, v23
	v_ashrrev_i32_e32 v5, 31, v5
	v_and_b32_e32 v19, v19, v20
	v_and_b32_e32 v20, v6, v22
	v_lshl_add_u32 v16, v14, 4, v14
	v_xor_b32_e32 v22, vcc_hi, v5
	v_xor_b32_e32 v5, vcc_lo, v5
	ds_write2_b32 v3, v4, v4 offset0:16 offset1:17
	ds_write2_b32 v3, v4, v4 offset0:18 offset1:19
	ds_write_b32 v3, v4 offset:80
	s_waitcnt lgkmcnt(0)
	s_barrier
	s_waitcnt lgkmcnt(0)
	; wave barrier
	s_waitcnt vmcnt(0)
	v_mad_u64_u32 v[6:7], s[2:3], v8, v7, v[2:3]
	v_lshrrev_b32_e32 v29, 6, v6
	v_add_lshl_u32 v8, v29, v16, 2
	v_and_b32_e32 v16, v20, v5
	v_lshlrev_b32_e32 v5, 24, v14
	v_cmp_gt_i64_e32 vcc, 0, v[4:5]
	v_not_b32_e32 v5, v5
	v_ashrrev_i32_e32 v5, 31, v5
	v_and_b32_e32 v6, v19, v22
	v_xor_b32_e32 v7, vcc_hi, v5
	v_xor_b32_e32 v5, vcc_lo, v5
	v_and_b32_e32 v7, v6, v7
	v_and_b32_e32 v6, v16, v5
	v_mbcnt_lo_u32_b32 v5, v6, 0
	v_mbcnt_hi_u32_b32 v16, v7, v5
	v_cmp_eq_u32_e32 vcc, 0, v16
	v_cmp_ne_u64_e64 s[2:3], 0, v[6:7]
	s_and_b64 s[10:11], s[2:3], vcc
	s_and_saveexec_b64 s[2:3], s[10:11]
	s_cbranch_execz .LBB2550_31
; %bb.30:
	v_bcnt_u32_b32 v5, v6, 0
	v_bcnt_u32_b32 v5, v7, v5
	ds_write_b32 v8, v5 offset:64
.LBB2550_31:
	s_or_b64 exec, exec, s[2:3]
	v_cmp_gt_i32_e32 vcc, 0, v9
	v_cndmask_b32_e64 v5, v17, 0, vcc
	v_xor_b32_e32 v14, v5, v9
	v_cmp_ne_u32_e32 vcc, s8, v14
	v_cndmask_b32_e32 v5, v17, v14, vcc
	v_lshrrev_b32_e32 v5, s20, v5
	v_and_b32_e32 v6, s31, v5
	v_lshl_add_u32 v5, v6, 4, v6
	v_add_lshl_u32 v9, v29, v5, 2
	v_and_b32_e32 v5, 1, v6
	v_add_co_u32_e32 v7, vcc, -1, v5
	v_addc_co_u32_e64 v19, s[2:3], 0, -1, vcc
	v_cmp_ne_u32_e32 vcc, 0, v5
	v_xor_b32_e32 v5, vcc_hi, v19
	v_and_b32_e32 v19, exec_hi, v5
	v_lshlrev_b32_e32 v5, 30, v6
	v_xor_b32_e32 v7, vcc_lo, v7
	v_cmp_gt_i64_e32 vcc, 0, v[4:5]
	v_not_b32_e32 v5, v5
	v_ashrrev_i32_e32 v5, 31, v5
	v_and_b32_e32 v7, exec_lo, v7
	v_xor_b32_e32 v20, vcc_hi, v5
	v_xor_b32_e32 v5, vcc_lo, v5
	v_and_b32_e32 v7, v7, v5
	v_lshlrev_b32_e32 v5, 29, v6
	v_cmp_gt_i64_e32 vcc, 0, v[4:5]
	v_not_b32_e32 v5, v5
	v_ashrrev_i32_e32 v5, 31, v5
	v_and_b32_e32 v19, v19, v20
	v_xor_b32_e32 v20, vcc_hi, v5
	v_xor_b32_e32 v5, vcc_lo, v5
	v_and_b32_e32 v7, v7, v5
	v_lshlrev_b32_e32 v5, 28, v6
	v_cmp_gt_i64_e32 vcc, 0, v[4:5]
	v_not_b32_e32 v5, v5
	v_ashrrev_i32_e32 v5, 31, v5
	v_and_b32_e32 v19, v19, v20
	;; [unrolled: 8-line block ×5, first 2 shown]
	v_xor_b32_e32 v20, vcc_hi, v5
	v_xor_b32_e32 v5, vcc_lo, v5
	v_and_b32_e32 v7, v7, v5
	v_lshlrev_b32_e32 v5, 24, v6
	v_cmp_gt_i64_e32 vcc, 0, v[4:5]
	v_not_b32_e32 v4, v5
	v_ashrrev_i32_e32 v4, 31, v4
	v_xor_b32_e32 v5, vcc_hi, v4
	v_xor_b32_e32 v4, vcc_lo, v4
	; wave barrier
	ds_read_b32 v17, v9 offset:64
	v_and_b32_e32 v19, v19, v20
	v_and_b32_e32 v4, v7, v4
	;; [unrolled: 1-line block ×3, first 2 shown]
	v_mbcnt_lo_u32_b32 v6, v4, 0
	v_mbcnt_hi_u32_b32 v19, v5, v6
	v_cmp_eq_u32_e32 vcc, 0, v19
	v_cmp_ne_u64_e64 s[2:3], 0, v[4:5]
	s_and_b64 s[8:9], s[2:3], vcc
	; wave barrier
	s_and_saveexec_b64 s[2:3], s[8:9]
	s_cbranch_execz .LBB2550_33
; %bb.32:
	v_bcnt_u32_b32 v4, v4, 0
	v_bcnt_u32_b32 v4, v5, v4
	s_waitcnt lgkmcnt(0)
	v_add_u32_e32 v4, v17, v4
	ds_write_b32 v9, v4 offset:64
.LBB2550_33:
	s_or_b64 exec, exec, s[2:3]
	v_bfrev_b32_e32 v23, -2
	v_cmp_gt_i32_e32 vcc, 0, v15
	v_cndmask_b32_e64 v5, v23, 0, vcc
	v_xor_b32_e32 v15, v5, v15
	s_brev_b32 s8, 1
	v_cmp_ne_u32_e32 vcc, s8, v15
	v_cndmask_b32_e32 v5, v23, v15, vcc
	v_lshrrev_b32_e32 v5, s20, v5
	v_and_b32_e32 v6, s31, v5
	v_lshl_add_u32 v5, v6, 4, v6
	v_add_lshl_u32 v26, v29, v5, 2
	v_and_b32_e32 v5, 1, v6
	v_add_co_u32_e32 v7, vcc, -1, v5
	v_addc_co_u32_e64 v22, s[2:3], 0, -1, vcc
	v_cmp_ne_u32_e32 vcc, 0, v5
	v_xor_b32_e32 v5, vcc_hi, v22
	v_mov_b32_e32 v4, 0
	v_and_b32_e32 v22, exec_hi, v5
	v_lshlrev_b32_e32 v5, 30, v6
	v_xor_b32_e32 v7, vcc_lo, v7
	v_cmp_gt_i64_e32 vcc, 0, v[4:5]
	v_not_b32_e32 v5, v5
	v_ashrrev_i32_e32 v5, 31, v5
	v_and_b32_e32 v7, exec_lo, v7
	v_xor_b32_e32 v25, vcc_hi, v5
	v_xor_b32_e32 v5, vcc_lo, v5
	v_and_b32_e32 v7, v7, v5
	v_lshlrev_b32_e32 v5, 29, v6
	v_cmp_gt_i64_e32 vcc, 0, v[4:5]
	v_not_b32_e32 v5, v5
	v_ashrrev_i32_e32 v5, 31, v5
	v_and_b32_e32 v22, v22, v25
	v_xor_b32_e32 v25, vcc_hi, v5
	v_xor_b32_e32 v5, vcc_lo, v5
	v_and_b32_e32 v7, v7, v5
	v_lshlrev_b32_e32 v5, 28, v6
	v_cmp_gt_i64_e32 vcc, 0, v[4:5]
	v_not_b32_e32 v5, v5
	v_ashrrev_i32_e32 v5, 31, v5
	v_and_b32_e32 v22, v22, v25
	;; [unrolled: 8-line block ×5, first 2 shown]
	v_xor_b32_e32 v25, vcc_hi, v5
	v_xor_b32_e32 v5, vcc_lo, v5
	v_and_b32_e32 v22, v22, v25
	v_and_b32_e32 v25, v7, v5
	v_lshlrev_b32_e32 v5, 24, v6
	v_cmp_gt_i64_e32 vcc, 0, v[4:5]
	v_not_b32_e32 v5, v5
	v_ashrrev_i32_e32 v5, 31, v5
	v_xor_b32_e32 v6, vcc_hi, v5
	v_xor_b32_e32 v5, vcc_lo, v5
	; wave barrier
	ds_read_b32 v20, v26 offset:64
	v_and_b32_e32 v7, v22, v6
	v_and_b32_e32 v6, v25, v5
	v_mbcnt_lo_u32_b32 v5, v6, 0
	v_mbcnt_hi_u32_b32 v22, v7, v5
	v_cmp_eq_u32_e32 vcc, 0, v22
	v_cmp_ne_u64_e64 s[2:3], 0, v[6:7]
	s_and_b64 s[10:11], s[2:3], vcc
	; wave barrier
	s_and_saveexec_b64 s[2:3], s[10:11]
	s_cbranch_execz .LBB2550_35
; %bb.34:
	v_bcnt_u32_b32 v5, v6, 0
	v_bcnt_u32_b32 v5, v7, v5
	s_waitcnt lgkmcnt(0)
	v_add_u32_e32 v5, v20, v5
	ds_write_b32 v26, v5 offset:64
.LBB2550_35:
	s_or_b64 exec, exec, s[2:3]
	v_cmp_gt_i32_e32 vcc, 0, v18
	v_cndmask_b32_e64 v5, v23, 0, vcc
	v_xor_b32_e32 v18, v5, v18
	v_cmp_ne_u32_e32 vcc, s8, v18
	v_cndmask_b32_e32 v5, v23, v18, vcc
	v_lshrrev_b32_e32 v5, s20, v5
	v_and_b32_e32 v6, s31, v5
	v_lshl_add_u32 v5, v6, 4, v6
	v_add_lshl_u32 v32, v29, v5, 2
	v_and_b32_e32 v5, 1, v6
	v_add_co_u32_e32 v7, vcc, -1, v5
	v_addc_co_u32_e64 v25, s[2:3], 0, -1, vcc
	v_cmp_ne_u32_e32 vcc, 0, v5
	v_xor_b32_e32 v5, vcc_hi, v25
	v_and_b32_e32 v25, exec_hi, v5
	v_lshlrev_b32_e32 v5, 30, v6
	v_xor_b32_e32 v7, vcc_lo, v7
	v_cmp_gt_i64_e32 vcc, 0, v[4:5]
	v_not_b32_e32 v5, v5
	v_ashrrev_i32_e32 v5, 31, v5
	v_and_b32_e32 v7, exec_lo, v7
	v_xor_b32_e32 v27, vcc_hi, v5
	v_xor_b32_e32 v5, vcc_lo, v5
	v_and_b32_e32 v7, v7, v5
	v_lshlrev_b32_e32 v5, 29, v6
	v_cmp_gt_i64_e32 vcc, 0, v[4:5]
	v_not_b32_e32 v5, v5
	v_ashrrev_i32_e32 v5, 31, v5
	v_and_b32_e32 v25, v25, v27
	v_xor_b32_e32 v27, vcc_hi, v5
	v_xor_b32_e32 v5, vcc_lo, v5
	v_and_b32_e32 v7, v7, v5
	v_lshlrev_b32_e32 v5, 28, v6
	v_cmp_gt_i64_e32 vcc, 0, v[4:5]
	v_not_b32_e32 v5, v5
	v_ashrrev_i32_e32 v5, 31, v5
	v_and_b32_e32 v25, v25, v27
	v_xor_b32_e32 v27, vcc_hi, v5
	v_xor_b32_e32 v5, vcc_lo, v5
	v_and_b32_e32 v7, v7, v5
	v_lshlrev_b32_e32 v5, 27, v6
	v_cmp_gt_i64_e32 vcc, 0, v[4:5]
	v_not_b32_e32 v5, v5
	v_ashrrev_i32_e32 v5, 31, v5
	v_and_b32_e32 v25, v25, v27
	v_xor_b32_e32 v27, vcc_hi, v5
	v_xor_b32_e32 v5, vcc_lo, v5
	v_and_b32_e32 v7, v7, v5
	v_lshlrev_b32_e32 v5, 26, v6
	v_cmp_gt_i64_e32 vcc, 0, v[4:5]
	v_not_b32_e32 v5, v5
	v_ashrrev_i32_e32 v5, 31, v5
	v_and_b32_e32 v25, v25, v27
	v_xor_b32_e32 v27, vcc_hi, v5
	v_xor_b32_e32 v5, vcc_lo, v5
	v_and_b32_e32 v7, v7, v5
	v_lshlrev_b32_e32 v5, 25, v6
	v_cmp_gt_i64_e32 vcc, 0, v[4:5]
	v_not_b32_e32 v5, v5
	v_ashrrev_i32_e32 v5, 31, v5
	v_and_b32_e32 v25, v25, v27
	v_xor_b32_e32 v27, vcc_hi, v5
	v_xor_b32_e32 v5, vcc_lo, v5
	v_and_b32_e32 v7, v7, v5
	v_lshlrev_b32_e32 v5, 24, v6
	v_cmp_gt_i64_e32 vcc, 0, v[4:5]
	v_not_b32_e32 v4, v5
	v_ashrrev_i32_e32 v4, 31, v4
	v_xor_b32_e32 v5, vcc_hi, v4
	v_xor_b32_e32 v4, vcc_lo, v4
	; wave barrier
	ds_read_b32 v23, v32 offset:64
	v_and_b32_e32 v25, v25, v27
	v_and_b32_e32 v4, v7, v4
	;; [unrolled: 1-line block ×3, first 2 shown]
	v_mbcnt_lo_u32_b32 v6, v4, 0
	v_mbcnt_hi_u32_b32 v25, v5, v6
	v_cmp_eq_u32_e32 vcc, 0, v25
	v_cmp_ne_u64_e64 s[2:3], 0, v[4:5]
	s_and_b64 s[8:9], s[2:3], vcc
	; wave barrier
	s_and_saveexec_b64 s[2:3], s[8:9]
	s_cbranch_execz .LBB2550_37
; %bb.36:
	v_bcnt_u32_b32 v4, v4, 0
	v_bcnt_u32_b32 v4, v5, v4
	s_waitcnt lgkmcnt(0)
	v_add_u32_e32 v4, v23, v4
	ds_write_b32 v32, v4 offset:64
.LBB2550_37:
	s_or_b64 exec, exec, s[2:3]
	v_bfrev_b32_e32 v33, -2
	v_cmp_gt_i32_e32 vcc, 0, v21
	v_cndmask_b32_e64 v5, v33, 0, vcc
	v_xor_b32_e32 v21, v5, v21
	s_brev_b32 s8, 1
	v_cmp_ne_u32_e32 vcc, s8, v21
	v_cndmask_b32_e32 v5, v33, v21, vcc
	v_lshrrev_b32_e32 v5, s20, v5
	v_and_b32_e32 v6, s31, v5
	v_lshl_add_u32 v5, v6, 4, v6
	v_add_lshl_u32 v37, v29, v5, 2
	v_and_b32_e32 v5, 1, v6
	v_add_co_u32_e32 v7, vcc, -1, v5
	v_addc_co_u32_e64 v31, s[2:3], 0, -1, vcc
	v_cmp_ne_u32_e32 vcc, 0, v5
	v_xor_b32_e32 v5, vcc_hi, v31
	v_mov_b32_e32 v4, 0
	v_and_b32_e32 v31, exec_hi, v5
	v_lshlrev_b32_e32 v5, 30, v6
	v_xor_b32_e32 v7, vcc_lo, v7
	v_cmp_gt_i64_e32 vcc, 0, v[4:5]
	v_not_b32_e32 v5, v5
	v_ashrrev_i32_e32 v5, 31, v5
	v_and_b32_e32 v7, exec_lo, v7
	v_xor_b32_e32 v36, vcc_hi, v5
	v_xor_b32_e32 v5, vcc_lo, v5
	v_and_b32_e32 v7, v7, v5
	v_lshlrev_b32_e32 v5, 29, v6
	v_cmp_gt_i64_e32 vcc, 0, v[4:5]
	v_not_b32_e32 v5, v5
	v_ashrrev_i32_e32 v5, 31, v5
	v_and_b32_e32 v31, v31, v36
	v_xor_b32_e32 v36, vcc_hi, v5
	v_xor_b32_e32 v5, vcc_lo, v5
	v_and_b32_e32 v7, v7, v5
	v_lshlrev_b32_e32 v5, 28, v6
	v_cmp_gt_i64_e32 vcc, 0, v[4:5]
	v_not_b32_e32 v5, v5
	v_ashrrev_i32_e32 v5, 31, v5
	v_and_b32_e32 v31, v31, v36
	;; [unrolled: 8-line block ×5, first 2 shown]
	v_xor_b32_e32 v36, vcc_hi, v5
	v_xor_b32_e32 v5, vcc_lo, v5
	v_and_b32_e32 v31, v31, v36
	v_and_b32_e32 v36, v7, v5
	v_lshlrev_b32_e32 v5, 24, v6
	v_cmp_gt_i64_e32 vcc, 0, v[4:5]
	v_not_b32_e32 v5, v5
	v_ashrrev_i32_e32 v5, 31, v5
	v_xor_b32_e32 v6, vcc_hi, v5
	v_xor_b32_e32 v5, vcc_lo, v5
	; wave barrier
	ds_read_b32 v27, v37 offset:64
	v_and_b32_e32 v7, v31, v6
	v_and_b32_e32 v6, v36, v5
	v_mbcnt_lo_u32_b32 v5, v6, 0
	v_mbcnt_hi_u32_b32 v31, v7, v5
	v_cmp_eq_u32_e32 vcc, 0, v31
	v_cmp_ne_u64_e64 s[2:3], 0, v[6:7]
	s_and_b64 s[10:11], s[2:3], vcc
	; wave barrier
	s_and_saveexec_b64 s[2:3], s[10:11]
	s_cbranch_execz .LBB2550_39
; %bb.38:
	v_bcnt_u32_b32 v5, v6, 0
	v_bcnt_u32_b32 v5, v7, v5
	s_waitcnt lgkmcnt(0)
	v_add_u32_e32 v5, v27, v5
	ds_write_b32 v37, v5 offset:64
.LBB2550_39:
	s_or_b64 exec, exec, s[2:3]
	v_cmp_gt_i32_e32 vcc, 0, v24
	v_cndmask_b32_e64 v5, v33, 0, vcc
	v_xor_b32_e32 v24, v5, v24
	v_cmp_ne_u32_e32 vcc, s8, v24
	v_cndmask_b32_e32 v5, v33, v24, vcc
	v_lshrrev_b32_e32 v5, s20, v5
	v_and_b32_e32 v6, s31, v5
	v_lshl_add_u32 v5, v6, 4, v6
	v_add_lshl_u32 v40, v29, v5, 2
	v_and_b32_e32 v5, 1, v6
	v_add_co_u32_e32 v7, vcc, -1, v5
	v_addc_co_u32_e64 v36, s[2:3], 0, -1, vcc
	v_cmp_ne_u32_e32 vcc, 0, v5
	v_xor_b32_e32 v5, vcc_hi, v36
	v_and_b32_e32 v36, exec_hi, v5
	v_lshlrev_b32_e32 v5, 30, v6
	v_xor_b32_e32 v7, vcc_lo, v7
	v_cmp_gt_i64_e32 vcc, 0, v[4:5]
	v_not_b32_e32 v5, v5
	v_ashrrev_i32_e32 v5, 31, v5
	v_and_b32_e32 v7, exec_lo, v7
	v_xor_b32_e32 v38, vcc_hi, v5
	v_xor_b32_e32 v5, vcc_lo, v5
	v_and_b32_e32 v7, v7, v5
	v_lshlrev_b32_e32 v5, 29, v6
	v_cmp_gt_i64_e32 vcc, 0, v[4:5]
	v_not_b32_e32 v5, v5
	v_ashrrev_i32_e32 v5, 31, v5
	v_and_b32_e32 v36, v36, v38
	v_xor_b32_e32 v38, vcc_hi, v5
	v_xor_b32_e32 v5, vcc_lo, v5
	v_and_b32_e32 v7, v7, v5
	v_lshlrev_b32_e32 v5, 28, v6
	v_cmp_gt_i64_e32 vcc, 0, v[4:5]
	v_not_b32_e32 v5, v5
	v_ashrrev_i32_e32 v5, 31, v5
	v_and_b32_e32 v36, v36, v38
	;; [unrolled: 8-line block ×5, first 2 shown]
	v_xor_b32_e32 v38, vcc_hi, v5
	v_xor_b32_e32 v5, vcc_lo, v5
	v_and_b32_e32 v7, v7, v5
	v_lshlrev_b32_e32 v5, 24, v6
	v_cmp_gt_i64_e32 vcc, 0, v[4:5]
	v_not_b32_e32 v4, v5
	v_ashrrev_i32_e32 v4, 31, v4
	v_xor_b32_e32 v5, vcc_hi, v4
	v_xor_b32_e32 v4, vcc_lo, v4
	; wave barrier
	ds_read_b32 v33, v40 offset:64
	v_and_b32_e32 v36, v36, v38
	v_and_b32_e32 v4, v7, v4
	;; [unrolled: 1-line block ×3, first 2 shown]
	v_mbcnt_lo_u32_b32 v6, v4, 0
	v_mbcnt_hi_u32_b32 v36, v5, v6
	v_cmp_eq_u32_e32 vcc, 0, v36
	v_cmp_ne_u64_e64 s[2:3], 0, v[4:5]
	s_and_b64 s[8:9], s[2:3], vcc
	; wave barrier
	s_and_saveexec_b64 s[2:3], s[8:9]
	s_cbranch_execz .LBB2550_41
; %bb.40:
	v_bcnt_u32_b32 v4, v4, 0
	v_bcnt_u32_b32 v4, v5, v4
	s_waitcnt lgkmcnt(0)
	v_add_u32_e32 v4, v33, v4
	ds_write_b32 v40, v4 offset:64
.LBB2550_41:
	s_or_b64 exec, exec, s[2:3]
	v_bfrev_b32_e32 v41, -2
	v_cmp_gt_i32_e32 vcc, 0, v28
	v_cndmask_b32_e64 v5, v41, 0, vcc
	v_xor_b32_e32 v28, v5, v28
	s_brev_b32 s8, 1
	v_cmp_ne_u32_e32 vcc, s8, v28
	v_cndmask_b32_e32 v5, v41, v28, vcc
	v_lshrrev_b32_e32 v5, s20, v5
	v_and_b32_e32 v6, s31, v5
	v_lshl_add_u32 v5, v6, 4, v6
	v_add_lshl_u32 v43, v29, v5, 2
	v_and_b32_e32 v5, 1, v6
	v_add_co_u32_e32 v7, vcc, -1, v5
	v_addc_co_u32_e64 v39, s[2:3], 0, -1, vcc
	v_cmp_ne_u32_e32 vcc, 0, v5
	v_xor_b32_e32 v5, vcc_hi, v39
	v_mov_b32_e32 v4, 0
	v_and_b32_e32 v39, exec_hi, v5
	v_lshlrev_b32_e32 v5, 30, v6
	v_xor_b32_e32 v7, vcc_lo, v7
	v_cmp_gt_i64_e32 vcc, 0, v[4:5]
	v_not_b32_e32 v5, v5
	v_ashrrev_i32_e32 v5, 31, v5
	v_and_b32_e32 v7, exec_lo, v7
	v_xor_b32_e32 v42, vcc_hi, v5
	v_xor_b32_e32 v5, vcc_lo, v5
	v_and_b32_e32 v7, v7, v5
	v_lshlrev_b32_e32 v5, 29, v6
	v_cmp_gt_i64_e32 vcc, 0, v[4:5]
	v_not_b32_e32 v5, v5
	v_ashrrev_i32_e32 v5, 31, v5
	v_and_b32_e32 v39, v39, v42
	v_xor_b32_e32 v42, vcc_hi, v5
	v_xor_b32_e32 v5, vcc_lo, v5
	v_and_b32_e32 v7, v7, v5
	v_lshlrev_b32_e32 v5, 28, v6
	v_cmp_gt_i64_e32 vcc, 0, v[4:5]
	v_not_b32_e32 v5, v5
	v_ashrrev_i32_e32 v5, 31, v5
	v_and_b32_e32 v39, v39, v42
	;; [unrolled: 8-line block ×5, first 2 shown]
	v_xor_b32_e32 v42, vcc_hi, v5
	v_xor_b32_e32 v5, vcc_lo, v5
	v_and_b32_e32 v39, v39, v42
	v_and_b32_e32 v42, v7, v5
	v_lshlrev_b32_e32 v5, 24, v6
	v_cmp_gt_i64_e32 vcc, 0, v[4:5]
	v_not_b32_e32 v5, v5
	v_ashrrev_i32_e32 v5, 31, v5
	v_xor_b32_e32 v6, vcc_hi, v5
	v_xor_b32_e32 v5, vcc_lo, v5
	; wave barrier
	ds_read_b32 v38, v43 offset:64
	v_and_b32_e32 v7, v39, v6
	v_and_b32_e32 v6, v42, v5
	v_mbcnt_lo_u32_b32 v5, v6, 0
	v_mbcnt_hi_u32_b32 v39, v7, v5
	v_cmp_eq_u32_e32 vcc, 0, v39
	v_cmp_ne_u64_e64 s[2:3], 0, v[6:7]
	s_and_b64 s[10:11], s[2:3], vcc
	; wave barrier
	s_and_saveexec_b64 s[2:3], s[10:11]
	s_cbranch_execz .LBB2550_43
; %bb.42:
	v_bcnt_u32_b32 v5, v6, 0
	v_bcnt_u32_b32 v5, v7, v5
	s_waitcnt lgkmcnt(0)
	v_add_u32_e32 v5, v38, v5
	ds_write_b32 v43, v5 offset:64
.LBB2550_43:
	s_or_b64 exec, exec, s[2:3]
	v_cmp_gt_i32_e32 vcc, 0, v34
	v_cndmask_b32_e64 v5, v41, 0, vcc
	v_xor_b32_e32 v34, v5, v34
	v_cmp_ne_u32_e32 vcc, s8, v34
	v_cndmask_b32_e32 v5, v41, v34, vcc
	v_lshrrev_b32_e32 v5, s20, v5
	v_and_b32_e32 v6, s31, v5
	v_lshl_add_u32 v5, v6, 4, v6
	v_add_lshl_u32 v47, v29, v5, 2
	v_and_b32_e32 v5, 1, v6
	v_add_co_u32_e32 v7, vcc, -1, v5
	v_addc_co_u32_e64 v42, s[2:3], 0, -1, vcc
	v_cmp_ne_u32_e32 vcc, 0, v5
	v_xor_b32_e32 v5, vcc_hi, v42
	v_and_b32_e32 v42, exec_hi, v5
	v_lshlrev_b32_e32 v5, 30, v6
	v_xor_b32_e32 v7, vcc_lo, v7
	v_cmp_gt_i64_e32 vcc, 0, v[4:5]
	v_not_b32_e32 v5, v5
	v_ashrrev_i32_e32 v5, 31, v5
	v_and_b32_e32 v7, exec_lo, v7
	v_xor_b32_e32 v44, vcc_hi, v5
	v_xor_b32_e32 v5, vcc_lo, v5
	v_and_b32_e32 v7, v7, v5
	v_lshlrev_b32_e32 v5, 29, v6
	v_cmp_gt_i64_e32 vcc, 0, v[4:5]
	v_not_b32_e32 v5, v5
	v_ashrrev_i32_e32 v5, 31, v5
	v_and_b32_e32 v42, v42, v44
	v_xor_b32_e32 v44, vcc_hi, v5
	v_xor_b32_e32 v5, vcc_lo, v5
	v_and_b32_e32 v7, v7, v5
	v_lshlrev_b32_e32 v5, 28, v6
	v_cmp_gt_i64_e32 vcc, 0, v[4:5]
	v_not_b32_e32 v5, v5
	v_ashrrev_i32_e32 v5, 31, v5
	v_and_b32_e32 v42, v42, v44
	;; [unrolled: 8-line block ×5, first 2 shown]
	v_xor_b32_e32 v44, vcc_hi, v5
	v_xor_b32_e32 v5, vcc_lo, v5
	v_and_b32_e32 v7, v7, v5
	v_lshlrev_b32_e32 v5, 24, v6
	v_cmp_gt_i64_e32 vcc, 0, v[4:5]
	v_not_b32_e32 v4, v5
	v_ashrrev_i32_e32 v4, 31, v4
	v_xor_b32_e32 v5, vcc_hi, v4
	v_xor_b32_e32 v4, vcc_lo, v4
	; wave barrier
	ds_read_b32 v41, v47 offset:64
	v_and_b32_e32 v42, v42, v44
	v_and_b32_e32 v4, v7, v4
	;; [unrolled: 1-line block ×3, first 2 shown]
	v_mbcnt_lo_u32_b32 v6, v4, 0
	v_mbcnt_hi_u32_b32 v42, v5, v6
	v_cmp_eq_u32_e32 vcc, 0, v42
	v_cmp_ne_u64_e64 s[2:3], 0, v[4:5]
	s_and_b64 s[8:9], s[2:3], vcc
	; wave barrier
	s_and_saveexec_b64 s[2:3], s[8:9]
	s_cbranch_execz .LBB2550_45
; %bb.44:
	v_bcnt_u32_b32 v4, v4, 0
	v_bcnt_u32_b32 v4, v5, v4
	s_waitcnt lgkmcnt(0)
	v_add_u32_e32 v4, v41, v4
	ds_write_b32 v47, v4 offset:64
.LBB2550_45:
	s_or_b64 exec, exec, s[2:3]
	v_bfrev_b32_e32 v45, -2
	v_cmp_gt_i32_e32 vcc, 0, v35
	v_cndmask_b32_e64 v5, v45, 0, vcc
	v_xor_b32_e32 v35, v5, v35
	s_brev_b32 s8, 1
	v_cmp_ne_u32_e32 vcc, s8, v35
	v_cndmask_b32_e32 v5, v45, v35, vcc
	v_lshrrev_b32_e32 v5, s20, v5
	v_and_b32_e32 v6, s31, v5
	v_lshl_add_u32 v5, v6, 4, v6
	v_add_lshl_u32 v51, v29, v5, 2
	v_and_b32_e32 v5, 1, v6
	v_add_co_u32_e32 v7, vcc, -1, v5
	v_addc_co_u32_e64 v46, s[2:3], 0, -1, vcc
	v_cmp_ne_u32_e32 vcc, 0, v5
	v_xor_b32_e32 v5, vcc_hi, v46
	v_mov_b32_e32 v4, 0
	v_and_b32_e32 v46, exec_hi, v5
	v_lshlrev_b32_e32 v5, 30, v6
	v_xor_b32_e32 v7, vcc_lo, v7
	v_cmp_gt_i64_e32 vcc, 0, v[4:5]
	v_not_b32_e32 v5, v5
	v_ashrrev_i32_e32 v5, 31, v5
	v_and_b32_e32 v7, exec_lo, v7
	v_xor_b32_e32 v48, vcc_hi, v5
	v_xor_b32_e32 v5, vcc_lo, v5
	v_and_b32_e32 v7, v7, v5
	v_lshlrev_b32_e32 v5, 29, v6
	v_cmp_gt_i64_e32 vcc, 0, v[4:5]
	v_not_b32_e32 v5, v5
	v_ashrrev_i32_e32 v5, 31, v5
	v_and_b32_e32 v46, v46, v48
	v_xor_b32_e32 v48, vcc_hi, v5
	v_xor_b32_e32 v5, vcc_lo, v5
	v_and_b32_e32 v7, v7, v5
	v_lshlrev_b32_e32 v5, 28, v6
	v_cmp_gt_i64_e32 vcc, 0, v[4:5]
	v_not_b32_e32 v5, v5
	v_ashrrev_i32_e32 v5, 31, v5
	v_and_b32_e32 v46, v46, v48
	;; [unrolled: 8-line block ×5, first 2 shown]
	v_xor_b32_e32 v48, vcc_hi, v5
	v_xor_b32_e32 v5, vcc_lo, v5
	v_and_b32_e32 v46, v46, v48
	v_and_b32_e32 v48, v7, v5
	v_lshlrev_b32_e32 v5, 24, v6
	v_cmp_gt_i64_e32 vcc, 0, v[4:5]
	v_not_b32_e32 v5, v5
	v_ashrrev_i32_e32 v5, 31, v5
	v_xor_b32_e32 v6, vcc_hi, v5
	v_xor_b32_e32 v5, vcc_lo, v5
	; wave barrier
	ds_read_b32 v44, v51 offset:64
	v_and_b32_e32 v7, v46, v6
	v_and_b32_e32 v6, v48, v5
	v_mbcnt_lo_u32_b32 v5, v6, 0
	v_mbcnt_hi_u32_b32 v46, v7, v5
	v_cmp_eq_u32_e32 vcc, 0, v46
	v_cmp_ne_u64_e64 s[2:3], 0, v[6:7]
	s_and_b64 s[10:11], s[2:3], vcc
	; wave barrier
	s_and_saveexec_b64 s[2:3], s[10:11]
	s_cbranch_execz .LBB2550_47
; %bb.46:
	v_bcnt_u32_b32 v5, v6, 0
	v_bcnt_u32_b32 v5, v7, v5
	s_waitcnt lgkmcnt(0)
	v_add_u32_e32 v5, v44, v5
	ds_write_b32 v51, v5 offset:64
.LBB2550_47:
	s_or_b64 exec, exec, s[2:3]
	v_cmp_gt_i32_e32 vcc, 0, v30
	v_cndmask_b32_e64 v5, v45, 0, vcc
	v_xor_b32_e32 v30, v5, v30
	v_cmp_ne_u32_e32 vcc, s8, v30
	v_cndmask_b32_e32 v5, v45, v30, vcc
	v_lshrrev_b32_e32 v5, s20, v5
	v_and_b32_e32 v6, s31, v5
	v_lshl_add_u32 v5, v6, 4, v6
	v_add_lshl_u32 v53, v29, v5, 2
	v_and_b32_e32 v5, 1, v6
	v_add_co_u32_e32 v7, vcc, -1, v5
	v_addc_co_u32_e64 v45, s[2:3], 0, -1, vcc
	v_cmp_ne_u32_e32 vcc, 0, v5
	v_xor_b32_e32 v5, vcc_hi, v45
	v_and_b32_e32 v45, exec_hi, v5
	v_lshlrev_b32_e32 v5, 30, v6
	v_xor_b32_e32 v7, vcc_lo, v7
	v_cmp_gt_i64_e32 vcc, 0, v[4:5]
	v_not_b32_e32 v5, v5
	v_ashrrev_i32_e32 v5, 31, v5
	v_and_b32_e32 v7, exec_lo, v7
	v_xor_b32_e32 v49, vcc_hi, v5
	v_xor_b32_e32 v5, vcc_lo, v5
	v_and_b32_e32 v7, v7, v5
	v_lshlrev_b32_e32 v5, 29, v6
	v_cmp_gt_i64_e32 vcc, 0, v[4:5]
	v_not_b32_e32 v5, v5
	v_ashrrev_i32_e32 v5, 31, v5
	v_and_b32_e32 v45, v45, v49
	v_xor_b32_e32 v49, vcc_hi, v5
	v_xor_b32_e32 v5, vcc_lo, v5
	v_and_b32_e32 v7, v7, v5
	v_lshlrev_b32_e32 v5, 28, v6
	v_cmp_gt_i64_e32 vcc, 0, v[4:5]
	v_not_b32_e32 v5, v5
	v_ashrrev_i32_e32 v5, 31, v5
	v_and_b32_e32 v45, v45, v49
	;; [unrolled: 8-line block ×5, first 2 shown]
	v_xor_b32_e32 v49, vcc_hi, v5
	v_xor_b32_e32 v5, vcc_lo, v5
	v_and_b32_e32 v7, v7, v5
	v_lshlrev_b32_e32 v5, 24, v6
	v_cmp_gt_i64_e32 vcc, 0, v[4:5]
	v_not_b32_e32 v4, v5
	v_ashrrev_i32_e32 v4, 31, v4
	v_xor_b32_e32 v5, vcc_hi, v4
	v_xor_b32_e32 v4, vcc_lo, v4
	; wave barrier
	ds_read_b32 v48, v53 offset:64
	v_and_b32_e32 v45, v45, v49
	v_and_b32_e32 v4, v7, v4
	v_and_b32_e32 v5, v45, v5
	v_mbcnt_lo_u32_b32 v6, v4, 0
	v_mbcnt_hi_u32_b32 v50, v5, v6
	v_cmp_eq_u32_e32 vcc, 0, v50
	v_cmp_ne_u64_e64 s[2:3], 0, v[4:5]
	s_and_b64 s[8:9], s[2:3], vcc
	; wave barrier
	s_and_saveexec_b64 s[2:3], s[8:9]
	s_cbranch_execz .LBB2550_49
; %bb.48:
	v_bcnt_u32_b32 v4, v4, 0
	v_bcnt_u32_b32 v4, v5, v4
	s_waitcnt lgkmcnt(0)
	v_add_u32_e32 v4, v48, v4
	ds_write_b32 v53, v4 offset:64
.LBB2550_49:
	s_or_b64 exec, exec, s[2:3]
	v_bfrev_b32_e32 v55, -2
	v_cmp_gt_i32_e32 vcc, 0, v11
	v_cndmask_b32_e64 v5, v55, 0, vcc
	v_xor_b32_e32 v45, v5, v11
	s_brev_b32 s8, 1
	v_cmp_ne_u32_e32 vcc, s8, v45
	v_cndmask_b32_e32 v5, v55, v45, vcc
	v_lshrrev_b32_e32 v5, s20, v5
	v_and_b32_e32 v6, s31, v5
	v_lshl_add_u32 v5, v6, 4, v6
	v_add_lshl_u32 v11, v29, v5, 2
	v_and_b32_e32 v5, 1, v6
	v_add_co_u32_e32 v7, vcc, -1, v5
	v_addc_co_u32_e64 v49, s[2:3], 0, -1, vcc
	v_cmp_ne_u32_e32 vcc, 0, v5
	v_xor_b32_e32 v5, vcc_hi, v49
	v_mov_b32_e32 v4, 0
	v_and_b32_e32 v49, exec_hi, v5
	v_lshlrev_b32_e32 v5, 30, v6
	v_xor_b32_e32 v7, vcc_lo, v7
	v_cmp_gt_i64_e32 vcc, 0, v[4:5]
	v_not_b32_e32 v5, v5
	v_ashrrev_i32_e32 v5, 31, v5
	v_and_b32_e32 v7, exec_lo, v7
	v_xor_b32_e32 v54, vcc_hi, v5
	v_xor_b32_e32 v5, vcc_lo, v5
	v_and_b32_e32 v7, v7, v5
	v_lshlrev_b32_e32 v5, 29, v6
	v_cmp_gt_i64_e32 vcc, 0, v[4:5]
	v_not_b32_e32 v5, v5
	v_ashrrev_i32_e32 v5, 31, v5
	v_and_b32_e32 v49, v49, v54
	v_xor_b32_e32 v54, vcc_hi, v5
	v_xor_b32_e32 v5, vcc_lo, v5
	v_and_b32_e32 v7, v7, v5
	v_lshlrev_b32_e32 v5, 28, v6
	v_cmp_gt_i64_e32 vcc, 0, v[4:5]
	v_not_b32_e32 v5, v5
	v_ashrrev_i32_e32 v5, 31, v5
	v_and_b32_e32 v49, v49, v54
	;; [unrolled: 8-line block ×5, first 2 shown]
	v_xor_b32_e32 v54, vcc_hi, v5
	v_xor_b32_e32 v5, vcc_lo, v5
	v_and_b32_e32 v49, v49, v54
	v_and_b32_e32 v54, v7, v5
	v_lshlrev_b32_e32 v5, 24, v6
	v_cmp_gt_i64_e32 vcc, 0, v[4:5]
	v_not_b32_e32 v5, v5
	v_ashrrev_i32_e32 v5, 31, v5
	v_xor_b32_e32 v6, vcc_hi, v5
	v_xor_b32_e32 v5, vcc_lo, v5
	; wave barrier
	ds_read_b32 v52, v11 offset:64
	v_and_b32_e32 v7, v49, v6
	v_and_b32_e32 v6, v54, v5
	v_mbcnt_lo_u32_b32 v5, v6, 0
	v_mbcnt_hi_u32_b32 v54, v7, v5
	v_cmp_eq_u32_e32 vcc, 0, v54
	v_cmp_ne_u64_e64 s[2:3], 0, v[6:7]
	s_and_b64 s[10:11], s[2:3], vcc
	; wave barrier
	s_and_saveexec_b64 s[2:3], s[10:11]
	s_cbranch_execz .LBB2550_51
; %bb.50:
	v_bcnt_u32_b32 v5, v6, 0
	v_bcnt_u32_b32 v5, v7, v5
	s_waitcnt lgkmcnt(0)
	v_add_u32_e32 v5, v52, v5
	ds_write_b32 v11, v5 offset:64
.LBB2550_51:
	s_or_b64 exec, exec, s[2:3]
	v_cmp_gt_i32_e32 vcc, 0, v10
	v_cndmask_b32_e64 v5, v55, 0, vcc
	v_xor_b32_e32 v49, v5, v10
	v_cmp_ne_u32_e32 vcc, s8, v49
	v_cndmask_b32_e32 v5, v55, v49, vcc
	v_lshrrev_b32_e32 v5, s20, v5
	v_and_b32_e32 v6, s31, v5
	v_lshl_add_u32 v5, v6, 4, v6
	v_add_lshl_u32 v10, v5, v29, 2
	v_and_b32_e32 v5, 1, v6
	v_add_co_u32_e32 v7, vcc, -1, v5
	v_addc_co_u32_e64 v55, s[2:3], 0, -1, vcc
	v_cmp_ne_u32_e32 vcc, 0, v5
	v_xor_b32_e32 v5, vcc_hi, v55
	v_and_b32_e32 v55, exec_hi, v5
	v_lshlrev_b32_e32 v5, 30, v6
	v_xor_b32_e32 v7, vcc_lo, v7
	v_cmp_gt_i64_e32 vcc, 0, v[4:5]
	v_not_b32_e32 v5, v5
	v_ashrrev_i32_e32 v5, 31, v5
	v_and_b32_e32 v7, exec_lo, v7
	v_xor_b32_e32 v57, vcc_hi, v5
	v_xor_b32_e32 v5, vcc_lo, v5
	v_and_b32_e32 v7, v7, v5
	v_lshlrev_b32_e32 v5, 29, v6
	v_cmp_gt_i64_e32 vcc, 0, v[4:5]
	v_not_b32_e32 v5, v5
	v_ashrrev_i32_e32 v5, 31, v5
	v_and_b32_e32 v55, v55, v57
	v_xor_b32_e32 v57, vcc_hi, v5
	v_xor_b32_e32 v5, vcc_lo, v5
	v_and_b32_e32 v7, v7, v5
	v_lshlrev_b32_e32 v5, 28, v6
	v_cmp_gt_i64_e32 vcc, 0, v[4:5]
	v_not_b32_e32 v5, v5
	v_ashrrev_i32_e32 v5, 31, v5
	v_and_b32_e32 v55, v55, v57
	;; [unrolled: 8-line block ×5, first 2 shown]
	v_xor_b32_e32 v57, vcc_hi, v5
	v_xor_b32_e32 v5, vcc_lo, v5
	v_and_b32_e32 v7, v7, v5
	v_lshlrev_b32_e32 v5, 24, v6
	v_cmp_gt_i64_e32 vcc, 0, v[4:5]
	v_not_b32_e32 v4, v5
	v_ashrrev_i32_e32 v4, 31, v4
	v_xor_b32_e32 v5, vcc_hi, v4
	v_xor_b32_e32 v4, vcc_lo, v4
	; wave barrier
	ds_read_b32 v29, v10 offset:64
	v_and_b32_e32 v55, v55, v57
	v_and_b32_e32 v4, v7, v4
	;; [unrolled: 1-line block ×3, first 2 shown]
	v_mbcnt_lo_u32_b32 v6, v4, 0
	v_mbcnt_hi_u32_b32 v55, v5, v6
	v_cmp_eq_u32_e32 vcc, 0, v55
	v_cmp_ne_u64_e64 s[2:3], 0, v[4:5]
	v_add_u32_e32 v56, 64, v3
	s_and_b64 s[8:9], s[2:3], vcc
	; wave barrier
	s_and_saveexec_b64 s[2:3], s[8:9]
	s_cbranch_execz .LBB2550_53
; %bb.52:
	v_bcnt_u32_b32 v4, v4, 0
	v_bcnt_u32_b32 v4, v5, v4
	s_waitcnt lgkmcnt(0)
	v_add_u32_e32 v4, v29, v4
	ds_write_b32 v10, v4 offset:64
.LBB2550_53:
	s_or_b64 exec, exec, s[2:3]
	; wave barrier
	s_waitcnt lgkmcnt(0)
	s_barrier
	ds_read2_b32 v[6:7], v3 offset0:16 offset1:17
	ds_read2_b32 v[4:5], v56 offset0:2 offset1:3
	ds_read_b32 v57, v56 offset:16
	v_cmp_lt_u32_e64 s[12:13], 31, v1
	s_waitcnt lgkmcnt(1)
	v_add3_u32 v58, v7, v6, v4
	s_waitcnt lgkmcnt(0)
	v_add3_u32 v57, v58, v5, v57
	v_and_b32_e32 v58, 15, v1
	v_cmp_eq_u32_e32 vcc, 0, v58
	v_mov_b32_dpp v59, v57 row_shr:1 row_mask:0xf bank_mask:0xf
	v_cndmask_b32_e64 v59, v59, 0, vcc
	v_add_u32_e32 v57, v59, v57
	v_cmp_lt_u32_e64 s[2:3], 1, v58
	v_cmp_lt_u32_e64 s[10:11], 3, v58
	v_mov_b32_dpp v59, v57 row_shr:2 row_mask:0xf bank_mask:0xf
	v_cndmask_b32_e64 v59, 0, v59, s[2:3]
	v_add_u32_e32 v57, v57, v59
	v_cmp_lt_u32_e64 s[8:9], 7, v58
	s_nop 0
	v_mov_b32_dpp v59, v57 row_shr:4 row_mask:0xf bank_mask:0xf
	v_cndmask_b32_e64 v59, 0, v59, s[10:11]
	v_add_u32_e32 v57, v57, v59
	s_nop 1
	v_mov_b32_dpp v59, v57 row_shr:8 row_mask:0xf bank_mask:0xf
	v_cndmask_b32_e64 v58, 0, v59, s[8:9]
	v_add_u32_e32 v57, v57, v58
	v_bfe_i32 v59, v1, 4, 1
	s_nop 0
	v_mov_b32_dpp v58, v57 row_bcast:15 row_mask:0xf bank_mask:0xf
	v_and_b32_e32 v58, v59, v58
	v_add_u32_e32 v57, v57, v58
	v_and_b32_e32 v59, 63, v2
	s_nop 0
	v_mov_b32_dpp v58, v57 row_bcast:31 row_mask:0xf bank_mask:0xf
	v_cndmask_b32_e64 v58, 0, v58, s[12:13]
	v_add_u32_e32 v57, v57, v58
	v_lshrrev_b32_e32 v58, 6, v2
	v_cmp_eq_u32_e64 s[12:13], 63, v59
	s_and_saveexec_b64 s[22:23], s[12:13]
	s_cbranch_execz .LBB2550_55
; %bb.54:
	v_lshlrev_b32_e32 v59, 2, v58
	ds_write_b32 v59, v57
.LBB2550_55:
	s_or_b64 exec, exec, s[22:23]
	v_cmp_gt_u32_e64 s[12:13], 16, v2
	s_waitcnt lgkmcnt(0)
	s_barrier
	s_and_saveexec_b64 s[22:23], s[12:13]
	s_cbranch_execz .LBB2550_57
; %bb.56:
	v_lshlrev_b32_e32 v59, 2, v2
	ds_read_b32 v60, v59
	s_waitcnt lgkmcnt(0)
	s_nop 0
	v_mov_b32_dpp v61, v60 row_shr:1 row_mask:0xf bank_mask:0xf
	v_cndmask_b32_e64 v61, v61, 0, vcc
	v_add_u32_e32 v60, v61, v60
	s_nop 1
	v_mov_b32_dpp v61, v60 row_shr:2 row_mask:0xf bank_mask:0xf
	v_cndmask_b32_e64 v61, 0, v61, s[2:3]
	v_add_u32_e32 v60, v60, v61
	s_nop 1
	v_mov_b32_dpp v61, v60 row_shr:4 row_mask:0xf bank_mask:0xf
	v_cndmask_b32_e64 v61, 0, v61, s[10:11]
	v_add_u32_e32 v60, v60, v61
	s_nop 1
	v_mov_b32_dpp v61, v60 row_shr:8 row_mask:0xf bank_mask:0xf
	v_cndmask_b32_e64 v61, 0, v61, s[8:9]
	v_add_u32_e32 v60, v60, v61
	ds_write_b32 v59, v60
.LBB2550_57:
	s_or_b64 exec, exec, s[22:23]
	v_cmp_lt_u32_e32 vcc, 63, v2
	v_mov_b32_e32 v59, 0
	s_waitcnt lgkmcnt(0)
	s_barrier
	s_and_saveexec_b64 s[2:3], vcc
	s_cbranch_execz .LBB2550_59
; %bb.58:
	v_lshl_add_u32 v58, v58, 2, -4
	ds_read_b32 v59, v58
.LBB2550_59:
	s_or_b64 exec, exec, s[2:3]
	v_add_u32_e32 v58, -1, v1
	v_and_b32_e32 v60, 64, v1
	v_cmp_lt_i32_e32 vcc, v58, v60
	v_cndmask_b32_e32 v58, v58, v1, vcc
	s_waitcnt lgkmcnt(0)
	v_add_u32_e32 v57, v59, v57
	v_lshlrev_b32_e32 v58, 2, v58
	ds_bpermute_b32 v57, v58, v57
	v_cmp_eq_u32_e32 vcc, 0, v1
	s_movk_i32 s8, 0xff
	s_movk_i32 s2, 0x100
	v_cmp_gt_u32_e64 s[2:3], s2, v2
	s_waitcnt lgkmcnt(0)
	v_cndmask_b32_e32 v1, v57, v59, vcc
	v_cndmask_b32_e64 v1, v1, 0, s[0:1]
	v_add_u32_e32 v6, v1, v6
	v_add_u32_e32 v7, v6, v7
	;; [unrolled: 1-line block ×4, first 2 shown]
	ds_write2_b32 v3, v1, v6 offset0:16 offset1:17
	ds_write2_b32 v56, v7, v4 offset0:2 offset1:3
	ds_write_b32 v56, v5 offset:16
	s_waitcnt lgkmcnt(0)
	s_barrier
	ds_read_b32 v58, v8 offset:64
	ds_read_b32 v1, v9 offset:64
	;; [unrolled: 1-line block ×12, first 2 shown]
	v_cmp_lt_u32_e32 vcc, s8, v2
	v_pk_mov_b32 v[4:5], 0, 0
                                        ; implicit-def: $vgpr40
	s_and_saveexec_b64 s[10:11], s[2:3]
	s_cbranch_execz .LBB2550_63
; %bb.60:
	v_mul_u32_u24_e32 v3, 17, v2
	v_lshlrev_b32_e32 v5, 2, v3
	ds_read_b32 v4, v5 offset:64
	v_cmp_ne_u32_e64 s[8:9], s8, v2
	v_mov_b32_e32 v3, 0x3000
	s_and_saveexec_b64 s[12:13], s[8:9]
	s_cbranch_execz .LBB2550_62
; %bb.61:
	ds_read_b32 v3, v5 offset:132
.LBB2550_62:
	s_or_b64 exec, exec, s[12:13]
	s_waitcnt lgkmcnt(0)
	v_sub_u32_e32 v40, v3, v4
	v_mov_b32_e32 v5, 0
.LBB2550_63:
	s_or_b64 exec, exec, s[10:11]
	s_waitcnt lgkmcnt(0)
	s_barrier
	s_and_saveexec_b64 s[8:9], vcc
	s_xor_b64 s[8:9], exec, s[8:9]
; %bb.64:
	v_mov_b32_e32 v3, 0
; %bb.65:
	s_andn2_saveexec_b64 s[8:9], s[8:9]
	s_cbranch_execz .LBB2550_75
; %bb.66:
	v_lshl_or_b32 v6, s30, 8, v2
	v_mov_b32_e32 v7, 0
	v_lshlrev_b64 v[8:9], 2, v[6:7]
	v_mov_b32_e32 v3, s15
	v_add_co_u32_e32 v8, vcc, s14, v8
	v_addc_co_u32_e32 v9, vcc, v3, v9, vcc
	v_or_b32_e32 v6, 2.0, v40
	s_mov_b64 s[10:11], 0
	s_brev_b32 s33, 1
	s_mov_b32 s34, s30
	v_mov_b32_e32 v60, 0
	global_store_dword v[8:9], v6, off
                                        ; implicit-def: $sgpr12_sgpr13
	s_branch .LBB2550_68
.LBB2550_67:                            ;   in Loop: Header=BB2550_68 Depth=1
	s_or_b64 exec, exec, s[12:13]
	v_and_b32_e32 v10, 0x3fffffff, v61
	v_add_u32_e32 v60, v10, v60
	v_cmp_eq_u32_e64 s[12:13], s33, v6
	s_and_b64 s[22:23], exec, s[12:13]
	s_or_b64 s[10:11], s[22:23], s[10:11]
	s_andn2_b64 exec, exec, s[10:11]
	s_cbranch_execz .LBB2550_74
.LBB2550_68:                            ; =>This Loop Header: Depth=1
                                        ;     Child Loop BB2550_71 Depth 2
	s_or_b64 s[12:13], s[12:13], exec
	s_cmp_eq_u32 s34, 0
	s_cbranch_scc1 .LBB2550_73
; %bb.69:                               ;   in Loop: Header=BB2550_68 Depth=1
	s_add_i32 s34, s34, -1
	v_lshl_or_b32 v6, s34, 8, v2
	v_lshlrev_b64 v[10:11], 2, v[6:7]
	v_add_co_u32_e32 v10, vcc, s14, v10
	v_addc_co_u32_e32 v11, vcc, v3, v11, vcc
	global_load_dword v61, v[10:11], off glc
	s_waitcnt vmcnt(0)
	v_and_b32_e32 v6, -2.0, v61
	v_cmp_eq_u32_e32 vcc, 0, v6
	s_and_saveexec_b64 s[12:13], vcc
	s_cbranch_execz .LBB2550_67
; %bb.70:                               ;   in Loop: Header=BB2550_68 Depth=1
	s_mov_b64 s[22:23], 0
.LBB2550_71:                            ;   Parent Loop BB2550_68 Depth=1
                                        ; =>  This Inner Loop Header: Depth=2
	global_load_dword v61, v[10:11], off glc
	s_waitcnt vmcnt(0)
	v_and_b32_e32 v6, -2.0, v61
	v_cmp_ne_u32_e32 vcc, 0, v6
	s_or_b64 s[22:23], vcc, s[22:23]
	s_andn2_b64 exec, exec, s[22:23]
	s_cbranch_execnz .LBB2550_71
; %bb.72:                               ;   in Loop: Header=BB2550_68 Depth=1
	s_or_b64 exec, exec, s[22:23]
	s_branch .LBB2550_67
.LBB2550_73:                            ;   in Loop: Header=BB2550_68 Depth=1
                                        ; implicit-def: $sgpr34
	s_and_b64 s[22:23], exec, s[12:13]
	s_or_b64 s[10:11], s[22:23], s[10:11]
	s_andn2_b64 exec, exec, s[10:11]
	s_cbranch_execnz .LBB2550_68
.LBB2550_74:
	s_or_b64 exec, exec, s[10:11]
	v_add_u32_e32 v3, v60, v40
	v_or_b32_e32 v3, 0x80000000, v3
	global_store_dword v[8:9], v3, off
	v_lshlrev_b32_e32 v8, 3, v2
	global_load_dwordx2 v[6:7], v8, s[16:17]
	v_sub_co_u32_e32 v9, vcc, v60, v4
	v_subb_co_u32_e32 v10, vcc, 0, v5, vcc
	v_mov_b32_e32 v3, 0
	s_waitcnt vmcnt(0)
	v_add_co_u32_e32 v6, vcc, v9, v6
	v_addc_co_u32_e32 v7, vcc, v10, v7, vcc
	ds_write_b64 v8, v[6:7]
.LBB2550_75:
	s_or_b64 exec, exec, s[8:9]
	v_add3_u32 v37, v42, v37, v41
	v_add3_u32 v38, v39, v43, v38
	v_lshlrev_b64 v[42:43], 2, v[2:3]
	v_lshlrev_b32_e32 v8, 2, v2
	v_add3_u32 v17, v19, v1, v17
	v_mov_b32_e32 v1, s27
	v_add_co_u32_e32 v6, vcc, s26, v42
	v_add_u32_e32 v7, v58, v16
	v_add_u32_e32 v9, 0x800, v8
	v_add3_u32 v10, v55, v59, v29
	v_add3_u32 v11, v54, v53, v52
	;; [unrolled: 1-line block ×8, first 2 shown]
	v_addc_co_u32_e32 v1, vcc, v1, v43, vcc
	s_mov_b32 s10, 0
	s_brev_b32 s11, 1
	v_bfrev_b32_e32 v19, -2
	v_mov_b32_e32 v22, v2
	s_branch .LBB2550_77
.LBB2550_76:                            ;   in Loop: Header=BB2550_77 Depth=1
	s_or_b64 exec, exec, s[8:9]
	s_addk_i32 s10, 0xf000
	v_add_co_u32_e32 v6, vcc, 0x4000, v6
	v_addc_co_u32_e32 v1, vcc, 0, v1, vcc
	s_cmpk_eq_i32 s10, 0xd000
	v_add_u32_e32 v22, 0x1000, v22
	s_barrier
	s_cbranch_scc1 .LBB2550_86
.LBB2550_77:                            ; =>This Inner Loop Header: Depth=1
	v_add_u32_e32 v25, s10, v7
	v_min_u32_e32 v25, 0x1000, v25
	v_lshlrev_b32_e32 v25, 2, v25
	ds_write_b32 v25, v13 offset:2048
	v_add_u32_e32 v25, s10, v17
	v_min_u32_e32 v25, 0x1000, v25
	v_lshlrev_b32_e32 v25, 2, v25
	ds_write_b32 v25, v14 offset:2048
	v_add_u32_e32 v25, s10, v20
	v_min_u32_e32 v25, 0x1000, v25
	v_lshlrev_b32_e32 v25, 2, v25
	ds_write_b32 v25, v15 offset:2048
	v_add_u32_e32 v25, s10, v23
	v_min_u32_e32 v25, 0x1000, v25
	v_lshlrev_b32_e32 v25, 2, v25
	ds_write_b32 v25, v18 offset:2048
	v_add_u32_e32 v25, s10, v27
	v_min_u32_e32 v25, 0x1000, v25
	v_lshlrev_b32_e32 v25, 2, v25
	ds_write_b32 v25, v21 offset:2048
	v_add_u32_e32 v25, s10, v33
	v_min_u32_e32 v25, 0x1000, v25
	v_lshlrev_b32_e32 v25, 2, v25
	ds_write_b32 v25, v24 offset:2048
	v_add_u32_e32 v25, s10, v38
	v_min_u32_e32 v25, 0x1000, v25
	v_lshlrev_b32_e32 v25, 2, v25
	ds_write_b32 v25, v28 offset:2048
	v_add_u32_e32 v25, s10, v37
	v_min_u32_e32 v25, 0x1000, v25
	v_lshlrev_b32_e32 v25, 2, v25
	ds_write_b32 v25, v34 offset:2048
	v_add_u32_e32 v25, s10, v29
	v_min_u32_e32 v25, 0x1000, v25
	v_lshlrev_b32_e32 v25, 2, v25
	ds_write_b32 v25, v35 offset:2048
	v_add_u32_e32 v25, s10, v16
	v_min_u32_e32 v25, 0x1000, v25
	v_lshlrev_b32_e32 v25, 2, v25
	ds_write_b32 v25, v30 offset:2048
	v_add_u32_e32 v25, s10, v11
	v_min_u32_e32 v25, 0x1000, v25
	v_lshlrev_b32_e32 v25, 2, v25
	ds_write_b32 v25, v45 offset:2048
	v_add_u32_e32 v25, s10, v10
	v_min_u32_e32 v25, 0x1000, v25
	v_lshlrev_b32_e32 v25, 2, v25
	v_cmp_gt_u32_e32 vcc, s7, v22
	ds_write_b32 v25, v49 offset:2048
	s_waitcnt lgkmcnt(0)
	s_barrier
	s_and_saveexec_b64 s[8:9], vcc
	s_cbranch_execz .LBB2550_79
; %bb.78:                               ;   in Loop: Header=BB2550_77 Depth=1
	ds_read_b32 v25, v8 offset:2048
	s_waitcnt lgkmcnt(0)
	v_cmp_ne_u32_e32 vcc, s11, v25
	v_cndmask_b32_e32 v26, v19, v25, vcc
	v_lshrrev_b32_e32 v26, s20, v26
	v_and_b32_e32 v26, s31, v26
	v_lshlrev_b32_e32 v26, 3, v26
	ds_read_b64 v[42:43], v26
	v_cmp_gt_i32_e32 vcc, 0, v25
	v_cndmask_b32_e64 v26, v19, 0, vcc
	v_xor_b32_e32 v25, v26, v25
	s_waitcnt lgkmcnt(0)
	v_lshlrev_b64 v[42:43], 2, v[42:43]
	v_add_co_u32_e32 v42, vcc, v6, v42
	v_addc_co_u32_e32 v43, vcc, v1, v43, vcc
	global_store_dword v[42:43], v25, off
.LBB2550_79:                            ;   in Loop: Header=BB2550_77 Depth=1
	s_or_b64 exec, exec, s[8:9]
	v_add_u32_e32 v25, 0x400, v22
	v_cmp_gt_u32_e32 vcc, s7, v25
	s_and_saveexec_b64 s[8:9], vcc
	s_cbranch_execz .LBB2550_81
; %bb.80:                               ;   in Loop: Header=BB2550_77 Depth=1
	ds_read_b32 v25, v9 offset:4096
	s_waitcnt lgkmcnt(0)
	v_cmp_ne_u32_e32 vcc, s11, v25
	v_cndmask_b32_e32 v26, v19, v25, vcc
	v_lshrrev_b32_e32 v26, s20, v26
	v_and_b32_e32 v26, s31, v26
	v_lshlrev_b32_e32 v26, 3, v26
	ds_read_b64 v[42:43], v26
	v_cmp_gt_i32_e32 vcc, 0, v25
	v_cndmask_b32_e64 v26, v19, 0, vcc
	v_xor_b32_e32 v25, v26, v25
	s_waitcnt lgkmcnt(0)
	v_lshlrev_b64 v[42:43], 2, v[42:43]
	v_add_co_u32_e32 v26, vcc, v6, v42
	v_addc_co_u32_e32 v31, vcc, v1, v43, vcc
	v_add_co_u32_e32 v42, vcc, 0x1000, v26
	v_addc_co_u32_e32 v43, vcc, 0, v31, vcc
	global_store_dword v[42:43], v25, off
.LBB2550_81:                            ;   in Loop: Header=BB2550_77 Depth=1
	s_or_b64 exec, exec, s[8:9]
	v_add_u32_e32 v25, 0x800, v22
	v_cmp_gt_u32_e32 vcc, s7, v25
	s_and_saveexec_b64 s[8:9], vcc
	s_cbranch_execz .LBB2550_83
; %bb.82:                               ;   in Loop: Header=BB2550_77 Depth=1
	ds_read_b32 v25, v9 offset:8192
	s_waitcnt lgkmcnt(0)
	v_cmp_ne_u32_e32 vcc, s11, v25
	v_cndmask_b32_e32 v26, v19, v25, vcc
	v_lshrrev_b32_e32 v26, s20, v26
	v_and_b32_e32 v26, s31, v26
	v_lshlrev_b32_e32 v26, 3, v26
	ds_read_b64 v[42:43], v26
	v_cmp_gt_i32_e32 vcc, 0, v25
	v_cndmask_b32_e64 v26, v19, 0, vcc
	v_xor_b32_e32 v25, v26, v25
	s_waitcnt lgkmcnt(0)
	v_lshlrev_b64 v[42:43], 2, v[42:43]
	v_add_co_u32_e32 v26, vcc, v6, v42
	v_addc_co_u32_e32 v31, vcc, v1, v43, vcc
	v_add_co_u32_e32 v42, vcc, 0x2000, v26
	v_addc_co_u32_e32 v43, vcc, 0, v31, vcc
	global_store_dword v[42:43], v25, off
.LBB2550_83:                            ;   in Loop: Header=BB2550_77 Depth=1
	s_or_b64 exec, exec, s[8:9]
	v_add_u32_e32 v25, 0xc00, v22
	v_cmp_gt_u32_e32 vcc, s7, v25
	s_and_saveexec_b64 s[8:9], vcc
	s_cbranch_execz .LBB2550_76
; %bb.84:                               ;   in Loop: Header=BB2550_77 Depth=1
	ds_read_b32 v25, v9 offset:12288
	s_waitcnt lgkmcnt(0)
	v_cmp_ne_u32_e32 vcc, s11, v25
	v_cndmask_b32_e32 v26, v19, v25, vcc
	v_lshrrev_b32_e32 v26, s20, v26
	v_and_b32_e32 v26, s31, v26
	v_lshlrev_b32_e32 v26, 3, v26
	ds_read_b64 v[42:43], v26
	v_cmp_gt_i32_e32 vcc, 0, v25
	v_cndmask_b32_e64 v26, v19, 0, vcc
	v_xor_b32_e32 v25, v26, v25
	s_waitcnt lgkmcnt(0)
	v_lshlrev_b64 v[42:43], 2, v[42:43]
	v_add_co_u32_e32 v26, vcc, v6, v42
	v_addc_co_u32_e32 v31, vcc, v1, v43, vcc
	v_add_co_u32_e32 v42, vcc, 0x3000, v26
	v_addc_co_u32_e32 v43, vcc, 0, v31, vcc
	global_store_dword v[42:43], v25, off
	s_branch .LBB2550_76
.LBB2550_85:
	s_mov_b64 s[2:3], 0
                                        ; implicit-def: $vgpr4_vgpr5
                                        ; implicit-def: $vgpr40
	s_cbranch_execnz .LBB2550_87
	s_branch .LBB2550_136
.LBB2550_86:
	s_add_i32 s29, s29, -1
	s_cmp_eq_u32 s29, s30
	s_cselect_b64 s[8:9], -1, 0
	s_and_b64 s[2:3], s[2:3], s[8:9]
	s_branch .LBB2550_136
.LBB2550_87:
	s_mov_b32 s29, 0
	v_mbcnt_hi_u32_b32 v3, -1, v12
	s_lshl_b64 s[2:3], s[28:29], 2
	v_and_b32_e32 v1, 63, v3
	s_add_u32 s2, s24, s2
	v_lshlrev_b32_e32 v1, 2, v1
	v_add_co_u32_e32 v1, vcc, s2, v1
	s_load_dword s12, s[4:5], 0x58
	s_load_dword s2, s[4:5], 0x64
	s_addc_u32 s3, s25, s3
	v_and_b32_e32 v5, 0x3c0, v2
	v_mul_u32_u24_e32 v5, 12, v5
	v_mov_b32_e32 v6, s3
	v_addc_co_u32_e32 v6, vcc, 0, v6, vcc
	v_lshlrev_b32_e32 v5, 2, v5
	v_add_co_u32_e32 v14, vcc, v1, v5
	s_add_u32 s3, s4, 0x58
	v_addc_co_u32_e32 v15, vcc, 0, v6, vcc
	s_addc_u32 s4, s5, 0
	s_waitcnt lgkmcnt(0)
	s_lshr_b32 s5, s2, 16
	global_load_dword v1, v[14:15], off
	s_cmp_lt_u32 s6, s12
	s_cselect_b32 s2, 12, 18
	s_add_u32 s2, s3, s2
	v_mov_b32_e32 v4, 0
	s_addc_u32 s3, s4, 0
	global_load_ushort v5, v4, s[2:3]
	v_mul_u32_u24_e32 v6, 5, v2
	v_lshlrev_b32_e32 v6, 2, v6
	ds_write2_b32 v6, v4, v4 offset0:16 offset1:17
	ds_write2_b32 v6, v4, v4 offset0:18 offset1:19
	ds_write_b32 v6, v4 offset:80
	global_load_dword v11, v[14:15], off offset:256
	global_load_dword v12, v[14:15], off offset:512
	;; [unrolled: 1-line block ×11, first 2 shown]
	v_bfrev_b32_e32 v8, -2
	v_bfe_u32 v7, v0, 10, 10
	v_bfe_u32 v0, v0, 20, 10
	v_mad_u32_u24 v0, v0, s5, v7
	s_brev_b32 s4, 1
	s_lshl_b32 s2, -1, s21
	s_not_b32 s13, s2
	s_waitcnt lgkmcnt(0)
	s_barrier
	s_waitcnt lgkmcnt(0)
	; wave barrier
	s_waitcnt vmcnt(12)
	v_cmp_gt_i32_e32 vcc, 0, v1
	v_cndmask_b32_e64 v7, v8, 0, vcc
	v_xor_b32_e32 v10, v7, v1
	v_cmp_ne_u32_e32 vcc, s4, v10
	v_cndmask_b32_e32 v7, v8, v10, vcc
	s_waitcnt vmcnt(11)
	v_mad_u64_u32 v[0:1], s[2:3], v0, v5, v[2:3]
	v_lshrrev_b32_e32 v1, s20, v7
	v_lshrrev_b32_e32 v22, 6, v0
	v_and_b32_e32 v0, s13, v1
	v_lshl_add_u32 v1, v0, 4, v0
	v_and_b32_e32 v14, 1, v0
	v_add_lshl_u32 v7, v22, v1, 2
	v_add_co_u32_e32 v1, vcc, -1, v14
	v_lshlrev_b32_e32 v5, 30, v0
	v_addc_co_u32_e64 v15, s[2:3], 0, -1, vcc
	v_cmp_ne_u32_e32 vcc, 0, v14
	v_cmp_gt_i64_e64 s[2:3], 0, v[4:5]
	v_not_b32_e32 v14, v5
	v_lshlrev_b32_e32 v5, 29, v0
	v_xor_b32_e32 v15, vcc_hi, v15
	v_xor_b32_e32 v1, vcc_lo, v1
	v_ashrrev_i32_e32 v14, 31, v14
	v_cmp_gt_i64_e32 vcc, 0, v[4:5]
	v_not_b32_e32 v17, v5
	v_lshlrev_b32_e32 v5, 28, v0
	v_and_b32_e32 v15, exec_hi, v15
	v_and_b32_e32 v1, exec_lo, v1
	v_xor_b32_e32 v18, s3, v14
	v_xor_b32_e32 v14, s2, v14
	v_ashrrev_i32_e32 v17, 31, v17
	v_cmp_gt_i64_e64 s[2:3], 0, v[4:5]
	v_not_b32_e32 v5, v5
	v_and_b32_e32 v15, v15, v18
	v_and_b32_e32 v1, v1, v14
	v_xor_b32_e32 v14, vcc_hi, v17
	v_xor_b32_e32 v17, vcc_lo, v17
	v_ashrrev_i32_e32 v5, 31, v5
	v_and_b32_e32 v14, v15, v14
	v_and_b32_e32 v1, v1, v17
	v_xor_b32_e32 v15, s3, v5
	v_xor_b32_e32 v5, s2, v5
	v_and_b32_e32 v1, v1, v5
	v_lshlrev_b32_e32 v5, 27, v0
	v_cmp_gt_i64_e32 vcc, 0, v[4:5]
	v_not_b32_e32 v5, v5
	v_ashrrev_i32_e32 v5, 31, v5
	v_and_b32_e32 v14, v14, v15
	v_xor_b32_e32 v15, vcc_hi, v5
	v_xor_b32_e32 v5, vcc_lo, v5
	v_and_b32_e32 v1, v1, v5
	v_lshlrev_b32_e32 v5, 26, v0
	v_cmp_gt_i64_e32 vcc, 0, v[4:5]
	v_not_b32_e32 v5, v5
	v_ashrrev_i32_e32 v5, 31, v5
	v_and_b32_e32 v14, v14, v15
	v_xor_b32_e32 v15, vcc_hi, v5
	v_xor_b32_e32 v5, vcc_lo, v5
	;; [unrolled: 8-line block ×3, first 2 shown]
	v_and_b32_e32 v14, v14, v15
	v_and_b32_e32 v15, v1, v5
	v_lshlrev_b32_e32 v5, 24, v0
	v_not_b32_e32 v0, v5
	v_cmp_gt_i64_e32 vcc, 0, v[4:5]
	v_ashrrev_i32_e32 v0, 31, v0
	v_xor_b32_e32 v1, vcc_hi, v0
	v_xor_b32_e32 v0, vcc_lo, v0
	v_and_b32_e32 v0, v15, v0
	v_and_b32_e32 v1, v14, v1
	v_mbcnt_lo_u32_b32 v5, v0, 0
	v_mbcnt_hi_u32_b32 v14, v1, v5
	v_cmp_eq_u32_e32 vcc, 0, v14
	v_cmp_ne_u64_e64 s[2:3], 0, v[0:1]
	s_and_b64 s[6:7], s[2:3], vcc
	s_and_saveexec_b64 s[2:3], s[6:7]
	s_cbranch_execz .LBB2550_89
; %bb.88:
	v_bcnt_u32_b32 v0, v0, 0
	v_bcnt_u32_b32 v0, v1, v0
	ds_write_b32 v7, v0 offset:64
.LBB2550_89:
	s_or_b64 exec, exec, s[2:3]
	s_waitcnt vmcnt(10)
	v_cmp_gt_i32_e32 vcc, 0, v11
	v_cndmask_b32_e64 v0, v8, 0, vcc
	v_xor_b32_e32 v11, v0, v11
	v_cmp_ne_u32_e32 vcc, s4, v11
	v_cndmask_b32_e32 v0, v8, v11, vcc
	v_lshrrev_b32_e32 v0, s20, v0
	v_and_b32_e32 v0, s13, v0
	v_lshl_add_u32 v1, v0, 4, v0
	v_add_lshl_u32 v8, v22, v1, 2
	v_and_b32_e32 v1, 1, v0
	v_add_co_u32_e32 v5, vcc, -1, v1
	v_addc_co_u32_e64 v17, s[2:3], 0, -1, vcc
	v_cmp_ne_u32_e32 vcc, 0, v1
	v_xor_b32_e32 v5, vcc_lo, v5
	v_xor_b32_e32 v1, vcc_hi, v17
	v_and_b32_e32 v17, exec_lo, v5
	v_lshlrev_b32_e32 v5, 30, v0
	v_cmp_gt_i64_e32 vcc, 0, v[4:5]
	v_not_b32_e32 v5, v5
	v_ashrrev_i32_e32 v5, 31, v5
	v_xor_b32_e32 v18, vcc_hi, v5
	v_xor_b32_e32 v5, vcc_lo, v5
	v_and_b32_e32 v17, v17, v5
	v_lshlrev_b32_e32 v5, 29, v0
	v_cmp_gt_i64_e32 vcc, 0, v[4:5]
	v_not_b32_e32 v5, v5
	v_and_b32_e32 v1, exec_hi, v1
	v_ashrrev_i32_e32 v5, 31, v5
	v_and_b32_e32 v1, v1, v18
	v_xor_b32_e32 v18, vcc_hi, v5
	v_xor_b32_e32 v5, vcc_lo, v5
	v_and_b32_e32 v17, v17, v5
	v_lshlrev_b32_e32 v5, 28, v0
	v_cmp_gt_i64_e32 vcc, 0, v[4:5]
	v_not_b32_e32 v5, v5
	v_ashrrev_i32_e32 v5, 31, v5
	v_and_b32_e32 v1, v1, v18
	v_xor_b32_e32 v18, vcc_hi, v5
	v_xor_b32_e32 v5, vcc_lo, v5
	v_and_b32_e32 v17, v17, v5
	v_lshlrev_b32_e32 v5, 27, v0
	v_cmp_gt_i64_e32 vcc, 0, v[4:5]
	v_not_b32_e32 v5, v5
	;; [unrolled: 8-line block ×4, first 2 shown]
	v_ashrrev_i32_e32 v5, 31, v5
	v_and_b32_e32 v1, v1, v18
	v_xor_b32_e32 v18, vcc_hi, v5
	v_xor_b32_e32 v5, vcc_lo, v5
	v_and_b32_e32 v17, v17, v5
	v_lshlrev_b32_e32 v5, 24, v0
	v_not_b32_e32 v0, v5
	v_cmp_gt_i64_e32 vcc, 0, v[4:5]
	v_ashrrev_i32_e32 v0, 31, v0
	v_xor_b32_e32 v4, vcc_hi, v0
	v_xor_b32_e32 v0, vcc_lo, v0
	; wave barrier
	ds_read_b32 v15, v8 offset:64
	v_and_b32_e32 v1, v1, v18
	v_and_b32_e32 v0, v17, v0
	;; [unrolled: 1-line block ×3, first 2 shown]
	v_mbcnt_lo_u32_b32 v4, v0, 0
	v_mbcnt_hi_u32_b32 v17, v1, v4
	v_cmp_eq_u32_e32 vcc, 0, v17
	v_cmp_ne_u64_e64 s[2:3], 0, v[0:1]
	s_and_b64 s[4:5], s[2:3], vcc
	; wave barrier
	s_and_saveexec_b64 s[2:3], s[4:5]
	s_cbranch_execz .LBB2550_91
; %bb.90:
	v_bcnt_u32_b32 v0, v0, 0
	v_bcnt_u32_b32 v0, v1, v0
	s_waitcnt lgkmcnt(0)
	v_add_u32_e32 v0, v15, v0
	ds_write_b32 v8, v0 offset:64
.LBB2550_91:
	s_or_b64 exec, exec, s[2:3]
	v_bfrev_b32_e32 v21, -2
	s_waitcnt vmcnt(9)
	v_cmp_gt_i32_e32 vcc, 0, v12
	v_cndmask_b32_e64 v1, v21, 0, vcc
	v_xor_b32_e32 v12, v1, v12
	s_brev_b32 s4, 1
	v_cmp_ne_u32_e32 vcc, s4, v12
	v_cndmask_b32_e32 v1, v21, v12, vcc
	v_lshrrev_b32_e32 v1, s20, v1
	v_and_b32_e32 v4, s13, v1
	v_lshl_add_u32 v1, v4, 4, v4
	v_add_lshl_u32 v25, v22, v1, 2
	v_and_b32_e32 v1, 1, v4
	v_add_co_u32_e32 v5, vcc, -1, v1
	v_addc_co_u32_e64 v20, s[2:3], 0, -1, vcc
	v_cmp_ne_u32_e32 vcc, 0, v1
	v_xor_b32_e32 v1, vcc_hi, v20
	v_mov_b32_e32 v0, 0
	v_and_b32_e32 v20, exec_hi, v1
	v_lshlrev_b32_e32 v1, 30, v4
	v_xor_b32_e32 v5, vcc_lo, v5
	v_cmp_gt_i64_e32 vcc, 0, v[0:1]
	v_not_b32_e32 v1, v1
	v_ashrrev_i32_e32 v1, 31, v1
	v_and_b32_e32 v5, exec_lo, v5
	v_xor_b32_e32 v24, vcc_hi, v1
	v_xor_b32_e32 v1, vcc_lo, v1
	v_and_b32_e32 v5, v5, v1
	v_lshlrev_b32_e32 v1, 29, v4
	v_cmp_gt_i64_e32 vcc, 0, v[0:1]
	v_not_b32_e32 v1, v1
	v_ashrrev_i32_e32 v1, 31, v1
	v_and_b32_e32 v20, v20, v24
	v_xor_b32_e32 v24, vcc_hi, v1
	v_xor_b32_e32 v1, vcc_lo, v1
	v_and_b32_e32 v5, v5, v1
	v_lshlrev_b32_e32 v1, 28, v4
	v_cmp_gt_i64_e32 vcc, 0, v[0:1]
	v_not_b32_e32 v1, v1
	v_ashrrev_i32_e32 v1, 31, v1
	v_and_b32_e32 v20, v20, v24
	;; [unrolled: 8-line block ×5, first 2 shown]
	v_xor_b32_e32 v24, vcc_hi, v1
	v_xor_b32_e32 v1, vcc_lo, v1
	v_and_b32_e32 v20, v20, v24
	v_and_b32_e32 v24, v5, v1
	v_lshlrev_b32_e32 v1, 24, v4
	v_cmp_gt_i64_e32 vcc, 0, v[0:1]
	v_not_b32_e32 v1, v1
	v_ashrrev_i32_e32 v1, 31, v1
	v_xor_b32_e32 v4, vcc_hi, v1
	v_xor_b32_e32 v1, vcc_lo, v1
	; wave barrier
	ds_read_b32 v18, v25 offset:64
	v_and_b32_e32 v5, v20, v4
	v_and_b32_e32 v4, v24, v1
	v_mbcnt_lo_u32_b32 v1, v4, 0
	v_mbcnt_hi_u32_b32 v20, v5, v1
	v_cmp_eq_u32_e32 vcc, 0, v20
	v_cmp_ne_u64_e64 s[2:3], 0, v[4:5]
	s_and_b64 s[6:7], s[2:3], vcc
	; wave barrier
	s_and_saveexec_b64 s[2:3], s[6:7]
	s_cbranch_execz .LBB2550_93
; %bb.92:
	v_bcnt_u32_b32 v1, v4, 0
	v_bcnt_u32_b32 v1, v5, v1
	s_waitcnt lgkmcnt(0)
	v_add_u32_e32 v1, v18, v1
	ds_write_b32 v25, v1 offset:64
.LBB2550_93:
	s_or_b64 exec, exec, s[2:3]
	s_waitcnt vmcnt(8)
	v_cmp_gt_i32_e32 vcc, 0, v13
	v_cndmask_b32_e64 v1, v21, 0, vcc
	v_xor_b32_e32 v13, v1, v13
	v_cmp_ne_u32_e32 vcc, s4, v13
	v_cndmask_b32_e32 v1, v21, v13, vcc
	v_lshrrev_b32_e32 v1, s20, v1
	v_and_b32_e32 v4, s13, v1
	v_lshl_add_u32 v1, v4, 4, v4
	v_add_lshl_u32 v30, v22, v1, 2
	v_and_b32_e32 v1, 1, v4
	v_add_co_u32_e32 v5, vcc, -1, v1
	v_addc_co_u32_e64 v24, s[2:3], 0, -1, vcc
	v_cmp_ne_u32_e32 vcc, 0, v1
	v_xor_b32_e32 v1, vcc_hi, v24
	v_and_b32_e32 v24, exec_hi, v1
	v_lshlrev_b32_e32 v1, 30, v4
	v_xor_b32_e32 v5, vcc_lo, v5
	v_cmp_gt_i64_e32 vcc, 0, v[0:1]
	v_not_b32_e32 v1, v1
	v_ashrrev_i32_e32 v1, 31, v1
	v_and_b32_e32 v5, exec_lo, v5
	v_xor_b32_e32 v26, vcc_hi, v1
	v_xor_b32_e32 v1, vcc_lo, v1
	v_and_b32_e32 v5, v5, v1
	v_lshlrev_b32_e32 v1, 29, v4
	v_cmp_gt_i64_e32 vcc, 0, v[0:1]
	v_not_b32_e32 v1, v1
	v_ashrrev_i32_e32 v1, 31, v1
	v_and_b32_e32 v24, v24, v26
	v_xor_b32_e32 v26, vcc_hi, v1
	v_xor_b32_e32 v1, vcc_lo, v1
	v_and_b32_e32 v5, v5, v1
	v_lshlrev_b32_e32 v1, 28, v4
	v_cmp_gt_i64_e32 vcc, 0, v[0:1]
	v_not_b32_e32 v1, v1
	v_ashrrev_i32_e32 v1, 31, v1
	v_and_b32_e32 v24, v24, v26
	;; [unrolled: 8-line block ×5, first 2 shown]
	v_xor_b32_e32 v26, vcc_hi, v1
	v_xor_b32_e32 v1, vcc_lo, v1
	v_and_b32_e32 v5, v5, v1
	v_lshlrev_b32_e32 v1, 24, v4
	v_cmp_gt_i64_e32 vcc, 0, v[0:1]
	v_not_b32_e32 v0, v1
	v_ashrrev_i32_e32 v0, 31, v0
	v_xor_b32_e32 v1, vcc_hi, v0
	v_xor_b32_e32 v0, vcc_lo, v0
	; wave barrier
	ds_read_b32 v21, v30 offset:64
	v_and_b32_e32 v24, v24, v26
	v_and_b32_e32 v0, v5, v0
	;; [unrolled: 1-line block ×3, first 2 shown]
	v_mbcnt_lo_u32_b32 v4, v0, 0
	v_mbcnt_hi_u32_b32 v24, v1, v4
	v_cmp_eq_u32_e32 vcc, 0, v24
	v_cmp_ne_u64_e64 s[2:3], 0, v[0:1]
	s_and_b64 s[4:5], s[2:3], vcc
	; wave barrier
	s_and_saveexec_b64 s[2:3], s[4:5]
	s_cbranch_execz .LBB2550_95
; %bb.94:
	v_bcnt_u32_b32 v0, v0, 0
	v_bcnt_u32_b32 v0, v1, v0
	s_waitcnt lgkmcnt(0)
	v_add_u32_e32 v0, v21, v0
	ds_write_b32 v30, v0 offset:64
.LBB2550_95:
	s_or_b64 exec, exec, s[2:3]
	v_bfrev_b32_e32 v31, -2
	s_waitcnt vmcnt(7)
	v_cmp_gt_i32_e32 vcc, 0, v16
	v_cndmask_b32_e64 v1, v31, 0, vcc
	v_xor_b32_e32 v16, v1, v16
	s_brev_b32 s4, 1
	v_cmp_ne_u32_e32 vcc, s4, v16
	v_cndmask_b32_e32 v1, v31, v16, vcc
	v_lshrrev_b32_e32 v1, s20, v1
	v_and_b32_e32 v4, s13, v1
	v_lshl_add_u32 v1, v4, 4, v4
	v_add_lshl_u32 v35, v22, v1, 2
	v_and_b32_e32 v1, 1, v4
	v_add_co_u32_e32 v5, vcc, -1, v1
	v_addc_co_u32_e64 v29, s[2:3], 0, -1, vcc
	v_cmp_ne_u32_e32 vcc, 0, v1
	v_xor_b32_e32 v1, vcc_hi, v29
	v_mov_b32_e32 v0, 0
	v_and_b32_e32 v29, exec_hi, v1
	v_lshlrev_b32_e32 v1, 30, v4
	v_xor_b32_e32 v5, vcc_lo, v5
	v_cmp_gt_i64_e32 vcc, 0, v[0:1]
	v_not_b32_e32 v1, v1
	v_ashrrev_i32_e32 v1, 31, v1
	v_and_b32_e32 v5, exec_lo, v5
	v_xor_b32_e32 v34, vcc_hi, v1
	v_xor_b32_e32 v1, vcc_lo, v1
	v_and_b32_e32 v5, v5, v1
	v_lshlrev_b32_e32 v1, 29, v4
	v_cmp_gt_i64_e32 vcc, 0, v[0:1]
	v_not_b32_e32 v1, v1
	v_ashrrev_i32_e32 v1, 31, v1
	v_and_b32_e32 v29, v29, v34
	v_xor_b32_e32 v34, vcc_hi, v1
	v_xor_b32_e32 v1, vcc_lo, v1
	v_and_b32_e32 v5, v5, v1
	v_lshlrev_b32_e32 v1, 28, v4
	v_cmp_gt_i64_e32 vcc, 0, v[0:1]
	v_not_b32_e32 v1, v1
	v_ashrrev_i32_e32 v1, 31, v1
	v_and_b32_e32 v29, v29, v34
	;; [unrolled: 8-line block ×5, first 2 shown]
	v_xor_b32_e32 v34, vcc_hi, v1
	v_xor_b32_e32 v1, vcc_lo, v1
	v_and_b32_e32 v29, v29, v34
	v_and_b32_e32 v34, v5, v1
	v_lshlrev_b32_e32 v1, 24, v4
	v_cmp_gt_i64_e32 vcc, 0, v[0:1]
	v_not_b32_e32 v1, v1
	v_ashrrev_i32_e32 v1, 31, v1
	v_xor_b32_e32 v4, vcc_hi, v1
	v_xor_b32_e32 v1, vcc_lo, v1
	; wave barrier
	ds_read_b32 v26, v35 offset:64
	v_and_b32_e32 v5, v29, v4
	v_and_b32_e32 v4, v34, v1
	v_mbcnt_lo_u32_b32 v1, v4, 0
	v_mbcnt_hi_u32_b32 v29, v5, v1
	v_cmp_eq_u32_e32 vcc, 0, v29
	v_cmp_ne_u64_e64 s[2:3], 0, v[4:5]
	s_and_b64 s[6:7], s[2:3], vcc
	; wave barrier
	s_and_saveexec_b64 s[2:3], s[6:7]
	s_cbranch_execz .LBB2550_97
; %bb.96:
	v_bcnt_u32_b32 v1, v4, 0
	v_bcnt_u32_b32 v1, v5, v1
	s_waitcnt lgkmcnt(0)
	v_add_u32_e32 v1, v26, v1
	ds_write_b32 v35, v1 offset:64
.LBB2550_97:
	s_or_b64 exec, exec, s[2:3]
	s_waitcnt vmcnt(6)
	v_cmp_gt_i32_e32 vcc, 0, v19
	v_cndmask_b32_e64 v1, v31, 0, vcc
	v_xor_b32_e32 v19, v1, v19
	v_cmp_ne_u32_e32 vcc, s4, v19
	v_cndmask_b32_e32 v1, v31, v19, vcc
	v_lshrrev_b32_e32 v1, s20, v1
	v_and_b32_e32 v4, s13, v1
	v_lshl_add_u32 v1, v4, 4, v4
	v_add_lshl_u32 v38, v22, v1, 2
	v_and_b32_e32 v1, 1, v4
	v_add_co_u32_e32 v5, vcc, -1, v1
	v_addc_co_u32_e64 v34, s[2:3], 0, -1, vcc
	v_cmp_ne_u32_e32 vcc, 0, v1
	v_xor_b32_e32 v1, vcc_hi, v34
	v_and_b32_e32 v34, exec_hi, v1
	v_lshlrev_b32_e32 v1, 30, v4
	v_xor_b32_e32 v5, vcc_lo, v5
	v_cmp_gt_i64_e32 vcc, 0, v[0:1]
	v_not_b32_e32 v1, v1
	v_ashrrev_i32_e32 v1, 31, v1
	v_and_b32_e32 v5, exec_lo, v5
	v_xor_b32_e32 v36, vcc_hi, v1
	v_xor_b32_e32 v1, vcc_lo, v1
	v_and_b32_e32 v5, v5, v1
	v_lshlrev_b32_e32 v1, 29, v4
	v_cmp_gt_i64_e32 vcc, 0, v[0:1]
	v_not_b32_e32 v1, v1
	v_ashrrev_i32_e32 v1, 31, v1
	v_and_b32_e32 v34, v34, v36
	v_xor_b32_e32 v36, vcc_hi, v1
	v_xor_b32_e32 v1, vcc_lo, v1
	v_and_b32_e32 v5, v5, v1
	v_lshlrev_b32_e32 v1, 28, v4
	v_cmp_gt_i64_e32 vcc, 0, v[0:1]
	v_not_b32_e32 v1, v1
	v_ashrrev_i32_e32 v1, 31, v1
	v_and_b32_e32 v34, v34, v36
	;; [unrolled: 8-line block ×5, first 2 shown]
	v_xor_b32_e32 v36, vcc_hi, v1
	v_xor_b32_e32 v1, vcc_lo, v1
	v_and_b32_e32 v5, v5, v1
	v_lshlrev_b32_e32 v1, 24, v4
	v_cmp_gt_i64_e32 vcc, 0, v[0:1]
	v_not_b32_e32 v0, v1
	v_ashrrev_i32_e32 v0, 31, v0
	v_xor_b32_e32 v1, vcc_hi, v0
	v_xor_b32_e32 v0, vcc_lo, v0
	; wave barrier
	ds_read_b32 v31, v38 offset:64
	v_and_b32_e32 v34, v34, v36
	v_and_b32_e32 v0, v5, v0
	;; [unrolled: 1-line block ×3, first 2 shown]
	v_mbcnt_lo_u32_b32 v4, v0, 0
	v_mbcnt_hi_u32_b32 v34, v1, v4
	v_cmp_eq_u32_e32 vcc, 0, v34
	v_cmp_ne_u64_e64 s[2:3], 0, v[0:1]
	s_and_b64 s[4:5], s[2:3], vcc
	; wave barrier
	s_and_saveexec_b64 s[2:3], s[4:5]
	s_cbranch_execz .LBB2550_99
; %bb.98:
	v_bcnt_u32_b32 v0, v0, 0
	v_bcnt_u32_b32 v0, v1, v0
	s_waitcnt lgkmcnt(0)
	v_add_u32_e32 v0, v31, v0
	ds_write_b32 v38, v0 offset:64
.LBB2550_99:
	s_or_b64 exec, exec, s[2:3]
	v_bfrev_b32_e32 v39, -2
	s_waitcnt vmcnt(5)
	v_cmp_gt_i32_e32 vcc, 0, v23
	v_cndmask_b32_e64 v1, v39, 0, vcc
	v_xor_b32_e32 v23, v1, v23
	s_brev_b32 s4, 1
	v_cmp_ne_u32_e32 vcc, s4, v23
	v_cndmask_b32_e32 v1, v39, v23, vcc
	v_lshrrev_b32_e32 v1, s20, v1
	v_and_b32_e32 v4, s13, v1
	v_lshl_add_u32 v1, v4, 4, v4
	v_add_lshl_u32 v40, v22, v1, 2
	v_and_b32_e32 v1, 1, v4
	v_add_co_u32_e32 v5, vcc, -1, v1
	v_addc_co_u32_e64 v37, s[2:3], 0, -1, vcc
	v_cmp_ne_u32_e32 vcc, 0, v1
	v_xor_b32_e32 v1, vcc_hi, v37
	v_mov_b32_e32 v0, 0
	v_and_b32_e32 v37, exec_hi, v1
	v_lshlrev_b32_e32 v1, 30, v4
	v_xor_b32_e32 v5, vcc_lo, v5
	v_cmp_gt_i64_e32 vcc, 0, v[0:1]
	v_not_b32_e32 v1, v1
	v_ashrrev_i32_e32 v1, 31, v1
	v_and_b32_e32 v5, exec_lo, v5
	v_xor_b32_e32 v41, vcc_hi, v1
	v_xor_b32_e32 v1, vcc_lo, v1
	v_and_b32_e32 v5, v5, v1
	v_lshlrev_b32_e32 v1, 29, v4
	v_cmp_gt_i64_e32 vcc, 0, v[0:1]
	v_not_b32_e32 v1, v1
	v_ashrrev_i32_e32 v1, 31, v1
	v_and_b32_e32 v37, v37, v41
	v_xor_b32_e32 v41, vcc_hi, v1
	v_xor_b32_e32 v1, vcc_lo, v1
	v_and_b32_e32 v5, v5, v1
	v_lshlrev_b32_e32 v1, 28, v4
	v_cmp_gt_i64_e32 vcc, 0, v[0:1]
	v_not_b32_e32 v1, v1
	v_ashrrev_i32_e32 v1, 31, v1
	v_and_b32_e32 v37, v37, v41
	;; [unrolled: 8-line block ×5, first 2 shown]
	v_xor_b32_e32 v41, vcc_hi, v1
	v_xor_b32_e32 v1, vcc_lo, v1
	v_and_b32_e32 v37, v37, v41
	v_and_b32_e32 v41, v5, v1
	v_lshlrev_b32_e32 v1, 24, v4
	v_cmp_gt_i64_e32 vcc, 0, v[0:1]
	v_not_b32_e32 v1, v1
	v_ashrrev_i32_e32 v1, 31, v1
	v_xor_b32_e32 v4, vcc_hi, v1
	v_xor_b32_e32 v1, vcc_lo, v1
	; wave barrier
	ds_read_b32 v36, v40 offset:64
	v_and_b32_e32 v5, v37, v4
	v_and_b32_e32 v4, v41, v1
	v_mbcnt_lo_u32_b32 v1, v4, 0
	v_mbcnt_hi_u32_b32 v37, v5, v1
	v_cmp_eq_u32_e32 vcc, 0, v37
	v_cmp_ne_u64_e64 s[2:3], 0, v[4:5]
	s_and_b64 s[6:7], s[2:3], vcc
	; wave barrier
	s_and_saveexec_b64 s[2:3], s[6:7]
	s_cbranch_execz .LBB2550_101
; %bb.100:
	v_bcnt_u32_b32 v1, v4, 0
	v_bcnt_u32_b32 v1, v5, v1
	s_waitcnt lgkmcnt(0)
	v_add_u32_e32 v1, v36, v1
	ds_write_b32 v40, v1 offset:64
.LBB2550_101:
	s_or_b64 exec, exec, s[2:3]
	s_waitcnt vmcnt(4)
	v_cmp_gt_i32_e32 vcc, 0, v28
	v_cndmask_b32_e64 v1, v39, 0, vcc
	v_xor_b32_e32 v28, v1, v28
	v_cmp_ne_u32_e32 vcc, s4, v28
	v_cndmask_b32_e32 v1, v39, v28, vcc
	v_lshrrev_b32_e32 v1, s20, v1
	v_and_b32_e32 v4, s13, v1
	v_lshl_add_u32 v1, v4, 4, v4
	v_add_lshl_u32 v45, v22, v1, 2
	v_and_b32_e32 v1, 1, v4
	v_add_co_u32_e32 v5, vcc, -1, v1
	v_addc_co_u32_e64 v41, s[2:3], 0, -1, vcc
	v_cmp_ne_u32_e32 vcc, 0, v1
	v_xor_b32_e32 v1, vcc_hi, v41
	v_and_b32_e32 v41, exec_hi, v1
	v_lshlrev_b32_e32 v1, 30, v4
	v_xor_b32_e32 v5, vcc_lo, v5
	v_cmp_gt_i64_e32 vcc, 0, v[0:1]
	v_not_b32_e32 v1, v1
	v_ashrrev_i32_e32 v1, 31, v1
	v_and_b32_e32 v5, exec_lo, v5
	v_xor_b32_e32 v42, vcc_hi, v1
	v_xor_b32_e32 v1, vcc_lo, v1
	v_and_b32_e32 v5, v5, v1
	v_lshlrev_b32_e32 v1, 29, v4
	v_cmp_gt_i64_e32 vcc, 0, v[0:1]
	v_not_b32_e32 v1, v1
	v_ashrrev_i32_e32 v1, 31, v1
	v_and_b32_e32 v41, v41, v42
	v_xor_b32_e32 v42, vcc_hi, v1
	v_xor_b32_e32 v1, vcc_lo, v1
	v_and_b32_e32 v5, v5, v1
	v_lshlrev_b32_e32 v1, 28, v4
	v_cmp_gt_i64_e32 vcc, 0, v[0:1]
	v_not_b32_e32 v1, v1
	v_ashrrev_i32_e32 v1, 31, v1
	v_and_b32_e32 v41, v41, v42
	;; [unrolled: 8-line block ×5, first 2 shown]
	v_xor_b32_e32 v42, vcc_hi, v1
	v_xor_b32_e32 v1, vcc_lo, v1
	v_and_b32_e32 v5, v5, v1
	v_lshlrev_b32_e32 v1, 24, v4
	v_cmp_gt_i64_e32 vcc, 0, v[0:1]
	v_not_b32_e32 v0, v1
	v_ashrrev_i32_e32 v0, 31, v0
	v_xor_b32_e32 v1, vcc_hi, v0
	v_xor_b32_e32 v0, vcc_lo, v0
	; wave barrier
	ds_read_b32 v39, v45 offset:64
	v_and_b32_e32 v41, v41, v42
	v_and_b32_e32 v0, v5, v0
	;; [unrolled: 1-line block ×3, first 2 shown]
	v_mbcnt_lo_u32_b32 v4, v0, 0
	v_mbcnt_hi_u32_b32 v41, v1, v4
	v_cmp_eq_u32_e32 vcc, 0, v41
	v_cmp_ne_u64_e64 s[2:3], 0, v[0:1]
	s_and_b64 s[4:5], s[2:3], vcc
	; wave barrier
	s_and_saveexec_b64 s[2:3], s[4:5]
	s_cbranch_execz .LBB2550_103
; %bb.102:
	v_bcnt_u32_b32 v0, v0, 0
	v_bcnt_u32_b32 v0, v1, v0
	s_waitcnt lgkmcnt(0)
	v_add_u32_e32 v0, v39, v0
	ds_write_b32 v45, v0 offset:64
.LBB2550_103:
	s_or_b64 exec, exec, s[2:3]
	v_bfrev_b32_e32 v43, -2
	s_waitcnt vmcnt(3)
	v_cmp_gt_i32_e32 vcc, 0, v33
	v_cndmask_b32_e64 v1, v43, 0, vcc
	v_xor_b32_e32 v33, v1, v33
	s_brev_b32 s4, 1
	v_cmp_ne_u32_e32 vcc, s4, v33
	v_cndmask_b32_e32 v1, v43, v33, vcc
	v_lshrrev_b32_e32 v1, s20, v1
	v_and_b32_e32 v4, s13, v1
	v_lshl_add_u32 v1, v4, 4, v4
	v_add_lshl_u32 v48, v22, v1, 2
	v_and_b32_e32 v1, 1, v4
	v_add_co_u32_e32 v5, vcc, -1, v1
	v_addc_co_u32_e64 v44, s[2:3], 0, -1, vcc
	v_cmp_ne_u32_e32 vcc, 0, v1
	v_xor_b32_e32 v1, vcc_hi, v44
	v_mov_b32_e32 v0, 0
	v_and_b32_e32 v44, exec_hi, v1
	v_lshlrev_b32_e32 v1, 30, v4
	v_xor_b32_e32 v5, vcc_lo, v5
	v_cmp_gt_i64_e32 vcc, 0, v[0:1]
	v_not_b32_e32 v1, v1
	v_ashrrev_i32_e32 v1, 31, v1
	v_and_b32_e32 v5, exec_lo, v5
	v_xor_b32_e32 v46, vcc_hi, v1
	v_xor_b32_e32 v1, vcc_lo, v1
	v_and_b32_e32 v5, v5, v1
	v_lshlrev_b32_e32 v1, 29, v4
	v_cmp_gt_i64_e32 vcc, 0, v[0:1]
	v_not_b32_e32 v1, v1
	v_ashrrev_i32_e32 v1, 31, v1
	v_and_b32_e32 v44, v44, v46
	v_xor_b32_e32 v46, vcc_hi, v1
	v_xor_b32_e32 v1, vcc_lo, v1
	v_and_b32_e32 v5, v5, v1
	v_lshlrev_b32_e32 v1, 28, v4
	v_cmp_gt_i64_e32 vcc, 0, v[0:1]
	v_not_b32_e32 v1, v1
	v_ashrrev_i32_e32 v1, 31, v1
	v_and_b32_e32 v44, v44, v46
	v_xor_b32_e32 v46, vcc_hi, v1
	v_xor_b32_e32 v1, vcc_lo, v1
	v_and_b32_e32 v5, v5, v1
	v_lshlrev_b32_e32 v1, 27, v4
	v_cmp_gt_i64_e32 vcc, 0, v[0:1]
	v_not_b32_e32 v1, v1
	v_ashrrev_i32_e32 v1, 31, v1
	v_and_b32_e32 v44, v44, v46
	v_xor_b32_e32 v46, vcc_hi, v1
	v_xor_b32_e32 v1, vcc_lo, v1
	v_and_b32_e32 v5, v5, v1
	v_lshlrev_b32_e32 v1, 26, v4
	v_cmp_gt_i64_e32 vcc, 0, v[0:1]
	v_not_b32_e32 v1, v1
	v_ashrrev_i32_e32 v1, 31, v1
	v_and_b32_e32 v44, v44, v46
	v_xor_b32_e32 v46, vcc_hi, v1
	v_xor_b32_e32 v1, vcc_lo, v1
	v_and_b32_e32 v5, v5, v1
	v_lshlrev_b32_e32 v1, 25, v4
	v_cmp_gt_i64_e32 vcc, 0, v[0:1]
	v_not_b32_e32 v1, v1
	v_ashrrev_i32_e32 v1, 31, v1
	v_and_b32_e32 v44, v44, v46
	v_xor_b32_e32 v46, vcc_hi, v1
	v_xor_b32_e32 v1, vcc_lo, v1
	v_and_b32_e32 v44, v44, v46
	v_and_b32_e32 v46, v5, v1
	v_lshlrev_b32_e32 v1, 24, v4
	v_cmp_gt_i64_e32 vcc, 0, v[0:1]
	v_not_b32_e32 v1, v1
	v_ashrrev_i32_e32 v1, 31, v1
	v_xor_b32_e32 v4, vcc_hi, v1
	v_xor_b32_e32 v1, vcc_lo, v1
	; wave barrier
	ds_read_b32 v42, v48 offset:64
	v_and_b32_e32 v5, v44, v4
	v_and_b32_e32 v4, v46, v1
	v_mbcnt_lo_u32_b32 v1, v4, 0
	v_mbcnt_hi_u32_b32 v44, v5, v1
	v_cmp_eq_u32_e32 vcc, 0, v44
	v_cmp_ne_u64_e64 s[2:3], 0, v[4:5]
	s_and_b64 s[6:7], s[2:3], vcc
	; wave barrier
	s_and_saveexec_b64 s[2:3], s[6:7]
	s_cbranch_execz .LBB2550_105
; %bb.104:
	v_bcnt_u32_b32 v1, v4, 0
	v_bcnt_u32_b32 v1, v5, v1
	s_waitcnt lgkmcnt(0)
	v_add_u32_e32 v1, v42, v1
	ds_write_b32 v48, v1 offset:64
.LBB2550_105:
	s_or_b64 exec, exec, s[2:3]
	s_waitcnt vmcnt(2)
	v_cmp_gt_i32_e32 vcc, 0, v32
	v_cndmask_b32_e64 v1, v43, 0, vcc
	v_xor_b32_e32 v32, v1, v32
	v_cmp_ne_u32_e32 vcc, s4, v32
	v_cndmask_b32_e32 v1, v43, v32, vcc
	v_lshrrev_b32_e32 v1, s20, v1
	v_and_b32_e32 v4, s13, v1
	v_lshl_add_u32 v1, v4, 4, v4
	v_add_lshl_u32 v50, v22, v1, 2
	v_and_b32_e32 v1, 1, v4
	v_add_co_u32_e32 v5, vcc, -1, v1
	v_addc_co_u32_e64 v43, s[2:3], 0, -1, vcc
	v_cmp_ne_u32_e32 vcc, 0, v1
	v_xor_b32_e32 v1, vcc_hi, v43
	v_and_b32_e32 v43, exec_hi, v1
	v_lshlrev_b32_e32 v1, 30, v4
	v_xor_b32_e32 v5, vcc_lo, v5
	v_cmp_gt_i64_e32 vcc, 0, v[0:1]
	v_not_b32_e32 v1, v1
	v_ashrrev_i32_e32 v1, 31, v1
	v_and_b32_e32 v5, exec_lo, v5
	v_xor_b32_e32 v47, vcc_hi, v1
	v_xor_b32_e32 v1, vcc_lo, v1
	v_and_b32_e32 v5, v5, v1
	v_lshlrev_b32_e32 v1, 29, v4
	v_cmp_gt_i64_e32 vcc, 0, v[0:1]
	v_not_b32_e32 v1, v1
	v_ashrrev_i32_e32 v1, 31, v1
	v_and_b32_e32 v43, v43, v47
	v_xor_b32_e32 v47, vcc_hi, v1
	v_xor_b32_e32 v1, vcc_lo, v1
	v_and_b32_e32 v5, v5, v1
	v_lshlrev_b32_e32 v1, 28, v4
	v_cmp_gt_i64_e32 vcc, 0, v[0:1]
	v_not_b32_e32 v1, v1
	v_ashrrev_i32_e32 v1, 31, v1
	v_and_b32_e32 v43, v43, v47
	;; [unrolled: 8-line block ×5, first 2 shown]
	v_xor_b32_e32 v47, vcc_hi, v1
	v_xor_b32_e32 v1, vcc_lo, v1
	v_and_b32_e32 v5, v5, v1
	v_lshlrev_b32_e32 v1, 24, v4
	v_cmp_gt_i64_e32 vcc, 0, v[0:1]
	v_not_b32_e32 v0, v1
	v_ashrrev_i32_e32 v0, 31, v0
	v_xor_b32_e32 v1, vcc_hi, v0
	v_xor_b32_e32 v0, vcc_lo, v0
	; wave barrier
	ds_read_b32 v46, v50 offset:64
	v_and_b32_e32 v43, v43, v47
	v_and_b32_e32 v0, v5, v0
	;; [unrolled: 1-line block ×3, first 2 shown]
	v_mbcnt_lo_u32_b32 v4, v0, 0
	v_mbcnt_hi_u32_b32 v47, v1, v4
	v_cmp_eq_u32_e32 vcc, 0, v47
	v_cmp_ne_u64_e64 s[2:3], 0, v[0:1]
	s_and_b64 s[4:5], s[2:3], vcc
	; wave barrier
	s_and_saveexec_b64 s[2:3], s[4:5]
	s_cbranch_execz .LBB2550_107
; %bb.106:
	v_bcnt_u32_b32 v0, v0, 0
	v_bcnt_u32_b32 v0, v1, v0
	s_waitcnt lgkmcnt(0)
	v_add_u32_e32 v0, v46, v0
	ds_write_b32 v50, v0 offset:64
.LBB2550_107:
	s_or_b64 exec, exec, s[2:3]
	v_bfrev_b32_e32 v52, -2
	s_waitcnt vmcnt(1)
	v_cmp_gt_i32_e32 vcc, 0, v27
	v_cndmask_b32_e64 v1, v52, 0, vcc
	v_xor_b32_e32 v27, v1, v27
	s_brev_b32 s4, 1
	v_cmp_ne_u32_e32 vcc, s4, v27
	v_cndmask_b32_e32 v1, v52, v27, vcc
	v_lshrrev_b32_e32 v1, s20, v1
	v_and_b32_e32 v4, s13, v1
	v_lshl_add_u32 v1, v4, 4, v4
	v_add_lshl_u32 v53, v22, v1, 2
	v_and_b32_e32 v1, 1, v4
	v_add_co_u32_e32 v5, vcc, -1, v1
	v_addc_co_u32_e64 v43, s[2:3], 0, -1, vcc
	v_cmp_ne_u32_e32 vcc, 0, v1
	v_xor_b32_e32 v1, vcc_hi, v43
	v_mov_b32_e32 v0, 0
	v_and_b32_e32 v43, exec_hi, v1
	v_lshlrev_b32_e32 v1, 30, v4
	v_xor_b32_e32 v5, vcc_lo, v5
	v_cmp_gt_i64_e32 vcc, 0, v[0:1]
	v_not_b32_e32 v1, v1
	v_ashrrev_i32_e32 v1, 31, v1
	v_and_b32_e32 v5, exec_lo, v5
	v_xor_b32_e32 v51, vcc_hi, v1
	v_xor_b32_e32 v1, vcc_lo, v1
	v_and_b32_e32 v5, v5, v1
	v_lshlrev_b32_e32 v1, 29, v4
	v_cmp_gt_i64_e32 vcc, 0, v[0:1]
	v_not_b32_e32 v1, v1
	v_ashrrev_i32_e32 v1, 31, v1
	v_and_b32_e32 v43, v43, v51
	v_xor_b32_e32 v51, vcc_hi, v1
	v_xor_b32_e32 v1, vcc_lo, v1
	v_and_b32_e32 v5, v5, v1
	v_lshlrev_b32_e32 v1, 28, v4
	v_cmp_gt_i64_e32 vcc, 0, v[0:1]
	v_not_b32_e32 v1, v1
	v_ashrrev_i32_e32 v1, 31, v1
	v_and_b32_e32 v43, v43, v51
	;; [unrolled: 8-line block ×5, first 2 shown]
	v_xor_b32_e32 v51, vcc_hi, v1
	v_xor_b32_e32 v1, vcc_lo, v1
	v_and_b32_e32 v43, v43, v51
	v_and_b32_e32 v51, v5, v1
	v_lshlrev_b32_e32 v1, 24, v4
	v_cmp_gt_i64_e32 vcc, 0, v[0:1]
	v_not_b32_e32 v1, v1
	v_ashrrev_i32_e32 v1, 31, v1
	v_xor_b32_e32 v4, vcc_hi, v1
	v_xor_b32_e32 v1, vcc_lo, v1
	; wave barrier
	ds_read_b32 v49, v53 offset:64
	v_and_b32_e32 v5, v43, v4
	v_and_b32_e32 v4, v51, v1
	v_mbcnt_lo_u32_b32 v1, v4, 0
	v_mbcnt_hi_u32_b32 v51, v5, v1
	v_cmp_eq_u32_e32 vcc, 0, v51
	v_cmp_ne_u64_e64 s[2:3], 0, v[4:5]
	s_and_b64 s[6:7], s[2:3], vcc
	; wave barrier
	s_and_saveexec_b64 s[2:3], s[6:7]
	s_cbranch_execz .LBB2550_109
; %bb.108:
	v_bcnt_u32_b32 v1, v4, 0
	v_bcnt_u32_b32 v1, v5, v1
	s_waitcnt lgkmcnt(0)
	v_add_u32_e32 v1, v49, v1
	ds_write_b32 v53, v1 offset:64
.LBB2550_109:
	s_or_b64 exec, exec, s[2:3]
	s_waitcnt vmcnt(0)
	v_cmp_gt_i32_e32 vcc, 0, v9
	v_cndmask_b32_e64 v1, v52, 0, vcc
	v_xor_b32_e32 v43, v1, v9
	v_cmp_ne_u32_e32 vcc, s4, v43
	v_cndmask_b32_e32 v1, v52, v43, vcc
	v_lshrrev_b32_e32 v1, s20, v1
	v_and_b32_e32 v4, s13, v1
	v_lshl_add_u32 v1, v4, 4, v4
	v_add_lshl_u32 v9, v1, v22, 2
	v_and_b32_e32 v1, 1, v4
	v_add_co_u32_e32 v5, vcc, -1, v1
	v_addc_co_u32_e64 v22, s[2:3], 0, -1, vcc
	v_cmp_ne_u32_e32 vcc, 0, v1
	v_xor_b32_e32 v1, vcc_hi, v22
	v_and_b32_e32 v22, exec_hi, v1
	v_lshlrev_b32_e32 v1, 30, v4
	v_xor_b32_e32 v5, vcc_lo, v5
	v_cmp_gt_i64_e32 vcc, 0, v[0:1]
	v_not_b32_e32 v1, v1
	v_ashrrev_i32_e32 v1, 31, v1
	v_and_b32_e32 v5, exec_lo, v5
	v_xor_b32_e32 v54, vcc_hi, v1
	v_xor_b32_e32 v1, vcc_lo, v1
	v_and_b32_e32 v5, v5, v1
	v_lshlrev_b32_e32 v1, 29, v4
	v_cmp_gt_i64_e32 vcc, 0, v[0:1]
	v_not_b32_e32 v1, v1
	v_ashrrev_i32_e32 v1, 31, v1
	v_and_b32_e32 v22, v22, v54
	v_xor_b32_e32 v54, vcc_hi, v1
	v_xor_b32_e32 v1, vcc_lo, v1
	v_and_b32_e32 v5, v5, v1
	v_lshlrev_b32_e32 v1, 28, v4
	v_cmp_gt_i64_e32 vcc, 0, v[0:1]
	v_not_b32_e32 v1, v1
	v_ashrrev_i32_e32 v1, 31, v1
	v_and_b32_e32 v22, v22, v54
	;; [unrolled: 8-line block ×5, first 2 shown]
	v_xor_b32_e32 v54, vcc_hi, v1
	v_xor_b32_e32 v1, vcc_lo, v1
	v_and_b32_e32 v5, v5, v1
	v_lshlrev_b32_e32 v1, 24, v4
	v_cmp_gt_i64_e32 vcc, 0, v[0:1]
	v_not_b32_e32 v0, v1
	v_ashrrev_i32_e32 v0, 31, v0
	v_xor_b32_e32 v1, vcc_hi, v0
	v_xor_b32_e32 v0, vcc_lo, v0
	; wave barrier
	ds_read_b32 v52, v9 offset:64
	v_and_b32_e32 v22, v22, v54
	v_and_b32_e32 v0, v5, v0
	v_and_b32_e32 v1, v22, v1
	v_mbcnt_lo_u32_b32 v4, v0, 0
	v_mbcnt_hi_u32_b32 v54, v1, v4
	v_cmp_eq_u32_e32 vcc, 0, v54
	v_cmp_ne_u64_e64 s[2:3], 0, v[0:1]
	v_add_u32_e32 v55, 64, v6
	s_and_b64 s[4:5], s[2:3], vcc
	; wave barrier
	s_and_saveexec_b64 s[2:3], s[4:5]
	s_cbranch_execz .LBB2550_111
; %bb.110:
	v_bcnt_u32_b32 v0, v0, 0
	v_bcnt_u32_b32 v0, v1, v0
	s_waitcnt lgkmcnt(0)
	v_add_u32_e32 v0, v52, v0
	ds_write_b32 v9, v0 offset:64
.LBB2550_111:
	s_or_b64 exec, exec, s[2:3]
	; wave barrier
	s_waitcnt lgkmcnt(0)
	s_barrier
	ds_read2_b32 v[4:5], v6 offset0:16 offset1:17
	ds_read2_b32 v[0:1], v55 offset0:2 offset1:3
	ds_read_b32 v22, v55 offset:16
	v_cmp_lt_u32_e64 s[8:9], 31, v3
	s_waitcnt lgkmcnt(1)
	v_add3_u32 v56, v5, v4, v0
	s_waitcnt lgkmcnt(0)
	v_add3_u32 v22, v56, v1, v22
	v_and_b32_e32 v56, 15, v3
	v_cmp_eq_u32_e32 vcc, 0, v56
	v_mov_b32_dpp v57, v22 row_shr:1 row_mask:0xf bank_mask:0xf
	v_cndmask_b32_e64 v57, v57, 0, vcc
	v_add_u32_e32 v22, v57, v22
	v_cmp_lt_u32_e64 s[2:3], 1, v56
	v_cmp_lt_u32_e64 s[4:5], 3, v56
	v_mov_b32_dpp v57, v22 row_shr:2 row_mask:0xf bank_mask:0xf
	v_cndmask_b32_e64 v57, 0, v57, s[2:3]
	v_add_u32_e32 v22, v22, v57
	v_cmp_lt_u32_e64 s[6:7], 7, v56
	s_nop 0
	v_mov_b32_dpp v57, v22 row_shr:4 row_mask:0xf bank_mask:0xf
	v_cndmask_b32_e64 v57, 0, v57, s[4:5]
	v_add_u32_e32 v22, v22, v57
	s_nop 1
	v_mov_b32_dpp v57, v22 row_shr:8 row_mask:0xf bank_mask:0xf
	v_cndmask_b32_e64 v56, 0, v57, s[6:7]
	v_add_u32_e32 v22, v22, v56
	v_bfe_i32 v57, v3, 4, 1
	s_nop 0
	v_mov_b32_dpp v56, v22 row_bcast:15 row_mask:0xf bank_mask:0xf
	v_and_b32_e32 v56, v57, v56
	v_add_u32_e32 v22, v22, v56
	v_lshrrev_b32_e32 v57, 6, v2
	s_nop 0
	v_mov_b32_dpp v56, v22 row_bcast:31 row_mask:0xf bank_mask:0xf
	v_cndmask_b32_e64 v56, 0, v56, s[8:9]
	v_add_u32_e32 v56, v22, v56
	v_and_b32_e32 v22, 63, v2
	v_cmp_eq_u32_e64 s[8:9], 63, v22
	s_and_saveexec_b64 s[10:11], s[8:9]
	s_cbranch_execz .LBB2550_113
; %bb.112:
	v_lshlrev_b32_e32 v22, 2, v57
	ds_write_b32 v22, v56
.LBB2550_113:
	s_or_b64 exec, exec, s[10:11]
	v_cmp_gt_u32_e64 s[8:9], 16, v2
	v_lshlrev_b32_e32 v22, 2, v2
	s_waitcnt lgkmcnt(0)
	s_barrier
	s_and_saveexec_b64 s[10:11], s[8:9]
	s_cbranch_execz .LBB2550_115
; %bb.114:
	ds_read_b32 v58, v22
	s_waitcnt lgkmcnt(0)
	s_nop 0
	v_mov_b32_dpp v59, v58 row_shr:1 row_mask:0xf bank_mask:0xf
	v_cndmask_b32_e64 v59, v59, 0, vcc
	v_add_u32_e32 v58, v59, v58
	s_nop 1
	v_mov_b32_dpp v59, v58 row_shr:2 row_mask:0xf bank_mask:0xf
	v_cndmask_b32_e64 v59, 0, v59, s[2:3]
	v_add_u32_e32 v58, v58, v59
	s_nop 1
	v_mov_b32_dpp v59, v58 row_shr:4 row_mask:0xf bank_mask:0xf
	v_cndmask_b32_e64 v59, 0, v59, s[4:5]
	;; [unrolled: 4-line block ×3, first 2 shown]
	v_add_u32_e32 v58, v58, v59
	ds_write_b32 v22, v58
.LBB2550_115:
	s_or_b64 exec, exec, s[10:11]
	v_cmp_lt_u32_e32 vcc, 63, v2
	v_mov_b32_e32 v58, 0
	s_waitcnt lgkmcnt(0)
	s_barrier
	s_and_saveexec_b64 s[2:3], vcc
	s_cbranch_execz .LBB2550_117
; %bb.116:
	v_lshl_add_u32 v57, v57, 2, -4
	ds_read_b32 v58, v57
.LBB2550_117:
	s_or_b64 exec, exec, s[2:3]
	v_add_u32_e32 v57, -1, v3
	v_and_b32_e32 v59, 64, v3
	v_cmp_lt_i32_e32 vcc, v57, v59
	v_cndmask_b32_e32 v57, v57, v3, vcc
	s_waitcnt lgkmcnt(0)
	v_add_u32_e32 v56, v58, v56
	v_lshlrev_b32_e32 v57, 2, v57
	ds_bpermute_b32 v56, v57, v56
	v_cmp_eq_u32_e32 vcc, 0, v3
	s_movk_i32 s2, 0xff
	s_waitcnt lgkmcnt(0)
	v_cndmask_b32_e32 v3, v56, v58, vcc
	v_cndmask_b32_e64 v3, v3, 0, s[0:1]
	v_add_u32_e32 v4, v3, v4
	v_add_u32_e32 v5, v4, v5
	;; [unrolled: 1-line block ×4, first 2 shown]
	ds_write2_b32 v6, v3, v4 offset0:16 offset1:17
	ds_write2_b32 v55, v5, v0 offset0:2 offset1:3
	ds_write_b32 v55, v1 offset:16
	s_waitcnt lgkmcnt(0)
	s_barrier
	ds_read_b32 v59, v7 offset:64
	ds_read_b32 v55, v8 offset:64
	;; [unrolled: 1-line block ×12, first 2 shown]
	s_movk_i32 s0, 0x100
	v_cmp_lt_u32_e32 vcc, s2, v2
	v_cmp_gt_u32_e64 s[0:1], s0, v2
	v_pk_mov_b32 v[4:5], 0, 0
                                        ; implicit-def: $vgpr40
	s_and_saveexec_b64 s[4:5], s[0:1]
	s_cbranch_execz .LBB2550_121
; %bb.118:
	v_mul_u32_u24_e32 v0, 17, v2
	v_lshlrev_b32_e32 v1, 2, v0
	ds_read_b32 v4, v1 offset:64
	v_cmp_ne_u32_e64 s[2:3], s2, v2
	v_mov_b32_e32 v0, 0x3000
	s_and_saveexec_b64 s[6:7], s[2:3]
	s_cbranch_execz .LBB2550_120
; %bb.119:
	ds_read_b32 v0, v1 offset:132
.LBB2550_120:
	s_or_b64 exec, exec, s[6:7]
	s_waitcnt lgkmcnt(0)
	v_sub_u32_e32 v40, v0, v4
	v_mov_b32_e32 v5, 0
.LBB2550_121:
	s_or_b64 exec, exec, s[4:5]
	s_waitcnt lgkmcnt(0)
	s_barrier
	s_and_saveexec_b64 s[2:3], vcc
	s_xor_b64 s[2:3], exec, s[2:3]
; %bb.122:
	v_mov_b32_e32 v3, 0
; %bb.123:
	s_andn2_saveexec_b64 s[2:3], s[2:3]
	s_cbranch_execz .LBB2550_133
; %bb.124:
	v_lshl_or_b32 v0, s30, 8, v2
	v_mov_b32_e32 v1, 0
	v_lshlrev_b64 v[6:7], 2, v[0:1]
	v_mov_b32_e32 v3, s15
	v_add_co_u32_e32 v6, vcc, s14, v6
	v_addc_co_u32_e32 v7, vcc, v3, v7, vcc
	v_or_b32_e32 v0, 2.0, v40
	s_mov_b64 s[4:5], 0
	s_brev_b32 s10, 1
	s_mov_b32 s11, s30
	v_mov_b32_e32 v53, 0
	global_store_dword v[6:7], v0, off
                                        ; implicit-def: $sgpr6_sgpr7
	s_branch .LBB2550_127
.LBB2550_125:                           ;   in Loop: Header=BB2550_127 Depth=1
	s_or_b64 exec, exec, s[8:9]
.LBB2550_126:                           ;   in Loop: Header=BB2550_127 Depth=1
	s_or_b64 exec, exec, s[6:7]
	v_and_b32_e32 v8, 0x3fffffff, v60
	v_add_u32_e32 v53, v8, v53
	v_cmp_eq_u32_e64 s[6:7], s10, v0
	s_and_b64 s[8:9], exec, s[6:7]
	s_or_b64 s[4:5], s[8:9], s[4:5]
	s_andn2_b64 exec, exec, s[4:5]
	s_cbranch_execz .LBB2550_132
.LBB2550_127:                           ; =>This Loop Header: Depth=1
                                        ;     Child Loop BB2550_130 Depth 2
	s_or_b64 s[6:7], s[6:7], exec
	s_cmp_eq_u32 s11, 0
	s_cbranch_scc1 .LBB2550_131
; %bb.128:                              ;   in Loop: Header=BB2550_127 Depth=1
	s_add_i32 s11, s11, -1
	v_lshl_or_b32 v0, s11, 8, v2
	v_lshlrev_b64 v[8:9], 2, v[0:1]
	v_add_co_u32_e32 v8, vcc, s14, v8
	v_addc_co_u32_e32 v9, vcc, v3, v9, vcc
	global_load_dword v60, v[8:9], off glc
	s_waitcnt vmcnt(0)
	v_and_b32_e32 v0, -2.0, v60
	v_cmp_eq_u32_e32 vcc, 0, v0
	s_and_saveexec_b64 s[6:7], vcc
	s_cbranch_execz .LBB2550_126
; %bb.129:                              ;   in Loop: Header=BB2550_127 Depth=1
	s_mov_b64 s[8:9], 0
.LBB2550_130:                           ;   Parent Loop BB2550_127 Depth=1
                                        ; =>  This Inner Loop Header: Depth=2
	global_load_dword v60, v[8:9], off glc
	s_waitcnt vmcnt(0)
	v_and_b32_e32 v0, -2.0, v60
	v_cmp_ne_u32_e32 vcc, 0, v0
	s_or_b64 s[8:9], vcc, s[8:9]
	s_andn2_b64 exec, exec, s[8:9]
	s_cbranch_execnz .LBB2550_130
	s_branch .LBB2550_125
.LBB2550_131:                           ;   in Loop: Header=BB2550_127 Depth=1
                                        ; implicit-def: $sgpr11
	s_and_b64 s[8:9], exec, s[6:7]
	s_or_b64 s[4:5], s[8:9], s[4:5]
	s_andn2_b64 exec, exec, s[4:5]
	s_cbranch_execnz .LBB2550_127
.LBB2550_132:
	s_or_b64 exec, exec, s[4:5]
	v_add_u32_e32 v0, v53, v40
	v_or_b32_e32 v0, 0x80000000, v0
	global_store_dword v[6:7], v0, off
	v_lshlrev_b32_e32 v6, 3, v2
	global_load_dwordx2 v[0:1], v6, s[16:17]
	v_sub_co_u32_e32 v7, vcc, v53, v4
	v_subb_co_u32_e32 v8, vcc, 0, v5, vcc
	v_mov_b32_e32 v3, 0
	s_waitcnt vmcnt(0)
	v_add_co_u32_e32 v0, vcc, v7, v0
	v_addc_co_u32_e32 v1, vcc, v8, v1, vcc
	ds_write_b64 v6, v[0:1]
.LBB2550_133:
	s_or_b64 exec, exec, s[2:3]
	v_lshlrev_b64 v[0:1], 2, v[2:3]
	v_add3_u32 v15, v17, v55, v15
	v_mov_b32_e32 v17, s27
	v_add_co_u32_e32 v0, vcc, s26, v0
	v_add_u32_e32 v6, v59, v14
	v_add_u32_e32 v7, 0x800, v22
	v_add3_u32 v8, v54, v50, v52
	v_add3_u32 v9, v51, v48, v49
	;; [unrolled: 1-line block ×10, first 2 shown]
	v_addc_co_u32_e32 v1, vcc, v17, v1, vcc
	s_mov_b32 s2, 0
	s_movk_i32 s3, 0x1000
	s_brev_b32 s4, 1
	v_bfrev_b32_e32 v17, -2
	s_movk_i32 s5, 0x2000
.LBB2550_134:                           ; =>This Inner Loop Header: Depth=1
	v_add_u32_e32 v20, s2, v6
	v_add_u32_e32 v36, s2, v26
	;; [unrolled: 1-line block ×12, first 2 shown]
	v_min_u32_e32 v20, 0x1000, v20
	v_min_u32_e32 v36, 0x1000, v36
	;; [unrolled: 1-line block ×12, first 2 shown]
	v_lshlrev_b32_e32 v20, 2, v20
	v_lshlrev_b32_e32 v36, 2, v36
	;; [unrolled: 1-line block ×12, first 2 shown]
	ds_write_b32 v20, v10 offset:2048
	ds_write_b32 v24, v11 offset:2048
	;; [unrolled: 1-line block ×12, first 2 shown]
	s_waitcnt lgkmcnt(0)
	s_barrier
	ds_read_b32 v20, v22 offset:2048
	ds_read2st64_b32 v[36:37], v7 offset0:16 offset1:32
	s_addk_i32 s2, 0xf000
	s_cmpk_lg_i32 s2, 0xd000
	s_waitcnt lgkmcnt(1)
	v_cmp_ne_u32_e32 vcc, s4, v20
	v_cndmask_b32_e32 v24, v17, v20, vcc
	v_cmp_gt_i32_e32 vcc, 0, v20
	v_cndmask_b32_e64 v29, v17, 0, vcc
	s_waitcnt lgkmcnt(0)
	v_cmp_ne_u32_e32 vcc, s4, v36
	v_cndmask_b32_e32 v34, v17, v36, vcc
	v_cmp_gt_i32_e32 vcc, 0, v36
	v_cndmask_b32_e64 v38, v17, 0, vcc
	v_cmp_ne_u32_e32 vcc, s4, v37
	v_cndmask_b32_e32 v39, v17, v37, vcc
	v_lshrrev_b32_e32 v24, s20, v24
	v_cmp_gt_i32_e32 vcc, 0, v37
	v_xor_b32_e32 v20, v29, v20
	v_lshrrev_b32_e32 v29, s20, v34
	v_xor_b32_e32 v34, v38, v36
	v_lshrrev_b32_e32 v36, s20, v39
	v_and_b32_e32 v24, s13, v24
	v_cndmask_b32_e64 v41, v17, 0, vcc
	v_and_b32_e32 v29, s13, v29
	v_and_b32_e32 v36, s13, v36
	v_lshlrev_b32_e32 v24, 3, v24
	v_xor_b32_e32 v41, v41, v37
	v_lshlrev_b32_e32 v29, 3, v29
	v_lshlrev_b32_e32 v42, 3, v36
	ds_read_b64 v[36:37], v24
	ds_read_b64 v[38:39], v29
	;; [unrolled: 1-line block ×3, first 2 shown]
	ds_read_b32 v24, v7 offset:12288
	s_waitcnt lgkmcnt(3)
	v_lshlrev_b64 v[36:37], 2, v[36:37]
	s_waitcnt lgkmcnt(2)
	v_lshlrev_b64 v[38:39], 2, v[38:39]
	;; [unrolled: 2-line block ×3, first 2 shown]
	s_waitcnt lgkmcnt(0)
	v_cmp_ne_u32_e32 vcc, s4, v24
	v_cndmask_b32_e32 v29, v17, v24, vcc
	v_cmp_gt_i32_e32 vcc, 0, v24
	v_cndmask_b32_e64 v42, v17, 0, vcc
	v_add_co_u32_e32 v36, vcc, v0, v36
	v_addc_co_u32_e32 v37, vcc, v1, v37, vcc
	v_add_co_u32_e32 v38, vcc, v0, v38
	v_addc_co_u32_e32 v39, vcc, v1, v39, vcc
	;; [unrolled: 2-line block ×3, first 2 shown]
	global_store_dword v[36:37], v20, off
	v_add_co_u32_e32 v36, vcc, s3, v38
	v_lshrrev_b32_e32 v29, s20, v29
	v_addc_co_u32_e32 v37, vcc, 0, v39, vcc
	v_add_co_u32_e32 v38, vcc, s5, v44
	v_and_b32_e32 v20, s13, v29
	v_addc_co_u32_e32 v39, vcc, 0, v45, vcc
	global_store_dword v[36:37], v34, off
	global_store_dword v[38:39], v41, off
	v_lshlrev_b32_e32 v20, 3, v20
	ds_read_b64 v[36:37], v20
	v_xor_b32_e32 v24, v42, v24
	s_waitcnt lgkmcnt(0)
	v_lshlrev_b64 v[36:37], 2, v[36:37]
	v_add_co_u32_e32 v20, vcc, v0, v36
	v_addc_co_u32_e32 v29, vcc, v1, v37, vcc
	v_add_co_u32_e32 v36, vcc, 0x3000, v20
	v_addc_co_u32_e32 v37, vcc, 0, v29, vcc
	;; [unrolled: 2-line block ×3, first 2 shown]
	global_store_dword v[36:37], v24, off
	s_barrier
	s_cbranch_scc1 .LBB2550_134
; %bb.135:
	s_add_i32 s12, s12, -1
	s_cmp_eq_u32 s12, s30
	s_cselect_b64 s[2:3], -1, 0
	s_and_b64 s[2:3], s[0:1], s[2:3]
.LBB2550_136:
	s_and_saveexec_b64 s[0:1], s[2:3]
	s_cbranch_execnz .LBB2550_138
; %bb.137:
	s_endpgm
.LBB2550_138:
	v_lshlrev_b32_e32 v6, 3, v2
	v_lshlrev_b64 v[0:1], 3, v[2:3]
	ds_read_b64 v[2:3], v6
	v_add_co_u32_e32 v4, vcc, v4, v40
	v_addc_co_u32_e32 v5, vcc, 0, v5, vcc
	v_mov_b32_e32 v7, s19
	v_add_co_u32_e32 v0, vcc, s18, v0
	v_addc_co_u32_e32 v1, vcc, v7, v1, vcc
	s_waitcnt lgkmcnt(0)
	v_add_co_u32_e32 v2, vcc, v4, v2
	v_addc_co_u32_e32 v3, vcc, v5, v3, vcc
	global_store_dwordx2 v[0:1], v[2:3], off
	s_endpgm
	.section	.rodata,"a",@progbits
	.p2align	6, 0x0
	.amdhsa_kernel _ZN7rocprim17ROCPRIM_400000_NS6detail17trampoline_kernelINS0_14default_configENS1_35radix_sort_onesweep_config_selectorIfNS0_10empty_typeEEEZZNS1_29radix_sort_onesweep_iterationIS3_Lb1EPfS8_PS5_S9_mNS0_19identity_decomposerENS1_16block_id_wrapperIjLb1EEEEE10hipError_tT1_PNSt15iterator_traitsISE_E10value_typeET2_T3_PNSF_ISK_E10value_typeET4_T5_PSP_SQ_PNS1_23onesweep_lookback_stateEbbT6_jjT7_P12ihipStream_tbENKUlT_T0_SE_SJ_E_clIS8_S8_S9_S9_EEDaSX_SY_SE_SJ_EUlSX_E_NS1_11comp_targetILNS1_3genE4ELNS1_11target_archE910ELNS1_3gpuE8ELNS1_3repE0EEENS1_47radix_sort_onesweep_sort_config_static_selectorELNS0_4arch9wavefront6targetE1EEEvSE_
		.amdhsa_group_segment_fixed_size 20552
		.amdhsa_private_segment_fixed_size 0
		.amdhsa_kernarg_size 344
		.amdhsa_user_sgpr_count 6
		.amdhsa_user_sgpr_private_segment_buffer 1
		.amdhsa_user_sgpr_dispatch_ptr 0
		.amdhsa_user_sgpr_queue_ptr 0
		.amdhsa_user_sgpr_kernarg_segment_ptr 1
		.amdhsa_user_sgpr_dispatch_id 0
		.amdhsa_user_sgpr_flat_scratch_init 0
		.amdhsa_user_sgpr_kernarg_preload_length 0
		.amdhsa_user_sgpr_kernarg_preload_offset 0
		.amdhsa_user_sgpr_private_segment_size 0
		.amdhsa_uses_dynamic_stack 0
		.amdhsa_system_sgpr_private_segment_wavefront_offset 0
		.amdhsa_system_sgpr_workgroup_id_x 1
		.amdhsa_system_sgpr_workgroup_id_y 0
		.amdhsa_system_sgpr_workgroup_id_z 0
		.amdhsa_system_sgpr_workgroup_info 0
		.amdhsa_system_vgpr_workitem_id 2
		.amdhsa_next_free_vgpr 62
		.amdhsa_next_free_sgpr 35
		.amdhsa_accum_offset 64
		.amdhsa_reserve_vcc 1
		.amdhsa_reserve_flat_scratch 0
		.amdhsa_float_round_mode_32 0
		.amdhsa_float_round_mode_16_64 0
		.amdhsa_float_denorm_mode_32 3
		.amdhsa_float_denorm_mode_16_64 3
		.amdhsa_dx10_clamp 1
		.amdhsa_ieee_mode 1
		.amdhsa_fp16_overflow 0
		.amdhsa_tg_split 0
		.amdhsa_exception_fp_ieee_invalid_op 0
		.amdhsa_exception_fp_denorm_src 0
		.amdhsa_exception_fp_ieee_div_zero 0
		.amdhsa_exception_fp_ieee_overflow 0
		.amdhsa_exception_fp_ieee_underflow 0
		.amdhsa_exception_fp_ieee_inexact 0
		.amdhsa_exception_int_div_zero 0
	.end_amdhsa_kernel
	.section	.text._ZN7rocprim17ROCPRIM_400000_NS6detail17trampoline_kernelINS0_14default_configENS1_35radix_sort_onesweep_config_selectorIfNS0_10empty_typeEEEZZNS1_29radix_sort_onesweep_iterationIS3_Lb1EPfS8_PS5_S9_mNS0_19identity_decomposerENS1_16block_id_wrapperIjLb1EEEEE10hipError_tT1_PNSt15iterator_traitsISE_E10value_typeET2_T3_PNSF_ISK_E10value_typeET4_T5_PSP_SQ_PNS1_23onesweep_lookback_stateEbbT6_jjT7_P12ihipStream_tbENKUlT_T0_SE_SJ_E_clIS8_S8_S9_S9_EEDaSX_SY_SE_SJ_EUlSX_E_NS1_11comp_targetILNS1_3genE4ELNS1_11target_archE910ELNS1_3gpuE8ELNS1_3repE0EEENS1_47radix_sort_onesweep_sort_config_static_selectorELNS0_4arch9wavefront6targetE1EEEvSE_,"axG",@progbits,_ZN7rocprim17ROCPRIM_400000_NS6detail17trampoline_kernelINS0_14default_configENS1_35radix_sort_onesweep_config_selectorIfNS0_10empty_typeEEEZZNS1_29radix_sort_onesweep_iterationIS3_Lb1EPfS8_PS5_S9_mNS0_19identity_decomposerENS1_16block_id_wrapperIjLb1EEEEE10hipError_tT1_PNSt15iterator_traitsISE_E10value_typeET2_T3_PNSF_ISK_E10value_typeET4_T5_PSP_SQ_PNS1_23onesweep_lookback_stateEbbT6_jjT7_P12ihipStream_tbENKUlT_T0_SE_SJ_E_clIS8_S8_S9_S9_EEDaSX_SY_SE_SJ_EUlSX_E_NS1_11comp_targetILNS1_3genE4ELNS1_11target_archE910ELNS1_3gpuE8ELNS1_3repE0EEENS1_47radix_sort_onesweep_sort_config_static_selectorELNS0_4arch9wavefront6targetE1EEEvSE_,comdat
.Lfunc_end2550:
	.size	_ZN7rocprim17ROCPRIM_400000_NS6detail17trampoline_kernelINS0_14default_configENS1_35radix_sort_onesweep_config_selectorIfNS0_10empty_typeEEEZZNS1_29radix_sort_onesweep_iterationIS3_Lb1EPfS8_PS5_S9_mNS0_19identity_decomposerENS1_16block_id_wrapperIjLb1EEEEE10hipError_tT1_PNSt15iterator_traitsISE_E10value_typeET2_T3_PNSF_ISK_E10value_typeET4_T5_PSP_SQ_PNS1_23onesweep_lookback_stateEbbT6_jjT7_P12ihipStream_tbENKUlT_T0_SE_SJ_E_clIS8_S8_S9_S9_EEDaSX_SY_SE_SJ_EUlSX_E_NS1_11comp_targetILNS1_3genE4ELNS1_11target_archE910ELNS1_3gpuE8ELNS1_3repE0EEENS1_47radix_sort_onesweep_sort_config_static_selectorELNS0_4arch9wavefront6targetE1EEEvSE_, .Lfunc_end2550-_ZN7rocprim17ROCPRIM_400000_NS6detail17trampoline_kernelINS0_14default_configENS1_35radix_sort_onesweep_config_selectorIfNS0_10empty_typeEEEZZNS1_29radix_sort_onesweep_iterationIS3_Lb1EPfS8_PS5_S9_mNS0_19identity_decomposerENS1_16block_id_wrapperIjLb1EEEEE10hipError_tT1_PNSt15iterator_traitsISE_E10value_typeET2_T3_PNSF_ISK_E10value_typeET4_T5_PSP_SQ_PNS1_23onesweep_lookback_stateEbbT6_jjT7_P12ihipStream_tbENKUlT_T0_SE_SJ_E_clIS8_S8_S9_S9_EEDaSX_SY_SE_SJ_EUlSX_E_NS1_11comp_targetILNS1_3genE4ELNS1_11target_archE910ELNS1_3gpuE8ELNS1_3repE0EEENS1_47radix_sort_onesweep_sort_config_static_selectorELNS0_4arch9wavefront6targetE1EEEvSE_
                                        ; -- End function
	.section	.AMDGPU.csdata,"",@progbits
; Kernel info:
; codeLenInByte = 14876
; NumSgprs: 39
; NumVgprs: 62
; NumAgprs: 0
; TotalNumVgprs: 62
; ScratchSize: 0
; MemoryBound: 0
; FloatMode: 240
; IeeeMode: 1
; LDSByteSize: 20552 bytes/workgroup (compile time only)
; SGPRBlocks: 4
; VGPRBlocks: 7
; NumSGPRsForWavesPerEU: 39
; NumVGPRsForWavesPerEU: 62
; AccumOffset: 64
; Occupancy: 8
; WaveLimiterHint : 1
; COMPUTE_PGM_RSRC2:SCRATCH_EN: 0
; COMPUTE_PGM_RSRC2:USER_SGPR: 6
; COMPUTE_PGM_RSRC2:TRAP_HANDLER: 0
; COMPUTE_PGM_RSRC2:TGID_X_EN: 1
; COMPUTE_PGM_RSRC2:TGID_Y_EN: 0
; COMPUTE_PGM_RSRC2:TGID_Z_EN: 0
; COMPUTE_PGM_RSRC2:TIDIG_COMP_CNT: 2
; COMPUTE_PGM_RSRC3_GFX90A:ACCUM_OFFSET: 15
; COMPUTE_PGM_RSRC3_GFX90A:TG_SPLIT: 0
	.section	.text._ZN7rocprim17ROCPRIM_400000_NS6detail17trampoline_kernelINS0_14default_configENS1_35radix_sort_onesweep_config_selectorIfNS0_10empty_typeEEEZZNS1_29radix_sort_onesweep_iterationIS3_Lb1EPfS8_PS5_S9_mNS0_19identity_decomposerENS1_16block_id_wrapperIjLb1EEEEE10hipError_tT1_PNSt15iterator_traitsISE_E10value_typeET2_T3_PNSF_ISK_E10value_typeET4_T5_PSP_SQ_PNS1_23onesweep_lookback_stateEbbT6_jjT7_P12ihipStream_tbENKUlT_T0_SE_SJ_E_clIS8_S8_S9_S9_EEDaSX_SY_SE_SJ_EUlSX_E_NS1_11comp_targetILNS1_3genE3ELNS1_11target_archE908ELNS1_3gpuE7ELNS1_3repE0EEENS1_47radix_sort_onesweep_sort_config_static_selectorELNS0_4arch9wavefront6targetE1EEEvSE_,"axG",@progbits,_ZN7rocprim17ROCPRIM_400000_NS6detail17trampoline_kernelINS0_14default_configENS1_35radix_sort_onesweep_config_selectorIfNS0_10empty_typeEEEZZNS1_29radix_sort_onesweep_iterationIS3_Lb1EPfS8_PS5_S9_mNS0_19identity_decomposerENS1_16block_id_wrapperIjLb1EEEEE10hipError_tT1_PNSt15iterator_traitsISE_E10value_typeET2_T3_PNSF_ISK_E10value_typeET4_T5_PSP_SQ_PNS1_23onesweep_lookback_stateEbbT6_jjT7_P12ihipStream_tbENKUlT_T0_SE_SJ_E_clIS8_S8_S9_S9_EEDaSX_SY_SE_SJ_EUlSX_E_NS1_11comp_targetILNS1_3genE3ELNS1_11target_archE908ELNS1_3gpuE7ELNS1_3repE0EEENS1_47radix_sort_onesweep_sort_config_static_selectorELNS0_4arch9wavefront6targetE1EEEvSE_,comdat
	.protected	_ZN7rocprim17ROCPRIM_400000_NS6detail17trampoline_kernelINS0_14default_configENS1_35radix_sort_onesweep_config_selectorIfNS0_10empty_typeEEEZZNS1_29radix_sort_onesweep_iterationIS3_Lb1EPfS8_PS5_S9_mNS0_19identity_decomposerENS1_16block_id_wrapperIjLb1EEEEE10hipError_tT1_PNSt15iterator_traitsISE_E10value_typeET2_T3_PNSF_ISK_E10value_typeET4_T5_PSP_SQ_PNS1_23onesweep_lookback_stateEbbT6_jjT7_P12ihipStream_tbENKUlT_T0_SE_SJ_E_clIS8_S8_S9_S9_EEDaSX_SY_SE_SJ_EUlSX_E_NS1_11comp_targetILNS1_3genE3ELNS1_11target_archE908ELNS1_3gpuE7ELNS1_3repE0EEENS1_47radix_sort_onesweep_sort_config_static_selectorELNS0_4arch9wavefront6targetE1EEEvSE_ ; -- Begin function _ZN7rocprim17ROCPRIM_400000_NS6detail17trampoline_kernelINS0_14default_configENS1_35radix_sort_onesweep_config_selectorIfNS0_10empty_typeEEEZZNS1_29radix_sort_onesweep_iterationIS3_Lb1EPfS8_PS5_S9_mNS0_19identity_decomposerENS1_16block_id_wrapperIjLb1EEEEE10hipError_tT1_PNSt15iterator_traitsISE_E10value_typeET2_T3_PNSF_ISK_E10value_typeET4_T5_PSP_SQ_PNS1_23onesweep_lookback_stateEbbT6_jjT7_P12ihipStream_tbENKUlT_T0_SE_SJ_E_clIS8_S8_S9_S9_EEDaSX_SY_SE_SJ_EUlSX_E_NS1_11comp_targetILNS1_3genE3ELNS1_11target_archE908ELNS1_3gpuE7ELNS1_3repE0EEENS1_47radix_sort_onesweep_sort_config_static_selectorELNS0_4arch9wavefront6targetE1EEEvSE_
	.globl	_ZN7rocprim17ROCPRIM_400000_NS6detail17trampoline_kernelINS0_14default_configENS1_35radix_sort_onesweep_config_selectorIfNS0_10empty_typeEEEZZNS1_29radix_sort_onesweep_iterationIS3_Lb1EPfS8_PS5_S9_mNS0_19identity_decomposerENS1_16block_id_wrapperIjLb1EEEEE10hipError_tT1_PNSt15iterator_traitsISE_E10value_typeET2_T3_PNSF_ISK_E10value_typeET4_T5_PSP_SQ_PNS1_23onesweep_lookback_stateEbbT6_jjT7_P12ihipStream_tbENKUlT_T0_SE_SJ_E_clIS8_S8_S9_S9_EEDaSX_SY_SE_SJ_EUlSX_E_NS1_11comp_targetILNS1_3genE3ELNS1_11target_archE908ELNS1_3gpuE7ELNS1_3repE0EEENS1_47radix_sort_onesweep_sort_config_static_selectorELNS0_4arch9wavefront6targetE1EEEvSE_
	.p2align	8
	.type	_ZN7rocprim17ROCPRIM_400000_NS6detail17trampoline_kernelINS0_14default_configENS1_35radix_sort_onesweep_config_selectorIfNS0_10empty_typeEEEZZNS1_29radix_sort_onesweep_iterationIS3_Lb1EPfS8_PS5_S9_mNS0_19identity_decomposerENS1_16block_id_wrapperIjLb1EEEEE10hipError_tT1_PNSt15iterator_traitsISE_E10value_typeET2_T3_PNSF_ISK_E10value_typeET4_T5_PSP_SQ_PNS1_23onesweep_lookback_stateEbbT6_jjT7_P12ihipStream_tbENKUlT_T0_SE_SJ_E_clIS8_S8_S9_S9_EEDaSX_SY_SE_SJ_EUlSX_E_NS1_11comp_targetILNS1_3genE3ELNS1_11target_archE908ELNS1_3gpuE7ELNS1_3repE0EEENS1_47radix_sort_onesweep_sort_config_static_selectorELNS0_4arch9wavefront6targetE1EEEvSE_,@function
_ZN7rocprim17ROCPRIM_400000_NS6detail17trampoline_kernelINS0_14default_configENS1_35radix_sort_onesweep_config_selectorIfNS0_10empty_typeEEEZZNS1_29radix_sort_onesweep_iterationIS3_Lb1EPfS8_PS5_S9_mNS0_19identity_decomposerENS1_16block_id_wrapperIjLb1EEEEE10hipError_tT1_PNSt15iterator_traitsISE_E10value_typeET2_T3_PNSF_ISK_E10value_typeET4_T5_PSP_SQ_PNS1_23onesweep_lookback_stateEbbT6_jjT7_P12ihipStream_tbENKUlT_T0_SE_SJ_E_clIS8_S8_S9_S9_EEDaSX_SY_SE_SJ_EUlSX_E_NS1_11comp_targetILNS1_3genE3ELNS1_11target_archE908ELNS1_3gpuE7ELNS1_3repE0EEENS1_47radix_sort_onesweep_sort_config_static_selectorELNS0_4arch9wavefront6targetE1EEEvSE_: ; @_ZN7rocprim17ROCPRIM_400000_NS6detail17trampoline_kernelINS0_14default_configENS1_35radix_sort_onesweep_config_selectorIfNS0_10empty_typeEEEZZNS1_29radix_sort_onesweep_iterationIS3_Lb1EPfS8_PS5_S9_mNS0_19identity_decomposerENS1_16block_id_wrapperIjLb1EEEEE10hipError_tT1_PNSt15iterator_traitsISE_E10value_typeET2_T3_PNSF_ISK_E10value_typeET4_T5_PSP_SQ_PNS1_23onesweep_lookback_stateEbbT6_jjT7_P12ihipStream_tbENKUlT_T0_SE_SJ_E_clIS8_S8_S9_S9_EEDaSX_SY_SE_SJ_EUlSX_E_NS1_11comp_targetILNS1_3genE3ELNS1_11target_archE908ELNS1_3gpuE7ELNS1_3repE0EEENS1_47radix_sort_onesweep_sort_config_static_selectorELNS0_4arch9wavefront6targetE1EEEvSE_
; %bb.0:
	.section	.rodata,"a",@progbits
	.p2align	6, 0x0
	.amdhsa_kernel _ZN7rocprim17ROCPRIM_400000_NS6detail17trampoline_kernelINS0_14default_configENS1_35radix_sort_onesweep_config_selectorIfNS0_10empty_typeEEEZZNS1_29radix_sort_onesweep_iterationIS3_Lb1EPfS8_PS5_S9_mNS0_19identity_decomposerENS1_16block_id_wrapperIjLb1EEEEE10hipError_tT1_PNSt15iterator_traitsISE_E10value_typeET2_T3_PNSF_ISK_E10value_typeET4_T5_PSP_SQ_PNS1_23onesweep_lookback_stateEbbT6_jjT7_P12ihipStream_tbENKUlT_T0_SE_SJ_E_clIS8_S8_S9_S9_EEDaSX_SY_SE_SJ_EUlSX_E_NS1_11comp_targetILNS1_3genE3ELNS1_11target_archE908ELNS1_3gpuE7ELNS1_3repE0EEENS1_47radix_sort_onesweep_sort_config_static_selectorELNS0_4arch9wavefront6targetE1EEEvSE_
		.amdhsa_group_segment_fixed_size 0
		.amdhsa_private_segment_fixed_size 0
		.amdhsa_kernarg_size 88
		.amdhsa_user_sgpr_count 6
		.amdhsa_user_sgpr_private_segment_buffer 1
		.amdhsa_user_sgpr_dispatch_ptr 0
		.amdhsa_user_sgpr_queue_ptr 0
		.amdhsa_user_sgpr_kernarg_segment_ptr 1
		.amdhsa_user_sgpr_dispatch_id 0
		.amdhsa_user_sgpr_flat_scratch_init 0
		.amdhsa_user_sgpr_kernarg_preload_length 0
		.amdhsa_user_sgpr_kernarg_preload_offset 0
		.amdhsa_user_sgpr_private_segment_size 0
		.amdhsa_uses_dynamic_stack 0
		.amdhsa_system_sgpr_private_segment_wavefront_offset 0
		.amdhsa_system_sgpr_workgroup_id_x 1
		.amdhsa_system_sgpr_workgroup_id_y 0
		.amdhsa_system_sgpr_workgroup_id_z 0
		.amdhsa_system_sgpr_workgroup_info 0
		.amdhsa_system_vgpr_workitem_id 0
		.amdhsa_next_free_vgpr 1
		.amdhsa_next_free_sgpr 0
		.amdhsa_accum_offset 4
		.amdhsa_reserve_vcc 0
		.amdhsa_reserve_flat_scratch 0
		.amdhsa_float_round_mode_32 0
		.amdhsa_float_round_mode_16_64 0
		.amdhsa_float_denorm_mode_32 3
		.amdhsa_float_denorm_mode_16_64 3
		.amdhsa_dx10_clamp 1
		.amdhsa_ieee_mode 1
		.amdhsa_fp16_overflow 0
		.amdhsa_tg_split 0
		.amdhsa_exception_fp_ieee_invalid_op 0
		.amdhsa_exception_fp_denorm_src 0
		.amdhsa_exception_fp_ieee_div_zero 0
		.amdhsa_exception_fp_ieee_overflow 0
		.amdhsa_exception_fp_ieee_underflow 0
		.amdhsa_exception_fp_ieee_inexact 0
		.amdhsa_exception_int_div_zero 0
	.end_amdhsa_kernel
	.section	.text._ZN7rocprim17ROCPRIM_400000_NS6detail17trampoline_kernelINS0_14default_configENS1_35radix_sort_onesweep_config_selectorIfNS0_10empty_typeEEEZZNS1_29radix_sort_onesweep_iterationIS3_Lb1EPfS8_PS5_S9_mNS0_19identity_decomposerENS1_16block_id_wrapperIjLb1EEEEE10hipError_tT1_PNSt15iterator_traitsISE_E10value_typeET2_T3_PNSF_ISK_E10value_typeET4_T5_PSP_SQ_PNS1_23onesweep_lookback_stateEbbT6_jjT7_P12ihipStream_tbENKUlT_T0_SE_SJ_E_clIS8_S8_S9_S9_EEDaSX_SY_SE_SJ_EUlSX_E_NS1_11comp_targetILNS1_3genE3ELNS1_11target_archE908ELNS1_3gpuE7ELNS1_3repE0EEENS1_47radix_sort_onesweep_sort_config_static_selectorELNS0_4arch9wavefront6targetE1EEEvSE_,"axG",@progbits,_ZN7rocprim17ROCPRIM_400000_NS6detail17trampoline_kernelINS0_14default_configENS1_35radix_sort_onesweep_config_selectorIfNS0_10empty_typeEEEZZNS1_29radix_sort_onesweep_iterationIS3_Lb1EPfS8_PS5_S9_mNS0_19identity_decomposerENS1_16block_id_wrapperIjLb1EEEEE10hipError_tT1_PNSt15iterator_traitsISE_E10value_typeET2_T3_PNSF_ISK_E10value_typeET4_T5_PSP_SQ_PNS1_23onesweep_lookback_stateEbbT6_jjT7_P12ihipStream_tbENKUlT_T0_SE_SJ_E_clIS8_S8_S9_S9_EEDaSX_SY_SE_SJ_EUlSX_E_NS1_11comp_targetILNS1_3genE3ELNS1_11target_archE908ELNS1_3gpuE7ELNS1_3repE0EEENS1_47radix_sort_onesweep_sort_config_static_selectorELNS0_4arch9wavefront6targetE1EEEvSE_,comdat
.Lfunc_end2551:
	.size	_ZN7rocprim17ROCPRIM_400000_NS6detail17trampoline_kernelINS0_14default_configENS1_35radix_sort_onesweep_config_selectorIfNS0_10empty_typeEEEZZNS1_29radix_sort_onesweep_iterationIS3_Lb1EPfS8_PS5_S9_mNS0_19identity_decomposerENS1_16block_id_wrapperIjLb1EEEEE10hipError_tT1_PNSt15iterator_traitsISE_E10value_typeET2_T3_PNSF_ISK_E10value_typeET4_T5_PSP_SQ_PNS1_23onesweep_lookback_stateEbbT6_jjT7_P12ihipStream_tbENKUlT_T0_SE_SJ_E_clIS8_S8_S9_S9_EEDaSX_SY_SE_SJ_EUlSX_E_NS1_11comp_targetILNS1_3genE3ELNS1_11target_archE908ELNS1_3gpuE7ELNS1_3repE0EEENS1_47radix_sort_onesweep_sort_config_static_selectorELNS0_4arch9wavefront6targetE1EEEvSE_, .Lfunc_end2551-_ZN7rocprim17ROCPRIM_400000_NS6detail17trampoline_kernelINS0_14default_configENS1_35radix_sort_onesweep_config_selectorIfNS0_10empty_typeEEEZZNS1_29radix_sort_onesweep_iterationIS3_Lb1EPfS8_PS5_S9_mNS0_19identity_decomposerENS1_16block_id_wrapperIjLb1EEEEE10hipError_tT1_PNSt15iterator_traitsISE_E10value_typeET2_T3_PNSF_ISK_E10value_typeET4_T5_PSP_SQ_PNS1_23onesweep_lookback_stateEbbT6_jjT7_P12ihipStream_tbENKUlT_T0_SE_SJ_E_clIS8_S8_S9_S9_EEDaSX_SY_SE_SJ_EUlSX_E_NS1_11comp_targetILNS1_3genE3ELNS1_11target_archE908ELNS1_3gpuE7ELNS1_3repE0EEENS1_47radix_sort_onesweep_sort_config_static_selectorELNS0_4arch9wavefront6targetE1EEEvSE_
                                        ; -- End function
	.section	.AMDGPU.csdata,"",@progbits
; Kernel info:
; codeLenInByte = 0
; NumSgprs: 4
; NumVgprs: 0
; NumAgprs: 0
; TotalNumVgprs: 0
; ScratchSize: 0
; MemoryBound: 0
; FloatMode: 240
; IeeeMode: 1
; LDSByteSize: 0 bytes/workgroup (compile time only)
; SGPRBlocks: 0
; VGPRBlocks: 0
; NumSGPRsForWavesPerEU: 4
; NumVGPRsForWavesPerEU: 1
; AccumOffset: 4
; Occupancy: 8
; WaveLimiterHint : 0
; COMPUTE_PGM_RSRC2:SCRATCH_EN: 0
; COMPUTE_PGM_RSRC2:USER_SGPR: 6
; COMPUTE_PGM_RSRC2:TRAP_HANDLER: 0
; COMPUTE_PGM_RSRC2:TGID_X_EN: 1
; COMPUTE_PGM_RSRC2:TGID_Y_EN: 0
; COMPUTE_PGM_RSRC2:TGID_Z_EN: 0
; COMPUTE_PGM_RSRC2:TIDIG_COMP_CNT: 0
; COMPUTE_PGM_RSRC3_GFX90A:ACCUM_OFFSET: 0
; COMPUTE_PGM_RSRC3_GFX90A:TG_SPLIT: 0
	.section	.text._ZN7rocprim17ROCPRIM_400000_NS6detail17trampoline_kernelINS0_14default_configENS1_35radix_sort_onesweep_config_selectorIfNS0_10empty_typeEEEZZNS1_29radix_sort_onesweep_iterationIS3_Lb1EPfS8_PS5_S9_mNS0_19identity_decomposerENS1_16block_id_wrapperIjLb1EEEEE10hipError_tT1_PNSt15iterator_traitsISE_E10value_typeET2_T3_PNSF_ISK_E10value_typeET4_T5_PSP_SQ_PNS1_23onesweep_lookback_stateEbbT6_jjT7_P12ihipStream_tbENKUlT_T0_SE_SJ_E_clIS8_S8_S9_S9_EEDaSX_SY_SE_SJ_EUlSX_E_NS1_11comp_targetILNS1_3genE10ELNS1_11target_archE1201ELNS1_3gpuE5ELNS1_3repE0EEENS1_47radix_sort_onesweep_sort_config_static_selectorELNS0_4arch9wavefront6targetE1EEEvSE_,"axG",@progbits,_ZN7rocprim17ROCPRIM_400000_NS6detail17trampoline_kernelINS0_14default_configENS1_35radix_sort_onesweep_config_selectorIfNS0_10empty_typeEEEZZNS1_29radix_sort_onesweep_iterationIS3_Lb1EPfS8_PS5_S9_mNS0_19identity_decomposerENS1_16block_id_wrapperIjLb1EEEEE10hipError_tT1_PNSt15iterator_traitsISE_E10value_typeET2_T3_PNSF_ISK_E10value_typeET4_T5_PSP_SQ_PNS1_23onesweep_lookback_stateEbbT6_jjT7_P12ihipStream_tbENKUlT_T0_SE_SJ_E_clIS8_S8_S9_S9_EEDaSX_SY_SE_SJ_EUlSX_E_NS1_11comp_targetILNS1_3genE10ELNS1_11target_archE1201ELNS1_3gpuE5ELNS1_3repE0EEENS1_47radix_sort_onesweep_sort_config_static_selectorELNS0_4arch9wavefront6targetE1EEEvSE_,comdat
	.protected	_ZN7rocprim17ROCPRIM_400000_NS6detail17trampoline_kernelINS0_14default_configENS1_35radix_sort_onesweep_config_selectorIfNS0_10empty_typeEEEZZNS1_29radix_sort_onesweep_iterationIS3_Lb1EPfS8_PS5_S9_mNS0_19identity_decomposerENS1_16block_id_wrapperIjLb1EEEEE10hipError_tT1_PNSt15iterator_traitsISE_E10value_typeET2_T3_PNSF_ISK_E10value_typeET4_T5_PSP_SQ_PNS1_23onesweep_lookback_stateEbbT6_jjT7_P12ihipStream_tbENKUlT_T0_SE_SJ_E_clIS8_S8_S9_S9_EEDaSX_SY_SE_SJ_EUlSX_E_NS1_11comp_targetILNS1_3genE10ELNS1_11target_archE1201ELNS1_3gpuE5ELNS1_3repE0EEENS1_47radix_sort_onesweep_sort_config_static_selectorELNS0_4arch9wavefront6targetE1EEEvSE_ ; -- Begin function _ZN7rocprim17ROCPRIM_400000_NS6detail17trampoline_kernelINS0_14default_configENS1_35radix_sort_onesweep_config_selectorIfNS0_10empty_typeEEEZZNS1_29radix_sort_onesweep_iterationIS3_Lb1EPfS8_PS5_S9_mNS0_19identity_decomposerENS1_16block_id_wrapperIjLb1EEEEE10hipError_tT1_PNSt15iterator_traitsISE_E10value_typeET2_T3_PNSF_ISK_E10value_typeET4_T5_PSP_SQ_PNS1_23onesweep_lookback_stateEbbT6_jjT7_P12ihipStream_tbENKUlT_T0_SE_SJ_E_clIS8_S8_S9_S9_EEDaSX_SY_SE_SJ_EUlSX_E_NS1_11comp_targetILNS1_3genE10ELNS1_11target_archE1201ELNS1_3gpuE5ELNS1_3repE0EEENS1_47radix_sort_onesweep_sort_config_static_selectorELNS0_4arch9wavefront6targetE1EEEvSE_
	.globl	_ZN7rocprim17ROCPRIM_400000_NS6detail17trampoline_kernelINS0_14default_configENS1_35radix_sort_onesweep_config_selectorIfNS0_10empty_typeEEEZZNS1_29radix_sort_onesweep_iterationIS3_Lb1EPfS8_PS5_S9_mNS0_19identity_decomposerENS1_16block_id_wrapperIjLb1EEEEE10hipError_tT1_PNSt15iterator_traitsISE_E10value_typeET2_T3_PNSF_ISK_E10value_typeET4_T5_PSP_SQ_PNS1_23onesweep_lookback_stateEbbT6_jjT7_P12ihipStream_tbENKUlT_T0_SE_SJ_E_clIS8_S8_S9_S9_EEDaSX_SY_SE_SJ_EUlSX_E_NS1_11comp_targetILNS1_3genE10ELNS1_11target_archE1201ELNS1_3gpuE5ELNS1_3repE0EEENS1_47radix_sort_onesweep_sort_config_static_selectorELNS0_4arch9wavefront6targetE1EEEvSE_
	.p2align	8
	.type	_ZN7rocprim17ROCPRIM_400000_NS6detail17trampoline_kernelINS0_14default_configENS1_35radix_sort_onesweep_config_selectorIfNS0_10empty_typeEEEZZNS1_29radix_sort_onesweep_iterationIS3_Lb1EPfS8_PS5_S9_mNS0_19identity_decomposerENS1_16block_id_wrapperIjLb1EEEEE10hipError_tT1_PNSt15iterator_traitsISE_E10value_typeET2_T3_PNSF_ISK_E10value_typeET4_T5_PSP_SQ_PNS1_23onesweep_lookback_stateEbbT6_jjT7_P12ihipStream_tbENKUlT_T0_SE_SJ_E_clIS8_S8_S9_S9_EEDaSX_SY_SE_SJ_EUlSX_E_NS1_11comp_targetILNS1_3genE10ELNS1_11target_archE1201ELNS1_3gpuE5ELNS1_3repE0EEENS1_47radix_sort_onesweep_sort_config_static_selectorELNS0_4arch9wavefront6targetE1EEEvSE_,@function
_ZN7rocprim17ROCPRIM_400000_NS6detail17trampoline_kernelINS0_14default_configENS1_35radix_sort_onesweep_config_selectorIfNS0_10empty_typeEEEZZNS1_29radix_sort_onesweep_iterationIS3_Lb1EPfS8_PS5_S9_mNS0_19identity_decomposerENS1_16block_id_wrapperIjLb1EEEEE10hipError_tT1_PNSt15iterator_traitsISE_E10value_typeET2_T3_PNSF_ISK_E10value_typeET4_T5_PSP_SQ_PNS1_23onesweep_lookback_stateEbbT6_jjT7_P12ihipStream_tbENKUlT_T0_SE_SJ_E_clIS8_S8_S9_S9_EEDaSX_SY_SE_SJ_EUlSX_E_NS1_11comp_targetILNS1_3genE10ELNS1_11target_archE1201ELNS1_3gpuE5ELNS1_3repE0EEENS1_47radix_sort_onesweep_sort_config_static_selectorELNS0_4arch9wavefront6targetE1EEEvSE_: ; @_ZN7rocprim17ROCPRIM_400000_NS6detail17trampoline_kernelINS0_14default_configENS1_35radix_sort_onesweep_config_selectorIfNS0_10empty_typeEEEZZNS1_29radix_sort_onesweep_iterationIS3_Lb1EPfS8_PS5_S9_mNS0_19identity_decomposerENS1_16block_id_wrapperIjLb1EEEEE10hipError_tT1_PNSt15iterator_traitsISE_E10value_typeET2_T3_PNSF_ISK_E10value_typeET4_T5_PSP_SQ_PNS1_23onesweep_lookback_stateEbbT6_jjT7_P12ihipStream_tbENKUlT_T0_SE_SJ_E_clIS8_S8_S9_S9_EEDaSX_SY_SE_SJ_EUlSX_E_NS1_11comp_targetILNS1_3genE10ELNS1_11target_archE1201ELNS1_3gpuE5ELNS1_3repE0EEENS1_47radix_sort_onesweep_sort_config_static_selectorELNS0_4arch9wavefront6targetE1EEEvSE_
; %bb.0:
	.section	.rodata,"a",@progbits
	.p2align	6, 0x0
	.amdhsa_kernel _ZN7rocprim17ROCPRIM_400000_NS6detail17trampoline_kernelINS0_14default_configENS1_35radix_sort_onesweep_config_selectorIfNS0_10empty_typeEEEZZNS1_29radix_sort_onesweep_iterationIS3_Lb1EPfS8_PS5_S9_mNS0_19identity_decomposerENS1_16block_id_wrapperIjLb1EEEEE10hipError_tT1_PNSt15iterator_traitsISE_E10value_typeET2_T3_PNSF_ISK_E10value_typeET4_T5_PSP_SQ_PNS1_23onesweep_lookback_stateEbbT6_jjT7_P12ihipStream_tbENKUlT_T0_SE_SJ_E_clIS8_S8_S9_S9_EEDaSX_SY_SE_SJ_EUlSX_E_NS1_11comp_targetILNS1_3genE10ELNS1_11target_archE1201ELNS1_3gpuE5ELNS1_3repE0EEENS1_47radix_sort_onesweep_sort_config_static_selectorELNS0_4arch9wavefront6targetE1EEEvSE_
		.amdhsa_group_segment_fixed_size 0
		.amdhsa_private_segment_fixed_size 0
		.amdhsa_kernarg_size 88
		.amdhsa_user_sgpr_count 6
		.amdhsa_user_sgpr_private_segment_buffer 1
		.amdhsa_user_sgpr_dispatch_ptr 0
		.amdhsa_user_sgpr_queue_ptr 0
		.amdhsa_user_sgpr_kernarg_segment_ptr 1
		.amdhsa_user_sgpr_dispatch_id 0
		.amdhsa_user_sgpr_flat_scratch_init 0
		.amdhsa_user_sgpr_kernarg_preload_length 0
		.amdhsa_user_sgpr_kernarg_preload_offset 0
		.amdhsa_user_sgpr_private_segment_size 0
		.amdhsa_uses_dynamic_stack 0
		.amdhsa_system_sgpr_private_segment_wavefront_offset 0
		.amdhsa_system_sgpr_workgroup_id_x 1
		.amdhsa_system_sgpr_workgroup_id_y 0
		.amdhsa_system_sgpr_workgroup_id_z 0
		.amdhsa_system_sgpr_workgroup_info 0
		.amdhsa_system_vgpr_workitem_id 0
		.amdhsa_next_free_vgpr 1
		.amdhsa_next_free_sgpr 0
		.amdhsa_accum_offset 4
		.amdhsa_reserve_vcc 0
		.amdhsa_reserve_flat_scratch 0
		.amdhsa_float_round_mode_32 0
		.amdhsa_float_round_mode_16_64 0
		.amdhsa_float_denorm_mode_32 3
		.amdhsa_float_denorm_mode_16_64 3
		.amdhsa_dx10_clamp 1
		.amdhsa_ieee_mode 1
		.amdhsa_fp16_overflow 0
		.amdhsa_tg_split 0
		.amdhsa_exception_fp_ieee_invalid_op 0
		.amdhsa_exception_fp_denorm_src 0
		.amdhsa_exception_fp_ieee_div_zero 0
		.amdhsa_exception_fp_ieee_overflow 0
		.amdhsa_exception_fp_ieee_underflow 0
		.amdhsa_exception_fp_ieee_inexact 0
		.amdhsa_exception_int_div_zero 0
	.end_amdhsa_kernel
	.section	.text._ZN7rocprim17ROCPRIM_400000_NS6detail17trampoline_kernelINS0_14default_configENS1_35radix_sort_onesweep_config_selectorIfNS0_10empty_typeEEEZZNS1_29radix_sort_onesweep_iterationIS3_Lb1EPfS8_PS5_S9_mNS0_19identity_decomposerENS1_16block_id_wrapperIjLb1EEEEE10hipError_tT1_PNSt15iterator_traitsISE_E10value_typeET2_T3_PNSF_ISK_E10value_typeET4_T5_PSP_SQ_PNS1_23onesweep_lookback_stateEbbT6_jjT7_P12ihipStream_tbENKUlT_T0_SE_SJ_E_clIS8_S8_S9_S9_EEDaSX_SY_SE_SJ_EUlSX_E_NS1_11comp_targetILNS1_3genE10ELNS1_11target_archE1201ELNS1_3gpuE5ELNS1_3repE0EEENS1_47radix_sort_onesweep_sort_config_static_selectorELNS0_4arch9wavefront6targetE1EEEvSE_,"axG",@progbits,_ZN7rocprim17ROCPRIM_400000_NS6detail17trampoline_kernelINS0_14default_configENS1_35radix_sort_onesweep_config_selectorIfNS0_10empty_typeEEEZZNS1_29radix_sort_onesweep_iterationIS3_Lb1EPfS8_PS5_S9_mNS0_19identity_decomposerENS1_16block_id_wrapperIjLb1EEEEE10hipError_tT1_PNSt15iterator_traitsISE_E10value_typeET2_T3_PNSF_ISK_E10value_typeET4_T5_PSP_SQ_PNS1_23onesweep_lookback_stateEbbT6_jjT7_P12ihipStream_tbENKUlT_T0_SE_SJ_E_clIS8_S8_S9_S9_EEDaSX_SY_SE_SJ_EUlSX_E_NS1_11comp_targetILNS1_3genE10ELNS1_11target_archE1201ELNS1_3gpuE5ELNS1_3repE0EEENS1_47radix_sort_onesweep_sort_config_static_selectorELNS0_4arch9wavefront6targetE1EEEvSE_,comdat
.Lfunc_end2552:
	.size	_ZN7rocprim17ROCPRIM_400000_NS6detail17trampoline_kernelINS0_14default_configENS1_35radix_sort_onesweep_config_selectorIfNS0_10empty_typeEEEZZNS1_29radix_sort_onesweep_iterationIS3_Lb1EPfS8_PS5_S9_mNS0_19identity_decomposerENS1_16block_id_wrapperIjLb1EEEEE10hipError_tT1_PNSt15iterator_traitsISE_E10value_typeET2_T3_PNSF_ISK_E10value_typeET4_T5_PSP_SQ_PNS1_23onesweep_lookback_stateEbbT6_jjT7_P12ihipStream_tbENKUlT_T0_SE_SJ_E_clIS8_S8_S9_S9_EEDaSX_SY_SE_SJ_EUlSX_E_NS1_11comp_targetILNS1_3genE10ELNS1_11target_archE1201ELNS1_3gpuE5ELNS1_3repE0EEENS1_47radix_sort_onesweep_sort_config_static_selectorELNS0_4arch9wavefront6targetE1EEEvSE_, .Lfunc_end2552-_ZN7rocprim17ROCPRIM_400000_NS6detail17trampoline_kernelINS0_14default_configENS1_35radix_sort_onesweep_config_selectorIfNS0_10empty_typeEEEZZNS1_29radix_sort_onesweep_iterationIS3_Lb1EPfS8_PS5_S9_mNS0_19identity_decomposerENS1_16block_id_wrapperIjLb1EEEEE10hipError_tT1_PNSt15iterator_traitsISE_E10value_typeET2_T3_PNSF_ISK_E10value_typeET4_T5_PSP_SQ_PNS1_23onesweep_lookback_stateEbbT6_jjT7_P12ihipStream_tbENKUlT_T0_SE_SJ_E_clIS8_S8_S9_S9_EEDaSX_SY_SE_SJ_EUlSX_E_NS1_11comp_targetILNS1_3genE10ELNS1_11target_archE1201ELNS1_3gpuE5ELNS1_3repE0EEENS1_47radix_sort_onesweep_sort_config_static_selectorELNS0_4arch9wavefront6targetE1EEEvSE_
                                        ; -- End function
	.section	.AMDGPU.csdata,"",@progbits
; Kernel info:
; codeLenInByte = 0
; NumSgprs: 4
; NumVgprs: 0
; NumAgprs: 0
; TotalNumVgprs: 0
; ScratchSize: 0
; MemoryBound: 0
; FloatMode: 240
; IeeeMode: 1
; LDSByteSize: 0 bytes/workgroup (compile time only)
; SGPRBlocks: 0
; VGPRBlocks: 0
; NumSGPRsForWavesPerEU: 4
; NumVGPRsForWavesPerEU: 1
; AccumOffset: 4
; Occupancy: 8
; WaveLimiterHint : 0
; COMPUTE_PGM_RSRC2:SCRATCH_EN: 0
; COMPUTE_PGM_RSRC2:USER_SGPR: 6
; COMPUTE_PGM_RSRC2:TRAP_HANDLER: 0
; COMPUTE_PGM_RSRC2:TGID_X_EN: 1
; COMPUTE_PGM_RSRC2:TGID_Y_EN: 0
; COMPUTE_PGM_RSRC2:TGID_Z_EN: 0
; COMPUTE_PGM_RSRC2:TIDIG_COMP_CNT: 0
; COMPUTE_PGM_RSRC3_GFX90A:ACCUM_OFFSET: 0
; COMPUTE_PGM_RSRC3_GFX90A:TG_SPLIT: 0
	.section	.text._ZN7rocprim17ROCPRIM_400000_NS6detail17trampoline_kernelINS0_14default_configENS1_35radix_sort_onesweep_config_selectorIfNS0_10empty_typeEEEZZNS1_29radix_sort_onesweep_iterationIS3_Lb1EPfS8_PS5_S9_mNS0_19identity_decomposerENS1_16block_id_wrapperIjLb1EEEEE10hipError_tT1_PNSt15iterator_traitsISE_E10value_typeET2_T3_PNSF_ISK_E10value_typeET4_T5_PSP_SQ_PNS1_23onesweep_lookback_stateEbbT6_jjT7_P12ihipStream_tbENKUlT_T0_SE_SJ_E_clIS8_S8_S9_S9_EEDaSX_SY_SE_SJ_EUlSX_E_NS1_11comp_targetILNS1_3genE9ELNS1_11target_archE1100ELNS1_3gpuE3ELNS1_3repE0EEENS1_47radix_sort_onesweep_sort_config_static_selectorELNS0_4arch9wavefront6targetE1EEEvSE_,"axG",@progbits,_ZN7rocprim17ROCPRIM_400000_NS6detail17trampoline_kernelINS0_14default_configENS1_35radix_sort_onesweep_config_selectorIfNS0_10empty_typeEEEZZNS1_29radix_sort_onesweep_iterationIS3_Lb1EPfS8_PS5_S9_mNS0_19identity_decomposerENS1_16block_id_wrapperIjLb1EEEEE10hipError_tT1_PNSt15iterator_traitsISE_E10value_typeET2_T3_PNSF_ISK_E10value_typeET4_T5_PSP_SQ_PNS1_23onesweep_lookback_stateEbbT6_jjT7_P12ihipStream_tbENKUlT_T0_SE_SJ_E_clIS8_S8_S9_S9_EEDaSX_SY_SE_SJ_EUlSX_E_NS1_11comp_targetILNS1_3genE9ELNS1_11target_archE1100ELNS1_3gpuE3ELNS1_3repE0EEENS1_47radix_sort_onesweep_sort_config_static_selectorELNS0_4arch9wavefront6targetE1EEEvSE_,comdat
	.protected	_ZN7rocprim17ROCPRIM_400000_NS6detail17trampoline_kernelINS0_14default_configENS1_35radix_sort_onesweep_config_selectorIfNS0_10empty_typeEEEZZNS1_29radix_sort_onesweep_iterationIS3_Lb1EPfS8_PS5_S9_mNS0_19identity_decomposerENS1_16block_id_wrapperIjLb1EEEEE10hipError_tT1_PNSt15iterator_traitsISE_E10value_typeET2_T3_PNSF_ISK_E10value_typeET4_T5_PSP_SQ_PNS1_23onesweep_lookback_stateEbbT6_jjT7_P12ihipStream_tbENKUlT_T0_SE_SJ_E_clIS8_S8_S9_S9_EEDaSX_SY_SE_SJ_EUlSX_E_NS1_11comp_targetILNS1_3genE9ELNS1_11target_archE1100ELNS1_3gpuE3ELNS1_3repE0EEENS1_47radix_sort_onesweep_sort_config_static_selectorELNS0_4arch9wavefront6targetE1EEEvSE_ ; -- Begin function _ZN7rocprim17ROCPRIM_400000_NS6detail17trampoline_kernelINS0_14default_configENS1_35radix_sort_onesweep_config_selectorIfNS0_10empty_typeEEEZZNS1_29radix_sort_onesweep_iterationIS3_Lb1EPfS8_PS5_S9_mNS0_19identity_decomposerENS1_16block_id_wrapperIjLb1EEEEE10hipError_tT1_PNSt15iterator_traitsISE_E10value_typeET2_T3_PNSF_ISK_E10value_typeET4_T5_PSP_SQ_PNS1_23onesweep_lookback_stateEbbT6_jjT7_P12ihipStream_tbENKUlT_T0_SE_SJ_E_clIS8_S8_S9_S9_EEDaSX_SY_SE_SJ_EUlSX_E_NS1_11comp_targetILNS1_3genE9ELNS1_11target_archE1100ELNS1_3gpuE3ELNS1_3repE0EEENS1_47radix_sort_onesweep_sort_config_static_selectorELNS0_4arch9wavefront6targetE1EEEvSE_
	.globl	_ZN7rocprim17ROCPRIM_400000_NS6detail17trampoline_kernelINS0_14default_configENS1_35radix_sort_onesweep_config_selectorIfNS0_10empty_typeEEEZZNS1_29radix_sort_onesweep_iterationIS3_Lb1EPfS8_PS5_S9_mNS0_19identity_decomposerENS1_16block_id_wrapperIjLb1EEEEE10hipError_tT1_PNSt15iterator_traitsISE_E10value_typeET2_T3_PNSF_ISK_E10value_typeET4_T5_PSP_SQ_PNS1_23onesweep_lookback_stateEbbT6_jjT7_P12ihipStream_tbENKUlT_T0_SE_SJ_E_clIS8_S8_S9_S9_EEDaSX_SY_SE_SJ_EUlSX_E_NS1_11comp_targetILNS1_3genE9ELNS1_11target_archE1100ELNS1_3gpuE3ELNS1_3repE0EEENS1_47radix_sort_onesweep_sort_config_static_selectorELNS0_4arch9wavefront6targetE1EEEvSE_
	.p2align	8
	.type	_ZN7rocprim17ROCPRIM_400000_NS6detail17trampoline_kernelINS0_14default_configENS1_35radix_sort_onesweep_config_selectorIfNS0_10empty_typeEEEZZNS1_29radix_sort_onesweep_iterationIS3_Lb1EPfS8_PS5_S9_mNS0_19identity_decomposerENS1_16block_id_wrapperIjLb1EEEEE10hipError_tT1_PNSt15iterator_traitsISE_E10value_typeET2_T3_PNSF_ISK_E10value_typeET4_T5_PSP_SQ_PNS1_23onesweep_lookback_stateEbbT6_jjT7_P12ihipStream_tbENKUlT_T0_SE_SJ_E_clIS8_S8_S9_S9_EEDaSX_SY_SE_SJ_EUlSX_E_NS1_11comp_targetILNS1_3genE9ELNS1_11target_archE1100ELNS1_3gpuE3ELNS1_3repE0EEENS1_47radix_sort_onesweep_sort_config_static_selectorELNS0_4arch9wavefront6targetE1EEEvSE_,@function
_ZN7rocprim17ROCPRIM_400000_NS6detail17trampoline_kernelINS0_14default_configENS1_35radix_sort_onesweep_config_selectorIfNS0_10empty_typeEEEZZNS1_29radix_sort_onesweep_iterationIS3_Lb1EPfS8_PS5_S9_mNS0_19identity_decomposerENS1_16block_id_wrapperIjLb1EEEEE10hipError_tT1_PNSt15iterator_traitsISE_E10value_typeET2_T3_PNSF_ISK_E10value_typeET4_T5_PSP_SQ_PNS1_23onesweep_lookback_stateEbbT6_jjT7_P12ihipStream_tbENKUlT_T0_SE_SJ_E_clIS8_S8_S9_S9_EEDaSX_SY_SE_SJ_EUlSX_E_NS1_11comp_targetILNS1_3genE9ELNS1_11target_archE1100ELNS1_3gpuE3ELNS1_3repE0EEENS1_47radix_sort_onesweep_sort_config_static_selectorELNS0_4arch9wavefront6targetE1EEEvSE_: ; @_ZN7rocprim17ROCPRIM_400000_NS6detail17trampoline_kernelINS0_14default_configENS1_35radix_sort_onesweep_config_selectorIfNS0_10empty_typeEEEZZNS1_29radix_sort_onesweep_iterationIS3_Lb1EPfS8_PS5_S9_mNS0_19identity_decomposerENS1_16block_id_wrapperIjLb1EEEEE10hipError_tT1_PNSt15iterator_traitsISE_E10value_typeET2_T3_PNSF_ISK_E10value_typeET4_T5_PSP_SQ_PNS1_23onesweep_lookback_stateEbbT6_jjT7_P12ihipStream_tbENKUlT_T0_SE_SJ_E_clIS8_S8_S9_S9_EEDaSX_SY_SE_SJ_EUlSX_E_NS1_11comp_targetILNS1_3genE9ELNS1_11target_archE1100ELNS1_3gpuE3ELNS1_3repE0EEENS1_47radix_sort_onesweep_sort_config_static_selectorELNS0_4arch9wavefront6targetE1EEEvSE_
; %bb.0:
	.section	.rodata,"a",@progbits
	.p2align	6, 0x0
	.amdhsa_kernel _ZN7rocprim17ROCPRIM_400000_NS6detail17trampoline_kernelINS0_14default_configENS1_35radix_sort_onesweep_config_selectorIfNS0_10empty_typeEEEZZNS1_29radix_sort_onesweep_iterationIS3_Lb1EPfS8_PS5_S9_mNS0_19identity_decomposerENS1_16block_id_wrapperIjLb1EEEEE10hipError_tT1_PNSt15iterator_traitsISE_E10value_typeET2_T3_PNSF_ISK_E10value_typeET4_T5_PSP_SQ_PNS1_23onesweep_lookback_stateEbbT6_jjT7_P12ihipStream_tbENKUlT_T0_SE_SJ_E_clIS8_S8_S9_S9_EEDaSX_SY_SE_SJ_EUlSX_E_NS1_11comp_targetILNS1_3genE9ELNS1_11target_archE1100ELNS1_3gpuE3ELNS1_3repE0EEENS1_47radix_sort_onesweep_sort_config_static_selectorELNS0_4arch9wavefront6targetE1EEEvSE_
		.amdhsa_group_segment_fixed_size 0
		.amdhsa_private_segment_fixed_size 0
		.amdhsa_kernarg_size 88
		.amdhsa_user_sgpr_count 6
		.amdhsa_user_sgpr_private_segment_buffer 1
		.amdhsa_user_sgpr_dispatch_ptr 0
		.amdhsa_user_sgpr_queue_ptr 0
		.amdhsa_user_sgpr_kernarg_segment_ptr 1
		.amdhsa_user_sgpr_dispatch_id 0
		.amdhsa_user_sgpr_flat_scratch_init 0
		.amdhsa_user_sgpr_kernarg_preload_length 0
		.amdhsa_user_sgpr_kernarg_preload_offset 0
		.amdhsa_user_sgpr_private_segment_size 0
		.amdhsa_uses_dynamic_stack 0
		.amdhsa_system_sgpr_private_segment_wavefront_offset 0
		.amdhsa_system_sgpr_workgroup_id_x 1
		.amdhsa_system_sgpr_workgroup_id_y 0
		.amdhsa_system_sgpr_workgroup_id_z 0
		.amdhsa_system_sgpr_workgroup_info 0
		.amdhsa_system_vgpr_workitem_id 0
		.amdhsa_next_free_vgpr 1
		.amdhsa_next_free_sgpr 0
		.amdhsa_accum_offset 4
		.amdhsa_reserve_vcc 0
		.amdhsa_reserve_flat_scratch 0
		.amdhsa_float_round_mode_32 0
		.amdhsa_float_round_mode_16_64 0
		.amdhsa_float_denorm_mode_32 3
		.amdhsa_float_denorm_mode_16_64 3
		.amdhsa_dx10_clamp 1
		.amdhsa_ieee_mode 1
		.amdhsa_fp16_overflow 0
		.amdhsa_tg_split 0
		.amdhsa_exception_fp_ieee_invalid_op 0
		.amdhsa_exception_fp_denorm_src 0
		.amdhsa_exception_fp_ieee_div_zero 0
		.amdhsa_exception_fp_ieee_overflow 0
		.amdhsa_exception_fp_ieee_underflow 0
		.amdhsa_exception_fp_ieee_inexact 0
		.amdhsa_exception_int_div_zero 0
	.end_amdhsa_kernel
	.section	.text._ZN7rocprim17ROCPRIM_400000_NS6detail17trampoline_kernelINS0_14default_configENS1_35radix_sort_onesweep_config_selectorIfNS0_10empty_typeEEEZZNS1_29radix_sort_onesweep_iterationIS3_Lb1EPfS8_PS5_S9_mNS0_19identity_decomposerENS1_16block_id_wrapperIjLb1EEEEE10hipError_tT1_PNSt15iterator_traitsISE_E10value_typeET2_T3_PNSF_ISK_E10value_typeET4_T5_PSP_SQ_PNS1_23onesweep_lookback_stateEbbT6_jjT7_P12ihipStream_tbENKUlT_T0_SE_SJ_E_clIS8_S8_S9_S9_EEDaSX_SY_SE_SJ_EUlSX_E_NS1_11comp_targetILNS1_3genE9ELNS1_11target_archE1100ELNS1_3gpuE3ELNS1_3repE0EEENS1_47radix_sort_onesweep_sort_config_static_selectorELNS0_4arch9wavefront6targetE1EEEvSE_,"axG",@progbits,_ZN7rocprim17ROCPRIM_400000_NS6detail17trampoline_kernelINS0_14default_configENS1_35radix_sort_onesweep_config_selectorIfNS0_10empty_typeEEEZZNS1_29radix_sort_onesweep_iterationIS3_Lb1EPfS8_PS5_S9_mNS0_19identity_decomposerENS1_16block_id_wrapperIjLb1EEEEE10hipError_tT1_PNSt15iterator_traitsISE_E10value_typeET2_T3_PNSF_ISK_E10value_typeET4_T5_PSP_SQ_PNS1_23onesweep_lookback_stateEbbT6_jjT7_P12ihipStream_tbENKUlT_T0_SE_SJ_E_clIS8_S8_S9_S9_EEDaSX_SY_SE_SJ_EUlSX_E_NS1_11comp_targetILNS1_3genE9ELNS1_11target_archE1100ELNS1_3gpuE3ELNS1_3repE0EEENS1_47radix_sort_onesweep_sort_config_static_selectorELNS0_4arch9wavefront6targetE1EEEvSE_,comdat
.Lfunc_end2553:
	.size	_ZN7rocprim17ROCPRIM_400000_NS6detail17trampoline_kernelINS0_14default_configENS1_35radix_sort_onesweep_config_selectorIfNS0_10empty_typeEEEZZNS1_29radix_sort_onesweep_iterationIS3_Lb1EPfS8_PS5_S9_mNS0_19identity_decomposerENS1_16block_id_wrapperIjLb1EEEEE10hipError_tT1_PNSt15iterator_traitsISE_E10value_typeET2_T3_PNSF_ISK_E10value_typeET4_T5_PSP_SQ_PNS1_23onesweep_lookback_stateEbbT6_jjT7_P12ihipStream_tbENKUlT_T0_SE_SJ_E_clIS8_S8_S9_S9_EEDaSX_SY_SE_SJ_EUlSX_E_NS1_11comp_targetILNS1_3genE9ELNS1_11target_archE1100ELNS1_3gpuE3ELNS1_3repE0EEENS1_47radix_sort_onesweep_sort_config_static_selectorELNS0_4arch9wavefront6targetE1EEEvSE_, .Lfunc_end2553-_ZN7rocprim17ROCPRIM_400000_NS6detail17trampoline_kernelINS0_14default_configENS1_35radix_sort_onesweep_config_selectorIfNS0_10empty_typeEEEZZNS1_29radix_sort_onesweep_iterationIS3_Lb1EPfS8_PS5_S9_mNS0_19identity_decomposerENS1_16block_id_wrapperIjLb1EEEEE10hipError_tT1_PNSt15iterator_traitsISE_E10value_typeET2_T3_PNSF_ISK_E10value_typeET4_T5_PSP_SQ_PNS1_23onesweep_lookback_stateEbbT6_jjT7_P12ihipStream_tbENKUlT_T0_SE_SJ_E_clIS8_S8_S9_S9_EEDaSX_SY_SE_SJ_EUlSX_E_NS1_11comp_targetILNS1_3genE9ELNS1_11target_archE1100ELNS1_3gpuE3ELNS1_3repE0EEENS1_47radix_sort_onesweep_sort_config_static_selectorELNS0_4arch9wavefront6targetE1EEEvSE_
                                        ; -- End function
	.section	.AMDGPU.csdata,"",@progbits
; Kernel info:
; codeLenInByte = 0
; NumSgprs: 4
; NumVgprs: 0
; NumAgprs: 0
; TotalNumVgprs: 0
; ScratchSize: 0
; MemoryBound: 0
; FloatMode: 240
; IeeeMode: 1
; LDSByteSize: 0 bytes/workgroup (compile time only)
; SGPRBlocks: 0
; VGPRBlocks: 0
; NumSGPRsForWavesPerEU: 4
; NumVGPRsForWavesPerEU: 1
; AccumOffset: 4
; Occupancy: 8
; WaveLimiterHint : 0
; COMPUTE_PGM_RSRC2:SCRATCH_EN: 0
; COMPUTE_PGM_RSRC2:USER_SGPR: 6
; COMPUTE_PGM_RSRC2:TRAP_HANDLER: 0
; COMPUTE_PGM_RSRC2:TGID_X_EN: 1
; COMPUTE_PGM_RSRC2:TGID_Y_EN: 0
; COMPUTE_PGM_RSRC2:TGID_Z_EN: 0
; COMPUTE_PGM_RSRC2:TIDIG_COMP_CNT: 0
; COMPUTE_PGM_RSRC3_GFX90A:ACCUM_OFFSET: 0
; COMPUTE_PGM_RSRC3_GFX90A:TG_SPLIT: 0
	.section	.text._ZN7rocprim17ROCPRIM_400000_NS6detail17trampoline_kernelINS0_14default_configENS1_35radix_sort_onesweep_config_selectorIfNS0_10empty_typeEEEZZNS1_29radix_sort_onesweep_iterationIS3_Lb1EPfS8_PS5_S9_mNS0_19identity_decomposerENS1_16block_id_wrapperIjLb1EEEEE10hipError_tT1_PNSt15iterator_traitsISE_E10value_typeET2_T3_PNSF_ISK_E10value_typeET4_T5_PSP_SQ_PNS1_23onesweep_lookback_stateEbbT6_jjT7_P12ihipStream_tbENKUlT_T0_SE_SJ_E_clIS8_S8_S9_S9_EEDaSX_SY_SE_SJ_EUlSX_E_NS1_11comp_targetILNS1_3genE8ELNS1_11target_archE1030ELNS1_3gpuE2ELNS1_3repE0EEENS1_47radix_sort_onesweep_sort_config_static_selectorELNS0_4arch9wavefront6targetE1EEEvSE_,"axG",@progbits,_ZN7rocprim17ROCPRIM_400000_NS6detail17trampoline_kernelINS0_14default_configENS1_35radix_sort_onesweep_config_selectorIfNS0_10empty_typeEEEZZNS1_29radix_sort_onesweep_iterationIS3_Lb1EPfS8_PS5_S9_mNS0_19identity_decomposerENS1_16block_id_wrapperIjLb1EEEEE10hipError_tT1_PNSt15iterator_traitsISE_E10value_typeET2_T3_PNSF_ISK_E10value_typeET4_T5_PSP_SQ_PNS1_23onesweep_lookback_stateEbbT6_jjT7_P12ihipStream_tbENKUlT_T0_SE_SJ_E_clIS8_S8_S9_S9_EEDaSX_SY_SE_SJ_EUlSX_E_NS1_11comp_targetILNS1_3genE8ELNS1_11target_archE1030ELNS1_3gpuE2ELNS1_3repE0EEENS1_47radix_sort_onesweep_sort_config_static_selectorELNS0_4arch9wavefront6targetE1EEEvSE_,comdat
	.protected	_ZN7rocprim17ROCPRIM_400000_NS6detail17trampoline_kernelINS0_14default_configENS1_35radix_sort_onesweep_config_selectorIfNS0_10empty_typeEEEZZNS1_29radix_sort_onesweep_iterationIS3_Lb1EPfS8_PS5_S9_mNS0_19identity_decomposerENS1_16block_id_wrapperIjLb1EEEEE10hipError_tT1_PNSt15iterator_traitsISE_E10value_typeET2_T3_PNSF_ISK_E10value_typeET4_T5_PSP_SQ_PNS1_23onesweep_lookback_stateEbbT6_jjT7_P12ihipStream_tbENKUlT_T0_SE_SJ_E_clIS8_S8_S9_S9_EEDaSX_SY_SE_SJ_EUlSX_E_NS1_11comp_targetILNS1_3genE8ELNS1_11target_archE1030ELNS1_3gpuE2ELNS1_3repE0EEENS1_47radix_sort_onesweep_sort_config_static_selectorELNS0_4arch9wavefront6targetE1EEEvSE_ ; -- Begin function _ZN7rocprim17ROCPRIM_400000_NS6detail17trampoline_kernelINS0_14default_configENS1_35radix_sort_onesweep_config_selectorIfNS0_10empty_typeEEEZZNS1_29radix_sort_onesweep_iterationIS3_Lb1EPfS8_PS5_S9_mNS0_19identity_decomposerENS1_16block_id_wrapperIjLb1EEEEE10hipError_tT1_PNSt15iterator_traitsISE_E10value_typeET2_T3_PNSF_ISK_E10value_typeET4_T5_PSP_SQ_PNS1_23onesweep_lookback_stateEbbT6_jjT7_P12ihipStream_tbENKUlT_T0_SE_SJ_E_clIS8_S8_S9_S9_EEDaSX_SY_SE_SJ_EUlSX_E_NS1_11comp_targetILNS1_3genE8ELNS1_11target_archE1030ELNS1_3gpuE2ELNS1_3repE0EEENS1_47radix_sort_onesweep_sort_config_static_selectorELNS0_4arch9wavefront6targetE1EEEvSE_
	.globl	_ZN7rocprim17ROCPRIM_400000_NS6detail17trampoline_kernelINS0_14default_configENS1_35radix_sort_onesweep_config_selectorIfNS0_10empty_typeEEEZZNS1_29radix_sort_onesweep_iterationIS3_Lb1EPfS8_PS5_S9_mNS0_19identity_decomposerENS1_16block_id_wrapperIjLb1EEEEE10hipError_tT1_PNSt15iterator_traitsISE_E10value_typeET2_T3_PNSF_ISK_E10value_typeET4_T5_PSP_SQ_PNS1_23onesweep_lookback_stateEbbT6_jjT7_P12ihipStream_tbENKUlT_T0_SE_SJ_E_clIS8_S8_S9_S9_EEDaSX_SY_SE_SJ_EUlSX_E_NS1_11comp_targetILNS1_3genE8ELNS1_11target_archE1030ELNS1_3gpuE2ELNS1_3repE0EEENS1_47radix_sort_onesweep_sort_config_static_selectorELNS0_4arch9wavefront6targetE1EEEvSE_
	.p2align	8
	.type	_ZN7rocprim17ROCPRIM_400000_NS6detail17trampoline_kernelINS0_14default_configENS1_35radix_sort_onesweep_config_selectorIfNS0_10empty_typeEEEZZNS1_29radix_sort_onesweep_iterationIS3_Lb1EPfS8_PS5_S9_mNS0_19identity_decomposerENS1_16block_id_wrapperIjLb1EEEEE10hipError_tT1_PNSt15iterator_traitsISE_E10value_typeET2_T3_PNSF_ISK_E10value_typeET4_T5_PSP_SQ_PNS1_23onesweep_lookback_stateEbbT6_jjT7_P12ihipStream_tbENKUlT_T0_SE_SJ_E_clIS8_S8_S9_S9_EEDaSX_SY_SE_SJ_EUlSX_E_NS1_11comp_targetILNS1_3genE8ELNS1_11target_archE1030ELNS1_3gpuE2ELNS1_3repE0EEENS1_47radix_sort_onesweep_sort_config_static_selectorELNS0_4arch9wavefront6targetE1EEEvSE_,@function
_ZN7rocprim17ROCPRIM_400000_NS6detail17trampoline_kernelINS0_14default_configENS1_35radix_sort_onesweep_config_selectorIfNS0_10empty_typeEEEZZNS1_29radix_sort_onesweep_iterationIS3_Lb1EPfS8_PS5_S9_mNS0_19identity_decomposerENS1_16block_id_wrapperIjLb1EEEEE10hipError_tT1_PNSt15iterator_traitsISE_E10value_typeET2_T3_PNSF_ISK_E10value_typeET4_T5_PSP_SQ_PNS1_23onesweep_lookback_stateEbbT6_jjT7_P12ihipStream_tbENKUlT_T0_SE_SJ_E_clIS8_S8_S9_S9_EEDaSX_SY_SE_SJ_EUlSX_E_NS1_11comp_targetILNS1_3genE8ELNS1_11target_archE1030ELNS1_3gpuE2ELNS1_3repE0EEENS1_47radix_sort_onesweep_sort_config_static_selectorELNS0_4arch9wavefront6targetE1EEEvSE_: ; @_ZN7rocprim17ROCPRIM_400000_NS6detail17trampoline_kernelINS0_14default_configENS1_35radix_sort_onesweep_config_selectorIfNS0_10empty_typeEEEZZNS1_29radix_sort_onesweep_iterationIS3_Lb1EPfS8_PS5_S9_mNS0_19identity_decomposerENS1_16block_id_wrapperIjLb1EEEEE10hipError_tT1_PNSt15iterator_traitsISE_E10value_typeET2_T3_PNSF_ISK_E10value_typeET4_T5_PSP_SQ_PNS1_23onesweep_lookback_stateEbbT6_jjT7_P12ihipStream_tbENKUlT_T0_SE_SJ_E_clIS8_S8_S9_S9_EEDaSX_SY_SE_SJ_EUlSX_E_NS1_11comp_targetILNS1_3genE8ELNS1_11target_archE1030ELNS1_3gpuE2ELNS1_3repE0EEENS1_47radix_sort_onesweep_sort_config_static_selectorELNS0_4arch9wavefront6targetE1EEEvSE_
; %bb.0:
	.section	.rodata,"a",@progbits
	.p2align	6, 0x0
	.amdhsa_kernel _ZN7rocprim17ROCPRIM_400000_NS6detail17trampoline_kernelINS0_14default_configENS1_35radix_sort_onesweep_config_selectorIfNS0_10empty_typeEEEZZNS1_29radix_sort_onesweep_iterationIS3_Lb1EPfS8_PS5_S9_mNS0_19identity_decomposerENS1_16block_id_wrapperIjLb1EEEEE10hipError_tT1_PNSt15iterator_traitsISE_E10value_typeET2_T3_PNSF_ISK_E10value_typeET4_T5_PSP_SQ_PNS1_23onesweep_lookback_stateEbbT6_jjT7_P12ihipStream_tbENKUlT_T0_SE_SJ_E_clIS8_S8_S9_S9_EEDaSX_SY_SE_SJ_EUlSX_E_NS1_11comp_targetILNS1_3genE8ELNS1_11target_archE1030ELNS1_3gpuE2ELNS1_3repE0EEENS1_47radix_sort_onesweep_sort_config_static_selectorELNS0_4arch9wavefront6targetE1EEEvSE_
		.amdhsa_group_segment_fixed_size 0
		.amdhsa_private_segment_fixed_size 0
		.amdhsa_kernarg_size 88
		.amdhsa_user_sgpr_count 6
		.amdhsa_user_sgpr_private_segment_buffer 1
		.amdhsa_user_sgpr_dispatch_ptr 0
		.amdhsa_user_sgpr_queue_ptr 0
		.amdhsa_user_sgpr_kernarg_segment_ptr 1
		.amdhsa_user_sgpr_dispatch_id 0
		.amdhsa_user_sgpr_flat_scratch_init 0
		.amdhsa_user_sgpr_kernarg_preload_length 0
		.amdhsa_user_sgpr_kernarg_preload_offset 0
		.amdhsa_user_sgpr_private_segment_size 0
		.amdhsa_uses_dynamic_stack 0
		.amdhsa_system_sgpr_private_segment_wavefront_offset 0
		.amdhsa_system_sgpr_workgroup_id_x 1
		.amdhsa_system_sgpr_workgroup_id_y 0
		.amdhsa_system_sgpr_workgroup_id_z 0
		.amdhsa_system_sgpr_workgroup_info 0
		.amdhsa_system_vgpr_workitem_id 0
		.amdhsa_next_free_vgpr 1
		.amdhsa_next_free_sgpr 0
		.amdhsa_accum_offset 4
		.amdhsa_reserve_vcc 0
		.amdhsa_reserve_flat_scratch 0
		.amdhsa_float_round_mode_32 0
		.amdhsa_float_round_mode_16_64 0
		.amdhsa_float_denorm_mode_32 3
		.amdhsa_float_denorm_mode_16_64 3
		.amdhsa_dx10_clamp 1
		.amdhsa_ieee_mode 1
		.amdhsa_fp16_overflow 0
		.amdhsa_tg_split 0
		.amdhsa_exception_fp_ieee_invalid_op 0
		.amdhsa_exception_fp_denorm_src 0
		.amdhsa_exception_fp_ieee_div_zero 0
		.amdhsa_exception_fp_ieee_overflow 0
		.amdhsa_exception_fp_ieee_underflow 0
		.amdhsa_exception_fp_ieee_inexact 0
		.amdhsa_exception_int_div_zero 0
	.end_amdhsa_kernel
	.section	.text._ZN7rocprim17ROCPRIM_400000_NS6detail17trampoline_kernelINS0_14default_configENS1_35radix_sort_onesweep_config_selectorIfNS0_10empty_typeEEEZZNS1_29radix_sort_onesweep_iterationIS3_Lb1EPfS8_PS5_S9_mNS0_19identity_decomposerENS1_16block_id_wrapperIjLb1EEEEE10hipError_tT1_PNSt15iterator_traitsISE_E10value_typeET2_T3_PNSF_ISK_E10value_typeET4_T5_PSP_SQ_PNS1_23onesweep_lookback_stateEbbT6_jjT7_P12ihipStream_tbENKUlT_T0_SE_SJ_E_clIS8_S8_S9_S9_EEDaSX_SY_SE_SJ_EUlSX_E_NS1_11comp_targetILNS1_3genE8ELNS1_11target_archE1030ELNS1_3gpuE2ELNS1_3repE0EEENS1_47radix_sort_onesweep_sort_config_static_selectorELNS0_4arch9wavefront6targetE1EEEvSE_,"axG",@progbits,_ZN7rocprim17ROCPRIM_400000_NS6detail17trampoline_kernelINS0_14default_configENS1_35radix_sort_onesweep_config_selectorIfNS0_10empty_typeEEEZZNS1_29radix_sort_onesweep_iterationIS3_Lb1EPfS8_PS5_S9_mNS0_19identity_decomposerENS1_16block_id_wrapperIjLb1EEEEE10hipError_tT1_PNSt15iterator_traitsISE_E10value_typeET2_T3_PNSF_ISK_E10value_typeET4_T5_PSP_SQ_PNS1_23onesweep_lookback_stateEbbT6_jjT7_P12ihipStream_tbENKUlT_T0_SE_SJ_E_clIS8_S8_S9_S9_EEDaSX_SY_SE_SJ_EUlSX_E_NS1_11comp_targetILNS1_3genE8ELNS1_11target_archE1030ELNS1_3gpuE2ELNS1_3repE0EEENS1_47radix_sort_onesweep_sort_config_static_selectorELNS0_4arch9wavefront6targetE1EEEvSE_,comdat
.Lfunc_end2554:
	.size	_ZN7rocprim17ROCPRIM_400000_NS6detail17trampoline_kernelINS0_14default_configENS1_35radix_sort_onesweep_config_selectorIfNS0_10empty_typeEEEZZNS1_29radix_sort_onesweep_iterationIS3_Lb1EPfS8_PS5_S9_mNS0_19identity_decomposerENS1_16block_id_wrapperIjLb1EEEEE10hipError_tT1_PNSt15iterator_traitsISE_E10value_typeET2_T3_PNSF_ISK_E10value_typeET4_T5_PSP_SQ_PNS1_23onesweep_lookback_stateEbbT6_jjT7_P12ihipStream_tbENKUlT_T0_SE_SJ_E_clIS8_S8_S9_S9_EEDaSX_SY_SE_SJ_EUlSX_E_NS1_11comp_targetILNS1_3genE8ELNS1_11target_archE1030ELNS1_3gpuE2ELNS1_3repE0EEENS1_47radix_sort_onesweep_sort_config_static_selectorELNS0_4arch9wavefront6targetE1EEEvSE_, .Lfunc_end2554-_ZN7rocprim17ROCPRIM_400000_NS6detail17trampoline_kernelINS0_14default_configENS1_35radix_sort_onesweep_config_selectorIfNS0_10empty_typeEEEZZNS1_29radix_sort_onesweep_iterationIS3_Lb1EPfS8_PS5_S9_mNS0_19identity_decomposerENS1_16block_id_wrapperIjLb1EEEEE10hipError_tT1_PNSt15iterator_traitsISE_E10value_typeET2_T3_PNSF_ISK_E10value_typeET4_T5_PSP_SQ_PNS1_23onesweep_lookback_stateEbbT6_jjT7_P12ihipStream_tbENKUlT_T0_SE_SJ_E_clIS8_S8_S9_S9_EEDaSX_SY_SE_SJ_EUlSX_E_NS1_11comp_targetILNS1_3genE8ELNS1_11target_archE1030ELNS1_3gpuE2ELNS1_3repE0EEENS1_47radix_sort_onesweep_sort_config_static_selectorELNS0_4arch9wavefront6targetE1EEEvSE_
                                        ; -- End function
	.section	.AMDGPU.csdata,"",@progbits
; Kernel info:
; codeLenInByte = 0
; NumSgprs: 4
; NumVgprs: 0
; NumAgprs: 0
; TotalNumVgprs: 0
; ScratchSize: 0
; MemoryBound: 0
; FloatMode: 240
; IeeeMode: 1
; LDSByteSize: 0 bytes/workgroup (compile time only)
; SGPRBlocks: 0
; VGPRBlocks: 0
; NumSGPRsForWavesPerEU: 4
; NumVGPRsForWavesPerEU: 1
; AccumOffset: 4
; Occupancy: 8
; WaveLimiterHint : 0
; COMPUTE_PGM_RSRC2:SCRATCH_EN: 0
; COMPUTE_PGM_RSRC2:USER_SGPR: 6
; COMPUTE_PGM_RSRC2:TRAP_HANDLER: 0
; COMPUTE_PGM_RSRC2:TGID_X_EN: 1
; COMPUTE_PGM_RSRC2:TGID_Y_EN: 0
; COMPUTE_PGM_RSRC2:TGID_Z_EN: 0
; COMPUTE_PGM_RSRC2:TIDIG_COMP_CNT: 0
; COMPUTE_PGM_RSRC3_GFX90A:ACCUM_OFFSET: 0
; COMPUTE_PGM_RSRC3_GFX90A:TG_SPLIT: 0
	.section	.text._ZN7rocprim17ROCPRIM_400000_NS6detail17trampoline_kernelINS0_14default_configENS1_35radix_sort_onesweep_config_selectorIfNS0_10empty_typeEEEZZNS1_29radix_sort_onesweep_iterationIS3_Lb1EPfS8_PS5_S9_mNS0_19identity_decomposerENS1_16block_id_wrapperIjLb0EEEEE10hipError_tT1_PNSt15iterator_traitsISE_E10value_typeET2_T3_PNSF_ISK_E10value_typeET4_T5_PSP_SQ_PNS1_23onesweep_lookback_stateEbbT6_jjT7_P12ihipStream_tbENKUlT_T0_SE_SJ_E_clIS8_S8_S9_S9_EEDaSX_SY_SE_SJ_EUlSX_E_NS1_11comp_targetILNS1_3genE0ELNS1_11target_archE4294967295ELNS1_3gpuE0ELNS1_3repE0EEENS1_47radix_sort_onesweep_sort_config_static_selectorELNS0_4arch9wavefront6targetE1EEEvSE_,"axG",@progbits,_ZN7rocprim17ROCPRIM_400000_NS6detail17trampoline_kernelINS0_14default_configENS1_35radix_sort_onesweep_config_selectorIfNS0_10empty_typeEEEZZNS1_29radix_sort_onesweep_iterationIS3_Lb1EPfS8_PS5_S9_mNS0_19identity_decomposerENS1_16block_id_wrapperIjLb0EEEEE10hipError_tT1_PNSt15iterator_traitsISE_E10value_typeET2_T3_PNSF_ISK_E10value_typeET4_T5_PSP_SQ_PNS1_23onesweep_lookback_stateEbbT6_jjT7_P12ihipStream_tbENKUlT_T0_SE_SJ_E_clIS8_S8_S9_S9_EEDaSX_SY_SE_SJ_EUlSX_E_NS1_11comp_targetILNS1_3genE0ELNS1_11target_archE4294967295ELNS1_3gpuE0ELNS1_3repE0EEENS1_47radix_sort_onesweep_sort_config_static_selectorELNS0_4arch9wavefront6targetE1EEEvSE_,comdat
	.protected	_ZN7rocprim17ROCPRIM_400000_NS6detail17trampoline_kernelINS0_14default_configENS1_35radix_sort_onesweep_config_selectorIfNS0_10empty_typeEEEZZNS1_29radix_sort_onesweep_iterationIS3_Lb1EPfS8_PS5_S9_mNS0_19identity_decomposerENS1_16block_id_wrapperIjLb0EEEEE10hipError_tT1_PNSt15iterator_traitsISE_E10value_typeET2_T3_PNSF_ISK_E10value_typeET4_T5_PSP_SQ_PNS1_23onesweep_lookback_stateEbbT6_jjT7_P12ihipStream_tbENKUlT_T0_SE_SJ_E_clIS8_S8_S9_S9_EEDaSX_SY_SE_SJ_EUlSX_E_NS1_11comp_targetILNS1_3genE0ELNS1_11target_archE4294967295ELNS1_3gpuE0ELNS1_3repE0EEENS1_47radix_sort_onesweep_sort_config_static_selectorELNS0_4arch9wavefront6targetE1EEEvSE_ ; -- Begin function _ZN7rocprim17ROCPRIM_400000_NS6detail17trampoline_kernelINS0_14default_configENS1_35radix_sort_onesweep_config_selectorIfNS0_10empty_typeEEEZZNS1_29radix_sort_onesweep_iterationIS3_Lb1EPfS8_PS5_S9_mNS0_19identity_decomposerENS1_16block_id_wrapperIjLb0EEEEE10hipError_tT1_PNSt15iterator_traitsISE_E10value_typeET2_T3_PNSF_ISK_E10value_typeET4_T5_PSP_SQ_PNS1_23onesweep_lookback_stateEbbT6_jjT7_P12ihipStream_tbENKUlT_T0_SE_SJ_E_clIS8_S8_S9_S9_EEDaSX_SY_SE_SJ_EUlSX_E_NS1_11comp_targetILNS1_3genE0ELNS1_11target_archE4294967295ELNS1_3gpuE0ELNS1_3repE0EEENS1_47radix_sort_onesweep_sort_config_static_selectorELNS0_4arch9wavefront6targetE1EEEvSE_
	.globl	_ZN7rocprim17ROCPRIM_400000_NS6detail17trampoline_kernelINS0_14default_configENS1_35radix_sort_onesweep_config_selectorIfNS0_10empty_typeEEEZZNS1_29radix_sort_onesweep_iterationIS3_Lb1EPfS8_PS5_S9_mNS0_19identity_decomposerENS1_16block_id_wrapperIjLb0EEEEE10hipError_tT1_PNSt15iterator_traitsISE_E10value_typeET2_T3_PNSF_ISK_E10value_typeET4_T5_PSP_SQ_PNS1_23onesweep_lookback_stateEbbT6_jjT7_P12ihipStream_tbENKUlT_T0_SE_SJ_E_clIS8_S8_S9_S9_EEDaSX_SY_SE_SJ_EUlSX_E_NS1_11comp_targetILNS1_3genE0ELNS1_11target_archE4294967295ELNS1_3gpuE0ELNS1_3repE0EEENS1_47radix_sort_onesweep_sort_config_static_selectorELNS0_4arch9wavefront6targetE1EEEvSE_
	.p2align	8
	.type	_ZN7rocprim17ROCPRIM_400000_NS6detail17trampoline_kernelINS0_14default_configENS1_35radix_sort_onesweep_config_selectorIfNS0_10empty_typeEEEZZNS1_29radix_sort_onesweep_iterationIS3_Lb1EPfS8_PS5_S9_mNS0_19identity_decomposerENS1_16block_id_wrapperIjLb0EEEEE10hipError_tT1_PNSt15iterator_traitsISE_E10value_typeET2_T3_PNSF_ISK_E10value_typeET4_T5_PSP_SQ_PNS1_23onesweep_lookback_stateEbbT6_jjT7_P12ihipStream_tbENKUlT_T0_SE_SJ_E_clIS8_S8_S9_S9_EEDaSX_SY_SE_SJ_EUlSX_E_NS1_11comp_targetILNS1_3genE0ELNS1_11target_archE4294967295ELNS1_3gpuE0ELNS1_3repE0EEENS1_47radix_sort_onesweep_sort_config_static_selectorELNS0_4arch9wavefront6targetE1EEEvSE_,@function
_ZN7rocprim17ROCPRIM_400000_NS6detail17trampoline_kernelINS0_14default_configENS1_35radix_sort_onesweep_config_selectorIfNS0_10empty_typeEEEZZNS1_29radix_sort_onesweep_iterationIS3_Lb1EPfS8_PS5_S9_mNS0_19identity_decomposerENS1_16block_id_wrapperIjLb0EEEEE10hipError_tT1_PNSt15iterator_traitsISE_E10value_typeET2_T3_PNSF_ISK_E10value_typeET4_T5_PSP_SQ_PNS1_23onesweep_lookback_stateEbbT6_jjT7_P12ihipStream_tbENKUlT_T0_SE_SJ_E_clIS8_S8_S9_S9_EEDaSX_SY_SE_SJ_EUlSX_E_NS1_11comp_targetILNS1_3genE0ELNS1_11target_archE4294967295ELNS1_3gpuE0ELNS1_3repE0EEENS1_47radix_sort_onesweep_sort_config_static_selectorELNS0_4arch9wavefront6targetE1EEEvSE_: ; @_ZN7rocprim17ROCPRIM_400000_NS6detail17trampoline_kernelINS0_14default_configENS1_35radix_sort_onesweep_config_selectorIfNS0_10empty_typeEEEZZNS1_29radix_sort_onesweep_iterationIS3_Lb1EPfS8_PS5_S9_mNS0_19identity_decomposerENS1_16block_id_wrapperIjLb0EEEEE10hipError_tT1_PNSt15iterator_traitsISE_E10value_typeET2_T3_PNSF_ISK_E10value_typeET4_T5_PSP_SQ_PNS1_23onesweep_lookback_stateEbbT6_jjT7_P12ihipStream_tbENKUlT_T0_SE_SJ_E_clIS8_S8_S9_S9_EEDaSX_SY_SE_SJ_EUlSX_E_NS1_11comp_targetILNS1_3genE0ELNS1_11target_archE4294967295ELNS1_3gpuE0ELNS1_3repE0EEENS1_47radix_sort_onesweep_sort_config_static_selectorELNS0_4arch9wavefront6targetE1EEEvSE_
; %bb.0:
	.section	.rodata,"a",@progbits
	.p2align	6, 0x0
	.amdhsa_kernel _ZN7rocprim17ROCPRIM_400000_NS6detail17trampoline_kernelINS0_14default_configENS1_35radix_sort_onesweep_config_selectorIfNS0_10empty_typeEEEZZNS1_29radix_sort_onesweep_iterationIS3_Lb1EPfS8_PS5_S9_mNS0_19identity_decomposerENS1_16block_id_wrapperIjLb0EEEEE10hipError_tT1_PNSt15iterator_traitsISE_E10value_typeET2_T3_PNSF_ISK_E10value_typeET4_T5_PSP_SQ_PNS1_23onesweep_lookback_stateEbbT6_jjT7_P12ihipStream_tbENKUlT_T0_SE_SJ_E_clIS8_S8_S9_S9_EEDaSX_SY_SE_SJ_EUlSX_E_NS1_11comp_targetILNS1_3genE0ELNS1_11target_archE4294967295ELNS1_3gpuE0ELNS1_3repE0EEENS1_47radix_sort_onesweep_sort_config_static_selectorELNS0_4arch9wavefront6targetE1EEEvSE_
		.amdhsa_group_segment_fixed_size 0
		.amdhsa_private_segment_fixed_size 0
		.amdhsa_kernarg_size 88
		.amdhsa_user_sgpr_count 6
		.amdhsa_user_sgpr_private_segment_buffer 1
		.amdhsa_user_sgpr_dispatch_ptr 0
		.amdhsa_user_sgpr_queue_ptr 0
		.amdhsa_user_sgpr_kernarg_segment_ptr 1
		.amdhsa_user_sgpr_dispatch_id 0
		.amdhsa_user_sgpr_flat_scratch_init 0
		.amdhsa_user_sgpr_kernarg_preload_length 0
		.amdhsa_user_sgpr_kernarg_preload_offset 0
		.amdhsa_user_sgpr_private_segment_size 0
		.amdhsa_uses_dynamic_stack 0
		.amdhsa_system_sgpr_private_segment_wavefront_offset 0
		.amdhsa_system_sgpr_workgroup_id_x 1
		.amdhsa_system_sgpr_workgroup_id_y 0
		.amdhsa_system_sgpr_workgroup_id_z 0
		.amdhsa_system_sgpr_workgroup_info 0
		.amdhsa_system_vgpr_workitem_id 0
		.amdhsa_next_free_vgpr 1
		.amdhsa_next_free_sgpr 0
		.amdhsa_accum_offset 4
		.amdhsa_reserve_vcc 0
		.amdhsa_reserve_flat_scratch 0
		.amdhsa_float_round_mode_32 0
		.amdhsa_float_round_mode_16_64 0
		.amdhsa_float_denorm_mode_32 3
		.amdhsa_float_denorm_mode_16_64 3
		.amdhsa_dx10_clamp 1
		.amdhsa_ieee_mode 1
		.amdhsa_fp16_overflow 0
		.amdhsa_tg_split 0
		.amdhsa_exception_fp_ieee_invalid_op 0
		.amdhsa_exception_fp_denorm_src 0
		.amdhsa_exception_fp_ieee_div_zero 0
		.amdhsa_exception_fp_ieee_overflow 0
		.amdhsa_exception_fp_ieee_underflow 0
		.amdhsa_exception_fp_ieee_inexact 0
		.amdhsa_exception_int_div_zero 0
	.end_amdhsa_kernel
	.section	.text._ZN7rocprim17ROCPRIM_400000_NS6detail17trampoline_kernelINS0_14default_configENS1_35radix_sort_onesweep_config_selectorIfNS0_10empty_typeEEEZZNS1_29radix_sort_onesweep_iterationIS3_Lb1EPfS8_PS5_S9_mNS0_19identity_decomposerENS1_16block_id_wrapperIjLb0EEEEE10hipError_tT1_PNSt15iterator_traitsISE_E10value_typeET2_T3_PNSF_ISK_E10value_typeET4_T5_PSP_SQ_PNS1_23onesweep_lookback_stateEbbT6_jjT7_P12ihipStream_tbENKUlT_T0_SE_SJ_E_clIS8_S8_S9_S9_EEDaSX_SY_SE_SJ_EUlSX_E_NS1_11comp_targetILNS1_3genE0ELNS1_11target_archE4294967295ELNS1_3gpuE0ELNS1_3repE0EEENS1_47radix_sort_onesweep_sort_config_static_selectorELNS0_4arch9wavefront6targetE1EEEvSE_,"axG",@progbits,_ZN7rocprim17ROCPRIM_400000_NS6detail17trampoline_kernelINS0_14default_configENS1_35radix_sort_onesweep_config_selectorIfNS0_10empty_typeEEEZZNS1_29radix_sort_onesweep_iterationIS3_Lb1EPfS8_PS5_S9_mNS0_19identity_decomposerENS1_16block_id_wrapperIjLb0EEEEE10hipError_tT1_PNSt15iterator_traitsISE_E10value_typeET2_T3_PNSF_ISK_E10value_typeET4_T5_PSP_SQ_PNS1_23onesweep_lookback_stateEbbT6_jjT7_P12ihipStream_tbENKUlT_T0_SE_SJ_E_clIS8_S8_S9_S9_EEDaSX_SY_SE_SJ_EUlSX_E_NS1_11comp_targetILNS1_3genE0ELNS1_11target_archE4294967295ELNS1_3gpuE0ELNS1_3repE0EEENS1_47radix_sort_onesweep_sort_config_static_selectorELNS0_4arch9wavefront6targetE1EEEvSE_,comdat
.Lfunc_end2555:
	.size	_ZN7rocprim17ROCPRIM_400000_NS6detail17trampoline_kernelINS0_14default_configENS1_35radix_sort_onesweep_config_selectorIfNS0_10empty_typeEEEZZNS1_29radix_sort_onesweep_iterationIS3_Lb1EPfS8_PS5_S9_mNS0_19identity_decomposerENS1_16block_id_wrapperIjLb0EEEEE10hipError_tT1_PNSt15iterator_traitsISE_E10value_typeET2_T3_PNSF_ISK_E10value_typeET4_T5_PSP_SQ_PNS1_23onesweep_lookback_stateEbbT6_jjT7_P12ihipStream_tbENKUlT_T0_SE_SJ_E_clIS8_S8_S9_S9_EEDaSX_SY_SE_SJ_EUlSX_E_NS1_11comp_targetILNS1_3genE0ELNS1_11target_archE4294967295ELNS1_3gpuE0ELNS1_3repE0EEENS1_47radix_sort_onesweep_sort_config_static_selectorELNS0_4arch9wavefront6targetE1EEEvSE_, .Lfunc_end2555-_ZN7rocprim17ROCPRIM_400000_NS6detail17trampoline_kernelINS0_14default_configENS1_35radix_sort_onesweep_config_selectorIfNS0_10empty_typeEEEZZNS1_29radix_sort_onesweep_iterationIS3_Lb1EPfS8_PS5_S9_mNS0_19identity_decomposerENS1_16block_id_wrapperIjLb0EEEEE10hipError_tT1_PNSt15iterator_traitsISE_E10value_typeET2_T3_PNSF_ISK_E10value_typeET4_T5_PSP_SQ_PNS1_23onesweep_lookback_stateEbbT6_jjT7_P12ihipStream_tbENKUlT_T0_SE_SJ_E_clIS8_S8_S9_S9_EEDaSX_SY_SE_SJ_EUlSX_E_NS1_11comp_targetILNS1_3genE0ELNS1_11target_archE4294967295ELNS1_3gpuE0ELNS1_3repE0EEENS1_47radix_sort_onesweep_sort_config_static_selectorELNS0_4arch9wavefront6targetE1EEEvSE_
                                        ; -- End function
	.section	.AMDGPU.csdata,"",@progbits
; Kernel info:
; codeLenInByte = 0
; NumSgprs: 4
; NumVgprs: 0
; NumAgprs: 0
; TotalNumVgprs: 0
; ScratchSize: 0
; MemoryBound: 0
; FloatMode: 240
; IeeeMode: 1
; LDSByteSize: 0 bytes/workgroup (compile time only)
; SGPRBlocks: 0
; VGPRBlocks: 0
; NumSGPRsForWavesPerEU: 4
; NumVGPRsForWavesPerEU: 1
; AccumOffset: 4
; Occupancy: 8
; WaveLimiterHint : 0
; COMPUTE_PGM_RSRC2:SCRATCH_EN: 0
; COMPUTE_PGM_RSRC2:USER_SGPR: 6
; COMPUTE_PGM_RSRC2:TRAP_HANDLER: 0
; COMPUTE_PGM_RSRC2:TGID_X_EN: 1
; COMPUTE_PGM_RSRC2:TGID_Y_EN: 0
; COMPUTE_PGM_RSRC2:TGID_Z_EN: 0
; COMPUTE_PGM_RSRC2:TIDIG_COMP_CNT: 0
; COMPUTE_PGM_RSRC3_GFX90A:ACCUM_OFFSET: 0
; COMPUTE_PGM_RSRC3_GFX90A:TG_SPLIT: 0
	.section	.text._ZN7rocprim17ROCPRIM_400000_NS6detail17trampoline_kernelINS0_14default_configENS1_35radix_sort_onesweep_config_selectorIfNS0_10empty_typeEEEZZNS1_29radix_sort_onesweep_iterationIS3_Lb1EPfS8_PS5_S9_mNS0_19identity_decomposerENS1_16block_id_wrapperIjLb0EEEEE10hipError_tT1_PNSt15iterator_traitsISE_E10value_typeET2_T3_PNSF_ISK_E10value_typeET4_T5_PSP_SQ_PNS1_23onesweep_lookback_stateEbbT6_jjT7_P12ihipStream_tbENKUlT_T0_SE_SJ_E_clIS8_S8_S9_S9_EEDaSX_SY_SE_SJ_EUlSX_E_NS1_11comp_targetILNS1_3genE6ELNS1_11target_archE950ELNS1_3gpuE13ELNS1_3repE0EEENS1_47radix_sort_onesweep_sort_config_static_selectorELNS0_4arch9wavefront6targetE1EEEvSE_,"axG",@progbits,_ZN7rocprim17ROCPRIM_400000_NS6detail17trampoline_kernelINS0_14default_configENS1_35radix_sort_onesweep_config_selectorIfNS0_10empty_typeEEEZZNS1_29radix_sort_onesweep_iterationIS3_Lb1EPfS8_PS5_S9_mNS0_19identity_decomposerENS1_16block_id_wrapperIjLb0EEEEE10hipError_tT1_PNSt15iterator_traitsISE_E10value_typeET2_T3_PNSF_ISK_E10value_typeET4_T5_PSP_SQ_PNS1_23onesweep_lookback_stateEbbT6_jjT7_P12ihipStream_tbENKUlT_T0_SE_SJ_E_clIS8_S8_S9_S9_EEDaSX_SY_SE_SJ_EUlSX_E_NS1_11comp_targetILNS1_3genE6ELNS1_11target_archE950ELNS1_3gpuE13ELNS1_3repE0EEENS1_47radix_sort_onesweep_sort_config_static_selectorELNS0_4arch9wavefront6targetE1EEEvSE_,comdat
	.protected	_ZN7rocprim17ROCPRIM_400000_NS6detail17trampoline_kernelINS0_14default_configENS1_35radix_sort_onesweep_config_selectorIfNS0_10empty_typeEEEZZNS1_29radix_sort_onesweep_iterationIS3_Lb1EPfS8_PS5_S9_mNS0_19identity_decomposerENS1_16block_id_wrapperIjLb0EEEEE10hipError_tT1_PNSt15iterator_traitsISE_E10value_typeET2_T3_PNSF_ISK_E10value_typeET4_T5_PSP_SQ_PNS1_23onesweep_lookback_stateEbbT6_jjT7_P12ihipStream_tbENKUlT_T0_SE_SJ_E_clIS8_S8_S9_S9_EEDaSX_SY_SE_SJ_EUlSX_E_NS1_11comp_targetILNS1_3genE6ELNS1_11target_archE950ELNS1_3gpuE13ELNS1_3repE0EEENS1_47radix_sort_onesweep_sort_config_static_selectorELNS0_4arch9wavefront6targetE1EEEvSE_ ; -- Begin function _ZN7rocprim17ROCPRIM_400000_NS6detail17trampoline_kernelINS0_14default_configENS1_35radix_sort_onesweep_config_selectorIfNS0_10empty_typeEEEZZNS1_29radix_sort_onesweep_iterationIS3_Lb1EPfS8_PS5_S9_mNS0_19identity_decomposerENS1_16block_id_wrapperIjLb0EEEEE10hipError_tT1_PNSt15iterator_traitsISE_E10value_typeET2_T3_PNSF_ISK_E10value_typeET4_T5_PSP_SQ_PNS1_23onesweep_lookback_stateEbbT6_jjT7_P12ihipStream_tbENKUlT_T0_SE_SJ_E_clIS8_S8_S9_S9_EEDaSX_SY_SE_SJ_EUlSX_E_NS1_11comp_targetILNS1_3genE6ELNS1_11target_archE950ELNS1_3gpuE13ELNS1_3repE0EEENS1_47radix_sort_onesweep_sort_config_static_selectorELNS0_4arch9wavefront6targetE1EEEvSE_
	.globl	_ZN7rocprim17ROCPRIM_400000_NS6detail17trampoline_kernelINS0_14default_configENS1_35radix_sort_onesweep_config_selectorIfNS0_10empty_typeEEEZZNS1_29radix_sort_onesweep_iterationIS3_Lb1EPfS8_PS5_S9_mNS0_19identity_decomposerENS1_16block_id_wrapperIjLb0EEEEE10hipError_tT1_PNSt15iterator_traitsISE_E10value_typeET2_T3_PNSF_ISK_E10value_typeET4_T5_PSP_SQ_PNS1_23onesweep_lookback_stateEbbT6_jjT7_P12ihipStream_tbENKUlT_T0_SE_SJ_E_clIS8_S8_S9_S9_EEDaSX_SY_SE_SJ_EUlSX_E_NS1_11comp_targetILNS1_3genE6ELNS1_11target_archE950ELNS1_3gpuE13ELNS1_3repE0EEENS1_47radix_sort_onesweep_sort_config_static_selectorELNS0_4arch9wavefront6targetE1EEEvSE_
	.p2align	8
	.type	_ZN7rocprim17ROCPRIM_400000_NS6detail17trampoline_kernelINS0_14default_configENS1_35radix_sort_onesweep_config_selectorIfNS0_10empty_typeEEEZZNS1_29radix_sort_onesweep_iterationIS3_Lb1EPfS8_PS5_S9_mNS0_19identity_decomposerENS1_16block_id_wrapperIjLb0EEEEE10hipError_tT1_PNSt15iterator_traitsISE_E10value_typeET2_T3_PNSF_ISK_E10value_typeET4_T5_PSP_SQ_PNS1_23onesweep_lookback_stateEbbT6_jjT7_P12ihipStream_tbENKUlT_T0_SE_SJ_E_clIS8_S8_S9_S9_EEDaSX_SY_SE_SJ_EUlSX_E_NS1_11comp_targetILNS1_3genE6ELNS1_11target_archE950ELNS1_3gpuE13ELNS1_3repE0EEENS1_47radix_sort_onesweep_sort_config_static_selectorELNS0_4arch9wavefront6targetE1EEEvSE_,@function
_ZN7rocprim17ROCPRIM_400000_NS6detail17trampoline_kernelINS0_14default_configENS1_35radix_sort_onesweep_config_selectorIfNS0_10empty_typeEEEZZNS1_29radix_sort_onesweep_iterationIS3_Lb1EPfS8_PS5_S9_mNS0_19identity_decomposerENS1_16block_id_wrapperIjLb0EEEEE10hipError_tT1_PNSt15iterator_traitsISE_E10value_typeET2_T3_PNSF_ISK_E10value_typeET4_T5_PSP_SQ_PNS1_23onesweep_lookback_stateEbbT6_jjT7_P12ihipStream_tbENKUlT_T0_SE_SJ_E_clIS8_S8_S9_S9_EEDaSX_SY_SE_SJ_EUlSX_E_NS1_11comp_targetILNS1_3genE6ELNS1_11target_archE950ELNS1_3gpuE13ELNS1_3repE0EEENS1_47radix_sort_onesweep_sort_config_static_selectorELNS0_4arch9wavefront6targetE1EEEvSE_: ; @_ZN7rocprim17ROCPRIM_400000_NS6detail17trampoline_kernelINS0_14default_configENS1_35radix_sort_onesweep_config_selectorIfNS0_10empty_typeEEEZZNS1_29radix_sort_onesweep_iterationIS3_Lb1EPfS8_PS5_S9_mNS0_19identity_decomposerENS1_16block_id_wrapperIjLb0EEEEE10hipError_tT1_PNSt15iterator_traitsISE_E10value_typeET2_T3_PNSF_ISK_E10value_typeET4_T5_PSP_SQ_PNS1_23onesweep_lookback_stateEbbT6_jjT7_P12ihipStream_tbENKUlT_T0_SE_SJ_E_clIS8_S8_S9_S9_EEDaSX_SY_SE_SJ_EUlSX_E_NS1_11comp_targetILNS1_3genE6ELNS1_11target_archE950ELNS1_3gpuE13ELNS1_3repE0EEENS1_47radix_sort_onesweep_sort_config_static_selectorELNS0_4arch9wavefront6targetE1EEEvSE_
; %bb.0:
	.section	.rodata,"a",@progbits
	.p2align	6, 0x0
	.amdhsa_kernel _ZN7rocprim17ROCPRIM_400000_NS6detail17trampoline_kernelINS0_14default_configENS1_35radix_sort_onesweep_config_selectorIfNS0_10empty_typeEEEZZNS1_29radix_sort_onesweep_iterationIS3_Lb1EPfS8_PS5_S9_mNS0_19identity_decomposerENS1_16block_id_wrapperIjLb0EEEEE10hipError_tT1_PNSt15iterator_traitsISE_E10value_typeET2_T3_PNSF_ISK_E10value_typeET4_T5_PSP_SQ_PNS1_23onesweep_lookback_stateEbbT6_jjT7_P12ihipStream_tbENKUlT_T0_SE_SJ_E_clIS8_S8_S9_S9_EEDaSX_SY_SE_SJ_EUlSX_E_NS1_11comp_targetILNS1_3genE6ELNS1_11target_archE950ELNS1_3gpuE13ELNS1_3repE0EEENS1_47radix_sort_onesweep_sort_config_static_selectorELNS0_4arch9wavefront6targetE1EEEvSE_
		.amdhsa_group_segment_fixed_size 0
		.amdhsa_private_segment_fixed_size 0
		.amdhsa_kernarg_size 88
		.amdhsa_user_sgpr_count 6
		.amdhsa_user_sgpr_private_segment_buffer 1
		.amdhsa_user_sgpr_dispatch_ptr 0
		.amdhsa_user_sgpr_queue_ptr 0
		.amdhsa_user_sgpr_kernarg_segment_ptr 1
		.amdhsa_user_sgpr_dispatch_id 0
		.amdhsa_user_sgpr_flat_scratch_init 0
		.amdhsa_user_sgpr_kernarg_preload_length 0
		.amdhsa_user_sgpr_kernarg_preload_offset 0
		.amdhsa_user_sgpr_private_segment_size 0
		.amdhsa_uses_dynamic_stack 0
		.amdhsa_system_sgpr_private_segment_wavefront_offset 0
		.amdhsa_system_sgpr_workgroup_id_x 1
		.amdhsa_system_sgpr_workgroup_id_y 0
		.amdhsa_system_sgpr_workgroup_id_z 0
		.amdhsa_system_sgpr_workgroup_info 0
		.amdhsa_system_vgpr_workitem_id 0
		.amdhsa_next_free_vgpr 1
		.amdhsa_next_free_sgpr 0
		.amdhsa_accum_offset 4
		.amdhsa_reserve_vcc 0
		.amdhsa_reserve_flat_scratch 0
		.amdhsa_float_round_mode_32 0
		.amdhsa_float_round_mode_16_64 0
		.amdhsa_float_denorm_mode_32 3
		.amdhsa_float_denorm_mode_16_64 3
		.amdhsa_dx10_clamp 1
		.amdhsa_ieee_mode 1
		.amdhsa_fp16_overflow 0
		.amdhsa_tg_split 0
		.amdhsa_exception_fp_ieee_invalid_op 0
		.amdhsa_exception_fp_denorm_src 0
		.amdhsa_exception_fp_ieee_div_zero 0
		.amdhsa_exception_fp_ieee_overflow 0
		.amdhsa_exception_fp_ieee_underflow 0
		.amdhsa_exception_fp_ieee_inexact 0
		.amdhsa_exception_int_div_zero 0
	.end_amdhsa_kernel
	.section	.text._ZN7rocprim17ROCPRIM_400000_NS6detail17trampoline_kernelINS0_14default_configENS1_35radix_sort_onesweep_config_selectorIfNS0_10empty_typeEEEZZNS1_29radix_sort_onesweep_iterationIS3_Lb1EPfS8_PS5_S9_mNS0_19identity_decomposerENS1_16block_id_wrapperIjLb0EEEEE10hipError_tT1_PNSt15iterator_traitsISE_E10value_typeET2_T3_PNSF_ISK_E10value_typeET4_T5_PSP_SQ_PNS1_23onesweep_lookback_stateEbbT6_jjT7_P12ihipStream_tbENKUlT_T0_SE_SJ_E_clIS8_S8_S9_S9_EEDaSX_SY_SE_SJ_EUlSX_E_NS1_11comp_targetILNS1_3genE6ELNS1_11target_archE950ELNS1_3gpuE13ELNS1_3repE0EEENS1_47radix_sort_onesweep_sort_config_static_selectorELNS0_4arch9wavefront6targetE1EEEvSE_,"axG",@progbits,_ZN7rocprim17ROCPRIM_400000_NS6detail17trampoline_kernelINS0_14default_configENS1_35radix_sort_onesweep_config_selectorIfNS0_10empty_typeEEEZZNS1_29radix_sort_onesweep_iterationIS3_Lb1EPfS8_PS5_S9_mNS0_19identity_decomposerENS1_16block_id_wrapperIjLb0EEEEE10hipError_tT1_PNSt15iterator_traitsISE_E10value_typeET2_T3_PNSF_ISK_E10value_typeET4_T5_PSP_SQ_PNS1_23onesweep_lookback_stateEbbT6_jjT7_P12ihipStream_tbENKUlT_T0_SE_SJ_E_clIS8_S8_S9_S9_EEDaSX_SY_SE_SJ_EUlSX_E_NS1_11comp_targetILNS1_3genE6ELNS1_11target_archE950ELNS1_3gpuE13ELNS1_3repE0EEENS1_47radix_sort_onesweep_sort_config_static_selectorELNS0_4arch9wavefront6targetE1EEEvSE_,comdat
.Lfunc_end2556:
	.size	_ZN7rocprim17ROCPRIM_400000_NS6detail17trampoline_kernelINS0_14default_configENS1_35radix_sort_onesweep_config_selectorIfNS0_10empty_typeEEEZZNS1_29radix_sort_onesweep_iterationIS3_Lb1EPfS8_PS5_S9_mNS0_19identity_decomposerENS1_16block_id_wrapperIjLb0EEEEE10hipError_tT1_PNSt15iterator_traitsISE_E10value_typeET2_T3_PNSF_ISK_E10value_typeET4_T5_PSP_SQ_PNS1_23onesweep_lookback_stateEbbT6_jjT7_P12ihipStream_tbENKUlT_T0_SE_SJ_E_clIS8_S8_S9_S9_EEDaSX_SY_SE_SJ_EUlSX_E_NS1_11comp_targetILNS1_3genE6ELNS1_11target_archE950ELNS1_3gpuE13ELNS1_3repE0EEENS1_47radix_sort_onesweep_sort_config_static_selectorELNS0_4arch9wavefront6targetE1EEEvSE_, .Lfunc_end2556-_ZN7rocprim17ROCPRIM_400000_NS6detail17trampoline_kernelINS0_14default_configENS1_35radix_sort_onesweep_config_selectorIfNS0_10empty_typeEEEZZNS1_29radix_sort_onesweep_iterationIS3_Lb1EPfS8_PS5_S9_mNS0_19identity_decomposerENS1_16block_id_wrapperIjLb0EEEEE10hipError_tT1_PNSt15iterator_traitsISE_E10value_typeET2_T3_PNSF_ISK_E10value_typeET4_T5_PSP_SQ_PNS1_23onesweep_lookback_stateEbbT6_jjT7_P12ihipStream_tbENKUlT_T0_SE_SJ_E_clIS8_S8_S9_S9_EEDaSX_SY_SE_SJ_EUlSX_E_NS1_11comp_targetILNS1_3genE6ELNS1_11target_archE950ELNS1_3gpuE13ELNS1_3repE0EEENS1_47radix_sort_onesweep_sort_config_static_selectorELNS0_4arch9wavefront6targetE1EEEvSE_
                                        ; -- End function
	.section	.AMDGPU.csdata,"",@progbits
; Kernel info:
; codeLenInByte = 0
; NumSgprs: 4
; NumVgprs: 0
; NumAgprs: 0
; TotalNumVgprs: 0
; ScratchSize: 0
; MemoryBound: 0
; FloatMode: 240
; IeeeMode: 1
; LDSByteSize: 0 bytes/workgroup (compile time only)
; SGPRBlocks: 0
; VGPRBlocks: 0
; NumSGPRsForWavesPerEU: 4
; NumVGPRsForWavesPerEU: 1
; AccumOffset: 4
; Occupancy: 8
; WaveLimiterHint : 0
; COMPUTE_PGM_RSRC2:SCRATCH_EN: 0
; COMPUTE_PGM_RSRC2:USER_SGPR: 6
; COMPUTE_PGM_RSRC2:TRAP_HANDLER: 0
; COMPUTE_PGM_RSRC2:TGID_X_EN: 1
; COMPUTE_PGM_RSRC2:TGID_Y_EN: 0
; COMPUTE_PGM_RSRC2:TGID_Z_EN: 0
; COMPUTE_PGM_RSRC2:TIDIG_COMP_CNT: 0
; COMPUTE_PGM_RSRC3_GFX90A:ACCUM_OFFSET: 0
; COMPUTE_PGM_RSRC3_GFX90A:TG_SPLIT: 0
	.section	.text._ZN7rocprim17ROCPRIM_400000_NS6detail17trampoline_kernelINS0_14default_configENS1_35radix_sort_onesweep_config_selectorIfNS0_10empty_typeEEEZZNS1_29radix_sort_onesweep_iterationIS3_Lb1EPfS8_PS5_S9_mNS0_19identity_decomposerENS1_16block_id_wrapperIjLb0EEEEE10hipError_tT1_PNSt15iterator_traitsISE_E10value_typeET2_T3_PNSF_ISK_E10value_typeET4_T5_PSP_SQ_PNS1_23onesweep_lookback_stateEbbT6_jjT7_P12ihipStream_tbENKUlT_T0_SE_SJ_E_clIS8_S8_S9_S9_EEDaSX_SY_SE_SJ_EUlSX_E_NS1_11comp_targetILNS1_3genE5ELNS1_11target_archE942ELNS1_3gpuE9ELNS1_3repE0EEENS1_47radix_sort_onesweep_sort_config_static_selectorELNS0_4arch9wavefront6targetE1EEEvSE_,"axG",@progbits,_ZN7rocprim17ROCPRIM_400000_NS6detail17trampoline_kernelINS0_14default_configENS1_35radix_sort_onesweep_config_selectorIfNS0_10empty_typeEEEZZNS1_29radix_sort_onesweep_iterationIS3_Lb1EPfS8_PS5_S9_mNS0_19identity_decomposerENS1_16block_id_wrapperIjLb0EEEEE10hipError_tT1_PNSt15iterator_traitsISE_E10value_typeET2_T3_PNSF_ISK_E10value_typeET4_T5_PSP_SQ_PNS1_23onesweep_lookback_stateEbbT6_jjT7_P12ihipStream_tbENKUlT_T0_SE_SJ_E_clIS8_S8_S9_S9_EEDaSX_SY_SE_SJ_EUlSX_E_NS1_11comp_targetILNS1_3genE5ELNS1_11target_archE942ELNS1_3gpuE9ELNS1_3repE0EEENS1_47radix_sort_onesweep_sort_config_static_selectorELNS0_4arch9wavefront6targetE1EEEvSE_,comdat
	.protected	_ZN7rocprim17ROCPRIM_400000_NS6detail17trampoline_kernelINS0_14default_configENS1_35radix_sort_onesweep_config_selectorIfNS0_10empty_typeEEEZZNS1_29radix_sort_onesweep_iterationIS3_Lb1EPfS8_PS5_S9_mNS0_19identity_decomposerENS1_16block_id_wrapperIjLb0EEEEE10hipError_tT1_PNSt15iterator_traitsISE_E10value_typeET2_T3_PNSF_ISK_E10value_typeET4_T5_PSP_SQ_PNS1_23onesweep_lookback_stateEbbT6_jjT7_P12ihipStream_tbENKUlT_T0_SE_SJ_E_clIS8_S8_S9_S9_EEDaSX_SY_SE_SJ_EUlSX_E_NS1_11comp_targetILNS1_3genE5ELNS1_11target_archE942ELNS1_3gpuE9ELNS1_3repE0EEENS1_47radix_sort_onesweep_sort_config_static_selectorELNS0_4arch9wavefront6targetE1EEEvSE_ ; -- Begin function _ZN7rocprim17ROCPRIM_400000_NS6detail17trampoline_kernelINS0_14default_configENS1_35radix_sort_onesweep_config_selectorIfNS0_10empty_typeEEEZZNS1_29radix_sort_onesweep_iterationIS3_Lb1EPfS8_PS5_S9_mNS0_19identity_decomposerENS1_16block_id_wrapperIjLb0EEEEE10hipError_tT1_PNSt15iterator_traitsISE_E10value_typeET2_T3_PNSF_ISK_E10value_typeET4_T5_PSP_SQ_PNS1_23onesweep_lookback_stateEbbT6_jjT7_P12ihipStream_tbENKUlT_T0_SE_SJ_E_clIS8_S8_S9_S9_EEDaSX_SY_SE_SJ_EUlSX_E_NS1_11comp_targetILNS1_3genE5ELNS1_11target_archE942ELNS1_3gpuE9ELNS1_3repE0EEENS1_47radix_sort_onesweep_sort_config_static_selectorELNS0_4arch9wavefront6targetE1EEEvSE_
	.globl	_ZN7rocprim17ROCPRIM_400000_NS6detail17trampoline_kernelINS0_14default_configENS1_35radix_sort_onesweep_config_selectorIfNS0_10empty_typeEEEZZNS1_29radix_sort_onesweep_iterationIS3_Lb1EPfS8_PS5_S9_mNS0_19identity_decomposerENS1_16block_id_wrapperIjLb0EEEEE10hipError_tT1_PNSt15iterator_traitsISE_E10value_typeET2_T3_PNSF_ISK_E10value_typeET4_T5_PSP_SQ_PNS1_23onesweep_lookback_stateEbbT6_jjT7_P12ihipStream_tbENKUlT_T0_SE_SJ_E_clIS8_S8_S9_S9_EEDaSX_SY_SE_SJ_EUlSX_E_NS1_11comp_targetILNS1_3genE5ELNS1_11target_archE942ELNS1_3gpuE9ELNS1_3repE0EEENS1_47radix_sort_onesweep_sort_config_static_selectorELNS0_4arch9wavefront6targetE1EEEvSE_
	.p2align	8
	.type	_ZN7rocprim17ROCPRIM_400000_NS6detail17trampoline_kernelINS0_14default_configENS1_35radix_sort_onesweep_config_selectorIfNS0_10empty_typeEEEZZNS1_29radix_sort_onesweep_iterationIS3_Lb1EPfS8_PS5_S9_mNS0_19identity_decomposerENS1_16block_id_wrapperIjLb0EEEEE10hipError_tT1_PNSt15iterator_traitsISE_E10value_typeET2_T3_PNSF_ISK_E10value_typeET4_T5_PSP_SQ_PNS1_23onesweep_lookback_stateEbbT6_jjT7_P12ihipStream_tbENKUlT_T0_SE_SJ_E_clIS8_S8_S9_S9_EEDaSX_SY_SE_SJ_EUlSX_E_NS1_11comp_targetILNS1_3genE5ELNS1_11target_archE942ELNS1_3gpuE9ELNS1_3repE0EEENS1_47radix_sort_onesweep_sort_config_static_selectorELNS0_4arch9wavefront6targetE1EEEvSE_,@function
_ZN7rocprim17ROCPRIM_400000_NS6detail17trampoline_kernelINS0_14default_configENS1_35radix_sort_onesweep_config_selectorIfNS0_10empty_typeEEEZZNS1_29radix_sort_onesweep_iterationIS3_Lb1EPfS8_PS5_S9_mNS0_19identity_decomposerENS1_16block_id_wrapperIjLb0EEEEE10hipError_tT1_PNSt15iterator_traitsISE_E10value_typeET2_T3_PNSF_ISK_E10value_typeET4_T5_PSP_SQ_PNS1_23onesweep_lookback_stateEbbT6_jjT7_P12ihipStream_tbENKUlT_T0_SE_SJ_E_clIS8_S8_S9_S9_EEDaSX_SY_SE_SJ_EUlSX_E_NS1_11comp_targetILNS1_3genE5ELNS1_11target_archE942ELNS1_3gpuE9ELNS1_3repE0EEENS1_47radix_sort_onesweep_sort_config_static_selectorELNS0_4arch9wavefront6targetE1EEEvSE_: ; @_ZN7rocprim17ROCPRIM_400000_NS6detail17trampoline_kernelINS0_14default_configENS1_35radix_sort_onesweep_config_selectorIfNS0_10empty_typeEEEZZNS1_29radix_sort_onesweep_iterationIS3_Lb1EPfS8_PS5_S9_mNS0_19identity_decomposerENS1_16block_id_wrapperIjLb0EEEEE10hipError_tT1_PNSt15iterator_traitsISE_E10value_typeET2_T3_PNSF_ISK_E10value_typeET4_T5_PSP_SQ_PNS1_23onesweep_lookback_stateEbbT6_jjT7_P12ihipStream_tbENKUlT_T0_SE_SJ_E_clIS8_S8_S9_S9_EEDaSX_SY_SE_SJ_EUlSX_E_NS1_11comp_targetILNS1_3genE5ELNS1_11target_archE942ELNS1_3gpuE9ELNS1_3repE0EEENS1_47radix_sort_onesweep_sort_config_static_selectorELNS0_4arch9wavefront6targetE1EEEvSE_
; %bb.0:
	.section	.rodata,"a",@progbits
	.p2align	6, 0x0
	.amdhsa_kernel _ZN7rocprim17ROCPRIM_400000_NS6detail17trampoline_kernelINS0_14default_configENS1_35radix_sort_onesweep_config_selectorIfNS0_10empty_typeEEEZZNS1_29radix_sort_onesweep_iterationIS3_Lb1EPfS8_PS5_S9_mNS0_19identity_decomposerENS1_16block_id_wrapperIjLb0EEEEE10hipError_tT1_PNSt15iterator_traitsISE_E10value_typeET2_T3_PNSF_ISK_E10value_typeET4_T5_PSP_SQ_PNS1_23onesweep_lookback_stateEbbT6_jjT7_P12ihipStream_tbENKUlT_T0_SE_SJ_E_clIS8_S8_S9_S9_EEDaSX_SY_SE_SJ_EUlSX_E_NS1_11comp_targetILNS1_3genE5ELNS1_11target_archE942ELNS1_3gpuE9ELNS1_3repE0EEENS1_47radix_sort_onesweep_sort_config_static_selectorELNS0_4arch9wavefront6targetE1EEEvSE_
		.amdhsa_group_segment_fixed_size 0
		.amdhsa_private_segment_fixed_size 0
		.amdhsa_kernarg_size 88
		.amdhsa_user_sgpr_count 6
		.amdhsa_user_sgpr_private_segment_buffer 1
		.amdhsa_user_sgpr_dispatch_ptr 0
		.amdhsa_user_sgpr_queue_ptr 0
		.amdhsa_user_sgpr_kernarg_segment_ptr 1
		.amdhsa_user_sgpr_dispatch_id 0
		.amdhsa_user_sgpr_flat_scratch_init 0
		.amdhsa_user_sgpr_kernarg_preload_length 0
		.amdhsa_user_sgpr_kernarg_preload_offset 0
		.amdhsa_user_sgpr_private_segment_size 0
		.amdhsa_uses_dynamic_stack 0
		.amdhsa_system_sgpr_private_segment_wavefront_offset 0
		.amdhsa_system_sgpr_workgroup_id_x 1
		.amdhsa_system_sgpr_workgroup_id_y 0
		.amdhsa_system_sgpr_workgroup_id_z 0
		.amdhsa_system_sgpr_workgroup_info 0
		.amdhsa_system_vgpr_workitem_id 0
		.amdhsa_next_free_vgpr 1
		.amdhsa_next_free_sgpr 0
		.amdhsa_accum_offset 4
		.amdhsa_reserve_vcc 0
		.amdhsa_reserve_flat_scratch 0
		.amdhsa_float_round_mode_32 0
		.amdhsa_float_round_mode_16_64 0
		.amdhsa_float_denorm_mode_32 3
		.amdhsa_float_denorm_mode_16_64 3
		.amdhsa_dx10_clamp 1
		.amdhsa_ieee_mode 1
		.amdhsa_fp16_overflow 0
		.amdhsa_tg_split 0
		.amdhsa_exception_fp_ieee_invalid_op 0
		.amdhsa_exception_fp_denorm_src 0
		.amdhsa_exception_fp_ieee_div_zero 0
		.amdhsa_exception_fp_ieee_overflow 0
		.amdhsa_exception_fp_ieee_underflow 0
		.amdhsa_exception_fp_ieee_inexact 0
		.amdhsa_exception_int_div_zero 0
	.end_amdhsa_kernel
	.section	.text._ZN7rocprim17ROCPRIM_400000_NS6detail17trampoline_kernelINS0_14default_configENS1_35radix_sort_onesweep_config_selectorIfNS0_10empty_typeEEEZZNS1_29radix_sort_onesweep_iterationIS3_Lb1EPfS8_PS5_S9_mNS0_19identity_decomposerENS1_16block_id_wrapperIjLb0EEEEE10hipError_tT1_PNSt15iterator_traitsISE_E10value_typeET2_T3_PNSF_ISK_E10value_typeET4_T5_PSP_SQ_PNS1_23onesweep_lookback_stateEbbT6_jjT7_P12ihipStream_tbENKUlT_T0_SE_SJ_E_clIS8_S8_S9_S9_EEDaSX_SY_SE_SJ_EUlSX_E_NS1_11comp_targetILNS1_3genE5ELNS1_11target_archE942ELNS1_3gpuE9ELNS1_3repE0EEENS1_47radix_sort_onesweep_sort_config_static_selectorELNS0_4arch9wavefront6targetE1EEEvSE_,"axG",@progbits,_ZN7rocprim17ROCPRIM_400000_NS6detail17trampoline_kernelINS0_14default_configENS1_35radix_sort_onesweep_config_selectorIfNS0_10empty_typeEEEZZNS1_29radix_sort_onesweep_iterationIS3_Lb1EPfS8_PS5_S9_mNS0_19identity_decomposerENS1_16block_id_wrapperIjLb0EEEEE10hipError_tT1_PNSt15iterator_traitsISE_E10value_typeET2_T3_PNSF_ISK_E10value_typeET4_T5_PSP_SQ_PNS1_23onesweep_lookback_stateEbbT6_jjT7_P12ihipStream_tbENKUlT_T0_SE_SJ_E_clIS8_S8_S9_S9_EEDaSX_SY_SE_SJ_EUlSX_E_NS1_11comp_targetILNS1_3genE5ELNS1_11target_archE942ELNS1_3gpuE9ELNS1_3repE0EEENS1_47radix_sort_onesweep_sort_config_static_selectorELNS0_4arch9wavefront6targetE1EEEvSE_,comdat
.Lfunc_end2557:
	.size	_ZN7rocprim17ROCPRIM_400000_NS6detail17trampoline_kernelINS0_14default_configENS1_35radix_sort_onesweep_config_selectorIfNS0_10empty_typeEEEZZNS1_29radix_sort_onesweep_iterationIS3_Lb1EPfS8_PS5_S9_mNS0_19identity_decomposerENS1_16block_id_wrapperIjLb0EEEEE10hipError_tT1_PNSt15iterator_traitsISE_E10value_typeET2_T3_PNSF_ISK_E10value_typeET4_T5_PSP_SQ_PNS1_23onesweep_lookback_stateEbbT6_jjT7_P12ihipStream_tbENKUlT_T0_SE_SJ_E_clIS8_S8_S9_S9_EEDaSX_SY_SE_SJ_EUlSX_E_NS1_11comp_targetILNS1_3genE5ELNS1_11target_archE942ELNS1_3gpuE9ELNS1_3repE0EEENS1_47radix_sort_onesweep_sort_config_static_selectorELNS0_4arch9wavefront6targetE1EEEvSE_, .Lfunc_end2557-_ZN7rocprim17ROCPRIM_400000_NS6detail17trampoline_kernelINS0_14default_configENS1_35radix_sort_onesweep_config_selectorIfNS0_10empty_typeEEEZZNS1_29radix_sort_onesweep_iterationIS3_Lb1EPfS8_PS5_S9_mNS0_19identity_decomposerENS1_16block_id_wrapperIjLb0EEEEE10hipError_tT1_PNSt15iterator_traitsISE_E10value_typeET2_T3_PNSF_ISK_E10value_typeET4_T5_PSP_SQ_PNS1_23onesweep_lookback_stateEbbT6_jjT7_P12ihipStream_tbENKUlT_T0_SE_SJ_E_clIS8_S8_S9_S9_EEDaSX_SY_SE_SJ_EUlSX_E_NS1_11comp_targetILNS1_3genE5ELNS1_11target_archE942ELNS1_3gpuE9ELNS1_3repE0EEENS1_47radix_sort_onesweep_sort_config_static_selectorELNS0_4arch9wavefront6targetE1EEEvSE_
                                        ; -- End function
	.section	.AMDGPU.csdata,"",@progbits
; Kernel info:
; codeLenInByte = 0
; NumSgprs: 4
; NumVgprs: 0
; NumAgprs: 0
; TotalNumVgprs: 0
; ScratchSize: 0
; MemoryBound: 0
; FloatMode: 240
; IeeeMode: 1
; LDSByteSize: 0 bytes/workgroup (compile time only)
; SGPRBlocks: 0
; VGPRBlocks: 0
; NumSGPRsForWavesPerEU: 4
; NumVGPRsForWavesPerEU: 1
; AccumOffset: 4
; Occupancy: 8
; WaveLimiterHint : 0
; COMPUTE_PGM_RSRC2:SCRATCH_EN: 0
; COMPUTE_PGM_RSRC2:USER_SGPR: 6
; COMPUTE_PGM_RSRC2:TRAP_HANDLER: 0
; COMPUTE_PGM_RSRC2:TGID_X_EN: 1
; COMPUTE_PGM_RSRC2:TGID_Y_EN: 0
; COMPUTE_PGM_RSRC2:TGID_Z_EN: 0
; COMPUTE_PGM_RSRC2:TIDIG_COMP_CNT: 0
; COMPUTE_PGM_RSRC3_GFX90A:ACCUM_OFFSET: 0
; COMPUTE_PGM_RSRC3_GFX90A:TG_SPLIT: 0
	.section	.text._ZN7rocprim17ROCPRIM_400000_NS6detail17trampoline_kernelINS0_14default_configENS1_35radix_sort_onesweep_config_selectorIfNS0_10empty_typeEEEZZNS1_29radix_sort_onesweep_iterationIS3_Lb1EPfS8_PS5_S9_mNS0_19identity_decomposerENS1_16block_id_wrapperIjLb0EEEEE10hipError_tT1_PNSt15iterator_traitsISE_E10value_typeET2_T3_PNSF_ISK_E10value_typeET4_T5_PSP_SQ_PNS1_23onesweep_lookback_stateEbbT6_jjT7_P12ihipStream_tbENKUlT_T0_SE_SJ_E_clIS8_S8_S9_S9_EEDaSX_SY_SE_SJ_EUlSX_E_NS1_11comp_targetILNS1_3genE2ELNS1_11target_archE906ELNS1_3gpuE6ELNS1_3repE0EEENS1_47radix_sort_onesweep_sort_config_static_selectorELNS0_4arch9wavefront6targetE1EEEvSE_,"axG",@progbits,_ZN7rocprim17ROCPRIM_400000_NS6detail17trampoline_kernelINS0_14default_configENS1_35radix_sort_onesweep_config_selectorIfNS0_10empty_typeEEEZZNS1_29radix_sort_onesweep_iterationIS3_Lb1EPfS8_PS5_S9_mNS0_19identity_decomposerENS1_16block_id_wrapperIjLb0EEEEE10hipError_tT1_PNSt15iterator_traitsISE_E10value_typeET2_T3_PNSF_ISK_E10value_typeET4_T5_PSP_SQ_PNS1_23onesweep_lookback_stateEbbT6_jjT7_P12ihipStream_tbENKUlT_T0_SE_SJ_E_clIS8_S8_S9_S9_EEDaSX_SY_SE_SJ_EUlSX_E_NS1_11comp_targetILNS1_3genE2ELNS1_11target_archE906ELNS1_3gpuE6ELNS1_3repE0EEENS1_47radix_sort_onesweep_sort_config_static_selectorELNS0_4arch9wavefront6targetE1EEEvSE_,comdat
	.protected	_ZN7rocprim17ROCPRIM_400000_NS6detail17trampoline_kernelINS0_14default_configENS1_35radix_sort_onesweep_config_selectorIfNS0_10empty_typeEEEZZNS1_29radix_sort_onesweep_iterationIS3_Lb1EPfS8_PS5_S9_mNS0_19identity_decomposerENS1_16block_id_wrapperIjLb0EEEEE10hipError_tT1_PNSt15iterator_traitsISE_E10value_typeET2_T3_PNSF_ISK_E10value_typeET4_T5_PSP_SQ_PNS1_23onesweep_lookback_stateEbbT6_jjT7_P12ihipStream_tbENKUlT_T0_SE_SJ_E_clIS8_S8_S9_S9_EEDaSX_SY_SE_SJ_EUlSX_E_NS1_11comp_targetILNS1_3genE2ELNS1_11target_archE906ELNS1_3gpuE6ELNS1_3repE0EEENS1_47radix_sort_onesweep_sort_config_static_selectorELNS0_4arch9wavefront6targetE1EEEvSE_ ; -- Begin function _ZN7rocprim17ROCPRIM_400000_NS6detail17trampoline_kernelINS0_14default_configENS1_35radix_sort_onesweep_config_selectorIfNS0_10empty_typeEEEZZNS1_29radix_sort_onesweep_iterationIS3_Lb1EPfS8_PS5_S9_mNS0_19identity_decomposerENS1_16block_id_wrapperIjLb0EEEEE10hipError_tT1_PNSt15iterator_traitsISE_E10value_typeET2_T3_PNSF_ISK_E10value_typeET4_T5_PSP_SQ_PNS1_23onesweep_lookback_stateEbbT6_jjT7_P12ihipStream_tbENKUlT_T0_SE_SJ_E_clIS8_S8_S9_S9_EEDaSX_SY_SE_SJ_EUlSX_E_NS1_11comp_targetILNS1_3genE2ELNS1_11target_archE906ELNS1_3gpuE6ELNS1_3repE0EEENS1_47radix_sort_onesweep_sort_config_static_selectorELNS0_4arch9wavefront6targetE1EEEvSE_
	.globl	_ZN7rocprim17ROCPRIM_400000_NS6detail17trampoline_kernelINS0_14default_configENS1_35radix_sort_onesweep_config_selectorIfNS0_10empty_typeEEEZZNS1_29radix_sort_onesweep_iterationIS3_Lb1EPfS8_PS5_S9_mNS0_19identity_decomposerENS1_16block_id_wrapperIjLb0EEEEE10hipError_tT1_PNSt15iterator_traitsISE_E10value_typeET2_T3_PNSF_ISK_E10value_typeET4_T5_PSP_SQ_PNS1_23onesweep_lookback_stateEbbT6_jjT7_P12ihipStream_tbENKUlT_T0_SE_SJ_E_clIS8_S8_S9_S9_EEDaSX_SY_SE_SJ_EUlSX_E_NS1_11comp_targetILNS1_3genE2ELNS1_11target_archE906ELNS1_3gpuE6ELNS1_3repE0EEENS1_47radix_sort_onesweep_sort_config_static_selectorELNS0_4arch9wavefront6targetE1EEEvSE_
	.p2align	8
	.type	_ZN7rocprim17ROCPRIM_400000_NS6detail17trampoline_kernelINS0_14default_configENS1_35radix_sort_onesweep_config_selectorIfNS0_10empty_typeEEEZZNS1_29radix_sort_onesweep_iterationIS3_Lb1EPfS8_PS5_S9_mNS0_19identity_decomposerENS1_16block_id_wrapperIjLb0EEEEE10hipError_tT1_PNSt15iterator_traitsISE_E10value_typeET2_T3_PNSF_ISK_E10value_typeET4_T5_PSP_SQ_PNS1_23onesweep_lookback_stateEbbT6_jjT7_P12ihipStream_tbENKUlT_T0_SE_SJ_E_clIS8_S8_S9_S9_EEDaSX_SY_SE_SJ_EUlSX_E_NS1_11comp_targetILNS1_3genE2ELNS1_11target_archE906ELNS1_3gpuE6ELNS1_3repE0EEENS1_47radix_sort_onesweep_sort_config_static_selectorELNS0_4arch9wavefront6targetE1EEEvSE_,@function
_ZN7rocprim17ROCPRIM_400000_NS6detail17trampoline_kernelINS0_14default_configENS1_35radix_sort_onesweep_config_selectorIfNS0_10empty_typeEEEZZNS1_29radix_sort_onesweep_iterationIS3_Lb1EPfS8_PS5_S9_mNS0_19identity_decomposerENS1_16block_id_wrapperIjLb0EEEEE10hipError_tT1_PNSt15iterator_traitsISE_E10value_typeET2_T3_PNSF_ISK_E10value_typeET4_T5_PSP_SQ_PNS1_23onesweep_lookback_stateEbbT6_jjT7_P12ihipStream_tbENKUlT_T0_SE_SJ_E_clIS8_S8_S9_S9_EEDaSX_SY_SE_SJ_EUlSX_E_NS1_11comp_targetILNS1_3genE2ELNS1_11target_archE906ELNS1_3gpuE6ELNS1_3repE0EEENS1_47radix_sort_onesweep_sort_config_static_selectorELNS0_4arch9wavefront6targetE1EEEvSE_: ; @_ZN7rocprim17ROCPRIM_400000_NS6detail17trampoline_kernelINS0_14default_configENS1_35radix_sort_onesweep_config_selectorIfNS0_10empty_typeEEEZZNS1_29radix_sort_onesweep_iterationIS3_Lb1EPfS8_PS5_S9_mNS0_19identity_decomposerENS1_16block_id_wrapperIjLb0EEEEE10hipError_tT1_PNSt15iterator_traitsISE_E10value_typeET2_T3_PNSF_ISK_E10value_typeET4_T5_PSP_SQ_PNS1_23onesweep_lookback_stateEbbT6_jjT7_P12ihipStream_tbENKUlT_T0_SE_SJ_E_clIS8_S8_S9_S9_EEDaSX_SY_SE_SJ_EUlSX_E_NS1_11comp_targetILNS1_3genE2ELNS1_11target_archE906ELNS1_3gpuE6ELNS1_3repE0EEENS1_47radix_sort_onesweep_sort_config_static_selectorELNS0_4arch9wavefront6targetE1EEEvSE_
; %bb.0:
	.section	.rodata,"a",@progbits
	.p2align	6, 0x0
	.amdhsa_kernel _ZN7rocprim17ROCPRIM_400000_NS6detail17trampoline_kernelINS0_14default_configENS1_35radix_sort_onesweep_config_selectorIfNS0_10empty_typeEEEZZNS1_29radix_sort_onesweep_iterationIS3_Lb1EPfS8_PS5_S9_mNS0_19identity_decomposerENS1_16block_id_wrapperIjLb0EEEEE10hipError_tT1_PNSt15iterator_traitsISE_E10value_typeET2_T3_PNSF_ISK_E10value_typeET4_T5_PSP_SQ_PNS1_23onesweep_lookback_stateEbbT6_jjT7_P12ihipStream_tbENKUlT_T0_SE_SJ_E_clIS8_S8_S9_S9_EEDaSX_SY_SE_SJ_EUlSX_E_NS1_11comp_targetILNS1_3genE2ELNS1_11target_archE906ELNS1_3gpuE6ELNS1_3repE0EEENS1_47radix_sort_onesweep_sort_config_static_selectorELNS0_4arch9wavefront6targetE1EEEvSE_
		.amdhsa_group_segment_fixed_size 0
		.amdhsa_private_segment_fixed_size 0
		.amdhsa_kernarg_size 88
		.amdhsa_user_sgpr_count 6
		.amdhsa_user_sgpr_private_segment_buffer 1
		.amdhsa_user_sgpr_dispatch_ptr 0
		.amdhsa_user_sgpr_queue_ptr 0
		.amdhsa_user_sgpr_kernarg_segment_ptr 1
		.amdhsa_user_sgpr_dispatch_id 0
		.amdhsa_user_sgpr_flat_scratch_init 0
		.amdhsa_user_sgpr_kernarg_preload_length 0
		.amdhsa_user_sgpr_kernarg_preload_offset 0
		.amdhsa_user_sgpr_private_segment_size 0
		.amdhsa_uses_dynamic_stack 0
		.amdhsa_system_sgpr_private_segment_wavefront_offset 0
		.amdhsa_system_sgpr_workgroup_id_x 1
		.amdhsa_system_sgpr_workgroup_id_y 0
		.amdhsa_system_sgpr_workgroup_id_z 0
		.amdhsa_system_sgpr_workgroup_info 0
		.amdhsa_system_vgpr_workitem_id 0
		.amdhsa_next_free_vgpr 1
		.amdhsa_next_free_sgpr 0
		.amdhsa_accum_offset 4
		.amdhsa_reserve_vcc 0
		.amdhsa_reserve_flat_scratch 0
		.amdhsa_float_round_mode_32 0
		.amdhsa_float_round_mode_16_64 0
		.amdhsa_float_denorm_mode_32 3
		.amdhsa_float_denorm_mode_16_64 3
		.amdhsa_dx10_clamp 1
		.amdhsa_ieee_mode 1
		.amdhsa_fp16_overflow 0
		.amdhsa_tg_split 0
		.amdhsa_exception_fp_ieee_invalid_op 0
		.amdhsa_exception_fp_denorm_src 0
		.amdhsa_exception_fp_ieee_div_zero 0
		.amdhsa_exception_fp_ieee_overflow 0
		.amdhsa_exception_fp_ieee_underflow 0
		.amdhsa_exception_fp_ieee_inexact 0
		.amdhsa_exception_int_div_zero 0
	.end_amdhsa_kernel
	.section	.text._ZN7rocprim17ROCPRIM_400000_NS6detail17trampoline_kernelINS0_14default_configENS1_35radix_sort_onesweep_config_selectorIfNS0_10empty_typeEEEZZNS1_29radix_sort_onesweep_iterationIS3_Lb1EPfS8_PS5_S9_mNS0_19identity_decomposerENS1_16block_id_wrapperIjLb0EEEEE10hipError_tT1_PNSt15iterator_traitsISE_E10value_typeET2_T3_PNSF_ISK_E10value_typeET4_T5_PSP_SQ_PNS1_23onesweep_lookback_stateEbbT6_jjT7_P12ihipStream_tbENKUlT_T0_SE_SJ_E_clIS8_S8_S9_S9_EEDaSX_SY_SE_SJ_EUlSX_E_NS1_11comp_targetILNS1_3genE2ELNS1_11target_archE906ELNS1_3gpuE6ELNS1_3repE0EEENS1_47radix_sort_onesweep_sort_config_static_selectorELNS0_4arch9wavefront6targetE1EEEvSE_,"axG",@progbits,_ZN7rocprim17ROCPRIM_400000_NS6detail17trampoline_kernelINS0_14default_configENS1_35radix_sort_onesweep_config_selectorIfNS0_10empty_typeEEEZZNS1_29radix_sort_onesweep_iterationIS3_Lb1EPfS8_PS5_S9_mNS0_19identity_decomposerENS1_16block_id_wrapperIjLb0EEEEE10hipError_tT1_PNSt15iterator_traitsISE_E10value_typeET2_T3_PNSF_ISK_E10value_typeET4_T5_PSP_SQ_PNS1_23onesweep_lookback_stateEbbT6_jjT7_P12ihipStream_tbENKUlT_T0_SE_SJ_E_clIS8_S8_S9_S9_EEDaSX_SY_SE_SJ_EUlSX_E_NS1_11comp_targetILNS1_3genE2ELNS1_11target_archE906ELNS1_3gpuE6ELNS1_3repE0EEENS1_47radix_sort_onesweep_sort_config_static_selectorELNS0_4arch9wavefront6targetE1EEEvSE_,comdat
.Lfunc_end2558:
	.size	_ZN7rocprim17ROCPRIM_400000_NS6detail17trampoline_kernelINS0_14default_configENS1_35radix_sort_onesweep_config_selectorIfNS0_10empty_typeEEEZZNS1_29radix_sort_onesweep_iterationIS3_Lb1EPfS8_PS5_S9_mNS0_19identity_decomposerENS1_16block_id_wrapperIjLb0EEEEE10hipError_tT1_PNSt15iterator_traitsISE_E10value_typeET2_T3_PNSF_ISK_E10value_typeET4_T5_PSP_SQ_PNS1_23onesweep_lookback_stateEbbT6_jjT7_P12ihipStream_tbENKUlT_T0_SE_SJ_E_clIS8_S8_S9_S9_EEDaSX_SY_SE_SJ_EUlSX_E_NS1_11comp_targetILNS1_3genE2ELNS1_11target_archE906ELNS1_3gpuE6ELNS1_3repE0EEENS1_47radix_sort_onesweep_sort_config_static_selectorELNS0_4arch9wavefront6targetE1EEEvSE_, .Lfunc_end2558-_ZN7rocprim17ROCPRIM_400000_NS6detail17trampoline_kernelINS0_14default_configENS1_35radix_sort_onesweep_config_selectorIfNS0_10empty_typeEEEZZNS1_29radix_sort_onesweep_iterationIS3_Lb1EPfS8_PS5_S9_mNS0_19identity_decomposerENS1_16block_id_wrapperIjLb0EEEEE10hipError_tT1_PNSt15iterator_traitsISE_E10value_typeET2_T3_PNSF_ISK_E10value_typeET4_T5_PSP_SQ_PNS1_23onesweep_lookback_stateEbbT6_jjT7_P12ihipStream_tbENKUlT_T0_SE_SJ_E_clIS8_S8_S9_S9_EEDaSX_SY_SE_SJ_EUlSX_E_NS1_11comp_targetILNS1_3genE2ELNS1_11target_archE906ELNS1_3gpuE6ELNS1_3repE0EEENS1_47radix_sort_onesweep_sort_config_static_selectorELNS0_4arch9wavefront6targetE1EEEvSE_
                                        ; -- End function
	.section	.AMDGPU.csdata,"",@progbits
; Kernel info:
; codeLenInByte = 0
; NumSgprs: 4
; NumVgprs: 0
; NumAgprs: 0
; TotalNumVgprs: 0
; ScratchSize: 0
; MemoryBound: 0
; FloatMode: 240
; IeeeMode: 1
; LDSByteSize: 0 bytes/workgroup (compile time only)
; SGPRBlocks: 0
; VGPRBlocks: 0
; NumSGPRsForWavesPerEU: 4
; NumVGPRsForWavesPerEU: 1
; AccumOffset: 4
; Occupancy: 8
; WaveLimiterHint : 0
; COMPUTE_PGM_RSRC2:SCRATCH_EN: 0
; COMPUTE_PGM_RSRC2:USER_SGPR: 6
; COMPUTE_PGM_RSRC2:TRAP_HANDLER: 0
; COMPUTE_PGM_RSRC2:TGID_X_EN: 1
; COMPUTE_PGM_RSRC2:TGID_Y_EN: 0
; COMPUTE_PGM_RSRC2:TGID_Z_EN: 0
; COMPUTE_PGM_RSRC2:TIDIG_COMP_CNT: 0
; COMPUTE_PGM_RSRC3_GFX90A:ACCUM_OFFSET: 0
; COMPUTE_PGM_RSRC3_GFX90A:TG_SPLIT: 0
	.section	.text._ZN7rocprim17ROCPRIM_400000_NS6detail17trampoline_kernelINS0_14default_configENS1_35radix_sort_onesweep_config_selectorIfNS0_10empty_typeEEEZZNS1_29radix_sort_onesweep_iterationIS3_Lb1EPfS8_PS5_S9_mNS0_19identity_decomposerENS1_16block_id_wrapperIjLb0EEEEE10hipError_tT1_PNSt15iterator_traitsISE_E10value_typeET2_T3_PNSF_ISK_E10value_typeET4_T5_PSP_SQ_PNS1_23onesweep_lookback_stateEbbT6_jjT7_P12ihipStream_tbENKUlT_T0_SE_SJ_E_clIS8_S8_S9_S9_EEDaSX_SY_SE_SJ_EUlSX_E_NS1_11comp_targetILNS1_3genE4ELNS1_11target_archE910ELNS1_3gpuE8ELNS1_3repE0EEENS1_47radix_sort_onesweep_sort_config_static_selectorELNS0_4arch9wavefront6targetE1EEEvSE_,"axG",@progbits,_ZN7rocprim17ROCPRIM_400000_NS6detail17trampoline_kernelINS0_14default_configENS1_35radix_sort_onesweep_config_selectorIfNS0_10empty_typeEEEZZNS1_29radix_sort_onesweep_iterationIS3_Lb1EPfS8_PS5_S9_mNS0_19identity_decomposerENS1_16block_id_wrapperIjLb0EEEEE10hipError_tT1_PNSt15iterator_traitsISE_E10value_typeET2_T3_PNSF_ISK_E10value_typeET4_T5_PSP_SQ_PNS1_23onesweep_lookback_stateEbbT6_jjT7_P12ihipStream_tbENKUlT_T0_SE_SJ_E_clIS8_S8_S9_S9_EEDaSX_SY_SE_SJ_EUlSX_E_NS1_11comp_targetILNS1_3genE4ELNS1_11target_archE910ELNS1_3gpuE8ELNS1_3repE0EEENS1_47radix_sort_onesweep_sort_config_static_selectorELNS0_4arch9wavefront6targetE1EEEvSE_,comdat
	.protected	_ZN7rocprim17ROCPRIM_400000_NS6detail17trampoline_kernelINS0_14default_configENS1_35radix_sort_onesweep_config_selectorIfNS0_10empty_typeEEEZZNS1_29radix_sort_onesweep_iterationIS3_Lb1EPfS8_PS5_S9_mNS0_19identity_decomposerENS1_16block_id_wrapperIjLb0EEEEE10hipError_tT1_PNSt15iterator_traitsISE_E10value_typeET2_T3_PNSF_ISK_E10value_typeET4_T5_PSP_SQ_PNS1_23onesweep_lookback_stateEbbT6_jjT7_P12ihipStream_tbENKUlT_T0_SE_SJ_E_clIS8_S8_S9_S9_EEDaSX_SY_SE_SJ_EUlSX_E_NS1_11comp_targetILNS1_3genE4ELNS1_11target_archE910ELNS1_3gpuE8ELNS1_3repE0EEENS1_47radix_sort_onesweep_sort_config_static_selectorELNS0_4arch9wavefront6targetE1EEEvSE_ ; -- Begin function _ZN7rocprim17ROCPRIM_400000_NS6detail17trampoline_kernelINS0_14default_configENS1_35radix_sort_onesweep_config_selectorIfNS0_10empty_typeEEEZZNS1_29radix_sort_onesweep_iterationIS3_Lb1EPfS8_PS5_S9_mNS0_19identity_decomposerENS1_16block_id_wrapperIjLb0EEEEE10hipError_tT1_PNSt15iterator_traitsISE_E10value_typeET2_T3_PNSF_ISK_E10value_typeET4_T5_PSP_SQ_PNS1_23onesweep_lookback_stateEbbT6_jjT7_P12ihipStream_tbENKUlT_T0_SE_SJ_E_clIS8_S8_S9_S9_EEDaSX_SY_SE_SJ_EUlSX_E_NS1_11comp_targetILNS1_3genE4ELNS1_11target_archE910ELNS1_3gpuE8ELNS1_3repE0EEENS1_47radix_sort_onesweep_sort_config_static_selectorELNS0_4arch9wavefront6targetE1EEEvSE_
	.globl	_ZN7rocprim17ROCPRIM_400000_NS6detail17trampoline_kernelINS0_14default_configENS1_35radix_sort_onesweep_config_selectorIfNS0_10empty_typeEEEZZNS1_29radix_sort_onesweep_iterationIS3_Lb1EPfS8_PS5_S9_mNS0_19identity_decomposerENS1_16block_id_wrapperIjLb0EEEEE10hipError_tT1_PNSt15iterator_traitsISE_E10value_typeET2_T3_PNSF_ISK_E10value_typeET4_T5_PSP_SQ_PNS1_23onesweep_lookback_stateEbbT6_jjT7_P12ihipStream_tbENKUlT_T0_SE_SJ_E_clIS8_S8_S9_S9_EEDaSX_SY_SE_SJ_EUlSX_E_NS1_11comp_targetILNS1_3genE4ELNS1_11target_archE910ELNS1_3gpuE8ELNS1_3repE0EEENS1_47radix_sort_onesweep_sort_config_static_selectorELNS0_4arch9wavefront6targetE1EEEvSE_
	.p2align	8
	.type	_ZN7rocprim17ROCPRIM_400000_NS6detail17trampoline_kernelINS0_14default_configENS1_35radix_sort_onesweep_config_selectorIfNS0_10empty_typeEEEZZNS1_29radix_sort_onesweep_iterationIS3_Lb1EPfS8_PS5_S9_mNS0_19identity_decomposerENS1_16block_id_wrapperIjLb0EEEEE10hipError_tT1_PNSt15iterator_traitsISE_E10value_typeET2_T3_PNSF_ISK_E10value_typeET4_T5_PSP_SQ_PNS1_23onesweep_lookback_stateEbbT6_jjT7_P12ihipStream_tbENKUlT_T0_SE_SJ_E_clIS8_S8_S9_S9_EEDaSX_SY_SE_SJ_EUlSX_E_NS1_11comp_targetILNS1_3genE4ELNS1_11target_archE910ELNS1_3gpuE8ELNS1_3repE0EEENS1_47radix_sort_onesweep_sort_config_static_selectorELNS0_4arch9wavefront6targetE1EEEvSE_,@function
_ZN7rocprim17ROCPRIM_400000_NS6detail17trampoline_kernelINS0_14default_configENS1_35radix_sort_onesweep_config_selectorIfNS0_10empty_typeEEEZZNS1_29radix_sort_onesweep_iterationIS3_Lb1EPfS8_PS5_S9_mNS0_19identity_decomposerENS1_16block_id_wrapperIjLb0EEEEE10hipError_tT1_PNSt15iterator_traitsISE_E10value_typeET2_T3_PNSF_ISK_E10value_typeET4_T5_PSP_SQ_PNS1_23onesweep_lookback_stateEbbT6_jjT7_P12ihipStream_tbENKUlT_T0_SE_SJ_E_clIS8_S8_S9_S9_EEDaSX_SY_SE_SJ_EUlSX_E_NS1_11comp_targetILNS1_3genE4ELNS1_11target_archE910ELNS1_3gpuE8ELNS1_3repE0EEENS1_47radix_sort_onesweep_sort_config_static_selectorELNS0_4arch9wavefront6targetE1EEEvSE_: ; @_ZN7rocprim17ROCPRIM_400000_NS6detail17trampoline_kernelINS0_14default_configENS1_35radix_sort_onesweep_config_selectorIfNS0_10empty_typeEEEZZNS1_29radix_sort_onesweep_iterationIS3_Lb1EPfS8_PS5_S9_mNS0_19identity_decomposerENS1_16block_id_wrapperIjLb0EEEEE10hipError_tT1_PNSt15iterator_traitsISE_E10value_typeET2_T3_PNSF_ISK_E10value_typeET4_T5_PSP_SQ_PNS1_23onesweep_lookback_stateEbbT6_jjT7_P12ihipStream_tbENKUlT_T0_SE_SJ_E_clIS8_S8_S9_S9_EEDaSX_SY_SE_SJ_EUlSX_E_NS1_11comp_targetILNS1_3genE4ELNS1_11target_archE910ELNS1_3gpuE8ELNS1_3repE0EEENS1_47radix_sort_onesweep_sort_config_static_selectorELNS0_4arch9wavefront6targetE1EEEvSE_
; %bb.0:
	s_load_dwordx4 s[16:19], s[4:5], 0x44
	s_load_dwordx2 s[24:25], s[4:5], 0x38
	s_load_dwordx4 s[20:23], s[4:5], 0x0
	s_load_dwordx4 s[12:15], s[4:5], 0x28
	s_mul_i32 s26, s6, 0x3000
	s_waitcnt lgkmcnt(0)
	s_cmp_ge_u32 s6, s18
	v_mbcnt_lo_u32_b32 v12, -1, 0
	s_cbranch_scc0 .LBB2559_81
; %bb.1:
	s_load_dword s7, s[4:5], 0x20
	s_mul_i32 s2, s18, 0xffffd000
	s_mov_b32 s27, 0
	v_and_b32_e32 v2, 0x3ff, v0
	s_lshl_b64 s[0:1], s[26:27], 2
	s_waitcnt lgkmcnt(0)
	s_add_i32 s7, s7, s2
	v_mbcnt_hi_u32_b32 v1, -1, v12
	s_add_u32 s0, s20, s0
	v_and_b32_e32 v3, 63, v1
	v_and_b32_e32 v4, 0x3c0, v2
	s_addc_u32 s1, s21, s1
	v_mul_u32_u24_e32 v6, 12, v4
	v_lshlrev_b32_e32 v4, 2, v3
	v_mov_b32_e32 v5, s1
	v_add_co_u32_e32 v4, vcc, s0, v4
	v_addc_co_u32_e32 v5, vcc, 0, v5, vcc
	v_lshlrev_b32_e32 v7, 2, v6
	v_add_co_u32_e32 v4, vcc, v4, v7
	v_addc_co_u32_e32 v5, vcc, 0, v5, vcc
	v_or_b32_e32 v3, v3, v6
	v_cmp_gt_u32_e32 vcc, s7, v3
	v_mov_b32_e32 v15, -1
	v_mov_b32_e32 v6, -1
	s_and_saveexec_b64 s[0:1], vcc
	s_cbranch_execz .LBB2559_3
; %bb.2:
	global_load_dword v6, v[4:5], off
.LBB2559_3:
	s_or_b64 exec, exec, s[0:1]
	v_or_b32_e32 v7, 64, v3
	v_cmp_gt_u32_e32 vcc, s7, v7
	v_mov_b32_e32 v9, -1
	s_and_saveexec_b64 s[0:1], vcc
	s_cbranch_execz .LBB2559_5
; %bb.4:
	global_load_dword v9, v[4:5], off offset:256
.LBB2559_5:
	s_or_b64 exec, exec, s[0:1]
	v_or_b32_e32 v7, 0x80, v3
	v_cmp_gt_u32_e32 vcc, s7, v7
	s_and_saveexec_b64 s[0:1], vcc
	s_cbranch_execz .LBB2559_7
; %bb.6:
	global_load_dword v15, v[4:5], off offset:512
.LBB2559_7:
	s_or_b64 exec, exec, s[0:1]
	v_or_b32_e32 v7, 0xc0, v3
	v_cmp_gt_u32_e32 vcc, s7, v7
	v_mov_b32_e32 v21, -1
	v_mov_b32_e32 v18, -1
	s_and_saveexec_b64 s[0:1], vcc
	s_cbranch_execz .LBB2559_9
; %bb.8:
	global_load_dword v18, v[4:5], off offset:768
.LBB2559_9:
	s_or_b64 exec, exec, s[0:1]
	v_add_u32_e32 v7, 0x100, v3
	v_cmp_gt_u32_e32 vcc, s7, v7
	s_and_saveexec_b64 s[0:1], vcc
	s_cbranch_execz .LBB2559_11
; %bb.10:
	global_load_dword v21, v[4:5], off offset:1024
.LBB2559_11:
	s_or_b64 exec, exec, s[0:1]
	v_add_u32_e32 v7, 0x140, v3
	v_cmp_gt_u32_e32 vcc, s7, v7
	v_mov_b32_e32 v28, -1
	v_mov_b32_e32 v24, -1
	s_and_saveexec_b64 s[0:1], vcc
	s_cbranch_execz .LBB2559_13
; %bb.12:
	global_load_dword v24, v[4:5], off offset:1280
.LBB2559_13:
	s_or_b64 exec, exec, s[0:1]
	v_add_u32_e32 v7, 0x180, v3
	v_cmp_gt_u32_e32 vcc, s7, v7
	s_and_saveexec_b64 s[0:1], vcc
	s_cbranch_execz .LBB2559_15
; %bb.14:
	global_load_dword v28, v[4:5], off offset:1536
.LBB2559_15:
	s_or_b64 exec, exec, s[0:1]
	v_add_u32_e32 v7, 0x1c0, v3
	;; [unrolled: 18-line block ×4, first 2 shown]
	v_cmp_gt_u32_e32 vcc, s7, v3
	v_mov_b32_e32 v10, -1
	s_and_saveexec_b64 s[0:1], vcc
	s_cbranch_execz .LBB2559_25
; %bb.24:
	global_load_dword v10, v[4:5], off offset:2816
.LBB2559_25:
	s_or_b64 exec, exec, s[0:1]
	s_load_dword s0, s[4:5], 0x64
	s_load_dword s27, s[4:5], 0x58
	s_add_u32 s1, s4, 0x58
	s_addc_u32 s2, s5, 0
	v_mov_b32_e32 v4, 0
	s_waitcnt lgkmcnt(0)
	s_lshr_b32 s3, s0, 16
	s_cmp_lt_u32 s6, s27
	s_cselect_b32 s0, 12, 18
	s_add_u32 s0, s1, s0
	s_addc_u32 s1, s2, 0
	global_load_ushort v7, v4, s[0:1]
	v_bfrev_b32_e32 v17, -2
	s_waitcnt vmcnt(1)
	v_cmp_gt_i32_e32 vcc, 0, v6
	v_cndmask_b32_e64 v13, v17, 0, vcc
	s_brev_b32 s2, 1
	v_xor_b32_e32 v13, v13, v6
	v_cmp_ne_u32_e32 vcc, s2, v13
	v_cndmask_b32_e32 v6, v17, v13, vcc
	s_lshl_b32 s0, -1, s17
	v_lshrrev_b32_e32 v6, s16, v6
	s_not_b32 s28, s0
	v_and_b32_e32 v14, s28, v6
	v_and_b32_e32 v6, 1, v14
	v_bfe_u32 v5, v0, 10, 10
	v_bfe_u32 v8, v0, 20, 10
	v_add_co_u32_e32 v19, vcc, -1, v6
	v_mad_u32_u24 v8, v8, s3, v5
	v_lshlrev_b32_e32 v5, 30, v14
	v_addc_co_u32_e64 v20, s[0:1], 0, -1, vcc
	v_cmp_ne_u32_e32 vcc, 0, v6
	v_cmp_gt_i64_e64 s[0:1], 0, v[4:5]
	v_not_b32_e32 v6, v5
	v_lshlrev_b32_e32 v5, 29, v14
	v_xor_b32_e32 v20, vcc_hi, v20
	v_xor_b32_e32 v19, vcc_lo, v19
	v_ashrrev_i32_e32 v6, 31, v6
	v_cmp_gt_i64_e32 vcc, 0, v[4:5]
	v_not_b32_e32 v22, v5
	v_lshlrev_b32_e32 v5, 28, v14
	v_and_b32_e32 v20, exec_hi, v20
	v_and_b32_e32 v19, exec_lo, v19
	v_xor_b32_e32 v23, s1, v6
	v_xor_b32_e32 v6, s0, v6
	v_ashrrev_i32_e32 v22, 31, v22
	v_cmp_gt_i64_e64 s[0:1], 0, v[4:5]
	v_not_b32_e32 v25, v5
	v_lshlrev_b32_e32 v5, 27, v14
	v_and_b32_e32 v20, v20, v23
	v_and_b32_e32 v6, v19, v6
	v_xor_b32_e32 v19, vcc_hi, v22
	v_xor_b32_e32 v22, vcc_lo, v22
	v_ashrrev_i32_e32 v23, 31, v25
	v_cmp_gt_i64_e32 vcc, 0, v[4:5]
	v_not_b32_e32 v25, v5
	v_lshlrev_b32_e32 v5, 26, v14
	v_and_b32_e32 v19, v20, v19
	v_and_b32_e32 v6, v6, v22
	v_xor_b32_e32 v20, s1, v23
	v_xor_b32_e32 v22, s0, v23
	v_ashrrev_i32_e32 v23, 31, v25
	v_not_b32_e32 v25, v5
	v_mul_u32_u24_e32 v3, 5, v2
	v_cmp_gt_i64_e64 s[0:1], 0, v[4:5]
	v_lshlrev_b32_e32 v5, 25, v14
	v_and_b32_e32 v19, v19, v20
	v_and_b32_e32 v6, v6, v22
	v_xor_b32_e32 v20, vcc_hi, v23
	v_xor_b32_e32 v22, vcc_lo, v23
	v_ashrrev_i32_e32 v23, 31, v25
	v_lshlrev_b32_e32 v3, 2, v3
	v_cmp_gt_i64_e32 vcc, 0, v[4:5]
	v_not_b32_e32 v5, v5
	v_and_b32_e32 v19, v19, v20
	v_and_b32_e32 v6, v6, v22
	v_xor_b32_e32 v20, s1, v23
	v_xor_b32_e32 v22, s0, v23
	v_ashrrev_i32_e32 v5, 31, v5
	v_and_b32_e32 v19, v19, v20
	v_and_b32_e32 v20, v6, v22
	v_lshl_add_u32 v16, v14, 4, v14
	v_xor_b32_e32 v22, vcc_hi, v5
	v_xor_b32_e32 v5, vcc_lo, v5
	ds_write2_b32 v3, v4, v4 offset0:16 offset1:17
	ds_write2_b32 v3, v4, v4 offset0:18 offset1:19
	ds_write_b32 v3, v4 offset:80
	s_waitcnt lgkmcnt(0)
	s_barrier
	s_waitcnt lgkmcnt(0)
	; wave barrier
	s_waitcnt vmcnt(0)
	v_mad_u64_u32 v[6:7], s[0:1], v8, v7, v[2:3]
	v_lshrrev_b32_e32 v29, 6, v6
	v_add_lshl_u32 v8, v29, v16, 2
	v_and_b32_e32 v16, v20, v5
	v_lshlrev_b32_e32 v5, 24, v14
	v_cmp_gt_i64_e32 vcc, 0, v[4:5]
	v_not_b32_e32 v5, v5
	v_ashrrev_i32_e32 v5, 31, v5
	v_and_b32_e32 v6, v19, v22
	v_xor_b32_e32 v7, vcc_hi, v5
	v_xor_b32_e32 v5, vcc_lo, v5
	v_and_b32_e32 v7, v6, v7
	v_and_b32_e32 v6, v16, v5
	v_mbcnt_lo_u32_b32 v5, v6, 0
	v_mbcnt_hi_u32_b32 v16, v7, v5
	v_cmp_eq_u32_e32 vcc, 0, v16
	v_cmp_ne_u64_e64 s[0:1], 0, v[6:7]
	s_and_b64 s[8:9], s[0:1], vcc
	s_and_saveexec_b64 s[0:1], s[8:9]
	s_cbranch_execz .LBB2559_27
; %bb.26:
	v_bcnt_u32_b32 v5, v6, 0
	v_bcnt_u32_b32 v5, v7, v5
	ds_write_b32 v8, v5 offset:64
.LBB2559_27:
	s_or_b64 exec, exec, s[0:1]
	v_cmp_gt_i32_e32 vcc, 0, v9
	v_cndmask_b32_e64 v5, v17, 0, vcc
	v_xor_b32_e32 v14, v5, v9
	v_cmp_ne_u32_e32 vcc, s2, v14
	v_cndmask_b32_e32 v5, v17, v14, vcc
	v_lshrrev_b32_e32 v5, s16, v5
	v_and_b32_e32 v6, s28, v5
	v_lshl_add_u32 v5, v6, 4, v6
	v_add_lshl_u32 v9, v29, v5, 2
	v_and_b32_e32 v5, 1, v6
	v_add_co_u32_e32 v7, vcc, -1, v5
	v_addc_co_u32_e64 v19, s[0:1], 0, -1, vcc
	v_cmp_ne_u32_e32 vcc, 0, v5
	v_xor_b32_e32 v5, vcc_hi, v19
	v_and_b32_e32 v19, exec_hi, v5
	v_lshlrev_b32_e32 v5, 30, v6
	v_xor_b32_e32 v7, vcc_lo, v7
	v_cmp_gt_i64_e32 vcc, 0, v[4:5]
	v_not_b32_e32 v5, v5
	v_ashrrev_i32_e32 v5, 31, v5
	v_and_b32_e32 v7, exec_lo, v7
	v_xor_b32_e32 v20, vcc_hi, v5
	v_xor_b32_e32 v5, vcc_lo, v5
	v_and_b32_e32 v7, v7, v5
	v_lshlrev_b32_e32 v5, 29, v6
	v_cmp_gt_i64_e32 vcc, 0, v[4:5]
	v_not_b32_e32 v5, v5
	v_ashrrev_i32_e32 v5, 31, v5
	v_and_b32_e32 v19, v19, v20
	v_xor_b32_e32 v20, vcc_hi, v5
	v_xor_b32_e32 v5, vcc_lo, v5
	v_and_b32_e32 v7, v7, v5
	v_lshlrev_b32_e32 v5, 28, v6
	v_cmp_gt_i64_e32 vcc, 0, v[4:5]
	v_not_b32_e32 v5, v5
	v_ashrrev_i32_e32 v5, 31, v5
	v_and_b32_e32 v19, v19, v20
	;; [unrolled: 8-line block ×5, first 2 shown]
	v_xor_b32_e32 v20, vcc_hi, v5
	v_xor_b32_e32 v5, vcc_lo, v5
	v_and_b32_e32 v7, v7, v5
	v_lshlrev_b32_e32 v5, 24, v6
	v_cmp_gt_i64_e32 vcc, 0, v[4:5]
	v_not_b32_e32 v4, v5
	v_ashrrev_i32_e32 v4, 31, v4
	v_xor_b32_e32 v5, vcc_hi, v4
	v_xor_b32_e32 v4, vcc_lo, v4
	; wave barrier
	ds_read_b32 v17, v9 offset:64
	v_and_b32_e32 v19, v19, v20
	v_and_b32_e32 v4, v7, v4
	;; [unrolled: 1-line block ×3, first 2 shown]
	v_mbcnt_lo_u32_b32 v6, v4, 0
	v_mbcnt_hi_u32_b32 v19, v5, v6
	v_cmp_eq_u32_e32 vcc, 0, v19
	v_cmp_ne_u64_e64 s[0:1], 0, v[4:5]
	s_and_b64 s[2:3], s[0:1], vcc
	; wave barrier
	s_and_saveexec_b64 s[0:1], s[2:3]
	s_cbranch_execz .LBB2559_29
; %bb.28:
	v_bcnt_u32_b32 v4, v4, 0
	v_bcnt_u32_b32 v4, v5, v4
	s_waitcnt lgkmcnt(0)
	v_add_u32_e32 v4, v17, v4
	ds_write_b32 v9, v4 offset:64
.LBB2559_29:
	s_or_b64 exec, exec, s[0:1]
	v_bfrev_b32_e32 v23, -2
	v_cmp_gt_i32_e32 vcc, 0, v15
	v_cndmask_b32_e64 v5, v23, 0, vcc
	v_xor_b32_e32 v15, v5, v15
	s_brev_b32 s2, 1
	v_cmp_ne_u32_e32 vcc, s2, v15
	v_cndmask_b32_e32 v5, v23, v15, vcc
	v_lshrrev_b32_e32 v5, s16, v5
	v_and_b32_e32 v6, s28, v5
	v_lshl_add_u32 v5, v6, 4, v6
	v_add_lshl_u32 v26, v29, v5, 2
	v_and_b32_e32 v5, 1, v6
	v_add_co_u32_e32 v7, vcc, -1, v5
	v_addc_co_u32_e64 v22, s[0:1], 0, -1, vcc
	v_cmp_ne_u32_e32 vcc, 0, v5
	v_xor_b32_e32 v5, vcc_hi, v22
	v_mov_b32_e32 v4, 0
	v_and_b32_e32 v22, exec_hi, v5
	v_lshlrev_b32_e32 v5, 30, v6
	v_xor_b32_e32 v7, vcc_lo, v7
	v_cmp_gt_i64_e32 vcc, 0, v[4:5]
	v_not_b32_e32 v5, v5
	v_ashrrev_i32_e32 v5, 31, v5
	v_and_b32_e32 v7, exec_lo, v7
	v_xor_b32_e32 v25, vcc_hi, v5
	v_xor_b32_e32 v5, vcc_lo, v5
	v_and_b32_e32 v7, v7, v5
	v_lshlrev_b32_e32 v5, 29, v6
	v_cmp_gt_i64_e32 vcc, 0, v[4:5]
	v_not_b32_e32 v5, v5
	v_ashrrev_i32_e32 v5, 31, v5
	v_and_b32_e32 v22, v22, v25
	v_xor_b32_e32 v25, vcc_hi, v5
	v_xor_b32_e32 v5, vcc_lo, v5
	v_and_b32_e32 v7, v7, v5
	v_lshlrev_b32_e32 v5, 28, v6
	v_cmp_gt_i64_e32 vcc, 0, v[4:5]
	v_not_b32_e32 v5, v5
	v_ashrrev_i32_e32 v5, 31, v5
	v_and_b32_e32 v22, v22, v25
	;; [unrolled: 8-line block ×5, first 2 shown]
	v_xor_b32_e32 v25, vcc_hi, v5
	v_xor_b32_e32 v5, vcc_lo, v5
	v_and_b32_e32 v22, v22, v25
	v_and_b32_e32 v25, v7, v5
	v_lshlrev_b32_e32 v5, 24, v6
	v_cmp_gt_i64_e32 vcc, 0, v[4:5]
	v_not_b32_e32 v5, v5
	v_ashrrev_i32_e32 v5, 31, v5
	v_xor_b32_e32 v6, vcc_hi, v5
	v_xor_b32_e32 v5, vcc_lo, v5
	; wave barrier
	ds_read_b32 v20, v26 offset:64
	v_and_b32_e32 v7, v22, v6
	v_and_b32_e32 v6, v25, v5
	v_mbcnt_lo_u32_b32 v5, v6, 0
	v_mbcnt_hi_u32_b32 v22, v7, v5
	v_cmp_eq_u32_e32 vcc, 0, v22
	v_cmp_ne_u64_e64 s[0:1], 0, v[6:7]
	s_and_b64 s[8:9], s[0:1], vcc
	; wave barrier
	s_and_saveexec_b64 s[0:1], s[8:9]
	s_cbranch_execz .LBB2559_31
; %bb.30:
	v_bcnt_u32_b32 v5, v6, 0
	v_bcnt_u32_b32 v5, v7, v5
	s_waitcnt lgkmcnt(0)
	v_add_u32_e32 v5, v20, v5
	ds_write_b32 v26, v5 offset:64
.LBB2559_31:
	s_or_b64 exec, exec, s[0:1]
	v_cmp_gt_i32_e32 vcc, 0, v18
	v_cndmask_b32_e64 v5, v23, 0, vcc
	v_xor_b32_e32 v18, v5, v18
	v_cmp_ne_u32_e32 vcc, s2, v18
	v_cndmask_b32_e32 v5, v23, v18, vcc
	v_lshrrev_b32_e32 v5, s16, v5
	v_and_b32_e32 v6, s28, v5
	v_lshl_add_u32 v5, v6, 4, v6
	v_add_lshl_u32 v32, v29, v5, 2
	v_and_b32_e32 v5, 1, v6
	v_add_co_u32_e32 v7, vcc, -1, v5
	v_addc_co_u32_e64 v25, s[0:1], 0, -1, vcc
	v_cmp_ne_u32_e32 vcc, 0, v5
	v_xor_b32_e32 v5, vcc_hi, v25
	v_and_b32_e32 v25, exec_hi, v5
	v_lshlrev_b32_e32 v5, 30, v6
	v_xor_b32_e32 v7, vcc_lo, v7
	v_cmp_gt_i64_e32 vcc, 0, v[4:5]
	v_not_b32_e32 v5, v5
	v_ashrrev_i32_e32 v5, 31, v5
	v_and_b32_e32 v7, exec_lo, v7
	v_xor_b32_e32 v27, vcc_hi, v5
	v_xor_b32_e32 v5, vcc_lo, v5
	v_and_b32_e32 v7, v7, v5
	v_lshlrev_b32_e32 v5, 29, v6
	v_cmp_gt_i64_e32 vcc, 0, v[4:5]
	v_not_b32_e32 v5, v5
	v_ashrrev_i32_e32 v5, 31, v5
	v_and_b32_e32 v25, v25, v27
	v_xor_b32_e32 v27, vcc_hi, v5
	v_xor_b32_e32 v5, vcc_lo, v5
	v_and_b32_e32 v7, v7, v5
	v_lshlrev_b32_e32 v5, 28, v6
	v_cmp_gt_i64_e32 vcc, 0, v[4:5]
	v_not_b32_e32 v5, v5
	v_ashrrev_i32_e32 v5, 31, v5
	v_and_b32_e32 v25, v25, v27
	;; [unrolled: 8-line block ×5, first 2 shown]
	v_xor_b32_e32 v27, vcc_hi, v5
	v_xor_b32_e32 v5, vcc_lo, v5
	v_and_b32_e32 v7, v7, v5
	v_lshlrev_b32_e32 v5, 24, v6
	v_cmp_gt_i64_e32 vcc, 0, v[4:5]
	v_not_b32_e32 v4, v5
	v_ashrrev_i32_e32 v4, 31, v4
	v_xor_b32_e32 v5, vcc_hi, v4
	v_xor_b32_e32 v4, vcc_lo, v4
	; wave barrier
	ds_read_b32 v23, v32 offset:64
	v_and_b32_e32 v25, v25, v27
	v_and_b32_e32 v4, v7, v4
	;; [unrolled: 1-line block ×3, first 2 shown]
	v_mbcnt_lo_u32_b32 v6, v4, 0
	v_mbcnt_hi_u32_b32 v25, v5, v6
	v_cmp_eq_u32_e32 vcc, 0, v25
	v_cmp_ne_u64_e64 s[0:1], 0, v[4:5]
	s_and_b64 s[2:3], s[0:1], vcc
	; wave barrier
	s_and_saveexec_b64 s[0:1], s[2:3]
	s_cbranch_execz .LBB2559_33
; %bb.32:
	v_bcnt_u32_b32 v4, v4, 0
	v_bcnt_u32_b32 v4, v5, v4
	s_waitcnt lgkmcnt(0)
	v_add_u32_e32 v4, v23, v4
	ds_write_b32 v32, v4 offset:64
.LBB2559_33:
	s_or_b64 exec, exec, s[0:1]
	v_bfrev_b32_e32 v33, -2
	v_cmp_gt_i32_e32 vcc, 0, v21
	v_cndmask_b32_e64 v5, v33, 0, vcc
	v_xor_b32_e32 v21, v5, v21
	s_brev_b32 s2, 1
	v_cmp_ne_u32_e32 vcc, s2, v21
	v_cndmask_b32_e32 v5, v33, v21, vcc
	v_lshrrev_b32_e32 v5, s16, v5
	v_and_b32_e32 v6, s28, v5
	v_lshl_add_u32 v5, v6, 4, v6
	v_add_lshl_u32 v37, v29, v5, 2
	v_and_b32_e32 v5, 1, v6
	v_add_co_u32_e32 v7, vcc, -1, v5
	v_addc_co_u32_e64 v31, s[0:1], 0, -1, vcc
	v_cmp_ne_u32_e32 vcc, 0, v5
	v_xor_b32_e32 v5, vcc_hi, v31
	v_mov_b32_e32 v4, 0
	v_and_b32_e32 v31, exec_hi, v5
	v_lshlrev_b32_e32 v5, 30, v6
	v_xor_b32_e32 v7, vcc_lo, v7
	v_cmp_gt_i64_e32 vcc, 0, v[4:5]
	v_not_b32_e32 v5, v5
	v_ashrrev_i32_e32 v5, 31, v5
	v_and_b32_e32 v7, exec_lo, v7
	v_xor_b32_e32 v36, vcc_hi, v5
	v_xor_b32_e32 v5, vcc_lo, v5
	v_and_b32_e32 v7, v7, v5
	v_lshlrev_b32_e32 v5, 29, v6
	v_cmp_gt_i64_e32 vcc, 0, v[4:5]
	v_not_b32_e32 v5, v5
	v_ashrrev_i32_e32 v5, 31, v5
	v_and_b32_e32 v31, v31, v36
	v_xor_b32_e32 v36, vcc_hi, v5
	v_xor_b32_e32 v5, vcc_lo, v5
	v_and_b32_e32 v7, v7, v5
	v_lshlrev_b32_e32 v5, 28, v6
	v_cmp_gt_i64_e32 vcc, 0, v[4:5]
	v_not_b32_e32 v5, v5
	v_ashrrev_i32_e32 v5, 31, v5
	v_and_b32_e32 v31, v31, v36
	;; [unrolled: 8-line block ×5, first 2 shown]
	v_xor_b32_e32 v36, vcc_hi, v5
	v_xor_b32_e32 v5, vcc_lo, v5
	v_and_b32_e32 v31, v31, v36
	v_and_b32_e32 v36, v7, v5
	v_lshlrev_b32_e32 v5, 24, v6
	v_cmp_gt_i64_e32 vcc, 0, v[4:5]
	v_not_b32_e32 v5, v5
	v_ashrrev_i32_e32 v5, 31, v5
	v_xor_b32_e32 v6, vcc_hi, v5
	v_xor_b32_e32 v5, vcc_lo, v5
	; wave barrier
	ds_read_b32 v27, v37 offset:64
	v_and_b32_e32 v7, v31, v6
	v_and_b32_e32 v6, v36, v5
	v_mbcnt_lo_u32_b32 v5, v6, 0
	v_mbcnt_hi_u32_b32 v31, v7, v5
	v_cmp_eq_u32_e32 vcc, 0, v31
	v_cmp_ne_u64_e64 s[0:1], 0, v[6:7]
	s_and_b64 s[8:9], s[0:1], vcc
	; wave barrier
	s_and_saveexec_b64 s[0:1], s[8:9]
	s_cbranch_execz .LBB2559_35
; %bb.34:
	v_bcnt_u32_b32 v5, v6, 0
	v_bcnt_u32_b32 v5, v7, v5
	s_waitcnt lgkmcnt(0)
	v_add_u32_e32 v5, v27, v5
	ds_write_b32 v37, v5 offset:64
.LBB2559_35:
	s_or_b64 exec, exec, s[0:1]
	v_cmp_gt_i32_e32 vcc, 0, v24
	v_cndmask_b32_e64 v5, v33, 0, vcc
	v_xor_b32_e32 v24, v5, v24
	v_cmp_ne_u32_e32 vcc, s2, v24
	v_cndmask_b32_e32 v5, v33, v24, vcc
	v_lshrrev_b32_e32 v5, s16, v5
	v_and_b32_e32 v6, s28, v5
	v_lshl_add_u32 v5, v6, 4, v6
	v_add_lshl_u32 v40, v29, v5, 2
	v_and_b32_e32 v5, 1, v6
	v_add_co_u32_e32 v7, vcc, -1, v5
	v_addc_co_u32_e64 v36, s[0:1], 0, -1, vcc
	v_cmp_ne_u32_e32 vcc, 0, v5
	v_xor_b32_e32 v5, vcc_hi, v36
	v_and_b32_e32 v36, exec_hi, v5
	v_lshlrev_b32_e32 v5, 30, v6
	v_xor_b32_e32 v7, vcc_lo, v7
	v_cmp_gt_i64_e32 vcc, 0, v[4:5]
	v_not_b32_e32 v5, v5
	v_ashrrev_i32_e32 v5, 31, v5
	v_and_b32_e32 v7, exec_lo, v7
	v_xor_b32_e32 v38, vcc_hi, v5
	v_xor_b32_e32 v5, vcc_lo, v5
	v_and_b32_e32 v7, v7, v5
	v_lshlrev_b32_e32 v5, 29, v6
	v_cmp_gt_i64_e32 vcc, 0, v[4:5]
	v_not_b32_e32 v5, v5
	v_ashrrev_i32_e32 v5, 31, v5
	v_and_b32_e32 v36, v36, v38
	v_xor_b32_e32 v38, vcc_hi, v5
	v_xor_b32_e32 v5, vcc_lo, v5
	v_and_b32_e32 v7, v7, v5
	v_lshlrev_b32_e32 v5, 28, v6
	v_cmp_gt_i64_e32 vcc, 0, v[4:5]
	v_not_b32_e32 v5, v5
	v_ashrrev_i32_e32 v5, 31, v5
	v_and_b32_e32 v36, v36, v38
	;; [unrolled: 8-line block ×5, first 2 shown]
	v_xor_b32_e32 v38, vcc_hi, v5
	v_xor_b32_e32 v5, vcc_lo, v5
	v_and_b32_e32 v7, v7, v5
	v_lshlrev_b32_e32 v5, 24, v6
	v_cmp_gt_i64_e32 vcc, 0, v[4:5]
	v_not_b32_e32 v4, v5
	v_ashrrev_i32_e32 v4, 31, v4
	v_xor_b32_e32 v5, vcc_hi, v4
	v_xor_b32_e32 v4, vcc_lo, v4
	; wave barrier
	ds_read_b32 v33, v40 offset:64
	v_and_b32_e32 v36, v36, v38
	v_and_b32_e32 v4, v7, v4
	;; [unrolled: 1-line block ×3, first 2 shown]
	v_mbcnt_lo_u32_b32 v6, v4, 0
	v_mbcnt_hi_u32_b32 v36, v5, v6
	v_cmp_eq_u32_e32 vcc, 0, v36
	v_cmp_ne_u64_e64 s[0:1], 0, v[4:5]
	s_and_b64 s[2:3], s[0:1], vcc
	; wave barrier
	s_and_saveexec_b64 s[0:1], s[2:3]
	s_cbranch_execz .LBB2559_37
; %bb.36:
	v_bcnt_u32_b32 v4, v4, 0
	v_bcnt_u32_b32 v4, v5, v4
	s_waitcnt lgkmcnt(0)
	v_add_u32_e32 v4, v33, v4
	ds_write_b32 v40, v4 offset:64
.LBB2559_37:
	s_or_b64 exec, exec, s[0:1]
	v_bfrev_b32_e32 v41, -2
	v_cmp_gt_i32_e32 vcc, 0, v28
	v_cndmask_b32_e64 v5, v41, 0, vcc
	v_xor_b32_e32 v28, v5, v28
	s_brev_b32 s2, 1
	v_cmp_ne_u32_e32 vcc, s2, v28
	v_cndmask_b32_e32 v5, v41, v28, vcc
	v_lshrrev_b32_e32 v5, s16, v5
	v_and_b32_e32 v6, s28, v5
	v_lshl_add_u32 v5, v6, 4, v6
	v_add_lshl_u32 v44, v29, v5, 2
	v_and_b32_e32 v5, 1, v6
	v_add_co_u32_e32 v7, vcc, -1, v5
	v_addc_co_u32_e64 v39, s[0:1], 0, -1, vcc
	v_cmp_ne_u32_e32 vcc, 0, v5
	v_xor_b32_e32 v5, vcc_hi, v39
	v_mov_b32_e32 v4, 0
	v_and_b32_e32 v39, exec_hi, v5
	v_lshlrev_b32_e32 v5, 30, v6
	v_xor_b32_e32 v7, vcc_lo, v7
	v_cmp_gt_i64_e32 vcc, 0, v[4:5]
	v_not_b32_e32 v5, v5
	v_ashrrev_i32_e32 v5, 31, v5
	v_and_b32_e32 v7, exec_lo, v7
	v_xor_b32_e32 v42, vcc_hi, v5
	v_xor_b32_e32 v5, vcc_lo, v5
	v_and_b32_e32 v7, v7, v5
	v_lshlrev_b32_e32 v5, 29, v6
	v_cmp_gt_i64_e32 vcc, 0, v[4:5]
	v_not_b32_e32 v5, v5
	v_ashrrev_i32_e32 v5, 31, v5
	v_and_b32_e32 v39, v39, v42
	v_xor_b32_e32 v42, vcc_hi, v5
	v_xor_b32_e32 v5, vcc_lo, v5
	v_and_b32_e32 v7, v7, v5
	v_lshlrev_b32_e32 v5, 28, v6
	v_cmp_gt_i64_e32 vcc, 0, v[4:5]
	v_not_b32_e32 v5, v5
	v_ashrrev_i32_e32 v5, 31, v5
	v_and_b32_e32 v39, v39, v42
	;; [unrolled: 8-line block ×5, first 2 shown]
	v_xor_b32_e32 v42, vcc_hi, v5
	v_xor_b32_e32 v5, vcc_lo, v5
	v_and_b32_e32 v39, v39, v42
	v_and_b32_e32 v42, v7, v5
	v_lshlrev_b32_e32 v5, 24, v6
	v_cmp_gt_i64_e32 vcc, 0, v[4:5]
	v_not_b32_e32 v5, v5
	v_ashrrev_i32_e32 v5, 31, v5
	v_xor_b32_e32 v6, vcc_hi, v5
	v_xor_b32_e32 v5, vcc_lo, v5
	; wave barrier
	ds_read_b32 v38, v44 offset:64
	v_and_b32_e32 v7, v39, v6
	v_and_b32_e32 v6, v42, v5
	v_mbcnt_lo_u32_b32 v5, v6, 0
	v_mbcnt_hi_u32_b32 v39, v7, v5
	v_cmp_eq_u32_e32 vcc, 0, v39
	v_cmp_ne_u64_e64 s[0:1], 0, v[6:7]
	s_and_b64 s[8:9], s[0:1], vcc
	; wave barrier
	s_and_saveexec_b64 s[0:1], s[8:9]
	s_cbranch_execz .LBB2559_39
; %bb.38:
	v_bcnt_u32_b32 v5, v6, 0
	v_bcnt_u32_b32 v5, v7, v5
	s_waitcnt lgkmcnt(0)
	v_add_u32_e32 v5, v38, v5
	ds_write_b32 v44, v5 offset:64
.LBB2559_39:
	s_or_b64 exec, exec, s[0:1]
	v_cmp_gt_i32_e32 vcc, 0, v34
	v_cndmask_b32_e64 v5, v41, 0, vcc
	v_xor_b32_e32 v34, v5, v34
	v_cmp_ne_u32_e32 vcc, s2, v34
	v_cndmask_b32_e32 v5, v41, v34, vcc
	v_lshrrev_b32_e32 v5, s16, v5
	v_and_b32_e32 v6, s28, v5
	v_lshl_add_u32 v5, v6, 4, v6
	v_add_lshl_u32 v48, v29, v5, 2
	v_and_b32_e32 v5, 1, v6
	v_add_co_u32_e32 v7, vcc, -1, v5
	v_addc_co_u32_e64 v42, s[0:1], 0, -1, vcc
	v_cmp_ne_u32_e32 vcc, 0, v5
	v_xor_b32_e32 v5, vcc_hi, v42
	v_and_b32_e32 v42, exec_hi, v5
	v_lshlrev_b32_e32 v5, 30, v6
	v_xor_b32_e32 v7, vcc_lo, v7
	v_cmp_gt_i64_e32 vcc, 0, v[4:5]
	v_not_b32_e32 v5, v5
	v_ashrrev_i32_e32 v5, 31, v5
	v_and_b32_e32 v7, exec_lo, v7
	v_xor_b32_e32 v43, vcc_hi, v5
	v_xor_b32_e32 v5, vcc_lo, v5
	v_and_b32_e32 v7, v7, v5
	v_lshlrev_b32_e32 v5, 29, v6
	v_cmp_gt_i64_e32 vcc, 0, v[4:5]
	v_not_b32_e32 v5, v5
	v_ashrrev_i32_e32 v5, 31, v5
	v_and_b32_e32 v42, v42, v43
	v_xor_b32_e32 v43, vcc_hi, v5
	v_xor_b32_e32 v5, vcc_lo, v5
	v_and_b32_e32 v7, v7, v5
	v_lshlrev_b32_e32 v5, 28, v6
	v_cmp_gt_i64_e32 vcc, 0, v[4:5]
	v_not_b32_e32 v5, v5
	v_ashrrev_i32_e32 v5, 31, v5
	v_and_b32_e32 v42, v42, v43
	;; [unrolled: 8-line block ×5, first 2 shown]
	v_xor_b32_e32 v43, vcc_hi, v5
	v_xor_b32_e32 v5, vcc_lo, v5
	v_and_b32_e32 v7, v7, v5
	v_lshlrev_b32_e32 v5, 24, v6
	v_cmp_gt_i64_e32 vcc, 0, v[4:5]
	v_not_b32_e32 v4, v5
	v_ashrrev_i32_e32 v4, 31, v4
	v_xor_b32_e32 v5, vcc_hi, v4
	v_xor_b32_e32 v4, vcc_lo, v4
	; wave barrier
	ds_read_b32 v41, v48 offset:64
	v_and_b32_e32 v42, v42, v43
	v_and_b32_e32 v4, v7, v4
	;; [unrolled: 1-line block ×3, first 2 shown]
	v_mbcnt_lo_u32_b32 v6, v4, 0
	v_mbcnt_hi_u32_b32 v43, v5, v6
	v_cmp_eq_u32_e32 vcc, 0, v43
	v_cmp_ne_u64_e64 s[0:1], 0, v[4:5]
	s_and_b64 s[2:3], s[0:1], vcc
	; wave barrier
	s_and_saveexec_b64 s[0:1], s[2:3]
	s_cbranch_execz .LBB2559_41
; %bb.40:
	v_bcnt_u32_b32 v4, v4, 0
	v_bcnt_u32_b32 v4, v5, v4
	s_waitcnt lgkmcnt(0)
	v_add_u32_e32 v4, v41, v4
	ds_write_b32 v48, v4 offset:64
.LBB2559_41:
	s_or_b64 exec, exec, s[0:1]
	v_bfrev_b32_e32 v46, -2
	v_cmp_gt_i32_e32 vcc, 0, v35
	v_cndmask_b32_e64 v5, v46, 0, vcc
	v_xor_b32_e32 v35, v5, v35
	s_brev_b32 s2, 1
	v_cmp_ne_u32_e32 vcc, s2, v35
	v_cndmask_b32_e32 v5, v46, v35, vcc
	v_lshrrev_b32_e32 v5, s16, v5
	v_and_b32_e32 v6, s28, v5
	v_lshl_add_u32 v5, v6, 4, v6
	v_add_lshl_u32 v52, v29, v5, 2
	v_and_b32_e32 v5, 1, v6
	v_add_co_u32_e32 v7, vcc, -1, v5
	v_addc_co_u32_e64 v42, s[0:1], 0, -1, vcc
	v_cmp_ne_u32_e32 vcc, 0, v5
	v_xor_b32_e32 v5, vcc_hi, v42
	v_mov_b32_e32 v4, 0
	v_and_b32_e32 v42, exec_hi, v5
	v_lshlrev_b32_e32 v5, 30, v6
	v_xor_b32_e32 v7, vcc_lo, v7
	v_cmp_gt_i64_e32 vcc, 0, v[4:5]
	v_not_b32_e32 v5, v5
	v_ashrrev_i32_e32 v5, 31, v5
	v_and_b32_e32 v7, exec_lo, v7
	v_xor_b32_e32 v47, vcc_hi, v5
	v_xor_b32_e32 v5, vcc_lo, v5
	v_and_b32_e32 v7, v7, v5
	v_lshlrev_b32_e32 v5, 29, v6
	v_cmp_gt_i64_e32 vcc, 0, v[4:5]
	v_not_b32_e32 v5, v5
	v_ashrrev_i32_e32 v5, 31, v5
	v_and_b32_e32 v42, v42, v47
	v_xor_b32_e32 v47, vcc_hi, v5
	v_xor_b32_e32 v5, vcc_lo, v5
	v_and_b32_e32 v7, v7, v5
	v_lshlrev_b32_e32 v5, 28, v6
	v_cmp_gt_i64_e32 vcc, 0, v[4:5]
	v_not_b32_e32 v5, v5
	v_ashrrev_i32_e32 v5, 31, v5
	v_and_b32_e32 v42, v42, v47
	;; [unrolled: 8-line block ×5, first 2 shown]
	v_xor_b32_e32 v47, vcc_hi, v5
	v_xor_b32_e32 v5, vcc_lo, v5
	v_and_b32_e32 v42, v42, v47
	v_and_b32_e32 v47, v7, v5
	v_lshlrev_b32_e32 v5, 24, v6
	v_cmp_gt_i64_e32 vcc, 0, v[4:5]
	v_not_b32_e32 v5, v5
	v_ashrrev_i32_e32 v5, 31, v5
	v_xor_b32_e32 v6, vcc_hi, v5
	v_xor_b32_e32 v5, vcc_lo, v5
	; wave barrier
	ds_read_b32 v45, v52 offset:64
	v_and_b32_e32 v7, v42, v6
	v_and_b32_e32 v6, v47, v5
	v_mbcnt_lo_u32_b32 v5, v6, 0
	v_mbcnt_hi_u32_b32 v47, v7, v5
	v_cmp_eq_u32_e32 vcc, 0, v47
	v_cmp_ne_u64_e64 s[0:1], 0, v[6:7]
	s_and_b64 s[8:9], s[0:1], vcc
	; wave barrier
	s_and_saveexec_b64 s[0:1], s[8:9]
	s_cbranch_execz .LBB2559_43
; %bb.42:
	v_bcnt_u32_b32 v5, v6, 0
	v_bcnt_u32_b32 v5, v7, v5
	s_waitcnt lgkmcnt(0)
	v_add_u32_e32 v5, v45, v5
	ds_write_b32 v52, v5 offset:64
.LBB2559_43:
	s_or_b64 exec, exec, s[0:1]
	v_cmp_gt_i32_e32 vcc, 0, v30
	v_cndmask_b32_e64 v5, v46, 0, vcc
	v_xor_b32_e32 v42, v5, v30
	v_cmp_ne_u32_e32 vcc, s2, v42
	v_cndmask_b32_e32 v5, v46, v42, vcc
	v_lshrrev_b32_e32 v5, s16, v5
	v_and_b32_e32 v6, s28, v5
	v_lshl_add_u32 v5, v6, 4, v6
	v_add_lshl_u32 v30, v29, v5, 2
	v_and_b32_e32 v5, 1, v6
	v_add_co_u32_e32 v7, vcc, -1, v5
	v_addc_co_u32_e64 v46, s[0:1], 0, -1, vcc
	v_cmp_ne_u32_e32 vcc, 0, v5
	v_xor_b32_e32 v5, vcc_hi, v46
	v_and_b32_e32 v46, exec_hi, v5
	v_lshlrev_b32_e32 v5, 30, v6
	v_xor_b32_e32 v7, vcc_lo, v7
	v_cmp_gt_i64_e32 vcc, 0, v[4:5]
	v_not_b32_e32 v5, v5
	v_ashrrev_i32_e32 v5, 31, v5
	v_and_b32_e32 v7, exec_lo, v7
	v_xor_b32_e32 v50, vcc_hi, v5
	v_xor_b32_e32 v5, vcc_lo, v5
	v_and_b32_e32 v7, v7, v5
	v_lshlrev_b32_e32 v5, 29, v6
	v_cmp_gt_i64_e32 vcc, 0, v[4:5]
	v_not_b32_e32 v5, v5
	v_ashrrev_i32_e32 v5, 31, v5
	v_and_b32_e32 v46, v46, v50
	v_xor_b32_e32 v50, vcc_hi, v5
	v_xor_b32_e32 v5, vcc_lo, v5
	v_and_b32_e32 v7, v7, v5
	v_lshlrev_b32_e32 v5, 28, v6
	v_cmp_gt_i64_e32 vcc, 0, v[4:5]
	v_not_b32_e32 v5, v5
	v_ashrrev_i32_e32 v5, 31, v5
	v_and_b32_e32 v46, v46, v50
	v_xor_b32_e32 v50, vcc_hi, v5
	v_xor_b32_e32 v5, vcc_lo, v5
	v_and_b32_e32 v7, v7, v5
	v_lshlrev_b32_e32 v5, 27, v6
	v_cmp_gt_i64_e32 vcc, 0, v[4:5]
	v_not_b32_e32 v5, v5
	v_ashrrev_i32_e32 v5, 31, v5
	v_and_b32_e32 v46, v46, v50
	v_xor_b32_e32 v50, vcc_hi, v5
	v_xor_b32_e32 v5, vcc_lo, v5
	v_and_b32_e32 v7, v7, v5
	v_lshlrev_b32_e32 v5, 26, v6
	v_cmp_gt_i64_e32 vcc, 0, v[4:5]
	v_not_b32_e32 v5, v5
	v_ashrrev_i32_e32 v5, 31, v5
	v_and_b32_e32 v46, v46, v50
	v_xor_b32_e32 v50, vcc_hi, v5
	v_xor_b32_e32 v5, vcc_lo, v5
	v_and_b32_e32 v7, v7, v5
	v_lshlrev_b32_e32 v5, 25, v6
	v_cmp_gt_i64_e32 vcc, 0, v[4:5]
	v_not_b32_e32 v5, v5
	v_ashrrev_i32_e32 v5, 31, v5
	v_and_b32_e32 v46, v46, v50
	v_xor_b32_e32 v50, vcc_hi, v5
	v_xor_b32_e32 v5, vcc_lo, v5
	v_and_b32_e32 v7, v7, v5
	v_lshlrev_b32_e32 v5, 24, v6
	v_cmp_gt_i64_e32 vcc, 0, v[4:5]
	v_not_b32_e32 v4, v5
	v_ashrrev_i32_e32 v4, 31, v4
	v_xor_b32_e32 v5, vcc_hi, v4
	v_xor_b32_e32 v4, vcc_lo, v4
	; wave barrier
	ds_read_b32 v49, v30 offset:64
	v_and_b32_e32 v46, v46, v50
	v_and_b32_e32 v4, v7, v4
	;; [unrolled: 1-line block ×3, first 2 shown]
	v_mbcnt_lo_u32_b32 v6, v4, 0
	v_mbcnt_hi_u32_b32 v51, v5, v6
	v_cmp_eq_u32_e32 vcc, 0, v51
	v_cmp_ne_u64_e64 s[0:1], 0, v[4:5]
	s_and_b64 s[2:3], s[0:1], vcc
	; wave barrier
	s_and_saveexec_b64 s[0:1], s[2:3]
	s_cbranch_execz .LBB2559_45
; %bb.44:
	v_bcnt_u32_b32 v4, v4, 0
	v_bcnt_u32_b32 v4, v5, v4
	s_waitcnt lgkmcnt(0)
	v_add_u32_e32 v4, v49, v4
	ds_write_b32 v30, v4 offset:64
.LBB2559_45:
	s_or_b64 exec, exec, s[0:1]
	v_bfrev_b32_e32 v55, -2
	v_cmp_gt_i32_e32 vcc, 0, v11
	v_cndmask_b32_e64 v5, v55, 0, vcc
	v_xor_b32_e32 v46, v5, v11
	s_brev_b32 s2, 1
	v_cmp_ne_u32_e32 vcc, s2, v46
	v_cndmask_b32_e32 v5, v55, v46, vcc
	v_lshrrev_b32_e32 v5, s16, v5
	v_and_b32_e32 v6, s28, v5
	v_lshl_add_u32 v5, v6, 4, v6
	v_add_lshl_u32 v11, v29, v5, 2
	v_and_b32_e32 v5, 1, v6
	v_add_co_u32_e32 v7, vcc, -1, v5
	v_addc_co_u32_e64 v50, s[0:1], 0, -1, vcc
	v_cmp_ne_u32_e32 vcc, 0, v5
	v_xor_b32_e32 v5, vcc_hi, v50
	v_mov_b32_e32 v4, 0
	v_and_b32_e32 v50, exec_hi, v5
	v_lshlrev_b32_e32 v5, 30, v6
	v_xor_b32_e32 v7, vcc_lo, v7
	v_cmp_gt_i64_e32 vcc, 0, v[4:5]
	v_not_b32_e32 v5, v5
	v_ashrrev_i32_e32 v5, 31, v5
	v_and_b32_e32 v7, exec_lo, v7
	v_xor_b32_e32 v54, vcc_hi, v5
	v_xor_b32_e32 v5, vcc_lo, v5
	v_and_b32_e32 v7, v7, v5
	v_lshlrev_b32_e32 v5, 29, v6
	v_cmp_gt_i64_e32 vcc, 0, v[4:5]
	v_not_b32_e32 v5, v5
	v_ashrrev_i32_e32 v5, 31, v5
	v_and_b32_e32 v50, v50, v54
	v_xor_b32_e32 v54, vcc_hi, v5
	v_xor_b32_e32 v5, vcc_lo, v5
	v_and_b32_e32 v7, v7, v5
	v_lshlrev_b32_e32 v5, 28, v6
	v_cmp_gt_i64_e32 vcc, 0, v[4:5]
	v_not_b32_e32 v5, v5
	v_ashrrev_i32_e32 v5, 31, v5
	v_and_b32_e32 v50, v50, v54
	;; [unrolled: 8-line block ×5, first 2 shown]
	v_xor_b32_e32 v54, vcc_hi, v5
	v_xor_b32_e32 v5, vcc_lo, v5
	v_and_b32_e32 v50, v50, v54
	v_and_b32_e32 v54, v7, v5
	v_lshlrev_b32_e32 v5, 24, v6
	v_cmp_gt_i64_e32 vcc, 0, v[4:5]
	v_not_b32_e32 v5, v5
	v_ashrrev_i32_e32 v5, 31, v5
	v_xor_b32_e32 v6, vcc_hi, v5
	v_xor_b32_e32 v5, vcc_lo, v5
	; wave barrier
	ds_read_b32 v53, v11 offset:64
	v_and_b32_e32 v7, v50, v6
	v_and_b32_e32 v6, v54, v5
	v_mbcnt_lo_u32_b32 v5, v6, 0
	v_mbcnt_hi_u32_b32 v54, v7, v5
	v_cmp_eq_u32_e32 vcc, 0, v54
	v_cmp_ne_u64_e64 s[0:1], 0, v[6:7]
	s_and_b64 s[8:9], s[0:1], vcc
	; wave barrier
	s_and_saveexec_b64 s[0:1], s[8:9]
	s_cbranch_execz .LBB2559_47
; %bb.46:
	v_bcnt_u32_b32 v5, v6, 0
	v_bcnt_u32_b32 v5, v7, v5
	s_waitcnt lgkmcnt(0)
	v_add_u32_e32 v5, v53, v5
	ds_write_b32 v11, v5 offset:64
.LBB2559_47:
	s_or_b64 exec, exec, s[0:1]
	v_cmp_gt_i32_e32 vcc, 0, v10
	v_cndmask_b32_e64 v5, v55, 0, vcc
	v_xor_b32_e32 v50, v5, v10
	v_cmp_ne_u32_e32 vcc, s2, v50
	v_cndmask_b32_e32 v5, v55, v50, vcc
	v_lshrrev_b32_e32 v5, s16, v5
	v_and_b32_e32 v6, s28, v5
	v_lshl_add_u32 v5, v6, 4, v6
	v_add_lshl_u32 v10, v5, v29, 2
	v_and_b32_e32 v5, 1, v6
	v_add_co_u32_e32 v7, vcc, -1, v5
	v_addc_co_u32_e64 v29, s[0:1], 0, -1, vcc
	v_cmp_ne_u32_e32 vcc, 0, v5
	v_xor_b32_e32 v5, vcc_hi, v29
	v_and_b32_e32 v29, exec_hi, v5
	v_lshlrev_b32_e32 v5, 30, v6
	v_xor_b32_e32 v7, vcc_lo, v7
	v_cmp_gt_i64_e32 vcc, 0, v[4:5]
	v_not_b32_e32 v5, v5
	v_ashrrev_i32_e32 v5, 31, v5
	v_and_b32_e32 v7, exec_lo, v7
	v_xor_b32_e32 v56, vcc_hi, v5
	v_xor_b32_e32 v5, vcc_lo, v5
	v_and_b32_e32 v7, v7, v5
	v_lshlrev_b32_e32 v5, 29, v6
	v_cmp_gt_i64_e32 vcc, 0, v[4:5]
	v_not_b32_e32 v5, v5
	v_ashrrev_i32_e32 v5, 31, v5
	v_and_b32_e32 v29, v29, v56
	v_xor_b32_e32 v56, vcc_hi, v5
	v_xor_b32_e32 v5, vcc_lo, v5
	v_and_b32_e32 v7, v7, v5
	v_lshlrev_b32_e32 v5, 28, v6
	v_cmp_gt_i64_e32 vcc, 0, v[4:5]
	v_not_b32_e32 v5, v5
	v_ashrrev_i32_e32 v5, 31, v5
	v_and_b32_e32 v29, v29, v56
	;; [unrolled: 8-line block ×5, first 2 shown]
	v_xor_b32_e32 v56, vcc_hi, v5
	v_xor_b32_e32 v5, vcc_lo, v5
	v_and_b32_e32 v7, v7, v5
	v_lshlrev_b32_e32 v5, 24, v6
	v_cmp_gt_i64_e32 vcc, 0, v[4:5]
	v_not_b32_e32 v4, v5
	v_ashrrev_i32_e32 v4, 31, v4
	v_xor_b32_e32 v5, vcc_hi, v4
	v_xor_b32_e32 v4, vcc_lo, v4
	; wave barrier
	ds_read_b32 v55, v10 offset:64
	v_and_b32_e32 v29, v29, v56
	v_and_b32_e32 v4, v7, v4
	;; [unrolled: 1-line block ×3, first 2 shown]
	v_mbcnt_lo_u32_b32 v6, v4, 0
	v_mbcnt_hi_u32_b32 v56, v5, v6
	v_cmp_eq_u32_e32 vcc, 0, v56
	v_cmp_ne_u64_e64 s[0:1], 0, v[4:5]
	v_add_u32_e32 v57, 64, v3
	s_and_b64 s[2:3], s[0:1], vcc
	; wave barrier
	s_and_saveexec_b64 s[0:1], s[2:3]
	s_cbranch_execz .LBB2559_49
; %bb.48:
	v_bcnt_u32_b32 v4, v4, 0
	v_bcnt_u32_b32 v4, v5, v4
	s_waitcnt lgkmcnt(0)
	v_add_u32_e32 v4, v55, v4
	ds_write_b32 v10, v4 offset:64
.LBB2559_49:
	s_or_b64 exec, exec, s[0:1]
	; wave barrier
	s_waitcnt lgkmcnt(0)
	s_barrier
	ds_read2_b32 v[6:7], v3 offset0:16 offset1:17
	ds_read2_b32 v[4:5], v57 offset0:2 offset1:3
	ds_read_b32 v29, v57 offset:16
	v_cmp_lt_u32_e64 s[10:11], 31, v1
	s_waitcnt lgkmcnt(1)
	v_add3_u32 v58, v7, v6, v4
	s_waitcnt lgkmcnt(0)
	v_add3_u32 v29, v58, v5, v29
	v_and_b32_e32 v58, 15, v1
	v_cmp_eq_u32_e32 vcc, 0, v58
	v_mov_b32_dpp v59, v29 row_shr:1 row_mask:0xf bank_mask:0xf
	v_cndmask_b32_e64 v59, v59, 0, vcc
	v_add_u32_e32 v29, v59, v29
	v_cmp_lt_u32_e64 s[0:1], 1, v58
	v_cmp_lt_u32_e64 s[2:3], 3, v58
	v_mov_b32_dpp v59, v29 row_shr:2 row_mask:0xf bank_mask:0xf
	v_cndmask_b32_e64 v59, 0, v59, s[0:1]
	v_add_u32_e32 v29, v29, v59
	v_cmp_lt_u32_e64 s[8:9], 7, v58
	s_nop 0
	v_mov_b32_dpp v59, v29 row_shr:4 row_mask:0xf bank_mask:0xf
	v_cndmask_b32_e64 v59, 0, v59, s[2:3]
	v_add_u32_e32 v29, v29, v59
	s_nop 1
	v_mov_b32_dpp v59, v29 row_shr:8 row_mask:0xf bank_mask:0xf
	v_cndmask_b32_e64 v58, 0, v59, s[8:9]
	v_add_u32_e32 v29, v29, v58
	v_bfe_i32 v59, v1, 4, 1
	s_nop 0
	v_mov_b32_dpp v58, v29 row_bcast:15 row_mask:0xf bank_mask:0xf
	v_and_b32_e32 v58, v59, v58
	v_add_u32_e32 v29, v29, v58
	v_lshrrev_b32_e32 v59, 6, v2
	s_nop 0
	v_mov_b32_dpp v58, v29 row_bcast:31 row_mask:0xf bank_mask:0xf
	v_cndmask_b32_e64 v58, 0, v58, s[10:11]
	v_add_u32_e32 v58, v29, v58
	v_and_b32_e32 v29, 63, v2
	v_cmp_eq_u32_e64 s[10:11], 63, v29
	s_and_saveexec_b64 s[18:19], s[10:11]
	s_cbranch_execz .LBB2559_51
; %bb.50:
	v_lshlrev_b32_e32 v29, 2, v59
	ds_write_b32 v29, v58
.LBB2559_51:
	s_or_b64 exec, exec, s[18:19]
	v_cmp_gt_u32_e64 s[10:11], 16, v2
	v_lshlrev_b32_e32 v29, 2, v2
	s_waitcnt lgkmcnt(0)
	s_barrier
	s_and_saveexec_b64 s[18:19], s[10:11]
	s_cbranch_execz .LBB2559_53
; %bb.52:
	ds_read_b32 v60, v29
	s_waitcnt lgkmcnt(0)
	s_nop 0
	v_mov_b32_dpp v61, v60 row_shr:1 row_mask:0xf bank_mask:0xf
	v_cndmask_b32_e64 v61, v61, 0, vcc
	v_add_u32_e32 v60, v61, v60
	s_nop 1
	v_mov_b32_dpp v61, v60 row_shr:2 row_mask:0xf bank_mask:0xf
	v_cndmask_b32_e64 v61, 0, v61, s[0:1]
	v_add_u32_e32 v60, v60, v61
	s_nop 1
	v_mov_b32_dpp v61, v60 row_shr:4 row_mask:0xf bank_mask:0xf
	v_cndmask_b32_e64 v61, 0, v61, s[2:3]
	;; [unrolled: 4-line block ×3, first 2 shown]
	v_add_u32_e32 v60, v60, v61
	ds_write_b32 v29, v60
.LBB2559_53:
	s_or_b64 exec, exec, s[18:19]
	v_cmp_lt_u32_e32 vcc, 63, v2
	v_mov_b32_e32 v60, 0
	s_waitcnt lgkmcnt(0)
	s_barrier
	s_and_saveexec_b64 s[0:1], vcc
	s_cbranch_execz .LBB2559_55
; %bb.54:
	v_lshl_add_u32 v59, v59, 2, -4
	ds_read_b32 v60, v59
.LBB2559_55:
	s_or_b64 exec, exec, s[0:1]
	v_add_u32_e32 v59, -1, v1
	v_and_b32_e32 v61, 64, v1
	v_cmp_lt_i32_e32 vcc, v59, v61
	v_cndmask_b32_e32 v59, v59, v1, vcc
	s_waitcnt lgkmcnt(0)
	v_add_u32_e32 v58, v60, v58
	v_lshlrev_b32_e32 v59, 2, v59
	ds_bpermute_b32 v58, v59, v58
	v_cmp_eq_u32_e32 vcc, 0, v1
	s_movk_i32 s2, 0xff
	s_movk_i32 s0, 0x100
	v_cmp_gt_u32_e64 s[0:1], s0, v2
	s_waitcnt lgkmcnt(0)
	v_cndmask_b32_e32 v1, v58, v60, vcc
	v_cmp_ne_u32_e32 vcc, 0, v2
	v_cndmask_b32_e32 v1, 0, v1, vcc
	v_add_u32_e32 v6, v1, v6
	v_add_u32_e32 v7, v6, v7
	;; [unrolled: 1-line block ×4, first 2 shown]
	ds_write2_b32 v3, v1, v6 offset0:16 offset1:17
	ds_write2_b32 v57, v7, v4 offset0:2 offset1:3
	ds_write_b32 v57, v5 offset:16
	s_waitcnt lgkmcnt(0)
	s_barrier
	ds_read_b32 v59, v8 offset:64
	ds_read_b32 v1, v9 offset:64
	;; [unrolled: 1-line block ×12, first 2 shown]
	v_cmp_lt_u32_e32 vcc, s2, v2
	v_pk_mov_b32 v[4:5], 0, 0
                                        ; implicit-def: $vgpr30
	s_and_saveexec_b64 s[8:9], s[0:1]
	s_cbranch_execz .LBB2559_59
; %bb.56:
	v_mul_u32_u24_e32 v3, 17, v2
	v_lshlrev_b32_e32 v5, 2, v3
	ds_read_b32 v4, v5 offset:64
	v_cmp_ne_u32_e64 s[2:3], s2, v2
	v_mov_b32_e32 v3, 0x3000
	s_and_saveexec_b64 s[10:11], s[2:3]
	s_cbranch_execz .LBB2559_58
; %bb.57:
	ds_read_b32 v3, v5 offset:132
.LBB2559_58:
	s_or_b64 exec, exec, s[10:11]
	s_waitcnt lgkmcnt(0)
	v_sub_u32_e32 v30, v3, v4
	v_mov_b32_e32 v5, 0
.LBB2559_59:
	s_or_b64 exec, exec, s[8:9]
	s_waitcnt lgkmcnt(0)
	s_barrier
	s_and_saveexec_b64 s[2:3], vcc
	s_xor_b64 s[2:3], exec, s[2:3]
; %bb.60:
	v_mov_b32_e32 v3, 0
; %bb.61:
	s_andn2_saveexec_b64 s[2:3], s[2:3]
	s_cbranch_execz .LBB2559_71
; %bb.62:
	v_lshl_or_b32 v6, s6, 8, v2
	v_mov_b32_e32 v7, 0
	v_lshlrev_b64 v[8:9], 2, v[6:7]
	v_mov_b32_e32 v3, s25
	v_add_co_u32_e32 v8, vcc, s24, v8
	v_addc_co_u32_e32 v9, vcc, v3, v9, vcc
	v_or_b32_e32 v6, 2.0, v30
	s_mov_b64 s[8:9], 0
	s_brev_b32 s29, 1
	s_mov_b32 s30, s6
	v_mov_b32_e32 v61, 0
	global_store_dword v[8:9], v6, off
                                        ; implicit-def: $sgpr10_sgpr11
	s_branch .LBB2559_64
.LBB2559_63:                            ;   in Loop: Header=BB2559_64 Depth=1
	s_or_b64 exec, exec, s[10:11]
	v_and_b32_e32 v10, 0x3fffffff, v62
	v_add_u32_e32 v61, v10, v61
	v_cmp_eq_u32_e64 s[10:11], s29, v6
	s_and_b64 s[18:19], exec, s[10:11]
	s_or_b64 s[8:9], s[18:19], s[8:9]
	s_andn2_b64 exec, exec, s[8:9]
	s_cbranch_execz .LBB2559_70
.LBB2559_64:                            ; =>This Loop Header: Depth=1
                                        ;     Child Loop BB2559_67 Depth 2
	s_or_b64 s[10:11], s[10:11], exec
	s_cmp_eq_u32 s30, 0
	s_cbranch_scc1 .LBB2559_69
; %bb.65:                               ;   in Loop: Header=BB2559_64 Depth=1
	s_add_i32 s30, s30, -1
	v_lshl_or_b32 v6, s30, 8, v2
	v_lshlrev_b64 v[10:11], 2, v[6:7]
	v_add_co_u32_e32 v10, vcc, s24, v10
	v_addc_co_u32_e32 v11, vcc, v3, v11, vcc
	global_load_dword v62, v[10:11], off glc
	s_waitcnt vmcnt(0)
	v_and_b32_e32 v6, -2.0, v62
	v_cmp_eq_u32_e32 vcc, 0, v6
	s_and_saveexec_b64 s[10:11], vcc
	s_cbranch_execz .LBB2559_63
; %bb.66:                               ;   in Loop: Header=BB2559_64 Depth=1
	s_mov_b64 s[18:19], 0
.LBB2559_67:                            ;   Parent Loop BB2559_64 Depth=1
                                        ; =>  This Inner Loop Header: Depth=2
	global_load_dword v62, v[10:11], off glc
	s_waitcnt vmcnt(0)
	v_and_b32_e32 v6, -2.0, v62
	v_cmp_ne_u32_e32 vcc, 0, v6
	s_or_b64 s[18:19], vcc, s[18:19]
	s_andn2_b64 exec, exec, s[18:19]
	s_cbranch_execnz .LBB2559_67
; %bb.68:                               ;   in Loop: Header=BB2559_64 Depth=1
	s_or_b64 exec, exec, s[18:19]
	s_branch .LBB2559_63
.LBB2559_69:                            ;   in Loop: Header=BB2559_64 Depth=1
                                        ; implicit-def: $sgpr30
	s_and_b64 s[18:19], exec, s[10:11]
	s_or_b64 s[8:9], s[18:19], s[8:9]
	s_andn2_b64 exec, exec, s[8:9]
	s_cbranch_execnz .LBB2559_64
.LBB2559_70:
	s_or_b64 exec, exec, s[8:9]
	v_add_u32_e32 v3, v61, v30
	v_or_b32_e32 v3, 0x80000000, v3
	global_store_dword v[8:9], v3, off
	v_lshlrev_b32_e32 v8, 3, v2
	global_load_dwordx2 v[6:7], v8, s[12:13]
	v_sub_co_u32_e32 v9, vcc, v61, v4
	v_subb_co_u32_e32 v10, vcc, 0, v5, vcc
	v_mov_b32_e32 v3, 0
	s_waitcnt vmcnt(0)
	v_add_co_u32_e32 v6, vcc, v9, v6
	v_addc_co_u32_e32 v7, vcc, v10, v7, vcc
	ds_write_b64 v8, v[6:7]
.LBB2559_71:
	s_or_b64 exec, exec, s[2:3]
	v_add3_u32 v33, v36, v40, v33
	v_add3_u32 v27, v31, v37, v27
	v_lshlrev_b64 v[36:37], 2, v[2:3]
	v_add3_u32 v17, v19, v1, v17
	v_mov_b32_e32 v1, s23
	v_add_co_u32_e32 v6, vcc, s22, v36
	v_add_u32_e32 v7, v59, v16
	v_add_u32_e32 v8, 0x800, v29
	v_add3_u32 v9, v56, v60, v55
	v_add3_u32 v10, v54, v52, v53
	;; [unrolled: 1-line block ×8, first 2 shown]
	v_addc_co_u32_e32 v1, vcc, v1, v37, vcc
	s_mov_b32 s8, 0
	s_brev_b32 s9, 1
	v_bfrev_b32_e32 v19, -2
	s_mov_b32 s10, 0
	s_branch .LBB2559_73
.LBB2559_72:                            ;   in Loop: Header=BB2559_73 Depth=1
	s_or_b64 exec, exec, s[2:3]
	s_addk_i32 s10, 0x1000
	s_addk_i32 s8, 0xf000
	v_add_co_u32_e32 v6, vcc, 0x4000, v6
	s_cmpk_eq_i32 s8, 0xd000
	v_addc_co_u32_e32 v1, vcc, 0, v1, vcc
	s_barrier
	s_cbranch_scc1 .LBB2559_82
.LBB2559_73:                            ; =>This Inner Loop Header: Depth=1
	v_add_u32_e32 v22, s8, v7
	v_min_u32_e32 v22, 0x1000, v22
	v_lshlrev_b32_e32 v22, 2, v22
	ds_write_b32 v22, v13 offset:2048
	v_add_u32_e32 v22, s8, v17
	v_min_u32_e32 v22, 0x1000, v22
	v_lshlrev_b32_e32 v22, 2, v22
	ds_write_b32 v22, v14 offset:2048
	;; [unrolled: 4-line block ×12, first 2 shown]
	v_add_u32_e32 v22, s10, v2
	v_cmp_gt_u32_e32 vcc, s7, v22
	s_waitcnt lgkmcnt(0)
	s_barrier
	s_and_saveexec_b64 s[2:3], vcc
	s_cbranch_execz .LBB2559_75
; %bb.74:                               ;   in Loop: Header=BB2559_73 Depth=1
	ds_read_b32 v25, v29 offset:2048
	s_waitcnt lgkmcnt(0)
	v_cmp_ne_u32_e32 vcc, s9, v25
	v_cndmask_b32_e32 v31, v19, v25, vcc
	v_lshrrev_b32_e32 v31, s16, v31
	v_and_b32_e32 v31, s28, v31
	v_lshlrev_b32_e32 v31, 3, v31
	ds_read_b64 v[36:37], v31
	v_cmp_gt_i32_e32 vcc, 0, v25
	v_cndmask_b32_e64 v31, v19, 0, vcc
	v_xor_b32_e32 v25, v31, v25
	s_waitcnt lgkmcnt(0)
	v_lshlrev_b64 v[36:37], 2, v[36:37]
	v_add_co_u32_e32 v36, vcc, v6, v36
	v_addc_co_u32_e32 v37, vcc, v1, v37, vcc
	global_store_dword v[36:37], v25, off
.LBB2559_75:                            ;   in Loop: Header=BB2559_73 Depth=1
	s_or_b64 exec, exec, s[2:3]
	v_add_u32_e32 v25, 0x400, v22
	v_cmp_gt_u32_e32 vcc, s7, v25
	s_and_saveexec_b64 s[2:3], vcc
	s_cbranch_execz .LBB2559_77
; %bb.76:                               ;   in Loop: Header=BB2559_73 Depth=1
	ds_read_b32 v25, v8 offset:4096
	s_waitcnt lgkmcnt(0)
	v_cmp_ne_u32_e32 vcc, s9, v25
	v_cndmask_b32_e32 v31, v19, v25, vcc
	v_lshrrev_b32_e32 v31, s16, v31
	v_and_b32_e32 v31, s28, v31
	v_lshlrev_b32_e32 v31, 3, v31
	ds_read_b64 v[36:37], v31
	v_cmp_gt_i32_e32 vcc, 0, v25
	v_cndmask_b32_e64 v31, v19, 0, vcc
	v_xor_b32_e32 v25, v31, v25
	s_waitcnt lgkmcnt(0)
	v_lshlrev_b64 v[36:37], 2, v[36:37]
	v_add_co_u32_e32 v31, vcc, v6, v36
	v_addc_co_u32_e32 v37, vcc, v1, v37, vcc
	v_add_co_u32_e32 v36, vcc, 0x1000, v31
	v_addc_co_u32_e32 v37, vcc, 0, v37, vcc
	global_store_dword v[36:37], v25, off
.LBB2559_77:                            ;   in Loop: Header=BB2559_73 Depth=1
	s_or_b64 exec, exec, s[2:3]
	v_add_u32_e32 v25, 0x800, v22
	v_cmp_gt_u32_e32 vcc, s7, v25
	s_and_saveexec_b64 s[2:3], vcc
	s_cbranch_execz .LBB2559_79
; %bb.78:                               ;   in Loop: Header=BB2559_73 Depth=1
	ds_read_b32 v25, v8 offset:8192
	s_waitcnt lgkmcnt(0)
	v_cmp_ne_u32_e32 vcc, s9, v25
	v_cndmask_b32_e32 v31, v19, v25, vcc
	v_lshrrev_b32_e32 v31, s16, v31
	v_and_b32_e32 v31, s28, v31
	v_lshlrev_b32_e32 v31, 3, v31
	ds_read_b64 v[36:37], v31
	v_cmp_gt_i32_e32 vcc, 0, v25
	v_cndmask_b32_e64 v31, v19, 0, vcc
	v_xor_b32_e32 v25, v31, v25
	s_waitcnt lgkmcnt(0)
	v_lshlrev_b64 v[36:37], 2, v[36:37]
	v_add_co_u32_e32 v31, vcc, v6, v36
	v_addc_co_u32_e32 v37, vcc, v1, v37, vcc
	v_add_co_u32_e32 v36, vcc, 0x2000, v31
	v_addc_co_u32_e32 v37, vcc, 0, v37, vcc
	global_store_dword v[36:37], v25, off
.LBB2559_79:                            ;   in Loop: Header=BB2559_73 Depth=1
	s_or_b64 exec, exec, s[2:3]
	v_add_u32_e32 v22, 0xc00, v22
	v_cmp_gt_u32_e32 vcc, s7, v22
	s_and_saveexec_b64 s[2:3], vcc
	s_cbranch_execz .LBB2559_72
; %bb.80:                               ;   in Loop: Header=BB2559_73 Depth=1
	ds_read_b32 v22, v8 offset:12288
	s_waitcnt lgkmcnt(0)
	v_cmp_ne_u32_e32 vcc, s9, v22
	v_cndmask_b32_e32 v25, v19, v22, vcc
	v_lshrrev_b32_e32 v25, s16, v25
	v_and_b32_e32 v25, s28, v25
	v_lshlrev_b32_e32 v25, 3, v25
	ds_read_b64 v[36:37], v25
	v_cmp_gt_i32_e32 vcc, 0, v22
	v_cndmask_b32_e64 v25, v19, 0, vcc
	v_xor_b32_e32 v22, v25, v22
	s_waitcnt lgkmcnt(0)
	v_lshlrev_b64 v[36:37], 2, v[36:37]
	v_add_co_u32_e32 v25, vcc, v6, v36
	v_addc_co_u32_e32 v31, vcc, v1, v37, vcc
	v_add_co_u32_e32 v36, vcc, 0x3000, v25
	v_addc_co_u32_e32 v37, vcc, 0, v31, vcc
	global_store_dword v[36:37], v22, off
	s_branch .LBB2559_72
.LBB2559_81:
	s_mov_b64 s[0:1], 0
                                        ; implicit-def: $vgpr2
                                        ; implicit-def: $vgpr4_vgpr5
                                        ; implicit-def: $vgpr30
	s_cbranch_execnz .LBB2559_83
	s_branch .LBB2559_132
.LBB2559_82:
	s_add_i32 s27, s27, -1
	s_cmp_eq_u32 s27, s6
	s_cselect_b64 s[2:3], -1, 0
	s_and_b64 s[0:1], s[0:1], s[2:3]
	s_branch .LBB2559_132
.LBB2559_83:
	s_mov_b32 s27, 0
	v_mbcnt_hi_u32_b32 v3, -1, v12
	s_lshl_b64 s[0:1], s[26:27], 2
	v_and_b32_e32 v1, 63, v3
	s_add_u32 s0, s20, s0
	v_lshlrev_b32_e32 v1, 2, v1
	v_and_b32_e32 v2, 0x3ff, v0
	v_add_co_u32_e32 v1, vcc, s0, v1
	s_load_dword s7, s[4:5], 0x58
	s_load_dword s0, s[4:5], 0x64
	s_addc_u32 s1, s21, s1
	v_and_b32_e32 v5, 0x3c0, v2
	v_mul_u32_u24_e32 v5, 12, v5
	v_mov_b32_e32 v6, s1
	v_addc_co_u32_e32 v6, vcc, 0, v6, vcc
	v_lshlrev_b32_e32 v5, 2, v5
	v_add_co_u32_e32 v14, vcc, v1, v5
	s_add_u32 s1, s4, 0x58
	v_addc_co_u32_e32 v15, vcc, 0, v6, vcc
	s_addc_u32 s2, s5, 0
	s_waitcnt lgkmcnt(0)
	s_lshr_b32 s3, s0, 16
	global_load_dword v1, v[14:15], off
	s_cmp_lt_u32 s6, s7
	s_cselect_b32 s0, 12, 18
	s_add_u32 s0, s1, s0
	v_mov_b32_e32 v4, 0
	s_addc_u32 s1, s2, 0
	global_load_ushort v5, v4, s[0:1]
	v_mul_u32_u24_e32 v6, 5, v2
	v_lshlrev_b32_e32 v6, 2, v6
	ds_write2_b32 v6, v4, v4 offset0:16 offset1:17
	ds_write2_b32 v6, v4, v4 offset0:18 offset1:19
	ds_write_b32 v6, v4 offset:80
	global_load_dword v11, v[14:15], off offset:256
	global_load_dword v12, v[14:15], off offset:512
	;; [unrolled: 1-line block ×11, first 2 shown]
	v_bfrev_b32_e32 v8, -2
	v_bfe_u32 v7, v0, 10, 10
	v_bfe_u32 v0, v0, 20, 10
	v_mad_u32_u24 v0, v0, s3, v7
	s_brev_b32 s2, 1
	s_lshl_b32 s0, -1, s17
	s_not_b32 s17, s0
	s_waitcnt lgkmcnt(0)
	s_barrier
	s_waitcnt lgkmcnt(0)
	; wave barrier
	s_waitcnt vmcnt(12)
	v_cmp_gt_i32_e32 vcc, 0, v1
	v_cndmask_b32_e64 v7, v8, 0, vcc
	v_xor_b32_e32 v10, v7, v1
	v_cmp_ne_u32_e32 vcc, s2, v10
	v_cndmask_b32_e32 v7, v8, v10, vcc
	s_waitcnt vmcnt(11)
	v_mad_u64_u32 v[0:1], s[0:1], v0, v5, v[2:3]
	v_lshrrev_b32_e32 v1, s16, v7
	v_lshrrev_b32_e32 v22, 6, v0
	v_and_b32_e32 v0, s17, v1
	v_lshl_add_u32 v1, v0, 4, v0
	v_and_b32_e32 v14, 1, v0
	v_add_lshl_u32 v7, v22, v1, 2
	v_add_co_u32_e32 v1, vcc, -1, v14
	v_lshlrev_b32_e32 v5, 30, v0
	v_addc_co_u32_e64 v15, s[0:1], 0, -1, vcc
	v_cmp_ne_u32_e32 vcc, 0, v14
	v_cmp_gt_i64_e64 s[0:1], 0, v[4:5]
	v_not_b32_e32 v14, v5
	v_lshlrev_b32_e32 v5, 29, v0
	v_xor_b32_e32 v15, vcc_hi, v15
	v_xor_b32_e32 v1, vcc_lo, v1
	v_ashrrev_i32_e32 v14, 31, v14
	v_cmp_gt_i64_e32 vcc, 0, v[4:5]
	v_not_b32_e32 v17, v5
	v_lshlrev_b32_e32 v5, 28, v0
	v_and_b32_e32 v15, exec_hi, v15
	v_and_b32_e32 v1, exec_lo, v1
	v_xor_b32_e32 v18, s1, v14
	v_xor_b32_e32 v14, s0, v14
	v_ashrrev_i32_e32 v17, 31, v17
	v_cmp_gt_i64_e64 s[0:1], 0, v[4:5]
	v_not_b32_e32 v5, v5
	v_and_b32_e32 v15, v15, v18
	v_and_b32_e32 v1, v1, v14
	v_xor_b32_e32 v14, vcc_hi, v17
	v_xor_b32_e32 v17, vcc_lo, v17
	v_ashrrev_i32_e32 v5, 31, v5
	v_and_b32_e32 v14, v15, v14
	v_and_b32_e32 v1, v1, v17
	v_xor_b32_e32 v15, s1, v5
	v_xor_b32_e32 v5, s0, v5
	v_and_b32_e32 v1, v1, v5
	v_lshlrev_b32_e32 v5, 27, v0
	v_cmp_gt_i64_e32 vcc, 0, v[4:5]
	v_not_b32_e32 v5, v5
	v_ashrrev_i32_e32 v5, 31, v5
	v_and_b32_e32 v14, v14, v15
	v_xor_b32_e32 v15, vcc_hi, v5
	v_xor_b32_e32 v5, vcc_lo, v5
	v_and_b32_e32 v1, v1, v5
	v_lshlrev_b32_e32 v5, 26, v0
	v_cmp_gt_i64_e32 vcc, 0, v[4:5]
	v_not_b32_e32 v5, v5
	v_ashrrev_i32_e32 v5, 31, v5
	v_and_b32_e32 v14, v14, v15
	v_xor_b32_e32 v15, vcc_hi, v5
	v_xor_b32_e32 v5, vcc_lo, v5
	;; [unrolled: 8-line block ×3, first 2 shown]
	v_and_b32_e32 v14, v14, v15
	v_and_b32_e32 v15, v1, v5
	v_lshlrev_b32_e32 v5, 24, v0
	v_not_b32_e32 v0, v5
	v_cmp_gt_i64_e32 vcc, 0, v[4:5]
	v_ashrrev_i32_e32 v0, 31, v0
	v_xor_b32_e32 v1, vcc_hi, v0
	v_xor_b32_e32 v0, vcc_lo, v0
	v_and_b32_e32 v0, v15, v0
	v_and_b32_e32 v1, v14, v1
	v_mbcnt_lo_u32_b32 v5, v0, 0
	v_mbcnt_hi_u32_b32 v14, v1, v5
	v_cmp_eq_u32_e32 vcc, 0, v14
	v_cmp_ne_u64_e64 s[0:1], 0, v[0:1]
	s_and_b64 s[4:5], s[0:1], vcc
	s_and_saveexec_b64 s[0:1], s[4:5]
	s_cbranch_execz .LBB2559_85
; %bb.84:
	v_bcnt_u32_b32 v0, v0, 0
	v_bcnt_u32_b32 v0, v1, v0
	ds_write_b32 v7, v0 offset:64
.LBB2559_85:
	s_or_b64 exec, exec, s[0:1]
	s_waitcnt vmcnt(10)
	v_cmp_gt_i32_e32 vcc, 0, v11
	v_cndmask_b32_e64 v0, v8, 0, vcc
	v_xor_b32_e32 v11, v0, v11
	v_cmp_ne_u32_e32 vcc, s2, v11
	v_cndmask_b32_e32 v0, v8, v11, vcc
	v_lshrrev_b32_e32 v0, s16, v0
	v_and_b32_e32 v0, s17, v0
	v_lshl_add_u32 v1, v0, 4, v0
	v_add_lshl_u32 v8, v22, v1, 2
	v_and_b32_e32 v1, 1, v0
	v_add_co_u32_e32 v5, vcc, -1, v1
	v_addc_co_u32_e64 v17, s[0:1], 0, -1, vcc
	v_cmp_ne_u32_e32 vcc, 0, v1
	v_xor_b32_e32 v5, vcc_lo, v5
	v_xor_b32_e32 v1, vcc_hi, v17
	v_and_b32_e32 v17, exec_lo, v5
	v_lshlrev_b32_e32 v5, 30, v0
	v_cmp_gt_i64_e32 vcc, 0, v[4:5]
	v_not_b32_e32 v5, v5
	v_ashrrev_i32_e32 v5, 31, v5
	v_xor_b32_e32 v18, vcc_hi, v5
	v_xor_b32_e32 v5, vcc_lo, v5
	v_and_b32_e32 v17, v17, v5
	v_lshlrev_b32_e32 v5, 29, v0
	v_cmp_gt_i64_e32 vcc, 0, v[4:5]
	v_not_b32_e32 v5, v5
	v_and_b32_e32 v1, exec_hi, v1
	v_ashrrev_i32_e32 v5, 31, v5
	v_and_b32_e32 v1, v1, v18
	v_xor_b32_e32 v18, vcc_hi, v5
	v_xor_b32_e32 v5, vcc_lo, v5
	v_and_b32_e32 v17, v17, v5
	v_lshlrev_b32_e32 v5, 28, v0
	v_cmp_gt_i64_e32 vcc, 0, v[4:5]
	v_not_b32_e32 v5, v5
	v_ashrrev_i32_e32 v5, 31, v5
	v_and_b32_e32 v1, v1, v18
	v_xor_b32_e32 v18, vcc_hi, v5
	v_xor_b32_e32 v5, vcc_lo, v5
	v_and_b32_e32 v17, v17, v5
	v_lshlrev_b32_e32 v5, 27, v0
	v_cmp_gt_i64_e32 vcc, 0, v[4:5]
	v_not_b32_e32 v5, v5
	;; [unrolled: 8-line block ×4, first 2 shown]
	v_ashrrev_i32_e32 v5, 31, v5
	v_and_b32_e32 v1, v1, v18
	v_xor_b32_e32 v18, vcc_hi, v5
	v_xor_b32_e32 v5, vcc_lo, v5
	v_and_b32_e32 v17, v17, v5
	v_lshlrev_b32_e32 v5, 24, v0
	v_not_b32_e32 v0, v5
	v_cmp_gt_i64_e32 vcc, 0, v[4:5]
	v_ashrrev_i32_e32 v0, 31, v0
	v_xor_b32_e32 v4, vcc_hi, v0
	v_xor_b32_e32 v0, vcc_lo, v0
	; wave barrier
	ds_read_b32 v15, v8 offset:64
	v_and_b32_e32 v1, v1, v18
	v_and_b32_e32 v0, v17, v0
	;; [unrolled: 1-line block ×3, first 2 shown]
	v_mbcnt_lo_u32_b32 v4, v0, 0
	v_mbcnt_hi_u32_b32 v17, v1, v4
	v_cmp_eq_u32_e32 vcc, 0, v17
	v_cmp_ne_u64_e64 s[0:1], 0, v[0:1]
	s_and_b64 s[2:3], s[0:1], vcc
	; wave barrier
	s_and_saveexec_b64 s[0:1], s[2:3]
	s_cbranch_execz .LBB2559_87
; %bb.86:
	v_bcnt_u32_b32 v0, v0, 0
	v_bcnt_u32_b32 v0, v1, v0
	s_waitcnt lgkmcnt(0)
	v_add_u32_e32 v0, v15, v0
	ds_write_b32 v8, v0 offset:64
.LBB2559_87:
	s_or_b64 exec, exec, s[0:1]
	v_bfrev_b32_e32 v21, -2
	s_waitcnt vmcnt(9)
	v_cmp_gt_i32_e32 vcc, 0, v12
	v_cndmask_b32_e64 v1, v21, 0, vcc
	v_xor_b32_e32 v12, v1, v12
	s_brev_b32 s2, 1
	v_cmp_ne_u32_e32 vcc, s2, v12
	v_cndmask_b32_e32 v1, v21, v12, vcc
	v_lshrrev_b32_e32 v1, s16, v1
	v_and_b32_e32 v4, s17, v1
	v_lshl_add_u32 v1, v4, 4, v4
	v_add_lshl_u32 v25, v22, v1, 2
	v_and_b32_e32 v1, 1, v4
	v_add_co_u32_e32 v5, vcc, -1, v1
	v_addc_co_u32_e64 v20, s[0:1], 0, -1, vcc
	v_cmp_ne_u32_e32 vcc, 0, v1
	v_xor_b32_e32 v1, vcc_hi, v20
	v_mov_b32_e32 v0, 0
	v_and_b32_e32 v20, exec_hi, v1
	v_lshlrev_b32_e32 v1, 30, v4
	v_xor_b32_e32 v5, vcc_lo, v5
	v_cmp_gt_i64_e32 vcc, 0, v[0:1]
	v_not_b32_e32 v1, v1
	v_ashrrev_i32_e32 v1, 31, v1
	v_and_b32_e32 v5, exec_lo, v5
	v_xor_b32_e32 v24, vcc_hi, v1
	v_xor_b32_e32 v1, vcc_lo, v1
	v_and_b32_e32 v5, v5, v1
	v_lshlrev_b32_e32 v1, 29, v4
	v_cmp_gt_i64_e32 vcc, 0, v[0:1]
	v_not_b32_e32 v1, v1
	v_ashrrev_i32_e32 v1, 31, v1
	v_and_b32_e32 v20, v20, v24
	v_xor_b32_e32 v24, vcc_hi, v1
	v_xor_b32_e32 v1, vcc_lo, v1
	v_and_b32_e32 v5, v5, v1
	v_lshlrev_b32_e32 v1, 28, v4
	v_cmp_gt_i64_e32 vcc, 0, v[0:1]
	v_not_b32_e32 v1, v1
	v_ashrrev_i32_e32 v1, 31, v1
	v_and_b32_e32 v20, v20, v24
	;; [unrolled: 8-line block ×5, first 2 shown]
	v_xor_b32_e32 v24, vcc_hi, v1
	v_xor_b32_e32 v1, vcc_lo, v1
	v_and_b32_e32 v20, v20, v24
	v_and_b32_e32 v24, v5, v1
	v_lshlrev_b32_e32 v1, 24, v4
	v_cmp_gt_i64_e32 vcc, 0, v[0:1]
	v_not_b32_e32 v1, v1
	v_ashrrev_i32_e32 v1, 31, v1
	v_xor_b32_e32 v4, vcc_hi, v1
	v_xor_b32_e32 v1, vcc_lo, v1
	; wave barrier
	ds_read_b32 v18, v25 offset:64
	v_and_b32_e32 v5, v20, v4
	v_and_b32_e32 v4, v24, v1
	v_mbcnt_lo_u32_b32 v1, v4, 0
	v_mbcnt_hi_u32_b32 v20, v5, v1
	v_cmp_eq_u32_e32 vcc, 0, v20
	v_cmp_ne_u64_e64 s[0:1], 0, v[4:5]
	s_and_b64 s[4:5], s[0:1], vcc
	; wave barrier
	s_and_saveexec_b64 s[0:1], s[4:5]
	s_cbranch_execz .LBB2559_89
; %bb.88:
	v_bcnt_u32_b32 v1, v4, 0
	v_bcnt_u32_b32 v1, v5, v1
	s_waitcnt lgkmcnt(0)
	v_add_u32_e32 v1, v18, v1
	ds_write_b32 v25, v1 offset:64
.LBB2559_89:
	s_or_b64 exec, exec, s[0:1]
	s_waitcnt vmcnt(8)
	v_cmp_gt_i32_e32 vcc, 0, v13
	v_cndmask_b32_e64 v1, v21, 0, vcc
	v_xor_b32_e32 v13, v1, v13
	v_cmp_ne_u32_e32 vcc, s2, v13
	v_cndmask_b32_e32 v1, v21, v13, vcc
	v_lshrrev_b32_e32 v1, s16, v1
	v_and_b32_e32 v4, s17, v1
	v_lshl_add_u32 v1, v4, 4, v4
	v_add_lshl_u32 v30, v22, v1, 2
	v_and_b32_e32 v1, 1, v4
	v_add_co_u32_e32 v5, vcc, -1, v1
	v_addc_co_u32_e64 v24, s[0:1], 0, -1, vcc
	v_cmp_ne_u32_e32 vcc, 0, v1
	v_xor_b32_e32 v1, vcc_hi, v24
	v_and_b32_e32 v24, exec_hi, v1
	v_lshlrev_b32_e32 v1, 30, v4
	v_xor_b32_e32 v5, vcc_lo, v5
	v_cmp_gt_i64_e32 vcc, 0, v[0:1]
	v_not_b32_e32 v1, v1
	v_ashrrev_i32_e32 v1, 31, v1
	v_and_b32_e32 v5, exec_lo, v5
	v_xor_b32_e32 v26, vcc_hi, v1
	v_xor_b32_e32 v1, vcc_lo, v1
	v_and_b32_e32 v5, v5, v1
	v_lshlrev_b32_e32 v1, 29, v4
	v_cmp_gt_i64_e32 vcc, 0, v[0:1]
	v_not_b32_e32 v1, v1
	v_ashrrev_i32_e32 v1, 31, v1
	v_and_b32_e32 v24, v24, v26
	v_xor_b32_e32 v26, vcc_hi, v1
	v_xor_b32_e32 v1, vcc_lo, v1
	v_and_b32_e32 v5, v5, v1
	v_lshlrev_b32_e32 v1, 28, v4
	v_cmp_gt_i64_e32 vcc, 0, v[0:1]
	v_not_b32_e32 v1, v1
	v_ashrrev_i32_e32 v1, 31, v1
	v_and_b32_e32 v24, v24, v26
	;; [unrolled: 8-line block ×5, first 2 shown]
	v_xor_b32_e32 v26, vcc_hi, v1
	v_xor_b32_e32 v1, vcc_lo, v1
	v_and_b32_e32 v5, v5, v1
	v_lshlrev_b32_e32 v1, 24, v4
	v_cmp_gt_i64_e32 vcc, 0, v[0:1]
	v_not_b32_e32 v0, v1
	v_ashrrev_i32_e32 v0, 31, v0
	v_xor_b32_e32 v1, vcc_hi, v0
	v_xor_b32_e32 v0, vcc_lo, v0
	; wave barrier
	ds_read_b32 v21, v30 offset:64
	v_and_b32_e32 v24, v24, v26
	v_and_b32_e32 v0, v5, v0
	;; [unrolled: 1-line block ×3, first 2 shown]
	v_mbcnt_lo_u32_b32 v4, v0, 0
	v_mbcnt_hi_u32_b32 v24, v1, v4
	v_cmp_eq_u32_e32 vcc, 0, v24
	v_cmp_ne_u64_e64 s[0:1], 0, v[0:1]
	s_and_b64 s[2:3], s[0:1], vcc
	; wave barrier
	s_and_saveexec_b64 s[0:1], s[2:3]
	s_cbranch_execz .LBB2559_91
; %bb.90:
	v_bcnt_u32_b32 v0, v0, 0
	v_bcnt_u32_b32 v0, v1, v0
	s_waitcnt lgkmcnt(0)
	v_add_u32_e32 v0, v21, v0
	ds_write_b32 v30, v0 offset:64
.LBB2559_91:
	s_or_b64 exec, exec, s[0:1]
	v_bfrev_b32_e32 v31, -2
	s_waitcnt vmcnt(7)
	v_cmp_gt_i32_e32 vcc, 0, v16
	v_cndmask_b32_e64 v1, v31, 0, vcc
	v_xor_b32_e32 v16, v1, v16
	s_brev_b32 s2, 1
	v_cmp_ne_u32_e32 vcc, s2, v16
	v_cndmask_b32_e32 v1, v31, v16, vcc
	v_lshrrev_b32_e32 v1, s16, v1
	v_and_b32_e32 v4, s17, v1
	v_lshl_add_u32 v1, v4, 4, v4
	v_add_lshl_u32 v35, v22, v1, 2
	v_and_b32_e32 v1, 1, v4
	v_add_co_u32_e32 v5, vcc, -1, v1
	v_addc_co_u32_e64 v29, s[0:1], 0, -1, vcc
	v_cmp_ne_u32_e32 vcc, 0, v1
	v_xor_b32_e32 v1, vcc_hi, v29
	v_mov_b32_e32 v0, 0
	v_and_b32_e32 v29, exec_hi, v1
	v_lshlrev_b32_e32 v1, 30, v4
	v_xor_b32_e32 v5, vcc_lo, v5
	v_cmp_gt_i64_e32 vcc, 0, v[0:1]
	v_not_b32_e32 v1, v1
	v_ashrrev_i32_e32 v1, 31, v1
	v_and_b32_e32 v5, exec_lo, v5
	v_xor_b32_e32 v34, vcc_hi, v1
	v_xor_b32_e32 v1, vcc_lo, v1
	v_and_b32_e32 v5, v5, v1
	v_lshlrev_b32_e32 v1, 29, v4
	v_cmp_gt_i64_e32 vcc, 0, v[0:1]
	v_not_b32_e32 v1, v1
	v_ashrrev_i32_e32 v1, 31, v1
	v_and_b32_e32 v29, v29, v34
	v_xor_b32_e32 v34, vcc_hi, v1
	v_xor_b32_e32 v1, vcc_lo, v1
	v_and_b32_e32 v5, v5, v1
	v_lshlrev_b32_e32 v1, 28, v4
	v_cmp_gt_i64_e32 vcc, 0, v[0:1]
	v_not_b32_e32 v1, v1
	v_ashrrev_i32_e32 v1, 31, v1
	v_and_b32_e32 v29, v29, v34
	;; [unrolled: 8-line block ×5, first 2 shown]
	v_xor_b32_e32 v34, vcc_hi, v1
	v_xor_b32_e32 v1, vcc_lo, v1
	v_and_b32_e32 v29, v29, v34
	v_and_b32_e32 v34, v5, v1
	v_lshlrev_b32_e32 v1, 24, v4
	v_cmp_gt_i64_e32 vcc, 0, v[0:1]
	v_not_b32_e32 v1, v1
	v_ashrrev_i32_e32 v1, 31, v1
	v_xor_b32_e32 v4, vcc_hi, v1
	v_xor_b32_e32 v1, vcc_lo, v1
	; wave barrier
	ds_read_b32 v26, v35 offset:64
	v_and_b32_e32 v5, v29, v4
	v_and_b32_e32 v4, v34, v1
	v_mbcnt_lo_u32_b32 v1, v4, 0
	v_mbcnt_hi_u32_b32 v29, v5, v1
	v_cmp_eq_u32_e32 vcc, 0, v29
	v_cmp_ne_u64_e64 s[0:1], 0, v[4:5]
	s_and_b64 s[4:5], s[0:1], vcc
	; wave barrier
	s_and_saveexec_b64 s[0:1], s[4:5]
	s_cbranch_execz .LBB2559_93
; %bb.92:
	v_bcnt_u32_b32 v1, v4, 0
	v_bcnt_u32_b32 v1, v5, v1
	s_waitcnt lgkmcnt(0)
	v_add_u32_e32 v1, v26, v1
	ds_write_b32 v35, v1 offset:64
.LBB2559_93:
	s_or_b64 exec, exec, s[0:1]
	s_waitcnt vmcnt(6)
	v_cmp_gt_i32_e32 vcc, 0, v19
	v_cndmask_b32_e64 v1, v31, 0, vcc
	v_xor_b32_e32 v19, v1, v19
	v_cmp_ne_u32_e32 vcc, s2, v19
	v_cndmask_b32_e32 v1, v31, v19, vcc
	v_lshrrev_b32_e32 v1, s16, v1
	v_and_b32_e32 v4, s17, v1
	v_lshl_add_u32 v1, v4, 4, v4
	v_add_lshl_u32 v38, v22, v1, 2
	v_and_b32_e32 v1, 1, v4
	v_add_co_u32_e32 v5, vcc, -1, v1
	v_addc_co_u32_e64 v34, s[0:1], 0, -1, vcc
	v_cmp_ne_u32_e32 vcc, 0, v1
	v_xor_b32_e32 v1, vcc_hi, v34
	v_and_b32_e32 v34, exec_hi, v1
	v_lshlrev_b32_e32 v1, 30, v4
	v_xor_b32_e32 v5, vcc_lo, v5
	v_cmp_gt_i64_e32 vcc, 0, v[0:1]
	v_not_b32_e32 v1, v1
	v_ashrrev_i32_e32 v1, 31, v1
	v_and_b32_e32 v5, exec_lo, v5
	v_xor_b32_e32 v36, vcc_hi, v1
	v_xor_b32_e32 v1, vcc_lo, v1
	v_and_b32_e32 v5, v5, v1
	v_lshlrev_b32_e32 v1, 29, v4
	v_cmp_gt_i64_e32 vcc, 0, v[0:1]
	v_not_b32_e32 v1, v1
	v_ashrrev_i32_e32 v1, 31, v1
	v_and_b32_e32 v34, v34, v36
	v_xor_b32_e32 v36, vcc_hi, v1
	v_xor_b32_e32 v1, vcc_lo, v1
	v_and_b32_e32 v5, v5, v1
	v_lshlrev_b32_e32 v1, 28, v4
	v_cmp_gt_i64_e32 vcc, 0, v[0:1]
	v_not_b32_e32 v1, v1
	v_ashrrev_i32_e32 v1, 31, v1
	v_and_b32_e32 v34, v34, v36
	;; [unrolled: 8-line block ×5, first 2 shown]
	v_xor_b32_e32 v36, vcc_hi, v1
	v_xor_b32_e32 v1, vcc_lo, v1
	v_and_b32_e32 v5, v5, v1
	v_lshlrev_b32_e32 v1, 24, v4
	v_cmp_gt_i64_e32 vcc, 0, v[0:1]
	v_not_b32_e32 v0, v1
	v_ashrrev_i32_e32 v0, 31, v0
	v_xor_b32_e32 v1, vcc_hi, v0
	v_xor_b32_e32 v0, vcc_lo, v0
	; wave barrier
	ds_read_b32 v31, v38 offset:64
	v_and_b32_e32 v34, v34, v36
	v_and_b32_e32 v0, v5, v0
	;; [unrolled: 1-line block ×3, first 2 shown]
	v_mbcnt_lo_u32_b32 v4, v0, 0
	v_mbcnt_hi_u32_b32 v34, v1, v4
	v_cmp_eq_u32_e32 vcc, 0, v34
	v_cmp_ne_u64_e64 s[0:1], 0, v[0:1]
	s_and_b64 s[2:3], s[0:1], vcc
	; wave barrier
	s_and_saveexec_b64 s[0:1], s[2:3]
	s_cbranch_execz .LBB2559_95
; %bb.94:
	v_bcnt_u32_b32 v0, v0, 0
	v_bcnt_u32_b32 v0, v1, v0
	s_waitcnt lgkmcnt(0)
	v_add_u32_e32 v0, v31, v0
	ds_write_b32 v38, v0 offset:64
.LBB2559_95:
	s_or_b64 exec, exec, s[0:1]
	v_bfrev_b32_e32 v39, -2
	s_waitcnt vmcnt(5)
	v_cmp_gt_i32_e32 vcc, 0, v23
	v_cndmask_b32_e64 v1, v39, 0, vcc
	v_xor_b32_e32 v23, v1, v23
	s_brev_b32 s2, 1
	v_cmp_ne_u32_e32 vcc, s2, v23
	v_cndmask_b32_e32 v1, v39, v23, vcc
	v_lshrrev_b32_e32 v1, s16, v1
	v_and_b32_e32 v4, s17, v1
	v_lshl_add_u32 v1, v4, 4, v4
	v_add_lshl_u32 v41, v22, v1, 2
	v_and_b32_e32 v1, 1, v4
	v_add_co_u32_e32 v5, vcc, -1, v1
	v_addc_co_u32_e64 v37, s[0:1], 0, -1, vcc
	v_cmp_ne_u32_e32 vcc, 0, v1
	v_xor_b32_e32 v1, vcc_hi, v37
	v_mov_b32_e32 v0, 0
	v_and_b32_e32 v37, exec_hi, v1
	v_lshlrev_b32_e32 v1, 30, v4
	v_xor_b32_e32 v5, vcc_lo, v5
	v_cmp_gt_i64_e32 vcc, 0, v[0:1]
	v_not_b32_e32 v1, v1
	v_ashrrev_i32_e32 v1, 31, v1
	v_and_b32_e32 v5, exec_lo, v5
	v_xor_b32_e32 v40, vcc_hi, v1
	v_xor_b32_e32 v1, vcc_lo, v1
	v_and_b32_e32 v5, v5, v1
	v_lshlrev_b32_e32 v1, 29, v4
	v_cmp_gt_i64_e32 vcc, 0, v[0:1]
	v_not_b32_e32 v1, v1
	v_ashrrev_i32_e32 v1, 31, v1
	v_and_b32_e32 v37, v37, v40
	v_xor_b32_e32 v40, vcc_hi, v1
	v_xor_b32_e32 v1, vcc_lo, v1
	v_and_b32_e32 v5, v5, v1
	v_lshlrev_b32_e32 v1, 28, v4
	v_cmp_gt_i64_e32 vcc, 0, v[0:1]
	v_not_b32_e32 v1, v1
	v_ashrrev_i32_e32 v1, 31, v1
	v_and_b32_e32 v37, v37, v40
	;; [unrolled: 8-line block ×5, first 2 shown]
	v_xor_b32_e32 v40, vcc_hi, v1
	v_xor_b32_e32 v1, vcc_lo, v1
	v_and_b32_e32 v37, v37, v40
	v_and_b32_e32 v40, v5, v1
	v_lshlrev_b32_e32 v1, 24, v4
	v_cmp_gt_i64_e32 vcc, 0, v[0:1]
	v_not_b32_e32 v1, v1
	v_ashrrev_i32_e32 v1, 31, v1
	v_xor_b32_e32 v4, vcc_hi, v1
	v_xor_b32_e32 v1, vcc_lo, v1
	; wave barrier
	ds_read_b32 v36, v41 offset:64
	v_and_b32_e32 v5, v37, v4
	v_and_b32_e32 v4, v40, v1
	v_mbcnt_lo_u32_b32 v1, v4, 0
	v_mbcnt_hi_u32_b32 v37, v5, v1
	v_cmp_eq_u32_e32 vcc, 0, v37
	v_cmp_ne_u64_e64 s[0:1], 0, v[4:5]
	s_and_b64 s[4:5], s[0:1], vcc
	; wave barrier
	s_and_saveexec_b64 s[0:1], s[4:5]
	s_cbranch_execz .LBB2559_97
; %bb.96:
	v_bcnt_u32_b32 v1, v4, 0
	v_bcnt_u32_b32 v1, v5, v1
	s_waitcnt lgkmcnt(0)
	v_add_u32_e32 v1, v36, v1
	ds_write_b32 v41, v1 offset:64
.LBB2559_97:
	s_or_b64 exec, exec, s[0:1]
	s_waitcnt vmcnt(4)
	v_cmp_gt_i32_e32 vcc, 0, v28
	v_cndmask_b32_e64 v1, v39, 0, vcc
	v_xor_b32_e32 v28, v1, v28
	v_cmp_ne_u32_e32 vcc, s2, v28
	v_cndmask_b32_e32 v1, v39, v28, vcc
	v_lshrrev_b32_e32 v1, s16, v1
	v_and_b32_e32 v4, s17, v1
	v_lshl_add_u32 v1, v4, 4, v4
	v_add_lshl_u32 v45, v22, v1, 2
	v_and_b32_e32 v1, 1, v4
	v_add_co_u32_e32 v5, vcc, -1, v1
	v_addc_co_u32_e64 v40, s[0:1], 0, -1, vcc
	v_cmp_ne_u32_e32 vcc, 0, v1
	v_xor_b32_e32 v1, vcc_hi, v40
	v_and_b32_e32 v40, exec_hi, v1
	v_lshlrev_b32_e32 v1, 30, v4
	v_xor_b32_e32 v5, vcc_lo, v5
	v_cmp_gt_i64_e32 vcc, 0, v[0:1]
	v_not_b32_e32 v1, v1
	v_ashrrev_i32_e32 v1, 31, v1
	v_and_b32_e32 v5, exec_lo, v5
	v_xor_b32_e32 v42, vcc_hi, v1
	v_xor_b32_e32 v1, vcc_lo, v1
	v_and_b32_e32 v5, v5, v1
	v_lshlrev_b32_e32 v1, 29, v4
	v_cmp_gt_i64_e32 vcc, 0, v[0:1]
	v_not_b32_e32 v1, v1
	v_ashrrev_i32_e32 v1, 31, v1
	v_and_b32_e32 v40, v40, v42
	v_xor_b32_e32 v42, vcc_hi, v1
	v_xor_b32_e32 v1, vcc_lo, v1
	v_and_b32_e32 v5, v5, v1
	v_lshlrev_b32_e32 v1, 28, v4
	v_cmp_gt_i64_e32 vcc, 0, v[0:1]
	v_not_b32_e32 v1, v1
	v_ashrrev_i32_e32 v1, 31, v1
	v_and_b32_e32 v40, v40, v42
	;; [unrolled: 8-line block ×5, first 2 shown]
	v_xor_b32_e32 v42, vcc_hi, v1
	v_xor_b32_e32 v1, vcc_lo, v1
	v_and_b32_e32 v5, v5, v1
	v_lshlrev_b32_e32 v1, 24, v4
	v_cmp_gt_i64_e32 vcc, 0, v[0:1]
	v_not_b32_e32 v0, v1
	v_ashrrev_i32_e32 v0, 31, v0
	v_xor_b32_e32 v1, vcc_hi, v0
	v_xor_b32_e32 v0, vcc_lo, v0
	; wave barrier
	ds_read_b32 v39, v45 offset:64
	v_and_b32_e32 v40, v40, v42
	v_and_b32_e32 v0, v5, v0
	;; [unrolled: 1-line block ×3, first 2 shown]
	v_mbcnt_lo_u32_b32 v4, v0, 0
	v_mbcnt_hi_u32_b32 v40, v1, v4
	v_cmp_eq_u32_e32 vcc, 0, v40
	v_cmp_ne_u64_e64 s[0:1], 0, v[0:1]
	s_and_b64 s[2:3], s[0:1], vcc
	; wave barrier
	s_and_saveexec_b64 s[0:1], s[2:3]
	s_cbranch_execz .LBB2559_99
; %bb.98:
	v_bcnt_u32_b32 v0, v0, 0
	v_bcnt_u32_b32 v0, v1, v0
	s_waitcnt lgkmcnt(0)
	v_add_u32_e32 v0, v39, v0
	ds_write_b32 v45, v0 offset:64
.LBB2559_99:
	s_or_b64 exec, exec, s[0:1]
	v_bfrev_b32_e32 v43, -2
	s_waitcnt vmcnt(3)
	v_cmp_gt_i32_e32 vcc, 0, v33
	v_cndmask_b32_e64 v1, v43, 0, vcc
	v_xor_b32_e32 v33, v1, v33
	s_brev_b32 s2, 1
	v_cmp_ne_u32_e32 vcc, s2, v33
	v_cndmask_b32_e32 v1, v43, v33, vcc
	v_lshrrev_b32_e32 v1, s16, v1
	v_and_b32_e32 v4, s17, v1
	v_lshl_add_u32 v1, v4, 4, v4
	v_add_lshl_u32 v48, v22, v1, 2
	v_and_b32_e32 v1, 1, v4
	v_add_co_u32_e32 v5, vcc, -1, v1
	v_addc_co_u32_e64 v44, s[0:1], 0, -1, vcc
	v_cmp_ne_u32_e32 vcc, 0, v1
	v_xor_b32_e32 v1, vcc_hi, v44
	v_mov_b32_e32 v0, 0
	v_and_b32_e32 v44, exec_hi, v1
	v_lshlrev_b32_e32 v1, 30, v4
	v_xor_b32_e32 v5, vcc_lo, v5
	v_cmp_gt_i64_e32 vcc, 0, v[0:1]
	v_not_b32_e32 v1, v1
	v_ashrrev_i32_e32 v1, 31, v1
	v_and_b32_e32 v5, exec_lo, v5
	v_xor_b32_e32 v46, vcc_hi, v1
	v_xor_b32_e32 v1, vcc_lo, v1
	v_and_b32_e32 v5, v5, v1
	v_lshlrev_b32_e32 v1, 29, v4
	v_cmp_gt_i64_e32 vcc, 0, v[0:1]
	v_not_b32_e32 v1, v1
	v_ashrrev_i32_e32 v1, 31, v1
	v_and_b32_e32 v44, v44, v46
	v_xor_b32_e32 v46, vcc_hi, v1
	v_xor_b32_e32 v1, vcc_lo, v1
	v_and_b32_e32 v5, v5, v1
	v_lshlrev_b32_e32 v1, 28, v4
	v_cmp_gt_i64_e32 vcc, 0, v[0:1]
	v_not_b32_e32 v1, v1
	v_ashrrev_i32_e32 v1, 31, v1
	v_and_b32_e32 v44, v44, v46
	v_xor_b32_e32 v46, vcc_hi, v1
	v_xor_b32_e32 v1, vcc_lo, v1
	v_and_b32_e32 v5, v5, v1
	v_lshlrev_b32_e32 v1, 27, v4
	v_cmp_gt_i64_e32 vcc, 0, v[0:1]
	v_not_b32_e32 v1, v1
	v_ashrrev_i32_e32 v1, 31, v1
	v_and_b32_e32 v44, v44, v46
	v_xor_b32_e32 v46, vcc_hi, v1
	v_xor_b32_e32 v1, vcc_lo, v1
	v_and_b32_e32 v5, v5, v1
	v_lshlrev_b32_e32 v1, 26, v4
	v_cmp_gt_i64_e32 vcc, 0, v[0:1]
	v_not_b32_e32 v1, v1
	v_ashrrev_i32_e32 v1, 31, v1
	v_and_b32_e32 v44, v44, v46
	v_xor_b32_e32 v46, vcc_hi, v1
	v_xor_b32_e32 v1, vcc_lo, v1
	v_and_b32_e32 v5, v5, v1
	v_lshlrev_b32_e32 v1, 25, v4
	v_cmp_gt_i64_e32 vcc, 0, v[0:1]
	v_not_b32_e32 v1, v1
	v_ashrrev_i32_e32 v1, 31, v1
	v_and_b32_e32 v44, v44, v46
	v_xor_b32_e32 v46, vcc_hi, v1
	v_xor_b32_e32 v1, vcc_lo, v1
	v_and_b32_e32 v44, v44, v46
	v_and_b32_e32 v46, v5, v1
	v_lshlrev_b32_e32 v1, 24, v4
	v_cmp_gt_i64_e32 vcc, 0, v[0:1]
	v_not_b32_e32 v1, v1
	v_ashrrev_i32_e32 v1, 31, v1
	v_xor_b32_e32 v4, vcc_hi, v1
	v_xor_b32_e32 v1, vcc_lo, v1
	; wave barrier
	ds_read_b32 v42, v48 offset:64
	v_and_b32_e32 v5, v44, v4
	v_and_b32_e32 v4, v46, v1
	v_mbcnt_lo_u32_b32 v1, v4, 0
	v_mbcnt_hi_u32_b32 v44, v5, v1
	v_cmp_eq_u32_e32 vcc, 0, v44
	v_cmp_ne_u64_e64 s[0:1], 0, v[4:5]
	s_and_b64 s[4:5], s[0:1], vcc
	; wave barrier
	s_and_saveexec_b64 s[0:1], s[4:5]
	s_cbranch_execz .LBB2559_101
; %bb.100:
	v_bcnt_u32_b32 v1, v4, 0
	v_bcnt_u32_b32 v1, v5, v1
	s_waitcnt lgkmcnt(0)
	v_add_u32_e32 v1, v42, v1
	ds_write_b32 v48, v1 offset:64
.LBB2559_101:
	s_or_b64 exec, exec, s[0:1]
	s_waitcnt vmcnt(2)
	v_cmp_gt_i32_e32 vcc, 0, v32
	v_cndmask_b32_e64 v1, v43, 0, vcc
	v_xor_b32_e32 v32, v1, v32
	v_cmp_ne_u32_e32 vcc, s2, v32
	v_cndmask_b32_e32 v1, v43, v32, vcc
	v_lshrrev_b32_e32 v1, s16, v1
	v_and_b32_e32 v4, s17, v1
	v_lshl_add_u32 v1, v4, 4, v4
	v_add_lshl_u32 v50, v22, v1, 2
	v_and_b32_e32 v1, 1, v4
	v_add_co_u32_e32 v5, vcc, -1, v1
	v_addc_co_u32_e64 v43, s[0:1], 0, -1, vcc
	v_cmp_ne_u32_e32 vcc, 0, v1
	v_xor_b32_e32 v1, vcc_hi, v43
	v_and_b32_e32 v43, exec_hi, v1
	v_lshlrev_b32_e32 v1, 30, v4
	v_xor_b32_e32 v5, vcc_lo, v5
	v_cmp_gt_i64_e32 vcc, 0, v[0:1]
	v_not_b32_e32 v1, v1
	v_ashrrev_i32_e32 v1, 31, v1
	v_and_b32_e32 v5, exec_lo, v5
	v_xor_b32_e32 v47, vcc_hi, v1
	v_xor_b32_e32 v1, vcc_lo, v1
	v_and_b32_e32 v5, v5, v1
	v_lshlrev_b32_e32 v1, 29, v4
	v_cmp_gt_i64_e32 vcc, 0, v[0:1]
	v_not_b32_e32 v1, v1
	v_ashrrev_i32_e32 v1, 31, v1
	v_and_b32_e32 v43, v43, v47
	v_xor_b32_e32 v47, vcc_hi, v1
	v_xor_b32_e32 v1, vcc_lo, v1
	v_and_b32_e32 v5, v5, v1
	v_lshlrev_b32_e32 v1, 28, v4
	v_cmp_gt_i64_e32 vcc, 0, v[0:1]
	v_not_b32_e32 v1, v1
	v_ashrrev_i32_e32 v1, 31, v1
	v_and_b32_e32 v43, v43, v47
	;; [unrolled: 8-line block ×5, first 2 shown]
	v_xor_b32_e32 v47, vcc_hi, v1
	v_xor_b32_e32 v1, vcc_lo, v1
	v_and_b32_e32 v5, v5, v1
	v_lshlrev_b32_e32 v1, 24, v4
	v_cmp_gt_i64_e32 vcc, 0, v[0:1]
	v_not_b32_e32 v0, v1
	v_ashrrev_i32_e32 v0, 31, v0
	v_xor_b32_e32 v1, vcc_hi, v0
	v_xor_b32_e32 v0, vcc_lo, v0
	; wave barrier
	ds_read_b32 v46, v50 offset:64
	v_and_b32_e32 v43, v43, v47
	v_and_b32_e32 v0, v5, v0
	;; [unrolled: 1-line block ×3, first 2 shown]
	v_mbcnt_lo_u32_b32 v4, v0, 0
	v_mbcnt_hi_u32_b32 v47, v1, v4
	v_cmp_eq_u32_e32 vcc, 0, v47
	v_cmp_ne_u64_e64 s[0:1], 0, v[0:1]
	s_and_b64 s[2:3], s[0:1], vcc
	; wave barrier
	s_and_saveexec_b64 s[0:1], s[2:3]
	s_cbranch_execz .LBB2559_103
; %bb.102:
	v_bcnt_u32_b32 v0, v0, 0
	v_bcnt_u32_b32 v0, v1, v0
	s_waitcnt lgkmcnt(0)
	v_add_u32_e32 v0, v46, v0
	ds_write_b32 v50, v0 offset:64
.LBB2559_103:
	s_or_b64 exec, exec, s[0:1]
	v_bfrev_b32_e32 v52, -2
	s_waitcnt vmcnt(1)
	v_cmp_gt_i32_e32 vcc, 0, v27
	v_cndmask_b32_e64 v1, v52, 0, vcc
	v_xor_b32_e32 v27, v1, v27
	s_brev_b32 s2, 1
	v_cmp_ne_u32_e32 vcc, s2, v27
	v_cndmask_b32_e32 v1, v52, v27, vcc
	v_lshrrev_b32_e32 v1, s16, v1
	v_and_b32_e32 v4, s17, v1
	v_lshl_add_u32 v1, v4, 4, v4
	v_add_lshl_u32 v53, v22, v1, 2
	v_and_b32_e32 v1, 1, v4
	v_add_co_u32_e32 v5, vcc, -1, v1
	v_addc_co_u32_e64 v43, s[0:1], 0, -1, vcc
	v_cmp_ne_u32_e32 vcc, 0, v1
	v_xor_b32_e32 v1, vcc_hi, v43
	v_mov_b32_e32 v0, 0
	v_and_b32_e32 v43, exec_hi, v1
	v_lshlrev_b32_e32 v1, 30, v4
	v_xor_b32_e32 v5, vcc_lo, v5
	v_cmp_gt_i64_e32 vcc, 0, v[0:1]
	v_not_b32_e32 v1, v1
	v_ashrrev_i32_e32 v1, 31, v1
	v_and_b32_e32 v5, exec_lo, v5
	v_xor_b32_e32 v51, vcc_hi, v1
	v_xor_b32_e32 v1, vcc_lo, v1
	v_and_b32_e32 v5, v5, v1
	v_lshlrev_b32_e32 v1, 29, v4
	v_cmp_gt_i64_e32 vcc, 0, v[0:1]
	v_not_b32_e32 v1, v1
	v_ashrrev_i32_e32 v1, 31, v1
	v_and_b32_e32 v43, v43, v51
	v_xor_b32_e32 v51, vcc_hi, v1
	v_xor_b32_e32 v1, vcc_lo, v1
	v_and_b32_e32 v5, v5, v1
	v_lshlrev_b32_e32 v1, 28, v4
	v_cmp_gt_i64_e32 vcc, 0, v[0:1]
	v_not_b32_e32 v1, v1
	v_ashrrev_i32_e32 v1, 31, v1
	v_and_b32_e32 v43, v43, v51
	;; [unrolled: 8-line block ×5, first 2 shown]
	v_xor_b32_e32 v51, vcc_hi, v1
	v_xor_b32_e32 v1, vcc_lo, v1
	v_and_b32_e32 v43, v43, v51
	v_and_b32_e32 v51, v5, v1
	v_lshlrev_b32_e32 v1, 24, v4
	v_cmp_gt_i64_e32 vcc, 0, v[0:1]
	v_not_b32_e32 v1, v1
	v_ashrrev_i32_e32 v1, 31, v1
	v_xor_b32_e32 v4, vcc_hi, v1
	v_xor_b32_e32 v1, vcc_lo, v1
	; wave barrier
	ds_read_b32 v49, v53 offset:64
	v_and_b32_e32 v5, v43, v4
	v_and_b32_e32 v4, v51, v1
	v_mbcnt_lo_u32_b32 v1, v4, 0
	v_mbcnt_hi_u32_b32 v51, v5, v1
	v_cmp_eq_u32_e32 vcc, 0, v51
	v_cmp_ne_u64_e64 s[0:1], 0, v[4:5]
	s_and_b64 s[4:5], s[0:1], vcc
	; wave barrier
	s_and_saveexec_b64 s[0:1], s[4:5]
	s_cbranch_execz .LBB2559_105
; %bb.104:
	v_bcnt_u32_b32 v1, v4, 0
	v_bcnt_u32_b32 v1, v5, v1
	s_waitcnt lgkmcnt(0)
	v_add_u32_e32 v1, v49, v1
	ds_write_b32 v53, v1 offset:64
.LBB2559_105:
	s_or_b64 exec, exec, s[0:1]
	s_waitcnt vmcnt(0)
	v_cmp_gt_i32_e32 vcc, 0, v9
	v_cndmask_b32_e64 v1, v52, 0, vcc
	v_xor_b32_e32 v43, v1, v9
	v_cmp_ne_u32_e32 vcc, s2, v43
	v_cndmask_b32_e32 v1, v52, v43, vcc
	v_lshrrev_b32_e32 v1, s16, v1
	v_and_b32_e32 v4, s17, v1
	v_lshl_add_u32 v1, v4, 4, v4
	v_add_lshl_u32 v9, v1, v22, 2
	v_and_b32_e32 v1, 1, v4
	v_add_co_u32_e32 v5, vcc, -1, v1
	v_addc_co_u32_e64 v22, s[0:1], 0, -1, vcc
	v_cmp_ne_u32_e32 vcc, 0, v1
	v_xor_b32_e32 v1, vcc_hi, v22
	v_and_b32_e32 v22, exec_hi, v1
	v_lshlrev_b32_e32 v1, 30, v4
	v_xor_b32_e32 v5, vcc_lo, v5
	v_cmp_gt_i64_e32 vcc, 0, v[0:1]
	v_not_b32_e32 v1, v1
	v_ashrrev_i32_e32 v1, 31, v1
	v_and_b32_e32 v5, exec_lo, v5
	v_xor_b32_e32 v54, vcc_hi, v1
	v_xor_b32_e32 v1, vcc_lo, v1
	v_and_b32_e32 v5, v5, v1
	v_lshlrev_b32_e32 v1, 29, v4
	v_cmp_gt_i64_e32 vcc, 0, v[0:1]
	v_not_b32_e32 v1, v1
	v_ashrrev_i32_e32 v1, 31, v1
	v_and_b32_e32 v22, v22, v54
	v_xor_b32_e32 v54, vcc_hi, v1
	v_xor_b32_e32 v1, vcc_lo, v1
	v_and_b32_e32 v5, v5, v1
	v_lshlrev_b32_e32 v1, 28, v4
	v_cmp_gt_i64_e32 vcc, 0, v[0:1]
	v_not_b32_e32 v1, v1
	v_ashrrev_i32_e32 v1, 31, v1
	v_and_b32_e32 v22, v22, v54
	;; [unrolled: 8-line block ×5, first 2 shown]
	v_xor_b32_e32 v54, vcc_hi, v1
	v_xor_b32_e32 v1, vcc_lo, v1
	v_and_b32_e32 v5, v5, v1
	v_lshlrev_b32_e32 v1, 24, v4
	v_cmp_gt_i64_e32 vcc, 0, v[0:1]
	v_not_b32_e32 v0, v1
	v_ashrrev_i32_e32 v0, 31, v0
	v_xor_b32_e32 v1, vcc_hi, v0
	v_xor_b32_e32 v0, vcc_lo, v0
	; wave barrier
	ds_read_b32 v52, v9 offset:64
	v_and_b32_e32 v22, v22, v54
	v_and_b32_e32 v0, v5, v0
	v_and_b32_e32 v1, v22, v1
	v_mbcnt_lo_u32_b32 v4, v0, 0
	v_mbcnt_hi_u32_b32 v54, v1, v4
	v_cmp_eq_u32_e32 vcc, 0, v54
	v_cmp_ne_u64_e64 s[0:1], 0, v[0:1]
	v_add_u32_e32 v55, 64, v6
	s_and_b64 s[2:3], s[0:1], vcc
	; wave barrier
	s_and_saveexec_b64 s[0:1], s[2:3]
	s_cbranch_execz .LBB2559_107
; %bb.106:
	v_bcnt_u32_b32 v0, v0, 0
	v_bcnt_u32_b32 v0, v1, v0
	s_waitcnt lgkmcnt(0)
	v_add_u32_e32 v0, v52, v0
	ds_write_b32 v9, v0 offset:64
.LBB2559_107:
	s_or_b64 exec, exec, s[0:1]
	; wave barrier
	s_waitcnt lgkmcnt(0)
	s_barrier
	ds_read2_b32 v[4:5], v6 offset0:16 offset1:17
	ds_read2_b32 v[0:1], v55 offset0:2 offset1:3
	ds_read_b32 v22, v55 offset:16
	v_cmp_lt_u32_e64 s[8:9], 31, v3
	s_waitcnt lgkmcnt(1)
	v_add3_u32 v56, v5, v4, v0
	s_waitcnt lgkmcnt(0)
	v_add3_u32 v22, v56, v1, v22
	v_and_b32_e32 v56, 15, v3
	v_cmp_eq_u32_e32 vcc, 0, v56
	v_mov_b32_dpp v57, v22 row_shr:1 row_mask:0xf bank_mask:0xf
	v_cndmask_b32_e64 v57, v57, 0, vcc
	v_add_u32_e32 v22, v57, v22
	v_cmp_lt_u32_e64 s[0:1], 1, v56
	v_cmp_lt_u32_e64 s[2:3], 3, v56
	v_mov_b32_dpp v57, v22 row_shr:2 row_mask:0xf bank_mask:0xf
	v_cndmask_b32_e64 v57, 0, v57, s[0:1]
	v_add_u32_e32 v22, v22, v57
	v_cmp_lt_u32_e64 s[4:5], 7, v56
	s_nop 0
	v_mov_b32_dpp v57, v22 row_shr:4 row_mask:0xf bank_mask:0xf
	v_cndmask_b32_e64 v57, 0, v57, s[2:3]
	v_add_u32_e32 v22, v22, v57
	s_nop 1
	v_mov_b32_dpp v57, v22 row_shr:8 row_mask:0xf bank_mask:0xf
	v_cndmask_b32_e64 v56, 0, v57, s[4:5]
	v_add_u32_e32 v22, v22, v56
	v_bfe_i32 v57, v3, 4, 1
	s_nop 0
	v_mov_b32_dpp v56, v22 row_bcast:15 row_mask:0xf bank_mask:0xf
	v_and_b32_e32 v56, v57, v56
	v_add_u32_e32 v22, v22, v56
	v_lshrrev_b32_e32 v57, 6, v2
	s_nop 0
	v_mov_b32_dpp v56, v22 row_bcast:31 row_mask:0xf bank_mask:0xf
	v_cndmask_b32_e64 v56, 0, v56, s[8:9]
	v_add_u32_e32 v56, v22, v56
	v_and_b32_e32 v22, 63, v2
	v_cmp_eq_u32_e64 s[8:9], 63, v22
	s_and_saveexec_b64 s[10:11], s[8:9]
	s_cbranch_execz .LBB2559_109
; %bb.108:
	v_lshlrev_b32_e32 v22, 2, v57
	ds_write_b32 v22, v56
.LBB2559_109:
	s_or_b64 exec, exec, s[10:11]
	v_cmp_gt_u32_e64 s[8:9], 16, v2
	v_lshlrev_b32_e32 v22, 2, v2
	s_waitcnt lgkmcnt(0)
	s_barrier
	s_and_saveexec_b64 s[10:11], s[8:9]
	s_cbranch_execz .LBB2559_111
; %bb.110:
	ds_read_b32 v58, v22
	s_waitcnt lgkmcnt(0)
	s_nop 0
	v_mov_b32_dpp v59, v58 row_shr:1 row_mask:0xf bank_mask:0xf
	v_cndmask_b32_e64 v59, v59, 0, vcc
	v_add_u32_e32 v58, v59, v58
	s_nop 1
	v_mov_b32_dpp v59, v58 row_shr:2 row_mask:0xf bank_mask:0xf
	v_cndmask_b32_e64 v59, 0, v59, s[0:1]
	v_add_u32_e32 v58, v58, v59
	s_nop 1
	v_mov_b32_dpp v59, v58 row_shr:4 row_mask:0xf bank_mask:0xf
	v_cndmask_b32_e64 v59, 0, v59, s[2:3]
	;; [unrolled: 4-line block ×3, first 2 shown]
	v_add_u32_e32 v58, v58, v59
	ds_write_b32 v22, v58
.LBB2559_111:
	s_or_b64 exec, exec, s[10:11]
	v_cmp_lt_u32_e32 vcc, 63, v2
	v_mov_b32_e32 v58, 0
	s_waitcnt lgkmcnt(0)
	s_barrier
	s_and_saveexec_b64 s[0:1], vcc
	s_cbranch_execz .LBB2559_113
; %bb.112:
	v_lshl_add_u32 v57, v57, 2, -4
	ds_read_b32 v58, v57
.LBB2559_113:
	s_or_b64 exec, exec, s[0:1]
	v_add_u32_e32 v57, -1, v3
	v_and_b32_e32 v59, 64, v3
	v_cmp_lt_i32_e32 vcc, v57, v59
	v_cndmask_b32_e32 v57, v57, v3, vcc
	s_waitcnt lgkmcnt(0)
	v_add_u32_e32 v56, v58, v56
	v_lshlrev_b32_e32 v57, 2, v57
	ds_bpermute_b32 v56, v57, v56
	v_cmp_eq_u32_e32 vcc, 0, v3
	s_movk_i32 s2, 0xff
	s_movk_i32 s0, 0x100
	v_cmp_gt_u32_e64 s[0:1], s0, v2
	s_waitcnt lgkmcnt(0)
	v_cndmask_b32_e32 v3, v56, v58, vcc
	v_cmp_ne_u32_e32 vcc, 0, v2
	v_cndmask_b32_e32 v3, 0, v3, vcc
	v_add_u32_e32 v4, v3, v4
	v_add_u32_e32 v5, v4, v5
	;; [unrolled: 1-line block ×4, first 2 shown]
	ds_write2_b32 v6, v3, v4 offset0:16 offset1:17
	ds_write2_b32 v55, v5, v0 offset0:2 offset1:3
	ds_write_b32 v55, v1 offset:16
	s_waitcnt lgkmcnt(0)
	s_barrier
	ds_read_b32 v59, v7 offset:64
	ds_read_b32 v55, v8 offset:64
	;; [unrolled: 1-line block ×12, first 2 shown]
	v_cmp_lt_u32_e32 vcc, s2, v2
	v_pk_mov_b32 v[4:5], 0, 0
                                        ; implicit-def: $vgpr30
	s_and_saveexec_b64 s[4:5], s[0:1]
	s_cbranch_execz .LBB2559_117
; %bb.114:
	v_mul_u32_u24_e32 v0, 17, v2
	v_lshlrev_b32_e32 v1, 2, v0
	ds_read_b32 v4, v1 offset:64
	v_cmp_ne_u32_e64 s[2:3], s2, v2
	v_mov_b32_e32 v0, 0x3000
	s_and_saveexec_b64 s[8:9], s[2:3]
	s_cbranch_execz .LBB2559_116
; %bb.115:
	ds_read_b32 v0, v1 offset:132
.LBB2559_116:
	s_or_b64 exec, exec, s[8:9]
	s_waitcnt lgkmcnt(0)
	v_sub_u32_e32 v30, v0, v4
	v_mov_b32_e32 v5, 0
.LBB2559_117:
	s_or_b64 exec, exec, s[4:5]
	s_waitcnt lgkmcnt(0)
	s_barrier
	s_and_saveexec_b64 s[2:3], vcc
	s_xor_b64 s[2:3], exec, s[2:3]
; %bb.118:
	v_mov_b32_e32 v3, 0
; %bb.119:
	s_andn2_saveexec_b64 s[2:3], s[2:3]
	s_cbranch_execz .LBB2559_129
; %bb.120:
	v_lshl_or_b32 v0, s6, 8, v2
	v_mov_b32_e32 v1, 0
	v_lshlrev_b64 v[6:7], 2, v[0:1]
	v_mov_b32_e32 v3, s25
	v_add_co_u32_e32 v6, vcc, s24, v6
	v_addc_co_u32_e32 v7, vcc, v3, v7, vcc
	v_or_b32_e32 v0, 2.0, v30
	s_mov_b64 s[4:5], 0
	s_brev_b32 s18, 1
	s_mov_b32 s19, s6
	v_mov_b32_e32 v53, 0
	global_store_dword v[6:7], v0, off
                                        ; implicit-def: $sgpr8_sgpr9
	s_branch .LBB2559_123
.LBB2559_121:                           ;   in Loop: Header=BB2559_123 Depth=1
	s_or_b64 exec, exec, s[10:11]
.LBB2559_122:                           ;   in Loop: Header=BB2559_123 Depth=1
	s_or_b64 exec, exec, s[8:9]
	v_and_b32_e32 v8, 0x3fffffff, v60
	v_add_u32_e32 v53, v8, v53
	v_cmp_eq_u32_e64 s[8:9], s18, v0
	s_and_b64 s[10:11], exec, s[8:9]
	s_or_b64 s[4:5], s[10:11], s[4:5]
	s_andn2_b64 exec, exec, s[4:5]
	s_cbranch_execz .LBB2559_128
.LBB2559_123:                           ; =>This Loop Header: Depth=1
                                        ;     Child Loop BB2559_126 Depth 2
	s_or_b64 s[8:9], s[8:9], exec
	s_cmp_eq_u32 s19, 0
	s_cbranch_scc1 .LBB2559_127
; %bb.124:                              ;   in Loop: Header=BB2559_123 Depth=1
	s_add_i32 s19, s19, -1
	v_lshl_or_b32 v0, s19, 8, v2
	v_lshlrev_b64 v[8:9], 2, v[0:1]
	v_add_co_u32_e32 v8, vcc, s24, v8
	v_addc_co_u32_e32 v9, vcc, v3, v9, vcc
	global_load_dword v60, v[8:9], off glc
	s_waitcnt vmcnt(0)
	v_and_b32_e32 v0, -2.0, v60
	v_cmp_eq_u32_e32 vcc, 0, v0
	s_and_saveexec_b64 s[8:9], vcc
	s_cbranch_execz .LBB2559_122
; %bb.125:                              ;   in Loop: Header=BB2559_123 Depth=1
	s_mov_b64 s[10:11], 0
.LBB2559_126:                           ;   Parent Loop BB2559_123 Depth=1
                                        ; =>  This Inner Loop Header: Depth=2
	global_load_dword v60, v[8:9], off glc
	s_waitcnt vmcnt(0)
	v_and_b32_e32 v0, -2.0, v60
	v_cmp_ne_u32_e32 vcc, 0, v0
	s_or_b64 s[10:11], vcc, s[10:11]
	s_andn2_b64 exec, exec, s[10:11]
	s_cbranch_execnz .LBB2559_126
	s_branch .LBB2559_121
.LBB2559_127:                           ;   in Loop: Header=BB2559_123 Depth=1
                                        ; implicit-def: $sgpr19
	s_and_b64 s[10:11], exec, s[8:9]
	s_or_b64 s[4:5], s[10:11], s[4:5]
	s_andn2_b64 exec, exec, s[4:5]
	s_cbranch_execnz .LBB2559_123
.LBB2559_128:
	s_or_b64 exec, exec, s[4:5]
	v_add_u32_e32 v0, v53, v30
	v_or_b32_e32 v0, 0x80000000, v0
	global_store_dword v[6:7], v0, off
	v_lshlrev_b32_e32 v6, 3, v2
	global_load_dwordx2 v[0:1], v6, s[12:13]
	v_sub_co_u32_e32 v7, vcc, v53, v4
	v_subb_co_u32_e32 v8, vcc, 0, v5, vcc
	v_mov_b32_e32 v3, 0
	s_waitcnt vmcnt(0)
	v_add_co_u32_e32 v0, vcc, v7, v0
	v_addc_co_u32_e32 v1, vcc, v8, v1, vcc
	ds_write_b64 v6, v[0:1]
.LBB2559_129:
	s_or_b64 exec, exec, s[2:3]
	v_lshlrev_b64 v[0:1], 2, v[2:3]
	v_add3_u32 v15, v17, v55, v15
	v_mov_b32_e32 v17, s23
	v_add_co_u32_e32 v0, vcc, s22, v0
	v_add_u32_e32 v6, v59, v14
	v_add_u32_e32 v7, 0x800, v22
	v_add3_u32 v8, v54, v50, v52
	v_add3_u32 v9, v51, v48, v49
	;; [unrolled: 1-line block ×10, first 2 shown]
	v_addc_co_u32_e32 v1, vcc, v17, v1, vcc
	s_mov_b32 s2, 0
	s_movk_i32 s3, 0x1000
	s_brev_b32 s4, 1
	v_bfrev_b32_e32 v17, -2
	s_movk_i32 s5, 0x2000
.LBB2559_130:                           ; =>This Inner Loop Header: Depth=1
	v_add_u32_e32 v20, s2, v6
	v_add_u32_e32 v38, s2, v31
	;; [unrolled: 1-line block ×12, first 2 shown]
	v_min_u32_e32 v20, 0x1000, v20
	v_min_u32_e32 v38, 0x1000, v38
	v_min_u32_e32 v39, 0x1000, v39
	v_min_u32_e32 v24, 0x1000, v24
	v_min_u32_e32 v29, 0x1000, v29
	v_min_u32_e32 v34, 0x1000, v34
	v_min_u32_e32 v37, 0x1000, v37
	v_min_u32_e32 v40, 0x1000, v40
	v_min_u32_e32 v41, 0x1000, v41
	v_min_u32_e32 v42, 0x1000, v42
	v_min_u32_e32 v44, 0x1000, v44
	v_min_u32_e32 v45, 0x1000, v45
	v_lshlrev_b32_e32 v20, 2, v20
	v_lshlrev_b32_e32 v38, 2, v38
	;; [unrolled: 1-line block ×12, first 2 shown]
	ds_write_b32 v20, v10 offset:2048
	ds_write_b32 v24, v11 offset:2048
	;; [unrolled: 1-line block ×12, first 2 shown]
	s_waitcnt lgkmcnt(0)
	s_barrier
	ds_read_b32 v20, v22 offset:2048
	ds_read2st64_b32 v[38:39], v7 offset0:16 offset1:32
	s_addk_i32 s2, 0xf000
	s_cmpk_lg_i32 s2, 0xd000
	s_waitcnt lgkmcnt(1)
	v_cmp_ne_u32_e32 vcc, s4, v20
	v_cndmask_b32_e32 v24, v17, v20, vcc
	v_cmp_gt_i32_e32 vcc, 0, v20
	v_cndmask_b32_e64 v29, v17, 0, vcc
	s_waitcnt lgkmcnt(0)
	v_cmp_ne_u32_e32 vcc, s4, v38
	v_cndmask_b32_e32 v34, v17, v38, vcc
	v_cmp_gt_i32_e32 vcc, 0, v38
	v_cndmask_b32_e64 v37, v17, 0, vcc
	v_cmp_ne_u32_e32 vcc, s4, v39
	v_cndmask_b32_e32 v40, v17, v39, vcc
	v_lshrrev_b32_e32 v24, s16, v24
	v_cmp_gt_i32_e32 vcc, 0, v39
	v_xor_b32_e32 v20, v29, v20
	v_lshrrev_b32_e32 v29, s16, v34
	v_xor_b32_e32 v34, v37, v38
	v_lshrrev_b32_e32 v37, s16, v40
	v_and_b32_e32 v24, s17, v24
	v_cndmask_b32_e64 v41, v17, 0, vcc
	v_and_b32_e32 v29, s17, v29
	v_and_b32_e32 v37, s17, v37
	v_lshlrev_b32_e32 v24, 3, v24
	v_xor_b32_e32 v42, v41, v39
	v_lshlrev_b32_e32 v29, 3, v29
	v_lshlrev_b32_e32 v37, 3, v37
	ds_read_b64 v[38:39], v24
	ds_read_b64 v[40:41], v29
	;; [unrolled: 1-line block ×3, first 2 shown]
	ds_read_b32 v24, v7 offset:12288
	s_waitcnt lgkmcnt(3)
	v_lshlrev_b64 v[38:39], 2, v[38:39]
	s_waitcnt lgkmcnt(2)
	v_lshlrev_b64 v[40:41], 2, v[40:41]
	;; [unrolled: 2-line block ×3, first 2 shown]
	s_waitcnt lgkmcnt(0)
	v_cmp_ne_u32_e32 vcc, s4, v24
	v_cndmask_b32_e32 v29, v17, v24, vcc
	v_cmp_gt_i32_e32 vcc, 0, v24
	v_cndmask_b32_e64 v37, v17, 0, vcc
	v_add_co_u32_e32 v38, vcc, v0, v38
	v_addc_co_u32_e32 v39, vcc, v1, v39, vcc
	v_add_co_u32_e32 v40, vcc, v0, v40
	v_addc_co_u32_e32 v41, vcc, v1, v41, vcc
	;; [unrolled: 2-line block ×3, first 2 shown]
	global_store_dword v[38:39], v20, off
	v_add_co_u32_e32 v38, vcc, s3, v40
	v_lshrrev_b32_e32 v29, s16, v29
	v_addc_co_u32_e32 v39, vcc, 0, v41, vcc
	v_add_co_u32_e32 v40, vcc, s5, v44
	v_and_b32_e32 v20, s17, v29
	v_addc_co_u32_e32 v41, vcc, 0, v45, vcc
	global_store_dword v[38:39], v34, off
	global_store_dword v[40:41], v42, off
	v_lshlrev_b32_e32 v20, 3, v20
	ds_read_b64 v[38:39], v20
	v_xor_b32_e32 v24, v37, v24
	s_waitcnt lgkmcnt(0)
	v_lshlrev_b64 v[38:39], 2, v[38:39]
	v_add_co_u32_e32 v20, vcc, v0, v38
	v_addc_co_u32_e32 v29, vcc, v1, v39, vcc
	v_add_co_u32_e32 v38, vcc, 0x3000, v20
	v_addc_co_u32_e32 v39, vcc, 0, v29, vcc
	;; [unrolled: 2-line block ×3, first 2 shown]
	global_store_dword v[38:39], v24, off
	s_barrier
	s_cbranch_scc1 .LBB2559_130
; %bb.131:
	s_add_i32 s7, s7, -1
	s_cmp_eq_u32 s7, s6
	s_cselect_b64 s[2:3], -1, 0
	s_and_b64 s[0:1], s[0:1], s[2:3]
.LBB2559_132:
	s_and_saveexec_b64 s[2:3], s[0:1]
	s_cbranch_execnz .LBB2559_134
; %bb.133:
	s_endpgm
.LBB2559_134:
	v_lshlrev_b32_e32 v6, 3, v2
	v_lshlrev_b64 v[0:1], 3, v[2:3]
	ds_read_b64 v[2:3], v6
	v_add_co_u32_e32 v4, vcc, v4, v30
	v_addc_co_u32_e32 v5, vcc, 0, v5, vcc
	v_mov_b32_e32 v7, s15
	v_add_co_u32_e32 v0, vcc, s14, v0
	v_addc_co_u32_e32 v1, vcc, v7, v1, vcc
	s_waitcnt lgkmcnt(0)
	v_add_co_u32_e32 v2, vcc, v4, v2
	v_addc_co_u32_e32 v3, vcc, v5, v3, vcc
	global_store_dwordx2 v[0:1], v[2:3], off
	s_endpgm
	.section	.rodata,"a",@progbits
	.p2align	6, 0x0
	.amdhsa_kernel _ZN7rocprim17ROCPRIM_400000_NS6detail17trampoline_kernelINS0_14default_configENS1_35radix_sort_onesweep_config_selectorIfNS0_10empty_typeEEEZZNS1_29radix_sort_onesweep_iterationIS3_Lb1EPfS8_PS5_S9_mNS0_19identity_decomposerENS1_16block_id_wrapperIjLb0EEEEE10hipError_tT1_PNSt15iterator_traitsISE_E10value_typeET2_T3_PNSF_ISK_E10value_typeET4_T5_PSP_SQ_PNS1_23onesweep_lookback_stateEbbT6_jjT7_P12ihipStream_tbENKUlT_T0_SE_SJ_E_clIS8_S8_S9_S9_EEDaSX_SY_SE_SJ_EUlSX_E_NS1_11comp_targetILNS1_3genE4ELNS1_11target_archE910ELNS1_3gpuE8ELNS1_3repE0EEENS1_47radix_sort_onesweep_sort_config_static_selectorELNS0_4arch9wavefront6targetE1EEEvSE_
		.amdhsa_group_segment_fixed_size 20552
		.amdhsa_private_segment_fixed_size 0
		.amdhsa_kernarg_size 344
		.amdhsa_user_sgpr_count 6
		.amdhsa_user_sgpr_private_segment_buffer 1
		.amdhsa_user_sgpr_dispatch_ptr 0
		.amdhsa_user_sgpr_queue_ptr 0
		.amdhsa_user_sgpr_kernarg_segment_ptr 1
		.amdhsa_user_sgpr_dispatch_id 0
		.amdhsa_user_sgpr_flat_scratch_init 0
		.amdhsa_user_sgpr_kernarg_preload_length 0
		.amdhsa_user_sgpr_kernarg_preload_offset 0
		.amdhsa_user_sgpr_private_segment_size 0
		.amdhsa_uses_dynamic_stack 0
		.amdhsa_system_sgpr_private_segment_wavefront_offset 0
		.amdhsa_system_sgpr_workgroup_id_x 1
		.amdhsa_system_sgpr_workgroup_id_y 0
		.amdhsa_system_sgpr_workgroup_id_z 0
		.amdhsa_system_sgpr_workgroup_info 0
		.amdhsa_system_vgpr_workitem_id 2
		.amdhsa_next_free_vgpr 63
		.amdhsa_next_free_sgpr 31
		.amdhsa_accum_offset 64
		.amdhsa_reserve_vcc 1
		.amdhsa_reserve_flat_scratch 0
		.amdhsa_float_round_mode_32 0
		.amdhsa_float_round_mode_16_64 0
		.amdhsa_float_denorm_mode_32 3
		.amdhsa_float_denorm_mode_16_64 3
		.amdhsa_dx10_clamp 1
		.amdhsa_ieee_mode 1
		.amdhsa_fp16_overflow 0
		.amdhsa_tg_split 0
		.amdhsa_exception_fp_ieee_invalid_op 0
		.amdhsa_exception_fp_denorm_src 0
		.amdhsa_exception_fp_ieee_div_zero 0
		.amdhsa_exception_fp_ieee_overflow 0
		.amdhsa_exception_fp_ieee_underflow 0
		.amdhsa_exception_fp_ieee_inexact 0
		.amdhsa_exception_int_div_zero 0
	.end_amdhsa_kernel
	.section	.text._ZN7rocprim17ROCPRIM_400000_NS6detail17trampoline_kernelINS0_14default_configENS1_35radix_sort_onesweep_config_selectorIfNS0_10empty_typeEEEZZNS1_29radix_sort_onesweep_iterationIS3_Lb1EPfS8_PS5_S9_mNS0_19identity_decomposerENS1_16block_id_wrapperIjLb0EEEEE10hipError_tT1_PNSt15iterator_traitsISE_E10value_typeET2_T3_PNSF_ISK_E10value_typeET4_T5_PSP_SQ_PNS1_23onesweep_lookback_stateEbbT6_jjT7_P12ihipStream_tbENKUlT_T0_SE_SJ_E_clIS8_S8_S9_S9_EEDaSX_SY_SE_SJ_EUlSX_E_NS1_11comp_targetILNS1_3genE4ELNS1_11target_archE910ELNS1_3gpuE8ELNS1_3repE0EEENS1_47radix_sort_onesweep_sort_config_static_selectorELNS0_4arch9wavefront6targetE1EEEvSE_,"axG",@progbits,_ZN7rocprim17ROCPRIM_400000_NS6detail17trampoline_kernelINS0_14default_configENS1_35radix_sort_onesweep_config_selectorIfNS0_10empty_typeEEEZZNS1_29radix_sort_onesweep_iterationIS3_Lb1EPfS8_PS5_S9_mNS0_19identity_decomposerENS1_16block_id_wrapperIjLb0EEEEE10hipError_tT1_PNSt15iterator_traitsISE_E10value_typeET2_T3_PNSF_ISK_E10value_typeET4_T5_PSP_SQ_PNS1_23onesweep_lookback_stateEbbT6_jjT7_P12ihipStream_tbENKUlT_T0_SE_SJ_E_clIS8_S8_S9_S9_EEDaSX_SY_SE_SJ_EUlSX_E_NS1_11comp_targetILNS1_3genE4ELNS1_11target_archE910ELNS1_3gpuE8ELNS1_3repE0EEENS1_47radix_sort_onesweep_sort_config_static_selectorELNS0_4arch9wavefront6targetE1EEEvSE_,comdat
.Lfunc_end2559:
	.size	_ZN7rocprim17ROCPRIM_400000_NS6detail17trampoline_kernelINS0_14default_configENS1_35radix_sort_onesweep_config_selectorIfNS0_10empty_typeEEEZZNS1_29radix_sort_onesweep_iterationIS3_Lb1EPfS8_PS5_S9_mNS0_19identity_decomposerENS1_16block_id_wrapperIjLb0EEEEE10hipError_tT1_PNSt15iterator_traitsISE_E10value_typeET2_T3_PNSF_ISK_E10value_typeET4_T5_PSP_SQ_PNS1_23onesweep_lookback_stateEbbT6_jjT7_P12ihipStream_tbENKUlT_T0_SE_SJ_E_clIS8_S8_S9_S9_EEDaSX_SY_SE_SJ_EUlSX_E_NS1_11comp_targetILNS1_3genE4ELNS1_11target_archE910ELNS1_3gpuE8ELNS1_3repE0EEENS1_47radix_sort_onesweep_sort_config_static_selectorELNS0_4arch9wavefront6targetE1EEEvSE_, .Lfunc_end2559-_ZN7rocprim17ROCPRIM_400000_NS6detail17trampoline_kernelINS0_14default_configENS1_35radix_sort_onesweep_config_selectorIfNS0_10empty_typeEEEZZNS1_29radix_sort_onesweep_iterationIS3_Lb1EPfS8_PS5_S9_mNS0_19identity_decomposerENS1_16block_id_wrapperIjLb0EEEEE10hipError_tT1_PNSt15iterator_traitsISE_E10value_typeET2_T3_PNSF_ISK_E10value_typeET4_T5_PSP_SQ_PNS1_23onesweep_lookback_stateEbbT6_jjT7_P12ihipStream_tbENKUlT_T0_SE_SJ_E_clIS8_S8_S9_S9_EEDaSX_SY_SE_SJ_EUlSX_E_NS1_11comp_targetILNS1_3genE4ELNS1_11target_archE910ELNS1_3gpuE8ELNS1_3repE0EEENS1_47radix_sort_onesweep_sort_config_static_selectorELNS0_4arch9wavefront6targetE1EEEvSE_
                                        ; -- End function
	.section	.AMDGPU.csdata,"",@progbits
; Kernel info:
; codeLenInByte = 14744
; NumSgprs: 35
; NumVgprs: 63
; NumAgprs: 0
; TotalNumVgprs: 63
; ScratchSize: 0
; MemoryBound: 0
; FloatMode: 240
; IeeeMode: 1
; LDSByteSize: 20552 bytes/workgroup (compile time only)
; SGPRBlocks: 4
; VGPRBlocks: 7
; NumSGPRsForWavesPerEU: 35
; NumVGPRsForWavesPerEU: 63
; AccumOffset: 64
; Occupancy: 8
; WaveLimiterHint : 1
; COMPUTE_PGM_RSRC2:SCRATCH_EN: 0
; COMPUTE_PGM_RSRC2:USER_SGPR: 6
; COMPUTE_PGM_RSRC2:TRAP_HANDLER: 0
; COMPUTE_PGM_RSRC2:TGID_X_EN: 1
; COMPUTE_PGM_RSRC2:TGID_Y_EN: 0
; COMPUTE_PGM_RSRC2:TGID_Z_EN: 0
; COMPUTE_PGM_RSRC2:TIDIG_COMP_CNT: 2
; COMPUTE_PGM_RSRC3_GFX90A:ACCUM_OFFSET: 15
; COMPUTE_PGM_RSRC3_GFX90A:TG_SPLIT: 0
	.section	.text._ZN7rocprim17ROCPRIM_400000_NS6detail17trampoline_kernelINS0_14default_configENS1_35radix_sort_onesweep_config_selectorIfNS0_10empty_typeEEEZZNS1_29radix_sort_onesweep_iterationIS3_Lb1EPfS8_PS5_S9_mNS0_19identity_decomposerENS1_16block_id_wrapperIjLb0EEEEE10hipError_tT1_PNSt15iterator_traitsISE_E10value_typeET2_T3_PNSF_ISK_E10value_typeET4_T5_PSP_SQ_PNS1_23onesweep_lookback_stateEbbT6_jjT7_P12ihipStream_tbENKUlT_T0_SE_SJ_E_clIS8_S8_S9_S9_EEDaSX_SY_SE_SJ_EUlSX_E_NS1_11comp_targetILNS1_3genE3ELNS1_11target_archE908ELNS1_3gpuE7ELNS1_3repE0EEENS1_47radix_sort_onesweep_sort_config_static_selectorELNS0_4arch9wavefront6targetE1EEEvSE_,"axG",@progbits,_ZN7rocprim17ROCPRIM_400000_NS6detail17trampoline_kernelINS0_14default_configENS1_35radix_sort_onesweep_config_selectorIfNS0_10empty_typeEEEZZNS1_29radix_sort_onesweep_iterationIS3_Lb1EPfS8_PS5_S9_mNS0_19identity_decomposerENS1_16block_id_wrapperIjLb0EEEEE10hipError_tT1_PNSt15iterator_traitsISE_E10value_typeET2_T3_PNSF_ISK_E10value_typeET4_T5_PSP_SQ_PNS1_23onesweep_lookback_stateEbbT6_jjT7_P12ihipStream_tbENKUlT_T0_SE_SJ_E_clIS8_S8_S9_S9_EEDaSX_SY_SE_SJ_EUlSX_E_NS1_11comp_targetILNS1_3genE3ELNS1_11target_archE908ELNS1_3gpuE7ELNS1_3repE0EEENS1_47radix_sort_onesweep_sort_config_static_selectorELNS0_4arch9wavefront6targetE1EEEvSE_,comdat
	.protected	_ZN7rocprim17ROCPRIM_400000_NS6detail17trampoline_kernelINS0_14default_configENS1_35radix_sort_onesweep_config_selectorIfNS0_10empty_typeEEEZZNS1_29radix_sort_onesweep_iterationIS3_Lb1EPfS8_PS5_S9_mNS0_19identity_decomposerENS1_16block_id_wrapperIjLb0EEEEE10hipError_tT1_PNSt15iterator_traitsISE_E10value_typeET2_T3_PNSF_ISK_E10value_typeET4_T5_PSP_SQ_PNS1_23onesweep_lookback_stateEbbT6_jjT7_P12ihipStream_tbENKUlT_T0_SE_SJ_E_clIS8_S8_S9_S9_EEDaSX_SY_SE_SJ_EUlSX_E_NS1_11comp_targetILNS1_3genE3ELNS1_11target_archE908ELNS1_3gpuE7ELNS1_3repE0EEENS1_47radix_sort_onesweep_sort_config_static_selectorELNS0_4arch9wavefront6targetE1EEEvSE_ ; -- Begin function _ZN7rocprim17ROCPRIM_400000_NS6detail17trampoline_kernelINS0_14default_configENS1_35radix_sort_onesweep_config_selectorIfNS0_10empty_typeEEEZZNS1_29radix_sort_onesweep_iterationIS3_Lb1EPfS8_PS5_S9_mNS0_19identity_decomposerENS1_16block_id_wrapperIjLb0EEEEE10hipError_tT1_PNSt15iterator_traitsISE_E10value_typeET2_T3_PNSF_ISK_E10value_typeET4_T5_PSP_SQ_PNS1_23onesweep_lookback_stateEbbT6_jjT7_P12ihipStream_tbENKUlT_T0_SE_SJ_E_clIS8_S8_S9_S9_EEDaSX_SY_SE_SJ_EUlSX_E_NS1_11comp_targetILNS1_3genE3ELNS1_11target_archE908ELNS1_3gpuE7ELNS1_3repE0EEENS1_47radix_sort_onesweep_sort_config_static_selectorELNS0_4arch9wavefront6targetE1EEEvSE_
	.globl	_ZN7rocprim17ROCPRIM_400000_NS6detail17trampoline_kernelINS0_14default_configENS1_35radix_sort_onesweep_config_selectorIfNS0_10empty_typeEEEZZNS1_29radix_sort_onesweep_iterationIS3_Lb1EPfS8_PS5_S9_mNS0_19identity_decomposerENS1_16block_id_wrapperIjLb0EEEEE10hipError_tT1_PNSt15iterator_traitsISE_E10value_typeET2_T3_PNSF_ISK_E10value_typeET4_T5_PSP_SQ_PNS1_23onesweep_lookback_stateEbbT6_jjT7_P12ihipStream_tbENKUlT_T0_SE_SJ_E_clIS8_S8_S9_S9_EEDaSX_SY_SE_SJ_EUlSX_E_NS1_11comp_targetILNS1_3genE3ELNS1_11target_archE908ELNS1_3gpuE7ELNS1_3repE0EEENS1_47radix_sort_onesweep_sort_config_static_selectorELNS0_4arch9wavefront6targetE1EEEvSE_
	.p2align	8
	.type	_ZN7rocprim17ROCPRIM_400000_NS6detail17trampoline_kernelINS0_14default_configENS1_35radix_sort_onesweep_config_selectorIfNS0_10empty_typeEEEZZNS1_29radix_sort_onesweep_iterationIS3_Lb1EPfS8_PS5_S9_mNS0_19identity_decomposerENS1_16block_id_wrapperIjLb0EEEEE10hipError_tT1_PNSt15iterator_traitsISE_E10value_typeET2_T3_PNSF_ISK_E10value_typeET4_T5_PSP_SQ_PNS1_23onesweep_lookback_stateEbbT6_jjT7_P12ihipStream_tbENKUlT_T0_SE_SJ_E_clIS8_S8_S9_S9_EEDaSX_SY_SE_SJ_EUlSX_E_NS1_11comp_targetILNS1_3genE3ELNS1_11target_archE908ELNS1_3gpuE7ELNS1_3repE0EEENS1_47radix_sort_onesweep_sort_config_static_selectorELNS0_4arch9wavefront6targetE1EEEvSE_,@function
_ZN7rocprim17ROCPRIM_400000_NS6detail17trampoline_kernelINS0_14default_configENS1_35radix_sort_onesweep_config_selectorIfNS0_10empty_typeEEEZZNS1_29radix_sort_onesweep_iterationIS3_Lb1EPfS8_PS5_S9_mNS0_19identity_decomposerENS1_16block_id_wrapperIjLb0EEEEE10hipError_tT1_PNSt15iterator_traitsISE_E10value_typeET2_T3_PNSF_ISK_E10value_typeET4_T5_PSP_SQ_PNS1_23onesweep_lookback_stateEbbT6_jjT7_P12ihipStream_tbENKUlT_T0_SE_SJ_E_clIS8_S8_S9_S9_EEDaSX_SY_SE_SJ_EUlSX_E_NS1_11comp_targetILNS1_3genE3ELNS1_11target_archE908ELNS1_3gpuE7ELNS1_3repE0EEENS1_47radix_sort_onesweep_sort_config_static_selectorELNS0_4arch9wavefront6targetE1EEEvSE_: ; @_ZN7rocprim17ROCPRIM_400000_NS6detail17trampoline_kernelINS0_14default_configENS1_35radix_sort_onesweep_config_selectorIfNS0_10empty_typeEEEZZNS1_29radix_sort_onesweep_iterationIS3_Lb1EPfS8_PS5_S9_mNS0_19identity_decomposerENS1_16block_id_wrapperIjLb0EEEEE10hipError_tT1_PNSt15iterator_traitsISE_E10value_typeET2_T3_PNSF_ISK_E10value_typeET4_T5_PSP_SQ_PNS1_23onesweep_lookback_stateEbbT6_jjT7_P12ihipStream_tbENKUlT_T0_SE_SJ_E_clIS8_S8_S9_S9_EEDaSX_SY_SE_SJ_EUlSX_E_NS1_11comp_targetILNS1_3genE3ELNS1_11target_archE908ELNS1_3gpuE7ELNS1_3repE0EEENS1_47radix_sort_onesweep_sort_config_static_selectorELNS0_4arch9wavefront6targetE1EEEvSE_
; %bb.0:
	.section	.rodata,"a",@progbits
	.p2align	6, 0x0
	.amdhsa_kernel _ZN7rocprim17ROCPRIM_400000_NS6detail17trampoline_kernelINS0_14default_configENS1_35radix_sort_onesweep_config_selectorIfNS0_10empty_typeEEEZZNS1_29radix_sort_onesweep_iterationIS3_Lb1EPfS8_PS5_S9_mNS0_19identity_decomposerENS1_16block_id_wrapperIjLb0EEEEE10hipError_tT1_PNSt15iterator_traitsISE_E10value_typeET2_T3_PNSF_ISK_E10value_typeET4_T5_PSP_SQ_PNS1_23onesweep_lookback_stateEbbT6_jjT7_P12ihipStream_tbENKUlT_T0_SE_SJ_E_clIS8_S8_S9_S9_EEDaSX_SY_SE_SJ_EUlSX_E_NS1_11comp_targetILNS1_3genE3ELNS1_11target_archE908ELNS1_3gpuE7ELNS1_3repE0EEENS1_47radix_sort_onesweep_sort_config_static_selectorELNS0_4arch9wavefront6targetE1EEEvSE_
		.amdhsa_group_segment_fixed_size 0
		.amdhsa_private_segment_fixed_size 0
		.amdhsa_kernarg_size 88
		.amdhsa_user_sgpr_count 6
		.amdhsa_user_sgpr_private_segment_buffer 1
		.amdhsa_user_sgpr_dispatch_ptr 0
		.amdhsa_user_sgpr_queue_ptr 0
		.amdhsa_user_sgpr_kernarg_segment_ptr 1
		.amdhsa_user_sgpr_dispatch_id 0
		.amdhsa_user_sgpr_flat_scratch_init 0
		.amdhsa_user_sgpr_kernarg_preload_length 0
		.amdhsa_user_sgpr_kernarg_preload_offset 0
		.amdhsa_user_sgpr_private_segment_size 0
		.amdhsa_uses_dynamic_stack 0
		.amdhsa_system_sgpr_private_segment_wavefront_offset 0
		.amdhsa_system_sgpr_workgroup_id_x 1
		.amdhsa_system_sgpr_workgroup_id_y 0
		.amdhsa_system_sgpr_workgroup_id_z 0
		.amdhsa_system_sgpr_workgroup_info 0
		.amdhsa_system_vgpr_workitem_id 0
		.amdhsa_next_free_vgpr 1
		.amdhsa_next_free_sgpr 0
		.amdhsa_accum_offset 4
		.amdhsa_reserve_vcc 0
		.amdhsa_reserve_flat_scratch 0
		.amdhsa_float_round_mode_32 0
		.amdhsa_float_round_mode_16_64 0
		.amdhsa_float_denorm_mode_32 3
		.amdhsa_float_denorm_mode_16_64 3
		.amdhsa_dx10_clamp 1
		.amdhsa_ieee_mode 1
		.amdhsa_fp16_overflow 0
		.amdhsa_tg_split 0
		.amdhsa_exception_fp_ieee_invalid_op 0
		.amdhsa_exception_fp_denorm_src 0
		.amdhsa_exception_fp_ieee_div_zero 0
		.amdhsa_exception_fp_ieee_overflow 0
		.amdhsa_exception_fp_ieee_underflow 0
		.amdhsa_exception_fp_ieee_inexact 0
		.amdhsa_exception_int_div_zero 0
	.end_amdhsa_kernel
	.section	.text._ZN7rocprim17ROCPRIM_400000_NS6detail17trampoline_kernelINS0_14default_configENS1_35radix_sort_onesweep_config_selectorIfNS0_10empty_typeEEEZZNS1_29radix_sort_onesweep_iterationIS3_Lb1EPfS8_PS5_S9_mNS0_19identity_decomposerENS1_16block_id_wrapperIjLb0EEEEE10hipError_tT1_PNSt15iterator_traitsISE_E10value_typeET2_T3_PNSF_ISK_E10value_typeET4_T5_PSP_SQ_PNS1_23onesweep_lookback_stateEbbT6_jjT7_P12ihipStream_tbENKUlT_T0_SE_SJ_E_clIS8_S8_S9_S9_EEDaSX_SY_SE_SJ_EUlSX_E_NS1_11comp_targetILNS1_3genE3ELNS1_11target_archE908ELNS1_3gpuE7ELNS1_3repE0EEENS1_47radix_sort_onesweep_sort_config_static_selectorELNS0_4arch9wavefront6targetE1EEEvSE_,"axG",@progbits,_ZN7rocprim17ROCPRIM_400000_NS6detail17trampoline_kernelINS0_14default_configENS1_35radix_sort_onesweep_config_selectorIfNS0_10empty_typeEEEZZNS1_29radix_sort_onesweep_iterationIS3_Lb1EPfS8_PS5_S9_mNS0_19identity_decomposerENS1_16block_id_wrapperIjLb0EEEEE10hipError_tT1_PNSt15iterator_traitsISE_E10value_typeET2_T3_PNSF_ISK_E10value_typeET4_T5_PSP_SQ_PNS1_23onesweep_lookback_stateEbbT6_jjT7_P12ihipStream_tbENKUlT_T0_SE_SJ_E_clIS8_S8_S9_S9_EEDaSX_SY_SE_SJ_EUlSX_E_NS1_11comp_targetILNS1_3genE3ELNS1_11target_archE908ELNS1_3gpuE7ELNS1_3repE0EEENS1_47radix_sort_onesweep_sort_config_static_selectorELNS0_4arch9wavefront6targetE1EEEvSE_,comdat
.Lfunc_end2560:
	.size	_ZN7rocprim17ROCPRIM_400000_NS6detail17trampoline_kernelINS0_14default_configENS1_35radix_sort_onesweep_config_selectorIfNS0_10empty_typeEEEZZNS1_29radix_sort_onesweep_iterationIS3_Lb1EPfS8_PS5_S9_mNS0_19identity_decomposerENS1_16block_id_wrapperIjLb0EEEEE10hipError_tT1_PNSt15iterator_traitsISE_E10value_typeET2_T3_PNSF_ISK_E10value_typeET4_T5_PSP_SQ_PNS1_23onesweep_lookback_stateEbbT6_jjT7_P12ihipStream_tbENKUlT_T0_SE_SJ_E_clIS8_S8_S9_S9_EEDaSX_SY_SE_SJ_EUlSX_E_NS1_11comp_targetILNS1_3genE3ELNS1_11target_archE908ELNS1_3gpuE7ELNS1_3repE0EEENS1_47radix_sort_onesweep_sort_config_static_selectorELNS0_4arch9wavefront6targetE1EEEvSE_, .Lfunc_end2560-_ZN7rocprim17ROCPRIM_400000_NS6detail17trampoline_kernelINS0_14default_configENS1_35radix_sort_onesweep_config_selectorIfNS0_10empty_typeEEEZZNS1_29radix_sort_onesweep_iterationIS3_Lb1EPfS8_PS5_S9_mNS0_19identity_decomposerENS1_16block_id_wrapperIjLb0EEEEE10hipError_tT1_PNSt15iterator_traitsISE_E10value_typeET2_T3_PNSF_ISK_E10value_typeET4_T5_PSP_SQ_PNS1_23onesweep_lookback_stateEbbT6_jjT7_P12ihipStream_tbENKUlT_T0_SE_SJ_E_clIS8_S8_S9_S9_EEDaSX_SY_SE_SJ_EUlSX_E_NS1_11comp_targetILNS1_3genE3ELNS1_11target_archE908ELNS1_3gpuE7ELNS1_3repE0EEENS1_47radix_sort_onesweep_sort_config_static_selectorELNS0_4arch9wavefront6targetE1EEEvSE_
                                        ; -- End function
	.section	.AMDGPU.csdata,"",@progbits
; Kernel info:
; codeLenInByte = 0
; NumSgprs: 4
; NumVgprs: 0
; NumAgprs: 0
; TotalNumVgprs: 0
; ScratchSize: 0
; MemoryBound: 0
; FloatMode: 240
; IeeeMode: 1
; LDSByteSize: 0 bytes/workgroup (compile time only)
; SGPRBlocks: 0
; VGPRBlocks: 0
; NumSGPRsForWavesPerEU: 4
; NumVGPRsForWavesPerEU: 1
; AccumOffset: 4
; Occupancy: 8
; WaveLimiterHint : 0
; COMPUTE_PGM_RSRC2:SCRATCH_EN: 0
; COMPUTE_PGM_RSRC2:USER_SGPR: 6
; COMPUTE_PGM_RSRC2:TRAP_HANDLER: 0
; COMPUTE_PGM_RSRC2:TGID_X_EN: 1
; COMPUTE_PGM_RSRC2:TGID_Y_EN: 0
; COMPUTE_PGM_RSRC2:TGID_Z_EN: 0
; COMPUTE_PGM_RSRC2:TIDIG_COMP_CNT: 0
; COMPUTE_PGM_RSRC3_GFX90A:ACCUM_OFFSET: 0
; COMPUTE_PGM_RSRC3_GFX90A:TG_SPLIT: 0
	.section	.text._ZN7rocprim17ROCPRIM_400000_NS6detail17trampoline_kernelINS0_14default_configENS1_35radix_sort_onesweep_config_selectorIfNS0_10empty_typeEEEZZNS1_29radix_sort_onesweep_iterationIS3_Lb1EPfS8_PS5_S9_mNS0_19identity_decomposerENS1_16block_id_wrapperIjLb0EEEEE10hipError_tT1_PNSt15iterator_traitsISE_E10value_typeET2_T3_PNSF_ISK_E10value_typeET4_T5_PSP_SQ_PNS1_23onesweep_lookback_stateEbbT6_jjT7_P12ihipStream_tbENKUlT_T0_SE_SJ_E_clIS8_S8_S9_S9_EEDaSX_SY_SE_SJ_EUlSX_E_NS1_11comp_targetILNS1_3genE10ELNS1_11target_archE1201ELNS1_3gpuE5ELNS1_3repE0EEENS1_47radix_sort_onesweep_sort_config_static_selectorELNS0_4arch9wavefront6targetE1EEEvSE_,"axG",@progbits,_ZN7rocprim17ROCPRIM_400000_NS6detail17trampoline_kernelINS0_14default_configENS1_35radix_sort_onesweep_config_selectorIfNS0_10empty_typeEEEZZNS1_29radix_sort_onesweep_iterationIS3_Lb1EPfS8_PS5_S9_mNS0_19identity_decomposerENS1_16block_id_wrapperIjLb0EEEEE10hipError_tT1_PNSt15iterator_traitsISE_E10value_typeET2_T3_PNSF_ISK_E10value_typeET4_T5_PSP_SQ_PNS1_23onesweep_lookback_stateEbbT6_jjT7_P12ihipStream_tbENKUlT_T0_SE_SJ_E_clIS8_S8_S9_S9_EEDaSX_SY_SE_SJ_EUlSX_E_NS1_11comp_targetILNS1_3genE10ELNS1_11target_archE1201ELNS1_3gpuE5ELNS1_3repE0EEENS1_47radix_sort_onesweep_sort_config_static_selectorELNS0_4arch9wavefront6targetE1EEEvSE_,comdat
	.protected	_ZN7rocprim17ROCPRIM_400000_NS6detail17trampoline_kernelINS0_14default_configENS1_35radix_sort_onesweep_config_selectorIfNS0_10empty_typeEEEZZNS1_29radix_sort_onesweep_iterationIS3_Lb1EPfS8_PS5_S9_mNS0_19identity_decomposerENS1_16block_id_wrapperIjLb0EEEEE10hipError_tT1_PNSt15iterator_traitsISE_E10value_typeET2_T3_PNSF_ISK_E10value_typeET4_T5_PSP_SQ_PNS1_23onesweep_lookback_stateEbbT6_jjT7_P12ihipStream_tbENKUlT_T0_SE_SJ_E_clIS8_S8_S9_S9_EEDaSX_SY_SE_SJ_EUlSX_E_NS1_11comp_targetILNS1_3genE10ELNS1_11target_archE1201ELNS1_3gpuE5ELNS1_3repE0EEENS1_47radix_sort_onesweep_sort_config_static_selectorELNS0_4arch9wavefront6targetE1EEEvSE_ ; -- Begin function _ZN7rocprim17ROCPRIM_400000_NS6detail17trampoline_kernelINS0_14default_configENS1_35radix_sort_onesweep_config_selectorIfNS0_10empty_typeEEEZZNS1_29radix_sort_onesweep_iterationIS3_Lb1EPfS8_PS5_S9_mNS0_19identity_decomposerENS1_16block_id_wrapperIjLb0EEEEE10hipError_tT1_PNSt15iterator_traitsISE_E10value_typeET2_T3_PNSF_ISK_E10value_typeET4_T5_PSP_SQ_PNS1_23onesweep_lookback_stateEbbT6_jjT7_P12ihipStream_tbENKUlT_T0_SE_SJ_E_clIS8_S8_S9_S9_EEDaSX_SY_SE_SJ_EUlSX_E_NS1_11comp_targetILNS1_3genE10ELNS1_11target_archE1201ELNS1_3gpuE5ELNS1_3repE0EEENS1_47radix_sort_onesweep_sort_config_static_selectorELNS0_4arch9wavefront6targetE1EEEvSE_
	.globl	_ZN7rocprim17ROCPRIM_400000_NS6detail17trampoline_kernelINS0_14default_configENS1_35radix_sort_onesweep_config_selectorIfNS0_10empty_typeEEEZZNS1_29radix_sort_onesweep_iterationIS3_Lb1EPfS8_PS5_S9_mNS0_19identity_decomposerENS1_16block_id_wrapperIjLb0EEEEE10hipError_tT1_PNSt15iterator_traitsISE_E10value_typeET2_T3_PNSF_ISK_E10value_typeET4_T5_PSP_SQ_PNS1_23onesweep_lookback_stateEbbT6_jjT7_P12ihipStream_tbENKUlT_T0_SE_SJ_E_clIS8_S8_S9_S9_EEDaSX_SY_SE_SJ_EUlSX_E_NS1_11comp_targetILNS1_3genE10ELNS1_11target_archE1201ELNS1_3gpuE5ELNS1_3repE0EEENS1_47radix_sort_onesweep_sort_config_static_selectorELNS0_4arch9wavefront6targetE1EEEvSE_
	.p2align	8
	.type	_ZN7rocprim17ROCPRIM_400000_NS6detail17trampoline_kernelINS0_14default_configENS1_35radix_sort_onesweep_config_selectorIfNS0_10empty_typeEEEZZNS1_29radix_sort_onesweep_iterationIS3_Lb1EPfS8_PS5_S9_mNS0_19identity_decomposerENS1_16block_id_wrapperIjLb0EEEEE10hipError_tT1_PNSt15iterator_traitsISE_E10value_typeET2_T3_PNSF_ISK_E10value_typeET4_T5_PSP_SQ_PNS1_23onesweep_lookback_stateEbbT6_jjT7_P12ihipStream_tbENKUlT_T0_SE_SJ_E_clIS8_S8_S9_S9_EEDaSX_SY_SE_SJ_EUlSX_E_NS1_11comp_targetILNS1_3genE10ELNS1_11target_archE1201ELNS1_3gpuE5ELNS1_3repE0EEENS1_47radix_sort_onesweep_sort_config_static_selectorELNS0_4arch9wavefront6targetE1EEEvSE_,@function
_ZN7rocprim17ROCPRIM_400000_NS6detail17trampoline_kernelINS0_14default_configENS1_35radix_sort_onesweep_config_selectorIfNS0_10empty_typeEEEZZNS1_29radix_sort_onesweep_iterationIS3_Lb1EPfS8_PS5_S9_mNS0_19identity_decomposerENS1_16block_id_wrapperIjLb0EEEEE10hipError_tT1_PNSt15iterator_traitsISE_E10value_typeET2_T3_PNSF_ISK_E10value_typeET4_T5_PSP_SQ_PNS1_23onesweep_lookback_stateEbbT6_jjT7_P12ihipStream_tbENKUlT_T0_SE_SJ_E_clIS8_S8_S9_S9_EEDaSX_SY_SE_SJ_EUlSX_E_NS1_11comp_targetILNS1_3genE10ELNS1_11target_archE1201ELNS1_3gpuE5ELNS1_3repE0EEENS1_47radix_sort_onesweep_sort_config_static_selectorELNS0_4arch9wavefront6targetE1EEEvSE_: ; @_ZN7rocprim17ROCPRIM_400000_NS6detail17trampoline_kernelINS0_14default_configENS1_35radix_sort_onesweep_config_selectorIfNS0_10empty_typeEEEZZNS1_29radix_sort_onesweep_iterationIS3_Lb1EPfS8_PS5_S9_mNS0_19identity_decomposerENS1_16block_id_wrapperIjLb0EEEEE10hipError_tT1_PNSt15iterator_traitsISE_E10value_typeET2_T3_PNSF_ISK_E10value_typeET4_T5_PSP_SQ_PNS1_23onesweep_lookback_stateEbbT6_jjT7_P12ihipStream_tbENKUlT_T0_SE_SJ_E_clIS8_S8_S9_S9_EEDaSX_SY_SE_SJ_EUlSX_E_NS1_11comp_targetILNS1_3genE10ELNS1_11target_archE1201ELNS1_3gpuE5ELNS1_3repE0EEENS1_47radix_sort_onesweep_sort_config_static_selectorELNS0_4arch9wavefront6targetE1EEEvSE_
; %bb.0:
	.section	.rodata,"a",@progbits
	.p2align	6, 0x0
	.amdhsa_kernel _ZN7rocprim17ROCPRIM_400000_NS6detail17trampoline_kernelINS0_14default_configENS1_35radix_sort_onesweep_config_selectorIfNS0_10empty_typeEEEZZNS1_29radix_sort_onesweep_iterationIS3_Lb1EPfS8_PS5_S9_mNS0_19identity_decomposerENS1_16block_id_wrapperIjLb0EEEEE10hipError_tT1_PNSt15iterator_traitsISE_E10value_typeET2_T3_PNSF_ISK_E10value_typeET4_T5_PSP_SQ_PNS1_23onesweep_lookback_stateEbbT6_jjT7_P12ihipStream_tbENKUlT_T0_SE_SJ_E_clIS8_S8_S9_S9_EEDaSX_SY_SE_SJ_EUlSX_E_NS1_11comp_targetILNS1_3genE10ELNS1_11target_archE1201ELNS1_3gpuE5ELNS1_3repE0EEENS1_47radix_sort_onesweep_sort_config_static_selectorELNS0_4arch9wavefront6targetE1EEEvSE_
		.amdhsa_group_segment_fixed_size 0
		.amdhsa_private_segment_fixed_size 0
		.amdhsa_kernarg_size 88
		.amdhsa_user_sgpr_count 6
		.amdhsa_user_sgpr_private_segment_buffer 1
		.amdhsa_user_sgpr_dispatch_ptr 0
		.amdhsa_user_sgpr_queue_ptr 0
		.amdhsa_user_sgpr_kernarg_segment_ptr 1
		.amdhsa_user_sgpr_dispatch_id 0
		.amdhsa_user_sgpr_flat_scratch_init 0
		.amdhsa_user_sgpr_kernarg_preload_length 0
		.amdhsa_user_sgpr_kernarg_preload_offset 0
		.amdhsa_user_sgpr_private_segment_size 0
		.amdhsa_uses_dynamic_stack 0
		.amdhsa_system_sgpr_private_segment_wavefront_offset 0
		.amdhsa_system_sgpr_workgroup_id_x 1
		.amdhsa_system_sgpr_workgroup_id_y 0
		.amdhsa_system_sgpr_workgroup_id_z 0
		.amdhsa_system_sgpr_workgroup_info 0
		.amdhsa_system_vgpr_workitem_id 0
		.amdhsa_next_free_vgpr 1
		.amdhsa_next_free_sgpr 0
		.amdhsa_accum_offset 4
		.amdhsa_reserve_vcc 0
		.amdhsa_reserve_flat_scratch 0
		.amdhsa_float_round_mode_32 0
		.amdhsa_float_round_mode_16_64 0
		.amdhsa_float_denorm_mode_32 3
		.amdhsa_float_denorm_mode_16_64 3
		.amdhsa_dx10_clamp 1
		.amdhsa_ieee_mode 1
		.amdhsa_fp16_overflow 0
		.amdhsa_tg_split 0
		.amdhsa_exception_fp_ieee_invalid_op 0
		.amdhsa_exception_fp_denorm_src 0
		.amdhsa_exception_fp_ieee_div_zero 0
		.amdhsa_exception_fp_ieee_overflow 0
		.amdhsa_exception_fp_ieee_underflow 0
		.amdhsa_exception_fp_ieee_inexact 0
		.amdhsa_exception_int_div_zero 0
	.end_amdhsa_kernel
	.section	.text._ZN7rocprim17ROCPRIM_400000_NS6detail17trampoline_kernelINS0_14default_configENS1_35radix_sort_onesweep_config_selectorIfNS0_10empty_typeEEEZZNS1_29radix_sort_onesweep_iterationIS3_Lb1EPfS8_PS5_S9_mNS0_19identity_decomposerENS1_16block_id_wrapperIjLb0EEEEE10hipError_tT1_PNSt15iterator_traitsISE_E10value_typeET2_T3_PNSF_ISK_E10value_typeET4_T5_PSP_SQ_PNS1_23onesweep_lookback_stateEbbT6_jjT7_P12ihipStream_tbENKUlT_T0_SE_SJ_E_clIS8_S8_S9_S9_EEDaSX_SY_SE_SJ_EUlSX_E_NS1_11comp_targetILNS1_3genE10ELNS1_11target_archE1201ELNS1_3gpuE5ELNS1_3repE0EEENS1_47radix_sort_onesweep_sort_config_static_selectorELNS0_4arch9wavefront6targetE1EEEvSE_,"axG",@progbits,_ZN7rocprim17ROCPRIM_400000_NS6detail17trampoline_kernelINS0_14default_configENS1_35radix_sort_onesweep_config_selectorIfNS0_10empty_typeEEEZZNS1_29radix_sort_onesweep_iterationIS3_Lb1EPfS8_PS5_S9_mNS0_19identity_decomposerENS1_16block_id_wrapperIjLb0EEEEE10hipError_tT1_PNSt15iterator_traitsISE_E10value_typeET2_T3_PNSF_ISK_E10value_typeET4_T5_PSP_SQ_PNS1_23onesweep_lookback_stateEbbT6_jjT7_P12ihipStream_tbENKUlT_T0_SE_SJ_E_clIS8_S8_S9_S9_EEDaSX_SY_SE_SJ_EUlSX_E_NS1_11comp_targetILNS1_3genE10ELNS1_11target_archE1201ELNS1_3gpuE5ELNS1_3repE0EEENS1_47radix_sort_onesweep_sort_config_static_selectorELNS0_4arch9wavefront6targetE1EEEvSE_,comdat
.Lfunc_end2561:
	.size	_ZN7rocprim17ROCPRIM_400000_NS6detail17trampoline_kernelINS0_14default_configENS1_35radix_sort_onesweep_config_selectorIfNS0_10empty_typeEEEZZNS1_29radix_sort_onesweep_iterationIS3_Lb1EPfS8_PS5_S9_mNS0_19identity_decomposerENS1_16block_id_wrapperIjLb0EEEEE10hipError_tT1_PNSt15iterator_traitsISE_E10value_typeET2_T3_PNSF_ISK_E10value_typeET4_T5_PSP_SQ_PNS1_23onesweep_lookback_stateEbbT6_jjT7_P12ihipStream_tbENKUlT_T0_SE_SJ_E_clIS8_S8_S9_S9_EEDaSX_SY_SE_SJ_EUlSX_E_NS1_11comp_targetILNS1_3genE10ELNS1_11target_archE1201ELNS1_3gpuE5ELNS1_3repE0EEENS1_47radix_sort_onesweep_sort_config_static_selectorELNS0_4arch9wavefront6targetE1EEEvSE_, .Lfunc_end2561-_ZN7rocprim17ROCPRIM_400000_NS6detail17trampoline_kernelINS0_14default_configENS1_35radix_sort_onesweep_config_selectorIfNS0_10empty_typeEEEZZNS1_29radix_sort_onesweep_iterationIS3_Lb1EPfS8_PS5_S9_mNS0_19identity_decomposerENS1_16block_id_wrapperIjLb0EEEEE10hipError_tT1_PNSt15iterator_traitsISE_E10value_typeET2_T3_PNSF_ISK_E10value_typeET4_T5_PSP_SQ_PNS1_23onesweep_lookback_stateEbbT6_jjT7_P12ihipStream_tbENKUlT_T0_SE_SJ_E_clIS8_S8_S9_S9_EEDaSX_SY_SE_SJ_EUlSX_E_NS1_11comp_targetILNS1_3genE10ELNS1_11target_archE1201ELNS1_3gpuE5ELNS1_3repE0EEENS1_47radix_sort_onesweep_sort_config_static_selectorELNS0_4arch9wavefront6targetE1EEEvSE_
                                        ; -- End function
	.section	.AMDGPU.csdata,"",@progbits
; Kernel info:
; codeLenInByte = 0
; NumSgprs: 4
; NumVgprs: 0
; NumAgprs: 0
; TotalNumVgprs: 0
; ScratchSize: 0
; MemoryBound: 0
; FloatMode: 240
; IeeeMode: 1
; LDSByteSize: 0 bytes/workgroup (compile time only)
; SGPRBlocks: 0
; VGPRBlocks: 0
; NumSGPRsForWavesPerEU: 4
; NumVGPRsForWavesPerEU: 1
; AccumOffset: 4
; Occupancy: 8
; WaveLimiterHint : 0
; COMPUTE_PGM_RSRC2:SCRATCH_EN: 0
; COMPUTE_PGM_RSRC2:USER_SGPR: 6
; COMPUTE_PGM_RSRC2:TRAP_HANDLER: 0
; COMPUTE_PGM_RSRC2:TGID_X_EN: 1
; COMPUTE_PGM_RSRC2:TGID_Y_EN: 0
; COMPUTE_PGM_RSRC2:TGID_Z_EN: 0
; COMPUTE_PGM_RSRC2:TIDIG_COMP_CNT: 0
; COMPUTE_PGM_RSRC3_GFX90A:ACCUM_OFFSET: 0
; COMPUTE_PGM_RSRC3_GFX90A:TG_SPLIT: 0
	.section	.text._ZN7rocprim17ROCPRIM_400000_NS6detail17trampoline_kernelINS0_14default_configENS1_35radix_sort_onesweep_config_selectorIfNS0_10empty_typeEEEZZNS1_29radix_sort_onesweep_iterationIS3_Lb1EPfS8_PS5_S9_mNS0_19identity_decomposerENS1_16block_id_wrapperIjLb0EEEEE10hipError_tT1_PNSt15iterator_traitsISE_E10value_typeET2_T3_PNSF_ISK_E10value_typeET4_T5_PSP_SQ_PNS1_23onesweep_lookback_stateEbbT6_jjT7_P12ihipStream_tbENKUlT_T0_SE_SJ_E_clIS8_S8_S9_S9_EEDaSX_SY_SE_SJ_EUlSX_E_NS1_11comp_targetILNS1_3genE9ELNS1_11target_archE1100ELNS1_3gpuE3ELNS1_3repE0EEENS1_47radix_sort_onesweep_sort_config_static_selectorELNS0_4arch9wavefront6targetE1EEEvSE_,"axG",@progbits,_ZN7rocprim17ROCPRIM_400000_NS6detail17trampoline_kernelINS0_14default_configENS1_35radix_sort_onesweep_config_selectorIfNS0_10empty_typeEEEZZNS1_29radix_sort_onesweep_iterationIS3_Lb1EPfS8_PS5_S9_mNS0_19identity_decomposerENS1_16block_id_wrapperIjLb0EEEEE10hipError_tT1_PNSt15iterator_traitsISE_E10value_typeET2_T3_PNSF_ISK_E10value_typeET4_T5_PSP_SQ_PNS1_23onesweep_lookback_stateEbbT6_jjT7_P12ihipStream_tbENKUlT_T0_SE_SJ_E_clIS8_S8_S9_S9_EEDaSX_SY_SE_SJ_EUlSX_E_NS1_11comp_targetILNS1_3genE9ELNS1_11target_archE1100ELNS1_3gpuE3ELNS1_3repE0EEENS1_47radix_sort_onesweep_sort_config_static_selectorELNS0_4arch9wavefront6targetE1EEEvSE_,comdat
	.protected	_ZN7rocprim17ROCPRIM_400000_NS6detail17trampoline_kernelINS0_14default_configENS1_35radix_sort_onesweep_config_selectorIfNS0_10empty_typeEEEZZNS1_29radix_sort_onesweep_iterationIS3_Lb1EPfS8_PS5_S9_mNS0_19identity_decomposerENS1_16block_id_wrapperIjLb0EEEEE10hipError_tT1_PNSt15iterator_traitsISE_E10value_typeET2_T3_PNSF_ISK_E10value_typeET4_T5_PSP_SQ_PNS1_23onesweep_lookback_stateEbbT6_jjT7_P12ihipStream_tbENKUlT_T0_SE_SJ_E_clIS8_S8_S9_S9_EEDaSX_SY_SE_SJ_EUlSX_E_NS1_11comp_targetILNS1_3genE9ELNS1_11target_archE1100ELNS1_3gpuE3ELNS1_3repE0EEENS1_47radix_sort_onesweep_sort_config_static_selectorELNS0_4arch9wavefront6targetE1EEEvSE_ ; -- Begin function _ZN7rocprim17ROCPRIM_400000_NS6detail17trampoline_kernelINS0_14default_configENS1_35radix_sort_onesweep_config_selectorIfNS0_10empty_typeEEEZZNS1_29radix_sort_onesweep_iterationIS3_Lb1EPfS8_PS5_S9_mNS0_19identity_decomposerENS1_16block_id_wrapperIjLb0EEEEE10hipError_tT1_PNSt15iterator_traitsISE_E10value_typeET2_T3_PNSF_ISK_E10value_typeET4_T5_PSP_SQ_PNS1_23onesweep_lookback_stateEbbT6_jjT7_P12ihipStream_tbENKUlT_T0_SE_SJ_E_clIS8_S8_S9_S9_EEDaSX_SY_SE_SJ_EUlSX_E_NS1_11comp_targetILNS1_3genE9ELNS1_11target_archE1100ELNS1_3gpuE3ELNS1_3repE0EEENS1_47radix_sort_onesweep_sort_config_static_selectorELNS0_4arch9wavefront6targetE1EEEvSE_
	.globl	_ZN7rocprim17ROCPRIM_400000_NS6detail17trampoline_kernelINS0_14default_configENS1_35radix_sort_onesweep_config_selectorIfNS0_10empty_typeEEEZZNS1_29radix_sort_onesweep_iterationIS3_Lb1EPfS8_PS5_S9_mNS0_19identity_decomposerENS1_16block_id_wrapperIjLb0EEEEE10hipError_tT1_PNSt15iterator_traitsISE_E10value_typeET2_T3_PNSF_ISK_E10value_typeET4_T5_PSP_SQ_PNS1_23onesweep_lookback_stateEbbT6_jjT7_P12ihipStream_tbENKUlT_T0_SE_SJ_E_clIS8_S8_S9_S9_EEDaSX_SY_SE_SJ_EUlSX_E_NS1_11comp_targetILNS1_3genE9ELNS1_11target_archE1100ELNS1_3gpuE3ELNS1_3repE0EEENS1_47radix_sort_onesweep_sort_config_static_selectorELNS0_4arch9wavefront6targetE1EEEvSE_
	.p2align	8
	.type	_ZN7rocprim17ROCPRIM_400000_NS6detail17trampoline_kernelINS0_14default_configENS1_35radix_sort_onesweep_config_selectorIfNS0_10empty_typeEEEZZNS1_29radix_sort_onesweep_iterationIS3_Lb1EPfS8_PS5_S9_mNS0_19identity_decomposerENS1_16block_id_wrapperIjLb0EEEEE10hipError_tT1_PNSt15iterator_traitsISE_E10value_typeET2_T3_PNSF_ISK_E10value_typeET4_T5_PSP_SQ_PNS1_23onesweep_lookback_stateEbbT6_jjT7_P12ihipStream_tbENKUlT_T0_SE_SJ_E_clIS8_S8_S9_S9_EEDaSX_SY_SE_SJ_EUlSX_E_NS1_11comp_targetILNS1_3genE9ELNS1_11target_archE1100ELNS1_3gpuE3ELNS1_3repE0EEENS1_47radix_sort_onesweep_sort_config_static_selectorELNS0_4arch9wavefront6targetE1EEEvSE_,@function
_ZN7rocprim17ROCPRIM_400000_NS6detail17trampoline_kernelINS0_14default_configENS1_35radix_sort_onesweep_config_selectorIfNS0_10empty_typeEEEZZNS1_29radix_sort_onesweep_iterationIS3_Lb1EPfS8_PS5_S9_mNS0_19identity_decomposerENS1_16block_id_wrapperIjLb0EEEEE10hipError_tT1_PNSt15iterator_traitsISE_E10value_typeET2_T3_PNSF_ISK_E10value_typeET4_T5_PSP_SQ_PNS1_23onesweep_lookback_stateEbbT6_jjT7_P12ihipStream_tbENKUlT_T0_SE_SJ_E_clIS8_S8_S9_S9_EEDaSX_SY_SE_SJ_EUlSX_E_NS1_11comp_targetILNS1_3genE9ELNS1_11target_archE1100ELNS1_3gpuE3ELNS1_3repE0EEENS1_47radix_sort_onesweep_sort_config_static_selectorELNS0_4arch9wavefront6targetE1EEEvSE_: ; @_ZN7rocprim17ROCPRIM_400000_NS6detail17trampoline_kernelINS0_14default_configENS1_35radix_sort_onesweep_config_selectorIfNS0_10empty_typeEEEZZNS1_29radix_sort_onesweep_iterationIS3_Lb1EPfS8_PS5_S9_mNS0_19identity_decomposerENS1_16block_id_wrapperIjLb0EEEEE10hipError_tT1_PNSt15iterator_traitsISE_E10value_typeET2_T3_PNSF_ISK_E10value_typeET4_T5_PSP_SQ_PNS1_23onesweep_lookback_stateEbbT6_jjT7_P12ihipStream_tbENKUlT_T0_SE_SJ_E_clIS8_S8_S9_S9_EEDaSX_SY_SE_SJ_EUlSX_E_NS1_11comp_targetILNS1_3genE9ELNS1_11target_archE1100ELNS1_3gpuE3ELNS1_3repE0EEENS1_47radix_sort_onesweep_sort_config_static_selectorELNS0_4arch9wavefront6targetE1EEEvSE_
; %bb.0:
	.section	.rodata,"a",@progbits
	.p2align	6, 0x0
	.amdhsa_kernel _ZN7rocprim17ROCPRIM_400000_NS6detail17trampoline_kernelINS0_14default_configENS1_35radix_sort_onesweep_config_selectorIfNS0_10empty_typeEEEZZNS1_29radix_sort_onesweep_iterationIS3_Lb1EPfS8_PS5_S9_mNS0_19identity_decomposerENS1_16block_id_wrapperIjLb0EEEEE10hipError_tT1_PNSt15iterator_traitsISE_E10value_typeET2_T3_PNSF_ISK_E10value_typeET4_T5_PSP_SQ_PNS1_23onesweep_lookback_stateEbbT6_jjT7_P12ihipStream_tbENKUlT_T0_SE_SJ_E_clIS8_S8_S9_S9_EEDaSX_SY_SE_SJ_EUlSX_E_NS1_11comp_targetILNS1_3genE9ELNS1_11target_archE1100ELNS1_3gpuE3ELNS1_3repE0EEENS1_47radix_sort_onesweep_sort_config_static_selectorELNS0_4arch9wavefront6targetE1EEEvSE_
		.amdhsa_group_segment_fixed_size 0
		.amdhsa_private_segment_fixed_size 0
		.amdhsa_kernarg_size 88
		.amdhsa_user_sgpr_count 6
		.amdhsa_user_sgpr_private_segment_buffer 1
		.amdhsa_user_sgpr_dispatch_ptr 0
		.amdhsa_user_sgpr_queue_ptr 0
		.amdhsa_user_sgpr_kernarg_segment_ptr 1
		.amdhsa_user_sgpr_dispatch_id 0
		.amdhsa_user_sgpr_flat_scratch_init 0
		.amdhsa_user_sgpr_kernarg_preload_length 0
		.amdhsa_user_sgpr_kernarg_preload_offset 0
		.amdhsa_user_sgpr_private_segment_size 0
		.amdhsa_uses_dynamic_stack 0
		.amdhsa_system_sgpr_private_segment_wavefront_offset 0
		.amdhsa_system_sgpr_workgroup_id_x 1
		.amdhsa_system_sgpr_workgroup_id_y 0
		.amdhsa_system_sgpr_workgroup_id_z 0
		.amdhsa_system_sgpr_workgroup_info 0
		.amdhsa_system_vgpr_workitem_id 0
		.amdhsa_next_free_vgpr 1
		.amdhsa_next_free_sgpr 0
		.amdhsa_accum_offset 4
		.amdhsa_reserve_vcc 0
		.amdhsa_reserve_flat_scratch 0
		.amdhsa_float_round_mode_32 0
		.amdhsa_float_round_mode_16_64 0
		.amdhsa_float_denorm_mode_32 3
		.amdhsa_float_denorm_mode_16_64 3
		.amdhsa_dx10_clamp 1
		.amdhsa_ieee_mode 1
		.amdhsa_fp16_overflow 0
		.amdhsa_tg_split 0
		.amdhsa_exception_fp_ieee_invalid_op 0
		.amdhsa_exception_fp_denorm_src 0
		.amdhsa_exception_fp_ieee_div_zero 0
		.amdhsa_exception_fp_ieee_overflow 0
		.amdhsa_exception_fp_ieee_underflow 0
		.amdhsa_exception_fp_ieee_inexact 0
		.amdhsa_exception_int_div_zero 0
	.end_amdhsa_kernel
	.section	.text._ZN7rocprim17ROCPRIM_400000_NS6detail17trampoline_kernelINS0_14default_configENS1_35radix_sort_onesweep_config_selectorIfNS0_10empty_typeEEEZZNS1_29radix_sort_onesweep_iterationIS3_Lb1EPfS8_PS5_S9_mNS0_19identity_decomposerENS1_16block_id_wrapperIjLb0EEEEE10hipError_tT1_PNSt15iterator_traitsISE_E10value_typeET2_T3_PNSF_ISK_E10value_typeET4_T5_PSP_SQ_PNS1_23onesweep_lookback_stateEbbT6_jjT7_P12ihipStream_tbENKUlT_T0_SE_SJ_E_clIS8_S8_S9_S9_EEDaSX_SY_SE_SJ_EUlSX_E_NS1_11comp_targetILNS1_3genE9ELNS1_11target_archE1100ELNS1_3gpuE3ELNS1_3repE0EEENS1_47radix_sort_onesweep_sort_config_static_selectorELNS0_4arch9wavefront6targetE1EEEvSE_,"axG",@progbits,_ZN7rocprim17ROCPRIM_400000_NS6detail17trampoline_kernelINS0_14default_configENS1_35radix_sort_onesweep_config_selectorIfNS0_10empty_typeEEEZZNS1_29radix_sort_onesweep_iterationIS3_Lb1EPfS8_PS5_S9_mNS0_19identity_decomposerENS1_16block_id_wrapperIjLb0EEEEE10hipError_tT1_PNSt15iterator_traitsISE_E10value_typeET2_T3_PNSF_ISK_E10value_typeET4_T5_PSP_SQ_PNS1_23onesweep_lookback_stateEbbT6_jjT7_P12ihipStream_tbENKUlT_T0_SE_SJ_E_clIS8_S8_S9_S9_EEDaSX_SY_SE_SJ_EUlSX_E_NS1_11comp_targetILNS1_3genE9ELNS1_11target_archE1100ELNS1_3gpuE3ELNS1_3repE0EEENS1_47radix_sort_onesweep_sort_config_static_selectorELNS0_4arch9wavefront6targetE1EEEvSE_,comdat
.Lfunc_end2562:
	.size	_ZN7rocprim17ROCPRIM_400000_NS6detail17trampoline_kernelINS0_14default_configENS1_35radix_sort_onesweep_config_selectorIfNS0_10empty_typeEEEZZNS1_29radix_sort_onesweep_iterationIS3_Lb1EPfS8_PS5_S9_mNS0_19identity_decomposerENS1_16block_id_wrapperIjLb0EEEEE10hipError_tT1_PNSt15iterator_traitsISE_E10value_typeET2_T3_PNSF_ISK_E10value_typeET4_T5_PSP_SQ_PNS1_23onesweep_lookback_stateEbbT6_jjT7_P12ihipStream_tbENKUlT_T0_SE_SJ_E_clIS8_S8_S9_S9_EEDaSX_SY_SE_SJ_EUlSX_E_NS1_11comp_targetILNS1_3genE9ELNS1_11target_archE1100ELNS1_3gpuE3ELNS1_3repE0EEENS1_47radix_sort_onesweep_sort_config_static_selectorELNS0_4arch9wavefront6targetE1EEEvSE_, .Lfunc_end2562-_ZN7rocprim17ROCPRIM_400000_NS6detail17trampoline_kernelINS0_14default_configENS1_35radix_sort_onesweep_config_selectorIfNS0_10empty_typeEEEZZNS1_29radix_sort_onesweep_iterationIS3_Lb1EPfS8_PS5_S9_mNS0_19identity_decomposerENS1_16block_id_wrapperIjLb0EEEEE10hipError_tT1_PNSt15iterator_traitsISE_E10value_typeET2_T3_PNSF_ISK_E10value_typeET4_T5_PSP_SQ_PNS1_23onesweep_lookback_stateEbbT6_jjT7_P12ihipStream_tbENKUlT_T0_SE_SJ_E_clIS8_S8_S9_S9_EEDaSX_SY_SE_SJ_EUlSX_E_NS1_11comp_targetILNS1_3genE9ELNS1_11target_archE1100ELNS1_3gpuE3ELNS1_3repE0EEENS1_47radix_sort_onesweep_sort_config_static_selectorELNS0_4arch9wavefront6targetE1EEEvSE_
                                        ; -- End function
	.section	.AMDGPU.csdata,"",@progbits
; Kernel info:
; codeLenInByte = 0
; NumSgprs: 4
; NumVgprs: 0
; NumAgprs: 0
; TotalNumVgprs: 0
; ScratchSize: 0
; MemoryBound: 0
; FloatMode: 240
; IeeeMode: 1
; LDSByteSize: 0 bytes/workgroup (compile time only)
; SGPRBlocks: 0
; VGPRBlocks: 0
; NumSGPRsForWavesPerEU: 4
; NumVGPRsForWavesPerEU: 1
; AccumOffset: 4
; Occupancy: 8
; WaveLimiterHint : 0
; COMPUTE_PGM_RSRC2:SCRATCH_EN: 0
; COMPUTE_PGM_RSRC2:USER_SGPR: 6
; COMPUTE_PGM_RSRC2:TRAP_HANDLER: 0
; COMPUTE_PGM_RSRC2:TGID_X_EN: 1
; COMPUTE_PGM_RSRC2:TGID_Y_EN: 0
; COMPUTE_PGM_RSRC2:TGID_Z_EN: 0
; COMPUTE_PGM_RSRC2:TIDIG_COMP_CNT: 0
; COMPUTE_PGM_RSRC3_GFX90A:ACCUM_OFFSET: 0
; COMPUTE_PGM_RSRC3_GFX90A:TG_SPLIT: 0
	.section	.text._ZN7rocprim17ROCPRIM_400000_NS6detail17trampoline_kernelINS0_14default_configENS1_35radix_sort_onesweep_config_selectorIfNS0_10empty_typeEEEZZNS1_29radix_sort_onesweep_iterationIS3_Lb1EPfS8_PS5_S9_mNS0_19identity_decomposerENS1_16block_id_wrapperIjLb0EEEEE10hipError_tT1_PNSt15iterator_traitsISE_E10value_typeET2_T3_PNSF_ISK_E10value_typeET4_T5_PSP_SQ_PNS1_23onesweep_lookback_stateEbbT6_jjT7_P12ihipStream_tbENKUlT_T0_SE_SJ_E_clIS8_S8_S9_S9_EEDaSX_SY_SE_SJ_EUlSX_E_NS1_11comp_targetILNS1_3genE8ELNS1_11target_archE1030ELNS1_3gpuE2ELNS1_3repE0EEENS1_47radix_sort_onesweep_sort_config_static_selectorELNS0_4arch9wavefront6targetE1EEEvSE_,"axG",@progbits,_ZN7rocprim17ROCPRIM_400000_NS6detail17trampoline_kernelINS0_14default_configENS1_35radix_sort_onesweep_config_selectorIfNS0_10empty_typeEEEZZNS1_29radix_sort_onesweep_iterationIS3_Lb1EPfS8_PS5_S9_mNS0_19identity_decomposerENS1_16block_id_wrapperIjLb0EEEEE10hipError_tT1_PNSt15iterator_traitsISE_E10value_typeET2_T3_PNSF_ISK_E10value_typeET4_T5_PSP_SQ_PNS1_23onesweep_lookback_stateEbbT6_jjT7_P12ihipStream_tbENKUlT_T0_SE_SJ_E_clIS8_S8_S9_S9_EEDaSX_SY_SE_SJ_EUlSX_E_NS1_11comp_targetILNS1_3genE8ELNS1_11target_archE1030ELNS1_3gpuE2ELNS1_3repE0EEENS1_47radix_sort_onesweep_sort_config_static_selectorELNS0_4arch9wavefront6targetE1EEEvSE_,comdat
	.protected	_ZN7rocprim17ROCPRIM_400000_NS6detail17trampoline_kernelINS0_14default_configENS1_35radix_sort_onesweep_config_selectorIfNS0_10empty_typeEEEZZNS1_29radix_sort_onesweep_iterationIS3_Lb1EPfS8_PS5_S9_mNS0_19identity_decomposerENS1_16block_id_wrapperIjLb0EEEEE10hipError_tT1_PNSt15iterator_traitsISE_E10value_typeET2_T3_PNSF_ISK_E10value_typeET4_T5_PSP_SQ_PNS1_23onesweep_lookback_stateEbbT6_jjT7_P12ihipStream_tbENKUlT_T0_SE_SJ_E_clIS8_S8_S9_S9_EEDaSX_SY_SE_SJ_EUlSX_E_NS1_11comp_targetILNS1_3genE8ELNS1_11target_archE1030ELNS1_3gpuE2ELNS1_3repE0EEENS1_47radix_sort_onesweep_sort_config_static_selectorELNS0_4arch9wavefront6targetE1EEEvSE_ ; -- Begin function _ZN7rocprim17ROCPRIM_400000_NS6detail17trampoline_kernelINS0_14default_configENS1_35radix_sort_onesweep_config_selectorIfNS0_10empty_typeEEEZZNS1_29radix_sort_onesweep_iterationIS3_Lb1EPfS8_PS5_S9_mNS0_19identity_decomposerENS1_16block_id_wrapperIjLb0EEEEE10hipError_tT1_PNSt15iterator_traitsISE_E10value_typeET2_T3_PNSF_ISK_E10value_typeET4_T5_PSP_SQ_PNS1_23onesweep_lookback_stateEbbT6_jjT7_P12ihipStream_tbENKUlT_T0_SE_SJ_E_clIS8_S8_S9_S9_EEDaSX_SY_SE_SJ_EUlSX_E_NS1_11comp_targetILNS1_3genE8ELNS1_11target_archE1030ELNS1_3gpuE2ELNS1_3repE0EEENS1_47radix_sort_onesweep_sort_config_static_selectorELNS0_4arch9wavefront6targetE1EEEvSE_
	.globl	_ZN7rocprim17ROCPRIM_400000_NS6detail17trampoline_kernelINS0_14default_configENS1_35radix_sort_onesweep_config_selectorIfNS0_10empty_typeEEEZZNS1_29radix_sort_onesweep_iterationIS3_Lb1EPfS8_PS5_S9_mNS0_19identity_decomposerENS1_16block_id_wrapperIjLb0EEEEE10hipError_tT1_PNSt15iterator_traitsISE_E10value_typeET2_T3_PNSF_ISK_E10value_typeET4_T5_PSP_SQ_PNS1_23onesweep_lookback_stateEbbT6_jjT7_P12ihipStream_tbENKUlT_T0_SE_SJ_E_clIS8_S8_S9_S9_EEDaSX_SY_SE_SJ_EUlSX_E_NS1_11comp_targetILNS1_3genE8ELNS1_11target_archE1030ELNS1_3gpuE2ELNS1_3repE0EEENS1_47radix_sort_onesweep_sort_config_static_selectorELNS0_4arch9wavefront6targetE1EEEvSE_
	.p2align	8
	.type	_ZN7rocprim17ROCPRIM_400000_NS6detail17trampoline_kernelINS0_14default_configENS1_35radix_sort_onesweep_config_selectorIfNS0_10empty_typeEEEZZNS1_29radix_sort_onesweep_iterationIS3_Lb1EPfS8_PS5_S9_mNS0_19identity_decomposerENS1_16block_id_wrapperIjLb0EEEEE10hipError_tT1_PNSt15iterator_traitsISE_E10value_typeET2_T3_PNSF_ISK_E10value_typeET4_T5_PSP_SQ_PNS1_23onesweep_lookback_stateEbbT6_jjT7_P12ihipStream_tbENKUlT_T0_SE_SJ_E_clIS8_S8_S9_S9_EEDaSX_SY_SE_SJ_EUlSX_E_NS1_11comp_targetILNS1_3genE8ELNS1_11target_archE1030ELNS1_3gpuE2ELNS1_3repE0EEENS1_47radix_sort_onesweep_sort_config_static_selectorELNS0_4arch9wavefront6targetE1EEEvSE_,@function
_ZN7rocprim17ROCPRIM_400000_NS6detail17trampoline_kernelINS0_14default_configENS1_35radix_sort_onesweep_config_selectorIfNS0_10empty_typeEEEZZNS1_29radix_sort_onesweep_iterationIS3_Lb1EPfS8_PS5_S9_mNS0_19identity_decomposerENS1_16block_id_wrapperIjLb0EEEEE10hipError_tT1_PNSt15iterator_traitsISE_E10value_typeET2_T3_PNSF_ISK_E10value_typeET4_T5_PSP_SQ_PNS1_23onesweep_lookback_stateEbbT6_jjT7_P12ihipStream_tbENKUlT_T0_SE_SJ_E_clIS8_S8_S9_S9_EEDaSX_SY_SE_SJ_EUlSX_E_NS1_11comp_targetILNS1_3genE8ELNS1_11target_archE1030ELNS1_3gpuE2ELNS1_3repE0EEENS1_47radix_sort_onesweep_sort_config_static_selectorELNS0_4arch9wavefront6targetE1EEEvSE_: ; @_ZN7rocprim17ROCPRIM_400000_NS6detail17trampoline_kernelINS0_14default_configENS1_35radix_sort_onesweep_config_selectorIfNS0_10empty_typeEEEZZNS1_29radix_sort_onesweep_iterationIS3_Lb1EPfS8_PS5_S9_mNS0_19identity_decomposerENS1_16block_id_wrapperIjLb0EEEEE10hipError_tT1_PNSt15iterator_traitsISE_E10value_typeET2_T3_PNSF_ISK_E10value_typeET4_T5_PSP_SQ_PNS1_23onesweep_lookback_stateEbbT6_jjT7_P12ihipStream_tbENKUlT_T0_SE_SJ_E_clIS8_S8_S9_S9_EEDaSX_SY_SE_SJ_EUlSX_E_NS1_11comp_targetILNS1_3genE8ELNS1_11target_archE1030ELNS1_3gpuE2ELNS1_3repE0EEENS1_47radix_sort_onesweep_sort_config_static_selectorELNS0_4arch9wavefront6targetE1EEEvSE_
; %bb.0:
	.section	.rodata,"a",@progbits
	.p2align	6, 0x0
	.amdhsa_kernel _ZN7rocprim17ROCPRIM_400000_NS6detail17trampoline_kernelINS0_14default_configENS1_35radix_sort_onesweep_config_selectorIfNS0_10empty_typeEEEZZNS1_29radix_sort_onesweep_iterationIS3_Lb1EPfS8_PS5_S9_mNS0_19identity_decomposerENS1_16block_id_wrapperIjLb0EEEEE10hipError_tT1_PNSt15iterator_traitsISE_E10value_typeET2_T3_PNSF_ISK_E10value_typeET4_T5_PSP_SQ_PNS1_23onesweep_lookback_stateEbbT6_jjT7_P12ihipStream_tbENKUlT_T0_SE_SJ_E_clIS8_S8_S9_S9_EEDaSX_SY_SE_SJ_EUlSX_E_NS1_11comp_targetILNS1_3genE8ELNS1_11target_archE1030ELNS1_3gpuE2ELNS1_3repE0EEENS1_47radix_sort_onesweep_sort_config_static_selectorELNS0_4arch9wavefront6targetE1EEEvSE_
		.amdhsa_group_segment_fixed_size 0
		.amdhsa_private_segment_fixed_size 0
		.amdhsa_kernarg_size 88
		.amdhsa_user_sgpr_count 6
		.amdhsa_user_sgpr_private_segment_buffer 1
		.amdhsa_user_sgpr_dispatch_ptr 0
		.amdhsa_user_sgpr_queue_ptr 0
		.amdhsa_user_sgpr_kernarg_segment_ptr 1
		.amdhsa_user_sgpr_dispatch_id 0
		.amdhsa_user_sgpr_flat_scratch_init 0
		.amdhsa_user_sgpr_kernarg_preload_length 0
		.amdhsa_user_sgpr_kernarg_preload_offset 0
		.amdhsa_user_sgpr_private_segment_size 0
		.amdhsa_uses_dynamic_stack 0
		.amdhsa_system_sgpr_private_segment_wavefront_offset 0
		.amdhsa_system_sgpr_workgroup_id_x 1
		.amdhsa_system_sgpr_workgroup_id_y 0
		.amdhsa_system_sgpr_workgroup_id_z 0
		.amdhsa_system_sgpr_workgroup_info 0
		.amdhsa_system_vgpr_workitem_id 0
		.amdhsa_next_free_vgpr 1
		.amdhsa_next_free_sgpr 0
		.amdhsa_accum_offset 4
		.amdhsa_reserve_vcc 0
		.amdhsa_reserve_flat_scratch 0
		.amdhsa_float_round_mode_32 0
		.amdhsa_float_round_mode_16_64 0
		.amdhsa_float_denorm_mode_32 3
		.amdhsa_float_denorm_mode_16_64 3
		.amdhsa_dx10_clamp 1
		.amdhsa_ieee_mode 1
		.amdhsa_fp16_overflow 0
		.amdhsa_tg_split 0
		.amdhsa_exception_fp_ieee_invalid_op 0
		.amdhsa_exception_fp_denorm_src 0
		.amdhsa_exception_fp_ieee_div_zero 0
		.amdhsa_exception_fp_ieee_overflow 0
		.amdhsa_exception_fp_ieee_underflow 0
		.amdhsa_exception_fp_ieee_inexact 0
		.amdhsa_exception_int_div_zero 0
	.end_amdhsa_kernel
	.section	.text._ZN7rocprim17ROCPRIM_400000_NS6detail17trampoline_kernelINS0_14default_configENS1_35radix_sort_onesweep_config_selectorIfNS0_10empty_typeEEEZZNS1_29radix_sort_onesweep_iterationIS3_Lb1EPfS8_PS5_S9_mNS0_19identity_decomposerENS1_16block_id_wrapperIjLb0EEEEE10hipError_tT1_PNSt15iterator_traitsISE_E10value_typeET2_T3_PNSF_ISK_E10value_typeET4_T5_PSP_SQ_PNS1_23onesweep_lookback_stateEbbT6_jjT7_P12ihipStream_tbENKUlT_T0_SE_SJ_E_clIS8_S8_S9_S9_EEDaSX_SY_SE_SJ_EUlSX_E_NS1_11comp_targetILNS1_3genE8ELNS1_11target_archE1030ELNS1_3gpuE2ELNS1_3repE0EEENS1_47radix_sort_onesweep_sort_config_static_selectorELNS0_4arch9wavefront6targetE1EEEvSE_,"axG",@progbits,_ZN7rocprim17ROCPRIM_400000_NS6detail17trampoline_kernelINS0_14default_configENS1_35radix_sort_onesweep_config_selectorIfNS0_10empty_typeEEEZZNS1_29radix_sort_onesweep_iterationIS3_Lb1EPfS8_PS5_S9_mNS0_19identity_decomposerENS1_16block_id_wrapperIjLb0EEEEE10hipError_tT1_PNSt15iterator_traitsISE_E10value_typeET2_T3_PNSF_ISK_E10value_typeET4_T5_PSP_SQ_PNS1_23onesweep_lookback_stateEbbT6_jjT7_P12ihipStream_tbENKUlT_T0_SE_SJ_E_clIS8_S8_S9_S9_EEDaSX_SY_SE_SJ_EUlSX_E_NS1_11comp_targetILNS1_3genE8ELNS1_11target_archE1030ELNS1_3gpuE2ELNS1_3repE0EEENS1_47radix_sort_onesweep_sort_config_static_selectorELNS0_4arch9wavefront6targetE1EEEvSE_,comdat
.Lfunc_end2563:
	.size	_ZN7rocprim17ROCPRIM_400000_NS6detail17trampoline_kernelINS0_14default_configENS1_35radix_sort_onesweep_config_selectorIfNS0_10empty_typeEEEZZNS1_29radix_sort_onesweep_iterationIS3_Lb1EPfS8_PS5_S9_mNS0_19identity_decomposerENS1_16block_id_wrapperIjLb0EEEEE10hipError_tT1_PNSt15iterator_traitsISE_E10value_typeET2_T3_PNSF_ISK_E10value_typeET4_T5_PSP_SQ_PNS1_23onesweep_lookback_stateEbbT6_jjT7_P12ihipStream_tbENKUlT_T0_SE_SJ_E_clIS8_S8_S9_S9_EEDaSX_SY_SE_SJ_EUlSX_E_NS1_11comp_targetILNS1_3genE8ELNS1_11target_archE1030ELNS1_3gpuE2ELNS1_3repE0EEENS1_47radix_sort_onesweep_sort_config_static_selectorELNS0_4arch9wavefront6targetE1EEEvSE_, .Lfunc_end2563-_ZN7rocprim17ROCPRIM_400000_NS6detail17trampoline_kernelINS0_14default_configENS1_35radix_sort_onesweep_config_selectorIfNS0_10empty_typeEEEZZNS1_29radix_sort_onesweep_iterationIS3_Lb1EPfS8_PS5_S9_mNS0_19identity_decomposerENS1_16block_id_wrapperIjLb0EEEEE10hipError_tT1_PNSt15iterator_traitsISE_E10value_typeET2_T3_PNSF_ISK_E10value_typeET4_T5_PSP_SQ_PNS1_23onesweep_lookback_stateEbbT6_jjT7_P12ihipStream_tbENKUlT_T0_SE_SJ_E_clIS8_S8_S9_S9_EEDaSX_SY_SE_SJ_EUlSX_E_NS1_11comp_targetILNS1_3genE8ELNS1_11target_archE1030ELNS1_3gpuE2ELNS1_3repE0EEENS1_47radix_sort_onesweep_sort_config_static_selectorELNS0_4arch9wavefront6targetE1EEEvSE_
                                        ; -- End function
	.section	.AMDGPU.csdata,"",@progbits
; Kernel info:
; codeLenInByte = 0
; NumSgprs: 4
; NumVgprs: 0
; NumAgprs: 0
; TotalNumVgprs: 0
; ScratchSize: 0
; MemoryBound: 0
; FloatMode: 240
; IeeeMode: 1
; LDSByteSize: 0 bytes/workgroup (compile time only)
; SGPRBlocks: 0
; VGPRBlocks: 0
; NumSGPRsForWavesPerEU: 4
; NumVGPRsForWavesPerEU: 1
; AccumOffset: 4
; Occupancy: 8
; WaveLimiterHint : 0
; COMPUTE_PGM_RSRC2:SCRATCH_EN: 0
; COMPUTE_PGM_RSRC2:USER_SGPR: 6
; COMPUTE_PGM_RSRC2:TRAP_HANDLER: 0
; COMPUTE_PGM_RSRC2:TGID_X_EN: 1
; COMPUTE_PGM_RSRC2:TGID_Y_EN: 0
; COMPUTE_PGM_RSRC2:TGID_Z_EN: 0
; COMPUTE_PGM_RSRC2:TIDIG_COMP_CNT: 0
; COMPUTE_PGM_RSRC3_GFX90A:ACCUM_OFFSET: 0
; COMPUTE_PGM_RSRC3_GFX90A:TG_SPLIT: 0
	.section	.text._ZN7rocprim17ROCPRIM_400000_NS6detail17trampoline_kernelINS0_13kernel_configILj256ELj4ELj4294967295EEENS1_37radix_sort_block_sort_config_selectorIdNS0_10empty_typeEEEZNS1_21radix_sort_block_sortIS4_Lb1EPdS9_PS6_SA_NS0_19identity_decomposerEEE10hipError_tT1_T2_T3_T4_jRjT5_jjP12ihipStream_tbEUlT_E_NS1_11comp_targetILNS1_3genE0ELNS1_11target_archE4294967295ELNS1_3gpuE0ELNS1_3repE0EEENS1_44radix_sort_block_sort_config_static_selectorELNS0_4arch9wavefront6targetE1EEEvSD_,"axG",@progbits,_ZN7rocprim17ROCPRIM_400000_NS6detail17trampoline_kernelINS0_13kernel_configILj256ELj4ELj4294967295EEENS1_37radix_sort_block_sort_config_selectorIdNS0_10empty_typeEEEZNS1_21radix_sort_block_sortIS4_Lb1EPdS9_PS6_SA_NS0_19identity_decomposerEEE10hipError_tT1_T2_T3_T4_jRjT5_jjP12ihipStream_tbEUlT_E_NS1_11comp_targetILNS1_3genE0ELNS1_11target_archE4294967295ELNS1_3gpuE0ELNS1_3repE0EEENS1_44radix_sort_block_sort_config_static_selectorELNS0_4arch9wavefront6targetE1EEEvSD_,comdat
	.protected	_ZN7rocprim17ROCPRIM_400000_NS6detail17trampoline_kernelINS0_13kernel_configILj256ELj4ELj4294967295EEENS1_37radix_sort_block_sort_config_selectorIdNS0_10empty_typeEEEZNS1_21radix_sort_block_sortIS4_Lb1EPdS9_PS6_SA_NS0_19identity_decomposerEEE10hipError_tT1_T2_T3_T4_jRjT5_jjP12ihipStream_tbEUlT_E_NS1_11comp_targetILNS1_3genE0ELNS1_11target_archE4294967295ELNS1_3gpuE0ELNS1_3repE0EEENS1_44radix_sort_block_sort_config_static_selectorELNS0_4arch9wavefront6targetE1EEEvSD_ ; -- Begin function _ZN7rocprim17ROCPRIM_400000_NS6detail17trampoline_kernelINS0_13kernel_configILj256ELj4ELj4294967295EEENS1_37radix_sort_block_sort_config_selectorIdNS0_10empty_typeEEEZNS1_21radix_sort_block_sortIS4_Lb1EPdS9_PS6_SA_NS0_19identity_decomposerEEE10hipError_tT1_T2_T3_T4_jRjT5_jjP12ihipStream_tbEUlT_E_NS1_11comp_targetILNS1_3genE0ELNS1_11target_archE4294967295ELNS1_3gpuE0ELNS1_3repE0EEENS1_44radix_sort_block_sort_config_static_selectorELNS0_4arch9wavefront6targetE1EEEvSD_
	.globl	_ZN7rocprim17ROCPRIM_400000_NS6detail17trampoline_kernelINS0_13kernel_configILj256ELj4ELj4294967295EEENS1_37radix_sort_block_sort_config_selectorIdNS0_10empty_typeEEEZNS1_21radix_sort_block_sortIS4_Lb1EPdS9_PS6_SA_NS0_19identity_decomposerEEE10hipError_tT1_T2_T3_T4_jRjT5_jjP12ihipStream_tbEUlT_E_NS1_11comp_targetILNS1_3genE0ELNS1_11target_archE4294967295ELNS1_3gpuE0ELNS1_3repE0EEENS1_44radix_sort_block_sort_config_static_selectorELNS0_4arch9wavefront6targetE1EEEvSD_
	.p2align	8
	.type	_ZN7rocprim17ROCPRIM_400000_NS6detail17trampoline_kernelINS0_13kernel_configILj256ELj4ELj4294967295EEENS1_37radix_sort_block_sort_config_selectorIdNS0_10empty_typeEEEZNS1_21radix_sort_block_sortIS4_Lb1EPdS9_PS6_SA_NS0_19identity_decomposerEEE10hipError_tT1_T2_T3_T4_jRjT5_jjP12ihipStream_tbEUlT_E_NS1_11comp_targetILNS1_3genE0ELNS1_11target_archE4294967295ELNS1_3gpuE0ELNS1_3repE0EEENS1_44radix_sort_block_sort_config_static_selectorELNS0_4arch9wavefront6targetE1EEEvSD_,@function
_ZN7rocprim17ROCPRIM_400000_NS6detail17trampoline_kernelINS0_13kernel_configILj256ELj4ELj4294967295EEENS1_37radix_sort_block_sort_config_selectorIdNS0_10empty_typeEEEZNS1_21radix_sort_block_sortIS4_Lb1EPdS9_PS6_SA_NS0_19identity_decomposerEEE10hipError_tT1_T2_T3_T4_jRjT5_jjP12ihipStream_tbEUlT_E_NS1_11comp_targetILNS1_3genE0ELNS1_11target_archE4294967295ELNS1_3gpuE0ELNS1_3repE0EEENS1_44radix_sort_block_sort_config_static_selectorELNS0_4arch9wavefront6targetE1EEEvSD_: ; @_ZN7rocprim17ROCPRIM_400000_NS6detail17trampoline_kernelINS0_13kernel_configILj256ELj4ELj4294967295EEENS1_37radix_sort_block_sort_config_selectorIdNS0_10empty_typeEEEZNS1_21radix_sort_block_sortIS4_Lb1EPdS9_PS6_SA_NS0_19identity_decomposerEEE10hipError_tT1_T2_T3_T4_jRjT5_jjP12ihipStream_tbEUlT_E_NS1_11comp_targetILNS1_3genE0ELNS1_11target_archE4294967295ELNS1_3gpuE0ELNS1_3repE0EEENS1_44radix_sort_block_sort_config_static_selectorELNS0_4arch9wavefront6targetE1EEEvSD_
; %bb.0:
	.section	.rodata,"a",@progbits
	.p2align	6, 0x0
	.amdhsa_kernel _ZN7rocprim17ROCPRIM_400000_NS6detail17trampoline_kernelINS0_13kernel_configILj256ELj4ELj4294967295EEENS1_37radix_sort_block_sort_config_selectorIdNS0_10empty_typeEEEZNS1_21radix_sort_block_sortIS4_Lb1EPdS9_PS6_SA_NS0_19identity_decomposerEEE10hipError_tT1_T2_T3_T4_jRjT5_jjP12ihipStream_tbEUlT_E_NS1_11comp_targetILNS1_3genE0ELNS1_11target_archE4294967295ELNS1_3gpuE0ELNS1_3repE0EEENS1_44radix_sort_block_sort_config_static_selectorELNS0_4arch9wavefront6targetE1EEEvSD_
		.amdhsa_group_segment_fixed_size 0
		.amdhsa_private_segment_fixed_size 0
		.amdhsa_kernarg_size 48
		.amdhsa_user_sgpr_count 6
		.amdhsa_user_sgpr_private_segment_buffer 1
		.amdhsa_user_sgpr_dispatch_ptr 0
		.amdhsa_user_sgpr_queue_ptr 0
		.amdhsa_user_sgpr_kernarg_segment_ptr 1
		.amdhsa_user_sgpr_dispatch_id 0
		.amdhsa_user_sgpr_flat_scratch_init 0
		.amdhsa_user_sgpr_kernarg_preload_length 0
		.amdhsa_user_sgpr_kernarg_preload_offset 0
		.amdhsa_user_sgpr_private_segment_size 0
		.amdhsa_uses_dynamic_stack 0
		.amdhsa_system_sgpr_private_segment_wavefront_offset 0
		.amdhsa_system_sgpr_workgroup_id_x 1
		.amdhsa_system_sgpr_workgroup_id_y 0
		.amdhsa_system_sgpr_workgroup_id_z 0
		.amdhsa_system_sgpr_workgroup_info 0
		.amdhsa_system_vgpr_workitem_id 0
		.amdhsa_next_free_vgpr 1
		.amdhsa_next_free_sgpr 0
		.amdhsa_accum_offset 4
		.amdhsa_reserve_vcc 0
		.amdhsa_reserve_flat_scratch 0
		.amdhsa_float_round_mode_32 0
		.amdhsa_float_round_mode_16_64 0
		.amdhsa_float_denorm_mode_32 3
		.amdhsa_float_denorm_mode_16_64 3
		.amdhsa_dx10_clamp 1
		.amdhsa_ieee_mode 1
		.amdhsa_fp16_overflow 0
		.amdhsa_tg_split 0
		.amdhsa_exception_fp_ieee_invalid_op 0
		.amdhsa_exception_fp_denorm_src 0
		.amdhsa_exception_fp_ieee_div_zero 0
		.amdhsa_exception_fp_ieee_overflow 0
		.amdhsa_exception_fp_ieee_underflow 0
		.amdhsa_exception_fp_ieee_inexact 0
		.amdhsa_exception_int_div_zero 0
	.end_amdhsa_kernel
	.section	.text._ZN7rocprim17ROCPRIM_400000_NS6detail17trampoline_kernelINS0_13kernel_configILj256ELj4ELj4294967295EEENS1_37radix_sort_block_sort_config_selectorIdNS0_10empty_typeEEEZNS1_21radix_sort_block_sortIS4_Lb1EPdS9_PS6_SA_NS0_19identity_decomposerEEE10hipError_tT1_T2_T3_T4_jRjT5_jjP12ihipStream_tbEUlT_E_NS1_11comp_targetILNS1_3genE0ELNS1_11target_archE4294967295ELNS1_3gpuE0ELNS1_3repE0EEENS1_44radix_sort_block_sort_config_static_selectorELNS0_4arch9wavefront6targetE1EEEvSD_,"axG",@progbits,_ZN7rocprim17ROCPRIM_400000_NS6detail17trampoline_kernelINS0_13kernel_configILj256ELj4ELj4294967295EEENS1_37radix_sort_block_sort_config_selectorIdNS0_10empty_typeEEEZNS1_21radix_sort_block_sortIS4_Lb1EPdS9_PS6_SA_NS0_19identity_decomposerEEE10hipError_tT1_T2_T3_T4_jRjT5_jjP12ihipStream_tbEUlT_E_NS1_11comp_targetILNS1_3genE0ELNS1_11target_archE4294967295ELNS1_3gpuE0ELNS1_3repE0EEENS1_44radix_sort_block_sort_config_static_selectorELNS0_4arch9wavefront6targetE1EEEvSD_,comdat
.Lfunc_end2564:
	.size	_ZN7rocprim17ROCPRIM_400000_NS6detail17trampoline_kernelINS0_13kernel_configILj256ELj4ELj4294967295EEENS1_37radix_sort_block_sort_config_selectorIdNS0_10empty_typeEEEZNS1_21radix_sort_block_sortIS4_Lb1EPdS9_PS6_SA_NS0_19identity_decomposerEEE10hipError_tT1_T2_T3_T4_jRjT5_jjP12ihipStream_tbEUlT_E_NS1_11comp_targetILNS1_3genE0ELNS1_11target_archE4294967295ELNS1_3gpuE0ELNS1_3repE0EEENS1_44radix_sort_block_sort_config_static_selectorELNS0_4arch9wavefront6targetE1EEEvSD_, .Lfunc_end2564-_ZN7rocprim17ROCPRIM_400000_NS6detail17trampoline_kernelINS0_13kernel_configILj256ELj4ELj4294967295EEENS1_37radix_sort_block_sort_config_selectorIdNS0_10empty_typeEEEZNS1_21radix_sort_block_sortIS4_Lb1EPdS9_PS6_SA_NS0_19identity_decomposerEEE10hipError_tT1_T2_T3_T4_jRjT5_jjP12ihipStream_tbEUlT_E_NS1_11comp_targetILNS1_3genE0ELNS1_11target_archE4294967295ELNS1_3gpuE0ELNS1_3repE0EEENS1_44radix_sort_block_sort_config_static_selectorELNS0_4arch9wavefront6targetE1EEEvSD_
                                        ; -- End function
	.section	.AMDGPU.csdata,"",@progbits
; Kernel info:
; codeLenInByte = 0
; NumSgprs: 4
; NumVgprs: 0
; NumAgprs: 0
; TotalNumVgprs: 0
; ScratchSize: 0
; MemoryBound: 0
; FloatMode: 240
; IeeeMode: 1
; LDSByteSize: 0 bytes/workgroup (compile time only)
; SGPRBlocks: 0
; VGPRBlocks: 0
; NumSGPRsForWavesPerEU: 4
; NumVGPRsForWavesPerEU: 1
; AccumOffset: 4
; Occupancy: 8
; WaveLimiterHint : 0
; COMPUTE_PGM_RSRC2:SCRATCH_EN: 0
; COMPUTE_PGM_RSRC2:USER_SGPR: 6
; COMPUTE_PGM_RSRC2:TRAP_HANDLER: 0
; COMPUTE_PGM_RSRC2:TGID_X_EN: 1
; COMPUTE_PGM_RSRC2:TGID_Y_EN: 0
; COMPUTE_PGM_RSRC2:TGID_Z_EN: 0
; COMPUTE_PGM_RSRC2:TIDIG_COMP_CNT: 0
; COMPUTE_PGM_RSRC3_GFX90A:ACCUM_OFFSET: 0
; COMPUTE_PGM_RSRC3_GFX90A:TG_SPLIT: 0
	.section	.text._ZN7rocprim17ROCPRIM_400000_NS6detail17trampoline_kernelINS0_13kernel_configILj256ELj4ELj4294967295EEENS1_37radix_sort_block_sort_config_selectorIdNS0_10empty_typeEEEZNS1_21radix_sort_block_sortIS4_Lb1EPdS9_PS6_SA_NS0_19identity_decomposerEEE10hipError_tT1_T2_T3_T4_jRjT5_jjP12ihipStream_tbEUlT_E_NS1_11comp_targetILNS1_3genE5ELNS1_11target_archE942ELNS1_3gpuE9ELNS1_3repE0EEENS1_44radix_sort_block_sort_config_static_selectorELNS0_4arch9wavefront6targetE1EEEvSD_,"axG",@progbits,_ZN7rocprim17ROCPRIM_400000_NS6detail17trampoline_kernelINS0_13kernel_configILj256ELj4ELj4294967295EEENS1_37radix_sort_block_sort_config_selectorIdNS0_10empty_typeEEEZNS1_21radix_sort_block_sortIS4_Lb1EPdS9_PS6_SA_NS0_19identity_decomposerEEE10hipError_tT1_T2_T3_T4_jRjT5_jjP12ihipStream_tbEUlT_E_NS1_11comp_targetILNS1_3genE5ELNS1_11target_archE942ELNS1_3gpuE9ELNS1_3repE0EEENS1_44radix_sort_block_sort_config_static_selectorELNS0_4arch9wavefront6targetE1EEEvSD_,comdat
	.protected	_ZN7rocprim17ROCPRIM_400000_NS6detail17trampoline_kernelINS0_13kernel_configILj256ELj4ELj4294967295EEENS1_37radix_sort_block_sort_config_selectorIdNS0_10empty_typeEEEZNS1_21radix_sort_block_sortIS4_Lb1EPdS9_PS6_SA_NS0_19identity_decomposerEEE10hipError_tT1_T2_T3_T4_jRjT5_jjP12ihipStream_tbEUlT_E_NS1_11comp_targetILNS1_3genE5ELNS1_11target_archE942ELNS1_3gpuE9ELNS1_3repE0EEENS1_44radix_sort_block_sort_config_static_selectorELNS0_4arch9wavefront6targetE1EEEvSD_ ; -- Begin function _ZN7rocprim17ROCPRIM_400000_NS6detail17trampoline_kernelINS0_13kernel_configILj256ELj4ELj4294967295EEENS1_37radix_sort_block_sort_config_selectorIdNS0_10empty_typeEEEZNS1_21radix_sort_block_sortIS4_Lb1EPdS9_PS6_SA_NS0_19identity_decomposerEEE10hipError_tT1_T2_T3_T4_jRjT5_jjP12ihipStream_tbEUlT_E_NS1_11comp_targetILNS1_3genE5ELNS1_11target_archE942ELNS1_3gpuE9ELNS1_3repE0EEENS1_44radix_sort_block_sort_config_static_selectorELNS0_4arch9wavefront6targetE1EEEvSD_
	.globl	_ZN7rocprim17ROCPRIM_400000_NS6detail17trampoline_kernelINS0_13kernel_configILj256ELj4ELj4294967295EEENS1_37radix_sort_block_sort_config_selectorIdNS0_10empty_typeEEEZNS1_21radix_sort_block_sortIS4_Lb1EPdS9_PS6_SA_NS0_19identity_decomposerEEE10hipError_tT1_T2_T3_T4_jRjT5_jjP12ihipStream_tbEUlT_E_NS1_11comp_targetILNS1_3genE5ELNS1_11target_archE942ELNS1_3gpuE9ELNS1_3repE0EEENS1_44radix_sort_block_sort_config_static_selectorELNS0_4arch9wavefront6targetE1EEEvSD_
	.p2align	8
	.type	_ZN7rocprim17ROCPRIM_400000_NS6detail17trampoline_kernelINS0_13kernel_configILj256ELj4ELj4294967295EEENS1_37radix_sort_block_sort_config_selectorIdNS0_10empty_typeEEEZNS1_21radix_sort_block_sortIS4_Lb1EPdS9_PS6_SA_NS0_19identity_decomposerEEE10hipError_tT1_T2_T3_T4_jRjT5_jjP12ihipStream_tbEUlT_E_NS1_11comp_targetILNS1_3genE5ELNS1_11target_archE942ELNS1_3gpuE9ELNS1_3repE0EEENS1_44radix_sort_block_sort_config_static_selectorELNS0_4arch9wavefront6targetE1EEEvSD_,@function
_ZN7rocprim17ROCPRIM_400000_NS6detail17trampoline_kernelINS0_13kernel_configILj256ELj4ELj4294967295EEENS1_37radix_sort_block_sort_config_selectorIdNS0_10empty_typeEEEZNS1_21radix_sort_block_sortIS4_Lb1EPdS9_PS6_SA_NS0_19identity_decomposerEEE10hipError_tT1_T2_T3_T4_jRjT5_jjP12ihipStream_tbEUlT_E_NS1_11comp_targetILNS1_3genE5ELNS1_11target_archE942ELNS1_3gpuE9ELNS1_3repE0EEENS1_44radix_sort_block_sort_config_static_selectorELNS0_4arch9wavefront6targetE1EEEvSD_: ; @_ZN7rocprim17ROCPRIM_400000_NS6detail17trampoline_kernelINS0_13kernel_configILj256ELj4ELj4294967295EEENS1_37radix_sort_block_sort_config_selectorIdNS0_10empty_typeEEEZNS1_21radix_sort_block_sortIS4_Lb1EPdS9_PS6_SA_NS0_19identity_decomposerEEE10hipError_tT1_T2_T3_T4_jRjT5_jjP12ihipStream_tbEUlT_E_NS1_11comp_targetILNS1_3genE5ELNS1_11target_archE942ELNS1_3gpuE9ELNS1_3repE0EEENS1_44radix_sort_block_sort_config_static_selectorELNS0_4arch9wavefront6targetE1EEEvSD_
; %bb.0:
	.section	.rodata,"a",@progbits
	.p2align	6, 0x0
	.amdhsa_kernel _ZN7rocprim17ROCPRIM_400000_NS6detail17trampoline_kernelINS0_13kernel_configILj256ELj4ELj4294967295EEENS1_37radix_sort_block_sort_config_selectorIdNS0_10empty_typeEEEZNS1_21radix_sort_block_sortIS4_Lb1EPdS9_PS6_SA_NS0_19identity_decomposerEEE10hipError_tT1_T2_T3_T4_jRjT5_jjP12ihipStream_tbEUlT_E_NS1_11comp_targetILNS1_3genE5ELNS1_11target_archE942ELNS1_3gpuE9ELNS1_3repE0EEENS1_44radix_sort_block_sort_config_static_selectorELNS0_4arch9wavefront6targetE1EEEvSD_
		.amdhsa_group_segment_fixed_size 0
		.amdhsa_private_segment_fixed_size 0
		.amdhsa_kernarg_size 48
		.amdhsa_user_sgpr_count 6
		.amdhsa_user_sgpr_private_segment_buffer 1
		.amdhsa_user_sgpr_dispatch_ptr 0
		.amdhsa_user_sgpr_queue_ptr 0
		.amdhsa_user_sgpr_kernarg_segment_ptr 1
		.amdhsa_user_sgpr_dispatch_id 0
		.amdhsa_user_sgpr_flat_scratch_init 0
		.amdhsa_user_sgpr_kernarg_preload_length 0
		.amdhsa_user_sgpr_kernarg_preload_offset 0
		.amdhsa_user_sgpr_private_segment_size 0
		.amdhsa_uses_dynamic_stack 0
		.amdhsa_system_sgpr_private_segment_wavefront_offset 0
		.amdhsa_system_sgpr_workgroup_id_x 1
		.amdhsa_system_sgpr_workgroup_id_y 0
		.amdhsa_system_sgpr_workgroup_id_z 0
		.amdhsa_system_sgpr_workgroup_info 0
		.amdhsa_system_vgpr_workitem_id 0
		.amdhsa_next_free_vgpr 1
		.amdhsa_next_free_sgpr 0
		.amdhsa_accum_offset 4
		.amdhsa_reserve_vcc 0
		.amdhsa_reserve_flat_scratch 0
		.amdhsa_float_round_mode_32 0
		.amdhsa_float_round_mode_16_64 0
		.amdhsa_float_denorm_mode_32 3
		.amdhsa_float_denorm_mode_16_64 3
		.amdhsa_dx10_clamp 1
		.amdhsa_ieee_mode 1
		.amdhsa_fp16_overflow 0
		.amdhsa_tg_split 0
		.amdhsa_exception_fp_ieee_invalid_op 0
		.amdhsa_exception_fp_denorm_src 0
		.amdhsa_exception_fp_ieee_div_zero 0
		.amdhsa_exception_fp_ieee_overflow 0
		.amdhsa_exception_fp_ieee_underflow 0
		.amdhsa_exception_fp_ieee_inexact 0
		.amdhsa_exception_int_div_zero 0
	.end_amdhsa_kernel
	.section	.text._ZN7rocprim17ROCPRIM_400000_NS6detail17trampoline_kernelINS0_13kernel_configILj256ELj4ELj4294967295EEENS1_37radix_sort_block_sort_config_selectorIdNS0_10empty_typeEEEZNS1_21radix_sort_block_sortIS4_Lb1EPdS9_PS6_SA_NS0_19identity_decomposerEEE10hipError_tT1_T2_T3_T4_jRjT5_jjP12ihipStream_tbEUlT_E_NS1_11comp_targetILNS1_3genE5ELNS1_11target_archE942ELNS1_3gpuE9ELNS1_3repE0EEENS1_44radix_sort_block_sort_config_static_selectorELNS0_4arch9wavefront6targetE1EEEvSD_,"axG",@progbits,_ZN7rocprim17ROCPRIM_400000_NS6detail17trampoline_kernelINS0_13kernel_configILj256ELj4ELj4294967295EEENS1_37radix_sort_block_sort_config_selectorIdNS0_10empty_typeEEEZNS1_21radix_sort_block_sortIS4_Lb1EPdS9_PS6_SA_NS0_19identity_decomposerEEE10hipError_tT1_T2_T3_T4_jRjT5_jjP12ihipStream_tbEUlT_E_NS1_11comp_targetILNS1_3genE5ELNS1_11target_archE942ELNS1_3gpuE9ELNS1_3repE0EEENS1_44radix_sort_block_sort_config_static_selectorELNS0_4arch9wavefront6targetE1EEEvSD_,comdat
.Lfunc_end2565:
	.size	_ZN7rocprim17ROCPRIM_400000_NS6detail17trampoline_kernelINS0_13kernel_configILj256ELj4ELj4294967295EEENS1_37radix_sort_block_sort_config_selectorIdNS0_10empty_typeEEEZNS1_21radix_sort_block_sortIS4_Lb1EPdS9_PS6_SA_NS0_19identity_decomposerEEE10hipError_tT1_T2_T3_T4_jRjT5_jjP12ihipStream_tbEUlT_E_NS1_11comp_targetILNS1_3genE5ELNS1_11target_archE942ELNS1_3gpuE9ELNS1_3repE0EEENS1_44radix_sort_block_sort_config_static_selectorELNS0_4arch9wavefront6targetE1EEEvSD_, .Lfunc_end2565-_ZN7rocprim17ROCPRIM_400000_NS6detail17trampoline_kernelINS0_13kernel_configILj256ELj4ELj4294967295EEENS1_37radix_sort_block_sort_config_selectorIdNS0_10empty_typeEEEZNS1_21radix_sort_block_sortIS4_Lb1EPdS9_PS6_SA_NS0_19identity_decomposerEEE10hipError_tT1_T2_T3_T4_jRjT5_jjP12ihipStream_tbEUlT_E_NS1_11comp_targetILNS1_3genE5ELNS1_11target_archE942ELNS1_3gpuE9ELNS1_3repE0EEENS1_44radix_sort_block_sort_config_static_selectorELNS0_4arch9wavefront6targetE1EEEvSD_
                                        ; -- End function
	.section	.AMDGPU.csdata,"",@progbits
; Kernel info:
; codeLenInByte = 0
; NumSgprs: 4
; NumVgprs: 0
; NumAgprs: 0
; TotalNumVgprs: 0
; ScratchSize: 0
; MemoryBound: 0
; FloatMode: 240
; IeeeMode: 1
; LDSByteSize: 0 bytes/workgroup (compile time only)
; SGPRBlocks: 0
; VGPRBlocks: 0
; NumSGPRsForWavesPerEU: 4
; NumVGPRsForWavesPerEU: 1
; AccumOffset: 4
; Occupancy: 8
; WaveLimiterHint : 0
; COMPUTE_PGM_RSRC2:SCRATCH_EN: 0
; COMPUTE_PGM_RSRC2:USER_SGPR: 6
; COMPUTE_PGM_RSRC2:TRAP_HANDLER: 0
; COMPUTE_PGM_RSRC2:TGID_X_EN: 1
; COMPUTE_PGM_RSRC2:TGID_Y_EN: 0
; COMPUTE_PGM_RSRC2:TGID_Z_EN: 0
; COMPUTE_PGM_RSRC2:TIDIG_COMP_CNT: 0
; COMPUTE_PGM_RSRC3_GFX90A:ACCUM_OFFSET: 0
; COMPUTE_PGM_RSRC3_GFX90A:TG_SPLIT: 0
	.section	.text._ZN7rocprim17ROCPRIM_400000_NS6detail17trampoline_kernelINS0_13kernel_configILj256ELj4ELj4294967295EEENS1_37radix_sort_block_sort_config_selectorIdNS0_10empty_typeEEEZNS1_21radix_sort_block_sortIS4_Lb1EPdS9_PS6_SA_NS0_19identity_decomposerEEE10hipError_tT1_T2_T3_T4_jRjT5_jjP12ihipStream_tbEUlT_E_NS1_11comp_targetILNS1_3genE4ELNS1_11target_archE910ELNS1_3gpuE8ELNS1_3repE0EEENS1_44radix_sort_block_sort_config_static_selectorELNS0_4arch9wavefront6targetE1EEEvSD_,"axG",@progbits,_ZN7rocprim17ROCPRIM_400000_NS6detail17trampoline_kernelINS0_13kernel_configILj256ELj4ELj4294967295EEENS1_37radix_sort_block_sort_config_selectorIdNS0_10empty_typeEEEZNS1_21radix_sort_block_sortIS4_Lb1EPdS9_PS6_SA_NS0_19identity_decomposerEEE10hipError_tT1_T2_T3_T4_jRjT5_jjP12ihipStream_tbEUlT_E_NS1_11comp_targetILNS1_3genE4ELNS1_11target_archE910ELNS1_3gpuE8ELNS1_3repE0EEENS1_44radix_sort_block_sort_config_static_selectorELNS0_4arch9wavefront6targetE1EEEvSD_,comdat
	.protected	_ZN7rocprim17ROCPRIM_400000_NS6detail17trampoline_kernelINS0_13kernel_configILj256ELj4ELj4294967295EEENS1_37radix_sort_block_sort_config_selectorIdNS0_10empty_typeEEEZNS1_21radix_sort_block_sortIS4_Lb1EPdS9_PS6_SA_NS0_19identity_decomposerEEE10hipError_tT1_T2_T3_T4_jRjT5_jjP12ihipStream_tbEUlT_E_NS1_11comp_targetILNS1_3genE4ELNS1_11target_archE910ELNS1_3gpuE8ELNS1_3repE0EEENS1_44radix_sort_block_sort_config_static_selectorELNS0_4arch9wavefront6targetE1EEEvSD_ ; -- Begin function _ZN7rocprim17ROCPRIM_400000_NS6detail17trampoline_kernelINS0_13kernel_configILj256ELj4ELj4294967295EEENS1_37radix_sort_block_sort_config_selectorIdNS0_10empty_typeEEEZNS1_21radix_sort_block_sortIS4_Lb1EPdS9_PS6_SA_NS0_19identity_decomposerEEE10hipError_tT1_T2_T3_T4_jRjT5_jjP12ihipStream_tbEUlT_E_NS1_11comp_targetILNS1_3genE4ELNS1_11target_archE910ELNS1_3gpuE8ELNS1_3repE0EEENS1_44radix_sort_block_sort_config_static_selectorELNS0_4arch9wavefront6targetE1EEEvSD_
	.globl	_ZN7rocprim17ROCPRIM_400000_NS6detail17trampoline_kernelINS0_13kernel_configILj256ELj4ELj4294967295EEENS1_37radix_sort_block_sort_config_selectorIdNS0_10empty_typeEEEZNS1_21radix_sort_block_sortIS4_Lb1EPdS9_PS6_SA_NS0_19identity_decomposerEEE10hipError_tT1_T2_T3_T4_jRjT5_jjP12ihipStream_tbEUlT_E_NS1_11comp_targetILNS1_3genE4ELNS1_11target_archE910ELNS1_3gpuE8ELNS1_3repE0EEENS1_44radix_sort_block_sort_config_static_selectorELNS0_4arch9wavefront6targetE1EEEvSD_
	.p2align	8
	.type	_ZN7rocprim17ROCPRIM_400000_NS6detail17trampoline_kernelINS0_13kernel_configILj256ELj4ELj4294967295EEENS1_37radix_sort_block_sort_config_selectorIdNS0_10empty_typeEEEZNS1_21radix_sort_block_sortIS4_Lb1EPdS9_PS6_SA_NS0_19identity_decomposerEEE10hipError_tT1_T2_T3_T4_jRjT5_jjP12ihipStream_tbEUlT_E_NS1_11comp_targetILNS1_3genE4ELNS1_11target_archE910ELNS1_3gpuE8ELNS1_3repE0EEENS1_44radix_sort_block_sort_config_static_selectorELNS0_4arch9wavefront6targetE1EEEvSD_,@function
_ZN7rocprim17ROCPRIM_400000_NS6detail17trampoline_kernelINS0_13kernel_configILj256ELj4ELj4294967295EEENS1_37radix_sort_block_sort_config_selectorIdNS0_10empty_typeEEEZNS1_21radix_sort_block_sortIS4_Lb1EPdS9_PS6_SA_NS0_19identity_decomposerEEE10hipError_tT1_T2_T3_T4_jRjT5_jjP12ihipStream_tbEUlT_E_NS1_11comp_targetILNS1_3genE4ELNS1_11target_archE910ELNS1_3gpuE8ELNS1_3repE0EEENS1_44radix_sort_block_sort_config_static_selectorELNS0_4arch9wavefront6targetE1EEEvSD_: ; @_ZN7rocprim17ROCPRIM_400000_NS6detail17trampoline_kernelINS0_13kernel_configILj256ELj4ELj4294967295EEENS1_37radix_sort_block_sort_config_selectorIdNS0_10empty_typeEEEZNS1_21radix_sort_block_sortIS4_Lb1EPdS9_PS6_SA_NS0_19identity_decomposerEEE10hipError_tT1_T2_T3_T4_jRjT5_jjP12ihipStream_tbEUlT_E_NS1_11comp_targetILNS1_3genE4ELNS1_11target_archE910ELNS1_3gpuE8ELNS1_3repE0EEENS1_44radix_sort_block_sort_config_static_selectorELNS0_4arch9wavefront6targetE1EEEvSD_
; %bb.0:
	s_load_dword s7, s[4:5], 0x20
	s_load_dwordx4 s[28:31], s[4:5], 0x0
	s_lshl_b32 s0, s6, 10
	s_mov_b32 s1, 0
	v_mbcnt_lo_u32_b32 v1, -1, 0
	s_waitcnt lgkmcnt(0)
	s_lshr_b32 s2, s7, 10
	s_cmp_lg_u32 s6, s2
	s_cselect_b64 s[34:35], -1, 0
	s_lshl_b64 s[36:37], s[0:1], 3
	v_mbcnt_hi_u32_b32 v1, -1, v1
	v_and_b32_e32 v10, 0x3ff, v0
	s_add_u32 s1, s28, s36
	v_and_b32_e32 v15, 63, v1
	s_addc_u32 s3, s29, s37
	v_lshlrev_b32_e32 v14, 2, v10
	v_lshlrev_b32_e32 v2, 3, v15
	v_and_b32_e32 v16, 0x300, v14
	v_mov_b32_e32 v3, s3
	v_add_co_u32_e32 v2, vcc, s1, v2
	v_addc_co_u32_e32 v3, vcc, 0, v3, vcc
	v_lshlrev_b32_e32 v4, 3, v16
	v_add_co_u32_e32 v12, vcc, v2, v4
	s_cmp_eq_u32 s6, s2
	v_addc_co_u32_e32 v13, vcc, 0, v3, vcc
	v_or_b32_e32 v11, v15, v16
	s_cbranch_scc1 .LBB2566_2
; %bb.1:
	global_load_dwordx2 v[2:3], v[12:13], off
	global_load_dwordx2 v[4:5], v[12:13], off offset:512
	global_load_dwordx2 v[6:7], v[12:13], off offset:1024
	;; [unrolled: 1-line block ×3, first 2 shown]
	v_or_b32_e32 v18, v15, v16
	v_or_b32_e32 v15, 64, v18
	;; [unrolled: 1-line block ×4, first 2 shown]
	s_load_dwordx2 s[28:29], s[4:5], 0x28
	s_sub_i32 s33, s7, s0
	s_cbranch_execz .LBB2566_3
	s_branch .LBB2566_12
.LBB2566_2:
                                        ; implicit-def: $vgpr2_vgpr3_vgpr4_vgpr5_vgpr6_vgpr7_vgpr8_vgpr9
                                        ; implicit-def: $vgpr18
                                        ; implicit-def: $vgpr15
                                        ; implicit-def: $vgpr16
                                        ; implicit-def: $vgpr17
	s_load_dwordx2 s[28:29], s[4:5], 0x28
	s_sub_i32 s33, s7, s0
.LBB2566_3:
	s_mov_b32 s8, -1
	s_mov_b32 s9, s8
	s_mov_b32 s10, s8
	s_mov_b32 s11, s8
	s_mov_b32 s12, s8
	s_mov_b32 s13, s8
	s_mov_b32 s14, s8
	s_mov_b32 s15, s8
	s_waitcnt vmcnt(0)
	v_pk_mov_b32 v[2:3], s[8:9], s[8:9] op_sel:[0,1]
	v_cmp_gt_u32_e32 vcc, s33, v11
	v_pk_mov_b32 v[4:5], s[10:11], s[10:11] op_sel:[0,1]
	v_pk_mov_b32 v[6:7], s[12:13], s[12:13] op_sel:[0,1]
	;; [unrolled: 1-line block ×3, first 2 shown]
	s_and_saveexec_b64 s[0:1], vcc
	s_cbranch_execz .LBB2566_5
; %bb.4:
	global_load_dwordx2 v[2:3], v[12:13], off
	v_mov_b32_e32 v4, -1
	v_mov_b32_e32 v5, v4
	v_mov_b32_e32 v6, v4
	;; [unrolled: 1-line block ×5, first 2 shown]
.LBB2566_5:
	s_or_b64 exec, exec, s[0:1]
	v_or_b32_e32 v15, 64, v11
	v_cmp_gt_u32_e32 vcc, s33, v15
	s_and_saveexec_b64 s[0:1], vcc
	s_cbranch_execz .LBB2566_7
; %bb.6:
	global_load_dwordx2 v[4:5], v[12:13], off offset:512
.LBB2566_7:
	s_or_b64 exec, exec, s[0:1]
	v_or_b32_e32 v16, 0x80, v11
	v_cmp_gt_u32_e32 vcc, s33, v16
	s_and_saveexec_b64 s[0:1], vcc
	s_cbranch_execz .LBB2566_9
; %bb.8:
	global_load_dwordx2 v[6:7], v[12:13], off offset:1024
.LBB2566_9:
	;; [unrolled: 8-line block ×3, first 2 shown]
	s_or_b64 exec, exec, s[0:1]
	v_mov_b32_e32 v18, v11
.LBB2566_12:
	s_waitcnt vmcnt(0)
	v_ashrrev_i32_e32 v13, 31, v3
	v_bfrev_b32_e32 v11, -2
	v_cmp_gt_i64_e32 vcc, 0, v[2:3]
	v_not_b32_e32 v13, v13
	s_load_dword s2, s[4:5], 0x3c
	v_cndmask_b32_e64 v12, v11, 0, vcc
	v_xor_b32_e32 v2, v13, v2
	v_cmp_gt_i64_e32 vcc, 0, v[4:5]
	v_ashrrev_i32_e32 v13, 31, v5
	v_xor_b32_e32 v3, v12, v3
	v_cndmask_b32_e64 v12, v11, 0, vcc
	v_not_b32_e32 v13, v13
	v_cmp_gt_i64_e32 vcc, 0, v[6:7]
	s_waitcnt lgkmcnt(0)
	s_add_i32 s40, s29, s28
	v_xor_b32_e32 v21, v12, v5
	v_xor_b32_e32 v20, v13, v4
	v_cndmask_b32_e64 v4, v11, 0, vcc
	v_ashrrev_i32_e32 v5, 31, v7
	v_cmp_gt_i64_e32 vcc, 0, v[8:9]
	v_not_b32_e32 v5, v5
	v_xor_b32_e32 v23, v4, v7
	v_cndmask_b32_e64 v4, v11, 0, vcc
	s_getpc_b64 s[0:1]
	s_add_u32 s0, s0, _ZN7rocprim17ROCPRIM_400000_NS16block_radix_sortIdLj256ELj4ENS0_10empty_typeELj1ELj1ELj0ELNS0_26block_radix_rank_algorithmE1ELNS0_18block_padding_hintE2ELNS0_4arch9wavefront6targetE1EE19radix_bits_per_passE@rel32@lo+4
	s_addc_u32 s1, s1, _ZN7rocprim17ROCPRIM_400000_NS16block_radix_sortIdLj256ELj4ENS0_10empty_typeELj1ELj1ELj0ELNS0_26block_radix_rank_algorithmE1ELNS0_18block_padding_hintE2ELNS0_4arch9wavefront6targetE1EE19radix_bits_per_passE@rel32@hi+12
	v_xor_b32_e32 v22, v5, v6
	v_ashrrev_i32_e32 v5, 31, v9
	v_xor_b32_e32 v25, v4, v9
	s_load_dword s41, s[0:1], 0x0
	s_lshr_b32 s0, s2, 16
	v_bfe_u32 v4, v0, 10, 10
	v_bfe_u32 v0, v0, 20, 10
	v_not_b32_e32 v5, v5
	s_and_b32 s1, s2, 0xffff
	v_mad_u32_u24 v0, v0, s0, v4
	v_xor_b32_e32 v24, v5, v8
	v_mad_u64_u32 v[4:5], s[0:1], v0, s1, v[10:11]
	v_and_b32_e32 v0, 15, v1
	v_cmp_eq_u32_e64 s[0:1], 0, v0
	v_cmp_lt_u32_e64 s[2:3], 1, v0
	v_cmp_lt_u32_e64 s[4:5], 3, v0
	;; [unrolled: 1-line block ×3, first 2 shown]
	v_and_b32_e32 v0, 16, v1
	v_cmp_eq_u32_e64 s[8:9], 0, v0
	v_and_b32_e32 v0, 0x3c0, v10
	v_min_u32_e32 v0, 0xc0, v0
	v_or_b32_e32 v0, 63, v0
	v_lshrrev_b32_e32 v27, 6, v4
	v_cmp_eq_u32_e64 s[12:13], v0, v10
	v_add_u32_e32 v0, -1, v1
	v_and_b32_e32 v4, 64, v1
	v_cmp_lt_i32_e32 vcc, v0, v4
	v_cndmask_b32_e32 v0, v0, v1, vcc
	s_mov_b32 s38, 0
	v_lshlrev_b32_e32 v28, 2, v0
	v_lshrrev_b32_e32 v0, 4, v10
	s_brev_b32 s39, 1
	v_lshlrev_b32_e32 v26, 2, v14
	v_cmp_lt_u32_e64 s[10:11], 31, v1
	v_cmp_eq_u32_e64 s[18:19], 0, v1
	v_and_b32_e32 v29, 60, v0
	v_mul_i32_i24_e32 v0, -12, v10
	v_and_b32_e32 v1, 3, v1
	s_mov_b32 s26, 0
	s_mov_b32 s27, s38
	;; [unrolled: 1-line block ×4, first 2 shown]
	v_cmp_gt_u32_e64 s[14:15], 4, v10
	v_cmp_lt_u32_e64 s[16:17], 63, v10
	v_cmp_eq_u32_e64 s[20:21], 0, v10
	v_cmp_eq_u32_e64 s[22:23], 0, v1
	v_cmp_lt_u32_e64 s[24:25], 1, v1
	v_add_u32_e32 v30, -4, v29
	v_lshlrev_b32_e32 v31, 3, v18
	v_lshlrev_b32_e32 v32, 3, v15
	;; [unrolled: 1-line block ×4, first 2 shown]
	v_add_u32_e32 v35, v26, v0
	v_pk_mov_b32 v[4:5], s[26:27], s[26:27] op_sel:[0,1]
	v_pk_mov_b32 v[6:7], s[42:43], s[42:43] op_sel:[0,1]
	v_mov_b32_e32 v8, 0
	s_branch .LBB2566_14
.LBB2566_13:                            ;   in Loop: Header=BB2566_14 Depth=1
	s_barrier
	ds_write_b64 v0, v[18:19]
	ds_write_b64 v1, v[16:17]
	;; [unrolled: 1-line block ×4, first 2 shown]
	s_waitcnt lgkmcnt(0)
	s_barrier
	ds_read_b64 v[2:3], v31
	ds_read_b64 v[20:21], v32
	;; [unrolled: 1-line block ×4, first 2 shown]
	s_add_i32 s29, s29, -8
	s_waitcnt lgkmcnt(0)
	s_barrier
	s_cbranch_execz .LBB2566_30
.LBB2566_14:                            ; =>This Inner Loop Header: Depth=1
	v_pk_mov_b32 v[18:19], v[2:3], v[2:3] op_sel:[0,1]
	s_waitcnt lgkmcnt(0)
	s_min_u32 s26, s41, s29
	v_cmp_ne_u64_e32 vcc, s[38:39], v[18:19]
	s_lshl_b32 s26, -1, s26
	v_cndmask_b32_e32 v1, v11, v19, vcc
	v_cndmask_b32_e32 v0, -1, v18, vcc
	s_not_b32 s42, s26
	v_lshrrev_b64 v[0:1], s28, v[0:1]
	v_and_b32_e32 v0, s42, v0
	v_lshl_add_u32 v1, v0, 2, v27
	v_pk_mov_b32 v[16:17], v[20:21], v[20:21] op_sel:[0,1]
	v_lshl_add_u32 v20, v1, 2, 16
	v_and_b32_e32 v1, 1, v0
	v_add_co_u32_e32 v2, vcc, -1, v1
	v_addc_co_u32_e64 v3, s[26:27], 0, -1, vcc
	v_cmp_ne_u32_e32 vcc, 0, v1
	v_lshlrev_b32_e32 v9, 30, v0
	v_xor_b32_e32 v1, vcc_hi, v3
	v_not_b32_e32 v3, v9
	v_xor_b32_e32 v2, vcc_lo, v2
	v_cmp_gt_i64_e32 vcc, 0, v[8:9]
	v_ashrrev_i32_e32 v3, 31, v3
	v_and_b32_e32 v1, exec_hi, v1
	v_xor_b32_e32 v9, vcc_hi, v3
	v_and_b32_e32 v2, exec_lo, v2
	v_xor_b32_e32 v3, vcc_lo, v3
	v_and_b32_e32 v1, v1, v9
	v_lshlrev_b32_e32 v9, 29, v0
	v_and_b32_e32 v2, v2, v3
	v_not_b32_e32 v3, v9
	v_cmp_gt_i64_e32 vcc, 0, v[8:9]
	v_ashrrev_i32_e32 v3, 31, v3
	v_xor_b32_e32 v9, vcc_hi, v3
	v_xor_b32_e32 v3, vcc_lo, v3
	v_and_b32_e32 v1, v1, v9
	v_lshlrev_b32_e32 v9, 28, v0
	v_and_b32_e32 v2, v2, v3
	v_not_b32_e32 v3, v9
	v_cmp_gt_i64_e32 vcc, 0, v[8:9]
	v_ashrrev_i32_e32 v3, 31, v3
	v_xor_b32_e32 v9, vcc_hi, v3
	;; [unrolled: 8-line block ×5, first 2 shown]
	v_and_b32_e32 v1, v1, v9
	v_lshlrev_b32_e32 v9, 24, v0
	v_not_b32_e32 v0, v9
	v_xor_b32_e32 v3, vcc_lo, v3
	v_cmp_gt_i64_e32 vcc, 0, v[8:9]
	v_ashrrev_i32_e32 v0, 31, v0
	v_and_b32_e32 v2, v2, v3
	v_xor_b32_e32 v3, vcc_hi, v0
	v_xor_b32_e32 v0, vcc_lo, v0
	v_and_b32_e32 v0, v2, v0
	v_and_b32_e32 v1, v1, v3
	v_mbcnt_lo_u32_b32 v2, v0, 0
	v_mbcnt_hi_u32_b32 v21, v1, v2
	v_cmp_eq_u32_e32 vcc, 0, v21
	v_cmp_ne_u64_e64 s[26:27], 0, v[0:1]
	v_pk_mov_b32 v[12:13], v[24:25], v[24:25] op_sel:[0,1]
	v_pk_mov_b32 v[14:15], v[22:23], v[22:23] op_sel:[0,1]
	s_and_b64 s[44:45], s[26:27], vcc
	ds_write2_b64 v26, v[4:5], v[6:7] offset0:2 offset1:3
	s_waitcnt lgkmcnt(0)
	s_barrier
	s_waitcnt lgkmcnt(0)
	; wave barrier
	s_and_saveexec_b64 s[26:27], s[44:45]
	s_cbranch_execz .LBB2566_16
; %bb.15:                               ;   in Loop: Header=BB2566_14 Depth=1
	v_bcnt_u32_b32 v0, v0, 0
	v_bcnt_u32_b32 v0, v1, v0
	ds_write_b32 v20, v0
.LBB2566_16:                            ;   in Loop: Header=BB2566_14 Depth=1
	s_or_b64 exec, exec, s[26:27]
	v_cmp_ne_u64_e32 vcc, s[38:39], v[16:17]
	v_cndmask_b32_e32 v1, v11, v17, vcc
	v_cndmask_b32_e32 v0, -1, v16, vcc
	v_lshrrev_b64 v[0:1], s28, v[0:1]
	v_and_b32_e32 v0, s42, v0
	v_lshlrev_b32_e32 v1, 2, v0
	v_add_lshl_u32 v1, v1, v27, 2
	; wave barrier
	v_add_u32_e32 v23, 16, v1
	ds_read_b32 v22, v1 offset:16
	v_and_b32_e32 v1, 1, v0
	v_add_co_u32_e32 v2, vcc, -1, v1
	v_addc_co_u32_e64 v3, s[26:27], 0, -1, vcc
	v_cmp_ne_u32_e32 vcc, 0, v1
	v_lshlrev_b32_e32 v9, 30, v0
	v_xor_b32_e32 v1, vcc_hi, v3
	v_not_b32_e32 v3, v9
	v_xor_b32_e32 v2, vcc_lo, v2
	v_cmp_gt_i64_e32 vcc, 0, v[8:9]
	v_ashrrev_i32_e32 v3, 31, v3
	v_and_b32_e32 v1, exec_hi, v1
	v_xor_b32_e32 v9, vcc_hi, v3
	v_and_b32_e32 v2, exec_lo, v2
	v_xor_b32_e32 v3, vcc_lo, v3
	v_and_b32_e32 v1, v1, v9
	v_lshlrev_b32_e32 v9, 29, v0
	v_and_b32_e32 v2, v2, v3
	v_not_b32_e32 v3, v9
	v_cmp_gt_i64_e32 vcc, 0, v[8:9]
	v_ashrrev_i32_e32 v3, 31, v3
	v_xor_b32_e32 v9, vcc_hi, v3
	v_xor_b32_e32 v3, vcc_lo, v3
	v_and_b32_e32 v1, v1, v9
	v_lshlrev_b32_e32 v9, 28, v0
	v_and_b32_e32 v2, v2, v3
	v_not_b32_e32 v3, v9
	v_cmp_gt_i64_e32 vcc, 0, v[8:9]
	v_ashrrev_i32_e32 v3, 31, v3
	v_xor_b32_e32 v9, vcc_hi, v3
	;; [unrolled: 8-line block ×5, first 2 shown]
	v_and_b32_e32 v1, v1, v9
	v_lshlrev_b32_e32 v9, 24, v0
	v_not_b32_e32 v0, v9
	v_xor_b32_e32 v3, vcc_lo, v3
	v_cmp_gt_i64_e32 vcc, 0, v[8:9]
	v_ashrrev_i32_e32 v0, 31, v0
	v_and_b32_e32 v2, v2, v3
	v_xor_b32_e32 v3, vcc_hi, v0
	v_xor_b32_e32 v0, vcc_lo, v0
	v_and_b32_e32 v0, v2, v0
	v_and_b32_e32 v1, v1, v3
	v_mbcnt_lo_u32_b32 v2, v0, 0
	v_mbcnt_hi_u32_b32 v24, v1, v2
	v_cmp_eq_u32_e32 vcc, 0, v24
	v_cmp_ne_u64_e64 s[26:27], 0, v[0:1]
	s_and_b64 s[44:45], s[26:27], vcc
	; wave barrier
	s_and_saveexec_b64 s[26:27], s[44:45]
	s_cbranch_execz .LBB2566_18
; %bb.17:                               ;   in Loop: Header=BB2566_14 Depth=1
	v_bcnt_u32_b32 v0, v0, 0
	v_bcnt_u32_b32 v0, v1, v0
	s_waitcnt lgkmcnt(0)
	v_add_u32_e32 v0, v22, v0
	ds_write_b32 v23, v0
.LBB2566_18:                            ;   in Loop: Header=BB2566_14 Depth=1
	s_or_b64 exec, exec, s[26:27]
	v_cmp_ne_u64_e32 vcc, s[38:39], v[14:15]
	v_cndmask_b32_e32 v1, v11, v15, vcc
	v_cndmask_b32_e32 v0, -1, v14, vcc
	v_lshrrev_b64 v[0:1], s28, v[0:1]
	v_and_b32_e32 v0, s42, v0
	v_lshlrev_b32_e32 v1, 2, v0
	v_add_lshl_u32 v1, v1, v27, 2
	; wave barrier
	v_add_u32_e32 v36, 16, v1
	ds_read_b32 v25, v1 offset:16
	v_and_b32_e32 v1, 1, v0
	v_add_co_u32_e32 v2, vcc, -1, v1
	v_addc_co_u32_e64 v3, s[26:27], 0, -1, vcc
	v_cmp_ne_u32_e32 vcc, 0, v1
	v_lshlrev_b32_e32 v9, 30, v0
	v_xor_b32_e32 v1, vcc_hi, v3
	v_not_b32_e32 v3, v9
	v_xor_b32_e32 v2, vcc_lo, v2
	v_cmp_gt_i64_e32 vcc, 0, v[8:9]
	v_ashrrev_i32_e32 v3, 31, v3
	v_and_b32_e32 v1, exec_hi, v1
	v_xor_b32_e32 v9, vcc_hi, v3
	v_and_b32_e32 v2, exec_lo, v2
	v_xor_b32_e32 v3, vcc_lo, v3
	v_and_b32_e32 v1, v1, v9
	v_lshlrev_b32_e32 v9, 29, v0
	v_and_b32_e32 v2, v2, v3
	v_not_b32_e32 v3, v9
	v_cmp_gt_i64_e32 vcc, 0, v[8:9]
	v_ashrrev_i32_e32 v3, 31, v3
	v_xor_b32_e32 v9, vcc_hi, v3
	v_xor_b32_e32 v3, vcc_lo, v3
	v_and_b32_e32 v1, v1, v9
	v_lshlrev_b32_e32 v9, 28, v0
	v_and_b32_e32 v2, v2, v3
	v_not_b32_e32 v3, v9
	v_cmp_gt_i64_e32 vcc, 0, v[8:9]
	v_ashrrev_i32_e32 v3, 31, v3
	v_xor_b32_e32 v9, vcc_hi, v3
	;; [unrolled: 8-line block ×5, first 2 shown]
	v_and_b32_e32 v1, v1, v9
	v_lshlrev_b32_e32 v9, 24, v0
	v_not_b32_e32 v0, v9
	v_xor_b32_e32 v3, vcc_lo, v3
	v_cmp_gt_i64_e32 vcc, 0, v[8:9]
	v_ashrrev_i32_e32 v0, 31, v0
	v_and_b32_e32 v2, v2, v3
	v_xor_b32_e32 v3, vcc_hi, v0
	v_xor_b32_e32 v0, vcc_lo, v0
	v_and_b32_e32 v0, v2, v0
	v_and_b32_e32 v1, v1, v3
	v_mbcnt_lo_u32_b32 v2, v0, 0
	v_mbcnt_hi_u32_b32 v37, v1, v2
	v_cmp_eq_u32_e32 vcc, 0, v37
	v_cmp_ne_u64_e64 s[26:27], 0, v[0:1]
	s_and_b64 s[44:45], s[26:27], vcc
	; wave barrier
	s_and_saveexec_b64 s[26:27], s[44:45]
	s_cbranch_execz .LBB2566_20
; %bb.19:                               ;   in Loop: Header=BB2566_14 Depth=1
	v_bcnt_u32_b32 v0, v0, 0
	v_bcnt_u32_b32 v0, v1, v0
	s_waitcnt lgkmcnt(0)
	v_add_u32_e32 v0, v25, v0
	ds_write_b32 v36, v0
.LBB2566_20:                            ;   in Loop: Header=BB2566_14 Depth=1
	s_or_b64 exec, exec, s[26:27]
	v_cmp_ne_u64_e32 vcc, s[38:39], v[12:13]
	v_cndmask_b32_e32 v1, v11, v13, vcc
	v_cndmask_b32_e32 v0, -1, v12, vcc
	v_lshrrev_b64 v[0:1], s28, v[0:1]
	v_and_b32_e32 v0, s42, v0
	v_lshlrev_b32_e32 v1, 2, v0
	v_add_lshl_u32 v1, v1, v27, 2
	; wave barrier
	v_add_u32_e32 v39, 16, v1
	ds_read_b32 v38, v1 offset:16
	v_and_b32_e32 v1, 1, v0
	v_add_co_u32_e32 v2, vcc, -1, v1
	v_addc_co_u32_e64 v3, s[26:27], 0, -1, vcc
	v_cmp_ne_u32_e32 vcc, 0, v1
	v_lshlrev_b32_e32 v9, 30, v0
	v_xor_b32_e32 v1, vcc_hi, v3
	v_not_b32_e32 v3, v9
	v_xor_b32_e32 v2, vcc_lo, v2
	v_cmp_gt_i64_e32 vcc, 0, v[8:9]
	v_ashrrev_i32_e32 v3, 31, v3
	v_and_b32_e32 v1, exec_hi, v1
	v_xor_b32_e32 v9, vcc_hi, v3
	v_and_b32_e32 v2, exec_lo, v2
	v_xor_b32_e32 v3, vcc_lo, v3
	v_and_b32_e32 v1, v1, v9
	v_lshlrev_b32_e32 v9, 29, v0
	v_and_b32_e32 v2, v2, v3
	v_not_b32_e32 v3, v9
	v_cmp_gt_i64_e32 vcc, 0, v[8:9]
	v_ashrrev_i32_e32 v3, 31, v3
	v_xor_b32_e32 v9, vcc_hi, v3
	v_xor_b32_e32 v3, vcc_lo, v3
	v_and_b32_e32 v1, v1, v9
	v_lshlrev_b32_e32 v9, 28, v0
	v_and_b32_e32 v2, v2, v3
	v_not_b32_e32 v3, v9
	v_cmp_gt_i64_e32 vcc, 0, v[8:9]
	v_ashrrev_i32_e32 v3, 31, v3
	v_xor_b32_e32 v9, vcc_hi, v3
	;; [unrolled: 8-line block ×5, first 2 shown]
	v_and_b32_e32 v1, v1, v9
	v_lshlrev_b32_e32 v9, 24, v0
	v_not_b32_e32 v0, v9
	v_xor_b32_e32 v3, vcc_lo, v3
	v_cmp_gt_i64_e32 vcc, 0, v[8:9]
	v_ashrrev_i32_e32 v0, 31, v0
	v_and_b32_e32 v2, v2, v3
	v_xor_b32_e32 v3, vcc_hi, v0
	v_xor_b32_e32 v0, vcc_lo, v0
	v_and_b32_e32 v0, v2, v0
	v_and_b32_e32 v1, v1, v3
	v_mbcnt_lo_u32_b32 v2, v0, 0
	v_mbcnt_hi_u32_b32 v9, v1, v2
	v_cmp_eq_u32_e32 vcc, 0, v9
	v_cmp_ne_u64_e64 s[26:27], 0, v[0:1]
	s_and_b64 s[42:43], s[26:27], vcc
	; wave barrier
	s_and_saveexec_b64 s[26:27], s[42:43]
	s_cbranch_execz .LBB2566_22
; %bb.21:                               ;   in Loop: Header=BB2566_14 Depth=1
	v_bcnt_u32_b32 v0, v0, 0
	v_bcnt_u32_b32 v0, v1, v0
	s_waitcnt lgkmcnt(0)
	v_add_u32_e32 v0, v38, v0
	ds_write_b32 v39, v0
.LBB2566_22:                            ;   in Loop: Header=BB2566_14 Depth=1
	s_or_b64 exec, exec, s[26:27]
	; wave barrier
	s_waitcnt lgkmcnt(0)
	s_barrier
	ds_read2_b64 v[0:3], v26 offset0:2 offset1:3
	s_waitcnt lgkmcnt(0)
	v_add_u32_e32 v40, v1, v0
	v_add3_u32 v3, v40, v2, v3
	s_nop 1
	v_mov_b32_dpp v40, v3 row_shr:1 row_mask:0xf bank_mask:0xf
	v_cndmask_b32_e64 v40, v40, 0, s[0:1]
	v_add_u32_e32 v3, v40, v3
	s_nop 1
	v_mov_b32_dpp v40, v3 row_shr:2 row_mask:0xf bank_mask:0xf
	v_cndmask_b32_e64 v40, 0, v40, s[2:3]
	v_add_u32_e32 v3, v3, v40
	;; [unrolled: 4-line block ×4, first 2 shown]
	s_nop 1
	v_mov_b32_dpp v40, v3 row_bcast:15 row_mask:0xf bank_mask:0xf
	v_cndmask_b32_e64 v40, v40, 0, s[8:9]
	v_add_u32_e32 v3, v3, v40
	s_nop 1
	v_mov_b32_dpp v40, v3 row_bcast:31 row_mask:0xf bank_mask:0xf
	v_cndmask_b32_e64 v40, 0, v40, s[10:11]
	v_add_u32_e32 v3, v3, v40
	s_and_saveexec_b64 s[26:27], s[12:13]
	s_cbranch_execz .LBB2566_24
; %bb.23:                               ;   in Loop: Header=BB2566_14 Depth=1
	ds_write_b32 v29, v3
.LBB2566_24:                            ;   in Loop: Header=BB2566_14 Depth=1
	s_or_b64 exec, exec, s[26:27]
	s_waitcnt lgkmcnt(0)
	s_barrier
	s_and_saveexec_b64 s[26:27], s[14:15]
	s_cbranch_execz .LBB2566_26
; %bb.25:                               ;   in Loop: Header=BB2566_14 Depth=1
	ds_read_b32 v40, v35
	s_waitcnt lgkmcnt(0)
	s_nop 0
	v_mov_b32_dpp v41, v40 row_shr:1 row_mask:0xf bank_mask:0xf
	v_cndmask_b32_e64 v41, v41, 0, s[22:23]
	v_add_u32_e32 v40, v41, v40
	s_nop 1
	v_mov_b32_dpp v41, v40 row_shr:2 row_mask:0xf bank_mask:0xf
	v_cndmask_b32_e64 v41, 0, v41, s[24:25]
	v_add_u32_e32 v40, v40, v41
	ds_write_b32 v35, v40
.LBB2566_26:                            ;   in Loop: Header=BB2566_14 Depth=1
	s_or_b64 exec, exec, s[26:27]
	v_mov_b32_e32 v40, 0
	s_waitcnt lgkmcnt(0)
	s_barrier
	s_and_saveexec_b64 s[26:27], s[16:17]
	s_cbranch_execz .LBB2566_28
; %bb.27:                               ;   in Loop: Header=BB2566_14 Depth=1
	ds_read_b32 v40, v30
.LBB2566_28:                            ;   in Loop: Header=BB2566_14 Depth=1
	s_or_b64 exec, exec, s[26:27]
	s_waitcnt lgkmcnt(0)
	v_add_u32_e32 v3, v40, v3
	ds_bpermute_b32 v3, v28, v3
	s_add_i32 s28, s28, 8
	s_cmp_ge_u32 s28, s40
	s_waitcnt lgkmcnt(0)
	v_cndmask_b32_e64 v3, v3, v40, s[18:19]
	v_cndmask_b32_e64 v40, v3, 0, s[20:21]
	v_add_u32_e32 v41, v40, v0
	v_add_u32_e32 v0, v41, v1
	;; [unrolled: 1-line block ×3, first 2 shown]
	ds_write2_b64 v26, v[40:41], v[0:1] offset0:2 offset1:3
	s_waitcnt lgkmcnt(0)
	s_barrier
	ds_read_b32 v0, v20
	ds_read_b32 v1, v23
	;; [unrolled: 1-line block ×4, first 2 shown]
	v_lshlrev_b32_e32 v20, 3, v21
	s_waitcnt lgkmcnt(3)
	v_lshl_add_u32 v0, v0, 3, v20
	v_lshlrev_b32_e32 v20, 3, v24
	v_lshlrev_b32_e32 v21, 3, v22
	s_waitcnt lgkmcnt(2)
	v_lshlrev_b32_e32 v1, 3, v1
	v_add3_u32 v1, v20, v21, v1
	v_lshlrev_b32_e32 v20, 3, v37
	v_lshlrev_b32_e32 v21, 3, v25
	s_waitcnt lgkmcnt(1)
	v_lshlrev_b32_e32 v2, 3, v2
	v_add3_u32 v36, v20, v21, v2
	;; [unrolled: 5-line block ×3, first 2 shown]
	s_cbranch_scc0 .LBB2566_13
; %bb.29:
                                        ; implicit-def: $vgpr24_vgpr25
                                        ; implicit-def: $vgpr22_vgpr23
                                        ; implicit-def: $vgpr20_vgpr21
                                        ; implicit-def: $vgpr2_vgpr3
                                        ; implicit-def: $sgpr28
.LBB2566_30:
	v_lshlrev_b32_e32 v11, 3, v10
	s_barrier
	ds_write_b64 v0, v[18:19]
	ds_write_b64 v1, v[16:17]
	;; [unrolled: 1-line block ×4, first 2 shown]
	s_waitcnt lgkmcnt(0)
	s_barrier
	ds_read2st64_b64 v[4:7], v11 offset1:4
	ds_read2st64_b64 v[0:3], v11 offset0:8 offset1:12
	v_bfrev_b32_e32 v12, -2
	s_add_u32 s2, s30, s36
	s_addc_u32 s3, s31, s37
	s_waitcnt lgkmcnt(1)
	v_cmp_gt_i64_e32 vcc, 0, v[4:5]
	v_cndmask_b32_e64 v8, v12, 0, vcc
	v_ashrrev_i32_e32 v9, 31, v5
	v_not_b32_e32 v13, v9
	v_xor_b32_e32 v9, v8, v5
	v_ashrrev_i32_e32 v5, 31, v7
	v_cmp_gt_i64_e32 vcc, 0, v[6:7]
	v_not_b32_e32 v5, v5
	v_xor_b32_e32 v8, v13, v4
	v_cndmask_b32_e64 v4, v12, 0, vcc
	v_xor_b32_e32 v6, v5, v6
	s_waitcnt lgkmcnt(0)
	v_cmp_gt_i64_e32 vcc, 0, v[0:1]
	v_ashrrev_i32_e32 v5, 31, v1
	v_xor_b32_e32 v7, v4, v7
	v_cndmask_b32_e64 v4, v12, 0, vcc
	v_not_b32_e32 v12, v5
	v_xor_b32_e32 v5, v4, v1
	v_xor_b32_e32 v4, v12, v0
	v_mov_b32_e32 v1, s3
	v_add_co_u32_e32 v0, vcc, s2, v11
	v_addc_co_u32_e32 v1, vcc, 0, v1, vcc
	s_mov_b64 s[0:1], 0
	s_andn2_b64 vcc, exec, s[34:35]
	s_mov_b64 s[2:3], -1
	s_cbranch_vccz .LBB2566_34
; %bb.31:
	s_andn2_b64 vcc, exec, s[2:3]
	s_cbranch_vccz .LBB2566_35
.LBB2566_32:
	s_and_saveexec_b64 s[2:3], s[0:1]
	s_cbranch_execnz .LBB2566_42
.LBB2566_33:
	s_endpgm
.LBB2566_34:
	v_add_co_u32_e32 v12, vcc, 0x1000, v0
	v_addc_co_u32_e32 v13, vcc, 0, v1, vcc
	s_mov_b64 s[0:1], -1
	global_store_dwordx2 v[0:1], v[8:9], off
	global_store_dwordx2 v[0:1], v[6:7], off offset:2048
	global_store_dwordx2 v[12:13], v[4:5], off
	s_cbranch_execnz .LBB2566_32
.LBB2566_35:
	v_cmp_gt_u32_e32 vcc, s33, v10
	s_and_saveexec_b64 s[0:1], vcc
	s_cbranch_execz .LBB2566_37
; %bb.36:
	global_store_dwordx2 v[0:1], v[8:9], off
.LBB2566_37:
	s_or_b64 exec, exec, s[0:1]
	v_add_u32_e32 v8, 0x100, v10
	v_cmp_gt_u32_e32 vcc, s33, v8
	s_and_saveexec_b64 s[0:1], vcc
	s_cbranch_execz .LBB2566_39
; %bb.38:
	global_store_dwordx2 v[0:1], v[6:7], off offset:2048
.LBB2566_39:
	s_or_b64 exec, exec, s[0:1]
	v_add_u32_e32 v6, 0x200, v10
	v_cmp_gt_u32_e32 vcc, s33, v6
	s_and_saveexec_b64 s[0:1], vcc
	s_cbranch_execz .LBB2566_41
; %bb.40:
	v_add_co_u32_e32 v6, vcc, 0x1000, v0
	v_addc_co_u32_e32 v7, vcc, 0, v1, vcc
	global_store_dwordx2 v[6:7], v[4:5], off
.LBB2566_41:
	s_or_b64 exec, exec, s[0:1]
	v_add_u32_e32 v4, 0x300, v10
	v_cmp_gt_u32_e64 s[0:1], s33, v4
	s_and_saveexec_b64 s[2:3], s[0:1]
	s_cbranch_execz .LBB2566_33
.LBB2566_42:
	v_bfrev_b32_e32 v4, -2
	v_cmp_gt_i64_e32 vcc, 0, v[2:3]
	v_ashrrev_i32_e32 v5, 31, v3
	v_cndmask_b32_e64 v4, v4, 0, vcc
	v_not_b32_e32 v5, v5
	v_add_co_u32_e32 v0, vcc, 0x1000, v0
	v_xor_b32_e32 v3, v4, v3
	v_xor_b32_e32 v2, v5, v2
	v_addc_co_u32_e32 v1, vcc, 0, v1, vcc
	global_store_dwordx2 v[0:1], v[2:3], off offset:2048
	s_endpgm
	.section	.rodata,"a",@progbits
	.p2align	6, 0x0
	.amdhsa_kernel _ZN7rocprim17ROCPRIM_400000_NS6detail17trampoline_kernelINS0_13kernel_configILj256ELj4ELj4294967295EEENS1_37radix_sort_block_sort_config_selectorIdNS0_10empty_typeEEEZNS1_21radix_sort_block_sortIS4_Lb1EPdS9_PS6_SA_NS0_19identity_decomposerEEE10hipError_tT1_T2_T3_T4_jRjT5_jjP12ihipStream_tbEUlT_E_NS1_11comp_targetILNS1_3genE4ELNS1_11target_archE910ELNS1_3gpuE8ELNS1_3repE0EEENS1_44radix_sort_block_sort_config_static_selectorELNS0_4arch9wavefront6targetE1EEEvSD_
		.amdhsa_group_segment_fixed_size 8192
		.amdhsa_private_segment_fixed_size 0
		.amdhsa_kernarg_size 304
		.amdhsa_user_sgpr_count 6
		.amdhsa_user_sgpr_private_segment_buffer 1
		.amdhsa_user_sgpr_dispatch_ptr 0
		.amdhsa_user_sgpr_queue_ptr 0
		.amdhsa_user_sgpr_kernarg_segment_ptr 1
		.amdhsa_user_sgpr_dispatch_id 0
		.amdhsa_user_sgpr_flat_scratch_init 0
		.amdhsa_user_sgpr_kernarg_preload_length 0
		.amdhsa_user_sgpr_kernarg_preload_offset 0
		.amdhsa_user_sgpr_private_segment_size 0
		.amdhsa_uses_dynamic_stack 0
		.amdhsa_system_sgpr_private_segment_wavefront_offset 0
		.amdhsa_system_sgpr_workgroup_id_x 1
		.amdhsa_system_sgpr_workgroup_id_y 0
		.amdhsa_system_sgpr_workgroup_id_z 0
		.amdhsa_system_sgpr_workgroup_info 0
		.amdhsa_system_vgpr_workitem_id 2
		.amdhsa_next_free_vgpr 42
		.amdhsa_next_free_sgpr 46
		.amdhsa_accum_offset 44
		.amdhsa_reserve_vcc 1
		.amdhsa_reserve_flat_scratch 0
		.amdhsa_float_round_mode_32 0
		.amdhsa_float_round_mode_16_64 0
		.amdhsa_float_denorm_mode_32 3
		.amdhsa_float_denorm_mode_16_64 3
		.amdhsa_dx10_clamp 1
		.amdhsa_ieee_mode 1
		.amdhsa_fp16_overflow 0
		.amdhsa_tg_split 0
		.amdhsa_exception_fp_ieee_invalid_op 0
		.amdhsa_exception_fp_denorm_src 0
		.amdhsa_exception_fp_ieee_div_zero 0
		.amdhsa_exception_fp_ieee_overflow 0
		.amdhsa_exception_fp_ieee_underflow 0
		.amdhsa_exception_fp_ieee_inexact 0
		.amdhsa_exception_int_div_zero 0
	.end_amdhsa_kernel
	.section	.text._ZN7rocprim17ROCPRIM_400000_NS6detail17trampoline_kernelINS0_13kernel_configILj256ELj4ELj4294967295EEENS1_37radix_sort_block_sort_config_selectorIdNS0_10empty_typeEEEZNS1_21radix_sort_block_sortIS4_Lb1EPdS9_PS6_SA_NS0_19identity_decomposerEEE10hipError_tT1_T2_T3_T4_jRjT5_jjP12ihipStream_tbEUlT_E_NS1_11comp_targetILNS1_3genE4ELNS1_11target_archE910ELNS1_3gpuE8ELNS1_3repE0EEENS1_44radix_sort_block_sort_config_static_selectorELNS0_4arch9wavefront6targetE1EEEvSD_,"axG",@progbits,_ZN7rocprim17ROCPRIM_400000_NS6detail17trampoline_kernelINS0_13kernel_configILj256ELj4ELj4294967295EEENS1_37radix_sort_block_sort_config_selectorIdNS0_10empty_typeEEEZNS1_21radix_sort_block_sortIS4_Lb1EPdS9_PS6_SA_NS0_19identity_decomposerEEE10hipError_tT1_T2_T3_T4_jRjT5_jjP12ihipStream_tbEUlT_E_NS1_11comp_targetILNS1_3genE4ELNS1_11target_archE910ELNS1_3gpuE8ELNS1_3repE0EEENS1_44radix_sort_block_sort_config_static_selectorELNS0_4arch9wavefront6targetE1EEEvSD_,comdat
.Lfunc_end2566:
	.size	_ZN7rocprim17ROCPRIM_400000_NS6detail17trampoline_kernelINS0_13kernel_configILj256ELj4ELj4294967295EEENS1_37radix_sort_block_sort_config_selectorIdNS0_10empty_typeEEEZNS1_21radix_sort_block_sortIS4_Lb1EPdS9_PS6_SA_NS0_19identity_decomposerEEE10hipError_tT1_T2_T3_T4_jRjT5_jjP12ihipStream_tbEUlT_E_NS1_11comp_targetILNS1_3genE4ELNS1_11target_archE910ELNS1_3gpuE8ELNS1_3repE0EEENS1_44radix_sort_block_sort_config_static_selectorELNS0_4arch9wavefront6targetE1EEEvSD_, .Lfunc_end2566-_ZN7rocprim17ROCPRIM_400000_NS6detail17trampoline_kernelINS0_13kernel_configILj256ELj4ELj4294967295EEENS1_37radix_sort_block_sort_config_selectorIdNS0_10empty_typeEEEZNS1_21radix_sort_block_sortIS4_Lb1EPdS9_PS6_SA_NS0_19identity_decomposerEEE10hipError_tT1_T2_T3_T4_jRjT5_jjP12ihipStream_tbEUlT_E_NS1_11comp_targetILNS1_3genE4ELNS1_11target_archE910ELNS1_3gpuE8ELNS1_3repE0EEENS1_44radix_sort_block_sort_config_static_selectorELNS0_4arch9wavefront6targetE1EEEvSD_
                                        ; -- End function
	.section	.AMDGPU.csdata,"",@progbits
; Kernel info:
; codeLenInByte = 3520
; NumSgprs: 50
; NumVgprs: 42
; NumAgprs: 0
; TotalNumVgprs: 42
; ScratchSize: 0
; MemoryBound: 1
; FloatMode: 240
; IeeeMode: 1
; LDSByteSize: 8192 bytes/workgroup (compile time only)
; SGPRBlocks: 6
; VGPRBlocks: 5
; NumSGPRsForWavesPerEU: 50
; NumVGPRsForWavesPerEU: 42
; AccumOffset: 44
; Occupancy: 8
; WaveLimiterHint : 1
; COMPUTE_PGM_RSRC2:SCRATCH_EN: 0
; COMPUTE_PGM_RSRC2:USER_SGPR: 6
; COMPUTE_PGM_RSRC2:TRAP_HANDLER: 0
; COMPUTE_PGM_RSRC2:TGID_X_EN: 1
; COMPUTE_PGM_RSRC2:TGID_Y_EN: 0
; COMPUTE_PGM_RSRC2:TGID_Z_EN: 0
; COMPUTE_PGM_RSRC2:TIDIG_COMP_CNT: 2
; COMPUTE_PGM_RSRC3_GFX90A:ACCUM_OFFSET: 10
; COMPUTE_PGM_RSRC3_GFX90A:TG_SPLIT: 0
	.section	.text._ZN7rocprim17ROCPRIM_400000_NS6detail17trampoline_kernelINS0_13kernel_configILj256ELj4ELj4294967295EEENS1_37radix_sort_block_sort_config_selectorIdNS0_10empty_typeEEEZNS1_21radix_sort_block_sortIS4_Lb1EPdS9_PS6_SA_NS0_19identity_decomposerEEE10hipError_tT1_T2_T3_T4_jRjT5_jjP12ihipStream_tbEUlT_E_NS1_11comp_targetILNS1_3genE3ELNS1_11target_archE908ELNS1_3gpuE7ELNS1_3repE0EEENS1_44radix_sort_block_sort_config_static_selectorELNS0_4arch9wavefront6targetE1EEEvSD_,"axG",@progbits,_ZN7rocprim17ROCPRIM_400000_NS6detail17trampoline_kernelINS0_13kernel_configILj256ELj4ELj4294967295EEENS1_37radix_sort_block_sort_config_selectorIdNS0_10empty_typeEEEZNS1_21radix_sort_block_sortIS4_Lb1EPdS9_PS6_SA_NS0_19identity_decomposerEEE10hipError_tT1_T2_T3_T4_jRjT5_jjP12ihipStream_tbEUlT_E_NS1_11comp_targetILNS1_3genE3ELNS1_11target_archE908ELNS1_3gpuE7ELNS1_3repE0EEENS1_44radix_sort_block_sort_config_static_selectorELNS0_4arch9wavefront6targetE1EEEvSD_,comdat
	.protected	_ZN7rocprim17ROCPRIM_400000_NS6detail17trampoline_kernelINS0_13kernel_configILj256ELj4ELj4294967295EEENS1_37radix_sort_block_sort_config_selectorIdNS0_10empty_typeEEEZNS1_21radix_sort_block_sortIS4_Lb1EPdS9_PS6_SA_NS0_19identity_decomposerEEE10hipError_tT1_T2_T3_T4_jRjT5_jjP12ihipStream_tbEUlT_E_NS1_11comp_targetILNS1_3genE3ELNS1_11target_archE908ELNS1_3gpuE7ELNS1_3repE0EEENS1_44radix_sort_block_sort_config_static_selectorELNS0_4arch9wavefront6targetE1EEEvSD_ ; -- Begin function _ZN7rocprim17ROCPRIM_400000_NS6detail17trampoline_kernelINS0_13kernel_configILj256ELj4ELj4294967295EEENS1_37radix_sort_block_sort_config_selectorIdNS0_10empty_typeEEEZNS1_21radix_sort_block_sortIS4_Lb1EPdS9_PS6_SA_NS0_19identity_decomposerEEE10hipError_tT1_T2_T3_T4_jRjT5_jjP12ihipStream_tbEUlT_E_NS1_11comp_targetILNS1_3genE3ELNS1_11target_archE908ELNS1_3gpuE7ELNS1_3repE0EEENS1_44radix_sort_block_sort_config_static_selectorELNS0_4arch9wavefront6targetE1EEEvSD_
	.globl	_ZN7rocprim17ROCPRIM_400000_NS6detail17trampoline_kernelINS0_13kernel_configILj256ELj4ELj4294967295EEENS1_37radix_sort_block_sort_config_selectorIdNS0_10empty_typeEEEZNS1_21radix_sort_block_sortIS4_Lb1EPdS9_PS6_SA_NS0_19identity_decomposerEEE10hipError_tT1_T2_T3_T4_jRjT5_jjP12ihipStream_tbEUlT_E_NS1_11comp_targetILNS1_3genE3ELNS1_11target_archE908ELNS1_3gpuE7ELNS1_3repE0EEENS1_44radix_sort_block_sort_config_static_selectorELNS0_4arch9wavefront6targetE1EEEvSD_
	.p2align	8
	.type	_ZN7rocprim17ROCPRIM_400000_NS6detail17trampoline_kernelINS0_13kernel_configILj256ELj4ELj4294967295EEENS1_37radix_sort_block_sort_config_selectorIdNS0_10empty_typeEEEZNS1_21radix_sort_block_sortIS4_Lb1EPdS9_PS6_SA_NS0_19identity_decomposerEEE10hipError_tT1_T2_T3_T4_jRjT5_jjP12ihipStream_tbEUlT_E_NS1_11comp_targetILNS1_3genE3ELNS1_11target_archE908ELNS1_3gpuE7ELNS1_3repE0EEENS1_44radix_sort_block_sort_config_static_selectorELNS0_4arch9wavefront6targetE1EEEvSD_,@function
_ZN7rocprim17ROCPRIM_400000_NS6detail17trampoline_kernelINS0_13kernel_configILj256ELj4ELj4294967295EEENS1_37radix_sort_block_sort_config_selectorIdNS0_10empty_typeEEEZNS1_21radix_sort_block_sortIS4_Lb1EPdS9_PS6_SA_NS0_19identity_decomposerEEE10hipError_tT1_T2_T3_T4_jRjT5_jjP12ihipStream_tbEUlT_E_NS1_11comp_targetILNS1_3genE3ELNS1_11target_archE908ELNS1_3gpuE7ELNS1_3repE0EEENS1_44radix_sort_block_sort_config_static_selectorELNS0_4arch9wavefront6targetE1EEEvSD_: ; @_ZN7rocprim17ROCPRIM_400000_NS6detail17trampoline_kernelINS0_13kernel_configILj256ELj4ELj4294967295EEENS1_37radix_sort_block_sort_config_selectorIdNS0_10empty_typeEEEZNS1_21radix_sort_block_sortIS4_Lb1EPdS9_PS6_SA_NS0_19identity_decomposerEEE10hipError_tT1_T2_T3_T4_jRjT5_jjP12ihipStream_tbEUlT_E_NS1_11comp_targetILNS1_3genE3ELNS1_11target_archE908ELNS1_3gpuE7ELNS1_3repE0EEENS1_44radix_sort_block_sort_config_static_selectorELNS0_4arch9wavefront6targetE1EEEvSD_
; %bb.0:
	.section	.rodata,"a",@progbits
	.p2align	6, 0x0
	.amdhsa_kernel _ZN7rocprim17ROCPRIM_400000_NS6detail17trampoline_kernelINS0_13kernel_configILj256ELj4ELj4294967295EEENS1_37radix_sort_block_sort_config_selectorIdNS0_10empty_typeEEEZNS1_21radix_sort_block_sortIS4_Lb1EPdS9_PS6_SA_NS0_19identity_decomposerEEE10hipError_tT1_T2_T3_T4_jRjT5_jjP12ihipStream_tbEUlT_E_NS1_11comp_targetILNS1_3genE3ELNS1_11target_archE908ELNS1_3gpuE7ELNS1_3repE0EEENS1_44radix_sort_block_sort_config_static_selectorELNS0_4arch9wavefront6targetE1EEEvSD_
		.amdhsa_group_segment_fixed_size 0
		.amdhsa_private_segment_fixed_size 0
		.amdhsa_kernarg_size 48
		.amdhsa_user_sgpr_count 6
		.amdhsa_user_sgpr_private_segment_buffer 1
		.amdhsa_user_sgpr_dispatch_ptr 0
		.amdhsa_user_sgpr_queue_ptr 0
		.amdhsa_user_sgpr_kernarg_segment_ptr 1
		.amdhsa_user_sgpr_dispatch_id 0
		.amdhsa_user_sgpr_flat_scratch_init 0
		.amdhsa_user_sgpr_kernarg_preload_length 0
		.amdhsa_user_sgpr_kernarg_preload_offset 0
		.amdhsa_user_sgpr_private_segment_size 0
		.amdhsa_uses_dynamic_stack 0
		.amdhsa_system_sgpr_private_segment_wavefront_offset 0
		.amdhsa_system_sgpr_workgroup_id_x 1
		.amdhsa_system_sgpr_workgroup_id_y 0
		.amdhsa_system_sgpr_workgroup_id_z 0
		.amdhsa_system_sgpr_workgroup_info 0
		.amdhsa_system_vgpr_workitem_id 0
		.amdhsa_next_free_vgpr 1
		.amdhsa_next_free_sgpr 0
		.amdhsa_accum_offset 4
		.amdhsa_reserve_vcc 0
		.amdhsa_reserve_flat_scratch 0
		.amdhsa_float_round_mode_32 0
		.amdhsa_float_round_mode_16_64 0
		.amdhsa_float_denorm_mode_32 3
		.amdhsa_float_denorm_mode_16_64 3
		.amdhsa_dx10_clamp 1
		.amdhsa_ieee_mode 1
		.amdhsa_fp16_overflow 0
		.amdhsa_tg_split 0
		.amdhsa_exception_fp_ieee_invalid_op 0
		.amdhsa_exception_fp_denorm_src 0
		.amdhsa_exception_fp_ieee_div_zero 0
		.amdhsa_exception_fp_ieee_overflow 0
		.amdhsa_exception_fp_ieee_underflow 0
		.amdhsa_exception_fp_ieee_inexact 0
		.amdhsa_exception_int_div_zero 0
	.end_amdhsa_kernel
	.section	.text._ZN7rocprim17ROCPRIM_400000_NS6detail17trampoline_kernelINS0_13kernel_configILj256ELj4ELj4294967295EEENS1_37radix_sort_block_sort_config_selectorIdNS0_10empty_typeEEEZNS1_21radix_sort_block_sortIS4_Lb1EPdS9_PS6_SA_NS0_19identity_decomposerEEE10hipError_tT1_T2_T3_T4_jRjT5_jjP12ihipStream_tbEUlT_E_NS1_11comp_targetILNS1_3genE3ELNS1_11target_archE908ELNS1_3gpuE7ELNS1_3repE0EEENS1_44radix_sort_block_sort_config_static_selectorELNS0_4arch9wavefront6targetE1EEEvSD_,"axG",@progbits,_ZN7rocprim17ROCPRIM_400000_NS6detail17trampoline_kernelINS0_13kernel_configILj256ELj4ELj4294967295EEENS1_37radix_sort_block_sort_config_selectorIdNS0_10empty_typeEEEZNS1_21radix_sort_block_sortIS4_Lb1EPdS9_PS6_SA_NS0_19identity_decomposerEEE10hipError_tT1_T2_T3_T4_jRjT5_jjP12ihipStream_tbEUlT_E_NS1_11comp_targetILNS1_3genE3ELNS1_11target_archE908ELNS1_3gpuE7ELNS1_3repE0EEENS1_44radix_sort_block_sort_config_static_selectorELNS0_4arch9wavefront6targetE1EEEvSD_,comdat
.Lfunc_end2567:
	.size	_ZN7rocprim17ROCPRIM_400000_NS6detail17trampoline_kernelINS0_13kernel_configILj256ELj4ELj4294967295EEENS1_37radix_sort_block_sort_config_selectorIdNS0_10empty_typeEEEZNS1_21radix_sort_block_sortIS4_Lb1EPdS9_PS6_SA_NS0_19identity_decomposerEEE10hipError_tT1_T2_T3_T4_jRjT5_jjP12ihipStream_tbEUlT_E_NS1_11comp_targetILNS1_3genE3ELNS1_11target_archE908ELNS1_3gpuE7ELNS1_3repE0EEENS1_44radix_sort_block_sort_config_static_selectorELNS0_4arch9wavefront6targetE1EEEvSD_, .Lfunc_end2567-_ZN7rocprim17ROCPRIM_400000_NS6detail17trampoline_kernelINS0_13kernel_configILj256ELj4ELj4294967295EEENS1_37radix_sort_block_sort_config_selectorIdNS0_10empty_typeEEEZNS1_21radix_sort_block_sortIS4_Lb1EPdS9_PS6_SA_NS0_19identity_decomposerEEE10hipError_tT1_T2_T3_T4_jRjT5_jjP12ihipStream_tbEUlT_E_NS1_11comp_targetILNS1_3genE3ELNS1_11target_archE908ELNS1_3gpuE7ELNS1_3repE0EEENS1_44radix_sort_block_sort_config_static_selectorELNS0_4arch9wavefront6targetE1EEEvSD_
                                        ; -- End function
	.section	.AMDGPU.csdata,"",@progbits
; Kernel info:
; codeLenInByte = 0
; NumSgprs: 4
; NumVgprs: 0
; NumAgprs: 0
; TotalNumVgprs: 0
; ScratchSize: 0
; MemoryBound: 0
; FloatMode: 240
; IeeeMode: 1
; LDSByteSize: 0 bytes/workgroup (compile time only)
; SGPRBlocks: 0
; VGPRBlocks: 0
; NumSGPRsForWavesPerEU: 4
; NumVGPRsForWavesPerEU: 1
; AccumOffset: 4
; Occupancy: 8
; WaveLimiterHint : 0
; COMPUTE_PGM_RSRC2:SCRATCH_EN: 0
; COMPUTE_PGM_RSRC2:USER_SGPR: 6
; COMPUTE_PGM_RSRC2:TRAP_HANDLER: 0
; COMPUTE_PGM_RSRC2:TGID_X_EN: 1
; COMPUTE_PGM_RSRC2:TGID_Y_EN: 0
; COMPUTE_PGM_RSRC2:TGID_Z_EN: 0
; COMPUTE_PGM_RSRC2:TIDIG_COMP_CNT: 0
; COMPUTE_PGM_RSRC3_GFX90A:ACCUM_OFFSET: 0
; COMPUTE_PGM_RSRC3_GFX90A:TG_SPLIT: 0
	.section	.text._ZN7rocprim17ROCPRIM_400000_NS6detail17trampoline_kernelINS0_13kernel_configILj256ELj4ELj4294967295EEENS1_37radix_sort_block_sort_config_selectorIdNS0_10empty_typeEEEZNS1_21radix_sort_block_sortIS4_Lb1EPdS9_PS6_SA_NS0_19identity_decomposerEEE10hipError_tT1_T2_T3_T4_jRjT5_jjP12ihipStream_tbEUlT_E_NS1_11comp_targetILNS1_3genE2ELNS1_11target_archE906ELNS1_3gpuE6ELNS1_3repE0EEENS1_44radix_sort_block_sort_config_static_selectorELNS0_4arch9wavefront6targetE1EEEvSD_,"axG",@progbits,_ZN7rocprim17ROCPRIM_400000_NS6detail17trampoline_kernelINS0_13kernel_configILj256ELj4ELj4294967295EEENS1_37radix_sort_block_sort_config_selectorIdNS0_10empty_typeEEEZNS1_21radix_sort_block_sortIS4_Lb1EPdS9_PS6_SA_NS0_19identity_decomposerEEE10hipError_tT1_T2_T3_T4_jRjT5_jjP12ihipStream_tbEUlT_E_NS1_11comp_targetILNS1_3genE2ELNS1_11target_archE906ELNS1_3gpuE6ELNS1_3repE0EEENS1_44radix_sort_block_sort_config_static_selectorELNS0_4arch9wavefront6targetE1EEEvSD_,comdat
	.protected	_ZN7rocprim17ROCPRIM_400000_NS6detail17trampoline_kernelINS0_13kernel_configILj256ELj4ELj4294967295EEENS1_37radix_sort_block_sort_config_selectorIdNS0_10empty_typeEEEZNS1_21radix_sort_block_sortIS4_Lb1EPdS9_PS6_SA_NS0_19identity_decomposerEEE10hipError_tT1_T2_T3_T4_jRjT5_jjP12ihipStream_tbEUlT_E_NS1_11comp_targetILNS1_3genE2ELNS1_11target_archE906ELNS1_3gpuE6ELNS1_3repE0EEENS1_44radix_sort_block_sort_config_static_selectorELNS0_4arch9wavefront6targetE1EEEvSD_ ; -- Begin function _ZN7rocprim17ROCPRIM_400000_NS6detail17trampoline_kernelINS0_13kernel_configILj256ELj4ELj4294967295EEENS1_37radix_sort_block_sort_config_selectorIdNS0_10empty_typeEEEZNS1_21radix_sort_block_sortIS4_Lb1EPdS9_PS6_SA_NS0_19identity_decomposerEEE10hipError_tT1_T2_T3_T4_jRjT5_jjP12ihipStream_tbEUlT_E_NS1_11comp_targetILNS1_3genE2ELNS1_11target_archE906ELNS1_3gpuE6ELNS1_3repE0EEENS1_44radix_sort_block_sort_config_static_selectorELNS0_4arch9wavefront6targetE1EEEvSD_
	.globl	_ZN7rocprim17ROCPRIM_400000_NS6detail17trampoline_kernelINS0_13kernel_configILj256ELj4ELj4294967295EEENS1_37radix_sort_block_sort_config_selectorIdNS0_10empty_typeEEEZNS1_21radix_sort_block_sortIS4_Lb1EPdS9_PS6_SA_NS0_19identity_decomposerEEE10hipError_tT1_T2_T3_T4_jRjT5_jjP12ihipStream_tbEUlT_E_NS1_11comp_targetILNS1_3genE2ELNS1_11target_archE906ELNS1_3gpuE6ELNS1_3repE0EEENS1_44radix_sort_block_sort_config_static_selectorELNS0_4arch9wavefront6targetE1EEEvSD_
	.p2align	8
	.type	_ZN7rocprim17ROCPRIM_400000_NS6detail17trampoline_kernelINS0_13kernel_configILj256ELj4ELj4294967295EEENS1_37radix_sort_block_sort_config_selectorIdNS0_10empty_typeEEEZNS1_21radix_sort_block_sortIS4_Lb1EPdS9_PS6_SA_NS0_19identity_decomposerEEE10hipError_tT1_T2_T3_T4_jRjT5_jjP12ihipStream_tbEUlT_E_NS1_11comp_targetILNS1_3genE2ELNS1_11target_archE906ELNS1_3gpuE6ELNS1_3repE0EEENS1_44radix_sort_block_sort_config_static_selectorELNS0_4arch9wavefront6targetE1EEEvSD_,@function
_ZN7rocprim17ROCPRIM_400000_NS6detail17trampoline_kernelINS0_13kernel_configILj256ELj4ELj4294967295EEENS1_37radix_sort_block_sort_config_selectorIdNS0_10empty_typeEEEZNS1_21radix_sort_block_sortIS4_Lb1EPdS9_PS6_SA_NS0_19identity_decomposerEEE10hipError_tT1_T2_T3_T4_jRjT5_jjP12ihipStream_tbEUlT_E_NS1_11comp_targetILNS1_3genE2ELNS1_11target_archE906ELNS1_3gpuE6ELNS1_3repE0EEENS1_44radix_sort_block_sort_config_static_selectorELNS0_4arch9wavefront6targetE1EEEvSD_: ; @_ZN7rocprim17ROCPRIM_400000_NS6detail17trampoline_kernelINS0_13kernel_configILj256ELj4ELj4294967295EEENS1_37radix_sort_block_sort_config_selectorIdNS0_10empty_typeEEEZNS1_21radix_sort_block_sortIS4_Lb1EPdS9_PS6_SA_NS0_19identity_decomposerEEE10hipError_tT1_T2_T3_T4_jRjT5_jjP12ihipStream_tbEUlT_E_NS1_11comp_targetILNS1_3genE2ELNS1_11target_archE906ELNS1_3gpuE6ELNS1_3repE0EEENS1_44radix_sort_block_sort_config_static_selectorELNS0_4arch9wavefront6targetE1EEEvSD_
; %bb.0:
	.section	.rodata,"a",@progbits
	.p2align	6, 0x0
	.amdhsa_kernel _ZN7rocprim17ROCPRIM_400000_NS6detail17trampoline_kernelINS0_13kernel_configILj256ELj4ELj4294967295EEENS1_37radix_sort_block_sort_config_selectorIdNS0_10empty_typeEEEZNS1_21radix_sort_block_sortIS4_Lb1EPdS9_PS6_SA_NS0_19identity_decomposerEEE10hipError_tT1_T2_T3_T4_jRjT5_jjP12ihipStream_tbEUlT_E_NS1_11comp_targetILNS1_3genE2ELNS1_11target_archE906ELNS1_3gpuE6ELNS1_3repE0EEENS1_44radix_sort_block_sort_config_static_selectorELNS0_4arch9wavefront6targetE1EEEvSD_
		.amdhsa_group_segment_fixed_size 0
		.amdhsa_private_segment_fixed_size 0
		.amdhsa_kernarg_size 48
		.amdhsa_user_sgpr_count 6
		.amdhsa_user_sgpr_private_segment_buffer 1
		.amdhsa_user_sgpr_dispatch_ptr 0
		.amdhsa_user_sgpr_queue_ptr 0
		.amdhsa_user_sgpr_kernarg_segment_ptr 1
		.amdhsa_user_sgpr_dispatch_id 0
		.amdhsa_user_sgpr_flat_scratch_init 0
		.amdhsa_user_sgpr_kernarg_preload_length 0
		.amdhsa_user_sgpr_kernarg_preload_offset 0
		.amdhsa_user_sgpr_private_segment_size 0
		.amdhsa_uses_dynamic_stack 0
		.amdhsa_system_sgpr_private_segment_wavefront_offset 0
		.amdhsa_system_sgpr_workgroup_id_x 1
		.amdhsa_system_sgpr_workgroup_id_y 0
		.amdhsa_system_sgpr_workgroup_id_z 0
		.amdhsa_system_sgpr_workgroup_info 0
		.amdhsa_system_vgpr_workitem_id 0
		.amdhsa_next_free_vgpr 1
		.amdhsa_next_free_sgpr 0
		.amdhsa_accum_offset 4
		.amdhsa_reserve_vcc 0
		.amdhsa_reserve_flat_scratch 0
		.amdhsa_float_round_mode_32 0
		.amdhsa_float_round_mode_16_64 0
		.amdhsa_float_denorm_mode_32 3
		.amdhsa_float_denorm_mode_16_64 3
		.amdhsa_dx10_clamp 1
		.amdhsa_ieee_mode 1
		.amdhsa_fp16_overflow 0
		.amdhsa_tg_split 0
		.amdhsa_exception_fp_ieee_invalid_op 0
		.amdhsa_exception_fp_denorm_src 0
		.amdhsa_exception_fp_ieee_div_zero 0
		.amdhsa_exception_fp_ieee_overflow 0
		.amdhsa_exception_fp_ieee_underflow 0
		.amdhsa_exception_fp_ieee_inexact 0
		.amdhsa_exception_int_div_zero 0
	.end_amdhsa_kernel
	.section	.text._ZN7rocprim17ROCPRIM_400000_NS6detail17trampoline_kernelINS0_13kernel_configILj256ELj4ELj4294967295EEENS1_37radix_sort_block_sort_config_selectorIdNS0_10empty_typeEEEZNS1_21radix_sort_block_sortIS4_Lb1EPdS9_PS6_SA_NS0_19identity_decomposerEEE10hipError_tT1_T2_T3_T4_jRjT5_jjP12ihipStream_tbEUlT_E_NS1_11comp_targetILNS1_3genE2ELNS1_11target_archE906ELNS1_3gpuE6ELNS1_3repE0EEENS1_44radix_sort_block_sort_config_static_selectorELNS0_4arch9wavefront6targetE1EEEvSD_,"axG",@progbits,_ZN7rocprim17ROCPRIM_400000_NS6detail17trampoline_kernelINS0_13kernel_configILj256ELj4ELj4294967295EEENS1_37radix_sort_block_sort_config_selectorIdNS0_10empty_typeEEEZNS1_21radix_sort_block_sortIS4_Lb1EPdS9_PS6_SA_NS0_19identity_decomposerEEE10hipError_tT1_T2_T3_T4_jRjT5_jjP12ihipStream_tbEUlT_E_NS1_11comp_targetILNS1_3genE2ELNS1_11target_archE906ELNS1_3gpuE6ELNS1_3repE0EEENS1_44radix_sort_block_sort_config_static_selectorELNS0_4arch9wavefront6targetE1EEEvSD_,comdat
.Lfunc_end2568:
	.size	_ZN7rocprim17ROCPRIM_400000_NS6detail17trampoline_kernelINS0_13kernel_configILj256ELj4ELj4294967295EEENS1_37radix_sort_block_sort_config_selectorIdNS0_10empty_typeEEEZNS1_21radix_sort_block_sortIS4_Lb1EPdS9_PS6_SA_NS0_19identity_decomposerEEE10hipError_tT1_T2_T3_T4_jRjT5_jjP12ihipStream_tbEUlT_E_NS1_11comp_targetILNS1_3genE2ELNS1_11target_archE906ELNS1_3gpuE6ELNS1_3repE0EEENS1_44radix_sort_block_sort_config_static_selectorELNS0_4arch9wavefront6targetE1EEEvSD_, .Lfunc_end2568-_ZN7rocprim17ROCPRIM_400000_NS6detail17trampoline_kernelINS0_13kernel_configILj256ELj4ELj4294967295EEENS1_37radix_sort_block_sort_config_selectorIdNS0_10empty_typeEEEZNS1_21radix_sort_block_sortIS4_Lb1EPdS9_PS6_SA_NS0_19identity_decomposerEEE10hipError_tT1_T2_T3_T4_jRjT5_jjP12ihipStream_tbEUlT_E_NS1_11comp_targetILNS1_3genE2ELNS1_11target_archE906ELNS1_3gpuE6ELNS1_3repE0EEENS1_44radix_sort_block_sort_config_static_selectorELNS0_4arch9wavefront6targetE1EEEvSD_
                                        ; -- End function
	.section	.AMDGPU.csdata,"",@progbits
; Kernel info:
; codeLenInByte = 0
; NumSgprs: 4
; NumVgprs: 0
; NumAgprs: 0
; TotalNumVgprs: 0
; ScratchSize: 0
; MemoryBound: 0
; FloatMode: 240
; IeeeMode: 1
; LDSByteSize: 0 bytes/workgroup (compile time only)
; SGPRBlocks: 0
; VGPRBlocks: 0
; NumSGPRsForWavesPerEU: 4
; NumVGPRsForWavesPerEU: 1
; AccumOffset: 4
; Occupancy: 8
; WaveLimiterHint : 0
; COMPUTE_PGM_RSRC2:SCRATCH_EN: 0
; COMPUTE_PGM_RSRC2:USER_SGPR: 6
; COMPUTE_PGM_RSRC2:TRAP_HANDLER: 0
; COMPUTE_PGM_RSRC2:TGID_X_EN: 1
; COMPUTE_PGM_RSRC2:TGID_Y_EN: 0
; COMPUTE_PGM_RSRC2:TGID_Z_EN: 0
; COMPUTE_PGM_RSRC2:TIDIG_COMP_CNT: 0
; COMPUTE_PGM_RSRC3_GFX90A:ACCUM_OFFSET: 0
; COMPUTE_PGM_RSRC3_GFX90A:TG_SPLIT: 0
	.section	.text._ZN7rocprim17ROCPRIM_400000_NS6detail17trampoline_kernelINS0_13kernel_configILj256ELj4ELj4294967295EEENS1_37radix_sort_block_sort_config_selectorIdNS0_10empty_typeEEEZNS1_21radix_sort_block_sortIS4_Lb1EPdS9_PS6_SA_NS0_19identity_decomposerEEE10hipError_tT1_T2_T3_T4_jRjT5_jjP12ihipStream_tbEUlT_E_NS1_11comp_targetILNS1_3genE10ELNS1_11target_archE1201ELNS1_3gpuE5ELNS1_3repE0EEENS1_44radix_sort_block_sort_config_static_selectorELNS0_4arch9wavefront6targetE1EEEvSD_,"axG",@progbits,_ZN7rocprim17ROCPRIM_400000_NS6detail17trampoline_kernelINS0_13kernel_configILj256ELj4ELj4294967295EEENS1_37radix_sort_block_sort_config_selectorIdNS0_10empty_typeEEEZNS1_21radix_sort_block_sortIS4_Lb1EPdS9_PS6_SA_NS0_19identity_decomposerEEE10hipError_tT1_T2_T3_T4_jRjT5_jjP12ihipStream_tbEUlT_E_NS1_11comp_targetILNS1_3genE10ELNS1_11target_archE1201ELNS1_3gpuE5ELNS1_3repE0EEENS1_44radix_sort_block_sort_config_static_selectorELNS0_4arch9wavefront6targetE1EEEvSD_,comdat
	.protected	_ZN7rocprim17ROCPRIM_400000_NS6detail17trampoline_kernelINS0_13kernel_configILj256ELj4ELj4294967295EEENS1_37radix_sort_block_sort_config_selectorIdNS0_10empty_typeEEEZNS1_21radix_sort_block_sortIS4_Lb1EPdS9_PS6_SA_NS0_19identity_decomposerEEE10hipError_tT1_T2_T3_T4_jRjT5_jjP12ihipStream_tbEUlT_E_NS1_11comp_targetILNS1_3genE10ELNS1_11target_archE1201ELNS1_3gpuE5ELNS1_3repE0EEENS1_44radix_sort_block_sort_config_static_selectorELNS0_4arch9wavefront6targetE1EEEvSD_ ; -- Begin function _ZN7rocprim17ROCPRIM_400000_NS6detail17trampoline_kernelINS0_13kernel_configILj256ELj4ELj4294967295EEENS1_37radix_sort_block_sort_config_selectorIdNS0_10empty_typeEEEZNS1_21radix_sort_block_sortIS4_Lb1EPdS9_PS6_SA_NS0_19identity_decomposerEEE10hipError_tT1_T2_T3_T4_jRjT5_jjP12ihipStream_tbEUlT_E_NS1_11comp_targetILNS1_3genE10ELNS1_11target_archE1201ELNS1_3gpuE5ELNS1_3repE0EEENS1_44radix_sort_block_sort_config_static_selectorELNS0_4arch9wavefront6targetE1EEEvSD_
	.globl	_ZN7rocprim17ROCPRIM_400000_NS6detail17trampoline_kernelINS0_13kernel_configILj256ELj4ELj4294967295EEENS1_37radix_sort_block_sort_config_selectorIdNS0_10empty_typeEEEZNS1_21radix_sort_block_sortIS4_Lb1EPdS9_PS6_SA_NS0_19identity_decomposerEEE10hipError_tT1_T2_T3_T4_jRjT5_jjP12ihipStream_tbEUlT_E_NS1_11comp_targetILNS1_3genE10ELNS1_11target_archE1201ELNS1_3gpuE5ELNS1_3repE0EEENS1_44radix_sort_block_sort_config_static_selectorELNS0_4arch9wavefront6targetE1EEEvSD_
	.p2align	8
	.type	_ZN7rocprim17ROCPRIM_400000_NS6detail17trampoline_kernelINS0_13kernel_configILj256ELj4ELj4294967295EEENS1_37radix_sort_block_sort_config_selectorIdNS0_10empty_typeEEEZNS1_21radix_sort_block_sortIS4_Lb1EPdS9_PS6_SA_NS0_19identity_decomposerEEE10hipError_tT1_T2_T3_T4_jRjT5_jjP12ihipStream_tbEUlT_E_NS1_11comp_targetILNS1_3genE10ELNS1_11target_archE1201ELNS1_3gpuE5ELNS1_3repE0EEENS1_44radix_sort_block_sort_config_static_selectorELNS0_4arch9wavefront6targetE1EEEvSD_,@function
_ZN7rocprim17ROCPRIM_400000_NS6detail17trampoline_kernelINS0_13kernel_configILj256ELj4ELj4294967295EEENS1_37radix_sort_block_sort_config_selectorIdNS0_10empty_typeEEEZNS1_21radix_sort_block_sortIS4_Lb1EPdS9_PS6_SA_NS0_19identity_decomposerEEE10hipError_tT1_T2_T3_T4_jRjT5_jjP12ihipStream_tbEUlT_E_NS1_11comp_targetILNS1_3genE10ELNS1_11target_archE1201ELNS1_3gpuE5ELNS1_3repE0EEENS1_44radix_sort_block_sort_config_static_selectorELNS0_4arch9wavefront6targetE1EEEvSD_: ; @_ZN7rocprim17ROCPRIM_400000_NS6detail17trampoline_kernelINS0_13kernel_configILj256ELj4ELj4294967295EEENS1_37radix_sort_block_sort_config_selectorIdNS0_10empty_typeEEEZNS1_21radix_sort_block_sortIS4_Lb1EPdS9_PS6_SA_NS0_19identity_decomposerEEE10hipError_tT1_T2_T3_T4_jRjT5_jjP12ihipStream_tbEUlT_E_NS1_11comp_targetILNS1_3genE10ELNS1_11target_archE1201ELNS1_3gpuE5ELNS1_3repE0EEENS1_44radix_sort_block_sort_config_static_selectorELNS0_4arch9wavefront6targetE1EEEvSD_
; %bb.0:
	.section	.rodata,"a",@progbits
	.p2align	6, 0x0
	.amdhsa_kernel _ZN7rocprim17ROCPRIM_400000_NS6detail17trampoline_kernelINS0_13kernel_configILj256ELj4ELj4294967295EEENS1_37radix_sort_block_sort_config_selectorIdNS0_10empty_typeEEEZNS1_21radix_sort_block_sortIS4_Lb1EPdS9_PS6_SA_NS0_19identity_decomposerEEE10hipError_tT1_T2_T3_T4_jRjT5_jjP12ihipStream_tbEUlT_E_NS1_11comp_targetILNS1_3genE10ELNS1_11target_archE1201ELNS1_3gpuE5ELNS1_3repE0EEENS1_44radix_sort_block_sort_config_static_selectorELNS0_4arch9wavefront6targetE1EEEvSD_
		.amdhsa_group_segment_fixed_size 0
		.amdhsa_private_segment_fixed_size 0
		.amdhsa_kernarg_size 48
		.amdhsa_user_sgpr_count 6
		.amdhsa_user_sgpr_private_segment_buffer 1
		.amdhsa_user_sgpr_dispatch_ptr 0
		.amdhsa_user_sgpr_queue_ptr 0
		.amdhsa_user_sgpr_kernarg_segment_ptr 1
		.amdhsa_user_sgpr_dispatch_id 0
		.amdhsa_user_sgpr_flat_scratch_init 0
		.amdhsa_user_sgpr_kernarg_preload_length 0
		.amdhsa_user_sgpr_kernarg_preload_offset 0
		.amdhsa_user_sgpr_private_segment_size 0
		.amdhsa_uses_dynamic_stack 0
		.amdhsa_system_sgpr_private_segment_wavefront_offset 0
		.amdhsa_system_sgpr_workgroup_id_x 1
		.amdhsa_system_sgpr_workgroup_id_y 0
		.amdhsa_system_sgpr_workgroup_id_z 0
		.amdhsa_system_sgpr_workgroup_info 0
		.amdhsa_system_vgpr_workitem_id 0
		.amdhsa_next_free_vgpr 1
		.amdhsa_next_free_sgpr 0
		.amdhsa_accum_offset 4
		.amdhsa_reserve_vcc 0
		.amdhsa_reserve_flat_scratch 0
		.amdhsa_float_round_mode_32 0
		.amdhsa_float_round_mode_16_64 0
		.amdhsa_float_denorm_mode_32 3
		.amdhsa_float_denorm_mode_16_64 3
		.amdhsa_dx10_clamp 1
		.amdhsa_ieee_mode 1
		.amdhsa_fp16_overflow 0
		.amdhsa_tg_split 0
		.amdhsa_exception_fp_ieee_invalid_op 0
		.amdhsa_exception_fp_denorm_src 0
		.amdhsa_exception_fp_ieee_div_zero 0
		.amdhsa_exception_fp_ieee_overflow 0
		.amdhsa_exception_fp_ieee_underflow 0
		.amdhsa_exception_fp_ieee_inexact 0
		.amdhsa_exception_int_div_zero 0
	.end_amdhsa_kernel
	.section	.text._ZN7rocprim17ROCPRIM_400000_NS6detail17trampoline_kernelINS0_13kernel_configILj256ELj4ELj4294967295EEENS1_37radix_sort_block_sort_config_selectorIdNS0_10empty_typeEEEZNS1_21radix_sort_block_sortIS4_Lb1EPdS9_PS6_SA_NS0_19identity_decomposerEEE10hipError_tT1_T2_T3_T4_jRjT5_jjP12ihipStream_tbEUlT_E_NS1_11comp_targetILNS1_3genE10ELNS1_11target_archE1201ELNS1_3gpuE5ELNS1_3repE0EEENS1_44radix_sort_block_sort_config_static_selectorELNS0_4arch9wavefront6targetE1EEEvSD_,"axG",@progbits,_ZN7rocprim17ROCPRIM_400000_NS6detail17trampoline_kernelINS0_13kernel_configILj256ELj4ELj4294967295EEENS1_37radix_sort_block_sort_config_selectorIdNS0_10empty_typeEEEZNS1_21radix_sort_block_sortIS4_Lb1EPdS9_PS6_SA_NS0_19identity_decomposerEEE10hipError_tT1_T2_T3_T4_jRjT5_jjP12ihipStream_tbEUlT_E_NS1_11comp_targetILNS1_3genE10ELNS1_11target_archE1201ELNS1_3gpuE5ELNS1_3repE0EEENS1_44radix_sort_block_sort_config_static_selectorELNS0_4arch9wavefront6targetE1EEEvSD_,comdat
.Lfunc_end2569:
	.size	_ZN7rocprim17ROCPRIM_400000_NS6detail17trampoline_kernelINS0_13kernel_configILj256ELj4ELj4294967295EEENS1_37radix_sort_block_sort_config_selectorIdNS0_10empty_typeEEEZNS1_21radix_sort_block_sortIS4_Lb1EPdS9_PS6_SA_NS0_19identity_decomposerEEE10hipError_tT1_T2_T3_T4_jRjT5_jjP12ihipStream_tbEUlT_E_NS1_11comp_targetILNS1_3genE10ELNS1_11target_archE1201ELNS1_3gpuE5ELNS1_3repE0EEENS1_44radix_sort_block_sort_config_static_selectorELNS0_4arch9wavefront6targetE1EEEvSD_, .Lfunc_end2569-_ZN7rocprim17ROCPRIM_400000_NS6detail17trampoline_kernelINS0_13kernel_configILj256ELj4ELj4294967295EEENS1_37radix_sort_block_sort_config_selectorIdNS0_10empty_typeEEEZNS1_21radix_sort_block_sortIS4_Lb1EPdS9_PS6_SA_NS0_19identity_decomposerEEE10hipError_tT1_T2_T3_T4_jRjT5_jjP12ihipStream_tbEUlT_E_NS1_11comp_targetILNS1_3genE10ELNS1_11target_archE1201ELNS1_3gpuE5ELNS1_3repE0EEENS1_44radix_sort_block_sort_config_static_selectorELNS0_4arch9wavefront6targetE1EEEvSD_
                                        ; -- End function
	.section	.AMDGPU.csdata,"",@progbits
; Kernel info:
; codeLenInByte = 0
; NumSgprs: 4
; NumVgprs: 0
; NumAgprs: 0
; TotalNumVgprs: 0
; ScratchSize: 0
; MemoryBound: 0
; FloatMode: 240
; IeeeMode: 1
; LDSByteSize: 0 bytes/workgroup (compile time only)
; SGPRBlocks: 0
; VGPRBlocks: 0
; NumSGPRsForWavesPerEU: 4
; NumVGPRsForWavesPerEU: 1
; AccumOffset: 4
; Occupancy: 8
; WaveLimiterHint : 0
; COMPUTE_PGM_RSRC2:SCRATCH_EN: 0
; COMPUTE_PGM_RSRC2:USER_SGPR: 6
; COMPUTE_PGM_RSRC2:TRAP_HANDLER: 0
; COMPUTE_PGM_RSRC2:TGID_X_EN: 1
; COMPUTE_PGM_RSRC2:TGID_Y_EN: 0
; COMPUTE_PGM_RSRC2:TGID_Z_EN: 0
; COMPUTE_PGM_RSRC2:TIDIG_COMP_CNT: 0
; COMPUTE_PGM_RSRC3_GFX90A:ACCUM_OFFSET: 0
; COMPUTE_PGM_RSRC3_GFX90A:TG_SPLIT: 0
	.section	.text._ZN7rocprim17ROCPRIM_400000_NS6detail17trampoline_kernelINS0_13kernel_configILj256ELj4ELj4294967295EEENS1_37radix_sort_block_sort_config_selectorIdNS0_10empty_typeEEEZNS1_21radix_sort_block_sortIS4_Lb1EPdS9_PS6_SA_NS0_19identity_decomposerEEE10hipError_tT1_T2_T3_T4_jRjT5_jjP12ihipStream_tbEUlT_E_NS1_11comp_targetILNS1_3genE10ELNS1_11target_archE1200ELNS1_3gpuE4ELNS1_3repE0EEENS1_44radix_sort_block_sort_config_static_selectorELNS0_4arch9wavefront6targetE1EEEvSD_,"axG",@progbits,_ZN7rocprim17ROCPRIM_400000_NS6detail17trampoline_kernelINS0_13kernel_configILj256ELj4ELj4294967295EEENS1_37radix_sort_block_sort_config_selectorIdNS0_10empty_typeEEEZNS1_21radix_sort_block_sortIS4_Lb1EPdS9_PS6_SA_NS0_19identity_decomposerEEE10hipError_tT1_T2_T3_T4_jRjT5_jjP12ihipStream_tbEUlT_E_NS1_11comp_targetILNS1_3genE10ELNS1_11target_archE1200ELNS1_3gpuE4ELNS1_3repE0EEENS1_44radix_sort_block_sort_config_static_selectorELNS0_4arch9wavefront6targetE1EEEvSD_,comdat
	.protected	_ZN7rocprim17ROCPRIM_400000_NS6detail17trampoline_kernelINS0_13kernel_configILj256ELj4ELj4294967295EEENS1_37radix_sort_block_sort_config_selectorIdNS0_10empty_typeEEEZNS1_21radix_sort_block_sortIS4_Lb1EPdS9_PS6_SA_NS0_19identity_decomposerEEE10hipError_tT1_T2_T3_T4_jRjT5_jjP12ihipStream_tbEUlT_E_NS1_11comp_targetILNS1_3genE10ELNS1_11target_archE1200ELNS1_3gpuE4ELNS1_3repE0EEENS1_44radix_sort_block_sort_config_static_selectorELNS0_4arch9wavefront6targetE1EEEvSD_ ; -- Begin function _ZN7rocprim17ROCPRIM_400000_NS6detail17trampoline_kernelINS0_13kernel_configILj256ELj4ELj4294967295EEENS1_37radix_sort_block_sort_config_selectorIdNS0_10empty_typeEEEZNS1_21radix_sort_block_sortIS4_Lb1EPdS9_PS6_SA_NS0_19identity_decomposerEEE10hipError_tT1_T2_T3_T4_jRjT5_jjP12ihipStream_tbEUlT_E_NS1_11comp_targetILNS1_3genE10ELNS1_11target_archE1200ELNS1_3gpuE4ELNS1_3repE0EEENS1_44radix_sort_block_sort_config_static_selectorELNS0_4arch9wavefront6targetE1EEEvSD_
	.globl	_ZN7rocprim17ROCPRIM_400000_NS6detail17trampoline_kernelINS0_13kernel_configILj256ELj4ELj4294967295EEENS1_37radix_sort_block_sort_config_selectorIdNS0_10empty_typeEEEZNS1_21radix_sort_block_sortIS4_Lb1EPdS9_PS6_SA_NS0_19identity_decomposerEEE10hipError_tT1_T2_T3_T4_jRjT5_jjP12ihipStream_tbEUlT_E_NS1_11comp_targetILNS1_3genE10ELNS1_11target_archE1200ELNS1_3gpuE4ELNS1_3repE0EEENS1_44radix_sort_block_sort_config_static_selectorELNS0_4arch9wavefront6targetE1EEEvSD_
	.p2align	8
	.type	_ZN7rocprim17ROCPRIM_400000_NS6detail17trampoline_kernelINS0_13kernel_configILj256ELj4ELj4294967295EEENS1_37radix_sort_block_sort_config_selectorIdNS0_10empty_typeEEEZNS1_21radix_sort_block_sortIS4_Lb1EPdS9_PS6_SA_NS0_19identity_decomposerEEE10hipError_tT1_T2_T3_T4_jRjT5_jjP12ihipStream_tbEUlT_E_NS1_11comp_targetILNS1_3genE10ELNS1_11target_archE1200ELNS1_3gpuE4ELNS1_3repE0EEENS1_44radix_sort_block_sort_config_static_selectorELNS0_4arch9wavefront6targetE1EEEvSD_,@function
_ZN7rocprim17ROCPRIM_400000_NS6detail17trampoline_kernelINS0_13kernel_configILj256ELj4ELj4294967295EEENS1_37radix_sort_block_sort_config_selectorIdNS0_10empty_typeEEEZNS1_21radix_sort_block_sortIS4_Lb1EPdS9_PS6_SA_NS0_19identity_decomposerEEE10hipError_tT1_T2_T3_T4_jRjT5_jjP12ihipStream_tbEUlT_E_NS1_11comp_targetILNS1_3genE10ELNS1_11target_archE1200ELNS1_3gpuE4ELNS1_3repE0EEENS1_44radix_sort_block_sort_config_static_selectorELNS0_4arch9wavefront6targetE1EEEvSD_: ; @_ZN7rocprim17ROCPRIM_400000_NS6detail17trampoline_kernelINS0_13kernel_configILj256ELj4ELj4294967295EEENS1_37radix_sort_block_sort_config_selectorIdNS0_10empty_typeEEEZNS1_21radix_sort_block_sortIS4_Lb1EPdS9_PS6_SA_NS0_19identity_decomposerEEE10hipError_tT1_T2_T3_T4_jRjT5_jjP12ihipStream_tbEUlT_E_NS1_11comp_targetILNS1_3genE10ELNS1_11target_archE1200ELNS1_3gpuE4ELNS1_3repE0EEENS1_44radix_sort_block_sort_config_static_selectorELNS0_4arch9wavefront6targetE1EEEvSD_
; %bb.0:
	.section	.rodata,"a",@progbits
	.p2align	6, 0x0
	.amdhsa_kernel _ZN7rocprim17ROCPRIM_400000_NS6detail17trampoline_kernelINS0_13kernel_configILj256ELj4ELj4294967295EEENS1_37radix_sort_block_sort_config_selectorIdNS0_10empty_typeEEEZNS1_21radix_sort_block_sortIS4_Lb1EPdS9_PS6_SA_NS0_19identity_decomposerEEE10hipError_tT1_T2_T3_T4_jRjT5_jjP12ihipStream_tbEUlT_E_NS1_11comp_targetILNS1_3genE10ELNS1_11target_archE1200ELNS1_3gpuE4ELNS1_3repE0EEENS1_44radix_sort_block_sort_config_static_selectorELNS0_4arch9wavefront6targetE1EEEvSD_
		.amdhsa_group_segment_fixed_size 0
		.amdhsa_private_segment_fixed_size 0
		.amdhsa_kernarg_size 48
		.amdhsa_user_sgpr_count 6
		.amdhsa_user_sgpr_private_segment_buffer 1
		.amdhsa_user_sgpr_dispatch_ptr 0
		.amdhsa_user_sgpr_queue_ptr 0
		.amdhsa_user_sgpr_kernarg_segment_ptr 1
		.amdhsa_user_sgpr_dispatch_id 0
		.amdhsa_user_sgpr_flat_scratch_init 0
		.amdhsa_user_sgpr_kernarg_preload_length 0
		.amdhsa_user_sgpr_kernarg_preload_offset 0
		.amdhsa_user_sgpr_private_segment_size 0
		.amdhsa_uses_dynamic_stack 0
		.amdhsa_system_sgpr_private_segment_wavefront_offset 0
		.amdhsa_system_sgpr_workgroup_id_x 1
		.amdhsa_system_sgpr_workgroup_id_y 0
		.amdhsa_system_sgpr_workgroup_id_z 0
		.amdhsa_system_sgpr_workgroup_info 0
		.amdhsa_system_vgpr_workitem_id 0
		.amdhsa_next_free_vgpr 1
		.amdhsa_next_free_sgpr 0
		.amdhsa_accum_offset 4
		.amdhsa_reserve_vcc 0
		.amdhsa_reserve_flat_scratch 0
		.amdhsa_float_round_mode_32 0
		.amdhsa_float_round_mode_16_64 0
		.amdhsa_float_denorm_mode_32 3
		.amdhsa_float_denorm_mode_16_64 3
		.amdhsa_dx10_clamp 1
		.amdhsa_ieee_mode 1
		.amdhsa_fp16_overflow 0
		.amdhsa_tg_split 0
		.amdhsa_exception_fp_ieee_invalid_op 0
		.amdhsa_exception_fp_denorm_src 0
		.amdhsa_exception_fp_ieee_div_zero 0
		.amdhsa_exception_fp_ieee_overflow 0
		.amdhsa_exception_fp_ieee_underflow 0
		.amdhsa_exception_fp_ieee_inexact 0
		.amdhsa_exception_int_div_zero 0
	.end_amdhsa_kernel
	.section	.text._ZN7rocprim17ROCPRIM_400000_NS6detail17trampoline_kernelINS0_13kernel_configILj256ELj4ELj4294967295EEENS1_37radix_sort_block_sort_config_selectorIdNS0_10empty_typeEEEZNS1_21radix_sort_block_sortIS4_Lb1EPdS9_PS6_SA_NS0_19identity_decomposerEEE10hipError_tT1_T2_T3_T4_jRjT5_jjP12ihipStream_tbEUlT_E_NS1_11comp_targetILNS1_3genE10ELNS1_11target_archE1200ELNS1_3gpuE4ELNS1_3repE0EEENS1_44radix_sort_block_sort_config_static_selectorELNS0_4arch9wavefront6targetE1EEEvSD_,"axG",@progbits,_ZN7rocprim17ROCPRIM_400000_NS6detail17trampoline_kernelINS0_13kernel_configILj256ELj4ELj4294967295EEENS1_37radix_sort_block_sort_config_selectorIdNS0_10empty_typeEEEZNS1_21radix_sort_block_sortIS4_Lb1EPdS9_PS6_SA_NS0_19identity_decomposerEEE10hipError_tT1_T2_T3_T4_jRjT5_jjP12ihipStream_tbEUlT_E_NS1_11comp_targetILNS1_3genE10ELNS1_11target_archE1200ELNS1_3gpuE4ELNS1_3repE0EEENS1_44radix_sort_block_sort_config_static_selectorELNS0_4arch9wavefront6targetE1EEEvSD_,comdat
.Lfunc_end2570:
	.size	_ZN7rocprim17ROCPRIM_400000_NS6detail17trampoline_kernelINS0_13kernel_configILj256ELj4ELj4294967295EEENS1_37radix_sort_block_sort_config_selectorIdNS0_10empty_typeEEEZNS1_21radix_sort_block_sortIS4_Lb1EPdS9_PS6_SA_NS0_19identity_decomposerEEE10hipError_tT1_T2_T3_T4_jRjT5_jjP12ihipStream_tbEUlT_E_NS1_11comp_targetILNS1_3genE10ELNS1_11target_archE1200ELNS1_3gpuE4ELNS1_3repE0EEENS1_44radix_sort_block_sort_config_static_selectorELNS0_4arch9wavefront6targetE1EEEvSD_, .Lfunc_end2570-_ZN7rocprim17ROCPRIM_400000_NS6detail17trampoline_kernelINS0_13kernel_configILj256ELj4ELj4294967295EEENS1_37radix_sort_block_sort_config_selectorIdNS0_10empty_typeEEEZNS1_21radix_sort_block_sortIS4_Lb1EPdS9_PS6_SA_NS0_19identity_decomposerEEE10hipError_tT1_T2_T3_T4_jRjT5_jjP12ihipStream_tbEUlT_E_NS1_11comp_targetILNS1_3genE10ELNS1_11target_archE1200ELNS1_3gpuE4ELNS1_3repE0EEENS1_44radix_sort_block_sort_config_static_selectorELNS0_4arch9wavefront6targetE1EEEvSD_
                                        ; -- End function
	.section	.AMDGPU.csdata,"",@progbits
; Kernel info:
; codeLenInByte = 0
; NumSgprs: 4
; NumVgprs: 0
; NumAgprs: 0
; TotalNumVgprs: 0
; ScratchSize: 0
; MemoryBound: 0
; FloatMode: 240
; IeeeMode: 1
; LDSByteSize: 0 bytes/workgroup (compile time only)
; SGPRBlocks: 0
; VGPRBlocks: 0
; NumSGPRsForWavesPerEU: 4
; NumVGPRsForWavesPerEU: 1
; AccumOffset: 4
; Occupancy: 8
; WaveLimiterHint : 0
; COMPUTE_PGM_RSRC2:SCRATCH_EN: 0
; COMPUTE_PGM_RSRC2:USER_SGPR: 6
; COMPUTE_PGM_RSRC2:TRAP_HANDLER: 0
; COMPUTE_PGM_RSRC2:TGID_X_EN: 1
; COMPUTE_PGM_RSRC2:TGID_Y_EN: 0
; COMPUTE_PGM_RSRC2:TGID_Z_EN: 0
; COMPUTE_PGM_RSRC2:TIDIG_COMP_CNT: 0
; COMPUTE_PGM_RSRC3_GFX90A:ACCUM_OFFSET: 0
; COMPUTE_PGM_RSRC3_GFX90A:TG_SPLIT: 0
	.section	.text._ZN7rocprim17ROCPRIM_400000_NS6detail17trampoline_kernelINS0_13kernel_configILj256ELj4ELj4294967295EEENS1_37radix_sort_block_sort_config_selectorIdNS0_10empty_typeEEEZNS1_21radix_sort_block_sortIS4_Lb1EPdS9_PS6_SA_NS0_19identity_decomposerEEE10hipError_tT1_T2_T3_T4_jRjT5_jjP12ihipStream_tbEUlT_E_NS1_11comp_targetILNS1_3genE9ELNS1_11target_archE1100ELNS1_3gpuE3ELNS1_3repE0EEENS1_44radix_sort_block_sort_config_static_selectorELNS0_4arch9wavefront6targetE1EEEvSD_,"axG",@progbits,_ZN7rocprim17ROCPRIM_400000_NS6detail17trampoline_kernelINS0_13kernel_configILj256ELj4ELj4294967295EEENS1_37radix_sort_block_sort_config_selectorIdNS0_10empty_typeEEEZNS1_21radix_sort_block_sortIS4_Lb1EPdS9_PS6_SA_NS0_19identity_decomposerEEE10hipError_tT1_T2_T3_T4_jRjT5_jjP12ihipStream_tbEUlT_E_NS1_11comp_targetILNS1_3genE9ELNS1_11target_archE1100ELNS1_3gpuE3ELNS1_3repE0EEENS1_44radix_sort_block_sort_config_static_selectorELNS0_4arch9wavefront6targetE1EEEvSD_,comdat
	.protected	_ZN7rocprim17ROCPRIM_400000_NS6detail17trampoline_kernelINS0_13kernel_configILj256ELj4ELj4294967295EEENS1_37radix_sort_block_sort_config_selectorIdNS0_10empty_typeEEEZNS1_21radix_sort_block_sortIS4_Lb1EPdS9_PS6_SA_NS0_19identity_decomposerEEE10hipError_tT1_T2_T3_T4_jRjT5_jjP12ihipStream_tbEUlT_E_NS1_11comp_targetILNS1_3genE9ELNS1_11target_archE1100ELNS1_3gpuE3ELNS1_3repE0EEENS1_44radix_sort_block_sort_config_static_selectorELNS0_4arch9wavefront6targetE1EEEvSD_ ; -- Begin function _ZN7rocprim17ROCPRIM_400000_NS6detail17trampoline_kernelINS0_13kernel_configILj256ELj4ELj4294967295EEENS1_37radix_sort_block_sort_config_selectorIdNS0_10empty_typeEEEZNS1_21radix_sort_block_sortIS4_Lb1EPdS9_PS6_SA_NS0_19identity_decomposerEEE10hipError_tT1_T2_T3_T4_jRjT5_jjP12ihipStream_tbEUlT_E_NS1_11comp_targetILNS1_3genE9ELNS1_11target_archE1100ELNS1_3gpuE3ELNS1_3repE0EEENS1_44radix_sort_block_sort_config_static_selectorELNS0_4arch9wavefront6targetE1EEEvSD_
	.globl	_ZN7rocprim17ROCPRIM_400000_NS6detail17trampoline_kernelINS0_13kernel_configILj256ELj4ELj4294967295EEENS1_37radix_sort_block_sort_config_selectorIdNS0_10empty_typeEEEZNS1_21radix_sort_block_sortIS4_Lb1EPdS9_PS6_SA_NS0_19identity_decomposerEEE10hipError_tT1_T2_T3_T4_jRjT5_jjP12ihipStream_tbEUlT_E_NS1_11comp_targetILNS1_3genE9ELNS1_11target_archE1100ELNS1_3gpuE3ELNS1_3repE0EEENS1_44radix_sort_block_sort_config_static_selectorELNS0_4arch9wavefront6targetE1EEEvSD_
	.p2align	8
	.type	_ZN7rocprim17ROCPRIM_400000_NS6detail17trampoline_kernelINS0_13kernel_configILj256ELj4ELj4294967295EEENS1_37radix_sort_block_sort_config_selectorIdNS0_10empty_typeEEEZNS1_21radix_sort_block_sortIS4_Lb1EPdS9_PS6_SA_NS0_19identity_decomposerEEE10hipError_tT1_T2_T3_T4_jRjT5_jjP12ihipStream_tbEUlT_E_NS1_11comp_targetILNS1_3genE9ELNS1_11target_archE1100ELNS1_3gpuE3ELNS1_3repE0EEENS1_44radix_sort_block_sort_config_static_selectorELNS0_4arch9wavefront6targetE1EEEvSD_,@function
_ZN7rocprim17ROCPRIM_400000_NS6detail17trampoline_kernelINS0_13kernel_configILj256ELj4ELj4294967295EEENS1_37radix_sort_block_sort_config_selectorIdNS0_10empty_typeEEEZNS1_21radix_sort_block_sortIS4_Lb1EPdS9_PS6_SA_NS0_19identity_decomposerEEE10hipError_tT1_T2_T3_T4_jRjT5_jjP12ihipStream_tbEUlT_E_NS1_11comp_targetILNS1_3genE9ELNS1_11target_archE1100ELNS1_3gpuE3ELNS1_3repE0EEENS1_44radix_sort_block_sort_config_static_selectorELNS0_4arch9wavefront6targetE1EEEvSD_: ; @_ZN7rocprim17ROCPRIM_400000_NS6detail17trampoline_kernelINS0_13kernel_configILj256ELj4ELj4294967295EEENS1_37radix_sort_block_sort_config_selectorIdNS0_10empty_typeEEEZNS1_21radix_sort_block_sortIS4_Lb1EPdS9_PS6_SA_NS0_19identity_decomposerEEE10hipError_tT1_T2_T3_T4_jRjT5_jjP12ihipStream_tbEUlT_E_NS1_11comp_targetILNS1_3genE9ELNS1_11target_archE1100ELNS1_3gpuE3ELNS1_3repE0EEENS1_44radix_sort_block_sort_config_static_selectorELNS0_4arch9wavefront6targetE1EEEvSD_
; %bb.0:
	.section	.rodata,"a",@progbits
	.p2align	6, 0x0
	.amdhsa_kernel _ZN7rocprim17ROCPRIM_400000_NS6detail17trampoline_kernelINS0_13kernel_configILj256ELj4ELj4294967295EEENS1_37radix_sort_block_sort_config_selectorIdNS0_10empty_typeEEEZNS1_21radix_sort_block_sortIS4_Lb1EPdS9_PS6_SA_NS0_19identity_decomposerEEE10hipError_tT1_T2_T3_T4_jRjT5_jjP12ihipStream_tbEUlT_E_NS1_11comp_targetILNS1_3genE9ELNS1_11target_archE1100ELNS1_3gpuE3ELNS1_3repE0EEENS1_44radix_sort_block_sort_config_static_selectorELNS0_4arch9wavefront6targetE1EEEvSD_
		.amdhsa_group_segment_fixed_size 0
		.amdhsa_private_segment_fixed_size 0
		.amdhsa_kernarg_size 48
		.amdhsa_user_sgpr_count 6
		.amdhsa_user_sgpr_private_segment_buffer 1
		.amdhsa_user_sgpr_dispatch_ptr 0
		.amdhsa_user_sgpr_queue_ptr 0
		.amdhsa_user_sgpr_kernarg_segment_ptr 1
		.amdhsa_user_sgpr_dispatch_id 0
		.amdhsa_user_sgpr_flat_scratch_init 0
		.amdhsa_user_sgpr_kernarg_preload_length 0
		.amdhsa_user_sgpr_kernarg_preload_offset 0
		.amdhsa_user_sgpr_private_segment_size 0
		.amdhsa_uses_dynamic_stack 0
		.amdhsa_system_sgpr_private_segment_wavefront_offset 0
		.amdhsa_system_sgpr_workgroup_id_x 1
		.amdhsa_system_sgpr_workgroup_id_y 0
		.amdhsa_system_sgpr_workgroup_id_z 0
		.amdhsa_system_sgpr_workgroup_info 0
		.amdhsa_system_vgpr_workitem_id 0
		.amdhsa_next_free_vgpr 1
		.amdhsa_next_free_sgpr 0
		.amdhsa_accum_offset 4
		.amdhsa_reserve_vcc 0
		.amdhsa_reserve_flat_scratch 0
		.amdhsa_float_round_mode_32 0
		.amdhsa_float_round_mode_16_64 0
		.amdhsa_float_denorm_mode_32 3
		.amdhsa_float_denorm_mode_16_64 3
		.amdhsa_dx10_clamp 1
		.amdhsa_ieee_mode 1
		.amdhsa_fp16_overflow 0
		.amdhsa_tg_split 0
		.amdhsa_exception_fp_ieee_invalid_op 0
		.amdhsa_exception_fp_denorm_src 0
		.amdhsa_exception_fp_ieee_div_zero 0
		.amdhsa_exception_fp_ieee_overflow 0
		.amdhsa_exception_fp_ieee_underflow 0
		.amdhsa_exception_fp_ieee_inexact 0
		.amdhsa_exception_int_div_zero 0
	.end_amdhsa_kernel
	.section	.text._ZN7rocprim17ROCPRIM_400000_NS6detail17trampoline_kernelINS0_13kernel_configILj256ELj4ELj4294967295EEENS1_37radix_sort_block_sort_config_selectorIdNS0_10empty_typeEEEZNS1_21radix_sort_block_sortIS4_Lb1EPdS9_PS6_SA_NS0_19identity_decomposerEEE10hipError_tT1_T2_T3_T4_jRjT5_jjP12ihipStream_tbEUlT_E_NS1_11comp_targetILNS1_3genE9ELNS1_11target_archE1100ELNS1_3gpuE3ELNS1_3repE0EEENS1_44radix_sort_block_sort_config_static_selectorELNS0_4arch9wavefront6targetE1EEEvSD_,"axG",@progbits,_ZN7rocprim17ROCPRIM_400000_NS6detail17trampoline_kernelINS0_13kernel_configILj256ELj4ELj4294967295EEENS1_37radix_sort_block_sort_config_selectorIdNS0_10empty_typeEEEZNS1_21radix_sort_block_sortIS4_Lb1EPdS9_PS6_SA_NS0_19identity_decomposerEEE10hipError_tT1_T2_T3_T4_jRjT5_jjP12ihipStream_tbEUlT_E_NS1_11comp_targetILNS1_3genE9ELNS1_11target_archE1100ELNS1_3gpuE3ELNS1_3repE0EEENS1_44radix_sort_block_sort_config_static_selectorELNS0_4arch9wavefront6targetE1EEEvSD_,comdat
.Lfunc_end2571:
	.size	_ZN7rocprim17ROCPRIM_400000_NS6detail17trampoline_kernelINS0_13kernel_configILj256ELj4ELj4294967295EEENS1_37radix_sort_block_sort_config_selectorIdNS0_10empty_typeEEEZNS1_21radix_sort_block_sortIS4_Lb1EPdS9_PS6_SA_NS0_19identity_decomposerEEE10hipError_tT1_T2_T3_T4_jRjT5_jjP12ihipStream_tbEUlT_E_NS1_11comp_targetILNS1_3genE9ELNS1_11target_archE1100ELNS1_3gpuE3ELNS1_3repE0EEENS1_44radix_sort_block_sort_config_static_selectorELNS0_4arch9wavefront6targetE1EEEvSD_, .Lfunc_end2571-_ZN7rocprim17ROCPRIM_400000_NS6detail17trampoline_kernelINS0_13kernel_configILj256ELj4ELj4294967295EEENS1_37radix_sort_block_sort_config_selectorIdNS0_10empty_typeEEEZNS1_21radix_sort_block_sortIS4_Lb1EPdS9_PS6_SA_NS0_19identity_decomposerEEE10hipError_tT1_T2_T3_T4_jRjT5_jjP12ihipStream_tbEUlT_E_NS1_11comp_targetILNS1_3genE9ELNS1_11target_archE1100ELNS1_3gpuE3ELNS1_3repE0EEENS1_44radix_sort_block_sort_config_static_selectorELNS0_4arch9wavefront6targetE1EEEvSD_
                                        ; -- End function
	.section	.AMDGPU.csdata,"",@progbits
; Kernel info:
; codeLenInByte = 0
; NumSgprs: 4
; NumVgprs: 0
; NumAgprs: 0
; TotalNumVgprs: 0
; ScratchSize: 0
; MemoryBound: 0
; FloatMode: 240
; IeeeMode: 1
; LDSByteSize: 0 bytes/workgroup (compile time only)
; SGPRBlocks: 0
; VGPRBlocks: 0
; NumSGPRsForWavesPerEU: 4
; NumVGPRsForWavesPerEU: 1
; AccumOffset: 4
; Occupancy: 8
; WaveLimiterHint : 0
; COMPUTE_PGM_RSRC2:SCRATCH_EN: 0
; COMPUTE_PGM_RSRC2:USER_SGPR: 6
; COMPUTE_PGM_RSRC2:TRAP_HANDLER: 0
; COMPUTE_PGM_RSRC2:TGID_X_EN: 1
; COMPUTE_PGM_RSRC2:TGID_Y_EN: 0
; COMPUTE_PGM_RSRC2:TGID_Z_EN: 0
; COMPUTE_PGM_RSRC2:TIDIG_COMP_CNT: 0
; COMPUTE_PGM_RSRC3_GFX90A:ACCUM_OFFSET: 0
; COMPUTE_PGM_RSRC3_GFX90A:TG_SPLIT: 0
	.section	.text._ZN7rocprim17ROCPRIM_400000_NS6detail17trampoline_kernelINS0_13kernel_configILj256ELj4ELj4294967295EEENS1_37radix_sort_block_sort_config_selectorIdNS0_10empty_typeEEEZNS1_21radix_sort_block_sortIS4_Lb1EPdS9_PS6_SA_NS0_19identity_decomposerEEE10hipError_tT1_T2_T3_T4_jRjT5_jjP12ihipStream_tbEUlT_E_NS1_11comp_targetILNS1_3genE8ELNS1_11target_archE1030ELNS1_3gpuE2ELNS1_3repE0EEENS1_44radix_sort_block_sort_config_static_selectorELNS0_4arch9wavefront6targetE1EEEvSD_,"axG",@progbits,_ZN7rocprim17ROCPRIM_400000_NS6detail17trampoline_kernelINS0_13kernel_configILj256ELj4ELj4294967295EEENS1_37radix_sort_block_sort_config_selectorIdNS0_10empty_typeEEEZNS1_21radix_sort_block_sortIS4_Lb1EPdS9_PS6_SA_NS0_19identity_decomposerEEE10hipError_tT1_T2_T3_T4_jRjT5_jjP12ihipStream_tbEUlT_E_NS1_11comp_targetILNS1_3genE8ELNS1_11target_archE1030ELNS1_3gpuE2ELNS1_3repE0EEENS1_44radix_sort_block_sort_config_static_selectorELNS0_4arch9wavefront6targetE1EEEvSD_,comdat
	.protected	_ZN7rocprim17ROCPRIM_400000_NS6detail17trampoline_kernelINS0_13kernel_configILj256ELj4ELj4294967295EEENS1_37radix_sort_block_sort_config_selectorIdNS0_10empty_typeEEEZNS1_21radix_sort_block_sortIS4_Lb1EPdS9_PS6_SA_NS0_19identity_decomposerEEE10hipError_tT1_T2_T3_T4_jRjT5_jjP12ihipStream_tbEUlT_E_NS1_11comp_targetILNS1_3genE8ELNS1_11target_archE1030ELNS1_3gpuE2ELNS1_3repE0EEENS1_44radix_sort_block_sort_config_static_selectorELNS0_4arch9wavefront6targetE1EEEvSD_ ; -- Begin function _ZN7rocprim17ROCPRIM_400000_NS6detail17trampoline_kernelINS0_13kernel_configILj256ELj4ELj4294967295EEENS1_37radix_sort_block_sort_config_selectorIdNS0_10empty_typeEEEZNS1_21radix_sort_block_sortIS4_Lb1EPdS9_PS6_SA_NS0_19identity_decomposerEEE10hipError_tT1_T2_T3_T4_jRjT5_jjP12ihipStream_tbEUlT_E_NS1_11comp_targetILNS1_3genE8ELNS1_11target_archE1030ELNS1_3gpuE2ELNS1_3repE0EEENS1_44radix_sort_block_sort_config_static_selectorELNS0_4arch9wavefront6targetE1EEEvSD_
	.globl	_ZN7rocprim17ROCPRIM_400000_NS6detail17trampoline_kernelINS0_13kernel_configILj256ELj4ELj4294967295EEENS1_37radix_sort_block_sort_config_selectorIdNS0_10empty_typeEEEZNS1_21radix_sort_block_sortIS4_Lb1EPdS9_PS6_SA_NS0_19identity_decomposerEEE10hipError_tT1_T2_T3_T4_jRjT5_jjP12ihipStream_tbEUlT_E_NS1_11comp_targetILNS1_3genE8ELNS1_11target_archE1030ELNS1_3gpuE2ELNS1_3repE0EEENS1_44radix_sort_block_sort_config_static_selectorELNS0_4arch9wavefront6targetE1EEEvSD_
	.p2align	8
	.type	_ZN7rocprim17ROCPRIM_400000_NS6detail17trampoline_kernelINS0_13kernel_configILj256ELj4ELj4294967295EEENS1_37radix_sort_block_sort_config_selectorIdNS0_10empty_typeEEEZNS1_21radix_sort_block_sortIS4_Lb1EPdS9_PS6_SA_NS0_19identity_decomposerEEE10hipError_tT1_T2_T3_T4_jRjT5_jjP12ihipStream_tbEUlT_E_NS1_11comp_targetILNS1_3genE8ELNS1_11target_archE1030ELNS1_3gpuE2ELNS1_3repE0EEENS1_44radix_sort_block_sort_config_static_selectorELNS0_4arch9wavefront6targetE1EEEvSD_,@function
_ZN7rocprim17ROCPRIM_400000_NS6detail17trampoline_kernelINS0_13kernel_configILj256ELj4ELj4294967295EEENS1_37radix_sort_block_sort_config_selectorIdNS0_10empty_typeEEEZNS1_21radix_sort_block_sortIS4_Lb1EPdS9_PS6_SA_NS0_19identity_decomposerEEE10hipError_tT1_T2_T3_T4_jRjT5_jjP12ihipStream_tbEUlT_E_NS1_11comp_targetILNS1_3genE8ELNS1_11target_archE1030ELNS1_3gpuE2ELNS1_3repE0EEENS1_44radix_sort_block_sort_config_static_selectorELNS0_4arch9wavefront6targetE1EEEvSD_: ; @_ZN7rocprim17ROCPRIM_400000_NS6detail17trampoline_kernelINS0_13kernel_configILj256ELj4ELj4294967295EEENS1_37radix_sort_block_sort_config_selectorIdNS0_10empty_typeEEEZNS1_21radix_sort_block_sortIS4_Lb1EPdS9_PS6_SA_NS0_19identity_decomposerEEE10hipError_tT1_T2_T3_T4_jRjT5_jjP12ihipStream_tbEUlT_E_NS1_11comp_targetILNS1_3genE8ELNS1_11target_archE1030ELNS1_3gpuE2ELNS1_3repE0EEENS1_44radix_sort_block_sort_config_static_selectorELNS0_4arch9wavefront6targetE1EEEvSD_
; %bb.0:
	.section	.rodata,"a",@progbits
	.p2align	6, 0x0
	.amdhsa_kernel _ZN7rocprim17ROCPRIM_400000_NS6detail17trampoline_kernelINS0_13kernel_configILj256ELj4ELj4294967295EEENS1_37radix_sort_block_sort_config_selectorIdNS0_10empty_typeEEEZNS1_21radix_sort_block_sortIS4_Lb1EPdS9_PS6_SA_NS0_19identity_decomposerEEE10hipError_tT1_T2_T3_T4_jRjT5_jjP12ihipStream_tbEUlT_E_NS1_11comp_targetILNS1_3genE8ELNS1_11target_archE1030ELNS1_3gpuE2ELNS1_3repE0EEENS1_44radix_sort_block_sort_config_static_selectorELNS0_4arch9wavefront6targetE1EEEvSD_
		.amdhsa_group_segment_fixed_size 0
		.amdhsa_private_segment_fixed_size 0
		.amdhsa_kernarg_size 48
		.amdhsa_user_sgpr_count 6
		.amdhsa_user_sgpr_private_segment_buffer 1
		.amdhsa_user_sgpr_dispatch_ptr 0
		.amdhsa_user_sgpr_queue_ptr 0
		.amdhsa_user_sgpr_kernarg_segment_ptr 1
		.amdhsa_user_sgpr_dispatch_id 0
		.amdhsa_user_sgpr_flat_scratch_init 0
		.amdhsa_user_sgpr_kernarg_preload_length 0
		.amdhsa_user_sgpr_kernarg_preload_offset 0
		.amdhsa_user_sgpr_private_segment_size 0
		.amdhsa_uses_dynamic_stack 0
		.amdhsa_system_sgpr_private_segment_wavefront_offset 0
		.amdhsa_system_sgpr_workgroup_id_x 1
		.amdhsa_system_sgpr_workgroup_id_y 0
		.amdhsa_system_sgpr_workgroup_id_z 0
		.amdhsa_system_sgpr_workgroup_info 0
		.amdhsa_system_vgpr_workitem_id 0
		.amdhsa_next_free_vgpr 1
		.amdhsa_next_free_sgpr 0
		.amdhsa_accum_offset 4
		.amdhsa_reserve_vcc 0
		.amdhsa_reserve_flat_scratch 0
		.amdhsa_float_round_mode_32 0
		.amdhsa_float_round_mode_16_64 0
		.amdhsa_float_denorm_mode_32 3
		.amdhsa_float_denorm_mode_16_64 3
		.amdhsa_dx10_clamp 1
		.amdhsa_ieee_mode 1
		.amdhsa_fp16_overflow 0
		.amdhsa_tg_split 0
		.amdhsa_exception_fp_ieee_invalid_op 0
		.amdhsa_exception_fp_denorm_src 0
		.amdhsa_exception_fp_ieee_div_zero 0
		.amdhsa_exception_fp_ieee_overflow 0
		.amdhsa_exception_fp_ieee_underflow 0
		.amdhsa_exception_fp_ieee_inexact 0
		.amdhsa_exception_int_div_zero 0
	.end_amdhsa_kernel
	.section	.text._ZN7rocprim17ROCPRIM_400000_NS6detail17trampoline_kernelINS0_13kernel_configILj256ELj4ELj4294967295EEENS1_37radix_sort_block_sort_config_selectorIdNS0_10empty_typeEEEZNS1_21radix_sort_block_sortIS4_Lb1EPdS9_PS6_SA_NS0_19identity_decomposerEEE10hipError_tT1_T2_T3_T4_jRjT5_jjP12ihipStream_tbEUlT_E_NS1_11comp_targetILNS1_3genE8ELNS1_11target_archE1030ELNS1_3gpuE2ELNS1_3repE0EEENS1_44radix_sort_block_sort_config_static_selectorELNS0_4arch9wavefront6targetE1EEEvSD_,"axG",@progbits,_ZN7rocprim17ROCPRIM_400000_NS6detail17trampoline_kernelINS0_13kernel_configILj256ELj4ELj4294967295EEENS1_37radix_sort_block_sort_config_selectorIdNS0_10empty_typeEEEZNS1_21radix_sort_block_sortIS4_Lb1EPdS9_PS6_SA_NS0_19identity_decomposerEEE10hipError_tT1_T2_T3_T4_jRjT5_jjP12ihipStream_tbEUlT_E_NS1_11comp_targetILNS1_3genE8ELNS1_11target_archE1030ELNS1_3gpuE2ELNS1_3repE0EEENS1_44radix_sort_block_sort_config_static_selectorELNS0_4arch9wavefront6targetE1EEEvSD_,comdat
.Lfunc_end2572:
	.size	_ZN7rocprim17ROCPRIM_400000_NS6detail17trampoline_kernelINS0_13kernel_configILj256ELj4ELj4294967295EEENS1_37radix_sort_block_sort_config_selectorIdNS0_10empty_typeEEEZNS1_21radix_sort_block_sortIS4_Lb1EPdS9_PS6_SA_NS0_19identity_decomposerEEE10hipError_tT1_T2_T3_T4_jRjT5_jjP12ihipStream_tbEUlT_E_NS1_11comp_targetILNS1_3genE8ELNS1_11target_archE1030ELNS1_3gpuE2ELNS1_3repE0EEENS1_44radix_sort_block_sort_config_static_selectorELNS0_4arch9wavefront6targetE1EEEvSD_, .Lfunc_end2572-_ZN7rocprim17ROCPRIM_400000_NS6detail17trampoline_kernelINS0_13kernel_configILj256ELj4ELj4294967295EEENS1_37radix_sort_block_sort_config_selectorIdNS0_10empty_typeEEEZNS1_21radix_sort_block_sortIS4_Lb1EPdS9_PS6_SA_NS0_19identity_decomposerEEE10hipError_tT1_T2_T3_T4_jRjT5_jjP12ihipStream_tbEUlT_E_NS1_11comp_targetILNS1_3genE8ELNS1_11target_archE1030ELNS1_3gpuE2ELNS1_3repE0EEENS1_44radix_sort_block_sort_config_static_selectorELNS0_4arch9wavefront6targetE1EEEvSD_
                                        ; -- End function
	.section	.AMDGPU.csdata,"",@progbits
; Kernel info:
; codeLenInByte = 0
; NumSgprs: 4
; NumVgprs: 0
; NumAgprs: 0
; TotalNumVgprs: 0
; ScratchSize: 0
; MemoryBound: 0
; FloatMode: 240
; IeeeMode: 1
; LDSByteSize: 0 bytes/workgroup (compile time only)
; SGPRBlocks: 0
; VGPRBlocks: 0
; NumSGPRsForWavesPerEU: 4
; NumVGPRsForWavesPerEU: 1
; AccumOffset: 4
; Occupancy: 8
; WaveLimiterHint : 0
; COMPUTE_PGM_RSRC2:SCRATCH_EN: 0
; COMPUTE_PGM_RSRC2:USER_SGPR: 6
; COMPUTE_PGM_RSRC2:TRAP_HANDLER: 0
; COMPUTE_PGM_RSRC2:TGID_X_EN: 1
; COMPUTE_PGM_RSRC2:TGID_Y_EN: 0
; COMPUTE_PGM_RSRC2:TGID_Z_EN: 0
; COMPUTE_PGM_RSRC2:TIDIG_COMP_CNT: 0
; COMPUTE_PGM_RSRC3_GFX90A:ACCUM_OFFSET: 0
; COMPUTE_PGM_RSRC3_GFX90A:TG_SPLIT: 0
	.section	.text._ZN7rocprim17ROCPRIM_400000_NS6detail17trampoline_kernelINS0_14default_configENS1_38merge_sort_block_merge_config_selectorIdNS0_10empty_typeEEEZZNS1_27merge_sort_block_merge_implIS3_PdPS5_jNS1_19radix_merge_compareILb1ELb0EdNS0_19identity_decomposerEEEEE10hipError_tT0_T1_T2_jT3_P12ihipStream_tbPNSt15iterator_traitsISE_E10value_typeEPNSK_ISF_E10value_typeEPSG_NS1_7vsmem_tEENKUlT_SE_SF_SG_E_clIS8_S8_S9_S9_EESD_ST_SE_SF_SG_EUlST_E_NS1_11comp_targetILNS1_3genE0ELNS1_11target_archE4294967295ELNS1_3gpuE0ELNS1_3repE0EEENS1_48merge_mergepath_partition_config_static_selectorELNS0_4arch9wavefront6targetE1EEEvSF_,"axG",@progbits,_ZN7rocprim17ROCPRIM_400000_NS6detail17trampoline_kernelINS0_14default_configENS1_38merge_sort_block_merge_config_selectorIdNS0_10empty_typeEEEZZNS1_27merge_sort_block_merge_implIS3_PdPS5_jNS1_19radix_merge_compareILb1ELb0EdNS0_19identity_decomposerEEEEE10hipError_tT0_T1_T2_jT3_P12ihipStream_tbPNSt15iterator_traitsISE_E10value_typeEPNSK_ISF_E10value_typeEPSG_NS1_7vsmem_tEENKUlT_SE_SF_SG_E_clIS8_S8_S9_S9_EESD_ST_SE_SF_SG_EUlST_E_NS1_11comp_targetILNS1_3genE0ELNS1_11target_archE4294967295ELNS1_3gpuE0ELNS1_3repE0EEENS1_48merge_mergepath_partition_config_static_selectorELNS0_4arch9wavefront6targetE1EEEvSF_,comdat
	.protected	_ZN7rocprim17ROCPRIM_400000_NS6detail17trampoline_kernelINS0_14default_configENS1_38merge_sort_block_merge_config_selectorIdNS0_10empty_typeEEEZZNS1_27merge_sort_block_merge_implIS3_PdPS5_jNS1_19radix_merge_compareILb1ELb0EdNS0_19identity_decomposerEEEEE10hipError_tT0_T1_T2_jT3_P12ihipStream_tbPNSt15iterator_traitsISE_E10value_typeEPNSK_ISF_E10value_typeEPSG_NS1_7vsmem_tEENKUlT_SE_SF_SG_E_clIS8_S8_S9_S9_EESD_ST_SE_SF_SG_EUlST_E_NS1_11comp_targetILNS1_3genE0ELNS1_11target_archE4294967295ELNS1_3gpuE0ELNS1_3repE0EEENS1_48merge_mergepath_partition_config_static_selectorELNS0_4arch9wavefront6targetE1EEEvSF_ ; -- Begin function _ZN7rocprim17ROCPRIM_400000_NS6detail17trampoline_kernelINS0_14default_configENS1_38merge_sort_block_merge_config_selectorIdNS0_10empty_typeEEEZZNS1_27merge_sort_block_merge_implIS3_PdPS5_jNS1_19radix_merge_compareILb1ELb0EdNS0_19identity_decomposerEEEEE10hipError_tT0_T1_T2_jT3_P12ihipStream_tbPNSt15iterator_traitsISE_E10value_typeEPNSK_ISF_E10value_typeEPSG_NS1_7vsmem_tEENKUlT_SE_SF_SG_E_clIS8_S8_S9_S9_EESD_ST_SE_SF_SG_EUlST_E_NS1_11comp_targetILNS1_3genE0ELNS1_11target_archE4294967295ELNS1_3gpuE0ELNS1_3repE0EEENS1_48merge_mergepath_partition_config_static_selectorELNS0_4arch9wavefront6targetE1EEEvSF_
	.globl	_ZN7rocprim17ROCPRIM_400000_NS6detail17trampoline_kernelINS0_14default_configENS1_38merge_sort_block_merge_config_selectorIdNS0_10empty_typeEEEZZNS1_27merge_sort_block_merge_implIS3_PdPS5_jNS1_19radix_merge_compareILb1ELb0EdNS0_19identity_decomposerEEEEE10hipError_tT0_T1_T2_jT3_P12ihipStream_tbPNSt15iterator_traitsISE_E10value_typeEPNSK_ISF_E10value_typeEPSG_NS1_7vsmem_tEENKUlT_SE_SF_SG_E_clIS8_S8_S9_S9_EESD_ST_SE_SF_SG_EUlST_E_NS1_11comp_targetILNS1_3genE0ELNS1_11target_archE4294967295ELNS1_3gpuE0ELNS1_3repE0EEENS1_48merge_mergepath_partition_config_static_selectorELNS0_4arch9wavefront6targetE1EEEvSF_
	.p2align	8
	.type	_ZN7rocprim17ROCPRIM_400000_NS6detail17trampoline_kernelINS0_14default_configENS1_38merge_sort_block_merge_config_selectorIdNS0_10empty_typeEEEZZNS1_27merge_sort_block_merge_implIS3_PdPS5_jNS1_19radix_merge_compareILb1ELb0EdNS0_19identity_decomposerEEEEE10hipError_tT0_T1_T2_jT3_P12ihipStream_tbPNSt15iterator_traitsISE_E10value_typeEPNSK_ISF_E10value_typeEPSG_NS1_7vsmem_tEENKUlT_SE_SF_SG_E_clIS8_S8_S9_S9_EESD_ST_SE_SF_SG_EUlST_E_NS1_11comp_targetILNS1_3genE0ELNS1_11target_archE4294967295ELNS1_3gpuE0ELNS1_3repE0EEENS1_48merge_mergepath_partition_config_static_selectorELNS0_4arch9wavefront6targetE1EEEvSF_,@function
_ZN7rocprim17ROCPRIM_400000_NS6detail17trampoline_kernelINS0_14default_configENS1_38merge_sort_block_merge_config_selectorIdNS0_10empty_typeEEEZZNS1_27merge_sort_block_merge_implIS3_PdPS5_jNS1_19radix_merge_compareILb1ELb0EdNS0_19identity_decomposerEEEEE10hipError_tT0_T1_T2_jT3_P12ihipStream_tbPNSt15iterator_traitsISE_E10value_typeEPNSK_ISF_E10value_typeEPSG_NS1_7vsmem_tEENKUlT_SE_SF_SG_E_clIS8_S8_S9_S9_EESD_ST_SE_SF_SG_EUlST_E_NS1_11comp_targetILNS1_3genE0ELNS1_11target_archE4294967295ELNS1_3gpuE0ELNS1_3repE0EEENS1_48merge_mergepath_partition_config_static_selectorELNS0_4arch9wavefront6targetE1EEEvSF_: ; @_ZN7rocprim17ROCPRIM_400000_NS6detail17trampoline_kernelINS0_14default_configENS1_38merge_sort_block_merge_config_selectorIdNS0_10empty_typeEEEZZNS1_27merge_sort_block_merge_implIS3_PdPS5_jNS1_19radix_merge_compareILb1ELb0EdNS0_19identity_decomposerEEEEE10hipError_tT0_T1_T2_jT3_P12ihipStream_tbPNSt15iterator_traitsISE_E10value_typeEPNSK_ISF_E10value_typeEPSG_NS1_7vsmem_tEENKUlT_SE_SF_SG_E_clIS8_S8_S9_S9_EESD_ST_SE_SF_SG_EUlST_E_NS1_11comp_targetILNS1_3genE0ELNS1_11target_archE4294967295ELNS1_3gpuE0ELNS1_3repE0EEENS1_48merge_mergepath_partition_config_static_selectorELNS0_4arch9wavefront6targetE1EEEvSF_
; %bb.0:
	.section	.rodata,"a",@progbits
	.p2align	6, 0x0
	.amdhsa_kernel _ZN7rocprim17ROCPRIM_400000_NS6detail17trampoline_kernelINS0_14default_configENS1_38merge_sort_block_merge_config_selectorIdNS0_10empty_typeEEEZZNS1_27merge_sort_block_merge_implIS3_PdPS5_jNS1_19radix_merge_compareILb1ELb0EdNS0_19identity_decomposerEEEEE10hipError_tT0_T1_T2_jT3_P12ihipStream_tbPNSt15iterator_traitsISE_E10value_typeEPNSK_ISF_E10value_typeEPSG_NS1_7vsmem_tEENKUlT_SE_SF_SG_E_clIS8_S8_S9_S9_EESD_ST_SE_SF_SG_EUlST_E_NS1_11comp_targetILNS1_3genE0ELNS1_11target_archE4294967295ELNS1_3gpuE0ELNS1_3repE0EEENS1_48merge_mergepath_partition_config_static_selectorELNS0_4arch9wavefront6targetE1EEEvSF_
		.amdhsa_group_segment_fixed_size 0
		.amdhsa_private_segment_fixed_size 0
		.amdhsa_kernarg_size 40
		.amdhsa_user_sgpr_count 6
		.amdhsa_user_sgpr_private_segment_buffer 1
		.amdhsa_user_sgpr_dispatch_ptr 0
		.amdhsa_user_sgpr_queue_ptr 0
		.amdhsa_user_sgpr_kernarg_segment_ptr 1
		.amdhsa_user_sgpr_dispatch_id 0
		.amdhsa_user_sgpr_flat_scratch_init 0
		.amdhsa_user_sgpr_kernarg_preload_length 0
		.amdhsa_user_sgpr_kernarg_preload_offset 0
		.amdhsa_user_sgpr_private_segment_size 0
		.amdhsa_uses_dynamic_stack 0
		.amdhsa_system_sgpr_private_segment_wavefront_offset 0
		.amdhsa_system_sgpr_workgroup_id_x 1
		.amdhsa_system_sgpr_workgroup_id_y 0
		.amdhsa_system_sgpr_workgroup_id_z 0
		.amdhsa_system_sgpr_workgroup_info 0
		.amdhsa_system_vgpr_workitem_id 0
		.amdhsa_next_free_vgpr 1
		.amdhsa_next_free_sgpr 0
		.amdhsa_accum_offset 4
		.amdhsa_reserve_vcc 0
		.amdhsa_reserve_flat_scratch 0
		.amdhsa_float_round_mode_32 0
		.amdhsa_float_round_mode_16_64 0
		.amdhsa_float_denorm_mode_32 3
		.amdhsa_float_denorm_mode_16_64 3
		.amdhsa_dx10_clamp 1
		.amdhsa_ieee_mode 1
		.amdhsa_fp16_overflow 0
		.amdhsa_tg_split 0
		.amdhsa_exception_fp_ieee_invalid_op 0
		.amdhsa_exception_fp_denorm_src 0
		.amdhsa_exception_fp_ieee_div_zero 0
		.amdhsa_exception_fp_ieee_overflow 0
		.amdhsa_exception_fp_ieee_underflow 0
		.amdhsa_exception_fp_ieee_inexact 0
		.amdhsa_exception_int_div_zero 0
	.end_amdhsa_kernel
	.section	.text._ZN7rocprim17ROCPRIM_400000_NS6detail17trampoline_kernelINS0_14default_configENS1_38merge_sort_block_merge_config_selectorIdNS0_10empty_typeEEEZZNS1_27merge_sort_block_merge_implIS3_PdPS5_jNS1_19radix_merge_compareILb1ELb0EdNS0_19identity_decomposerEEEEE10hipError_tT0_T1_T2_jT3_P12ihipStream_tbPNSt15iterator_traitsISE_E10value_typeEPNSK_ISF_E10value_typeEPSG_NS1_7vsmem_tEENKUlT_SE_SF_SG_E_clIS8_S8_S9_S9_EESD_ST_SE_SF_SG_EUlST_E_NS1_11comp_targetILNS1_3genE0ELNS1_11target_archE4294967295ELNS1_3gpuE0ELNS1_3repE0EEENS1_48merge_mergepath_partition_config_static_selectorELNS0_4arch9wavefront6targetE1EEEvSF_,"axG",@progbits,_ZN7rocprim17ROCPRIM_400000_NS6detail17trampoline_kernelINS0_14default_configENS1_38merge_sort_block_merge_config_selectorIdNS0_10empty_typeEEEZZNS1_27merge_sort_block_merge_implIS3_PdPS5_jNS1_19radix_merge_compareILb1ELb0EdNS0_19identity_decomposerEEEEE10hipError_tT0_T1_T2_jT3_P12ihipStream_tbPNSt15iterator_traitsISE_E10value_typeEPNSK_ISF_E10value_typeEPSG_NS1_7vsmem_tEENKUlT_SE_SF_SG_E_clIS8_S8_S9_S9_EESD_ST_SE_SF_SG_EUlST_E_NS1_11comp_targetILNS1_3genE0ELNS1_11target_archE4294967295ELNS1_3gpuE0ELNS1_3repE0EEENS1_48merge_mergepath_partition_config_static_selectorELNS0_4arch9wavefront6targetE1EEEvSF_,comdat
.Lfunc_end2573:
	.size	_ZN7rocprim17ROCPRIM_400000_NS6detail17trampoline_kernelINS0_14default_configENS1_38merge_sort_block_merge_config_selectorIdNS0_10empty_typeEEEZZNS1_27merge_sort_block_merge_implIS3_PdPS5_jNS1_19radix_merge_compareILb1ELb0EdNS0_19identity_decomposerEEEEE10hipError_tT0_T1_T2_jT3_P12ihipStream_tbPNSt15iterator_traitsISE_E10value_typeEPNSK_ISF_E10value_typeEPSG_NS1_7vsmem_tEENKUlT_SE_SF_SG_E_clIS8_S8_S9_S9_EESD_ST_SE_SF_SG_EUlST_E_NS1_11comp_targetILNS1_3genE0ELNS1_11target_archE4294967295ELNS1_3gpuE0ELNS1_3repE0EEENS1_48merge_mergepath_partition_config_static_selectorELNS0_4arch9wavefront6targetE1EEEvSF_, .Lfunc_end2573-_ZN7rocprim17ROCPRIM_400000_NS6detail17trampoline_kernelINS0_14default_configENS1_38merge_sort_block_merge_config_selectorIdNS0_10empty_typeEEEZZNS1_27merge_sort_block_merge_implIS3_PdPS5_jNS1_19radix_merge_compareILb1ELb0EdNS0_19identity_decomposerEEEEE10hipError_tT0_T1_T2_jT3_P12ihipStream_tbPNSt15iterator_traitsISE_E10value_typeEPNSK_ISF_E10value_typeEPSG_NS1_7vsmem_tEENKUlT_SE_SF_SG_E_clIS8_S8_S9_S9_EESD_ST_SE_SF_SG_EUlST_E_NS1_11comp_targetILNS1_3genE0ELNS1_11target_archE4294967295ELNS1_3gpuE0ELNS1_3repE0EEENS1_48merge_mergepath_partition_config_static_selectorELNS0_4arch9wavefront6targetE1EEEvSF_
                                        ; -- End function
	.section	.AMDGPU.csdata,"",@progbits
; Kernel info:
; codeLenInByte = 0
; NumSgprs: 4
; NumVgprs: 0
; NumAgprs: 0
; TotalNumVgprs: 0
; ScratchSize: 0
; MemoryBound: 0
; FloatMode: 240
; IeeeMode: 1
; LDSByteSize: 0 bytes/workgroup (compile time only)
; SGPRBlocks: 0
; VGPRBlocks: 0
; NumSGPRsForWavesPerEU: 4
; NumVGPRsForWavesPerEU: 1
; AccumOffset: 4
; Occupancy: 8
; WaveLimiterHint : 0
; COMPUTE_PGM_RSRC2:SCRATCH_EN: 0
; COMPUTE_PGM_RSRC2:USER_SGPR: 6
; COMPUTE_PGM_RSRC2:TRAP_HANDLER: 0
; COMPUTE_PGM_RSRC2:TGID_X_EN: 1
; COMPUTE_PGM_RSRC2:TGID_Y_EN: 0
; COMPUTE_PGM_RSRC2:TGID_Z_EN: 0
; COMPUTE_PGM_RSRC2:TIDIG_COMP_CNT: 0
; COMPUTE_PGM_RSRC3_GFX90A:ACCUM_OFFSET: 0
; COMPUTE_PGM_RSRC3_GFX90A:TG_SPLIT: 0
	.section	.text._ZN7rocprim17ROCPRIM_400000_NS6detail17trampoline_kernelINS0_14default_configENS1_38merge_sort_block_merge_config_selectorIdNS0_10empty_typeEEEZZNS1_27merge_sort_block_merge_implIS3_PdPS5_jNS1_19radix_merge_compareILb1ELb0EdNS0_19identity_decomposerEEEEE10hipError_tT0_T1_T2_jT3_P12ihipStream_tbPNSt15iterator_traitsISE_E10value_typeEPNSK_ISF_E10value_typeEPSG_NS1_7vsmem_tEENKUlT_SE_SF_SG_E_clIS8_S8_S9_S9_EESD_ST_SE_SF_SG_EUlST_E_NS1_11comp_targetILNS1_3genE10ELNS1_11target_archE1201ELNS1_3gpuE5ELNS1_3repE0EEENS1_48merge_mergepath_partition_config_static_selectorELNS0_4arch9wavefront6targetE1EEEvSF_,"axG",@progbits,_ZN7rocprim17ROCPRIM_400000_NS6detail17trampoline_kernelINS0_14default_configENS1_38merge_sort_block_merge_config_selectorIdNS0_10empty_typeEEEZZNS1_27merge_sort_block_merge_implIS3_PdPS5_jNS1_19radix_merge_compareILb1ELb0EdNS0_19identity_decomposerEEEEE10hipError_tT0_T1_T2_jT3_P12ihipStream_tbPNSt15iterator_traitsISE_E10value_typeEPNSK_ISF_E10value_typeEPSG_NS1_7vsmem_tEENKUlT_SE_SF_SG_E_clIS8_S8_S9_S9_EESD_ST_SE_SF_SG_EUlST_E_NS1_11comp_targetILNS1_3genE10ELNS1_11target_archE1201ELNS1_3gpuE5ELNS1_3repE0EEENS1_48merge_mergepath_partition_config_static_selectorELNS0_4arch9wavefront6targetE1EEEvSF_,comdat
	.protected	_ZN7rocprim17ROCPRIM_400000_NS6detail17trampoline_kernelINS0_14default_configENS1_38merge_sort_block_merge_config_selectorIdNS0_10empty_typeEEEZZNS1_27merge_sort_block_merge_implIS3_PdPS5_jNS1_19radix_merge_compareILb1ELb0EdNS0_19identity_decomposerEEEEE10hipError_tT0_T1_T2_jT3_P12ihipStream_tbPNSt15iterator_traitsISE_E10value_typeEPNSK_ISF_E10value_typeEPSG_NS1_7vsmem_tEENKUlT_SE_SF_SG_E_clIS8_S8_S9_S9_EESD_ST_SE_SF_SG_EUlST_E_NS1_11comp_targetILNS1_3genE10ELNS1_11target_archE1201ELNS1_3gpuE5ELNS1_3repE0EEENS1_48merge_mergepath_partition_config_static_selectorELNS0_4arch9wavefront6targetE1EEEvSF_ ; -- Begin function _ZN7rocprim17ROCPRIM_400000_NS6detail17trampoline_kernelINS0_14default_configENS1_38merge_sort_block_merge_config_selectorIdNS0_10empty_typeEEEZZNS1_27merge_sort_block_merge_implIS3_PdPS5_jNS1_19radix_merge_compareILb1ELb0EdNS0_19identity_decomposerEEEEE10hipError_tT0_T1_T2_jT3_P12ihipStream_tbPNSt15iterator_traitsISE_E10value_typeEPNSK_ISF_E10value_typeEPSG_NS1_7vsmem_tEENKUlT_SE_SF_SG_E_clIS8_S8_S9_S9_EESD_ST_SE_SF_SG_EUlST_E_NS1_11comp_targetILNS1_3genE10ELNS1_11target_archE1201ELNS1_3gpuE5ELNS1_3repE0EEENS1_48merge_mergepath_partition_config_static_selectorELNS0_4arch9wavefront6targetE1EEEvSF_
	.globl	_ZN7rocprim17ROCPRIM_400000_NS6detail17trampoline_kernelINS0_14default_configENS1_38merge_sort_block_merge_config_selectorIdNS0_10empty_typeEEEZZNS1_27merge_sort_block_merge_implIS3_PdPS5_jNS1_19radix_merge_compareILb1ELb0EdNS0_19identity_decomposerEEEEE10hipError_tT0_T1_T2_jT3_P12ihipStream_tbPNSt15iterator_traitsISE_E10value_typeEPNSK_ISF_E10value_typeEPSG_NS1_7vsmem_tEENKUlT_SE_SF_SG_E_clIS8_S8_S9_S9_EESD_ST_SE_SF_SG_EUlST_E_NS1_11comp_targetILNS1_3genE10ELNS1_11target_archE1201ELNS1_3gpuE5ELNS1_3repE0EEENS1_48merge_mergepath_partition_config_static_selectorELNS0_4arch9wavefront6targetE1EEEvSF_
	.p2align	8
	.type	_ZN7rocprim17ROCPRIM_400000_NS6detail17trampoline_kernelINS0_14default_configENS1_38merge_sort_block_merge_config_selectorIdNS0_10empty_typeEEEZZNS1_27merge_sort_block_merge_implIS3_PdPS5_jNS1_19radix_merge_compareILb1ELb0EdNS0_19identity_decomposerEEEEE10hipError_tT0_T1_T2_jT3_P12ihipStream_tbPNSt15iterator_traitsISE_E10value_typeEPNSK_ISF_E10value_typeEPSG_NS1_7vsmem_tEENKUlT_SE_SF_SG_E_clIS8_S8_S9_S9_EESD_ST_SE_SF_SG_EUlST_E_NS1_11comp_targetILNS1_3genE10ELNS1_11target_archE1201ELNS1_3gpuE5ELNS1_3repE0EEENS1_48merge_mergepath_partition_config_static_selectorELNS0_4arch9wavefront6targetE1EEEvSF_,@function
_ZN7rocprim17ROCPRIM_400000_NS6detail17trampoline_kernelINS0_14default_configENS1_38merge_sort_block_merge_config_selectorIdNS0_10empty_typeEEEZZNS1_27merge_sort_block_merge_implIS3_PdPS5_jNS1_19radix_merge_compareILb1ELb0EdNS0_19identity_decomposerEEEEE10hipError_tT0_T1_T2_jT3_P12ihipStream_tbPNSt15iterator_traitsISE_E10value_typeEPNSK_ISF_E10value_typeEPSG_NS1_7vsmem_tEENKUlT_SE_SF_SG_E_clIS8_S8_S9_S9_EESD_ST_SE_SF_SG_EUlST_E_NS1_11comp_targetILNS1_3genE10ELNS1_11target_archE1201ELNS1_3gpuE5ELNS1_3repE0EEENS1_48merge_mergepath_partition_config_static_selectorELNS0_4arch9wavefront6targetE1EEEvSF_: ; @_ZN7rocprim17ROCPRIM_400000_NS6detail17trampoline_kernelINS0_14default_configENS1_38merge_sort_block_merge_config_selectorIdNS0_10empty_typeEEEZZNS1_27merge_sort_block_merge_implIS3_PdPS5_jNS1_19radix_merge_compareILb1ELb0EdNS0_19identity_decomposerEEEEE10hipError_tT0_T1_T2_jT3_P12ihipStream_tbPNSt15iterator_traitsISE_E10value_typeEPNSK_ISF_E10value_typeEPSG_NS1_7vsmem_tEENKUlT_SE_SF_SG_E_clIS8_S8_S9_S9_EESD_ST_SE_SF_SG_EUlST_E_NS1_11comp_targetILNS1_3genE10ELNS1_11target_archE1201ELNS1_3gpuE5ELNS1_3repE0EEENS1_48merge_mergepath_partition_config_static_selectorELNS0_4arch9wavefront6targetE1EEEvSF_
; %bb.0:
	.section	.rodata,"a",@progbits
	.p2align	6, 0x0
	.amdhsa_kernel _ZN7rocprim17ROCPRIM_400000_NS6detail17trampoline_kernelINS0_14default_configENS1_38merge_sort_block_merge_config_selectorIdNS0_10empty_typeEEEZZNS1_27merge_sort_block_merge_implIS3_PdPS5_jNS1_19radix_merge_compareILb1ELb0EdNS0_19identity_decomposerEEEEE10hipError_tT0_T1_T2_jT3_P12ihipStream_tbPNSt15iterator_traitsISE_E10value_typeEPNSK_ISF_E10value_typeEPSG_NS1_7vsmem_tEENKUlT_SE_SF_SG_E_clIS8_S8_S9_S9_EESD_ST_SE_SF_SG_EUlST_E_NS1_11comp_targetILNS1_3genE10ELNS1_11target_archE1201ELNS1_3gpuE5ELNS1_3repE0EEENS1_48merge_mergepath_partition_config_static_selectorELNS0_4arch9wavefront6targetE1EEEvSF_
		.amdhsa_group_segment_fixed_size 0
		.amdhsa_private_segment_fixed_size 0
		.amdhsa_kernarg_size 40
		.amdhsa_user_sgpr_count 6
		.amdhsa_user_sgpr_private_segment_buffer 1
		.amdhsa_user_sgpr_dispatch_ptr 0
		.amdhsa_user_sgpr_queue_ptr 0
		.amdhsa_user_sgpr_kernarg_segment_ptr 1
		.amdhsa_user_sgpr_dispatch_id 0
		.amdhsa_user_sgpr_flat_scratch_init 0
		.amdhsa_user_sgpr_kernarg_preload_length 0
		.amdhsa_user_sgpr_kernarg_preload_offset 0
		.amdhsa_user_sgpr_private_segment_size 0
		.amdhsa_uses_dynamic_stack 0
		.amdhsa_system_sgpr_private_segment_wavefront_offset 0
		.amdhsa_system_sgpr_workgroup_id_x 1
		.amdhsa_system_sgpr_workgroup_id_y 0
		.amdhsa_system_sgpr_workgroup_id_z 0
		.amdhsa_system_sgpr_workgroup_info 0
		.amdhsa_system_vgpr_workitem_id 0
		.amdhsa_next_free_vgpr 1
		.amdhsa_next_free_sgpr 0
		.amdhsa_accum_offset 4
		.amdhsa_reserve_vcc 0
		.amdhsa_reserve_flat_scratch 0
		.amdhsa_float_round_mode_32 0
		.amdhsa_float_round_mode_16_64 0
		.amdhsa_float_denorm_mode_32 3
		.amdhsa_float_denorm_mode_16_64 3
		.amdhsa_dx10_clamp 1
		.amdhsa_ieee_mode 1
		.amdhsa_fp16_overflow 0
		.amdhsa_tg_split 0
		.amdhsa_exception_fp_ieee_invalid_op 0
		.amdhsa_exception_fp_denorm_src 0
		.amdhsa_exception_fp_ieee_div_zero 0
		.amdhsa_exception_fp_ieee_overflow 0
		.amdhsa_exception_fp_ieee_underflow 0
		.amdhsa_exception_fp_ieee_inexact 0
		.amdhsa_exception_int_div_zero 0
	.end_amdhsa_kernel
	.section	.text._ZN7rocprim17ROCPRIM_400000_NS6detail17trampoline_kernelINS0_14default_configENS1_38merge_sort_block_merge_config_selectorIdNS0_10empty_typeEEEZZNS1_27merge_sort_block_merge_implIS3_PdPS5_jNS1_19radix_merge_compareILb1ELb0EdNS0_19identity_decomposerEEEEE10hipError_tT0_T1_T2_jT3_P12ihipStream_tbPNSt15iterator_traitsISE_E10value_typeEPNSK_ISF_E10value_typeEPSG_NS1_7vsmem_tEENKUlT_SE_SF_SG_E_clIS8_S8_S9_S9_EESD_ST_SE_SF_SG_EUlST_E_NS1_11comp_targetILNS1_3genE10ELNS1_11target_archE1201ELNS1_3gpuE5ELNS1_3repE0EEENS1_48merge_mergepath_partition_config_static_selectorELNS0_4arch9wavefront6targetE1EEEvSF_,"axG",@progbits,_ZN7rocprim17ROCPRIM_400000_NS6detail17trampoline_kernelINS0_14default_configENS1_38merge_sort_block_merge_config_selectorIdNS0_10empty_typeEEEZZNS1_27merge_sort_block_merge_implIS3_PdPS5_jNS1_19radix_merge_compareILb1ELb0EdNS0_19identity_decomposerEEEEE10hipError_tT0_T1_T2_jT3_P12ihipStream_tbPNSt15iterator_traitsISE_E10value_typeEPNSK_ISF_E10value_typeEPSG_NS1_7vsmem_tEENKUlT_SE_SF_SG_E_clIS8_S8_S9_S9_EESD_ST_SE_SF_SG_EUlST_E_NS1_11comp_targetILNS1_3genE10ELNS1_11target_archE1201ELNS1_3gpuE5ELNS1_3repE0EEENS1_48merge_mergepath_partition_config_static_selectorELNS0_4arch9wavefront6targetE1EEEvSF_,comdat
.Lfunc_end2574:
	.size	_ZN7rocprim17ROCPRIM_400000_NS6detail17trampoline_kernelINS0_14default_configENS1_38merge_sort_block_merge_config_selectorIdNS0_10empty_typeEEEZZNS1_27merge_sort_block_merge_implIS3_PdPS5_jNS1_19radix_merge_compareILb1ELb0EdNS0_19identity_decomposerEEEEE10hipError_tT0_T1_T2_jT3_P12ihipStream_tbPNSt15iterator_traitsISE_E10value_typeEPNSK_ISF_E10value_typeEPSG_NS1_7vsmem_tEENKUlT_SE_SF_SG_E_clIS8_S8_S9_S9_EESD_ST_SE_SF_SG_EUlST_E_NS1_11comp_targetILNS1_3genE10ELNS1_11target_archE1201ELNS1_3gpuE5ELNS1_3repE0EEENS1_48merge_mergepath_partition_config_static_selectorELNS0_4arch9wavefront6targetE1EEEvSF_, .Lfunc_end2574-_ZN7rocprim17ROCPRIM_400000_NS6detail17trampoline_kernelINS0_14default_configENS1_38merge_sort_block_merge_config_selectorIdNS0_10empty_typeEEEZZNS1_27merge_sort_block_merge_implIS3_PdPS5_jNS1_19radix_merge_compareILb1ELb0EdNS0_19identity_decomposerEEEEE10hipError_tT0_T1_T2_jT3_P12ihipStream_tbPNSt15iterator_traitsISE_E10value_typeEPNSK_ISF_E10value_typeEPSG_NS1_7vsmem_tEENKUlT_SE_SF_SG_E_clIS8_S8_S9_S9_EESD_ST_SE_SF_SG_EUlST_E_NS1_11comp_targetILNS1_3genE10ELNS1_11target_archE1201ELNS1_3gpuE5ELNS1_3repE0EEENS1_48merge_mergepath_partition_config_static_selectorELNS0_4arch9wavefront6targetE1EEEvSF_
                                        ; -- End function
	.section	.AMDGPU.csdata,"",@progbits
; Kernel info:
; codeLenInByte = 0
; NumSgprs: 4
; NumVgprs: 0
; NumAgprs: 0
; TotalNumVgprs: 0
; ScratchSize: 0
; MemoryBound: 0
; FloatMode: 240
; IeeeMode: 1
; LDSByteSize: 0 bytes/workgroup (compile time only)
; SGPRBlocks: 0
; VGPRBlocks: 0
; NumSGPRsForWavesPerEU: 4
; NumVGPRsForWavesPerEU: 1
; AccumOffset: 4
; Occupancy: 8
; WaveLimiterHint : 0
; COMPUTE_PGM_RSRC2:SCRATCH_EN: 0
; COMPUTE_PGM_RSRC2:USER_SGPR: 6
; COMPUTE_PGM_RSRC2:TRAP_HANDLER: 0
; COMPUTE_PGM_RSRC2:TGID_X_EN: 1
; COMPUTE_PGM_RSRC2:TGID_Y_EN: 0
; COMPUTE_PGM_RSRC2:TGID_Z_EN: 0
; COMPUTE_PGM_RSRC2:TIDIG_COMP_CNT: 0
; COMPUTE_PGM_RSRC3_GFX90A:ACCUM_OFFSET: 0
; COMPUTE_PGM_RSRC3_GFX90A:TG_SPLIT: 0
	.section	.text._ZN7rocprim17ROCPRIM_400000_NS6detail17trampoline_kernelINS0_14default_configENS1_38merge_sort_block_merge_config_selectorIdNS0_10empty_typeEEEZZNS1_27merge_sort_block_merge_implIS3_PdPS5_jNS1_19radix_merge_compareILb1ELb0EdNS0_19identity_decomposerEEEEE10hipError_tT0_T1_T2_jT3_P12ihipStream_tbPNSt15iterator_traitsISE_E10value_typeEPNSK_ISF_E10value_typeEPSG_NS1_7vsmem_tEENKUlT_SE_SF_SG_E_clIS8_S8_S9_S9_EESD_ST_SE_SF_SG_EUlST_E_NS1_11comp_targetILNS1_3genE5ELNS1_11target_archE942ELNS1_3gpuE9ELNS1_3repE0EEENS1_48merge_mergepath_partition_config_static_selectorELNS0_4arch9wavefront6targetE1EEEvSF_,"axG",@progbits,_ZN7rocprim17ROCPRIM_400000_NS6detail17trampoline_kernelINS0_14default_configENS1_38merge_sort_block_merge_config_selectorIdNS0_10empty_typeEEEZZNS1_27merge_sort_block_merge_implIS3_PdPS5_jNS1_19radix_merge_compareILb1ELb0EdNS0_19identity_decomposerEEEEE10hipError_tT0_T1_T2_jT3_P12ihipStream_tbPNSt15iterator_traitsISE_E10value_typeEPNSK_ISF_E10value_typeEPSG_NS1_7vsmem_tEENKUlT_SE_SF_SG_E_clIS8_S8_S9_S9_EESD_ST_SE_SF_SG_EUlST_E_NS1_11comp_targetILNS1_3genE5ELNS1_11target_archE942ELNS1_3gpuE9ELNS1_3repE0EEENS1_48merge_mergepath_partition_config_static_selectorELNS0_4arch9wavefront6targetE1EEEvSF_,comdat
	.protected	_ZN7rocprim17ROCPRIM_400000_NS6detail17trampoline_kernelINS0_14default_configENS1_38merge_sort_block_merge_config_selectorIdNS0_10empty_typeEEEZZNS1_27merge_sort_block_merge_implIS3_PdPS5_jNS1_19radix_merge_compareILb1ELb0EdNS0_19identity_decomposerEEEEE10hipError_tT0_T1_T2_jT3_P12ihipStream_tbPNSt15iterator_traitsISE_E10value_typeEPNSK_ISF_E10value_typeEPSG_NS1_7vsmem_tEENKUlT_SE_SF_SG_E_clIS8_S8_S9_S9_EESD_ST_SE_SF_SG_EUlST_E_NS1_11comp_targetILNS1_3genE5ELNS1_11target_archE942ELNS1_3gpuE9ELNS1_3repE0EEENS1_48merge_mergepath_partition_config_static_selectorELNS0_4arch9wavefront6targetE1EEEvSF_ ; -- Begin function _ZN7rocprim17ROCPRIM_400000_NS6detail17trampoline_kernelINS0_14default_configENS1_38merge_sort_block_merge_config_selectorIdNS0_10empty_typeEEEZZNS1_27merge_sort_block_merge_implIS3_PdPS5_jNS1_19radix_merge_compareILb1ELb0EdNS0_19identity_decomposerEEEEE10hipError_tT0_T1_T2_jT3_P12ihipStream_tbPNSt15iterator_traitsISE_E10value_typeEPNSK_ISF_E10value_typeEPSG_NS1_7vsmem_tEENKUlT_SE_SF_SG_E_clIS8_S8_S9_S9_EESD_ST_SE_SF_SG_EUlST_E_NS1_11comp_targetILNS1_3genE5ELNS1_11target_archE942ELNS1_3gpuE9ELNS1_3repE0EEENS1_48merge_mergepath_partition_config_static_selectorELNS0_4arch9wavefront6targetE1EEEvSF_
	.globl	_ZN7rocprim17ROCPRIM_400000_NS6detail17trampoline_kernelINS0_14default_configENS1_38merge_sort_block_merge_config_selectorIdNS0_10empty_typeEEEZZNS1_27merge_sort_block_merge_implIS3_PdPS5_jNS1_19radix_merge_compareILb1ELb0EdNS0_19identity_decomposerEEEEE10hipError_tT0_T1_T2_jT3_P12ihipStream_tbPNSt15iterator_traitsISE_E10value_typeEPNSK_ISF_E10value_typeEPSG_NS1_7vsmem_tEENKUlT_SE_SF_SG_E_clIS8_S8_S9_S9_EESD_ST_SE_SF_SG_EUlST_E_NS1_11comp_targetILNS1_3genE5ELNS1_11target_archE942ELNS1_3gpuE9ELNS1_3repE0EEENS1_48merge_mergepath_partition_config_static_selectorELNS0_4arch9wavefront6targetE1EEEvSF_
	.p2align	8
	.type	_ZN7rocprim17ROCPRIM_400000_NS6detail17trampoline_kernelINS0_14default_configENS1_38merge_sort_block_merge_config_selectorIdNS0_10empty_typeEEEZZNS1_27merge_sort_block_merge_implIS3_PdPS5_jNS1_19radix_merge_compareILb1ELb0EdNS0_19identity_decomposerEEEEE10hipError_tT0_T1_T2_jT3_P12ihipStream_tbPNSt15iterator_traitsISE_E10value_typeEPNSK_ISF_E10value_typeEPSG_NS1_7vsmem_tEENKUlT_SE_SF_SG_E_clIS8_S8_S9_S9_EESD_ST_SE_SF_SG_EUlST_E_NS1_11comp_targetILNS1_3genE5ELNS1_11target_archE942ELNS1_3gpuE9ELNS1_3repE0EEENS1_48merge_mergepath_partition_config_static_selectorELNS0_4arch9wavefront6targetE1EEEvSF_,@function
_ZN7rocprim17ROCPRIM_400000_NS6detail17trampoline_kernelINS0_14default_configENS1_38merge_sort_block_merge_config_selectorIdNS0_10empty_typeEEEZZNS1_27merge_sort_block_merge_implIS3_PdPS5_jNS1_19radix_merge_compareILb1ELb0EdNS0_19identity_decomposerEEEEE10hipError_tT0_T1_T2_jT3_P12ihipStream_tbPNSt15iterator_traitsISE_E10value_typeEPNSK_ISF_E10value_typeEPSG_NS1_7vsmem_tEENKUlT_SE_SF_SG_E_clIS8_S8_S9_S9_EESD_ST_SE_SF_SG_EUlST_E_NS1_11comp_targetILNS1_3genE5ELNS1_11target_archE942ELNS1_3gpuE9ELNS1_3repE0EEENS1_48merge_mergepath_partition_config_static_selectorELNS0_4arch9wavefront6targetE1EEEvSF_: ; @_ZN7rocprim17ROCPRIM_400000_NS6detail17trampoline_kernelINS0_14default_configENS1_38merge_sort_block_merge_config_selectorIdNS0_10empty_typeEEEZZNS1_27merge_sort_block_merge_implIS3_PdPS5_jNS1_19radix_merge_compareILb1ELb0EdNS0_19identity_decomposerEEEEE10hipError_tT0_T1_T2_jT3_P12ihipStream_tbPNSt15iterator_traitsISE_E10value_typeEPNSK_ISF_E10value_typeEPSG_NS1_7vsmem_tEENKUlT_SE_SF_SG_E_clIS8_S8_S9_S9_EESD_ST_SE_SF_SG_EUlST_E_NS1_11comp_targetILNS1_3genE5ELNS1_11target_archE942ELNS1_3gpuE9ELNS1_3repE0EEENS1_48merge_mergepath_partition_config_static_selectorELNS0_4arch9wavefront6targetE1EEEvSF_
; %bb.0:
	.section	.rodata,"a",@progbits
	.p2align	6, 0x0
	.amdhsa_kernel _ZN7rocprim17ROCPRIM_400000_NS6detail17trampoline_kernelINS0_14default_configENS1_38merge_sort_block_merge_config_selectorIdNS0_10empty_typeEEEZZNS1_27merge_sort_block_merge_implIS3_PdPS5_jNS1_19radix_merge_compareILb1ELb0EdNS0_19identity_decomposerEEEEE10hipError_tT0_T1_T2_jT3_P12ihipStream_tbPNSt15iterator_traitsISE_E10value_typeEPNSK_ISF_E10value_typeEPSG_NS1_7vsmem_tEENKUlT_SE_SF_SG_E_clIS8_S8_S9_S9_EESD_ST_SE_SF_SG_EUlST_E_NS1_11comp_targetILNS1_3genE5ELNS1_11target_archE942ELNS1_3gpuE9ELNS1_3repE0EEENS1_48merge_mergepath_partition_config_static_selectorELNS0_4arch9wavefront6targetE1EEEvSF_
		.amdhsa_group_segment_fixed_size 0
		.amdhsa_private_segment_fixed_size 0
		.amdhsa_kernarg_size 40
		.amdhsa_user_sgpr_count 6
		.amdhsa_user_sgpr_private_segment_buffer 1
		.amdhsa_user_sgpr_dispatch_ptr 0
		.amdhsa_user_sgpr_queue_ptr 0
		.amdhsa_user_sgpr_kernarg_segment_ptr 1
		.amdhsa_user_sgpr_dispatch_id 0
		.amdhsa_user_sgpr_flat_scratch_init 0
		.amdhsa_user_sgpr_kernarg_preload_length 0
		.amdhsa_user_sgpr_kernarg_preload_offset 0
		.amdhsa_user_sgpr_private_segment_size 0
		.amdhsa_uses_dynamic_stack 0
		.amdhsa_system_sgpr_private_segment_wavefront_offset 0
		.amdhsa_system_sgpr_workgroup_id_x 1
		.amdhsa_system_sgpr_workgroup_id_y 0
		.amdhsa_system_sgpr_workgroup_id_z 0
		.amdhsa_system_sgpr_workgroup_info 0
		.amdhsa_system_vgpr_workitem_id 0
		.amdhsa_next_free_vgpr 1
		.amdhsa_next_free_sgpr 0
		.amdhsa_accum_offset 4
		.amdhsa_reserve_vcc 0
		.amdhsa_reserve_flat_scratch 0
		.amdhsa_float_round_mode_32 0
		.amdhsa_float_round_mode_16_64 0
		.amdhsa_float_denorm_mode_32 3
		.amdhsa_float_denorm_mode_16_64 3
		.amdhsa_dx10_clamp 1
		.amdhsa_ieee_mode 1
		.amdhsa_fp16_overflow 0
		.amdhsa_tg_split 0
		.amdhsa_exception_fp_ieee_invalid_op 0
		.amdhsa_exception_fp_denorm_src 0
		.amdhsa_exception_fp_ieee_div_zero 0
		.amdhsa_exception_fp_ieee_overflow 0
		.amdhsa_exception_fp_ieee_underflow 0
		.amdhsa_exception_fp_ieee_inexact 0
		.amdhsa_exception_int_div_zero 0
	.end_amdhsa_kernel
	.section	.text._ZN7rocprim17ROCPRIM_400000_NS6detail17trampoline_kernelINS0_14default_configENS1_38merge_sort_block_merge_config_selectorIdNS0_10empty_typeEEEZZNS1_27merge_sort_block_merge_implIS3_PdPS5_jNS1_19radix_merge_compareILb1ELb0EdNS0_19identity_decomposerEEEEE10hipError_tT0_T1_T2_jT3_P12ihipStream_tbPNSt15iterator_traitsISE_E10value_typeEPNSK_ISF_E10value_typeEPSG_NS1_7vsmem_tEENKUlT_SE_SF_SG_E_clIS8_S8_S9_S9_EESD_ST_SE_SF_SG_EUlST_E_NS1_11comp_targetILNS1_3genE5ELNS1_11target_archE942ELNS1_3gpuE9ELNS1_3repE0EEENS1_48merge_mergepath_partition_config_static_selectorELNS0_4arch9wavefront6targetE1EEEvSF_,"axG",@progbits,_ZN7rocprim17ROCPRIM_400000_NS6detail17trampoline_kernelINS0_14default_configENS1_38merge_sort_block_merge_config_selectorIdNS0_10empty_typeEEEZZNS1_27merge_sort_block_merge_implIS3_PdPS5_jNS1_19radix_merge_compareILb1ELb0EdNS0_19identity_decomposerEEEEE10hipError_tT0_T1_T2_jT3_P12ihipStream_tbPNSt15iterator_traitsISE_E10value_typeEPNSK_ISF_E10value_typeEPSG_NS1_7vsmem_tEENKUlT_SE_SF_SG_E_clIS8_S8_S9_S9_EESD_ST_SE_SF_SG_EUlST_E_NS1_11comp_targetILNS1_3genE5ELNS1_11target_archE942ELNS1_3gpuE9ELNS1_3repE0EEENS1_48merge_mergepath_partition_config_static_selectorELNS0_4arch9wavefront6targetE1EEEvSF_,comdat
.Lfunc_end2575:
	.size	_ZN7rocprim17ROCPRIM_400000_NS6detail17trampoline_kernelINS0_14default_configENS1_38merge_sort_block_merge_config_selectorIdNS0_10empty_typeEEEZZNS1_27merge_sort_block_merge_implIS3_PdPS5_jNS1_19radix_merge_compareILb1ELb0EdNS0_19identity_decomposerEEEEE10hipError_tT0_T1_T2_jT3_P12ihipStream_tbPNSt15iterator_traitsISE_E10value_typeEPNSK_ISF_E10value_typeEPSG_NS1_7vsmem_tEENKUlT_SE_SF_SG_E_clIS8_S8_S9_S9_EESD_ST_SE_SF_SG_EUlST_E_NS1_11comp_targetILNS1_3genE5ELNS1_11target_archE942ELNS1_3gpuE9ELNS1_3repE0EEENS1_48merge_mergepath_partition_config_static_selectorELNS0_4arch9wavefront6targetE1EEEvSF_, .Lfunc_end2575-_ZN7rocprim17ROCPRIM_400000_NS6detail17trampoline_kernelINS0_14default_configENS1_38merge_sort_block_merge_config_selectorIdNS0_10empty_typeEEEZZNS1_27merge_sort_block_merge_implIS3_PdPS5_jNS1_19radix_merge_compareILb1ELb0EdNS0_19identity_decomposerEEEEE10hipError_tT0_T1_T2_jT3_P12ihipStream_tbPNSt15iterator_traitsISE_E10value_typeEPNSK_ISF_E10value_typeEPSG_NS1_7vsmem_tEENKUlT_SE_SF_SG_E_clIS8_S8_S9_S9_EESD_ST_SE_SF_SG_EUlST_E_NS1_11comp_targetILNS1_3genE5ELNS1_11target_archE942ELNS1_3gpuE9ELNS1_3repE0EEENS1_48merge_mergepath_partition_config_static_selectorELNS0_4arch9wavefront6targetE1EEEvSF_
                                        ; -- End function
	.section	.AMDGPU.csdata,"",@progbits
; Kernel info:
; codeLenInByte = 0
; NumSgprs: 4
; NumVgprs: 0
; NumAgprs: 0
; TotalNumVgprs: 0
; ScratchSize: 0
; MemoryBound: 0
; FloatMode: 240
; IeeeMode: 1
; LDSByteSize: 0 bytes/workgroup (compile time only)
; SGPRBlocks: 0
; VGPRBlocks: 0
; NumSGPRsForWavesPerEU: 4
; NumVGPRsForWavesPerEU: 1
; AccumOffset: 4
; Occupancy: 8
; WaveLimiterHint : 0
; COMPUTE_PGM_RSRC2:SCRATCH_EN: 0
; COMPUTE_PGM_RSRC2:USER_SGPR: 6
; COMPUTE_PGM_RSRC2:TRAP_HANDLER: 0
; COMPUTE_PGM_RSRC2:TGID_X_EN: 1
; COMPUTE_PGM_RSRC2:TGID_Y_EN: 0
; COMPUTE_PGM_RSRC2:TGID_Z_EN: 0
; COMPUTE_PGM_RSRC2:TIDIG_COMP_CNT: 0
; COMPUTE_PGM_RSRC3_GFX90A:ACCUM_OFFSET: 0
; COMPUTE_PGM_RSRC3_GFX90A:TG_SPLIT: 0
	.section	.text._ZN7rocprim17ROCPRIM_400000_NS6detail17trampoline_kernelINS0_14default_configENS1_38merge_sort_block_merge_config_selectorIdNS0_10empty_typeEEEZZNS1_27merge_sort_block_merge_implIS3_PdPS5_jNS1_19radix_merge_compareILb1ELb0EdNS0_19identity_decomposerEEEEE10hipError_tT0_T1_T2_jT3_P12ihipStream_tbPNSt15iterator_traitsISE_E10value_typeEPNSK_ISF_E10value_typeEPSG_NS1_7vsmem_tEENKUlT_SE_SF_SG_E_clIS8_S8_S9_S9_EESD_ST_SE_SF_SG_EUlST_E_NS1_11comp_targetILNS1_3genE4ELNS1_11target_archE910ELNS1_3gpuE8ELNS1_3repE0EEENS1_48merge_mergepath_partition_config_static_selectorELNS0_4arch9wavefront6targetE1EEEvSF_,"axG",@progbits,_ZN7rocprim17ROCPRIM_400000_NS6detail17trampoline_kernelINS0_14default_configENS1_38merge_sort_block_merge_config_selectorIdNS0_10empty_typeEEEZZNS1_27merge_sort_block_merge_implIS3_PdPS5_jNS1_19radix_merge_compareILb1ELb0EdNS0_19identity_decomposerEEEEE10hipError_tT0_T1_T2_jT3_P12ihipStream_tbPNSt15iterator_traitsISE_E10value_typeEPNSK_ISF_E10value_typeEPSG_NS1_7vsmem_tEENKUlT_SE_SF_SG_E_clIS8_S8_S9_S9_EESD_ST_SE_SF_SG_EUlST_E_NS1_11comp_targetILNS1_3genE4ELNS1_11target_archE910ELNS1_3gpuE8ELNS1_3repE0EEENS1_48merge_mergepath_partition_config_static_selectorELNS0_4arch9wavefront6targetE1EEEvSF_,comdat
	.protected	_ZN7rocprim17ROCPRIM_400000_NS6detail17trampoline_kernelINS0_14default_configENS1_38merge_sort_block_merge_config_selectorIdNS0_10empty_typeEEEZZNS1_27merge_sort_block_merge_implIS3_PdPS5_jNS1_19radix_merge_compareILb1ELb0EdNS0_19identity_decomposerEEEEE10hipError_tT0_T1_T2_jT3_P12ihipStream_tbPNSt15iterator_traitsISE_E10value_typeEPNSK_ISF_E10value_typeEPSG_NS1_7vsmem_tEENKUlT_SE_SF_SG_E_clIS8_S8_S9_S9_EESD_ST_SE_SF_SG_EUlST_E_NS1_11comp_targetILNS1_3genE4ELNS1_11target_archE910ELNS1_3gpuE8ELNS1_3repE0EEENS1_48merge_mergepath_partition_config_static_selectorELNS0_4arch9wavefront6targetE1EEEvSF_ ; -- Begin function _ZN7rocprim17ROCPRIM_400000_NS6detail17trampoline_kernelINS0_14default_configENS1_38merge_sort_block_merge_config_selectorIdNS0_10empty_typeEEEZZNS1_27merge_sort_block_merge_implIS3_PdPS5_jNS1_19radix_merge_compareILb1ELb0EdNS0_19identity_decomposerEEEEE10hipError_tT0_T1_T2_jT3_P12ihipStream_tbPNSt15iterator_traitsISE_E10value_typeEPNSK_ISF_E10value_typeEPSG_NS1_7vsmem_tEENKUlT_SE_SF_SG_E_clIS8_S8_S9_S9_EESD_ST_SE_SF_SG_EUlST_E_NS1_11comp_targetILNS1_3genE4ELNS1_11target_archE910ELNS1_3gpuE8ELNS1_3repE0EEENS1_48merge_mergepath_partition_config_static_selectorELNS0_4arch9wavefront6targetE1EEEvSF_
	.globl	_ZN7rocprim17ROCPRIM_400000_NS6detail17trampoline_kernelINS0_14default_configENS1_38merge_sort_block_merge_config_selectorIdNS0_10empty_typeEEEZZNS1_27merge_sort_block_merge_implIS3_PdPS5_jNS1_19radix_merge_compareILb1ELb0EdNS0_19identity_decomposerEEEEE10hipError_tT0_T1_T2_jT3_P12ihipStream_tbPNSt15iterator_traitsISE_E10value_typeEPNSK_ISF_E10value_typeEPSG_NS1_7vsmem_tEENKUlT_SE_SF_SG_E_clIS8_S8_S9_S9_EESD_ST_SE_SF_SG_EUlST_E_NS1_11comp_targetILNS1_3genE4ELNS1_11target_archE910ELNS1_3gpuE8ELNS1_3repE0EEENS1_48merge_mergepath_partition_config_static_selectorELNS0_4arch9wavefront6targetE1EEEvSF_
	.p2align	8
	.type	_ZN7rocprim17ROCPRIM_400000_NS6detail17trampoline_kernelINS0_14default_configENS1_38merge_sort_block_merge_config_selectorIdNS0_10empty_typeEEEZZNS1_27merge_sort_block_merge_implIS3_PdPS5_jNS1_19radix_merge_compareILb1ELb0EdNS0_19identity_decomposerEEEEE10hipError_tT0_T1_T2_jT3_P12ihipStream_tbPNSt15iterator_traitsISE_E10value_typeEPNSK_ISF_E10value_typeEPSG_NS1_7vsmem_tEENKUlT_SE_SF_SG_E_clIS8_S8_S9_S9_EESD_ST_SE_SF_SG_EUlST_E_NS1_11comp_targetILNS1_3genE4ELNS1_11target_archE910ELNS1_3gpuE8ELNS1_3repE0EEENS1_48merge_mergepath_partition_config_static_selectorELNS0_4arch9wavefront6targetE1EEEvSF_,@function
_ZN7rocprim17ROCPRIM_400000_NS6detail17trampoline_kernelINS0_14default_configENS1_38merge_sort_block_merge_config_selectorIdNS0_10empty_typeEEEZZNS1_27merge_sort_block_merge_implIS3_PdPS5_jNS1_19radix_merge_compareILb1ELb0EdNS0_19identity_decomposerEEEEE10hipError_tT0_T1_T2_jT3_P12ihipStream_tbPNSt15iterator_traitsISE_E10value_typeEPNSK_ISF_E10value_typeEPSG_NS1_7vsmem_tEENKUlT_SE_SF_SG_E_clIS8_S8_S9_S9_EESD_ST_SE_SF_SG_EUlST_E_NS1_11comp_targetILNS1_3genE4ELNS1_11target_archE910ELNS1_3gpuE8ELNS1_3repE0EEENS1_48merge_mergepath_partition_config_static_selectorELNS0_4arch9wavefront6targetE1EEEvSF_: ; @_ZN7rocprim17ROCPRIM_400000_NS6detail17trampoline_kernelINS0_14default_configENS1_38merge_sort_block_merge_config_selectorIdNS0_10empty_typeEEEZZNS1_27merge_sort_block_merge_implIS3_PdPS5_jNS1_19radix_merge_compareILb1ELb0EdNS0_19identity_decomposerEEEEE10hipError_tT0_T1_T2_jT3_P12ihipStream_tbPNSt15iterator_traitsISE_E10value_typeEPNSK_ISF_E10value_typeEPSG_NS1_7vsmem_tEENKUlT_SE_SF_SG_E_clIS8_S8_S9_S9_EESD_ST_SE_SF_SG_EUlST_E_NS1_11comp_targetILNS1_3genE4ELNS1_11target_archE910ELNS1_3gpuE8ELNS1_3repE0EEENS1_48merge_mergepath_partition_config_static_selectorELNS0_4arch9wavefront6targetE1EEEvSF_
; %bb.0:
	s_load_dword s0, s[4:5], 0x0
	v_lshl_or_b32 v0, s6, 7, v0
	s_waitcnt lgkmcnt(0)
	v_cmp_gt_u32_e32 vcc, s0, v0
	s_and_saveexec_b64 s[0:1], vcc
	s_cbranch_execz .LBB2576_6
; %bb.1:
	s_load_dwordx2 s[2:3], s[4:5], 0x4
	s_load_dwordx2 s[0:1], s[4:5], 0x20
	s_waitcnt lgkmcnt(0)
	s_lshr_b32 s6, s2, 9
	s_and_b32 s6, s6, 0x7ffffe
	s_add_i32 s7, s6, -1
	s_sub_i32 s6, 0, s6
	v_and_b32_e32 v1, s6, v0
	v_lshlrev_b32_e32 v1, 10, v1
	v_min_u32_e32 v2, s3, v1
	v_add_u32_e32 v1, s2, v1
	v_min_u32_e32 v4, s3, v1
	v_add_u32_e32 v1, s2, v4
	v_and_b32_e32 v3, s7, v0
	v_min_u32_e32 v1, s3, v1
	v_sub_u32_e32 v5, v1, v2
	v_lshlrev_b32_e32 v3, 10, v3
	v_min_u32_e32 v6, v5, v3
	v_sub_u32_e32 v3, v4, v2
	v_sub_u32_e32 v1, v1, v4
	v_sub_u32_e64 v1, v6, v1 clamp
	v_min_u32_e32 v7, v6, v3
	v_cmp_lt_u32_e32 vcc, v1, v7
	s_and_saveexec_b64 s[2:3], vcc
	s_cbranch_execz .LBB2576_5
; %bb.2:
	s_load_dwordx2 s[4:5], s[4:5], 0x10
	v_mov_b32_e32 v5, 0
	v_mov_b32_e32 v3, v5
	v_lshlrev_b64 v[8:9], 3, v[2:3]
	v_lshlrev_b64 v[10:11], 3, v[4:5]
	s_waitcnt lgkmcnt(0)
	v_mov_b32_e32 v12, s5
	v_add_co_u32_e32 v3, vcc, s4, v8
	v_addc_co_u32_e32 v8, vcc, v12, v9, vcc
	v_add_co_u32_e32 v9, vcc, s4, v10
	v_addc_co_u32_e32 v10, vcc, v12, v11, vcc
	s_mov_b64 s[4:5], 0
.LBB2576_3:                             ; =>This Inner Loop Header: Depth=1
	v_add_u32_e32 v4, v7, v1
	v_lshrrev_b32_e32 v4, 1, v4
	v_lshlrev_b64 v[14:15], 3, v[4:5]
	v_mov_b32_e32 v13, v5
	v_xad_u32 v12, v4, -1, v6
	v_add_co_u32_e32 v14, vcc, v3, v14
	v_addc_co_u32_e32 v15, vcc, v8, v15, vcc
	v_lshlrev_b64 v[12:13], 3, v[12:13]
	v_add_co_u32_e32 v12, vcc, v9, v12
	v_addc_co_u32_e32 v13, vcc, v10, v13, vcc
	global_load_dwordx2 v[16:17], v[14:15], off
	global_load_dwordx2 v[18:19], v[12:13], off
	v_add_u32_e32 v11, 1, v4
	s_waitcnt vmcnt(1)
	v_add_f64 v[12:13], v[16:17], 0
	s_waitcnt vmcnt(0)
	v_add_f64 v[14:15], v[18:19], 0
	v_ashrrev_i32_e32 v16, 31, v13
	v_ashrrev_i32_e32 v17, 31, v15
	v_or_b32_e32 v18, 0x80000000, v16
	v_xor_b32_e32 v12, v16, v12
	v_or_b32_e32 v16, 0x80000000, v17
	v_xor_b32_e32 v14, v17, v14
	v_xor_b32_e32 v13, v18, v13
	;; [unrolled: 1-line block ×3, first 2 shown]
	v_cmp_gt_u64_e32 vcc, v[14:15], v[12:13]
	v_cndmask_b32_e32 v7, v7, v4, vcc
	v_cndmask_b32_e32 v1, v11, v1, vcc
	v_cmp_ge_u32_e32 vcc, v1, v7
	s_or_b64 s[4:5], vcc, s[4:5]
	s_andn2_b64 exec, exec, s[4:5]
	s_cbranch_execnz .LBB2576_3
; %bb.4:
	s_or_b64 exec, exec, s[4:5]
.LBB2576_5:
	s_or_b64 exec, exec, s[2:3]
	v_add_u32_e32 v2, v1, v2
	v_mov_b32_e32 v1, 0
	v_lshlrev_b64 v[0:1], 2, v[0:1]
	v_mov_b32_e32 v3, s1
	v_add_co_u32_e32 v0, vcc, s0, v0
	v_addc_co_u32_e32 v1, vcc, v3, v1, vcc
	global_store_dword v[0:1], v2, off
.LBB2576_6:
	s_endpgm
	.section	.rodata,"a",@progbits
	.p2align	6, 0x0
	.amdhsa_kernel _ZN7rocprim17ROCPRIM_400000_NS6detail17trampoline_kernelINS0_14default_configENS1_38merge_sort_block_merge_config_selectorIdNS0_10empty_typeEEEZZNS1_27merge_sort_block_merge_implIS3_PdPS5_jNS1_19radix_merge_compareILb1ELb0EdNS0_19identity_decomposerEEEEE10hipError_tT0_T1_T2_jT3_P12ihipStream_tbPNSt15iterator_traitsISE_E10value_typeEPNSK_ISF_E10value_typeEPSG_NS1_7vsmem_tEENKUlT_SE_SF_SG_E_clIS8_S8_S9_S9_EESD_ST_SE_SF_SG_EUlST_E_NS1_11comp_targetILNS1_3genE4ELNS1_11target_archE910ELNS1_3gpuE8ELNS1_3repE0EEENS1_48merge_mergepath_partition_config_static_selectorELNS0_4arch9wavefront6targetE1EEEvSF_
		.amdhsa_group_segment_fixed_size 0
		.amdhsa_private_segment_fixed_size 0
		.amdhsa_kernarg_size 40
		.amdhsa_user_sgpr_count 6
		.amdhsa_user_sgpr_private_segment_buffer 1
		.amdhsa_user_sgpr_dispatch_ptr 0
		.amdhsa_user_sgpr_queue_ptr 0
		.amdhsa_user_sgpr_kernarg_segment_ptr 1
		.amdhsa_user_sgpr_dispatch_id 0
		.amdhsa_user_sgpr_flat_scratch_init 0
		.amdhsa_user_sgpr_kernarg_preload_length 0
		.amdhsa_user_sgpr_kernarg_preload_offset 0
		.amdhsa_user_sgpr_private_segment_size 0
		.amdhsa_uses_dynamic_stack 0
		.amdhsa_system_sgpr_private_segment_wavefront_offset 0
		.amdhsa_system_sgpr_workgroup_id_x 1
		.amdhsa_system_sgpr_workgroup_id_y 0
		.amdhsa_system_sgpr_workgroup_id_z 0
		.amdhsa_system_sgpr_workgroup_info 0
		.amdhsa_system_vgpr_workitem_id 0
		.amdhsa_next_free_vgpr 20
		.amdhsa_next_free_sgpr 8
		.amdhsa_accum_offset 20
		.amdhsa_reserve_vcc 1
		.amdhsa_reserve_flat_scratch 0
		.amdhsa_float_round_mode_32 0
		.amdhsa_float_round_mode_16_64 0
		.amdhsa_float_denorm_mode_32 3
		.amdhsa_float_denorm_mode_16_64 3
		.amdhsa_dx10_clamp 1
		.amdhsa_ieee_mode 1
		.amdhsa_fp16_overflow 0
		.amdhsa_tg_split 0
		.amdhsa_exception_fp_ieee_invalid_op 0
		.amdhsa_exception_fp_denorm_src 0
		.amdhsa_exception_fp_ieee_div_zero 0
		.amdhsa_exception_fp_ieee_overflow 0
		.amdhsa_exception_fp_ieee_underflow 0
		.amdhsa_exception_fp_ieee_inexact 0
		.amdhsa_exception_int_div_zero 0
	.end_amdhsa_kernel
	.section	.text._ZN7rocprim17ROCPRIM_400000_NS6detail17trampoline_kernelINS0_14default_configENS1_38merge_sort_block_merge_config_selectorIdNS0_10empty_typeEEEZZNS1_27merge_sort_block_merge_implIS3_PdPS5_jNS1_19radix_merge_compareILb1ELb0EdNS0_19identity_decomposerEEEEE10hipError_tT0_T1_T2_jT3_P12ihipStream_tbPNSt15iterator_traitsISE_E10value_typeEPNSK_ISF_E10value_typeEPSG_NS1_7vsmem_tEENKUlT_SE_SF_SG_E_clIS8_S8_S9_S9_EESD_ST_SE_SF_SG_EUlST_E_NS1_11comp_targetILNS1_3genE4ELNS1_11target_archE910ELNS1_3gpuE8ELNS1_3repE0EEENS1_48merge_mergepath_partition_config_static_selectorELNS0_4arch9wavefront6targetE1EEEvSF_,"axG",@progbits,_ZN7rocprim17ROCPRIM_400000_NS6detail17trampoline_kernelINS0_14default_configENS1_38merge_sort_block_merge_config_selectorIdNS0_10empty_typeEEEZZNS1_27merge_sort_block_merge_implIS3_PdPS5_jNS1_19radix_merge_compareILb1ELb0EdNS0_19identity_decomposerEEEEE10hipError_tT0_T1_T2_jT3_P12ihipStream_tbPNSt15iterator_traitsISE_E10value_typeEPNSK_ISF_E10value_typeEPSG_NS1_7vsmem_tEENKUlT_SE_SF_SG_E_clIS8_S8_S9_S9_EESD_ST_SE_SF_SG_EUlST_E_NS1_11comp_targetILNS1_3genE4ELNS1_11target_archE910ELNS1_3gpuE8ELNS1_3repE0EEENS1_48merge_mergepath_partition_config_static_selectorELNS0_4arch9wavefront6targetE1EEEvSF_,comdat
.Lfunc_end2576:
	.size	_ZN7rocprim17ROCPRIM_400000_NS6detail17trampoline_kernelINS0_14default_configENS1_38merge_sort_block_merge_config_selectorIdNS0_10empty_typeEEEZZNS1_27merge_sort_block_merge_implIS3_PdPS5_jNS1_19radix_merge_compareILb1ELb0EdNS0_19identity_decomposerEEEEE10hipError_tT0_T1_T2_jT3_P12ihipStream_tbPNSt15iterator_traitsISE_E10value_typeEPNSK_ISF_E10value_typeEPSG_NS1_7vsmem_tEENKUlT_SE_SF_SG_E_clIS8_S8_S9_S9_EESD_ST_SE_SF_SG_EUlST_E_NS1_11comp_targetILNS1_3genE4ELNS1_11target_archE910ELNS1_3gpuE8ELNS1_3repE0EEENS1_48merge_mergepath_partition_config_static_selectorELNS0_4arch9wavefront6targetE1EEEvSF_, .Lfunc_end2576-_ZN7rocprim17ROCPRIM_400000_NS6detail17trampoline_kernelINS0_14default_configENS1_38merge_sort_block_merge_config_selectorIdNS0_10empty_typeEEEZZNS1_27merge_sort_block_merge_implIS3_PdPS5_jNS1_19radix_merge_compareILb1ELb0EdNS0_19identity_decomposerEEEEE10hipError_tT0_T1_T2_jT3_P12ihipStream_tbPNSt15iterator_traitsISE_E10value_typeEPNSK_ISF_E10value_typeEPSG_NS1_7vsmem_tEENKUlT_SE_SF_SG_E_clIS8_S8_S9_S9_EESD_ST_SE_SF_SG_EUlST_E_NS1_11comp_targetILNS1_3genE4ELNS1_11target_archE910ELNS1_3gpuE8ELNS1_3repE0EEENS1_48merge_mergepath_partition_config_static_selectorELNS0_4arch9wavefront6targetE1EEEvSF_
                                        ; -- End function
	.section	.AMDGPU.csdata,"",@progbits
; Kernel info:
; codeLenInByte = 420
; NumSgprs: 12
; NumVgprs: 20
; NumAgprs: 0
; TotalNumVgprs: 20
; ScratchSize: 0
; MemoryBound: 0
; FloatMode: 240
; IeeeMode: 1
; LDSByteSize: 0 bytes/workgroup (compile time only)
; SGPRBlocks: 1
; VGPRBlocks: 2
; NumSGPRsForWavesPerEU: 12
; NumVGPRsForWavesPerEU: 20
; AccumOffset: 20
; Occupancy: 8
; WaveLimiterHint : 0
; COMPUTE_PGM_RSRC2:SCRATCH_EN: 0
; COMPUTE_PGM_RSRC2:USER_SGPR: 6
; COMPUTE_PGM_RSRC2:TRAP_HANDLER: 0
; COMPUTE_PGM_RSRC2:TGID_X_EN: 1
; COMPUTE_PGM_RSRC2:TGID_Y_EN: 0
; COMPUTE_PGM_RSRC2:TGID_Z_EN: 0
; COMPUTE_PGM_RSRC2:TIDIG_COMP_CNT: 0
; COMPUTE_PGM_RSRC3_GFX90A:ACCUM_OFFSET: 4
; COMPUTE_PGM_RSRC3_GFX90A:TG_SPLIT: 0
	.section	.text._ZN7rocprim17ROCPRIM_400000_NS6detail17trampoline_kernelINS0_14default_configENS1_38merge_sort_block_merge_config_selectorIdNS0_10empty_typeEEEZZNS1_27merge_sort_block_merge_implIS3_PdPS5_jNS1_19radix_merge_compareILb1ELb0EdNS0_19identity_decomposerEEEEE10hipError_tT0_T1_T2_jT3_P12ihipStream_tbPNSt15iterator_traitsISE_E10value_typeEPNSK_ISF_E10value_typeEPSG_NS1_7vsmem_tEENKUlT_SE_SF_SG_E_clIS8_S8_S9_S9_EESD_ST_SE_SF_SG_EUlST_E_NS1_11comp_targetILNS1_3genE3ELNS1_11target_archE908ELNS1_3gpuE7ELNS1_3repE0EEENS1_48merge_mergepath_partition_config_static_selectorELNS0_4arch9wavefront6targetE1EEEvSF_,"axG",@progbits,_ZN7rocprim17ROCPRIM_400000_NS6detail17trampoline_kernelINS0_14default_configENS1_38merge_sort_block_merge_config_selectorIdNS0_10empty_typeEEEZZNS1_27merge_sort_block_merge_implIS3_PdPS5_jNS1_19radix_merge_compareILb1ELb0EdNS0_19identity_decomposerEEEEE10hipError_tT0_T1_T2_jT3_P12ihipStream_tbPNSt15iterator_traitsISE_E10value_typeEPNSK_ISF_E10value_typeEPSG_NS1_7vsmem_tEENKUlT_SE_SF_SG_E_clIS8_S8_S9_S9_EESD_ST_SE_SF_SG_EUlST_E_NS1_11comp_targetILNS1_3genE3ELNS1_11target_archE908ELNS1_3gpuE7ELNS1_3repE0EEENS1_48merge_mergepath_partition_config_static_selectorELNS0_4arch9wavefront6targetE1EEEvSF_,comdat
	.protected	_ZN7rocprim17ROCPRIM_400000_NS6detail17trampoline_kernelINS0_14default_configENS1_38merge_sort_block_merge_config_selectorIdNS0_10empty_typeEEEZZNS1_27merge_sort_block_merge_implIS3_PdPS5_jNS1_19radix_merge_compareILb1ELb0EdNS0_19identity_decomposerEEEEE10hipError_tT0_T1_T2_jT3_P12ihipStream_tbPNSt15iterator_traitsISE_E10value_typeEPNSK_ISF_E10value_typeEPSG_NS1_7vsmem_tEENKUlT_SE_SF_SG_E_clIS8_S8_S9_S9_EESD_ST_SE_SF_SG_EUlST_E_NS1_11comp_targetILNS1_3genE3ELNS1_11target_archE908ELNS1_3gpuE7ELNS1_3repE0EEENS1_48merge_mergepath_partition_config_static_selectorELNS0_4arch9wavefront6targetE1EEEvSF_ ; -- Begin function _ZN7rocprim17ROCPRIM_400000_NS6detail17trampoline_kernelINS0_14default_configENS1_38merge_sort_block_merge_config_selectorIdNS0_10empty_typeEEEZZNS1_27merge_sort_block_merge_implIS3_PdPS5_jNS1_19radix_merge_compareILb1ELb0EdNS0_19identity_decomposerEEEEE10hipError_tT0_T1_T2_jT3_P12ihipStream_tbPNSt15iterator_traitsISE_E10value_typeEPNSK_ISF_E10value_typeEPSG_NS1_7vsmem_tEENKUlT_SE_SF_SG_E_clIS8_S8_S9_S9_EESD_ST_SE_SF_SG_EUlST_E_NS1_11comp_targetILNS1_3genE3ELNS1_11target_archE908ELNS1_3gpuE7ELNS1_3repE0EEENS1_48merge_mergepath_partition_config_static_selectorELNS0_4arch9wavefront6targetE1EEEvSF_
	.globl	_ZN7rocprim17ROCPRIM_400000_NS6detail17trampoline_kernelINS0_14default_configENS1_38merge_sort_block_merge_config_selectorIdNS0_10empty_typeEEEZZNS1_27merge_sort_block_merge_implIS3_PdPS5_jNS1_19radix_merge_compareILb1ELb0EdNS0_19identity_decomposerEEEEE10hipError_tT0_T1_T2_jT3_P12ihipStream_tbPNSt15iterator_traitsISE_E10value_typeEPNSK_ISF_E10value_typeEPSG_NS1_7vsmem_tEENKUlT_SE_SF_SG_E_clIS8_S8_S9_S9_EESD_ST_SE_SF_SG_EUlST_E_NS1_11comp_targetILNS1_3genE3ELNS1_11target_archE908ELNS1_3gpuE7ELNS1_3repE0EEENS1_48merge_mergepath_partition_config_static_selectorELNS0_4arch9wavefront6targetE1EEEvSF_
	.p2align	8
	.type	_ZN7rocprim17ROCPRIM_400000_NS6detail17trampoline_kernelINS0_14default_configENS1_38merge_sort_block_merge_config_selectorIdNS0_10empty_typeEEEZZNS1_27merge_sort_block_merge_implIS3_PdPS5_jNS1_19radix_merge_compareILb1ELb0EdNS0_19identity_decomposerEEEEE10hipError_tT0_T1_T2_jT3_P12ihipStream_tbPNSt15iterator_traitsISE_E10value_typeEPNSK_ISF_E10value_typeEPSG_NS1_7vsmem_tEENKUlT_SE_SF_SG_E_clIS8_S8_S9_S9_EESD_ST_SE_SF_SG_EUlST_E_NS1_11comp_targetILNS1_3genE3ELNS1_11target_archE908ELNS1_3gpuE7ELNS1_3repE0EEENS1_48merge_mergepath_partition_config_static_selectorELNS0_4arch9wavefront6targetE1EEEvSF_,@function
_ZN7rocprim17ROCPRIM_400000_NS6detail17trampoline_kernelINS0_14default_configENS1_38merge_sort_block_merge_config_selectorIdNS0_10empty_typeEEEZZNS1_27merge_sort_block_merge_implIS3_PdPS5_jNS1_19radix_merge_compareILb1ELb0EdNS0_19identity_decomposerEEEEE10hipError_tT0_T1_T2_jT3_P12ihipStream_tbPNSt15iterator_traitsISE_E10value_typeEPNSK_ISF_E10value_typeEPSG_NS1_7vsmem_tEENKUlT_SE_SF_SG_E_clIS8_S8_S9_S9_EESD_ST_SE_SF_SG_EUlST_E_NS1_11comp_targetILNS1_3genE3ELNS1_11target_archE908ELNS1_3gpuE7ELNS1_3repE0EEENS1_48merge_mergepath_partition_config_static_selectorELNS0_4arch9wavefront6targetE1EEEvSF_: ; @_ZN7rocprim17ROCPRIM_400000_NS6detail17trampoline_kernelINS0_14default_configENS1_38merge_sort_block_merge_config_selectorIdNS0_10empty_typeEEEZZNS1_27merge_sort_block_merge_implIS3_PdPS5_jNS1_19radix_merge_compareILb1ELb0EdNS0_19identity_decomposerEEEEE10hipError_tT0_T1_T2_jT3_P12ihipStream_tbPNSt15iterator_traitsISE_E10value_typeEPNSK_ISF_E10value_typeEPSG_NS1_7vsmem_tEENKUlT_SE_SF_SG_E_clIS8_S8_S9_S9_EESD_ST_SE_SF_SG_EUlST_E_NS1_11comp_targetILNS1_3genE3ELNS1_11target_archE908ELNS1_3gpuE7ELNS1_3repE0EEENS1_48merge_mergepath_partition_config_static_selectorELNS0_4arch9wavefront6targetE1EEEvSF_
; %bb.0:
	.section	.rodata,"a",@progbits
	.p2align	6, 0x0
	.amdhsa_kernel _ZN7rocprim17ROCPRIM_400000_NS6detail17trampoline_kernelINS0_14default_configENS1_38merge_sort_block_merge_config_selectorIdNS0_10empty_typeEEEZZNS1_27merge_sort_block_merge_implIS3_PdPS5_jNS1_19radix_merge_compareILb1ELb0EdNS0_19identity_decomposerEEEEE10hipError_tT0_T1_T2_jT3_P12ihipStream_tbPNSt15iterator_traitsISE_E10value_typeEPNSK_ISF_E10value_typeEPSG_NS1_7vsmem_tEENKUlT_SE_SF_SG_E_clIS8_S8_S9_S9_EESD_ST_SE_SF_SG_EUlST_E_NS1_11comp_targetILNS1_3genE3ELNS1_11target_archE908ELNS1_3gpuE7ELNS1_3repE0EEENS1_48merge_mergepath_partition_config_static_selectorELNS0_4arch9wavefront6targetE1EEEvSF_
		.amdhsa_group_segment_fixed_size 0
		.amdhsa_private_segment_fixed_size 0
		.amdhsa_kernarg_size 40
		.amdhsa_user_sgpr_count 6
		.amdhsa_user_sgpr_private_segment_buffer 1
		.amdhsa_user_sgpr_dispatch_ptr 0
		.amdhsa_user_sgpr_queue_ptr 0
		.amdhsa_user_sgpr_kernarg_segment_ptr 1
		.amdhsa_user_sgpr_dispatch_id 0
		.amdhsa_user_sgpr_flat_scratch_init 0
		.amdhsa_user_sgpr_kernarg_preload_length 0
		.amdhsa_user_sgpr_kernarg_preload_offset 0
		.amdhsa_user_sgpr_private_segment_size 0
		.amdhsa_uses_dynamic_stack 0
		.amdhsa_system_sgpr_private_segment_wavefront_offset 0
		.amdhsa_system_sgpr_workgroup_id_x 1
		.amdhsa_system_sgpr_workgroup_id_y 0
		.amdhsa_system_sgpr_workgroup_id_z 0
		.amdhsa_system_sgpr_workgroup_info 0
		.amdhsa_system_vgpr_workitem_id 0
		.amdhsa_next_free_vgpr 1
		.amdhsa_next_free_sgpr 0
		.amdhsa_accum_offset 4
		.amdhsa_reserve_vcc 0
		.amdhsa_reserve_flat_scratch 0
		.amdhsa_float_round_mode_32 0
		.amdhsa_float_round_mode_16_64 0
		.amdhsa_float_denorm_mode_32 3
		.amdhsa_float_denorm_mode_16_64 3
		.amdhsa_dx10_clamp 1
		.amdhsa_ieee_mode 1
		.amdhsa_fp16_overflow 0
		.amdhsa_tg_split 0
		.amdhsa_exception_fp_ieee_invalid_op 0
		.amdhsa_exception_fp_denorm_src 0
		.amdhsa_exception_fp_ieee_div_zero 0
		.amdhsa_exception_fp_ieee_overflow 0
		.amdhsa_exception_fp_ieee_underflow 0
		.amdhsa_exception_fp_ieee_inexact 0
		.amdhsa_exception_int_div_zero 0
	.end_amdhsa_kernel
	.section	.text._ZN7rocprim17ROCPRIM_400000_NS6detail17trampoline_kernelINS0_14default_configENS1_38merge_sort_block_merge_config_selectorIdNS0_10empty_typeEEEZZNS1_27merge_sort_block_merge_implIS3_PdPS5_jNS1_19radix_merge_compareILb1ELb0EdNS0_19identity_decomposerEEEEE10hipError_tT0_T1_T2_jT3_P12ihipStream_tbPNSt15iterator_traitsISE_E10value_typeEPNSK_ISF_E10value_typeEPSG_NS1_7vsmem_tEENKUlT_SE_SF_SG_E_clIS8_S8_S9_S9_EESD_ST_SE_SF_SG_EUlST_E_NS1_11comp_targetILNS1_3genE3ELNS1_11target_archE908ELNS1_3gpuE7ELNS1_3repE0EEENS1_48merge_mergepath_partition_config_static_selectorELNS0_4arch9wavefront6targetE1EEEvSF_,"axG",@progbits,_ZN7rocprim17ROCPRIM_400000_NS6detail17trampoline_kernelINS0_14default_configENS1_38merge_sort_block_merge_config_selectorIdNS0_10empty_typeEEEZZNS1_27merge_sort_block_merge_implIS3_PdPS5_jNS1_19radix_merge_compareILb1ELb0EdNS0_19identity_decomposerEEEEE10hipError_tT0_T1_T2_jT3_P12ihipStream_tbPNSt15iterator_traitsISE_E10value_typeEPNSK_ISF_E10value_typeEPSG_NS1_7vsmem_tEENKUlT_SE_SF_SG_E_clIS8_S8_S9_S9_EESD_ST_SE_SF_SG_EUlST_E_NS1_11comp_targetILNS1_3genE3ELNS1_11target_archE908ELNS1_3gpuE7ELNS1_3repE0EEENS1_48merge_mergepath_partition_config_static_selectorELNS0_4arch9wavefront6targetE1EEEvSF_,comdat
.Lfunc_end2577:
	.size	_ZN7rocprim17ROCPRIM_400000_NS6detail17trampoline_kernelINS0_14default_configENS1_38merge_sort_block_merge_config_selectorIdNS0_10empty_typeEEEZZNS1_27merge_sort_block_merge_implIS3_PdPS5_jNS1_19radix_merge_compareILb1ELb0EdNS0_19identity_decomposerEEEEE10hipError_tT0_T1_T2_jT3_P12ihipStream_tbPNSt15iterator_traitsISE_E10value_typeEPNSK_ISF_E10value_typeEPSG_NS1_7vsmem_tEENKUlT_SE_SF_SG_E_clIS8_S8_S9_S9_EESD_ST_SE_SF_SG_EUlST_E_NS1_11comp_targetILNS1_3genE3ELNS1_11target_archE908ELNS1_3gpuE7ELNS1_3repE0EEENS1_48merge_mergepath_partition_config_static_selectorELNS0_4arch9wavefront6targetE1EEEvSF_, .Lfunc_end2577-_ZN7rocprim17ROCPRIM_400000_NS6detail17trampoline_kernelINS0_14default_configENS1_38merge_sort_block_merge_config_selectorIdNS0_10empty_typeEEEZZNS1_27merge_sort_block_merge_implIS3_PdPS5_jNS1_19radix_merge_compareILb1ELb0EdNS0_19identity_decomposerEEEEE10hipError_tT0_T1_T2_jT3_P12ihipStream_tbPNSt15iterator_traitsISE_E10value_typeEPNSK_ISF_E10value_typeEPSG_NS1_7vsmem_tEENKUlT_SE_SF_SG_E_clIS8_S8_S9_S9_EESD_ST_SE_SF_SG_EUlST_E_NS1_11comp_targetILNS1_3genE3ELNS1_11target_archE908ELNS1_3gpuE7ELNS1_3repE0EEENS1_48merge_mergepath_partition_config_static_selectorELNS0_4arch9wavefront6targetE1EEEvSF_
                                        ; -- End function
	.section	.AMDGPU.csdata,"",@progbits
; Kernel info:
; codeLenInByte = 0
; NumSgprs: 4
; NumVgprs: 0
; NumAgprs: 0
; TotalNumVgprs: 0
; ScratchSize: 0
; MemoryBound: 0
; FloatMode: 240
; IeeeMode: 1
; LDSByteSize: 0 bytes/workgroup (compile time only)
; SGPRBlocks: 0
; VGPRBlocks: 0
; NumSGPRsForWavesPerEU: 4
; NumVGPRsForWavesPerEU: 1
; AccumOffset: 4
; Occupancy: 8
; WaveLimiterHint : 0
; COMPUTE_PGM_RSRC2:SCRATCH_EN: 0
; COMPUTE_PGM_RSRC2:USER_SGPR: 6
; COMPUTE_PGM_RSRC2:TRAP_HANDLER: 0
; COMPUTE_PGM_RSRC2:TGID_X_EN: 1
; COMPUTE_PGM_RSRC2:TGID_Y_EN: 0
; COMPUTE_PGM_RSRC2:TGID_Z_EN: 0
; COMPUTE_PGM_RSRC2:TIDIG_COMP_CNT: 0
; COMPUTE_PGM_RSRC3_GFX90A:ACCUM_OFFSET: 0
; COMPUTE_PGM_RSRC3_GFX90A:TG_SPLIT: 0
	.section	.text._ZN7rocprim17ROCPRIM_400000_NS6detail17trampoline_kernelINS0_14default_configENS1_38merge_sort_block_merge_config_selectorIdNS0_10empty_typeEEEZZNS1_27merge_sort_block_merge_implIS3_PdPS5_jNS1_19radix_merge_compareILb1ELb0EdNS0_19identity_decomposerEEEEE10hipError_tT0_T1_T2_jT3_P12ihipStream_tbPNSt15iterator_traitsISE_E10value_typeEPNSK_ISF_E10value_typeEPSG_NS1_7vsmem_tEENKUlT_SE_SF_SG_E_clIS8_S8_S9_S9_EESD_ST_SE_SF_SG_EUlST_E_NS1_11comp_targetILNS1_3genE2ELNS1_11target_archE906ELNS1_3gpuE6ELNS1_3repE0EEENS1_48merge_mergepath_partition_config_static_selectorELNS0_4arch9wavefront6targetE1EEEvSF_,"axG",@progbits,_ZN7rocprim17ROCPRIM_400000_NS6detail17trampoline_kernelINS0_14default_configENS1_38merge_sort_block_merge_config_selectorIdNS0_10empty_typeEEEZZNS1_27merge_sort_block_merge_implIS3_PdPS5_jNS1_19radix_merge_compareILb1ELb0EdNS0_19identity_decomposerEEEEE10hipError_tT0_T1_T2_jT3_P12ihipStream_tbPNSt15iterator_traitsISE_E10value_typeEPNSK_ISF_E10value_typeEPSG_NS1_7vsmem_tEENKUlT_SE_SF_SG_E_clIS8_S8_S9_S9_EESD_ST_SE_SF_SG_EUlST_E_NS1_11comp_targetILNS1_3genE2ELNS1_11target_archE906ELNS1_3gpuE6ELNS1_3repE0EEENS1_48merge_mergepath_partition_config_static_selectorELNS0_4arch9wavefront6targetE1EEEvSF_,comdat
	.protected	_ZN7rocprim17ROCPRIM_400000_NS6detail17trampoline_kernelINS0_14default_configENS1_38merge_sort_block_merge_config_selectorIdNS0_10empty_typeEEEZZNS1_27merge_sort_block_merge_implIS3_PdPS5_jNS1_19radix_merge_compareILb1ELb0EdNS0_19identity_decomposerEEEEE10hipError_tT0_T1_T2_jT3_P12ihipStream_tbPNSt15iterator_traitsISE_E10value_typeEPNSK_ISF_E10value_typeEPSG_NS1_7vsmem_tEENKUlT_SE_SF_SG_E_clIS8_S8_S9_S9_EESD_ST_SE_SF_SG_EUlST_E_NS1_11comp_targetILNS1_3genE2ELNS1_11target_archE906ELNS1_3gpuE6ELNS1_3repE0EEENS1_48merge_mergepath_partition_config_static_selectorELNS0_4arch9wavefront6targetE1EEEvSF_ ; -- Begin function _ZN7rocprim17ROCPRIM_400000_NS6detail17trampoline_kernelINS0_14default_configENS1_38merge_sort_block_merge_config_selectorIdNS0_10empty_typeEEEZZNS1_27merge_sort_block_merge_implIS3_PdPS5_jNS1_19radix_merge_compareILb1ELb0EdNS0_19identity_decomposerEEEEE10hipError_tT0_T1_T2_jT3_P12ihipStream_tbPNSt15iterator_traitsISE_E10value_typeEPNSK_ISF_E10value_typeEPSG_NS1_7vsmem_tEENKUlT_SE_SF_SG_E_clIS8_S8_S9_S9_EESD_ST_SE_SF_SG_EUlST_E_NS1_11comp_targetILNS1_3genE2ELNS1_11target_archE906ELNS1_3gpuE6ELNS1_3repE0EEENS1_48merge_mergepath_partition_config_static_selectorELNS0_4arch9wavefront6targetE1EEEvSF_
	.globl	_ZN7rocprim17ROCPRIM_400000_NS6detail17trampoline_kernelINS0_14default_configENS1_38merge_sort_block_merge_config_selectorIdNS0_10empty_typeEEEZZNS1_27merge_sort_block_merge_implIS3_PdPS5_jNS1_19radix_merge_compareILb1ELb0EdNS0_19identity_decomposerEEEEE10hipError_tT0_T1_T2_jT3_P12ihipStream_tbPNSt15iterator_traitsISE_E10value_typeEPNSK_ISF_E10value_typeEPSG_NS1_7vsmem_tEENKUlT_SE_SF_SG_E_clIS8_S8_S9_S9_EESD_ST_SE_SF_SG_EUlST_E_NS1_11comp_targetILNS1_3genE2ELNS1_11target_archE906ELNS1_3gpuE6ELNS1_3repE0EEENS1_48merge_mergepath_partition_config_static_selectorELNS0_4arch9wavefront6targetE1EEEvSF_
	.p2align	8
	.type	_ZN7rocprim17ROCPRIM_400000_NS6detail17trampoline_kernelINS0_14default_configENS1_38merge_sort_block_merge_config_selectorIdNS0_10empty_typeEEEZZNS1_27merge_sort_block_merge_implIS3_PdPS5_jNS1_19radix_merge_compareILb1ELb0EdNS0_19identity_decomposerEEEEE10hipError_tT0_T1_T2_jT3_P12ihipStream_tbPNSt15iterator_traitsISE_E10value_typeEPNSK_ISF_E10value_typeEPSG_NS1_7vsmem_tEENKUlT_SE_SF_SG_E_clIS8_S8_S9_S9_EESD_ST_SE_SF_SG_EUlST_E_NS1_11comp_targetILNS1_3genE2ELNS1_11target_archE906ELNS1_3gpuE6ELNS1_3repE0EEENS1_48merge_mergepath_partition_config_static_selectorELNS0_4arch9wavefront6targetE1EEEvSF_,@function
_ZN7rocprim17ROCPRIM_400000_NS6detail17trampoline_kernelINS0_14default_configENS1_38merge_sort_block_merge_config_selectorIdNS0_10empty_typeEEEZZNS1_27merge_sort_block_merge_implIS3_PdPS5_jNS1_19radix_merge_compareILb1ELb0EdNS0_19identity_decomposerEEEEE10hipError_tT0_T1_T2_jT3_P12ihipStream_tbPNSt15iterator_traitsISE_E10value_typeEPNSK_ISF_E10value_typeEPSG_NS1_7vsmem_tEENKUlT_SE_SF_SG_E_clIS8_S8_S9_S9_EESD_ST_SE_SF_SG_EUlST_E_NS1_11comp_targetILNS1_3genE2ELNS1_11target_archE906ELNS1_3gpuE6ELNS1_3repE0EEENS1_48merge_mergepath_partition_config_static_selectorELNS0_4arch9wavefront6targetE1EEEvSF_: ; @_ZN7rocprim17ROCPRIM_400000_NS6detail17trampoline_kernelINS0_14default_configENS1_38merge_sort_block_merge_config_selectorIdNS0_10empty_typeEEEZZNS1_27merge_sort_block_merge_implIS3_PdPS5_jNS1_19radix_merge_compareILb1ELb0EdNS0_19identity_decomposerEEEEE10hipError_tT0_T1_T2_jT3_P12ihipStream_tbPNSt15iterator_traitsISE_E10value_typeEPNSK_ISF_E10value_typeEPSG_NS1_7vsmem_tEENKUlT_SE_SF_SG_E_clIS8_S8_S9_S9_EESD_ST_SE_SF_SG_EUlST_E_NS1_11comp_targetILNS1_3genE2ELNS1_11target_archE906ELNS1_3gpuE6ELNS1_3repE0EEENS1_48merge_mergepath_partition_config_static_selectorELNS0_4arch9wavefront6targetE1EEEvSF_
; %bb.0:
	.section	.rodata,"a",@progbits
	.p2align	6, 0x0
	.amdhsa_kernel _ZN7rocprim17ROCPRIM_400000_NS6detail17trampoline_kernelINS0_14default_configENS1_38merge_sort_block_merge_config_selectorIdNS0_10empty_typeEEEZZNS1_27merge_sort_block_merge_implIS3_PdPS5_jNS1_19radix_merge_compareILb1ELb0EdNS0_19identity_decomposerEEEEE10hipError_tT0_T1_T2_jT3_P12ihipStream_tbPNSt15iterator_traitsISE_E10value_typeEPNSK_ISF_E10value_typeEPSG_NS1_7vsmem_tEENKUlT_SE_SF_SG_E_clIS8_S8_S9_S9_EESD_ST_SE_SF_SG_EUlST_E_NS1_11comp_targetILNS1_3genE2ELNS1_11target_archE906ELNS1_3gpuE6ELNS1_3repE0EEENS1_48merge_mergepath_partition_config_static_selectorELNS0_4arch9wavefront6targetE1EEEvSF_
		.amdhsa_group_segment_fixed_size 0
		.amdhsa_private_segment_fixed_size 0
		.amdhsa_kernarg_size 40
		.amdhsa_user_sgpr_count 6
		.amdhsa_user_sgpr_private_segment_buffer 1
		.amdhsa_user_sgpr_dispatch_ptr 0
		.amdhsa_user_sgpr_queue_ptr 0
		.amdhsa_user_sgpr_kernarg_segment_ptr 1
		.amdhsa_user_sgpr_dispatch_id 0
		.amdhsa_user_sgpr_flat_scratch_init 0
		.amdhsa_user_sgpr_kernarg_preload_length 0
		.amdhsa_user_sgpr_kernarg_preload_offset 0
		.amdhsa_user_sgpr_private_segment_size 0
		.amdhsa_uses_dynamic_stack 0
		.amdhsa_system_sgpr_private_segment_wavefront_offset 0
		.amdhsa_system_sgpr_workgroup_id_x 1
		.amdhsa_system_sgpr_workgroup_id_y 0
		.amdhsa_system_sgpr_workgroup_id_z 0
		.amdhsa_system_sgpr_workgroup_info 0
		.amdhsa_system_vgpr_workitem_id 0
		.amdhsa_next_free_vgpr 1
		.amdhsa_next_free_sgpr 0
		.amdhsa_accum_offset 4
		.amdhsa_reserve_vcc 0
		.amdhsa_reserve_flat_scratch 0
		.amdhsa_float_round_mode_32 0
		.amdhsa_float_round_mode_16_64 0
		.amdhsa_float_denorm_mode_32 3
		.amdhsa_float_denorm_mode_16_64 3
		.amdhsa_dx10_clamp 1
		.amdhsa_ieee_mode 1
		.amdhsa_fp16_overflow 0
		.amdhsa_tg_split 0
		.amdhsa_exception_fp_ieee_invalid_op 0
		.amdhsa_exception_fp_denorm_src 0
		.amdhsa_exception_fp_ieee_div_zero 0
		.amdhsa_exception_fp_ieee_overflow 0
		.amdhsa_exception_fp_ieee_underflow 0
		.amdhsa_exception_fp_ieee_inexact 0
		.amdhsa_exception_int_div_zero 0
	.end_amdhsa_kernel
	.section	.text._ZN7rocprim17ROCPRIM_400000_NS6detail17trampoline_kernelINS0_14default_configENS1_38merge_sort_block_merge_config_selectorIdNS0_10empty_typeEEEZZNS1_27merge_sort_block_merge_implIS3_PdPS5_jNS1_19radix_merge_compareILb1ELb0EdNS0_19identity_decomposerEEEEE10hipError_tT0_T1_T2_jT3_P12ihipStream_tbPNSt15iterator_traitsISE_E10value_typeEPNSK_ISF_E10value_typeEPSG_NS1_7vsmem_tEENKUlT_SE_SF_SG_E_clIS8_S8_S9_S9_EESD_ST_SE_SF_SG_EUlST_E_NS1_11comp_targetILNS1_3genE2ELNS1_11target_archE906ELNS1_3gpuE6ELNS1_3repE0EEENS1_48merge_mergepath_partition_config_static_selectorELNS0_4arch9wavefront6targetE1EEEvSF_,"axG",@progbits,_ZN7rocprim17ROCPRIM_400000_NS6detail17trampoline_kernelINS0_14default_configENS1_38merge_sort_block_merge_config_selectorIdNS0_10empty_typeEEEZZNS1_27merge_sort_block_merge_implIS3_PdPS5_jNS1_19radix_merge_compareILb1ELb0EdNS0_19identity_decomposerEEEEE10hipError_tT0_T1_T2_jT3_P12ihipStream_tbPNSt15iterator_traitsISE_E10value_typeEPNSK_ISF_E10value_typeEPSG_NS1_7vsmem_tEENKUlT_SE_SF_SG_E_clIS8_S8_S9_S9_EESD_ST_SE_SF_SG_EUlST_E_NS1_11comp_targetILNS1_3genE2ELNS1_11target_archE906ELNS1_3gpuE6ELNS1_3repE0EEENS1_48merge_mergepath_partition_config_static_selectorELNS0_4arch9wavefront6targetE1EEEvSF_,comdat
.Lfunc_end2578:
	.size	_ZN7rocprim17ROCPRIM_400000_NS6detail17trampoline_kernelINS0_14default_configENS1_38merge_sort_block_merge_config_selectorIdNS0_10empty_typeEEEZZNS1_27merge_sort_block_merge_implIS3_PdPS5_jNS1_19radix_merge_compareILb1ELb0EdNS0_19identity_decomposerEEEEE10hipError_tT0_T1_T2_jT3_P12ihipStream_tbPNSt15iterator_traitsISE_E10value_typeEPNSK_ISF_E10value_typeEPSG_NS1_7vsmem_tEENKUlT_SE_SF_SG_E_clIS8_S8_S9_S9_EESD_ST_SE_SF_SG_EUlST_E_NS1_11comp_targetILNS1_3genE2ELNS1_11target_archE906ELNS1_3gpuE6ELNS1_3repE0EEENS1_48merge_mergepath_partition_config_static_selectorELNS0_4arch9wavefront6targetE1EEEvSF_, .Lfunc_end2578-_ZN7rocprim17ROCPRIM_400000_NS6detail17trampoline_kernelINS0_14default_configENS1_38merge_sort_block_merge_config_selectorIdNS0_10empty_typeEEEZZNS1_27merge_sort_block_merge_implIS3_PdPS5_jNS1_19radix_merge_compareILb1ELb0EdNS0_19identity_decomposerEEEEE10hipError_tT0_T1_T2_jT3_P12ihipStream_tbPNSt15iterator_traitsISE_E10value_typeEPNSK_ISF_E10value_typeEPSG_NS1_7vsmem_tEENKUlT_SE_SF_SG_E_clIS8_S8_S9_S9_EESD_ST_SE_SF_SG_EUlST_E_NS1_11comp_targetILNS1_3genE2ELNS1_11target_archE906ELNS1_3gpuE6ELNS1_3repE0EEENS1_48merge_mergepath_partition_config_static_selectorELNS0_4arch9wavefront6targetE1EEEvSF_
                                        ; -- End function
	.section	.AMDGPU.csdata,"",@progbits
; Kernel info:
; codeLenInByte = 0
; NumSgprs: 4
; NumVgprs: 0
; NumAgprs: 0
; TotalNumVgprs: 0
; ScratchSize: 0
; MemoryBound: 0
; FloatMode: 240
; IeeeMode: 1
; LDSByteSize: 0 bytes/workgroup (compile time only)
; SGPRBlocks: 0
; VGPRBlocks: 0
; NumSGPRsForWavesPerEU: 4
; NumVGPRsForWavesPerEU: 1
; AccumOffset: 4
; Occupancy: 8
; WaveLimiterHint : 0
; COMPUTE_PGM_RSRC2:SCRATCH_EN: 0
; COMPUTE_PGM_RSRC2:USER_SGPR: 6
; COMPUTE_PGM_RSRC2:TRAP_HANDLER: 0
; COMPUTE_PGM_RSRC2:TGID_X_EN: 1
; COMPUTE_PGM_RSRC2:TGID_Y_EN: 0
; COMPUTE_PGM_RSRC2:TGID_Z_EN: 0
; COMPUTE_PGM_RSRC2:TIDIG_COMP_CNT: 0
; COMPUTE_PGM_RSRC3_GFX90A:ACCUM_OFFSET: 0
; COMPUTE_PGM_RSRC3_GFX90A:TG_SPLIT: 0
	.section	.text._ZN7rocprim17ROCPRIM_400000_NS6detail17trampoline_kernelINS0_14default_configENS1_38merge_sort_block_merge_config_selectorIdNS0_10empty_typeEEEZZNS1_27merge_sort_block_merge_implIS3_PdPS5_jNS1_19radix_merge_compareILb1ELb0EdNS0_19identity_decomposerEEEEE10hipError_tT0_T1_T2_jT3_P12ihipStream_tbPNSt15iterator_traitsISE_E10value_typeEPNSK_ISF_E10value_typeEPSG_NS1_7vsmem_tEENKUlT_SE_SF_SG_E_clIS8_S8_S9_S9_EESD_ST_SE_SF_SG_EUlST_E_NS1_11comp_targetILNS1_3genE9ELNS1_11target_archE1100ELNS1_3gpuE3ELNS1_3repE0EEENS1_48merge_mergepath_partition_config_static_selectorELNS0_4arch9wavefront6targetE1EEEvSF_,"axG",@progbits,_ZN7rocprim17ROCPRIM_400000_NS6detail17trampoline_kernelINS0_14default_configENS1_38merge_sort_block_merge_config_selectorIdNS0_10empty_typeEEEZZNS1_27merge_sort_block_merge_implIS3_PdPS5_jNS1_19radix_merge_compareILb1ELb0EdNS0_19identity_decomposerEEEEE10hipError_tT0_T1_T2_jT3_P12ihipStream_tbPNSt15iterator_traitsISE_E10value_typeEPNSK_ISF_E10value_typeEPSG_NS1_7vsmem_tEENKUlT_SE_SF_SG_E_clIS8_S8_S9_S9_EESD_ST_SE_SF_SG_EUlST_E_NS1_11comp_targetILNS1_3genE9ELNS1_11target_archE1100ELNS1_3gpuE3ELNS1_3repE0EEENS1_48merge_mergepath_partition_config_static_selectorELNS0_4arch9wavefront6targetE1EEEvSF_,comdat
	.protected	_ZN7rocprim17ROCPRIM_400000_NS6detail17trampoline_kernelINS0_14default_configENS1_38merge_sort_block_merge_config_selectorIdNS0_10empty_typeEEEZZNS1_27merge_sort_block_merge_implIS3_PdPS5_jNS1_19radix_merge_compareILb1ELb0EdNS0_19identity_decomposerEEEEE10hipError_tT0_T1_T2_jT3_P12ihipStream_tbPNSt15iterator_traitsISE_E10value_typeEPNSK_ISF_E10value_typeEPSG_NS1_7vsmem_tEENKUlT_SE_SF_SG_E_clIS8_S8_S9_S9_EESD_ST_SE_SF_SG_EUlST_E_NS1_11comp_targetILNS1_3genE9ELNS1_11target_archE1100ELNS1_3gpuE3ELNS1_3repE0EEENS1_48merge_mergepath_partition_config_static_selectorELNS0_4arch9wavefront6targetE1EEEvSF_ ; -- Begin function _ZN7rocprim17ROCPRIM_400000_NS6detail17trampoline_kernelINS0_14default_configENS1_38merge_sort_block_merge_config_selectorIdNS0_10empty_typeEEEZZNS1_27merge_sort_block_merge_implIS3_PdPS5_jNS1_19radix_merge_compareILb1ELb0EdNS0_19identity_decomposerEEEEE10hipError_tT0_T1_T2_jT3_P12ihipStream_tbPNSt15iterator_traitsISE_E10value_typeEPNSK_ISF_E10value_typeEPSG_NS1_7vsmem_tEENKUlT_SE_SF_SG_E_clIS8_S8_S9_S9_EESD_ST_SE_SF_SG_EUlST_E_NS1_11comp_targetILNS1_3genE9ELNS1_11target_archE1100ELNS1_3gpuE3ELNS1_3repE0EEENS1_48merge_mergepath_partition_config_static_selectorELNS0_4arch9wavefront6targetE1EEEvSF_
	.globl	_ZN7rocprim17ROCPRIM_400000_NS6detail17trampoline_kernelINS0_14default_configENS1_38merge_sort_block_merge_config_selectorIdNS0_10empty_typeEEEZZNS1_27merge_sort_block_merge_implIS3_PdPS5_jNS1_19radix_merge_compareILb1ELb0EdNS0_19identity_decomposerEEEEE10hipError_tT0_T1_T2_jT3_P12ihipStream_tbPNSt15iterator_traitsISE_E10value_typeEPNSK_ISF_E10value_typeEPSG_NS1_7vsmem_tEENKUlT_SE_SF_SG_E_clIS8_S8_S9_S9_EESD_ST_SE_SF_SG_EUlST_E_NS1_11comp_targetILNS1_3genE9ELNS1_11target_archE1100ELNS1_3gpuE3ELNS1_3repE0EEENS1_48merge_mergepath_partition_config_static_selectorELNS0_4arch9wavefront6targetE1EEEvSF_
	.p2align	8
	.type	_ZN7rocprim17ROCPRIM_400000_NS6detail17trampoline_kernelINS0_14default_configENS1_38merge_sort_block_merge_config_selectorIdNS0_10empty_typeEEEZZNS1_27merge_sort_block_merge_implIS3_PdPS5_jNS1_19radix_merge_compareILb1ELb0EdNS0_19identity_decomposerEEEEE10hipError_tT0_T1_T2_jT3_P12ihipStream_tbPNSt15iterator_traitsISE_E10value_typeEPNSK_ISF_E10value_typeEPSG_NS1_7vsmem_tEENKUlT_SE_SF_SG_E_clIS8_S8_S9_S9_EESD_ST_SE_SF_SG_EUlST_E_NS1_11comp_targetILNS1_3genE9ELNS1_11target_archE1100ELNS1_3gpuE3ELNS1_3repE0EEENS1_48merge_mergepath_partition_config_static_selectorELNS0_4arch9wavefront6targetE1EEEvSF_,@function
_ZN7rocprim17ROCPRIM_400000_NS6detail17trampoline_kernelINS0_14default_configENS1_38merge_sort_block_merge_config_selectorIdNS0_10empty_typeEEEZZNS1_27merge_sort_block_merge_implIS3_PdPS5_jNS1_19radix_merge_compareILb1ELb0EdNS0_19identity_decomposerEEEEE10hipError_tT0_T1_T2_jT3_P12ihipStream_tbPNSt15iterator_traitsISE_E10value_typeEPNSK_ISF_E10value_typeEPSG_NS1_7vsmem_tEENKUlT_SE_SF_SG_E_clIS8_S8_S9_S9_EESD_ST_SE_SF_SG_EUlST_E_NS1_11comp_targetILNS1_3genE9ELNS1_11target_archE1100ELNS1_3gpuE3ELNS1_3repE0EEENS1_48merge_mergepath_partition_config_static_selectorELNS0_4arch9wavefront6targetE1EEEvSF_: ; @_ZN7rocprim17ROCPRIM_400000_NS6detail17trampoline_kernelINS0_14default_configENS1_38merge_sort_block_merge_config_selectorIdNS0_10empty_typeEEEZZNS1_27merge_sort_block_merge_implIS3_PdPS5_jNS1_19radix_merge_compareILb1ELb0EdNS0_19identity_decomposerEEEEE10hipError_tT0_T1_T2_jT3_P12ihipStream_tbPNSt15iterator_traitsISE_E10value_typeEPNSK_ISF_E10value_typeEPSG_NS1_7vsmem_tEENKUlT_SE_SF_SG_E_clIS8_S8_S9_S9_EESD_ST_SE_SF_SG_EUlST_E_NS1_11comp_targetILNS1_3genE9ELNS1_11target_archE1100ELNS1_3gpuE3ELNS1_3repE0EEENS1_48merge_mergepath_partition_config_static_selectorELNS0_4arch9wavefront6targetE1EEEvSF_
; %bb.0:
	.section	.rodata,"a",@progbits
	.p2align	6, 0x0
	.amdhsa_kernel _ZN7rocprim17ROCPRIM_400000_NS6detail17trampoline_kernelINS0_14default_configENS1_38merge_sort_block_merge_config_selectorIdNS0_10empty_typeEEEZZNS1_27merge_sort_block_merge_implIS3_PdPS5_jNS1_19radix_merge_compareILb1ELb0EdNS0_19identity_decomposerEEEEE10hipError_tT0_T1_T2_jT3_P12ihipStream_tbPNSt15iterator_traitsISE_E10value_typeEPNSK_ISF_E10value_typeEPSG_NS1_7vsmem_tEENKUlT_SE_SF_SG_E_clIS8_S8_S9_S9_EESD_ST_SE_SF_SG_EUlST_E_NS1_11comp_targetILNS1_3genE9ELNS1_11target_archE1100ELNS1_3gpuE3ELNS1_3repE0EEENS1_48merge_mergepath_partition_config_static_selectorELNS0_4arch9wavefront6targetE1EEEvSF_
		.amdhsa_group_segment_fixed_size 0
		.amdhsa_private_segment_fixed_size 0
		.amdhsa_kernarg_size 40
		.amdhsa_user_sgpr_count 6
		.amdhsa_user_sgpr_private_segment_buffer 1
		.amdhsa_user_sgpr_dispatch_ptr 0
		.amdhsa_user_sgpr_queue_ptr 0
		.amdhsa_user_sgpr_kernarg_segment_ptr 1
		.amdhsa_user_sgpr_dispatch_id 0
		.amdhsa_user_sgpr_flat_scratch_init 0
		.amdhsa_user_sgpr_kernarg_preload_length 0
		.amdhsa_user_sgpr_kernarg_preload_offset 0
		.amdhsa_user_sgpr_private_segment_size 0
		.amdhsa_uses_dynamic_stack 0
		.amdhsa_system_sgpr_private_segment_wavefront_offset 0
		.amdhsa_system_sgpr_workgroup_id_x 1
		.amdhsa_system_sgpr_workgroup_id_y 0
		.amdhsa_system_sgpr_workgroup_id_z 0
		.amdhsa_system_sgpr_workgroup_info 0
		.amdhsa_system_vgpr_workitem_id 0
		.amdhsa_next_free_vgpr 1
		.amdhsa_next_free_sgpr 0
		.amdhsa_accum_offset 4
		.amdhsa_reserve_vcc 0
		.amdhsa_reserve_flat_scratch 0
		.amdhsa_float_round_mode_32 0
		.amdhsa_float_round_mode_16_64 0
		.amdhsa_float_denorm_mode_32 3
		.amdhsa_float_denorm_mode_16_64 3
		.amdhsa_dx10_clamp 1
		.amdhsa_ieee_mode 1
		.amdhsa_fp16_overflow 0
		.amdhsa_tg_split 0
		.amdhsa_exception_fp_ieee_invalid_op 0
		.amdhsa_exception_fp_denorm_src 0
		.amdhsa_exception_fp_ieee_div_zero 0
		.amdhsa_exception_fp_ieee_overflow 0
		.amdhsa_exception_fp_ieee_underflow 0
		.amdhsa_exception_fp_ieee_inexact 0
		.amdhsa_exception_int_div_zero 0
	.end_amdhsa_kernel
	.section	.text._ZN7rocprim17ROCPRIM_400000_NS6detail17trampoline_kernelINS0_14default_configENS1_38merge_sort_block_merge_config_selectorIdNS0_10empty_typeEEEZZNS1_27merge_sort_block_merge_implIS3_PdPS5_jNS1_19radix_merge_compareILb1ELb0EdNS0_19identity_decomposerEEEEE10hipError_tT0_T1_T2_jT3_P12ihipStream_tbPNSt15iterator_traitsISE_E10value_typeEPNSK_ISF_E10value_typeEPSG_NS1_7vsmem_tEENKUlT_SE_SF_SG_E_clIS8_S8_S9_S9_EESD_ST_SE_SF_SG_EUlST_E_NS1_11comp_targetILNS1_3genE9ELNS1_11target_archE1100ELNS1_3gpuE3ELNS1_3repE0EEENS1_48merge_mergepath_partition_config_static_selectorELNS0_4arch9wavefront6targetE1EEEvSF_,"axG",@progbits,_ZN7rocprim17ROCPRIM_400000_NS6detail17trampoline_kernelINS0_14default_configENS1_38merge_sort_block_merge_config_selectorIdNS0_10empty_typeEEEZZNS1_27merge_sort_block_merge_implIS3_PdPS5_jNS1_19radix_merge_compareILb1ELb0EdNS0_19identity_decomposerEEEEE10hipError_tT0_T1_T2_jT3_P12ihipStream_tbPNSt15iterator_traitsISE_E10value_typeEPNSK_ISF_E10value_typeEPSG_NS1_7vsmem_tEENKUlT_SE_SF_SG_E_clIS8_S8_S9_S9_EESD_ST_SE_SF_SG_EUlST_E_NS1_11comp_targetILNS1_3genE9ELNS1_11target_archE1100ELNS1_3gpuE3ELNS1_3repE0EEENS1_48merge_mergepath_partition_config_static_selectorELNS0_4arch9wavefront6targetE1EEEvSF_,comdat
.Lfunc_end2579:
	.size	_ZN7rocprim17ROCPRIM_400000_NS6detail17trampoline_kernelINS0_14default_configENS1_38merge_sort_block_merge_config_selectorIdNS0_10empty_typeEEEZZNS1_27merge_sort_block_merge_implIS3_PdPS5_jNS1_19radix_merge_compareILb1ELb0EdNS0_19identity_decomposerEEEEE10hipError_tT0_T1_T2_jT3_P12ihipStream_tbPNSt15iterator_traitsISE_E10value_typeEPNSK_ISF_E10value_typeEPSG_NS1_7vsmem_tEENKUlT_SE_SF_SG_E_clIS8_S8_S9_S9_EESD_ST_SE_SF_SG_EUlST_E_NS1_11comp_targetILNS1_3genE9ELNS1_11target_archE1100ELNS1_3gpuE3ELNS1_3repE0EEENS1_48merge_mergepath_partition_config_static_selectorELNS0_4arch9wavefront6targetE1EEEvSF_, .Lfunc_end2579-_ZN7rocprim17ROCPRIM_400000_NS6detail17trampoline_kernelINS0_14default_configENS1_38merge_sort_block_merge_config_selectorIdNS0_10empty_typeEEEZZNS1_27merge_sort_block_merge_implIS3_PdPS5_jNS1_19radix_merge_compareILb1ELb0EdNS0_19identity_decomposerEEEEE10hipError_tT0_T1_T2_jT3_P12ihipStream_tbPNSt15iterator_traitsISE_E10value_typeEPNSK_ISF_E10value_typeEPSG_NS1_7vsmem_tEENKUlT_SE_SF_SG_E_clIS8_S8_S9_S9_EESD_ST_SE_SF_SG_EUlST_E_NS1_11comp_targetILNS1_3genE9ELNS1_11target_archE1100ELNS1_3gpuE3ELNS1_3repE0EEENS1_48merge_mergepath_partition_config_static_selectorELNS0_4arch9wavefront6targetE1EEEvSF_
                                        ; -- End function
	.section	.AMDGPU.csdata,"",@progbits
; Kernel info:
; codeLenInByte = 0
; NumSgprs: 4
; NumVgprs: 0
; NumAgprs: 0
; TotalNumVgprs: 0
; ScratchSize: 0
; MemoryBound: 0
; FloatMode: 240
; IeeeMode: 1
; LDSByteSize: 0 bytes/workgroup (compile time only)
; SGPRBlocks: 0
; VGPRBlocks: 0
; NumSGPRsForWavesPerEU: 4
; NumVGPRsForWavesPerEU: 1
; AccumOffset: 4
; Occupancy: 8
; WaveLimiterHint : 0
; COMPUTE_PGM_RSRC2:SCRATCH_EN: 0
; COMPUTE_PGM_RSRC2:USER_SGPR: 6
; COMPUTE_PGM_RSRC2:TRAP_HANDLER: 0
; COMPUTE_PGM_RSRC2:TGID_X_EN: 1
; COMPUTE_PGM_RSRC2:TGID_Y_EN: 0
; COMPUTE_PGM_RSRC2:TGID_Z_EN: 0
; COMPUTE_PGM_RSRC2:TIDIG_COMP_CNT: 0
; COMPUTE_PGM_RSRC3_GFX90A:ACCUM_OFFSET: 0
; COMPUTE_PGM_RSRC3_GFX90A:TG_SPLIT: 0
	.section	.text._ZN7rocprim17ROCPRIM_400000_NS6detail17trampoline_kernelINS0_14default_configENS1_38merge_sort_block_merge_config_selectorIdNS0_10empty_typeEEEZZNS1_27merge_sort_block_merge_implIS3_PdPS5_jNS1_19radix_merge_compareILb1ELb0EdNS0_19identity_decomposerEEEEE10hipError_tT0_T1_T2_jT3_P12ihipStream_tbPNSt15iterator_traitsISE_E10value_typeEPNSK_ISF_E10value_typeEPSG_NS1_7vsmem_tEENKUlT_SE_SF_SG_E_clIS8_S8_S9_S9_EESD_ST_SE_SF_SG_EUlST_E_NS1_11comp_targetILNS1_3genE8ELNS1_11target_archE1030ELNS1_3gpuE2ELNS1_3repE0EEENS1_48merge_mergepath_partition_config_static_selectorELNS0_4arch9wavefront6targetE1EEEvSF_,"axG",@progbits,_ZN7rocprim17ROCPRIM_400000_NS6detail17trampoline_kernelINS0_14default_configENS1_38merge_sort_block_merge_config_selectorIdNS0_10empty_typeEEEZZNS1_27merge_sort_block_merge_implIS3_PdPS5_jNS1_19radix_merge_compareILb1ELb0EdNS0_19identity_decomposerEEEEE10hipError_tT0_T1_T2_jT3_P12ihipStream_tbPNSt15iterator_traitsISE_E10value_typeEPNSK_ISF_E10value_typeEPSG_NS1_7vsmem_tEENKUlT_SE_SF_SG_E_clIS8_S8_S9_S9_EESD_ST_SE_SF_SG_EUlST_E_NS1_11comp_targetILNS1_3genE8ELNS1_11target_archE1030ELNS1_3gpuE2ELNS1_3repE0EEENS1_48merge_mergepath_partition_config_static_selectorELNS0_4arch9wavefront6targetE1EEEvSF_,comdat
	.protected	_ZN7rocprim17ROCPRIM_400000_NS6detail17trampoline_kernelINS0_14default_configENS1_38merge_sort_block_merge_config_selectorIdNS0_10empty_typeEEEZZNS1_27merge_sort_block_merge_implIS3_PdPS5_jNS1_19radix_merge_compareILb1ELb0EdNS0_19identity_decomposerEEEEE10hipError_tT0_T1_T2_jT3_P12ihipStream_tbPNSt15iterator_traitsISE_E10value_typeEPNSK_ISF_E10value_typeEPSG_NS1_7vsmem_tEENKUlT_SE_SF_SG_E_clIS8_S8_S9_S9_EESD_ST_SE_SF_SG_EUlST_E_NS1_11comp_targetILNS1_3genE8ELNS1_11target_archE1030ELNS1_3gpuE2ELNS1_3repE0EEENS1_48merge_mergepath_partition_config_static_selectorELNS0_4arch9wavefront6targetE1EEEvSF_ ; -- Begin function _ZN7rocprim17ROCPRIM_400000_NS6detail17trampoline_kernelINS0_14default_configENS1_38merge_sort_block_merge_config_selectorIdNS0_10empty_typeEEEZZNS1_27merge_sort_block_merge_implIS3_PdPS5_jNS1_19radix_merge_compareILb1ELb0EdNS0_19identity_decomposerEEEEE10hipError_tT0_T1_T2_jT3_P12ihipStream_tbPNSt15iterator_traitsISE_E10value_typeEPNSK_ISF_E10value_typeEPSG_NS1_7vsmem_tEENKUlT_SE_SF_SG_E_clIS8_S8_S9_S9_EESD_ST_SE_SF_SG_EUlST_E_NS1_11comp_targetILNS1_3genE8ELNS1_11target_archE1030ELNS1_3gpuE2ELNS1_3repE0EEENS1_48merge_mergepath_partition_config_static_selectorELNS0_4arch9wavefront6targetE1EEEvSF_
	.globl	_ZN7rocprim17ROCPRIM_400000_NS6detail17trampoline_kernelINS0_14default_configENS1_38merge_sort_block_merge_config_selectorIdNS0_10empty_typeEEEZZNS1_27merge_sort_block_merge_implIS3_PdPS5_jNS1_19radix_merge_compareILb1ELb0EdNS0_19identity_decomposerEEEEE10hipError_tT0_T1_T2_jT3_P12ihipStream_tbPNSt15iterator_traitsISE_E10value_typeEPNSK_ISF_E10value_typeEPSG_NS1_7vsmem_tEENKUlT_SE_SF_SG_E_clIS8_S8_S9_S9_EESD_ST_SE_SF_SG_EUlST_E_NS1_11comp_targetILNS1_3genE8ELNS1_11target_archE1030ELNS1_3gpuE2ELNS1_3repE0EEENS1_48merge_mergepath_partition_config_static_selectorELNS0_4arch9wavefront6targetE1EEEvSF_
	.p2align	8
	.type	_ZN7rocprim17ROCPRIM_400000_NS6detail17trampoline_kernelINS0_14default_configENS1_38merge_sort_block_merge_config_selectorIdNS0_10empty_typeEEEZZNS1_27merge_sort_block_merge_implIS3_PdPS5_jNS1_19radix_merge_compareILb1ELb0EdNS0_19identity_decomposerEEEEE10hipError_tT0_T1_T2_jT3_P12ihipStream_tbPNSt15iterator_traitsISE_E10value_typeEPNSK_ISF_E10value_typeEPSG_NS1_7vsmem_tEENKUlT_SE_SF_SG_E_clIS8_S8_S9_S9_EESD_ST_SE_SF_SG_EUlST_E_NS1_11comp_targetILNS1_3genE8ELNS1_11target_archE1030ELNS1_3gpuE2ELNS1_3repE0EEENS1_48merge_mergepath_partition_config_static_selectorELNS0_4arch9wavefront6targetE1EEEvSF_,@function
_ZN7rocprim17ROCPRIM_400000_NS6detail17trampoline_kernelINS0_14default_configENS1_38merge_sort_block_merge_config_selectorIdNS0_10empty_typeEEEZZNS1_27merge_sort_block_merge_implIS3_PdPS5_jNS1_19radix_merge_compareILb1ELb0EdNS0_19identity_decomposerEEEEE10hipError_tT0_T1_T2_jT3_P12ihipStream_tbPNSt15iterator_traitsISE_E10value_typeEPNSK_ISF_E10value_typeEPSG_NS1_7vsmem_tEENKUlT_SE_SF_SG_E_clIS8_S8_S9_S9_EESD_ST_SE_SF_SG_EUlST_E_NS1_11comp_targetILNS1_3genE8ELNS1_11target_archE1030ELNS1_3gpuE2ELNS1_3repE0EEENS1_48merge_mergepath_partition_config_static_selectorELNS0_4arch9wavefront6targetE1EEEvSF_: ; @_ZN7rocprim17ROCPRIM_400000_NS6detail17trampoline_kernelINS0_14default_configENS1_38merge_sort_block_merge_config_selectorIdNS0_10empty_typeEEEZZNS1_27merge_sort_block_merge_implIS3_PdPS5_jNS1_19radix_merge_compareILb1ELb0EdNS0_19identity_decomposerEEEEE10hipError_tT0_T1_T2_jT3_P12ihipStream_tbPNSt15iterator_traitsISE_E10value_typeEPNSK_ISF_E10value_typeEPSG_NS1_7vsmem_tEENKUlT_SE_SF_SG_E_clIS8_S8_S9_S9_EESD_ST_SE_SF_SG_EUlST_E_NS1_11comp_targetILNS1_3genE8ELNS1_11target_archE1030ELNS1_3gpuE2ELNS1_3repE0EEENS1_48merge_mergepath_partition_config_static_selectorELNS0_4arch9wavefront6targetE1EEEvSF_
; %bb.0:
	.section	.rodata,"a",@progbits
	.p2align	6, 0x0
	.amdhsa_kernel _ZN7rocprim17ROCPRIM_400000_NS6detail17trampoline_kernelINS0_14default_configENS1_38merge_sort_block_merge_config_selectorIdNS0_10empty_typeEEEZZNS1_27merge_sort_block_merge_implIS3_PdPS5_jNS1_19radix_merge_compareILb1ELb0EdNS0_19identity_decomposerEEEEE10hipError_tT0_T1_T2_jT3_P12ihipStream_tbPNSt15iterator_traitsISE_E10value_typeEPNSK_ISF_E10value_typeEPSG_NS1_7vsmem_tEENKUlT_SE_SF_SG_E_clIS8_S8_S9_S9_EESD_ST_SE_SF_SG_EUlST_E_NS1_11comp_targetILNS1_3genE8ELNS1_11target_archE1030ELNS1_3gpuE2ELNS1_3repE0EEENS1_48merge_mergepath_partition_config_static_selectorELNS0_4arch9wavefront6targetE1EEEvSF_
		.amdhsa_group_segment_fixed_size 0
		.amdhsa_private_segment_fixed_size 0
		.amdhsa_kernarg_size 40
		.amdhsa_user_sgpr_count 6
		.amdhsa_user_sgpr_private_segment_buffer 1
		.amdhsa_user_sgpr_dispatch_ptr 0
		.amdhsa_user_sgpr_queue_ptr 0
		.amdhsa_user_sgpr_kernarg_segment_ptr 1
		.amdhsa_user_sgpr_dispatch_id 0
		.amdhsa_user_sgpr_flat_scratch_init 0
		.amdhsa_user_sgpr_kernarg_preload_length 0
		.amdhsa_user_sgpr_kernarg_preload_offset 0
		.amdhsa_user_sgpr_private_segment_size 0
		.amdhsa_uses_dynamic_stack 0
		.amdhsa_system_sgpr_private_segment_wavefront_offset 0
		.amdhsa_system_sgpr_workgroup_id_x 1
		.amdhsa_system_sgpr_workgroup_id_y 0
		.amdhsa_system_sgpr_workgroup_id_z 0
		.amdhsa_system_sgpr_workgroup_info 0
		.amdhsa_system_vgpr_workitem_id 0
		.amdhsa_next_free_vgpr 1
		.amdhsa_next_free_sgpr 0
		.amdhsa_accum_offset 4
		.amdhsa_reserve_vcc 0
		.amdhsa_reserve_flat_scratch 0
		.amdhsa_float_round_mode_32 0
		.amdhsa_float_round_mode_16_64 0
		.amdhsa_float_denorm_mode_32 3
		.amdhsa_float_denorm_mode_16_64 3
		.amdhsa_dx10_clamp 1
		.amdhsa_ieee_mode 1
		.amdhsa_fp16_overflow 0
		.amdhsa_tg_split 0
		.amdhsa_exception_fp_ieee_invalid_op 0
		.amdhsa_exception_fp_denorm_src 0
		.amdhsa_exception_fp_ieee_div_zero 0
		.amdhsa_exception_fp_ieee_overflow 0
		.amdhsa_exception_fp_ieee_underflow 0
		.amdhsa_exception_fp_ieee_inexact 0
		.amdhsa_exception_int_div_zero 0
	.end_amdhsa_kernel
	.section	.text._ZN7rocprim17ROCPRIM_400000_NS6detail17trampoline_kernelINS0_14default_configENS1_38merge_sort_block_merge_config_selectorIdNS0_10empty_typeEEEZZNS1_27merge_sort_block_merge_implIS3_PdPS5_jNS1_19radix_merge_compareILb1ELb0EdNS0_19identity_decomposerEEEEE10hipError_tT0_T1_T2_jT3_P12ihipStream_tbPNSt15iterator_traitsISE_E10value_typeEPNSK_ISF_E10value_typeEPSG_NS1_7vsmem_tEENKUlT_SE_SF_SG_E_clIS8_S8_S9_S9_EESD_ST_SE_SF_SG_EUlST_E_NS1_11comp_targetILNS1_3genE8ELNS1_11target_archE1030ELNS1_3gpuE2ELNS1_3repE0EEENS1_48merge_mergepath_partition_config_static_selectorELNS0_4arch9wavefront6targetE1EEEvSF_,"axG",@progbits,_ZN7rocprim17ROCPRIM_400000_NS6detail17trampoline_kernelINS0_14default_configENS1_38merge_sort_block_merge_config_selectorIdNS0_10empty_typeEEEZZNS1_27merge_sort_block_merge_implIS3_PdPS5_jNS1_19radix_merge_compareILb1ELb0EdNS0_19identity_decomposerEEEEE10hipError_tT0_T1_T2_jT3_P12ihipStream_tbPNSt15iterator_traitsISE_E10value_typeEPNSK_ISF_E10value_typeEPSG_NS1_7vsmem_tEENKUlT_SE_SF_SG_E_clIS8_S8_S9_S9_EESD_ST_SE_SF_SG_EUlST_E_NS1_11comp_targetILNS1_3genE8ELNS1_11target_archE1030ELNS1_3gpuE2ELNS1_3repE0EEENS1_48merge_mergepath_partition_config_static_selectorELNS0_4arch9wavefront6targetE1EEEvSF_,comdat
.Lfunc_end2580:
	.size	_ZN7rocprim17ROCPRIM_400000_NS6detail17trampoline_kernelINS0_14default_configENS1_38merge_sort_block_merge_config_selectorIdNS0_10empty_typeEEEZZNS1_27merge_sort_block_merge_implIS3_PdPS5_jNS1_19radix_merge_compareILb1ELb0EdNS0_19identity_decomposerEEEEE10hipError_tT0_T1_T2_jT3_P12ihipStream_tbPNSt15iterator_traitsISE_E10value_typeEPNSK_ISF_E10value_typeEPSG_NS1_7vsmem_tEENKUlT_SE_SF_SG_E_clIS8_S8_S9_S9_EESD_ST_SE_SF_SG_EUlST_E_NS1_11comp_targetILNS1_3genE8ELNS1_11target_archE1030ELNS1_3gpuE2ELNS1_3repE0EEENS1_48merge_mergepath_partition_config_static_selectorELNS0_4arch9wavefront6targetE1EEEvSF_, .Lfunc_end2580-_ZN7rocprim17ROCPRIM_400000_NS6detail17trampoline_kernelINS0_14default_configENS1_38merge_sort_block_merge_config_selectorIdNS0_10empty_typeEEEZZNS1_27merge_sort_block_merge_implIS3_PdPS5_jNS1_19radix_merge_compareILb1ELb0EdNS0_19identity_decomposerEEEEE10hipError_tT0_T1_T2_jT3_P12ihipStream_tbPNSt15iterator_traitsISE_E10value_typeEPNSK_ISF_E10value_typeEPSG_NS1_7vsmem_tEENKUlT_SE_SF_SG_E_clIS8_S8_S9_S9_EESD_ST_SE_SF_SG_EUlST_E_NS1_11comp_targetILNS1_3genE8ELNS1_11target_archE1030ELNS1_3gpuE2ELNS1_3repE0EEENS1_48merge_mergepath_partition_config_static_selectorELNS0_4arch9wavefront6targetE1EEEvSF_
                                        ; -- End function
	.section	.AMDGPU.csdata,"",@progbits
; Kernel info:
; codeLenInByte = 0
; NumSgprs: 4
; NumVgprs: 0
; NumAgprs: 0
; TotalNumVgprs: 0
; ScratchSize: 0
; MemoryBound: 0
; FloatMode: 240
; IeeeMode: 1
; LDSByteSize: 0 bytes/workgroup (compile time only)
; SGPRBlocks: 0
; VGPRBlocks: 0
; NumSGPRsForWavesPerEU: 4
; NumVGPRsForWavesPerEU: 1
; AccumOffset: 4
; Occupancy: 8
; WaveLimiterHint : 0
; COMPUTE_PGM_RSRC2:SCRATCH_EN: 0
; COMPUTE_PGM_RSRC2:USER_SGPR: 6
; COMPUTE_PGM_RSRC2:TRAP_HANDLER: 0
; COMPUTE_PGM_RSRC2:TGID_X_EN: 1
; COMPUTE_PGM_RSRC2:TGID_Y_EN: 0
; COMPUTE_PGM_RSRC2:TGID_Z_EN: 0
; COMPUTE_PGM_RSRC2:TIDIG_COMP_CNT: 0
; COMPUTE_PGM_RSRC3_GFX90A:ACCUM_OFFSET: 0
; COMPUTE_PGM_RSRC3_GFX90A:TG_SPLIT: 0
	.section	.text._ZN7rocprim17ROCPRIM_400000_NS6detail17trampoline_kernelINS0_14default_configENS1_38merge_sort_block_merge_config_selectorIdNS0_10empty_typeEEEZZNS1_27merge_sort_block_merge_implIS3_PdPS5_jNS1_19radix_merge_compareILb1ELb0EdNS0_19identity_decomposerEEEEE10hipError_tT0_T1_T2_jT3_P12ihipStream_tbPNSt15iterator_traitsISE_E10value_typeEPNSK_ISF_E10value_typeEPSG_NS1_7vsmem_tEENKUlT_SE_SF_SG_E_clIS8_S8_S9_S9_EESD_ST_SE_SF_SG_EUlST_E0_NS1_11comp_targetILNS1_3genE0ELNS1_11target_archE4294967295ELNS1_3gpuE0ELNS1_3repE0EEENS1_38merge_mergepath_config_static_selectorELNS0_4arch9wavefront6targetE1EEEvSF_,"axG",@progbits,_ZN7rocprim17ROCPRIM_400000_NS6detail17trampoline_kernelINS0_14default_configENS1_38merge_sort_block_merge_config_selectorIdNS0_10empty_typeEEEZZNS1_27merge_sort_block_merge_implIS3_PdPS5_jNS1_19radix_merge_compareILb1ELb0EdNS0_19identity_decomposerEEEEE10hipError_tT0_T1_T2_jT3_P12ihipStream_tbPNSt15iterator_traitsISE_E10value_typeEPNSK_ISF_E10value_typeEPSG_NS1_7vsmem_tEENKUlT_SE_SF_SG_E_clIS8_S8_S9_S9_EESD_ST_SE_SF_SG_EUlST_E0_NS1_11comp_targetILNS1_3genE0ELNS1_11target_archE4294967295ELNS1_3gpuE0ELNS1_3repE0EEENS1_38merge_mergepath_config_static_selectorELNS0_4arch9wavefront6targetE1EEEvSF_,comdat
	.protected	_ZN7rocprim17ROCPRIM_400000_NS6detail17trampoline_kernelINS0_14default_configENS1_38merge_sort_block_merge_config_selectorIdNS0_10empty_typeEEEZZNS1_27merge_sort_block_merge_implIS3_PdPS5_jNS1_19radix_merge_compareILb1ELb0EdNS0_19identity_decomposerEEEEE10hipError_tT0_T1_T2_jT3_P12ihipStream_tbPNSt15iterator_traitsISE_E10value_typeEPNSK_ISF_E10value_typeEPSG_NS1_7vsmem_tEENKUlT_SE_SF_SG_E_clIS8_S8_S9_S9_EESD_ST_SE_SF_SG_EUlST_E0_NS1_11comp_targetILNS1_3genE0ELNS1_11target_archE4294967295ELNS1_3gpuE0ELNS1_3repE0EEENS1_38merge_mergepath_config_static_selectorELNS0_4arch9wavefront6targetE1EEEvSF_ ; -- Begin function _ZN7rocprim17ROCPRIM_400000_NS6detail17trampoline_kernelINS0_14default_configENS1_38merge_sort_block_merge_config_selectorIdNS0_10empty_typeEEEZZNS1_27merge_sort_block_merge_implIS3_PdPS5_jNS1_19radix_merge_compareILb1ELb0EdNS0_19identity_decomposerEEEEE10hipError_tT0_T1_T2_jT3_P12ihipStream_tbPNSt15iterator_traitsISE_E10value_typeEPNSK_ISF_E10value_typeEPSG_NS1_7vsmem_tEENKUlT_SE_SF_SG_E_clIS8_S8_S9_S9_EESD_ST_SE_SF_SG_EUlST_E0_NS1_11comp_targetILNS1_3genE0ELNS1_11target_archE4294967295ELNS1_3gpuE0ELNS1_3repE0EEENS1_38merge_mergepath_config_static_selectorELNS0_4arch9wavefront6targetE1EEEvSF_
	.globl	_ZN7rocprim17ROCPRIM_400000_NS6detail17trampoline_kernelINS0_14default_configENS1_38merge_sort_block_merge_config_selectorIdNS0_10empty_typeEEEZZNS1_27merge_sort_block_merge_implIS3_PdPS5_jNS1_19radix_merge_compareILb1ELb0EdNS0_19identity_decomposerEEEEE10hipError_tT0_T1_T2_jT3_P12ihipStream_tbPNSt15iterator_traitsISE_E10value_typeEPNSK_ISF_E10value_typeEPSG_NS1_7vsmem_tEENKUlT_SE_SF_SG_E_clIS8_S8_S9_S9_EESD_ST_SE_SF_SG_EUlST_E0_NS1_11comp_targetILNS1_3genE0ELNS1_11target_archE4294967295ELNS1_3gpuE0ELNS1_3repE0EEENS1_38merge_mergepath_config_static_selectorELNS0_4arch9wavefront6targetE1EEEvSF_
	.p2align	8
	.type	_ZN7rocprim17ROCPRIM_400000_NS6detail17trampoline_kernelINS0_14default_configENS1_38merge_sort_block_merge_config_selectorIdNS0_10empty_typeEEEZZNS1_27merge_sort_block_merge_implIS3_PdPS5_jNS1_19radix_merge_compareILb1ELb0EdNS0_19identity_decomposerEEEEE10hipError_tT0_T1_T2_jT3_P12ihipStream_tbPNSt15iterator_traitsISE_E10value_typeEPNSK_ISF_E10value_typeEPSG_NS1_7vsmem_tEENKUlT_SE_SF_SG_E_clIS8_S8_S9_S9_EESD_ST_SE_SF_SG_EUlST_E0_NS1_11comp_targetILNS1_3genE0ELNS1_11target_archE4294967295ELNS1_3gpuE0ELNS1_3repE0EEENS1_38merge_mergepath_config_static_selectorELNS0_4arch9wavefront6targetE1EEEvSF_,@function
_ZN7rocprim17ROCPRIM_400000_NS6detail17trampoline_kernelINS0_14default_configENS1_38merge_sort_block_merge_config_selectorIdNS0_10empty_typeEEEZZNS1_27merge_sort_block_merge_implIS3_PdPS5_jNS1_19radix_merge_compareILb1ELb0EdNS0_19identity_decomposerEEEEE10hipError_tT0_T1_T2_jT3_P12ihipStream_tbPNSt15iterator_traitsISE_E10value_typeEPNSK_ISF_E10value_typeEPSG_NS1_7vsmem_tEENKUlT_SE_SF_SG_E_clIS8_S8_S9_S9_EESD_ST_SE_SF_SG_EUlST_E0_NS1_11comp_targetILNS1_3genE0ELNS1_11target_archE4294967295ELNS1_3gpuE0ELNS1_3repE0EEENS1_38merge_mergepath_config_static_selectorELNS0_4arch9wavefront6targetE1EEEvSF_: ; @_ZN7rocprim17ROCPRIM_400000_NS6detail17trampoline_kernelINS0_14default_configENS1_38merge_sort_block_merge_config_selectorIdNS0_10empty_typeEEEZZNS1_27merge_sort_block_merge_implIS3_PdPS5_jNS1_19radix_merge_compareILb1ELb0EdNS0_19identity_decomposerEEEEE10hipError_tT0_T1_T2_jT3_P12ihipStream_tbPNSt15iterator_traitsISE_E10value_typeEPNSK_ISF_E10value_typeEPSG_NS1_7vsmem_tEENKUlT_SE_SF_SG_E_clIS8_S8_S9_S9_EESD_ST_SE_SF_SG_EUlST_E0_NS1_11comp_targetILNS1_3genE0ELNS1_11target_archE4294967295ELNS1_3gpuE0ELNS1_3repE0EEENS1_38merge_mergepath_config_static_selectorELNS0_4arch9wavefront6targetE1EEEvSF_
; %bb.0:
	.section	.rodata,"a",@progbits
	.p2align	6, 0x0
	.amdhsa_kernel _ZN7rocprim17ROCPRIM_400000_NS6detail17trampoline_kernelINS0_14default_configENS1_38merge_sort_block_merge_config_selectorIdNS0_10empty_typeEEEZZNS1_27merge_sort_block_merge_implIS3_PdPS5_jNS1_19radix_merge_compareILb1ELb0EdNS0_19identity_decomposerEEEEE10hipError_tT0_T1_T2_jT3_P12ihipStream_tbPNSt15iterator_traitsISE_E10value_typeEPNSK_ISF_E10value_typeEPSG_NS1_7vsmem_tEENKUlT_SE_SF_SG_E_clIS8_S8_S9_S9_EESD_ST_SE_SF_SG_EUlST_E0_NS1_11comp_targetILNS1_3genE0ELNS1_11target_archE4294967295ELNS1_3gpuE0ELNS1_3repE0EEENS1_38merge_mergepath_config_static_selectorELNS0_4arch9wavefront6targetE1EEEvSF_
		.amdhsa_group_segment_fixed_size 0
		.amdhsa_private_segment_fixed_size 0
		.amdhsa_kernarg_size 64
		.amdhsa_user_sgpr_count 6
		.amdhsa_user_sgpr_private_segment_buffer 1
		.amdhsa_user_sgpr_dispatch_ptr 0
		.amdhsa_user_sgpr_queue_ptr 0
		.amdhsa_user_sgpr_kernarg_segment_ptr 1
		.amdhsa_user_sgpr_dispatch_id 0
		.amdhsa_user_sgpr_flat_scratch_init 0
		.amdhsa_user_sgpr_kernarg_preload_length 0
		.amdhsa_user_sgpr_kernarg_preload_offset 0
		.amdhsa_user_sgpr_private_segment_size 0
		.amdhsa_uses_dynamic_stack 0
		.amdhsa_system_sgpr_private_segment_wavefront_offset 0
		.amdhsa_system_sgpr_workgroup_id_x 1
		.amdhsa_system_sgpr_workgroup_id_y 0
		.amdhsa_system_sgpr_workgroup_id_z 0
		.amdhsa_system_sgpr_workgroup_info 0
		.amdhsa_system_vgpr_workitem_id 0
		.amdhsa_next_free_vgpr 1
		.amdhsa_next_free_sgpr 0
		.amdhsa_accum_offset 4
		.amdhsa_reserve_vcc 0
		.amdhsa_reserve_flat_scratch 0
		.amdhsa_float_round_mode_32 0
		.amdhsa_float_round_mode_16_64 0
		.amdhsa_float_denorm_mode_32 3
		.amdhsa_float_denorm_mode_16_64 3
		.amdhsa_dx10_clamp 1
		.amdhsa_ieee_mode 1
		.amdhsa_fp16_overflow 0
		.amdhsa_tg_split 0
		.amdhsa_exception_fp_ieee_invalid_op 0
		.amdhsa_exception_fp_denorm_src 0
		.amdhsa_exception_fp_ieee_div_zero 0
		.amdhsa_exception_fp_ieee_overflow 0
		.amdhsa_exception_fp_ieee_underflow 0
		.amdhsa_exception_fp_ieee_inexact 0
		.amdhsa_exception_int_div_zero 0
	.end_amdhsa_kernel
	.section	.text._ZN7rocprim17ROCPRIM_400000_NS6detail17trampoline_kernelINS0_14default_configENS1_38merge_sort_block_merge_config_selectorIdNS0_10empty_typeEEEZZNS1_27merge_sort_block_merge_implIS3_PdPS5_jNS1_19radix_merge_compareILb1ELb0EdNS0_19identity_decomposerEEEEE10hipError_tT0_T1_T2_jT3_P12ihipStream_tbPNSt15iterator_traitsISE_E10value_typeEPNSK_ISF_E10value_typeEPSG_NS1_7vsmem_tEENKUlT_SE_SF_SG_E_clIS8_S8_S9_S9_EESD_ST_SE_SF_SG_EUlST_E0_NS1_11comp_targetILNS1_3genE0ELNS1_11target_archE4294967295ELNS1_3gpuE0ELNS1_3repE0EEENS1_38merge_mergepath_config_static_selectorELNS0_4arch9wavefront6targetE1EEEvSF_,"axG",@progbits,_ZN7rocprim17ROCPRIM_400000_NS6detail17trampoline_kernelINS0_14default_configENS1_38merge_sort_block_merge_config_selectorIdNS0_10empty_typeEEEZZNS1_27merge_sort_block_merge_implIS3_PdPS5_jNS1_19radix_merge_compareILb1ELb0EdNS0_19identity_decomposerEEEEE10hipError_tT0_T1_T2_jT3_P12ihipStream_tbPNSt15iterator_traitsISE_E10value_typeEPNSK_ISF_E10value_typeEPSG_NS1_7vsmem_tEENKUlT_SE_SF_SG_E_clIS8_S8_S9_S9_EESD_ST_SE_SF_SG_EUlST_E0_NS1_11comp_targetILNS1_3genE0ELNS1_11target_archE4294967295ELNS1_3gpuE0ELNS1_3repE0EEENS1_38merge_mergepath_config_static_selectorELNS0_4arch9wavefront6targetE1EEEvSF_,comdat
.Lfunc_end2581:
	.size	_ZN7rocprim17ROCPRIM_400000_NS6detail17trampoline_kernelINS0_14default_configENS1_38merge_sort_block_merge_config_selectorIdNS0_10empty_typeEEEZZNS1_27merge_sort_block_merge_implIS3_PdPS5_jNS1_19radix_merge_compareILb1ELb0EdNS0_19identity_decomposerEEEEE10hipError_tT0_T1_T2_jT3_P12ihipStream_tbPNSt15iterator_traitsISE_E10value_typeEPNSK_ISF_E10value_typeEPSG_NS1_7vsmem_tEENKUlT_SE_SF_SG_E_clIS8_S8_S9_S9_EESD_ST_SE_SF_SG_EUlST_E0_NS1_11comp_targetILNS1_3genE0ELNS1_11target_archE4294967295ELNS1_3gpuE0ELNS1_3repE0EEENS1_38merge_mergepath_config_static_selectorELNS0_4arch9wavefront6targetE1EEEvSF_, .Lfunc_end2581-_ZN7rocprim17ROCPRIM_400000_NS6detail17trampoline_kernelINS0_14default_configENS1_38merge_sort_block_merge_config_selectorIdNS0_10empty_typeEEEZZNS1_27merge_sort_block_merge_implIS3_PdPS5_jNS1_19radix_merge_compareILb1ELb0EdNS0_19identity_decomposerEEEEE10hipError_tT0_T1_T2_jT3_P12ihipStream_tbPNSt15iterator_traitsISE_E10value_typeEPNSK_ISF_E10value_typeEPSG_NS1_7vsmem_tEENKUlT_SE_SF_SG_E_clIS8_S8_S9_S9_EESD_ST_SE_SF_SG_EUlST_E0_NS1_11comp_targetILNS1_3genE0ELNS1_11target_archE4294967295ELNS1_3gpuE0ELNS1_3repE0EEENS1_38merge_mergepath_config_static_selectorELNS0_4arch9wavefront6targetE1EEEvSF_
                                        ; -- End function
	.section	.AMDGPU.csdata,"",@progbits
; Kernel info:
; codeLenInByte = 0
; NumSgprs: 4
; NumVgprs: 0
; NumAgprs: 0
; TotalNumVgprs: 0
; ScratchSize: 0
; MemoryBound: 0
; FloatMode: 240
; IeeeMode: 1
; LDSByteSize: 0 bytes/workgroup (compile time only)
; SGPRBlocks: 0
; VGPRBlocks: 0
; NumSGPRsForWavesPerEU: 4
; NumVGPRsForWavesPerEU: 1
; AccumOffset: 4
; Occupancy: 8
; WaveLimiterHint : 0
; COMPUTE_PGM_RSRC2:SCRATCH_EN: 0
; COMPUTE_PGM_RSRC2:USER_SGPR: 6
; COMPUTE_PGM_RSRC2:TRAP_HANDLER: 0
; COMPUTE_PGM_RSRC2:TGID_X_EN: 1
; COMPUTE_PGM_RSRC2:TGID_Y_EN: 0
; COMPUTE_PGM_RSRC2:TGID_Z_EN: 0
; COMPUTE_PGM_RSRC2:TIDIG_COMP_CNT: 0
; COMPUTE_PGM_RSRC3_GFX90A:ACCUM_OFFSET: 0
; COMPUTE_PGM_RSRC3_GFX90A:TG_SPLIT: 0
	.section	.text._ZN7rocprim17ROCPRIM_400000_NS6detail17trampoline_kernelINS0_14default_configENS1_38merge_sort_block_merge_config_selectorIdNS0_10empty_typeEEEZZNS1_27merge_sort_block_merge_implIS3_PdPS5_jNS1_19radix_merge_compareILb1ELb0EdNS0_19identity_decomposerEEEEE10hipError_tT0_T1_T2_jT3_P12ihipStream_tbPNSt15iterator_traitsISE_E10value_typeEPNSK_ISF_E10value_typeEPSG_NS1_7vsmem_tEENKUlT_SE_SF_SG_E_clIS8_S8_S9_S9_EESD_ST_SE_SF_SG_EUlST_E0_NS1_11comp_targetILNS1_3genE10ELNS1_11target_archE1201ELNS1_3gpuE5ELNS1_3repE0EEENS1_38merge_mergepath_config_static_selectorELNS0_4arch9wavefront6targetE1EEEvSF_,"axG",@progbits,_ZN7rocprim17ROCPRIM_400000_NS6detail17trampoline_kernelINS0_14default_configENS1_38merge_sort_block_merge_config_selectorIdNS0_10empty_typeEEEZZNS1_27merge_sort_block_merge_implIS3_PdPS5_jNS1_19radix_merge_compareILb1ELb0EdNS0_19identity_decomposerEEEEE10hipError_tT0_T1_T2_jT3_P12ihipStream_tbPNSt15iterator_traitsISE_E10value_typeEPNSK_ISF_E10value_typeEPSG_NS1_7vsmem_tEENKUlT_SE_SF_SG_E_clIS8_S8_S9_S9_EESD_ST_SE_SF_SG_EUlST_E0_NS1_11comp_targetILNS1_3genE10ELNS1_11target_archE1201ELNS1_3gpuE5ELNS1_3repE0EEENS1_38merge_mergepath_config_static_selectorELNS0_4arch9wavefront6targetE1EEEvSF_,comdat
	.protected	_ZN7rocprim17ROCPRIM_400000_NS6detail17trampoline_kernelINS0_14default_configENS1_38merge_sort_block_merge_config_selectorIdNS0_10empty_typeEEEZZNS1_27merge_sort_block_merge_implIS3_PdPS5_jNS1_19radix_merge_compareILb1ELb0EdNS0_19identity_decomposerEEEEE10hipError_tT0_T1_T2_jT3_P12ihipStream_tbPNSt15iterator_traitsISE_E10value_typeEPNSK_ISF_E10value_typeEPSG_NS1_7vsmem_tEENKUlT_SE_SF_SG_E_clIS8_S8_S9_S9_EESD_ST_SE_SF_SG_EUlST_E0_NS1_11comp_targetILNS1_3genE10ELNS1_11target_archE1201ELNS1_3gpuE5ELNS1_3repE0EEENS1_38merge_mergepath_config_static_selectorELNS0_4arch9wavefront6targetE1EEEvSF_ ; -- Begin function _ZN7rocprim17ROCPRIM_400000_NS6detail17trampoline_kernelINS0_14default_configENS1_38merge_sort_block_merge_config_selectorIdNS0_10empty_typeEEEZZNS1_27merge_sort_block_merge_implIS3_PdPS5_jNS1_19radix_merge_compareILb1ELb0EdNS0_19identity_decomposerEEEEE10hipError_tT0_T1_T2_jT3_P12ihipStream_tbPNSt15iterator_traitsISE_E10value_typeEPNSK_ISF_E10value_typeEPSG_NS1_7vsmem_tEENKUlT_SE_SF_SG_E_clIS8_S8_S9_S9_EESD_ST_SE_SF_SG_EUlST_E0_NS1_11comp_targetILNS1_3genE10ELNS1_11target_archE1201ELNS1_3gpuE5ELNS1_3repE0EEENS1_38merge_mergepath_config_static_selectorELNS0_4arch9wavefront6targetE1EEEvSF_
	.globl	_ZN7rocprim17ROCPRIM_400000_NS6detail17trampoline_kernelINS0_14default_configENS1_38merge_sort_block_merge_config_selectorIdNS0_10empty_typeEEEZZNS1_27merge_sort_block_merge_implIS3_PdPS5_jNS1_19radix_merge_compareILb1ELb0EdNS0_19identity_decomposerEEEEE10hipError_tT0_T1_T2_jT3_P12ihipStream_tbPNSt15iterator_traitsISE_E10value_typeEPNSK_ISF_E10value_typeEPSG_NS1_7vsmem_tEENKUlT_SE_SF_SG_E_clIS8_S8_S9_S9_EESD_ST_SE_SF_SG_EUlST_E0_NS1_11comp_targetILNS1_3genE10ELNS1_11target_archE1201ELNS1_3gpuE5ELNS1_3repE0EEENS1_38merge_mergepath_config_static_selectorELNS0_4arch9wavefront6targetE1EEEvSF_
	.p2align	8
	.type	_ZN7rocprim17ROCPRIM_400000_NS6detail17trampoline_kernelINS0_14default_configENS1_38merge_sort_block_merge_config_selectorIdNS0_10empty_typeEEEZZNS1_27merge_sort_block_merge_implIS3_PdPS5_jNS1_19radix_merge_compareILb1ELb0EdNS0_19identity_decomposerEEEEE10hipError_tT0_T1_T2_jT3_P12ihipStream_tbPNSt15iterator_traitsISE_E10value_typeEPNSK_ISF_E10value_typeEPSG_NS1_7vsmem_tEENKUlT_SE_SF_SG_E_clIS8_S8_S9_S9_EESD_ST_SE_SF_SG_EUlST_E0_NS1_11comp_targetILNS1_3genE10ELNS1_11target_archE1201ELNS1_3gpuE5ELNS1_3repE0EEENS1_38merge_mergepath_config_static_selectorELNS0_4arch9wavefront6targetE1EEEvSF_,@function
_ZN7rocprim17ROCPRIM_400000_NS6detail17trampoline_kernelINS0_14default_configENS1_38merge_sort_block_merge_config_selectorIdNS0_10empty_typeEEEZZNS1_27merge_sort_block_merge_implIS3_PdPS5_jNS1_19radix_merge_compareILb1ELb0EdNS0_19identity_decomposerEEEEE10hipError_tT0_T1_T2_jT3_P12ihipStream_tbPNSt15iterator_traitsISE_E10value_typeEPNSK_ISF_E10value_typeEPSG_NS1_7vsmem_tEENKUlT_SE_SF_SG_E_clIS8_S8_S9_S9_EESD_ST_SE_SF_SG_EUlST_E0_NS1_11comp_targetILNS1_3genE10ELNS1_11target_archE1201ELNS1_3gpuE5ELNS1_3repE0EEENS1_38merge_mergepath_config_static_selectorELNS0_4arch9wavefront6targetE1EEEvSF_: ; @_ZN7rocprim17ROCPRIM_400000_NS6detail17trampoline_kernelINS0_14default_configENS1_38merge_sort_block_merge_config_selectorIdNS0_10empty_typeEEEZZNS1_27merge_sort_block_merge_implIS3_PdPS5_jNS1_19radix_merge_compareILb1ELb0EdNS0_19identity_decomposerEEEEE10hipError_tT0_T1_T2_jT3_P12ihipStream_tbPNSt15iterator_traitsISE_E10value_typeEPNSK_ISF_E10value_typeEPSG_NS1_7vsmem_tEENKUlT_SE_SF_SG_E_clIS8_S8_S9_S9_EESD_ST_SE_SF_SG_EUlST_E0_NS1_11comp_targetILNS1_3genE10ELNS1_11target_archE1201ELNS1_3gpuE5ELNS1_3repE0EEENS1_38merge_mergepath_config_static_selectorELNS0_4arch9wavefront6targetE1EEEvSF_
; %bb.0:
	.section	.rodata,"a",@progbits
	.p2align	6, 0x0
	.amdhsa_kernel _ZN7rocprim17ROCPRIM_400000_NS6detail17trampoline_kernelINS0_14default_configENS1_38merge_sort_block_merge_config_selectorIdNS0_10empty_typeEEEZZNS1_27merge_sort_block_merge_implIS3_PdPS5_jNS1_19radix_merge_compareILb1ELb0EdNS0_19identity_decomposerEEEEE10hipError_tT0_T1_T2_jT3_P12ihipStream_tbPNSt15iterator_traitsISE_E10value_typeEPNSK_ISF_E10value_typeEPSG_NS1_7vsmem_tEENKUlT_SE_SF_SG_E_clIS8_S8_S9_S9_EESD_ST_SE_SF_SG_EUlST_E0_NS1_11comp_targetILNS1_3genE10ELNS1_11target_archE1201ELNS1_3gpuE5ELNS1_3repE0EEENS1_38merge_mergepath_config_static_selectorELNS0_4arch9wavefront6targetE1EEEvSF_
		.amdhsa_group_segment_fixed_size 0
		.amdhsa_private_segment_fixed_size 0
		.amdhsa_kernarg_size 64
		.amdhsa_user_sgpr_count 6
		.amdhsa_user_sgpr_private_segment_buffer 1
		.amdhsa_user_sgpr_dispatch_ptr 0
		.amdhsa_user_sgpr_queue_ptr 0
		.amdhsa_user_sgpr_kernarg_segment_ptr 1
		.amdhsa_user_sgpr_dispatch_id 0
		.amdhsa_user_sgpr_flat_scratch_init 0
		.amdhsa_user_sgpr_kernarg_preload_length 0
		.amdhsa_user_sgpr_kernarg_preload_offset 0
		.amdhsa_user_sgpr_private_segment_size 0
		.amdhsa_uses_dynamic_stack 0
		.amdhsa_system_sgpr_private_segment_wavefront_offset 0
		.amdhsa_system_sgpr_workgroup_id_x 1
		.amdhsa_system_sgpr_workgroup_id_y 0
		.amdhsa_system_sgpr_workgroup_id_z 0
		.amdhsa_system_sgpr_workgroup_info 0
		.amdhsa_system_vgpr_workitem_id 0
		.amdhsa_next_free_vgpr 1
		.amdhsa_next_free_sgpr 0
		.amdhsa_accum_offset 4
		.amdhsa_reserve_vcc 0
		.amdhsa_reserve_flat_scratch 0
		.amdhsa_float_round_mode_32 0
		.amdhsa_float_round_mode_16_64 0
		.amdhsa_float_denorm_mode_32 3
		.amdhsa_float_denorm_mode_16_64 3
		.amdhsa_dx10_clamp 1
		.amdhsa_ieee_mode 1
		.amdhsa_fp16_overflow 0
		.amdhsa_tg_split 0
		.amdhsa_exception_fp_ieee_invalid_op 0
		.amdhsa_exception_fp_denorm_src 0
		.amdhsa_exception_fp_ieee_div_zero 0
		.amdhsa_exception_fp_ieee_overflow 0
		.amdhsa_exception_fp_ieee_underflow 0
		.amdhsa_exception_fp_ieee_inexact 0
		.amdhsa_exception_int_div_zero 0
	.end_amdhsa_kernel
	.section	.text._ZN7rocprim17ROCPRIM_400000_NS6detail17trampoline_kernelINS0_14default_configENS1_38merge_sort_block_merge_config_selectorIdNS0_10empty_typeEEEZZNS1_27merge_sort_block_merge_implIS3_PdPS5_jNS1_19radix_merge_compareILb1ELb0EdNS0_19identity_decomposerEEEEE10hipError_tT0_T1_T2_jT3_P12ihipStream_tbPNSt15iterator_traitsISE_E10value_typeEPNSK_ISF_E10value_typeEPSG_NS1_7vsmem_tEENKUlT_SE_SF_SG_E_clIS8_S8_S9_S9_EESD_ST_SE_SF_SG_EUlST_E0_NS1_11comp_targetILNS1_3genE10ELNS1_11target_archE1201ELNS1_3gpuE5ELNS1_3repE0EEENS1_38merge_mergepath_config_static_selectorELNS0_4arch9wavefront6targetE1EEEvSF_,"axG",@progbits,_ZN7rocprim17ROCPRIM_400000_NS6detail17trampoline_kernelINS0_14default_configENS1_38merge_sort_block_merge_config_selectorIdNS0_10empty_typeEEEZZNS1_27merge_sort_block_merge_implIS3_PdPS5_jNS1_19radix_merge_compareILb1ELb0EdNS0_19identity_decomposerEEEEE10hipError_tT0_T1_T2_jT3_P12ihipStream_tbPNSt15iterator_traitsISE_E10value_typeEPNSK_ISF_E10value_typeEPSG_NS1_7vsmem_tEENKUlT_SE_SF_SG_E_clIS8_S8_S9_S9_EESD_ST_SE_SF_SG_EUlST_E0_NS1_11comp_targetILNS1_3genE10ELNS1_11target_archE1201ELNS1_3gpuE5ELNS1_3repE0EEENS1_38merge_mergepath_config_static_selectorELNS0_4arch9wavefront6targetE1EEEvSF_,comdat
.Lfunc_end2582:
	.size	_ZN7rocprim17ROCPRIM_400000_NS6detail17trampoline_kernelINS0_14default_configENS1_38merge_sort_block_merge_config_selectorIdNS0_10empty_typeEEEZZNS1_27merge_sort_block_merge_implIS3_PdPS5_jNS1_19radix_merge_compareILb1ELb0EdNS0_19identity_decomposerEEEEE10hipError_tT0_T1_T2_jT3_P12ihipStream_tbPNSt15iterator_traitsISE_E10value_typeEPNSK_ISF_E10value_typeEPSG_NS1_7vsmem_tEENKUlT_SE_SF_SG_E_clIS8_S8_S9_S9_EESD_ST_SE_SF_SG_EUlST_E0_NS1_11comp_targetILNS1_3genE10ELNS1_11target_archE1201ELNS1_3gpuE5ELNS1_3repE0EEENS1_38merge_mergepath_config_static_selectorELNS0_4arch9wavefront6targetE1EEEvSF_, .Lfunc_end2582-_ZN7rocprim17ROCPRIM_400000_NS6detail17trampoline_kernelINS0_14default_configENS1_38merge_sort_block_merge_config_selectorIdNS0_10empty_typeEEEZZNS1_27merge_sort_block_merge_implIS3_PdPS5_jNS1_19radix_merge_compareILb1ELb0EdNS0_19identity_decomposerEEEEE10hipError_tT0_T1_T2_jT3_P12ihipStream_tbPNSt15iterator_traitsISE_E10value_typeEPNSK_ISF_E10value_typeEPSG_NS1_7vsmem_tEENKUlT_SE_SF_SG_E_clIS8_S8_S9_S9_EESD_ST_SE_SF_SG_EUlST_E0_NS1_11comp_targetILNS1_3genE10ELNS1_11target_archE1201ELNS1_3gpuE5ELNS1_3repE0EEENS1_38merge_mergepath_config_static_selectorELNS0_4arch9wavefront6targetE1EEEvSF_
                                        ; -- End function
	.section	.AMDGPU.csdata,"",@progbits
; Kernel info:
; codeLenInByte = 0
; NumSgprs: 4
; NumVgprs: 0
; NumAgprs: 0
; TotalNumVgprs: 0
; ScratchSize: 0
; MemoryBound: 0
; FloatMode: 240
; IeeeMode: 1
; LDSByteSize: 0 bytes/workgroup (compile time only)
; SGPRBlocks: 0
; VGPRBlocks: 0
; NumSGPRsForWavesPerEU: 4
; NumVGPRsForWavesPerEU: 1
; AccumOffset: 4
; Occupancy: 8
; WaveLimiterHint : 0
; COMPUTE_PGM_RSRC2:SCRATCH_EN: 0
; COMPUTE_PGM_RSRC2:USER_SGPR: 6
; COMPUTE_PGM_RSRC2:TRAP_HANDLER: 0
; COMPUTE_PGM_RSRC2:TGID_X_EN: 1
; COMPUTE_PGM_RSRC2:TGID_Y_EN: 0
; COMPUTE_PGM_RSRC2:TGID_Z_EN: 0
; COMPUTE_PGM_RSRC2:TIDIG_COMP_CNT: 0
; COMPUTE_PGM_RSRC3_GFX90A:ACCUM_OFFSET: 0
; COMPUTE_PGM_RSRC3_GFX90A:TG_SPLIT: 0
	.section	.text._ZN7rocprim17ROCPRIM_400000_NS6detail17trampoline_kernelINS0_14default_configENS1_38merge_sort_block_merge_config_selectorIdNS0_10empty_typeEEEZZNS1_27merge_sort_block_merge_implIS3_PdPS5_jNS1_19radix_merge_compareILb1ELb0EdNS0_19identity_decomposerEEEEE10hipError_tT0_T1_T2_jT3_P12ihipStream_tbPNSt15iterator_traitsISE_E10value_typeEPNSK_ISF_E10value_typeEPSG_NS1_7vsmem_tEENKUlT_SE_SF_SG_E_clIS8_S8_S9_S9_EESD_ST_SE_SF_SG_EUlST_E0_NS1_11comp_targetILNS1_3genE5ELNS1_11target_archE942ELNS1_3gpuE9ELNS1_3repE0EEENS1_38merge_mergepath_config_static_selectorELNS0_4arch9wavefront6targetE1EEEvSF_,"axG",@progbits,_ZN7rocprim17ROCPRIM_400000_NS6detail17trampoline_kernelINS0_14default_configENS1_38merge_sort_block_merge_config_selectorIdNS0_10empty_typeEEEZZNS1_27merge_sort_block_merge_implIS3_PdPS5_jNS1_19radix_merge_compareILb1ELb0EdNS0_19identity_decomposerEEEEE10hipError_tT0_T1_T2_jT3_P12ihipStream_tbPNSt15iterator_traitsISE_E10value_typeEPNSK_ISF_E10value_typeEPSG_NS1_7vsmem_tEENKUlT_SE_SF_SG_E_clIS8_S8_S9_S9_EESD_ST_SE_SF_SG_EUlST_E0_NS1_11comp_targetILNS1_3genE5ELNS1_11target_archE942ELNS1_3gpuE9ELNS1_3repE0EEENS1_38merge_mergepath_config_static_selectorELNS0_4arch9wavefront6targetE1EEEvSF_,comdat
	.protected	_ZN7rocprim17ROCPRIM_400000_NS6detail17trampoline_kernelINS0_14default_configENS1_38merge_sort_block_merge_config_selectorIdNS0_10empty_typeEEEZZNS1_27merge_sort_block_merge_implIS3_PdPS5_jNS1_19radix_merge_compareILb1ELb0EdNS0_19identity_decomposerEEEEE10hipError_tT0_T1_T2_jT3_P12ihipStream_tbPNSt15iterator_traitsISE_E10value_typeEPNSK_ISF_E10value_typeEPSG_NS1_7vsmem_tEENKUlT_SE_SF_SG_E_clIS8_S8_S9_S9_EESD_ST_SE_SF_SG_EUlST_E0_NS1_11comp_targetILNS1_3genE5ELNS1_11target_archE942ELNS1_3gpuE9ELNS1_3repE0EEENS1_38merge_mergepath_config_static_selectorELNS0_4arch9wavefront6targetE1EEEvSF_ ; -- Begin function _ZN7rocprim17ROCPRIM_400000_NS6detail17trampoline_kernelINS0_14default_configENS1_38merge_sort_block_merge_config_selectorIdNS0_10empty_typeEEEZZNS1_27merge_sort_block_merge_implIS3_PdPS5_jNS1_19radix_merge_compareILb1ELb0EdNS0_19identity_decomposerEEEEE10hipError_tT0_T1_T2_jT3_P12ihipStream_tbPNSt15iterator_traitsISE_E10value_typeEPNSK_ISF_E10value_typeEPSG_NS1_7vsmem_tEENKUlT_SE_SF_SG_E_clIS8_S8_S9_S9_EESD_ST_SE_SF_SG_EUlST_E0_NS1_11comp_targetILNS1_3genE5ELNS1_11target_archE942ELNS1_3gpuE9ELNS1_3repE0EEENS1_38merge_mergepath_config_static_selectorELNS0_4arch9wavefront6targetE1EEEvSF_
	.globl	_ZN7rocprim17ROCPRIM_400000_NS6detail17trampoline_kernelINS0_14default_configENS1_38merge_sort_block_merge_config_selectorIdNS0_10empty_typeEEEZZNS1_27merge_sort_block_merge_implIS3_PdPS5_jNS1_19radix_merge_compareILb1ELb0EdNS0_19identity_decomposerEEEEE10hipError_tT0_T1_T2_jT3_P12ihipStream_tbPNSt15iterator_traitsISE_E10value_typeEPNSK_ISF_E10value_typeEPSG_NS1_7vsmem_tEENKUlT_SE_SF_SG_E_clIS8_S8_S9_S9_EESD_ST_SE_SF_SG_EUlST_E0_NS1_11comp_targetILNS1_3genE5ELNS1_11target_archE942ELNS1_3gpuE9ELNS1_3repE0EEENS1_38merge_mergepath_config_static_selectorELNS0_4arch9wavefront6targetE1EEEvSF_
	.p2align	8
	.type	_ZN7rocprim17ROCPRIM_400000_NS6detail17trampoline_kernelINS0_14default_configENS1_38merge_sort_block_merge_config_selectorIdNS0_10empty_typeEEEZZNS1_27merge_sort_block_merge_implIS3_PdPS5_jNS1_19radix_merge_compareILb1ELb0EdNS0_19identity_decomposerEEEEE10hipError_tT0_T1_T2_jT3_P12ihipStream_tbPNSt15iterator_traitsISE_E10value_typeEPNSK_ISF_E10value_typeEPSG_NS1_7vsmem_tEENKUlT_SE_SF_SG_E_clIS8_S8_S9_S9_EESD_ST_SE_SF_SG_EUlST_E0_NS1_11comp_targetILNS1_3genE5ELNS1_11target_archE942ELNS1_3gpuE9ELNS1_3repE0EEENS1_38merge_mergepath_config_static_selectorELNS0_4arch9wavefront6targetE1EEEvSF_,@function
_ZN7rocprim17ROCPRIM_400000_NS6detail17trampoline_kernelINS0_14default_configENS1_38merge_sort_block_merge_config_selectorIdNS0_10empty_typeEEEZZNS1_27merge_sort_block_merge_implIS3_PdPS5_jNS1_19radix_merge_compareILb1ELb0EdNS0_19identity_decomposerEEEEE10hipError_tT0_T1_T2_jT3_P12ihipStream_tbPNSt15iterator_traitsISE_E10value_typeEPNSK_ISF_E10value_typeEPSG_NS1_7vsmem_tEENKUlT_SE_SF_SG_E_clIS8_S8_S9_S9_EESD_ST_SE_SF_SG_EUlST_E0_NS1_11comp_targetILNS1_3genE5ELNS1_11target_archE942ELNS1_3gpuE9ELNS1_3repE0EEENS1_38merge_mergepath_config_static_selectorELNS0_4arch9wavefront6targetE1EEEvSF_: ; @_ZN7rocprim17ROCPRIM_400000_NS6detail17trampoline_kernelINS0_14default_configENS1_38merge_sort_block_merge_config_selectorIdNS0_10empty_typeEEEZZNS1_27merge_sort_block_merge_implIS3_PdPS5_jNS1_19radix_merge_compareILb1ELb0EdNS0_19identity_decomposerEEEEE10hipError_tT0_T1_T2_jT3_P12ihipStream_tbPNSt15iterator_traitsISE_E10value_typeEPNSK_ISF_E10value_typeEPSG_NS1_7vsmem_tEENKUlT_SE_SF_SG_E_clIS8_S8_S9_S9_EESD_ST_SE_SF_SG_EUlST_E0_NS1_11comp_targetILNS1_3genE5ELNS1_11target_archE942ELNS1_3gpuE9ELNS1_3repE0EEENS1_38merge_mergepath_config_static_selectorELNS0_4arch9wavefront6targetE1EEEvSF_
; %bb.0:
	.section	.rodata,"a",@progbits
	.p2align	6, 0x0
	.amdhsa_kernel _ZN7rocprim17ROCPRIM_400000_NS6detail17trampoline_kernelINS0_14default_configENS1_38merge_sort_block_merge_config_selectorIdNS0_10empty_typeEEEZZNS1_27merge_sort_block_merge_implIS3_PdPS5_jNS1_19radix_merge_compareILb1ELb0EdNS0_19identity_decomposerEEEEE10hipError_tT0_T1_T2_jT3_P12ihipStream_tbPNSt15iterator_traitsISE_E10value_typeEPNSK_ISF_E10value_typeEPSG_NS1_7vsmem_tEENKUlT_SE_SF_SG_E_clIS8_S8_S9_S9_EESD_ST_SE_SF_SG_EUlST_E0_NS1_11comp_targetILNS1_3genE5ELNS1_11target_archE942ELNS1_3gpuE9ELNS1_3repE0EEENS1_38merge_mergepath_config_static_selectorELNS0_4arch9wavefront6targetE1EEEvSF_
		.amdhsa_group_segment_fixed_size 0
		.amdhsa_private_segment_fixed_size 0
		.amdhsa_kernarg_size 64
		.amdhsa_user_sgpr_count 6
		.amdhsa_user_sgpr_private_segment_buffer 1
		.amdhsa_user_sgpr_dispatch_ptr 0
		.amdhsa_user_sgpr_queue_ptr 0
		.amdhsa_user_sgpr_kernarg_segment_ptr 1
		.amdhsa_user_sgpr_dispatch_id 0
		.amdhsa_user_sgpr_flat_scratch_init 0
		.amdhsa_user_sgpr_kernarg_preload_length 0
		.amdhsa_user_sgpr_kernarg_preload_offset 0
		.amdhsa_user_sgpr_private_segment_size 0
		.amdhsa_uses_dynamic_stack 0
		.amdhsa_system_sgpr_private_segment_wavefront_offset 0
		.amdhsa_system_sgpr_workgroup_id_x 1
		.amdhsa_system_sgpr_workgroup_id_y 0
		.amdhsa_system_sgpr_workgroup_id_z 0
		.amdhsa_system_sgpr_workgroup_info 0
		.amdhsa_system_vgpr_workitem_id 0
		.amdhsa_next_free_vgpr 1
		.amdhsa_next_free_sgpr 0
		.amdhsa_accum_offset 4
		.amdhsa_reserve_vcc 0
		.amdhsa_reserve_flat_scratch 0
		.amdhsa_float_round_mode_32 0
		.amdhsa_float_round_mode_16_64 0
		.amdhsa_float_denorm_mode_32 3
		.amdhsa_float_denorm_mode_16_64 3
		.amdhsa_dx10_clamp 1
		.amdhsa_ieee_mode 1
		.amdhsa_fp16_overflow 0
		.amdhsa_tg_split 0
		.amdhsa_exception_fp_ieee_invalid_op 0
		.amdhsa_exception_fp_denorm_src 0
		.amdhsa_exception_fp_ieee_div_zero 0
		.amdhsa_exception_fp_ieee_overflow 0
		.amdhsa_exception_fp_ieee_underflow 0
		.amdhsa_exception_fp_ieee_inexact 0
		.amdhsa_exception_int_div_zero 0
	.end_amdhsa_kernel
	.section	.text._ZN7rocprim17ROCPRIM_400000_NS6detail17trampoline_kernelINS0_14default_configENS1_38merge_sort_block_merge_config_selectorIdNS0_10empty_typeEEEZZNS1_27merge_sort_block_merge_implIS3_PdPS5_jNS1_19radix_merge_compareILb1ELb0EdNS0_19identity_decomposerEEEEE10hipError_tT0_T1_T2_jT3_P12ihipStream_tbPNSt15iterator_traitsISE_E10value_typeEPNSK_ISF_E10value_typeEPSG_NS1_7vsmem_tEENKUlT_SE_SF_SG_E_clIS8_S8_S9_S9_EESD_ST_SE_SF_SG_EUlST_E0_NS1_11comp_targetILNS1_3genE5ELNS1_11target_archE942ELNS1_3gpuE9ELNS1_3repE0EEENS1_38merge_mergepath_config_static_selectorELNS0_4arch9wavefront6targetE1EEEvSF_,"axG",@progbits,_ZN7rocprim17ROCPRIM_400000_NS6detail17trampoline_kernelINS0_14default_configENS1_38merge_sort_block_merge_config_selectorIdNS0_10empty_typeEEEZZNS1_27merge_sort_block_merge_implIS3_PdPS5_jNS1_19radix_merge_compareILb1ELb0EdNS0_19identity_decomposerEEEEE10hipError_tT0_T1_T2_jT3_P12ihipStream_tbPNSt15iterator_traitsISE_E10value_typeEPNSK_ISF_E10value_typeEPSG_NS1_7vsmem_tEENKUlT_SE_SF_SG_E_clIS8_S8_S9_S9_EESD_ST_SE_SF_SG_EUlST_E0_NS1_11comp_targetILNS1_3genE5ELNS1_11target_archE942ELNS1_3gpuE9ELNS1_3repE0EEENS1_38merge_mergepath_config_static_selectorELNS0_4arch9wavefront6targetE1EEEvSF_,comdat
.Lfunc_end2583:
	.size	_ZN7rocprim17ROCPRIM_400000_NS6detail17trampoline_kernelINS0_14default_configENS1_38merge_sort_block_merge_config_selectorIdNS0_10empty_typeEEEZZNS1_27merge_sort_block_merge_implIS3_PdPS5_jNS1_19radix_merge_compareILb1ELb0EdNS0_19identity_decomposerEEEEE10hipError_tT0_T1_T2_jT3_P12ihipStream_tbPNSt15iterator_traitsISE_E10value_typeEPNSK_ISF_E10value_typeEPSG_NS1_7vsmem_tEENKUlT_SE_SF_SG_E_clIS8_S8_S9_S9_EESD_ST_SE_SF_SG_EUlST_E0_NS1_11comp_targetILNS1_3genE5ELNS1_11target_archE942ELNS1_3gpuE9ELNS1_3repE0EEENS1_38merge_mergepath_config_static_selectorELNS0_4arch9wavefront6targetE1EEEvSF_, .Lfunc_end2583-_ZN7rocprim17ROCPRIM_400000_NS6detail17trampoline_kernelINS0_14default_configENS1_38merge_sort_block_merge_config_selectorIdNS0_10empty_typeEEEZZNS1_27merge_sort_block_merge_implIS3_PdPS5_jNS1_19radix_merge_compareILb1ELb0EdNS0_19identity_decomposerEEEEE10hipError_tT0_T1_T2_jT3_P12ihipStream_tbPNSt15iterator_traitsISE_E10value_typeEPNSK_ISF_E10value_typeEPSG_NS1_7vsmem_tEENKUlT_SE_SF_SG_E_clIS8_S8_S9_S9_EESD_ST_SE_SF_SG_EUlST_E0_NS1_11comp_targetILNS1_3genE5ELNS1_11target_archE942ELNS1_3gpuE9ELNS1_3repE0EEENS1_38merge_mergepath_config_static_selectorELNS0_4arch9wavefront6targetE1EEEvSF_
                                        ; -- End function
	.section	.AMDGPU.csdata,"",@progbits
; Kernel info:
; codeLenInByte = 0
; NumSgprs: 4
; NumVgprs: 0
; NumAgprs: 0
; TotalNumVgprs: 0
; ScratchSize: 0
; MemoryBound: 0
; FloatMode: 240
; IeeeMode: 1
; LDSByteSize: 0 bytes/workgroup (compile time only)
; SGPRBlocks: 0
; VGPRBlocks: 0
; NumSGPRsForWavesPerEU: 4
; NumVGPRsForWavesPerEU: 1
; AccumOffset: 4
; Occupancy: 8
; WaveLimiterHint : 0
; COMPUTE_PGM_RSRC2:SCRATCH_EN: 0
; COMPUTE_PGM_RSRC2:USER_SGPR: 6
; COMPUTE_PGM_RSRC2:TRAP_HANDLER: 0
; COMPUTE_PGM_RSRC2:TGID_X_EN: 1
; COMPUTE_PGM_RSRC2:TGID_Y_EN: 0
; COMPUTE_PGM_RSRC2:TGID_Z_EN: 0
; COMPUTE_PGM_RSRC2:TIDIG_COMP_CNT: 0
; COMPUTE_PGM_RSRC3_GFX90A:ACCUM_OFFSET: 0
; COMPUTE_PGM_RSRC3_GFX90A:TG_SPLIT: 0
	.section	.text._ZN7rocprim17ROCPRIM_400000_NS6detail17trampoline_kernelINS0_14default_configENS1_38merge_sort_block_merge_config_selectorIdNS0_10empty_typeEEEZZNS1_27merge_sort_block_merge_implIS3_PdPS5_jNS1_19radix_merge_compareILb1ELb0EdNS0_19identity_decomposerEEEEE10hipError_tT0_T1_T2_jT3_P12ihipStream_tbPNSt15iterator_traitsISE_E10value_typeEPNSK_ISF_E10value_typeEPSG_NS1_7vsmem_tEENKUlT_SE_SF_SG_E_clIS8_S8_S9_S9_EESD_ST_SE_SF_SG_EUlST_E0_NS1_11comp_targetILNS1_3genE4ELNS1_11target_archE910ELNS1_3gpuE8ELNS1_3repE0EEENS1_38merge_mergepath_config_static_selectorELNS0_4arch9wavefront6targetE1EEEvSF_,"axG",@progbits,_ZN7rocprim17ROCPRIM_400000_NS6detail17trampoline_kernelINS0_14default_configENS1_38merge_sort_block_merge_config_selectorIdNS0_10empty_typeEEEZZNS1_27merge_sort_block_merge_implIS3_PdPS5_jNS1_19radix_merge_compareILb1ELb0EdNS0_19identity_decomposerEEEEE10hipError_tT0_T1_T2_jT3_P12ihipStream_tbPNSt15iterator_traitsISE_E10value_typeEPNSK_ISF_E10value_typeEPSG_NS1_7vsmem_tEENKUlT_SE_SF_SG_E_clIS8_S8_S9_S9_EESD_ST_SE_SF_SG_EUlST_E0_NS1_11comp_targetILNS1_3genE4ELNS1_11target_archE910ELNS1_3gpuE8ELNS1_3repE0EEENS1_38merge_mergepath_config_static_selectorELNS0_4arch9wavefront6targetE1EEEvSF_,comdat
	.protected	_ZN7rocprim17ROCPRIM_400000_NS6detail17trampoline_kernelINS0_14default_configENS1_38merge_sort_block_merge_config_selectorIdNS0_10empty_typeEEEZZNS1_27merge_sort_block_merge_implIS3_PdPS5_jNS1_19radix_merge_compareILb1ELb0EdNS0_19identity_decomposerEEEEE10hipError_tT0_T1_T2_jT3_P12ihipStream_tbPNSt15iterator_traitsISE_E10value_typeEPNSK_ISF_E10value_typeEPSG_NS1_7vsmem_tEENKUlT_SE_SF_SG_E_clIS8_S8_S9_S9_EESD_ST_SE_SF_SG_EUlST_E0_NS1_11comp_targetILNS1_3genE4ELNS1_11target_archE910ELNS1_3gpuE8ELNS1_3repE0EEENS1_38merge_mergepath_config_static_selectorELNS0_4arch9wavefront6targetE1EEEvSF_ ; -- Begin function _ZN7rocprim17ROCPRIM_400000_NS6detail17trampoline_kernelINS0_14default_configENS1_38merge_sort_block_merge_config_selectorIdNS0_10empty_typeEEEZZNS1_27merge_sort_block_merge_implIS3_PdPS5_jNS1_19radix_merge_compareILb1ELb0EdNS0_19identity_decomposerEEEEE10hipError_tT0_T1_T2_jT3_P12ihipStream_tbPNSt15iterator_traitsISE_E10value_typeEPNSK_ISF_E10value_typeEPSG_NS1_7vsmem_tEENKUlT_SE_SF_SG_E_clIS8_S8_S9_S9_EESD_ST_SE_SF_SG_EUlST_E0_NS1_11comp_targetILNS1_3genE4ELNS1_11target_archE910ELNS1_3gpuE8ELNS1_3repE0EEENS1_38merge_mergepath_config_static_selectorELNS0_4arch9wavefront6targetE1EEEvSF_
	.globl	_ZN7rocprim17ROCPRIM_400000_NS6detail17trampoline_kernelINS0_14default_configENS1_38merge_sort_block_merge_config_selectorIdNS0_10empty_typeEEEZZNS1_27merge_sort_block_merge_implIS3_PdPS5_jNS1_19radix_merge_compareILb1ELb0EdNS0_19identity_decomposerEEEEE10hipError_tT0_T1_T2_jT3_P12ihipStream_tbPNSt15iterator_traitsISE_E10value_typeEPNSK_ISF_E10value_typeEPSG_NS1_7vsmem_tEENKUlT_SE_SF_SG_E_clIS8_S8_S9_S9_EESD_ST_SE_SF_SG_EUlST_E0_NS1_11comp_targetILNS1_3genE4ELNS1_11target_archE910ELNS1_3gpuE8ELNS1_3repE0EEENS1_38merge_mergepath_config_static_selectorELNS0_4arch9wavefront6targetE1EEEvSF_
	.p2align	8
	.type	_ZN7rocprim17ROCPRIM_400000_NS6detail17trampoline_kernelINS0_14default_configENS1_38merge_sort_block_merge_config_selectorIdNS0_10empty_typeEEEZZNS1_27merge_sort_block_merge_implIS3_PdPS5_jNS1_19radix_merge_compareILb1ELb0EdNS0_19identity_decomposerEEEEE10hipError_tT0_T1_T2_jT3_P12ihipStream_tbPNSt15iterator_traitsISE_E10value_typeEPNSK_ISF_E10value_typeEPSG_NS1_7vsmem_tEENKUlT_SE_SF_SG_E_clIS8_S8_S9_S9_EESD_ST_SE_SF_SG_EUlST_E0_NS1_11comp_targetILNS1_3genE4ELNS1_11target_archE910ELNS1_3gpuE8ELNS1_3repE0EEENS1_38merge_mergepath_config_static_selectorELNS0_4arch9wavefront6targetE1EEEvSF_,@function
_ZN7rocprim17ROCPRIM_400000_NS6detail17trampoline_kernelINS0_14default_configENS1_38merge_sort_block_merge_config_selectorIdNS0_10empty_typeEEEZZNS1_27merge_sort_block_merge_implIS3_PdPS5_jNS1_19radix_merge_compareILb1ELb0EdNS0_19identity_decomposerEEEEE10hipError_tT0_T1_T2_jT3_P12ihipStream_tbPNSt15iterator_traitsISE_E10value_typeEPNSK_ISF_E10value_typeEPSG_NS1_7vsmem_tEENKUlT_SE_SF_SG_E_clIS8_S8_S9_S9_EESD_ST_SE_SF_SG_EUlST_E0_NS1_11comp_targetILNS1_3genE4ELNS1_11target_archE910ELNS1_3gpuE8ELNS1_3repE0EEENS1_38merge_mergepath_config_static_selectorELNS0_4arch9wavefront6targetE1EEEvSF_: ; @_ZN7rocprim17ROCPRIM_400000_NS6detail17trampoline_kernelINS0_14default_configENS1_38merge_sort_block_merge_config_selectorIdNS0_10empty_typeEEEZZNS1_27merge_sort_block_merge_implIS3_PdPS5_jNS1_19radix_merge_compareILb1ELb0EdNS0_19identity_decomposerEEEEE10hipError_tT0_T1_T2_jT3_P12ihipStream_tbPNSt15iterator_traitsISE_E10value_typeEPNSK_ISF_E10value_typeEPSG_NS1_7vsmem_tEENKUlT_SE_SF_SG_E_clIS8_S8_S9_S9_EESD_ST_SE_SF_SG_EUlST_E0_NS1_11comp_targetILNS1_3genE4ELNS1_11target_archE910ELNS1_3gpuE8ELNS1_3repE0EEENS1_38merge_mergepath_config_static_selectorELNS0_4arch9wavefront6targetE1EEEvSF_
; %bb.0:
	s_load_dwordx2 s[14:15], s[4:5], 0x40
	s_load_dword s2, s[4:5], 0x30
	s_add_u32 s0, s4, 64
	s_addc_u32 s1, s5, 0
	s_waitcnt lgkmcnt(0)
	s_mul_i32 s3, s15, s8
	s_add_i32 s3, s3, s7
	s_mul_i32 s3, s3, s14
	s_add_i32 s12, s3, s6
	s_cmp_ge_u32 s12, s2
	s_cbranch_scc1 .LBB2584_45
; %bb.1:
	s_load_dwordx2 s[2:3], s[4:5], 0x28
	s_load_dwordx2 s[8:9], s[4:5], 0x38
	;; [unrolled: 1-line block ×3, first 2 shown]
	s_mov_b32 s13, 0
	s_mov_b32 s23, s13
	s_waitcnt lgkmcnt(0)
	s_lshr_b32 s7, s2, 10
	s_cmp_lg_u32 s12, s7
	s_cselect_b64 s[10:11], -1, 0
	s_lshl_b64 s[16:17], s[12:13], 2
	s_add_u32 s8, s8, s16
	s_addc_u32 s9, s9, s17
	s_load_dwordx2 s[16:17], s[8:9], 0x0
	s_lshr_b32 s8, s3, 9
	s_and_b32 s8, s8, 0x7ffffe
	s_sub_i32 s9, 0, s8
	s_and_b32 s15, s12, s9
	s_lshl_b32 s18, s15, 10
	s_lshl_b32 s8, s12, 10
	;; [unrolled: 1-line block ×3, first 2 shown]
	s_sub_i32 s19, s8, s18
	s_add_i32 s15, s15, s3
	s_add_i32 s19, s15, s19
	s_waitcnt lgkmcnt(0)
	s_sub_i32 s22, s19, s16
	s_sub_i32 s19, s19, s17
	;; [unrolled: 1-line block ×3, first 2 shown]
	s_min_u32 s22, s2, s22
	s_addk_i32 s19, 0x400
	s_or_b32 s9, s12, s9
	s_min_u32 s18, s2, s15
	s_add_i32 s15, s15, s3
	s_cmp_eq_u32 s9, -1
	s_cselect_b32 s3, s15, s19
	s_cselect_b32 s9, s18, s17
	s_min_u32 s15, s3, s2
	s_mov_b32 s17, s13
	s_sub_i32 s3, s9, s16
	s_sub_i32 s15, s15, s22
	s_lshl_b64 s[18:19], s[16:17], 3
	s_add_u32 s17, s20, s18
	s_addc_u32 s18, s21, s19
	s_lshl_b64 s[22:23], s[22:23], 3
	s_add_u32 s13, s20, s22
	s_addc_u32 s16, s21, s23
	s_cmp_lt_u32 s6, s14
	v_mov_b32_e32 v9, 0
	s_cselect_b32 s6, 12, 18
	global_load_dword v1, v9, s[0:1] offset:14
	s_add_u32 s0, s0, s6
	s_addc_u32 s1, s1, 0
	global_load_ushort v2, v9, s[0:1]
	s_cmp_eq_u32 s12, s7
	s_waitcnt vmcnt(1)
	v_lshrrev_b32_e32 v3, 16, v1
	v_and_b32_e32 v1, 0xffff, v1
	v_mul_lo_u32 v1, v1, v3
	s_waitcnt vmcnt(0)
	v_mul_lo_u32 v14, v1, v2
	v_add_u32_e32 v12, v14, v0
	v_lshlrev_b32_e32 v1, 3, v0
	v_add_u32_e32 v10, v12, v14
	s_cbranch_scc1 .LBB2584_3
; %bb.2:
	v_mov_b32_e32 v2, s18
	v_add_co_u32_e32 v4, vcc, s17, v1
	v_subrev_u32_e32 v8, s3, v0
	v_addc_co_u32_e32 v5, vcc, 0, v2, vcc
	v_lshlrev_b64 v[2:3], 3, v[8:9]
	v_mov_b32_e32 v6, s16
	v_add_co_u32_e32 v2, vcc, s13, v2
	v_addc_co_u32_e32 v3, vcc, v6, v3, vcc
	v_cmp_gt_u32_e32 vcc, s3, v0
	v_mov_b32_e32 v13, v9
	v_cndmask_b32_e32 v3, v3, v5, vcc
	v_cndmask_b32_e32 v2, v2, v4, vcc
	v_lshlrev_b64 v[4:5], 3, v[12:13]
	v_mov_b32_e32 v6, s18
	v_add_co_u32_e32 v7, vcc, s17, v4
	v_subrev_u32_e32 v8, s3, v12
	v_addc_co_u32_e32 v6, vcc, v6, v5, vcc
	v_lshlrev_b64 v[4:5], 3, v[8:9]
	v_mov_b32_e32 v8, s16
	v_add_co_u32_e32 v4, vcc, s13, v4
	v_addc_co_u32_e32 v5, vcc, v8, v5, vcc
	v_cmp_gt_u32_e32 vcc, s3, v12
	v_mov_b32_e32 v11, v9
	v_cndmask_b32_e32 v5, v5, v6, vcc
	v_cndmask_b32_e32 v4, v4, v7, vcc
	v_lshlrev_b64 v[6:7], 3, v[10:11]
	v_mov_b32_e32 v8, s18
	v_add_co_u32_e32 v11, vcc, s17, v6
	v_addc_co_u32_e32 v13, vcc, v8, v7, vcc
	v_subrev_u32_e32 v8, s3, v10
	v_lshlrev_b64 v[6:7], 3, v[8:9]
	v_mov_b32_e32 v8, s16
	v_add_co_u32_e32 v6, vcc, s13, v6
	v_addc_co_u32_e32 v7, vcc, v8, v7, vcc
	v_add_u32_e32 v8, v10, v14
	v_cmp_gt_u32_e32 vcc, s3, v10
	v_lshlrev_b64 v[16:17], 3, v[8:9]
	v_cndmask_b32_e32 v7, v7, v13, vcc
	v_cndmask_b32_e32 v6, v6, v11, vcc
	v_mov_b32_e32 v11, s18
	v_add_co_u32_e32 v13, vcc, s17, v16
	v_addc_co_u32_e32 v11, vcc, v11, v17, vcc
	v_cmp_gt_u32_e32 vcc, s3, v8
	v_subrev_u32_e32 v8, s3, v8
	v_lshlrev_b64 v[8:9], 3, v[8:9]
	v_mov_b32_e32 v15, s16
	v_add_co_u32_e64 v8, s[0:1], s13, v8
	v_addc_co_u32_e64 v9, s[0:1], v15, v9, s[0:1]
	v_cndmask_b32_e32 v9, v9, v11, vcc
	v_cndmask_b32_e32 v8, v8, v13, vcc
	global_load_dwordx2 v[2:3], v[2:3], off
	s_add_i32 s9, s15, s3
	global_load_dwordx2 v[4:5], v[4:5], off
	s_nop 0
	global_load_dwordx2 v[6:7], v[6:7], off
	s_nop 0
	global_load_dwordx2 v[8:9], v[8:9], off
	s_load_dwordx2 s[4:5], s[4:5], 0x10
	s_cbranch_execz .LBB2584_4
	s_branch .LBB2584_11
.LBB2584_3:
                                        ; implicit-def: $vgpr2_vgpr3_vgpr4_vgpr5_vgpr6_vgpr7_vgpr8_vgpr9
                                        ; implicit-def: $sgpr9
	s_load_dwordx2 s[4:5], s[4:5], 0x10
.LBB2584_4:
	s_add_i32 s9, s15, s3
	v_cmp_gt_u32_e32 vcc, s9, v0
                                        ; implicit-def: $vgpr2_vgpr3_vgpr4_vgpr5_vgpr6_vgpr7_vgpr8_vgpr9
	s_and_saveexec_b64 s[0:1], vcc
	s_cbranch_execnz .LBB2584_46
; %bb.5:
	s_or_b64 exec, exec, s[0:1]
	v_cmp_gt_u32_e32 vcc, s9, v12
	s_and_saveexec_b64 s[6:7], vcc
	s_cbranch_execnz .LBB2584_47
.LBB2584_6:
	s_or_b64 exec, exec, s[6:7]
	v_cmp_gt_u32_e32 vcc, s9, v10
	s_and_saveexec_b64 s[0:1], vcc
	s_cbranch_execz .LBB2584_8
.LBB2584_7:
	v_mov_b32_e32 v11, 0
	s_waitcnt vmcnt(1)
	v_lshlrev_b64 v[6:7], 3, v[10:11]
	v_mov_b32_e32 v12, s18
	v_add_co_u32_e32 v13, vcc, s17, v6
	v_addc_co_u32_e32 v12, vcc, v12, v7, vcc
	v_subrev_u32_e32 v6, s3, v10
	v_mov_b32_e32 v7, v11
	v_lshlrev_b64 v[6:7], 3, v[6:7]
	v_mov_b32_e32 v11, s16
	v_add_co_u32_e32 v6, vcc, s13, v6
	v_addc_co_u32_e32 v7, vcc, v11, v7, vcc
	v_cmp_gt_u32_e32 vcc, s3, v10
	v_cndmask_b32_e32 v7, v7, v12, vcc
	v_cndmask_b32_e32 v6, v6, v13, vcc
	global_load_dwordx2 v[6:7], v[6:7], off
.LBB2584_8:
	s_or_b64 exec, exec, s[0:1]
	v_add_u32_e32 v10, v10, v14
	v_cmp_gt_u32_e32 vcc, s9, v10
	s_and_saveexec_b64 s[6:7], vcc
	s_cbranch_execz .LBB2584_10
; %bb.9:
	v_mov_b32_e32 v11, 0
	s_waitcnt vmcnt(0)
	v_lshlrev_b64 v[8:9], 3, v[10:11]
	v_mov_b32_e32 v12, s18
	v_add_co_u32_e32 v13, vcc, s17, v8
	v_addc_co_u32_e32 v12, vcc, v12, v9, vcc
	v_cmp_gt_u32_e32 vcc, s3, v10
	v_subrev_u32_e32 v10, s3, v10
	v_lshlrev_b64 v[8:9], 3, v[10:11]
	v_mov_b32_e32 v10, s16
	v_add_co_u32_e64 v8, s[0:1], s13, v8
	v_addc_co_u32_e64 v9, s[0:1], v10, v9, s[0:1]
	v_cndmask_b32_e32 v9, v9, v12, vcc
	v_cndmask_b32_e32 v8, v8, v13, vcc
	global_load_dwordx2 v[8:9], v[8:9], off
.LBB2584_10:
	s_or_b64 exec, exec, s[6:7]
.LBB2584_11:
	v_lshlrev_b32_e32 v16, 2, v0
	v_min_u32_e32 v11, s9, v16
	v_sub_u32_e64 v10, v11, s15 clamp
	v_min_u32_e32 v12, s3, v11
	v_cmp_lt_u32_e32 vcc, v10, v12
	s_waitcnt vmcnt(0)
	ds_write2st64_b64 v1, v[2:3], v[4:5] offset1:4
	ds_write2st64_b64 v1, v[6:7], v[8:9] offset0:8 offset1:12
	s_waitcnt lgkmcnt(0)
	s_barrier
	s_and_saveexec_b64 s[0:1], vcc
	s_cbranch_execz .LBB2584_15
; %bb.12:
	v_lshlrev_b32_e32 v13, 3, v11
	v_lshl_add_u32 v13, s3, 3, v13
	s_mov_b64 s[6:7], 0
.LBB2584_13:                            ; =>This Inner Loop Header: Depth=1
	v_add_u32_e32 v14, v12, v10
	v_lshrrev_b32_e32 v17, 1, v14
	v_not_b32_e32 v14, v17
	v_lshlrev_b32_e32 v15, 3, v17
	v_lshl_add_u32 v18, v14, 3, v13
	ds_read_b64 v[14:15], v15
	ds_read_b64 v[18:19], v18
	v_add_u32_e32 v20, 1, v17
	s_waitcnt lgkmcnt(1)
	v_add_f64 v[14:15], v[14:15], 0
	s_waitcnt lgkmcnt(0)
	v_add_f64 v[18:19], v[18:19], 0
	v_ashrrev_i32_e32 v21, 31, v15
	v_ashrrev_i32_e32 v22, 31, v19
	v_or_b32_e32 v23, 0x80000000, v21
	v_xor_b32_e32 v14, v21, v14
	v_or_b32_e32 v21, 0x80000000, v22
	v_xor_b32_e32 v18, v22, v18
	v_xor_b32_e32 v15, v23, v15
	;; [unrolled: 1-line block ×3, first 2 shown]
	v_cmp_gt_u64_e32 vcc, v[18:19], v[14:15]
	v_cndmask_b32_e32 v12, v12, v17, vcc
	v_cndmask_b32_e32 v10, v20, v10, vcc
	v_cmp_ge_u32_e32 vcc, v10, v12
	s_or_b64 s[6:7], vcc, s[6:7]
	s_andn2_b64 exec, exec, s[6:7]
	s_cbranch_execnz .LBB2584_13
; %bb.14:
	s_or_b64 exec, exec, s[6:7]
.LBB2584_15:
	s_or_b64 exec, exec, s[0:1]
	v_sub_u32_e32 v11, v11, v10
	v_add_u32_e32 v11, s3, v11
	v_cmp_ge_u32_e32 vcc, s3, v10
	v_cmp_ge_u32_e64 s[0:1], s9, v11
	s_or_b64 s[0:1], vcc, s[0:1]
	s_and_saveexec_b64 s[6:7], s[0:1]
	s_cbranch_execz .LBB2584_35
; %bb.16:
	v_cmp_le_u32_e32 vcc, s3, v10
	v_cmp_gt_u32_e64 s[0:1], s3, v10
                                        ; implicit-def: $vgpr2_vgpr3
	s_and_saveexec_b64 s[12:13], s[0:1]
	s_cbranch_execz .LBB2584_18
; %bb.17:
	v_lshlrev_b32_e32 v2, 3, v10
	ds_read_b64 v[2:3], v2
.LBB2584_18:
	s_or_b64 exec, exec, s[12:13]
	v_cmp_le_u32_e64 s[12:13], s9, v11
	v_cmp_gt_u32_e64 s[0:1], s9, v11
                                        ; implicit-def: $vgpr6_vgpr7
	s_and_saveexec_b64 s[14:15], s[0:1]
	s_cbranch_execz .LBB2584_20
; %bb.19:
	v_lshlrev_b32_e32 v4, 3, v11
	ds_read_b64 v[6:7], v4
.LBB2584_20:
	s_or_b64 exec, exec, s[14:15]
	s_or_b64 s[14:15], vcc, s[12:13]
	s_mov_b64 s[0:1], -1
	s_xor_b64 s[16:17], s[14:15], -1
	s_and_saveexec_b64 s[14:15], s[16:17]
	s_cbranch_execz .LBB2584_22
; %bb.21:
	s_waitcnt lgkmcnt(0)
	v_add_f64 v[4:5], v[6:7], 0
	v_add_f64 v[8:9], v[2:3], 0
	v_ashrrev_i32_e32 v12, 31, v5
	v_or_b32_e32 v13, 0x80000000, v12
	v_xor_b32_e32 v4, v12, v4
	v_ashrrev_i32_e32 v12, 31, v9
	v_xor_b32_e32 v5, v13, v5
	v_or_b32_e32 v13, 0x80000000, v12
	v_xor_b32_e32 v9, v13, v9
	v_xor_b32_e32 v8, v12, v8
	v_cmp_le_u64_e32 vcc, v[4:5], v[8:9]
	s_andn2_b64 s[12:13], s[12:13], exec
	s_and_b64 s[16:17], vcc, exec
	s_or_b64 s[12:13], s[12:13], s[16:17]
.LBB2584_22:
	s_or_b64 exec, exec, s[14:15]
	v_mov_b32_e32 v5, s9
	v_mov_b32_e32 v8, s3
	v_cndmask_b32_e64 v4, v11, v10, s[12:13]
	v_cndmask_b32_e64 v5, v5, v8, s[12:13]
	v_add_u32_e32 v12, 1, v4
	v_add_u32_e32 v4, -1, v5
	v_min_u32_e32 v4, v12, v4
	v_lshlrev_b32_e32 v4, 3, v4
	ds_read_b64 v[8:9], v4
	v_cndmask_b32_e64 v14, v12, v11, s[12:13]
	v_cndmask_b32_e64 v15, v10, v12, s[12:13]
	v_cmp_gt_u32_e32 vcc, s9, v14
	s_waitcnt lgkmcnt(0)
	v_cndmask_b32_e64 v5, v9, v7, s[12:13]
	v_cndmask_b32_e64 v4, v8, v6, s[12:13]
	v_cndmask_b32_e64 v9, v3, v9, s[12:13]
	v_cndmask_b32_e64 v8, v2, v8, s[12:13]
	s_and_saveexec_b64 s[14:15], vcc
	s_cbranch_execz .LBB2584_26
; %bb.23:
	v_cmp_gt_u32_e32 vcc, s3, v15
	s_mov_b64 s[16:17], 0
	s_and_saveexec_b64 s[0:1], vcc
	s_cbranch_execz .LBB2584_25
; %bb.24:
	v_add_f64 v[10:11], v[4:5], 0
	v_add_f64 v[12:13], v[8:9], 0
	v_ashrrev_i32_e32 v17, 31, v11
	v_or_b32_e32 v18, 0x80000000, v17
	v_xor_b32_e32 v10, v17, v10
	v_ashrrev_i32_e32 v17, 31, v13
	v_xor_b32_e32 v11, v18, v11
	v_or_b32_e32 v18, 0x80000000, v17
	v_xor_b32_e32 v13, v18, v13
	v_xor_b32_e32 v12, v17, v12
	v_cmp_le_u64_e32 vcc, v[10:11], v[12:13]
	s_and_b64 s[16:17], vcc, exec
.LBB2584_25:
	s_or_b64 exec, exec, s[0:1]
	s_orn2_b64 s[0:1], s[16:17], exec
.LBB2584_26:
	s_or_b64 exec, exec, s[14:15]
	v_mov_b32_e32 v11, s9
	v_mov_b32_e32 v12, s3
	v_cndmask_b32_e64 v10, v14, v15, s[0:1]
	v_cndmask_b32_e64 v11, v11, v12, s[0:1]
	v_add_u32_e32 v17, 1, v10
	v_add_u32_e32 v10, -1, v11
	v_min_u32_e32 v10, v17, v10
	v_lshlrev_b32_e32 v10, 3, v10
	ds_read_b64 v[12:13], v10
	v_cndmask_b32_e64 v18, v17, v14, s[0:1]
	v_cndmask_b32_e64 v17, v15, v17, s[0:1]
	v_cmp_gt_u32_e32 vcc, s9, v18
	s_mov_b64 s[14:15], -1
	s_waitcnt lgkmcnt(0)
	v_cndmask_b32_e64 v11, v13, v5, s[0:1]
	v_cndmask_b32_e64 v10, v12, v4, s[0:1]
	;; [unrolled: 1-line block ×4, first 2 shown]
	s_and_saveexec_b64 s[16:17], vcc
	s_cbranch_execz .LBB2584_30
; %bb.27:
	v_cmp_gt_u32_e32 vcc, s3, v17
	s_mov_b64 s[18:19], 0
	s_and_saveexec_b64 s[14:15], vcc
	s_cbranch_execz .LBB2584_29
; %bb.28:
	v_add_f64 v[14:15], v[10:11], 0
	v_add_f64 v[20:21], v[12:13], 0
	v_ashrrev_i32_e32 v19, 31, v15
	v_or_b32_e32 v22, 0x80000000, v19
	v_xor_b32_e32 v14, v19, v14
	v_ashrrev_i32_e32 v19, 31, v21
	v_xor_b32_e32 v15, v22, v15
	v_or_b32_e32 v22, 0x80000000, v19
	v_xor_b32_e32 v21, v22, v21
	v_xor_b32_e32 v20, v19, v20
	v_cmp_le_u64_e32 vcc, v[14:15], v[20:21]
	s_and_b64 s[18:19], vcc, exec
.LBB2584_29:
	s_or_b64 exec, exec, s[14:15]
	s_orn2_b64 s[14:15], s[18:19], exec
.LBB2584_30:
	s_or_b64 exec, exec, s[16:17]
	v_cndmask_b32_e64 v5, v5, v9, s[0:1]
	v_mov_b32_e32 v9, s9
	v_mov_b32_e32 v14, s3
	v_cndmask_b32_e64 v4, v4, v8, s[0:1]
	v_cndmask_b32_e64 v8, v18, v17, s[14:15]
	;; [unrolled: 1-line block ×3, first 2 shown]
	v_add_u32_e32 v19, 1, v8
	v_add_u32_e32 v8, -1, v9
	v_min_u32_e32 v8, v19, v8
	v_lshlrev_b32_e32 v8, 3, v8
	ds_read_b64 v[14:15], v8
	v_cndmask_b32_e64 v2, v6, v2, s[12:13]
	v_cndmask_b32_e64 v6, v10, v12, s[14:15]
	;; [unrolled: 1-line block ×4, first 2 shown]
	s_waitcnt lgkmcnt(0)
	v_cndmask_b32_e64 v8, v12, v14, s[14:15]
	v_cndmask_b32_e64 v12, v19, v18, s[14:15]
	;; [unrolled: 1-line block ×3, first 2 shown]
	v_cmp_gt_u32_e32 vcc, s9, v12
	s_and_saveexec_b64 s[0:1], vcc
	s_cbranch_execz .LBB2584_34
; %bb.31:
	v_cndmask_b32_e64 v12, v17, v19, s[14:15]
	v_cndmask_b32_e64 v11, v15, v11, s[14:15]
	;; [unrolled: 1-line block ×3, first 2 shown]
	v_cmp_gt_u32_e32 vcc, s3, v12
	s_and_saveexec_b64 s[12:13], vcc
	s_cbranch_execz .LBB2584_33
; %bb.32:
	v_add_f64 v[12:13], v[10:11], 0
	v_add_f64 v[14:15], v[8:9], 0
	v_ashrrev_i32_e32 v17, 31, v13
	v_or_b32_e32 v18, 0x80000000, v17
	v_xor_b32_e32 v12, v17, v12
	v_ashrrev_i32_e32 v17, 31, v15
	v_xor_b32_e32 v13, v18, v13
	v_or_b32_e32 v18, 0x80000000, v17
	v_xor_b32_e32 v15, v18, v15
	v_xor_b32_e32 v14, v17, v14
	v_cmp_gt_u64_e32 vcc, v[12:13], v[14:15]
	v_cndmask_b32_e32 v11, v9, v11, vcc
	v_cndmask_b32_e32 v10, v8, v10, vcc
.LBB2584_33:
	s_or_b64 exec, exec, s[12:13]
	v_pk_mov_b32 v[8:9], v[10:11], v[10:11] op_sel:[0,1]
.LBB2584_34:
	s_or_b64 exec, exec, s[0:1]
.LBB2584_35:
	s_or_b64 exec, exec, s[6:7]
	v_and_b32_e32 v10, 0xf8, v0
	v_lshl_add_u32 v10, v16, 3, v10
	s_barrier
	s_barrier
	ds_write2_b64 v10, v[2:3], v[4:5] offset1:1
	ds_write2_b64 v10, v[6:7], v[8:9] offset0:2 offset1:3
	v_lshrrev_b32_e32 v2, 2, v0
	v_and_b32_e32 v2, 56, v2
	v_or_b32_e32 v12, 0x100, v0
	v_add_u32_e32 v13, v1, v2
	v_lshrrev_b32_e32 v2, 2, v12
	v_and_b32_e32 v2, 0x78, v2
	v_or_b32_e32 v11, 0x200, v0
	s_mov_b32 s9, 0
	v_add_u32_e32 v6, v1, v2
	v_lshrrev_b32_e32 v2, 2, v11
	s_lshl_b64 s[0:1], s[8:9], 3
	v_and_b32_e32 v2, 0xb8, v2
	v_or_b32_e32 v10, 0x300, v0
	s_add_u32 s0, s4, s0
	v_add_u32_e32 v7, v1, v2
	v_lshrrev_b32_e32 v2, 2, v10
	s_addc_u32 s1, s5, s1
	v_and_b32_e32 v2, 0xf8, v2
	v_add_u32_e32 v14, v1, v2
	v_mov_b32_e32 v3, s1
	v_add_co_u32_e32 v2, vcc, s0, v1
	v_addc_co_u32_e32 v3, vcc, 0, v3, vcc
	s_and_b64 vcc, exec, s[10:11]
	s_waitcnt lgkmcnt(0)
	s_cbranch_vccz .LBB2584_37
; %bb.36:
	s_barrier
	ds_read_b64 v[8:9], v13
	ds_read_b64 v[16:17], v6 offset:2048
	ds_read_b64 v[18:19], v7 offset:4096
	;; [unrolled: 1-line block ×3, first 2 shown]
	s_waitcnt lgkmcnt(3)
	global_store_dwordx2 v[2:3], v[8:9], off
	s_waitcnt lgkmcnt(2)
	global_store_dwordx2 v[2:3], v[16:17], off offset:2048
	v_add_co_u32_e32 v8, vcc, 0x1000, v2
	v_addc_co_u32_e32 v9, vcc, 0, v3, vcc
	s_waitcnt lgkmcnt(1)
	global_store_dwordx2 v[8:9], v[18:19], off
	s_mov_b64 s[0:1], -1
	s_cbranch_execz .LBB2584_38
	s_branch .LBB2584_43
.LBB2584_37:
	s_mov_b64 s[0:1], 0
                                        ; implicit-def: $vgpr4_vgpr5
.LBB2584_38:
	s_barrier
	s_waitcnt lgkmcnt(0)
	ds_read_b64 v[8:9], v6 offset:2048
	ds_read_b64 v[6:7], v7 offset:4096
	;; [unrolled: 1-line block ×3, first 2 shown]
	s_sub_i32 s2, s2, s8
	v_cmp_gt_u32_e32 vcc, s2, v0
	s_and_saveexec_b64 s[0:1], vcc
	s_cbranch_execnz .LBB2584_48
; %bb.39:
	s_or_b64 exec, exec, s[0:1]
	v_cmp_gt_u32_e32 vcc, s2, v12
	s_and_saveexec_b64 s[0:1], vcc
	s_cbranch_execnz .LBB2584_49
.LBB2584_40:
	s_or_b64 exec, exec, s[0:1]
	v_cmp_gt_u32_e32 vcc, s2, v11
	s_and_saveexec_b64 s[0:1], vcc
	s_cbranch_execz .LBB2584_42
.LBB2584_41:
	v_add_co_u32_e32 v0, vcc, 0x1000, v2
	v_addc_co_u32_e32 v1, vcc, 0, v3, vcc
	s_waitcnt lgkmcnt(1)
	global_store_dwordx2 v[0:1], v[6:7], off
.LBB2584_42:
	s_or_b64 exec, exec, s[0:1]
	v_cmp_gt_u32_e64 s[0:1], s2, v10
.LBB2584_43:
	s_and_saveexec_b64 s[2:3], s[0:1]
	s_cbranch_execz .LBB2584_45
; %bb.44:
	v_add_co_u32_e32 v0, vcc, 0x1000, v2
	v_addc_co_u32_e32 v1, vcc, 0, v3, vcc
	s_waitcnt lgkmcnt(0)
	global_store_dwordx2 v[0:1], v[4:5], off offset:2048
.LBB2584_45:
	s_endpgm
.LBB2584_46:
	s_waitcnt vmcnt(3)
	v_mov_b32_e32 v2, s18
	s_waitcnt vmcnt(2)
	v_add_co_u32_e32 v4, vcc, s17, v1
	v_mov_b32_e32 v3, 0
	v_addc_co_u32_e32 v5, vcc, 0, v2, vcc
	v_subrev_u32_e32 v2, s3, v0
	v_lshlrev_b64 v[2:3], 3, v[2:3]
	s_waitcnt vmcnt(1)
	v_mov_b32_e32 v6, s16
	v_add_co_u32_e32 v2, vcc, s13, v2
	v_addc_co_u32_e32 v3, vcc, v6, v3, vcc
	v_cmp_gt_u32_e32 vcc, s3, v0
	v_cndmask_b32_e32 v3, v3, v5, vcc
	v_cndmask_b32_e32 v2, v2, v4, vcc
	global_load_dwordx2 v[2:3], v[2:3], off
	s_or_b64 exec, exec, s[0:1]
	v_cmp_gt_u32_e32 vcc, s9, v12
	s_and_saveexec_b64 s[6:7], vcc
	s_cbranch_execz .LBB2584_6
.LBB2584_47:
	v_mov_b32_e32 v13, 0
	s_waitcnt vmcnt(2)
	v_lshlrev_b64 v[4:5], 3, v[12:13]
	v_mov_b32_e32 v11, s18
	v_add_co_u32_e32 v15, vcc, s17, v4
	v_addc_co_u32_e32 v11, vcc, v11, v5, vcc
	v_cmp_gt_u32_e32 vcc, s3, v12
	v_subrev_u32_e32 v12, s3, v12
	v_lshlrev_b64 v[4:5], 3, v[12:13]
	v_mov_b32_e32 v12, s16
	v_add_co_u32_e64 v4, s[0:1], s13, v4
	v_addc_co_u32_e64 v5, s[0:1], v12, v5, s[0:1]
	v_cndmask_b32_e32 v5, v5, v11, vcc
	v_cndmask_b32_e32 v4, v4, v15, vcc
	global_load_dwordx2 v[4:5], v[4:5], off
	s_or_b64 exec, exec, s[6:7]
	v_cmp_gt_u32_e32 vcc, s9, v10
	s_and_saveexec_b64 s[0:1], vcc
	s_cbranch_execnz .LBB2584_7
	s_branch .LBB2584_8
.LBB2584_48:
	ds_read_b64 v[0:1], v13
	s_waitcnt lgkmcnt(0)
	global_store_dwordx2 v[2:3], v[0:1], off
	s_or_b64 exec, exec, s[0:1]
	v_cmp_gt_u32_e32 vcc, s2, v12
	s_and_saveexec_b64 s[0:1], vcc
	s_cbranch_execz .LBB2584_40
.LBB2584_49:
	s_waitcnt lgkmcnt(2)
	global_store_dwordx2 v[2:3], v[8:9], off offset:2048
	s_or_b64 exec, exec, s[0:1]
	v_cmp_gt_u32_e32 vcc, s2, v11
	s_and_saveexec_b64 s[0:1], vcc
	s_cbranch_execnz .LBB2584_41
	s_branch .LBB2584_42
	.section	.rodata,"a",@progbits
	.p2align	6, 0x0
	.amdhsa_kernel _ZN7rocprim17ROCPRIM_400000_NS6detail17trampoline_kernelINS0_14default_configENS1_38merge_sort_block_merge_config_selectorIdNS0_10empty_typeEEEZZNS1_27merge_sort_block_merge_implIS3_PdPS5_jNS1_19radix_merge_compareILb1ELb0EdNS0_19identity_decomposerEEEEE10hipError_tT0_T1_T2_jT3_P12ihipStream_tbPNSt15iterator_traitsISE_E10value_typeEPNSK_ISF_E10value_typeEPSG_NS1_7vsmem_tEENKUlT_SE_SF_SG_E_clIS8_S8_S9_S9_EESD_ST_SE_SF_SG_EUlST_E0_NS1_11comp_targetILNS1_3genE4ELNS1_11target_archE910ELNS1_3gpuE8ELNS1_3repE0EEENS1_38merge_mergepath_config_static_selectorELNS0_4arch9wavefront6targetE1EEEvSF_
		.amdhsa_group_segment_fixed_size 8448
		.amdhsa_private_segment_fixed_size 0
		.amdhsa_kernarg_size 320
		.amdhsa_user_sgpr_count 6
		.amdhsa_user_sgpr_private_segment_buffer 1
		.amdhsa_user_sgpr_dispatch_ptr 0
		.amdhsa_user_sgpr_queue_ptr 0
		.amdhsa_user_sgpr_kernarg_segment_ptr 1
		.amdhsa_user_sgpr_dispatch_id 0
		.amdhsa_user_sgpr_flat_scratch_init 0
		.amdhsa_user_sgpr_kernarg_preload_length 0
		.amdhsa_user_sgpr_kernarg_preload_offset 0
		.amdhsa_user_sgpr_private_segment_size 0
		.amdhsa_uses_dynamic_stack 0
		.amdhsa_system_sgpr_private_segment_wavefront_offset 0
		.amdhsa_system_sgpr_workgroup_id_x 1
		.amdhsa_system_sgpr_workgroup_id_y 1
		.amdhsa_system_sgpr_workgroup_id_z 1
		.amdhsa_system_sgpr_workgroup_info 0
		.amdhsa_system_vgpr_workitem_id 0
		.amdhsa_next_free_vgpr 24
		.amdhsa_next_free_sgpr 24
		.amdhsa_accum_offset 24
		.amdhsa_reserve_vcc 1
		.amdhsa_reserve_flat_scratch 0
		.amdhsa_float_round_mode_32 0
		.amdhsa_float_round_mode_16_64 0
		.amdhsa_float_denorm_mode_32 3
		.amdhsa_float_denorm_mode_16_64 3
		.amdhsa_dx10_clamp 1
		.amdhsa_ieee_mode 1
		.amdhsa_fp16_overflow 0
		.amdhsa_tg_split 0
		.amdhsa_exception_fp_ieee_invalid_op 0
		.amdhsa_exception_fp_denorm_src 0
		.amdhsa_exception_fp_ieee_div_zero 0
		.amdhsa_exception_fp_ieee_overflow 0
		.amdhsa_exception_fp_ieee_underflow 0
		.amdhsa_exception_fp_ieee_inexact 0
		.amdhsa_exception_int_div_zero 0
	.end_amdhsa_kernel
	.section	.text._ZN7rocprim17ROCPRIM_400000_NS6detail17trampoline_kernelINS0_14default_configENS1_38merge_sort_block_merge_config_selectorIdNS0_10empty_typeEEEZZNS1_27merge_sort_block_merge_implIS3_PdPS5_jNS1_19radix_merge_compareILb1ELb0EdNS0_19identity_decomposerEEEEE10hipError_tT0_T1_T2_jT3_P12ihipStream_tbPNSt15iterator_traitsISE_E10value_typeEPNSK_ISF_E10value_typeEPSG_NS1_7vsmem_tEENKUlT_SE_SF_SG_E_clIS8_S8_S9_S9_EESD_ST_SE_SF_SG_EUlST_E0_NS1_11comp_targetILNS1_3genE4ELNS1_11target_archE910ELNS1_3gpuE8ELNS1_3repE0EEENS1_38merge_mergepath_config_static_selectorELNS0_4arch9wavefront6targetE1EEEvSF_,"axG",@progbits,_ZN7rocprim17ROCPRIM_400000_NS6detail17trampoline_kernelINS0_14default_configENS1_38merge_sort_block_merge_config_selectorIdNS0_10empty_typeEEEZZNS1_27merge_sort_block_merge_implIS3_PdPS5_jNS1_19radix_merge_compareILb1ELb0EdNS0_19identity_decomposerEEEEE10hipError_tT0_T1_T2_jT3_P12ihipStream_tbPNSt15iterator_traitsISE_E10value_typeEPNSK_ISF_E10value_typeEPSG_NS1_7vsmem_tEENKUlT_SE_SF_SG_E_clIS8_S8_S9_S9_EESD_ST_SE_SF_SG_EUlST_E0_NS1_11comp_targetILNS1_3genE4ELNS1_11target_archE910ELNS1_3gpuE8ELNS1_3repE0EEENS1_38merge_mergepath_config_static_selectorELNS0_4arch9wavefront6targetE1EEEvSF_,comdat
.Lfunc_end2584:
	.size	_ZN7rocprim17ROCPRIM_400000_NS6detail17trampoline_kernelINS0_14default_configENS1_38merge_sort_block_merge_config_selectorIdNS0_10empty_typeEEEZZNS1_27merge_sort_block_merge_implIS3_PdPS5_jNS1_19radix_merge_compareILb1ELb0EdNS0_19identity_decomposerEEEEE10hipError_tT0_T1_T2_jT3_P12ihipStream_tbPNSt15iterator_traitsISE_E10value_typeEPNSK_ISF_E10value_typeEPSG_NS1_7vsmem_tEENKUlT_SE_SF_SG_E_clIS8_S8_S9_S9_EESD_ST_SE_SF_SG_EUlST_E0_NS1_11comp_targetILNS1_3genE4ELNS1_11target_archE910ELNS1_3gpuE8ELNS1_3repE0EEENS1_38merge_mergepath_config_static_selectorELNS0_4arch9wavefront6targetE1EEEvSF_, .Lfunc_end2584-_ZN7rocprim17ROCPRIM_400000_NS6detail17trampoline_kernelINS0_14default_configENS1_38merge_sort_block_merge_config_selectorIdNS0_10empty_typeEEEZZNS1_27merge_sort_block_merge_implIS3_PdPS5_jNS1_19radix_merge_compareILb1ELb0EdNS0_19identity_decomposerEEEEE10hipError_tT0_T1_T2_jT3_P12ihipStream_tbPNSt15iterator_traitsISE_E10value_typeEPNSK_ISF_E10value_typeEPSG_NS1_7vsmem_tEENKUlT_SE_SF_SG_E_clIS8_S8_S9_S9_EESD_ST_SE_SF_SG_EUlST_E0_NS1_11comp_targetILNS1_3genE4ELNS1_11target_archE910ELNS1_3gpuE8ELNS1_3repE0EEENS1_38merge_mergepath_config_static_selectorELNS0_4arch9wavefront6targetE1EEEvSF_
                                        ; -- End function
	.section	.AMDGPU.csdata,"",@progbits
; Kernel info:
; codeLenInByte = 2648
; NumSgprs: 28
; NumVgprs: 24
; NumAgprs: 0
; TotalNumVgprs: 24
; ScratchSize: 0
; MemoryBound: 0
; FloatMode: 240
; IeeeMode: 1
; LDSByteSize: 8448 bytes/workgroup (compile time only)
; SGPRBlocks: 3
; VGPRBlocks: 2
; NumSGPRsForWavesPerEU: 28
; NumVGPRsForWavesPerEU: 24
; AccumOffset: 24
; Occupancy: 7
; WaveLimiterHint : 1
; COMPUTE_PGM_RSRC2:SCRATCH_EN: 0
; COMPUTE_PGM_RSRC2:USER_SGPR: 6
; COMPUTE_PGM_RSRC2:TRAP_HANDLER: 0
; COMPUTE_PGM_RSRC2:TGID_X_EN: 1
; COMPUTE_PGM_RSRC2:TGID_Y_EN: 1
; COMPUTE_PGM_RSRC2:TGID_Z_EN: 1
; COMPUTE_PGM_RSRC2:TIDIG_COMP_CNT: 0
; COMPUTE_PGM_RSRC3_GFX90A:ACCUM_OFFSET: 5
; COMPUTE_PGM_RSRC3_GFX90A:TG_SPLIT: 0
	.section	.text._ZN7rocprim17ROCPRIM_400000_NS6detail17trampoline_kernelINS0_14default_configENS1_38merge_sort_block_merge_config_selectorIdNS0_10empty_typeEEEZZNS1_27merge_sort_block_merge_implIS3_PdPS5_jNS1_19radix_merge_compareILb1ELb0EdNS0_19identity_decomposerEEEEE10hipError_tT0_T1_T2_jT3_P12ihipStream_tbPNSt15iterator_traitsISE_E10value_typeEPNSK_ISF_E10value_typeEPSG_NS1_7vsmem_tEENKUlT_SE_SF_SG_E_clIS8_S8_S9_S9_EESD_ST_SE_SF_SG_EUlST_E0_NS1_11comp_targetILNS1_3genE3ELNS1_11target_archE908ELNS1_3gpuE7ELNS1_3repE0EEENS1_38merge_mergepath_config_static_selectorELNS0_4arch9wavefront6targetE1EEEvSF_,"axG",@progbits,_ZN7rocprim17ROCPRIM_400000_NS6detail17trampoline_kernelINS0_14default_configENS1_38merge_sort_block_merge_config_selectorIdNS0_10empty_typeEEEZZNS1_27merge_sort_block_merge_implIS3_PdPS5_jNS1_19radix_merge_compareILb1ELb0EdNS0_19identity_decomposerEEEEE10hipError_tT0_T1_T2_jT3_P12ihipStream_tbPNSt15iterator_traitsISE_E10value_typeEPNSK_ISF_E10value_typeEPSG_NS1_7vsmem_tEENKUlT_SE_SF_SG_E_clIS8_S8_S9_S9_EESD_ST_SE_SF_SG_EUlST_E0_NS1_11comp_targetILNS1_3genE3ELNS1_11target_archE908ELNS1_3gpuE7ELNS1_3repE0EEENS1_38merge_mergepath_config_static_selectorELNS0_4arch9wavefront6targetE1EEEvSF_,comdat
	.protected	_ZN7rocprim17ROCPRIM_400000_NS6detail17trampoline_kernelINS0_14default_configENS1_38merge_sort_block_merge_config_selectorIdNS0_10empty_typeEEEZZNS1_27merge_sort_block_merge_implIS3_PdPS5_jNS1_19radix_merge_compareILb1ELb0EdNS0_19identity_decomposerEEEEE10hipError_tT0_T1_T2_jT3_P12ihipStream_tbPNSt15iterator_traitsISE_E10value_typeEPNSK_ISF_E10value_typeEPSG_NS1_7vsmem_tEENKUlT_SE_SF_SG_E_clIS8_S8_S9_S9_EESD_ST_SE_SF_SG_EUlST_E0_NS1_11comp_targetILNS1_3genE3ELNS1_11target_archE908ELNS1_3gpuE7ELNS1_3repE0EEENS1_38merge_mergepath_config_static_selectorELNS0_4arch9wavefront6targetE1EEEvSF_ ; -- Begin function _ZN7rocprim17ROCPRIM_400000_NS6detail17trampoline_kernelINS0_14default_configENS1_38merge_sort_block_merge_config_selectorIdNS0_10empty_typeEEEZZNS1_27merge_sort_block_merge_implIS3_PdPS5_jNS1_19radix_merge_compareILb1ELb0EdNS0_19identity_decomposerEEEEE10hipError_tT0_T1_T2_jT3_P12ihipStream_tbPNSt15iterator_traitsISE_E10value_typeEPNSK_ISF_E10value_typeEPSG_NS1_7vsmem_tEENKUlT_SE_SF_SG_E_clIS8_S8_S9_S9_EESD_ST_SE_SF_SG_EUlST_E0_NS1_11comp_targetILNS1_3genE3ELNS1_11target_archE908ELNS1_3gpuE7ELNS1_3repE0EEENS1_38merge_mergepath_config_static_selectorELNS0_4arch9wavefront6targetE1EEEvSF_
	.globl	_ZN7rocprim17ROCPRIM_400000_NS6detail17trampoline_kernelINS0_14default_configENS1_38merge_sort_block_merge_config_selectorIdNS0_10empty_typeEEEZZNS1_27merge_sort_block_merge_implIS3_PdPS5_jNS1_19radix_merge_compareILb1ELb0EdNS0_19identity_decomposerEEEEE10hipError_tT0_T1_T2_jT3_P12ihipStream_tbPNSt15iterator_traitsISE_E10value_typeEPNSK_ISF_E10value_typeEPSG_NS1_7vsmem_tEENKUlT_SE_SF_SG_E_clIS8_S8_S9_S9_EESD_ST_SE_SF_SG_EUlST_E0_NS1_11comp_targetILNS1_3genE3ELNS1_11target_archE908ELNS1_3gpuE7ELNS1_3repE0EEENS1_38merge_mergepath_config_static_selectorELNS0_4arch9wavefront6targetE1EEEvSF_
	.p2align	8
	.type	_ZN7rocprim17ROCPRIM_400000_NS6detail17trampoline_kernelINS0_14default_configENS1_38merge_sort_block_merge_config_selectorIdNS0_10empty_typeEEEZZNS1_27merge_sort_block_merge_implIS3_PdPS5_jNS1_19radix_merge_compareILb1ELb0EdNS0_19identity_decomposerEEEEE10hipError_tT0_T1_T2_jT3_P12ihipStream_tbPNSt15iterator_traitsISE_E10value_typeEPNSK_ISF_E10value_typeEPSG_NS1_7vsmem_tEENKUlT_SE_SF_SG_E_clIS8_S8_S9_S9_EESD_ST_SE_SF_SG_EUlST_E0_NS1_11comp_targetILNS1_3genE3ELNS1_11target_archE908ELNS1_3gpuE7ELNS1_3repE0EEENS1_38merge_mergepath_config_static_selectorELNS0_4arch9wavefront6targetE1EEEvSF_,@function
_ZN7rocprim17ROCPRIM_400000_NS6detail17trampoline_kernelINS0_14default_configENS1_38merge_sort_block_merge_config_selectorIdNS0_10empty_typeEEEZZNS1_27merge_sort_block_merge_implIS3_PdPS5_jNS1_19radix_merge_compareILb1ELb0EdNS0_19identity_decomposerEEEEE10hipError_tT0_T1_T2_jT3_P12ihipStream_tbPNSt15iterator_traitsISE_E10value_typeEPNSK_ISF_E10value_typeEPSG_NS1_7vsmem_tEENKUlT_SE_SF_SG_E_clIS8_S8_S9_S9_EESD_ST_SE_SF_SG_EUlST_E0_NS1_11comp_targetILNS1_3genE3ELNS1_11target_archE908ELNS1_3gpuE7ELNS1_3repE0EEENS1_38merge_mergepath_config_static_selectorELNS0_4arch9wavefront6targetE1EEEvSF_: ; @_ZN7rocprim17ROCPRIM_400000_NS6detail17trampoline_kernelINS0_14default_configENS1_38merge_sort_block_merge_config_selectorIdNS0_10empty_typeEEEZZNS1_27merge_sort_block_merge_implIS3_PdPS5_jNS1_19radix_merge_compareILb1ELb0EdNS0_19identity_decomposerEEEEE10hipError_tT0_T1_T2_jT3_P12ihipStream_tbPNSt15iterator_traitsISE_E10value_typeEPNSK_ISF_E10value_typeEPSG_NS1_7vsmem_tEENKUlT_SE_SF_SG_E_clIS8_S8_S9_S9_EESD_ST_SE_SF_SG_EUlST_E0_NS1_11comp_targetILNS1_3genE3ELNS1_11target_archE908ELNS1_3gpuE7ELNS1_3repE0EEENS1_38merge_mergepath_config_static_selectorELNS0_4arch9wavefront6targetE1EEEvSF_
; %bb.0:
	.section	.rodata,"a",@progbits
	.p2align	6, 0x0
	.amdhsa_kernel _ZN7rocprim17ROCPRIM_400000_NS6detail17trampoline_kernelINS0_14default_configENS1_38merge_sort_block_merge_config_selectorIdNS0_10empty_typeEEEZZNS1_27merge_sort_block_merge_implIS3_PdPS5_jNS1_19radix_merge_compareILb1ELb0EdNS0_19identity_decomposerEEEEE10hipError_tT0_T1_T2_jT3_P12ihipStream_tbPNSt15iterator_traitsISE_E10value_typeEPNSK_ISF_E10value_typeEPSG_NS1_7vsmem_tEENKUlT_SE_SF_SG_E_clIS8_S8_S9_S9_EESD_ST_SE_SF_SG_EUlST_E0_NS1_11comp_targetILNS1_3genE3ELNS1_11target_archE908ELNS1_3gpuE7ELNS1_3repE0EEENS1_38merge_mergepath_config_static_selectorELNS0_4arch9wavefront6targetE1EEEvSF_
		.amdhsa_group_segment_fixed_size 0
		.amdhsa_private_segment_fixed_size 0
		.amdhsa_kernarg_size 64
		.amdhsa_user_sgpr_count 6
		.amdhsa_user_sgpr_private_segment_buffer 1
		.amdhsa_user_sgpr_dispatch_ptr 0
		.amdhsa_user_sgpr_queue_ptr 0
		.amdhsa_user_sgpr_kernarg_segment_ptr 1
		.amdhsa_user_sgpr_dispatch_id 0
		.amdhsa_user_sgpr_flat_scratch_init 0
		.amdhsa_user_sgpr_kernarg_preload_length 0
		.amdhsa_user_sgpr_kernarg_preload_offset 0
		.amdhsa_user_sgpr_private_segment_size 0
		.amdhsa_uses_dynamic_stack 0
		.amdhsa_system_sgpr_private_segment_wavefront_offset 0
		.amdhsa_system_sgpr_workgroup_id_x 1
		.amdhsa_system_sgpr_workgroup_id_y 0
		.amdhsa_system_sgpr_workgroup_id_z 0
		.amdhsa_system_sgpr_workgroup_info 0
		.amdhsa_system_vgpr_workitem_id 0
		.amdhsa_next_free_vgpr 1
		.amdhsa_next_free_sgpr 0
		.amdhsa_accum_offset 4
		.amdhsa_reserve_vcc 0
		.amdhsa_reserve_flat_scratch 0
		.amdhsa_float_round_mode_32 0
		.amdhsa_float_round_mode_16_64 0
		.amdhsa_float_denorm_mode_32 3
		.amdhsa_float_denorm_mode_16_64 3
		.amdhsa_dx10_clamp 1
		.amdhsa_ieee_mode 1
		.amdhsa_fp16_overflow 0
		.amdhsa_tg_split 0
		.amdhsa_exception_fp_ieee_invalid_op 0
		.amdhsa_exception_fp_denorm_src 0
		.amdhsa_exception_fp_ieee_div_zero 0
		.amdhsa_exception_fp_ieee_overflow 0
		.amdhsa_exception_fp_ieee_underflow 0
		.amdhsa_exception_fp_ieee_inexact 0
		.amdhsa_exception_int_div_zero 0
	.end_amdhsa_kernel
	.section	.text._ZN7rocprim17ROCPRIM_400000_NS6detail17trampoline_kernelINS0_14default_configENS1_38merge_sort_block_merge_config_selectorIdNS0_10empty_typeEEEZZNS1_27merge_sort_block_merge_implIS3_PdPS5_jNS1_19radix_merge_compareILb1ELb0EdNS0_19identity_decomposerEEEEE10hipError_tT0_T1_T2_jT3_P12ihipStream_tbPNSt15iterator_traitsISE_E10value_typeEPNSK_ISF_E10value_typeEPSG_NS1_7vsmem_tEENKUlT_SE_SF_SG_E_clIS8_S8_S9_S9_EESD_ST_SE_SF_SG_EUlST_E0_NS1_11comp_targetILNS1_3genE3ELNS1_11target_archE908ELNS1_3gpuE7ELNS1_3repE0EEENS1_38merge_mergepath_config_static_selectorELNS0_4arch9wavefront6targetE1EEEvSF_,"axG",@progbits,_ZN7rocprim17ROCPRIM_400000_NS6detail17trampoline_kernelINS0_14default_configENS1_38merge_sort_block_merge_config_selectorIdNS0_10empty_typeEEEZZNS1_27merge_sort_block_merge_implIS3_PdPS5_jNS1_19radix_merge_compareILb1ELb0EdNS0_19identity_decomposerEEEEE10hipError_tT0_T1_T2_jT3_P12ihipStream_tbPNSt15iterator_traitsISE_E10value_typeEPNSK_ISF_E10value_typeEPSG_NS1_7vsmem_tEENKUlT_SE_SF_SG_E_clIS8_S8_S9_S9_EESD_ST_SE_SF_SG_EUlST_E0_NS1_11comp_targetILNS1_3genE3ELNS1_11target_archE908ELNS1_3gpuE7ELNS1_3repE0EEENS1_38merge_mergepath_config_static_selectorELNS0_4arch9wavefront6targetE1EEEvSF_,comdat
.Lfunc_end2585:
	.size	_ZN7rocprim17ROCPRIM_400000_NS6detail17trampoline_kernelINS0_14default_configENS1_38merge_sort_block_merge_config_selectorIdNS0_10empty_typeEEEZZNS1_27merge_sort_block_merge_implIS3_PdPS5_jNS1_19radix_merge_compareILb1ELb0EdNS0_19identity_decomposerEEEEE10hipError_tT0_T1_T2_jT3_P12ihipStream_tbPNSt15iterator_traitsISE_E10value_typeEPNSK_ISF_E10value_typeEPSG_NS1_7vsmem_tEENKUlT_SE_SF_SG_E_clIS8_S8_S9_S9_EESD_ST_SE_SF_SG_EUlST_E0_NS1_11comp_targetILNS1_3genE3ELNS1_11target_archE908ELNS1_3gpuE7ELNS1_3repE0EEENS1_38merge_mergepath_config_static_selectorELNS0_4arch9wavefront6targetE1EEEvSF_, .Lfunc_end2585-_ZN7rocprim17ROCPRIM_400000_NS6detail17trampoline_kernelINS0_14default_configENS1_38merge_sort_block_merge_config_selectorIdNS0_10empty_typeEEEZZNS1_27merge_sort_block_merge_implIS3_PdPS5_jNS1_19radix_merge_compareILb1ELb0EdNS0_19identity_decomposerEEEEE10hipError_tT0_T1_T2_jT3_P12ihipStream_tbPNSt15iterator_traitsISE_E10value_typeEPNSK_ISF_E10value_typeEPSG_NS1_7vsmem_tEENKUlT_SE_SF_SG_E_clIS8_S8_S9_S9_EESD_ST_SE_SF_SG_EUlST_E0_NS1_11comp_targetILNS1_3genE3ELNS1_11target_archE908ELNS1_3gpuE7ELNS1_3repE0EEENS1_38merge_mergepath_config_static_selectorELNS0_4arch9wavefront6targetE1EEEvSF_
                                        ; -- End function
	.section	.AMDGPU.csdata,"",@progbits
; Kernel info:
; codeLenInByte = 0
; NumSgprs: 4
; NumVgprs: 0
; NumAgprs: 0
; TotalNumVgprs: 0
; ScratchSize: 0
; MemoryBound: 0
; FloatMode: 240
; IeeeMode: 1
; LDSByteSize: 0 bytes/workgroup (compile time only)
; SGPRBlocks: 0
; VGPRBlocks: 0
; NumSGPRsForWavesPerEU: 4
; NumVGPRsForWavesPerEU: 1
; AccumOffset: 4
; Occupancy: 8
; WaveLimiterHint : 0
; COMPUTE_PGM_RSRC2:SCRATCH_EN: 0
; COMPUTE_PGM_RSRC2:USER_SGPR: 6
; COMPUTE_PGM_RSRC2:TRAP_HANDLER: 0
; COMPUTE_PGM_RSRC2:TGID_X_EN: 1
; COMPUTE_PGM_RSRC2:TGID_Y_EN: 0
; COMPUTE_PGM_RSRC2:TGID_Z_EN: 0
; COMPUTE_PGM_RSRC2:TIDIG_COMP_CNT: 0
; COMPUTE_PGM_RSRC3_GFX90A:ACCUM_OFFSET: 0
; COMPUTE_PGM_RSRC3_GFX90A:TG_SPLIT: 0
	.section	.text._ZN7rocprim17ROCPRIM_400000_NS6detail17trampoline_kernelINS0_14default_configENS1_38merge_sort_block_merge_config_selectorIdNS0_10empty_typeEEEZZNS1_27merge_sort_block_merge_implIS3_PdPS5_jNS1_19radix_merge_compareILb1ELb0EdNS0_19identity_decomposerEEEEE10hipError_tT0_T1_T2_jT3_P12ihipStream_tbPNSt15iterator_traitsISE_E10value_typeEPNSK_ISF_E10value_typeEPSG_NS1_7vsmem_tEENKUlT_SE_SF_SG_E_clIS8_S8_S9_S9_EESD_ST_SE_SF_SG_EUlST_E0_NS1_11comp_targetILNS1_3genE2ELNS1_11target_archE906ELNS1_3gpuE6ELNS1_3repE0EEENS1_38merge_mergepath_config_static_selectorELNS0_4arch9wavefront6targetE1EEEvSF_,"axG",@progbits,_ZN7rocprim17ROCPRIM_400000_NS6detail17trampoline_kernelINS0_14default_configENS1_38merge_sort_block_merge_config_selectorIdNS0_10empty_typeEEEZZNS1_27merge_sort_block_merge_implIS3_PdPS5_jNS1_19radix_merge_compareILb1ELb0EdNS0_19identity_decomposerEEEEE10hipError_tT0_T1_T2_jT3_P12ihipStream_tbPNSt15iterator_traitsISE_E10value_typeEPNSK_ISF_E10value_typeEPSG_NS1_7vsmem_tEENKUlT_SE_SF_SG_E_clIS8_S8_S9_S9_EESD_ST_SE_SF_SG_EUlST_E0_NS1_11comp_targetILNS1_3genE2ELNS1_11target_archE906ELNS1_3gpuE6ELNS1_3repE0EEENS1_38merge_mergepath_config_static_selectorELNS0_4arch9wavefront6targetE1EEEvSF_,comdat
	.protected	_ZN7rocprim17ROCPRIM_400000_NS6detail17trampoline_kernelINS0_14default_configENS1_38merge_sort_block_merge_config_selectorIdNS0_10empty_typeEEEZZNS1_27merge_sort_block_merge_implIS3_PdPS5_jNS1_19radix_merge_compareILb1ELb0EdNS0_19identity_decomposerEEEEE10hipError_tT0_T1_T2_jT3_P12ihipStream_tbPNSt15iterator_traitsISE_E10value_typeEPNSK_ISF_E10value_typeEPSG_NS1_7vsmem_tEENKUlT_SE_SF_SG_E_clIS8_S8_S9_S9_EESD_ST_SE_SF_SG_EUlST_E0_NS1_11comp_targetILNS1_3genE2ELNS1_11target_archE906ELNS1_3gpuE6ELNS1_3repE0EEENS1_38merge_mergepath_config_static_selectorELNS0_4arch9wavefront6targetE1EEEvSF_ ; -- Begin function _ZN7rocprim17ROCPRIM_400000_NS6detail17trampoline_kernelINS0_14default_configENS1_38merge_sort_block_merge_config_selectorIdNS0_10empty_typeEEEZZNS1_27merge_sort_block_merge_implIS3_PdPS5_jNS1_19radix_merge_compareILb1ELb0EdNS0_19identity_decomposerEEEEE10hipError_tT0_T1_T2_jT3_P12ihipStream_tbPNSt15iterator_traitsISE_E10value_typeEPNSK_ISF_E10value_typeEPSG_NS1_7vsmem_tEENKUlT_SE_SF_SG_E_clIS8_S8_S9_S9_EESD_ST_SE_SF_SG_EUlST_E0_NS1_11comp_targetILNS1_3genE2ELNS1_11target_archE906ELNS1_3gpuE6ELNS1_3repE0EEENS1_38merge_mergepath_config_static_selectorELNS0_4arch9wavefront6targetE1EEEvSF_
	.globl	_ZN7rocprim17ROCPRIM_400000_NS6detail17trampoline_kernelINS0_14default_configENS1_38merge_sort_block_merge_config_selectorIdNS0_10empty_typeEEEZZNS1_27merge_sort_block_merge_implIS3_PdPS5_jNS1_19radix_merge_compareILb1ELb0EdNS0_19identity_decomposerEEEEE10hipError_tT0_T1_T2_jT3_P12ihipStream_tbPNSt15iterator_traitsISE_E10value_typeEPNSK_ISF_E10value_typeEPSG_NS1_7vsmem_tEENKUlT_SE_SF_SG_E_clIS8_S8_S9_S9_EESD_ST_SE_SF_SG_EUlST_E0_NS1_11comp_targetILNS1_3genE2ELNS1_11target_archE906ELNS1_3gpuE6ELNS1_3repE0EEENS1_38merge_mergepath_config_static_selectorELNS0_4arch9wavefront6targetE1EEEvSF_
	.p2align	8
	.type	_ZN7rocprim17ROCPRIM_400000_NS6detail17trampoline_kernelINS0_14default_configENS1_38merge_sort_block_merge_config_selectorIdNS0_10empty_typeEEEZZNS1_27merge_sort_block_merge_implIS3_PdPS5_jNS1_19radix_merge_compareILb1ELb0EdNS0_19identity_decomposerEEEEE10hipError_tT0_T1_T2_jT3_P12ihipStream_tbPNSt15iterator_traitsISE_E10value_typeEPNSK_ISF_E10value_typeEPSG_NS1_7vsmem_tEENKUlT_SE_SF_SG_E_clIS8_S8_S9_S9_EESD_ST_SE_SF_SG_EUlST_E0_NS1_11comp_targetILNS1_3genE2ELNS1_11target_archE906ELNS1_3gpuE6ELNS1_3repE0EEENS1_38merge_mergepath_config_static_selectorELNS0_4arch9wavefront6targetE1EEEvSF_,@function
_ZN7rocprim17ROCPRIM_400000_NS6detail17trampoline_kernelINS0_14default_configENS1_38merge_sort_block_merge_config_selectorIdNS0_10empty_typeEEEZZNS1_27merge_sort_block_merge_implIS3_PdPS5_jNS1_19radix_merge_compareILb1ELb0EdNS0_19identity_decomposerEEEEE10hipError_tT0_T1_T2_jT3_P12ihipStream_tbPNSt15iterator_traitsISE_E10value_typeEPNSK_ISF_E10value_typeEPSG_NS1_7vsmem_tEENKUlT_SE_SF_SG_E_clIS8_S8_S9_S9_EESD_ST_SE_SF_SG_EUlST_E0_NS1_11comp_targetILNS1_3genE2ELNS1_11target_archE906ELNS1_3gpuE6ELNS1_3repE0EEENS1_38merge_mergepath_config_static_selectorELNS0_4arch9wavefront6targetE1EEEvSF_: ; @_ZN7rocprim17ROCPRIM_400000_NS6detail17trampoline_kernelINS0_14default_configENS1_38merge_sort_block_merge_config_selectorIdNS0_10empty_typeEEEZZNS1_27merge_sort_block_merge_implIS3_PdPS5_jNS1_19radix_merge_compareILb1ELb0EdNS0_19identity_decomposerEEEEE10hipError_tT0_T1_T2_jT3_P12ihipStream_tbPNSt15iterator_traitsISE_E10value_typeEPNSK_ISF_E10value_typeEPSG_NS1_7vsmem_tEENKUlT_SE_SF_SG_E_clIS8_S8_S9_S9_EESD_ST_SE_SF_SG_EUlST_E0_NS1_11comp_targetILNS1_3genE2ELNS1_11target_archE906ELNS1_3gpuE6ELNS1_3repE0EEENS1_38merge_mergepath_config_static_selectorELNS0_4arch9wavefront6targetE1EEEvSF_
; %bb.0:
	.section	.rodata,"a",@progbits
	.p2align	6, 0x0
	.amdhsa_kernel _ZN7rocprim17ROCPRIM_400000_NS6detail17trampoline_kernelINS0_14default_configENS1_38merge_sort_block_merge_config_selectorIdNS0_10empty_typeEEEZZNS1_27merge_sort_block_merge_implIS3_PdPS5_jNS1_19radix_merge_compareILb1ELb0EdNS0_19identity_decomposerEEEEE10hipError_tT0_T1_T2_jT3_P12ihipStream_tbPNSt15iterator_traitsISE_E10value_typeEPNSK_ISF_E10value_typeEPSG_NS1_7vsmem_tEENKUlT_SE_SF_SG_E_clIS8_S8_S9_S9_EESD_ST_SE_SF_SG_EUlST_E0_NS1_11comp_targetILNS1_3genE2ELNS1_11target_archE906ELNS1_3gpuE6ELNS1_3repE0EEENS1_38merge_mergepath_config_static_selectorELNS0_4arch9wavefront6targetE1EEEvSF_
		.amdhsa_group_segment_fixed_size 0
		.amdhsa_private_segment_fixed_size 0
		.amdhsa_kernarg_size 64
		.amdhsa_user_sgpr_count 6
		.amdhsa_user_sgpr_private_segment_buffer 1
		.amdhsa_user_sgpr_dispatch_ptr 0
		.amdhsa_user_sgpr_queue_ptr 0
		.amdhsa_user_sgpr_kernarg_segment_ptr 1
		.amdhsa_user_sgpr_dispatch_id 0
		.amdhsa_user_sgpr_flat_scratch_init 0
		.amdhsa_user_sgpr_kernarg_preload_length 0
		.amdhsa_user_sgpr_kernarg_preload_offset 0
		.amdhsa_user_sgpr_private_segment_size 0
		.amdhsa_uses_dynamic_stack 0
		.amdhsa_system_sgpr_private_segment_wavefront_offset 0
		.amdhsa_system_sgpr_workgroup_id_x 1
		.amdhsa_system_sgpr_workgroup_id_y 0
		.amdhsa_system_sgpr_workgroup_id_z 0
		.amdhsa_system_sgpr_workgroup_info 0
		.amdhsa_system_vgpr_workitem_id 0
		.amdhsa_next_free_vgpr 1
		.amdhsa_next_free_sgpr 0
		.amdhsa_accum_offset 4
		.amdhsa_reserve_vcc 0
		.amdhsa_reserve_flat_scratch 0
		.amdhsa_float_round_mode_32 0
		.amdhsa_float_round_mode_16_64 0
		.amdhsa_float_denorm_mode_32 3
		.amdhsa_float_denorm_mode_16_64 3
		.amdhsa_dx10_clamp 1
		.amdhsa_ieee_mode 1
		.amdhsa_fp16_overflow 0
		.amdhsa_tg_split 0
		.amdhsa_exception_fp_ieee_invalid_op 0
		.amdhsa_exception_fp_denorm_src 0
		.amdhsa_exception_fp_ieee_div_zero 0
		.amdhsa_exception_fp_ieee_overflow 0
		.amdhsa_exception_fp_ieee_underflow 0
		.amdhsa_exception_fp_ieee_inexact 0
		.amdhsa_exception_int_div_zero 0
	.end_amdhsa_kernel
	.section	.text._ZN7rocprim17ROCPRIM_400000_NS6detail17trampoline_kernelINS0_14default_configENS1_38merge_sort_block_merge_config_selectorIdNS0_10empty_typeEEEZZNS1_27merge_sort_block_merge_implIS3_PdPS5_jNS1_19radix_merge_compareILb1ELb0EdNS0_19identity_decomposerEEEEE10hipError_tT0_T1_T2_jT3_P12ihipStream_tbPNSt15iterator_traitsISE_E10value_typeEPNSK_ISF_E10value_typeEPSG_NS1_7vsmem_tEENKUlT_SE_SF_SG_E_clIS8_S8_S9_S9_EESD_ST_SE_SF_SG_EUlST_E0_NS1_11comp_targetILNS1_3genE2ELNS1_11target_archE906ELNS1_3gpuE6ELNS1_3repE0EEENS1_38merge_mergepath_config_static_selectorELNS0_4arch9wavefront6targetE1EEEvSF_,"axG",@progbits,_ZN7rocprim17ROCPRIM_400000_NS6detail17trampoline_kernelINS0_14default_configENS1_38merge_sort_block_merge_config_selectorIdNS0_10empty_typeEEEZZNS1_27merge_sort_block_merge_implIS3_PdPS5_jNS1_19radix_merge_compareILb1ELb0EdNS0_19identity_decomposerEEEEE10hipError_tT0_T1_T2_jT3_P12ihipStream_tbPNSt15iterator_traitsISE_E10value_typeEPNSK_ISF_E10value_typeEPSG_NS1_7vsmem_tEENKUlT_SE_SF_SG_E_clIS8_S8_S9_S9_EESD_ST_SE_SF_SG_EUlST_E0_NS1_11comp_targetILNS1_3genE2ELNS1_11target_archE906ELNS1_3gpuE6ELNS1_3repE0EEENS1_38merge_mergepath_config_static_selectorELNS0_4arch9wavefront6targetE1EEEvSF_,comdat
.Lfunc_end2586:
	.size	_ZN7rocprim17ROCPRIM_400000_NS6detail17trampoline_kernelINS0_14default_configENS1_38merge_sort_block_merge_config_selectorIdNS0_10empty_typeEEEZZNS1_27merge_sort_block_merge_implIS3_PdPS5_jNS1_19radix_merge_compareILb1ELb0EdNS0_19identity_decomposerEEEEE10hipError_tT0_T1_T2_jT3_P12ihipStream_tbPNSt15iterator_traitsISE_E10value_typeEPNSK_ISF_E10value_typeEPSG_NS1_7vsmem_tEENKUlT_SE_SF_SG_E_clIS8_S8_S9_S9_EESD_ST_SE_SF_SG_EUlST_E0_NS1_11comp_targetILNS1_3genE2ELNS1_11target_archE906ELNS1_3gpuE6ELNS1_3repE0EEENS1_38merge_mergepath_config_static_selectorELNS0_4arch9wavefront6targetE1EEEvSF_, .Lfunc_end2586-_ZN7rocprim17ROCPRIM_400000_NS6detail17trampoline_kernelINS0_14default_configENS1_38merge_sort_block_merge_config_selectorIdNS0_10empty_typeEEEZZNS1_27merge_sort_block_merge_implIS3_PdPS5_jNS1_19radix_merge_compareILb1ELb0EdNS0_19identity_decomposerEEEEE10hipError_tT0_T1_T2_jT3_P12ihipStream_tbPNSt15iterator_traitsISE_E10value_typeEPNSK_ISF_E10value_typeEPSG_NS1_7vsmem_tEENKUlT_SE_SF_SG_E_clIS8_S8_S9_S9_EESD_ST_SE_SF_SG_EUlST_E0_NS1_11comp_targetILNS1_3genE2ELNS1_11target_archE906ELNS1_3gpuE6ELNS1_3repE0EEENS1_38merge_mergepath_config_static_selectorELNS0_4arch9wavefront6targetE1EEEvSF_
                                        ; -- End function
	.section	.AMDGPU.csdata,"",@progbits
; Kernel info:
; codeLenInByte = 0
; NumSgprs: 4
; NumVgprs: 0
; NumAgprs: 0
; TotalNumVgprs: 0
; ScratchSize: 0
; MemoryBound: 0
; FloatMode: 240
; IeeeMode: 1
; LDSByteSize: 0 bytes/workgroup (compile time only)
; SGPRBlocks: 0
; VGPRBlocks: 0
; NumSGPRsForWavesPerEU: 4
; NumVGPRsForWavesPerEU: 1
; AccumOffset: 4
; Occupancy: 8
; WaveLimiterHint : 0
; COMPUTE_PGM_RSRC2:SCRATCH_EN: 0
; COMPUTE_PGM_RSRC2:USER_SGPR: 6
; COMPUTE_PGM_RSRC2:TRAP_HANDLER: 0
; COMPUTE_PGM_RSRC2:TGID_X_EN: 1
; COMPUTE_PGM_RSRC2:TGID_Y_EN: 0
; COMPUTE_PGM_RSRC2:TGID_Z_EN: 0
; COMPUTE_PGM_RSRC2:TIDIG_COMP_CNT: 0
; COMPUTE_PGM_RSRC3_GFX90A:ACCUM_OFFSET: 0
; COMPUTE_PGM_RSRC3_GFX90A:TG_SPLIT: 0
	.section	.text._ZN7rocprim17ROCPRIM_400000_NS6detail17trampoline_kernelINS0_14default_configENS1_38merge_sort_block_merge_config_selectorIdNS0_10empty_typeEEEZZNS1_27merge_sort_block_merge_implIS3_PdPS5_jNS1_19radix_merge_compareILb1ELb0EdNS0_19identity_decomposerEEEEE10hipError_tT0_T1_T2_jT3_P12ihipStream_tbPNSt15iterator_traitsISE_E10value_typeEPNSK_ISF_E10value_typeEPSG_NS1_7vsmem_tEENKUlT_SE_SF_SG_E_clIS8_S8_S9_S9_EESD_ST_SE_SF_SG_EUlST_E0_NS1_11comp_targetILNS1_3genE9ELNS1_11target_archE1100ELNS1_3gpuE3ELNS1_3repE0EEENS1_38merge_mergepath_config_static_selectorELNS0_4arch9wavefront6targetE1EEEvSF_,"axG",@progbits,_ZN7rocprim17ROCPRIM_400000_NS6detail17trampoline_kernelINS0_14default_configENS1_38merge_sort_block_merge_config_selectorIdNS0_10empty_typeEEEZZNS1_27merge_sort_block_merge_implIS3_PdPS5_jNS1_19radix_merge_compareILb1ELb0EdNS0_19identity_decomposerEEEEE10hipError_tT0_T1_T2_jT3_P12ihipStream_tbPNSt15iterator_traitsISE_E10value_typeEPNSK_ISF_E10value_typeEPSG_NS1_7vsmem_tEENKUlT_SE_SF_SG_E_clIS8_S8_S9_S9_EESD_ST_SE_SF_SG_EUlST_E0_NS1_11comp_targetILNS1_3genE9ELNS1_11target_archE1100ELNS1_3gpuE3ELNS1_3repE0EEENS1_38merge_mergepath_config_static_selectorELNS0_4arch9wavefront6targetE1EEEvSF_,comdat
	.protected	_ZN7rocprim17ROCPRIM_400000_NS6detail17trampoline_kernelINS0_14default_configENS1_38merge_sort_block_merge_config_selectorIdNS0_10empty_typeEEEZZNS1_27merge_sort_block_merge_implIS3_PdPS5_jNS1_19radix_merge_compareILb1ELb0EdNS0_19identity_decomposerEEEEE10hipError_tT0_T1_T2_jT3_P12ihipStream_tbPNSt15iterator_traitsISE_E10value_typeEPNSK_ISF_E10value_typeEPSG_NS1_7vsmem_tEENKUlT_SE_SF_SG_E_clIS8_S8_S9_S9_EESD_ST_SE_SF_SG_EUlST_E0_NS1_11comp_targetILNS1_3genE9ELNS1_11target_archE1100ELNS1_3gpuE3ELNS1_3repE0EEENS1_38merge_mergepath_config_static_selectorELNS0_4arch9wavefront6targetE1EEEvSF_ ; -- Begin function _ZN7rocprim17ROCPRIM_400000_NS6detail17trampoline_kernelINS0_14default_configENS1_38merge_sort_block_merge_config_selectorIdNS0_10empty_typeEEEZZNS1_27merge_sort_block_merge_implIS3_PdPS5_jNS1_19radix_merge_compareILb1ELb0EdNS0_19identity_decomposerEEEEE10hipError_tT0_T1_T2_jT3_P12ihipStream_tbPNSt15iterator_traitsISE_E10value_typeEPNSK_ISF_E10value_typeEPSG_NS1_7vsmem_tEENKUlT_SE_SF_SG_E_clIS8_S8_S9_S9_EESD_ST_SE_SF_SG_EUlST_E0_NS1_11comp_targetILNS1_3genE9ELNS1_11target_archE1100ELNS1_3gpuE3ELNS1_3repE0EEENS1_38merge_mergepath_config_static_selectorELNS0_4arch9wavefront6targetE1EEEvSF_
	.globl	_ZN7rocprim17ROCPRIM_400000_NS6detail17trampoline_kernelINS0_14default_configENS1_38merge_sort_block_merge_config_selectorIdNS0_10empty_typeEEEZZNS1_27merge_sort_block_merge_implIS3_PdPS5_jNS1_19radix_merge_compareILb1ELb0EdNS0_19identity_decomposerEEEEE10hipError_tT0_T1_T2_jT3_P12ihipStream_tbPNSt15iterator_traitsISE_E10value_typeEPNSK_ISF_E10value_typeEPSG_NS1_7vsmem_tEENKUlT_SE_SF_SG_E_clIS8_S8_S9_S9_EESD_ST_SE_SF_SG_EUlST_E0_NS1_11comp_targetILNS1_3genE9ELNS1_11target_archE1100ELNS1_3gpuE3ELNS1_3repE0EEENS1_38merge_mergepath_config_static_selectorELNS0_4arch9wavefront6targetE1EEEvSF_
	.p2align	8
	.type	_ZN7rocprim17ROCPRIM_400000_NS6detail17trampoline_kernelINS0_14default_configENS1_38merge_sort_block_merge_config_selectorIdNS0_10empty_typeEEEZZNS1_27merge_sort_block_merge_implIS3_PdPS5_jNS1_19radix_merge_compareILb1ELb0EdNS0_19identity_decomposerEEEEE10hipError_tT0_T1_T2_jT3_P12ihipStream_tbPNSt15iterator_traitsISE_E10value_typeEPNSK_ISF_E10value_typeEPSG_NS1_7vsmem_tEENKUlT_SE_SF_SG_E_clIS8_S8_S9_S9_EESD_ST_SE_SF_SG_EUlST_E0_NS1_11comp_targetILNS1_3genE9ELNS1_11target_archE1100ELNS1_3gpuE3ELNS1_3repE0EEENS1_38merge_mergepath_config_static_selectorELNS0_4arch9wavefront6targetE1EEEvSF_,@function
_ZN7rocprim17ROCPRIM_400000_NS6detail17trampoline_kernelINS0_14default_configENS1_38merge_sort_block_merge_config_selectorIdNS0_10empty_typeEEEZZNS1_27merge_sort_block_merge_implIS3_PdPS5_jNS1_19radix_merge_compareILb1ELb0EdNS0_19identity_decomposerEEEEE10hipError_tT0_T1_T2_jT3_P12ihipStream_tbPNSt15iterator_traitsISE_E10value_typeEPNSK_ISF_E10value_typeEPSG_NS1_7vsmem_tEENKUlT_SE_SF_SG_E_clIS8_S8_S9_S9_EESD_ST_SE_SF_SG_EUlST_E0_NS1_11comp_targetILNS1_3genE9ELNS1_11target_archE1100ELNS1_3gpuE3ELNS1_3repE0EEENS1_38merge_mergepath_config_static_selectorELNS0_4arch9wavefront6targetE1EEEvSF_: ; @_ZN7rocprim17ROCPRIM_400000_NS6detail17trampoline_kernelINS0_14default_configENS1_38merge_sort_block_merge_config_selectorIdNS0_10empty_typeEEEZZNS1_27merge_sort_block_merge_implIS3_PdPS5_jNS1_19radix_merge_compareILb1ELb0EdNS0_19identity_decomposerEEEEE10hipError_tT0_T1_T2_jT3_P12ihipStream_tbPNSt15iterator_traitsISE_E10value_typeEPNSK_ISF_E10value_typeEPSG_NS1_7vsmem_tEENKUlT_SE_SF_SG_E_clIS8_S8_S9_S9_EESD_ST_SE_SF_SG_EUlST_E0_NS1_11comp_targetILNS1_3genE9ELNS1_11target_archE1100ELNS1_3gpuE3ELNS1_3repE0EEENS1_38merge_mergepath_config_static_selectorELNS0_4arch9wavefront6targetE1EEEvSF_
; %bb.0:
	.section	.rodata,"a",@progbits
	.p2align	6, 0x0
	.amdhsa_kernel _ZN7rocprim17ROCPRIM_400000_NS6detail17trampoline_kernelINS0_14default_configENS1_38merge_sort_block_merge_config_selectorIdNS0_10empty_typeEEEZZNS1_27merge_sort_block_merge_implIS3_PdPS5_jNS1_19radix_merge_compareILb1ELb0EdNS0_19identity_decomposerEEEEE10hipError_tT0_T1_T2_jT3_P12ihipStream_tbPNSt15iterator_traitsISE_E10value_typeEPNSK_ISF_E10value_typeEPSG_NS1_7vsmem_tEENKUlT_SE_SF_SG_E_clIS8_S8_S9_S9_EESD_ST_SE_SF_SG_EUlST_E0_NS1_11comp_targetILNS1_3genE9ELNS1_11target_archE1100ELNS1_3gpuE3ELNS1_3repE0EEENS1_38merge_mergepath_config_static_selectorELNS0_4arch9wavefront6targetE1EEEvSF_
		.amdhsa_group_segment_fixed_size 0
		.amdhsa_private_segment_fixed_size 0
		.amdhsa_kernarg_size 64
		.amdhsa_user_sgpr_count 6
		.amdhsa_user_sgpr_private_segment_buffer 1
		.amdhsa_user_sgpr_dispatch_ptr 0
		.amdhsa_user_sgpr_queue_ptr 0
		.amdhsa_user_sgpr_kernarg_segment_ptr 1
		.amdhsa_user_sgpr_dispatch_id 0
		.amdhsa_user_sgpr_flat_scratch_init 0
		.amdhsa_user_sgpr_kernarg_preload_length 0
		.amdhsa_user_sgpr_kernarg_preload_offset 0
		.amdhsa_user_sgpr_private_segment_size 0
		.amdhsa_uses_dynamic_stack 0
		.amdhsa_system_sgpr_private_segment_wavefront_offset 0
		.amdhsa_system_sgpr_workgroup_id_x 1
		.amdhsa_system_sgpr_workgroup_id_y 0
		.amdhsa_system_sgpr_workgroup_id_z 0
		.amdhsa_system_sgpr_workgroup_info 0
		.amdhsa_system_vgpr_workitem_id 0
		.amdhsa_next_free_vgpr 1
		.amdhsa_next_free_sgpr 0
		.amdhsa_accum_offset 4
		.amdhsa_reserve_vcc 0
		.amdhsa_reserve_flat_scratch 0
		.amdhsa_float_round_mode_32 0
		.amdhsa_float_round_mode_16_64 0
		.amdhsa_float_denorm_mode_32 3
		.amdhsa_float_denorm_mode_16_64 3
		.amdhsa_dx10_clamp 1
		.amdhsa_ieee_mode 1
		.amdhsa_fp16_overflow 0
		.amdhsa_tg_split 0
		.amdhsa_exception_fp_ieee_invalid_op 0
		.amdhsa_exception_fp_denorm_src 0
		.amdhsa_exception_fp_ieee_div_zero 0
		.amdhsa_exception_fp_ieee_overflow 0
		.amdhsa_exception_fp_ieee_underflow 0
		.amdhsa_exception_fp_ieee_inexact 0
		.amdhsa_exception_int_div_zero 0
	.end_amdhsa_kernel
	.section	.text._ZN7rocprim17ROCPRIM_400000_NS6detail17trampoline_kernelINS0_14default_configENS1_38merge_sort_block_merge_config_selectorIdNS0_10empty_typeEEEZZNS1_27merge_sort_block_merge_implIS3_PdPS5_jNS1_19radix_merge_compareILb1ELb0EdNS0_19identity_decomposerEEEEE10hipError_tT0_T1_T2_jT3_P12ihipStream_tbPNSt15iterator_traitsISE_E10value_typeEPNSK_ISF_E10value_typeEPSG_NS1_7vsmem_tEENKUlT_SE_SF_SG_E_clIS8_S8_S9_S9_EESD_ST_SE_SF_SG_EUlST_E0_NS1_11comp_targetILNS1_3genE9ELNS1_11target_archE1100ELNS1_3gpuE3ELNS1_3repE0EEENS1_38merge_mergepath_config_static_selectorELNS0_4arch9wavefront6targetE1EEEvSF_,"axG",@progbits,_ZN7rocprim17ROCPRIM_400000_NS6detail17trampoline_kernelINS0_14default_configENS1_38merge_sort_block_merge_config_selectorIdNS0_10empty_typeEEEZZNS1_27merge_sort_block_merge_implIS3_PdPS5_jNS1_19radix_merge_compareILb1ELb0EdNS0_19identity_decomposerEEEEE10hipError_tT0_T1_T2_jT3_P12ihipStream_tbPNSt15iterator_traitsISE_E10value_typeEPNSK_ISF_E10value_typeEPSG_NS1_7vsmem_tEENKUlT_SE_SF_SG_E_clIS8_S8_S9_S9_EESD_ST_SE_SF_SG_EUlST_E0_NS1_11comp_targetILNS1_3genE9ELNS1_11target_archE1100ELNS1_3gpuE3ELNS1_3repE0EEENS1_38merge_mergepath_config_static_selectorELNS0_4arch9wavefront6targetE1EEEvSF_,comdat
.Lfunc_end2587:
	.size	_ZN7rocprim17ROCPRIM_400000_NS6detail17trampoline_kernelINS0_14default_configENS1_38merge_sort_block_merge_config_selectorIdNS0_10empty_typeEEEZZNS1_27merge_sort_block_merge_implIS3_PdPS5_jNS1_19radix_merge_compareILb1ELb0EdNS0_19identity_decomposerEEEEE10hipError_tT0_T1_T2_jT3_P12ihipStream_tbPNSt15iterator_traitsISE_E10value_typeEPNSK_ISF_E10value_typeEPSG_NS1_7vsmem_tEENKUlT_SE_SF_SG_E_clIS8_S8_S9_S9_EESD_ST_SE_SF_SG_EUlST_E0_NS1_11comp_targetILNS1_3genE9ELNS1_11target_archE1100ELNS1_3gpuE3ELNS1_3repE0EEENS1_38merge_mergepath_config_static_selectorELNS0_4arch9wavefront6targetE1EEEvSF_, .Lfunc_end2587-_ZN7rocprim17ROCPRIM_400000_NS6detail17trampoline_kernelINS0_14default_configENS1_38merge_sort_block_merge_config_selectorIdNS0_10empty_typeEEEZZNS1_27merge_sort_block_merge_implIS3_PdPS5_jNS1_19radix_merge_compareILb1ELb0EdNS0_19identity_decomposerEEEEE10hipError_tT0_T1_T2_jT3_P12ihipStream_tbPNSt15iterator_traitsISE_E10value_typeEPNSK_ISF_E10value_typeEPSG_NS1_7vsmem_tEENKUlT_SE_SF_SG_E_clIS8_S8_S9_S9_EESD_ST_SE_SF_SG_EUlST_E0_NS1_11comp_targetILNS1_3genE9ELNS1_11target_archE1100ELNS1_3gpuE3ELNS1_3repE0EEENS1_38merge_mergepath_config_static_selectorELNS0_4arch9wavefront6targetE1EEEvSF_
                                        ; -- End function
	.section	.AMDGPU.csdata,"",@progbits
; Kernel info:
; codeLenInByte = 0
; NumSgprs: 4
; NumVgprs: 0
; NumAgprs: 0
; TotalNumVgprs: 0
; ScratchSize: 0
; MemoryBound: 0
; FloatMode: 240
; IeeeMode: 1
; LDSByteSize: 0 bytes/workgroup (compile time only)
; SGPRBlocks: 0
; VGPRBlocks: 0
; NumSGPRsForWavesPerEU: 4
; NumVGPRsForWavesPerEU: 1
; AccumOffset: 4
; Occupancy: 8
; WaveLimiterHint : 0
; COMPUTE_PGM_RSRC2:SCRATCH_EN: 0
; COMPUTE_PGM_RSRC2:USER_SGPR: 6
; COMPUTE_PGM_RSRC2:TRAP_HANDLER: 0
; COMPUTE_PGM_RSRC2:TGID_X_EN: 1
; COMPUTE_PGM_RSRC2:TGID_Y_EN: 0
; COMPUTE_PGM_RSRC2:TGID_Z_EN: 0
; COMPUTE_PGM_RSRC2:TIDIG_COMP_CNT: 0
; COMPUTE_PGM_RSRC3_GFX90A:ACCUM_OFFSET: 0
; COMPUTE_PGM_RSRC3_GFX90A:TG_SPLIT: 0
	.section	.text._ZN7rocprim17ROCPRIM_400000_NS6detail17trampoline_kernelINS0_14default_configENS1_38merge_sort_block_merge_config_selectorIdNS0_10empty_typeEEEZZNS1_27merge_sort_block_merge_implIS3_PdPS5_jNS1_19radix_merge_compareILb1ELb0EdNS0_19identity_decomposerEEEEE10hipError_tT0_T1_T2_jT3_P12ihipStream_tbPNSt15iterator_traitsISE_E10value_typeEPNSK_ISF_E10value_typeEPSG_NS1_7vsmem_tEENKUlT_SE_SF_SG_E_clIS8_S8_S9_S9_EESD_ST_SE_SF_SG_EUlST_E0_NS1_11comp_targetILNS1_3genE8ELNS1_11target_archE1030ELNS1_3gpuE2ELNS1_3repE0EEENS1_38merge_mergepath_config_static_selectorELNS0_4arch9wavefront6targetE1EEEvSF_,"axG",@progbits,_ZN7rocprim17ROCPRIM_400000_NS6detail17trampoline_kernelINS0_14default_configENS1_38merge_sort_block_merge_config_selectorIdNS0_10empty_typeEEEZZNS1_27merge_sort_block_merge_implIS3_PdPS5_jNS1_19radix_merge_compareILb1ELb0EdNS0_19identity_decomposerEEEEE10hipError_tT0_T1_T2_jT3_P12ihipStream_tbPNSt15iterator_traitsISE_E10value_typeEPNSK_ISF_E10value_typeEPSG_NS1_7vsmem_tEENKUlT_SE_SF_SG_E_clIS8_S8_S9_S9_EESD_ST_SE_SF_SG_EUlST_E0_NS1_11comp_targetILNS1_3genE8ELNS1_11target_archE1030ELNS1_3gpuE2ELNS1_3repE0EEENS1_38merge_mergepath_config_static_selectorELNS0_4arch9wavefront6targetE1EEEvSF_,comdat
	.protected	_ZN7rocprim17ROCPRIM_400000_NS6detail17trampoline_kernelINS0_14default_configENS1_38merge_sort_block_merge_config_selectorIdNS0_10empty_typeEEEZZNS1_27merge_sort_block_merge_implIS3_PdPS5_jNS1_19radix_merge_compareILb1ELb0EdNS0_19identity_decomposerEEEEE10hipError_tT0_T1_T2_jT3_P12ihipStream_tbPNSt15iterator_traitsISE_E10value_typeEPNSK_ISF_E10value_typeEPSG_NS1_7vsmem_tEENKUlT_SE_SF_SG_E_clIS8_S8_S9_S9_EESD_ST_SE_SF_SG_EUlST_E0_NS1_11comp_targetILNS1_3genE8ELNS1_11target_archE1030ELNS1_3gpuE2ELNS1_3repE0EEENS1_38merge_mergepath_config_static_selectorELNS0_4arch9wavefront6targetE1EEEvSF_ ; -- Begin function _ZN7rocprim17ROCPRIM_400000_NS6detail17trampoline_kernelINS0_14default_configENS1_38merge_sort_block_merge_config_selectorIdNS0_10empty_typeEEEZZNS1_27merge_sort_block_merge_implIS3_PdPS5_jNS1_19radix_merge_compareILb1ELb0EdNS0_19identity_decomposerEEEEE10hipError_tT0_T1_T2_jT3_P12ihipStream_tbPNSt15iterator_traitsISE_E10value_typeEPNSK_ISF_E10value_typeEPSG_NS1_7vsmem_tEENKUlT_SE_SF_SG_E_clIS8_S8_S9_S9_EESD_ST_SE_SF_SG_EUlST_E0_NS1_11comp_targetILNS1_3genE8ELNS1_11target_archE1030ELNS1_3gpuE2ELNS1_3repE0EEENS1_38merge_mergepath_config_static_selectorELNS0_4arch9wavefront6targetE1EEEvSF_
	.globl	_ZN7rocprim17ROCPRIM_400000_NS6detail17trampoline_kernelINS0_14default_configENS1_38merge_sort_block_merge_config_selectorIdNS0_10empty_typeEEEZZNS1_27merge_sort_block_merge_implIS3_PdPS5_jNS1_19radix_merge_compareILb1ELb0EdNS0_19identity_decomposerEEEEE10hipError_tT0_T1_T2_jT3_P12ihipStream_tbPNSt15iterator_traitsISE_E10value_typeEPNSK_ISF_E10value_typeEPSG_NS1_7vsmem_tEENKUlT_SE_SF_SG_E_clIS8_S8_S9_S9_EESD_ST_SE_SF_SG_EUlST_E0_NS1_11comp_targetILNS1_3genE8ELNS1_11target_archE1030ELNS1_3gpuE2ELNS1_3repE0EEENS1_38merge_mergepath_config_static_selectorELNS0_4arch9wavefront6targetE1EEEvSF_
	.p2align	8
	.type	_ZN7rocprim17ROCPRIM_400000_NS6detail17trampoline_kernelINS0_14default_configENS1_38merge_sort_block_merge_config_selectorIdNS0_10empty_typeEEEZZNS1_27merge_sort_block_merge_implIS3_PdPS5_jNS1_19radix_merge_compareILb1ELb0EdNS0_19identity_decomposerEEEEE10hipError_tT0_T1_T2_jT3_P12ihipStream_tbPNSt15iterator_traitsISE_E10value_typeEPNSK_ISF_E10value_typeEPSG_NS1_7vsmem_tEENKUlT_SE_SF_SG_E_clIS8_S8_S9_S9_EESD_ST_SE_SF_SG_EUlST_E0_NS1_11comp_targetILNS1_3genE8ELNS1_11target_archE1030ELNS1_3gpuE2ELNS1_3repE0EEENS1_38merge_mergepath_config_static_selectorELNS0_4arch9wavefront6targetE1EEEvSF_,@function
_ZN7rocprim17ROCPRIM_400000_NS6detail17trampoline_kernelINS0_14default_configENS1_38merge_sort_block_merge_config_selectorIdNS0_10empty_typeEEEZZNS1_27merge_sort_block_merge_implIS3_PdPS5_jNS1_19radix_merge_compareILb1ELb0EdNS0_19identity_decomposerEEEEE10hipError_tT0_T1_T2_jT3_P12ihipStream_tbPNSt15iterator_traitsISE_E10value_typeEPNSK_ISF_E10value_typeEPSG_NS1_7vsmem_tEENKUlT_SE_SF_SG_E_clIS8_S8_S9_S9_EESD_ST_SE_SF_SG_EUlST_E0_NS1_11comp_targetILNS1_3genE8ELNS1_11target_archE1030ELNS1_3gpuE2ELNS1_3repE0EEENS1_38merge_mergepath_config_static_selectorELNS0_4arch9wavefront6targetE1EEEvSF_: ; @_ZN7rocprim17ROCPRIM_400000_NS6detail17trampoline_kernelINS0_14default_configENS1_38merge_sort_block_merge_config_selectorIdNS0_10empty_typeEEEZZNS1_27merge_sort_block_merge_implIS3_PdPS5_jNS1_19radix_merge_compareILb1ELb0EdNS0_19identity_decomposerEEEEE10hipError_tT0_T1_T2_jT3_P12ihipStream_tbPNSt15iterator_traitsISE_E10value_typeEPNSK_ISF_E10value_typeEPSG_NS1_7vsmem_tEENKUlT_SE_SF_SG_E_clIS8_S8_S9_S9_EESD_ST_SE_SF_SG_EUlST_E0_NS1_11comp_targetILNS1_3genE8ELNS1_11target_archE1030ELNS1_3gpuE2ELNS1_3repE0EEENS1_38merge_mergepath_config_static_selectorELNS0_4arch9wavefront6targetE1EEEvSF_
; %bb.0:
	.section	.rodata,"a",@progbits
	.p2align	6, 0x0
	.amdhsa_kernel _ZN7rocprim17ROCPRIM_400000_NS6detail17trampoline_kernelINS0_14default_configENS1_38merge_sort_block_merge_config_selectorIdNS0_10empty_typeEEEZZNS1_27merge_sort_block_merge_implIS3_PdPS5_jNS1_19radix_merge_compareILb1ELb0EdNS0_19identity_decomposerEEEEE10hipError_tT0_T1_T2_jT3_P12ihipStream_tbPNSt15iterator_traitsISE_E10value_typeEPNSK_ISF_E10value_typeEPSG_NS1_7vsmem_tEENKUlT_SE_SF_SG_E_clIS8_S8_S9_S9_EESD_ST_SE_SF_SG_EUlST_E0_NS1_11comp_targetILNS1_3genE8ELNS1_11target_archE1030ELNS1_3gpuE2ELNS1_3repE0EEENS1_38merge_mergepath_config_static_selectorELNS0_4arch9wavefront6targetE1EEEvSF_
		.amdhsa_group_segment_fixed_size 0
		.amdhsa_private_segment_fixed_size 0
		.amdhsa_kernarg_size 64
		.amdhsa_user_sgpr_count 6
		.amdhsa_user_sgpr_private_segment_buffer 1
		.amdhsa_user_sgpr_dispatch_ptr 0
		.amdhsa_user_sgpr_queue_ptr 0
		.amdhsa_user_sgpr_kernarg_segment_ptr 1
		.amdhsa_user_sgpr_dispatch_id 0
		.amdhsa_user_sgpr_flat_scratch_init 0
		.amdhsa_user_sgpr_kernarg_preload_length 0
		.amdhsa_user_sgpr_kernarg_preload_offset 0
		.amdhsa_user_sgpr_private_segment_size 0
		.amdhsa_uses_dynamic_stack 0
		.amdhsa_system_sgpr_private_segment_wavefront_offset 0
		.amdhsa_system_sgpr_workgroup_id_x 1
		.amdhsa_system_sgpr_workgroup_id_y 0
		.amdhsa_system_sgpr_workgroup_id_z 0
		.amdhsa_system_sgpr_workgroup_info 0
		.amdhsa_system_vgpr_workitem_id 0
		.amdhsa_next_free_vgpr 1
		.amdhsa_next_free_sgpr 0
		.amdhsa_accum_offset 4
		.amdhsa_reserve_vcc 0
		.amdhsa_reserve_flat_scratch 0
		.amdhsa_float_round_mode_32 0
		.amdhsa_float_round_mode_16_64 0
		.amdhsa_float_denorm_mode_32 3
		.amdhsa_float_denorm_mode_16_64 3
		.amdhsa_dx10_clamp 1
		.amdhsa_ieee_mode 1
		.amdhsa_fp16_overflow 0
		.amdhsa_tg_split 0
		.amdhsa_exception_fp_ieee_invalid_op 0
		.amdhsa_exception_fp_denorm_src 0
		.amdhsa_exception_fp_ieee_div_zero 0
		.amdhsa_exception_fp_ieee_overflow 0
		.amdhsa_exception_fp_ieee_underflow 0
		.amdhsa_exception_fp_ieee_inexact 0
		.amdhsa_exception_int_div_zero 0
	.end_amdhsa_kernel
	.section	.text._ZN7rocprim17ROCPRIM_400000_NS6detail17trampoline_kernelINS0_14default_configENS1_38merge_sort_block_merge_config_selectorIdNS0_10empty_typeEEEZZNS1_27merge_sort_block_merge_implIS3_PdPS5_jNS1_19radix_merge_compareILb1ELb0EdNS0_19identity_decomposerEEEEE10hipError_tT0_T1_T2_jT3_P12ihipStream_tbPNSt15iterator_traitsISE_E10value_typeEPNSK_ISF_E10value_typeEPSG_NS1_7vsmem_tEENKUlT_SE_SF_SG_E_clIS8_S8_S9_S9_EESD_ST_SE_SF_SG_EUlST_E0_NS1_11comp_targetILNS1_3genE8ELNS1_11target_archE1030ELNS1_3gpuE2ELNS1_3repE0EEENS1_38merge_mergepath_config_static_selectorELNS0_4arch9wavefront6targetE1EEEvSF_,"axG",@progbits,_ZN7rocprim17ROCPRIM_400000_NS6detail17trampoline_kernelINS0_14default_configENS1_38merge_sort_block_merge_config_selectorIdNS0_10empty_typeEEEZZNS1_27merge_sort_block_merge_implIS3_PdPS5_jNS1_19radix_merge_compareILb1ELb0EdNS0_19identity_decomposerEEEEE10hipError_tT0_T1_T2_jT3_P12ihipStream_tbPNSt15iterator_traitsISE_E10value_typeEPNSK_ISF_E10value_typeEPSG_NS1_7vsmem_tEENKUlT_SE_SF_SG_E_clIS8_S8_S9_S9_EESD_ST_SE_SF_SG_EUlST_E0_NS1_11comp_targetILNS1_3genE8ELNS1_11target_archE1030ELNS1_3gpuE2ELNS1_3repE0EEENS1_38merge_mergepath_config_static_selectorELNS0_4arch9wavefront6targetE1EEEvSF_,comdat
.Lfunc_end2588:
	.size	_ZN7rocprim17ROCPRIM_400000_NS6detail17trampoline_kernelINS0_14default_configENS1_38merge_sort_block_merge_config_selectorIdNS0_10empty_typeEEEZZNS1_27merge_sort_block_merge_implIS3_PdPS5_jNS1_19radix_merge_compareILb1ELb0EdNS0_19identity_decomposerEEEEE10hipError_tT0_T1_T2_jT3_P12ihipStream_tbPNSt15iterator_traitsISE_E10value_typeEPNSK_ISF_E10value_typeEPSG_NS1_7vsmem_tEENKUlT_SE_SF_SG_E_clIS8_S8_S9_S9_EESD_ST_SE_SF_SG_EUlST_E0_NS1_11comp_targetILNS1_3genE8ELNS1_11target_archE1030ELNS1_3gpuE2ELNS1_3repE0EEENS1_38merge_mergepath_config_static_selectorELNS0_4arch9wavefront6targetE1EEEvSF_, .Lfunc_end2588-_ZN7rocprim17ROCPRIM_400000_NS6detail17trampoline_kernelINS0_14default_configENS1_38merge_sort_block_merge_config_selectorIdNS0_10empty_typeEEEZZNS1_27merge_sort_block_merge_implIS3_PdPS5_jNS1_19radix_merge_compareILb1ELb0EdNS0_19identity_decomposerEEEEE10hipError_tT0_T1_T2_jT3_P12ihipStream_tbPNSt15iterator_traitsISE_E10value_typeEPNSK_ISF_E10value_typeEPSG_NS1_7vsmem_tEENKUlT_SE_SF_SG_E_clIS8_S8_S9_S9_EESD_ST_SE_SF_SG_EUlST_E0_NS1_11comp_targetILNS1_3genE8ELNS1_11target_archE1030ELNS1_3gpuE2ELNS1_3repE0EEENS1_38merge_mergepath_config_static_selectorELNS0_4arch9wavefront6targetE1EEEvSF_
                                        ; -- End function
	.section	.AMDGPU.csdata,"",@progbits
; Kernel info:
; codeLenInByte = 0
; NumSgprs: 4
; NumVgprs: 0
; NumAgprs: 0
; TotalNumVgprs: 0
; ScratchSize: 0
; MemoryBound: 0
; FloatMode: 240
; IeeeMode: 1
; LDSByteSize: 0 bytes/workgroup (compile time only)
; SGPRBlocks: 0
; VGPRBlocks: 0
; NumSGPRsForWavesPerEU: 4
; NumVGPRsForWavesPerEU: 1
; AccumOffset: 4
; Occupancy: 8
; WaveLimiterHint : 0
; COMPUTE_PGM_RSRC2:SCRATCH_EN: 0
; COMPUTE_PGM_RSRC2:USER_SGPR: 6
; COMPUTE_PGM_RSRC2:TRAP_HANDLER: 0
; COMPUTE_PGM_RSRC2:TGID_X_EN: 1
; COMPUTE_PGM_RSRC2:TGID_Y_EN: 0
; COMPUTE_PGM_RSRC2:TGID_Z_EN: 0
; COMPUTE_PGM_RSRC2:TIDIG_COMP_CNT: 0
; COMPUTE_PGM_RSRC3_GFX90A:ACCUM_OFFSET: 0
; COMPUTE_PGM_RSRC3_GFX90A:TG_SPLIT: 0
	.section	.text._ZN7rocprim17ROCPRIM_400000_NS6detail17trampoline_kernelINS0_14default_configENS1_38merge_sort_block_merge_config_selectorIdNS0_10empty_typeEEEZZNS1_27merge_sort_block_merge_implIS3_PdPS5_jNS1_19radix_merge_compareILb1ELb0EdNS0_19identity_decomposerEEEEE10hipError_tT0_T1_T2_jT3_P12ihipStream_tbPNSt15iterator_traitsISE_E10value_typeEPNSK_ISF_E10value_typeEPSG_NS1_7vsmem_tEENKUlT_SE_SF_SG_E_clIS8_S8_S9_S9_EESD_ST_SE_SF_SG_EUlST_E1_NS1_11comp_targetILNS1_3genE0ELNS1_11target_archE4294967295ELNS1_3gpuE0ELNS1_3repE0EEENS1_36merge_oddeven_config_static_selectorELNS0_4arch9wavefront6targetE1EEEvSF_,"axG",@progbits,_ZN7rocprim17ROCPRIM_400000_NS6detail17trampoline_kernelINS0_14default_configENS1_38merge_sort_block_merge_config_selectorIdNS0_10empty_typeEEEZZNS1_27merge_sort_block_merge_implIS3_PdPS5_jNS1_19radix_merge_compareILb1ELb0EdNS0_19identity_decomposerEEEEE10hipError_tT0_T1_T2_jT3_P12ihipStream_tbPNSt15iterator_traitsISE_E10value_typeEPNSK_ISF_E10value_typeEPSG_NS1_7vsmem_tEENKUlT_SE_SF_SG_E_clIS8_S8_S9_S9_EESD_ST_SE_SF_SG_EUlST_E1_NS1_11comp_targetILNS1_3genE0ELNS1_11target_archE4294967295ELNS1_3gpuE0ELNS1_3repE0EEENS1_36merge_oddeven_config_static_selectorELNS0_4arch9wavefront6targetE1EEEvSF_,comdat
	.protected	_ZN7rocprim17ROCPRIM_400000_NS6detail17trampoline_kernelINS0_14default_configENS1_38merge_sort_block_merge_config_selectorIdNS0_10empty_typeEEEZZNS1_27merge_sort_block_merge_implIS3_PdPS5_jNS1_19radix_merge_compareILb1ELb0EdNS0_19identity_decomposerEEEEE10hipError_tT0_T1_T2_jT3_P12ihipStream_tbPNSt15iterator_traitsISE_E10value_typeEPNSK_ISF_E10value_typeEPSG_NS1_7vsmem_tEENKUlT_SE_SF_SG_E_clIS8_S8_S9_S9_EESD_ST_SE_SF_SG_EUlST_E1_NS1_11comp_targetILNS1_3genE0ELNS1_11target_archE4294967295ELNS1_3gpuE0ELNS1_3repE0EEENS1_36merge_oddeven_config_static_selectorELNS0_4arch9wavefront6targetE1EEEvSF_ ; -- Begin function _ZN7rocprim17ROCPRIM_400000_NS6detail17trampoline_kernelINS0_14default_configENS1_38merge_sort_block_merge_config_selectorIdNS0_10empty_typeEEEZZNS1_27merge_sort_block_merge_implIS3_PdPS5_jNS1_19radix_merge_compareILb1ELb0EdNS0_19identity_decomposerEEEEE10hipError_tT0_T1_T2_jT3_P12ihipStream_tbPNSt15iterator_traitsISE_E10value_typeEPNSK_ISF_E10value_typeEPSG_NS1_7vsmem_tEENKUlT_SE_SF_SG_E_clIS8_S8_S9_S9_EESD_ST_SE_SF_SG_EUlST_E1_NS1_11comp_targetILNS1_3genE0ELNS1_11target_archE4294967295ELNS1_3gpuE0ELNS1_3repE0EEENS1_36merge_oddeven_config_static_selectorELNS0_4arch9wavefront6targetE1EEEvSF_
	.globl	_ZN7rocprim17ROCPRIM_400000_NS6detail17trampoline_kernelINS0_14default_configENS1_38merge_sort_block_merge_config_selectorIdNS0_10empty_typeEEEZZNS1_27merge_sort_block_merge_implIS3_PdPS5_jNS1_19radix_merge_compareILb1ELb0EdNS0_19identity_decomposerEEEEE10hipError_tT0_T1_T2_jT3_P12ihipStream_tbPNSt15iterator_traitsISE_E10value_typeEPNSK_ISF_E10value_typeEPSG_NS1_7vsmem_tEENKUlT_SE_SF_SG_E_clIS8_S8_S9_S9_EESD_ST_SE_SF_SG_EUlST_E1_NS1_11comp_targetILNS1_3genE0ELNS1_11target_archE4294967295ELNS1_3gpuE0ELNS1_3repE0EEENS1_36merge_oddeven_config_static_selectorELNS0_4arch9wavefront6targetE1EEEvSF_
	.p2align	8
	.type	_ZN7rocprim17ROCPRIM_400000_NS6detail17trampoline_kernelINS0_14default_configENS1_38merge_sort_block_merge_config_selectorIdNS0_10empty_typeEEEZZNS1_27merge_sort_block_merge_implIS3_PdPS5_jNS1_19radix_merge_compareILb1ELb0EdNS0_19identity_decomposerEEEEE10hipError_tT0_T1_T2_jT3_P12ihipStream_tbPNSt15iterator_traitsISE_E10value_typeEPNSK_ISF_E10value_typeEPSG_NS1_7vsmem_tEENKUlT_SE_SF_SG_E_clIS8_S8_S9_S9_EESD_ST_SE_SF_SG_EUlST_E1_NS1_11comp_targetILNS1_3genE0ELNS1_11target_archE4294967295ELNS1_3gpuE0ELNS1_3repE0EEENS1_36merge_oddeven_config_static_selectorELNS0_4arch9wavefront6targetE1EEEvSF_,@function
_ZN7rocprim17ROCPRIM_400000_NS6detail17trampoline_kernelINS0_14default_configENS1_38merge_sort_block_merge_config_selectorIdNS0_10empty_typeEEEZZNS1_27merge_sort_block_merge_implIS3_PdPS5_jNS1_19radix_merge_compareILb1ELb0EdNS0_19identity_decomposerEEEEE10hipError_tT0_T1_T2_jT3_P12ihipStream_tbPNSt15iterator_traitsISE_E10value_typeEPNSK_ISF_E10value_typeEPSG_NS1_7vsmem_tEENKUlT_SE_SF_SG_E_clIS8_S8_S9_S9_EESD_ST_SE_SF_SG_EUlST_E1_NS1_11comp_targetILNS1_3genE0ELNS1_11target_archE4294967295ELNS1_3gpuE0ELNS1_3repE0EEENS1_36merge_oddeven_config_static_selectorELNS0_4arch9wavefront6targetE1EEEvSF_: ; @_ZN7rocprim17ROCPRIM_400000_NS6detail17trampoline_kernelINS0_14default_configENS1_38merge_sort_block_merge_config_selectorIdNS0_10empty_typeEEEZZNS1_27merge_sort_block_merge_implIS3_PdPS5_jNS1_19radix_merge_compareILb1ELb0EdNS0_19identity_decomposerEEEEE10hipError_tT0_T1_T2_jT3_P12ihipStream_tbPNSt15iterator_traitsISE_E10value_typeEPNSK_ISF_E10value_typeEPSG_NS1_7vsmem_tEENKUlT_SE_SF_SG_E_clIS8_S8_S9_S9_EESD_ST_SE_SF_SG_EUlST_E1_NS1_11comp_targetILNS1_3genE0ELNS1_11target_archE4294967295ELNS1_3gpuE0ELNS1_3repE0EEENS1_36merge_oddeven_config_static_selectorELNS0_4arch9wavefront6targetE1EEEvSF_
; %bb.0:
	.section	.rodata,"a",@progbits
	.p2align	6, 0x0
	.amdhsa_kernel _ZN7rocprim17ROCPRIM_400000_NS6detail17trampoline_kernelINS0_14default_configENS1_38merge_sort_block_merge_config_selectorIdNS0_10empty_typeEEEZZNS1_27merge_sort_block_merge_implIS3_PdPS5_jNS1_19radix_merge_compareILb1ELb0EdNS0_19identity_decomposerEEEEE10hipError_tT0_T1_T2_jT3_P12ihipStream_tbPNSt15iterator_traitsISE_E10value_typeEPNSK_ISF_E10value_typeEPSG_NS1_7vsmem_tEENKUlT_SE_SF_SG_E_clIS8_S8_S9_S9_EESD_ST_SE_SF_SG_EUlST_E1_NS1_11comp_targetILNS1_3genE0ELNS1_11target_archE4294967295ELNS1_3gpuE0ELNS1_3repE0EEENS1_36merge_oddeven_config_static_selectorELNS0_4arch9wavefront6targetE1EEEvSF_
		.amdhsa_group_segment_fixed_size 0
		.amdhsa_private_segment_fixed_size 0
		.amdhsa_kernarg_size 48
		.amdhsa_user_sgpr_count 6
		.amdhsa_user_sgpr_private_segment_buffer 1
		.amdhsa_user_sgpr_dispatch_ptr 0
		.amdhsa_user_sgpr_queue_ptr 0
		.amdhsa_user_sgpr_kernarg_segment_ptr 1
		.amdhsa_user_sgpr_dispatch_id 0
		.amdhsa_user_sgpr_flat_scratch_init 0
		.amdhsa_user_sgpr_kernarg_preload_length 0
		.amdhsa_user_sgpr_kernarg_preload_offset 0
		.amdhsa_user_sgpr_private_segment_size 0
		.amdhsa_uses_dynamic_stack 0
		.amdhsa_system_sgpr_private_segment_wavefront_offset 0
		.amdhsa_system_sgpr_workgroup_id_x 1
		.amdhsa_system_sgpr_workgroup_id_y 0
		.amdhsa_system_sgpr_workgroup_id_z 0
		.amdhsa_system_sgpr_workgroup_info 0
		.amdhsa_system_vgpr_workitem_id 0
		.amdhsa_next_free_vgpr 1
		.amdhsa_next_free_sgpr 0
		.amdhsa_accum_offset 4
		.amdhsa_reserve_vcc 0
		.amdhsa_reserve_flat_scratch 0
		.amdhsa_float_round_mode_32 0
		.amdhsa_float_round_mode_16_64 0
		.amdhsa_float_denorm_mode_32 3
		.amdhsa_float_denorm_mode_16_64 3
		.amdhsa_dx10_clamp 1
		.amdhsa_ieee_mode 1
		.amdhsa_fp16_overflow 0
		.amdhsa_tg_split 0
		.amdhsa_exception_fp_ieee_invalid_op 0
		.amdhsa_exception_fp_denorm_src 0
		.amdhsa_exception_fp_ieee_div_zero 0
		.amdhsa_exception_fp_ieee_overflow 0
		.amdhsa_exception_fp_ieee_underflow 0
		.amdhsa_exception_fp_ieee_inexact 0
		.amdhsa_exception_int_div_zero 0
	.end_amdhsa_kernel
	.section	.text._ZN7rocprim17ROCPRIM_400000_NS6detail17trampoline_kernelINS0_14default_configENS1_38merge_sort_block_merge_config_selectorIdNS0_10empty_typeEEEZZNS1_27merge_sort_block_merge_implIS3_PdPS5_jNS1_19radix_merge_compareILb1ELb0EdNS0_19identity_decomposerEEEEE10hipError_tT0_T1_T2_jT3_P12ihipStream_tbPNSt15iterator_traitsISE_E10value_typeEPNSK_ISF_E10value_typeEPSG_NS1_7vsmem_tEENKUlT_SE_SF_SG_E_clIS8_S8_S9_S9_EESD_ST_SE_SF_SG_EUlST_E1_NS1_11comp_targetILNS1_3genE0ELNS1_11target_archE4294967295ELNS1_3gpuE0ELNS1_3repE0EEENS1_36merge_oddeven_config_static_selectorELNS0_4arch9wavefront6targetE1EEEvSF_,"axG",@progbits,_ZN7rocprim17ROCPRIM_400000_NS6detail17trampoline_kernelINS0_14default_configENS1_38merge_sort_block_merge_config_selectorIdNS0_10empty_typeEEEZZNS1_27merge_sort_block_merge_implIS3_PdPS5_jNS1_19radix_merge_compareILb1ELb0EdNS0_19identity_decomposerEEEEE10hipError_tT0_T1_T2_jT3_P12ihipStream_tbPNSt15iterator_traitsISE_E10value_typeEPNSK_ISF_E10value_typeEPSG_NS1_7vsmem_tEENKUlT_SE_SF_SG_E_clIS8_S8_S9_S9_EESD_ST_SE_SF_SG_EUlST_E1_NS1_11comp_targetILNS1_3genE0ELNS1_11target_archE4294967295ELNS1_3gpuE0ELNS1_3repE0EEENS1_36merge_oddeven_config_static_selectorELNS0_4arch9wavefront6targetE1EEEvSF_,comdat
.Lfunc_end2589:
	.size	_ZN7rocprim17ROCPRIM_400000_NS6detail17trampoline_kernelINS0_14default_configENS1_38merge_sort_block_merge_config_selectorIdNS0_10empty_typeEEEZZNS1_27merge_sort_block_merge_implIS3_PdPS5_jNS1_19radix_merge_compareILb1ELb0EdNS0_19identity_decomposerEEEEE10hipError_tT0_T1_T2_jT3_P12ihipStream_tbPNSt15iterator_traitsISE_E10value_typeEPNSK_ISF_E10value_typeEPSG_NS1_7vsmem_tEENKUlT_SE_SF_SG_E_clIS8_S8_S9_S9_EESD_ST_SE_SF_SG_EUlST_E1_NS1_11comp_targetILNS1_3genE0ELNS1_11target_archE4294967295ELNS1_3gpuE0ELNS1_3repE0EEENS1_36merge_oddeven_config_static_selectorELNS0_4arch9wavefront6targetE1EEEvSF_, .Lfunc_end2589-_ZN7rocprim17ROCPRIM_400000_NS6detail17trampoline_kernelINS0_14default_configENS1_38merge_sort_block_merge_config_selectorIdNS0_10empty_typeEEEZZNS1_27merge_sort_block_merge_implIS3_PdPS5_jNS1_19radix_merge_compareILb1ELb0EdNS0_19identity_decomposerEEEEE10hipError_tT0_T1_T2_jT3_P12ihipStream_tbPNSt15iterator_traitsISE_E10value_typeEPNSK_ISF_E10value_typeEPSG_NS1_7vsmem_tEENKUlT_SE_SF_SG_E_clIS8_S8_S9_S9_EESD_ST_SE_SF_SG_EUlST_E1_NS1_11comp_targetILNS1_3genE0ELNS1_11target_archE4294967295ELNS1_3gpuE0ELNS1_3repE0EEENS1_36merge_oddeven_config_static_selectorELNS0_4arch9wavefront6targetE1EEEvSF_
                                        ; -- End function
	.section	.AMDGPU.csdata,"",@progbits
; Kernel info:
; codeLenInByte = 0
; NumSgprs: 4
; NumVgprs: 0
; NumAgprs: 0
; TotalNumVgprs: 0
; ScratchSize: 0
; MemoryBound: 0
; FloatMode: 240
; IeeeMode: 1
; LDSByteSize: 0 bytes/workgroup (compile time only)
; SGPRBlocks: 0
; VGPRBlocks: 0
; NumSGPRsForWavesPerEU: 4
; NumVGPRsForWavesPerEU: 1
; AccumOffset: 4
; Occupancy: 8
; WaveLimiterHint : 0
; COMPUTE_PGM_RSRC2:SCRATCH_EN: 0
; COMPUTE_PGM_RSRC2:USER_SGPR: 6
; COMPUTE_PGM_RSRC2:TRAP_HANDLER: 0
; COMPUTE_PGM_RSRC2:TGID_X_EN: 1
; COMPUTE_PGM_RSRC2:TGID_Y_EN: 0
; COMPUTE_PGM_RSRC2:TGID_Z_EN: 0
; COMPUTE_PGM_RSRC2:TIDIG_COMP_CNT: 0
; COMPUTE_PGM_RSRC3_GFX90A:ACCUM_OFFSET: 0
; COMPUTE_PGM_RSRC3_GFX90A:TG_SPLIT: 0
	.section	.text._ZN7rocprim17ROCPRIM_400000_NS6detail17trampoline_kernelINS0_14default_configENS1_38merge_sort_block_merge_config_selectorIdNS0_10empty_typeEEEZZNS1_27merge_sort_block_merge_implIS3_PdPS5_jNS1_19radix_merge_compareILb1ELb0EdNS0_19identity_decomposerEEEEE10hipError_tT0_T1_T2_jT3_P12ihipStream_tbPNSt15iterator_traitsISE_E10value_typeEPNSK_ISF_E10value_typeEPSG_NS1_7vsmem_tEENKUlT_SE_SF_SG_E_clIS8_S8_S9_S9_EESD_ST_SE_SF_SG_EUlST_E1_NS1_11comp_targetILNS1_3genE10ELNS1_11target_archE1201ELNS1_3gpuE5ELNS1_3repE0EEENS1_36merge_oddeven_config_static_selectorELNS0_4arch9wavefront6targetE1EEEvSF_,"axG",@progbits,_ZN7rocprim17ROCPRIM_400000_NS6detail17trampoline_kernelINS0_14default_configENS1_38merge_sort_block_merge_config_selectorIdNS0_10empty_typeEEEZZNS1_27merge_sort_block_merge_implIS3_PdPS5_jNS1_19radix_merge_compareILb1ELb0EdNS0_19identity_decomposerEEEEE10hipError_tT0_T1_T2_jT3_P12ihipStream_tbPNSt15iterator_traitsISE_E10value_typeEPNSK_ISF_E10value_typeEPSG_NS1_7vsmem_tEENKUlT_SE_SF_SG_E_clIS8_S8_S9_S9_EESD_ST_SE_SF_SG_EUlST_E1_NS1_11comp_targetILNS1_3genE10ELNS1_11target_archE1201ELNS1_3gpuE5ELNS1_3repE0EEENS1_36merge_oddeven_config_static_selectorELNS0_4arch9wavefront6targetE1EEEvSF_,comdat
	.protected	_ZN7rocprim17ROCPRIM_400000_NS6detail17trampoline_kernelINS0_14default_configENS1_38merge_sort_block_merge_config_selectorIdNS0_10empty_typeEEEZZNS1_27merge_sort_block_merge_implIS3_PdPS5_jNS1_19radix_merge_compareILb1ELb0EdNS0_19identity_decomposerEEEEE10hipError_tT0_T1_T2_jT3_P12ihipStream_tbPNSt15iterator_traitsISE_E10value_typeEPNSK_ISF_E10value_typeEPSG_NS1_7vsmem_tEENKUlT_SE_SF_SG_E_clIS8_S8_S9_S9_EESD_ST_SE_SF_SG_EUlST_E1_NS1_11comp_targetILNS1_3genE10ELNS1_11target_archE1201ELNS1_3gpuE5ELNS1_3repE0EEENS1_36merge_oddeven_config_static_selectorELNS0_4arch9wavefront6targetE1EEEvSF_ ; -- Begin function _ZN7rocprim17ROCPRIM_400000_NS6detail17trampoline_kernelINS0_14default_configENS1_38merge_sort_block_merge_config_selectorIdNS0_10empty_typeEEEZZNS1_27merge_sort_block_merge_implIS3_PdPS5_jNS1_19radix_merge_compareILb1ELb0EdNS0_19identity_decomposerEEEEE10hipError_tT0_T1_T2_jT3_P12ihipStream_tbPNSt15iterator_traitsISE_E10value_typeEPNSK_ISF_E10value_typeEPSG_NS1_7vsmem_tEENKUlT_SE_SF_SG_E_clIS8_S8_S9_S9_EESD_ST_SE_SF_SG_EUlST_E1_NS1_11comp_targetILNS1_3genE10ELNS1_11target_archE1201ELNS1_3gpuE5ELNS1_3repE0EEENS1_36merge_oddeven_config_static_selectorELNS0_4arch9wavefront6targetE1EEEvSF_
	.globl	_ZN7rocprim17ROCPRIM_400000_NS6detail17trampoline_kernelINS0_14default_configENS1_38merge_sort_block_merge_config_selectorIdNS0_10empty_typeEEEZZNS1_27merge_sort_block_merge_implIS3_PdPS5_jNS1_19radix_merge_compareILb1ELb0EdNS0_19identity_decomposerEEEEE10hipError_tT0_T1_T2_jT3_P12ihipStream_tbPNSt15iterator_traitsISE_E10value_typeEPNSK_ISF_E10value_typeEPSG_NS1_7vsmem_tEENKUlT_SE_SF_SG_E_clIS8_S8_S9_S9_EESD_ST_SE_SF_SG_EUlST_E1_NS1_11comp_targetILNS1_3genE10ELNS1_11target_archE1201ELNS1_3gpuE5ELNS1_3repE0EEENS1_36merge_oddeven_config_static_selectorELNS0_4arch9wavefront6targetE1EEEvSF_
	.p2align	8
	.type	_ZN7rocprim17ROCPRIM_400000_NS6detail17trampoline_kernelINS0_14default_configENS1_38merge_sort_block_merge_config_selectorIdNS0_10empty_typeEEEZZNS1_27merge_sort_block_merge_implIS3_PdPS5_jNS1_19radix_merge_compareILb1ELb0EdNS0_19identity_decomposerEEEEE10hipError_tT0_T1_T2_jT3_P12ihipStream_tbPNSt15iterator_traitsISE_E10value_typeEPNSK_ISF_E10value_typeEPSG_NS1_7vsmem_tEENKUlT_SE_SF_SG_E_clIS8_S8_S9_S9_EESD_ST_SE_SF_SG_EUlST_E1_NS1_11comp_targetILNS1_3genE10ELNS1_11target_archE1201ELNS1_3gpuE5ELNS1_3repE0EEENS1_36merge_oddeven_config_static_selectorELNS0_4arch9wavefront6targetE1EEEvSF_,@function
_ZN7rocprim17ROCPRIM_400000_NS6detail17trampoline_kernelINS0_14default_configENS1_38merge_sort_block_merge_config_selectorIdNS0_10empty_typeEEEZZNS1_27merge_sort_block_merge_implIS3_PdPS5_jNS1_19radix_merge_compareILb1ELb0EdNS0_19identity_decomposerEEEEE10hipError_tT0_T1_T2_jT3_P12ihipStream_tbPNSt15iterator_traitsISE_E10value_typeEPNSK_ISF_E10value_typeEPSG_NS1_7vsmem_tEENKUlT_SE_SF_SG_E_clIS8_S8_S9_S9_EESD_ST_SE_SF_SG_EUlST_E1_NS1_11comp_targetILNS1_3genE10ELNS1_11target_archE1201ELNS1_3gpuE5ELNS1_3repE0EEENS1_36merge_oddeven_config_static_selectorELNS0_4arch9wavefront6targetE1EEEvSF_: ; @_ZN7rocprim17ROCPRIM_400000_NS6detail17trampoline_kernelINS0_14default_configENS1_38merge_sort_block_merge_config_selectorIdNS0_10empty_typeEEEZZNS1_27merge_sort_block_merge_implIS3_PdPS5_jNS1_19radix_merge_compareILb1ELb0EdNS0_19identity_decomposerEEEEE10hipError_tT0_T1_T2_jT3_P12ihipStream_tbPNSt15iterator_traitsISE_E10value_typeEPNSK_ISF_E10value_typeEPSG_NS1_7vsmem_tEENKUlT_SE_SF_SG_E_clIS8_S8_S9_S9_EESD_ST_SE_SF_SG_EUlST_E1_NS1_11comp_targetILNS1_3genE10ELNS1_11target_archE1201ELNS1_3gpuE5ELNS1_3repE0EEENS1_36merge_oddeven_config_static_selectorELNS0_4arch9wavefront6targetE1EEEvSF_
; %bb.0:
	.section	.rodata,"a",@progbits
	.p2align	6, 0x0
	.amdhsa_kernel _ZN7rocprim17ROCPRIM_400000_NS6detail17trampoline_kernelINS0_14default_configENS1_38merge_sort_block_merge_config_selectorIdNS0_10empty_typeEEEZZNS1_27merge_sort_block_merge_implIS3_PdPS5_jNS1_19radix_merge_compareILb1ELb0EdNS0_19identity_decomposerEEEEE10hipError_tT0_T1_T2_jT3_P12ihipStream_tbPNSt15iterator_traitsISE_E10value_typeEPNSK_ISF_E10value_typeEPSG_NS1_7vsmem_tEENKUlT_SE_SF_SG_E_clIS8_S8_S9_S9_EESD_ST_SE_SF_SG_EUlST_E1_NS1_11comp_targetILNS1_3genE10ELNS1_11target_archE1201ELNS1_3gpuE5ELNS1_3repE0EEENS1_36merge_oddeven_config_static_selectorELNS0_4arch9wavefront6targetE1EEEvSF_
		.amdhsa_group_segment_fixed_size 0
		.amdhsa_private_segment_fixed_size 0
		.amdhsa_kernarg_size 48
		.amdhsa_user_sgpr_count 6
		.amdhsa_user_sgpr_private_segment_buffer 1
		.amdhsa_user_sgpr_dispatch_ptr 0
		.amdhsa_user_sgpr_queue_ptr 0
		.amdhsa_user_sgpr_kernarg_segment_ptr 1
		.amdhsa_user_sgpr_dispatch_id 0
		.amdhsa_user_sgpr_flat_scratch_init 0
		.amdhsa_user_sgpr_kernarg_preload_length 0
		.amdhsa_user_sgpr_kernarg_preload_offset 0
		.amdhsa_user_sgpr_private_segment_size 0
		.amdhsa_uses_dynamic_stack 0
		.amdhsa_system_sgpr_private_segment_wavefront_offset 0
		.amdhsa_system_sgpr_workgroup_id_x 1
		.amdhsa_system_sgpr_workgroup_id_y 0
		.amdhsa_system_sgpr_workgroup_id_z 0
		.amdhsa_system_sgpr_workgroup_info 0
		.amdhsa_system_vgpr_workitem_id 0
		.amdhsa_next_free_vgpr 1
		.amdhsa_next_free_sgpr 0
		.amdhsa_accum_offset 4
		.amdhsa_reserve_vcc 0
		.amdhsa_reserve_flat_scratch 0
		.amdhsa_float_round_mode_32 0
		.amdhsa_float_round_mode_16_64 0
		.amdhsa_float_denorm_mode_32 3
		.amdhsa_float_denorm_mode_16_64 3
		.amdhsa_dx10_clamp 1
		.amdhsa_ieee_mode 1
		.amdhsa_fp16_overflow 0
		.amdhsa_tg_split 0
		.amdhsa_exception_fp_ieee_invalid_op 0
		.amdhsa_exception_fp_denorm_src 0
		.amdhsa_exception_fp_ieee_div_zero 0
		.amdhsa_exception_fp_ieee_overflow 0
		.amdhsa_exception_fp_ieee_underflow 0
		.amdhsa_exception_fp_ieee_inexact 0
		.amdhsa_exception_int_div_zero 0
	.end_amdhsa_kernel
	.section	.text._ZN7rocprim17ROCPRIM_400000_NS6detail17trampoline_kernelINS0_14default_configENS1_38merge_sort_block_merge_config_selectorIdNS0_10empty_typeEEEZZNS1_27merge_sort_block_merge_implIS3_PdPS5_jNS1_19radix_merge_compareILb1ELb0EdNS0_19identity_decomposerEEEEE10hipError_tT0_T1_T2_jT3_P12ihipStream_tbPNSt15iterator_traitsISE_E10value_typeEPNSK_ISF_E10value_typeEPSG_NS1_7vsmem_tEENKUlT_SE_SF_SG_E_clIS8_S8_S9_S9_EESD_ST_SE_SF_SG_EUlST_E1_NS1_11comp_targetILNS1_3genE10ELNS1_11target_archE1201ELNS1_3gpuE5ELNS1_3repE0EEENS1_36merge_oddeven_config_static_selectorELNS0_4arch9wavefront6targetE1EEEvSF_,"axG",@progbits,_ZN7rocprim17ROCPRIM_400000_NS6detail17trampoline_kernelINS0_14default_configENS1_38merge_sort_block_merge_config_selectorIdNS0_10empty_typeEEEZZNS1_27merge_sort_block_merge_implIS3_PdPS5_jNS1_19radix_merge_compareILb1ELb0EdNS0_19identity_decomposerEEEEE10hipError_tT0_T1_T2_jT3_P12ihipStream_tbPNSt15iterator_traitsISE_E10value_typeEPNSK_ISF_E10value_typeEPSG_NS1_7vsmem_tEENKUlT_SE_SF_SG_E_clIS8_S8_S9_S9_EESD_ST_SE_SF_SG_EUlST_E1_NS1_11comp_targetILNS1_3genE10ELNS1_11target_archE1201ELNS1_3gpuE5ELNS1_3repE0EEENS1_36merge_oddeven_config_static_selectorELNS0_4arch9wavefront6targetE1EEEvSF_,comdat
.Lfunc_end2590:
	.size	_ZN7rocprim17ROCPRIM_400000_NS6detail17trampoline_kernelINS0_14default_configENS1_38merge_sort_block_merge_config_selectorIdNS0_10empty_typeEEEZZNS1_27merge_sort_block_merge_implIS3_PdPS5_jNS1_19radix_merge_compareILb1ELb0EdNS0_19identity_decomposerEEEEE10hipError_tT0_T1_T2_jT3_P12ihipStream_tbPNSt15iterator_traitsISE_E10value_typeEPNSK_ISF_E10value_typeEPSG_NS1_7vsmem_tEENKUlT_SE_SF_SG_E_clIS8_S8_S9_S9_EESD_ST_SE_SF_SG_EUlST_E1_NS1_11comp_targetILNS1_3genE10ELNS1_11target_archE1201ELNS1_3gpuE5ELNS1_3repE0EEENS1_36merge_oddeven_config_static_selectorELNS0_4arch9wavefront6targetE1EEEvSF_, .Lfunc_end2590-_ZN7rocprim17ROCPRIM_400000_NS6detail17trampoline_kernelINS0_14default_configENS1_38merge_sort_block_merge_config_selectorIdNS0_10empty_typeEEEZZNS1_27merge_sort_block_merge_implIS3_PdPS5_jNS1_19radix_merge_compareILb1ELb0EdNS0_19identity_decomposerEEEEE10hipError_tT0_T1_T2_jT3_P12ihipStream_tbPNSt15iterator_traitsISE_E10value_typeEPNSK_ISF_E10value_typeEPSG_NS1_7vsmem_tEENKUlT_SE_SF_SG_E_clIS8_S8_S9_S9_EESD_ST_SE_SF_SG_EUlST_E1_NS1_11comp_targetILNS1_3genE10ELNS1_11target_archE1201ELNS1_3gpuE5ELNS1_3repE0EEENS1_36merge_oddeven_config_static_selectorELNS0_4arch9wavefront6targetE1EEEvSF_
                                        ; -- End function
	.section	.AMDGPU.csdata,"",@progbits
; Kernel info:
; codeLenInByte = 0
; NumSgprs: 4
; NumVgprs: 0
; NumAgprs: 0
; TotalNumVgprs: 0
; ScratchSize: 0
; MemoryBound: 0
; FloatMode: 240
; IeeeMode: 1
; LDSByteSize: 0 bytes/workgroup (compile time only)
; SGPRBlocks: 0
; VGPRBlocks: 0
; NumSGPRsForWavesPerEU: 4
; NumVGPRsForWavesPerEU: 1
; AccumOffset: 4
; Occupancy: 8
; WaveLimiterHint : 0
; COMPUTE_PGM_RSRC2:SCRATCH_EN: 0
; COMPUTE_PGM_RSRC2:USER_SGPR: 6
; COMPUTE_PGM_RSRC2:TRAP_HANDLER: 0
; COMPUTE_PGM_RSRC2:TGID_X_EN: 1
; COMPUTE_PGM_RSRC2:TGID_Y_EN: 0
; COMPUTE_PGM_RSRC2:TGID_Z_EN: 0
; COMPUTE_PGM_RSRC2:TIDIG_COMP_CNT: 0
; COMPUTE_PGM_RSRC3_GFX90A:ACCUM_OFFSET: 0
; COMPUTE_PGM_RSRC3_GFX90A:TG_SPLIT: 0
	.section	.text._ZN7rocprim17ROCPRIM_400000_NS6detail17trampoline_kernelINS0_14default_configENS1_38merge_sort_block_merge_config_selectorIdNS0_10empty_typeEEEZZNS1_27merge_sort_block_merge_implIS3_PdPS5_jNS1_19radix_merge_compareILb1ELb0EdNS0_19identity_decomposerEEEEE10hipError_tT0_T1_T2_jT3_P12ihipStream_tbPNSt15iterator_traitsISE_E10value_typeEPNSK_ISF_E10value_typeEPSG_NS1_7vsmem_tEENKUlT_SE_SF_SG_E_clIS8_S8_S9_S9_EESD_ST_SE_SF_SG_EUlST_E1_NS1_11comp_targetILNS1_3genE5ELNS1_11target_archE942ELNS1_3gpuE9ELNS1_3repE0EEENS1_36merge_oddeven_config_static_selectorELNS0_4arch9wavefront6targetE1EEEvSF_,"axG",@progbits,_ZN7rocprim17ROCPRIM_400000_NS6detail17trampoline_kernelINS0_14default_configENS1_38merge_sort_block_merge_config_selectorIdNS0_10empty_typeEEEZZNS1_27merge_sort_block_merge_implIS3_PdPS5_jNS1_19radix_merge_compareILb1ELb0EdNS0_19identity_decomposerEEEEE10hipError_tT0_T1_T2_jT3_P12ihipStream_tbPNSt15iterator_traitsISE_E10value_typeEPNSK_ISF_E10value_typeEPSG_NS1_7vsmem_tEENKUlT_SE_SF_SG_E_clIS8_S8_S9_S9_EESD_ST_SE_SF_SG_EUlST_E1_NS1_11comp_targetILNS1_3genE5ELNS1_11target_archE942ELNS1_3gpuE9ELNS1_3repE0EEENS1_36merge_oddeven_config_static_selectorELNS0_4arch9wavefront6targetE1EEEvSF_,comdat
	.protected	_ZN7rocprim17ROCPRIM_400000_NS6detail17trampoline_kernelINS0_14default_configENS1_38merge_sort_block_merge_config_selectorIdNS0_10empty_typeEEEZZNS1_27merge_sort_block_merge_implIS3_PdPS5_jNS1_19radix_merge_compareILb1ELb0EdNS0_19identity_decomposerEEEEE10hipError_tT0_T1_T2_jT3_P12ihipStream_tbPNSt15iterator_traitsISE_E10value_typeEPNSK_ISF_E10value_typeEPSG_NS1_7vsmem_tEENKUlT_SE_SF_SG_E_clIS8_S8_S9_S9_EESD_ST_SE_SF_SG_EUlST_E1_NS1_11comp_targetILNS1_3genE5ELNS1_11target_archE942ELNS1_3gpuE9ELNS1_3repE0EEENS1_36merge_oddeven_config_static_selectorELNS0_4arch9wavefront6targetE1EEEvSF_ ; -- Begin function _ZN7rocprim17ROCPRIM_400000_NS6detail17trampoline_kernelINS0_14default_configENS1_38merge_sort_block_merge_config_selectorIdNS0_10empty_typeEEEZZNS1_27merge_sort_block_merge_implIS3_PdPS5_jNS1_19radix_merge_compareILb1ELb0EdNS0_19identity_decomposerEEEEE10hipError_tT0_T1_T2_jT3_P12ihipStream_tbPNSt15iterator_traitsISE_E10value_typeEPNSK_ISF_E10value_typeEPSG_NS1_7vsmem_tEENKUlT_SE_SF_SG_E_clIS8_S8_S9_S9_EESD_ST_SE_SF_SG_EUlST_E1_NS1_11comp_targetILNS1_3genE5ELNS1_11target_archE942ELNS1_3gpuE9ELNS1_3repE0EEENS1_36merge_oddeven_config_static_selectorELNS0_4arch9wavefront6targetE1EEEvSF_
	.globl	_ZN7rocprim17ROCPRIM_400000_NS6detail17trampoline_kernelINS0_14default_configENS1_38merge_sort_block_merge_config_selectorIdNS0_10empty_typeEEEZZNS1_27merge_sort_block_merge_implIS3_PdPS5_jNS1_19radix_merge_compareILb1ELb0EdNS0_19identity_decomposerEEEEE10hipError_tT0_T1_T2_jT3_P12ihipStream_tbPNSt15iterator_traitsISE_E10value_typeEPNSK_ISF_E10value_typeEPSG_NS1_7vsmem_tEENKUlT_SE_SF_SG_E_clIS8_S8_S9_S9_EESD_ST_SE_SF_SG_EUlST_E1_NS1_11comp_targetILNS1_3genE5ELNS1_11target_archE942ELNS1_3gpuE9ELNS1_3repE0EEENS1_36merge_oddeven_config_static_selectorELNS0_4arch9wavefront6targetE1EEEvSF_
	.p2align	8
	.type	_ZN7rocprim17ROCPRIM_400000_NS6detail17trampoline_kernelINS0_14default_configENS1_38merge_sort_block_merge_config_selectorIdNS0_10empty_typeEEEZZNS1_27merge_sort_block_merge_implIS3_PdPS5_jNS1_19radix_merge_compareILb1ELb0EdNS0_19identity_decomposerEEEEE10hipError_tT0_T1_T2_jT3_P12ihipStream_tbPNSt15iterator_traitsISE_E10value_typeEPNSK_ISF_E10value_typeEPSG_NS1_7vsmem_tEENKUlT_SE_SF_SG_E_clIS8_S8_S9_S9_EESD_ST_SE_SF_SG_EUlST_E1_NS1_11comp_targetILNS1_3genE5ELNS1_11target_archE942ELNS1_3gpuE9ELNS1_3repE0EEENS1_36merge_oddeven_config_static_selectorELNS0_4arch9wavefront6targetE1EEEvSF_,@function
_ZN7rocprim17ROCPRIM_400000_NS6detail17trampoline_kernelINS0_14default_configENS1_38merge_sort_block_merge_config_selectorIdNS0_10empty_typeEEEZZNS1_27merge_sort_block_merge_implIS3_PdPS5_jNS1_19radix_merge_compareILb1ELb0EdNS0_19identity_decomposerEEEEE10hipError_tT0_T1_T2_jT3_P12ihipStream_tbPNSt15iterator_traitsISE_E10value_typeEPNSK_ISF_E10value_typeEPSG_NS1_7vsmem_tEENKUlT_SE_SF_SG_E_clIS8_S8_S9_S9_EESD_ST_SE_SF_SG_EUlST_E1_NS1_11comp_targetILNS1_3genE5ELNS1_11target_archE942ELNS1_3gpuE9ELNS1_3repE0EEENS1_36merge_oddeven_config_static_selectorELNS0_4arch9wavefront6targetE1EEEvSF_: ; @_ZN7rocprim17ROCPRIM_400000_NS6detail17trampoline_kernelINS0_14default_configENS1_38merge_sort_block_merge_config_selectorIdNS0_10empty_typeEEEZZNS1_27merge_sort_block_merge_implIS3_PdPS5_jNS1_19radix_merge_compareILb1ELb0EdNS0_19identity_decomposerEEEEE10hipError_tT0_T1_T2_jT3_P12ihipStream_tbPNSt15iterator_traitsISE_E10value_typeEPNSK_ISF_E10value_typeEPSG_NS1_7vsmem_tEENKUlT_SE_SF_SG_E_clIS8_S8_S9_S9_EESD_ST_SE_SF_SG_EUlST_E1_NS1_11comp_targetILNS1_3genE5ELNS1_11target_archE942ELNS1_3gpuE9ELNS1_3repE0EEENS1_36merge_oddeven_config_static_selectorELNS0_4arch9wavefront6targetE1EEEvSF_
; %bb.0:
	.section	.rodata,"a",@progbits
	.p2align	6, 0x0
	.amdhsa_kernel _ZN7rocprim17ROCPRIM_400000_NS6detail17trampoline_kernelINS0_14default_configENS1_38merge_sort_block_merge_config_selectorIdNS0_10empty_typeEEEZZNS1_27merge_sort_block_merge_implIS3_PdPS5_jNS1_19radix_merge_compareILb1ELb0EdNS0_19identity_decomposerEEEEE10hipError_tT0_T1_T2_jT3_P12ihipStream_tbPNSt15iterator_traitsISE_E10value_typeEPNSK_ISF_E10value_typeEPSG_NS1_7vsmem_tEENKUlT_SE_SF_SG_E_clIS8_S8_S9_S9_EESD_ST_SE_SF_SG_EUlST_E1_NS1_11comp_targetILNS1_3genE5ELNS1_11target_archE942ELNS1_3gpuE9ELNS1_3repE0EEENS1_36merge_oddeven_config_static_selectorELNS0_4arch9wavefront6targetE1EEEvSF_
		.amdhsa_group_segment_fixed_size 0
		.amdhsa_private_segment_fixed_size 0
		.amdhsa_kernarg_size 48
		.amdhsa_user_sgpr_count 6
		.amdhsa_user_sgpr_private_segment_buffer 1
		.amdhsa_user_sgpr_dispatch_ptr 0
		.amdhsa_user_sgpr_queue_ptr 0
		.amdhsa_user_sgpr_kernarg_segment_ptr 1
		.amdhsa_user_sgpr_dispatch_id 0
		.amdhsa_user_sgpr_flat_scratch_init 0
		.amdhsa_user_sgpr_kernarg_preload_length 0
		.amdhsa_user_sgpr_kernarg_preload_offset 0
		.amdhsa_user_sgpr_private_segment_size 0
		.amdhsa_uses_dynamic_stack 0
		.amdhsa_system_sgpr_private_segment_wavefront_offset 0
		.amdhsa_system_sgpr_workgroup_id_x 1
		.amdhsa_system_sgpr_workgroup_id_y 0
		.amdhsa_system_sgpr_workgroup_id_z 0
		.amdhsa_system_sgpr_workgroup_info 0
		.amdhsa_system_vgpr_workitem_id 0
		.amdhsa_next_free_vgpr 1
		.amdhsa_next_free_sgpr 0
		.amdhsa_accum_offset 4
		.amdhsa_reserve_vcc 0
		.amdhsa_reserve_flat_scratch 0
		.amdhsa_float_round_mode_32 0
		.amdhsa_float_round_mode_16_64 0
		.amdhsa_float_denorm_mode_32 3
		.amdhsa_float_denorm_mode_16_64 3
		.amdhsa_dx10_clamp 1
		.amdhsa_ieee_mode 1
		.amdhsa_fp16_overflow 0
		.amdhsa_tg_split 0
		.amdhsa_exception_fp_ieee_invalid_op 0
		.amdhsa_exception_fp_denorm_src 0
		.amdhsa_exception_fp_ieee_div_zero 0
		.amdhsa_exception_fp_ieee_overflow 0
		.amdhsa_exception_fp_ieee_underflow 0
		.amdhsa_exception_fp_ieee_inexact 0
		.amdhsa_exception_int_div_zero 0
	.end_amdhsa_kernel
	.section	.text._ZN7rocprim17ROCPRIM_400000_NS6detail17trampoline_kernelINS0_14default_configENS1_38merge_sort_block_merge_config_selectorIdNS0_10empty_typeEEEZZNS1_27merge_sort_block_merge_implIS3_PdPS5_jNS1_19radix_merge_compareILb1ELb0EdNS0_19identity_decomposerEEEEE10hipError_tT0_T1_T2_jT3_P12ihipStream_tbPNSt15iterator_traitsISE_E10value_typeEPNSK_ISF_E10value_typeEPSG_NS1_7vsmem_tEENKUlT_SE_SF_SG_E_clIS8_S8_S9_S9_EESD_ST_SE_SF_SG_EUlST_E1_NS1_11comp_targetILNS1_3genE5ELNS1_11target_archE942ELNS1_3gpuE9ELNS1_3repE0EEENS1_36merge_oddeven_config_static_selectorELNS0_4arch9wavefront6targetE1EEEvSF_,"axG",@progbits,_ZN7rocprim17ROCPRIM_400000_NS6detail17trampoline_kernelINS0_14default_configENS1_38merge_sort_block_merge_config_selectorIdNS0_10empty_typeEEEZZNS1_27merge_sort_block_merge_implIS3_PdPS5_jNS1_19radix_merge_compareILb1ELb0EdNS0_19identity_decomposerEEEEE10hipError_tT0_T1_T2_jT3_P12ihipStream_tbPNSt15iterator_traitsISE_E10value_typeEPNSK_ISF_E10value_typeEPSG_NS1_7vsmem_tEENKUlT_SE_SF_SG_E_clIS8_S8_S9_S9_EESD_ST_SE_SF_SG_EUlST_E1_NS1_11comp_targetILNS1_3genE5ELNS1_11target_archE942ELNS1_3gpuE9ELNS1_3repE0EEENS1_36merge_oddeven_config_static_selectorELNS0_4arch9wavefront6targetE1EEEvSF_,comdat
.Lfunc_end2591:
	.size	_ZN7rocprim17ROCPRIM_400000_NS6detail17trampoline_kernelINS0_14default_configENS1_38merge_sort_block_merge_config_selectorIdNS0_10empty_typeEEEZZNS1_27merge_sort_block_merge_implIS3_PdPS5_jNS1_19radix_merge_compareILb1ELb0EdNS0_19identity_decomposerEEEEE10hipError_tT0_T1_T2_jT3_P12ihipStream_tbPNSt15iterator_traitsISE_E10value_typeEPNSK_ISF_E10value_typeEPSG_NS1_7vsmem_tEENKUlT_SE_SF_SG_E_clIS8_S8_S9_S9_EESD_ST_SE_SF_SG_EUlST_E1_NS1_11comp_targetILNS1_3genE5ELNS1_11target_archE942ELNS1_3gpuE9ELNS1_3repE0EEENS1_36merge_oddeven_config_static_selectorELNS0_4arch9wavefront6targetE1EEEvSF_, .Lfunc_end2591-_ZN7rocprim17ROCPRIM_400000_NS6detail17trampoline_kernelINS0_14default_configENS1_38merge_sort_block_merge_config_selectorIdNS0_10empty_typeEEEZZNS1_27merge_sort_block_merge_implIS3_PdPS5_jNS1_19radix_merge_compareILb1ELb0EdNS0_19identity_decomposerEEEEE10hipError_tT0_T1_T2_jT3_P12ihipStream_tbPNSt15iterator_traitsISE_E10value_typeEPNSK_ISF_E10value_typeEPSG_NS1_7vsmem_tEENKUlT_SE_SF_SG_E_clIS8_S8_S9_S9_EESD_ST_SE_SF_SG_EUlST_E1_NS1_11comp_targetILNS1_3genE5ELNS1_11target_archE942ELNS1_3gpuE9ELNS1_3repE0EEENS1_36merge_oddeven_config_static_selectorELNS0_4arch9wavefront6targetE1EEEvSF_
                                        ; -- End function
	.section	.AMDGPU.csdata,"",@progbits
; Kernel info:
; codeLenInByte = 0
; NumSgprs: 4
; NumVgprs: 0
; NumAgprs: 0
; TotalNumVgprs: 0
; ScratchSize: 0
; MemoryBound: 0
; FloatMode: 240
; IeeeMode: 1
; LDSByteSize: 0 bytes/workgroup (compile time only)
; SGPRBlocks: 0
; VGPRBlocks: 0
; NumSGPRsForWavesPerEU: 4
; NumVGPRsForWavesPerEU: 1
; AccumOffset: 4
; Occupancy: 8
; WaveLimiterHint : 0
; COMPUTE_PGM_RSRC2:SCRATCH_EN: 0
; COMPUTE_PGM_RSRC2:USER_SGPR: 6
; COMPUTE_PGM_RSRC2:TRAP_HANDLER: 0
; COMPUTE_PGM_RSRC2:TGID_X_EN: 1
; COMPUTE_PGM_RSRC2:TGID_Y_EN: 0
; COMPUTE_PGM_RSRC2:TGID_Z_EN: 0
; COMPUTE_PGM_RSRC2:TIDIG_COMP_CNT: 0
; COMPUTE_PGM_RSRC3_GFX90A:ACCUM_OFFSET: 0
; COMPUTE_PGM_RSRC3_GFX90A:TG_SPLIT: 0
	.section	.text._ZN7rocprim17ROCPRIM_400000_NS6detail17trampoline_kernelINS0_14default_configENS1_38merge_sort_block_merge_config_selectorIdNS0_10empty_typeEEEZZNS1_27merge_sort_block_merge_implIS3_PdPS5_jNS1_19radix_merge_compareILb1ELb0EdNS0_19identity_decomposerEEEEE10hipError_tT0_T1_T2_jT3_P12ihipStream_tbPNSt15iterator_traitsISE_E10value_typeEPNSK_ISF_E10value_typeEPSG_NS1_7vsmem_tEENKUlT_SE_SF_SG_E_clIS8_S8_S9_S9_EESD_ST_SE_SF_SG_EUlST_E1_NS1_11comp_targetILNS1_3genE4ELNS1_11target_archE910ELNS1_3gpuE8ELNS1_3repE0EEENS1_36merge_oddeven_config_static_selectorELNS0_4arch9wavefront6targetE1EEEvSF_,"axG",@progbits,_ZN7rocprim17ROCPRIM_400000_NS6detail17trampoline_kernelINS0_14default_configENS1_38merge_sort_block_merge_config_selectorIdNS0_10empty_typeEEEZZNS1_27merge_sort_block_merge_implIS3_PdPS5_jNS1_19radix_merge_compareILb1ELb0EdNS0_19identity_decomposerEEEEE10hipError_tT0_T1_T2_jT3_P12ihipStream_tbPNSt15iterator_traitsISE_E10value_typeEPNSK_ISF_E10value_typeEPSG_NS1_7vsmem_tEENKUlT_SE_SF_SG_E_clIS8_S8_S9_S9_EESD_ST_SE_SF_SG_EUlST_E1_NS1_11comp_targetILNS1_3genE4ELNS1_11target_archE910ELNS1_3gpuE8ELNS1_3repE0EEENS1_36merge_oddeven_config_static_selectorELNS0_4arch9wavefront6targetE1EEEvSF_,comdat
	.protected	_ZN7rocprim17ROCPRIM_400000_NS6detail17trampoline_kernelINS0_14default_configENS1_38merge_sort_block_merge_config_selectorIdNS0_10empty_typeEEEZZNS1_27merge_sort_block_merge_implIS3_PdPS5_jNS1_19radix_merge_compareILb1ELb0EdNS0_19identity_decomposerEEEEE10hipError_tT0_T1_T2_jT3_P12ihipStream_tbPNSt15iterator_traitsISE_E10value_typeEPNSK_ISF_E10value_typeEPSG_NS1_7vsmem_tEENKUlT_SE_SF_SG_E_clIS8_S8_S9_S9_EESD_ST_SE_SF_SG_EUlST_E1_NS1_11comp_targetILNS1_3genE4ELNS1_11target_archE910ELNS1_3gpuE8ELNS1_3repE0EEENS1_36merge_oddeven_config_static_selectorELNS0_4arch9wavefront6targetE1EEEvSF_ ; -- Begin function _ZN7rocprim17ROCPRIM_400000_NS6detail17trampoline_kernelINS0_14default_configENS1_38merge_sort_block_merge_config_selectorIdNS0_10empty_typeEEEZZNS1_27merge_sort_block_merge_implIS3_PdPS5_jNS1_19radix_merge_compareILb1ELb0EdNS0_19identity_decomposerEEEEE10hipError_tT0_T1_T2_jT3_P12ihipStream_tbPNSt15iterator_traitsISE_E10value_typeEPNSK_ISF_E10value_typeEPSG_NS1_7vsmem_tEENKUlT_SE_SF_SG_E_clIS8_S8_S9_S9_EESD_ST_SE_SF_SG_EUlST_E1_NS1_11comp_targetILNS1_3genE4ELNS1_11target_archE910ELNS1_3gpuE8ELNS1_3repE0EEENS1_36merge_oddeven_config_static_selectorELNS0_4arch9wavefront6targetE1EEEvSF_
	.globl	_ZN7rocprim17ROCPRIM_400000_NS6detail17trampoline_kernelINS0_14default_configENS1_38merge_sort_block_merge_config_selectorIdNS0_10empty_typeEEEZZNS1_27merge_sort_block_merge_implIS3_PdPS5_jNS1_19radix_merge_compareILb1ELb0EdNS0_19identity_decomposerEEEEE10hipError_tT0_T1_T2_jT3_P12ihipStream_tbPNSt15iterator_traitsISE_E10value_typeEPNSK_ISF_E10value_typeEPSG_NS1_7vsmem_tEENKUlT_SE_SF_SG_E_clIS8_S8_S9_S9_EESD_ST_SE_SF_SG_EUlST_E1_NS1_11comp_targetILNS1_3genE4ELNS1_11target_archE910ELNS1_3gpuE8ELNS1_3repE0EEENS1_36merge_oddeven_config_static_selectorELNS0_4arch9wavefront6targetE1EEEvSF_
	.p2align	8
	.type	_ZN7rocprim17ROCPRIM_400000_NS6detail17trampoline_kernelINS0_14default_configENS1_38merge_sort_block_merge_config_selectorIdNS0_10empty_typeEEEZZNS1_27merge_sort_block_merge_implIS3_PdPS5_jNS1_19radix_merge_compareILb1ELb0EdNS0_19identity_decomposerEEEEE10hipError_tT0_T1_T2_jT3_P12ihipStream_tbPNSt15iterator_traitsISE_E10value_typeEPNSK_ISF_E10value_typeEPSG_NS1_7vsmem_tEENKUlT_SE_SF_SG_E_clIS8_S8_S9_S9_EESD_ST_SE_SF_SG_EUlST_E1_NS1_11comp_targetILNS1_3genE4ELNS1_11target_archE910ELNS1_3gpuE8ELNS1_3repE0EEENS1_36merge_oddeven_config_static_selectorELNS0_4arch9wavefront6targetE1EEEvSF_,@function
_ZN7rocprim17ROCPRIM_400000_NS6detail17trampoline_kernelINS0_14default_configENS1_38merge_sort_block_merge_config_selectorIdNS0_10empty_typeEEEZZNS1_27merge_sort_block_merge_implIS3_PdPS5_jNS1_19radix_merge_compareILb1ELb0EdNS0_19identity_decomposerEEEEE10hipError_tT0_T1_T2_jT3_P12ihipStream_tbPNSt15iterator_traitsISE_E10value_typeEPNSK_ISF_E10value_typeEPSG_NS1_7vsmem_tEENKUlT_SE_SF_SG_E_clIS8_S8_S9_S9_EESD_ST_SE_SF_SG_EUlST_E1_NS1_11comp_targetILNS1_3genE4ELNS1_11target_archE910ELNS1_3gpuE8ELNS1_3repE0EEENS1_36merge_oddeven_config_static_selectorELNS0_4arch9wavefront6targetE1EEEvSF_: ; @_ZN7rocprim17ROCPRIM_400000_NS6detail17trampoline_kernelINS0_14default_configENS1_38merge_sort_block_merge_config_selectorIdNS0_10empty_typeEEEZZNS1_27merge_sort_block_merge_implIS3_PdPS5_jNS1_19radix_merge_compareILb1ELb0EdNS0_19identity_decomposerEEEEE10hipError_tT0_T1_T2_jT3_P12ihipStream_tbPNSt15iterator_traitsISE_E10value_typeEPNSK_ISF_E10value_typeEPSG_NS1_7vsmem_tEENKUlT_SE_SF_SG_E_clIS8_S8_S9_S9_EESD_ST_SE_SF_SG_EUlST_E1_NS1_11comp_targetILNS1_3genE4ELNS1_11target_archE910ELNS1_3gpuE8ELNS1_3repE0EEENS1_36merge_oddeven_config_static_selectorELNS0_4arch9wavefront6targetE1EEEvSF_
; %bb.0:
	s_load_dword s18, s[4:5], 0x20
	s_waitcnt lgkmcnt(0)
	s_lshr_b32 s0, s18, 8
	s_cmp_lg_u32 s6, s0
	s_cselect_b64 s[14:15], -1, 0
	s_cmp_eq_u32 s6, s0
	s_cselect_b64 s[12:13], -1, 0
	s_lshl_b32 s16, s6, 8
	s_sub_i32 s0, s18, s16
	v_cmp_gt_u32_e64 s[2:3], s0, v0
	s_or_b64 s[0:1], s[14:15], s[2:3]
	s_and_saveexec_b64 s[8:9], s[0:1]
	s_cbranch_execz .LBB2592_20
; %bb.1:
	s_load_dwordx4 s[8:11], s[4:5], 0x0
	s_load_dword s19, s[4:5], 0x24
	s_mov_b32 s17, 0
	s_lshl_b64 s[0:1], s[16:17], 3
	v_lshlrev_b32_e32 v1, 3, v0
	s_waitcnt lgkmcnt(0)
	s_add_u32 s0, s8, s0
	s_addc_u32 s1, s9, s1
	global_load_dwordx2 v[2:3], v1, s[0:1]
	s_lshr_b32 s0, s19, 8
	s_sub_i32 s1, 0, s0
	s_and_b32 s1, s6, s1
	s_and_b32 s0, s1, s0
	s_lshl_b32 s20, s1, 8
	s_sub_i32 s6, 0, s19
	s_cmp_eq_u32 s0, 0
	s_cselect_b64 s[0:1], -1, 0
	s_and_b64 s[4:5], s[0:1], exec
	s_cselect_b32 s17, s19, s6
	s_add_i32 s17, s17, s20
	s_cmp_lt_u32 s17, s18
	v_add_u32_e32 v0, s16, v0
	s_cbranch_scc1 .LBB2592_3
; %bb.2:
	v_cmp_gt_u32_e32 vcc, s18, v0
	s_or_b64 s[4:5], vcc, s[14:15]
	s_and_b64 s[4:5], s[4:5], exec
	s_cbranch_execz .LBB2592_4
	s_branch .LBB2592_18
.LBB2592_3:
	s_mov_b64 s[4:5], 0
.LBB2592_4:
	s_min_u32 s14, s17, s18
	s_add_i32 s6, s14, s19
	s_min_u32 s15, s6, s18
	s_min_u32 s6, s20, s14
	s_add_i32 s20, s20, s14
	v_subrev_u32_e32 v0, s20, v0
	v_add_u32_e32 v6, s6, v0
	s_and_b64 vcc, exec, s[12:13]
	s_cbranch_vccz .LBB2592_12
; %bb.5:
                                        ; implicit-def: $vgpr0
	s_and_saveexec_b64 s[6:7], s[2:3]
	s_cbranch_execz .LBB2592_11
; %bb.6:
	s_cmp_ge_u32 s17, s15
	v_mov_b32_e32 v7, s14
	s_cbranch_scc1 .LBB2592_10
; %bb.7:
	s_waitcnt vmcnt(0)
	v_add_f64 v[0:1], v[2:3], 0
	v_ashrrev_i32_e32 v4, 31, v1
	v_or_b32_e32 v5, 0x80000000, v4
	s_mov_b64 s[2:3], 0
	v_xor_b32_e32 v1, v5, v1
	v_xor_b32_e32 v0, v4, v0
	v_mov_b32_e32 v8, s15
	v_mov_b32_e32 v7, s14
	v_mov_b32_e32 v5, 0
	v_mov_b32_e32 v9, s9
.LBB2592_8:                             ; =>This Inner Loop Header: Depth=1
	v_add_u32_e32 v4, v7, v8
	v_lshrrev_b32_e32 v4, 1, v4
	v_lshlrev_b64 v[10:11], 3, v[4:5]
	v_add_co_u32_e32 v10, vcc, s8, v10
	v_addc_co_u32_e32 v11, vcc, v9, v11, vcc
	global_load_dwordx2 v[10:11], v[10:11], off
	v_add_u32_e32 v12, 1, v4
	s_waitcnt vmcnt(0)
	v_add_f64 v[10:11], v[10:11], 0
	v_ashrrev_i32_e32 v13, 31, v11
	v_or_b32_e32 v14, 0x80000000, v13
	v_xor_b32_e32 v10, v13, v10
	v_xor_b32_e32 v11, v14, v11
	v_cmp_gt_u64_e32 vcc, v[10:11], v[0:1]
	v_cndmask_b32_e64 v13, 0, 1, vcc
	v_cmp_le_u64_e32 vcc, v[0:1], v[10:11]
	v_cndmask_b32_e64 v10, 0, 1, vcc
	v_cndmask_b32_e64 v10, v10, v13, s[0:1]
	v_and_b32_e32 v10, 1, v10
	v_cmp_eq_u32_e32 vcc, 1, v10
	v_cndmask_b32_e32 v8, v4, v8, vcc
	v_cndmask_b32_e32 v7, v7, v12, vcc
	v_cmp_ge_u32_e32 vcc, v7, v8
	s_or_b64 s[2:3], vcc, s[2:3]
	s_andn2_b64 exec, exec, s[2:3]
	s_cbranch_execnz .LBB2592_8
; %bb.9:
	s_or_b64 exec, exec, s[2:3]
.LBB2592_10:
	v_add_u32_e32 v0, v7, v6
	s_or_b64 s[4:5], s[4:5], exec
.LBB2592_11:
	s_or_b64 exec, exec, s[6:7]
	s_branch .LBB2592_18
.LBB2592_12:
                                        ; implicit-def: $vgpr0
	s_cbranch_execz .LBB2592_18
; %bb.13:
	s_cmp_ge_u32 s17, s15
	v_mov_b32_e32 v7, s14
	s_cbranch_scc1 .LBB2592_17
; %bb.14:
	s_waitcnt vmcnt(0)
	v_add_f64 v[0:1], v[2:3], 0
	v_ashrrev_i32_e32 v4, 31, v1
	v_or_b32_e32 v5, 0x80000000, v4
	s_mov_b64 s[2:3], 0
	v_xor_b32_e32 v1, v5, v1
	v_xor_b32_e32 v0, v4, v0
	v_mov_b32_e32 v8, s15
	v_mov_b32_e32 v7, s14
	;; [unrolled: 1-line block ×4, first 2 shown]
.LBB2592_15:                            ; =>This Inner Loop Header: Depth=1
	v_add_u32_e32 v4, v7, v8
	v_lshrrev_b32_e32 v4, 1, v4
	v_lshlrev_b64 v[10:11], 3, v[4:5]
	v_add_co_u32_e32 v10, vcc, s8, v10
	v_addc_co_u32_e32 v11, vcc, v9, v11, vcc
	global_load_dwordx2 v[10:11], v[10:11], off
	v_add_u32_e32 v12, 1, v4
	s_waitcnt vmcnt(0)
	v_add_f64 v[10:11], v[10:11], 0
	v_ashrrev_i32_e32 v13, 31, v11
	v_or_b32_e32 v14, 0x80000000, v13
	v_xor_b32_e32 v10, v13, v10
	v_xor_b32_e32 v11, v14, v11
	v_cmp_gt_u64_e32 vcc, v[10:11], v[0:1]
	v_cndmask_b32_e64 v13, 0, 1, vcc
	v_cmp_le_u64_e32 vcc, v[0:1], v[10:11]
	v_cndmask_b32_e64 v10, 0, 1, vcc
	v_cndmask_b32_e64 v10, v10, v13, s[0:1]
	v_and_b32_e32 v10, 1, v10
	v_cmp_eq_u32_e32 vcc, 1, v10
	v_cndmask_b32_e32 v8, v4, v8, vcc
	v_cndmask_b32_e32 v7, v7, v12, vcc
	v_cmp_ge_u32_e32 vcc, v7, v8
	s_or_b64 s[2:3], vcc, s[2:3]
	s_andn2_b64 exec, exec, s[2:3]
	s_cbranch_execnz .LBB2592_15
; %bb.16:
	s_or_b64 exec, exec, s[2:3]
.LBB2592_17:
	v_add_u32_e32 v0, v7, v6
	s_mov_b64 s[4:5], -1
.LBB2592_18:
	s_and_b64 exec, exec, s[4:5]
	s_cbranch_execz .LBB2592_20
; %bb.19:
	v_mov_b32_e32 v1, 0
	v_lshlrev_b64 v[0:1], 3, v[0:1]
	v_mov_b32_e32 v4, s11
	v_add_co_u32_e32 v0, vcc, s10, v0
	v_addc_co_u32_e32 v1, vcc, v4, v1, vcc
	s_waitcnt vmcnt(0)
	global_store_dwordx2 v[0:1], v[2:3], off
.LBB2592_20:
	s_endpgm
	.section	.rodata,"a",@progbits
	.p2align	6, 0x0
	.amdhsa_kernel _ZN7rocprim17ROCPRIM_400000_NS6detail17trampoline_kernelINS0_14default_configENS1_38merge_sort_block_merge_config_selectorIdNS0_10empty_typeEEEZZNS1_27merge_sort_block_merge_implIS3_PdPS5_jNS1_19radix_merge_compareILb1ELb0EdNS0_19identity_decomposerEEEEE10hipError_tT0_T1_T2_jT3_P12ihipStream_tbPNSt15iterator_traitsISE_E10value_typeEPNSK_ISF_E10value_typeEPSG_NS1_7vsmem_tEENKUlT_SE_SF_SG_E_clIS8_S8_S9_S9_EESD_ST_SE_SF_SG_EUlST_E1_NS1_11comp_targetILNS1_3genE4ELNS1_11target_archE910ELNS1_3gpuE8ELNS1_3repE0EEENS1_36merge_oddeven_config_static_selectorELNS0_4arch9wavefront6targetE1EEEvSF_
		.amdhsa_group_segment_fixed_size 0
		.amdhsa_private_segment_fixed_size 0
		.amdhsa_kernarg_size 48
		.amdhsa_user_sgpr_count 6
		.amdhsa_user_sgpr_private_segment_buffer 1
		.amdhsa_user_sgpr_dispatch_ptr 0
		.amdhsa_user_sgpr_queue_ptr 0
		.amdhsa_user_sgpr_kernarg_segment_ptr 1
		.amdhsa_user_sgpr_dispatch_id 0
		.amdhsa_user_sgpr_flat_scratch_init 0
		.amdhsa_user_sgpr_kernarg_preload_length 0
		.amdhsa_user_sgpr_kernarg_preload_offset 0
		.amdhsa_user_sgpr_private_segment_size 0
		.amdhsa_uses_dynamic_stack 0
		.amdhsa_system_sgpr_private_segment_wavefront_offset 0
		.amdhsa_system_sgpr_workgroup_id_x 1
		.amdhsa_system_sgpr_workgroup_id_y 0
		.amdhsa_system_sgpr_workgroup_id_z 0
		.amdhsa_system_sgpr_workgroup_info 0
		.amdhsa_system_vgpr_workitem_id 0
		.amdhsa_next_free_vgpr 15
		.amdhsa_next_free_sgpr 21
		.amdhsa_accum_offset 16
		.amdhsa_reserve_vcc 1
		.amdhsa_reserve_flat_scratch 0
		.amdhsa_float_round_mode_32 0
		.amdhsa_float_round_mode_16_64 0
		.amdhsa_float_denorm_mode_32 3
		.amdhsa_float_denorm_mode_16_64 3
		.amdhsa_dx10_clamp 1
		.amdhsa_ieee_mode 1
		.amdhsa_fp16_overflow 0
		.amdhsa_tg_split 0
		.amdhsa_exception_fp_ieee_invalid_op 0
		.amdhsa_exception_fp_denorm_src 0
		.amdhsa_exception_fp_ieee_div_zero 0
		.amdhsa_exception_fp_ieee_overflow 0
		.amdhsa_exception_fp_ieee_underflow 0
		.amdhsa_exception_fp_ieee_inexact 0
		.amdhsa_exception_int_div_zero 0
	.end_amdhsa_kernel
	.section	.text._ZN7rocprim17ROCPRIM_400000_NS6detail17trampoline_kernelINS0_14default_configENS1_38merge_sort_block_merge_config_selectorIdNS0_10empty_typeEEEZZNS1_27merge_sort_block_merge_implIS3_PdPS5_jNS1_19radix_merge_compareILb1ELb0EdNS0_19identity_decomposerEEEEE10hipError_tT0_T1_T2_jT3_P12ihipStream_tbPNSt15iterator_traitsISE_E10value_typeEPNSK_ISF_E10value_typeEPSG_NS1_7vsmem_tEENKUlT_SE_SF_SG_E_clIS8_S8_S9_S9_EESD_ST_SE_SF_SG_EUlST_E1_NS1_11comp_targetILNS1_3genE4ELNS1_11target_archE910ELNS1_3gpuE8ELNS1_3repE0EEENS1_36merge_oddeven_config_static_selectorELNS0_4arch9wavefront6targetE1EEEvSF_,"axG",@progbits,_ZN7rocprim17ROCPRIM_400000_NS6detail17trampoline_kernelINS0_14default_configENS1_38merge_sort_block_merge_config_selectorIdNS0_10empty_typeEEEZZNS1_27merge_sort_block_merge_implIS3_PdPS5_jNS1_19radix_merge_compareILb1ELb0EdNS0_19identity_decomposerEEEEE10hipError_tT0_T1_T2_jT3_P12ihipStream_tbPNSt15iterator_traitsISE_E10value_typeEPNSK_ISF_E10value_typeEPSG_NS1_7vsmem_tEENKUlT_SE_SF_SG_E_clIS8_S8_S9_S9_EESD_ST_SE_SF_SG_EUlST_E1_NS1_11comp_targetILNS1_3genE4ELNS1_11target_archE910ELNS1_3gpuE8ELNS1_3repE0EEENS1_36merge_oddeven_config_static_selectorELNS0_4arch9wavefront6targetE1EEEvSF_,comdat
.Lfunc_end2592:
	.size	_ZN7rocprim17ROCPRIM_400000_NS6detail17trampoline_kernelINS0_14default_configENS1_38merge_sort_block_merge_config_selectorIdNS0_10empty_typeEEEZZNS1_27merge_sort_block_merge_implIS3_PdPS5_jNS1_19radix_merge_compareILb1ELb0EdNS0_19identity_decomposerEEEEE10hipError_tT0_T1_T2_jT3_P12ihipStream_tbPNSt15iterator_traitsISE_E10value_typeEPNSK_ISF_E10value_typeEPSG_NS1_7vsmem_tEENKUlT_SE_SF_SG_E_clIS8_S8_S9_S9_EESD_ST_SE_SF_SG_EUlST_E1_NS1_11comp_targetILNS1_3genE4ELNS1_11target_archE910ELNS1_3gpuE8ELNS1_3repE0EEENS1_36merge_oddeven_config_static_selectorELNS0_4arch9wavefront6targetE1EEEvSF_, .Lfunc_end2592-_ZN7rocprim17ROCPRIM_400000_NS6detail17trampoline_kernelINS0_14default_configENS1_38merge_sort_block_merge_config_selectorIdNS0_10empty_typeEEEZZNS1_27merge_sort_block_merge_implIS3_PdPS5_jNS1_19radix_merge_compareILb1ELb0EdNS0_19identity_decomposerEEEEE10hipError_tT0_T1_T2_jT3_P12ihipStream_tbPNSt15iterator_traitsISE_E10value_typeEPNSK_ISF_E10value_typeEPSG_NS1_7vsmem_tEENKUlT_SE_SF_SG_E_clIS8_S8_S9_S9_EESD_ST_SE_SF_SG_EUlST_E1_NS1_11comp_targetILNS1_3genE4ELNS1_11target_archE910ELNS1_3gpuE8ELNS1_3repE0EEENS1_36merge_oddeven_config_static_selectorELNS0_4arch9wavefront6targetE1EEEvSF_
                                        ; -- End function
	.section	.AMDGPU.csdata,"",@progbits
; Kernel info:
; codeLenInByte = 708
; NumSgprs: 25
; NumVgprs: 15
; NumAgprs: 0
; TotalNumVgprs: 15
; ScratchSize: 0
; MemoryBound: 0
; FloatMode: 240
; IeeeMode: 1
; LDSByteSize: 0 bytes/workgroup (compile time only)
; SGPRBlocks: 3
; VGPRBlocks: 1
; NumSGPRsForWavesPerEU: 25
; NumVGPRsForWavesPerEU: 15
; AccumOffset: 16
; Occupancy: 8
; WaveLimiterHint : 0
; COMPUTE_PGM_RSRC2:SCRATCH_EN: 0
; COMPUTE_PGM_RSRC2:USER_SGPR: 6
; COMPUTE_PGM_RSRC2:TRAP_HANDLER: 0
; COMPUTE_PGM_RSRC2:TGID_X_EN: 1
; COMPUTE_PGM_RSRC2:TGID_Y_EN: 0
; COMPUTE_PGM_RSRC2:TGID_Z_EN: 0
; COMPUTE_PGM_RSRC2:TIDIG_COMP_CNT: 0
; COMPUTE_PGM_RSRC3_GFX90A:ACCUM_OFFSET: 3
; COMPUTE_PGM_RSRC3_GFX90A:TG_SPLIT: 0
	.section	.text._ZN7rocprim17ROCPRIM_400000_NS6detail17trampoline_kernelINS0_14default_configENS1_38merge_sort_block_merge_config_selectorIdNS0_10empty_typeEEEZZNS1_27merge_sort_block_merge_implIS3_PdPS5_jNS1_19radix_merge_compareILb1ELb0EdNS0_19identity_decomposerEEEEE10hipError_tT0_T1_T2_jT3_P12ihipStream_tbPNSt15iterator_traitsISE_E10value_typeEPNSK_ISF_E10value_typeEPSG_NS1_7vsmem_tEENKUlT_SE_SF_SG_E_clIS8_S8_S9_S9_EESD_ST_SE_SF_SG_EUlST_E1_NS1_11comp_targetILNS1_3genE3ELNS1_11target_archE908ELNS1_3gpuE7ELNS1_3repE0EEENS1_36merge_oddeven_config_static_selectorELNS0_4arch9wavefront6targetE1EEEvSF_,"axG",@progbits,_ZN7rocprim17ROCPRIM_400000_NS6detail17trampoline_kernelINS0_14default_configENS1_38merge_sort_block_merge_config_selectorIdNS0_10empty_typeEEEZZNS1_27merge_sort_block_merge_implIS3_PdPS5_jNS1_19radix_merge_compareILb1ELb0EdNS0_19identity_decomposerEEEEE10hipError_tT0_T1_T2_jT3_P12ihipStream_tbPNSt15iterator_traitsISE_E10value_typeEPNSK_ISF_E10value_typeEPSG_NS1_7vsmem_tEENKUlT_SE_SF_SG_E_clIS8_S8_S9_S9_EESD_ST_SE_SF_SG_EUlST_E1_NS1_11comp_targetILNS1_3genE3ELNS1_11target_archE908ELNS1_3gpuE7ELNS1_3repE0EEENS1_36merge_oddeven_config_static_selectorELNS0_4arch9wavefront6targetE1EEEvSF_,comdat
	.protected	_ZN7rocprim17ROCPRIM_400000_NS6detail17trampoline_kernelINS0_14default_configENS1_38merge_sort_block_merge_config_selectorIdNS0_10empty_typeEEEZZNS1_27merge_sort_block_merge_implIS3_PdPS5_jNS1_19radix_merge_compareILb1ELb0EdNS0_19identity_decomposerEEEEE10hipError_tT0_T1_T2_jT3_P12ihipStream_tbPNSt15iterator_traitsISE_E10value_typeEPNSK_ISF_E10value_typeEPSG_NS1_7vsmem_tEENKUlT_SE_SF_SG_E_clIS8_S8_S9_S9_EESD_ST_SE_SF_SG_EUlST_E1_NS1_11comp_targetILNS1_3genE3ELNS1_11target_archE908ELNS1_3gpuE7ELNS1_3repE0EEENS1_36merge_oddeven_config_static_selectorELNS0_4arch9wavefront6targetE1EEEvSF_ ; -- Begin function _ZN7rocprim17ROCPRIM_400000_NS6detail17trampoline_kernelINS0_14default_configENS1_38merge_sort_block_merge_config_selectorIdNS0_10empty_typeEEEZZNS1_27merge_sort_block_merge_implIS3_PdPS5_jNS1_19radix_merge_compareILb1ELb0EdNS0_19identity_decomposerEEEEE10hipError_tT0_T1_T2_jT3_P12ihipStream_tbPNSt15iterator_traitsISE_E10value_typeEPNSK_ISF_E10value_typeEPSG_NS1_7vsmem_tEENKUlT_SE_SF_SG_E_clIS8_S8_S9_S9_EESD_ST_SE_SF_SG_EUlST_E1_NS1_11comp_targetILNS1_3genE3ELNS1_11target_archE908ELNS1_3gpuE7ELNS1_3repE0EEENS1_36merge_oddeven_config_static_selectorELNS0_4arch9wavefront6targetE1EEEvSF_
	.globl	_ZN7rocprim17ROCPRIM_400000_NS6detail17trampoline_kernelINS0_14default_configENS1_38merge_sort_block_merge_config_selectorIdNS0_10empty_typeEEEZZNS1_27merge_sort_block_merge_implIS3_PdPS5_jNS1_19radix_merge_compareILb1ELb0EdNS0_19identity_decomposerEEEEE10hipError_tT0_T1_T2_jT3_P12ihipStream_tbPNSt15iterator_traitsISE_E10value_typeEPNSK_ISF_E10value_typeEPSG_NS1_7vsmem_tEENKUlT_SE_SF_SG_E_clIS8_S8_S9_S9_EESD_ST_SE_SF_SG_EUlST_E1_NS1_11comp_targetILNS1_3genE3ELNS1_11target_archE908ELNS1_3gpuE7ELNS1_3repE0EEENS1_36merge_oddeven_config_static_selectorELNS0_4arch9wavefront6targetE1EEEvSF_
	.p2align	8
	.type	_ZN7rocprim17ROCPRIM_400000_NS6detail17trampoline_kernelINS0_14default_configENS1_38merge_sort_block_merge_config_selectorIdNS0_10empty_typeEEEZZNS1_27merge_sort_block_merge_implIS3_PdPS5_jNS1_19radix_merge_compareILb1ELb0EdNS0_19identity_decomposerEEEEE10hipError_tT0_T1_T2_jT3_P12ihipStream_tbPNSt15iterator_traitsISE_E10value_typeEPNSK_ISF_E10value_typeEPSG_NS1_7vsmem_tEENKUlT_SE_SF_SG_E_clIS8_S8_S9_S9_EESD_ST_SE_SF_SG_EUlST_E1_NS1_11comp_targetILNS1_3genE3ELNS1_11target_archE908ELNS1_3gpuE7ELNS1_3repE0EEENS1_36merge_oddeven_config_static_selectorELNS0_4arch9wavefront6targetE1EEEvSF_,@function
_ZN7rocprim17ROCPRIM_400000_NS6detail17trampoline_kernelINS0_14default_configENS1_38merge_sort_block_merge_config_selectorIdNS0_10empty_typeEEEZZNS1_27merge_sort_block_merge_implIS3_PdPS5_jNS1_19radix_merge_compareILb1ELb0EdNS0_19identity_decomposerEEEEE10hipError_tT0_T1_T2_jT3_P12ihipStream_tbPNSt15iterator_traitsISE_E10value_typeEPNSK_ISF_E10value_typeEPSG_NS1_7vsmem_tEENKUlT_SE_SF_SG_E_clIS8_S8_S9_S9_EESD_ST_SE_SF_SG_EUlST_E1_NS1_11comp_targetILNS1_3genE3ELNS1_11target_archE908ELNS1_3gpuE7ELNS1_3repE0EEENS1_36merge_oddeven_config_static_selectorELNS0_4arch9wavefront6targetE1EEEvSF_: ; @_ZN7rocprim17ROCPRIM_400000_NS6detail17trampoline_kernelINS0_14default_configENS1_38merge_sort_block_merge_config_selectorIdNS0_10empty_typeEEEZZNS1_27merge_sort_block_merge_implIS3_PdPS5_jNS1_19radix_merge_compareILb1ELb0EdNS0_19identity_decomposerEEEEE10hipError_tT0_T1_T2_jT3_P12ihipStream_tbPNSt15iterator_traitsISE_E10value_typeEPNSK_ISF_E10value_typeEPSG_NS1_7vsmem_tEENKUlT_SE_SF_SG_E_clIS8_S8_S9_S9_EESD_ST_SE_SF_SG_EUlST_E1_NS1_11comp_targetILNS1_3genE3ELNS1_11target_archE908ELNS1_3gpuE7ELNS1_3repE0EEENS1_36merge_oddeven_config_static_selectorELNS0_4arch9wavefront6targetE1EEEvSF_
; %bb.0:
	.section	.rodata,"a",@progbits
	.p2align	6, 0x0
	.amdhsa_kernel _ZN7rocprim17ROCPRIM_400000_NS6detail17trampoline_kernelINS0_14default_configENS1_38merge_sort_block_merge_config_selectorIdNS0_10empty_typeEEEZZNS1_27merge_sort_block_merge_implIS3_PdPS5_jNS1_19radix_merge_compareILb1ELb0EdNS0_19identity_decomposerEEEEE10hipError_tT0_T1_T2_jT3_P12ihipStream_tbPNSt15iterator_traitsISE_E10value_typeEPNSK_ISF_E10value_typeEPSG_NS1_7vsmem_tEENKUlT_SE_SF_SG_E_clIS8_S8_S9_S9_EESD_ST_SE_SF_SG_EUlST_E1_NS1_11comp_targetILNS1_3genE3ELNS1_11target_archE908ELNS1_3gpuE7ELNS1_3repE0EEENS1_36merge_oddeven_config_static_selectorELNS0_4arch9wavefront6targetE1EEEvSF_
		.amdhsa_group_segment_fixed_size 0
		.amdhsa_private_segment_fixed_size 0
		.amdhsa_kernarg_size 48
		.amdhsa_user_sgpr_count 6
		.amdhsa_user_sgpr_private_segment_buffer 1
		.amdhsa_user_sgpr_dispatch_ptr 0
		.amdhsa_user_sgpr_queue_ptr 0
		.amdhsa_user_sgpr_kernarg_segment_ptr 1
		.amdhsa_user_sgpr_dispatch_id 0
		.amdhsa_user_sgpr_flat_scratch_init 0
		.amdhsa_user_sgpr_kernarg_preload_length 0
		.amdhsa_user_sgpr_kernarg_preload_offset 0
		.amdhsa_user_sgpr_private_segment_size 0
		.amdhsa_uses_dynamic_stack 0
		.amdhsa_system_sgpr_private_segment_wavefront_offset 0
		.amdhsa_system_sgpr_workgroup_id_x 1
		.amdhsa_system_sgpr_workgroup_id_y 0
		.amdhsa_system_sgpr_workgroup_id_z 0
		.amdhsa_system_sgpr_workgroup_info 0
		.amdhsa_system_vgpr_workitem_id 0
		.amdhsa_next_free_vgpr 1
		.amdhsa_next_free_sgpr 0
		.amdhsa_accum_offset 4
		.amdhsa_reserve_vcc 0
		.amdhsa_reserve_flat_scratch 0
		.amdhsa_float_round_mode_32 0
		.amdhsa_float_round_mode_16_64 0
		.amdhsa_float_denorm_mode_32 3
		.amdhsa_float_denorm_mode_16_64 3
		.amdhsa_dx10_clamp 1
		.amdhsa_ieee_mode 1
		.amdhsa_fp16_overflow 0
		.amdhsa_tg_split 0
		.amdhsa_exception_fp_ieee_invalid_op 0
		.amdhsa_exception_fp_denorm_src 0
		.amdhsa_exception_fp_ieee_div_zero 0
		.amdhsa_exception_fp_ieee_overflow 0
		.amdhsa_exception_fp_ieee_underflow 0
		.amdhsa_exception_fp_ieee_inexact 0
		.amdhsa_exception_int_div_zero 0
	.end_amdhsa_kernel
	.section	.text._ZN7rocprim17ROCPRIM_400000_NS6detail17trampoline_kernelINS0_14default_configENS1_38merge_sort_block_merge_config_selectorIdNS0_10empty_typeEEEZZNS1_27merge_sort_block_merge_implIS3_PdPS5_jNS1_19radix_merge_compareILb1ELb0EdNS0_19identity_decomposerEEEEE10hipError_tT0_T1_T2_jT3_P12ihipStream_tbPNSt15iterator_traitsISE_E10value_typeEPNSK_ISF_E10value_typeEPSG_NS1_7vsmem_tEENKUlT_SE_SF_SG_E_clIS8_S8_S9_S9_EESD_ST_SE_SF_SG_EUlST_E1_NS1_11comp_targetILNS1_3genE3ELNS1_11target_archE908ELNS1_3gpuE7ELNS1_3repE0EEENS1_36merge_oddeven_config_static_selectorELNS0_4arch9wavefront6targetE1EEEvSF_,"axG",@progbits,_ZN7rocprim17ROCPRIM_400000_NS6detail17trampoline_kernelINS0_14default_configENS1_38merge_sort_block_merge_config_selectorIdNS0_10empty_typeEEEZZNS1_27merge_sort_block_merge_implIS3_PdPS5_jNS1_19radix_merge_compareILb1ELb0EdNS0_19identity_decomposerEEEEE10hipError_tT0_T1_T2_jT3_P12ihipStream_tbPNSt15iterator_traitsISE_E10value_typeEPNSK_ISF_E10value_typeEPSG_NS1_7vsmem_tEENKUlT_SE_SF_SG_E_clIS8_S8_S9_S9_EESD_ST_SE_SF_SG_EUlST_E1_NS1_11comp_targetILNS1_3genE3ELNS1_11target_archE908ELNS1_3gpuE7ELNS1_3repE0EEENS1_36merge_oddeven_config_static_selectorELNS0_4arch9wavefront6targetE1EEEvSF_,comdat
.Lfunc_end2593:
	.size	_ZN7rocprim17ROCPRIM_400000_NS6detail17trampoline_kernelINS0_14default_configENS1_38merge_sort_block_merge_config_selectorIdNS0_10empty_typeEEEZZNS1_27merge_sort_block_merge_implIS3_PdPS5_jNS1_19radix_merge_compareILb1ELb0EdNS0_19identity_decomposerEEEEE10hipError_tT0_T1_T2_jT3_P12ihipStream_tbPNSt15iterator_traitsISE_E10value_typeEPNSK_ISF_E10value_typeEPSG_NS1_7vsmem_tEENKUlT_SE_SF_SG_E_clIS8_S8_S9_S9_EESD_ST_SE_SF_SG_EUlST_E1_NS1_11comp_targetILNS1_3genE3ELNS1_11target_archE908ELNS1_3gpuE7ELNS1_3repE0EEENS1_36merge_oddeven_config_static_selectorELNS0_4arch9wavefront6targetE1EEEvSF_, .Lfunc_end2593-_ZN7rocprim17ROCPRIM_400000_NS6detail17trampoline_kernelINS0_14default_configENS1_38merge_sort_block_merge_config_selectorIdNS0_10empty_typeEEEZZNS1_27merge_sort_block_merge_implIS3_PdPS5_jNS1_19radix_merge_compareILb1ELb0EdNS0_19identity_decomposerEEEEE10hipError_tT0_T1_T2_jT3_P12ihipStream_tbPNSt15iterator_traitsISE_E10value_typeEPNSK_ISF_E10value_typeEPSG_NS1_7vsmem_tEENKUlT_SE_SF_SG_E_clIS8_S8_S9_S9_EESD_ST_SE_SF_SG_EUlST_E1_NS1_11comp_targetILNS1_3genE3ELNS1_11target_archE908ELNS1_3gpuE7ELNS1_3repE0EEENS1_36merge_oddeven_config_static_selectorELNS0_4arch9wavefront6targetE1EEEvSF_
                                        ; -- End function
	.section	.AMDGPU.csdata,"",@progbits
; Kernel info:
; codeLenInByte = 0
; NumSgprs: 4
; NumVgprs: 0
; NumAgprs: 0
; TotalNumVgprs: 0
; ScratchSize: 0
; MemoryBound: 0
; FloatMode: 240
; IeeeMode: 1
; LDSByteSize: 0 bytes/workgroup (compile time only)
; SGPRBlocks: 0
; VGPRBlocks: 0
; NumSGPRsForWavesPerEU: 4
; NumVGPRsForWavesPerEU: 1
; AccumOffset: 4
; Occupancy: 8
; WaveLimiterHint : 0
; COMPUTE_PGM_RSRC2:SCRATCH_EN: 0
; COMPUTE_PGM_RSRC2:USER_SGPR: 6
; COMPUTE_PGM_RSRC2:TRAP_HANDLER: 0
; COMPUTE_PGM_RSRC2:TGID_X_EN: 1
; COMPUTE_PGM_RSRC2:TGID_Y_EN: 0
; COMPUTE_PGM_RSRC2:TGID_Z_EN: 0
; COMPUTE_PGM_RSRC2:TIDIG_COMP_CNT: 0
; COMPUTE_PGM_RSRC3_GFX90A:ACCUM_OFFSET: 0
; COMPUTE_PGM_RSRC3_GFX90A:TG_SPLIT: 0
	.section	.text._ZN7rocprim17ROCPRIM_400000_NS6detail17trampoline_kernelINS0_14default_configENS1_38merge_sort_block_merge_config_selectorIdNS0_10empty_typeEEEZZNS1_27merge_sort_block_merge_implIS3_PdPS5_jNS1_19radix_merge_compareILb1ELb0EdNS0_19identity_decomposerEEEEE10hipError_tT0_T1_T2_jT3_P12ihipStream_tbPNSt15iterator_traitsISE_E10value_typeEPNSK_ISF_E10value_typeEPSG_NS1_7vsmem_tEENKUlT_SE_SF_SG_E_clIS8_S8_S9_S9_EESD_ST_SE_SF_SG_EUlST_E1_NS1_11comp_targetILNS1_3genE2ELNS1_11target_archE906ELNS1_3gpuE6ELNS1_3repE0EEENS1_36merge_oddeven_config_static_selectorELNS0_4arch9wavefront6targetE1EEEvSF_,"axG",@progbits,_ZN7rocprim17ROCPRIM_400000_NS6detail17trampoline_kernelINS0_14default_configENS1_38merge_sort_block_merge_config_selectorIdNS0_10empty_typeEEEZZNS1_27merge_sort_block_merge_implIS3_PdPS5_jNS1_19radix_merge_compareILb1ELb0EdNS0_19identity_decomposerEEEEE10hipError_tT0_T1_T2_jT3_P12ihipStream_tbPNSt15iterator_traitsISE_E10value_typeEPNSK_ISF_E10value_typeEPSG_NS1_7vsmem_tEENKUlT_SE_SF_SG_E_clIS8_S8_S9_S9_EESD_ST_SE_SF_SG_EUlST_E1_NS1_11comp_targetILNS1_3genE2ELNS1_11target_archE906ELNS1_3gpuE6ELNS1_3repE0EEENS1_36merge_oddeven_config_static_selectorELNS0_4arch9wavefront6targetE1EEEvSF_,comdat
	.protected	_ZN7rocprim17ROCPRIM_400000_NS6detail17trampoline_kernelINS0_14default_configENS1_38merge_sort_block_merge_config_selectorIdNS0_10empty_typeEEEZZNS1_27merge_sort_block_merge_implIS3_PdPS5_jNS1_19radix_merge_compareILb1ELb0EdNS0_19identity_decomposerEEEEE10hipError_tT0_T1_T2_jT3_P12ihipStream_tbPNSt15iterator_traitsISE_E10value_typeEPNSK_ISF_E10value_typeEPSG_NS1_7vsmem_tEENKUlT_SE_SF_SG_E_clIS8_S8_S9_S9_EESD_ST_SE_SF_SG_EUlST_E1_NS1_11comp_targetILNS1_3genE2ELNS1_11target_archE906ELNS1_3gpuE6ELNS1_3repE0EEENS1_36merge_oddeven_config_static_selectorELNS0_4arch9wavefront6targetE1EEEvSF_ ; -- Begin function _ZN7rocprim17ROCPRIM_400000_NS6detail17trampoline_kernelINS0_14default_configENS1_38merge_sort_block_merge_config_selectorIdNS0_10empty_typeEEEZZNS1_27merge_sort_block_merge_implIS3_PdPS5_jNS1_19radix_merge_compareILb1ELb0EdNS0_19identity_decomposerEEEEE10hipError_tT0_T1_T2_jT3_P12ihipStream_tbPNSt15iterator_traitsISE_E10value_typeEPNSK_ISF_E10value_typeEPSG_NS1_7vsmem_tEENKUlT_SE_SF_SG_E_clIS8_S8_S9_S9_EESD_ST_SE_SF_SG_EUlST_E1_NS1_11comp_targetILNS1_3genE2ELNS1_11target_archE906ELNS1_3gpuE6ELNS1_3repE0EEENS1_36merge_oddeven_config_static_selectorELNS0_4arch9wavefront6targetE1EEEvSF_
	.globl	_ZN7rocprim17ROCPRIM_400000_NS6detail17trampoline_kernelINS0_14default_configENS1_38merge_sort_block_merge_config_selectorIdNS0_10empty_typeEEEZZNS1_27merge_sort_block_merge_implIS3_PdPS5_jNS1_19radix_merge_compareILb1ELb0EdNS0_19identity_decomposerEEEEE10hipError_tT0_T1_T2_jT3_P12ihipStream_tbPNSt15iterator_traitsISE_E10value_typeEPNSK_ISF_E10value_typeEPSG_NS1_7vsmem_tEENKUlT_SE_SF_SG_E_clIS8_S8_S9_S9_EESD_ST_SE_SF_SG_EUlST_E1_NS1_11comp_targetILNS1_3genE2ELNS1_11target_archE906ELNS1_3gpuE6ELNS1_3repE0EEENS1_36merge_oddeven_config_static_selectorELNS0_4arch9wavefront6targetE1EEEvSF_
	.p2align	8
	.type	_ZN7rocprim17ROCPRIM_400000_NS6detail17trampoline_kernelINS0_14default_configENS1_38merge_sort_block_merge_config_selectorIdNS0_10empty_typeEEEZZNS1_27merge_sort_block_merge_implIS3_PdPS5_jNS1_19radix_merge_compareILb1ELb0EdNS0_19identity_decomposerEEEEE10hipError_tT0_T1_T2_jT3_P12ihipStream_tbPNSt15iterator_traitsISE_E10value_typeEPNSK_ISF_E10value_typeEPSG_NS1_7vsmem_tEENKUlT_SE_SF_SG_E_clIS8_S8_S9_S9_EESD_ST_SE_SF_SG_EUlST_E1_NS1_11comp_targetILNS1_3genE2ELNS1_11target_archE906ELNS1_3gpuE6ELNS1_3repE0EEENS1_36merge_oddeven_config_static_selectorELNS0_4arch9wavefront6targetE1EEEvSF_,@function
_ZN7rocprim17ROCPRIM_400000_NS6detail17trampoline_kernelINS0_14default_configENS1_38merge_sort_block_merge_config_selectorIdNS0_10empty_typeEEEZZNS1_27merge_sort_block_merge_implIS3_PdPS5_jNS1_19radix_merge_compareILb1ELb0EdNS0_19identity_decomposerEEEEE10hipError_tT0_T1_T2_jT3_P12ihipStream_tbPNSt15iterator_traitsISE_E10value_typeEPNSK_ISF_E10value_typeEPSG_NS1_7vsmem_tEENKUlT_SE_SF_SG_E_clIS8_S8_S9_S9_EESD_ST_SE_SF_SG_EUlST_E1_NS1_11comp_targetILNS1_3genE2ELNS1_11target_archE906ELNS1_3gpuE6ELNS1_3repE0EEENS1_36merge_oddeven_config_static_selectorELNS0_4arch9wavefront6targetE1EEEvSF_: ; @_ZN7rocprim17ROCPRIM_400000_NS6detail17trampoline_kernelINS0_14default_configENS1_38merge_sort_block_merge_config_selectorIdNS0_10empty_typeEEEZZNS1_27merge_sort_block_merge_implIS3_PdPS5_jNS1_19radix_merge_compareILb1ELb0EdNS0_19identity_decomposerEEEEE10hipError_tT0_T1_T2_jT3_P12ihipStream_tbPNSt15iterator_traitsISE_E10value_typeEPNSK_ISF_E10value_typeEPSG_NS1_7vsmem_tEENKUlT_SE_SF_SG_E_clIS8_S8_S9_S9_EESD_ST_SE_SF_SG_EUlST_E1_NS1_11comp_targetILNS1_3genE2ELNS1_11target_archE906ELNS1_3gpuE6ELNS1_3repE0EEENS1_36merge_oddeven_config_static_selectorELNS0_4arch9wavefront6targetE1EEEvSF_
; %bb.0:
	.section	.rodata,"a",@progbits
	.p2align	6, 0x0
	.amdhsa_kernel _ZN7rocprim17ROCPRIM_400000_NS6detail17trampoline_kernelINS0_14default_configENS1_38merge_sort_block_merge_config_selectorIdNS0_10empty_typeEEEZZNS1_27merge_sort_block_merge_implIS3_PdPS5_jNS1_19radix_merge_compareILb1ELb0EdNS0_19identity_decomposerEEEEE10hipError_tT0_T1_T2_jT3_P12ihipStream_tbPNSt15iterator_traitsISE_E10value_typeEPNSK_ISF_E10value_typeEPSG_NS1_7vsmem_tEENKUlT_SE_SF_SG_E_clIS8_S8_S9_S9_EESD_ST_SE_SF_SG_EUlST_E1_NS1_11comp_targetILNS1_3genE2ELNS1_11target_archE906ELNS1_3gpuE6ELNS1_3repE0EEENS1_36merge_oddeven_config_static_selectorELNS0_4arch9wavefront6targetE1EEEvSF_
		.amdhsa_group_segment_fixed_size 0
		.amdhsa_private_segment_fixed_size 0
		.amdhsa_kernarg_size 48
		.amdhsa_user_sgpr_count 6
		.amdhsa_user_sgpr_private_segment_buffer 1
		.amdhsa_user_sgpr_dispatch_ptr 0
		.amdhsa_user_sgpr_queue_ptr 0
		.amdhsa_user_sgpr_kernarg_segment_ptr 1
		.amdhsa_user_sgpr_dispatch_id 0
		.amdhsa_user_sgpr_flat_scratch_init 0
		.amdhsa_user_sgpr_kernarg_preload_length 0
		.amdhsa_user_sgpr_kernarg_preload_offset 0
		.amdhsa_user_sgpr_private_segment_size 0
		.amdhsa_uses_dynamic_stack 0
		.amdhsa_system_sgpr_private_segment_wavefront_offset 0
		.amdhsa_system_sgpr_workgroup_id_x 1
		.amdhsa_system_sgpr_workgroup_id_y 0
		.amdhsa_system_sgpr_workgroup_id_z 0
		.amdhsa_system_sgpr_workgroup_info 0
		.amdhsa_system_vgpr_workitem_id 0
		.amdhsa_next_free_vgpr 1
		.amdhsa_next_free_sgpr 0
		.amdhsa_accum_offset 4
		.amdhsa_reserve_vcc 0
		.amdhsa_reserve_flat_scratch 0
		.amdhsa_float_round_mode_32 0
		.amdhsa_float_round_mode_16_64 0
		.amdhsa_float_denorm_mode_32 3
		.amdhsa_float_denorm_mode_16_64 3
		.amdhsa_dx10_clamp 1
		.amdhsa_ieee_mode 1
		.amdhsa_fp16_overflow 0
		.amdhsa_tg_split 0
		.amdhsa_exception_fp_ieee_invalid_op 0
		.amdhsa_exception_fp_denorm_src 0
		.amdhsa_exception_fp_ieee_div_zero 0
		.amdhsa_exception_fp_ieee_overflow 0
		.amdhsa_exception_fp_ieee_underflow 0
		.amdhsa_exception_fp_ieee_inexact 0
		.amdhsa_exception_int_div_zero 0
	.end_amdhsa_kernel
	.section	.text._ZN7rocprim17ROCPRIM_400000_NS6detail17trampoline_kernelINS0_14default_configENS1_38merge_sort_block_merge_config_selectorIdNS0_10empty_typeEEEZZNS1_27merge_sort_block_merge_implIS3_PdPS5_jNS1_19radix_merge_compareILb1ELb0EdNS0_19identity_decomposerEEEEE10hipError_tT0_T1_T2_jT3_P12ihipStream_tbPNSt15iterator_traitsISE_E10value_typeEPNSK_ISF_E10value_typeEPSG_NS1_7vsmem_tEENKUlT_SE_SF_SG_E_clIS8_S8_S9_S9_EESD_ST_SE_SF_SG_EUlST_E1_NS1_11comp_targetILNS1_3genE2ELNS1_11target_archE906ELNS1_3gpuE6ELNS1_3repE0EEENS1_36merge_oddeven_config_static_selectorELNS0_4arch9wavefront6targetE1EEEvSF_,"axG",@progbits,_ZN7rocprim17ROCPRIM_400000_NS6detail17trampoline_kernelINS0_14default_configENS1_38merge_sort_block_merge_config_selectorIdNS0_10empty_typeEEEZZNS1_27merge_sort_block_merge_implIS3_PdPS5_jNS1_19radix_merge_compareILb1ELb0EdNS0_19identity_decomposerEEEEE10hipError_tT0_T1_T2_jT3_P12ihipStream_tbPNSt15iterator_traitsISE_E10value_typeEPNSK_ISF_E10value_typeEPSG_NS1_7vsmem_tEENKUlT_SE_SF_SG_E_clIS8_S8_S9_S9_EESD_ST_SE_SF_SG_EUlST_E1_NS1_11comp_targetILNS1_3genE2ELNS1_11target_archE906ELNS1_3gpuE6ELNS1_3repE0EEENS1_36merge_oddeven_config_static_selectorELNS0_4arch9wavefront6targetE1EEEvSF_,comdat
.Lfunc_end2594:
	.size	_ZN7rocprim17ROCPRIM_400000_NS6detail17trampoline_kernelINS0_14default_configENS1_38merge_sort_block_merge_config_selectorIdNS0_10empty_typeEEEZZNS1_27merge_sort_block_merge_implIS3_PdPS5_jNS1_19radix_merge_compareILb1ELb0EdNS0_19identity_decomposerEEEEE10hipError_tT0_T1_T2_jT3_P12ihipStream_tbPNSt15iterator_traitsISE_E10value_typeEPNSK_ISF_E10value_typeEPSG_NS1_7vsmem_tEENKUlT_SE_SF_SG_E_clIS8_S8_S9_S9_EESD_ST_SE_SF_SG_EUlST_E1_NS1_11comp_targetILNS1_3genE2ELNS1_11target_archE906ELNS1_3gpuE6ELNS1_3repE0EEENS1_36merge_oddeven_config_static_selectorELNS0_4arch9wavefront6targetE1EEEvSF_, .Lfunc_end2594-_ZN7rocprim17ROCPRIM_400000_NS6detail17trampoline_kernelINS0_14default_configENS1_38merge_sort_block_merge_config_selectorIdNS0_10empty_typeEEEZZNS1_27merge_sort_block_merge_implIS3_PdPS5_jNS1_19radix_merge_compareILb1ELb0EdNS0_19identity_decomposerEEEEE10hipError_tT0_T1_T2_jT3_P12ihipStream_tbPNSt15iterator_traitsISE_E10value_typeEPNSK_ISF_E10value_typeEPSG_NS1_7vsmem_tEENKUlT_SE_SF_SG_E_clIS8_S8_S9_S9_EESD_ST_SE_SF_SG_EUlST_E1_NS1_11comp_targetILNS1_3genE2ELNS1_11target_archE906ELNS1_3gpuE6ELNS1_3repE0EEENS1_36merge_oddeven_config_static_selectorELNS0_4arch9wavefront6targetE1EEEvSF_
                                        ; -- End function
	.section	.AMDGPU.csdata,"",@progbits
; Kernel info:
; codeLenInByte = 0
; NumSgprs: 4
; NumVgprs: 0
; NumAgprs: 0
; TotalNumVgprs: 0
; ScratchSize: 0
; MemoryBound: 0
; FloatMode: 240
; IeeeMode: 1
; LDSByteSize: 0 bytes/workgroup (compile time only)
; SGPRBlocks: 0
; VGPRBlocks: 0
; NumSGPRsForWavesPerEU: 4
; NumVGPRsForWavesPerEU: 1
; AccumOffset: 4
; Occupancy: 8
; WaveLimiterHint : 0
; COMPUTE_PGM_RSRC2:SCRATCH_EN: 0
; COMPUTE_PGM_RSRC2:USER_SGPR: 6
; COMPUTE_PGM_RSRC2:TRAP_HANDLER: 0
; COMPUTE_PGM_RSRC2:TGID_X_EN: 1
; COMPUTE_PGM_RSRC2:TGID_Y_EN: 0
; COMPUTE_PGM_RSRC2:TGID_Z_EN: 0
; COMPUTE_PGM_RSRC2:TIDIG_COMP_CNT: 0
; COMPUTE_PGM_RSRC3_GFX90A:ACCUM_OFFSET: 0
; COMPUTE_PGM_RSRC3_GFX90A:TG_SPLIT: 0
	.section	.text._ZN7rocprim17ROCPRIM_400000_NS6detail17trampoline_kernelINS0_14default_configENS1_38merge_sort_block_merge_config_selectorIdNS0_10empty_typeEEEZZNS1_27merge_sort_block_merge_implIS3_PdPS5_jNS1_19radix_merge_compareILb1ELb0EdNS0_19identity_decomposerEEEEE10hipError_tT0_T1_T2_jT3_P12ihipStream_tbPNSt15iterator_traitsISE_E10value_typeEPNSK_ISF_E10value_typeEPSG_NS1_7vsmem_tEENKUlT_SE_SF_SG_E_clIS8_S8_S9_S9_EESD_ST_SE_SF_SG_EUlST_E1_NS1_11comp_targetILNS1_3genE9ELNS1_11target_archE1100ELNS1_3gpuE3ELNS1_3repE0EEENS1_36merge_oddeven_config_static_selectorELNS0_4arch9wavefront6targetE1EEEvSF_,"axG",@progbits,_ZN7rocprim17ROCPRIM_400000_NS6detail17trampoline_kernelINS0_14default_configENS1_38merge_sort_block_merge_config_selectorIdNS0_10empty_typeEEEZZNS1_27merge_sort_block_merge_implIS3_PdPS5_jNS1_19radix_merge_compareILb1ELb0EdNS0_19identity_decomposerEEEEE10hipError_tT0_T1_T2_jT3_P12ihipStream_tbPNSt15iterator_traitsISE_E10value_typeEPNSK_ISF_E10value_typeEPSG_NS1_7vsmem_tEENKUlT_SE_SF_SG_E_clIS8_S8_S9_S9_EESD_ST_SE_SF_SG_EUlST_E1_NS1_11comp_targetILNS1_3genE9ELNS1_11target_archE1100ELNS1_3gpuE3ELNS1_3repE0EEENS1_36merge_oddeven_config_static_selectorELNS0_4arch9wavefront6targetE1EEEvSF_,comdat
	.protected	_ZN7rocprim17ROCPRIM_400000_NS6detail17trampoline_kernelINS0_14default_configENS1_38merge_sort_block_merge_config_selectorIdNS0_10empty_typeEEEZZNS1_27merge_sort_block_merge_implIS3_PdPS5_jNS1_19radix_merge_compareILb1ELb0EdNS0_19identity_decomposerEEEEE10hipError_tT0_T1_T2_jT3_P12ihipStream_tbPNSt15iterator_traitsISE_E10value_typeEPNSK_ISF_E10value_typeEPSG_NS1_7vsmem_tEENKUlT_SE_SF_SG_E_clIS8_S8_S9_S9_EESD_ST_SE_SF_SG_EUlST_E1_NS1_11comp_targetILNS1_3genE9ELNS1_11target_archE1100ELNS1_3gpuE3ELNS1_3repE0EEENS1_36merge_oddeven_config_static_selectorELNS0_4arch9wavefront6targetE1EEEvSF_ ; -- Begin function _ZN7rocprim17ROCPRIM_400000_NS6detail17trampoline_kernelINS0_14default_configENS1_38merge_sort_block_merge_config_selectorIdNS0_10empty_typeEEEZZNS1_27merge_sort_block_merge_implIS3_PdPS5_jNS1_19radix_merge_compareILb1ELb0EdNS0_19identity_decomposerEEEEE10hipError_tT0_T1_T2_jT3_P12ihipStream_tbPNSt15iterator_traitsISE_E10value_typeEPNSK_ISF_E10value_typeEPSG_NS1_7vsmem_tEENKUlT_SE_SF_SG_E_clIS8_S8_S9_S9_EESD_ST_SE_SF_SG_EUlST_E1_NS1_11comp_targetILNS1_3genE9ELNS1_11target_archE1100ELNS1_3gpuE3ELNS1_3repE0EEENS1_36merge_oddeven_config_static_selectorELNS0_4arch9wavefront6targetE1EEEvSF_
	.globl	_ZN7rocprim17ROCPRIM_400000_NS6detail17trampoline_kernelINS0_14default_configENS1_38merge_sort_block_merge_config_selectorIdNS0_10empty_typeEEEZZNS1_27merge_sort_block_merge_implIS3_PdPS5_jNS1_19radix_merge_compareILb1ELb0EdNS0_19identity_decomposerEEEEE10hipError_tT0_T1_T2_jT3_P12ihipStream_tbPNSt15iterator_traitsISE_E10value_typeEPNSK_ISF_E10value_typeEPSG_NS1_7vsmem_tEENKUlT_SE_SF_SG_E_clIS8_S8_S9_S9_EESD_ST_SE_SF_SG_EUlST_E1_NS1_11comp_targetILNS1_3genE9ELNS1_11target_archE1100ELNS1_3gpuE3ELNS1_3repE0EEENS1_36merge_oddeven_config_static_selectorELNS0_4arch9wavefront6targetE1EEEvSF_
	.p2align	8
	.type	_ZN7rocprim17ROCPRIM_400000_NS6detail17trampoline_kernelINS0_14default_configENS1_38merge_sort_block_merge_config_selectorIdNS0_10empty_typeEEEZZNS1_27merge_sort_block_merge_implIS3_PdPS5_jNS1_19radix_merge_compareILb1ELb0EdNS0_19identity_decomposerEEEEE10hipError_tT0_T1_T2_jT3_P12ihipStream_tbPNSt15iterator_traitsISE_E10value_typeEPNSK_ISF_E10value_typeEPSG_NS1_7vsmem_tEENKUlT_SE_SF_SG_E_clIS8_S8_S9_S9_EESD_ST_SE_SF_SG_EUlST_E1_NS1_11comp_targetILNS1_3genE9ELNS1_11target_archE1100ELNS1_3gpuE3ELNS1_3repE0EEENS1_36merge_oddeven_config_static_selectorELNS0_4arch9wavefront6targetE1EEEvSF_,@function
_ZN7rocprim17ROCPRIM_400000_NS6detail17trampoline_kernelINS0_14default_configENS1_38merge_sort_block_merge_config_selectorIdNS0_10empty_typeEEEZZNS1_27merge_sort_block_merge_implIS3_PdPS5_jNS1_19radix_merge_compareILb1ELb0EdNS0_19identity_decomposerEEEEE10hipError_tT0_T1_T2_jT3_P12ihipStream_tbPNSt15iterator_traitsISE_E10value_typeEPNSK_ISF_E10value_typeEPSG_NS1_7vsmem_tEENKUlT_SE_SF_SG_E_clIS8_S8_S9_S9_EESD_ST_SE_SF_SG_EUlST_E1_NS1_11comp_targetILNS1_3genE9ELNS1_11target_archE1100ELNS1_3gpuE3ELNS1_3repE0EEENS1_36merge_oddeven_config_static_selectorELNS0_4arch9wavefront6targetE1EEEvSF_: ; @_ZN7rocprim17ROCPRIM_400000_NS6detail17trampoline_kernelINS0_14default_configENS1_38merge_sort_block_merge_config_selectorIdNS0_10empty_typeEEEZZNS1_27merge_sort_block_merge_implIS3_PdPS5_jNS1_19radix_merge_compareILb1ELb0EdNS0_19identity_decomposerEEEEE10hipError_tT0_T1_T2_jT3_P12ihipStream_tbPNSt15iterator_traitsISE_E10value_typeEPNSK_ISF_E10value_typeEPSG_NS1_7vsmem_tEENKUlT_SE_SF_SG_E_clIS8_S8_S9_S9_EESD_ST_SE_SF_SG_EUlST_E1_NS1_11comp_targetILNS1_3genE9ELNS1_11target_archE1100ELNS1_3gpuE3ELNS1_3repE0EEENS1_36merge_oddeven_config_static_selectorELNS0_4arch9wavefront6targetE1EEEvSF_
; %bb.0:
	.section	.rodata,"a",@progbits
	.p2align	6, 0x0
	.amdhsa_kernel _ZN7rocprim17ROCPRIM_400000_NS6detail17trampoline_kernelINS0_14default_configENS1_38merge_sort_block_merge_config_selectorIdNS0_10empty_typeEEEZZNS1_27merge_sort_block_merge_implIS3_PdPS5_jNS1_19radix_merge_compareILb1ELb0EdNS0_19identity_decomposerEEEEE10hipError_tT0_T1_T2_jT3_P12ihipStream_tbPNSt15iterator_traitsISE_E10value_typeEPNSK_ISF_E10value_typeEPSG_NS1_7vsmem_tEENKUlT_SE_SF_SG_E_clIS8_S8_S9_S9_EESD_ST_SE_SF_SG_EUlST_E1_NS1_11comp_targetILNS1_3genE9ELNS1_11target_archE1100ELNS1_3gpuE3ELNS1_3repE0EEENS1_36merge_oddeven_config_static_selectorELNS0_4arch9wavefront6targetE1EEEvSF_
		.amdhsa_group_segment_fixed_size 0
		.amdhsa_private_segment_fixed_size 0
		.amdhsa_kernarg_size 48
		.amdhsa_user_sgpr_count 6
		.amdhsa_user_sgpr_private_segment_buffer 1
		.amdhsa_user_sgpr_dispatch_ptr 0
		.amdhsa_user_sgpr_queue_ptr 0
		.amdhsa_user_sgpr_kernarg_segment_ptr 1
		.amdhsa_user_sgpr_dispatch_id 0
		.amdhsa_user_sgpr_flat_scratch_init 0
		.amdhsa_user_sgpr_kernarg_preload_length 0
		.amdhsa_user_sgpr_kernarg_preload_offset 0
		.amdhsa_user_sgpr_private_segment_size 0
		.amdhsa_uses_dynamic_stack 0
		.amdhsa_system_sgpr_private_segment_wavefront_offset 0
		.amdhsa_system_sgpr_workgroup_id_x 1
		.amdhsa_system_sgpr_workgroup_id_y 0
		.amdhsa_system_sgpr_workgroup_id_z 0
		.amdhsa_system_sgpr_workgroup_info 0
		.amdhsa_system_vgpr_workitem_id 0
		.amdhsa_next_free_vgpr 1
		.amdhsa_next_free_sgpr 0
		.amdhsa_accum_offset 4
		.amdhsa_reserve_vcc 0
		.amdhsa_reserve_flat_scratch 0
		.amdhsa_float_round_mode_32 0
		.amdhsa_float_round_mode_16_64 0
		.amdhsa_float_denorm_mode_32 3
		.amdhsa_float_denorm_mode_16_64 3
		.amdhsa_dx10_clamp 1
		.amdhsa_ieee_mode 1
		.amdhsa_fp16_overflow 0
		.amdhsa_tg_split 0
		.amdhsa_exception_fp_ieee_invalid_op 0
		.amdhsa_exception_fp_denorm_src 0
		.amdhsa_exception_fp_ieee_div_zero 0
		.amdhsa_exception_fp_ieee_overflow 0
		.amdhsa_exception_fp_ieee_underflow 0
		.amdhsa_exception_fp_ieee_inexact 0
		.amdhsa_exception_int_div_zero 0
	.end_amdhsa_kernel
	.section	.text._ZN7rocprim17ROCPRIM_400000_NS6detail17trampoline_kernelINS0_14default_configENS1_38merge_sort_block_merge_config_selectorIdNS0_10empty_typeEEEZZNS1_27merge_sort_block_merge_implIS3_PdPS5_jNS1_19radix_merge_compareILb1ELb0EdNS0_19identity_decomposerEEEEE10hipError_tT0_T1_T2_jT3_P12ihipStream_tbPNSt15iterator_traitsISE_E10value_typeEPNSK_ISF_E10value_typeEPSG_NS1_7vsmem_tEENKUlT_SE_SF_SG_E_clIS8_S8_S9_S9_EESD_ST_SE_SF_SG_EUlST_E1_NS1_11comp_targetILNS1_3genE9ELNS1_11target_archE1100ELNS1_3gpuE3ELNS1_3repE0EEENS1_36merge_oddeven_config_static_selectorELNS0_4arch9wavefront6targetE1EEEvSF_,"axG",@progbits,_ZN7rocprim17ROCPRIM_400000_NS6detail17trampoline_kernelINS0_14default_configENS1_38merge_sort_block_merge_config_selectorIdNS0_10empty_typeEEEZZNS1_27merge_sort_block_merge_implIS3_PdPS5_jNS1_19radix_merge_compareILb1ELb0EdNS0_19identity_decomposerEEEEE10hipError_tT0_T1_T2_jT3_P12ihipStream_tbPNSt15iterator_traitsISE_E10value_typeEPNSK_ISF_E10value_typeEPSG_NS1_7vsmem_tEENKUlT_SE_SF_SG_E_clIS8_S8_S9_S9_EESD_ST_SE_SF_SG_EUlST_E1_NS1_11comp_targetILNS1_3genE9ELNS1_11target_archE1100ELNS1_3gpuE3ELNS1_3repE0EEENS1_36merge_oddeven_config_static_selectorELNS0_4arch9wavefront6targetE1EEEvSF_,comdat
.Lfunc_end2595:
	.size	_ZN7rocprim17ROCPRIM_400000_NS6detail17trampoline_kernelINS0_14default_configENS1_38merge_sort_block_merge_config_selectorIdNS0_10empty_typeEEEZZNS1_27merge_sort_block_merge_implIS3_PdPS5_jNS1_19radix_merge_compareILb1ELb0EdNS0_19identity_decomposerEEEEE10hipError_tT0_T1_T2_jT3_P12ihipStream_tbPNSt15iterator_traitsISE_E10value_typeEPNSK_ISF_E10value_typeEPSG_NS1_7vsmem_tEENKUlT_SE_SF_SG_E_clIS8_S8_S9_S9_EESD_ST_SE_SF_SG_EUlST_E1_NS1_11comp_targetILNS1_3genE9ELNS1_11target_archE1100ELNS1_3gpuE3ELNS1_3repE0EEENS1_36merge_oddeven_config_static_selectorELNS0_4arch9wavefront6targetE1EEEvSF_, .Lfunc_end2595-_ZN7rocprim17ROCPRIM_400000_NS6detail17trampoline_kernelINS0_14default_configENS1_38merge_sort_block_merge_config_selectorIdNS0_10empty_typeEEEZZNS1_27merge_sort_block_merge_implIS3_PdPS5_jNS1_19radix_merge_compareILb1ELb0EdNS0_19identity_decomposerEEEEE10hipError_tT0_T1_T2_jT3_P12ihipStream_tbPNSt15iterator_traitsISE_E10value_typeEPNSK_ISF_E10value_typeEPSG_NS1_7vsmem_tEENKUlT_SE_SF_SG_E_clIS8_S8_S9_S9_EESD_ST_SE_SF_SG_EUlST_E1_NS1_11comp_targetILNS1_3genE9ELNS1_11target_archE1100ELNS1_3gpuE3ELNS1_3repE0EEENS1_36merge_oddeven_config_static_selectorELNS0_4arch9wavefront6targetE1EEEvSF_
                                        ; -- End function
	.section	.AMDGPU.csdata,"",@progbits
; Kernel info:
; codeLenInByte = 0
; NumSgprs: 4
; NumVgprs: 0
; NumAgprs: 0
; TotalNumVgprs: 0
; ScratchSize: 0
; MemoryBound: 0
; FloatMode: 240
; IeeeMode: 1
; LDSByteSize: 0 bytes/workgroup (compile time only)
; SGPRBlocks: 0
; VGPRBlocks: 0
; NumSGPRsForWavesPerEU: 4
; NumVGPRsForWavesPerEU: 1
; AccumOffset: 4
; Occupancy: 8
; WaveLimiterHint : 0
; COMPUTE_PGM_RSRC2:SCRATCH_EN: 0
; COMPUTE_PGM_RSRC2:USER_SGPR: 6
; COMPUTE_PGM_RSRC2:TRAP_HANDLER: 0
; COMPUTE_PGM_RSRC2:TGID_X_EN: 1
; COMPUTE_PGM_RSRC2:TGID_Y_EN: 0
; COMPUTE_PGM_RSRC2:TGID_Z_EN: 0
; COMPUTE_PGM_RSRC2:TIDIG_COMP_CNT: 0
; COMPUTE_PGM_RSRC3_GFX90A:ACCUM_OFFSET: 0
; COMPUTE_PGM_RSRC3_GFX90A:TG_SPLIT: 0
	.section	.text._ZN7rocprim17ROCPRIM_400000_NS6detail17trampoline_kernelINS0_14default_configENS1_38merge_sort_block_merge_config_selectorIdNS0_10empty_typeEEEZZNS1_27merge_sort_block_merge_implIS3_PdPS5_jNS1_19radix_merge_compareILb1ELb0EdNS0_19identity_decomposerEEEEE10hipError_tT0_T1_T2_jT3_P12ihipStream_tbPNSt15iterator_traitsISE_E10value_typeEPNSK_ISF_E10value_typeEPSG_NS1_7vsmem_tEENKUlT_SE_SF_SG_E_clIS8_S8_S9_S9_EESD_ST_SE_SF_SG_EUlST_E1_NS1_11comp_targetILNS1_3genE8ELNS1_11target_archE1030ELNS1_3gpuE2ELNS1_3repE0EEENS1_36merge_oddeven_config_static_selectorELNS0_4arch9wavefront6targetE1EEEvSF_,"axG",@progbits,_ZN7rocprim17ROCPRIM_400000_NS6detail17trampoline_kernelINS0_14default_configENS1_38merge_sort_block_merge_config_selectorIdNS0_10empty_typeEEEZZNS1_27merge_sort_block_merge_implIS3_PdPS5_jNS1_19radix_merge_compareILb1ELb0EdNS0_19identity_decomposerEEEEE10hipError_tT0_T1_T2_jT3_P12ihipStream_tbPNSt15iterator_traitsISE_E10value_typeEPNSK_ISF_E10value_typeEPSG_NS1_7vsmem_tEENKUlT_SE_SF_SG_E_clIS8_S8_S9_S9_EESD_ST_SE_SF_SG_EUlST_E1_NS1_11comp_targetILNS1_3genE8ELNS1_11target_archE1030ELNS1_3gpuE2ELNS1_3repE0EEENS1_36merge_oddeven_config_static_selectorELNS0_4arch9wavefront6targetE1EEEvSF_,comdat
	.protected	_ZN7rocprim17ROCPRIM_400000_NS6detail17trampoline_kernelINS0_14default_configENS1_38merge_sort_block_merge_config_selectorIdNS0_10empty_typeEEEZZNS1_27merge_sort_block_merge_implIS3_PdPS5_jNS1_19radix_merge_compareILb1ELb0EdNS0_19identity_decomposerEEEEE10hipError_tT0_T1_T2_jT3_P12ihipStream_tbPNSt15iterator_traitsISE_E10value_typeEPNSK_ISF_E10value_typeEPSG_NS1_7vsmem_tEENKUlT_SE_SF_SG_E_clIS8_S8_S9_S9_EESD_ST_SE_SF_SG_EUlST_E1_NS1_11comp_targetILNS1_3genE8ELNS1_11target_archE1030ELNS1_3gpuE2ELNS1_3repE0EEENS1_36merge_oddeven_config_static_selectorELNS0_4arch9wavefront6targetE1EEEvSF_ ; -- Begin function _ZN7rocprim17ROCPRIM_400000_NS6detail17trampoline_kernelINS0_14default_configENS1_38merge_sort_block_merge_config_selectorIdNS0_10empty_typeEEEZZNS1_27merge_sort_block_merge_implIS3_PdPS5_jNS1_19radix_merge_compareILb1ELb0EdNS0_19identity_decomposerEEEEE10hipError_tT0_T1_T2_jT3_P12ihipStream_tbPNSt15iterator_traitsISE_E10value_typeEPNSK_ISF_E10value_typeEPSG_NS1_7vsmem_tEENKUlT_SE_SF_SG_E_clIS8_S8_S9_S9_EESD_ST_SE_SF_SG_EUlST_E1_NS1_11comp_targetILNS1_3genE8ELNS1_11target_archE1030ELNS1_3gpuE2ELNS1_3repE0EEENS1_36merge_oddeven_config_static_selectorELNS0_4arch9wavefront6targetE1EEEvSF_
	.globl	_ZN7rocprim17ROCPRIM_400000_NS6detail17trampoline_kernelINS0_14default_configENS1_38merge_sort_block_merge_config_selectorIdNS0_10empty_typeEEEZZNS1_27merge_sort_block_merge_implIS3_PdPS5_jNS1_19radix_merge_compareILb1ELb0EdNS0_19identity_decomposerEEEEE10hipError_tT0_T1_T2_jT3_P12ihipStream_tbPNSt15iterator_traitsISE_E10value_typeEPNSK_ISF_E10value_typeEPSG_NS1_7vsmem_tEENKUlT_SE_SF_SG_E_clIS8_S8_S9_S9_EESD_ST_SE_SF_SG_EUlST_E1_NS1_11comp_targetILNS1_3genE8ELNS1_11target_archE1030ELNS1_3gpuE2ELNS1_3repE0EEENS1_36merge_oddeven_config_static_selectorELNS0_4arch9wavefront6targetE1EEEvSF_
	.p2align	8
	.type	_ZN7rocprim17ROCPRIM_400000_NS6detail17trampoline_kernelINS0_14default_configENS1_38merge_sort_block_merge_config_selectorIdNS0_10empty_typeEEEZZNS1_27merge_sort_block_merge_implIS3_PdPS5_jNS1_19radix_merge_compareILb1ELb0EdNS0_19identity_decomposerEEEEE10hipError_tT0_T1_T2_jT3_P12ihipStream_tbPNSt15iterator_traitsISE_E10value_typeEPNSK_ISF_E10value_typeEPSG_NS1_7vsmem_tEENKUlT_SE_SF_SG_E_clIS8_S8_S9_S9_EESD_ST_SE_SF_SG_EUlST_E1_NS1_11comp_targetILNS1_3genE8ELNS1_11target_archE1030ELNS1_3gpuE2ELNS1_3repE0EEENS1_36merge_oddeven_config_static_selectorELNS0_4arch9wavefront6targetE1EEEvSF_,@function
_ZN7rocprim17ROCPRIM_400000_NS6detail17trampoline_kernelINS0_14default_configENS1_38merge_sort_block_merge_config_selectorIdNS0_10empty_typeEEEZZNS1_27merge_sort_block_merge_implIS3_PdPS5_jNS1_19radix_merge_compareILb1ELb0EdNS0_19identity_decomposerEEEEE10hipError_tT0_T1_T2_jT3_P12ihipStream_tbPNSt15iterator_traitsISE_E10value_typeEPNSK_ISF_E10value_typeEPSG_NS1_7vsmem_tEENKUlT_SE_SF_SG_E_clIS8_S8_S9_S9_EESD_ST_SE_SF_SG_EUlST_E1_NS1_11comp_targetILNS1_3genE8ELNS1_11target_archE1030ELNS1_3gpuE2ELNS1_3repE0EEENS1_36merge_oddeven_config_static_selectorELNS0_4arch9wavefront6targetE1EEEvSF_: ; @_ZN7rocprim17ROCPRIM_400000_NS6detail17trampoline_kernelINS0_14default_configENS1_38merge_sort_block_merge_config_selectorIdNS0_10empty_typeEEEZZNS1_27merge_sort_block_merge_implIS3_PdPS5_jNS1_19radix_merge_compareILb1ELb0EdNS0_19identity_decomposerEEEEE10hipError_tT0_T1_T2_jT3_P12ihipStream_tbPNSt15iterator_traitsISE_E10value_typeEPNSK_ISF_E10value_typeEPSG_NS1_7vsmem_tEENKUlT_SE_SF_SG_E_clIS8_S8_S9_S9_EESD_ST_SE_SF_SG_EUlST_E1_NS1_11comp_targetILNS1_3genE8ELNS1_11target_archE1030ELNS1_3gpuE2ELNS1_3repE0EEENS1_36merge_oddeven_config_static_selectorELNS0_4arch9wavefront6targetE1EEEvSF_
; %bb.0:
	.section	.rodata,"a",@progbits
	.p2align	6, 0x0
	.amdhsa_kernel _ZN7rocprim17ROCPRIM_400000_NS6detail17trampoline_kernelINS0_14default_configENS1_38merge_sort_block_merge_config_selectorIdNS0_10empty_typeEEEZZNS1_27merge_sort_block_merge_implIS3_PdPS5_jNS1_19radix_merge_compareILb1ELb0EdNS0_19identity_decomposerEEEEE10hipError_tT0_T1_T2_jT3_P12ihipStream_tbPNSt15iterator_traitsISE_E10value_typeEPNSK_ISF_E10value_typeEPSG_NS1_7vsmem_tEENKUlT_SE_SF_SG_E_clIS8_S8_S9_S9_EESD_ST_SE_SF_SG_EUlST_E1_NS1_11comp_targetILNS1_3genE8ELNS1_11target_archE1030ELNS1_3gpuE2ELNS1_3repE0EEENS1_36merge_oddeven_config_static_selectorELNS0_4arch9wavefront6targetE1EEEvSF_
		.amdhsa_group_segment_fixed_size 0
		.amdhsa_private_segment_fixed_size 0
		.amdhsa_kernarg_size 48
		.amdhsa_user_sgpr_count 6
		.amdhsa_user_sgpr_private_segment_buffer 1
		.amdhsa_user_sgpr_dispatch_ptr 0
		.amdhsa_user_sgpr_queue_ptr 0
		.amdhsa_user_sgpr_kernarg_segment_ptr 1
		.amdhsa_user_sgpr_dispatch_id 0
		.amdhsa_user_sgpr_flat_scratch_init 0
		.amdhsa_user_sgpr_kernarg_preload_length 0
		.amdhsa_user_sgpr_kernarg_preload_offset 0
		.amdhsa_user_sgpr_private_segment_size 0
		.amdhsa_uses_dynamic_stack 0
		.amdhsa_system_sgpr_private_segment_wavefront_offset 0
		.amdhsa_system_sgpr_workgroup_id_x 1
		.amdhsa_system_sgpr_workgroup_id_y 0
		.amdhsa_system_sgpr_workgroup_id_z 0
		.amdhsa_system_sgpr_workgroup_info 0
		.amdhsa_system_vgpr_workitem_id 0
		.amdhsa_next_free_vgpr 1
		.amdhsa_next_free_sgpr 0
		.amdhsa_accum_offset 4
		.amdhsa_reserve_vcc 0
		.amdhsa_reserve_flat_scratch 0
		.amdhsa_float_round_mode_32 0
		.amdhsa_float_round_mode_16_64 0
		.amdhsa_float_denorm_mode_32 3
		.amdhsa_float_denorm_mode_16_64 3
		.amdhsa_dx10_clamp 1
		.amdhsa_ieee_mode 1
		.amdhsa_fp16_overflow 0
		.amdhsa_tg_split 0
		.amdhsa_exception_fp_ieee_invalid_op 0
		.amdhsa_exception_fp_denorm_src 0
		.amdhsa_exception_fp_ieee_div_zero 0
		.amdhsa_exception_fp_ieee_overflow 0
		.amdhsa_exception_fp_ieee_underflow 0
		.amdhsa_exception_fp_ieee_inexact 0
		.amdhsa_exception_int_div_zero 0
	.end_amdhsa_kernel
	.section	.text._ZN7rocprim17ROCPRIM_400000_NS6detail17trampoline_kernelINS0_14default_configENS1_38merge_sort_block_merge_config_selectorIdNS0_10empty_typeEEEZZNS1_27merge_sort_block_merge_implIS3_PdPS5_jNS1_19radix_merge_compareILb1ELb0EdNS0_19identity_decomposerEEEEE10hipError_tT0_T1_T2_jT3_P12ihipStream_tbPNSt15iterator_traitsISE_E10value_typeEPNSK_ISF_E10value_typeEPSG_NS1_7vsmem_tEENKUlT_SE_SF_SG_E_clIS8_S8_S9_S9_EESD_ST_SE_SF_SG_EUlST_E1_NS1_11comp_targetILNS1_3genE8ELNS1_11target_archE1030ELNS1_3gpuE2ELNS1_3repE0EEENS1_36merge_oddeven_config_static_selectorELNS0_4arch9wavefront6targetE1EEEvSF_,"axG",@progbits,_ZN7rocprim17ROCPRIM_400000_NS6detail17trampoline_kernelINS0_14default_configENS1_38merge_sort_block_merge_config_selectorIdNS0_10empty_typeEEEZZNS1_27merge_sort_block_merge_implIS3_PdPS5_jNS1_19radix_merge_compareILb1ELb0EdNS0_19identity_decomposerEEEEE10hipError_tT0_T1_T2_jT3_P12ihipStream_tbPNSt15iterator_traitsISE_E10value_typeEPNSK_ISF_E10value_typeEPSG_NS1_7vsmem_tEENKUlT_SE_SF_SG_E_clIS8_S8_S9_S9_EESD_ST_SE_SF_SG_EUlST_E1_NS1_11comp_targetILNS1_3genE8ELNS1_11target_archE1030ELNS1_3gpuE2ELNS1_3repE0EEENS1_36merge_oddeven_config_static_selectorELNS0_4arch9wavefront6targetE1EEEvSF_,comdat
.Lfunc_end2596:
	.size	_ZN7rocprim17ROCPRIM_400000_NS6detail17trampoline_kernelINS0_14default_configENS1_38merge_sort_block_merge_config_selectorIdNS0_10empty_typeEEEZZNS1_27merge_sort_block_merge_implIS3_PdPS5_jNS1_19radix_merge_compareILb1ELb0EdNS0_19identity_decomposerEEEEE10hipError_tT0_T1_T2_jT3_P12ihipStream_tbPNSt15iterator_traitsISE_E10value_typeEPNSK_ISF_E10value_typeEPSG_NS1_7vsmem_tEENKUlT_SE_SF_SG_E_clIS8_S8_S9_S9_EESD_ST_SE_SF_SG_EUlST_E1_NS1_11comp_targetILNS1_3genE8ELNS1_11target_archE1030ELNS1_3gpuE2ELNS1_3repE0EEENS1_36merge_oddeven_config_static_selectorELNS0_4arch9wavefront6targetE1EEEvSF_, .Lfunc_end2596-_ZN7rocprim17ROCPRIM_400000_NS6detail17trampoline_kernelINS0_14default_configENS1_38merge_sort_block_merge_config_selectorIdNS0_10empty_typeEEEZZNS1_27merge_sort_block_merge_implIS3_PdPS5_jNS1_19radix_merge_compareILb1ELb0EdNS0_19identity_decomposerEEEEE10hipError_tT0_T1_T2_jT3_P12ihipStream_tbPNSt15iterator_traitsISE_E10value_typeEPNSK_ISF_E10value_typeEPSG_NS1_7vsmem_tEENKUlT_SE_SF_SG_E_clIS8_S8_S9_S9_EESD_ST_SE_SF_SG_EUlST_E1_NS1_11comp_targetILNS1_3genE8ELNS1_11target_archE1030ELNS1_3gpuE2ELNS1_3repE0EEENS1_36merge_oddeven_config_static_selectorELNS0_4arch9wavefront6targetE1EEEvSF_
                                        ; -- End function
	.section	.AMDGPU.csdata,"",@progbits
; Kernel info:
; codeLenInByte = 0
; NumSgprs: 4
; NumVgprs: 0
; NumAgprs: 0
; TotalNumVgprs: 0
; ScratchSize: 0
; MemoryBound: 0
; FloatMode: 240
; IeeeMode: 1
; LDSByteSize: 0 bytes/workgroup (compile time only)
; SGPRBlocks: 0
; VGPRBlocks: 0
; NumSGPRsForWavesPerEU: 4
; NumVGPRsForWavesPerEU: 1
; AccumOffset: 4
; Occupancy: 8
; WaveLimiterHint : 0
; COMPUTE_PGM_RSRC2:SCRATCH_EN: 0
; COMPUTE_PGM_RSRC2:USER_SGPR: 6
; COMPUTE_PGM_RSRC2:TRAP_HANDLER: 0
; COMPUTE_PGM_RSRC2:TGID_X_EN: 1
; COMPUTE_PGM_RSRC2:TGID_Y_EN: 0
; COMPUTE_PGM_RSRC2:TGID_Z_EN: 0
; COMPUTE_PGM_RSRC2:TIDIG_COMP_CNT: 0
; COMPUTE_PGM_RSRC3_GFX90A:ACCUM_OFFSET: 0
; COMPUTE_PGM_RSRC3_GFX90A:TG_SPLIT: 0
	.section	.text._ZN7rocprim17ROCPRIM_400000_NS6detail17trampoline_kernelINS0_14default_configENS1_35radix_sort_onesweep_config_selectorIdNS0_10empty_typeEEEZNS1_34radix_sort_onesweep_global_offsetsIS3_Lb1EPdPS5_mNS0_19identity_decomposerEEE10hipError_tT1_T2_PT3_SE_jT4_jjP12ihipStream_tbEUlT_E_NS1_11comp_targetILNS1_3genE0ELNS1_11target_archE4294967295ELNS1_3gpuE0ELNS1_3repE0EEENS1_52radix_sort_onesweep_histogram_config_static_selectorELNS0_4arch9wavefront6targetE1EEEvSC_,"axG",@progbits,_ZN7rocprim17ROCPRIM_400000_NS6detail17trampoline_kernelINS0_14default_configENS1_35radix_sort_onesweep_config_selectorIdNS0_10empty_typeEEEZNS1_34radix_sort_onesweep_global_offsetsIS3_Lb1EPdPS5_mNS0_19identity_decomposerEEE10hipError_tT1_T2_PT3_SE_jT4_jjP12ihipStream_tbEUlT_E_NS1_11comp_targetILNS1_3genE0ELNS1_11target_archE4294967295ELNS1_3gpuE0ELNS1_3repE0EEENS1_52radix_sort_onesweep_histogram_config_static_selectorELNS0_4arch9wavefront6targetE1EEEvSC_,comdat
	.protected	_ZN7rocprim17ROCPRIM_400000_NS6detail17trampoline_kernelINS0_14default_configENS1_35radix_sort_onesweep_config_selectorIdNS0_10empty_typeEEEZNS1_34radix_sort_onesweep_global_offsetsIS3_Lb1EPdPS5_mNS0_19identity_decomposerEEE10hipError_tT1_T2_PT3_SE_jT4_jjP12ihipStream_tbEUlT_E_NS1_11comp_targetILNS1_3genE0ELNS1_11target_archE4294967295ELNS1_3gpuE0ELNS1_3repE0EEENS1_52radix_sort_onesweep_histogram_config_static_selectorELNS0_4arch9wavefront6targetE1EEEvSC_ ; -- Begin function _ZN7rocprim17ROCPRIM_400000_NS6detail17trampoline_kernelINS0_14default_configENS1_35radix_sort_onesweep_config_selectorIdNS0_10empty_typeEEEZNS1_34radix_sort_onesweep_global_offsetsIS3_Lb1EPdPS5_mNS0_19identity_decomposerEEE10hipError_tT1_T2_PT3_SE_jT4_jjP12ihipStream_tbEUlT_E_NS1_11comp_targetILNS1_3genE0ELNS1_11target_archE4294967295ELNS1_3gpuE0ELNS1_3repE0EEENS1_52radix_sort_onesweep_histogram_config_static_selectorELNS0_4arch9wavefront6targetE1EEEvSC_
	.globl	_ZN7rocprim17ROCPRIM_400000_NS6detail17trampoline_kernelINS0_14default_configENS1_35radix_sort_onesweep_config_selectorIdNS0_10empty_typeEEEZNS1_34radix_sort_onesweep_global_offsetsIS3_Lb1EPdPS5_mNS0_19identity_decomposerEEE10hipError_tT1_T2_PT3_SE_jT4_jjP12ihipStream_tbEUlT_E_NS1_11comp_targetILNS1_3genE0ELNS1_11target_archE4294967295ELNS1_3gpuE0ELNS1_3repE0EEENS1_52radix_sort_onesweep_histogram_config_static_selectorELNS0_4arch9wavefront6targetE1EEEvSC_
	.p2align	8
	.type	_ZN7rocprim17ROCPRIM_400000_NS6detail17trampoline_kernelINS0_14default_configENS1_35radix_sort_onesweep_config_selectorIdNS0_10empty_typeEEEZNS1_34radix_sort_onesweep_global_offsetsIS3_Lb1EPdPS5_mNS0_19identity_decomposerEEE10hipError_tT1_T2_PT3_SE_jT4_jjP12ihipStream_tbEUlT_E_NS1_11comp_targetILNS1_3genE0ELNS1_11target_archE4294967295ELNS1_3gpuE0ELNS1_3repE0EEENS1_52radix_sort_onesweep_histogram_config_static_selectorELNS0_4arch9wavefront6targetE1EEEvSC_,@function
_ZN7rocprim17ROCPRIM_400000_NS6detail17trampoline_kernelINS0_14default_configENS1_35radix_sort_onesweep_config_selectorIdNS0_10empty_typeEEEZNS1_34radix_sort_onesweep_global_offsetsIS3_Lb1EPdPS5_mNS0_19identity_decomposerEEE10hipError_tT1_T2_PT3_SE_jT4_jjP12ihipStream_tbEUlT_E_NS1_11comp_targetILNS1_3genE0ELNS1_11target_archE4294967295ELNS1_3gpuE0ELNS1_3repE0EEENS1_52radix_sort_onesweep_histogram_config_static_selectorELNS0_4arch9wavefront6targetE1EEEvSC_: ; @_ZN7rocprim17ROCPRIM_400000_NS6detail17trampoline_kernelINS0_14default_configENS1_35radix_sort_onesweep_config_selectorIdNS0_10empty_typeEEEZNS1_34radix_sort_onesweep_global_offsetsIS3_Lb1EPdPS5_mNS0_19identity_decomposerEEE10hipError_tT1_T2_PT3_SE_jT4_jjP12ihipStream_tbEUlT_E_NS1_11comp_targetILNS1_3genE0ELNS1_11target_archE4294967295ELNS1_3gpuE0ELNS1_3repE0EEENS1_52radix_sort_onesweep_histogram_config_static_selectorELNS0_4arch9wavefront6targetE1EEEvSC_
; %bb.0:
	.section	.rodata,"a",@progbits
	.p2align	6, 0x0
	.amdhsa_kernel _ZN7rocprim17ROCPRIM_400000_NS6detail17trampoline_kernelINS0_14default_configENS1_35radix_sort_onesweep_config_selectorIdNS0_10empty_typeEEEZNS1_34radix_sort_onesweep_global_offsetsIS3_Lb1EPdPS5_mNS0_19identity_decomposerEEE10hipError_tT1_T2_PT3_SE_jT4_jjP12ihipStream_tbEUlT_E_NS1_11comp_targetILNS1_3genE0ELNS1_11target_archE4294967295ELNS1_3gpuE0ELNS1_3repE0EEENS1_52radix_sort_onesweep_histogram_config_static_selectorELNS0_4arch9wavefront6targetE1EEEvSC_
		.amdhsa_group_segment_fixed_size 0
		.amdhsa_private_segment_fixed_size 0
		.amdhsa_kernarg_size 48
		.amdhsa_user_sgpr_count 6
		.amdhsa_user_sgpr_private_segment_buffer 1
		.amdhsa_user_sgpr_dispatch_ptr 0
		.amdhsa_user_sgpr_queue_ptr 0
		.amdhsa_user_sgpr_kernarg_segment_ptr 1
		.amdhsa_user_sgpr_dispatch_id 0
		.amdhsa_user_sgpr_flat_scratch_init 0
		.amdhsa_user_sgpr_kernarg_preload_length 0
		.amdhsa_user_sgpr_kernarg_preload_offset 0
		.amdhsa_user_sgpr_private_segment_size 0
		.amdhsa_uses_dynamic_stack 0
		.amdhsa_system_sgpr_private_segment_wavefront_offset 0
		.amdhsa_system_sgpr_workgroup_id_x 1
		.amdhsa_system_sgpr_workgroup_id_y 0
		.amdhsa_system_sgpr_workgroup_id_z 0
		.amdhsa_system_sgpr_workgroup_info 0
		.amdhsa_system_vgpr_workitem_id 0
		.amdhsa_next_free_vgpr 1
		.amdhsa_next_free_sgpr 0
		.amdhsa_accum_offset 4
		.amdhsa_reserve_vcc 0
		.amdhsa_reserve_flat_scratch 0
		.amdhsa_float_round_mode_32 0
		.amdhsa_float_round_mode_16_64 0
		.amdhsa_float_denorm_mode_32 3
		.amdhsa_float_denorm_mode_16_64 3
		.amdhsa_dx10_clamp 1
		.amdhsa_ieee_mode 1
		.amdhsa_fp16_overflow 0
		.amdhsa_tg_split 0
		.amdhsa_exception_fp_ieee_invalid_op 0
		.amdhsa_exception_fp_denorm_src 0
		.amdhsa_exception_fp_ieee_div_zero 0
		.amdhsa_exception_fp_ieee_overflow 0
		.amdhsa_exception_fp_ieee_underflow 0
		.amdhsa_exception_fp_ieee_inexact 0
		.amdhsa_exception_int_div_zero 0
	.end_amdhsa_kernel
	.section	.text._ZN7rocprim17ROCPRIM_400000_NS6detail17trampoline_kernelINS0_14default_configENS1_35radix_sort_onesweep_config_selectorIdNS0_10empty_typeEEEZNS1_34radix_sort_onesweep_global_offsetsIS3_Lb1EPdPS5_mNS0_19identity_decomposerEEE10hipError_tT1_T2_PT3_SE_jT4_jjP12ihipStream_tbEUlT_E_NS1_11comp_targetILNS1_3genE0ELNS1_11target_archE4294967295ELNS1_3gpuE0ELNS1_3repE0EEENS1_52radix_sort_onesweep_histogram_config_static_selectorELNS0_4arch9wavefront6targetE1EEEvSC_,"axG",@progbits,_ZN7rocprim17ROCPRIM_400000_NS6detail17trampoline_kernelINS0_14default_configENS1_35radix_sort_onesweep_config_selectorIdNS0_10empty_typeEEEZNS1_34radix_sort_onesweep_global_offsetsIS3_Lb1EPdPS5_mNS0_19identity_decomposerEEE10hipError_tT1_T2_PT3_SE_jT4_jjP12ihipStream_tbEUlT_E_NS1_11comp_targetILNS1_3genE0ELNS1_11target_archE4294967295ELNS1_3gpuE0ELNS1_3repE0EEENS1_52radix_sort_onesweep_histogram_config_static_selectorELNS0_4arch9wavefront6targetE1EEEvSC_,comdat
.Lfunc_end2597:
	.size	_ZN7rocprim17ROCPRIM_400000_NS6detail17trampoline_kernelINS0_14default_configENS1_35radix_sort_onesweep_config_selectorIdNS0_10empty_typeEEEZNS1_34radix_sort_onesweep_global_offsetsIS3_Lb1EPdPS5_mNS0_19identity_decomposerEEE10hipError_tT1_T2_PT3_SE_jT4_jjP12ihipStream_tbEUlT_E_NS1_11comp_targetILNS1_3genE0ELNS1_11target_archE4294967295ELNS1_3gpuE0ELNS1_3repE0EEENS1_52radix_sort_onesweep_histogram_config_static_selectorELNS0_4arch9wavefront6targetE1EEEvSC_, .Lfunc_end2597-_ZN7rocprim17ROCPRIM_400000_NS6detail17trampoline_kernelINS0_14default_configENS1_35radix_sort_onesweep_config_selectorIdNS0_10empty_typeEEEZNS1_34radix_sort_onesweep_global_offsetsIS3_Lb1EPdPS5_mNS0_19identity_decomposerEEE10hipError_tT1_T2_PT3_SE_jT4_jjP12ihipStream_tbEUlT_E_NS1_11comp_targetILNS1_3genE0ELNS1_11target_archE4294967295ELNS1_3gpuE0ELNS1_3repE0EEENS1_52radix_sort_onesweep_histogram_config_static_selectorELNS0_4arch9wavefront6targetE1EEEvSC_
                                        ; -- End function
	.section	.AMDGPU.csdata,"",@progbits
; Kernel info:
; codeLenInByte = 0
; NumSgprs: 4
; NumVgprs: 0
; NumAgprs: 0
; TotalNumVgprs: 0
; ScratchSize: 0
; MemoryBound: 0
; FloatMode: 240
; IeeeMode: 1
; LDSByteSize: 0 bytes/workgroup (compile time only)
; SGPRBlocks: 0
; VGPRBlocks: 0
; NumSGPRsForWavesPerEU: 4
; NumVGPRsForWavesPerEU: 1
; AccumOffset: 4
; Occupancy: 8
; WaveLimiterHint : 0
; COMPUTE_PGM_RSRC2:SCRATCH_EN: 0
; COMPUTE_PGM_RSRC2:USER_SGPR: 6
; COMPUTE_PGM_RSRC2:TRAP_HANDLER: 0
; COMPUTE_PGM_RSRC2:TGID_X_EN: 1
; COMPUTE_PGM_RSRC2:TGID_Y_EN: 0
; COMPUTE_PGM_RSRC2:TGID_Z_EN: 0
; COMPUTE_PGM_RSRC2:TIDIG_COMP_CNT: 0
; COMPUTE_PGM_RSRC3_GFX90A:ACCUM_OFFSET: 0
; COMPUTE_PGM_RSRC3_GFX90A:TG_SPLIT: 0
	.section	.text._ZN7rocprim17ROCPRIM_400000_NS6detail17trampoline_kernelINS0_14default_configENS1_35radix_sort_onesweep_config_selectorIdNS0_10empty_typeEEEZNS1_34radix_sort_onesweep_global_offsetsIS3_Lb1EPdPS5_mNS0_19identity_decomposerEEE10hipError_tT1_T2_PT3_SE_jT4_jjP12ihipStream_tbEUlT_E_NS1_11comp_targetILNS1_3genE6ELNS1_11target_archE950ELNS1_3gpuE13ELNS1_3repE0EEENS1_52radix_sort_onesweep_histogram_config_static_selectorELNS0_4arch9wavefront6targetE1EEEvSC_,"axG",@progbits,_ZN7rocprim17ROCPRIM_400000_NS6detail17trampoline_kernelINS0_14default_configENS1_35radix_sort_onesweep_config_selectorIdNS0_10empty_typeEEEZNS1_34radix_sort_onesweep_global_offsetsIS3_Lb1EPdPS5_mNS0_19identity_decomposerEEE10hipError_tT1_T2_PT3_SE_jT4_jjP12ihipStream_tbEUlT_E_NS1_11comp_targetILNS1_3genE6ELNS1_11target_archE950ELNS1_3gpuE13ELNS1_3repE0EEENS1_52radix_sort_onesweep_histogram_config_static_selectorELNS0_4arch9wavefront6targetE1EEEvSC_,comdat
	.protected	_ZN7rocprim17ROCPRIM_400000_NS6detail17trampoline_kernelINS0_14default_configENS1_35radix_sort_onesweep_config_selectorIdNS0_10empty_typeEEEZNS1_34radix_sort_onesweep_global_offsetsIS3_Lb1EPdPS5_mNS0_19identity_decomposerEEE10hipError_tT1_T2_PT3_SE_jT4_jjP12ihipStream_tbEUlT_E_NS1_11comp_targetILNS1_3genE6ELNS1_11target_archE950ELNS1_3gpuE13ELNS1_3repE0EEENS1_52radix_sort_onesweep_histogram_config_static_selectorELNS0_4arch9wavefront6targetE1EEEvSC_ ; -- Begin function _ZN7rocprim17ROCPRIM_400000_NS6detail17trampoline_kernelINS0_14default_configENS1_35radix_sort_onesweep_config_selectorIdNS0_10empty_typeEEEZNS1_34radix_sort_onesweep_global_offsetsIS3_Lb1EPdPS5_mNS0_19identity_decomposerEEE10hipError_tT1_T2_PT3_SE_jT4_jjP12ihipStream_tbEUlT_E_NS1_11comp_targetILNS1_3genE6ELNS1_11target_archE950ELNS1_3gpuE13ELNS1_3repE0EEENS1_52radix_sort_onesweep_histogram_config_static_selectorELNS0_4arch9wavefront6targetE1EEEvSC_
	.globl	_ZN7rocprim17ROCPRIM_400000_NS6detail17trampoline_kernelINS0_14default_configENS1_35radix_sort_onesweep_config_selectorIdNS0_10empty_typeEEEZNS1_34radix_sort_onesweep_global_offsetsIS3_Lb1EPdPS5_mNS0_19identity_decomposerEEE10hipError_tT1_T2_PT3_SE_jT4_jjP12ihipStream_tbEUlT_E_NS1_11comp_targetILNS1_3genE6ELNS1_11target_archE950ELNS1_3gpuE13ELNS1_3repE0EEENS1_52radix_sort_onesweep_histogram_config_static_selectorELNS0_4arch9wavefront6targetE1EEEvSC_
	.p2align	8
	.type	_ZN7rocprim17ROCPRIM_400000_NS6detail17trampoline_kernelINS0_14default_configENS1_35radix_sort_onesweep_config_selectorIdNS0_10empty_typeEEEZNS1_34radix_sort_onesweep_global_offsetsIS3_Lb1EPdPS5_mNS0_19identity_decomposerEEE10hipError_tT1_T2_PT3_SE_jT4_jjP12ihipStream_tbEUlT_E_NS1_11comp_targetILNS1_3genE6ELNS1_11target_archE950ELNS1_3gpuE13ELNS1_3repE0EEENS1_52radix_sort_onesweep_histogram_config_static_selectorELNS0_4arch9wavefront6targetE1EEEvSC_,@function
_ZN7rocprim17ROCPRIM_400000_NS6detail17trampoline_kernelINS0_14default_configENS1_35radix_sort_onesweep_config_selectorIdNS0_10empty_typeEEEZNS1_34radix_sort_onesweep_global_offsetsIS3_Lb1EPdPS5_mNS0_19identity_decomposerEEE10hipError_tT1_T2_PT3_SE_jT4_jjP12ihipStream_tbEUlT_E_NS1_11comp_targetILNS1_3genE6ELNS1_11target_archE950ELNS1_3gpuE13ELNS1_3repE0EEENS1_52radix_sort_onesweep_histogram_config_static_selectorELNS0_4arch9wavefront6targetE1EEEvSC_: ; @_ZN7rocprim17ROCPRIM_400000_NS6detail17trampoline_kernelINS0_14default_configENS1_35radix_sort_onesweep_config_selectorIdNS0_10empty_typeEEEZNS1_34radix_sort_onesweep_global_offsetsIS3_Lb1EPdPS5_mNS0_19identity_decomposerEEE10hipError_tT1_T2_PT3_SE_jT4_jjP12ihipStream_tbEUlT_E_NS1_11comp_targetILNS1_3genE6ELNS1_11target_archE950ELNS1_3gpuE13ELNS1_3repE0EEENS1_52radix_sort_onesweep_histogram_config_static_selectorELNS0_4arch9wavefront6targetE1EEEvSC_
; %bb.0:
	.section	.rodata,"a",@progbits
	.p2align	6, 0x0
	.amdhsa_kernel _ZN7rocprim17ROCPRIM_400000_NS6detail17trampoline_kernelINS0_14default_configENS1_35radix_sort_onesweep_config_selectorIdNS0_10empty_typeEEEZNS1_34radix_sort_onesweep_global_offsetsIS3_Lb1EPdPS5_mNS0_19identity_decomposerEEE10hipError_tT1_T2_PT3_SE_jT4_jjP12ihipStream_tbEUlT_E_NS1_11comp_targetILNS1_3genE6ELNS1_11target_archE950ELNS1_3gpuE13ELNS1_3repE0EEENS1_52radix_sort_onesweep_histogram_config_static_selectorELNS0_4arch9wavefront6targetE1EEEvSC_
		.amdhsa_group_segment_fixed_size 0
		.amdhsa_private_segment_fixed_size 0
		.amdhsa_kernarg_size 48
		.amdhsa_user_sgpr_count 6
		.amdhsa_user_sgpr_private_segment_buffer 1
		.amdhsa_user_sgpr_dispatch_ptr 0
		.amdhsa_user_sgpr_queue_ptr 0
		.amdhsa_user_sgpr_kernarg_segment_ptr 1
		.amdhsa_user_sgpr_dispatch_id 0
		.amdhsa_user_sgpr_flat_scratch_init 0
		.amdhsa_user_sgpr_kernarg_preload_length 0
		.amdhsa_user_sgpr_kernarg_preload_offset 0
		.amdhsa_user_sgpr_private_segment_size 0
		.amdhsa_uses_dynamic_stack 0
		.amdhsa_system_sgpr_private_segment_wavefront_offset 0
		.amdhsa_system_sgpr_workgroup_id_x 1
		.amdhsa_system_sgpr_workgroup_id_y 0
		.amdhsa_system_sgpr_workgroup_id_z 0
		.amdhsa_system_sgpr_workgroup_info 0
		.amdhsa_system_vgpr_workitem_id 0
		.amdhsa_next_free_vgpr 1
		.amdhsa_next_free_sgpr 0
		.amdhsa_accum_offset 4
		.amdhsa_reserve_vcc 0
		.amdhsa_reserve_flat_scratch 0
		.amdhsa_float_round_mode_32 0
		.amdhsa_float_round_mode_16_64 0
		.amdhsa_float_denorm_mode_32 3
		.amdhsa_float_denorm_mode_16_64 3
		.amdhsa_dx10_clamp 1
		.amdhsa_ieee_mode 1
		.amdhsa_fp16_overflow 0
		.amdhsa_tg_split 0
		.amdhsa_exception_fp_ieee_invalid_op 0
		.amdhsa_exception_fp_denorm_src 0
		.amdhsa_exception_fp_ieee_div_zero 0
		.amdhsa_exception_fp_ieee_overflow 0
		.amdhsa_exception_fp_ieee_underflow 0
		.amdhsa_exception_fp_ieee_inexact 0
		.amdhsa_exception_int_div_zero 0
	.end_amdhsa_kernel
	.section	.text._ZN7rocprim17ROCPRIM_400000_NS6detail17trampoline_kernelINS0_14default_configENS1_35radix_sort_onesweep_config_selectorIdNS0_10empty_typeEEEZNS1_34radix_sort_onesweep_global_offsetsIS3_Lb1EPdPS5_mNS0_19identity_decomposerEEE10hipError_tT1_T2_PT3_SE_jT4_jjP12ihipStream_tbEUlT_E_NS1_11comp_targetILNS1_3genE6ELNS1_11target_archE950ELNS1_3gpuE13ELNS1_3repE0EEENS1_52radix_sort_onesweep_histogram_config_static_selectorELNS0_4arch9wavefront6targetE1EEEvSC_,"axG",@progbits,_ZN7rocprim17ROCPRIM_400000_NS6detail17trampoline_kernelINS0_14default_configENS1_35radix_sort_onesweep_config_selectorIdNS0_10empty_typeEEEZNS1_34radix_sort_onesweep_global_offsetsIS3_Lb1EPdPS5_mNS0_19identity_decomposerEEE10hipError_tT1_T2_PT3_SE_jT4_jjP12ihipStream_tbEUlT_E_NS1_11comp_targetILNS1_3genE6ELNS1_11target_archE950ELNS1_3gpuE13ELNS1_3repE0EEENS1_52radix_sort_onesweep_histogram_config_static_selectorELNS0_4arch9wavefront6targetE1EEEvSC_,comdat
.Lfunc_end2598:
	.size	_ZN7rocprim17ROCPRIM_400000_NS6detail17trampoline_kernelINS0_14default_configENS1_35radix_sort_onesweep_config_selectorIdNS0_10empty_typeEEEZNS1_34radix_sort_onesweep_global_offsetsIS3_Lb1EPdPS5_mNS0_19identity_decomposerEEE10hipError_tT1_T2_PT3_SE_jT4_jjP12ihipStream_tbEUlT_E_NS1_11comp_targetILNS1_3genE6ELNS1_11target_archE950ELNS1_3gpuE13ELNS1_3repE0EEENS1_52radix_sort_onesweep_histogram_config_static_selectorELNS0_4arch9wavefront6targetE1EEEvSC_, .Lfunc_end2598-_ZN7rocprim17ROCPRIM_400000_NS6detail17trampoline_kernelINS0_14default_configENS1_35radix_sort_onesweep_config_selectorIdNS0_10empty_typeEEEZNS1_34radix_sort_onesweep_global_offsetsIS3_Lb1EPdPS5_mNS0_19identity_decomposerEEE10hipError_tT1_T2_PT3_SE_jT4_jjP12ihipStream_tbEUlT_E_NS1_11comp_targetILNS1_3genE6ELNS1_11target_archE950ELNS1_3gpuE13ELNS1_3repE0EEENS1_52radix_sort_onesweep_histogram_config_static_selectorELNS0_4arch9wavefront6targetE1EEEvSC_
                                        ; -- End function
	.section	.AMDGPU.csdata,"",@progbits
; Kernel info:
; codeLenInByte = 0
; NumSgprs: 4
; NumVgprs: 0
; NumAgprs: 0
; TotalNumVgprs: 0
; ScratchSize: 0
; MemoryBound: 0
; FloatMode: 240
; IeeeMode: 1
; LDSByteSize: 0 bytes/workgroup (compile time only)
; SGPRBlocks: 0
; VGPRBlocks: 0
; NumSGPRsForWavesPerEU: 4
; NumVGPRsForWavesPerEU: 1
; AccumOffset: 4
; Occupancy: 8
; WaveLimiterHint : 0
; COMPUTE_PGM_RSRC2:SCRATCH_EN: 0
; COMPUTE_PGM_RSRC2:USER_SGPR: 6
; COMPUTE_PGM_RSRC2:TRAP_HANDLER: 0
; COMPUTE_PGM_RSRC2:TGID_X_EN: 1
; COMPUTE_PGM_RSRC2:TGID_Y_EN: 0
; COMPUTE_PGM_RSRC2:TGID_Z_EN: 0
; COMPUTE_PGM_RSRC2:TIDIG_COMP_CNT: 0
; COMPUTE_PGM_RSRC3_GFX90A:ACCUM_OFFSET: 0
; COMPUTE_PGM_RSRC3_GFX90A:TG_SPLIT: 0
	.section	.text._ZN7rocprim17ROCPRIM_400000_NS6detail17trampoline_kernelINS0_14default_configENS1_35radix_sort_onesweep_config_selectorIdNS0_10empty_typeEEEZNS1_34radix_sort_onesweep_global_offsetsIS3_Lb1EPdPS5_mNS0_19identity_decomposerEEE10hipError_tT1_T2_PT3_SE_jT4_jjP12ihipStream_tbEUlT_E_NS1_11comp_targetILNS1_3genE5ELNS1_11target_archE942ELNS1_3gpuE9ELNS1_3repE0EEENS1_52radix_sort_onesweep_histogram_config_static_selectorELNS0_4arch9wavefront6targetE1EEEvSC_,"axG",@progbits,_ZN7rocprim17ROCPRIM_400000_NS6detail17trampoline_kernelINS0_14default_configENS1_35radix_sort_onesweep_config_selectorIdNS0_10empty_typeEEEZNS1_34radix_sort_onesweep_global_offsetsIS3_Lb1EPdPS5_mNS0_19identity_decomposerEEE10hipError_tT1_T2_PT3_SE_jT4_jjP12ihipStream_tbEUlT_E_NS1_11comp_targetILNS1_3genE5ELNS1_11target_archE942ELNS1_3gpuE9ELNS1_3repE0EEENS1_52radix_sort_onesweep_histogram_config_static_selectorELNS0_4arch9wavefront6targetE1EEEvSC_,comdat
	.protected	_ZN7rocprim17ROCPRIM_400000_NS6detail17trampoline_kernelINS0_14default_configENS1_35radix_sort_onesweep_config_selectorIdNS0_10empty_typeEEEZNS1_34radix_sort_onesweep_global_offsetsIS3_Lb1EPdPS5_mNS0_19identity_decomposerEEE10hipError_tT1_T2_PT3_SE_jT4_jjP12ihipStream_tbEUlT_E_NS1_11comp_targetILNS1_3genE5ELNS1_11target_archE942ELNS1_3gpuE9ELNS1_3repE0EEENS1_52radix_sort_onesweep_histogram_config_static_selectorELNS0_4arch9wavefront6targetE1EEEvSC_ ; -- Begin function _ZN7rocprim17ROCPRIM_400000_NS6detail17trampoline_kernelINS0_14default_configENS1_35radix_sort_onesweep_config_selectorIdNS0_10empty_typeEEEZNS1_34radix_sort_onesweep_global_offsetsIS3_Lb1EPdPS5_mNS0_19identity_decomposerEEE10hipError_tT1_T2_PT3_SE_jT4_jjP12ihipStream_tbEUlT_E_NS1_11comp_targetILNS1_3genE5ELNS1_11target_archE942ELNS1_3gpuE9ELNS1_3repE0EEENS1_52radix_sort_onesweep_histogram_config_static_selectorELNS0_4arch9wavefront6targetE1EEEvSC_
	.globl	_ZN7rocprim17ROCPRIM_400000_NS6detail17trampoline_kernelINS0_14default_configENS1_35radix_sort_onesweep_config_selectorIdNS0_10empty_typeEEEZNS1_34radix_sort_onesweep_global_offsetsIS3_Lb1EPdPS5_mNS0_19identity_decomposerEEE10hipError_tT1_T2_PT3_SE_jT4_jjP12ihipStream_tbEUlT_E_NS1_11comp_targetILNS1_3genE5ELNS1_11target_archE942ELNS1_3gpuE9ELNS1_3repE0EEENS1_52radix_sort_onesweep_histogram_config_static_selectorELNS0_4arch9wavefront6targetE1EEEvSC_
	.p2align	8
	.type	_ZN7rocprim17ROCPRIM_400000_NS6detail17trampoline_kernelINS0_14default_configENS1_35radix_sort_onesweep_config_selectorIdNS0_10empty_typeEEEZNS1_34radix_sort_onesweep_global_offsetsIS3_Lb1EPdPS5_mNS0_19identity_decomposerEEE10hipError_tT1_T2_PT3_SE_jT4_jjP12ihipStream_tbEUlT_E_NS1_11comp_targetILNS1_3genE5ELNS1_11target_archE942ELNS1_3gpuE9ELNS1_3repE0EEENS1_52radix_sort_onesweep_histogram_config_static_selectorELNS0_4arch9wavefront6targetE1EEEvSC_,@function
_ZN7rocprim17ROCPRIM_400000_NS6detail17trampoline_kernelINS0_14default_configENS1_35radix_sort_onesweep_config_selectorIdNS0_10empty_typeEEEZNS1_34radix_sort_onesweep_global_offsetsIS3_Lb1EPdPS5_mNS0_19identity_decomposerEEE10hipError_tT1_T2_PT3_SE_jT4_jjP12ihipStream_tbEUlT_E_NS1_11comp_targetILNS1_3genE5ELNS1_11target_archE942ELNS1_3gpuE9ELNS1_3repE0EEENS1_52radix_sort_onesweep_histogram_config_static_selectorELNS0_4arch9wavefront6targetE1EEEvSC_: ; @_ZN7rocprim17ROCPRIM_400000_NS6detail17trampoline_kernelINS0_14default_configENS1_35radix_sort_onesweep_config_selectorIdNS0_10empty_typeEEEZNS1_34radix_sort_onesweep_global_offsetsIS3_Lb1EPdPS5_mNS0_19identity_decomposerEEE10hipError_tT1_T2_PT3_SE_jT4_jjP12ihipStream_tbEUlT_E_NS1_11comp_targetILNS1_3genE5ELNS1_11target_archE942ELNS1_3gpuE9ELNS1_3repE0EEENS1_52radix_sort_onesweep_histogram_config_static_selectorELNS0_4arch9wavefront6targetE1EEEvSC_
; %bb.0:
	.section	.rodata,"a",@progbits
	.p2align	6, 0x0
	.amdhsa_kernel _ZN7rocprim17ROCPRIM_400000_NS6detail17trampoline_kernelINS0_14default_configENS1_35radix_sort_onesweep_config_selectorIdNS0_10empty_typeEEEZNS1_34radix_sort_onesweep_global_offsetsIS3_Lb1EPdPS5_mNS0_19identity_decomposerEEE10hipError_tT1_T2_PT3_SE_jT4_jjP12ihipStream_tbEUlT_E_NS1_11comp_targetILNS1_3genE5ELNS1_11target_archE942ELNS1_3gpuE9ELNS1_3repE0EEENS1_52radix_sort_onesweep_histogram_config_static_selectorELNS0_4arch9wavefront6targetE1EEEvSC_
		.amdhsa_group_segment_fixed_size 0
		.amdhsa_private_segment_fixed_size 0
		.amdhsa_kernarg_size 48
		.amdhsa_user_sgpr_count 6
		.amdhsa_user_sgpr_private_segment_buffer 1
		.amdhsa_user_sgpr_dispatch_ptr 0
		.amdhsa_user_sgpr_queue_ptr 0
		.amdhsa_user_sgpr_kernarg_segment_ptr 1
		.amdhsa_user_sgpr_dispatch_id 0
		.amdhsa_user_sgpr_flat_scratch_init 0
		.amdhsa_user_sgpr_kernarg_preload_length 0
		.amdhsa_user_sgpr_kernarg_preload_offset 0
		.amdhsa_user_sgpr_private_segment_size 0
		.amdhsa_uses_dynamic_stack 0
		.amdhsa_system_sgpr_private_segment_wavefront_offset 0
		.amdhsa_system_sgpr_workgroup_id_x 1
		.amdhsa_system_sgpr_workgroup_id_y 0
		.amdhsa_system_sgpr_workgroup_id_z 0
		.amdhsa_system_sgpr_workgroup_info 0
		.amdhsa_system_vgpr_workitem_id 0
		.amdhsa_next_free_vgpr 1
		.amdhsa_next_free_sgpr 0
		.amdhsa_accum_offset 4
		.amdhsa_reserve_vcc 0
		.amdhsa_reserve_flat_scratch 0
		.amdhsa_float_round_mode_32 0
		.amdhsa_float_round_mode_16_64 0
		.amdhsa_float_denorm_mode_32 3
		.amdhsa_float_denorm_mode_16_64 3
		.amdhsa_dx10_clamp 1
		.amdhsa_ieee_mode 1
		.amdhsa_fp16_overflow 0
		.amdhsa_tg_split 0
		.amdhsa_exception_fp_ieee_invalid_op 0
		.amdhsa_exception_fp_denorm_src 0
		.amdhsa_exception_fp_ieee_div_zero 0
		.amdhsa_exception_fp_ieee_overflow 0
		.amdhsa_exception_fp_ieee_underflow 0
		.amdhsa_exception_fp_ieee_inexact 0
		.amdhsa_exception_int_div_zero 0
	.end_amdhsa_kernel
	.section	.text._ZN7rocprim17ROCPRIM_400000_NS6detail17trampoline_kernelINS0_14default_configENS1_35radix_sort_onesweep_config_selectorIdNS0_10empty_typeEEEZNS1_34radix_sort_onesweep_global_offsetsIS3_Lb1EPdPS5_mNS0_19identity_decomposerEEE10hipError_tT1_T2_PT3_SE_jT4_jjP12ihipStream_tbEUlT_E_NS1_11comp_targetILNS1_3genE5ELNS1_11target_archE942ELNS1_3gpuE9ELNS1_3repE0EEENS1_52radix_sort_onesweep_histogram_config_static_selectorELNS0_4arch9wavefront6targetE1EEEvSC_,"axG",@progbits,_ZN7rocprim17ROCPRIM_400000_NS6detail17trampoline_kernelINS0_14default_configENS1_35radix_sort_onesweep_config_selectorIdNS0_10empty_typeEEEZNS1_34radix_sort_onesweep_global_offsetsIS3_Lb1EPdPS5_mNS0_19identity_decomposerEEE10hipError_tT1_T2_PT3_SE_jT4_jjP12ihipStream_tbEUlT_E_NS1_11comp_targetILNS1_3genE5ELNS1_11target_archE942ELNS1_3gpuE9ELNS1_3repE0EEENS1_52radix_sort_onesweep_histogram_config_static_selectorELNS0_4arch9wavefront6targetE1EEEvSC_,comdat
.Lfunc_end2599:
	.size	_ZN7rocprim17ROCPRIM_400000_NS6detail17trampoline_kernelINS0_14default_configENS1_35radix_sort_onesweep_config_selectorIdNS0_10empty_typeEEEZNS1_34radix_sort_onesweep_global_offsetsIS3_Lb1EPdPS5_mNS0_19identity_decomposerEEE10hipError_tT1_T2_PT3_SE_jT4_jjP12ihipStream_tbEUlT_E_NS1_11comp_targetILNS1_3genE5ELNS1_11target_archE942ELNS1_3gpuE9ELNS1_3repE0EEENS1_52radix_sort_onesweep_histogram_config_static_selectorELNS0_4arch9wavefront6targetE1EEEvSC_, .Lfunc_end2599-_ZN7rocprim17ROCPRIM_400000_NS6detail17trampoline_kernelINS0_14default_configENS1_35radix_sort_onesweep_config_selectorIdNS0_10empty_typeEEEZNS1_34radix_sort_onesweep_global_offsetsIS3_Lb1EPdPS5_mNS0_19identity_decomposerEEE10hipError_tT1_T2_PT3_SE_jT4_jjP12ihipStream_tbEUlT_E_NS1_11comp_targetILNS1_3genE5ELNS1_11target_archE942ELNS1_3gpuE9ELNS1_3repE0EEENS1_52radix_sort_onesweep_histogram_config_static_selectorELNS0_4arch9wavefront6targetE1EEEvSC_
                                        ; -- End function
	.section	.AMDGPU.csdata,"",@progbits
; Kernel info:
; codeLenInByte = 0
; NumSgprs: 4
; NumVgprs: 0
; NumAgprs: 0
; TotalNumVgprs: 0
; ScratchSize: 0
; MemoryBound: 0
; FloatMode: 240
; IeeeMode: 1
; LDSByteSize: 0 bytes/workgroup (compile time only)
; SGPRBlocks: 0
; VGPRBlocks: 0
; NumSGPRsForWavesPerEU: 4
; NumVGPRsForWavesPerEU: 1
; AccumOffset: 4
; Occupancy: 8
; WaveLimiterHint : 0
; COMPUTE_PGM_RSRC2:SCRATCH_EN: 0
; COMPUTE_PGM_RSRC2:USER_SGPR: 6
; COMPUTE_PGM_RSRC2:TRAP_HANDLER: 0
; COMPUTE_PGM_RSRC2:TGID_X_EN: 1
; COMPUTE_PGM_RSRC2:TGID_Y_EN: 0
; COMPUTE_PGM_RSRC2:TGID_Z_EN: 0
; COMPUTE_PGM_RSRC2:TIDIG_COMP_CNT: 0
; COMPUTE_PGM_RSRC3_GFX90A:ACCUM_OFFSET: 0
; COMPUTE_PGM_RSRC3_GFX90A:TG_SPLIT: 0
	.section	.text._ZN7rocprim17ROCPRIM_400000_NS6detail17trampoline_kernelINS0_14default_configENS1_35radix_sort_onesweep_config_selectorIdNS0_10empty_typeEEEZNS1_34radix_sort_onesweep_global_offsetsIS3_Lb1EPdPS5_mNS0_19identity_decomposerEEE10hipError_tT1_T2_PT3_SE_jT4_jjP12ihipStream_tbEUlT_E_NS1_11comp_targetILNS1_3genE2ELNS1_11target_archE906ELNS1_3gpuE6ELNS1_3repE0EEENS1_52radix_sort_onesweep_histogram_config_static_selectorELNS0_4arch9wavefront6targetE1EEEvSC_,"axG",@progbits,_ZN7rocprim17ROCPRIM_400000_NS6detail17trampoline_kernelINS0_14default_configENS1_35radix_sort_onesweep_config_selectorIdNS0_10empty_typeEEEZNS1_34radix_sort_onesweep_global_offsetsIS3_Lb1EPdPS5_mNS0_19identity_decomposerEEE10hipError_tT1_T2_PT3_SE_jT4_jjP12ihipStream_tbEUlT_E_NS1_11comp_targetILNS1_3genE2ELNS1_11target_archE906ELNS1_3gpuE6ELNS1_3repE0EEENS1_52radix_sort_onesweep_histogram_config_static_selectorELNS0_4arch9wavefront6targetE1EEEvSC_,comdat
	.protected	_ZN7rocprim17ROCPRIM_400000_NS6detail17trampoline_kernelINS0_14default_configENS1_35radix_sort_onesweep_config_selectorIdNS0_10empty_typeEEEZNS1_34radix_sort_onesweep_global_offsetsIS3_Lb1EPdPS5_mNS0_19identity_decomposerEEE10hipError_tT1_T2_PT3_SE_jT4_jjP12ihipStream_tbEUlT_E_NS1_11comp_targetILNS1_3genE2ELNS1_11target_archE906ELNS1_3gpuE6ELNS1_3repE0EEENS1_52radix_sort_onesweep_histogram_config_static_selectorELNS0_4arch9wavefront6targetE1EEEvSC_ ; -- Begin function _ZN7rocprim17ROCPRIM_400000_NS6detail17trampoline_kernelINS0_14default_configENS1_35radix_sort_onesweep_config_selectorIdNS0_10empty_typeEEEZNS1_34radix_sort_onesweep_global_offsetsIS3_Lb1EPdPS5_mNS0_19identity_decomposerEEE10hipError_tT1_T2_PT3_SE_jT4_jjP12ihipStream_tbEUlT_E_NS1_11comp_targetILNS1_3genE2ELNS1_11target_archE906ELNS1_3gpuE6ELNS1_3repE0EEENS1_52radix_sort_onesweep_histogram_config_static_selectorELNS0_4arch9wavefront6targetE1EEEvSC_
	.globl	_ZN7rocprim17ROCPRIM_400000_NS6detail17trampoline_kernelINS0_14default_configENS1_35radix_sort_onesweep_config_selectorIdNS0_10empty_typeEEEZNS1_34radix_sort_onesweep_global_offsetsIS3_Lb1EPdPS5_mNS0_19identity_decomposerEEE10hipError_tT1_T2_PT3_SE_jT4_jjP12ihipStream_tbEUlT_E_NS1_11comp_targetILNS1_3genE2ELNS1_11target_archE906ELNS1_3gpuE6ELNS1_3repE0EEENS1_52radix_sort_onesweep_histogram_config_static_selectorELNS0_4arch9wavefront6targetE1EEEvSC_
	.p2align	8
	.type	_ZN7rocprim17ROCPRIM_400000_NS6detail17trampoline_kernelINS0_14default_configENS1_35radix_sort_onesweep_config_selectorIdNS0_10empty_typeEEEZNS1_34radix_sort_onesweep_global_offsetsIS3_Lb1EPdPS5_mNS0_19identity_decomposerEEE10hipError_tT1_T2_PT3_SE_jT4_jjP12ihipStream_tbEUlT_E_NS1_11comp_targetILNS1_3genE2ELNS1_11target_archE906ELNS1_3gpuE6ELNS1_3repE0EEENS1_52radix_sort_onesweep_histogram_config_static_selectorELNS0_4arch9wavefront6targetE1EEEvSC_,@function
_ZN7rocprim17ROCPRIM_400000_NS6detail17trampoline_kernelINS0_14default_configENS1_35radix_sort_onesweep_config_selectorIdNS0_10empty_typeEEEZNS1_34radix_sort_onesweep_global_offsetsIS3_Lb1EPdPS5_mNS0_19identity_decomposerEEE10hipError_tT1_T2_PT3_SE_jT4_jjP12ihipStream_tbEUlT_E_NS1_11comp_targetILNS1_3genE2ELNS1_11target_archE906ELNS1_3gpuE6ELNS1_3repE0EEENS1_52radix_sort_onesweep_histogram_config_static_selectorELNS0_4arch9wavefront6targetE1EEEvSC_: ; @_ZN7rocprim17ROCPRIM_400000_NS6detail17trampoline_kernelINS0_14default_configENS1_35radix_sort_onesweep_config_selectorIdNS0_10empty_typeEEEZNS1_34radix_sort_onesweep_global_offsetsIS3_Lb1EPdPS5_mNS0_19identity_decomposerEEE10hipError_tT1_T2_PT3_SE_jT4_jjP12ihipStream_tbEUlT_E_NS1_11comp_targetILNS1_3genE2ELNS1_11target_archE906ELNS1_3gpuE6ELNS1_3repE0EEENS1_52radix_sort_onesweep_histogram_config_static_selectorELNS0_4arch9wavefront6targetE1EEEvSC_
; %bb.0:
	.section	.rodata,"a",@progbits
	.p2align	6, 0x0
	.amdhsa_kernel _ZN7rocprim17ROCPRIM_400000_NS6detail17trampoline_kernelINS0_14default_configENS1_35radix_sort_onesweep_config_selectorIdNS0_10empty_typeEEEZNS1_34radix_sort_onesweep_global_offsetsIS3_Lb1EPdPS5_mNS0_19identity_decomposerEEE10hipError_tT1_T2_PT3_SE_jT4_jjP12ihipStream_tbEUlT_E_NS1_11comp_targetILNS1_3genE2ELNS1_11target_archE906ELNS1_3gpuE6ELNS1_3repE0EEENS1_52radix_sort_onesweep_histogram_config_static_selectorELNS0_4arch9wavefront6targetE1EEEvSC_
		.amdhsa_group_segment_fixed_size 0
		.amdhsa_private_segment_fixed_size 0
		.amdhsa_kernarg_size 48
		.amdhsa_user_sgpr_count 6
		.amdhsa_user_sgpr_private_segment_buffer 1
		.amdhsa_user_sgpr_dispatch_ptr 0
		.amdhsa_user_sgpr_queue_ptr 0
		.amdhsa_user_sgpr_kernarg_segment_ptr 1
		.amdhsa_user_sgpr_dispatch_id 0
		.amdhsa_user_sgpr_flat_scratch_init 0
		.amdhsa_user_sgpr_kernarg_preload_length 0
		.amdhsa_user_sgpr_kernarg_preload_offset 0
		.amdhsa_user_sgpr_private_segment_size 0
		.amdhsa_uses_dynamic_stack 0
		.amdhsa_system_sgpr_private_segment_wavefront_offset 0
		.amdhsa_system_sgpr_workgroup_id_x 1
		.amdhsa_system_sgpr_workgroup_id_y 0
		.amdhsa_system_sgpr_workgroup_id_z 0
		.amdhsa_system_sgpr_workgroup_info 0
		.amdhsa_system_vgpr_workitem_id 0
		.amdhsa_next_free_vgpr 1
		.amdhsa_next_free_sgpr 0
		.amdhsa_accum_offset 4
		.amdhsa_reserve_vcc 0
		.amdhsa_reserve_flat_scratch 0
		.amdhsa_float_round_mode_32 0
		.amdhsa_float_round_mode_16_64 0
		.amdhsa_float_denorm_mode_32 3
		.amdhsa_float_denorm_mode_16_64 3
		.amdhsa_dx10_clamp 1
		.amdhsa_ieee_mode 1
		.amdhsa_fp16_overflow 0
		.amdhsa_tg_split 0
		.amdhsa_exception_fp_ieee_invalid_op 0
		.amdhsa_exception_fp_denorm_src 0
		.amdhsa_exception_fp_ieee_div_zero 0
		.amdhsa_exception_fp_ieee_overflow 0
		.amdhsa_exception_fp_ieee_underflow 0
		.amdhsa_exception_fp_ieee_inexact 0
		.amdhsa_exception_int_div_zero 0
	.end_amdhsa_kernel
	.section	.text._ZN7rocprim17ROCPRIM_400000_NS6detail17trampoline_kernelINS0_14default_configENS1_35radix_sort_onesweep_config_selectorIdNS0_10empty_typeEEEZNS1_34radix_sort_onesweep_global_offsetsIS3_Lb1EPdPS5_mNS0_19identity_decomposerEEE10hipError_tT1_T2_PT3_SE_jT4_jjP12ihipStream_tbEUlT_E_NS1_11comp_targetILNS1_3genE2ELNS1_11target_archE906ELNS1_3gpuE6ELNS1_3repE0EEENS1_52radix_sort_onesweep_histogram_config_static_selectorELNS0_4arch9wavefront6targetE1EEEvSC_,"axG",@progbits,_ZN7rocprim17ROCPRIM_400000_NS6detail17trampoline_kernelINS0_14default_configENS1_35radix_sort_onesweep_config_selectorIdNS0_10empty_typeEEEZNS1_34radix_sort_onesweep_global_offsetsIS3_Lb1EPdPS5_mNS0_19identity_decomposerEEE10hipError_tT1_T2_PT3_SE_jT4_jjP12ihipStream_tbEUlT_E_NS1_11comp_targetILNS1_3genE2ELNS1_11target_archE906ELNS1_3gpuE6ELNS1_3repE0EEENS1_52radix_sort_onesweep_histogram_config_static_selectorELNS0_4arch9wavefront6targetE1EEEvSC_,comdat
.Lfunc_end2600:
	.size	_ZN7rocprim17ROCPRIM_400000_NS6detail17trampoline_kernelINS0_14default_configENS1_35radix_sort_onesweep_config_selectorIdNS0_10empty_typeEEEZNS1_34radix_sort_onesweep_global_offsetsIS3_Lb1EPdPS5_mNS0_19identity_decomposerEEE10hipError_tT1_T2_PT3_SE_jT4_jjP12ihipStream_tbEUlT_E_NS1_11comp_targetILNS1_3genE2ELNS1_11target_archE906ELNS1_3gpuE6ELNS1_3repE0EEENS1_52radix_sort_onesweep_histogram_config_static_selectorELNS0_4arch9wavefront6targetE1EEEvSC_, .Lfunc_end2600-_ZN7rocprim17ROCPRIM_400000_NS6detail17trampoline_kernelINS0_14default_configENS1_35radix_sort_onesweep_config_selectorIdNS0_10empty_typeEEEZNS1_34radix_sort_onesweep_global_offsetsIS3_Lb1EPdPS5_mNS0_19identity_decomposerEEE10hipError_tT1_T2_PT3_SE_jT4_jjP12ihipStream_tbEUlT_E_NS1_11comp_targetILNS1_3genE2ELNS1_11target_archE906ELNS1_3gpuE6ELNS1_3repE0EEENS1_52radix_sort_onesweep_histogram_config_static_selectorELNS0_4arch9wavefront6targetE1EEEvSC_
                                        ; -- End function
	.section	.AMDGPU.csdata,"",@progbits
; Kernel info:
; codeLenInByte = 0
; NumSgprs: 4
; NumVgprs: 0
; NumAgprs: 0
; TotalNumVgprs: 0
; ScratchSize: 0
; MemoryBound: 0
; FloatMode: 240
; IeeeMode: 1
; LDSByteSize: 0 bytes/workgroup (compile time only)
; SGPRBlocks: 0
; VGPRBlocks: 0
; NumSGPRsForWavesPerEU: 4
; NumVGPRsForWavesPerEU: 1
; AccumOffset: 4
; Occupancy: 8
; WaveLimiterHint : 0
; COMPUTE_PGM_RSRC2:SCRATCH_EN: 0
; COMPUTE_PGM_RSRC2:USER_SGPR: 6
; COMPUTE_PGM_RSRC2:TRAP_HANDLER: 0
; COMPUTE_PGM_RSRC2:TGID_X_EN: 1
; COMPUTE_PGM_RSRC2:TGID_Y_EN: 0
; COMPUTE_PGM_RSRC2:TGID_Z_EN: 0
; COMPUTE_PGM_RSRC2:TIDIG_COMP_CNT: 0
; COMPUTE_PGM_RSRC3_GFX90A:ACCUM_OFFSET: 0
; COMPUTE_PGM_RSRC3_GFX90A:TG_SPLIT: 0
	.section	.text._ZN7rocprim17ROCPRIM_400000_NS6detail17trampoline_kernelINS0_14default_configENS1_35radix_sort_onesweep_config_selectorIdNS0_10empty_typeEEEZNS1_34radix_sort_onesweep_global_offsetsIS3_Lb1EPdPS5_mNS0_19identity_decomposerEEE10hipError_tT1_T2_PT3_SE_jT4_jjP12ihipStream_tbEUlT_E_NS1_11comp_targetILNS1_3genE4ELNS1_11target_archE910ELNS1_3gpuE8ELNS1_3repE0EEENS1_52radix_sort_onesweep_histogram_config_static_selectorELNS0_4arch9wavefront6targetE1EEEvSC_,"axG",@progbits,_ZN7rocprim17ROCPRIM_400000_NS6detail17trampoline_kernelINS0_14default_configENS1_35radix_sort_onesweep_config_selectorIdNS0_10empty_typeEEEZNS1_34radix_sort_onesweep_global_offsetsIS3_Lb1EPdPS5_mNS0_19identity_decomposerEEE10hipError_tT1_T2_PT3_SE_jT4_jjP12ihipStream_tbEUlT_E_NS1_11comp_targetILNS1_3genE4ELNS1_11target_archE910ELNS1_3gpuE8ELNS1_3repE0EEENS1_52radix_sort_onesweep_histogram_config_static_selectorELNS0_4arch9wavefront6targetE1EEEvSC_,comdat
	.protected	_ZN7rocprim17ROCPRIM_400000_NS6detail17trampoline_kernelINS0_14default_configENS1_35radix_sort_onesweep_config_selectorIdNS0_10empty_typeEEEZNS1_34radix_sort_onesweep_global_offsetsIS3_Lb1EPdPS5_mNS0_19identity_decomposerEEE10hipError_tT1_T2_PT3_SE_jT4_jjP12ihipStream_tbEUlT_E_NS1_11comp_targetILNS1_3genE4ELNS1_11target_archE910ELNS1_3gpuE8ELNS1_3repE0EEENS1_52radix_sort_onesweep_histogram_config_static_selectorELNS0_4arch9wavefront6targetE1EEEvSC_ ; -- Begin function _ZN7rocprim17ROCPRIM_400000_NS6detail17trampoline_kernelINS0_14default_configENS1_35radix_sort_onesweep_config_selectorIdNS0_10empty_typeEEEZNS1_34radix_sort_onesweep_global_offsetsIS3_Lb1EPdPS5_mNS0_19identity_decomposerEEE10hipError_tT1_T2_PT3_SE_jT4_jjP12ihipStream_tbEUlT_E_NS1_11comp_targetILNS1_3genE4ELNS1_11target_archE910ELNS1_3gpuE8ELNS1_3repE0EEENS1_52radix_sort_onesweep_histogram_config_static_selectorELNS0_4arch9wavefront6targetE1EEEvSC_
	.globl	_ZN7rocprim17ROCPRIM_400000_NS6detail17trampoline_kernelINS0_14default_configENS1_35radix_sort_onesweep_config_selectorIdNS0_10empty_typeEEEZNS1_34radix_sort_onesweep_global_offsetsIS3_Lb1EPdPS5_mNS0_19identity_decomposerEEE10hipError_tT1_T2_PT3_SE_jT4_jjP12ihipStream_tbEUlT_E_NS1_11comp_targetILNS1_3genE4ELNS1_11target_archE910ELNS1_3gpuE8ELNS1_3repE0EEENS1_52radix_sort_onesweep_histogram_config_static_selectorELNS0_4arch9wavefront6targetE1EEEvSC_
	.p2align	8
	.type	_ZN7rocprim17ROCPRIM_400000_NS6detail17trampoline_kernelINS0_14default_configENS1_35radix_sort_onesweep_config_selectorIdNS0_10empty_typeEEEZNS1_34radix_sort_onesweep_global_offsetsIS3_Lb1EPdPS5_mNS0_19identity_decomposerEEE10hipError_tT1_T2_PT3_SE_jT4_jjP12ihipStream_tbEUlT_E_NS1_11comp_targetILNS1_3genE4ELNS1_11target_archE910ELNS1_3gpuE8ELNS1_3repE0EEENS1_52radix_sort_onesweep_histogram_config_static_selectorELNS0_4arch9wavefront6targetE1EEEvSC_,@function
_ZN7rocprim17ROCPRIM_400000_NS6detail17trampoline_kernelINS0_14default_configENS1_35radix_sort_onesweep_config_selectorIdNS0_10empty_typeEEEZNS1_34radix_sort_onesweep_global_offsetsIS3_Lb1EPdPS5_mNS0_19identity_decomposerEEE10hipError_tT1_T2_PT3_SE_jT4_jjP12ihipStream_tbEUlT_E_NS1_11comp_targetILNS1_3genE4ELNS1_11target_archE910ELNS1_3gpuE8ELNS1_3repE0EEENS1_52radix_sort_onesweep_histogram_config_static_selectorELNS0_4arch9wavefront6targetE1EEEvSC_: ; @_ZN7rocprim17ROCPRIM_400000_NS6detail17trampoline_kernelINS0_14default_configENS1_35radix_sort_onesweep_config_selectorIdNS0_10empty_typeEEEZNS1_34radix_sort_onesweep_global_offsetsIS3_Lb1EPdPS5_mNS0_19identity_decomposerEEE10hipError_tT1_T2_PT3_SE_jT4_jjP12ihipStream_tbEUlT_E_NS1_11comp_targetILNS1_3genE4ELNS1_11target_archE910ELNS1_3gpuE8ELNS1_3repE0EEENS1_52radix_sort_onesweep_histogram_config_static_selectorELNS0_4arch9wavefront6targetE1EEEvSC_
; %bb.0:
	s_load_dwordx2 s[10:11], s[4:5], 0x18
	s_load_dwordx4 s[0:3], s[4:5], 0x0
	s_load_dwordx2 s[8:9], s[4:5], 0x24
	v_mov_b32_e32 v2, s6
	v_mov_b32_e32 v3, 0
	s_mul_hi_u32 s7, s6, 0xc000
	s_mul_i32 s6, s6, 0xc000
	s_waitcnt lgkmcnt(0)
	v_cmp_le_u64_e32 vcc, s[10:11], v[2:3]
	s_add_u32 s6, s0, s6
	s_addc_u32 s7, s1, s7
	s_mov_b64 s[0:1], -1
	s_cbranch_vccz .LBB2601_241
; %bb.1:
	s_load_dword s16, s[4:5], 0x10
	s_mul_i32 s0, s10, 0xffffe800
                                        ; implicit-def: $vgpr12_vgpr13
	s_waitcnt lgkmcnt(0)
	s_add_i32 s16, s16, s0
	v_cmp_gt_u32_e32 vcc, s16, v0
	s_and_saveexec_b64 s[0:1], vcc
	s_cbranch_execz .LBB2601_3
; %bb.2:
	v_lshlrev_b32_e32 v1, 3, v0
	global_load_dwordx2 v[12:13], v1, s[6:7]
.LBB2601_3:
	s_or_b64 exec, exec, s[0:1]
	v_or_b32_e32 v18, 0x400, v0
	v_cmp_gt_u32_e32 vcc, s16, v18
                                        ; implicit-def: $vgpr10_vgpr11
	s_and_saveexec_b64 s[0:1], vcc
	s_cbranch_execz .LBB2601_5
; %bb.4:
	v_lshlrev_b32_e32 v1, 3, v18
	global_load_dwordx2 v[10:11], v1, s[6:7]
.LBB2601_5:
	s_or_b64 exec, exec, s[0:1]
	v_or_b32_e32 v17, 0x800, v0
	v_cmp_gt_u32_e32 vcc, s16, v17
                                        ; implicit-def: $vgpr8_vgpr9
	s_and_saveexec_b64 s[0:1], vcc
	s_cbranch_execz .LBB2601_7
; %bb.6:
	v_lshlrev_b32_e32 v1, 3, v17
	global_load_dwordx2 v[8:9], v1, s[6:7]
.LBB2601_7:
	s_or_b64 exec, exec, s[0:1]
	v_or_b32_e32 v16, 0xc00, v0
	v_cmp_gt_u32_e32 vcc, s16, v16
                                        ; implicit-def: $vgpr6_vgpr7
	s_and_saveexec_b64 s[0:1], vcc
	s_cbranch_execz .LBB2601_9
; %bb.8:
	v_lshlrev_b32_e32 v1, 3, v16
	global_load_dwordx2 v[6:7], v1, s[6:7]
.LBB2601_9:
	s_or_b64 exec, exec, s[0:1]
	v_or_b32_e32 v15, 0x1000, v0
	v_cmp_gt_u32_e32 vcc, s16, v15
                                        ; implicit-def: $vgpr4_vgpr5
	s_and_saveexec_b64 s[0:1], vcc
	s_cbranch_execz .LBB2601_11
; %bb.10:
	v_lshlrev_b32_e32 v1, 3, v15
	global_load_dwordx2 v[4:5], v1, s[6:7]
.LBB2601_11:
	s_or_b64 exec, exec, s[0:1]
	v_or_b32_e32 v14, 0x1400, v0
	v_cmp_gt_u32_e32 vcc, s16, v14
                                        ; implicit-def: $vgpr2_vgpr3
	s_and_saveexec_b64 s[0:1], vcc
	s_cbranch_execz .LBB2601_13
; %bb.12:
	v_lshlrev_b32_e32 v1, 3, v14
	global_load_dwordx2 v[2:3], v1, s[6:7]
.LBB2601_13:
	s_or_b64 exec, exec, s[0:1]
	v_lshlrev_b32_e32 v19, 2, v0
	v_mov_b32_e32 v20, 0
	s_cmp_le_u32 s9, s8
	ds_write2st64_b32 v19, v20, v20 offset1:16
	ds_write2st64_b32 v19, v20, v20 offset0:32 offset1:48
	ds_write2st64_b32 v19, v20, v20 offset0:64 offset1:80
	;; [unrolled: 1-line block ×3, first 2 shown]
	v_bfrev_b32_e32 v19, -2
	s_waitcnt vmcnt(0)
	v_cmp_gt_i64_e32 vcc, 0, v[12:13]
	s_cselect_b64 s[4:5], -1, 0
	v_cndmask_b32_e64 v20, v19, 0, vcc
	v_ashrrev_i32_e32 v21, 31, v13
	v_cmp_le_u32_e32 vcc, s16, v0
	s_and_b64 s[0:1], s[4:5], exec
	v_not_b32_e32 v21, v21
	s_cselect_b32 s17, 8, 10
	s_or_b64 s[0:1], s[4:5], vcc
	v_and_b32_e32 v1, 3, v0
	v_xor_b32_e32 v13, v20, v13
	v_xor_b32_e32 v12, v21, v12
	s_xor_b64 s[0:1], s[0:1], -1
	v_mov_b32_e32 v20, s17
	s_waitcnt lgkmcnt(0)
	s_barrier
	s_and_saveexec_b64 s[10:11], s[0:1]
	s_cbranch_execz .LBB2601_15
; %bb.14:
	s_sub_i32 s0, s9, s8
	s_min_u32 s12, s0, 8
	s_mov_b32 s0, 0
	s_brev_b32 s1, 1
	v_cmp_ne_u64_e64 s[0:1], s[0:1], v[12:13]
	v_cndmask_b32_e64 v21, v19, v13, s[0:1]
	v_cndmask_b32_e64 v20, -1, v12, s[0:1]
	v_lshrrev_b64 v[20:21], s8, v[20:21]
	v_bfe_u32 v19, v20, 0, s12
	v_lshlrev_b32_e32 v20, 2, v1
	v_lshl_or_b32 v19, v19, 4, v20
	v_mov_b32_e32 v20, 1
	ds_add_u32 v19, v20
	v_mov_b32_e32 v20, 0
.LBB2601_15:
	s_or_b64 exec, exec, s[10:11]
	v_cmp_gt_i32_e64 s[0:1], 10, v20
	s_mov_b64 s[12:13], -1
	s_and_saveexec_b64 s[10:11], s[0:1]
; %bb.16:
	v_cmp_eq_u32_e64 s[0:1], 0, v20
	s_orn2_b64 s[12:13], s[0:1], exec
; %bb.17:
	s_or_b64 exec, exec, s[10:11]
	s_and_saveexec_b64 s[10:11], s[12:13]
	s_cbranch_execz .LBB2601_50
; %bb.18:
	s_add_i32 s14, s8, 8
	s_cmp_le_u32 s9, s14
	s_cselect_b64 s[0:1], -1, 0
	s_and_b64 s[12:13], s[0:1], exec
	s_cselect_b32 s12, 8, 10
	s_or_b64 s[0:1], s[0:1], vcc
	s_xor_b64 s[0:1], s[0:1], -1
	v_mov_b32_e32 v19, s12
	s_and_saveexec_b64 s[12:13], s[0:1]
	s_cbranch_execz .LBB2601_20
; %bb.19:
	s_sub_i32 s0, s9, s14
	s_min_u32 s15, s0, 8
	s_mov_b32 s0, 0
	s_brev_b32 s1, 1
	v_bfrev_b32_e32 v19, -2
	v_cmp_ne_u64_e64 s[0:1], s[0:1], v[12:13]
	v_cndmask_b32_e64 v21, v19, v13, s[0:1]
	v_cndmask_b32_e64 v20, -1, v12, s[0:1]
	v_lshrrev_b64 v[20:21], s14, v[20:21]
	v_bfe_u32 v19, v20, 0, s15
	v_lshlrev_b32_e32 v20, 2, v1
	v_lshl_or_b32 v19, v19, 4, v20
	v_mov_b32_e32 v20, 1
	ds_add_u32 v19, v20 offset:4096
	v_mov_b32_e32 v19, 0
.LBB2601_20:
	s_or_b64 exec, exec, s[12:13]
	v_cmp_gt_i32_e64 s[0:1], 10, v19
	s_mov_b64 s[12:13], -1
	s_and_saveexec_b64 s[14:15], s[0:1]
; %bb.21:
	v_cmp_eq_u32_e64 s[0:1], 0, v19
	s_orn2_b64 s[12:13], s[0:1], exec
; %bb.22:
	s_or_b64 exec, exec, s[14:15]
	s_and_b64 exec, exec, s[12:13]
	s_cbranch_execz .LBB2601_50
; %bb.23:
	s_add_i32 s14, s8, 16
	s_cmp_le_u32 s9, s14
	s_cselect_b64 s[0:1], -1, 0
	s_and_b64 s[12:13], s[0:1], exec
	s_cselect_b32 s12, 8, 10
	s_or_b64 s[0:1], s[0:1], vcc
	s_xor_b64 s[0:1], s[0:1], -1
	v_mov_b32_e32 v19, s12
	s_and_saveexec_b64 s[12:13], s[0:1]
	s_cbranch_execz .LBB2601_25
; %bb.24:
	s_sub_i32 s0, s9, s14
	s_min_u32 s15, s0, 8
	s_mov_b32 s0, 0
	s_brev_b32 s1, 1
	v_bfrev_b32_e32 v19, -2
	v_cmp_ne_u64_e64 s[0:1], s[0:1], v[12:13]
	v_cndmask_b32_e64 v21, v19, v13, s[0:1]
	v_cndmask_b32_e64 v20, -1, v12, s[0:1]
	v_lshrrev_b64 v[20:21], s14, v[20:21]
	v_bfe_u32 v19, v20, 0, s15
	v_lshlrev_b32_e32 v20, 2, v1
	v_lshl_or_b32 v19, v19, 4, v20
	v_mov_b32_e32 v20, 1
	ds_add_u32 v19, v20 offset:8192
	v_mov_b32_e32 v19, 0
.LBB2601_25:
	s_or_b64 exec, exec, s[12:13]
	v_cmp_gt_i32_e64 s[0:1], 10, v19
	s_mov_b64 s[12:13], -1
	s_and_saveexec_b64 s[14:15], s[0:1]
; %bb.26:
	v_cmp_eq_u32_e64 s[0:1], 0, v19
	s_orn2_b64 s[12:13], s[0:1], exec
; %bb.27:
	s_or_b64 exec, exec, s[14:15]
	s_and_b64 exec, exec, s[12:13]
	;; [unrolled: 39-line block ×6, first 2 shown]
	s_cbranch_execz .LBB2601_50
; %bb.48:
	s_add_i32 s0, s8, 56
	s_cmp_gt_u32 s9, s0
	s_cselect_b64 s[12:13], -1, 0
	s_xor_b64 s[14:15], vcc, -1
	s_and_b64 s[12:13], s[12:13], s[14:15]
	s_and_b64 exec, exec, s[12:13]
	s_cbranch_execz .LBB2601_50
; %bb.49:
	s_mov_b32 s12, 0
	s_brev_b32 s13, 1
	v_bfrev_b32_e32 v19, -2
	v_cmp_ne_u64_e32 vcc, s[12:13], v[12:13]
	s_sub_i32 s1, s9, s0
	v_cndmask_b32_e32 v13, v19, v13, vcc
	v_cndmask_b32_e32 v12, -1, v12, vcc
	s_min_u32 s1, s1, 8
	v_lshrrev_b64 v[12:13], s0, v[12:13]
	v_bfe_u32 v12, v12, 0, s1
	v_lshlrev_b32_e32 v13, 2, v1
	v_lshl_or_b32 v12, v12, 4, v13
	v_mov_b32_e32 v13, 1
	ds_add_u32 v12, v13 offset:28672
.LBB2601_50:
	s_or_b64 exec, exec, s[10:11]
	v_bfrev_b32_e32 v12, -2
	v_cmp_gt_i64_e32 vcc, 0, v[10:11]
	v_cndmask_b32_e64 v13, v12, 0, vcc
	v_ashrrev_i32_e32 v19, 31, v11
	v_cmp_le_u32_e32 vcc, s16, v18
	v_not_b32_e32 v19, v19
	s_or_b64 s[10:11], s[4:5], vcc
	s_mov_b32 s0, 0
	v_xor_b32_e32 v11, v13, v11
	v_xor_b32_e32 v10, v19, v10
	s_xor_b64 s[12:13], s[10:11], -1
	v_mov_b32_e32 v13, s17
	s_and_saveexec_b64 s[10:11], s[12:13]
	s_cbranch_execz .LBB2601_52
; %bb.51:
	s_sub_i32 s1, s9, s8
	s_min_u32 s12, s1, 8
	s_brev_b32 s1, 1
	v_cmp_ne_u64_e64 s[0:1], s[0:1], v[10:11]
	v_cndmask_b32_e64 v13, v12, v11, s[0:1]
	v_cndmask_b32_e64 v12, -1, v10, s[0:1]
	v_lshrrev_b64 v[12:13], s8, v[12:13]
	v_bfe_u32 v12, v12, 0, s12
	v_lshlrev_b32_e32 v13, 2, v1
	v_lshl_or_b32 v12, v12, 4, v13
	v_mov_b32_e32 v13, 1
	ds_add_u32 v12, v13
	v_mov_b32_e32 v13, 0
.LBB2601_52:
	s_or_b64 exec, exec, s[10:11]
	v_cmp_gt_i32_e64 s[0:1], 10, v13
	s_mov_b64 s[12:13], -1
	s_and_saveexec_b64 s[10:11], s[0:1]
; %bb.53:
	v_cmp_eq_u32_e64 s[0:1], 0, v13
	s_orn2_b64 s[12:13], s[0:1], exec
; %bb.54:
	s_or_b64 exec, exec, s[10:11]
	s_and_saveexec_b64 s[10:11], s[12:13]
	s_cbranch_execz .LBB2601_87
; %bb.55:
	s_add_i32 s14, s8, 8
	s_cmp_le_u32 s9, s14
	s_cselect_b64 s[0:1], -1, 0
	s_and_b64 s[12:13], s[0:1], exec
	s_cselect_b32 s12, 8, 10
	s_or_b64 s[0:1], s[0:1], vcc
	s_xor_b64 s[0:1], s[0:1], -1
	v_mov_b32_e32 v12, s12
	s_and_saveexec_b64 s[12:13], s[0:1]
	s_cbranch_execz .LBB2601_57
; %bb.56:
	s_sub_i32 s0, s9, s14
	s_min_u32 s15, s0, 8
	s_mov_b32 s0, 0
	s_brev_b32 s1, 1
	v_bfrev_b32_e32 v12, -2
	v_cmp_ne_u64_e64 s[0:1], s[0:1], v[10:11]
	v_cndmask_b32_e64 v13, v12, v11, s[0:1]
	v_cndmask_b32_e64 v12, -1, v10, s[0:1]
	v_lshrrev_b64 v[12:13], s14, v[12:13]
	v_bfe_u32 v12, v12, 0, s15
	v_lshlrev_b32_e32 v13, 2, v1
	v_lshl_or_b32 v12, v12, 4, v13
	v_mov_b32_e32 v13, 1
	ds_add_u32 v12, v13 offset:4096
	v_mov_b32_e32 v12, 0
.LBB2601_57:
	s_or_b64 exec, exec, s[12:13]
	v_cmp_gt_i32_e64 s[0:1], 10, v12
	s_mov_b64 s[12:13], -1
	s_and_saveexec_b64 s[14:15], s[0:1]
; %bb.58:
	v_cmp_eq_u32_e64 s[0:1], 0, v12
	s_orn2_b64 s[12:13], s[0:1], exec
; %bb.59:
	s_or_b64 exec, exec, s[14:15]
	s_and_b64 exec, exec, s[12:13]
	s_cbranch_execz .LBB2601_87
; %bb.60:
	s_add_i32 s14, s8, 16
	s_cmp_le_u32 s9, s14
	s_cselect_b64 s[0:1], -1, 0
	s_and_b64 s[12:13], s[0:1], exec
	s_cselect_b32 s12, 8, 10
	s_or_b64 s[0:1], s[0:1], vcc
	s_xor_b64 s[0:1], s[0:1], -1
	v_mov_b32_e32 v12, s12
	s_and_saveexec_b64 s[12:13], s[0:1]
	s_cbranch_execz .LBB2601_62
; %bb.61:
	s_sub_i32 s0, s9, s14
	s_min_u32 s15, s0, 8
	s_mov_b32 s0, 0
	s_brev_b32 s1, 1
	v_bfrev_b32_e32 v12, -2
	v_cmp_ne_u64_e64 s[0:1], s[0:1], v[10:11]
	v_cndmask_b32_e64 v13, v12, v11, s[0:1]
	v_cndmask_b32_e64 v12, -1, v10, s[0:1]
	v_lshrrev_b64 v[12:13], s14, v[12:13]
	v_bfe_u32 v12, v12, 0, s15
	v_lshlrev_b32_e32 v13, 2, v1
	v_lshl_or_b32 v12, v12, 4, v13
	v_mov_b32_e32 v13, 1
	ds_add_u32 v12, v13 offset:8192
	v_mov_b32_e32 v12, 0
.LBB2601_62:
	s_or_b64 exec, exec, s[12:13]
	v_cmp_gt_i32_e64 s[0:1], 10, v12
	s_mov_b64 s[12:13], -1
	s_and_saveexec_b64 s[14:15], s[0:1]
; %bb.63:
	v_cmp_eq_u32_e64 s[0:1], 0, v12
	s_orn2_b64 s[12:13], s[0:1], exec
; %bb.64:
	s_or_b64 exec, exec, s[14:15]
	s_and_b64 exec, exec, s[12:13]
	;; [unrolled: 39-line block ×6, first 2 shown]
	s_cbranch_execz .LBB2601_87
; %bb.85:
	s_add_i32 s0, s8, 56
	s_cmp_gt_u32 s9, s0
	s_cselect_b64 s[12:13], -1, 0
	s_xor_b64 s[14:15], vcc, -1
	s_and_b64 s[12:13], s[12:13], s[14:15]
	s_and_b64 exec, exec, s[12:13]
	s_cbranch_execz .LBB2601_87
; %bb.86:
	s_mov_b32 s12, 0
	s_brev_b32 s13, 1
	v_bfrev_b32_e32 v12, -2
	v_cmp_ne_u64_e32 vcc, s[12:13], v[10:11]
	s_sub_i32 s1, s9, s0
	v_cndmask_b32_e32 v11, v12, v11, vcc
	v_cndmask_b32_e32 v10, -1, v10, vcc
	s_min_u32 s1, s1, 8
	v_lshrrev_b64 v[10:11], s0, v[10:11]
	v_bfe_u32 v10, v10, 0, s1
	v_lshlrev_b32_e32 v11, 2, v1
	v_lshl_or_b32 v10, v10, 4, v11
	v_mov_b32_e32 v11, 1
	ds_add_u32 v10, v11 offset:28672
.LBB2601_87:
	s_or_b64 exec, exec, s[10:11]
	v_bfrev_b32_e32 v10, -2
	v_cmp_gt_i64_e32 vcc, 0, v[8:9]
	v_cndmask_b32_e64 v11, v10, 0, vcc
	v_ashrrev_i32_e32 v12, 31, v9
	v_cmp_le_u32_e32 vcc, s16, v17
	v_not_b32_e32 v12, v12
	s_or_b64 s[10:11], s[4:5], vcc
	s_mov_b32 s0, 0
	v_xor_b32_e32 v9, v11, v9
	v_xor_b32_e32 v8, v12, v8
	s_xor_b64 s[12:13], s[10:11], -1
	v_mov_b32_e32 v11, s17
	s_and_saveexec_b64 s[10:11], s[12:13]
	s_cbranch_execz .LBB2601_89
; %bb.88:
	s_sub_i32 s1, s9, s8
	s_min_u32 s12, s1, 8
	s_brev_b32 s1, 1
	v_cmp_ne_u64_e64 s[0:1], s[0:1], v[8:9]
	v_cndmask_b32_e64 v11, v10, v9, s[0:1]
	v_cndmask_b32_e64 v10, -1, v8, s[0:1]
	v_lshrrev_b64 v[10:11], s8, v[10:11]
	v_bfe_u32 v10, v10, 0, s12
	v_lshlrev_b32_e32 v11, 2, v1
	v_lshl_or_b32 v10, v10, 4, v11
	v_mov_b32_e32 v11, 1
	ds_add_u32 v10, v11
	v_mov_b32_e32 v11, 0
.LBB2601_89:
	s_or_b64 exec, exec, s[10:11]
	v_cmp_gt_i32_e64 s[0:1], 10, v11
	s_mov_b64 s[12:13], -1
	s_and_saveexec_b64 s[10:11], s[0:1]
; %bb.90:
	v_cmp_eq_u32_e64 s[0:1], 0, v11
	s_orn2_b64 s[12:13], s[0:1], exec
; %bb.91:
	s_or_b64 exec, exec, s[10:11]
	s_and_saveexec_b64 s[10:11], s[12:13]
	s_cbranch_execz .LBB2601_124
; %bb.92:
	s_add_i32 s14, s8, 8
	s_cmp_le_u32 s9, s14
	s_cselect_b64 s[0:1], -1, 0
	s_and_b64 s[12:13], s[0:1], exec
	s_cselect_b32 s12, 8, 10
	s_or_b64 s[0:1], s[0:1], vcc
	s_xor_b64 s[0:1], s[0:1], -1
	v_mov_b32_e32 v10, s12
	s_and_saveexec_b64 s[12:13], s[0:1]
	s_cbranch_execz .LBB2601_94
; %bb.93:
	s_sub_i32 s0, s9, s14
	s_min_u32 s15, s0, 8
	s_mov_b32 s0, 0
	s_brev_b32 s1, 1
	v_bfrev_b32_e32 v10, -2
	v_cmp_ne_u64_e64 s[0:1], s[0:1], v[8:9]
	v_cndmask_b32_e64 v11, v10, v9, s[0:1]
	v_cndmask_b32_e64 v10, -1, v8, s[0:1]
	v_lshrrev_b64 v[10:11], s14, v[10:11]
	v_bfe_u32 v10, v10, 0, s15
	v_lshlrev_b32_e32 v11, 2, v1
	v_lshl_or_b32 v10, v10, 4, v11
	v_mov_b32_e32 v11, 1
	ds_add_u32 v10, v11 offset:4096
	v_mov_b32_e32 v10, 0
.LBB2601_94:
	s_or_b64 exec, exec, s[12:13]
	v_cmp_gt_i32_e64 s[0:1], 10, v10
	s_mov_b64 s[12:13], -1
	s_and_saveexec_b64 s[14:15], s[0:1]
; %bb.95:
	v_cmp_eq_u32_e64 s[0:1], 0, v10
	s_orn2_b64 s[12:13], s[0:1], exec
; %bb.96:
	s_or_b64 exec, exec, s[14:15]
	s_and_b64 exec, exec, s[12:13]
	s_cbranch_execz .LBB2601_124
; %bb.97:
	s_add_i32 s14, s8, 16
	s_cmp_le_u32 s9, s14
	s_cselect_b64 s[0:1], -1, 0
	s_and_b64 s[12:13], s[0:1], exec
	s_cselect_b32 s12, 8, 10
	s_or_b64 s[0:1], s[0:1], vcc
	s_xor_b64 s[0:1], s[0:1], -1
	v_mov_b32_e32 v10, s12
	s_and_saveexec_b64 s[12:13], s[0:1]
	s_cbranch_execz .LBB2601_99
; %bb.98:
	s_sub_i32 s0, s9, s14
	s_min_u32 s15, s0, 8
	s_mov_b32 s0, 0
	s_brev_b32 s1, 1
	v_bfrev_b32_e32 v10, -2
	v_cmp_ne_u64_e64 s[0:1], s[0:1], v[8:9]
	v_cndmask_b32_e64 v11, v10, v9, s[0:1]
	v_cndmask_b32_e64 v10, -1, v8, s[0:1]
	v_lshrrev_b64 v[10:11], s14, v[10:11]
	v_bfe_u32 v10, v10, 0, s15
	v_lshlrev_b32_e32 v11, 2, v1
	v_lshl_or_b32 v10, v10, 4, v11
	v_mov_b32_e32 v11, 1
	ds_add_u32 v10, v11 offset:8192
	v_mov_b32_e32 v10, 0
.LBB2601_99:
	s_or_b64 exec, exec, s[12:13]
	v_cmp_gt_i32_e64 s[0:1], 10, v10
	s_mov_b64 s[12:13], -1
	s_and_saveexec_b64 s[14:15], s[0:1]
; %bb.100:
	v_cmp_eq_u32_e64 s[0:1], 0, v10
	s_orn2_b64 s[12:13], s[0:1], exec
; %bb.101:
	s_or_b64 exec, exec, s[14:15]
	s_and_b64 exec, exec, s[12:13]
	;; [unrolled: 39-line block ×6, first 2 shown]
	s_cbranch_execz .LBB2601_124
; %bb.122:
	s_add_i32 s0, s8, 56
	s_cmp_gt_u32 s9, s0
	s_cselect_b64 s[12:13], -1, 0
	s_xor_b64 s[14:15], vcc, -1
	s_and_b64 s[12:13], s[12:13], s[14:15]
	s_and_b64 exec, exec, s[12:13]
	s_cbranch_execz .LBB2601_124
; %bb.123:
	s_mov_b32 s12, 0
	s_brev_b32 s13, 1
	v_bfrev_b32_e32 v10, -2
	v_cmp_ne_u64_e32 vcc, s[12:13], v[8:9]
	s_sub_i32 s1, s9, s0
	v_cndmask_b32_e32 v9, v10, v9, vcc
	v_cndmask_b32_e32 v8, -1, v8, vcc
	s_min_u32 s1, s1, 8
	v_lshrrev_b64 v[8:9], s0, v[8:9]
	v_bfe_u32 v8, v8, 0, s1
	v_lshlrev_b32_e32 v9, 2, v1
	v_lshl_or_b32 v8, v8, 4, v9
	v_mov_b32_e32 v9, 1
	ds_add_u32 v8, v9 offset:28672
.LBB2601_124:
	s_or_b64 exec, exec, s[10:11]
	v_bfrev_b32_e32 v8, -2
	v_cmp_gt_i64_e32 vcc, 0, v[6:7]
	v_cndmask_b32_e64 v9, v8, 0, vcc
	v_ashrrev_i32_e32 v10, 31, v7
	v_cmp_le_u32_e32 vcc, s16, v16
	v_not_b32_e32 v10, v10
	s_or_b64 s[10:11], s[4:5], vcc
	s_mov_b32 s0, 0
	v_xor_b32_e32 v7, v9, v7
	v_xor_b32_e32 v6, v10, v6
	s_xor_b64 s[12:13], s[10:11], -1
	v_mov_b32_e32 v9, s17
	s_and_saveexec_b64 s[10:11], s[12:13]
	s_cbranch_execz .LBB2601_126
; %bb.125:
	s_sub_i32 s1, s9, s8
	s_min_u32 s12, s1, 8
	s_brev_b32 s1, 1
	v_cmp_ne_u64_e64 s[0:1], s[0:1], v[6:7]
	v_cndmask_b32_e64 v9, v8, v7, s[0:1]
	v_cndmask_b32_e64 v8, -1, v6, s[0:1]
	v_lshrrev_b64 v[8:9], s8, v[8:9]
	v_bfe_u32 v8, v8, 0, s12
	v_lshlrev_b32_e32 v9, 2, v1
	v_lshl_or_b32 v8, v8, 4, v9
	v_mov_b32_e32 v9, 1
	ds_add_u32 v8, v9
	v_mov_b32_e32 v9, 0
.LBB2601_126:
	s_or_b64 exec, exec, s[10:11]
	v_cmp_gt_i32_e64 s[0:1], 10, v9
	s_mov_b64 s[12:13], -1
	s_and_saveexec_b64 s[10:11], s[0:1]
; %bb.127:
	v_cmp_eq_u32_e64 s[0:1], 0, v9
	s_orn2_b64 s[12:13], s[0:1], exec
; %bb.128:
	s_or_b64 exec, exec, s[10:11]
	s_and_saveexec_b64 s[10:11], s[12:13]
	s_cbranch_execz .LBB2601_161
; %bb.129:
	s_add_i32 s14, s8, 8
	s_cmp_le_u32 s9, s14
	s_cselect_b64 s[0:1], -1, 0
	s_and_b64 s[12:13], s[0:1], exec
	s_cselect_b32 s12, 8, 10
	s_or_b64 s[0:1], s[0:1], vcc
	s_xor_b64 s[0:1], s[0:1], -1
	v_mov_b32_e32 v8, s12
	s_and_saveexec_b64 s[12:13], s[0:1]
	s_cbranch_execz .LBB2601_131
; %bb.130:
	s_sub_i32 s0, s9, s14
	s_min_u32 s15, s0, 8
	s_mov_b32 s0, 0
	s_brev_b32 s1, 1
	v_bfrev_b32_e32 v8, -2
	v_cmp_ne_u64_e64 s[0:1], s[0:1], v[6:7]
	v_cndmask_b32_e64 v9, v8, v7, s[0:1]
	v_cndmask_b32_e64 v8, -1, v6, s[0:1]
	v_lshrrev_b64 v[8:9], s14, v[8:9]
	v_bfe_u32 v8, v8, 0, s15
	v_lshlrev_b32_e32 v9, 2, v1
	v_lshl_or_b32 v8, v8, 4, v9
	v_mov_b32_e32 v9, 1
	ds_add_u32 v8, v9 offset:4096
	v_mov_b32_e32 v8, 0
.LBB2601_131:
	s_or_b64 exec, exec, s[12:13]
	v_cmp_gt_i32_e64 s[0:1], 10, v8
	s_mov_b64 s[12:13], -1
	s_and_saveexec_b64 s[14:15], s[0:1]
; %bb.132:
	v_cmp_eq_u32_e64 s[0:1], 0, v8
	s_orn2_b64 s[12:13], s[0:1], exec
; %bb.133:
	s_or_b64 exec, exec, s[14:15]
	s_and_b64 exec, exec, s[12:13]
	s_cbranch_execz .LBB2601_161
; %bb.134:
	s_add_i32 s14, s8, 16
	s_cmp_le_u32 s9, s14
	s_cselect_b64 s[0:1], -1, 0
	s_and_b64 s[12:13], s[0:1], exec
	s_cselect_b32 s12, 8, 10
	s_or_b64 s[0:1], s[0:1], vcc
	s_xor_b64 s[0:1], s[0:1], -1
	v_mov_b32_e32 v8, s12
	s_and_saveexec_b64 s[12:13], s[0:1]
	s_cbranch_execz .LBB2601_136
; %bb.135:
	s_sub_i32 s0, s9, s14
	s_min_u32 s15, s0, 8
	s_mov_b32 s0, 0
	s_brev_b32 s1, 1
	v_bfrev_b32_e32 v8, -2
	v_cmp_ne_u64_e64 s[0:1], s[0:1], v[6:7]
	v_cndmask_b32_e64 v9, v8, v7, s[0:1]
	v_cndmask_b32_e64 v8, -1, v6, s[0:1]
	v_lshrrev_b64 v[8:9], s14, v[8:9]
	v_bfe_u32 v8, v8, 0, s15
	v_lshlrev_b32_e32 v9, 2, v1
	v_lshl_or_b32 v8, v8, 4, v9
	v_mov_b32_e32 v9, 1
	ds_add_u32 v8, v9 offset:8192
	v_mov_b32_e32 v8, 0
.LBB2601_136:
	s_or_b64 exec, exec, s[12:13]
	v_cmp_gt_i32_e64 s[0:1], 10, v8
	s_mov_b64 s[12:13], -1
	s_and_saveexec_b64 s[14:15], s[0:1]
; %bb.137:
	v_cmp_eq_u32_e64 s[0:1], 0, v8
	s_orn2_b64 s[12:13], s[0:1], exec
; %bb.138:
	s_or_b64 exec, exec, s[14:15]
	s_and_b64 exec, exec, s[12:13]
	;; [unrolled: 39-line block ×6, first 2 shown]
	s_cbranch_execz .LBB2601_161
; %bb.159:
	s_add_i32 s0, s8, 56
	s_cmp_gt_u32 s9, s0
	s_cselect_b64 s[12:13], -1, 0
	s_xor_b64 s[14:15], vcc, -1
	s_and_b64 s[12:13], s[12:13], s[14:15]
	s_and_b64 exec, exec, s[12:13]
	s_cbranch_execz .LBB2601_161
; %bb.160:
	s_mov_b32 s12, 0
	s_brev_b32 s13, 1
	v_bfrev_b32_e32 v8, -2
	v_cmp_ne_u64_e32 vcc, s[12:13], v[6:7]
	s_sub_i32 s1, s9, s0
	v_cndmask_b32_e32 v7, v8, v7, vcc
	v_cndmask_b32_e32 v6, -1, v6, vcc
	s_min_u32 s1, s1, 8
	v_lshrrev_b64 v[6:7], s0, v[6:7]
	v_bfe_u32 v6, v6, 0, s1
	v_lshlrev_b32_e32 v7, 2, v1
	v_lshl_or_b32 v6, v6, 4, v7
	v_mov_b32_e32 v7, 1
	ds_add_u32 v6, v7 offset:28672
.LBB2601_161:
	s_or_b64 exec, exec, s[10:11]
	v_bfrev_b32_e32 v6, -2
	v_cmp_gt_i64_e32 vcc, 0, v[4:5]
	v_cndmask_b32_e64 v7, v6, 0, vcc
	v_ashrrev_i32_e32 v8, 31, v5
	v_cmp_le_u32_e32 vcc, s16, v15
	v_not_b32_e32 v8, v8
	s_or_b64 s[10:11], s[4:5], vcc
	s_mov_b32 s0, 0
	v_xor_b32_e32 v5, v7, v5
	v_xor_b32_e32 v4, v8, v4
	s_xor_b64 s[12:13], s[10:11], -1
	v_mov_b32_e32 v7, s17
	s_and_saveexec_b64 s[10:11], s[12:13]
	s_cbranch_execz .LBB2601_163
; %bb.162:
	s_sub_i32 s1, s9, s8
	s_min_u32 s12, s1, 8
	s_brev_b32 s1, 1
	v_cmp_ne_u64_e64 s[0:1], s[0:1], v[4:5]
	v_cndmask_b32_e64 v7, v6, v5, s[0:1]
	v_cndmask_b32_e64 v6, -1, v4, s[0:1]
	v_lshrrev_b64 v[6:7], s8, v[6:7]
	v_bfe_u32 v6, v6, 0, s12
	v_lshlrev_b32_e32 v7, 2, v1
	v_lshl_or_b32 v6, v6, 4, v7
	v_mov_b32_e32 v7, 1
	ds_add_u32 v6, v7
	v_mov_b32_e32 v7, 0
.LBB2601_163:
	s_or_b64 exec, exec, s[10:11]
	v_cmp_gt_i32_e64 s[0:1], 10, v7
	s_mov_b64 s[12:13], -1
	s_and_saveexec_b64 s[10:11], s[0:1]
; %bb.164:
	v_cmp_eq_u32_e64 s[0:1], 0, v7
	s_orn2_b64 s[12:13], s[0:1], exec
; %bb.165:
	s_or_b64 exec, exec, s[10:11]
	s_and_saveexec_b64 s[10:11], s[12:13]
	s_cbranch_execz .LBB2601_198
; %bb.166:
	s_add_i32 s14, s8, 8
	s_cmp_le_u32 s9, s14
	s_cselect_b64 s[0:1], -1, 0
	s_and_b64 s[12:13], s[0:1], exec
	s_cselect_b32 s12, 8, 10
	s_or_b64 s[0:1], s[0:1], vcc
	s_xor_b64 s[0:1], s[0:1], -1
	v_mov_b32_e32 v6, s12
	s_and_saveexec_b64 s[12:13], s[0:1]
	s_cbranch_execz .LBB2601_168
; %bb.167:
	s_sub_i32 s0, s9, s14
	s_min_u32 s15, s0, 8
	s_mov_b32 s0, 0
	s_brev_b32 s1, 1
	v_bfrev_b32_e32 v6, -2
	v_cmp_ne_u64_e64 s[0:1], s[0:1], v[4:5]
	v_cndmask_b32_e64 v7, v6, v5, s[0:1]
	v_cndmask_b32_e64 v6, -1, v4, s[0:1]
	v_lshrrev_b64 v[6:7], s14, v[6:7]
	v_bfe_u32 v6, v6, 0, s15
	v_lshlrev_b32_e32 v7, 2, v1
	v_lshl_or_b32 v6, v6, 4, v7
	v_mov_b32_e32 v7, 1
	ds_add_u32 v6, v7 offset:4096
	v_mov_b32_e32 v6, 0
.LBB2601_168:
	s_or_b64 exec, exec, s[12:13]
	v_cmp_gt_i32_e64 s[0:1], 10, v6
	s_mov_b64 s[12:13], -1
	s_and_saveexec_b64 s[14:15], s[0:1]
; %bb.169:
	v_cmp_eq_u32_e64 s[0:1], 0, v6
	s_orn2_b64 s[12:13], s[0:1], exec
; %bb.170:
	s_or_b64 exec, exec, s[14:15]
	s_and_b64 exec, exec, s[12:13]
	s_cbranch_execz .LBB2601_198
; %bb.171:
	s_add_i32 s14, s8, 16
	s_cmp_le_u32 s9, s14
	s_cselect_b64 s[0:1], -1, 0
	s_and_b64 s[12:13], s[0:1], exec
	s_cselect_b32 s12, 8, 10
	s_or_b64 s[0:1], s[0:1], vcc
	s_xor_b64 s[0:1], s[0:1], -1
	v_mov_b32_e32 v6, s12
	s_and_saveexec_b64 s[12:13], s[0:1]
	s_cbranch_execz .LBB2601_173
; %bb.172:
	s_sub_i32 s0, s9, s14
	s_min_u32 s15, s0, 8
	s_mov_b32 s0, 0
	s_brev_b32 s1, 1
	v_bfrev_b32_e32 v6, -2
	v_cmp_ne_u64_e64 s[0:1], s[0:1], v[4:5]
	v_cndmask_b32_e64 v7, v6, v5, s[0:1]
	v_cndmask_b32_e64 v6, -1, v4, s[0:1]
	v_lshrrev_b64 v[6:7], s14, v[6:7]
	v_bfe_u32 v6, v6, 0, s15
	v_lshlrev_b32_e32 v7, 2, v1
	v_lshl_or_b32 v6, v6, 4, v7
	v_mov_b32_e32 v7, 1
	ds_add_u32 v6, v7 offset:8192
	v_mov_b32_e32 v6, 0
.LBB2601_173:
	s_or_b64 exec, exec, s[12:13]
	v_cmp_gt_i32_e64 s[0:1], 10, v6
	s_mov_b64 s[12:13], -1
	s_and_saveexec_b64 s[14:15], s[0:1]
; %bb.174:
	v_cmp_eq_u32_e64 s[0:1], 0, v6
	s_orn2_b64 s[12:13], s[0:1], exec
; %bb.175:
	s_or_b64 exec, exec, s[14:15]
	s_and_b64 exec, exec, s[12:13]
	s_cbranch_execz .LBB2601_198
; %bb.176:
	s_add_i32 s14, s8, 24
	s_cmp_le_u32 s9, s14
	s_cselect_b64 s[0:1], -1, 0
	s_and_b64 s[12:13], s[0:1], exec
	s_cselect_b32 s12, 8, 10
	s_or_b64 s[0:1], s[0:1], vcc
	s_xor_b64 s[0:1], s[0:1], -1
	v_mov_b32_e32 v6, s12
	s_and_saveexec_b64 s[12:13], s[0:1]
	s_cbranch_execz .LBB2601_178
; %bb.177:
	s_sub_i32 s0, s9, s14
	s_min_u32 s15, s0, 8
	s_mov_b32 s0, 0
	s_brev_b32 s1, 1
	v_bfrev_b32_e32 v6, -2
	v_cmp_ne_u64_e64 s[0:1], s[0:1], v[4:5]
	v_cndmask_b32_e64 v7, v6, v5, s[0:1]
	v_cndmask_b32_e64 v6, -1, v4, s[0:1]
	v_lshrrev_b64 v[6:7], s14, v[6:7]
	v_bfe_u32 v6, v6, 0, s15
	v_lshlrev_b32_e32 v7, 2, v1
	v_lshl_or_b32 v6, v6, 4, v7
	v_mov_b32_e32 v7, 1
	ds_add_u32 v6, v7 offset:12288
	v_mov_b32_e32 v6, 0
.LBB2601_178:
	s_or_b64 exec, exec, s[12:13]
	v_cmp_gt_i32_e64 s[0:1], 10, v6
	s_mov_b64 s[12:13], -1
	s_and_saveexec_b64 s[14:15], s[0:1]
; %bb.179:
	v_cmp_eq_u32_e64 s[0:1], 0, v6
	s_orn2_b64 s[12:13], s[0:1], exec
; %bb.180:
	s_or_b64 exec, exec, s[14:15]
	s_and_b64 exec, exec, s[12:13]
	s_cbranch_execz .LBB2601_198
; %bb.181:
	s_add_i32 s14, s8, 32
	s_cmp_le_u32 s9, s14
	s_cselect_b64 s[0:1], -1, 0
	s_and_b64 s[12:13], s[0:1], exec
	s_cselect_b32 s12, 8, 10
	s_or_b64 s[0:1], s[0:1], vcc
	s_xor_b64 s[0:1], s[0:1], -1
	v_mov_b32_e32 v6, s12
	s_and_saveexec_b64 s[12:13], s[0:1]
	s_cbranch_execz .LBB2601_183
; %bb.182:
	s_sub_i32 s0, s9, s14
	s_min_u32 s15, s0, 8
	s_mov_b32 s0, 0
	s_brev_b32 s1, 1
	v_bfrev_b32_e32 v6, -2
	v_cmp_ne_u64_e64 s[0:1], s[0:1], v[4:5]
	v_cndmask_b32_e64 v7, v6, v5, s[0:1]
	v_cndmask_b32_e64 v6, -1, v4, s[0:1]
	v_lshrrev_b64 v[6:7], s14, v[6:7]
	v_bfe_u32 v6, v6, 0, s15
	v_lshlrev_b32_e32 v7, 2, v1
	v_lshl_or_b32 v6, v6, 4, v7
	v_mov_b32_e32 v7, 1
	ds_add_u32 v6, v7 offset:16384
	v_mov_b32_e32 v6, 0
.LBB2601_183:
	s_or_b64 exec, exec, s[12:13]
	v_cmp_gt_i32_e64 s[0:1], 10, v6
	s_mov_b64 s[12:13], -1
	s_and_saveexec_b64 s[14:15], s[0:1]
; %bb.184:
	v_cmp_eq_u32_e64 s[0:1], 0, v6
	s_orn2_b64 s[12:13], s[0:1], exec
; %bb.185:
	s_or_b64 exec, exec, s[14:15]
	s_and_b64 exec, exec, s[12:13]
	s_cbranch_execz .LBB2601_198
; %bb.186:
	s_add_i32 s14, s8, 40
	s_cmp_le_u32 s9, s14
	s_cselect_b64 s[0:1], -1, 0
	s_and_b64 s[12:13], s[0:1], exec
	s_cselect_b32 s12, 8, 10
	s_or_b64 s[0:1], s[0:1], vcc
	s_xor_b64 s[0:1], s[0:1], -1
	v_mov_b32_e32 v6, s12
	s_and_saveexec_b64 s[12:13], s[0:1]
	s_cbranch_execz .LBB2601_188
; %bb.187:
	s_sub_i32 s0, s9, s14
	s_min_u32 s15, s0, 8
	s_mov_b32 s0, 0
	s_brev_b32 s1, 1
	v_bfrev_b32_e32 v6, -2
	v_cmp_ne_u64_e64 s[0:1], s[0:1], v[4:5]
	v_cndmask_b32_e64 v7, v6, v5, s[0:1]
	v_cndmask_b32_e64 v6, -1, v4, s[0:1]
	v_lshrrev_b64 v[6:7], s14, v[6:7]
	v_bfe_u32 v6, v6, 0, s15
	v_lshlrev_b32_e32 v7, 2, v1
	v_lshl_or_b32 v6, v6, 4, v7
	v_mov_b32_e32 v7, 1
	ds_add_u32 v6, v7 offset:20480
	v_mov_b32_e32 v6, 0
.LBB2601_188:
	s_or_b64 exec, exec, s[12:13]
	v_cmp_gt_i32_e64 s[0:1], 10, v6
	s_mov_b64 s[12:13], -1
	s_and_saveexec_b64 s[14:15], s[0:1]
; %bb.189:
	v_cmp_eq_u32_e64 s[0:1], 0, v6
	s_orn2_b64 s[12:13], s[0:1], exec
; %bb.190:
	s_or_b64 exec, exec, s[14:15]
	s_and_b64 exec, exec, s[12:13]
	s_cbranch_execz .LBB2601_198
; %bb.191:
	s_add_i32 s14, s8, 48
	s_cmp_le_u32 s9, s14
	s_cselect_b64 s[0:1], -1, 0
	s_and_b64 s[12:13], s[0:1], exec
	s_cselect_b32 s12, 8, 10
	s_or_b64 s[0:1], s[0:1], vcc
	s_xor_b64 s[0:1], s[0:1], -1
	v_mov_b32_e32 v6, s12
	s_and_saveexec_b64 s[12:13], s[0:1]
	s_cbranch_execz .LBB2601_193
; %bb.192:
	s_sub_i32 s0, s9, s14
	s_min_u32 s15, s0, 8
	s_mov_b32 s0, 0
	s_brev_b32 s1, 1
	v_bfrev_b32_e32 v6, -2
	v_cmp_ne_u64_e64 s[0:1], s[0:1], v[4:5]
	v_cndmask_b32_e64 v7, v6, v5, s[0:1]
	v_cndmask_b32_e64 v6, -1, v4, s[0:1]
	v_lshrrev_b64 v[6:7], s14, v[6:7]
	v_bfe_u32 v6, v6, 0, s15
	v_lshlrev_b32_e32 v7, 2, v1
	v_lshl_or_b32 v6, v6, 4, v7
	v_mov_b32_e32 v7, 1
	ds_add_u32 v6, v7 offset:24576
	v_mov_b32_e32 v6, 0
.LBB2601_193:
	s_or_b64 exec, exec, s[12:13]
	v_cmp_gt_i32_e64 s[0:1], 10, v6
	s_mov_b64 s[12:13], -1
	s_and_saveexec_b64 s[14:15], s[0:1]
; %bb.194:
	v_cmp_eq_u32_e64 s[0:1], 0, v6
	s_orn2_b64 s[12:13], s[0:1], exec
; %bb.195:
	s_or_b64 exec, exec, s[14:15]
	s_and_b64 exec, exec, s[12:13]
	s_cbranch_execz .LBB2601_198
; %bb.196:
	s_add_i32 s0, s8, 56
	s_cmp_gt_u32 s9, s0
	s_cselect_b64 s[12:13], -1, 0
	s_xor_b64 s[14:15], vcc, -1
	s_and_b64 s[12:13], s[12:13], s[14:15]
	s_and_b64 exec, exec, s[12:13]
	s_cbranch_execz .LBB2601_198
; %bb.197:
	s_mov_b32 s12, 0
	s_brev_b32 s13, 1
	v_bfrev_b32_e32 v6, -2
	v_cmp_ne_u64_e32 vcc, s[12:13], v[4:5]
	s_sub_i32 s1, s9, s0
	v_cndmask_b32_e32 v5, v6, v5, vcc
	v_cndmask_b32_e32 v4, -1, v4, vcc
	s_min_u32 s1, s1, 8
	v_lshrrev_b64 v[4:5], s0, v[4:5]
	v_bfe_u32 v4, v4, 0, s1
	v_lshlrev_b32_e32 v5, 2, v1
	v_lshl_or_b32 v4, v4, 4, v5
	v_mov_b32_e32 v5, 1
	ds_add_u32 v4, v5 offset:28672
.LBB2601_198:
	s_or_b64 exec, exec, s[10:11]
	v_bfrev_b32_e32 v4, -2
	v_cmp_gt_i64_e32 vcc, 0, v[2:3]
	v_cndmask_b32_e64 v5, v4, 0, vcc
	v_ashrrev_i32_e32 v6, 31, v3
	v_cmp_le_u32_e32 vcc, s16, v14
	v_not_b32_e32 v6, v6
	s_or_b64 s[4:5], s[4:5], vcc
	s_mov_b32 s0, 0
	v_xor_b32_e32 v3, v5, v3
	v_xor_b32_e32 v2, v6, v2
	s_xor_b64 s[10:11], s[4:5], -1
	v_mov_b32_e32 v5, s17
	s_and_saveexec_b64 s[4:5], s[10:11]
	s_cbranch_execz .LBB2601_200
; %bb.199:
	s_sub_i32 s1, s9, s8
	s_min_u32 s10, s1, 8
	s_brev_b32 s1, 1
	v_cmp_ne_u64_e64 s[0:1], s[0:1], v[2:3]
	v_cndmask_b32_e64 v5, v4, v3, s[0:1]
	v_cndmask_b32_e64 v4, -1, v2, s[0:1]
	v_lshrrev_b64 v[4:5], s8, v[4:5]
	v_bfe_u32 v4, v4, 0, s10
	v_lshlrev_b32_e32 v5, 2, v1
	v_lshl_or_b32 v4, v4, 4, v5
	v_mov_b32_e32 v5, 1
	ds_add_u32 v4, v5
	v_mov_b32_e32 v5, 0
.LBB2601_200:
	s_or_b64 exec, exec, s[4:5]
	v_cmp_gt_i32_e64 s[0:1], 10, v5
	s_mov_b64 s[10:11], -1
	s_and_saveexec_b64 s[4:5], s[0:1]
; %bb.201:
	v_cmp_eq_u32_e64 s[0:1], 0, v5
	s_orn2_b64 s[10:11], s[0:1], exec
; %bb.202:
	s_or_b64 exec, exec, s[4:5]
	s_and_saveexec_b64 s[4:5], s[10:11]
	s_cbranch_execz .LBB2601_235
; %bb.203:
	s_add_i32 s12, s8, 8
	s_cmp_le_u32 s9, s12
	s_cselect_b64 s[0:1], -1, 0
	s_and_b64 s[10:11], s[0:1], exec
	s_cselect_b32 s10, 8, 10
	s_or_b64 s[0:1], s[0:1], vcc
	s_xor_b64 s[0:1], s[0:1], -1
	v_mov_b32_e32 v4, s10
	s_and_saveexec_b64 s[10:11], s[0:1]
	s_cbranch_execz .LBB2601_205
; %bb.204:
	s_sub_i32 s0, s9, s12
	s_min_u32 s13, s0, 8
	s_mov_b32 s0, 0
	s_brev_b32 s1, 1
	v_bfrev_b32_e32 v4, -2
	v_cmp_ne_u64_e64 s[0:1], s[0:1], v[2:3]
	v_cndmask_b32_e64 v5, v4, v3, s[0:1]
	v_cndmask_b32_e64 v4, -1, v2, s[0:1]
	v_lshrrev_b64 v[4:5], s12, v[4:5]
	v_bfe_u32 v4, v4, 0, s13
	v_lshlrev_b32_e32 v5, 2, v1
	v_lshl_or_b32 v4, v4, 4, v5
	v_mov_b32_e32 v5, 1
	ds_add_u32 v4, v5 offset:4096
	v_mov_b32_e32 v4, 0
.LBB2601_205:
	s_or_b64 exec, exec, s[10:11]
	v_cmp_gt_i32_e64 s[0:1], 10, v4
	s_mov_b64 s[10:11], -1
	s_and_saveexec_b64 s[12:13], s[0:1]
; %bb.206:
	v_cmp_eq_u32_e64 s[0:1], 0, v4
	s_orn2_b64 s[10:11], s[0:1], exec
; %bb.207:
	s_or_b64 exec, exec, s[12:13]
	s_and_b64 exec, exec, s[10:11]
	s_cbranch_execz .LBB2601_235
; %bb.208:
	s_add_i32 s12, s8, 16
	s_cmp_le_u32 s9, s12
	s_cselect_b64 s[0:1], -1, 0
	s_and_b64 s[10:11], s[0:1], exec
	s_cselect_b32 s10, 8, 10
	s_or_b64 s[0:1], s[0:1], vcc
	s_xor_b64 s[0:1], s[0:1], -1
	v_mov_b32_e32 v4, s10
	s_and_saveexec_b64 s[10:11], s[0:1]
	s_cbranch_execz .LBB2601_210
; %bb.209:
	s_sub_i32 s0, s9, s12
	s_min_u32 s13, s0, 8
	s_mov_b32 s0, 0
	s_brev_b32 s1, 1
	v_bfrev_b32_e32 v4, -2
	v_cmp_ne_u64_e64 s[0:1], s[0:1], v[2:3]
	v_cndmask_b32_e64 v5, v4, v3, s[0:1]
	v_cndmask_b32_e64 v4, -1, v2, s[0:1]
	v_lshrrev_b64 v[4:5], s12, v[4:5]
	v_bfe_u32 v4, v4, 0, s13
	v_lshlrev_b32_e32 v5, 2, v1
	v_lshl_or_b32 v4, v4, 4, v5
	v_mov_b32_e32 v5, 1
	ds_add_u32 v4, v5 offset:8192
	v_mov_b32_e32 v4, 0
.LBB2601_210:
	s_or_b64 exec, exec, s[10:11]
	v_cmp_gt_i32_e64 s[0:1], 10, v4
	s_mov_b64 s[10:11], -1
	s_and_saveexec_b64 s[12:13], s[0:1]
; %bb.211:
	v_cmp_eq_u32_e64 s[0:1], 0, v4
	s_orn2_b64 s[10:11], s[0:1], exec
; %bb.212:
	s_or_b64 exec, exec, s[12:13]
	s_and_b64 exec, exec, s[10:11]
	;; [unrolled: 39-line block ×6, first 2 shown]
	s_cbranch_execz .LBB2601_235
; %bb.233:
	s_add_i32 s0, s8, 56
	s_cmp_gt_u32 s9, s0
	s_cselect_b64 s[10:11], -1, 0
	s_xor_b64 s[12:13], vcc, -1
	s_and_b64 s[10:11], s[10:11], s[12:13]
	s_and_b64 exec, exec, s[10:11]
	s_cbranch_execz .LBB2601_235
; %bb.234:
	s_mov_b32 s10, 0
	s_brev_b32 s11, 1
	v_bfrev_b32_e32 v4, -2
	v_cmp_ne_u64_e32 vcc, s[10:11], v[2:3]
	s_sub_i32 s1, s9, s0
	v_cndmask_b32_e32 v3, v4, v3, vcc
	v_cndmask_b32_e32 v2, -1, v2, vcc
	s_min_u32 s1, s1, 8
	v_lshrrev_b64 v[2:3], s0, v[2:3]
	v_bfe_u32 v2, v2, 0, s1
	v_lshlrev_b32_e32 v1, 2, v1
	v_lshl_or_b32 v1, v2, 4, v1
	v_mov_b32_e32 v2, 1
	ds_add_u32 v1, v2 offset:28672
.LBB2601_235:
	s_or_b64 exec, exec, s[4:5]
	s_cmp_gt_u32 s9, s8
	s_waitcnt lgkmcnt(0)
	s_barrier
	s_cbranch_scc0 .LBB2601_240
; %bb.236:
	s_movk_i32 s0, 0x100
	v_cmp_gt_u32_e32 vcc, s0, v0
	v_lshlrev_b32_e32 v1, 4, v0
	v_mov_b32_e32 v3, 0
	v_mov_b32_e32 v2, v0
	s_mov_b32 s10, s8
	s_branch .LBB2601_238
.LBB2601_237:                           ;   in Loop: Header=BB2601_238 Depth=1
	s_or_b64 exec, exec, s[4:5]
	s_add_i32 s10, s10, 8
	v_add_u32_e32 v2, 0x100, v2
	s_cmp_lt_u32 s10, s9
	v_add_u32_e32 v1, 0x1000, v1
	s_cbranch_scc0 .LBB2601_240
.LBB2601_238:                           ; =>This Inner Loop Header: Depth=1
	s_and_saveexec_b64 s[4:5], vcc
	s_cbranch_execz .LBB2601_237
; %bb.239:                              ;   in Loop: Header=BB2601_238 Depth=1
	ds_read2_b32 v[4:5], v1 offset1:1
	ds_read2_b32 v[6:7], v1 offset0:2 offset1:3
	v_lshlrev_b64 v[8:9], 3, v[2:3]
	v_mov_b32_e32 v10, s3
	s_waitcnt lgkmcnt(1)
	v_add_u32_e32 v4, v5, v4
	s_waitcnt lgkmcnt(0)
	v_add3_u32 v4, v4, v6, v7
	v_add_co_u32_e64 v6, s[0:1], s2, v8
	v_addc_co_u32_e64 v7, s[0:1], v10, v9, s[0:1]
	v_mov_b32_e32 v5, v3
	global_atomic_add_x2 v[6:7], v[4:5], off
	s_branch .LBB2601_237
.LBB2601_240:
	s_mov_b64 s[0:1], 0
.LBB2601_241:
	s_and_b64 vcc, exec, s[0:1]
	s_cbranch_vccz .LBB2601_301
; %bb.242:
	v_lshlrev_b32_e32 v16, 3, v0
	v_mov_b32_e32 v1, s7
	v_add_co_u32_e32 v17, vcc, s6, v16
	v_addc_co_u32_e32 v1, vcc, 0, v1, vcc
	v_add_co_u32_e32 v4, vcc, 0x2000, v17
	v_addc_co_u32_e32 v5, vcc, 0, v1, vcc
	;; [unrolled: 2-line block ×4, first 2 shown]
	global_load_dwordx2 v[12:13], v16, s[6:7]
	global_load_dwordx2 v[10:11], v[4:5], off
	global_load_dwordx2 v[6:7], v[8:9], off
	;; [unrolled: 1-line block ×3, first 2 shown]
	v_add_co_u32_e32 v14, vcc, 0x8000, v17
	v_addc_co_u32_e32 v15, vcc, 0, v1, vcc
	v_add_co_u32_e32 v18, vcc, 0xa000, v17
	v_addc_co_u32_e32 v19, vcc, 0, v1, vcc
	global_load_dwordx2 v[8:9], v[14:15], off
	global_load_dwordx2 v[4:5], v[18:19], off
	s_cmp_eq_u32 s8, 0
	s_cselect_b64 s[0:1], -1, 0
	s_cmp_eq_u32 s9, 64
	s_cselect_b64 s[4:5], -1, 0
	s_and_b64 s[4:5], s[0:1], s[4:5]
	s_mov_b64 s[0:1], -1
	s_and_b64 vcc, exec, s[4:5]
	v_lshlrev_b32_e32 v17, 2, v0
	s_cbranch_vccnz .LBB2601_298
; %bb.243:
	s_cmp_gt_u32 s9, s8
	s_cselect_b64 s[4:5], -1, 0
	v_mov_b32_e32 v1, 0
	s_and_b64 vcc, exec, s[4:5]
	ds_write2st64_b32 v17, v1, v1 offset1:16
	ds_write2st64_b32 v17, v1, v1 offset0:32 offset1:48
	ds_write2st64_b32 v17, v1, v1 offset0:64 offset1:80
	ds_write2st64_b32 v17, v1, v1 offset0:96 offset1:112
	s_waitcnt lgkmcnt(0)
	s_barrier
	s_cbranch_vccz .LBB2601_292
; %bb.244:
	v_bfrev_b32_e32 v18, -2
	s_waitcnt vmcnt(5)
	v_cmp_gt_i64_e32 vcc, 0, v[12:13]
	v_ashrrev_i32_e32 v15, 31, v13
	s_mov_b32 s0, 0
	v_cndmask_b32_e64 v14, v18, 0, vcc
	v_not_b32_e32 v19, v15
	s_brev_b32 s1, 1
	v_xor_b32_e32 v15, v14, v13
	v_xor_b32_e32 v14, v19, v12
	s_sub_i32 s6, s9, s8
	s_min_u32 s6, s6, 8
	v_cmp_ne_u64_e32 vcc, s[0:1], v[14:15]
	s_lshl_b32 s6, -1, s6
	v_cndmask_b32_e32 v15, v18, v15, vcc
	v_cndmask_b32_e32 v14, -1, v14, vcc
	v_and_b32_e32 v1, 3, v0
	s_not_b32 s10, s6
	v_lshrrev_b64 v[20:21], s8, v[14:15]
	v_and_b32_e32 v19, s10, v20
	v_lshlrev_b32_e32 v1, 2, v1
	v_lshl_or_b32 v20, v19, 4, v1
	v_mov_b32_e32 v19, 1
	ds_add_u32 v20, v19
	s_add_i32 s11, s8, 8
	s_cmp_gt_u32 s9, s11
	s_cselect_b64 s[6:7], -1, 0
	s_cmp_le_u32 s9, s11
	s_cbranch_scc1 .LBB2601_252
; %bb.245:
	s_sub_i32 s12, s9, s11
	s_min_u32 s12, s12, 8
	v_lshrrev_b64 v[20:21], s11, v[14:15]
	v_bfe_u32 v20, v20, 0, s12
	v_lshl_or_b32 v20, v20, 4, v1
	ds_add_u32 v20, v19 offset:4096
	s_add_i32 s12, s8, 16
	s_cmp_le_u32 s9, s12
	s_cbranch_scc1 .LBB2601_252
; %bb.246:
	s_sub_i32 s13, s9, s12
	s_min_u32 s13, s13, 8
	v_lshrrev_b64 v[20:21], s12, v[14:15]
	v_bfe_u32 v20, v20, 0, s13
	v_lshl_or_b32 v21, v20, 4, v1
	v_mov_b32_e32 v20, 1
	ds_add_u32 v21, v20 offset:8192
	s_add_i32 s12, s8, 24
	s_cmp_le_u32 s9, s12
	s_cbranch_scc1 .LBB2601_252
; %bb.247:
	s_sub_i32 s13, s9, s12
	s_min_u32 s13, s13, 8
	v_lshrrev_b64 v[22:23], s12, v[14:15]
	v_bfe_u32 v21, v22, 0, s13
	v_lshl_or_b32 v21, v21, 4, v1
	ds_add_u32 v21, v20 offset:12288
	s_add_i32 s12, s8, 32
	s_cmp_le_u32 s9, s12
	s_cbranch_scc1 .LBB2601_252
; %bb.248:
	s_sub_i32 s13, s9, s12
	s_min_u32 s13, s13, 8
	v_lshrrev_b64 v[20:21], s12, v[14:15]
	v_bfe_u32 v20, v20, 0, s13
	v_lshl_or_b32 v21, v20, 4, v1
	v_mov_b32_e32 v20, 1
	ds_add_u32 v21, v20 offset:16384
	s_add_i32 s12, s8, 40
	;; [unrolled: 21-line block ×3, first 2 shown]
	s_cmp_le_u32 s9, s12
	s_cbranch_scc1 .LBB2601_252
; %bb.251:
	s_sub_i32 s13, s9, s12
	s_min_u32 s13, s13, 8
	v_lshrrev_b64 v[14:15], s12, v[14:15]
	v_bfe_u32 v14, v14, 0, s13
	v_lshl_or_b32 v14, v14, 4, v1
	ds_add_u32 v14, v20 offset:28672
.LBB2601_252:
	s_waitcnt vmcnt(4)
	v_cmp_gt_i64_e32 vcc, 0, v[10:11]
	v_ashrrev_i32_e32 v15, 31, v11
	v_cndmask_b32_e64 v14, v18, 0, vcc
	v_not_b32_e32 v20, v15
	v_xor_b32_e32 v15, v14, v11
	v_xor_b32_e32 v14, v20, v10
	v_cmp_ne_u64_e32 vcc, s[0:1], v[14:15]
	v_cndmask_b32_e32 v15, v18, v15, vcc
	v_cndmask_b32_e32 v14, -1, v14, vcc
	v_lshrrev_b64 v[20:21], s8, v[14:15]
	v_and_b32_e32 v18, s10, v20
	v_lshl_or_b32 v18, v18, 4, v1
	ds_add_u32 v18, v19
	v_cndmask_b32_e64 v18, 0, 1, s[6:7]
	v_cmp_ne_u32_e64 s[0:1], 1, v18
	s_andn2_b64 vcc, exec, s[6:7]
	s_cbranch_vccnz .LBB2601_260
; %bb.253:
	s_sub_i32 s6, s9, s11
	s_min_u32 s6, s6, 8
	v_lshrrev_b64 v[18:19], s11, v[14:15]
	v_bfe_u32 v18, v18, 0, s6
	v_lshl_or_b32 v19, v18, 4, v1
	v_mov_b32_e32 v18, 1
	ds_add_u32 v19, v18 offset:4096
	s_add_i32 s6, s8, 16
	s_cmp_le_u32 s9, s6
	s_cbranch_scc1 .LBB2601_260
; %bb.254:
	s_sub_i32 s7, s9, s6
	s_min_u32 s7, s7, 8
	v_lshrrev_b64 v[20:21], s6, v[14:15]
	v_bfe_u32 v19, v20, 0, s7
	v_lshl_or_b32 v19, v19, 4, v1
	ds_add_u32 v19, v18 offset:8192
	s_add_i32 s6, s8, 24
	s_cmp_le_u32 s9, s6
	s_cbranch_scc1 .LBB2601_260
; %bb.255:
	s_sub_i32 s7, s9, s6
	s_min_u32 s7, s7, 8
	v_lshrrev_b64 v[18:19], s6, v[14:15]
	v_bfe_u32 v18, v18, 0, s7
	v_lshl_or_b32 v19, v18, 4, v1
	v_mov_b32_e32 v18, 1
	ds_add_u32 v19, v18 offset:12288
	s_add_i32 s6, s8, 32
	s_cmp_le_u32 s9, s6
	s_cbranch_scc1 .LBB2601_260
; %bb.256:
	s_sub_i32 s7, s9, s6
	s_min_u32 s7, s7, 8
	v_lshrrev_b64 v[20:21], s6, v[14:15]
	v_bfe_u32 v19, v20, 0, s7
	v_lshl_or_b32 v19, v19, 4, v1
	ds_add_u32 v19, v18 offset:16384
	s_add_i32 s6, s8, 40
	s_cmp_le_u32 s9, s6
	s_cbranch_scc1 .LBB2601_260
	;; [unrolled: 21-line block ×3, first 2 shown]
; %bb.259:
	s_sub_i32 s7, s9, s6
	s_min_u32 s7, s7, 8
	v_lshrrev_b64 v[14:15], s6, v[14:15]
	v_bfe_u32 v14, v14, 0, s7
	v_lshl_or_b32 v14, v14, 4, v1
	v_mov_b32_e32 v15, 1
	ds_add_u32 v14, v15 offset:28672
.LBB2601_260:
	v_bfrev_b32_e32 v18, -2
	s_waitcnt vmcnt(3)
	v_cmp_gt_i64_e32 vcc, 0, v[6:7]
	v_ashrrev_i32_e32 v15, 31, v7
	s_mov_b32 s6, 0
	v_cndmask_b32_e64 v14, v18, 0, vcc
	v_not_b32_e32 v19, v15
	s_brev_b32 s7, 1
	v_xor_b32_e32 v15, v14, v7
	v_xor_b32_e32 v14, v19, v6
	v_cmp_ne_u64_e32 vcc, s[6:7], v[14:15]
	v_cndmask_b32_e32 v15, v18, v15, vcc
	v_cndmask_b32_e32 v14, -1, v14, vcc
	v_lshrrev_b64 v[20:21], s8, v[14:15]
	v_and_b32_e32 v19, s10, v20
	v_lshl_or_b32 v20, v19, 4, v1
	v_mov_b32_e32 v19, 1
	ds_add_u32 v20, v19
	s_and_b64 vcc, exec, s[0:1]
	s_cbranch_vccnz .LBB2601_268
; %bb.261:
	s_sub_i32 s12, s9, s11
	s_min_u32 s12, s12, 8
	v_lshrrev_b64 v[20:21], s11, v[14:15]
	v_bfe_u32 v20, v20, 0, s12
	v_lshl_or_b32 v20, v20, 4, v1
	ds_add_u32 v20, v19 offset:4096
	s_add_i32 s12, s8, 16
	s_cmp_le_u32 s9, s12
	s_cbranch_scc1 .LBB2601_268
; %bb.262:
	s_sub_i32 s13, s9, s12
	s_min_u32 s13, s13, 8
	v_lshrrev_b64 v[20:21], s12, v[14:15]
	v_bfe_u32 v20, v20, 0, s13
	v_lshl_or_b32 v20, v20, 4, v1
	ds_add_u32 v20, v19 offset:8192
	s_add_i32 s12, s8, 24
	s_cmp_le_u32 s9, s12
	s_cbranch_scc1 .LBB2601_268
; %bb.263:
	s_sub_i32 s13, s9, s12
	s_min_u32 s13, s13, 8
	v_lshrrev_b64 v[20:21], s12, v[14:15]
	v_bfe_u32 v20, v20, 0, s13
	v_lshl_or_b32 v21, v20, 4, v1
	v_mov_b32_e32 v20, 1
	ds_add_u32 v21, v20 offset:12288
	s_add_i32 s12, s8, 32
	s_cmp_le_u32 s9, s12
	s_cbranch_scc1 .LBB2601_268
; %bb.264:
	s_sub_i32 s13, s9, s12
	s_min_u32 s13, s13, 8
	v_lshrrev_b64 v[22:23], s12, v[14:15]
	v_bfe_u32 v21, v22, 0, s13
	v_lshl_or_b32 v21, v21, 4, v1
	ds_add_u32 v21, v20 offset:16384
	s_add_i32 s12, s8, 40
	s_cmp_le_u32 s9, s12
	s_cbranch_scc1 .LBB2601_268
; %bb.265:
	s_sub_i32 s13, s9, s12
	s_min_u32 s13, s13, 8
	v_lshrrev_b64 v[20:21], s12, v[14:15]
	v_bfe_u32 v20, v20, 0, s13
	v_lshl_or_b32 v21, v20, 4, v1
	v_mov_b32_e32 v20, 1
	;; [unrolled: 21-line block ×3, first 2 shown]
	ds_add_u32 v14, v15 offset:28672
.LBB2601_268:
	s_waitcnt vmcnt(2)
	v_cmp_gt_i64_e32 vcc, 0, v[2:3]
	v_ashrrev_i32_e32 v15, 31, v3
	v_cndmask_b32_e64 v14, v18, 0, vcc
	v_not_b32_e32 v20, v15
	v_xor_b32_e32 v15, v14, v3
	v_xor_b32_e32 v14, v20, v2
	v_cmp_ne_u64_e32 vcc, s[6:7], v[14:15]
	v_cndmask_b32_e32 v15, v18, v15, vcc
	v_cndmask_b32_e32 v14, -1, v14, vcc
	v_lshrrev_b64 v[20:21], s8, v[14:15]
	v_and_b32_e32 v18, s10, v20
	v_lshl_or_b32 v18, v18, 4, v1
	ds_add_u32 v18, v19
	s_and_b64 vcc, exec, s[0:1]
	s_cbranch_vccnz .LBB2601_276
; %bb.269:
	s_sub_i32 s6, s9, s11
	s_min_u32 s6, s6, 8
	v_lshrrev_b64 v[18:19], s11, v[14:15]
	v_bfe_u32 v18, v18, 0, s6
	v_lshl_or_b32 v19, v18, 4, v1
	v_mov_b32_e32 v18, 1
	ds_add_u32 v19, v18 offset:4096
	s_add_i32 s6, s8, 16
	s_cmp_le_u32 s9, s6
	s_cbranch_scc1 .LBB2601_276
; %bb.270:
	s_sub_i32 s7, s9, s6
	s_min_u32 s7, s7, 8
	v_lshrrev_b64 v[20:21], s6, v[14:15]
	v_bfe_u32 v19, v20, 0, s7
	v_lshl_or_b32 v19, v19, 4, v1
	ds_add_u32 v19, v18 offset:8192
	s_add_i32 s6, s8, 24
	s_cmp_le_u32 s9, s6
	s_cbranch_scc1 .LBB2601_276
; %bb.271:
	s_sub_i32 s7, s9, s6
	s_min_u32 s7, s7, 8
	v_lshrrev_b64 v[18:19], s6, v[14:15]
	v_bfe_u32 v18, v18, 0, s7
	v_lshl_or_b32 v19, v18, 4, v1
	v_mov_b32_e32 v18, 1
	ds_add_u32 v19, v18 offset:12288
	s_add_i32 s6, s8, 32
	s_cmp_le_u32 s9, s6
	s_cbranch_scc1 .LBB2601_276
; %bb.272:
	s_sub_i32 s7, s9, s6
	s_min_u32 s7, s7, 8
	v_lshrrev_b64 v[20:21], s6, v[14:15]
	v_bfe_u32 v19, v20, 0, s7
	v_lshl_or_b32 v19, v19, 4, v1
	ds_add_u32 v19, v18 offset:16384
	s_add_i32 s6, s8, 40
	s_cmp_le_u32 s9, s6
	s_cbranch_scc1 .LBB2601_276
	;; [unrolled: 21-line block ×3, first 2 shown]
; %bb.275:
	s_sub_i32 s7, s9, s6
	s_min_u32 s7, s7, 8
	v_lshrrev_b64 v[14:15], s6, v[14:15]
	v_bfe_u32 v14, v14, 0, s7
	v_lshl_or_b32 v14, v14, 4, v1
	v_mov_b32_e32 v15, 1
	ds_add_u32 v14, v15 offset:28672
.LBB2601_276:
	v_bfrev_b32_e32 v18, -2
	s_waitcnt vmcnt(1)
	v_cmp_gt_i64_e32 vcc, 0, v[8:9]
	v_ashrrev_i32_e32 v15, 31, v9
	s_mov_b32 s6, 0
	v_cndmask_b32_e64 v14, v18, 0, vcc
	v_not_b32_e32 v19, v15
	s_brev_b32 s7, 1
	v_xor_b32_e32 v15, v14, v9
	v_xor_b32_e32 v14, v19, v8
	v_cmp_ne_u64_e32 vcc, s[6:7], v[14:15]
	v_cndmask_b32_e32 v15, v18, v15, vcc
	v_cndmask_b32_e32 v14, -1, v14, vcc
	v_lshrrev_b64 v[20:21], s8, v[14:15]
	v_and_b32_e32 v19, s10, v20
	v_lshl_or_b32 v20, v19, 4, v1
	v_mov_b32_e32 v19, 1
	ds_add_u32 v20, v19
	s_and_b64 vcc, exec, s[0:1]
	s_cbranch_vccnz .LBB2601_284
; %bb.277:
	s_sub_i32 s12, s9, s11
	s_min_u32 s12, s12, 8
	v_lshrrev_b64 v[20:21], s11, v[14:15]
	v_bfe_u32 v20, v20, 0, s12
	v_lshl_or_b32 v20, v20, 4, v1
	ds_add_u32 v20, v19 offset:4096
	s_add_i32 s12, s8, 16
	s_cmp_le_u32 s9, s12
	s_cbranch_scc1 .LBB2601_284
; %bb.278:
	s_sub_i32 s13, s9, s12
	s_min_u32 s13, s13, 8
	v_lshrrev_b64 v[20:21], s12, v[14:15]
	v_bfe_u32 v20, v20, 0, s13
	v_lshl_or_b32 v20, v20, 4, v1
	ds_add_u32 v20, v19 offset:8192
	s_add_i32 s12, s8, 24
	s_cmp_le_u32 s9, s12
	s_cbranch_scc1 .LBB2601_284
; %bb.279:
	s_sub_i32 s13, s9, s12
	s_min_u32 s13, s13, 8
	v_lshrrev_b64 v[20:21], s12, v[14:15]
	v_bfe_u32 v20, v20, 0, s13
	v_lshl_or_b32 v21, v20, 4, v1
	v_mov_b32_e32 v20, 1
	ds_add_u32 v21, v20 offset:12288
	s_add_i32 s12, s8, 32
	s_cmp_le_u32 s9, s12
	s_cbranch_scc1 .LBB2601_284
; %bb.280:
	s_sub_i32 s13, s9, s12
	s_min_u32 s13, s13, 8
	v_lshrrev_b64 v[22:23], s12, v[14:15]
	v_bfe_u32 v21, v22, 0, s13
	v_lshl_or_b32 v21, v21, 4, v1
	ds_add_u32 v21, v20 offset:16384
	s_add_i32 s12, s8, 40
	s_cmp_le_u32 s9, s12
	s_cbranch_scc1 .LBB2601_284
; %bb.281:
	s_sub_i32 s13, s9, s12
	s_min_u32 s13, s13, 8
	v_lshrrev_b64 v[20:21], s12, v[14:15]
	v_bfe_u32 v20, v20, 0, s13
	v_lshl_or_b32 v21, v20, 4, v1
	v_mov_b32_e32 v20, 1
	;; [unrolled: 21-line block ×3, first 2 shown]
	ds_add_u32 v14, v15 offset:28672
.LBB2601_284:
	s_waitcnt vmcnt(0)
	v_cmp_gt_i64_e32 vcc, 0, v[4:5]
	v_ashrrev_i32_e32 v15, 31, v5
	v_cndmask_b32_e64 v14, v18, 0, vcc
	v_not_b32_e32 v20, v15
	v_xor_b32_e32 v15, v14, v5
	v_xor_b32_e32 v14, v20, v4
	v_cmp_ne_u64_e32 vcc, s[6:7], v[14:15]
	v_cndmask_b32_e32 v15, v18, v15, vcc
	v_cndmask_b32_e32 v14, -1, v14, vcc
	v_lshrrev_b64 v[20:21], s8, v[14:15]
	v_and_b32_e32 v18, s10, v20
	v_lshl_or_b32 v18, v18, 4, v1
	ds_add_u32 v18, v19
	s_and_b64 vcc, exec, s[0:1]
	s_cbranch_vccnz .LBB2601_292
; %bb.285:
	s_sub_i32 s0, s9, s11
	s_min_u32 s0, s0, 8
	v_lshrrev_b64 v[18:19], s11, v[14:15]
	v_bfe_u32 v18, v18, 0, s0
	v_lshl_or_b32 v19, v18, 4, v1
	v_mov_b32_e32 v18, 1
	ds_add_u32 v19, v18 offset:4096
	s_add_i32 s0, s8, 16
	s_cmp_le_u32 s9, s0
	s_cbranch_scc1 .LBB2601_292
; %bb.286:
	s_sub_i32 s1, s9, s0
	s_min_u32 s1, s1, 8
	v_lshrrev_b64 v[20:21], s0, v[14:15]
	v_bfe_u32 v19, v20, 0, s1
	v_lshl_or_b32 v19, v19, 4, v1
	ds_add_u32 v19, v18 offset:8192
	s_add_i32 s0, s8, 24
	s_cmp_le_u32 s9, s0
	s_cbranch_scc1 .LBB2601_292
; %bb.287:
	s_sub_i32 s1, s9, s0
	s_min_u32 s1, s1, 8
	v_lshrrev_b64 v[18:19], s0, v[14:15]
	v_bfe_u32 v18, v18, 0, s1
	v_lshl_or_b32 v19, v18, 4, v1
	v_mov_b32_e32 v18, 1
	ds_add_u32 v19, v18 offset:12288
	s_add_i32 s0, s8, 32
	s_cmp_le_u32 s9, s0
	s_cbranch_scc1 .LBB2601_292
; %bb.288:
	s_sub_i32 s1, s9, s0
	s_min_u32 s1, s1, 8
	v_lshrrev_b64 v[20:21], s0, v[14:15]
	v_bfe_u32 v19, v20, 0, s1
	v_lshl_or_b32 v19, v19, 4, v1
	ds_add_u32 v19, v18 offset:16384
	s_add_i32 s0, s8, 40
	s_cmp_le_u32 s9, s0
	s_cbranch_scc1 .LBB2601_292
	;; [unrolled: 21-line block ×3, first 2 shown]
; %bb.291:
	s_sub_i32 s1, s9, s0
	s_min_u32 s1, s1, 8
	v_lshrrev_b64 v[14:15], s0, v[14:15]
	v_bfe_u32 v14, v14, 0, s1
	v_lshl_or_b32 v1, v14, 4, v1
	v_mov_b32_e32 v14, 1
	ds_add_u32 v1, v14 offset:28672
.LBB2601_292:
	s_and_b64 vcc, exec, s[4:5]
	s_waitcnt lgkmcnt(0)
	s_barrier
	s_cbranch_vccz .LBB2601_297
; %bb.293:
	s_movk_i32 s0, 0x100
	v_cmp_gt_u32_e32 vcc, s0, v0
	v_lshlrev_b32_e32 v1, 4, v0
	v_mov_b32_e32 v15, 0
	v_mov_b32_e32 v14, v0
	s_branch .LBB2601_295
.LBB2601_294:                           ;   in Loop: Header=BB2601_295 Depth=1
	s_or_b64 exec, exec, s[4:5]
	s_add_i32 s8, s8, 8
	v_add_u32_e32 v14, 0x100, v14
	s_cmp_ge_u32 s8, s9
	v_add_u32_e32 v1, 0x1000, v1
	s_cbranch_scc1 .LBB2601_297
.LBB2601_295:                           ; =>This Inner Loop Header: Depth=1
	s_and_saveexec_b64 s[4:5], vcc
	s_cbranch_execz .LBB2601_294
; %bb.296:                              ;   in Loop: Header=BB2601_295 Depth=1
	ds_read2_b32 v[18:19], v1 offset1:1
	ds_read2_b32 v[20:21], v1 offset0:2 offset1:3
	v_lshlrev_b64 v[22:23], 3, v[14:15]
	v_mov_b32_e32 v24, s3
	s_waitcnt lgkmcnt(1)
	v_add_u32_e32 v18, v19, v18
	s_waitcnt lgkmcnt(0)
	v_add3_u32 v18, v18, v20, v21
	v_add_co_u32_e64 v20, s[0:1], s2, v22
	v_addc_co_u32_e64 v21, s[0:1], v24, v23, s[0:1]
	v_mov_b32_e32 v19, v15
	global_atomic_add_x2 v[20:21], v[18:19], off
	s_branch .LBB2601_294
.LBB2601_297:
	s_mov_b64 s[0:1], 0
.LBB2601_298:
	s_and_b64 vcc, exec, s[0:1]
	s_cbranch_vccz .LBB2601_301
; %bb.299:
	v_mov_b32_e32 v1, 0
	ds_write2st64_b32 v17, v1, v1 offset1:16
	ds_write2st64_b32 v17, v1, v1 offset0:32 offset1:48
	ds_write2st64_b32 v17, v1, v1 offset0:64 offset1:80
	ds_write2st64_b32 v17, v1, v1 offset0:96 offset1:112
	v_bfrev_b32_e32 v17, -2
	s_waitcnt vmcnt(5)
	v_cmp_gt_i64_e32 vcc, 0, v[12:13]
	v_ashrrev_i32_e32 v15, 31, v13
	v_cndmask_b32_e64 v14, v17, 0, vcc
	v_not_b32_e32 v15, v15
	s_waitcnt vmcnt(4)
	v_cmp_gt_i64_e32 vcc, 0, v[10:11]
	v_xor_b32_e32 v13, v14, v13
	v_xor_b32_e32 v12, v15, v12
	v_cndmask_b32_e64 v14, v17, 0, vcc
	v_ashrrev_i32_e32 v15, 31, v11
	v_not_b32_e32 v18, v15
	v_xor_b32_e32 v15, v14, v11
	s_waitcnt vmcnt(3)
	v_cmp_gt_i64_e32 vcc, 0, v[6:7]
	v_ashrrev_i32_e32 v11, 31, v7
	v_xor_b32_e32 v14, v18, v10
	v_cndmask_b32_e64 v10, v17, 0, vcc
	v_not_b32_e32 v11, v11
	s_waitcnt vmcnt(2)
	v_cmp_gt_i64_e32 vcc, 0, v[2:3]
	v_xor_b32_e32 v18, v11, v6
	v_cndmask_b32_e64 v6, v17, 0, vcc
	v_xor_b32_e32 v19, v10, v7
	v_ashrrev_i32_e32 v7, 31, v3
	v_xor_b32_e32 v11, v6, v3
	s_waitcnt vmcnt(1)
	v_ashrrev_i32_e32 v3, 31, v9
	v_not_b32_e32 v7, v7
	v_cmp_gt_i64_e32 vcc, 0, v[8:9]
	v_not_b32_e32 v3, v3
	s_mov_b32 s0, 0
	v_xor_b32_e32 v10, v7, v2
	v_cndmask_b32_e64 v2, v17, 0, vcc
	v_xor_b32_e32 v6, v3, v8
	s_waitcnt vmcnt(0)
	v_cmp_gt_i64_e32 vcc, 0, v[4:5]
	v_ashrrev_i32_e32 v3, 31, v5
	s_brev_b32 s1, 1
	v_xor_b32_e32 v7, v2, v9
	v_cndmask_b32_e64 v2, v17, 0, vcc
	v_not_b32_e32 v8, v3
	v_cmp_ne_u64_e32 vcc, s[0:1], v[12:13]
	v_xor_b32_e32 v3, v2, v5
	v_xor_b32_e32 v2, v8, v4
	v_cndmask_b32_e32 v8, -1, v12, vcc
	v_and_b32_e32 v4, 3, v0
	v_lshlrev_b32_e32 v9, 2, v8
	s_movk_i32 s4, 0x3fc
	v_and_or_b32 v9, v9, s4, v4
	v_lshlrev_b32_e32 v9, 2, v9
	v_mov_b32_e32 v12, 1
	s_waitcnt lgkmcnt(0)
	s_barrier
	ds_add_u32 v9, v12
	v_bfe_u32 v9, v8, 8, 8
	v_lshl_or_b32 v9, v9, 2, v4
	v_lshlrev_b32_e32 v9, 2, v9
	ds_add_u32 v9, v12 offset:4096
	v_bfe_u32 v9, v8, 16, 8
	v_lshl_or_b32 v9, v9, 2, v4
	v_lshlrev_b32_e32 v9, 2, v9
	v_cndmask_b32_e32 v5, v17, v13, vcc
	ds_add_u32 v9, v12 offset:8192
	v_lshrrev_b32_e32 v9, 24, v8
	v_lshl_or_b32 v9, v9, 2, v4
	v_alignbit_b32 v8, v5, v8, 30
	v_lshlrev_b32_e32 v9, 2, v9
	v_and_or_b32 v8, v8, s4, v4
	ds_add_u32 v9, v12 offset:12288
	v_lshlrev_b32_e32 v8, 2, v8
	ds_add_u32 v8, v12 offset:16384
	v_bfe_u32 v8, v5, 8, 8
	v_lshl_or_b32 v8, v8, 2, v4
	v_lshlrev_b32_e32 v8, 2, v8
	ds_add_u32 v8, v12 offset:20480
	v_bfe_u32 v8, v5, 16, 8
	v_lshl_or_b32 v8, v8, 2, v4
	v_lshlrev_b32_e32 v8, 2, v8
	v_cmp_ne_u64_e32 vcc, s[0:1], v[14:15]
	ds_add_u32 v8, v12 offset:24576
	v_lshrrev_b32_e32 v5, 24, v5
	v_cndmask_b32_e32 v8, -1, v14, vcc
	v_lshl_or_b32 v5, v5, 2, v4
	v_lshlrev_b32_e32 v9, 2, v8
	v_lshlrev_b32_e32 v5, 2, v5
	v_and_or_b32 v9, v9, s4, v4
	ds_add_u32 v5, v12 offset:28672
	v_lshlrev_b32_e32 v9, 2, v9
	ds_add_u32 v9, v12
	v_bfe_u32 v9, v8, 8, 8
	v_lshl_or_b32 v9, v9, 2, v4
	v_lshlrev_b32_e32 v9, 2, v9
	ds_add_u32 v9, v12 offset:4096
	v_bfe_u32 v9, v8, 16, 8
	v_lshl_or_b32 v9, v9, 2, v4
	v_lshlrev_b32_e32 v9, 2, v9
	v_cndmask_b32_e32 v5, v17, v15, vcc
	ds_add_u32 v9, v12 offset:8192
	v_lshrrev_b32_e32 v9, 24, v8
	v_lshl_or_b32 v9, v9, 2, v4
	v_alignbit_b32 v8, v5, v8, 30
	v_lshlrev_b32_e32 v9, 2, v9
	v_and_or_b32 v8, v8, s4, v4
	ds_add_u32 v9, v12 offset:12288
	v_lshlrev_b32_e32 v8, 2, v8
	ds_add_u32 v8, v12 offset:16384
	v_bfe_u32 v8, v5, 8, 8
	v_lshl_or_b32 v8, v8, 2, v4
	v_lshlrev_b32_e32 v8, 2, v8
	ds_add_u32 v8, v12 offset:20480
	v_bfe_u32 v8, v5, 16, 8
	v_lshl_or_b32 v8, v8, 2, v4
	v_lshlrev_b32_e32 v8, 2, v8
	v_cmp_ne_u64_e32 vcc, s[0:1], v[18:19]
	ds_add_u32 v8, v12 offset:24576
	v_lshrrev_b32_e32 v5, 24, v5
	v_cndmask_b32_e32 v8, -1, v18, vcc
	v_lshl_or_b32 v5, v5, 2, v4
	v_lshlrev_b32_e32 v9, 2, v8
	v_lshlrev_b32_e32 v5, 2, v5
	v_and_or_b32 v9, v9, s4, v4
	ds_add_u32 v5, v12 offset:28672
	v_lshlrev_b32_e32 v9, 2, v9
	;; [unrolled: 35-line block ×3, first 2 shown]
	ds_add_u32 v9, v12
	v_bfe_u32 v9, v8, 8, 8
	v_lshl_or_b32 v9, v9, 2, v4
	v_lshlrev_b32_e32 v9, 2, v9
	ds_add_u32 v9, v12 offset:4096
	v_bfe_u32 v9, v8, 16, 8
	v_lshl_or_b32 v9, v9, 2, v4
	v_lshlrev_b32_e32 v9, 2, v9
	v_cndmask_b32_e32 v5, v17, v11, vcc
	ds_add_u32 v9, v12 offset:8192
	v_lshrrev_b32_e32 v9, 24, v8
	v_lshl_or_b32 v9, v9, 2, v4
	v_alignbit_b32 v8, v5, v8, 30
	v_lshlrev_b32_e32 v9, 2, v9
	v_and_or_b32 v8, v8, s4, v4
	ds_add_u32 v9, v12 offset:12288
	v_lshlrev_b32_e32 v8, 2, v8
	ds_add_u32 v8, v12 offset:16384
	v_bfe_u32 v8, v5, 8, 8
	v_lshl_or_b32 v8, v8, 2, v4
	v_lshlrev_b32_e32 v8, 2, v8
	ds_add_u32 v8, v12 offset:20480
	v_bfe_u32 v8, v5, 16, 8
	v_lshl_or_b32 v8, v8, 2, v4
	v_lshrrev_b32_e32 v5, 24, v5
	v_lshlrev_b32_e32 v8, 2, v8
	v_lshl_or_b32 v5, v5, 2, v4
	v_cmp_ne_u64_e32 vcc, s[0:1], v[6:7]
	ds_add_u32 v8, v12 offset:24576
	v_lshlrev_b32_e32 v5, 2, v5
	v_cndmask_b32_e32 v6, -1, v6, vcc
	ds_add_u32 v5, v12 offset:28672
	v_cndmask_b32_e32 v5, v17, v7, vcc
	v_lshlrev_b32_e32 v7, 2, v6
	v_and_or_b32 v7, v7, s4, v4
	v_lshlrev_b32_e32 v7, 2, v7
	ds_add_u32 v7, v12
	v_bfe_u32 v7, v6, 8, 8
	v_lshl_or_b32 v7, v7, 2, v4
	v_lshlrev_b32_e32 v7, 2, v7
	ds_add_u32 v7, v12 offset:4096
	v_bfe_u32 v7, v6, 16, 8
	v_lshl_or_b32 v7, v7, 2, v4
	v_lshlrev_b32_e32 v7, 2, v7
	ds_add_u32 v7, v12 offset:8192
	v_lshrrev_b32_e32 v7, 24, v6
	v_lshl_or_b32 v7, v7, 2, v4
	v_alignbit_b32 v6, v5, v6, 30
	v_lshlrev_b32_e32 v7, 2, v7
	v_and_or_b32 v6, v6, s4, v4
	ds_add_u32 v7, v12 offset:12288
	v_lshlrev_b32_e32 v6, 2, v6
	ds_add_u32 v6, v12 offset:16384
	v_bfe_u32 v6, v5, 8, 8
	v_lshl_or_b32 v6, v6, 2, v4
	v_lshlrev_b32_e32 v6, 2, v6
	ds_add_u32 v6, v12 offset:20480
	v_bfe_u32 v6, v5, 16, 8
	v_lshl_or_b32 v6, v6, 2, v4
	v_lshrrev_b32_e32 v5, 24, v5
	v_lshlrev_b32_e32 v6, 2, v6
	v_lshl_or_b32 v5, v5, 2, v4
	v_cmp_ne_u64_e32 vcc, s[0:1], v[2:3]
	ds_add_u32 v6, v12 offset:24576
	v_lshlrev_b32_e32 v5, 2, v5
	v_cndmask_b32_e32 v2, -1, v2, vcc
	ds_add_u32 v5, v12 offset:28672
	v_lshlrev_b32_e32 v5, 2, v2
	v_and_or_b32 v5, v5, s4, v4
	v_lshlrev_b32_e32 v5, 2, v5
	ds_add_u32 v5, v12
	v_bfe_u32 v5, v2, 8, 8
	v_lshl_or_b32 v5, v5, 2, v4
	v_lshlrev_b32_e32 v5, 2, v5
	ds_add_u32 v5, v12 offset:4096
	v_bfe_u32 v5, v2, 16, 8
	v_lshl_or_b32 v5, v5, 2, v4
	v_lshlrev_b32_e32 v5, 2, v5
	v_cndmask_b32_e32 v3, v17, v3, vcc
	ds_add_u32 v5, v12 offset:8192
	v_lshrrev_b32_e32 v5, 24, v2
	v_lshl_or_b32 v5, v5, 2, v4
	v_alignbit_b32 v2, v3, v2, 30
	v_lshlrev_b32_e32 v5, 2, v5
	v_and_or_b32 v2, v2, s4, v4
	ds_add_u32 v5, v12 offset:12288
	v_lshlrev_b32_e32 v2, 2, v2
	ds_add_u32 v2, v12 offset:16384
	v_bfe_u32 v2, v3, 8, 8
	v_lshl_or_b32 v2, v2, 2, v4
	v_lshlrev_b32_e32 v2, 2, v2
	ds_add_u32 v2, v12 offset:20480
	v_bfe_u32 v2, v3, 16, 8
	v_lshl_or_b32 v2, v2, 2, v4
	v_lshlrev_b32_e32 v2, 2, v2
	ds_add_u32 v2, v12 offset:24576
	v_lshrrev_b32_e32 v2, 24, v3
	v_lshl_or_b32 v2, v2, 2, v4
	v_lshlrev_b32_e32 v2, 2, v2
	ds_add_u32 v2, v12 offset:28672
	s_movk_i32 s0, 0x100
	v_cmp_gt_u32_e32 vcc, s0, v0
	s_waitcnt lgkmcnt(0)
	s_barrier
	s_and_saveexec_b64 s[0:1], vcc
	s_cbranch_execz .LBB2601_301
; %bb.300:
	v_lshlrev_b32_e32 v6, 4, v0
	ds_read2_b32 v[2:3], v6 offset1:1
	ds_read2_b32 v[4:5], v6 offset0:2 offset1:3
	v_add_u32_e32 v7, 0x1000, v6
	v_add_u32_e32 v8, 0x1008, v6
	;; [unrolled: 1-line block ×3, first 2 shown]
	s_waitcnt lgkmcnt(1)
	v_add_u32_e32 v0, v3, v2
	s_waitcnt lgkmcnt(0)
	v_add3_u32 v0, v0, v4, v5
	global_atomic_add_x2 v16, v[0:1], s[2:3]
	ds_read2_b32 v[2:3], v7 offset1:1
	ds_read2_b32 v[4:5], v8 offset1:1
	v_add_u32_e32 v7, 0x2000, v6
	v_add_u32_e32 v8, 0x2008, v6
	s_waitcnt lgkmcnt(1)
	v_add_u32_e32 v0, v3, v2
	s_waitcnt lgkmcnt(0)
	v_add3_u32 v0, v0, v4, v5
	global_atomic_add_x2 v16, v[0:1], s[2:3] offset:2048
	ds_read2_b32 v[2:3], v7 offset1:1
	ds_read2_b32 v[4:5], v8 offset1:1
	v_or_b32_e32 v7, 0x1000, v16
	v_add_u32_e32 v8, 0x3000, v6
	s_waitcnt lgkmcnt(1)
	v_add_u32_e32 v0, v3, v2
	s_waitcnt lgkmcnt(0)
	v_add3_u32 v0, v0, v4, v5
	global_atomic_add_x2 v7, v[0:1], s[2:3]
	ds_read2_b32 v[2:3], v8 offset1:1
	ds_read2_b32 v[4:5], v9 offset1:1
	v_or_b32_e32 v7, 0x1800, v16
	v_or_b32_e32 v8, 0x4000, v6
	;; [unrolled: 1-line block ×3, first 2 shown]
	s_waitcnt lgkmcnt(1)
	v_add_u32_e32 v0, v3, v2
	s_waitcnt lgkmcnt(0)
	v_add3_u32 v0, v0, v4, v5
	global_atomic_add_x2 v7, v[0:1], s[2:3]
	ds_read2_b32 v[2:3], v8 offset1:1
	ds_read2_b32 v[4:5], v9 offset1:1
	v_or_b32_e32 v7, 0x2000, v16
	v_add_u32_e32 v8, 0x5000, v6
	v_add_u32_e32 v9, 0x5008, v6
	s_waitcnt lgkmcnt(1)
	v_add_u32_e32 v0, v3, v2
	s_waitcnt lgkmcnt(0)
	v_add3_u32 v0, v0, v4, v5
	global_atomic_add_x2 v7, v[0:1], s[2:3]
	ds_read2_b32 v[2:3], v8 offset1:1
	ds_read2_b32 v[4:5], v9 offset1:1
	v_or_b32_e32 v7, 0x2800, v16
	v_add_u32_e32 v8, 0x6000, v6
	v_add_u32_e32 v9, 0x6008, v6
	;; [unrolled: 10-line block ×3, first 2 shown]
	s_waitcnt lgkmcnt(1)
	v_add_u32_e32 v0, v3, v2
	s_waitcnt lgkmcnt(0)
	v_add3_u32 v0, v0, v4, v5
	global_atomic_add_x2 v7, v[0:1], s[2:3]
	ds_read2_b32 v[2:3], v8 offset1:1
	ds_read2_b32 v[4:5], v6 offset1:1
	s_waitcnt lgkmcnt(1)
	v_add_u32_e32 v0, v3, v2
	s_waitcnt lgkmcnt(0)
	v_add3_u32 v0, v0, v4, v5
	v_or_b32_e32 v2, 0x3800, v16
	global_atomic_add_x2 v2, v[0:1], s[2:3]
.LBB2601_301:
	s_endpgm
	.section	.rodata,"a",@progbits
	.p2align	6, 0x0
	.amdhsa_kernel _ZN7rocprim17ROCPRIM_400000_NS6detail17trampoline_kernelINS0_14default_configENS1_35radix_sort_onesweep_config_selectorIdNS0_10empty_typeEEEZNS1_34radix_sort_onesweep_global_offsetsIS3_Lb1EPdPS5_mNS0_19identity_decomposerEEE10hipError_tT1_T2_PT3_SE_jT4_jjP12ihipStream_tbEUlT_E_NS1_11comp_targetILNS1_3genE4ELNS1_11target_archE910ELNS1_3gpuE8ELNS1_3repE0EEENS1_52radix_sort_onesweep_histogram_config_static_selectorELNS0_4arch9wavefront6targetE1EEEvSC_
		.amdhsa_group_segment_fixed_size 32768
		.amdhsa_private_segment_fixed_size 0
		.amdhsa_kernarg_size 48
		.amdhsa_user_sgpr_count 6
		.amdhsa_user_sgpr_private_segment_buffer 1
		.amdhsa_user_sgpr_dispatch_ptr 0
		.amdhsa_user_sgpr_queue_ptr 0
		.amdhsa_user_sgpr_kernarg_segment_ptr 1
		.amdhsa_user_sgpr_dispatch_id 0
		.amdhsa_user_sgpr_flat_scratch_init 0
		.amdhsa_user_sgpr_kernarg_preload_length 0
		.amdhsa_user_sgpr_kernarg_preload_offset 0
		.amdhsa_user_sgpr_private_segment_size 0
		.amdhsa_uses_dynamic_stack 0
		.amdhsa_system_sgpr_private_segment_wavefront_offset 0
		.amdhsa_system_sgpr_workgroup_id_x 1
		.amdhsa_system_sgpr_workgroup_id_y 0
		.amdhsa_system_sgpr_workgroup_id_z 0
		.amdhsa_system_sgpr_workgroup_info 0
		.amdhsa_system_vgpr_workitem_id 0
		.amdhsa_next_free_vgpr 25
		.amdhsa_next_free_sgpr 18
		.amdhsa_accum_offset 28
		.amdhsa_reserve_vcc 1
		.amdhsa_reserve_flat_scratch 0
		.amdhsa_float_round_mode_32 0
		.amdhsa_float_round_mode_16_64 0
		.amdhsa_float_denorm_mode_32 3
		.amdhsa_float_denorm_mode_16_64 3
		.amdhsa_dx10_clamp 1
		.amdhsa_ieee_mode 1
		.amdhsa_fp16_overflow 0
		.amdhsa_tg_split 0
		.amdhsa_exception_fp_ieee_invalid_op 0
		.amdhsa_exception_fp_denorm_src 0
		.amdhsa_exception_fp_ieee_div_zero 0
		.amdhsa_exception_fp_ieee_overflow 0
		.amdhsa_exception_fp_ieee_underflow 0
		.amdhsa_exception_fp_ieee_inexact 0
		.amdhsa_exception_int_div_zero 0
	.end_amdhsa_kernel
	.section	.text._ZN7rocprim17ROCPRIM_400000_NS6detail17trampoline_kernelINS0_14default_configENS1_35radix_sort_onesweep_config_selectorIdNS0_10empty_typeEEEZNS1_34radix_sort_onesweep_global_offsetsIS3_Lb1EPdPS5_mNS0_19identity_decomposerEEE10hipError_tT1_T2_PT3_SE_jT4_jjP12ihipStream_tbEUlT_E_NS1_11comp_targetILNS1_3genE4ELNS1_11target_archE910ELNS1_3gpuE8ELNS1_3repE0EEENS1_52radix_sort_onesweep_histogram_config_static_selectorELNS0_4arch9wavefront6targetE1EEEvSC_,"axG",@progbits,_ZN7rocprim17ROCPRIM_400000_NS6detail17trampoline_kernelINS0_14default_configENS1_35radix_sort_onesweep_config_selectorIdNS0_10empty_typeEEEZNS1_34radix_sort_onesweep_global_offsetsIS3_Lb1EPdPS5_mNS0_19identity_decomposerEEE10hipError_tT1_T2_PT3_SE_jT4_jjP12ihipStream_tbEUlT_E_NS1_11comp_targetILNS1_3genE4ELNS1_11target_archE910ELNS1_3gpuE8ELNS1_3repE0EEENS1_52radix_sort_onesweep_histogram_config_static_selectorELNS0_4arch9wavefront6targetE1EEEvSC_,comdat
.Lfunc_end2601:
	.size	_ZN7rocprim17ROCPRIM_400000_NS6detail17trampoline_kernelINS0_14default_configENS1_35radix_sort_onesweep_config_selectorIdNS0_10empty_typeEEEZNS1_34radix_sort_onesweep_global_offsetsIS3_Lb1EPdPS5_mNS0_19identity_decomposerEEE10hipError_tT1_T2_PT3_SE_jT4_jjP12ihipStream_tbEUlT_E_NS1_11comp_targetILNS1_3genE4ELNS1_11target_archE910ELNS1_3gpuE8ELNS1_3repE0EEENS1_52radix_sort_onesweep_histogram_config_static_selectorELNS0_4arch9wavefront6targetE1EEEvSC_, .Lfunc_end2601-_ZN7rocprim17ROCPRIM_400000_NS6detail17trampoline_kernelINS0_14default_configENS1_35radix_sort_onesweep_config_selectorIdNS0_10empty_typeEEEZNS1_34radix_sort_onesweep_global_offsetsIS3_Lb1EPdPS5_mNS0_19identity_decomposerEEE10hipError_tT1_T2_PT3_SE_jT4_jjP12ihipStream_tbEUlT_E_NS1_11comp_targetILNS1_3genE4ELNS1_11target_archE910ELNS1_3gpuE8ELNS1_3repE0EEENS1_52radix_sort_onesweep_histogram_config_static_selectorELNS0_4arch9wavefront6targetE1EEEvSC_
                                        ; -- End function
	.section	.AMDGPU.csdata,"",@progbits
; Kernel info:
; codeLenInByte = 13788
; NumSgprs: 22
; NumVgprs: 25
; NumAgprs: 0
; TotalNumVgprs: 25
; ScratchSize: 0
; MemoryBound: 0
; FloatMode: 240
; IeeeMode: 1
; LDSByteSize: 32768 bytes/workgroup (compile time only)
; SGPRBlocks: 2
; VGPRBlocks: 3
; NumSGPRsForWavesPerEU: 22
; NumVGPRsForWavesPerEU: 25
; AccumOffset: 28
; Occupancy: 8
; WaveLimiterHint : 1
; COMPUTE_PGM_RSRC2:SCRATCH_EN: 0
; COMPUTE_PGM_RSRC2:USER_SGPR: 6
; COMPUTE_PGM_RSRC2:TRAP_HANDLER: 0
; COMPUTE_PGM_RSRC2:TGID_X_EN: 1
; COMPUTE_PGM_RSRC2:TGID_Y_EN: 0
; COMPUTE_PGM_RSRC2:TGID_Z_EN: 0
; COMPUTE_PGM_RSRC2:TIDIG_COMP_CNT: 0
; COMPUTE_PGM_RSRC3_GFX90A:ACCUM_OFFSET: 6
; COMPUTE_PGM_RSRC3_GFX90A:TG_SPLIT: 0
	.section	.text._ZN7rocprim17ROCPRIM_400000_NS6detail17trampoline_kernelINS0_14default_configENS1_35radix_sort_onesweep_config_selectorIdNS0_10empty_typeEEEZNS1_34radix_sort_onesweep_global_offsetsIS3_Lb1EPdPS5_mNS0_19identity_decomposerEEE10hipError_tT1_T2_PT3_SE_jT4_jjP12ihipStream_tbEUlT_E_NS1_11comp_targetILNS1_3genE3ELNS1_11target_archE908ELNS1_3gpuE7ELNS1_3repE0EEENS1_52radix_sort_onesweep_histogram_config_static_selectorELNS0_4arch9wavefront6targetE1EEEvSC_,"axG",@progbits,_ZN7rocprim17ROCPRIM_400000_NS6detail17trampoline_kernelINS0_14default_configENS1_35radix_sort_onesweep_config_selectorIdNS0_10empty_typeEEEZNS1_34radix_sort_onesweep_global_offsetsIS3_Lb1EPdPS5_mNS0_19identity_decomposerEEE10hipError_tT1_T2_PT3_SE_jT4_jjP12ihipStream_tbEUlT_E_NS1_11comp_targetILNS1_3genE3ELNS1_11target_archE908ELNS1_3gpuE7ELNS1_3repE0EEENS1_52radix_sort_onesweep_histogram_config_static_selectorELNS0_4arch9wavefront6targetE1EEEvSC_,comdat
	.protected	_ZN7rocprim17ROCPRIM_400000_NS6detail17trampoline_kernelINS0_14default_configENS1_35radix_sort_onesweep_config_selectorIdNS0_10empty_typeEEEZNS1_34radix_sort_onesweep_global_offsetsIS3_Lb1EPdPS5_mNS0_19identity_decomposerEEE10hipError_tT1_T2_PT3_SE_jT4_jjP12ihipStream_tbEUlT_E_NS1_11comp_targetILNS1_3genE3ELNS1_11target_archE908ELNS1_3gpuE7ELNS1_3repE0EEENS1_52radix_sort_onesweep_histogram_config_static_selectorELNS0_4arch9wavefront6targetE1EEEvSC_ ; -- Begin function _ZN7rocprim17ROCPRIM_400000_NS6detail17trampoline_kernelINS0_14default_configENS1_35radix_sort_onesweep_config_selectorIdNS0_10empty_typeEEEZNS1_34radix_sort_onesweep_global_offsetsIS3_Lb1EPdPS5_mNS0_19identity_decomposerEEE10hipError_tT1_T2_PT3_SE_jT4_jjP12ihipStream_tbEUlT_E_NS1_11comp_targetILNS1_3genE3ELNS1_11target_archE908ELNS1_3gpuE7ELNS1_3repE0EEENS1_52radix_sort_onesweep_histogram_config_static_selectorELNS0_4arch9wavefront6targetE1EEEvSC_
	.globl	_ZN7rocprim17ROCPRIM_400000_NS6detail17trampoline_kernelINS0_14default_configENS1_35radix_sort_onesweep_config_selectorIdNS0_10empty_typeEEEZNS1_34radix_sort_onesweep_global_offsetsIS3_Lb1EPdPS5_mNS0_19identity_decomposerEEE10hipError_tT1_T2_PT3_SE_jT4_jjP12ihipStream_tbEUlT_E_NS1_11comp_targetILNS1_3genE3ELNS1_11target_archE908ELNS1_3gpuE7ELNS1_3repE0EEENS1_52radix_sort_onesweep_histogram_config_static_selectorELNS0_4arch9wavefront6targetE1EEEvSC_
	.p2align	8
	.type	_ZN7rocprim17ROCPRIM_400000_NS6detail17trampoline_kernelINS0_14default_configENS1_35radix_sort_onesweep_config_selectorIdNS0_10empty_typeEEEZNS1_34radix_sort_onesweep_global_offsetsIS3_Lb1EPdPS5_mNS0_19identity_decomposerEEE10hipError_tT1_T2_PT3_SE_jT4_jjP12ihipStream_tbEUlT_E_NS1_11comp_targetILNS1_3genE3ELNS1_11target_archE908ELNS1_3gpuE7ELNS1_3repE0EEENS1_52radix_sort_onesweep_histogram_config_static_selectorELNS0_4arch9wavefront6targetE1EEEvSC_,@function
_ZN7rocprim17ROCPRIM_400000_NS6detail17trampoline_kernelINS0_14default_configENS1_35radix_sort_onesweep_config_selectorIdNS0_10empty_typeEEEZNS1_34radix_sort_onesweep_global_offsetsIS3_Lb1EPdPS5_mNS0_19identity_decomposerEEE10hipError_tT1_T2_PT3_SE_jT4_jjP12ihipStream_tbEUlT_E_NS1_11comp_targetILNS1_3genE3ELNS1_11target_archE908ELNS1_3gpuE7ELNS1_3repE0EEENS1_52radix_sort_onesweep_histogram_config_static_selectorELNS0_4arch9wavefront6targetE1EEEvSC_: ; @_ZN7rocprim17ROCPRIM_400000_NS6detail17trampoline_kernelINS0_14default_configENS1_35radix_sort_onesweep_config_selectorIdNS0_10empty_typeEEEZNS1_34radix_sort_onesweep_global_offsetsIS3_Lb1EPdPS5_mNS0_19identity_decomposerEEE10hipError_tT1_T2_PT3_SE_jT4_jjP12ihipStream_tbEUlT_E_NS1_11comp_targetILNS1_3genE3ELNS1_11target_archE908ELNS1_3gpuE7ELNS1_3repE0EEENS1_52radix_sort_onesweep_histogram_config_static_selectorELNS0_4arch9wavefront6targetE1EEEvSC_
; %bb.0:
	.section	.rodata,"a",@progbits
	.p2align	6, 0x0
	.amdhsa_kernel _ZN7rocprim17ROCPRIM_400000_NS6detail17trampoline_kernelINS0_14default_configENS1_35radix_sort_onesweep_config_selectorIdNS0_10empty_typeEEEZNS1_34radix_sort_onesweep_global_offsetsIS3_Lb1EPdPS5_mNS0_19identity_decomposerEEE10hipError_tT1_T2_PT3_SE_jT4_jjP12ihipStream_tbEUlT_E_NS1_11comp_targetILNS1_3genE3ELNS1_11target_archE908ELNS1_3gpuE7ELNS1_3repE0EEENS1_52radix_sort_onesweep_histogram_config_static_selectorELNS0_4arch9wavefront6targetE1EEEvSC_
		.amdhsa_group_segment_fixed_size 0
		.amdhsa_private_segment_fixed_size 0
		.amdhsa_kernarg_size 48
		.amdhsa_user_sgpr_count 6
		.amdhsa_user_sgpr_private_segment_buffer 1
		.amdhsa_user_sgpr_dispatch_ptr 0
		.amdhsa_user_sgpr_queue_ptr 0
		.amdhsa_user_sgpr_kernarg_segment_ptr 1
		.amdhsa_user_sgpr_dispatch_id 0
		.amdhsa_user_sgpr_flat_scratch_init 0
		.amdhsa_user_sgpr_kernarg_preload_length 0
		.amdhsa_user_sgpr_kernarg_preload_offset 0
		.amdhsa_user_sgpr_private_segment_size 0
		.amdhsa_uses_dynamic_stack 0
		.amdhsa_system_sgpr_private_segment_wavefront_offset 0
		.amdhsa_system_sgpr_workgroup_id_x 1
		.amdhsa_system_sgpr_workgroup_id_y 0
		.amdhsa_system_sgpr_workgroup_id_z 0
		.amdhsa_system_sgpr_workgroup_info 0
		.amdhsa_system_vgpr_workitem_id 0
		.amdhsa_next_free_vgpr 1
		.amdhsa_next_free_sgpr 0
		.amdhsa_accum_offset 4
		.amdhsa_reserve_vcc 0
		.amdhsa_reserve_flat_scratch 0
		.amdhsa_float_round_mode_32 0
		.amdhsa_float_round_mode_16_64 0
		.amdhsa_float_denorm_mode_32 3
		.amdhsa_float_denorm_mode_16_64 3
		.amdhsa_dx10_clamp 1
		.amdhsa_ieee_mode 1
		.amdhsa_fp16_overflow 0
		.amdhsa_tg_split 0
		.amdhsa_exception_fp_ieee_invalid_op 0
		.amdhsa_exception_fp_denorm_src 0
		.amdhsa_exception_fp_ieee_div_zero 0
		.amdhsa_exception_fp_ieee_overflow 0
		.amdhsa_exception_fp_ieee_underflow 0
		.amdhsa_exception_fp_ieee_inexact 0
		.amdhsa_exception_int_div_zero 0
	.end_amdhsa_kernel
	.section	.text._ZN7rocprim17ROCPRIM_400000_NS6detail17trampoline_kernelINS0_14default_configENS1_35radix_sort_onesweep_config_selectorIdNS0_10empty_typeEEEZNS1_34radix_sort_onesweep_global_offsetsIS3_Lb1EPdPS5_mNS0_19identity_decomposerEEE10hipError_tT1_T2_PT3_SE_jT4_jjP12ihipStream_tbEUlT_E_NS1_11comp_targetILNS1_3genE3ELNS1_11target_archE908ELNS1_3gpuE7ELNS1_3repE0EEENS1_52radix_sort_onesweep_histogram_config_static_selectorELNS0_4arch9wavefront6targetE1EEEvSC_,"axG",@progbits,_ZN7rocprim17ROCPRIM_400000_NS6detail17trampoline_kernelINS0_14default_configENS1_35radix_sort_onesweep_config_selectorIdNS0_10empty_typeEEEZNS1_34radix_sort_onesweep_global_offsetsIS3_Lb1EPdPS5_mNS0_19identity_decomposerEEE10hipError_tT1_T2_PT3_SE_jT4_jjP12ihipStream_tbEUlT_E_NS1_11comp_targetILNS1_3genE3ELNS1_11target_archE908ELNS1_3gpuE7ELNS1_3repE0EEENS1_52radix_sort_onesweep_histogram_config_static_selectorELNS0_4arch9wavefront6targetE1EEEvSC_,comdat
.Lfunc_end2602:
	.size	_ZN7rocprim17ROCPRIM_400000_NS6detail17trampoline_kernelINS0_14default_configENS1_35radix_sort_onesweep_config_selectorIdNS0_10empty_typeEEEZNS1_34radix_sort_onesweep_global_offsetsIS3_Lb1EPdPS5_mNS0_19identity_decomposerEEE10hipError_tT1_T2_PT3_SE_jT4_jjP12ihipStream_tbEUlT_E_NS1_11comp_targetILNS1_3genE3ELNS1_11target_archE908ELNS1_3gpuE7ELNS1_3repE0EEENS1_52radix_sort_onesweep_histogram_config_static_selectorELNS0_4arch9wavefront6targetE1EEEvSC_, .Lfunc_end2602-_ZN7rocprim17ROCPRIM_400000_NS6detail17trampoline_kernelINS0_14default_configENS1_35radix_sort_onesweep_config_selectorIdNS0_10empty_typeEEEZNS1_34radix_sort_onesweep_global_offsetsIS3_Lb1EPdPS5_mNS0_19identity_decomposerEEE10hipError_tT1_T2_PT3_SE_jT4_jjP12ihipStream_tbEUlT_E_NS1_11comp_targetILNS1_3genE3ELNS1_11target_archE908ELNS1_3gpuE7ELNS1_3repE0EEENS1_52radix_sort_onesweep_histogram_config_static_selectorELNS0_4arch9wavefront6targetE1EEEvSC_
                                        ; -- End function
	.section	.AMDGPU.csdata,"",@progbits
; Kernel info:
; codeLenInByte = 0
; NumSgprs: 4
; NumVgprs: 0
; NumAgprs: 0
; TotalNumVgprs: 0
; ScratchSize: 0
; MemoryBound: 0
; FloatMode: 240
; IeeeMode: 1
; LDSByteSize: 0 bytes/workgroup (compile time only)
; SGPRBlocks: 0
; VGPRBlocks: 0
; NumSGPRsForWavesPerEU: 4
; NumVGPRsForWavesPerEU: 1
; AccumOffset: 4
; Occupancy: 8
; WaveLimiterHint : 0
; COMPUTE_PGM_RSRC2:SCRATCH_EN: 0
; COMPUTE_PGM_RSRC2:USER_SGPR: 6
; COMPUTE_PGM_RSRC2:TRAP_HANDLER: 0
; COMPUTE_PGM_RSRC2:TGID_X_EN: 1
; COMPUTE_PGM_RSRC2:TGID_Y_EN: 0
; COMPUTE_PGM_RSRC2:TGID_Z_EN: 0
; COMPUTE_PGM_RSRC2:TIDIG_COMP_CNT: 0
; COMPUTE_PGM_RSRC3_GFX90A:ACCUM_OFFSET: 0
; COMPUTE_PGM_RSRC3_GFX90A:TG_SPLIT: 0
	.section	.text._ZN7rocprim17ROCPRIM_400000_NS6detail17trampoline_kernelINS0_14default_configENS1_35radix_sort_onesweep_config_selectorIdNS0_10empty_typeEEEZNS1_34radix_sort_onesweep_global_offsetsIS3_Lb1EPdPS5_mNS0_19identity_decomposerEEE10hipError_tT1_T2_PT3_SE_jT4_jjP12ihipStream_tbEUlT_E_NS1_11comp_targetILNS1_3genE10ELNS1_11target_archE1201ELNS1_3gpuE5ELNS1_3repE0EEENS1_52radix_sort_onesweep_histogram_config_static_selectorELNS0_4arch9wavefront6targetE1EEEvSC_,"axG",@progbits,_ZN7rocprim17ROCPRIM_400000_NS6detail17trampoline_kernelINS0_14default_configENS1_35radix_sort_onesweep_config_selectorIdNS0_10empty_typeEEEZNS1_34radix_sort_onesweep_global_offsetsIS3_Lb1EPdPS5_mNS0_19identity_decomposerEEE10hipError_tT1_T2_PT3_SE_jT4_jjP12ihipStream_tbEUlT_E_NS1_11comp_targetILNS1_3genE10ELNS1_11target_archE1201ELNS1_3gpuE5ELNS1_3repE0EEENS1_52radix_sort_onesweep_histogram_config_static_selectorELNS0_4arch9wavefront6targetE1EEEvSC_,comdat
	.protected	_ZN7rocprim17ROCPRIM_400000_NS6detail17trampoline_kernelINS0_14default_configENS1_35radix_sort_onesweep_config_selectorIdNS0_10empty_typeEEEZNS1_34radix_sort_onesweep_global_offsetsIS3_Lb1EPdPS5_mNS0_19identity_decomposerEEE10hipError_tT1_T2_PT3_SE_jT4_jjP12ihipStream_tbEUlT_E_NS1_11comp_targetILNS1_3genE10ELNS1_11target_archE1201ELNS1_3gpuE5ELNS1_3repE0EEENS1_52radix_sort_onesweep_histogram_config_static_selectorELNS0_4arch9wavefront6targetE1EEEvSC_ ; -- Begin function _ZN7rocprim17ROCPRIM_400000_NS6detail17trampoline_kernelINS0_14default_configENS1_35radix_sort_onesweep_config_selectorIdNS0_10empty_typeEEEZNS1_34radix_sort_onesweep_global_offsetsIS3_Lb1EPdPS5_mNS0_19identity_decomposerEEE10hipError_tT1_T2_PT3_SE_jT4_jjP12ihipStream_tbEUlT_E_NS1_11comp_targetILNS1_3genE10ELNS1_11target_archE1201ELNS1_3gpuE5ELNS1_3repE0EEENS1_52radix_sort_onesweep_histogram_config_static_selectorELNS0_4arch9wavefront6targetE1EEEvSC_
	.globl	_ZN7rocprim17ROCPRIM_400000_NS6detail17trampoline_kernelINS0_14default_configENS1_35radix_sort_onesweep_config_selectorIdNS0_10empty_typeEEEZNS1_34radix_sort_onesweep_global_offsetsIS3_Lb1EPdPS5_mNS0_19identity_decomposerEEE10hipError_tT1_T2_PT3_SE_jT4_jjP12ihipStream_tbEUlT_E_NS1_11comp_targetILNS1_3genE10ELNS1_11target_archE1201ELNS1_3gpuE5ELNS1_3repE0EEENS1_52radix_sort_onesweep_histogram_config_static_selectorELNS0_4arch9wavefront6targetE1EEEvSC_
	.p2align	8
	.type	_ZN7rocprim17ROCPRIM_400000_NS6detail17trampoline_kernelINS0_14default_configENS1_35radix_sort_onesweep_config_selectorIdNS0_10empty_typeEEEZNS1_34radix_sort_onesweep_global_offsetsIS3_Lb1EPdPS5_mNS0_19identity_decomposerEEE10hipError_tT1_T2_PT3_SE_jT4_jjP12ihipStream_tbEUlT_E_NS1_11comp_targetILNS1_3genE10ELNS1_11target_archE1201ELNS1_3gpuE5ELNS1_3repE0EEENS1_52radix_sort_onesweep_histogram_config_static_selectorELNS0_4arch9wavefront6targetE1EEEvSC_,@function
_ZN7rocprim17ROCPRIM_400000_NS6detail17trampoline_kernelINS0_14default_configENS1_35radix_sort_onesweep_config_selectorIdNS0_10empty_typeEEEZNS1_34radix_sort_onesweep_global_offsetsIS3_Lb1EPdPS5_mNS0_19identity_decomposerEEE10hipError_tT1_T2_PT3_SE_jT4_jjP12ihipStream_tbEUlT_E_NS1_11comp_targetILNS1_3genE10ELNS1_11target_archE1201ELNS1_3gpuE5ELNS1_3repE0EEENS1_52radix_sort_onesweep_histogram_config_static_selectorELNS0_4arch9wavefront6targetE1EEEvSC_: ; @_ZN7rocprim17ROCPRIM_400000_NS6detail17trampoline_kernelINS0_14default_configENS1_35radix_sort_onesweep_config_selectorIdNS0_10empty_typeEEEZNS1_34radix_sort_onesweep_global_offsetsIS3_Lb1EPdPS5_mNS0_19identity_decomposerEEE10hipError_tT1_T2_PT3_SE_jT4_jjP12ihipStream_tbEUlT_E_NS1_11comp_targetILNS1_3genE10ELNS1_11target_archE1201ELNS1_3gpuE5ELNS1_3repE0EEENS1_52radix_sort_onesweep_histogram_config_static_selectorELNS0_4arch9wavefront6targetE1EEEvSC_
; %bb.0:
	.section	.rodata,"a",@progbits
	.p2align	6, 0x0
	.amdhsa_kernel _ZN7rocprim17ROCPRIM_400000_NS6detail17trampoline_kernelINS0_14default_configENS1_35radix_sort_onesweep_config_selectorIdNS0_10empty_typeEEEZNS1_34radix_sort_onesweep_global_offsetsIS3_Lb1EPdPS5_mNS0_19identity_decomposerEEE10hipError_tT1_T2_PT3_SE_jT4_jjP12ihipStream_tbEUlT_E_NS1_11comp_targetILNS1_3genE10ELNS1_11target_archE1201ELNS1_3gpuE5ELNS1_3repE0EEENS1_52radix_sort_onesweep_histogram_config_static_selectorELNS0_4arch9wavefront6targetE1EEEvSC_
		.amdhsa_group_segment_fixed_size 0
		.amdhsa_private_segment_fixed_size 0
		.amdhsa_kernarg_size 48
		.amdhsa_user_sgpr_count 6
		.amdhsa_user_sgpr_private_segment_buffer 1
		.amdhsa_user_sgpr_dispatch_ptr 0
		.amdhsa_user_sgpr_queue_ptr 0
		.amdhsa_user_sgpr_kernarg_segment_ptr 1
		.amdhsa_user_sgpr_dispatch_id 0
		.amdhsa_user_sgpr_flat_scratch_init 0
		.amdhsa_user_sgpr_kernarg_preload_length 0
		.amdhsa_user_sgpr_kernarg_preload_offset 0
		.amdhsa_user_sgpr_private_segment_size 0
		.amdhsa_uses_dynamic_stack 0
		.amdhsa_system_sgpr_private_segment_wavefront_offset 0
		.amdhsa_system_sgpr_workgroup_id_x 1
		.amdhsa_system_sgpr_workgroup_id_y 0
		.amdhsa_system_sgpr_workgroup_id_z 0
		.amdhsa_system_sgpr_workgroup_info 0
		.amdhsa_system_vgpr_workitem_id 0
		.amdhsa_next_free_vgpr 1
		.amdhsa_next_free_sgpr 0
		.amdhsa_accum_offset 4
		.amdhsa_reserve_vcc 0
		.amdhsa_reserve_flat_scratch 0
		.amdhsa_float_round_mode_32 0
		.amdhsa_float_round_mode_16_64 0
		.amdhsa_float_denorm_mode_32 3
		.amdhsa_float_denorm_mode_16_64 3
		.amdhsa_dx10_clamp 1
		.amdhsa_ieee_mode 1
		.amdhsa_fp16_overflow 0
		.amdhsa_tg_split 0
		.amdhsa_exception_fp_ieee_invalid_op 0
		.amdhsa_exception_fp_denorm_src 0
		.amdhsa_exception_fp_ieee_div_zero 0
		.amdhsa_exception_fp_ieee_overflow 0
		.amdhsa_exception_fp_ieee_underflow 0
		.amdhsa_exception_fp_ieee_inexact 0
		.amdhsa_exception_int_div_zero 0
	.end_amdhsa_kernel
	.section	.text._ZN7rocprim17ROCPRIM_400000_NS6detail17trampoline_kernelINS0_14default_configENS1_35radix_sort_onesweep_config_selectorIdNS0_10empty_typeEEEZNS1_34radix_sort_onesweep_global_offsetsIS3_Lb1EPdPS5_mNS0_19identity_decomposerEEE10hipError_tT1_T2_PT3_SE_jT4_jjP12ihipStream_tbEUlT_E_NS1_11comp_targetILNS1_3genE10ELNS1_11target_archE1201ELNS1_3gpuE5ELNS1_3repE0EEENS1_52radix_sort_onesweep_histogram_config_static_selectorELNS0_4arch9wavefront6targetE1EEEvSC_,"axG",@progbits,_ZN7rocprim17ROCPRIM_400000_NS6detail17trampoline_kernelINS0_14default_configENS1_35radix_sort_onesweep_config_selectorIdNS0_10empty_typeEEEZNS1_34radix_sort_onesweep_global_offsetsIS3_Lb1EPdPS5_mNS0_19identity_decomposerEEE10hipError_tT1_T2_PT3_SE_jT4_jjP12ihipStream_tbEUlT_E_NS1_11comp_targetILNS1_3genE10ELNS1_11target_archE1201ELNS1_3gpuE5ELNS1_3repE0EEENS1_52radix_sort_onesweep_histogram_config_static_selectorELNS0_4arch9wavefront6targetE1EEEvSC_,comdat
.Lfunc_end2603:
	.size	_ZN7rocprim17ROCPRIM_400000_NS6detail17trampoline_kernelINS0_14default_configENS1_35radix_sort_onesweep_config_selectorIdNS0_10empty_typeEEEZNS1_34radix_sort_onesweep_global_offsetsIS3_Lb1EPdPS5_mNS0_19identity_decomposerEEE10hipError_tT1_T2_PT3_SE_jT4_jjP12ihipStream_tbEUlT_E_NS1_11comp_targetILNS1_3genE10ELNS1_11target_archE1201ELNS1_3gpuE5ELNS1_3repE0EEENS1_52radix_sort_onesweep_histogram_config_static_selectorELNS0_4arch9wavefront6targetE1EEEvSC_, .Lfunc_end2603-_ZN7rocprim17ROCPRIM_400000_NS6detail17trampoline_kernelINS0_14default_configENS1_35radix_sort_onesweep_config_selectorIdNS0_10empty_typeEEEZNS1_34radix_sort_onesweep_global_offsetsIS3_Lb1EPdPS5_mNS0_19identity_decomposerEEE10hipError_tT1_T2_PT3_SE_jT4_jjP12ihipStream_tbEUlT_E_NS1_11comp_targetILNS1_3genE10ELNS1_11target_archE1201ELNS1_3gpuE5ELNS1_3repE0EEENS1_52radix_sort_onesweep_histogram_config_static_selectorELNS0_4arch9wavefront6targetE1EEEvSC_
                                        ; -- End function
	.section	.AMDGPU.csdata,"",@progbits
; Kernel info:
; codeLenInByte = 0
; NumSgprs: 4
; NumVgprs: 0
; NumAgprs: 0
; TotalNumVgprs: 0
; ScratchSize: 0
; MemoryBound: 0
; FloatMode: 240
; IeeeMode: 1
; LDSByteSize: 0 bytes/workgroup (compile time only)
; SGPRBlocks: 0
; VGPRBlocks: 0
; NumSGPRsForWavesPerEU: 4
; NumVGPRsForWavesPerEU: 1
; AccumOffset: 4
; Occupancy: 8
; WaveLimiterHint : 0
; COMPUTE_PGM_RSRC2:SCRATCH_EN: 0
; COMPUTE_PGM_RSRC2:USER_SGPR: 6
; COMPUTE_PGM_RSRC2:TRAP_HANDLER: 0
; COMPUTE_PGM_RSRC2:TGID_X_EN: 1
; COMPUTE_PGM_RSRC2:TGID_Y_EN: 0
; COMPUTE_PGM_RSRC2:TGID_Z_EN: 0
; COMPUTE_PGM_RSRC2:TIDIG_COMP_CNT: 0
; COMPUTE_PGM_RSRC3_GFX90A:ACCUM_OFFSET: 0
; COMPUTE_PGM_RSRC3_GFX90A:TG_SPLIT: 0
	.section	.text._ZN7rocprim17ROCPRIM_400000_NS6detail17trampoline_kernelINS0_14default_configENS1_35radix_sort_onesweep_config_selectorIdNS0_10empty_typeEEEZNS1_34radix_sort_onesweep_global_offsetsIS3_Lb1EPdPS5_mNS0_19identity_decomposerEEE10hipError_tT1_T2_PT3_SE_jT4_jjP12ihipStream_tbEUlT_E_NS1_11comp_targetILNS1_3genE9ELNS1_11target_archE1100ELNS1_3gpuE3ELNS1_3repE0EEENS1_52radix_sort_onesweep_histogram_config_static_selectorELNS0_4arch9wavefront6targetE1EEEvSC_,"axG",@progbits,_ZN7rocprim17ROCPRIM_400000_NS6detail17trampoline_kernelINS0_14default_configENS1_35radix_sort_onesweep_config_selectorIdNS0_10empty_typeEEEZNS1_34radix_sort_onesweep_global_offsetsIS3_Lb1EPdPS5_mNS0_19identity_decomposerEEE10hipError_tT1_T2_PT3_SE_jT4_jjP12ihipStream_tbEUlT_E_NS1_11comp_targetILNS1_3genE9ELNS1_11target_archE1100ELNS1_3gpuE3ELNS1_3repE0EEENS1_52radix_sort_onesweep_histogram_config_static_selectorELNS0_4arch9wavefront6targetE1EEEvSC_,comdat
	.protected	_ZN7rocprim17ROCPRIM_400000_NS6detail17trampoline_kernelINS0_14default_configENS1_35radix_sort_onesweep_config_selectorIdNS0_10empty_typeEEEZNS1_34radix_sort_onesweep_global_offsetsIS3_Lb1EPdPS5_mNS0_19identity_decomposerEEE10hipError_tT1_T2_PT3_SE_jT4_jjP12ihipStream_tbEUlT_E_NS1_11comp_targetILNS1_3genE9ELNS1_11target_archE1100ELNS1_3gpuE3ELNS1_3repE0EEENS1_52radix_sort_onesweep_histogram_config_static_selectorELNS0_4arch9wavefront6targetE1EEEvSC_ ; -- Begin function _ZN7rocprim17ROCPRIM_400000_NS6detail17trampoline_kernelINS0_14default_configENS1_35radix_sort_onesweep_config_selectorIdNS0_10empty_typeEEEZNS1_34radix_sort_onesweep_global_offsetsIS3_Lb1EPdPS5_mNS0_19identity_decomposerEEE10hipError_tT1_T2_PT3_SE_jT4_jjP12ihipStream_tbEUlT_E_NS1_11comp_targetILNS1_3genE9ELNS1_11target_archE1100ELNS1_3gpuE3ELNS1_3repE0EEENS1_52radix_sort_onesweep_histogram_config_static_selectorELNS0_4arch9wavefront6targetE1EEEvSC_
	.globl	_ZN7rocprim17ROCPRIM_400000_NS6detail17trampoline_kernelINS0_14default_configENS1_35radix_sort_onesweep_config_selectorIdNS0_10empty_typeEEEZNS1_34radix_sort_onesweep_global_offsetsIS3_Lb1EPdPS5_mNS0_19identity_decomposerEEE10hipError_tT1_T2_PT3_SE_jT4_jjP12ihipStream_tbEUlT_E_NS1_11comp_targetILNS1_3genE9ELNS1_11target_archE1100ELNS1_3gpuE3ELNS1_3repE0EEENS1_52radix_sort_onesweep_histogram_config_static_selectorELNS0_4arch9wavefront6targetE1EEEvSC_
	.p2align	8
	.type	_ZN7rocprim17ROCPRIM_400000_NS6detail17trampoline_kernelINS0_14default_configENS1_35radix_sort_onesweep_config_selectorIdNS0_10empty_typeEEEZNS1_34radix_sort_onesweep_global_offsetsIS3_Lb1EPdPS5_mNS0_19identity_decomposerEEE10hipError_tT1_T2_PT3_SE_jT4_jjP12ihipStream_tbEUlT_E_NS1_11comp_targetILNS1_3genE9ELNS1_11target_archE1100ELNS1_3gpuE3ELNS1_3repE0EEENS1_52radix_sort_onesweep_histogram_config_static_selectorELNS0_4arch9wavefront6targetE1EEEvSC_,@function
_ZN7rocprim17ROCPRIM_400000_NS6detail17trampoline_kernelINS0_14default_configENS1_35radix_sort_onesweep_config_selectorIdNS0_10empty_typeEEEZNS1_34radix_sort_onesweep_global_offsetsIS3_Lb1EPdPS5_mNS0_19identity_decomposerEEE10hipError_tT1_T2_PT3_SE_jT4_jjP12ihipStream_tbEUlT_E_NS1_11comp_targetILNS1_3genE9ELNS1_11target_archE1100ELNS1_3gpuE3ELNS1_3repE0EEENS1_52radix_sort_onesweep_histogram_config_static_selectorELNS0_4arch9wavefront6targetE1EEEvSC_: ; @_ZN7rocprim17ROCPRIM_400000_NS6detail17trampoline_kernelINS0_14default_configENS1_35radix_sort_onesweep_config_selectorIdNS0_10empty_typeEEEZNS1_34radix_sort_onesweep_global_offsetsIS3_Lb1EPdPS5_mNS0_19identity_decomposerEEE10hipError_tT1_T2_PT3_SE_jT4_jjP12ihipStream_tbEUlT_E_NS1_11comp_targetILNS1_3genE9ELNS1_11target_archE1100ELNS1_3gpuE3ELNS1_3repE0EEENS1_52radix_sort_onesweep_histogram_config_static_selectorELNS0_4arch9wavefront6targetE1EEEvSC_
; %bb.0:
	.section	.rodata,"a",@progbits
	.p2align	6, 0x0
	.amdhsa_kernel _ZN7rocprim17ROCPRIM_400000_NS6detail17trampoline_kernelINS0_14default_configENS1_35radix_sort_onesweep_config_selectorIdNS0_10empty_typeEEEZNS1_34radix_sort_onesweep_global_offsetsIS3_Lb1EPdPS5_mNS0_19identity_decomposerEEE10hipError_tT1_T2_PT3_SE_jT4_jjP12ihipStream_tbEUlT_E_NS1_11comp_targetILNS1_3genE9ELNS1_11target_archE1100ELNS1_3gpuE3ELNS1_3repE0EEENS1_52radix_sort_onesweep_histogram_config_static_selectorELNS0_4arch9wavefront6targetE1EEEvSC_
		.amdhsa_group_segment_fixed_size 0
		.amdhsa_private_segment_fixed_size 0
		.amdhsa_kernarg_size 48
		.amdhsa_user_sgpr_count 6
		.amdhsa_user_sgpr_private_segment_buffer 1
		.amdhsa_user_sgpr_dispatch_ptr 0
		.amdhsa_user_sgpr_queue_ptr 0
		.amdhsa_user_sgpr_kernarg_segment_ptr 1
		.amdhsa_user_sgpr_dispatch_id 0
		.amdhsa_user_sgpr_flat_scratch_init 0
		.amdhsa_user_sgpr_kernarg_preload_length 0
		.amdhsa_user_sgpr_kernarg_preload_offset 0
		.amdhsa_user_sgpr_private_segment_size 0
		.amdhsa_uses_dynamic_stack 0
		.amdhsa_system_sgpr_private_segment_wavefront_offset 0
		.amdhsa_system_sgpr_workgroup_id_x 1
		.amdhsa_system_sgpr_workgroup_id_y 0
		.amdhsa_system_sgpr_workgroup_id_z 0
		.amdhsa_system_sgpr_workgroup_info 0
		.amdhsa_system_vgpr_workitem_id 0
		.amdhsa_next_free_vgpr 1
		.amdhsa_next_free_sgpr 0
		.amdhsa_accum_offset 4
		.amdhsa_reserve_vcc 0
		.amdhsa_reserve_flat_scratch 0
		.amdhsa_float_round_mode_32 0
		.amdhsa_float_round_mode_16_64 0
		.amdhsa_float_denorm_mode_32 3
		.amdhsa_float_denorm_mode_16_64 3
		.amdhsa_dx10_clamp 1
		.amdhsa_ieee_mode 1
		.amdhsa_fp16_overflow 0
		.amdhsa_tg_split 0
		.amdhsa_exception_fp_ieee_invalid_op 0
		.amdhsa_exception_fp_denorm_src 0
		.amdhsa_exception_fp_ieee_div_zero 0
		.amdhsa_exception_fp_ieee_overflow 0
		.amdhsa_exception_fp_ieee_underflow 0
		.amdhsa_exception_fp_ieee_inexact 0
		.amdhsa_exception_int_div_zero 0
	.end_amdhsa_kernel
	.section	.text._ZN7rocprim17ROCPRIM_400000_NS6detail17trampoline_kernelINS0_14default_configENS1_35radix_sort_onesweep_config_selectorIdNS0_10empty_typeEEEZNS1_34radix_sort_onesweep_global_offsetsIS3_Lb1EPdPS5_mNS0_19identity_decomposerEEE10hipError_tT1_T2_PT3_SE_jT4_jjP12ihipStream_tbEUlT_E_NS1_11comp_targetILNS1_3genE9ELNS1_11target_archE1100ELNS1_3gpuE3ELNS1_3repE0EEENS1_52radix_sort_onesweep_histogram_config_static_selectorELNS0_4arch9wavefront6targetE1EEEvSC_,"axG",@progbits,_ZN7rocprim17ROCPRIM_400000_NS6detail17trampoline_kernelINS0_14default_configENS1_35radix_sort_onesweep_config_selectorIdNS0_10empty_typeEEEZNS1_34radix_sort_onesweep_global_offsetsIS3_Lb1EPdPS5_mNS0_19identity_decomposerEEE10hipError_tT1_T2_PT3_SE_jT4_jjP12ihipStream_tbEUlT_E_NS1_11comp_targetILNS1_3genE9ELNS1_11target_archE1100ELNS1_3gpuE3ELNS1_3repE0EEENS1_52radix_sort_onesweep_histogram_config_static_selectorELNS0_4arch9wavefront6targetE1EEEvSC_,comdat
.Lfunc_end2604:
	.size	_ZN7rocprim17ROCPRIM_400000_NS6detail17trampoline_kernelINS0_14default_configENS1_35radix_sort_onesweep_config_selectorIdNS0_10empty_typeEEEZNS1_34radix_sort_onesweep_global_offsetsIS3_Lb1EPdPS5_mNS0_19identity_decomposerEEE10hipError_tT1_T2_PT3_SE_jT4_jjP12ihipStream_tbEUlT_E_NS1_11comp_targetILNS1_3genE9ELNS1_11target_archE1100ELNS1_3gpuE3ELNS1_3repE0EEENS1_52radix_sort_onesweep_histogram_config_static_selectorELNS0_4arch9wavefront6targetE1EEEvSC_, .Lfunc_end2604-_ZN7rocprim17ROCPRIM_400000_NS6detail17trampoline_kernelINS0_14default_configENS1_35radix_sort_onesweep_config_selectorIdNS0_10empty_typeEEEZNS1_34radix_sort_onesweep_global_offsetsIS3_Lb1EPdPS5_mNS0_19identity_decomposerEEE10hipError_tT1_T2_PT3_SE_jT4_jjP12ihipStream_tbEUlT_E_NS1_11comp_targetILNS1_3genE9ELNS1_11target_archE1100ELNS1_3gpuE3ELNS1_3repE0EEENS1_52radix_sort_onesweep_histogram_config_static_selectorELNS0_4arch9wavefront6targetE1EEEvSC_
                                        ; -- End function
	.section	.AMDGPU.csdata,"",@progbits
; Kernel info:
; codeLenInByte = 0
; NumSgprs: 4
; NumVgprs: 0
; NumAgprs: 0
; TotalNumVgprs: 0
; ScratchSize: 0
; MemoryBound: 0
; FloatMode: 240
; IeeeMode: 1
; LDSByteSize: 0 bytes/workgroup (compile time only)
; SGPRBlocks: 0
; VGPRBlocks: 0
; NumSGPRsForWavesPerEU: 4
; NumVGPRsForWavesPerEU: 1
; AccumOffset: 4
; Occupancy: 8
; WaveLimiterHint : 0
; COMPUTE_PGM_RSRC2:SCRATCH_EN: 0
; COMPUTE_PGM_RSRC2:USER_SGPR: 6
; COMPUTE_PGM_RSRC2:TRAP_HANDLER: 0
; COMPUTE_PGM_RSRC2:TGID_X_EN: 1
; COMPUTE_PGM_RSRC2:TGID_Y_EN: 0
; COMPUTE_PGM_RSRC2:TGID_Z_EN: 0
; COMPUTE_PGM_RSRC2:TIDIG_COMP_CNT: 0
; COMPUTE_PGM_RSRC3_GFX90A:ACCUM_OFFSET: 0
; COMPUTE_PGM_RSRC3_GFX90A:TG_SPLIT: 0
	.section	.text._ZN7rocprim17ROCPRIM_400000_NS6detail17trampoline_kernelINS0_14default_configENS1_35radix_sort_onesweep_config_selectorIdNS0_10empty_typeEEEZNS1_34radix_sort_onesweep_global_offsetsIS3_Lb1EPdPS5_mNS0_19identity_decomposerEEE10hipError_tT1_T2_PT3_SE_jT4_jjP12ihipStream_tbEUlT_E_NS1_11comp_targetILNS1_3genE8ELNS1_11target_archE1030ELNS1_3gpuE2ELNS1_3repE0EEENS1_52radix_sort_onesweep_histogram_config_static_selectorELNS0_4arch9wavefront6targetE1EEEvSC_,"axG",@progbits,_ZN7rocprim17ROCPRIM_400000_NS6detail17trampoline_kernelINS0_14default_configENS1_35radix_sort_onesweep_config_selectorIdNS0_10empty_typeEEEZNS1_34radix_sort_onesweep_global_offsetsIS3_Lb1EPdPS5_mNS0_19identity_decomposerEEE10hipError_tT1_T2_PT3_SE_jT4_jjP12ihipStream_tbEUlT_E_NS1_11comp_targetILNS1_3genE8ELNS1_11target_archE1030ELNS1_3gpuE2ELNS1_3repE0EEENS1_52radix_sort_onesweep_histogram_config_static_selectorELNS0_4arch9wavefront6targetE1EEEvSC_,comdat
	.protected	_ZN7rocprim17ROCPRIM_400000_NS6detail17trampoline_kernelINS0_14default_configENS1_35radix_sort_onesweep_config_selectorIdNS0_10empty_typeEEEZNS1_34radix_sort_onesweep_global_offsetsIS3_Lb1EPdPS5_mNS0_19identity_decomposerEEE10hipError_tT1_T2_PT3_SE_jT4_jjP12ihipStream_tbEUlT_E_NS1_11comp_targetILNS1_3genE8ELNS1_11target_archE1030ELNS1_3gpuE2ELNS1_3repE0EEENS1_52radix_sort_onesweep_histogram_config_static_selectorELNS0_4arch9wavefront6targetE1EEEvSC_ ; -- Begin function _ZN7rocprim17ROCPRIM_400000_NS6detail17trampoline_kernelINS0_14default_configENS1_35radix_sort_onesweep_config_selectorIdNS0_10empty_typeEEEZNS1_34radix_sort_onesweep_global_offsetsIS3_Lb1EPdPS5_mNS0_19identity_decomposerEEE10hipError_tT1_T2_PT3_SE_jT4_jjP12ihipStream_tbEUlT_E_NS1_11comp_targetILNS1_3genE8ELNS1_11target_archE1030ELNS1_3gpuE2ELNS1_3repE0EEENS1_52radix_sort_onesweep_histogram_config_static_selectorELNS0_4arch9wavefront6targetE1EEEvSC_
	.globl	_ZN7rocprim17ROCPRIM_400000_NS6detail17trampoline_kernelINS0_14default_configENS1_35radix_sort_onesweep_config_selectorIdNS0_10empty_typeEEEZNS1_34radix_sort_onesweep_global_offsetsIS3_Lb1EPdPS5_mNS0_19identity_decomposerEEE10hipError_tT1_T2_PT3_SE_jT4_jjP12ihipStream_tbEUlT_E_NS1_11comp_targetILNS1_3genE8ELNS1_11target_archE1030ELNS1_3gpuE2ELNS1_3repE0EEENS1_52radix_sort_onesweep_histogram_config_static_selectorELNS0_4arch9wavefront6targetE1EEEvSC_
	.p2align	8
	.type	_ZN7rocprim17ROCPRIM_400000_NS6detail17trampoline_kernelINS0_14default_configENS1_35radix_sort_onesweep_config_selectorIdNS0_10empty_typeEEEZNS1_34radix_sort_onesweep_global_offsetsIS3_Lb1EPdPS5_mNS0_19identity_decomposerEEE10hipError_tT1_T2_PT3_SE_jT4_jjP12ihipStream_tbEUlT_E_NS1_11comp_targetILNS1_3genE8ELNS1_11target_archE1030ELNS1_3gpuE2ELNS1_3repE0EEENS1_52radix_sort_onesweep_histogram_config_static_selectorELNS0_4arch9wavefront6targetE1EEEvSC_,@function
_ZN7rocprim17ROCPRIM_400000_NS6detail17trampoline_kernelINS0_14default_configENS1_35radix_sort_onesweep_config_selectorIdNS0_10empty_typeEEEZNS1_34radix_sort_onesweep_global_offsetsIS3_Lb1EPdPS5_mNS0_19identity_decomposerEEE10hipError_tT1_T2_PT3_SE_jT4_jjP12ihipStream_tbEUlT_E_NS1_11comp_targetILNS1_3genE8ELNS1_11target_archE1030ELNS1_3gpuE2ELNS1_3repE0EEENS1_52radix_sort_onesweep_histogram_config_static_selectorELNS0_4arch9wavefront6targetE1EEEvSC_: ; @_ZN7rocprim17ROCPRIM_400000_NS6detail17trampoline_kernelINS0_14default_configENS1_35radix_sort_onesweep_config_selectorIdNS0_10empty_typeEEEZNS1_34radix_sort_onesweep_global_offsetsIS3_Lb1EPdPS5_mNS0_19identity_decomposerEEE10hipError_tT1_T2_PT3_SE_jT4_jjP12ihipStream_tbEUlT_E_NS1_11comp_targetILNS1_3genE8ELNS1_11target_archE1030ELNS1_3gpuE2ELNS1_3repE0EEENS1_52radix_sort_onesweep_histogram_config_static_selectorELNS0_4arch9wavefront6targetE1EEEvSC_
; %bb.0:
	.section	.rodata,"a",@progbits
	.p2align	6, 0x0
	.amdhsa_kernel _ZN7rocprim17ROCPRIM_400000_NS6detail17trampoline_kernelINS0_14default_configENS1_35radix_sort_onesweep_config_selectorIdNS0_10empty_typeEEEZNS1_34radix_sort_onesweep_global_offsetsIS3_Lb1EPdPS5_mNS0_19identity_decomposerEEE10hipError_tT1_T2_PT3_SE_jT4_jjP12ihipStream_tbEUlT_E_NS1_11comp_targetILNS1_3genE8ELNS1_11target_archE1030ELNS1_3gpuE2ELNS1_3repE0EEENS1_52radix_sort_onesweep_histogram_config_static_selectorELNS0_4arch9wavefront6targetE1EEEvSC_
		.amdhsa_group_segment_fixed_size 0
		.amdhsa_private_segment_fixed_size 0
		.amdhsa_kernarg_size 48
		.amdhsa_user_sgpr_count 6
		.amdhsa_user_sgpr_private_segment_buffer 1
		.amdhsa_user_sgpr_dispatch_ptr 0
		.amdhsa_user_sgpr_queue_ptr 0
		.amdhsa_user_sgpr_kernarg_segment_ptr 1
		.amdhsa_user_sgpr_dispatch_id 0
		.amdhsa_user_sgpr_flat_scratch_init 0
		.amdhsa_user_sgpr_kernarg_preload_length 0
		.amdhsa_user_sgpr_kernarg_preload_offset 0
		.amdhsa_user_sgpr_private_segment_size 0
		.amdhsa_uses_dynamic_stack 0
		.amdhsa_system_sgpr_private_segment_wavefront_offset 0
		.amdhsa_system_sgpr_workgroup_id_x 1
		.amdhsa_system_sgpr_workgroup_id_y 0
		.amdhsa_system_sgpr_workgroup_id_z 0
		.amdhsa_system_sgpr_workgroup_info 0
		.amdhsa_system_vgpr_workitem_id 0
		.amdhsa_next_free_vgpr 1
		.amdhsa_next_free_sgpr 0
		.amdhsa_accum_offset 4
		.amdhsa_reserve_vcc 0
		.amdhsa_reserve_flat_scratch 0
		.amdhsa_float_round_mode_32 0
		.amdhsa_float_round_mode_16_64 0
		.amdhsa_float_denorm_mode_32 3
		.amdhsa_float_denorm_mode_16_64 3
		.amdhsa_dx10_clamp 1
		.amdhsa_ieee_mode 1
		.amdhsa_fp16_overflow 0
		.amdhsa_tg_split 0
		.amdhsa_exception_fp_ieee_invalid_op 0
		.amdhsa_exception_fp_denorm_src 0
		.amdhsa_exception_fp_ieee_div_zero 0
		.amdhsa_exception_fp_ieee_overflow 0
		.amdhsa_exception_fp_ieee_underflow 0
		.amdhsa_exception_fp_ieee_inexact 0
		.amdhsa_exception_int_div_zero 0
	.end_amdhsa_kernel
	.section	.text._ZN7rocprim17ROCPRIM_400000_NS6detail17trampoline_kernelINS0_14default_configENS1_35radix_sort_onesweep_config_selectorIdNS0_10empty_typeEEEZNS1_34radix_sort_onesweep_global_offsetsIS3_Lb1EPdPS5_mNS0_19identity_decomposerEEE10hipError_tT1_T2_PT3_SE_jT4_jjP12ihipStream_tbEUlT_E_NS1_11comp_targetILNS1_3genE8ELNS1_11target_archE1030ELNS1_3gpuE2ELNS1_3repE0EEENS1_52radix_sort_onesweep_histogram_config_static_selectorELNS0_4arch9wavefront6targetE1EEEvSC_,"axG",@progbits,_ZN7rocprim17ROCPRIM_400000_NS6detail17trampoline_kernelINS0_14default_configENS1_35radix_sort_onesweep_config_selectorIdNS0_10empty_typeEEEZNS1_34radix_sort_onesweep_global_offsetsIS3_Lb1EPdPS5_mNS0_19identity_decomposerEEE10hipError_tT1_T2_PT3_SE_jT4_jjP12ihipStream_tbEUlT_E_NS1_11comp_targetILNS1_3genE8ELNS1_11target_archE1030ELNS1_3gpuE2ELNS1_3repE0EEENS1_52radix_sort_onesweep_histogram_config_static_selectorELNS0_4arch9wavefront6targetE1EEEvSC_,comdat
.Lfunc_end2605:
	.size	_ZN7rocprim17ROCPRIM_400000_NS6detail17trampoline_kernelINS0_14default_configENS1_35radix_sort_onesweep_config_selectorIdNS0_10empty_typeEEEZNS1_34radix_sort_onesweep_global_offsetsIS3_Lb1EPdPS5_mNS0_19identity_decomposerEEE10hipError_tT1_T2_PT3_SE_jT4_jjP12ihipStream_tbEUlT_E_NS1_11comp_targetILNS1_3genE8ELNS1_11target_archE1030ELNS1_3gpuE2ELNS1_3repE0EEENS1_52radix_sort_onesweep_histogram_config_static_selectorELNS0_4arch9wavefront6targetE1EEEvSC_, .Lfunc_end2605-_ZN7rocprim17ROCPRIM_400000_NS6detail17trampoline_kernelINS0_14default_configENS1_35radix_sort_onesweep_config_selectorIdNS0_10empty_typeEEEZNS1_34radix_sort_onesweep_global_offsetsIS3_Lb1EPdPS5_mNS0_19identity_decomposerEEE10hipError_tT1_T2_PT3_SE_jT4_jjP12ihipStream_tbEUlT_E_NS1_11comp_targetILNS1_3genE8ELNS1_11target_archE1030ELNS1_3gpuE2ELNS1_3repE0EEENS1_52radix_sort_onesweep_histogram_config_static_selectorELNS0_4arch9wavefront6targetE1EEEvSC_
                                        ; -- End function
	.section	.AMDGPU.csdata,"",@progbits
; Kernel info:
; codeLenInByte = 0
; NumSgprs: 4
; NumVgprs: 0
; NumAgprs: 0
; TotalNumVgprs: 0
; ScratchSize: 0
; MemoryBound: 0
; FloatMode: 240
; IeeeMode: 1
; LDSByteSize: 0 bytes/workgroup (compile time only)
; SGPRBlocks: 0
; VGPRBlocks: 0
; NumSGPRsForWavesPerEU: 4
; NumVGPRsForWavesPerEU: 1
; AccumOffset: 4
; Occupancy: 8
; WaveLimiterHint : 0
; COMPUTE_PGM_RSRC2:SCRATCH_EN: 0
; COMPUTE_PGM_RSRC2:USER_SGPR: 6
; COMPUTE_PGM_RSRC2:TRAP_HANDLER: 0
; COMPUTE_PGM_RSRC2:TGID_X_EN: 1
; COMPUTE_PGM_RSRC2:TGID_Y_EN: 0
; COMPUTE_PGM_RSRC2:TGID_Z_EN: 0
; COMPUTE_PGM_RSRC2:TIDIG_COMP_CNT: 0
; COMPUTE_PGM_RSRC3_GFX90A:ACCUM_OFFSET: 0
; COMPUTE_PGM_RSRC3_GFX90A:TG_SPLIT: 0
	.section	.text._ZN7rocprim17ROCPRIM_400000_NS6detail17trampoline_kernelINS0_14default_configENS1_35radix_sort_onesweep_config_selectorIdNS0_10empty_typeEEEZNS1_34radix_sort_onesweep_global_offsetsIS3_Lb1EPdPS5_mNS0_19identity_decomposerEEE10hipError_tT1_T2_PT3_SE_jT4_jjP12ihipStream_tbEUlT_E0_NS1_11comp_targetILNS1_3genE0ELNS1_11target_archE4294967295ELNS1_3gpuE0ELNS1_3repE0EEENS1_52radix_sort_onesweep_histogram_config_static_selectorELNS0_4arch9wavefront6targetE1EEEvSC_,"axG",@progbits,_ZN7rocprim17ROCPRIM_400000_NS6detail17trampoline_kernelINS0_14default_configENS1_35radix_sort_onesweep_config_selectorIdNS0_10empty_typeEEEZNS1_34radix_sort_onesweep_global_offsetsIS3_Lb1EPdPS5_mNS0_19identity_decomposerEEE10hipError_tT1_T2_PT3_SE_jT4_jjP12ihipStream_tbEUlT_E0_NS1_11comp_targetILNS1_3genE0ELNS1_11target_archE4294967295ELNS1_3gpuE0ELNS1_3repE0EEENS1_52radix_sort_onesweep_histogram_config_static_selectorELNS0_4arch9wavefront6targetE1EEEvSC_,comdat
	.protected	_ZN7rocprim17ROCPRIM_400000_NS6detail17trampoline_kernelINS0_14default_configENS1_35radix_sort_onesweep_config_selectorIdNS0_10empty_typeEEEZNS1_34radix_sort_onesweep_global_offsetsIS3_Lb1EPdPS5_mNS0_19identity_decomposerEEE10hipError_tT1_T2_PT3_SE_jT4_jjP12ihipStream_tbEUlT_E0_NS1_11comp_targetILNS1_3genE0ELNS1_11target_archE4294967295ELNS1_3gpuE0ELNS1_3repE0EEENS1_52radix_sort_onesweep_histogram_config_static_selectorELNS0_4arch9wavefront6targetE1EEEvSC_ ; -- Begin function _ZN7rocprim17ROCPRIM_400000_NS6detail17trampoline_kernelINS0_14default_configENS1_35radix_sort_onesweep_config_selectorIdNS0_10empty_typeEEEZNS1_34radix_sort_onesweep_global_offsetsIS3_Lb1EPdPS5_mNS0_19identity_decomposerEEE10hipError_tT1_T2_PT3_SE_jT4_jjP12ihipStream_tbEUlT_E0_NS1_11comp_targetILNS1_3genE0ELNS1_11target_archE4294967295ELNS1_3gpuE0ELNS1_3repE0EEENS1_52radix_sort_onesweep_histogram_config_static_selectorELNS0_4arch9wavefront6targetE1EEEvSC_
	.globl	_ZN7rocprim17ROCPRIM_400000_NS6detail17trampoline_kernelINS0_14default_configENS1_35radix_sort_onesweep_config_selectorIdNS0_10empty_typeEEEZNS1_34radix_sort_onesweep_global_offsetsIS3_Lb1EPdPS5_mNS0_19identity_decomposerEEE10hipError_tT1_T2_PT3_SE_jT4_jjP12ihipStream_tbEUlT_E0_NS1_11comp_targetILNS1_3genE0ELNS1_11target_archE4294967295ELNS1_3gpuE0ELNS1_3repE0EEENS1_52radix_sort_onesweep_histogram_config_static_selectorELNS0_4arch9wavefront6targetE1EEEvSC_
	.p2align	8
	.type	_ZN7rocprim17ROCPRIM_400000_NS6detail17trampoline_kernelINS0_14default_configENS1_35radix_sort_onesweep_config_selectorIdNS0_10empty_typeEEEZNS1_34radix_sort_onesweep_global_offsetsIS3_Lb1EPdPS5_mNS0_19identity_decomposerEEE10hipError_tT1_T2_PT3_SE_jT4_jjP12ihipStream_tbEUlT_E0_NS1_11comp_targetILNS1_3genE0ELNS1_11target_archE4294967295ELNS1_3gpuE0ELNS1_3repE0EEENS1_52radix_sort_onesweep_histogram_config_static_selectorELNS0_4arch9wavefront6targetE1EEEvSC_,@function
_ZN7rocprim17ROCPRIM_400000_NS6detail17trampoline_kernelINS0_14default_configENS1_35radix_sort_onesweep_config_selectorIdNS0_10empty_typeEEEZNS1_34radix_sort_onesweep_global_offsetsIS3_Lb1EPdPS5_mNS0_19identity_decomposerEEE10hipError_tT1_T2_PT3_SE_jT4_jjP12ihipStream_tbEUlT_E0_NS1_11comp_targetILNS1_3genE0ELNS1_11target_archE4294967295ELNS1_3gpuE0ELNS1_3repE0EEENS1_52radix_sort_onesweep_histogram_config_static_selectorELNS0_4arch9wavefront6targetE1EEEvSC_: ; @_ZN7rocprim17ROCPRIM_400000_NS6detail17trampoline_kernelINS0_14default_configENS1_35radix_sort_onesweep_config_selectorIdNS0_10empty_typeEEEZNS1_34radix_sort_onesweep_global_offsetsIS3_Lb1EPdPS5_mNS0_19identity_decomposerEEE10hipError_tT1_T2_PT3_SE_jT4_jjP12ihipStream_tbEUlT_E0_NS1_11comp_targetILNS1_3genE0ELNS1_11target_archE4294967295ELNS1_3gpuE0ELNS1_3repE0EEENS1_52radix_sort_onesweep_histogram_config_static_selectorELNS0_4arch9wavefront6targetE1EEEvSC_
; %bb.0:
	.section	.rodata,"a",@progbits
	.p2align	6, 0x0
	.amdhsa_kernel _ZN7rocprim17ROCPRIM_400000_NS6detail17trampoline_kernelINS0_14default_configENS1_35radix_sort_onesweep_config_selectorIdNS0_10empty_typeEEEZNS1_34radix_sort_onesweep_global_offsetsIS3_Lb1EPdPS5_mNS0_19identity_decomposerEEE10hipError_tT1_T2_PT3_SE_jT4_jjP12ihipStream_tbEUlT_E0_NS1_11comp_targetILNS1_3genE0ELNS1_11target_archE4294967295ELNS1_3gpuE0ELNS1_3repE0EEENS1_52radix_sort_onesweep_histogram_config_static_selectorELNS0_4arch9wavefront6targetE1EEEvSC_
		.amdhsa_group_segment_fixed_size 0
		.amdhsa_private_segment_fixed_size 0
		.amdhsa_kernarg_size 8
		.amdhsa_user_sgpr_count 6
		.amdhsa_user_sgpr_private_segment_buffer 1
		.amdhsa_user_sgpr_dispatch_ptr 0
		.amdhsa_user_sgpr_queue_ptr 0
		.amdhsa_user_sgpr_kernarg_segment_ptr 1
		.amdhsa_user_sgpr_dispatch_id 0
		.amdhsa_user_sgpr_flat_scratch_init 0
		.amdhsa_user_sgpr_kernarg_preload_length 0
		.amdhsa_user_sgpr_kernarg_preload_offset 0
		.amdhsa_user_sgpr_private_segment_size 0
		.amdhsa_uses_dynamic_stack 0
		.amdhsa_system_sgpr_private_segment_wavefront_offset 0
		.amdhsa_system_sgpr_workgroup_id_x 1
		.amdhsa_system_sgpr_workgroup_id_y 0
		.amdhsa_system_sgpr_workgroup_id_z 0
		.amdhsa_system_sgpr_workgroup_info 0
		.amdhsa_system_vgpr_workitem_id 0
		.amdhsa_next_free_vgpr 1
		.amdhsa_next_free_sgpr 0
		.amdhsa_accum_offset 4
		.amdhsa_reserve_vcc 0
		.amdhsa_reserve_flat_scratch 0
		.amdhsa_float_round_mode_32 0
		.amdhsa_float_round_mode_16_64 0
		.amdhsa_float_denorm_mode_32 3
		.amdhsa_float_denorm_mode_16_64 3
		.amdhsa_dx10_clamp 1
		.amdhsa_ieee_mode 1
		.amdhsa_fp16_overflow 0
		.amdhsa_tg_split 0
		.amdhsa_exception_fp_ieee_invalid_op 0
		.amdhsa_exception_fp_denorm_src 0
		.amdhsa_exception_fp_ieee_div_zero 0
		.amdhsa_exception_fp_ieee_overflow 0
		.amdhsa_exception_fp_ieee_underflow 0
		.amdhsa_exception_fp_ieee_inexact 0
		.amdhsa_exception_int_div_zero 0
	.end_amdhsa_kernel
	.section	.text._ZN7rocprim17ROCPRIM_400000_NS6detail17trampoline_kernelINS0_14default_configENS1_35radix_sort_onesweep_config_selectorIdNS0_10empty_typeEEEZNS1_34radix_sort_onesweep_global_offsetsIS3_Lb1EPdPS5_mNS0_19identity_decomposerEEE10hipError_tT1_T2_PT3_SE_jT4_jjP12ihipStream_tbEUlT_E0_NS1_11comp_targetILNS1_3genE0ELNS1_11target_archE4294967295ELNS1_3gpuE0ELNS1_3repE0EEENS1_52radix_sort_onesweep_histogram_config_static_selectorELNS0_4arch9wavefront6targetE1EEEvSC_,"axG",@progbits,_ZN7rocprim17ROCPRIM_400000_NS6detail17trampoline_kernelINS0_14default_configENS1_35radix_sort_onesweep_config_selectorIdNS0_10empty_typeEEEZNS1_34radix_sort_onesweep_global_offsetsIS3_Lb1EPdPS5_mNS0_19identity_decomposerEEE10hipError_tT1_T2_PT3_SE_jT4_jjP12ihipStream_tbEUlT_E0_NS1_11comp_targetILNS1_3genE0ELNS1_11target_archE4294967295ELNS1_3gpuE0ELNS1_3repE0EEENS1_52radix_sort_onesweep_histogram_config_static_selectorELNS0_4arch9wavefront6targetE1EEEvSC_,comdat
.Lfunc_end2606:
	.size	_ZN7rocprim17ROCPRIM_400000_NS6detail17trampoline_kernelINS0_14default_configENS1_35radix_sort_onesweep_config_selectorIdNS0_10empty_typeEEEZNS1_34radix_sort_onesweep_global_offsetsIS3_Lb1EPdPS5_mNS0_19identity_decomposerEEE10hipError_tT1_T2_PT3_SE_jT4_jjP12ihipStream_tbEUlT_E0_NS1_11comp_targetILNS1_3genE0ELNS1_11target_archE4294967295ELNS1_3gpuE0ELNS1_3repE0EEENS1_52radix_sort_onesweep_histogram_config_static_selectorELNS0_4arch9wavefront6targetE1EEEvSC_, .Lfunc_end2606-_ZN7rocprim17ROCPRIM_400000_NS6detail17trampoline_kernelINS0_14default_configENS1_35radix_sort_onesweep_config_selectorIdNS0_10empty_typeEEEZNS1_34radix_sort_onesweep_global_offsetsIS3_Lb1EPdPS5_mNS0_19identity_decomposerEEE10hipError_tT1_T2_PT3_SE_jT4_jjP12ihipStream_tbEUlT_E0_NS1_11comp_targetILNS1_3genE0ELNS1_11target_archE4294967295ELNS1_3gpuE0ELNS1_3repE0EEENS1_52radix_sort_onesweep_histogram_config_static_selectorELNS0_4arch9wavefront6targetE1EEEvSC_
                                        ; -- End function
	.section	.AMDGPU.csdata,"",@progbits
; Kernel info:
; codeLenInByte = 0
; NumSgprs: 4
; NumVgprs: 0
; NumAgprs: 0
; TotalNumVgprs: 0
; ScratchSize: 0
; MemoryBound: 0
; FloatMode: 240
; IeeeMode: 1
; LDSByteSize: 0 bytes/workgroup (compile time only)
; SGPRBlocks: 0
; VGPRBlocks: 0
; NumSGPRsForWavesPerEU: 4
; NumVGPRsForWavesPerEU: 1
; AccumOffset: 4
; Occupancy: 8
; WaveLimiterHint : 0
; COMPUTE_PGM_RSRC2:SCRATCH_EN: 0
; COMPUTE_PGM_RSRC2:USER_SGPR: 6
; COMPUTE_PGM_RSRC2:TRAP_HANDLER: 0
; COMPUTE_PGM_RSRC2:TGID_X_EN: 1
; COMPUTE_PGM_RSRC2:TGID_Y_EN: 0
; COMPUTE_PGM_RSRC2:TGID_Z_EN: 0
; COMPUTE_PGM_RSRC2:TIDIG_COMP_CNT: 0
; COMPUTE_PGM_RSRC3_GFX90A:ACCUM_OFFSET: 0
; COMPUTE_PGM_RSRC3_GFX90A:TG_SPLIT: 0
	.section	.text._ZN7rocprim17ROCPRIM_400000_NS6detail17trampoline_kernelINS0_14default_configENS1_35radix_sort_onesweep_config_selectorIdNS0_10empty_typeEEEZNS1_34radix_sort_onesweep_global_offsetsIS3_Lb1EPdPS5_mNS0_19identity_decomposerEEE10hipError_tT1_T2_PT3_SE_jT4_jjP12ihipStream_tbEUlT_E0_NS1_11comp_targetILNS1_3genE6ELNS1_11target_archE950ELNS1_3gpuE13ELNS1_3repE0EEENS1_52radix_sort_onesweep_histogram_config_static_selectorELNS0_4arch9wavefront6targetE1EEEvSC_,"axG",@progbits,_ZN7rocprim17ROCPRIM_400000_NS6detail17trampoline_kernelINS0_14default_configENS1_35radix_sort_onesweep_config_selectorIdNS0_10empty_typeEEEZNS1_34radix_sort_onesweep_global_offsetsIS3_Lb1EPdPS5_mNS0_19identity_decomposerEEE10hipError_tT1_T2_PT3_SE_jT4_jjP12ihipStream_tbEUlT_E0_NS1_11comp_targetILNS1_3genE6ELNS1_11target_archE950ELNS1_3gpuE13ELNS1_3repE0EEENS1_52radix_sort_onesweep_histogram_config_static_selectorELNS0_4arch9wavefront6targetE1EEEvSC_,comdat
	.protected	_ZN7rocprim17ROCPRIM_400000_NS6detail17trampoline_kernelINS0_14default_configENS1_35radix_sort_onesweep_config_selectorIdNS0_10empty_typeEEEZNS1_34radix_sort_onesweep_global_offsetsIS3_Lb1EPdPS5_mNS0_19identity_decomposerEEE10hipError_tT1_T2_PT3_SE_jT4_jjP12ihipStream_tbEUlT_E0_NS1_11comp_targetILNS1_3genE6ELNS1_11target_archE950ELNS1_3gpuE13ELNS1_3repE0EEENS1_52radix_sort_onesweep_histogram_config_static_selectorELNS0_4arch9wavefront6targetE1EEEvSC_ ; -- Begin function _ZN7rocprim17ROCPRIM_400000_NS6detail17trampoline_kernelINS0_14default_configENS1_35radix_sort_onesweep_config_selectorIdNS0_10empty_typeEEEZNS1_34radix_sort_onesweep_global_offsetsIS3_Lb1EPdPS5_mNS0_19identity_decomposerEEE10hipError_tT1_T2_PT3_SE_jT4_jjP12ihipStream_tbEUlT_E0_NS1_11comp_targetILNS1_3genE6ELNS1_11target_archE950ELNS1_3gpuE13ELNS1_3repE0EEENS1_52radix_sort_onesweep_histogram_config_static_selectorELNS0_4arch9wavefront6targetE1EEEvSC_
	.globl	_ZN7rocprim17ROCPRIM_400000_NS6detail17trampoline_kernelINS0_14default_configENS1_35radix_sort_onesweep_config_selectorIdNS0_10empty_typeEEEZNS1_34radix_sort_onesweep_global_offsetsIS3_Lb1EPdPS5_mNS0_19identity_decomposerEEE10hipError_tT1_T2_PT3_SE_jT4_jjP12ihipStream_tbEUlT_E0_NS1_11comp_targetILNS1_3genE6ELNS1_11target_archE950ELNS1_3gpuE13ELNS1_3repE0EEENS1_52radix_sort_onesweep_histogram_config_static_selectorELNS0_4arch9wavefront6targetE1EEEvSC_
	.p2align	8
	.type	_ZN7rocprim17ROCPRIM_400000_NS6detail17trampoline_kernelINS0_14default_configENS1_35radix_sort_onesweep_config_selectorIdNS0_10empty_typeEEEZNS1_34radix_sort_onesweep_global_offsetsIS3_Lb1EPdPS5_mNS0_19identity_decomposerEEE10hipError_tT1_T2_PT3_SE_jT4_jjP12ihipStream_tbEUlT_E0_NS1_11comp_targetILNS1_3genE6ELNS1_11target_archE950ELNS1_3gpuE13ELNS1_3repE0EEENS1_52radix_sort_onesweep_histogram_config_static_selectorELNS0_4arch9wavefront6targetE1EEEvSC_,@function
_ZN7rocprim17ROCPRIM_400000_NS6detail17trampoline_kernelINS0_14default_configENS1_35radix_sort_onesweep_config_selectorIdNS0_10empty_typeEEEZNS1_34radix_sort_onesweep_global_offsetsIS3_Lb1EPdPS5_mNS0_19identity_decomposerEEE10hipError_tT1_T2_PT3_SE_jT4_jjP12ihipStream_tbEUlT_E0_NS1_11comp_targetILNS1_3genE6ELNS1_11target_archE950ELNS1_3gpuE13ELNS1_3repE0EEENS1_52radix_sort_onesweep_histogram_config_static_selectorELNS0_4arch9wavefront6targetE1EEEvSC_: ; @_ZN7rocprim17ROCPRIM_400000_NS6detail17trampoline_kernelINS0_14default_configENS1_35radix_sort_onesweep_config_selectorIdNS0_10empty_typeEEEZNS1_34radix_sort_onesweep_global_offsetsIS3_Lb1EPdPS5_mNS0_19identity_decomposerEEE10hipError_tT1_T2_PT3_SE_jT4_jjP12ihipStream_tbEUlT_E0_NS1_11comp_targetILNS1_3genE6ELNS1_11target_archE950ELNS1_3gpuE13ELNS1_3repE0EEENS1_52radix_sort_onesweep_histogram_config_static_selectorELNS0_4arch9wavefront6targetE1EEEvSC_
; %bb.0:
	.section	.rodata,"a",@progbits
	.p2align	6, 0x0
	.amdhsa_kernel _ZN7rocprim17ROCPRIM_400000_NS6detail17trampoline_kernelINS0_14default_configENS1_35radix_sort_onesweep_config_selectorIdNS0_10empty_typeEEEZNS1_34radix_sort_onesweep_global_offsetsIS3_Lb1EPdPS5_mNS0_19identity_decomposerEEE10hipError_tT1_T2_PT3_SE_jT4_jjP12ihipStream_tbEUlT_E0_NS1_11comp_targetILNS1_3genE6ELNS1_11target_archE950ELNS1_3gpuE13ELNS1_3repE0EEENS1_52radix_sort_onesweep_histogram_config_static_selectorELNS0_4arch9wavefront6targetE1EEEvSC_
		.amdhsa_group_segment_fixed_size 0
		.amdhsa_private_segment_fixed_size 0
		.amdhsa_kernarg_size 8
		.amdhsa_user_sgpr_count 6
		.amdhsa_user_sgpr_private_segment_buffer 1
		.amdhsa_user_sgpr_dispatch_ptr 0
		.amdhsa_user_sgpr_queue_ptr 0
		.amdhsa_user_sgpr_kernarg_segment_ptr 1
		.amdhsa_user_sgpr_dispatch_id 0
		.amdhsa_user_sgpr_flat_scratch_init 0
		.amdhsa_user_sgpr_kernarg_preload_length 0
		.amdhsa_user_sgpr_kernarg_preload_offset 0
		.amdhsa_user_sgpr_private_segment_size 0
		.amdhsa_uses_dynamic_stack 0
		.amdhsa_system_sgpr_private_segment_wavefront_offset 0
		.amdhsa_system_sgpr_workgroup_id_x 1
		.amdhsa_system_sgpr_workgroup_id_y 0
		.amdhsa_system_sgpr_workgroup_id_z 0
		.amdhsa_system_sgpr_workgroup_info 0
		.amdhsa_system_vgpr_workitem_id 0
		.amdhsa_next_free_vgpr 1
		.amdhsa_next_free_sgpr 0
		.amdhsa_accum_offset 4
		.amdhsa_reserve_vcc 0
		.amdhsa_reserve_flat_scratch 0
		.amdhsa_float_round_mode_32 0
		.amdhsa_float_round_mode_16_64 0
		.amdhsa_float_denorm_mode_32 3
		.amdhsa_float_denorm_mode_16_64 3
		.amdhsa_dx10_clamp 1
		.amdhsa_ieee_mode 1
		.amdhsa_fp16_overflow 0
		.amdhsa_tg_split 0
		.amdhsa_exception_fp_ieee_invalid_op 0
		.amdhsa_exception_fp_denorm_src 0
		.amdhsa_exception_fp_ieee_div_zero 0
		.amdhsa_exception_fp_ieee_overflow 0
		.amdhsa_exception_fp_ieee_underflow 0
		.amdhsa_exception_fp_ieee_inexact 0
		.amdhsa_exception_int_div_zero 0
	.end_amdhsa_kernel
	.section	.text._ZN7rocprim17ROCPRIM_400000_NS6detail17trampoline_kernelINS0_14default_configENS1_35radix_sort_onesweep_config_selectorIdNS0_10empty_typeEEEZNS1_34radix_sort_onesweep_global_offsetsIS3_Lb1EPdPS5_mNS0_19identity_decomposerEEE10hipError_tT1_T2_PT3_SE_jT4_jjP12ihipStream_tbEUlT_E0_NS1_11comp_targetILNS1_3genE6ELNS1_11target_archE950ELNS1_3gpuE13ELNS1_3repE0EEENS1_52radix_sort_onesweep_histogram_config_static_selectorELNS0_4arch9wavefront6targetE1EEEvSC_,"axG",@progbits,_ZN7rocprim17ROCPRIM_400000_NS6detail17trampoline_kernelINS0_14default_configENS1_35radix_sort_onesweep_config_selectorIdNS0_10empty_typeEEEZNS1_34radix_sort_onesweep_global_offsetsIS3_Lb1EPdPS5_mNS0_19identity_decomposerEEE10hipError_tT1_T2_PT3_SE_jT4_jjP12ihipStream_tbEUlT_E0_NS1_11comp_targetILNS1_3genE6ELNS1_11target_archE950ELNS1_3gpuE13ELNS1_3repE0EEENS1_52radix_sort_onesweep_histogram_config_static_selectorELNS0_4arch9wavefront6targetE1EEEvSC_,comdat
.Lfunc_end2607:
	.size	_ZN7rocprim17ROCPRIM_400000_NS6detail17trampoline_kernelINS0_14default_configENS1_35radix_sort_onesweep_config_selectorIdNS0_10empty_typeEEEZNS1_34radix_sort_onesweep_global_offsetsIS3_Lb1EPdPS5_mNS0_19identity_decomposerEEE10hipError_tT1_T2_PT3_SE_jT4_jjP12ihipStream_tbEUlT_E0_NS1_11comp_targetILNS1_3genE6ELNS1_11target_archE950ELNS1_3gpuE13ELNS1_3repE0EEENS1_52radix_sort_onesweep_histogram_config_static_selectorELNS0_4arch9wavefront6targetE1EEEvSC_, .Lfunc_end2607-_ZN7rocprim17ROCPRIM_400000_NS6detail17trampoline_kernelINS0_14default_configENS1_35radix_sort_onesweep_config_selectorIdNS0_10empty_typeEEEZNS1_34radix_sort_onesweep_global_offsetsIS3_Lb1EPdPS5_mNS0_19identity_decomposerEEE10hipError_tT1_T2_PT3_SE_jT4_jjP12ihipStream_tbEUlT_E0_NS1_11comp_targetILNS1_3genE6ELNS1_11target_archE950ELNS1_3gpuE13ELNS1_3repE0EEENS1_52radix_sort_onesweep_histogram_config_static_selectorELNS0_4arch9wavefront6targetE1EEEvSC_
                                        ; -- End function
	.section	.AMDGPU.csdata,"",@progbits
; Kernel info:
; codeLenInByte = 0
; NumSgprs: 4
; NumVgprs: 0
; NumAgprs: 0
; TotalNumVgprs: 0
; ScratchSize: 0
; MemoryBound: 0
; FloatMode: 240
; IeeeMode: 1
; LDSByteSize: 0 bytes/workgroup (compile time only)
; SGPRBlocks: 0
; VGPRBlocks: 0
; NumSGPRsForWavesPerEU: 4
; NumVGPRsForWavesPerEU: 1
; AccumOffset: 4
; Occupancy: 8
; WaveLimiterHint : 0
; COMPUTE_PGM_RSRC2:SCRATCH_EN: 0
; COMPUTE_PGM_RSRC2:USER_SGPR: 6
; COMPUTE_PGM_RSRC2:TRAP_HANDLER: 0
; COMPUTE_PGM_RSRC2:TGID_X_EN: 1
; COMPUTE_PGM_RSRC2:TGID_Y_EN: 0
; COMPUTE_PGM_RSRC2:TGID_Z_EN: 0
; COMPUTE_PGM_RSRC2:TIDIG_COMP_CNT: 0
; COMPUTE_PGM_RSRC3_GFX90A:ACCUM_OFFSET: 0
; COMPUTE_PGM_RSRC3_GFX90A:TG_SPLIT: 0
	.section	.text._ZN7rocprim17ROCPRIM_400000_NS6detail17trampoline_kernelINS0_14default_configENS1_35radix_sort_onesweep_config_selectorIdNS0_10empty_typeEEEZNS1_34radix_sort_onesweep_global_offsetsIS3_Lb1EPdPS5_mNS0_19identity_decomposerEEE10hipError_tT1_T2_PT3_SE_jT4_jjP12ihipStream_tbEUlT_E0_NS1_11comp_targetILNS1_3genE5ELNS1_11target_archE942ELNS1_3gpuE9ELNS1_3repE0EEENS1_52radix_sort_onesweep_histogram_config_static_selectorELNS0_4arch9wavefront6targetE1EEEvSC_,"axG",@progbits,_ZN7rocprim17ROCPRIM_400000_NS6detail17trampoline_kernelINS0_14default_configENS1_35radix_sort_onesweep_config_selectorIdNS0_10empty_typeEEEZNS1_34radix_sort_onesweep_global_offsetsIS3_Lb1EPdPS5_mNS0_19identity_decomposerEEE10hipError_tT1_T2_PT3_SE_jT4_jjP12ihipStream_tbEUlT_E0_NS1_11comp_targetILNS1_3genE5ELNS1_11target_archE942ELNS1_3gpuE9ELNS1_3repE0EEENS1_52radix_sort_onesweep_histogram_config_static_selectorELNS0_4arch9wavefront6targetE1EEEvSC_,comdat
	.protected	_ZN7rocprim17ROCPRIM_400000_NS6detail17trampoline_kernelINS0_14default_configENS1_35radix_sort_onesweep_config_selectorIdNS0_10empty_typeEEEZNS1_34radix_sort_onesweep_global_offsetsIS3_Lb1EPdPS5_mNS0_19identity_decomposerEEE10hipError_tT1_T2_PT3_SE_jT4_jjP12ihipStream_tbEUlT_E0_NS1_11comp_targetILNS1_3genE5ELNS1_11target_archE942ELNS1_3gpuE9ELNS1_3repE0EEENS1_52radix_sort_onesweep_histogram_config_static_selectorELNS0_4arch9wavefront6targetE1EEEvSC_ ; -- Begin function _ZN7rocprim17ROCPRIM_400000_NS6detail17trampoline_kernelINS0_14default_configENS1_35radix_sort_onesweep_config_selectorIdNS0_10empty_typeEEEZNS1_34radix_sort_onesweep_global_offsetsIS3_Lb1EPdPS5_mNS0_19identity_decomposerEEE10hipError_tT1_T2_PT3_SE_jT4_jjP12ihipStream_tbEUlT_E0_NS1_11comp_targetILNS1_3genE5ELNS1_11target_archE942ELNS1_3gpuE9ELNS1_3repE0EEENS1_52radix_sort_onesweep_histogram_config_static_selectorELNS0_4arch9wavefront6targetE1EEEvSC_
	.globl	_ZN7rocprim17ROCPRIM_400000_NS6detail17trampoline_kernelINS0_14default_configENS1_35radix_sort_onesweep_config_selectorIdNS0_10empty_typeEEEZNS1_34radix_sort_onesweep_global_offsetsIS3_Lb1EPdPS5_mNS0_19identity_decomposerEEE10hipError_tT1_T2_PT3_SE_jT4_jjP12ihipStream_tbEUlT_E0_NS1_11comp_targetILNS1_3genE5ELNS1_11target_archE942ELNS1_3gpuE9ELNS1_3repE0EEENS1_52radix_sort_onesweep_histogram_config_static_selectorELNS0_4arch9wavefront6targetE1EEEvSC_
	.p2align	8
	.type	_ZN7rocprim17ROCPRIM_400000_NS6detail17trampoline_kernelINS0_14default_configENS1_35radix_sort_onesweep_config_selectorIdNS0_10empty_typeEEEZNS1_34radix_sort_onesweep_global_offsetsIS3_Lb1EPdPS5_mNS0_19identity_decomposerEEE10hipError_tT1_T2_PT3_SE_jT4_jjP12ihipStream_tbEUlT_E0_NS1_11comp_targetILNS1_3genE5ELNS1_11target_archE942ELNS1_3gpuE9ELNS1_3repE0EEENS1_52radix_sort_onesweep_histogram_config_static_selectorELNS0_4arch9wavefront6targetE1EEEvSC_,@function
_ZN7rocprim17ROCPRIM_400000_NS6detail17trampoline_kernelINS0_14default_configENS1_35radix_sort_onesweep_config_selectorIdNS0_10empty_typeEEEZNS1_34radix_sort_onesweep_global_offsetsIS3_Lb1EPdPS5_mNS0_19identity_decomposerEEE10hipError_tT1_T2_PT3_SE_jT4_jjP12ihipStream_tbEUlT_E0_NS1_11comp_targetILNS1_3genE5ELNS1_11target_archE942ELNS1_3gpuE9ELNS1_3repE0EEENS1_52radix_sort_onesweep_histogram_config_static_selectorELNS0_4arch9wavefront6targetE1EEEvSC_: ; @_ZN7rocprim17ROCPRIM_400000_NS6detail17trampoline_kernelINS0_14default_configENS1_35radix_sort_onesweep_config_selectorIdNS0_10empty_typeEEEZNS1_34radix_sort_onesweep_global_offsetsIS3_Lb1EPdPS5_mNS0_19identity_decomposerEEE10hipError_tT1_T2_PT3_SE_jT4_jjP12ihipStream_tbEUlT_E0_NS1_11comp_targetILNS1_3genE5ELNS1_11target_archE942ELNS1_3gpuE9ELNS1_3repE0EEENS1_52radix_sort_onesweep_histogram_config_static_selectorELNS0_4arch9wavefront6targetE1EEEvSC_
; %bb.0:
	.section	.rodata,"a",@progbits
	.p2align	6, 0x0
	.amdhsa_kernel _ZN7rocprim17ROCPRIM_400000_NS6detail17trampoline_kernelINS0_14default_configENS1_35radix_sort_onesweep_config_selectorIdNS0_10empty_typeEEEZNS1_34radix_sort_onesweep_global_offsetsIS3_Lb1EPdPS5_mNS0_19identity_decomposerEEE10hipError_tT1_T2_PT3_SE_jT4_jjP12ihipStream_tbEUlT_E0_NS1_11comp_targetILNS1_3genE5ELNS1_11target_archE942ELNS1_3gpuE9ELNS1_3repE0EEENS1_52radix_sort_onesweep_histogram_config_static_selectorELNS0_4arch9wavefront6targetE1EEEvSC_
		.amdhsa_group_segment_fixed_size 0
		.amdhsa_private_segment_fixed_size 0
		.amdhsa_kernarg_size 8
		.amdhsa_user_sgpr_count 6
		.amdhsa_user_sgpr_private_segment_buffer 1
		.amdhsa_user_sgpr_dispatch_ptr 0
		.amdhsa_user_sgpr_queue_ptr 0
		.amdhsa_user_sgpr_kernarg_segment_ptr 1
		.amdhsa_user_sgpr_dispatch_id 0
		.amdhsa_user_sgpr_flat_scratch_init 0
		.amdhsa_user_sgpr_kernarg_preload_length 0
		.amdhsa_user_sgpr_kernarg_preload_offset 0
		.amdhsa_user_sgpr_private_segment_size 0
		.amdhsa_uses_dynamic_stack 0
		.amdhsa_system_sgpr_private_segment_wavefront_offset 0
		.amdhsa_system_sgpr_workgroup_id_x 1
		.amdhsa_system_sgpr_workgroup_id_y 0
		.amdhsa_system_sgpr_workgroup_id_z 0
		.amdhsa_system_sgpr_workgroup_info 0
		.amdhsa_system_vgpr_workitem_id 0
		.amdhsa_next_free_vgpr 1
		.amdhsa_next_free_sgpr 0
		.amdhsa_accum_offset 4
		.amdhsa_reserve_vcc 0
		.amdhsa_reserve_flat_scratch 0
		.amdhsa_float_round_mode_32 0
		.amdhsa_float_round_mode_16_64 0
		.amdhsa_float_denorm_mode_32 3
		.amdhsa_float_denorm_mode_16_64 3
		.amdhsa_dx10_clamp 1
		.amdhsa_ieee_mode 1
		.amdhsa_fp16_overflow 0
		.amdhsa_tg_split 0
		.amdhsa_exception_fp_ieee_invalid_op 0
		.amdhsa_exception_fp_denorm_src 0
		.amdhsa_exception_fp_ieee_div_zero 0
		.amdhsa_exception_fp_ieee_overflow 0
		.amdhsa_exception_fp_ieee_underflow 0
		.amdhsa_exception_fp_ieee_inexact 0
		.amdhsa_exception_int_div_zero 0
	.end_amdhsa_kernel
	.section	.text._ZN7rocprim17ROCPRIM_400000_NS6detail17trampoline_kernelINS0_14default_configENS1_35radix_sort_onesweep_config_selectorIdNS0_10empty_typeEEEZNS1_34radix_sort_onesweep_global_offsetsIS3_Lb1EPdPS5_mNS0_19identity_decomposerEEE10hipError_tT1_T2_PT3_SE_jT4_jjP12ihipStream_tbEUlT_E0_NS1_11comp_targetILNS1_3genE5ELNS1_11target_archE942ELNS1_3gpuE9ELNS1_3repE0EEENS1_52radix_sort_onesweep_histogram_config_static_selectorELNS0_4arch9wavefront6targetE1EEEvSC_,"axG",@progbits,_ZN7rocprim17ROCPRIM_400000_NS6detail17trampoline_kernelINS0_14default_configENS1_35radix_sort_onesweep_config_selectorIdNS0_10empty_typeEEEZNS1_34radix_sort_onesweep_global_offsetsIS3_Lb1EPdPS5_mNS0_19identity_decomposerEEE10hipError_tT1_T2_PT3_SE_jT4_jjP12ihipStream_tbEUlT_E0_NS1_11comp_targetILNS1_3genE5ELNS1_11target_archE942ELNS1_3gpuE9ELNS1_3repE0EEENS1_52radix_sort_onesweep_histogram_config_static_selectorELNS0_4arch9wavefront6targetE1EEEvSC_,comdat
.Lfunc_end2608:
	.size	_ZN7rocprim17ROCPRIM_400000_NS6detail17trampoline_kernelINS0_14default_configENS1_35radix_sort_onesweep_config_selectorIdNS0_10empty_typeEEEZNS1_34radix_sort_onesweep_global_offsetsIS3_Lb1EPdPS5_mNS0_19identity_decomposerEEE10hipError_tT1_T2_PT3_SE_jT4_jjP12ihipStream_tbEUlT_E0_NS1_11comp_targetILNS1_3genE5ELNS1_11target_archE942ELNS1_3gpuE9ELNS1_3repE0EEENS1_52radix_sort_onesweep_histogram_config_static_selectorELNS0_4arch9wavefront6targetE1EEEvSC_, .Lfunc_end2608-_ZN7rocprim17ROCPRIM_400000_NS6detail17trampoline_kernelINS0_14default_configENS1_35radix_sort_onesweep_config_selectorIdNS0_10empty_typeEEEZNS1_34radix_sort_onesweep_global_offsetsIS3_Lb1EPdPS5_mNS0_19identity_decomposerEEE10hipError_tT1_T2_PT3_SE_jT4_jjP12ihipStream_tbEUlT_E0_NS1_11comp_targetILNS1_3genE5ELNS1_11target_archE942ELNS1_3gpuE9ELNS1_3repE0EEENS1_52radix_sort_onesweep_histogram_config_static_selectorELNS0_4arch9wavefront6targetE1EEEvSC_
                                        ; -- End function
	.section	.AMDGPU.csdata,"",@progbits
; Kernel info:
; codeLenInByte = 0
; NumSgprs: 4
; NumVgprs: 0
; NumAgprs: 0
; TotalNumVgprs: 0
; ScratchSize: 0
; MemoryBound: 0
; FloatMode: 240
; IeeeMode: 1
; LDSByteSize: 0 bytes/workgroup (compile time only)
; SGPRBlocks: 0
; VGPRBlocks: 0
; NumSGPRsForWavesPerEU: 4
; NumVGPRsForWavesPerEU: 1
; AccumOffset: 4
; Occupancy: 8
; WaveLimiterHint : 0
; COMPUTE_PGM_RSRC2:SCRATCH_EN: 0
; COMPUTE_PGM_RSRC2:USER_SGPR: 6
; COMPUTE_PGM_RSRC2:TRAP_HANDLER: 0
; COMPUTE_PGM_RSRC2:TGID_X_EN: 1
; COMPUTE_PGM_RSRC2:TGID_Y_EN: 0
; COMPUTE_PGM_RSRC2:TGID_Z_EN: 0
; COMPUTE_PGM_RSRC2:TIDIG_COMP_CNT: 0
; COMPUTE_PGM_RSRC3_GFX90A:ACCUM_OFFSET: 0
; COMPUTE_PGM_RSRC3_GFX90A:TG_SPLIT: 0
	.section	.text._ZN7rocprim17ROCPRIM_400000_NS6detail17trampoline_kernelINS0_14default_configENS1_35radix_sort_onesweep_config_selectorIdNS0_10empty_typeEEEZNS1_34radix_sort_onesweep_global_offsetsIS3_Lb1EPdPS5_mNS0_19identity_decomposerEEE10hipError_tT1_T2_PT3_SE_jT4_jjP12ihipStream_tbEUlT_E0_NS1_11comp_targetILNS1_3genE2ELNS1_11target_archE906ELNS1_3gpuE6ELNS1_3repE0EEENS1_52radix_sort_onesweep_histogram_config_static_selectorELNS0_4arch9wavefront6targetE1EEEvSC_,"axG",@progbits,_ZN7rocprim17ROCPRIM_400000_NS6detail17trampoline_kernelINS0_14default_configENS1_35radix_sort_onesweep_config_selectorIdNS0_10empty_typeEEEZNS1_34radix_sort_onesweep_global_offsetsIS3_Lb1EPdPS5_mNS0_19identity_decomposerEEE10hipError_tT1_T2_PT3_SE_jT4_jjP12ihipStream_tbEUlT_E0_NS1_11comp_targetILNS1_3genE2ELNS1_11target_archE906ELNS1_3gpuE6ELNS1_3repE0EEENS1_52radix_sort_onesweep_histogram_config_static_selectorELNS0_4arch9wavefront6targetE1EEEvSC_,comdat
	.protected	_ZN7rocprim17ROCPRIM_400000_NS6detail17trampoline_kernelINS0_14default_configENS1_35radix_sort_onesweep_config_selectorIdNS0_10empty_typeEEEZNS1_34radix_sort_onesweep_global_offsetsIS3_Lb1EPdPS5_mNS0_19identity_decomposerEEE10hipError_tT1_T2_PT3_SE_jT4_jjP12ihipStream_tbEUlT_E0_NS1_11comp_targetILNS1_3genE2ELNS1_11target_archE906ELNS1_3gpuE6ELNS1_3repE0EEENS1_52radix_sort_onesweep_histogram_config_static_selectorELNS0_4arch9wavefront6targetE1EEEvSC_ ; -- Begin function _ZN7rocprim17ROCPRIM_400000_NS6detail17trampoline_kernelINS0_14default_configENS1_35radix_sort_onesweep_config_selectorIdNS0_10empty_typeEEEZNS1_34radix_sort_onesweep_global_offsetsIS3_Lb1EPdPS5_mNS0_19identity_decomposerEEE10hipError_tT1_T2_PT3_SE_jT4_jjP12ihipStream_tbEUlT_E0_NS1_11comp_targetILNS1_3genE2ELNS1_11target_archE906ELNS1_3gpuE6ELNS1_3repE0EEENS1_52radix_sort_onesweep_histogram_config_static_selectorELNS0_4arch9wavefront6targetE1EEEvSC_
	.globl	_ZN7rocprim17ROCPRIM_400000_NS6detail17trampoline_kernelINS0_14default_configENS1_35radix_sort_onesweep_config_selectorIdNS0_10empty_typeEEEZNS1_34radix_sort_onesweep_global_offsetsIS3_Lb1EPdPS5_mNS0_19identity_decomposerEEE10hipError_tT1_T2_PT3_SE_jT4_jjP12ihipStream_tbEUlT_E0_NS1_11comp_targetILNS1_3genE2ELNS1_11target_archE906ELNS1_3gpuE6ELNS1_3repE0EEENS1_52radix_sort_onesweep_histogram_config_static_selectorELNS0_4arch9wavefront6targetE1EEEvSC_
	.p2align	8
	.type	_ZN7rocprim17ROCPRIM_400000_NS6detail17trampoline_kernelINS0_14default_configENS1_35radix_sort_onesweep_config_selectorIdNS0_10empty_typeEEEZNS1_34radix_sort_onesweep_global_offsetsIS3_Lb1EPdPS5_mNS0_19identity_decomposerEEE10hipError_tT1_T2_PT3_SE_jT4_jjP12ihipStream_tbEUlT_E0_NS1_11comp_targetILNS1_3genE2ELNS1_11target_archE906ELNS1_3gpuE6ELNS1_3repE0EEENS1_52radix_sort_onesweep_histogram_config_static_selectorELNS0_4arch9wavefront6targetE1EEEvSC_,@function
_ZN7rocprim17ROCPRIM_400000_NS6detail17trampoline_kernelINS0_14default_configENS1_35radix_sort_onesweep_config_selectorIdNS0_10empty_typeEEEZNS1_34radix_sort_onesweep_global_offsetsIS3_Lb1EPdPS5_mNS0_19identity_decomposerEEE10hipError_tT1_T2_PT3_SE_jT4_jjP12ihipStream_tbEUlT_E0_NS1_11comp_targetILNS1_3genE2ELNS1_11target_archE906ELNS1_3gpuE6ELNS1_3repE0EEENS1_52radix_sort_onesweep_histogram_config_static_selectorELNS0_4arch9wavefront6targetE1EEEvSC_: ; @_ZN7rocprim17ROCPRIM_400000_NS6detail17trampoline_kernelINS0_14default_configENS1_35radix_sort_onesweep_config_selectorIdNS0_10empty_typeEEEZNS1_34radix_sort_onesweep_global_offsetsIS3_Lb1EPdPS5_mNS0_19identity_decomposerEEE10hipError_tT1_T2_PT3_SE_jT4_jjP12ihipStream_tbEUlT_E0_NS1_11comp_targetILNS1_3genE2ELNS1_11target_archE906ELNS1_3gpuE6ELNS1_3repE0EEENS1_52radix_sort_onesweep_histogram_config_static_selectorELNS0_4arch9wavefront6targetE1EEEvSC_
; %bb.0:
	.section	.rodata,"a",@progbits
	.p2align	6, 0x0
	.amdhsa_kernel _ZN7rocprim17ROCPRIM_400000_NS6detail17trampoline_kernelINS0_14default_configENS1_35radix_sort_onesweep_config_selectorIdNS0_10empty_typeEEEZNS1_34radix_sort_onesweep_global_offsetsIS3_Lb1EPdPS5_mNS0_19identity_decomposerEEE10hipError_tT1_T2_PT3_SE_jT4_jjP12ihipStream_tbEUlT_E0_NS1_11comp_targetILNS1_3genE2ELNS1_11target_archE906ELNS1_3gpuE6ELNS1_3repE0EEENS1_52radix_sort_onesweep_histogram_config_static_selectorELNS0_4arch9wavefront6targetE1EEEvSC_
		.amdhsa_group_segment_fixed_size 0
		.amdhsa_private_segment_fixed_size 0
		.amdhsa_kernarg_size 8
		.amdhsa_user_sgpr_count 6
		.amdhsa_user_sgpr_private_segment_buffer 1
		.amdhsa_user_sgpr_dispatch_ptr 0
		.amdhsa_user_sgpr_queue_ptr 0
		.amdhsa_user_sgpr_kernarg_segment_ptr 1
		.amdhsa_user_sgpr_dispatch_id 0
		.amdhsa_user_sgpr_flat_scratch_init 0
		.amdhsa_user_sgpr_kernarg_preload_length 0
		.amdhsa_user_sgpr_kernarg_preload_offset 0
		.amdhsa_user_sgpr_private_segment_size 0
		.amdhsa_uses_dynamic_stack 0
		.amdhsa_system_sgpr_private_segment_wavefront_offset 0
		.amdhsa_system_sgpr_workgroup_id_x 1
		.amdhsa_system_sgpr_workgroup_id_y 0
		.amdhsa_system_sgpr_workgroup_id_z 0
		.amdhsa_system_sgpr_workgroup_info 0
		.amdhsa_system_vgpr_workitem_id 0
		.amdhsa_next_free_vgpr 1
		.amdhsa_next_free_sgpr 0
		.amdhsa_accum_offset 4
		.amdhsa_reserve_vcc 0
		.amdhsa_reserve_flat_scratch 0
		.amdhsa_float_round_mode_32 0
		.amdhsa_float_round_mode_16_64 0
		.amdhsa_float_denorm_mode_32 3
		.amdhsa_float_denorm_mode_16_64 3
		.amdhsa_dx10_clamp 1
		.amdhsa_ieee_mode 1
		.amdhsa_fp16_overflow 0
		.amdhsa_tg_split 0
		.amdhsa_exception_fp_ieee_invalid_op 0
		.amdhsa_exception_fp_denorm_src 0
		.amdhsa_exception_fp_ieee_div_zero 0
		.amdhsa_exception_fp_ieee_overflow 0
		.amdhsa_exception_fp_ieee_underflow 0
		.amdhsa_exception_fp_ieee_inexact 0
		.amdhsa_exception_int_div_zero 0
	.end_amdhsa_kernel
	.section	.text._ZN7rocprim17ROCPRIM_400000_NS6detail17trampoline_kernelINS0_14default_configENS1_35radix_sort_onesweep_config_selectorIdNS0_10empty_typeEEEZNS1_34radix_sort_onesweep_global_offsetsIS3_Lb1EPdPS5_mNS0_19identity_decomposerEEE10hipError_tT1_T2_PT3_SE_jT4_jjP12ihipStream_tbEUlT_E0_NS1_11comp_targetILNS1_3genE2ELNS1_11target_archE906ELNS1_3gpuE6ELNS1_3repE0EEENS1_52radix_sort_onesweep_histogram_config_static_selectorELNS0_4arch9wavefront6targetE1EEEvSC_,"axG",@progbits,_ZN7rocprim17ROCPRIM_400000_NS6detail17trampoline_kernelINS0_14default_configENS1_35radix_sort_onesweep_config_selectorIdNS0_10empty_typeEEEZNS1_34radix_sort_onesweep_global_offsetsIS3_Lb1EPdPS5_mNS0_19identity_decomposerEEE10hipError_tT1_T2_PT3_SE_jT4_jjP12ihipStream_tbEUlT_E0_NS1_11comp_targetILNS1_3genE2ELNS1_11target_archE906ELNS1_3gpuE6ELNS1_3repE0EEENS1_52radix_sort_onesweep_histogram_config_static_selectorELNS0_4arch9wavefront6targetE1EEEvSC_,comdat
.Lfunc_end2609:
	.size	_ZN7rocprim17ROCPRIM_400000_NS6detail17trampoline_kernelINS0_14default_configENS1_35radix_sort_onesweep_config_selectorIdNS0_10empty_typeEEEZNS1_34radix_sort_onesweep_global_offsetsIS3_Lb1EPdPS5_mNS0_19identity_decomposerEEE10hipError_tT1_T2_PT3_SE_jT4_jjP12ihipStream_tbEUlT_E0_NS1_11comp_targetILNS1_3genE2ELNS1_11target_archE906ELNS1_3gpuE6ELNS1_3repE0EEENS1_52radix_sort_onesweep_histogram_config_static_selectorELNS0_4arch9wavefront6targetE1EEEvSC_, .Lfunc_end2609-_ZN7rocprim17ROCPRIM_400000_NS6detail17trampoline_kernelINS0_14default_configENS1_35radix_sort_onesweep_config_selectorIdNS0_10empty_typeEEEZNS1_34radix_sort_onesweep_global_offsetsIS3_Lb1EPdPS5_mNS0_19identity_decomposerEEE10hipError_tT1_T2_PT3_SE_jT4_jjP12ihipStream_tbEUlT_E0_NS1_11comp_targetILNS1_3genE2ELNS1_11target_archE906ELNS1_3gpuE6ELNS1_3repE0EEENS1_52radix_sort_onesweep_histogram_config_static_selectorELNS0_4arch9wavefront6targetE1EEEvSC_
                                        ; -- End function
	.section	.AMDGPU.csdata,"",@progbits
; Kernel info:
; codeLenInByte = 0
; NumSgprs: 4
; NumVgprs: 0
; NumAgprs: 0
; TotalNumVgprs: 0
; ScratchSize: 0
; MemoryBound: 0
; FloatMode: 240
; IeeeMode: 1
; LDSByteSize: 0 bytes/workgroup (compile time only)
; SGPRBlocks: 0
; VGPRBlocks: 0
; NumSGPRsForWavesPerEU: 4
; NumVGPRsForWavesPerEU: 1
; AccumOffset: 4
; Occupancy: 8
; WaveLimiterHint : 0
; COMPUTE_PGM_RSRC2:SCRATCH_EN: 0
; COMPUTE_PGM_RSRC2:USER_SGPR: 6
; COMPUTE_PGM_RSRC2:TRAP_HANDLER: 0
; COMPUTE_PGM_RSRC2:TGID_X_EN: 1
; COMPUTE_PGM_RSRC2:TGID_Y_EN: 0
; COMPUTE_PGM_RSRC2:TGID_Z_EN: 0
; COMPUTE_PGM_RSRC2:TIDIG_COMP_CNT: 0
; COMPUTE_PGM_RSRC3_GFX90A:ACCUM_OFFSET: 0
; COMPUTE_PGM_RSRC3_GFX90A:TG_SPLIT: 0
	.section	.text._ZN7rocprim17ROCPRIM_400000_NS6detail17trampoline_kernelINS0_14default_configENS1_35radix_sort_onesweep_config_selectorIdNS0_10empty_typeEEEZNS1_34radix_sort_onesweep_global_offsetsIS3_Lb1EPdPS5_mNS0_19identity_decomposerEEE10hipError_tT1_T2_PT3_SE_jT4_jjP12ihipStream_tbEUlT_E0_NS1_11comp_targetILNS1_3genE4ELNS1_11target_archE910ELNS1_3gpuE8ELNS1_3repE0EEENS1_52radix_sort_onesweep_histogram_config_static_selectorELNS0_4arch9wavefront6targetE1EEEvSC_,"axG",@progbits,_ZN7rocprim17ROCPRIM_400000_NS6detail17trampoline_kernelINS0_14default_configENS1_35radix_sort_onesweep_config_selectorIdNS0_10empty_typeEEEZNS1_34radix_sort_onesweep_global_offsetsIS3_Lb1EPdPS5_mNS0_19identity_decomposerEEE10hipError_tT1_T2_PT3_SE_jT4_jjP12ihipStream_tbEUlT_E0_NS1_11comp_targetILNS1_3genE4ELNS1_11target_archE910ELNS1_3gpuE8ELNS1_3repE0EEENS1_52radix_sort_onesweep_histogram_config_static_selectorELNS0_4arch9wavefront6targetE1EEEvSC_,comdat
	.protected	_ZN7rocprim17ROCPRIM_400000_NS6detail17trampoline_kernelINS0_14default_configENS1_35radix_sort_onesweep_config_selectorIdNS0_10empty_typeEEEZNS1_34radix_sort_onesweep_global_offsetsIS3_Lb1EPdPS5_mNS0_19identity_decomposerEEE10hipError_tT1_T2_PT3_SE_jT4_jjP12ihipStream_tbEUlT_E0_NS1_11comp_targetILNS1_3genE4ELNS1_11target_archE910ELNS1_3gpuE8ELNS1_3repE0EEENS1_52radix_sort_onesweep_histogram_config_static_selectorELNS0_4arch9wavefront6targetE1EEEvSC_ ; -- Begin function _ZN7rocprim17ROCPRIM_400000_NS6detail17trampoline_kernelINS0_14default_configENS1_35radix_sort_onesweep_config_selectorIdNS0_10empty_typeEEEZNS1_34radix_sort_onesweep_global_offsetsIS3_Lb1EPdPS5_mNS0_19identity_decomposerEEE10hipError_tT1_T2_PT3_SE_jT4_jjP12ihipStream_tbEUlT_E0_NS1_11comp_targetILNS1_3genE4ELNS1_11target_archE910ELNS1_3gpuE8ELNS1_3repE0EEENS1_52radix_sort_onesweep_histogram_config_static_selectorELNS0_4arch9wavefront6targetE1EEEvSC_
	.globl	_ZN7rocprim17ROCPRIM_400000_NS6detail17trampoline_kernelINS0_14default_configENS1_35radix_sort_onesweep_config_selectorIdNS0_10empty_typeEEEZNS1_34radix_sort_onesweep_global_offsetsIS3_Lb1EPdPS5_mNS0_19identity_decomposerEEE10hipError_tT1_T2_PT3_SE_jT4_jjP12ihipStream_tbEUlT_E0_NS1_11comp_targetILNS1_3genE4ELNS1_11target_archE910ELNS1_3gpuE8ELNS1_3repE0EEENS1_52radix_sort_onesweep_histogram_config_static_selectorELNS0_4arch9wavefront6targetE1EEEvSC_
	.p2align	8
	.type	_ZN7rocprim17ROCPRIM_400000_NS6detail17trampoline_kernelINS0_14default_configENS1_35radix_sort_onesweep_config_selectorIdNS0_10empty_typeEEEZNS1_34radix_sort_onesweep_global_offsetsIS3_Lb1EPdPS5_mNS0_19identity_decomposerEEE10hipError_tT1_T2_PT3_SE_jT4_jjP12ihipStream_tbEUlT_E0_NS1_11comp_targetILNS1_3genE4ELNS1_11target_archE910ELNS1_3gpuE8ELNS1_3repE0EEENS1_52radix_sort_onesweep_histogram_config_static_selectorELNS0_4arch9wavefront6targetE1EEEvSC_,@function
_ZN7rocprim17ROCPRIM_400000_NS6detail17trampoline_kernelINS0_14default_configENS1_35radix_sort_onesweep_config_selectorIdNS0_10empty_typeEEEZNS1_34radix_sort_onesweep_global_offsetsIS3_Lb1EPdPS5_mNS0_19identity_decomposerEEE10hipError_tT1_T2_PT3_SE_jT4_jjP12ihipStream_tbEUlT_E0_NS1_11comp_targetILNS1_3genE4ELNS1_11target_archE910ELNS1_3gpuE8ELNS1_3repE0EEENS1_52radix_sort_onesweep_histogram_config_static_selectorELNS0_4arch9wavefront6targetE1EEEvSC_: ; @_ZN7rocprim17ROCPRIM_400000_NS6detail17trampoline_kernelINS0_14default_configENS1_35radix_sort_onesweep_config_selectorIdNS0_10empty_typeEEEZNS1_34radix_sort_onesweep_global_offsetsIS3_Lb1EPdPS5_mNS0_19identity_decomposerEEE10hipError_tT1_T2_PT3_SE_jT4_jjP12ihipStream_tbEUlT_E0_NS1_11comp_targetILNS1_3genE4ELNS1_11target_archE910ELNS1_3gpuE8ELNS1_3repE0EEENS1_52radix_sort_onesweep_histogram_config_static_selectorELNS0_4arch9wavefront6targetE1EEEvSC_
; %bb.0:
	s_load_dwordx2 s[0:1], s[4:5], 0x0
	s_lshl_b32 s2, s6, 8
	s_mov_b32 s3, 0
	s_lshl_b64 s[2:3], s[2:3], 3
	v_lshlrev_b32_e32 v5, 3, v0
	s_waitcnt lgkmcnt(0)
	s_add_u32 s14, s0, s2
	s_movk_i32 s0, 0x100
	s_addc_u32 s15, s1, s3
	v_cmp_gt_u32_e32 vcc, s0, v0
                                        ; implicit-def: $vgpr2_vgpr3
	s_and_saveexec_b64 s[0:1], vcc
	s_cbranch_execz .LBB2610_2
; %bb.1:
	global_load_dwordx2 v[2:3], v5, s[14:15]
.LBB2610_2:
	s_or_b64 exec, exec, s[0:1]
	s_waitcnt vmcnt(0)
	v_mov_b32_dpp v4, v2 row_shr:1 row_mask:0xf bank_mask:0xf
	v_add_co_u32_e64 v4, s[0:1], v2, v4
	v_mbcnt_lo_u32_b32 v1, -1, 0
	v_addc_co_u32_e64 v8, s[0:1], 0, v3, s[0:1]
	v_mbcnt_hi_u32_b32 v6, -1, v1
	v_mov_b32_dpp v7, v3 row_shr:1 row_mask:0xf bank_mask:0xf
	v_add_co_u32_e64 v9, s[0:1], 0, v4
	v_and_b32_e32 v1, 15, v6
	v_addc_co_u32_e64 v7, s[0:1], v7, v8, s[0:1]
	v_cmp_eq_u32_e64 s[0:1], 0, v1
	v_cndmask_b32_e64 v4, v4, v2, s[0:1]
	v_cndmask_b32_e64 v7, v7, v3, s[0:1]
	v_cndmask_b32_e64 v8, v9, v2, s[0:1]
	v_mov_b32_dpp v9, v4 row_shr:2 row_mask:0xf bank_mask:0xf
	v_mov_b32_dpp v10, v7 row_shr:2 row_mask:0xf bank_mask:0xf
	v_add_co_u32_e64 v9, s[2:3], v9, v8
	v_cmp_lt_u32_e64 s[4:5], 1, v1
	v_addc_co_u32_e64 v10, s[2:3], v10, v7, s[2:3]
	v_cndmask_b32_e64 v4, v4, v9, s[4:5]
	v_cndmask_b32_e64 v7, v7, v10, s[4:5]
	v_cndmask_b32_e64 v8, v8, v9, s[4:5]
	v_mov_b32_dpp v9, v4 row_shr:4 row_mask:0xf bank_mask:0xf
	v_mov_b32_dpp v10, v7 row_shr:4 row_mask:0xf bank_mask:0xf
	v_add_co_u32_e64 v9, s[2:3], v9, v8
	v_cmp_lt_u32_e64 s[6:7], 3, v1
	v_addc_co_u32_e64 v10, s[2:3], v10, v7, s[2:3]
	;; [unrolled: 8-line block ×3, first 2 shown]
	v_cndmask_b32_e64 v11, v4, v9, s[8:9]
	v_cndmask_b32_e64 v1, v7, v10, s[8:9]
	;; [unrolled: 1-line block ×3, first 2 shown]
	v_mov_b32_dpp v7, v11 row_bcast:15 row_mask:0xf bank_mask:0xf
	v_mov_b32_dpp v8, v1 row_bcast:15 row_mask:0xf bank_mask:0xf
	v_and_b32_e32 v10, 16, v6
	v_add_co_u32_e64 v7, s[2:3], v7, v4
	v_addc_co_u32_e64 v9, s[2:3], v8, v1, s[2:3]
	v_cmp_eq_u32_e64 s[10:11], 0, v10
	v_cndmask_b32_e64 v10, v9, v1, s[10:11]
	v_cndmask_b32_e64 v8, v7, v11, s[10:11]
	v_cmp_eq_u32_e64 s[2:3], 0, v6
	v_mov_b32_dpp v10, v10 row_bcast:31 row_mask:0xf bank_mask:0xf
	v_mov_b32_dpp v8, v8 row_bcast:31 row_mask:0xf bank_mask:0xf
	v_cmp_ne_u32_e64 s[12:13], 0, v6
	s_and_saveexec_b64 s[16:17], s[12:13]
; %bb.3:
	v_cndmask_b32_e64 v1, v9, v1, s[10:11]
	v_cndmask_b32_e64 v2, v7, v4, s[10:11]
	v_cmp_lt_u32_e64 s[10:11], 31, v6
	v_cndmask_b32_e64 v4, 0, v8, s[10:11]
	v_cndmask_b32_e64 v3, 0, v10, s[10:11]
	v_add_co_u32_e64 v2, s[10:11], v4, v2
	v_addc_co_u32_e64 v3, s[10:11], v3, v1, s[10:11]
; %bb.4:
	s_or_b64 exec, exec, s[16:17]
	v_and_b32_e32 v1, 63, v0
	v_lshrrev_b32_e32 v4, 6, v0
	v_cmp_eq_u32_e64 s[10:11], 63, v1
	s_and_saveexec_b64 s[12:13], s[10:11]
	s_cbranch_execz .LBB2610_6
; %bb.5:
	v_lshlrev_b32_e32 v1, 3, v4
	ds_write_b64 v1, v[2:3]
.LBB2610_6:
	s_or_b64 exec, exec, s[12:13]
	v_cmp_gt_u32_e64 s[10:11], 16, v0
	s_waitcnt lgkmcnt(0)
	s_barrier
	s_and_saveexec_b64 s[12:13], s[10:11]
	s_cbranch_execz .LBB2610_8
; %bb.7:
	ds_read_b64 v[8:9], v5
	s_waitcnt lgkmcnt(0)
	s_nop 0
	v_mov_b32_dpp v1, v8 row_shr:1 row_mask:0xf bank_mask:0xf
	v_add_co_u32_e64 v1, s[10:11], v8, v1
	v_addc_co_u32_e64 v10, s[10:11], 0, v9, s[10:11]
	v_mov_b32_dpp v7, v9 row_shr:1 row_mask:0xf bank_mask:0xf
	v_add_co_u32_e64 v11, s[10:11], 0, v1
	v_addc_co_u32_e64 v7, s[10:11], v7, v10, s[10:11]
	v_cndmask_b32_e64 v1, v1, v8, s[0:1]
	v_cndmask_b32_e64 v7, v7, v9, s[0:1]
	v_cndmask_b32_e64 v10, v11, v8, s[0:1]
	v_mov_b32_dpp v11, v1 row_shr:2 row_mask:0xf bank_mask:0xf
	v_mov_b32_dpp v12, v7 row_shr:2 row_mask:0xf bank_mask:0xf
	v_add_co_u32_e64 v11, s[10:11], v11, v10
	v_addc_co_u32_e64 v12, s[10:11], v12, v7, s[10:11]
	v_cndmask_b32_e64 v1, v1, v11, s[4:5]
	v_cndmask_b32_e64 v7, v7, v12, s[4:5]
	v_cndmask_b32_e64 v10, v10, v11, s[4:5]
	v_mov_b32_dpp v11, v1 row_shr:4 row_mask:0xf bank_mask:0xf
	;; [unrolled: 7-line block ×3, first 2 shown]
	v_mov_b32_dpp v12, v7 row_shr:8 row_mask:0xf bank_mask:0xf
	v_cndmask_b32_e64 v1, 0, v1, s[8:9]
	v_cndmask_b32_e64 v11, 0, v12, s[8:9]
	v_add_co_u32_e64 v1, s[4:5], v1, v10
	v_addc_co_u32_e64 v7, s[4:5], v11, v7, s[4:5]
	v_cndmask_b32_e64 v9, v7, v9, s[0:1]
	v_cndmask_b32_e64 v8, v1, v8, s[0:1]
	ds_write_b64 v5, v[8:9]
.LBB2610_8:
	s_or_b64 exec, exec, s[12:13]
	v_cmp_lt_u32_e64 s[0:1], 63, v0
	v_pk_mov_b32 v[0:1], 0, 0
	s_waitcnt lgkmcnt(0)
	s_barrier
	s_and_saveexec_b64 s[4:5], s[0:1]
	s_cbranch_execz .LBB2610_10
; %bb.9:
	v_lshl_add_u32 v0, v4, 3, -8
	ds_read_b64 v[0:1], v0
.LBB2610_10:
	s_or_b64 exec, exec, s[4:5]
	s_waitcnt lgkmcnt(0)
	v_add_co_u32_e64 v2, s[0:1], v0, v2
	v_addc_co_u32_e64 v3, s[0:1], v1, v3, s[0:1]
	v_add_u32_e32 v4, -1, v6
	v_and_b32_e32 v7, 64, v6
	v_cmp_lt_i32_e64 s[0:1], v4, v7
	v_cndmask_b32_e64 v4, v4, v6, s[0:1]
	v_lshlrev_b32_e32 v4, 2, v4
	ds_bpermute_b32 v2, v4, v2
	ds_bpermute_b32 v3, v4, v3
	s_and_saveexec_b64 s[0:1], vcc
	s_cbranch_execz .LBB2610_12
; %bb.11:
	s_waitcnt lgkmcnt(0)
	v_cndmask_b32_e64 v1, v3, v1, s[2:3]
	v_cndmask_b32_e64 v0, v2, v0, s[2:3]
	global_store_dwordx2 v5, v[0:1], s[14:15]
.LBB2610_12:
	s_endpgm
	.section	.rodata,"a",@progbits
	.p2align	6, 0x0
	.amdhsa_kernel _ZN7rocprim17ROCPRIM_400000_NS6detail17trampoline_kernelINS0_14default_configENS1_35radix_sort_onesweep_config_selectorIdNS0_10empty_typeEEEZNS1_34radix_sort_onesweep_global_offsetsIS3_Lb1EPdPS5_mNS0_19identity_decomposerEEE10hipError_tT1_T2_PT3_SE_jT4_jjP12ihipStream_tbEUlT_E0_NS1_11comp_targetILNS1_3genE4ELNS1_11target_archE910ELNS1_3gpuE8ELNS1_3repE0EEENS1_52radix_sort_onesweep_histogram_config_static_selectorELNS0_4arch9wavefront6targetE1EEEvSC_
		.amdhsa_group_segment_fixed_size 128
		.amdhsa_private_segment_fixed_size 0
		.amdhsa_kernarg_size 8
		.amdhsa_user_sgpr_count 6
		.amdhsa_user_sgpr_private_segment_buffer 1
		.amdhsa_user_sgpr_dispatch_ptr 0
		.amdhsa_user_sgpr_queue_ptr 0
		.amdhsa_user_sgpr_kernarg_segment_ptr 1
		.amdhsa_user_sgpr_dispatch_id 0
		.amdhsa_user_sgpr_flat_scratch_init 0
		.amdhsa_user_sgpr_kernarg_preload_length 0
		.amdhsa_user_sgpr_kernarg_preload_offset 0
		.amdhsa_user_sgpr_private_segment_size 0
		.amdhsa_uses_dynamic_stack 0
		.amdhsa_system_sgpr_private_segment_wavefront_offset 0
		.amdhsa_system_sgpr_workgroup_id_x 1
		.amdhsa_system_sgpr_workgroup_id_y 0
		.amdhsa_system_sgpr_workgroup_id_z 0
		.amdhsa_system_sgpr_workgroup_info 0
		.amdhsa_system_vgpr_workitem_id 0
		.amdhsa_next_free_vgpr 13
		.amdhsa_next_free_sgpr 18
		.amdhsa_accum_offset 16
		.amdhsa_reserve_vcc 1
		.amdhsa_reserve_flat_scratch 0
		.amdhsa_float_round_mode_32 0
		.amdhsa_float_round_mode_16_64 0
		.amdhsa_float_denorm_mode_32 3
		.amdhsa_float_denorm_mode_16_64 3
		.amdhsa_dx10_clamp 1
		.amdhsa_ieee_mode 1
		.amdhsa_fp16_overflow 0
		.amdhsa_tg_split 0
		.amdhsa_exception_fp_ieee_invalid_op 0
		.amdhsa_exception_fp_denorm_src 0
		.amdhsa_exception_fp_ieee_div_zero 0
		.amdhsa_exception_fp_ieee_overflow 0
		.amdhsa_exception_fp_ieee_underflow 0
		.amdhsa_exception_fp_ieee_inexact 0
		.amdhsa_exception_int_div_zero 0
	.end_amdhsa_kernel
	.section	.text._ZN7rocprim17ROCPRIM_400000_NS6detail17trampoline_kernelINS0_14default_configENS1_35radix_sort_onesweep_config_selectorIdNS0_10empty_typeEEEZNS1_34radix_sort_onesweep_global_offsetsIS3_Lb1EPdPS5_mNS0_19identity_decomposerEEE10hipError_tT1_T2_PT3_SE_jT4_jjP12ihipStream_tbEUlT_E0_NS1_11comp_targetILNS1_3genE4ELNS1_11target_archE910ELNS1_3gpuE8ELNS1_3repE0EEENS1_52radix_sort_onesweep_histogram_config_static_selectorELNS0_4arch9wavefront6targetE1EEEvSC_,"axG",@progbits,_ZN7rocprim17ROCPRIM_400000_NS6detail17trampoline_kernelINS0_14default_configENS1_35radix_sort_onesweep_config_selectorIdNS0_10empty_typeEEEZNS1_34radix_sort_onesweep_global_offsetsIS3_Lb1EPdPS5_mNS0_19identity_decomposerEEE10hipError_tT1_T2_PT3_SE_jT4_jjP12ihipStream_tbEUlT_E0_NS1_11comp_targetILNS1_3genE4ELNS1_11target_archE910ELNS1_3gpuE8ELNS1_3repE0EEENS1_52radix_sort_onesweep_histogram_config_static_selectorELNS0_4arch9wavefront6targetE1EEEvSC_,comdat
.Lfunc_end2610:
	.size	_ZN7rocprim17ROCPRIM_400000_NS6detail17trampoline_kernelINS0_14default_configENS1_35radix_sort_onesweep_config_selectorIdNS0_10empty_typeEEEZNS1_34radix_sort_onesweep_global_offsetsIS3_Lb1EPdPS5_mNS0_19identity_decomposerEEE10hipError_tT1_T2_PT3_SE_jT4_jjP12ihipStream_tbEUlT_E0_NS1_11comp_targetILNS1_3genE4ELNS1_11target_archE910ELNS1_3gpuE8ELNS1_3repE0EEENS1_52radix_sort_onesweep_histogram_config_static_selectorELNS0_4arch9wavefront6targetE1EEEvSC_, .Lfunc_end2610-_ZN7rocprim17ROCPRIM_400000_NS6detail17trampoline_kernelINS0_14default_configENS1_35radix_sort_onesweep_config_selectorIdNS0_10empty_typeEEEZNS1_34radix_sort_onesweep_global_offsetsIS3_Lb1EPdPS5_mNS0_19identity_decomposerEEE10hipError_tT1_T2_PT3_SE_jT4_jjP12ihipStream_tbEUlT_E0_NS1_11comp_targetILNS1_3genE4ELNS1_11target_archE910ELNS1_3gpuE8ELNS1_3repE0EEENS1_52radix_sort_onesweep_histogram_config_static_selectorELNS0_4arch9wavefront6targetE1EEEvSC_
                                        ; -- End function
	.section	.AMDGPU.csdata,"",@progbits
; Kernel info:
; codeLenInByte = 1012
; NumSgprs: 22
; NumVgprs: 13
; NumAgprs: 0
; TotalNumVgprs: 13
; ScratchSize: 0
; MemoryBound: 0
; FloatMode: 240
; IeeeMode: 1
; LDSByteSize: 128 bytes/workgroup (compile time only)
; SGPRBlocks: 2
; VGPRBlocks: 1
; NumSGPRsForWavesPerEU: 22
; NumVGPRsForWavesPerEU: 13
; AccumOffset: 16
; Occupancy: 8
; WaveLimiterHint : 0
; COMPUTE_PGM_RSRC2:SCRATCH_EN: 0
; COMPUTE_PGM_RSRC2:USER_SGPR: 6
; COMPUTE_PGM_RSRC2:TRAP_HANDLER: 0
; COMPUTE_PGM_RSRC2:TGID_X_EN: 1
; COMPUTE_PGM_RSRC2:TGID_Y_EN: 0
; COMPUTE_PGM_RSRC2:TGID_Z_EN: 0
; COMPUTE_PGM_RSRC2:TIDIG_COMP_CNT: 0
; COMPUTE_PGM_RSRC3_GFX90A:ACCUM_OFFSET: 3
; COMPUTE_PGM_RSRC3_GFX90A:TG_SPLIT: 0
	.section	.text._ZN7rocprim17ROCPRIM_400000_NS6detail17trampoline_kernelINS0_14default_configENS1_35radix_sort_onesweep_config_selectorIdNS0_10empty_typeEEEZNS1_34radix_sort_onesweep_global_offsetsIS3_Lb1EPdPS5_mNS0_19identity_decomposerEEE10hipError_tT1_T2_PT3_SE_jT4_jjP12ihipStream_tbEUlT_E0_NS1_11comp_targetILNS1_3genE3ELNS1_11target_archE908ELNS1_3gpuE7ELNS1_3repE0EEENS1_52radix_sort_onesweep_histogram_config_static_selectorELNS0_4arch9wavefront6targetE1EEEvSC_,"axG",@progbits,_ZN7rocprim17ROCPRIM_400000_NS6detail17trampoline_kernelINS0_14default_configENS1_35radix_sort_onesweep_config_selectorIdNS0_10empty_typeEEEZNS1_34radix_sort_onesweep_global_offsetsIS3_Lb1EPdPS5_mNS0_19identity_decomposerEEE10hipError_tT1_T2_PT3_SE_jT4_jjP12ihipStream_tbEUlT_E0_NS1_11comp_targetILNS1_3genE3ELNS1_11target_archE908ELNS1_3gpuE7ELNS1_3repE0EEENS1_52radix_sort_onesweep_histogram_config_static_selectorELNS0_4arch9wavefront6targetE1EEEvSC_,comdat
	.protected	_ZN7rocprim17ROCPRIM_400000_NS6detail17trampoline_kernelINS0_14default_configENS1_35radix_sort_onesweep_config_selectorIdNS0_10empty_typeEEEZNS1_34radix_sort_onesweep_global_offsetsIS3_Lb1EPdPS5_mNS0_19identity_decomposerEEE10hipError_tT1_T2_PT3_SE_jT4_jjP12ihipStream_tbEUlT_E0_NS1_11comp_targetILNS1_3genE3ELNS1_11target_archE908ELNS1_3gpuE7ELNS1_3repE0EEENS1_52radix_sort_onesweep_histogram_config_static_selectorELNS0_4arch9wavefront6targetE1EEEvSC_ ; -- Begin function _ZN7rocprim17ROCPRIM_400000_NS6detail17trampoline_kernelINS0_14default_configENS1_35radix_sort_onesweep_config_selectorIdNS0_10empty_typeEEEZNS1_34radix_sort_onesweep_global_offsetsIS3_Lb1EPdPS5_mNS0_19identity_decomposerEEE10hipError_tT1_T2_PT3_SE_jT4_jjP12ihipStream_tbEUlT_E0_NS1_11comp_targetILNS1_3genE3ELNS1_11target_archE908ELNS1_3gpuE7ELNS1_3repE0EEENS1_52radix_sort_onesweep_histogram_config_static_selectorELNS0_4arch9wavefront6targetE1EEEvSC_
	.globl	_ZN7rocprim17ROCPRIM_400000_NS6detail17trampoline_kernelINS0_14default_configENS1_35radix_sort_onesweep_config_selectorIdNS0_10empty_typeEEEZNS1_34radix_sort_onesweep_global_offsetsIS3_Lb1EPdPS5_mNS0_19identity_decomposerEEE10hipError_tT1_T2_PT3_SE_jT4_jjP12ihipStream_tbEUlT_E0_NS1_11comp_targetILNS1_3genE3ELNS1_11target_archE908ELNS1_3gpuE7ELNS1_3repE0EEENS1_52radix_sort_onesweep_histogram_config_static_selectorELNS0_4arch9wavefront6targetE1EEEvSC_
	.p2align	8
	.type	_ZN7rocprim17ROCPRIM_400000_NS6detail17trampoline_kernelINS0_14default_configENS1_35radix_sort_onesweep_config_selectorIdNS0_10empty_typeEEEZNS1_34radix_sort_onesweep_global_offsetsIS3_Lb1EPdPS5_mNS0_19identity_decomposerEEE10hipError_tT1_T2_PT3_SE_jT4_jjP12ihipStream_tbEUlT_E0_NS1_11comp_targetILNS1_3genE3ELNS1_11target_archE908ELNS1_3gpuE7ELNS1_3repE0EEENS1_52radix_sort_onesweep_histogram_config_static_selectorELNS0_4arch9wavefront6targetE1EEEvSC_,@function
_ZN7rocprim17ROCPRIM_400000_NS6detail17trampoline_kernelINS0_14default_configENS1_35radix_sort_onesweep_config_selectorIdNS0_10empty_typeEEEZNS1_34radix_sort_onesweep_global_offsetsIS3_Lb1EPdPS5_mNS0_19identity_decomposerEEE10hipError_tT1_T2_PT3_SE_jT4_jjP12ihipStream_tbEUlT_E0_NS1_11comp_targetILNS1_3genE3ELNS1_11target_archE908ELNS1_3gpuE7ELNS1_3repE0EEENS1_52radix_sort_onesweep_histogram_config_static_selectorELNS0_4arch9wavefront6targetE1EEEvSC_: ; @_ZN7rocprim17ROCPRIM_400000_NS6detail17trampoline_kernelINS0_14default_configENS1_35radix_sort_onesweep_config_selectorIdNS0_10empty_typeEEEZNS1_34radix_sort_onesweep_global_offsetsIS3_Lb1EPdPS5_mNS0_19identity_decomposerEEE10hipError_tT1_T2_PT3_SE_jT4_jjP12ihipStream_tbEUlT_E0_NS1_11comp_targetILNS1_3genE3ELNS1_11target_archE908ELNS1_3gpuE7ELNS1_3repE0EEENS1_52radix_sort_onesweep_histogram_config_static_selectorELNS0_4arch9wavefront6targetE1EEEvSC_
; %bb.0:
	.section	.rodata,"a",@progbits
	.p2align	6, 0x0
	.amdhsa_kernel _ZN7rocprim17ROCPRIM_400000_NS6detail17trampoline_kernelINS0_14default_configENS1_35radix_sort_onesweep_config_selectorIdNS0_10empty_typeEEEZNS1_34radix_sort_onesweep_global_offsetsIS3_Lb1EPdPS5_mNS0_19identity_decomposerEEE10hipError_tT1_T2_PT3_SE_jT4_jjP12ihipStream_tbEUlT_E0_NS1_11comp_targetILNS1_3genE3ELNS1_11target_archE908ELNS1_3gpuE7ELNS1_3repE0EEENS1_52radix_sort_onesweep_histogram_config_static_selectorELNS0_4arch9wavefront6targetE1EEEvSC_
		.amdhsa_group_segment_fixed_size 0
		.amdhsa_private_segment_fixed_size 0
		.amdhsa_kernarg_size 8
		.amdhsa_user_sgpr_count 6
		.amdhsa_user_sgpr_private_segment_buffer 1
		.amdhsa_user_sgpr_dispatch_ptr 0
		.amdhsa_user_sgpr_queue_ptr 0
		.amdhsa_user_sgpr_kernarg_segment_ptr 1
		.amdhsa_user_sgpr_dispatch_id 0
		.amdhsa_user_sgpr_flat_scratch_init 0
		.amdhsa_user_sgpr_kernarg_preload_length 0
		.amdhsa_user_sgpr_kernarg_preload_offset 0
		.amdhsa_user_sgpr_private_segment_size 0
		.amdhsa_uses_dynamic_stack 0
		.amdhsa_system_sgpr_private_segment_wavefront_offset 0
		.amdhsa_system_sgpr_workgroup_id_x 1
		.amdhsa_system_sgpr_workgroup_id_y 0
		.amdhsa_system_sgpr_workgroup_id_z 0
		.amdhsa_system_sgpr_workgroup_info 0
		.amdhsa_system_vgpr_workitem_id 0
		.amdhsa_next_free_vgpr 1
		.amdhsa_next_free_sgpr 0
		.amdhsa_accum_offset 4
		.amdhsa_reserve_vcc 0
		.amdhsa_reserve_flat_scratch 0
		.amdhsa_float_round_mode_32 0
		.amdhsa_float_round_mode_16_64 0
		.amdhsa_float_denorm_mode_32 3
		.amdhsa_float_denorm_mode_16_64 3
		.amdhsa_dx10_clamp 1
		.amdhsa_ieee_mode 1
		.amdhsa_fp16_overflow 0
		.amdhsa_tg_split 0
		.amdhsa_exception_fp_ieee_invalid_op 0
		.amdhsa_exception_fp_denorm_src 0
		.amdhsa_exception_fp_ieee_div_zero 0
		.amdhsa_exception_fp_ieee_overflow 0
		.amdhsa_exception_fp_ieee_underflow 0
		.amdhsa_exception_fp_ieee_inexact 0
		.amdhsa_exception_int_div_zero 0
	.end_amdhsa_kernel
	.section	.text._ZN7rocprim17ROCPRIM_400000_NS6detail17trampoline_kernelINS0_14default_configENS1_35radix_sort_onesweep_config_selectorIdNS0_10empty_typeEEEZNS1_34radix_sort_onesweep_global_offsetsIS3_Lb1EPdPS5_mNS0_19identity_decomposerEEE10hipError_tT1_T2_PT3_SE_jT4_jjP12ihipStream_tbEUlT_E0_NS1_11comp_targetILNS1_3genE3ELNS1_11target_archE908ELNS1_3gpuE7ELNS1_3repE0EEENS1_52radix_sort_onesweep_histogram_config_static_selectorELNS0_4arch9wavefront6targetE1EEEvSC_,"axG",@progbits,_ZN7rocprim17ROCPRIM_400000_NS6detail17trampoline_kernelINS0_14default_configENS1_35radix_sort_onesweep_config_selectorIdNS0_10empty_typeEEEZNS1_34radix_sort_onesweep_global_offsetsIS3_Lb1EPdPS5_mNS0_19identity_decomposerEEE10hipError_tT1_T2_PT3_SE_jT4_jjP12ihipStream_tbEUlT_E0_NS1_11comp_targetILNS1_3genE3ELNS1_11target_archE908ELNS1_3gpuE7ELNS1_3repE0EEENS1_52radix_sort_onesweep_histogram_config_static_selectorELNS0_4arch9wavefront6targetE1EEEvSC_,comdat
.Lfunc_end2611:
	.size	_ZN7rocprim17ROCPRIM_400000_NS6detail17trampoline_kernelINS0_14default_configENS1_35radix_sort_onesweep_config_selectorIdNS0_10empty_typeEEEZNS1_34radix_sort_onesweep_global_offsetsIS3_Lb1EPdPS5_mNS0_19identity_decomposerEEE10hipError_tT1_T2_PT3_SE_jT4_jjP12ihipStream_tbEUlT_E0_NS1_11comp_targetILNS1_3genE3ELNS1_11target_archE908ELNS1_3gpuE7ELNS1_3repE0EEENS1_52radix_sort_onesweep_histogram_config_static_selectorELNS0_4arch9wavefront6targetE1EEEvSC_, .Lfunc_end2611-_ZN7rocprim17ROCPRIM_400000_NS6detail17trampoline_kernelINS0_14default_configENS1_35radix_sort_onesweep_config_selectorIdNS0_10empty_typeEEEZNS1_34radix_sort_onesweep_global_offsetsIS3_Lb1EPdPS5_mNS0_19identity_decomposerEEE10hipError_tT1_T2_PT3_SE_jT4_jjP12ihipStream_tbEUlT_E0_NS1_11comp_targetILNS1_3genE3ELNS1_11target_archE908ELNS1_3gpuE7ELNS1_3repE0EEENS1_52radix_sort_onesweep_histogram_config_static_selectorELNS0_4arch9wavefront6targetE1EEEvSC_
                                        ; -- End function
	.section	.AMDGPU.csdata,"",@progbits
; Kernel info:
; codeLenInByte = 0
; NumSgprs: 4
; NumVgprs: 0
; NumAgprs: 0
; TotalNumVgprs: 0
; ScratchSize: 0
; MemoryBound: 0
; FloatMode: 240
; IeeeMode: 1
; LDSByteSize: 0 bytes/workgroup (compile time only)
; SGPRBlocks: 0
; VGPRBlocks: 0
; NumSGPRsForWavesPerEU: 4
; NumVGPRsForWavesPerEU: 1
; AccumOffset: 4
; Occupancy: 8
; WaveLimiterHint : 0
; COMPUTE_PGM_RSRC2:SCRATCH_EN: 0
; COMPUTE_PGM_RSRC2:USER_SGPR: 6
; COMPUTE_PGM_RSRC2:TRAP_HANDLER: 0
; COMPUTE_PGM_RSRC2:TGID_X_EN: 1
; COMPUTE_PGM_RSRC2:TGID_Y_EN: 0
; COMPUTE_PGM_RSRC2:TGID_Z_EN: 0
; COMPUTE_PGM_RSRC2:TIDIG_COMP_CNT: 0
; COMPUTE_PGM_RSRC3_GFX90A:ACCUM_OFFSET: 0
; COMPUTE_PGM_RSRC3_GFX90A:TG_SPLIT: 0
	.section	.text._ZN7rocprim17ROCPRIM_400000_NS6detail17trampoline_kernelINS0_14default_configENS1_35radix_sort_onesweep_config_selectorIdNS0_10empty_typeEEEZNS1_34radix_sort_onesweep_global_offsetsIS3_Lb1EPdPS5_mNS0_19identity_decomposerEEE10hipError_tT1_T2_PT3_SE_jT4_jjP12ihipStream_tbEUlT_E0_NS1_11comp_targetILNS1_3genE10ELNS1_11target_archE1201ELNS1_3gpuE5ELNS1_3repE0EEENS1_52radix_sort_onesweep_histogram_config_static_selectorELNS0_4arch9wavefront6targetE1EEEvSC_,"axG",@progbits,_ZN7rocprim17ROCPRIM_400000_NS6detail17trampoline_kernelINS0_14default_configENS1_35radix_sort_onesweep_config_selectorIdNS0_10empty_typeEEEZNS1_34radix_sort_onesweep_global_offsetsIS3_Lb1EPdPS5_mNS0_19identity_decomposerEEE10hipError_tT1_T2_PT3_SE_jT4_jjP12ihipStream_tbEUlT_E0_NS1_11comp_targetILNS1_3genE10ELNS1_11target_archE1201ELNS1_3gpuE5ELNS1_3repE0EEENS1_52radix_sort_onesweep_histogram_config_static_selectorELNS0_4arch9wavefront6targetE1EEEvSC_,comdat
	.protected	_ZN7rocprim17ROCPRIM_400000_NS6detail17trampoline_kernelINS0_14default_configENS1_35radix_sort_onesweep_config_selectorIdNS0_10empty_typeEEEZNS1_34radix_sort_onesweep_global_offsetsIS3_Lb1EPdPS5_mNS0_19identity_decomposerEEE10hipError_tT1_T2_PT3_SE_jT4_jjP12ihipStream_tbEUlT_E0_NS1_11comp_targetILNS1_3genE10ELNS1_11target_archE1201ELNS1_3gpuE5ELNS1_3repE0EEENS1_52radix_sort_onesweep_histogram_config_static_selectorELNS0_4arch9wavefront6targetE1EEEvSC_ ; -- Begin function _ZN7rocprim17ROCPRIM_400000_NS6detail17trampoline_kernelINS0_14default_configENS1_35radix_sort_onesweep_config_selectorIdNS0_10empty_typeEEEZNS1_34radix_sort_onesweep_global_offsetsIS3_Lb1EPdPS5_mNS0_19identity_decomposerEEE10hipError_tT1_T2_PT3_SE_jT4_jjP12ihipStream_tbEUlT_E0_NS1_11comp_targetILNS1_3genE10ELNS1_11target_archE1201ELNS1_3gpuE5ELNS1_3repE0EEENS1_52radix_sort_onesweep_histogram_config_static_selectorELNS0_4arch9wavefront6targetE1EEEvSC_
	.globl	_ZN7rocprim17ROCPRIM_400000_NS6detail17trampoline_kernelINS0_14default_configENS1_35radix_sort_onesweep_config_selectorIdNS0_10empty_typeEEEZNS1_34radix_sort_onesweep_global_offsetsIS3_Lb1EPdPS5_mNS0_19identity_decomposerEEE10hipError_tT1_T2_PT3_SE_jT4_jjP12ihipStream_tbEUlT_E0_NS1_11comp_targetILNS1_3genE10ELNS1_11target_archE1201ELNS1_3gpuE5ELNS1_3repE0EEENS1_52radix_sort_onesweep_histogram_config_static_selectorELNS0_4arch9wavefront6targetE1EEEvSC_
	.p2align	8
	.type	_ZN7rocprim17ROCPRIM_400000_NS6detail17trampoline_kernelINS0_14default_configENS1_35radix_sort_onesweep_config_selectorIdNS0_10empty_typeEEEZNS1_34radix_sort_onesweep_global_offsetsIS3_Lb1EPdPS5_mNS0_19identity_decomposerEEE10hipError_tT1_T2_PT3_SE_jT4_jjP12ihipStream_tbEUlT_E0_NS1_11comp_targetILNS1_3genE10ELNS1_11target_archE1201ELNS1_3gpuE5ELNS1_3repE0EEENS1_52radix_sort_onesweep_histogram_config_static_selectorELNS0_4arch9wavefront6targetE1EEEvSC_,@function
_ZN7rocprim17ROCPRIM_400000_NS6detail17trampoline_kernelINS0_14default_configENS1_35radix_sort_onesweep_config_selectorIdNS0_10empty_typeEEEZNS1_34radix_sort_onesweep_global_offsetsIS3_Lb1EPdPS5_mNS0_19identity_decomposerEEE10hipError_tT1_T2_PT3_SE_jT4_jjP12ihipStream_tbEUlT_E0_NS1_11comp_targetILNS1_3genE10ELNS1_11target_archE1201ELNS1_3gpuE5ELNS1_3repE0EEENS1_52radix_sort_onesweep_histogram_config_static_selectorELNS0_4arch9wavefront6targetE1EEEvSC_: ; @_ZN7rocprim17ROCPRIM_400000_NS6detail17trampoline_kernelINS0_14default_configENS1_35radix_sort_onesweep_config_selectorIdNS0_10empty_typeEEEZNS1_34radix_sort_onesweep_global_offsetsIS3_Lb1EPdPS5_mNS0_19identity_decomposerEEE10hipError_tT1_T2_PT3_SE_jT4_jjP12ihipStream_tbEUlT_E0_NS1_11comp_targetILNS1_3genE10ELNS1_11target_archE1201ELNS1_3gpuE5ELNS1_3repE0EEENS1_52radix_sort_onesweep_histogram_config_static_selectorELNS0_4arch9wavefront6targetE1EEEvSC_
; %bb.0:
	.section	.rodata,"a",@progbits
	.p2align	6, 0x0
	.amdhsa_kernel _ZN7rocprim17ROCPRIM_400000_NS6detail17trampoline_kernelINS0_14default_configENS1_35radix_sort_onesweep_config_selectorIdNS0_10empty_typeEEEZNS1_34radix_sort_onesweep_global_offsetsIS3_Lb1EPdPS5_mNS0_19identity_decomposerEEE10hipError_tT1_T2_PT3_SE_jT4_jjP12ihipStream_tbEUlT_E0_NS1_11comp_targetILNS1_3genE10ELNS1_11target_archE1201ELNS1_3gpuE5ELNS1_3repE0EEENS1_52radix_sort_onesweep_histogram_config_static_selectorELNS0_4arch9wavefront6targetE1EEEvSC_
		.amdhsa_group_segment_fixed_size 0
		.amdhsa_private_segment_fixed_size 0
		.amdhsa_kernarg_size 8
		.amdhsa_user_sgpr_count 6
		.amdhsa_user_sgpr_private_segment_buffer 1
		.amdhsa_user_sgpr_dispatch_ptr 0
		.amdhsa_user_sgpr_queue_ptr 0
		.amdhsa_user_sgpr_kernarg_segment_ptr 1
		.amdhsa_user_sgpr_dispatch_id 0
		.amdhsa_user_sgpr_flat_scratch_init 0
		.amdhsa_user_sgpr_kernarg_preload_length 0
		.amdhsa_user_sgpr_kernarg_preload_offset 0
		.amdhsa_user_sgpr_private_segment_size 0
		.amdhsa_uses_dynamic_stack 0
		.amdhsa_system_sgpr_private_segment_wavefront_offset 0
		.amdhsa_system_sgpr_workgroup_id_x 1
		.amdhsa_system_sgpr_workgroup_id_y 0
		.amdhsa_system_sgpr_workgroup_id_z 0
		.amdhsa_system_sgpr_workgroup_info 0
		.amdhsa_system_vgpr_workitem_id 0
		.amdhsa_next_free_vgpr 1
		.amdhsa_next_free_sgpr 0
		.amdhsa_accum_offset 4
		.amdhsa_reserve_vcc 0
		.amdhsa_reserve_flat_scratch 0
		.amdhsa_float_round_mode_32 0
		.amdhsa_float_round_mode_16_64 0
		.amdhsa_float_denorm_mode_32 3
		.amdhsa_float_denorm_mode_16_64 3
		.amdhsa_dx10_clamp 1
		.amdhsa_ieee_mode 1
		.amdhsa_fp16_overflow 0
		.amdhsa_tg_split 0
		.amdhsa_exception_fp_ieee_invalid_op 0
		.amdhsa_exception_fp_denorm_src 0
		.amdhsa_exception_fp_ieee_div_zero 0
		.amdhsa_exception_fp_ieee_overflow 0
		.amdhsa_exception_fp_ieee_underflow 0
		.amdhsa_exception_fp_ieee_inexact 0
		.amdhsa_exception_int_div_zero 0
	.end_amdhsa_kernel
	.section	.text._ZN7rocprim17ROCPRIM_400000_NS6detail17trampoline_kernelINS0_14default_configENS1_35radix_sort_onesweep_config_selectorIdNS0_10empty_typeEEEZNS1_34radix_sort_onesweep_global_offsetsIS3_Lb1EPdPS5_mNS0_19identity_decomposerEEE10hipError_tT1_T2_PT3_SE_jT4_jjP12ihipStream_tbEUlT_E0_NS1_11comp_targetILNS1_3genE10ELNS1_11target_archE1201ELNS1_3gpuE5ELNS1_3repE0EEENS1_52radix_sort_onesweep_histogram_config_static_selectorELNS0_4arch9wavefront6targetE1EEEvSC_,"axG",@progbits,_ZN7rocprim17ROCPRIM_400000_NS6detail17trampoline_kernelINS0_14default_configENS1_35radix_sort_onesweep_config_selectorIdNS0_10empty_typeEEEZNS1_34radix_sort_onesweep_global_offsetsIS3_Lb1EPdPS5_mNS0_19identity_decomposerEEE10hipError_tT1_T2_PT3_SE_jT4_jjP12ihipStream_tbEUlT_E0_NS1_11comp_targetILNS1_3genE10ELNS1_11target_archE1201ELNS1_3gpuE5ELNS1_3repE0EEENS1_52radix_sort_onesweep_histogram_config_static_selectorELNS0_4arch9wavefront6targetE1EEEvSC_,comdat
.Lfunc_end2612:
	.size	_ZN7rocprim17ROCPRIM_400000_NS6detail17trampoline_kernelINS0_14default_configENS1_35radix_sort_onesweep_config_selectorIdNS0_10empty_typeEEEZNS1_34radix_sort_onesweep_global_offsetsIS3_Lb1EPdPS5_mNS0_19identity_decomposerEEE10hipError_tT1_T2_PT3_SE_jT4_jjP12ihipStream_tbEUlT_E0_NS1_11comp_targetILNS1_3genE10ELNS1_11target_archE1201ELNS1_3gpuE5ELNS1_3repE0EEENS1_52radix_sort_onesweep_histogram_config_static_selectorELNS0_4arch9wavefront6targetE1EEEvSC_, .Lfunc_end2612-_ZN7rocprim17ROCPRIM_400000_NS6detail17trampoline_kernelINS0_14default_configENS1_35radix_sort_onesweep_config_selectorIdNS0_10empty_typeEEEZNS1_34radix_sort_onesweep_global_offsetsIS3_Lb1EPdPS5_mNS0_19identity_decomposerEEE10hipError_tT1_T2_PT3_SE_jT4_jjP12ihipStream_tbEUlT_E0_NS1_11comp_targetILNS1_3genE10ELNS1_11target_archE1201ELNS1_3gpuE5ELNS1_3repE0EEENS1_52radix_sort_onesweep_histogram_config_static_selectorELNS0_4arch9wavefront6targetE1EEEvSC_
                                        ; -- End function
	.section	.AMDGPU.csdata,"",@progbits
; Kernel info:
; codeLenInByte = 0
; NumSgprs: 4
; NumVgprs: 0
; NumAgprs: 0
; TotalNumVgprs: 0
; ScratchSize: 0
; MemoryBound: 0
; FloatMode: 240
; IeeeMode: 1
; LDSByteSize: 0 bytes/workgroup (compile time only)
; SGPRBlocks: 0
; VGPRBlocks: 0
; NumSGPRsForWavesPerEU: 4
; NumVGPRsForWavesPerEU: 1
; AccumOffset: 4
; Occupancy: 8
; WaveLimiterHint : 0
; COMPUTE_PGM_RSRC2:SCRATCH_EN: 0
; COMPUTE_PGM_RSRC2:USER_SGPR: 6
; COMPUTE_PGM_RSRC2:TRAP_HANDLER: 0
; COMPUTE_PGM_RSRC2:TGID_X_EN: 1
; COMPUTE_PGM_RSRC2:TGID_Y_EN: 0
; COMPUTE_PGM_RSRC2:TGID_Z_EN: 0
; COMPUTE_PGM_RSRC2:TIDIG_COMP_CNT: 0
; COMPUTE_PGM_RSRC3_GFX90A:ACCUM_OFFSET: 0
; COMPUTE_PGM_RSRC3_GFX90A:TG_SPLIT: 0
	.section	.text._ZN7rocprim17ROCPRIM_400000_NS6detail17trampoline_kernelINS0_14default_configENS1_35radix_sort_onesweep_config_selectorIdNS0_10empty_typeEEEZNS1_34radix_sort_onesweep_global_offsetsIS3_Lb1EPdPS5_mNS0_19identity_decomposerEEE10hipError_tT1_T2_PT3_SE_jT4_jjP12ihipStream_tbEUlT_E0_NS1_11comp_targetILNS1_3genE9ELNS1_11target_archE1100ELNS1_3gpuE3ELNS1_3repE0EEENS1_52radix_sort_onesweep_histogram_config_static_selectorELNS0_4arch9wavefront6targetE1EEEvSC_,"axG",@progbits,_ZN7rocprim17ROCPRIM_400000_NS6detail17trampoline_kernelINS0_14default_configENS1_35radix_sort_onesweep_config_selectorIdNS0_10empty_typeEEEZNS1_34radix_sort_onesweep_global_offsetsIS3_Lb1EPdPS5_mNS0_19identity_decomposerEEE10hipError_tT1_T2_PT3_SE_jT4_jjP12ihipStream_tbEUlT_E0_NS1_11comp_targetILNS1_3genE9ELNS1_11target_archE1100ELNS1_3gpuE3ELNS1_3repE0EEENS1_52radix_sort_onesweep_histogram_config_static_selectorELNS0_4arch9wavefront6targetE1EEEvSC_,comdat
	.protected	_ZN7rocprim17ROCPRIM_400000_NS6detail17trampoline_kernelINS0_14default_configENS1_35radix_sort_onesweep_config_selectorIdNS0_10empty_typeEEEZNS1_34radix_sort_onesweep_global_offsetsIS3_Lb1EPdPS5_mNS0_19identity_decomposerEEE10hipError_tT1_T2_PT3_SE_jT4_jjP12ihipStream_tbEUlT_E0_NS1_11comp_targetILNS1_3genE9ELNS1_11target_archE1100ELNS1_3gpuE3ELNS1_3repE0EEENS1_52radix_sort_onesweep_histogram_config_static_selectorELNS0_4arch9wavefront6targetE1EEEvSC_ ; -- Begin function _ZN7rocprim17ROCPRIM_400000_NS6detail17trampoline_kernelINS0_14default_configENS1_35radix_sort_onesweep_config_selectorIdNS0_10empty_typeEEEZNS1_34radix_sort_onesweep_global_offsetsIS3_Lb1EPdPS5_mNS0_19identity_decomposerEEE10hipError_tT1_T2_PT3_SE_jT4_jjP12ihipStream_tbEUlT_E0_NS1_11comp_targetILNS1_3genE9ELNS1_11target_archE1100ELNS1_3gpuE3ELNS1_3repE0EEENS1_52radix_sort_onesweep_histogram_config_static_selectorELNS0_4arch9wavefront6targetE1EEEvSC_
	.globl	_ZN7rocprim17ROCPRIM_400000_NS6detail17trampoline_kernelINS0_14default_configENS1_35radix_sort_onesweep_config_selectorIdNS0_10empty_typeEEEZNS1_34radix_sort_onesweep_global_offsetsIS3_Lb1EPdPS5_mNS0_19identity_decomposerEEE10hipError_tT1_T2_PT3_SE_jT4_jjP12ihipStream_tbEUlT_E0_NS1_11comp_targetILNS1_3genE9ELNS1_11target_archE1100ELNS1_3gpuE3ELNS1_3repE0EEENS1_52radix_sort_onesweep_histogram_config_static_selectorELNS0_4arch9wavefront6targetE1EEEvSC_
	.p2align	8
	.type	_ZN7rocprim17ROCPRIM_400000_NS6detail17trampoline_kernelINS0_14default_configENS1_35radix_sort_onesweep_config_selectorIdNS0_10empty_typeEEEZNS1_34radix_sort_onesweep_global_offsetsIS3_Lb1EPdPS5_mNS0_19identity_decomposerEEE10hipError_tT1_T2_PT3_SE_jT4_jjP12ihipStream_tbEUlT_E0_NS1_11comp_targetILNS1_3genE9ELNS1_11target_archE1100ELNS1_3gpuE3ELNS1_3repE0EEENS1_52radix_sort_onesweep_histogram_config_static_selectorELNS0_4arch9wavefront6targetE1EEEvSC_,@function
_ZN7rocprim17ROCPRIM_400000_NS6detail17trampoline_kernelINS0_14default_configENS1_35radix_sort_onesweep_config_selectorIdNS0_10empty_typeEEEZNS1_34radix_sort_onesweep_global_offsetsIS3_Lb1EPdPS5_mNS0_19identity_decomposerEEE10hipError_tT1_T2_PT3_SE_jT4_jjP12ihipStream_tbEUlT_E0_NS1_11comp_targetILNS1_3genE9ELNS1_11target_archE1100ELNS1_3gpuE3ELNS1_3repE0EEENS1_52radix_sort_onesweep_histogram_config_static_selectorELNS0_4arch9wavefront6targetE1EEEvSC_: ; @_ZN7rocprim17ROCPRIM_400000_NS6detail17trampoline_kernelINS0_14default_configENS1_35radix_sort_onesweep_config_selectorIdNS0_10empty_typeEEEZNS1_34radix_sort_onesweep_global_offsetsIS3_Lb1EPdPS5_mNS0_19identity_decomposerEEE10hipError_tT1_T2_PT3_SE_jT4_jjP12ihipStream_tbEUlT_E0_NS1_11comp_targetILNS1_3genE9ELNS1_11target_archE1100ELNS1_3gpuE3ELNS1_3repE0EEENS1_52radix_sort_onesweep_histogram_config_static_selectorELNS0_4arch9wavefront6targetE1EEEvSC_
; %bb.0:
	.section	.rodata,"a",@progbits
	.p2align	6, 0x0
	.amdhsa_kernel _ZN7rocprim17ROCPRIM_400000_NS6detail17trampoline_kernelINS0_14default_configENS1_35radix_sort_onesweep_config_selectorIdNS0_10empty_typeEEEZNS1_34radix_sort_onesweep_global_offsetsIS3_Lb1EPdPS5_mNS0_19identity_decomposerEEE10hipError_tT1_T2_PT3_SE_jT4_jjP12ihipStream_tbEUlT_E0_NS1_11comp_targetILNS1_3genE9ELNS1_11target_archE1100ELNS1_3gpuE3ELNS1_3repE0EEENS1_52radix_sort_onesweep_histogram_config_static_selectorELNS0_4arch9wavefront6targetE1EEEvSC_
		.amdhsa_group_segment_fixed_size 0
		.amdhsa_private_segment_fixed_size 0
		.amdhsa_kernarg_size 8
		.amdhsa_user_sgpr_count 6
		.amdhsa_user_sgpr_private_segment_buffer 1
		.amdhsa_user_sgpr_dispatch_ptr 0
		.amdhsa_user_sgpr_queue_ptr 0
		.amdhsa_user_sgpr_kernarg_segment_ptr 1
		.amdhsa_user_sgpr_dispatch_id 0
		.amdhsa_user_sgpr_flat_scratch_init 0
		.amdhsa_user_sgpr_kernarg_preload_length 0
		.amdhsa_user_sgpr_kernarg_preload_offset 0
		.amdhsa_user_sgpr_private_segment_size 0
		.amdhsa_uses_dynamic_stack 0
		.amdhsa_system_sgpr_private_segment_wavefront_offset 0
		.amdhsa_system_sgpr_workgroup_id_x 1
		.amdhsa_system_sgpr_workgroup_id_y 0
		.amdhsa_system_sgpr_workgroup_id_z 0
		.amdhsa_system_sgpr_workgroup_info 0
		.amdhsa_system_vgpr_workitem_id 0
		.amdhsa_next_free_vgpr 1
		.amdhsa_next_free_sgpr 0
		.amdhsa_accum_offset 4
		.amdhsa_reserve_vcc 0
		.amdhsa_reserve_flat_scratch 0
		.amdhsa_float_round_mode_32 0
		.amdhsa_float_round_mode_16_64 0
		.amdhsa_float_denorm_mode_32 3
		.amdhsa_float_denorm_mode_16_64 3
		.amdhsa_dx10_clamp 1
		.amdhsa_ieee_mode 1
		.amdhsa_fp16_overflow 0
		.amdhsa_tg_split 0
		.amdhsa_exception_fp_ieee_invalid_op 0
		.amdhsa_exception_fp_denorm_src 0
		.amdhsa_exception_fp_ieee_div_zero 0
		.amdhsa_exception_fp_ieee_overflow 0
		.amdhsa_exception_fp_ieee_underflow 0
		.amdhsa_exception_fp_ieee_inexact 0
		.amdhsa_exception_int_div_zero 0
	.end_amdhsa_kernel
	.section	.text._ZN7rocprim17ROCPRIM_400000_NS6detail17trampoline_kernelINS0_14default_configENS1_35radix_sort_onesweep_config_selectorIdNS0_10empty_typeEEEZNS1_34radix_sort_onesweep_global_offsetsIS3_Lb1EPdPS5_mNS0_19identity_decomposerEEE10hipError_tT1_T2_PT3_SE_jT4_jjP12ihipStream_tbEUlT_E0_NS1_11comp_targetILNS1_3genE9ELNS1_11target_archE1100ELNS1_3gpuE3ELNS1_3repE0EEENS1_52radix_sort_onesweep_histogram_config_static_selectorELNS0_4arch9wavefront6targetE1EEEvSC_,"axG",@progbits,_ZN7rocprim17ROCPRIM_400000_NS6detail17trampoline_kernelINS0_14default_configENS1_35radix_sort_onesweep_config_selectorIdNS0_10empty_typeEEEZNS1_34radix_sort_onesweep_global_offsetsIS3_Lb1EPdPS5_mNS0_19identity_decomposerEEE10hipError_tT1_T2_PT3_SE_jT4_jjP12ihipStream_tbEUlT_E0_NS1_11comp_targetILNS1_3genE9ELNS1_11target_archE1100ELNS1_3gpuE3ELNS1_3repE0EEENS1_52radix_sort_onesweep_histogram_config_static_selectorELNS0_4arch9wavefront6targetE1EEEvSC_,comdat
.Lfunc_end2613:
	.size	_ZN7rocprim17ROCPRIM_400000_NS6detail17trampoline_kernelINS0_14default_configENS1_35radix_sort_onesweep_config_selectorIdNS0_10empty_typeEEEZNS1_34radix_sort_onesweep_global_offsetsIS3_Lb1EPdPS5_mNS0_19identity_decomposerEEE10hipError_tT1_T2_PT3_SE_jT4_jjP12ihipStream_tbEUlT_E0_NS1_11comp_targetILNS1_3genE9ELNS1_11target_archE1100ELNS1_3gpuE3ELNS1_3repE0EEENS1_52radix_sort_onesweep_histogram_config_static_selectorELNS0_4arch9wavefront6targetE1EEEvSC_, .Lfunc_end2613-_ZN7rocprim17ROCPRIM_400000_NS6detail17trampoline_kernelINS0_14default_configENS1_35radix_sort_onesweep_config_selectorIdNS0_10empty_typeEEEZNS1_34radix_sort_onesweep_global_offsetsIS3_Lb1EPdPS5_mNS0_19identity_decomposerEEE10hipError_tT1_T2_PT3_SE_jT4_jjP12ihipStream_tbEUlT_E0_NS1_11comp_targetILNS1_3genE9ELNS1_11target_archE1100ELNS1_3gpuE3ELNS1_3repE0EEENS1_52radix_sort_onesweep_histogram_config_static_selectorELNS0_4arch9wavefront6targetE1EEEvSC_
                                        ; -- End function
	.section	.AMDGPU.csdata,"",@progbits
; Kernel info:
; codeLenInByte = 0
; NumSgprs: 4
; NumVgprs: 0
; NumAgprs: 0
; TotalNumVgprs: 0
; ScratchSize: 0
; MemoryBound: 0
; FloatMode: 240
; IeeeMode: 1
; LDSByteSize: 0 bytes/workgroup (compile time only)
; SGPRBlocks: 0
; VGPRBlocks: 0
; NumSGPRsForWavesPerEU: 4
; NumVGPRsForWavesPerEU: 1
; AccumOffset: 4
; Occupancy: 8
; WaveLimiterHint : 0
; COMPUTE_PGM_RSRC2:SCRATCH_EN: 0
; COMPUTE_PGM_RSRC2:USER_SGPR: 6
; COMPUTE_PGM_RSRC2:TRAP_HANDLER: 0
; COMPUTE_PGM_RSRC2:TGID_X_EN: 1
; COMPUTE_PGM_RSRC2:TGID_Y_EN: 0
; COMPUTE_PGM_RSRC2:TGID_Z_EN: 0
; COMPUTE_PGM_RSRC2:TIDIG_COMP_CNT: 0
; COMPUTE_PGM_RSRC3_GFX90A:ACCUM_OFFSET: 0
; COMPUTE_PGM_RSRC3_GFX90A:TG_SPLIT: 0
	.section	.text._ZN7rocprim17ROCPRIM_400000_NS6detail17trampoline_kernelINS0_14default_configENS1_35radix_sort_onesweep_config_selectorIdNS0_10empty_typeEEEZNS1_34radix_sort_onesweep_global_offsetsIS3_Lb1EPdPS5_mNS0_19identity_decomposerEEE10hipError_tT1_T2_PT3_SE_jT4_jjP12ihipStream_tbEUlT_E0_NS1_11comp_targetILNS1_3genE8ELNS1_11target_archE1030ELNS1_3gpuE2ELNS1_3repE0EEENS1_52radix_sort_onesweep_histogram_config_static_selectorELNS0_4arch9wavefront6targetE1EEEvSC_,"axG",@progbits,_ZN7rocprim17ROCPRIM_400000_NS6detail17trampoline_kernelINS0_14default_configENS1_35radix_sort_onesweep_config_selectorIdNS0_10empty_typeEEEZNS1_34radix_sort_onesweep_global_offsetsIS3_Lb1EPdPS5_mNS0_19identity_decomposerEEE10hipError_tT1_T2_PT3_SE_jT4_jjP12ihipStream_tbEUlT_E0_NS1_11comp_targetILNS1_3genE8ELNS1_11target_archE1030ELNS1_3gpuE2ELNS1_3repE0EEENS1_52radix_sort_onesweep_histogram_config_static_selectorELNS0_4arch9wavefront6targetE1EEEvSC_,comdat
	.protected	_ZN7rocprim17ROCPRIM_400000_NS6detail17trampoline_kernelINS0_14default_configENS1_35radix_sort_onesweep_config_selectorIdNS0_10empty_typeEEEZNS1_34radix_sort_onesweep_global_offsetsIS3_Lb1EPdPS5_mNS0_19identity_decomposerEEE10hipError_tT1_T2_PT3_SE_jT4_jjP12ihipStream_tbEUlT_E0_NS1_11comp_targetILNS1_3genE8ELNS1_11target_archE1030ELNS1_3gpuE2ELNS1_3repE0EEENS1_52radix_sort_onesweep_histogram_config_static_selectorELNS0_4arch9wavefront6targetE1EEEvSC_ ; -- Begin function _ZN7rocprim17ROCPRIM_400000_NS6detail17trampoline_kernelINS0_14default_configENS1_35radix_sort_onesweep_config_selectorIdNS0_10empty_typeEEEZNS1_34radix_sort_onesweep_global_offsetsIS3_Lb1EPdPS5_mNS0_19identity_decomposerEEE10hipError_tT1_T2_PT3_SE_jT4_jjP12ihipStream_tbEUlT_E0_NS1_11comp_targetILNS1_3genE8ELNS1_11target_archE1030ELNS1_3gpuE2ELNS1_3repE0EEENS1_52radix_sort_onesweep_histogram_config_static_selectorELNS0_4arch9wavefront6targetE1EEEvSC_
	.globl	_ZN7rocprim17ROCPRIM_400000_NS6detail17trampoline_kernelINS0_14default_configENS1_35radix_sort_onesweep_config_selectorIdNS0_10empty_typeEEEZNS1_34radix_sort_onesweep_global_offsetsIS3_Lb1EPdPS5_mNS0_19identity_decomposerEEE10hipError_tT1_T2_PT3_SE_jT4_jjP12ihipStream_tbEUlT_E0_NS1_11comp_targetILNS1_3genE8ELNS1_11target_archE1030ELNS1_3gpuE2ELNS1_3repE0EEENS1_52radix_sort_onesweep_histogram_config_static_selectorELNS0_4arch9wavefront6targetE1EEEvSC_
	.p2align	8
	.type	_ZN7rocprim17ROCPRIM_400000_NS6detail17trampoline_kernelINS0_14default_configENS1_35radix_sort_onesweep_config_selectorIdNS0_10empty_typeEEEZNS1_34radix_sort_onesweep_global_offsetsIS3_Lb1EPdPS5_mNS0_19identity_decomposerEEE10hipError_tT1_T2_PT3_SE_jT4_jjP12ihipStream_tbEUlT_E0_NS1_11comp_targetILNS1_3genE8ELNS1_11target_archE1030ELNS1_3gpuE2ELNS1_3repE0EEENS1_52radix_sort_onesweep_histogram_config_static_selectorELNS0_4arch9wavefront6targetE1EEEvSC_,@function
_ZN7rocprim17ROCPRIM_400000_NS6detail17trampoline_kernelINS0_14default_configENS1_35radix_sort_onesweep_config_selectorIdNS0_10empty_typeEEEZNS1_34radix_sort_onesweep_global_offsetsIS3_Lb1EPdPS5_mNS0_19identity_decomposerEEE10hipError_tT1_T2_PT3_SE_jT4_jjP12ihipStream_tbEUlT_E0_NS1_11comp_targetILNS1_3genE8ELNS1_11target_archE1030ELNS1_3gpuE2ELNS1_3repE0EEENS1_52radix_sort_onesweep_histogram_config_static_selectorELNS0_4arch9wavefront6targetE1EEEvSC_: ; @_ZN7rocprim17ROCPRIM_400000_NS6detail17trampoline_kernelINS0_14default_configENS1_35radix_sort_onesweep_config_selectorIdNS0_10empty_typeEEEZNS1_34radix_sort_onesweep_global_offsetsIS3_Lb1EPdPS5_mNS0_19identity_decomposerEEE10hipError_tT1_T2_PT3_SE_jT4_jjP12ihipStream_tbEUlT_E0_NS1_11comp_targetILNS1_3genE8ELNS1_11target_archE1030ELNS1_3gpuE2ELNS1_3repE0EEENS1_52radix_sort_onesweep_histogram_config_static_selectorELNS0_4arch9wavefront6targetE1EEEvSC_
; %bb.0:
	.section	.rodata,"a",@progbits
	.p2align	6, 0x0
	.amdhsa_kernel _ZN7rocprim17ROCPRIM_400000_NS6detail17trampoline_kernelINS0_14default_configENS1_35radix_sort_onesweep_config_selectorIdNS0_10empty_typeEEEZNS1_34radix_sort_onesweep_global_offsetsIS3_Lb1EPdPS5_mNS0_19identity_decomposerEEE10hipError_tT1_T2_PT3_SE_jT4_jjP12ihipStream_tbEUlT_E0_NS1_11comp_targetILNS1_3genE8ELNS1_11target_archE1030ELNS1_3gpuE2ELNS1_3repE0EEENS1_52radix_sort_onesweep_histogram_config_static_selectorELNS0_4arch9wavefront6targetE1EEEvSC_
		.amdhsa_group_segment_fixed_size 0
		.amdhsa_private_segment_fixed_size 0
		.amdhsa_kernarg_size 8
		.amdhsa_user_sgpr_count 6
		.amdhsa_user_sgpr_private_segment_buffer 1
		.amdhsa_user_sgpr_dispatch_ptr 0
		.amdhsa_user_sgpr_queue_ptr 0
		.amdhsa_user_sgpr_kernarg_segment_ptr 1
		.amdhsa_user_sgpr_dispatch_id 0
		.amdhsa_user_sgpr_flat_scratch_init 0
		.amdhsa_user_sgpr_kernarg_preload_length 0
		.amdhsa_user_sgpr_kernarg_preload_offset 0
		.amdhsa_user_sgpr_private_segment_size 0
		.amdhsa_uses_dynamic_stack 0
		.amdhsa_system_sgpr_private_segment_wavefront_offset 0
		.amdhsa_system_sgpr_workgroup_id_x 1
		.amdhsa_system_sgpr_workgroup_id_y 0
		.amdhsa_system_sgpr_workgroup_id_z 0
		.amdhsa_system_sgpr_workgroup_info 0
		.amdhsa_system_vgpr_workitem_id 0
		.amdhsa_next_free_vgpr 1
		.amdhsa_next_free_sgpr 0
		.amdhsa_accum_offset 4
		.amdhsa_reserve_vcc 0
		.amdhsa_reserve_flat_scratch 0
		.amdhsa_float_round_mode_32 0
		.amdhsa_float_round_mode_16_64 0
		.amdhsa_float_denorm_mode_32 3
		.amdhsa_float_denorm_mode_16_64 3
		.amdhsa_dx10_clamp 1
		.amdhsa_ieee_mode 1
		.amdhsa_fp16_overflow 0
		.amdhsa_tg_split 0
		.amdhsa_exception_fp_ieee_invalid_op 0
		.amdhsa_exception_fp_denorm_src 0
		.amdhsa_exception_fp_ieee_div_zero 0
		.amdhsa_exception_fp_ieee_overflow 0
		.amdhsa_exception_fp_ieee_underflow 0
		.amdhsa_exception_fp_ieee_inexact 0
		.amdhsa_exception_int_div_zero 0
	.end_amdhsa_kernel
	.section	.text._ZN7rocprim17ROCPRIM_400000_NS6detail17trampoline_kernelINS0_14default_configENS1_35radix_sort_onesweep_config_selectorIdNS0_10empty_typeEEEZNS1_34radix_sort_onesweep_global_offsetsIS3_Lb1EPdPS5_mNS0_19identity_decomposerEEE10hipError_tT1_T2_PT3_SE_jT4_jjP12ihipStream_tbEUlT_E0_NS1_11comp_targetILNS1_3genE8ELNS1_11target_archE1030ELNS1_3gpuE2ELNS1_3repE0EEENS1_52radix_sort_onesweep_histogram_config_static_selectorELNS0_4arch9wavefront6targetE1EEEvSC_,"axG",@progbits,_ZN7rocprim17ROCPRIM_400000_NS6detail17trampoline_kernelINS0_14default_configENS1_35radix_sort_onesweep_config_selectorIdNS0_10empty_typeEEEZNS1_34radix_sort_onesweep_global_offsetsIS3_Lb1EPdPS5_mNS0_19identity_decomposerEEE10hipError_tT1_T2_PT3_SE_jT4_jjP12ihipStream_tbEUlT_E0_NS1_11comp_targetILNS1_3genE8ELNS1_11target_archE1030ELNS1_3gpuE2ELNS1_3repE0EEENS1_52radix_sort_onesweep_histogram_config_static_selectorELNS0_4arch9wavefront6targetE1EEEvSC_,comdat
.Lfunc_end2614:
	.size	_ZN7rocprim17ROCPRIM_400000_NS6detail17trampoline_kernelINS0_14default_configENS1_35radix_sort_onesweep_config_selectorIdNS0_10empty_typeEEEZNS1_34radix_sort_onesweep_global_offsetsIS3_Lb1EPdPS5_mNS0_19identity_decomposerEEE10hipError_tT1_T2_PT3_SE_jT4_jjP12ihipStream_tbEUlT_E0_NS1_11comp_targetILNS1_3genE8ELNS1_11target_archE1030ELNS1_3gpuE2ELNS1_3repE0EEENS1_52radix_sort_onesweep_histogram_config_static_selectorELNS0_4arch9wavefront6targetE1EEEvSC_, .Lfunc_end2614-_ZN7rocprim17ROCPRIM_400000_NS6detail17trampoline_kernelINS0_14default_configENS1_35radix_sort_onesweep_config_selectorIdNS0_10empty_typeEEEZNS1_34radix_sort_onesweep_global_offsetsIS3_Lb1EPdPS5_mNS0_19identity_decomposerEEE10hipError_tT1_T2_PT3_SE_jT4_jjP12ihipStream_tbEUlT_E0_NS1_11comp_targetILNS1_3genE8ELNS1_11target_archE1030ELNS1_3gpuE2ELNS1_3repE0EEENS1_52radix_sort_onesweep_histogram_config_static_selectorELNS0_4arch9wavefront6targetE1EEEvSC_
                                        ; -- End function
	.section	.AMDGPU.csdata,"",@progbits
; Kernel info:
; codeLenInByte = 0
; NumSgprs: 4
; NumVgprs: 0
; NumAgprs: 0
; TotalNumVgprs: 0
; ScratchSize: 0
; MemoryBound: 0
; FloatMode: 240
; IeeeMode: 1
; LDSByteSize: 0 bytes/workgroup (compile time only)
; SGPRBlocks: 0
; VGPRBlocks: 0
; NumSGPRsForWavesPerEU: 4
; NumVGPRsForWavesPerEU: 1
; AccumOffset: 4
; Occupancy: 8
; WaveLimiterHint : 0
; COMPUTE_PGM_RSRC2:SCRATCH_EN: 0
; COMPUTE_PGM_RSRC2:USER_SGPR: 6
; COMPUTE_PGM_RSRC2:TRAP_HANDLER: 0
; COMPUTE_PGM_RSRC2:TGID_X_EN: 1
; COMPUTE_PGM_RSRC2:TGID_Y_EN: 0
; COMPUTE_PGM_RSRC2:TGID_Z_EN: 0
; COMPUTE_PGM_RSRC2:TIDIG_COMP_CNT: 0
; COMPUTE_PGM_RSRC3_GFX90A:ACCUM_OFFSET: 0
; COMPUTE_PGM_RSRC3_GFX90A:TG_SPLIT: 0
	.section	.text._ZN7rocprim17ROCPRIM_400000_NS6detail17trampoline_kernelINS0_14default_configENS1_35radix_sort_onesweep_config_selectorIdNS0_10empty_typeEEEZZNS1_29radix_sort_onesweep_iterationIS3_Lb1EPdS8_PS5_S9_mNS0_19identity_decomposerENS1_16block_id_wrapperIjLb1EEEEE10hipError_tT1_PNSt15iterator_traitsISE_E10value_typeET2_T3_PNSF_ISK_E10value_typeET4_T5_PSP_SQ_PNS1_23onesweep_lookback_stateEbbT6_jjT7_P12ihipStream_tbENKUlT_T0_SE_SJ_E_clIS8_S8_S9_S9_EEDaSX_SY_SE_SJ_EUlSX_E_NS1_11comp_targetILNS1_3genE0ELNS1_11target_archE4294967295ELNS1_3gpuE0ELNS1_3repE0EEENS1_47radix_sort_onesweep_sort_config_static_selectorELNS0_4arch9wavefront6targetE1EEEvSE_,"axG",@progbits,_ZN7rocprim17ROCPRIM_400000_NS6detail17trampoline_kernelINS0_14default_configENS1_35radix_sort_onesweep_config_selectorIdNS0_10empty_typeEEEZZNS1_29radix_sort_onesweep_iterationIS3_Lb1EPdS8_PS5_S9_mNS0_19identity_decomposerENS1_16block_id_wrapperIjLb1EEEEE10hipError_tT1_PNSt15iterator_traitsISE_E10value_typeET2_T3_PNSF_ISK_E10value_typeET4_T5_PSP_SQ_PNS1_23onesweep_lookback_stateEbbT6_jjT7_P12ihipStream_tbENKUlT_T0_SE_SJ_E_clIS8_S8_S9_S9_EEDaSX_SY_SE_SJ_EUlSX_E_NS1_11comp_targetILNS1_3genE0ELNS1_11target_archE4294967295ELNS1_3gpuE0ELNS1_3repE0EEENS1_47radix_sort_onesweep_sort_config_static_selectorELNS0_4arch9wavefront6targetE1EEEvSE_,comdat
	.protected	_ZN7rocprim17ROCPRIM_400000_NS6detail17trampoline_kernelINS0_14default_configENS1_35radix_sort_onesweep_config_selectorIdNS0_10empty_typeEEEZZNS1_29radix_sort_onesweep_iterationIS3_Lb1EPdS8_PS5_S9_mNS0_19identity_decomposerENS1_16block_id_wrapperIjLb1EEEEE10hipError_tT1_PNSt15iterator_traitsISE_E10value_typeET2_T3_PNSF_ISK_E10value_typeET4_T5_PSP_SQ_PNS1_23onesweep_lookback_stateEbbT6_jjT7_P12ihipStream_tbENKUlT_T0_SE_SJ_E_clIS8_S8_S9_S9_EEDaSX_SY_SE_SJ_EUlSX_E_NS1_11comp_targetILNS1_3genE0ELNS1_11target_archE4294967295ELNS1_3gpuE0ELNS1_3repE0EEENS1_47radix_sort_onesweep_sort_config_static_selectorELNS0_4arch9wavefront6targetE1EEEvSE_ ; -- Begin function _ZN7rocprim17ROCPRIM_400000_NS6detail17trampoline_kernelINS0_14default_configENS1_35radix_sort_onesweep_config_selectorIdNS0_10empty_typeEEEZZNS1_29radix_sort_onesweep_iterationIS3_Lb1EPdS8_PS5_S9_mNS0_19identity_decomposerENS1_16block_id_wrapperIjLb1EEEEE10hipError_tT1_PNSt15iterator_traitsISE_E10value_typeET2_T3_PNSF_ISK_E10value_typeET4_T5_PSP_SQ_PNS1_23onesweep_lookback_stateEbbT6_jjT7_P12ihipStream_tbENKUlT_T0_SE_SJ_E_clIS8_S8_S9_S9_EEDaSX_SY_SE_SJ_EUlSX_E_NS1_11comp_targetILNS1_3genE0ELNS1_11target_archE4294967295ELNS1_3gpuE0ELNS1_3repE0EEENS1_47radix_sort_onesweep_sort_config_static_selectorELNS0_4arch9wavefront6targetE1EEEvSE_
	.globl	_ZN7rocprim17ROCPRIM_400000_NS6detail17trampoline_kernelINS0_14default_configENS1_35radix_sort_onesweep_config_selectorIdNS0_10empty_typeEEEZZNS1_29radix_sort_onesweep_iterationIS3_Lb1EPdS8_PS5_S9_mNS0_19identity_decomposerENS1_16block_id_wrapperIjLb1EEEEE10hipError_tT1_PNSt15iterator_traitsISE_E10value_typeET2_T3_PNSF_ISK_E10value_typeET4_T5_PSP_SQ_PNS1_23onesweep_lookback_stateEbbT6_jjT7_P12ihipStream_tbENKUlT_T0_SE_SJ_E_clIS8_S8_S9_S9_EEDaSX_SY_SE_SJ_EUlSX_E_NS1_11comp_targetILNS1_3genE0ELNS1_11target_archE4294967295ELNS1_3gpuE0ELNS1_3repE0EEENS1_47radix_sort_onesweep_sort_config_static_selectorELNS0_4arch9wavefront6targetE1EEEvSE_
	.p2align	8
	.type	_ZN7rocprim17ROCPRIM_400000_NS6detail17trampoline_kernelINS0_14default_configENS1_35radix_sort_onesweep_config_selectorIdNS0_10empty_typeEEEZZNS1_29radix_sort_onesweep_iterationIS3_Lb1EPdS8_PS5_S9_mNS0_19identity_decomposerENS1_16block_id_wrapperIjLb1EEEEE10hipError_tT1_PNSt15iterator_traitsISE_E10value_typeET2_T3_PNSF_ISK_E10value_typeET4_T5_PSP_SQ_PNS1_23onesweep_lookback_stateEbbT6_jjT7_P12ihipStream_tbENKUlT_T0_SE_SJ_E_clIS8_S8_S9_S9_EEDaSX_SY_SE_SJ_EUlSX_E_NS1_11comp_targetILNS1_3genE0ELNS1_11target_archE4294967295ELNS1_3gpuE0ELNS1_3repE0EEENS1_47radix_sort_onesweep_sort_config_static_selectorELNS0_4arch9wavefront6targetE1EEEvSE_,@function
_ZN7rocprim17ROCPRIM_400000_NS6detail17trampoline_kernelINS0_14default_configENS1_35radix_sort_onesweep_config_selectorIdNS0_10empty_typeEEEZZNS1_29radix_sort_onesweep_iterationIS3_Lb1EPdS8_PS5_S9_mNS0_19identity_decomposerENS1_16block_id_wrapperIjLb1EEEEE10hipError_tT1_PNSt15iterator_traitsISE_E10value_typeET2_T3_PNSF_ISK_E10value_typeET4_T5_PSP_SQ_PNS1_23onesweep_lookback_stateEbbT6_jjT7_P12ihipStream_tbENKUlT_T0_SE_SJ_E_clIS8_S8_S9_S9_EEDaSX_SY_SE_SJ_EUlSX_E_NS1_11comp_targetILNS1_3genE0ELNS1_11target_archE4294967295ELNS1_3gpuE0ELNS1_3repE0EEENS1_47radix_sort_onesweep_sort_config_static_selectorELNS0_4arch9wavefront6targetE1EEEvSE_: ; @_ZN7rocprim17ROCPRIM_400000_NS6detail17trampoline_kernelINS0_14default_configENS1_35radix_sort_onesweep_config_selectorIdNS0_10empty_typeEEEZZNS1_29radix_sort_onesweep_iterationIS3_Lb1EPdS8_PS5_S9_mNS0_19identity_decomposerENS1_16block_id_wrapperIjLb1EEEEE10hipError_tT1_PNSt15iterator_traitsISE_E10value_typeET2_T3_PNSF_ISK_E10value_typeET4_T5_PSP_SQ_PNS1_23onesweep_lookback_stateEbbT6_jjT7_P12ihipStream_tbENKUlT_T0_SE_SJ_E_clIS8_S8_S9_S9_EEDaSX_SY_SE_SJ_EUlSX_E_NS1_11comp_targetILNS1_3genE0ELNS1_11target_archE4294967295ELNS1_3gpuE0ELNS1_3repE0EEENS1_47radix_sort_onesweep_sort_config_static_selectorELNS0_4arch9wavefront6targetE1EEEvSE_
; %bb.0:
	.section	.rodata,"a",@progbits
	.p2align	6, 0x0
	.amdhsa_kernel _ZN7rocprim17ROCPRIM_400000_NS6detail17trampoline_kernelINS0_14default_configENS1_35radix_sort_onesweep_config_selectorIdNS0_10empty_typeEEEZZNS1_29radix_sort_onesweep_iterationIS3_Lb1EPdS8_PS5_S9_mNS0_19identity_decomposerENS1_16block_id_wrapperIjLb1EEEEE10hipError_tT1_PNSt15iterator_traitsISE_E10value_typeET2_T3_PNSF_ISK_E10value_typeET4_T5_PSP_SQ_PNS1_23onesweep_lookback_stateEbbT6_jjT7_P12ihipStream_tbENKUlT_T0_SE_SJ_E_clIS8_S8_S9_S9_EEDaSX_SY_SE_SJ_EUlSX_E_NS1_11comp_targetILNS1_3genE0ELNS1_11target_archE4294967295ELNS1_3gpuE0ELNS1_3repE0EEENS1_47radix_sort_onesweep_sort_config_static_selectorELNS0_4arch9wavefront6targetE1EEEvSE_
		.amdhsa_group_segment_fixed_size 0
		.amdhsa_private_segment_fixed_size 0
		.amdhsa_kernarg_size 88
		.amdhsa_user_sgpr_count 6
		.amdhsa_user_sgpr_private_segment_buffer 1
		.amdhsa_user_sgpr_dispatch_ptr 0
		.amdhsa_user_sgpr_queue_ptr 0
		.amdhsa_user_sgpr_kernarg_segment_ptr 1
		.amdhsa_user_sgpr_dispatch_id 0
		.amdhsa_user_sgpr_flat_scratch_init 0
		.amdhsa_user_sgpr_kernarg_preload_length 0
		.amdhsa_user_sgpr_kernarg_preload_offset 0
		.amdhsa_user_sgpr_private_segment_size 0
		.amdhsa_uses_dynamic_stack 0
		.amdhsa_system_sgpr_private_segment_wavefront_offset 0
		.amdhsa_system_sgpr_workgroup_id_x 1
		.amdhsa_system_sgpr_workgroup_id_y 0
		.amdhsa_system_sgpr_workgroup_id_z 0
		.amdhsa_system_sgpr_workgroup_info 0
		.amdhsa_system_vgpr_workitem_id 0
		.amdhsa_next_free_vgpr 1
		.amdhsa_next_free_sgpr 0
		.amdhsa_accum_offset 4
		.amdhsa_reserve_vcc 0
		.amdhsa_reserve_flat_scratch 0
		.amdhsa_float_round_mode_32 0
		.amdhsa_float_round_mode_16_64 0
		.amdhsa_float_denorm_mode_32 3
		.amdhsa_float_denorm_mode_16_64 3
		.amdhsa_dx10_clamp 1
		.amdhsa_ieee_mode 1
		.amdhsa_fp16_overflow 0
		.amdhsa_tg_split 0
		.amdhsa_exception_fp_ieee_invalid_op 0
		.amdhsa_exception_fp_denorm_src 0
		.amdhsa_exception_fp_ieee_div_zero 0
		.amdhsa_exception_fp_ieee_overflow 0
		.amdhsa_exception_fp_ieee_underflow 0
		.amdhsa_exception_fp_ieee_inexact 0
		.amdhsa_exception_int_div_zero 0
	.end_amdhsa_kernel
	.section	.text._ZN7rocprim17ROCPRIM_400000_NS6detail17trampoline_kernelINS0_14default_configENS1_35radix_sort_onesweep_config_selectorIdNS0_10empty_typeEEEZZNS1_29radix_sort_onesweep_iterationIS3_Lb1EPdS8_PS5_S9_mNS0_19identity_decomposerENS1_16block_id_wrapperIjLb1EEEEE10hipError_tT1_PNSt15iterator_traitsISE_E10value_typeET2_T3_PNSF_ISK_E10value_typeET4_T5_PSP_SQ_PNS1_23onesweep_lookback_stateEbbT6_jjT7_P12ihipStream_tbENKUlT_T0_SE_SJ_E_clIS8_S8_S9_S9_EEDaSX_SY_SE_SJ_EUlSX_E_NS1_11comp_targetILNS1_3genE0ELNS1_11target_archE4294967295ELNS1_3gpuE0ELNS1_3repE0EEENS1_47radix_sort_onesweep_sort_config_static_selectorELNS0_4arch9wavefront6targetE1EEEvSE_,"axG",@progbits,_ZN7rocprim17ROCPRIM_400000_NS6detail17trampoline_kernelINS0_14default_configENS1_35radix_sort_onesweep_config_selectorIdNS0_10empty_typeEEEZZNS1_29radix_sort_onesweep_iterationIS3_Lb1EPdS8_PS5_S9_mNS0_19identity_decomposerENS1_16block_id_wrapperIjLb1EEEEE10hipError_tT1_PNSt15iterator_traitsISE_E10value_typeET2_T3_PNSF_ISK_E10value_typeET4_T5_PSP_SQ_PNS1_23onesweep_lookback_stateEbbT6_jjT7_P12ihipStream_tbENKUlT_T0_SE_SJ_E_clIS8_S8_S9_S9_EEDaSX_SY_SE_SJ_EUlSX_E_NS1_11comp_targetILNS1_3genE0ELNS1_11target_archE4294967295ELNS1_3gpuE0ELNS1_3repE0EEENS1_47radix_sort_onesweep_sort_config_static_selectorELNS0_4arch9wavefront6targetE1EEEvSE_,comdat
.Lfunc_end2615:
	.size	_ZN7rocprim17ROCPRIM_400000_NS6detail17trampoline_kernelINS0_14default_configENS1_35radix_sort_onesweep_config_selectorIdNS0_10empty_typeEEEZZNS1_29radix_sort_onesweep_iterationIS3_Lb1EPdS8_PS5_S9_mNS0_19identity_decomposerENS1_16block_id_wrapperIjLb1EEEEE10hipError_tT1_PNSt15iterator_traitsISE_E10value_typeET2_T3_PNSF_ISK_E10value_typeET4_T5_PSP_SQ_PNS1_23onesweep_lookback_stateEbbT6_jjT7_P12ihipStream_tbENKUlT_T0_SE_SJ_E_clIS8_S8_S9_S9_EEDaSX_SY_SE_SJ_EUlSX_E_NS1_11comp_targetILNS1_3genE0ELNS1_11target_archE4294967295ELNS1_3gpuE0ELNS1_3repE0EEENS1_47radix_sort_onesweep_sort_config_static_selectorELNS0_4arch9wavefront6targetE1EEEvSE_, .Lfunc_end2615-_ZN7rocprim17ROCPRIM_400000_NS6detail17trampoline_kernelINS0_14default_configENS1_35radix_sort_onesweep_config_selectorIdNS0_10empty_typeEEEZZNS1_29radix_sort_onesweep_iterationIS3_Lb1EPdS8_PS5_S9_mNS0_19identity_decomposerENS1_16block_id_wrapperIjLb1EEEEE10hipError_tT1_PNSt15iterator_traitsISE_E10value_typeET2_T3_PNSF_ISK_E10value_typeET4_T5_PSP_SQ_PNS1_23onesweep_lookback_stateEbbT6_jjT7_P12ihipStream_tbENKUlT_T0_SE_SJ_E_clIS8_S8_S9_S9_EEDaSX_SY_SE_SJ_EUlSX_E_NS1_11comp_targetILNS1_3genE0ELNS1_11target_archE4294967295ELNS1_3gpuE0ELNS1_3repE0EEENS1_47radix_sort_onesweep_sort_config_static_selectorELNS0_4arch9wavefront6targetE1EEEvSE_
                                        ; -- End function
	.section	.AMDGPU.csdata,"",@progbits
; Kernel info:
; codeLenInByte = 0
; NumSgprs: 4
; NumVgprs: 0
; NumAgprs: 0
; TotalNumVgprs: 0
; ScratchSize: 0
; MemoryBound: 0
; FloatMode: 240
; IeeeMode: 1
; LDSByteSize: 0 bytes/workgroup (compile time only)
; SGPRBlocks: 0
; VGPRBlocks: 0
; NumSGPRsForWavesPerEU: 4
; NumVGPRsForWavesPerEU: 1
; AccumOffset: 4
; Occupancy: 8
; WaveLimiterHint : 0
; COMPUTE_PGM_RSRC2:SCRATCH_EN: 0
; COMPUTE_PGM_RSRC2:USER_SGPR: 6
; COMPUTE_PGM_RSRC2:TRAP_HANDLER: 0
; COMPUTE_PGM_RSRC2:TGID_X_EN: 1
; COMPUTE_PGM_RSRC2:TGID_Y_EN: 0
; COMPUTE_PGM_RSRC2:TGID_Z_EN: 0
; COMPUTE_PGM_RSRC2:TIDIG_COMP_CNT: 0
; COMPUTE_PGM_RSRC3_GFX90A:ACCUM_OFFSET: 0
; COMPUTE_PGM_RSRC3_GFX90A:TG_SPLIT: 0
	.section	.text._ZN7rocprim17ROCPRIM_400000_NS6detail17trampoline_kernelINS0_14default_configENS1_35radix_sort_onesweep_config_selectorIdNS0_10empty_typeEEEZZNS1_29radix_sort_onesweep_iterationIS3_Lb1EPdS8_PS5_S9_mNS0_19identity_decomposerENS1_16block_id_wrapperIjLb1EEEEE10hipError_tT1_PNSt15iterator_traitsISE_E10value_typeET2_T3_PNSF_ISK_E10value_typeET4_T5_PSP_SQ_PNS1_23onesweep_lookback_stateEbbT6_jjT7_P12ihipStream_tbENKUlT_T0_SE_SJ_E_clIS8_S8_S9_S9_EEDaSX_SY_SE_SJ_EUlSX_E_NS1_11comp_targetILNS1_3genE6ELNS1_11target_archE950ELNS1_3gpuE13ELNS1_3repE0EEENS1_47radix_sort_onesweep_sort_config_static_selectorELNS0_4arch9wavefront6targetE1EEEvSE_,"axG",@progbits,_ZN7rocprim17ROCPRIM_400000_NS6detail17trampoline_kernelINS0_14default_configENS1_35radix_sort_onesweep_config_selectorIdNS0_10empty_typeEEEZZNS1_29radix_sort_onesweep_iterationIS3_Lb1EPdS8_PS5_S9_mNS0_19identity_decomposerENS1_16block_id_wrapperIjLb1EEEEE10hipError_tT1_PNSt15iterator_traitsISE_E10value_typeET2_T3_PNSF_ISK_E10value_typeET4_T5_PSP_SQ_PNS1_23onesweep_lookback_stateEbbT6_jjT7_P12ihipStream_tbENKUlT_T0_SE_SJ_E_clIS8_S8_S9_S9_EEDaSX_SY_SE_SJ_EUlSX_E_NS1_11comp_targetILNS1_3genE6ELNS1_11target_archE950ELNS1_3gpuE13ELNS1_3repE0EEENS1_47radix_sort_onesweep_sort_config_static_selectorELNS0_4arch9wavefront6targetE1EEEvSE_,comdat
	.protected	_ZN7rocprim17ROCPRIM_400000_NS6detail17trampoline_kernelINS0_14default_configENS1_35radix_sort_onesweep_config_selectorIdNS0_10empty_typeEEEZZNS1_29radix_sort_onesweep_iterationIS3_Lb1EPdS8_PS5_S9_mNS0_19identity_decomposerENS1_16block_id_wrapperIjLb1EEEEE10hipError_tT1_PNSt15iterator_traitsISE_E10value_typeET2_T3_PNSF_ISK_E10value_typeET4_T5_PSP_SQ_PNS1_23onesweep_lookback_stateEbbT6_jjT7_P12ihipStream_tbENKUlT_T0_SE_SJ_E_clIS8_S8_S9_S9_EEDaSX_SY_SE_SJ_EUlSX_E_NS1_11comp_targetILNS1_3genE6ELNS1_11target_archE950ELNS1_3gpuE13ELNS1_3repE0EEENS1_47radix_sort_onesweep_sort_config_static_selectorELNS0_4arch9wavefront6targetE1EEEvSE_ ; -- Begin function _ZN7rocprim17ROCPRIM_400000_NS6detail17trampoline_kernelINS0_14default_configENS1_35radix_sort_onesweep_config_selectorIdNS0_10empty_typeEEEZZNS1_29radix_sort_onesweep_iterationIS3_Lb1EPdS8_PS5_S9_mNS0_19identity_decomposerENS1_16block_id_wrapperIjLb1EEEEE10hipError_tT1_PNSt15iterator_traitsISE_E10value_typeET2_T3_PNSF_ISK_E10value_typeET4_T5_PSP_SQ_PNS1_23onesweep_lookback_stateEbbT6_jjT7_P12ihipStream_tbENKUlT_T0_SE_SJ_E_clIS8_S8_S9_S9_EEDaSX_SY_SE_SJ_EUlSX_E_NS1_11comp_targetILNS1_3genE6ELNS1_11target_archE950ELNS1_3gpuE13ELNS1_3repE0EEENS1_47radix_sort_onesweep_sort_config_static_selectorELNS0_4arch9wavefront6targetE1EEEvSE_
	.globl	_ZN7rocprim17ROCPRIM_400000_NS6detail17trampoline_kernelINS0_14default_configENS1_35radix_sort_onesweep_config_selectorIdNS0_10empty_typeEEEZZNS1_29radix_sort_onesweep_iterationIS3_Lb1EPdS8_PS5_S9_mNS0_19identity_decomposerENS1_16block_id_wrapperIjLb1EEEEE10hipError_tT1_PNSt15iterator_traitsISE_E10value_typeET2_T3_PNSF_ISK_E10value_typeET4_T5_PSP_SQ_PNS1_23onesweep_lookback_stateEbbT6_jjT7_P12ihipStream_tbENKUlT_T0_SE_SJ_E_clIS8_S8_S9_S9_EEDaSX_SY_SE_SJ_EUlSX_E_NS1_11comp_targetILNS1_3genE6ELNS1_11target_archE950ELNS1_3gpuE13ELNS1_3repE0EEENS1_47radix_sort_onesweep_sort_config_static_selectorELNS0_4arch9wavefront6targetE1EEEvSE_
	.p2align	8
	.type	_ZN7rocprim17ROCPRIM_400000_NS6detail17trampoline_kernelINS0_14default_configENS1_35radix_sort_onesweep_config_selectorIdNS0_10empty_typeEEEZZNS1_29radix_sort_onesweep_iterationIS3_Lb1EPdS8_PS5_S9_mNS0_19identity_decomposerENS1_16block_id_wrapperIjLb1EEEEE10hipError_tT1_PNSt15iterator_traitsISE_E10value_typeET2_T3_PNSF_ISK_E10value_typeET4_T5_PSP_SQ_PNS1_23onesweep_lookback_stateEbbT6_jjT7_P12ihipStream_tbENKUlT_T0_SE_SJ_E_clIS8_S8_S9_S9_EEDaSX_SY_SE_SJ_EUlSX_E_NS1_11comp_targetILNS1_3genE6ELNS1_11target_archE950ELNS1_3gpuE13ELNS1_3repE0EEENS1_47radix_sort_onesweep_sort_config_static_selectorELNS0_4arch9wavefront6targetE1EEEvSE_,@function
_ZN7rocprim17ROCPRIM_400000_NS6detail17trampoline_kernelINS0_14default_configENS1_35radix_sort_onesweep_config_selectorIdNS0_10empty_typeEEEZZNS1_29radix_sort_onesweep_iterationIS3_Lb1EPdS8_PS5_S9_mNS0_19identity_decomposerENS1_16block_id_wrapperIjLb1EEEEE10hipError_tT1_PNSt15iterator_traitsISE_E10value_typeET2_T3_PNSF_ISK_E10value_typeET4_T5_PSP_SQ_PNS1_23onesweep_lookback_stateEbbT6_jjT7_P12ihipStream_tbENKUlT_T0_SE_SJ_E_clIS8_S8_S9_S9_EEDaSX_SY_SE_SJ_EUlSX_E_NS1_11comp_targetILNS1_3genE6ELNS1_11target_archE950ELNS1_3gpuE13ELNS1_3repE0EEENS1_47radix_sort_onesweep_sort_config_static_selectorELNS0_4arch9wavefront6targetE1EEEvSE_: ; @_ZN7rocprim17ROCPRIM_400000_NS6detail17trampoline_kernelINS0_14default_configENS1_35radix_sort_onesweep_config_selectorIdNS0_10empty_typeEEEZZNS1_29radix_sort_onesweep_iterationIS3_Lb1EPdS8_PS5_S9_mNS0_19identity_decomposerENS1_16block_id_wrapperIjLb1EEEEE10hipError_tT1_PNSt15iterator_traitsISE_E10value_typeET2_T3_PNSF_ISK_E10value_typeET4_T5_PSP_SQ_PNS1_23onesweep_lookback_stateEbbT6_jjT7_P12ihipStream_tbENKUlT_T0_SE_SJ_E_clIS8_S8_S9_S9_EEDaSX_SY_SE_SJ_EUlSX_E_NS1_11comp_targetILNS1_3genE6ELNS1_11target_archE950ELNS1_3gpuE13ELNS1_3repE0EEENS1_47radix_sort_onesweep_sort_config_static_selectorELNS0_4arch9wavefront6targetE1EEEvSE_
; %bb.0:
	.section	.rodata,"a",@progbits
	.p2align	6, 0x0
	.amdhsa_kernel _ZN7rocprim17ROCPRIM_400000_NS6detail17trampoline_kernelINS0_14default_configENS1_35radix_sort_onesweep_config_selectorIdNS0_10empty_typeEEEZZNS1_29radix_sort_onesweep_iterationIS3_Lb1EPdS8_PS5_S9_mNS0_19identity_decomposerENS1_16block_id_wrapperIjLb1EEEEE10hipError_tT1_PNSt15iterator_traitsISE_E10value_typeET2_T3_PNSF_ISK_E10value_typeET4_T5_PSP_SQ_PNS1_23onesweep_lookback_stateEbbT6_jjT7_P12ihipStream_tbENKUlT_T0_SE_SJ_E_clIS8_S8_S9_S9_EEDaSX_SY_SE_SJ_EUlSX_E_NS1_11comp_targetILNS1_3genE6ELNS1_11target_archE950ELNS1_3gpuE13ELNS1_3repE0EEENS1_47radix_sort_onesweep_sort_config_static_selectorELNS0_4arch9wavefront6targetE1EEEvSE_
		.amdhsa_group_segment_fixed_size 0
		.amdhsa_private_segment_fixed_size 0
		.amdhsa_kernarg_size 88
		.amdhsa_user_sgpr_count 6
		.amdhsa_user_sgpr_private_segment_buffer 1
		.amdhsa_user_sgpr_dispatch_ptr 0
		.amdhsa_user_sgpr_queue_ptr 0
		.amdhsa_user_sgpr_kernarg_segment_ptr 1
		.amdhsa_user_sgpr_dispatch_id 0
		.amdhsa_user_sgpr_flat_scratch_init 0
		.amdhsa_user_sgpr_kernarg_preload_length 0
		.amdhsa_user_sgpr_kernarg_preload_offset 0
		.amdhsa_user_sgpr_private_segment_size 0
		.amdhsa_uses_dynamic_stack 0
		.amdhsa_system_sgpr_private_segment_wavefront_offset 0
		.amdhsa_system_sgpr_workgroup_id_x 1
		.amdhsa_system_sgpr_workgroup_id_y 0
		.amdhsa_system_sgpr_workgroup_id_z 0
		.amdhsa_system_sgpr_workgroup_info 0
		.amdhsa_system_vgpr_workitem_id 0
		.amdhsa_next_free_vgpr 1
		.amdhsa_next_free_sgpr 0
		.amdhsa_accum_offset 4
		.amdhsa_reserve_vcc 0
		.amdhsa_reserve_flat_scratch 0
		.amdhsa_float_round_mode_32 0
		.amdhsa_float_round_mode_16_64 0
		.amdhsa_float_denorm_mode_32 3
		.amdhsa_float_denorm_mode_16_64 3
		.amdhsa_dx10_clamp 1
		.amdhsa_ieee_mode 1
		.amdhsa_fp16_overflow 0
		.amdhsa_tg_split 0
		.amdhsa_exception_fp_ieee_invalid_op 0
		.amdhsa_exception_fp_denorm_src 0
		.amdhsa_exception_fp_ieee_div_zero 0
		.amdhsa_exception_fp_ieee_overflow 0
		.amdhsa_exception_fp_ieee_underflow 0
		.amdhsa_exception_fp_ieee_inexact 0
		.amdhsa_exception_int_div_zero 0
	.end_amdhsa_kernel
	.section	.text._ZN7rocprim17ROCPRIM_400000_NS6detail17trampoline_kernelINS0_14default_configENS1_35radix_sort_onesweep_config_selectorIdNS0_10empty_typeEEEZZNS1_29radix_sort_onesweep_iterationIS3_Lb1EPdS8_PS5_S9_mNS0_19identity_decomposerENS1_16block_id_wrapperIjLb1EEEEE10hipError_tT1_PNSt15iterator_traitsISE_E10value_typeET2_T3_PNSF_ISK_E10value_typeET4_T5_PSP_SQ_PNS1_23onesweep_lookback_stateEbbT6_jjT7_P12ihipStream_tbENKUlT_T0_SE_SJ_E_clIS8_S8_S9_S9_EEDaSX_SY_SE_SJ_EUlSX_E_NS1_11comp_targetILNS1_3genE6ELNS1_11target_archE950ELNS1_3gpuE13ELNS1_3repE0EEENS1_47radix_sort_onesweep_sort_config_static_selectorELNS0_4arch9wavefront6targetE1EEEvSE_,"axG",@progbits,_ZN7rocprim17ROCPRIM_400000_NS6detail17trampoline_kernelINS0_14default_configENS1_35radix_sort_onesweep_config_selectorIdNS0_10empty_typeEEEZZNS1_29radix_sort_onesweep_iterationIS3_Lb1EPdS8_PS5_S9_mNS0_19identity_decomposerENS1_16block_id_wrapperIjLb1EEEEE10hipError_tT1_PNSt15iterator_traitsISE_E10value_typeET2_T3_PNSF_ISK_E10value_typeET4_T5_PSP_SQ_PNS1_23onesweep_lookback_stateEbbT6_jjT7_P12ihipStream_tbENKUlT_T0_SE_SJ_E_clIS8_S8_S9_S9_EEDaSX_SY_SE_SJ_EUlSX_E_NS1_11comp_targetILNS1_3genE6ELNS1_11target_archE950ELNS1_3gpuE13ELNS1_3repE0EEENS1_47radix_sort_onesweep_sort_config_static_selectorELNS0_4arch9wavefront6targetE1EEEvSE_,comdat
.Lfunc_end2616:
	.size	_ZN7rocprim17ROCPRIM_400000_NS6detail17trampoline_kernelINS0_14default_configENS1_35radix_sort_onesweep_config_selectorIdNS0_10empty_typeEEEZZNS1_29radix_sort_onesweep_iterationIS3_Lb1EPdS8_PS5_S9_mNS0_19identity_decomposerENS1_16block_id_wrapperIjLb1EEEEE10hipError_tT1_PNSt15iterator_traitsISE_E10value_typeET2_T3_PNSF_ISK_E10value_typeET4_T5_PSP_SQ_PNS1_23onesweep_lookback_stateEbbT6_jjT7_P12ihipStream_tbENKUlT_T0_SE_SJ_E_clIS8_S8_S9_S9_EEDaSX_SY_SE_SJ_EUlSX_E_NS1_11comp_targetILNS1_3genE6ELNS1_11target_archE950ELNS1_3gpuE13ELNS1_3repE0EEENS1_47radix_sort_onesweep_sort_config_static_selectorELNS0_4arch9wavefront6targetE1EEEvSE_, .Lfunc_end2616-_ZN7rocprim17ROCPRIM_400000_NS6detail17trampoline_kernelINS0_14default_configENS1_35radix_sort_onesweep_config_selectorIdNS0_10empty_typeEEEZZNS1_29radix_sort_onesweep_iterationIS3_Lb1EPdS8_PS5_S9_mNS0_19identity_decomposerENS1_16block_id_wrapperIjLb1EEEEE10hipError_tT1_PNSt15iterator_traitsISE_E10value_typeET2_T3_PNSF_ISK_E10value_typeET4_T5_PSP_SQ_PNS1_23onesweep_lookback_stateEbbT6_jjT7_P12ihipStream_tbENKUlT_T0_SE_SJ_E_clIS8_S8_S9_S9_EEDaSX_SY_SE_SJ_EUlSX_E_NS1_11comp_targetILNS1_3genE6ELNS1_11target_archE950ELNS1_3gpuE13ELNS1_3repE0EEENS1_47radix_sort_onesweep_sort_config_static_selectorELNS0_4arch9wavefront6targetE1EEEvSE_
                                        ; -- End function
	.section	.AMDGPU.csdata,"",@progbits
; Kernel info:
; codeLenInByte = 0
; NumSgprs: 4
; NumVgprs: 0
; NumAgprs: 0
; TotalNumVgprs: 0
; ScratchSize: 0
; MemoryBound: 0
; FloatMode: 240
; IeeeMode: 1
; LDSByteSize: 0 bytes/workgroup (compile time only)
; SGPRBlocks: 0
; VGPRBlocks: 0
; NumSGPRsForWavesPerEU: 4
; NumVGPRsForWavesPerEU: 1
; AccumOffset: 4
; Occupancy: 8
; WaveLimiterHint : 0
; COMPUTE_PGM_RSRC2:SCRATCH_EN: 0
; COMPUTE_PGM_RSRC2:USER_SGPR: 6
; COMPUTE_PGM_RSRC2:TRAP_HANDLER: 0
; COMPUTE_PGM_RSRC2:TGID_X_EN: 1
; COMPUTE_PGM_RSRC2:TGID_Y_EN: 0
; COMPUTE_PGM_RSRC2:TGID_Z_EN: 0
; COMPUTE_PGM_RSRC2:TIDIG_COMP_CNT: 0
; COMPUTE_PGM_RSRC3_GFX90A:ACCUM_OFFSET: 0
; COMPUTE_PGM_RSRC3_GFX90A:TG_SPLIT: 0
	.section	.text._ZN7rocprim17ROCPRIM_400000_NS6detail17trampoline_kernelINS0_14default_configENS1_35radix_sort_onesweep_config_selectorIdNS0_10empty_typeEEEZZNS1_29radix_sort_onesweep_iterationIS3_Lb1EPdS8_PS5_S9_mNS0_19identity_decomposerENS1_16block_id_wrapperIjLb1EEEEE10hipError_tT1_PNSt15iterator_traitsISE_E10value_typeET2_T3_PNSF_ISK_E10value_typeET4_T5_PSP_SQ_PNS1_23onesweep_lookback_stateEbbT6_jjT7_P12ihipStream_tbENKUlT_T0_SE_SJ_E_clIS8_S8_S9_S9_EEDaSX_SY_SE_SJ_EUlSX_E_NS1_11comp_targetILNS1_3genE5ELNS1_11target_archE942ELNS1_3gpuE9ELNS1_3repE0EEENS1_47radix_sort_onesweep_sort_config_static_selectorELNS0_4arch9wavefront6targetE1EEEvSE_,"axG",@progbits,_ZN7rocprim17ROCPRIM_400000_NS6detail17trampoline_kernelINS0_14default_configENS1_35radix_sort_onesweep_config_selectorIdNS0_10empty_typeEEEZZNS1_29radix_sort_onesweep_iterationIS3_Lb1EPdS8_PS5_S9_mNS0_19identity_decomposerENS1_16block_id_wrapperIjLb1EEEEE10hipError_tT1_PNSt15iterator_traitsISE_E10value_typeET2_T3_PNSF_ISK_E10value_typeET4_T5_PSP_SQ_PNS1_23onesweep_lookback_stateEbbT6_jjT7_P12ihipStream_tbENKUlT_T0_SE_SJ_E_clIS8_S8_S9_S9_EEDaSX_SY_SE_SJ_EUlSX_E_NS1_11comp_targetILNS1_3genE5ELNS1_11target_archE942ELNS1_3gpuE9ELNS1_3repE0EEENS1_47radix_sort_onesweep_sort_config_static_selectorELNS0_4arch9wavefront6targetE1EEEvSE_,comdat
	.protected	_ZN7rocprim17ROCPRIM_400000_NS6detail17trampoline_kernelINS0_14default_configENS1_35radix_sort_onesweep_config_selectorIdNS0_10empty_typeEEEZZNS1_29radix_sort_onesweep_iterationIS3_Lb1EPdS8_PS5_S9_mNS0_19identity_decomposerENS1_16block_id_wrapperIjLb1EEEEE10hipError_tT1_PNSt15iterator_traitsISE_E10value_typeET2_T3_PNSF_ISK_E10value_typeET4_T5_PSP_SQ_PNS1_23onesweep_lookback_stateEbbT6_jjT7_P12ihipStream_tbENKUlT_T0_SE_SJ_E_clIS8_S8_S9_S9_EEDaSX_SY_SE_SJ_EUlSX_E_NS1_11comp_targetILNS1_3genE5ELNS1_11target_archE942ELNS1_3gpuE9ELNS1_3repE0EEENS1_47radix_sort_onesweep_sort_config_static_selectorELNS0_4arch9wavefront6targetE1EEEvSE_ ; -- Begin function _ZN7rocprim17ROCPRIM_400000_NS6detail17trampoline_kernelINS0_14default_configENS1_35radix_sort_onesweep_config_selectorIdNS0_10empty_typeEEEZZNS1_29radix_sort_onesweep_iterationIS3_Lb1EPdS8_PS5_S9_mNS0_19identity_decomposerENS1_16block_id_wrapperIjLb1EEEEE10hipError_tT1_PNSt15iterator_traitsISE_E10value_typeET2_T3_PNSF_ISK_E10value_typeET4_T5_PSP_SQ_PNS1_23onesweep_lookback_stateEbbT6_jjT7_P12ihipStream_tbENKUlT_T0_SE_SJ_E_clIS8_S8_S9_S9_EEDaSX_SY_SE_SJ_EUlSX_E_NS1_11comp_targetILNS1_3genE5ELNS1_11target_archE942ELNS1_3gpuE9ELNS1_3repE0EEENS1_47radix_sort_onesweep_sort_config_static_selectorELNS0_4arch9wavefront6targetE1EEEvSE_
	.globl	_ZN7rocprim17ROCPRIM_400000_NS6detail17trampoline_kernelINS0_14default_configENS1_35radix_sort_onesweep_config_selectorIdNS0_10empty_typeEEEZZNS1_29radix_sort_onesweep_iterationIS3_Lb1EPdS8_PS5_S9_mNS0_19identity_decomposerENS1_16block_id_wrapperIjLb1EEEEE10hipError_tT1_PNSt15iterator_traitsISE_E10value_typeET2_T3_PNSF_ISK_E10value_typeET4_T5_PSP_SQ_PNS1_23onesweep_lookback_stateEbbT6_jjT7_P12ihipStream_tbENKUlT_T0_SE_SJ_E_clIS8_S8_S9_S9_EEDaSX_SY_SE_SJ_EUlSX_E_NS1_11comp_targetILNS1_3genE5ELNS1_11target_archE942ELNS1_3gpuE9ELNS1_3repE0EEENS1_47radix_sort_onesweep_sort_config_static_selectorELNS0_4arch9wavefront6targetE1EEEvSE_
	.p2align	8
	.type	_ZN7rocprim17ROCPRIM_400000_NS6detail17trampoline_kernelINS0_14default_configENS1_35radix_sort_onesweep_config_selectorIdNS0_10empty_typeEEEZZNS1_29radix_sort_onesweep_iterationIS3_Lb1EPdS8_PS5_S9_mNS0_19identity_decomposerENS1_16block_id_wrapperIjLb1EEEEE10hipError_tT1_PNSt15iterator_traitsISE_E10value_typeET2_T3_PNSF_ISK_E10value_typeET4_T5_PSP_SQ_PNS1_23onesweep_lookback_stateEbbT6_jjT7_P12ihipStream_tbENKUlT_T0_SE_SJ_E_clIS8_S8_S9_S9_EEDaSX_SY_SE_SJ_EUlSX_E_NS1_11comp_targetILNS1_3genE5ELNS1_11target_archE942ELNS1_3gpuE9ELNS1_3repE0EEENS1_47radix_sort_onesweep_sort_config_static_selectorELNS0_4arch9wavefront6targetE1EEEvSE_,@function
_ZN7rocprim17ROCPRIM_400000_NS6detail17trampoline_kernelINS0_14default_configENS1_35radix_sort_onesweep_config_selectorIdNS0_10empty_typeEEEZZNS1_29radix_sort_onesweep_iterationIS3_Lb1EPdS8_PS5_S9_mNS0_19identity_decomposerENS1_16block_id_wrapperIjLb1EEEEE10hipError_tT1_PNSt15iterator_traitsISE_E10value_typeET2_T3_PNSF_ISK_E10value_typeET4_T5_PSP_SQ_PNS1_23onesweep_lookback_stateEbbT6_jjT7_P12ihipStream_tbENKUlT_T0_SE_SJ_E_clIS8_S8_S9_S9_EEDaSX_SY_SE_SJ_EUlSX_E_NS1_11comp_targetILNS1_3genE5ELNS1_11target_archE942ELNS1_3gpuE9ELNS1_3repE0EEENS1_47radix_sort_onesweep_sort_config_static_selectorELNS0_4arch9wavefront6targetE1EEEvSE_: ; @_ZN7rocprim17ROCPRIM_400000_NS6detail17trampoline_kernelINS0_14default_configENS1_35radix_sort_onesweep_config_selectorIdNS0_10empty_typeEEEZZNS1_29radix_sort_onesweep_iterationIS3_Lb1EPdS8_PS5_S9_mNS0_19identity_decomposerENS1_16block_id_wrapperIjLb1EEEEE10hipError_tT1_PNSt15iterator_traitsISE_E10value_typeET2_T3_PNSF_ISK_E10value_typeET4_T5_PSP_SQ_PNS1_23onesweep_lookback_stateEbbT6_jjT7_P12ihipStream_tbENKUlT_T0_SE_SJ_E_clIS8_S8_S9_S9_EEDaSX_SY_SE_SJ_EUlSX_E_NS1_11comp_targetILNS1_3genE5ELNS1_11target_archE942ELNS1_3gpuE9ELNS1_3repE0EEENS1_47radix_sort_onesweep_sort_config_static_selectorELNS0_4arch9wavefront6targetE1EEEvSE_
; %bb.0:
	.section	.rodata,"a",@progbits
	.p2align	6, 0x0
	.amdhsa_kernel _ZN7rocprim17ROCPRIM_400000_NS6detail17trampoline_kernelINS0_14default_configENS1_35radix_sort_onesweep_config_selectorIdNS0_10empty_typeEEEZZNS1_29radix_sort_onesweep_iterationIS3_Lb1EPdS8_PS5_S9_mNS0_19identity_decomposerENS1_16block_id_wrapperIjLb1EEEEE10hipError_tT1_PNSt15iterator_traitsISE_E10value_typeET2_T3_PNSF_ISK_E10value_typeET4_T5_PSP_SQ_PNS1_23onesweep_lookback_stateEbbT6_jjT7_P12ihipStream_tbENKUlT_T0_SE_SJ_E_clIS8_S8_S9_S9_EEDaSX_SY_SE_SJ_EUlSX_E_NS1_11comp_targetILNS1_3genE5ELNS1_11target_archE942ELNS1_3gpuE9ELNS1_3repE0EEENS1_47radix_sort_onesweep_sort_config_static_selectorELNS0_4arch9wavefront6targetE1EEEvSE_
		.amdhsa_group_segment_fixed_size 0
		.amdhsa_private_segment_fixed_size 0
		.amdhsa_kernarg_size 88
		.amdhsa_user_sgpr_count 6
		.amdhsa_user_sgpr_private_segment_buffer 1
		.amdhsa_user_sgpr_dispatch_ptr 0
		.amdhsa_user_sgpr_queue_ptr 0
		.amdhsa_user_sgpr_kernarg_segment_ptr 1
		.amdhsa_user_sgpr_dispatch_id 0
		.amdhsa_user_sgpr_flat_scratch_init 0
		.amdhsa_user_sgpr_kernarg_preload_length 0
		.amdhsa_user_sgpr_kernarg_preload_offset 0
		.amdhsa_user_sgpr_private_segment_size 0
		.amdhsa_uses_dynamic_stack 0
		.amdhsa_system_sgpr_private_segment_wavefront_offset 0
		.amdhsa_system_sgpr_workgroup_id_x 1
		.amdhsa_system_sgpr_workgroup_id_y 0
		.amdhsa_system_sgpr_workgroup_id_z 0
		.amdhsa_system_sgpr_workgroup_info 0
		.amdhsa_system_vgpr_workitem_id 0
		.amdhsa_next_free_vgpr 1
		.amdhsa_next_free_sgpr 0
		.amdhsa_accum_offset 4
		.amdhsa_reserve_vcc 0
		.amdhsa_reserve_flat_scratch 0
		.amdhsa_float_round_mode_32 0
		.amdhsa_float_round_mode_16_64 0
		.amdhsa_float_denorm_mode_32 3
		.amdhsa_float_denorm_mode_16_64 3
		.amdhsa_dx10_clamp 1
		.amdhsa_ieee_mode 1
		.amdhsa_fp16_overflow 0
		.amdhsa_tg_split 0
		.amdhsa_exception_fp_ieee_invalid_op 0
		.amdhsa_exception_fp_denorm_src 0
		.amdhsa_exception_fp_ieee_div_zero 0
		.amdhsa_exception_fp_ieee_overflow 0
		.amdhsa_exception_fp_ieee_underflow 0
		.amdhsa_exception_fp_ieee_inexact 0
		.amdhsa_exception_int_div_zero 0
	.end_amdhsa_kernel
	.section	.text._ZN7rocprim17ROCPRIM_400000_NS6detail17trampoline_kernelINS0_14default_configENS1_35radix_sort_onesweep_config_selectorIdNS0_10empty_typeEEEZZNS1_29radix_sort_onesweep_iterationIS3_Lb1EPdS8_PS5_S9_mNS0_19identity_decomposerENS1_16block_id_wrapperIjLb1EEEEE10hipError_tT1_PNSt15iterator_traitsISE_E10value_typeET2_T3_PNSF_ISK_E10value_typeET4_T5_PSP_SQ_PNS1_23onesweep_lookback_stateEbbT6_jjT7_P12ihipStream_tbENKUlT_T0_SE_SJ_E_clIS8_S8_S9_S9_EEDaSX_SY_SE_SJ_EUlSX_E_NS1_11comp_targetILNS1_3genE5ELNS1_11target_archE942ELNS1_3gpuE9ELNS1_3repE0EEENS1_47radix_sort_onesweep_sort_config_static_selectorELNS0_4arch9wavefront6targetE1EEEvSE_,"axG",@progbits,_ZN7rocprim17ROCPRIM_400000_NS6detail17trampoline_kernelINS0_14default_configENS1_35radix_sort_onesweep_config_selectorIdNS0_10empty_typeEEEZZNS1_29radix_sort_onesweep_iterationIS3_Lb1EPdS8_PS5_S9_mNS0_19identity_decomposerENS1_16block_id_wrapperIjLb1EEEEE10hipError_tT1_PNSt15iterator_traitsISE_E10value_typeET2_T3_PNSF_ISK_E10value_typeET4_T5_PSP_SQ_PNS1_23onesweep_lookback_stateEbbT6_jjT7_P12ihipStream_tbENKUlT_T0_SE_SJ_E_clIS8_S8_S9_S9_EEDaSX_SY_SE_SJ_EUlSX_E_NS1_11comp_targetILNS1_3genE5ELNS1_11target_archE942ELNS1_3gpuE9ELNS1_3repE0EEENS1_47radix_sort_onesweep_sort_config_static_selectorELNS0_4arch9wavefront6targetE1EEEvSE_,comdat
.Lfunc_end2617:
	.size	_ZN7rocprim17ROCPRIM_400000_NS6detail17trampoline_kernelINS0_14default_configENS1_35radix_sort_onesweep_config_selectorIdNS0_10empty_typeEEEZZNS1_29radix_sort_onesweep_iterationIS3_Lb1EPdS8_PS5_S9_mNS0_19identity_decomposerENS1_16block_id_wrapperIjLb1EEEEE10hipError_tT1_PNSt15iterator_traitsISE_E10value_typeET2_T3_PNSF_ISK_E10value_typeET4_T5_PSP_SQ_PNS1_23onesweep_lookback_stateEbbT6_jjT7_P12ihipStream_tbENKUlT_T0_SE_SJ_E_clIS8_S8_S9_S9_EEDaSX_SY_SE_SJ_EUlSX_E_NS1_11comp_targetILNS1_3genE5ELNS1_11target_archE942ELNS1_3gpuE9ELNS1_3repE0EEENS1_47radix_sort_onesweep_sort_config_static_selectorELNS0_4arch9wavefront6targetE1EEEvSE_, .Lfunc_end2617-_ZN7rocprim17ROCPRIM_400000_NS6detail17trampoline_kernelINS0_14default_configENS1_35radix_sort_onesweep_config_selectorIdNS0_10empty_typeEEEZZNS1_29radix_sort_onesweep_iterationIS3_Lb1EPdS8_PS5_S9_mNS0_19identity_decomposerENS1_16block_id_wrapperIjLb1EEEEE10hipError_tT1_PNSt15iterator_traitsISE_E10value_typeET2_T3_PNSF_ISK_E10value_typeET4_T5_PSP_SQ_PNS1_23onesweep_lookback_stateEbbT6_jjT7_P12ihipStream_tbENKUlT_T0_SE_SJ_E_clIS8_S8_S9_S9_EEDaSX_SY_SE_SJ_EUlSX_E_NS1_11comp_targetILNS1_3genE5ELNS1_11target_archE942ELNS1_3gpuE9ELNS1_3repE0EEENS1_47radix_sort_onesweep_sort_config_static_selectorELNS0_4arch9wavefront6targetE1EEEvSE_
                                        ; -- End function
	.section	.AMDGPU.csdata,"",@progbits
; Kernel info:
; codeLenInByte = 0
; NumSgprs: 4
; NumVgprs: 0
; NumAgprs: 0
; TotalNumVgprs: 0
; ScratchSize: 0
; MemoryBound: 0
; FloatMode: 240
; IeeeMode: 1
; LDSByteSize: 0 bytes/workgroup (compile time only)
; SGPRBlocks: 0
; VGPRBlocks: 0
; NumSGPRsForWavesPerEU: 4
; NumVGPRsForWavesPerEU: 1
; AccumOffset: 4
; Occupancy: 8
; WaveLimiterHint : 0
; COMPUTE_PGM_RSRC2:SCRATCH_EN: 0
; COMPUTE_PGM_RSRC2:USER_SGPR: 6
; COMPUTE_PGM_RSRC2:TRAP_HANDLER: 0
; COMPUTE_PGM_RSRC2:TGID_X_EN: 1
; COMPUTE_PGM_RSRC2:TGID_Y_EN: 0
; COMPUTE_PGM_RSRC2:TGID_Z_EN: 0
; COMPUTE_PGM_RSRC2:TIDIG_COMP_CNT: 0
; COMPUTE_PGM_RSRC3_GFX90A:ACCUM_OFFSET: 0
; COMPUTE_PGM_RSRC3_GFX90A:TG_SPLIT: 0
	.section	.text._ZN7rocprim17ROCPRIM_400000_NS6detail17trampoline_kernelINS0_14default_configENS1_35radix_sort_onesweep_config_selectorIdNS0_10empty_typeEEEZZNS1_29radix_sort_onesweep_iterationIS3_Lb1EPdS8_PS5_S9_mNS0_19identity_decomposerENS1_16block_id_wrapperIjLb1EEEEE10hipError_tT1_PNSt15iterator_traitsISE_E10value_typeET2_T3_PNSF_ISK_E10value_typeET4_T5_PSP_SQ_PNS1_23onesweep_lookback_stateEbbT6_jjT7_P12ihipStream_tbENKUlT_T0_SE_SJ_E_clIS8_S8_S9_S9_EEDaSX_SY_SE_SJ_EUlSX_E_NS1_11comp_targetILNS1_3genE2ELNS1_11target_archE906ELNS1_3gpuE6ELNS1_3repE0EEENS1_47radix_sort_onesweep_sort_config_static_selectorELNS0_4arch9wavefront6targetE1EEEvSE_,"axG",@progbits,_ZN7rocprim17ROCPRIM_400000_NS6detail17trampoline_kernelINS0_14default_configENS1_35radix_sort_onesweep_config_selectorIdNS0_10empty_typeEEEZZNS1_29radix_sort_onesweep_iterationIS3_Lb1EPdS8_PS5_S9_mNS0_19identity_decomposerENS1_16block_id_wrapperIjLb1EEEEE10hipError_tT1_PNSt15iterator_traitsISE_E10value_typeET2_T3_PNSF_ISK_E10value_typeET4_T5_PSP_SQ_PNS1_23onesweep_lookback_stateEbbT6_jjT7_P12ihipStream_tbENKUlT_T0_SE_SJ_E_clIS8_S8_S9_S9_EEDaSX_SY_SE_SJ_EUlSX_E_NS1_11comp_targetILNS1_3genE2ELNS1_11target_archE906ELNS1_3gpuE6ELNS1_3repE0EEENS1_47radix_sort_onesweep_sort_config_static_selectorELNS0_4arch9wavefront6targetE1EEEvSE_,comdat
	.protected	_ZN7rocprim17ROCPRIM_400000_NS6detail17trampoline_kernelINS0_14default_configENS1_35radix_sort_onesweep_config_selectorIdNS0_10empty_typeEEEZZNS1_29radix_sort_onesweep_iterationIS3_Lb1EPdS8_PS5_S9_mNS0_19identity_decomposerENS1_16block_id_wrapperIjLb1EEEEE10hipError_tT1_PNSt15iterator_traitsISE_E10value_typeET2_T3_PNSF_ISK_E10value_typeET4_T5_PSP_SQ_PNS1_23onesweep_lookback_stateEbbT6_jjT7_P12ihipStream_tbENKUlT_T0_SE_SJ_E_clIS8_S8_S9_S9_EEDaSX_SY_SE_SJ_EUlSX_E_NS1_11comp_targetILNS1_3genE2ELNS1_11target_archE906ELNS1_3gpuE6ELNS1_3repE0EEENS1_47radix_sort_onesweep_sort_config_static_selectorELNS0_4arch9wavefront6targetE1EEEvSE_ ; -- Begin function _ZN7rocprim17ROCPRIM_400000_NS6detail17trampoline_kernelINS0_14default_configENS1_35radix_sort_onesweep_config_selectorIdNS0_10empty_typeEEEZZNS1_29radix_sort_onesweep_iterationIS3_Lb1EPdS8_PS5_S9_mNS0_19identity_decomposerENS1_16block_id_wrapperIjLb1EEEEE10hipError_tT1_PNSt15iterator_traitsISE_E10value_typeET2_T3_PNSF_ISK_E10value_typeET4_T5_PSP_SQ_PNS1_23onesweep_lookback_stateEbbT6_jjT7_P12ihipStream_tbENKUlT_T0_SE_SJ_E_clIS8_S8_S9_S9_EEDaSX_SY_SE_SJ_EUlSX_E_NS1_11comp_targetILNS1_3genE2ELNS1_11target_archE906ELNS1_3gpuE6ELNS1_3repE0EEENS1_47radix_sort_onesweep_sort_config_static_selectorELNS0_4arch9wavefront6targetE1EEEvSE_
	.globl	_ZN7rocprim17ROCPRIM_400000_NS6detail17trampoline_kernelINS0_14default_configENS1_35radix_sort_onesweep_config_selectorIdNS0_10empty_typeEEEZZNS1_29radix_sort_onesweep_iterationIS3_Lb1EPdS8_PS5_S9_mNS0_19identity_decomposerENS1_16block_id_wrapperIjLb1EEEEE10hipError_tT1_PNSt15iterator_traitsISE_E10value_typeET2_T3_PNSF_ISK_E10value_typeET4_T5_PSP_SQ_PNS1_23onesweep_lookback_stateEbbT6_jjT7_P12ihipStream_tbENKUlT_T0_SE_SJ_E_clIS8_S8_S9_S9_EEDaSX_SY_SE_SJ_EUlSX_E_NS1_11comp_targetILNS1_3genE2ELNS1_11target_archE906ELNS1_3gpuE6ELNS1_3repE0EEENS1_47radix_sort_onesweep_sort_config_static_selectorELNS0_4arch9wavefront6targetE1EEEvSE_
	.p2align	8
	.type	_ZN7rocprim17ROCPRIM_400000_NS6detail17trampoline_kernelINS0_14default_configENS1_35radix_sort_onesweep_config_selectorIdNS0_10empty_typeEEEZZNS1_29radix_sort_onesweep_iterationIS3_Lb1EPdS8_PS5_S9_mNS0_19identity_decomposerENS1_16block_id_wrapperIjLb1EEEEE10hipError_tT1_PNSt15iterator_traitsISE_E10value_typeET2_T3_PNSF_ISK_E10value_typeET4_T5_PSP_SQ_PNS1_23onesweep_lookback_stateEbbT6_jjT7_P12ihipStream_tbENKUlT_T0_SE_SJ_E_clIS8_S8_S9_S9_EEDaSX_SY_SE_SJ_EUlSX_E_NS1_11comp_targetILNS1_3genE2ELNS1_11target_archE906ELNS1_3gpuE6ELNS1_3repE0EEENS1_47radix_sort_onesweep_sort_config_static_selectorELNS0_4arch9wavefront6targetE1EEEvSE_,@function
_ZN7rocprim17ROCPRIM_400000_NS6detail17trampoline_kernelINS0_14default_configENS1_35radix_sort_onesweep_config_selectorIdNS0_10empty_typeEEEZZNS1_29radix_sort_onesweep_iterationIS3_Lb1EPdS8_PS5_S9_mNS0_19identity_decomposerENS1_16block_id_wrapperIjLb1EEEEE10hipError_tT1_PNSt15iterator_traitsISE_E10value_typeET2_T3_PNSF_ISK_E10value_typeET4_T5_PSP_SQ_PNS1_23onesweep_lookback_stateEbbT6_jjT7_P12ihipStream_tbENKUlT_T0_SE_SJ_E_clIS8_S8_S9_S9_EEDaSX_SY_SE_SJ_EUlSX_E_NS1_11comp_targetILNS1_3genE2ELNS1_11target_archE906ELNS1_3gpuE6ELNS1_3repE0EEENS1_47radix_sort_onesweep_sort_config_static_selectorELNS0_4arch9wavefront6targetE1EEEvSE_: ; @_ZN7rocprim17ROCPRIM_400000_NS6detail17trampoline_kernelINS0_14default_configENS1_35radix_sort_onesweep_config_selectorIdNS0_10empty_typeEEEZZNS1_29radix_sort_onesweep_iterationIS3_Lb1EPdS8_PS5_S9_mNS0_19identity_decomposerENS1_16block_id_wrapperIjLb1EEEEE10hipError_tT1_PNSt15iterator_traitsISE_E10value_typeET2_T3_PNSF_ISK_E10value_typeET4_T5_PSP_SQ_PNS1_23onesweep_lookback_stateEbbT6_jjT7_P12ihipStream_tbENKUlT_T0_SE_SJ_E_clIS8_S8_S9_S9_EEDaSX_SY_SE_SJ_EUlSX_E_NS1_11comp_targetILNS1_3genE2ELNS1_11target_archE906ELNS1_3gpuE6ELNS1_3repE0EEENS1_47radix_sort_onesweep_sort_config_static_selectorELNS0_4arch9wavefront6targetE1EEEvSE_
; %bb.0:
	.section	.rodata,"a",@progbits
	.p2align	6, 0x0
	.amdhsa_kernel _ZN7rocprim17ROCPRIM_400000_NS6detail17trampoline_kernelINS0_14default_configENS1_35radix_sort_onesweep_config_selectorIdNS0_10empty_typeEEEZZNS1_29radix_sort_onesweep_iterationIS3_Lb1EPdS8_PS5_S9_mNS0_19identity_decomposerENS1_16block_id_wrapperIjLb1EEEEE10hipError_tT1_PNSt15iterator_traitsISE_E10value_typeET2_T3_PNSF_ISK_E10value_typeET4_T5_PSP_SQ_PNS1_23onesweep_lookback_stateEbbT6_jjT7_P12ihipStream_tbENKUlT_T0_SE_SJ_E_clIS8_S8_S9_S9_EEDaSX_SY_SE_SJ_EUlSX_E_NS1_11comp_targetILNS1_3genE2ELNS1_11target_archE906ELNS1_3gpuE6ELNS1_3repE0EEENS1_47radix_sort_onesweep_sort_config_static_selectorELNS0_4arch9wavefront6targetE1EEEvSE_
		.amdhsa_group_segment_fixed_size 0
		.amdhsa_private_segment_fixed_size 0
		.amdhsa_kernarg_size 88
		.amdhsa_user_sgpr_count 6
		.amdhsa_user_sgpr_private_segment_buffer 1
		.amdhsa_user_sgpr_dispatch_ptr 0
		.amdhsa_user_sgpr_queue_ptr 0
		.amdhsa_user_sgpr_kernarg_segment_ptr 1
		.amdhsa_user_sgpr_dispatch_id 0
		.amdhsa_user_sgpr_flat_scratch_init 0
		.amdhsa_user_sgpr_kernarg_preload_length 0
		.amdhsa_user_sgpr_kernarg_preload_offset 0
		.amdhsa_user_sgpr_private_segment_size 0
		.amdhsa_uses_dynamic_stack 0
		.amdhsa_system_sgpr_private_segment_wavefront_offset 0
		.amdhsa_system_sgpr_workgroup_id_x 1
		.amdhsa_system_sgpr_workgroup_id_y 0
		.amdhsa_system_sgpr_workgroup_id_z 0
		.amdhsa_system_sgpr_workgroup_info 0
		.amdhsa_system_vgpr_workitem_id 0
		.amdhsa_next_free_vgpr 1
		.amdhsa_next_free_sgpr 0
		.amdhsa_accum_offset 4
		.amdhsa_reserve_vcc 0
		.amdhsa_reserve_flat_scratch 0
		.amdhsa_float_round_mode_32 0
		.amdhsa_float_round_mode_16_64 0
		.amdhsa_float_denorm_mode_32 3
		.amdhsa_float_denorm_mode_16_64 3
		.amdhsa_dx10_clamp 1
		.amdhsa_ieee_mode 1
		.amdhsa_fp16_overflow 0
		.amdhsa_tg_split 0
		.amdhsa_exception_fp_ieee_invalid_op 0
		.amdhsa_exception_fp_denorm_src 0
		.amdhsa_exception_fp_ieee_div_zero 0
		.amdhsa_exception_fp_ieee_overflow 0
		.amdhsa_exception_fp_ieee_underflow 0
		.amdhsa_exception_fp_ieee_inexact 0
		.amdhsa_exception_int_div_zero 0
	.end_amdhsa_kernel
	.section	.text._ZN7rocprim17ROCPRIM_400000_NS6detail17trampoline_kernelINS0_14default_configENS1_35radix_sort_onesweep_config_selectorIdNS0_10empty_typeEEEZZNS1_29radix_sort_onesweep_iterationIS3_Lb1EPdS8_PS5_S9_mNS0_19identity_decomposerENS1_16block_id_wrapperIjLb1EEEEE10hipError_tT1_PNSt15iterator_traitsISE_E10value_typeET2_T3_PNSF_ISK_E10value_typeET4_T5_PSP_SQ_PNS1_23onesweep_lookback_stateEbbT6_jjT7_P12ihipStream_tbENKUlT_T0_SE_SJ_E_clIS8_S8_S9_S9_EEDaSX_SY_SE_SJ_EUlSX_E_NS1_11comp_targetILNS1_3genE2ELNS1_11target_archE906ELNS1_3gpuE6ELNS1_3repE0EEENS1_47radix_sort_onesweep_sort_config_static_selectorELNS0_4arch9wavefront6targetE1EEEvSE_,"axG",@progbits,_ZN7rocprim17ROCPRIM_400000_NS6detail17trampoline_kernelINS0_14default_configENS1_35radix_sort_onesweep_config_selectorIdNS0_10empty_typeEEEZZNS1_29radix_sort_onesweep_iterationIS3_Lb1EPdS8_PS5_S9_mNS0_19identity_decomposerENS1_16block_id_wrapperIjLb1EEEEE10hipError_tT1_PNSt15iterator_traitsISE_E10value_typeET2_T3_PNSF_ISK_E10value_typeET4_T5_PSP_SQ_PNS1_23onesweep_lookback_stateEbbT6_jjT7_P12ihipStream_tbENKUlT_T0_SE_SJ_E_clIS8_S8_S9_S9_EEDaSX_SY_SE_SJ_EUlSX_E_NS1_11comp_targetILNS1_3genE2ELNS1_11target_archE906ELNS1_3gpuE6ELNS1_3repE0EEENS1_47radix_sort_onesweep_sort_config_static_selectorELNS0_4arch9wavefront6targetE1EEEvSE_,comdat
.Lfunc_end2618:
	.size	_ZN7rocprim17ROCPRIM_400000_NS6detail17trampoline_kernelINS0_14default_configENS1_35radix_sort_onesweep_config_selectorIdNS0_10empty_typeEEEZZNS1_29radix_sort_onesweep_iterationIS3_Lb1EPdS8_PS5_S9_mNS0_19identity_decomposerENS1_16block_id_wrapperIjLb1EEEEE10hipError_tT1_PNSt15iterator_traitsISE_E10value_typeET2_T3_PNSF_ISK_E10value_typeET4_T5_PSP_SQ_PNS1_23onesweep_lookback_stateEbbT6_jjT7_P12ihipStream_tbENKUlT_T0_SE_SJ_E_clIS8_S8_S9_S9_EEDaSX_SY_SE_SJ_EUlSX_E_NS1_11comp_targetILNS1_3genE2ELNS1_11target_archE906ELNS1_3gpuE6ELNS1_3repE0EEENS1_47radix_sort_onesweep_sort_config_static_selectorELNS0_4arch9wavefront6targetE1EEEvSE_, .Lfunc_end2618-_ZN7rocprim17ROCPRIM_400000_NS6detail17trampoline_kernelINS0_14default_configENS1_35radix_sort_onesweep_config_selectorIdNS0_10empty_typeEEEZZNS1_29radix_sort_onesweep_iterationIS3_Lb1EPdS8_PS5_S9_mNS0_19identity_decomposerENS1_16block_id_wrapperIjLb1EEEEE10hipError_tT1_PNSt15iterator_traitsISE_E10value_typeET2_T3_PNSF_ISK_E10value_typeET4_T5_PSP_SQ_PNS1_23onesweep_lookback_stateEbbT6_jjT7_P12ihipStream_tbENKUlT_T0_SE_SJ_E_clIS8_S8_S9_S9_EEDaSX_SY_SE_SJ_EUlSX_E_NS1_11comp_targetILNS1_3genE2ELNS1_11target_archE906ELNS1_3gpuE6ELNS1_3repE0EEENS1_47radix_sort_onesweep_sort_config_static_selectorELNS0_4arch9wavefront6targetE1EEEvSE_
                                        ; -- End function
	.section	.AMDGPU.csdata,"",@progbits
; Kernel info:
; codeLenInByte = 0
; NumSgprs: 4
; NumVgprs: 0
; NumAgprs: 0
; TotalNumVgprs: 0
; ScratchSize: 0
; MemoryBound: 0
; FloatMode: 240
; IeeeMode: 1
; LDSByteSize: 0 bytes/workgroup (compile time only)
; SGPRBlocks: 0
; VGPRBlocks: 0
; NumSGPRsForWavesPerEU: 4
; NumVGPRsForWavesPerEU: 1
; AccumOffset: 4
; Occupancy: 8
; WaveLimiterHint : 0
; COMPUTE_PGM_RSRC2:SCRATCH_EN: 0
; COMPUTE_PGM_RSRC2:USER_SGPR: 6
; COMPUTE_PGM_RSRC2:TRAP_HANDLER: 0
; COMPUTE_PGM_RSRC2:TGID_X_EN: 1
; COMPUTE_PGM_RSRC2:TGID_Y_EN: 0
; COMPUTE_PGM_RSRC2:TGID_Z_EN: 0
; COMPUTE_PGM_RSRC2:TIDIG_COMP_CNT: 0
; COMPUTE_PGM_RSRC3_GFX90A:ACCUM_OFFSET: 0
; COMPUTE_PGM_RSRC3_GFX90A:TG_SPLIT: 0
	.section	.text._ZN7rocprim17ROCPRIM_400000_NS6detail17trampoline_kernelINS0_14default_configENS1_35radix_sort_onesweep_config_selectorIdNS0_10empty_typeEEEZZNS1_29radix_sort_onesweep_iterationIS3_Lb1EPdS8_PS5_S9_mNS0_19identity_decomposerENS1_16block_id_wrapperIjLb1EEEEE10hipError_tT1_PNSt15iterator_traitsISE_E10value_typeET2_T3_PNSF_ISK_E10value_typeET4_T5_PSP_SQ_PNS1_23onesweep_lookback_stateEbbT6_jjT7_P12ihipStream_tbENKUlT_T0_SE_SJ_E_clIS8_S8_S9_S9_EEDaSX_SY_SE_SJ_EUlSX_E_NS1_11comp_targetILNS1_3genE4ELNS1_11target_archE910ELNS1_3gpuE8ELNS1_3repE0EEENS1_47radix_sort_onesweep_sort_config_static_selectorELNS0_4arch9wavefront6targetE1EEEvSE_,"axG",@progbits,_ZN7rocprim17ROCPRIM_400000_NS6detail17trampoline_kernelINS0_14default_configENS1_35radix_sort_onesweep_config_selectorIdNS0_10empty_typeEEEZZNS1_29radix_sort_onesweep_iterationIS3_Lb1EPdS8_PS5_S9_mNS0_19identity_decomposerENS1_16block_id_wrapperIjLb1EEEEE10hipError_tT1_PNSt15iterator_traitsISE_E10value_typeET2_T3_PNSF_ISK_E10value_typeET4_T5_PSP_SQ_PNS1_23onesweep_lookback_stateEbbT6_jjT7_P12ihipStream_tbENKUlT_T0_SE_SJ_E_clIS8_S8_S9_S9_EEDaSX_SY_SE_SJ_EUlSX_E_NS1_11comp_targetILNS1_3genE4ELNS1_11target_archE910ELNS1_3gpuE8ELNS1_3repE0EEENS1_47radix_sort_onesweep_sort_config_static_selectorELNS0_4arch9wavefront6targetE1EEEvSE_,comdat
	.protected	_ZN7rocprim17ROCPRIM_400000_NS6detail17trampoline_kernelINS0_14default_configENS1_35radix_sort_onesweep_config_selectorIdNS0_10empty_typeEEEZZNS1_29radix_sort_onesweep_iterationIS3_Lb1EPdS8_PS5_S9_mNS0_19identity_decomposerENS1_16block_id_wrapperIjLb1EEEEE10hipError_tT1_PNSt15iterator_traitsISE_E10value_typeET2_T3_PNSF_ISK_E10value_typeET4_T5_PSP_SQ_PNS1_23onesweep_lookback_stateEbbT6_jjT7_P12ihipStream_tbENKUlT_T0_SE_SJ_E_clIS8_S8_S9_S9_EEDaSX_SY_SE_SJ_EUlSX_E_NS1_11comp_targetILNS1_3genE4ELNS1_11target_archE910ELNS1_3gpuE8ELNS1_3repE0EEENS1_47radix_sort_onesweep_sort_config_static_selectorELNS0_4arch9wavefront6targetE1EEEvSE_ ; -- Begin function _ZN7rocprim17ROCPRIM_400000_NS6detail17trampoline_kernelINS0_14default_configENS1_35radix_sort_onesweep_config_selectorIdNS0_10empty_typeEEEZZNS1_29radix_sort_onesweep_iterationIS3_Lb1EPdS8_PS5_S9_mNS0_19identity_decomposerENS1_16block_id_wrapperIjLb1EEEEE10hipError_tT1_PNSt15iterator_traitsISE_E10value_typeET2_T3_PNSF_ISK_E10value_typeET4_T5_PSP_SQ_PNS1_23onesweep_lookback_stateEbbT6_jjT7_P12ihipStream_tbENKUlT_T0_SE_SJ_E_clIS8_S8_S9_S9_EEDaSX_SY_SE_SJ_EUlSX_E_NS1_11comp_targetILNS1_3genE4ELNS1_11target_archE910ELNS1_3gpuE8ELNS1_3repE0EEENS1_47radix_sort_onesweep_sort_config_static_selectorELNS0_4arch9wavefront6targetE1EEEvSE_
	.globl	_ZN7rocprim17ROCPRIM_400000_NS6detail17trampoline_kernelINS0_14default_configENS1_35radix_sort_onesweep_config_selectorIdNS0_10empty_typeEEEZZNS1_29radix_sort_onesweep_iterationIS3_Lb1EPdS8_PS5_S9_mNS0_19identity_decomposerENS1_16block_id_wrapperIjLb1EEEEE10hipError_tT1_PNSt15iterator_traitsISE_E10value_typeET2_T3_PNSF_ISK_E10value_typeET4_T5_PSP_SQ_PNS1_23onesweep_lookback_stateEbbT6_jjT7_P12ihipStream_tbENKUlT_T0_SE_SJ_E_clIS8_S8_S9_S9_EEDaSX_SY_SE_SJ_EUlSX_E_NS1_11comp_targetILNS1_3genE4ELNS1_11target_archE910ELNS1_3gpuE8ELNS1_3repE0EEENS1_47radix_sort_onesweep_sort_config_static_selectorELNS0_4arch9wavefront6targetE1EEEvSE_
	.p2align	8
	.type	_ZN7rocprim17ROCPRIM_400000_NS6detail17trampoline_kernelINS0_14default_configENS1_35radix_sort_onesweep_config_selectorIdNS0_10empty_typeEEEZZNS1_29radix_sort_onesweep_iterationIS3_Lb1EPdS8_PS5_S9_mNS0_19identity_decomposerENS1_16block_id_wrapperIjLb1EEEEE10hipError_tT1_PNSt15iterator_traitsISE_E10value_typeET2_T3_PNSF_ISK_E10value_typeET4_T5_PSP_SQ_PNS1_23onesweep_lookback_stateEbbT6_jjT7_P12ihipStream_tbENKUlT_T0_SE_SJ_E_clIS8_S8_S9_S9_EEDaSX_SY_SE_SJ_EUlSX_E_NS1_11comp_targetILNS1_3genE4ELNS1_11target_archE910ELNS1_3gpuE8ELNS1_3repE0EEENS1_47radix_sort_onesweep_sort_config_static_selectorELNS0_4arch9wavefront6targetE1EEEvSE_,@function
_ZN7rocprim17ROCPRIM_400000_NS6detail17trampoline_kernelINS0_14default_configENS1_35radix_sort_onesweep_config_selectorIdNS0_10empty_typeEEEZZNS1_29radix_sort_onesweep_iterationIS3_Lb1EPdS8_PS5_S9_mNS0_19identity_decomposerENS1_16block_id_wrapperIjLb1EEEEE10hipError_tT1_PNSt15iterator_traitsISE_E10value_typeET2_T3_PNSF_ISK_E10value_typeET4_T5_PSP_SQ_PNS1_23onesweep_lookback_stateEbbT6_jjT7_P12ihipStream_tbENKUlT_T0_SE_SJ_E_clIS8_S8_S9_S9_EEDaSX_SY_SE_SJ_EUlSX_E_NS1_11comp_targetILNS1_3genE4ELNS1_11target_archE910ELNS1_3gpuE8ELNS1_3repE0EEENS1_47radix_sort_onesweep_sort_config_static_selectorELNS0_4arch9wavefront6targetE1EEEvSE_: ; @_ZN7rocprim17ROCPRIM_400000_NS6detail17trampoline_kernelINS0_14default_configENS1_35radix_sort_onesweep_config_selectorIdNS0_10empty_typeEEEZZNS1_29radix_sort_onesweep_iterationIS3_Lb1EPdS8_PS5_S9_mNS0_19identity_decomposerENS1_16block_id_wrapperIjLb1EEEEE10hipError_tT1_PNSt15iterator_traitsISE_E10value_typeET2_T3_PNSF_ISK_E10value_typeET4_T5_PSP_SQ_PNS1_23onesweep_lookback_stateEbbT6_jjT7_P12ihipStream_tbENKUlT_T0_SE_SJ_E_clIS8_S8_S9_S9_EEDaSX_SY_SE_SJ_EUlSX_E_NS1_11comp_targetILNS1_3genE4ELNS1_11target_archE910ELNS1_3gpuE8ELNS1_3repE0EEENS1_47radix_sort_onesweep_sort_config_static_selectorELNS0_4arch9wavefront6targetE1EEEvSE_
; %bb.0:
	s_load_dwordx4 s[16:19], s[4:5], 0x28
	s_load_dwordx2 s[14:15], s[4:5], 0x38
	s_load_dwordx4 s[20:23], s[4:5], 0x44
	v_and_b32_e32 v2, 0x3ff, v0
	v_cmp_eq_u32_e64 s[0:1], 0, v2
	s_and_saveexec_b64 s[2:3], s[0:1]
	s_cbranch_execz .LBB2619_4
; %bb.1:
	s_mov_b64 s[10:11], exec
	v_mbcnt_lo_u32_b32 v1, s10, 0
	v_mbcnt_hi_u32_b32 v1, s11, v1
	v_cmp_eq_u32_e32 vcc, 0, v1
                                        ; implicit-def: $vgpr3
	s_and_saveexec_b64 s[8:9], vcc
	s_cbranch_execz .LBB2619_3
; %bb.2:
	s_load_dwordx2 s[12:13], s[4:5], 0x50
	s_bcnt1_i32_b64 s7, s[10:11]
	v_mov_b32_e32 v3, 0
	v_mov_b32_e32 v4, s7
	s_waitcnt lgkmcnt(0)
	global_atomic_add v3, v3, v4, s[12:13] glc
.LBB2619_3:
	s_or_b64 exec, exec, s[8:9]
	s_waitcnt vmcnt(0)
	v_readfirstlane_b32 s7, v3
	v_add_u32_e32 v1, s7, v1
	v_mov_b32_e32 v3, 0
	ds_write_b32 v3, v1 offset:20544
.LBB2619_4:
	s_or_b64 exec, exec, s[2:3]
	v_mov_b32_e32 v1, 0
	s_load_dwordx4 s[24:27], s[4:5], 0x0
	s_load_dword s2, s[4:5], 0x20
	s_waitcnt lgkmcnt(0)
	s_barrier
	ds_read_b32 v1, v1 offset:20544
	v_mbcnt_lo_u32_b32 v24, -1, 0
	s_waitcnt lgkmcnt(0)
	s_barrier
	v_readfirstlane_b32 s30, v1
	v_cmp_le_u32_e32 vcc, s22, v1
	s_mul_i32 s28, s30, 0x1800
	s_cbranch_vccz .LBB2619_57
; %bb.5:
	s_mul_i32 s7, s22, 0xffffe800
	s_mov_b32 s29, 0
	s_add_i32 s7, s7, s2
	s_lshl_b64 s[2:3], s[28:29], 3
	v_mbcnt_hi_u32_b32 v1, -1, v24
	s_add_u32 s2, s24, s2
	v_and_b32_e32 v3, 63, v1
	s_addc_u32 s3, s25, s3
	v_and_b32_e32 v4, 0x3c0, v2
	v_lshlrev_b32_e32 v5, 3, v3
	v_mul_u32_u24_e32 v4, 6, v4
	v_mov_b32_e32 v6, s3
	v_add_co_u32_e32 v5, vcc, s2, v5
	v_addc_co_u32_e32 v6, vcc, 0, v6, vcc
	v_lshlrev_b32_e32 v7, 3, v4
	v_add_co_u32_e32 v16, vcc, v5, v7
	v_addc_co_u32_e32 v17, vcc, 0, v6, vcc
	v_or_b32_e32 v3, v3, v4
	v_pk_mov_b32 v[6:7], -1, -1
	v_cmp_gt_u32_e32 vcc, s7, v3
	v_pk_mov_b32 v[4:5], v[6:7], v[6:7] op_sel:[0,1]
	s_and_saveexec_b64 s[2:3], vcc
	s_cbranch_execz .LBB2619_7
; %bb.6:
	global_load_dwordx2 v[4:5], v[16:17], off
.LBB2619_7:
	s_or_b64 exec, exec, s[2:3]
	v_or_b32_e32 v8, 64, v3
	v_cmp_gt_u32_e32 vcc, s7, v8
	s_and_saveexec_b64 s[2:3], vcc
	s_cbranch_execz .LBB2619_9
; %bb.8:
	global_load_dwordx2 v[6:7], v[16:17], off offset:512
.LBB2619_9:
	s_or_b64 exec, exec, s[2:3]
	v_add_u32_e32 v8, 0x80, v3
	v_pk_mov_b32 v[10:11], -1, -1
	v_cmp_gt_u32_e32 vcc, s7, v8
	v_pk_mov_b32 v[8:9], v[10:11], v[10:11] op_sel:[0,1]
	s_and_saveexec_b64 s[2:3], vcc
	s_cbranch_execz .LBB2619_11
; %bb.10:
	global_load_dwordx2 v[8:9], v[16:17], off offset:1024
.LBB2619_11:
	s_or_b64 exec, exec, s[2:3]
	v_add_u32_e32 v12, 0xc0, v3
	v_cmp_gt_u32_e32 vcc, s7, v12
	s_and_saveexec_b64 s[2:3], vcc
	s_cbranch_execz .LBB2619_13
; %bb.12:
	global_load_dwordx2 v[10:11], v[16:17], off offset:1536
.LBB2619_13:
	s_or_b64 exec, exec, s[2:3]
	v_add_u32_e32 v12, 0x100, v3
	v_cmp_gt_u32_e32 vcc, s7, v12
	v_pk_mov_b32 v[12:13], -1, -1
	v_pk_mov_b32 v[14:15], v[12:13], v[12:13] op_sel:[0,1]
	s_and_saveexec_b64 s[2:3], vcc
	s_cbranch_execz .LBB2619_15
; %bb.14:
	global_load_dwordx2 v[14:15], v[16:17], off offset:2048
.LBB2619_15:
	s_or_b64 exec, exec, s[2:3]
	v_add_u32_e32 v3, 0x140, v3
	v_cmp_gt_u32_e32 vcc, s7, v3
	s_and_saveexec_b64 s[2:3], vcc
	s_cbranch_execz .LBB2619_17
; %bb.16:
	global_load_dwordx2 v[12:13], v[16:17], off offset:2560
.LBB2619_17:
	s_or_b64 exec, exec, s[2:3]
	s_load_dword s2, s[4:5], 0x64
	s_load_dword s29, s[4:5], 0x58
	s_add_u32 s3, s4, 0x58
	s_addc_u32 s8, s5, 0
	v_mov_b32_e32 v16, 0
	s_waitcnt lgkmcnt(0)
	s_lshr_b32 s10, s2, 16
	s_cmp_lt_u32 s6, s29
	s_cselect_b32 s2, 12, 18
	s_add_u32 s2, s3, s2
	s_addc_u32 s3, s8, 0
	global_load_ushort v20, v16, s[2:3]
	v_bfrev_b32_e32 v21, -2
	s_waitcnt vmcnt(1)
	v_ashrrev_i32_e32 v3, 31, v5
	v_cmp_gt_i64_e32 vcc, 0, v[4:5]
	s_mov_b32 s8, 0
	v_cndmask_b32_e64 v19, v21, 0, vcc
	v_not_b32_e32 v23, v3
	s_brev_b32 s9, 1
	v_xor_b32_e32 v5, v19, v5
	v_xor_b32_e32 v4, v23, v4
	v_mul_u32_u24_e32 v18, 5, v2
	v_cmp_ne_u64_e32 vcc, s[8:9], v[4:5]
	v_lshlrev_b32_e32 v3, 2, v18
	v_cndmask_b32_e32 v19, v21, v5, vcc
	v_cndmask_b32_e32 v18, -1, v4, vcc
	s_lshl_b32 s2, -1, s21
	v_bfe_u32 v17, v0, 10, 10
	v_bfe_u32 v22, v0, 20, 10
	v_lshrrev_b64 v[18:19], s20, v[18:19]
	s_not_b32 s31, s2
	v_mad_u32_u24 v19, v22, s10, v17
	v_and_b32_e32 v22, s31, v18
	v_and_b32_e32 v18, 1, v22
	v_add_co_u32_e32 v23, vcc, -1, v18
	v_lshlrev_b32_e32 v17, 30, v22
	v_addc_co_u32_e64 v26, s[2:3], 0, -1, vcc
	v_cmp_ne_u32_e32 vcc, 0, v18
	v_cmp_gt_i64_e64 s[2:3], 0, v[16:17]
	v_not_b32_e32 v18, v17
	v_lshlrev_b32_e32 v17, 29, v22
	v_xor_b32_e32 v26, vcc_hi, v26
	v_xor_b32_e32 v23, vcc_lo, v23
	v_ashrrev_i32_e32 v18, 31, v18
	v_cmp_gt_i64_e32 vcc, 0, v[16:17]
	v_not_b32_e32 v27, v17
	v_lshlrev_b32_e32 v17, 28, v22
	v_and_b32_e32 v26, exec_hi, v26
	v_and_b32_e32 v23, exec_lo, v23
	v_xor_b32_e32 v28, s3, v18
	v_xor_b32_e32 v18, s2, v18
	v_ashrrev_i32_e32 v27, 31, v27
	v_cmp_gt_i64_e64 s[2:3], 0, v[16:17]
	v_not_b32_e32 v29, v17
	v_lshlrev_b32_e32 v17, 27, v22
	v_and_b32_e32 v26, v26, v28
	v_and_b32_e32 v18, v23, v18
	v_xor_b32_e32 v23, vcc_hi, v27
	v_xor_b32_e32 v27, vcc_lo, v27
	v_ashrrev_i32_e32 v28, 31, v29
	v_cmp_gt_i64_e32 vcc, 0, v[16:17]
	v_not_b32_e32 v29, v17
	v_lshlrev_b32_e32 v17, 26, v22
	v_and_b32_e32 v23, v26, v23
	v_and_b32_e32 v18, v18, v27
	v_xor_b32_e32 v26, s3, v28
	v_xor_b32_e32 v27, s2, v28
	v_ashrrev_i32_e32 v28, 31, v29
	v_cmp_gt_i64_e64 s[2:3], 0, v[16:17]
	v_not_b32_e32 v17, v17
	v_and_b32_e32 v23, v23, v26
	v_and_b32_e32 v18, v18, v27
	v_xor_b32_e32 v26, vcc_hi, v28
	v_xor_b32_e32 v27, vcc_lo, v28
	v_ashrrev_i32_e32 v17, 31, v17
	v_and_b32_e32 v23, v23, v26
	v_and_b32_e32 v18, v18, v27
	v_xor_b32_e32 v26, s3, v17
	v_xor_b32_e32 v17, s2, v17
	v_and_b32_e32 v27, v18, v17
	v_lshlrev_b32_e32 v17, 25, v22
	v_cmp_gt_i64_e32 vcc, 0, v[16:17]
	v_not_b32_e32 v17, v17
	v_ashrrev_i32_e32 v17, 31, v17
	v_lshl_add_u32 v25, v22, 4, v22
	v_and_b32_e32 v26, v23, v26
	ds_write2_b32 v3, v16, v16 offset0:16 offset1:17
	ds_write2_b32 v3, v16, v16 offset0:18 offset1:19
	ds_write_b32 v3, v16 offset:80
	s_waitcnt lgkmcnt(0)
	s_barrier
	s_waitcnt vmcnt(0)
	v_mad_u64_u32 v[18:19], s[2:3], v19, v20, v[2:3]
	v_lshrrev_b32_e32 v23, 6, v18
	v_xor_b32_e32 v18, vcc_hi, v17
	v_xor_b32_e32 v17, vcc_lo, v17
	v_add_lshl_u32 v20, v23, v25, 2
	v_and_b32_e32 v25, v27, v17
	v_lshlrev_b32_e32 v17, 24, v22
	v_cmp_gt_i64_e32 vcc, 0, v[16:17]
	v_not_b32_e32 v17, v17
	v_ashrrev_i32_e32 v17, 31, v17
	v_and_b32_e32 v18, v26, v18
	v_xor_b32_e32 v19, vcc_hi, v17
	v_xor_b32_e32 v17, vcc_lo, v17
	v_and_b32_e32 v19, v18, v19
	v_and_b32_e32 v18, v25, v17
	v_mbcnt_lo_u32_b32 v17, v18, 0
	v_mbcnt_hi_u32_b32 v25, v19, v17
	v_cmp_eq_u32_e32 vcc, 0, v25
	v_cmp_ne_u64_e64 s[2:3], 0, v[18:19]
	s_and_b64 s[10:11], s[2:3], vcc
	s_waitcnt lgkmcnt(0)
	; wave barrier
	s_and_saveexec_b64 s[2:3], s[10:11]
	s_cbranch_execz .LBB2619_19
; %bb.18:
	v_bcnt_u32_b32 v17, v18, 0
	v_bcnt_u32_b32 v17, v19, v17
	ds_write_b32 v20, v17 offset:64
.LBB2619_19:
	s_or_b64 exec, exec, s[2:3]
	v_cmp_gt_i64_e32 vcc, 0, v[6:7]
	v_ashrrev_i32_e32 v18, 31, v7
	v_cndmask_b32_e64 v17, v21, 0, vcc
	v_not_b32_e32 v18, v18
	v_xor_b32_e32 v7, v17, v7
	v_xor_b32_e32 v6, v18, v6
	v_cmp_ne_u64_e32 vcc, s[8:9], v[6:7]
	v_cndmask_b32_e32 v19, v21, v7, vcc
	v_cndmask_b32_e32 v18, -1, v6, vcc
	v_lshrrev_b64 v[18:19], s20, v[18:19]
	v_and_b32_e32 v18, s31, v18
	v_lshl_add_u32 v17, v18, 4, v18
	v_add_lshl_u32 v21, v23, v17, 2
	v_and_b32_e32 v17, 1, v18
	v_add_co_u32_e32 v19, vcc, -1, v17
	v_addc_co_u32_e64 v22, s[2:3], 0, -1, vcc
	v_cmp_ne_u32_e32 vcc, 0, v17
	v_xor_b32_e32 v17, vcc_hi, v22
	v_and_b32_e32 v22, exec_hi, v17
	v_lshlrev_b32_e32 v17, 30, v18
	v_xor_b32_e32 v19, vcc_lo, v19
	v_cmp_gt_i64_e32 vcc, 0, v[16:17]
	v_not_b32_e32 v17, v17
	v_ashrrev_i32_e32 v17, 31, v17
	v_and_b32_e32 v19, exec_lo, v19
	v_xor_b32_e32 v27, vcc_hi, v17
	v_xor_b32_e32 v17, vcc_lo, v17
	v_and_b32_e32 v19, v19, v17
	v_lshlrev_b32_e32 v17, 29, v18
	v_cmp_gt_i64_e32 vcc, 0, v[16:17]
	v_not_b32_e32 v17, v17
	v_ashrrev_i32_e32 v17, 31, v17
	v_and_b32_e32 v22, v22, v27
	v_xor_b32_e32 v27, vcc_hi, v17
	v_xor_b32_e32 v17, vcc_lo, v17
	v_and_b32_e32 v19, v19, v17
	v_lshlrev_b32_e32 v17, 28, v18
	v_cmp_gt_i64_e32 vcc, 0, v[16:17]
	v_not_b32_e32 v17, v17
	v_ashrrev_i32_e32 v17, 31, v17
	v_and_b32_e32 v22, v22, v27
	;; [unrolled: 8-line block ×5, first 2 shown]
	v_xor_b32_e32 v27, vcc_hi, v17
	v_xor_b32_e32 v17, vcc_lo, v17
	v_and_b32_e32 v19, v19, v17
	v_lshlrev_b32_e32 v17, 24, v18
	v_cmp_gt_i64_e32 vcc, 0, v[16:17]
	v_not_b32_e32 v16, v17
	v_ashrrev_i32_e32 v16, 31, v16
	v_xor_b32_e32 v17, vcc_hi, v16
	v_xor_b32_e32 v16, vcc_lo, v16
	; wave barrier
	ds_read_b32 v26, v21 offset:64
	v_and_b32_e32 v22, v22, v27
	v_and_b32_e32 v16, v19, v16
	;; [unrolled: 1-line block ×3, first 2 shown]
	v_mbcnt_lo_u32_b32 v18, v16, 0
	v_mbcnt_hi_u32_b32 v27, v17, v18
	v_cmp_eq_u32_e32 vcc, 0, v27
	v_cmp_ne_u64_e64 s[2:3], 0, v[16:17]
	s_and_b64 s[8:9], s[2:3], vcc
	; wave barrier
	s_and_saveexec_b64 s[2:3], s[8:9]
	s_cbranch_execz .LBB2619_21
; %bb.20:
	v_bcnt_u32_b32 v16, v16, 0
	v_bcnt_u32_b32 v16, v17, v16
	s_waitcnt lgkmcnt(0)
	v_add_u32_e32 v16, v26, v16
	ds_write_b32 v21, v16 offset:64
.LBB2619_21:
	s_or_b64 exec, exec, s[2:3]
	v_bfrev_b32_e32 v29, -2
	v_cmp_gt_i64_e32 vcc, 0, v[8:9]
	v_ashrrev_i32_e32 v18, 31, v9
	s_mov_b32 s8, 0
	v_cndmask_b32_e64 v17, v29, 0, vcc
	v_not_b32_e32 v18, v18
	s_brev_b32 s9, 1
	v_xor_b32_e32 v9, v17, v9
	v_xor_b32_e32 v8, v18, v8
	v_cmp_ne_u64_e32 vcc, s[8:9], v[8:9]
	v_cndmask_b32_e32 v19, v29, v9, vcc
	v_cndmask_b32_e32 v18, -1, v8, vcc
	v_lshrrev_b64 v[18:19], s20, v[18:19]
	v_and_b32_e32 v18, s31, v18
	v_lshl_add_u32 v17, v18, 4, v18
	v_add_lshl_u32 v22, v23, v17, 2
	v_and_b32_e32 v17, 1, v18
	v_add_co_u32_e32 v19, vcc, -1, v17
	v_addc_co_u32_e64 v30, s[2:3], 0, -1, vcc
	v_cmp_ne_u32_e32 vcc, 0, v17
	v_xor_b32_e32 v17, vcc_hi, v30
	v_mov_b32_e32 v16, 0
	v_and_b32_e32 v30, exec_hi, v17
	v_lshlrev_b32_e32 v17, 30, v18
	v_xor_b32_e32 v19, vcc_lo, v19
	v_cmp_gt_i64_e32 vcc, 0, v[16:17]
	v_not_b32_e32 v17, v17
	v_ashrrev_i32_e32 v17, 31, v17
	v_and_b32_e32 v19, exec_lo, v19
	v_xor_b32_e32 v31, vcc_hi, v17
	v_xor_b32_e32 v17, vcc_lo, v17
	v_and_b32_e32 v19, v19, v17
	v_lshlrev_b32_e32 v17, 29, v18
	v_cmp_gt_i64_e32 vcc, 0, v[16:17]
	v_not_b32_e32 v17, v17
	v_ashrrev_i32_e32 v17, 31, v17
	v_and_b32_e32 v30, v30, v31
	v_xor_b32_e32 v31, vcc_hi, v17
	v_xor_b32_e32 v17, vcc_lo, v17
	v_and_b32_e32 v19, v19, v17
	v_lshlrev_b32_e32 v17, 28, v18
	v_cmp_gt_i64_e32 vcc, 0, v[16:17]
	v_not_b32_e32 v17, v17
	v_ashrrev_i32_e32 v17, 31, v17
	v_and_b32_e32 v30, v30, v31
	;; [unrolled: 8-line block ×5, first 2 shown]
	v_xor_b32_e32 v31, vcc_hi, v17
	v_xor_b32_e32 v17, vcc_lo, v17
	v_and_b32_e32 v30, v30, v31
	v_and_b32_e32 v31, v19, v17
	v_lshlrev_b32_e32 v17, 24, v18
	v_cmp_gt_i64_e32 vcc, 0, v[16:17]
	v_not_b32_e32 v17, v17
	v_ashrrev_i32_e32 v17, 31, v17
	v_xor_b32_e32 v18, vcc_hi, v17
	v_xor_b32_e32 v17, vcc_lo, v17
	; wave barrier
	ds_read_b32 v28, v22 offset:64
	v_and_b32_e32 v19, v30, v18
	v_and_b32_e32 v18, v31, v17
	v_mbcnt_lo_u32_b32 v17, v18, 0
	v_mbcnt_hi_u32_b32 v30, v19, v17
	v_cmp_eq_u32_e32 vcc, 0, v30
	v_cmp_ne_u64_e64 s[2:3], 0, v[18:19]
	s_and_b64 s[10:11], s[2:3], vcc
	; wave barrier
	s_and_saveexec_b64 s[2:3], s[10:11]
	s_cbranch_execz .LBB2619_23
; %bb.22:
	v_bcnt_u32_b32 v17, v18, 0
	v_bcnt_u32_b32 v17, v19, v17
	s_waitcnt lgkmcnt(0)
	v_add_u32_e32 v17, v28, v17
	ds_write_b32 v22, v17 offset:64
.LBB2619_23:
	s_or_b64 exec, exec, s[2:3]
	v_cmp_gt_i64_e32 vcc, 0, v[10:11]
	v_ashrrev_i32_e32 v18, 31, v11
	v_cndmask_b32_e64 v17, v29, 0, vcc
	v_not_b32_e32 v18, v18
	v_xor_b32_e32 v11, v17, v11
	v_xor_b32_e32 v10, v18, v10
	v_cmp_ne_u64_e32 vcc, s[8:9], v[10:11]
	v_cndmask_b32_e32 v19, v29, v11, vcc
	v_cndmask_b32_e32 v18, -1, v10, vcc
	v_lshrrev_b64 v[18:19], s20, v[18:19]
	v_and_b32_e32 v18, s31, v18
	v_lshl_add_u32 v17, v18, 4, v18
	v_add_lshl_u32 v29, v23, v17, 2
	v_and_b32_e32 v17, 1, v18
	v_add_co_u32_e32 v19, vcc, -1, v17
	v_addc_co_u32_e64 v32, s[2:3], 0, -1, vcc
	v_cmp_ne_u32_e32 vcc, 0, v17
	v_xor_b32_e32 v17, vcc_hi, v32
	v_and_b32_e32 v32, exec_hi, v17
	v_lshlrev_b32_e32 v17, 30, v18
	v_xor_b32_e32 v19, vcc_lo, v19
	v_cmp_gt_i64_e32 vcc, 0, v[16:17]
	v_not_b32_e32 v17, v17
	v_ashrrev_i32_e32 v17, 31, v17
	v_and_b32_e32 v19, exec_lo, v19
	v_xor_b32_e32 v33, vcc_hi, v17
	v_xor_b32_e32 v17, vcc_lo, v17
	v_and_b32_e32 v19, v19, v17
	v_lshlrev_b32_e32 v17, 29, v18
	v_cmp_gt_i64_e32 vcc, 0, v[16:17]
	v_not_b32_e32 v17, v17
	v_ashrrev_i32_e32 v17, 31, v17
	v_and_b32_e32 v32, v32, v33
	v_xor_b32_e32 v33, vcc_hi, v17
	v_xor_b32_e32 v17, vcc_lo, v17
	v_and_b32_e32 v19, v19, v17
	v_lshlrev_b32_e32 v17, 28, v18
	v_cmp_gt_i64_e32 vcc, 0, v[16:17]
	v_not_b32_e32 v17, v17
	v_ashrrev_i32_e32 v17, 31, v17
	v_and_b32_e32 v32, v32, v33
	;; [unrolled: 8-line block ×5, first 2 shown]
	v_xor_b32_e32 v33, vcc_hi, v17
	v_xor_b32_e32 v17, vcc_lo, v17
	v_and_b32_e32 v19, v19, v17
	v_lshlrev_b32_e32 v17, 24, v18
	v_cmp_gt_i64_e32 vcc, 0, v[16:17]
	v_not_b32_e32 v16, v17
	v_ashrrev_i32_e32 v16, 31, v16
	v_xor_b32_e32 v17, vcc_hi, v16
	v_xor_b32_e32 v16, vcc_lo, v16
	; wave barrier
	ds_read_b32 v31, v29 offset:64
	v_and_b32_e32 v32, v32, v33
	v_and_b32_e32 v16, v19, v16
	;; [unrolled: 1-line block ×3, first 2 shown]
	v_mbcnt_lo_u32_b32 v18, v16, 0
	v_mbcnt_hi_u32_b32 v32, v17, v18
	v_cmp_eq_u32_e32 vcc, 0, v32
	v_cmp_ne_u64_e64 s[2:3], 0, v[16:17]
	s_and_b64 s[8:9], s[2:3], vcc
	; wave barrier
	s_and_saveexec_b64 s[2:3], s[8:9]
	s_cbranch_execz .LBB2619_25
; %bb.24:
	v_bcnt_u32_b32 v16, v16, 0
	v_bcnt_u32_b32 v16, v17, v16
	s_waitcnt lgkmcnt(0)
	v_add_u32_e32 v16, v31, v16
	ds_write_b32 v29, v16 offset:64
.LBB2619_25:
	s_or_b64 exec, exec, s[2:3]
	v_bfrev_b32_e32 v35, -2
	v_cmp_gt_i64_e32 vcc, 0, v[14:15]
	v_ashrrev_i32_e32 v17, 31, v15
	s_mov_b32 s8, 0
	v_cndmask_b32_e64 v16, v35, 0, vcc
	v_not_b32_e32 v17, v17
	s_brev_b32 s9, 1
	v_xor_b32_e32 v15, v16, v15
	v_xor_b32_e32 v14, v17, v14
	v_cmp_ne_u64_e32 vcc, s[8:9], v[14:15]
	v_cndmask_b32_e32 v17, v35, v15, vcc
	v_cndmask_b32_e32 v16, -1, v14, vcc
	v_lshrrev_b64 v[16:17], s20, v[16:17]
	v_and_b32_e32 v16, s31, v16
	v_lshl_add_u32 v17, v16, 4, v16
	v_add_lshl_u32 v36, v23, v17, 2
	v_and_b32_e32 v17, 1, v16
	v_add_co_u32_e32 v19, vcc, -1, v17
	v_addc_co_u32_e64 v34, s[2:3], 0, -1, vcc
	v_cmp_ne_u32_e32 vcc, 0, v17
	v_xor_b32_e32 v19, vcc_lo, v19
	v_mov_b32_e32 v18, 0
	v_xor_b32_e32 v17, vcc_hi, v34
	v_and_b32_e32 v34, exec_lo, v19
	v_lshlrev_b32_e32 v19, 30, v16
	v_cmp_gt_i64_e32 vcc, 0, v[18:19]
	v_not_b32_e32 v19, v19
	v_ashrrev_i32_e32 v19, 31, v19
	v_xor_b32_e32 v37, vcc_hi, v19
	v_xor_b32_e32 v19, vcc_lo, v19
	v_and_b32_e32 v34, v34, v19
	v_lshlrev_b32_e32 v19, 29, v16
	v_cmp_gt_i64_e32 vcc, 0, v[18:19]
	v_not_b32_e32 v19, v19
	v_and_b32_e32 v17, exec_hi, v17
	v_ashrrev_i32_e32 v19, 31, v19
	v_and_b32_e32 v17, v17, v37
	v_xor_b32_e32 v37, vcc_hi, v19
	v_xor_b32_e32 v19, vcc_lo, v19
	v_and_b32_e32 v34, v34, v19
	v_lshlrev_b32_e32 v19, 28, v16
	v_cmp_gt_i64_e32 vcc, 0, v[18:19]
	v_not_b32_e32 v19, v19
	v_ashrrev_i32_e32 v19, 31, v19
	v_and_b32_e32 v17, v17, v37
	v_xor_b32_e32 v37, vcc_hi, v19
	v_xor_b32_e32 v19, vcc_lo, v19
	v_and_b32_e32 v34, v34, v19
	v_lshlrev_b32_e32 v19, 27, v16
	v_cmp_gt_i64_e32 vcc, 0, v[18:19]
	v_not_b32_e32 v19, v19
	;; [unrolled: 8-line block ×4, first 2 shown]
	v_ashrrev_i32_e32 v19, 31, v19
	v_and_b32_e32 v17, v17, v37
	v_xor_b32_e32 v37, vcc_hi, v19
	v_xor_b32_e32 v19, vcc_lo, v19
	v_and_b32_e32 v34, v34, v19
	v_lshlrev_b32_e32 v19, 24, v16
	v_not_b32_e32 v16, v19
	v_cmp_gt_i64_e32 vcc, 0, v[18:19]
	v_ashrrev_i32_e32 v16, 31, v16
	v_xor_b32_e32 v19, vcc_hi, v16
	v_xor_b32_e32 v16, vcc_lo, v16
	; wave barrier
	ds_read_b32 v33, v36 offset:64
	v_and_b32_e32 v17, v17, v37
	v_and_b32_e32 v16, v34, v16
	;; [unrolled: 1-line block ×3, first 2 shown]
	v_mbcnt_lo_u32_b32 v19, v16, 0
	v_mbcnt_hi_u32_b32 v34, v17, v19
	v_cmp_eq_u32_e32 vcc, 0, v34
	v_cmp_ne_u64_e64 s[2:3], 0, v[16:17]
	s_and_b64 s[10:11], s[2:3], vcc
	; wave barrier
	s_and_saveexec_b64 s[2:3], s[10:11]
	s_cbranch_execz .LBB2619_27
; %bb.26:
	v_bcnt_u32_b32 v16, v16, 0
	v_bcnt_u32_b32 v16, v17, v16
	s_waitcnt lgkmcnt(0)
	v_add_u32_e32 v16, v33, v16
	ds_write_b32 v36, v16 offset:64
.LBB2619_27:
	s_or_b64 exec, exec, s[2:3]
	v_cmp_gt_i64_e32 vcc, 0, v[12:13]
	v_ashrrev_i32_e32 v17, 31, v13
	v_cndmask_b32_e64 v16, v35, 0, vcc
	v_not_b32_e32 v19, v17
	v_xor_b32_e32 v17, v16, v13
	v_xor_b32_e32 v16, v19, v12
	v_cmp_ne_u64_e32 vcc, s[8:9], v[16:17]
	v_cndmask_b32_e32 v13, v35, v17, vcc
	v_cndmask_b32_e32 v12, -1, v16, vcc
	v_lshrrev_b64 v[12:13], s20, v[12:13]
	v_and_b32_e32 v12, s31, v12
	v_lshl_add_u32 v13, v12, 4, v12
	v_add_lshl_u32 v23, v13, v23, 2
	v_and_b32_e32 v13, 1, v12
	v_add_co_u32_e32 v19, vcc, -1, v13
	v_addc_co_u32_e64 v37, s[2:3], 0, -1, vcc
	v_cmp_ne_u32_e32 vcc, 0, v13
	v_xor_b32_e32 v19, vcc_lo, v19
	v_xor_b32_e32 v13, vcc_hi, v37
	v_and_b32_e32 v37, exec_lo, v19
	v_lshlrev_b32_e32 v19, 30, v12
	v_cmp_gt_i64_e32 vcc, 0, v[18:19]
	v_not_b32_e32 v19, v19
	v_ashrrev_i32_e32 v19, 31, v19
	v_xor_b32_e32 v39, vcc_hi, v19
	v_xor_b32_e32 v19, vcc_lo, v19
	v_and_b32_e32 v37, v37, v19
	v_lshlrev_b32_e32 v19, 29, v12
	v_cmp_gt_i64_e32 vcc, 0, v[18:19]
	v_not_b32_e32 v19, v19
	v_and_b32_e32 v13, exec_hi, v13
	v_ashrrev_i32_e32 v19, 31, v19
	v_and_b32_e32 v13, v13, v39
	v_xor_b32_e32 v39, vcc_hi, v19
	v_xor_b32_e32 v19, vcc_lo, v19
	v_and_b32_e32 v37, v37, v19
	v_lshlrev_b32_e32 v19, 28, v12
	v_cmp_gt_i64_e32 vcc, 0, v[18:19]
	v_not_b32_e32 v19, v19
	v_ashrrev_i32_e32 v19, 31, v19
	v_and_b32_e32 v13, v13, v39
	v_xor_b32_e32 v39, vcc_hi, v19
	v_xor_b32_e32 v19, vcc_lo, v19
	v_and_b32_e32 v37, v37, v19
	v_lshlrev_b32_e32 v19, 27, v12
	v_cmp_gt_i64_e32 vcc, 0, v[18:19]
	v_not_b32_e32 v19, v19
	;; [unrolled: 8-line block ×4, first 2 shown]
	v_ashrrev_i32_e32 v19, 31, v19
	v_and_b32_e32 v13, v13, v39
	v_xor_b32_e32 v39, vcc_hi, v19
	v_xor_b32_e32 v19, vcc_lo, v19
	v_and_b32_e32 v37, v37, v19
	v_lshlrev_b32_e32 v19, 24, v12
	v_not_b32_e32 v12, v19
	v_cmp_gt_i64_e32 vcc, 0, v[18:19]
	v_ashrrev_i32_e32 v12, 31, v12
	v_xor_b32_e32 v18, vcc_hi, v12
	v_xor_b32_e32 v12, vcc_lo, v12
	; wave barrier
	ds_read_b32 v35, v23 offset:64
	v_and_b32_e32 v13, v13, v39
	v_and_b32_e32 v12, v37, v12
	;; [unrolled: 1-line block ×3, first 2 shown]
	v_mbcnt_lo_u32_b32 v18, v12, 0
	v_mbcnt_hi_u32_b32 v37, v13, v18
	v_cmp_eq_u32_e32 vcc, 0, v37
	v_cmp_ne_u64_e64 s[2:3], 0, v[12:13]
	v_add_u32_e32 v38, 64, v3
	s_and_b64 s[8:9], s[2:3], vcc
	; wave barrier
	s_and_saveexec_b64 s[2:3], s[8:9]
	s_cbranch_execz .LBB2619_29
; %bb.28:
	v_bcnt_u32_b32 v12, v12, 0
	v_bcnt_u32_b32 v12, v13, v12
	s_waitcnt lgkmcnt(0)
	v_add_u32_e32 v12, v35, v12
	ds_write_b32 v23, v12 offset:64
.LBB2619_29:
	s_or_b64 exec, exec, s[2:3]
	; wave barrier
	s_waitcnt lgkmcnt(0)
	s_barrier
	ds_read2_b32 v[18:19], v3 offset0:16 offset1:17
	ds_read2_b32 v[12:13], v38 offset0:2 offset1:3
	ds_read_b32 v39, v38 offset:16
	v_cmp_lt_u32_e64 s[12:13], 31, v1
	s_waitcnt lgkmcnt(1)
	v_add3_u32 v40, v19, v18, v12
	s_waitcnt lgkmcnt(0)
	v_add3_u32 v39, v40, v13, v39
	v_and_b32_e32 v40, 15, v1
	v_cmp_eq_u32_e32 vcc, 0, v40
	v_mov_b32_dpp v41, v39 row_shr:1 row_mask:0xf bank_mask:0xf
	v_cndmask_b32_e64 v41, v41, 0, vcc
	v_add_u32_e32 v39, v41, v39
	v_cmp_lt_u32_e64 s[2:3], 1, v40
	v_cmp_lt_u32_e64 s[10:11], 3, v40
	v_mov_b32_dpp v41, v39 row_shr:2 row_mask:0xf bank_mask:0xf
	v_cndmask_b32_e64 v41, 0, v41, s[2:3]
	v_add_u32_e32 v39, v39, v41
	v_cmp_lt_u32_e64 s[8:9], 7, v40
	s_nop 0
	v_mov_b32_dpp v41, v39 row_shr:4 row_mask:0xf bank_mask:0xf
	v_cndmask_b32_e64 v41, 0, v41, s[10:11]
	v_add_u32_e32 v39, v39, v41
	s_nop 1
	v_mov_b32_dpp v41, v39 row_shr:8 row_mask:0xf bank_mask:0xf
	v_cndmask_b32_e64 v40, 0, v41, s[8:9]
	v_add_u32_e32 v39, v39, v40
	v_bfe_i32 v41, v1, 4, 1
	s_nop 0
	v_mov_b32_dpp v40, v39 row_bcast:15 row_mask:0xf bank_mask:0xf
	v_and_b32_e32 v40, v41, v40
	v_add_u32_e32 v39, v39, v40
	v_and_b32_e32 v41, 63, v2
	s_nop 0
	v_mov_b32_dpp v40, v39 row_bcast:31 row_mask:0xf bank_mask:0xf
	v_cndmask_b32_e64 v40, 0, v40, s[12:13]
	v_add_u32_e32 v39, v39, v40
	v_lshrrev_b32_e32 v40, 6, v2
	v_cmp_eq_u32_e64 s[12:13], 63, v41
	s_and_saveexec_b64 s[22:23], s[12:13]
	s_cbranch_execz .LBB2619_31
; %bb.30:
	v_lshlrev_b32_e32 v41, 2, v40
	ds_write_b32 v41, v39
.LBB2619_31:
	s_or_b64 exec, exec, s[22:23]
	v_cmp_gt_u32_e64 s[12:13], 16, v2
	s_waitcnt lgkmcnt(0)
	s_barrier
	s_and_saveexec_b64 s[22:23], s[12:13]
	s_cbranch_execz .LBB2619_33
; %bb.32:
	v_lshlrev_b32_e32 v41, 2, v2
	ds_read_b32 v42, v41
	s_waitcnt lgkmcnt(0)
	s_nop 0
	v_mov_b32_dpp v43, v42 row_shr:1 row_mask:0xf bank_mask:0xf
	v_cndmask_b32_e64 v43, v43, 0, vcc
	v_add_u32_e32 v42, v43, v42
	s_nop 1
	v_mov_b32_dpp v43, v42 row_shr:2 row_mask:0xf bank_mask:0xf
	v_cndmask_b32_e64 v43, 0, v43, s[2:3]
	v_add_u32_e32 v42, v42, v43
	s_nop 1
	v_mov_b32_dpp v43, v42 row_shr:4 row_mask:0xf bank_mask:0xf
	v_cndmask_b32_e64 v43, 0, v43, s[10:11]
	;; [unrolled: 4-line block ×3, first 2 shown]
	v_add_u32_e32 v42, v42, v43
	ds_write_b32 v41, v42
.LBB2619_33:
	s_or_b64 exec, exec, s[22:23]
	v_cmp_lt_u32_e32 vcc, 63, v2
	v_mov_b32_e32 v41, 0
	s_waitcnt lgkmcnt(0)
	s_barrier
	s_and_saveexec_b64 s[2:3], vcc
	s_cbranch_execz .LBB2619_35
; %bb.34:
	v_lshl_add_u32 v40, v40, 2, -4
	ds_read_b32 v41, v40
.LBB2619_35:
	s_or_b64 exec, exec, s[2:3]
	v_add_u32_e32 v40, -1, v1
	v_and_b32_e32 v42, 64, v1
	v_cmp_lt_i32_e32 vcc, v40, v42
	v_cndmask_b32_e32 v40, v40, v1, vcc
	s_waitcnt lgkmcnt(0)
	v_add_u32_e32 v39, v41, v39
	v_lshlrev_b32_e32 v40, 2, v40
	ds_bpermute_b32 v39, v40, v39
	v_cmp_eq_u32_e32 vcc, 0, v1
	s_movk_i32 s8, 0xff
	s_movk_i32 s2, 0x100
	v_cmp_gt_u32_e64 s[2:3], s2, v2
	s_waitcnt lgkmcnt(0)
	v_cndmask_b32_e32 v1, v39, v41, vcc
	v_cndmask_b32_e64 v1, v1, 0, s[0:1]
	v_add_u32_e32 v18, v1, v18
	v_add_u32_e32 v19, v18, v19
	;; [unrolled: 1-line block ×4, first 2 shown]
	ds_write2_b32 v3, v1, v18 offset0:16 offset1:17
	ds_write2_b32 v38, v19, v12 offset0:2 offset1:3
	ds_write_b32 v38, v13 offset:16
	s_waitcnt lgkmcnt(0)
	s_barrier
	ds_read_b32 v40, v20 offset:64
	ds_read_b32 v1, v21 offset:64
	;; [unrolled: 1-line block ×6, first 2 shown]
	v_cmp_lt_u32_e32 vcc, s8, v2
	v_pk_mov_b32 v[12:13], 0, 0
                                        ; implicit-def: $vgpr29
	s_and_saveexec_b64 s[10:11], s[2:3]
	s_cbranch_execz .LBB2619_39
; %bb.36:
	v_mul_u32_u24_e32 v3, 17, v2
	v_lshlrev_b32_e32 v13, 2, v3
	ds_read_b32 v12, v13 offset:64
	v_cmp_ne_u32_e64 s[8:9], s8, v2
	v_mov_b32_e32 v3, 0x1800
	s_and_saveexec_b64 s[12:13], s[8:9]
	s_cbranch_execz .LBB2619_38
; %bb.37:
	ds_read_b32 v3, v13 offset:132
.LBB2619_38:
	s_or_b64 exec, exec, s[12:13]
	s_waitcnt lgkmcnt(0)
	v_sub_u32_e32 v29, v3, v12
	v_mov_b32_e32 v13, 0
.LBB2619_39:
	s_or_b64 exec, exec, s[10:11]
	s_waitcnt lgkmcnt(0)
	s_barrier
	s_and_saveexec_b64 s[8:9], vcc
	s_xor_b64 s[8:9], exec, s[8:9]
; %bb.40:
	v_mov_b32_e32 v3, 0
; %bb.41:
	s_andn2_saveexec_b64 s[8:9], s[8:9]
	s_cbranch_execz .LBB2619_51
; %bb.42:
	v_lshl_or_b32 v18, s30, 8, v2
	v_mov_b32_e32 v19, 0
	v_lshlrev_b64 v[20:21], 2, v[18:19]
	v_mov_b32_e32 v3, s15
	v_add_co_u32_e32 v20, vcc, s14, v20
	v_addc_co_u32_e32 v21, vcc, v3, v21, vcc
	v_or_b32_e32 v18, 2.0, v29
	s_mov_b64 s[10:11], 0
	s_brev_b32 s33, 1
	s_mov_b32 s34, s30
	v_mov_b32_e32 v42, 0
	global_store_dword v[20:21], v18, off
                                        ; implicit-def: $sgpr12_sgpr13
	s_branch .LBB2619_44
.LBB2619_43:                            ;   in Loop: Header=BB2619_44 Depth=1
	s_or_b64 exec, exec, s[12:13]
	v_and_b32_e32 v22, 0x3fffffff, v43
	v_add_u32_e32 v42, v22, v42
	v_cmp_eq_u32_e64 s[12:13], s33, v18
	s_and_b64 s[22:23], exec, s[12:13]
	s_or_b64 s[10:11], s[22:23], s[10:11]
	s_andn2_b64 exec, exec, s[10:11]
	s_cbranch_execz .LBB2619_50
.LBB2619_44:                            ; =>This Loop Header: Depth=1
                                        ;     Child Loop BB2619_47 Depth 2
	s_or_b64 s[12:13], s[12:13], exec
	s_cmp_eq_u32 s34, 0
	s_cbranch_scc1 .LBB2619_49
; %bb.45:                               ;   in Loop: Header=BB2619_44 Depth=1
	s_add_i32 s34, s34, -1
	v_lshl_or_b32 v18, s34, 8, v2
	v_lshlrev_b64 v[22:23], 2, v[18:19]
	v_add_co_u32_e32 v22, vcc, s14, v22
	v_addc_co_u32_e32 v23, vcc, v3, v23, vcc
	global_load_dword v43, v[22:23], off glc
	s_waitcnt vmcnt(0)
	v_and_b32_e32 v18, -2.0, v43
	v_cmp_eq_u32_e32 vcc, 0, v18
	s_and_saveexec_b64 s[12:13], vcc
	s_cbranch_execz .LBB2619_43
; %bb.46:                               ;   in Loop: Header=BB2619_44 Depth=1
	s_mov_b64 s[22:23], 0
.LBB2619_47:                            ;   Parent Loop BB2619_44 Depth=1
                                        ; =>  This Inner Loop Header: Depth=2
	global_load_dword v43, v[22:23], off glc
	s_waitcnt vmcnt(0)
	v_and_b32_e32 v18, -2.0, v43
	v_cmp_ne_u32_e32 vcc, 0, v18
	s_or_b64 s[22:23], vcc, s[22:23]
	s_andn2_b64 exec, exec, s[22:23]
	s_cbranch_execnz .LBB2619_47
; %bb.48:                               ;   in Loop: Header=BB2619_44 Depth=1
	s_or_b64 exec, exec, s[22:23]
	s_branch .LBB2619_43
.LBB2619_49:                            ;   in Loop: Header=BB2619_44 Depth=1
                                        ; implicit-def: $sgpr34
	s_and_b64 s[22:23], exec, s[12:13]
	s_or_b64 s[10:11], s[22:23], s[10:11]
	s_andn2_b64 exec, exec, s[10:11]
	s_cbranch_execnz .LBB2619_44
.LBB2619_50:
	s_or_b64 exec, exec, s[10:11]
	v_add_u32_e32 v3, v42, v29
	v_or_b32_e32 v3, 0x80000000, v3
	global_store_dword v[20:21], v3, off
	v_lshlrev_b32_e32 v20, 3, v2
	global_load_dwordx2 v[18:19], v20, s[16:17]
	v_sub_co_u32_e32 v21, vcc, v42, v12
	v_subb_co_u32_e32 v22, vcc, 0, v13, vcc
	v_mov_b32_e32 v3, 0
	s_waitcnt vmcnt(0)
	v_add_co_u32_e32 v18, vcc, v21, v18
	v_addc_co_u32_e32 v19, vcc, v22, v19, vcc
	ds_write_b64 v20, v[18:19]
.LBB2619_51:
	s_or_b64 exec, exec, s[8:9]
	v_add_u32_e32 v19, v40, v25
	v_add3_u32 v25, v32, v39, v31
	v_add3_u32 v28, v30, v38, v28
	v_lshlrev_b64 v[30:31], 3, v[2:3]
	v_lshlrev_b32_e32 v20, 3, v2
	v_add3_u32 v26, v27, v1, v26
	v_mov_b32_e32 v1, s27
	v_add_co_u32_e32 v18, vcc, s26, v30
	s_mov_b32 s10, 0
	v_add_u32_e32 v21, 0x800, v20
	v_add3_u32 v22, v37, v41, v35
	v_add3_u32 v23, v34, v36, v33
	v_addc_co_u32_e32 v1, vcc, v1, v31, vcc
	s_brev_b32 s11, 1
	v_bfrev_b32_e32 v27, -2
	v_mov_b32_e32 v30, v2
	s_mov_b32 s22, s10
	s_branch .LBB2619_53
.LBB2619_52:                            ;   in Loop: Header=BB2619_53 Depth=1
	s_or_b64 exec, exec, s[12:13]
	s_addk_i32 s22, 0xf800
	v_add_co_u32_e32 v18, vcc, 0x4000, v18
	v_addc_co_u32_e32 v1, vcc, 0, v1, vcc
	s_cmpk_eq_i32 s22, 0xe800
	v_add_u32_e32 v30, 0x800, v30
	s_barrier
	s_cbranch_scc1 .LBB2619_58
.LBB2619_53:                            ; =>This Inner Loop Header: Depth=1
	v_add_u32_e32 v31, s22, v19
	v_min_u32_e32 v31, 0x800, v31
	v_lshlrev_b32_e32 v31, 3, v31
	ds_write_b64 v31, v[4:5] offset:2048
	v_add_u32_e32 v31, s22, v26
	v_min_u32_e32 v31, 0x800, v31
	v_lshlrev_b32_e32 v31, 3, v31
	ds_write_b64 v31, v[6:7] offset:2048
	;; [unrolled: 4-line block ×5, first 2 shown]
	v_add_u32_e32 v31, s22, v22
	v_min_u32_e32 v31, 0x800, v31
	v_lshlrev_b32_e32 v31, 3, v31
	v_cmp_gt_u32_e32 vcc, s7, v30
	ds_write_b64 v31, v[16:17] offset:2048
	s_waitcnt lgkmcnt(0)
	s_barrier
	s_and_saveexec_b64 s[12:13], vcc
	s_cbranch_execz .LBB2619_55
; %bb.54:                               ;   in Loop: Header=BB2619_53 Depth=1
	ds_read_b64 v[32:33], v20 offset:2048
	s_waitcnt lgkmcnt(0)
	v_cmp_ne_u64_e32 vcc, s[10:11], v[32:33]
	v_cndmask_b32_e32 v35, v27, v33, vcc
	v_cndmask_b32_e32 v34, -1, v32, vcc
	v_lshrrev_b64 v[34:35], s20, v[34:35]
	v_and_b32_e32 v34, s31, v34
	v_lshlrev_b32_e32 v34, 3, v34
	ds_read_b64 v[34:35], v34
	v_cmp_gt_i64_e64 s[8:9], 0, v[32:33]
	v_ashrrev_i32_e32 v36, 31, v33
	v_cndmask_b32_e64 v31, v27, 0, s[8:9]
	v_not_b32_e32 v36, v36
	s_waitcnt lgkmcnt(0)
	v_lshlrev_b64 v[34:35], 3, v[34:35]
	v_add_co_u32_e32 v34, vcc, v18, v34
	v_xor_b32_e32 v33, v31, v33
	v_xor_b32_e32 v32, v36, v32
	v_addc_co_u32_e32 v35, vcc, v1, v35, vcc
	global_store_dwordx2 v[34:35], v[32:33], off
.LBB2619_55:                            ;   in Loop: Header=BB2619_53 Depth=1
	s_or_b64 exec, exec, s[12:13]
	v_add_u32_e32 v31, 0x400, v30
	v_cmp_gt_u32_e32 vcc, s7, v31
	s_and_saveexec_b64 s[12:13], vcc
	s_cbranch_execz .LBB2619_52
; %bb.56:                               ;   in Loop: Header=BB2619_53 Depth=1
	ds_read_b64 v[32:33], v21 offset:8192
	s_waitcnt lgkmcnt(0)
	v_cmp_ne_u64_e32 vcc, s[10:11], v[32:33]
	v_cndmask_b32_e32 v35, v27, v33, vcc
	v_cndmask_b32_e32 v34, -1, v32, vcc
	v_lshrrev_b64 v[34:35], s20, v[34:35]
	v_and_b32_e32 v34, s31, v34
	v_lshlrev_b32_e32 v34, 3, v34
	ds_read_b64 v[34:35], v34
	v_cmp_gt_i64_e64 s[8:9], 0, v[32:33]
	v_cndmask_b32_e64 v31, v27, 0, s[8:9]
	v_ashrrev_i32_e32 v36, 31, v33
	v_xor_b32_e32 v33, v31, v33
	s_waitcnt lgkmcnt(0)
	v_lshlrev_b64 v[34:35], 3, v[34:35]
	v_add_co_u32_e32 v31, vcc, v18, v34
	v_addc_co_u32_e32 v35, vcc, v1, v35, vcc
	v_not_b32_e32 v36, v36
	v_add_co_u32_e32 v34, vcc, 0x2000, v31
	v_xor_b32_e32 v32, v36, v32
	v_addc_co_u32_e32 v35, vcc, 0, v35, vcc
	global_store_dwordx2 v[34:35], v[32:33], off
	s_branch .LBB2619_52
.LBB2619_57:
	s_mov_b64 s[2:3], 0
                                        ; implicit-def: $vgpr12_vgpr13
                                        ; implicit-def: $vgpr29
	s_cbranch_execnz .LBB2619_59
	s_branch .LBB2619_96
.LBB2619_58:
	s_add_i32 s29, s29, -1
	s_cmp_eq_u32 s29, s30
	s_cselect_b64 s[8:9], -1, 0
	s_and_b64 s[2:3], s[2:3], s[8:9]
	s_branch .LBB2619_96
.LBB2619_59:
	s_mov_b32 s29, 0
	v_mbcnt_hi_u32_b32 v3, -1, v24
	s_lshl_b64 s[2:3], s[28:29], 3
	v_and_b32_e32 v1, 63, v3
	s_add_u32 s2, s24, s2
	v_lshlrev_b32_e32 v1, 3, v1
	v_add_co_u32_e32 v1, vcc, s2, v1
	s_load_dword s12, s[4:5], 0x58
	s_load_dword s2, s[4:5], 0x64
	s_addc_u32 s3, s25, s3
	v_and_b32_e32 v4, 0x3c0, v2
	v_mul_u32_u24_e32 v4, 6, v4
	v_mov_b32_e32 v5, s3
	v_addc_co_u32_e32 v5, vcc, 0, v5, vcc
	v_lshlrev_b32_e32 v4, 3, v4
	s_add_u32 s3, s4, 0x58
	v_add_co_u32_e32 v16, vcc, v1, v4
	s_addc_u32 s4, s5, 0
	s_waitcnt lgkmcnt(0)
	s_lshr_b32 s7, s2, 16
	v_addc_co_u32_e32 v17, vcc, 0, v5, vcc
	s_cmp_lt_u32 s6, s12
	global_load_dwordx2 v[22:23], v[16:17], off
	s_cselect_b32 s2, 12, 18
	s_add_u32 s2, s3, s2
	v_mov_b32_e32 v6, 0
	s_addc_u32 s3, s4, 0
	global_load_ushort v7, v6, s[2:3]
	v_mul_u32_u24_e32 v4, 5, v2
	v_lshlrev_b32_e32 v18, 2, v4
	ds_write2_b32 v18, v6, v6 offset0:16 offset1:17
	ds_write2_b32 v18, v6, v6 offset0:18 offset1:19
	ds_write_b32 v18, v6 offset:80
	global_load_dwordx2 v[4:5], v[16:17], off offset:512
	global_load_dwordx2 v[14:15], v[16:17], off offset:1024
	;; [unrolled: 1-line block ×5, first 2 shown]
	v_bfe_u32 v1, v0, 10, 10
	v_bfe_u32 v0, v0, 20, 10
	v_bfrev_b32_e32 v20, -2
	v_mad_u32_u24 v19, v0, s7, v1
	s_brev_b32 s5, 1
	s_mov_b32 s4, s29
	s_lshl_b32 s2, -1, s21
	s_not_b32 s13, s2
	s_waitcnt lgkmcnt(0)
	s_barrier
	s_waitcnt lgkmcnt(0)
	; wave barrier
	s_waitcnt vmcnt(6)
	v_cmp_gt_i64_e32 vcc, 0, v[22:23]
	v_ashrrev_i32_e32 v1, 31, v23
	v_cndmask_b32_e64 v0, v20, 0, vcc
	v_not_b32_e32 v16, v1
	v_xor_b32_e32 v1, v0, v23
	v_xor_b32_e32 v0, v16, v22
	s_waitcnt vmcnt(5)
	v_mad_u64_u32 v[16:17], s[2:3], v19, v7, v[2:3]
	v_cmp_ne_u64_e32 vcc, s[4:5], v[0:1]
	v_cndmask_b32_e32 v17, v20, v1, vcc
	v_lshrrev_b32_e32 v21, 6, v16
	v_cndmask_b32_e32 v16, -1, v0, vcc
	v_lshrrev_b64 v[16:17], s20, v[16:17]
	v_and_b32_e32 v16, s13, v16
	v_lshl_add_u32 v17, v16, 4, v16
	v_and_b32_e32 v22, 1, v16
	v_add_lshl_u32 v19, v21, v17, 2
	v_add_co_u32_e32 v17, vcc, -1, v22
	v_lshlrev_b32_e32 v7, 30, v16
	v_addc_co_u32_e64 v23, s[2:3], 0, -1, vcc
	v_cmp_ne_u32_e32 vcc, 0, v22
	v_cmp_gt_i64_e64 s[2:3], 0, v[6:7]
	v_not_b32_e32 v22, v7
	v_lshlrev_b32_e32 v7, 29, v16
	v_xor_b32_e32 v23, vcc_hi, v23
	v_xor_b32_e32 v17, vcc_lo, v17
	v_ashrrev_i32_e32 v22, 31, v22
	v_cmp_gt_i64_e32 vcc, 0, v[6:7]
	v_not_b32_e32 v24, v7
	v_lshlrev_b32_e32 v7, 28, v16
	v_and_b32_e32 v23, exec_hi, v23
	v_and_b32_e32 v17, exec_lo, v17
	v_xor_b32_e32 v25, s3, v22
	v_xor_b32_e32 v22, s2, v22
	v_ashrrev_i32_e32 v24, 31, v24
	v_cmp_gt_i64_e64 s[2:3], 0, v[6:7]
	v_not_b32_e32 v7, v7
	v_and_b32_e32 v23, v23, v25
	v_and_b32_e32 v17, v17, v22
	v_xor_b32_e32 v22, vcc_hi, v24
	v_xor_b32_e32 v24, vcc_lo, v24
	v_ashrrev_i32_e32 v7, 31, v7
	v_and_b32_e32 v22, v23, v22
	v_and_b32_e32 v17, v17, v24
	v_xor_b32_e32 v23, s3, v7
	v_xor_b32_e32 v7, s2, v7
	v_and_b32_e32 v17, v17, v7
	v_lshlrev_b32_e32 v7, 27, v16
	v_cmp_gt_i64_e32 vcc, 0, v[6:7]
	v_not_b32_e32 v7, v7
	v_ashrrev_i32_e32 v7, 31, v7
	v_and_b32_e32 v22, v22, v23
	v_xor_b32_e32 v23, vcc_hi, v7
	v_xor_b32_e32 v7, vcc_lo, v7
	v_and_b32_e32 v17, v17, v7
	v_lshlrev_b32_e32 v7, 26, v16
	v_cmp_gt_i64_e32 vcc, 0, v[6:7]
	v_not_b32_e32 v7, v7
	v_ashrrev_i32_e32 v7, 31, v7
	v_and_b32_e32 v22, v22, v23
	v_xor_b32_e32 v23, vcc_hi, v7
	v_xor_b32_e32 v7, vcc_lo, v7
	;; [unrolled: 8-line block ×3, first 2 shown]
	v_and_b32_e32 v22, v22, v23
	v_and_b32_e32 v23, v17, v7
	v_lshlrev_b32_e32 v7, 24, v16
	v_cmp_gt_i64_e32 vcc, 0, v[6:7]
	v_not_b32_e32 v7, v7
	v_ashrrev_i32_e32 v7, 31, v7
	v_xor_b32_e32 v16, vcc_hi, v7
	v_xor_b32_e32 v7, vcc_lo, v7
	v_and_b32_e32 v17, v22, v16
	v_and_b32_e32 v16, v23, v7
	v_mbcnt_lo_u32_b32 v7, v16, 0
	v_mbcnt_hi_u32_b32 v22, v17, v7
	v_cmp_eq_u32_e32 vcc, 0, v22
	v_cmp_ne_u64_e64 s[2:3], 0, v[16:17]
	s_and_b64 s[6:7], s[2:3], vcc
	s_and_saveexec_b64 s[2:3], s[6:7]
	s_cbranch_execz .LBB2619_61
; %bb.60:
	v_bcnt_u32_b32 v7, v16, 0
	v_bcnt_u32_b32 v7, v17, v7
	ds_write_b32 v19, v7 offset:64
.LBB2619_61:
	s_or_b64 exec, exec, s[2:3]
	s_waitcnt vmcnt(4)
	v_cmp_gt_i64_e32 vcc, 0, v[4:5]
	v_ashrrev_i32_e32 v16, 31, v5
	v_cndmask_b32_e64 v7, v20, 0, vcc
	v_not_b32_e32 v16, v16
	v_xor_b32_e32 v5, v7, v5
	v_xor_b32_e32 v4, v16, v4
	v_cmp_ne_u64_e32 vcc, s[4:5], v[4:5]
	v_cndmask_b32_e32 v17, v20, v5, vcc
	v_cndmask_b32_e32 v16, -1, v4, vcc
	v_lshrrev_b64 v[16:17], s20, v[16:17]
	v_and_b32_e32 v16, s13, v16
	v_lshl_add_u32 v7, v16, 4, v16
	v_add_lshl_u32 v20, v21, v7, 2
	v_and_b32_e32 v7, 1, v16
	v_add_co_u32_e32 v17, vcc, -1, v7
	v_addc_co_u32_e64 v24, s[2:3], 0, -1, vcc
	v_cmp_ne_u32_e32 vcc, 0, v7
	v_xor_b32_e32 v7, vcc_hi, v24
	v_and_b32_e32 v24, exec_hi, v7
	v_lshlrev_b32_e32 v7, 30, v16
	v_xor_b32_e32 v17, vcc_lo, v17
	v_cmp_gt_i64_e32 vcc, 0, v[6:7]
	v_not_b32_e32 v7, v7
	v_ashrrev_i32_e32 v7, 31, v7
	v_and_b32_e32 v17, exec_lo, v17
	v_xor_b32_e32 v25, vcc_hi, v7
	v_xor_b32_e32 v7, vcc_lo, v7
	v_and_b32_e32 v17, v17, v7
	v_lshlrev_b32_e32 v7, 29, v16
	v_cmp_gt_i64_e32 vcc, 0, v[6:7]
	v_not_b32_e32 v7, v7
	v_ashrrev_i32_e32 v7, 31, v7
	v_and_b32_e32 v24, v24, v25
	v_xor_b32_e32 v25, vcc_hi, v7
	v_xor_b32_e32 v7, vcc_lo, v7
	v_and_b32_e32 v17, v17, v7
	v_lshlrev_b32_e32 v7, 28, v16
	v_cmp_gt_i64_e32 vcc, 0, v[6:7]
	v_not_b32_e32 v7, v7
	v_ashrrev_i32_e32 v7, 31, v7
	v_and_b32_e32 v24, v24, v25
	;; [unrolled: 8-line block ×5, first 2 shown]
	v_xor_b32_e32 v25, vcc_hi, v7
	v_xor_b32_e32 v7, vcc_lo, v7
	v_and_b32_e32 v17, v17, v7
	v_lshlrev_b32_e32 v7, 24, v16
	v_cmp_gt_i64_e32 vcc, 0, v[6:7]
	v_not_b32_e32 v6, v7
	v_ashrrev_i32_e32 v6, 31, v6
	v_xor_b32_e32 v7, vcc_hi, v6
	v_xor_b32_e32 v6, vcc_lo, v6
	; wave barrier
	ds_read_b32 v23, v20 offset:64
	v_and_b32_e32 v24, v24, v25
	v_and_b32_e32 v6, v17, v6
	;; [unrolled: 1-line block ×3, first 2 shown]
	v_mbcnt_lo_u32_b32 v16, v6, 0
	v_mbcnt_hi_u32_b32 v24, v7, v16
	v_cmp_eq_u32_e32 vcc, 0, v24
	v_cmp_ne_u64_e64 s[2:3], 0, v[6:7]
	s_and_b64 s[4:5], s[2:3], vcc
	; wave barrier
	s_and_saveexec_b64 s[2:3], s[4:5]
	s_cbranch_execz .LBB2619_63
; %bb.62:
	v_bcnt_u32_b32 v6, v6, 0
	v_bcnt_u32_b32 v6, v7, v6
	s_waitcnt lgkmcnt(0)
	v_add_u32_e32 v6, v23, v6
	ds_write_b32 v20, v6 offset:64
.LBB2619_63:
	s_or_b64 exec, exec, s[2:3]
	v_bfrev_b32_e32 v27, -2
	s_waitcnt vmcnt(3)
	v_cmp_gt_i64_e32 vcc, 0, v[14:15]
	v_ashrrev_i32_e32 v7, 31, v15
	s_mov_b32 s4, 0
	v_cndmask_b32_e64 v6, v27, 0, vcc
	v_not_b32_e32 v17, v7
	s_brev_b32 s5, 1
	v_xor_b32_e32 v7, v6, v15
	v_xor_b32_e32 v6, v17, v14
	v_cmp_ne_u64_e32 vcc, s[4:5], v[6:7]
	v_cndmask_b32_e32 v15, v27, v7, vcc
	v_cndmask_b32_e32 v14, -1, v6, vcc
	v_lshrrev_b64 v[14:15], s20, v[14:15]
	v_and_b32_e32 v14, s13, v14
	v_lshl_add_u32 v15, v14, 4, v14
	v_add_lshl_u32 v28, v21, v15, 2
	v_and_b32_e32 v15, 1, v14
	v_add_co_u32_e32 v17, vcc, -1, v15
	v_addc_co_u32_e64 v26, s[2:3], 0, -1, vcc
	v_cmp_ne_u32_e32 vcc, 0, v15
	v_xor_b32_e32 v17, vcc_lo, v17
	v_mov_b32_e32 v16, 0
	v_xor_b32_e32 v15, vcc_hi, v26
	v_and_b32_e32 v26, exec_lo, v17
	v_lshlrev_b32_e32 v17, 30, v14
	v_cmp_gt_i64_e32 vcc, 0, v[16:17]
	v_not_b32_e32 v17, v17
	v_ashrrev_i32_e32 v17, 31, v17
	v_xor_b32_e32 v29, vcc_hi, v17
	v_xor_b32_e32 v17, vcc_lo, v17
	v_and_b32_e32 v26, v26, v17
	v_lshlrev_b32_e32 v17, 29, v14
	v_cmp_gt_i64_e32 vcc, 0, v[16:17]
	v_not_b32_e32 v17, v17
	v_and_b32_e32 v15, exec_hi, v15
	v_ashrrev_i32_e32 v17, 31, v17
	v_and_b32_e32 v15, v15, v29
	v_xor_b32_e32 v29, vcc_hi, v17
	v_xor_b32_e32 v17, vcc_lo, v17
	v_and_b32_e32 v26, v26, v17
	v_lshlrev_b32_e32 v17, 28, v14
	v_cmp_gt_i64_e32 vcc, 0, v[16:17]
	v_not_b32_e32 v17, v17
	v_ashrrev_i32_e32 v17, 31, v17
	v_and_b32_e32 v15, v15, v29
	v_xor_b32_e32 v29, vcc_hi, v17
	v_xor_b32_e32 v17, vcc_lo, v17
	v_and_b32_e32 v26, v26, v17
	v_lshlrev_b32_e32 v17, 27, v14
	v_cmp_gt_i64_e32 vcc, 0, v[16:17]
	v_not_b32_e32 v17, v17
	;; [unrolled: 8-line block ×4, first 2 shown]
	v_ashrrev_i32_e32 v17, 31, v17
	v_and_b32_e32 v15, v15, v29
	v_xor_b32_e32 v29, vcc_hi, v17
	v_xor_b32_e32 v17, vcc_lo, v17
	v_and_b32_e32 v26, v26, v17
	v_lshlrev_b32_e32 v17, 24, v14
	v_not_b32_e32 v14, v17
	v_cmp_gt_i64_e32 vcc, 0, v[16:17]
	v_ashrrev_i32_e32 v14, 31, v14
	v_xor_b32_e32 v17, vcc_hi, v14
	v_xor_b32_e32 v14, vcc_lo, v14
	; wave barrier
	ds_read_b32 v25, v28 offset:64
	v_and_b32_e32 v15, v15, v29
	v_and_b32_e32 v14, v26, v14
	;; [unrolled: 1-line block ×3, first 2 shown]
	v_mbcnt_lo_u32_b32 v17, v14, 0
	v_mbcnt_hi_u32_b32 v26, v15, v17
	v_cmp_eq_u32_e32 vcc, 0, v26
	v_cmp_ne_u64_e64 s[2:3], 0, v[14:15]
	s_and_b64 s[6:7], s[2:3], vcc
	; wave barrier
	s_and_saveexec_b64 s[2:3], s[6:7]
	s_cbranch_execz .LBB2619_65
; %bb.64:
	v_bcnt_u32_b32 v14, v14, 0
	v_bcnt_u32_b32 v14, v15, v14
	s_waitcnt lgkmcnt(0)
	v_add_u32_e32 v14, v25, v14
	ds_write_b32 v28, v14 offset:64
.LBB2619_65:
	s_or_b64 exec, exec, s[2:3]
	s_waitcnt vmcnt(2)
	v_cmp_gt_i64_e32 vcc, 0, v[8:9]
	v_ashrrev_i32_e32 v15, 31, v9
	v_cndmask_b32_e64 v14, v27, 0, vcc
	v_not_b32_e32 v15, v15
	v_xor_b32_e32 v9, v14, v9
	v_xor_b32_e32 v8, v15, v8
	v_cmp_ne_u64_e32 vcc, s[4:5], v[8:9]
	v_cndmask_b32_e32 v15, v27, v9, vcc
	v_cndmask_b32_e32 v14, -1, v8, vcc
	v_lshrrev_b64 v[14:15], s20, v[14:15]
	v_and_b32_e32 v14, s13, v14
	v_lshl_add_u32 v15, v14, 4, v14
	v_add_lshl_u32 v29, v21, v15, 2
	v_and_b32_e32 v15, 1, v14
	v_add_co_u32_e32 v17, vcc, -1, v15
	v_addc_co_u32_e64 v30, s[2:3], 0, -1, vcc
	v_cmp_ne_u32_e32 vcc, 0, v15
	v_xor_b32_e32 v17, vcc_lo, v17
	v_xor_b32_e32 v15, vcc_hi, v30
	v_and_b32_e32 v30, exec_lo, v17
	v_lshlrev_b32_e32 v17, 30, v14
	v_cmp_gt_i64_e32 vcc, 0, v[16:17]
	v_not_b32_e32 v17, v17
	v_ashrrev_i32_e32 v17, 31, v17
	v_xor_b32_e32 v31, vcc_hi, v17
	v_xor_b32_e32 v17, vcc_lo, v17
	v_and_b32_e32 v30, v30, v17
	v_lshlrev_b32_e32 v17, 29, v14
	v_cmp_gt_i64_e32 vcc, 0, v[16:17]
	v_not_b32_e32 v17, v17
	v_and_b32_e32 v15, exec_hi, v15
	v_ashrrev_i32_e32 v17, 31, v17
	v_and_b32_e32 v15, v15, v31
	v_xor_b32_e32 v31, vcc_hi, v17
	v_xor_b32_e32 v17, vcc_lo, v17
	v_and_b32_e32 v30, v30, v17
	v_lshlrev_b32_e32 v17, 28, v14
	v_cmp_gt_i64_e32 vcc, 0, v[16:17]
	v_not_b32_e32 v17, v17
	v_ashrrev_i32_e32 v17, 31, v17
	v_and_b32_e32 v15, v15, v31
	v_xor_b32_e32 v31, vcc_hi, v17
	v_xor_b32_e32 v17, vcc_lo, v17
	v_and_b32_e32 v30, v30, v17
	v_lshlrev_b32_e32 v17, 27, v14
	v_cmp_gt_i64_e32 vcc, 0, v[16:17]
	v_not_b32_e32 v17, v17
	;; [unrolled: 8-line block ×4, first 2 shown]
	v_ashrrev_i32_e32 v17, 31, v17
	v_and_b32_e32 v15, v15, v31
	v_xor_b32_e32 v31, vcc_hi, v17
	v_xor_b32_e32 v17, vcc_lo, v17
	v_and_b32_e32 v30, v30, v17
	v_lshlrev_b32_e32 v17, 24, v14
	v_not_b32_e32 v14, v17
	v_cmp_gt_i64_e32 vcc, 0, v[16:17]
	v_ashrrev_i32_e32 v14, 31, v14
	v_xor_b32_e32 v16, vcc_hi, v14
	v_xor_b32_e32 v14, vcc_lo, v14
	; wave barrier
	ds_read_b32 v27, v29 offset:64
	v_and_b32_e32 v15, v15, v31
	v_and_b32_e32 v14, v30, v14
	;; [unrolled: 1-line block ×3, first 2 shown]
	v_mbcnt_lo_u32_b32 v16, v14, 0
	v_mbcnt_hi_u32_b32 v30, v15, v16
	v_cmp_eq_u32_e32 vcc, 0, v30
	v_cmp_ne_u64_e64 s[2:3], 0, v[14:15]
	s_and_b64 s[4:5], s[2:3], vcc
	; wave barrier
	s_and_saveexec_b64 s[2:3], s[4:5]
	s_cbranch_execz .LBB2619_67
; %bb.66:
	v_bcnt_u32_b32 v14, v14, 0
	v_bcnt_u32_b32 v14, v15, v14
	s_waitcnt lgkmcnt(0)
	v_add_u32_e32 v14, v27, v14
	ds_write_b32 v29, v14 offset:64
.LBB2619_67:
	s_or_b64 exec, exec, s[2:3]
	v_bfrev_b32_e32 v33, -2
	s_waitcnt vmcnt(1)
	v_cmp_gt_i64_e32 vcc, 0, v[10:11]
	v_ashrrev_i32_e32 v15, 31, v11
	s_mov_b32 s4, 0
	v_cndmask_b32_e64 v14, v33, 0, vcc
	v_not_b32_e32 v15, v15
	s_brev_b32 s5, 1
	v_xor_b32_e32 v11, v14, v11
	v_xor_b32_e32 v10, v15, v10
	v_cmp_ne_u64_e32 vcc, s[4:5], v[10:11]
	v_cndmask_b32_e32 v15, v33, v11, vcc
	v_cndmask_b32_e32 v14, -1, v10, vcc
	v_lshrrev_b64 v[14:15], s20, v[14:15]
	v_and_b32_e32 v14, s13, v14
	v_lshl_add_u32 v15, v14, 4, v14
	v_add_lshl_u32 v34, v15, v21, 2
	v_and_b32_e32 v15, 1, v14
	v_add_co_u32_e32 v17, vcc, -1, v15
	v_addc_co_u32_e64 v32, s[2:3], 0, -1, vcc
	v_cmp_ne_u32_e32 vcc, 0, v15
	v_xor_b32_e32 v17, vcc_lo, v17
	v_mov_b32_e32 v16, 0
	v_xor_b32_e32 v15, vcc_hi, v32
	v_and_b32_e32 v32, exec_lo, v17
	v_lshlrev_b32_e32 v17, 30, v14
	v_cmp_gt_i64_e32 vcc, 0, v[16:17]
	v_not_b32_e32 v17, v17
	v_ashrrev_i32_e32 v17, 31, v17
	v_xor_b32_e32 v35, vcc_hi, v17
	v_xor_b32_e32 v17, vcc_lo, v17
	v_and_b32_e32 v32, v32, v17
	v_lshlrev_b32_e32 v17, 29, v14
	v_cmp_gt_i64_e32 vcc, 0, v[16:17]
	v_not_b32_e32 v17, v17
	v_and_b32_e32 v15, exec_hi, v15
	v_ashrrev_i32_e32 v17, 31, v17
	v_and_b32_e32 v15, v15, v35
	v_xor_b32_e32 v35, vcc_hi, v17
	v_xor_b32_e32 v17, vcc_lo, v17
	v_and_b32_e32 v32, v32, v17
	v_lshlrev_b32_e32 v17, 28, v14
	v_cmp_gt_i64_e32 vcc, 0, v[16:17]
	v_not_b32_e32 v17, v17
	v_ashrrev_i32_e32 v17, 31, v17
	v_and_b32_e32 v15, v15, v35
	v_xor_b32_e32 v35, vcc_hi, v17
	v_xor_b32_e32 v17, vcc_lo, v17
	v_and_b32_e32 v32, v32, v17
	v_lshlrev_b32_e32 v17, 27, v14
	v_cmp_gt_i64_e32 vcc, 0, v[16:17]
	v_not_b32_e32 v17, v17
	;; [unrolled: 8-line block ×4, first 2 shown]
	v_ashrrev_i32_e32 v17, 31, v17
	v_and_b32_e32 v15, v15, v35
	v_xor_b32_e32 v35, vcc_hi, v17
	v_xor_b32_e32 v17, vcc_lo, v17
	v_and_b32_e32 v32, v32, v17
	v_lshlrev_b32_e32 v17, 24, v14
	v_not_b32_e32 v14, v17
	v_cmp_gt_i64_e32 vcc, 0, v[16:17]
	v_ashrrev_i32_e32 v14, 31, v14
	v_xor_b32_e32 v17, vcc_hi, v14
	v_xor_b32_e32 v14, vcc_lo, v14
	; wave barrier
	ds_read_b32 v31, v34 offset:64
	v_and_b32_e32 v15, v15, v35
	v_and_b32_e32 v14, v32, v14
	v_and_b32_e32 v15, v15, v17
	v_mbcnt_lo_u32_b32 v17, v14, 0
	v_mbcnt_hi_u32_b32 v32, v15, v17
	v_cmp_eq_u32_e32 vcc, 0, v32
	v_cmp_ne_u64_e64 s[2:3], 0, v[14:15]
	s_and_b64 s[6:7], s[2:3], vcc
	; wave barrier
	s_and_saveexec_b64 s[2:3], s[6:7]
	s_cbranch_execz .LBB2619_69
; %bb.68:
	v_bcnt_u32_b32 v14, v14, 0
	v_bcnt_u32_b32 v14, v15, v14
	s_waitcnt lgkmcnt(0)
	v_add_u32_e32 v14, v31, v14
	ds_write_b32 v34, v14 offset:64
.LBB2619_69:
	s_or_b64 exec, exec, s[2:3]
	s_waitcnt vmcnt(0)
	v_cmp_gt_i64_e32 vcc, 0, v[12:13]
	v_ashrrev_i32_e32 v15, 31, v13
	v_cndmask_b32_e64 v14, v33, 0, vcc
	v_not_b32_e32 v17, v15
	v_xor_b32_e32 v15, v14, v13
	v_xor_b32_e32 v14, v17, v12
	v_cmp_ne_u64_e32 vcc, s[4:5], v[14:15]
	v_cndmask_b32_e32 v13, v33, v15, vcc
	v_cndmask_b32_e32 v12, -1, v14, vcc
	v_lshrrev_b64 v[12:13], s20, v[12:13]
	v_and_b32_e32 v12, s13, v12
	v_lshl_add_u32 v13, v12, 4, v12
	v_add_lshl_u32 v21, v13, v21, 2
	v_and_b32_e32 v13, 1, v12
	v_add_co_u32_e32 v17, vcc, -1, v13
	v_addc_co_u32_e64 v35, s[2:3], 0, -1, vcc
	v_cmp_ne_u32_e32 vcc, 0, v13
	v_xor_b32_e32 v17, vcc_lo, v17
	v_xor_b32_e32 v13, vcc_hi, v35
	v_and_b32_e32 v35, exec_lo, v17
	v_lshlrev_b32_e32 v17, 30, v12
	v_cmp_gt_i64_e32 vcc, 0, v[16:17]
	v_not_b32_e32 v17, v17
	v_ashrrev_i32_e32 v17, 31, v17
	v_xor_b32_e32 v37, vcc_hi, v17
	v_xor_b32_e32 v17, vcc_lo, v17
	v_and_b32_e32 v35, v35, v17
	v_lshlrev_b32_e32 v17, 29, v12
	v_cmp_gt_i64_e32 vcc, 0, v[16:17]
	v_not_b32_e32 v17, v17
	v_and_b32_e32 v13, exec_hi, v13
	v_ashrrev_i32_e32 v17, 31, v17
	v_and_b32_e32 v13, v13, v37
	v_xor_b32_e32 v37, vcc_hi, v17
	v_xor_b32_e32 v17, vcc_lo, v17
	v_and_b32_e32 v35, v35, v17
	v_lshlrev_b32_e32 v17, 28, v12
	v_cmp_gt_i64_e32 vcc, 0, v[16:17]
	v_not_b32_e32 v17, v17
	v_ashrrev_i32_e32 v17, 31, v17
	v_and_b32_e32 v13, v13, v37
	v_xor_b32_e32 v37, vcc_hi, v17
	v_xor_b32_e32 v17, vcc_lo, v17
	v_and_b32_e32 v35, v35, v17
	v_lshlrev_b32_e32 v17, 27, v12
	v_cmp_gt_i64_e32 vcc, 0, v[16:17]
	v_not_b32_e32 v17, v17
	;; [unrolled: 8-line block ×4, first 2 shown]
	v_ashrrev_i32_e32 v17, 31, v17
	v_and_b32_e32 v13, v13, v37
	v_xor_b32_e32 v37, vcc_hi, v17
	v_xor_b32_e32 v17, vcc_lo, v17
	v_and_b32_e32 v35, v35, v17
	v_lshlrev_b32_e32 v17, 24, v12
	v_not_b32_e32 v12, v17
	v_cmp_gt_i64_e32 vcc, 0, v[16:17]
	v_ashrrev_i32_e32 v12, 31, v12
	v_xor_b32_e32 v16, vcc_hi, v12
	v_xor_b32_e32 v12, vcc_lo, v12
	; wave barrier
	ds_read_b32 v33, v21 offset:64
	v_and_b32_e32 v13, v13, v37
	v_and_b32_e32 v12, v35, v12
	;; [unrolled: 1-line block ×3, first 2 shown]
	v_mbcnt_lo_u32_b32 v16, v12, 0
	v_mbcnt_hi_u32_b32 v35, v13, v16
	v_cmp_eq_u32_e32 vcc, 0, v35
	v_cmp_ne_u64_e64 s[2:3], 0, v[12:13]
	v_add_u32_e32 v36, 64, v18
	s_and_b64 s[4:5], s[2:3], vcc
	; wave barrier
	s_and_saveexec_b64 s[2:3], s[4:5]
	s_cbranch_execz .LBB2619_71
; %bb.70:
	v_bcnt_u32_b32 v12, v12, 0
	v_bcnt_u32_b32 v12, v13, v12
	s_waitcnt lgkmcnt(0)
	v_add_u32_e32 v12, v33, v12
	ds_write_b32 v21, v12 offset:64
.LBB2619_71:
	s_or_b64 exec, exec, s[2:3]
	; wave barrier
	s_waitcnt lgkmcnt(0)
	s_barrier
	ds_read2_b32 v[16:17], v18 offset0:16 offset1:17
	ds_read2_b32 v[12:13], v36 offset0:2 offset1:3
	ds_read_b32 v37, v36 offset:16
	v_cmp_lt_u32_e64 s[8:9], 31, v3
	s_waitcnt lgkmcnt(1)
	v_add3_u32 v38, v17, v16, v12
	s_waitcnt lgkmcnt(0)
	v_add3_u32 v37, v38, v13, v37
	v_and_b32_e32 v38, 15, v3
	v_cmp_eq_u32_e32 vcc, 0, v38
	v_mov_b32_dpp v39, v37 row_shr:1 row_mask:0xf bank_mask:0xf
	v_cndmask_b32_e64 v39, v39, 0, vcc
	v_add_u32_e32 v37, v39, v37
	v_cmp_lt_u32_e64 s[2:3], 1, v38
	v_cmp_lt_u32_e64 s[4:5], 3, v38
	v_mov_b32_dpp v39, v37 row_shr:2 row_mask:0xf bank_mask:0xf
	v_cndmask_b32_e64 v39, 0, v39, s[2:3]
	v_add_u32_e32 v37, v37, v39
	v_cmp_lt_u32_e64 s[6:7], 7, v38
	s_nop 0
	v_mov_b32_dpp v39, v37 row_shr:4 row_mask:0xf bank_mask:0xf
	v_cndmask_b32_e64 v39, 0, v39, s[4:5]
	v_add_u32_e32 v37, v37, v39
	s_nop 1
	v_mov_b32_dpp v39, v37 row_shr:8 row_mask:0xf bank_mask:0xf
	v_cndmask_b32_e64 v38, 0, v39, s[6:7]
	v_add_u32_e32 v37, v37, v38
	v_bfe_i32 v39, v3, 4, 1
	s_nop 0
	v_mov_b32_dpp v38, v37 row_bcast:15 row_mask:0xf bank_mask:0xf
	v_and_b32_e32 v38, v39, v38
	v_add_u32_e32 v37, v37, v38
	v_and_b32_e32 v39, 63, v2
	s_nop 0
	v_mov_b32_dpp v38, v37 row_bcast:31 row_mask:0xf bank_mask:0xf
	v_cndmask_b32_e64 v38, 0, v38, s[8:9]
	v_add_u32_e32 v37, v37, v38
	v_lshrrev_b32_e32 v38, 6, v2
	v_cmp_eq_u32_e64 s[8:9], 63, v39
	s_and_saveexec_b64 s[10:11], s[8:9]
	s_cbranch_execz .LBB2619_73
; %bb.72:
	v_lshlrev_b32_e32 v39, 2, v38
	ds_write_b32 v39, v37
.LBB2619_73:
	s_or_b64 exec, exec, s[10:11]
	v_cmp_gt_u32_e64 s[8:9], 16, v2
	s_waitcnt lgkmcnt(0)
	s_barrier
	s_and_saveexec_b64 s[10:11], s[8:9]
	s_cbranch_execz .LBB2619_75
; %bb.74:
	v_lshlrev_b32_e32 v39, 2, v2
	ds_read_b32 v40, v39
	s_waitcnt lgkmcnt(0)
	s_nop 0
	v_mov_b32_dpp v41, v40 row_shr:1 row_mask:0xf bank_mask:0xf
	v_cndmask_b32_e64 v41, v41, 0, vcc
	v_add_u32_e32 v40, v41, v40
	s_nop 1
	v_mov_b32_dpp v41, v40 row_shr:2 row_mask:0xf bank_mask:0xf
	v_cndmask_b32_e64 v41, 0, v41, s[2:3]
	v_add_u32_e32 v40, v40, v41
	s_nop 1
	v_mov_b32_dpp v41, v40 row_shr:4 row_mask:0xf bank_mask:0xf
	v_cndmask_b32_e64 v41, 0, v41, s[4:5]
	v_add_u32_e32 v40, v40, v41
	s_nop 1
	v_mov_b32_dpp v41, v40 row_shr:8 row_mask:0xf bank_mask:0xf
	v_cndmask_b32_e64 v41, 0, v41, s[6:7]
	v_add_u32_e32 v40, v40, v41
	ds_write_b32 v39, v40
.LBB2619_75:
	s_or_b64 exec, exec, s[10:11]
	v_cmp_lt_u32_e32 vcc, 63, v2
	v_mov_b32_e32 v39, 0
	s_waitcnt lgkmcnt(0)
	s_barrier
	s_and_saveexec_b64 s[2:3], vcc
	s_cbranch_execz .LBB2619_77
; %bb.76:
	v_lshl_add_u32 v38, v38, 2, -4
	ds_read_b32 v39, v38
.LBB2619_77:
	s_or_b64 exec, exec, s[2:3]
	v_add_u32_e32 v38, -1, v3
	v_and_b32_e32 v40, 64, v3
	v_cmp_lt_i32_e32 vcc, v38, v40
	v_cndmask_b32_e32 v38, v38, v3, vcc
	s_waitcnt lgkmcnt(0)
	v_add_u32_e32 v37, v39, v37
	v_lshlrev_b32_e32 v38, 2, v38
	ds_bpermute_b32 v37, v38, v37
	v_cmp_eq_u32_e32 vcc, 0, v3
	s_movk_i32 s2, 0xff
	s_waitcnt lgkmcnt(0)
	v_cndmask_b32_e32 v3, v37, v39, vcc
	v_cndmask_b32_e64 v3, v3, 0, s[0:1]
	v_add_u32_e32 v16, v3, v16
	v_add_u32_e32 v17, v16, v17
	;; [unrolled: 1-line block ×4, first 2 shown]
	ds_write2_b32 v18, v3, v16 offset0:16 offset1:17
	ds_write2_b32 v36, v17, v12 offset0:2 offset1:3
	ds_write_b32 v36, v13 offset:16
	s_waitcnt lgkmcnt(0)
	s_barrier
	ds_read_b32 v38, v19 offset:64
	ds_read_b32 v36, v20 offset:64
	;; [unrolled: 1-line block ×6, first 2 shown]
	s_movk_i32 s0, 0x100
	v_cmp_lt_u32_e32 vcc, s2, v2
	v_cmp_gt_u32_e64 s[0:1], s0, v2
	v_pk_mov_b32 v[12:13], 0, 0
                                        ; implicit-def: $vgpr29
	s_and_saveexec_b64 s[4:5], s[0:1]
	s_cbranch_execz .LBB2619_81
; %bb.78:
	v_mul_u32_u24_e32 v3, 17, v2
	v_lshlrev_b32_e32 v13, 2, v3
	ds_read_b32 v12, v13 offset:64
	v_cmp_ne_u32_e64 s[2:3], s2, v2
	v_mov_b32_e32 v3, 0x1800
	s_and_saveexec_b64 s[6:7], s[2:3]
	s_cbranch_execz .LBB2619_80
; %bb.79:
	ds_read_b32 v3, v13 offset:132
.LBB2619_80:
	s_or_b64 exec, exec, s[6:7]
	s_waitcnt lgkmcnt(0)
	v_sub_u32_e32 v29, v3, v12
	v_mov_b32_e32 v13, 0
.LBB2619_81:
	s_or_b64 exec, exec, s[4:5]
	s_waitcnt lgkmcnt(0)
	s_barrier
	s_and_saveexec_b64 s[2:3], vcc
	s_xor_b64 s[2:3], exec, s[2:3]
; %bb.82:
	v_mov_b32_e32 v3, 0
; %bb.83:
	s_andn2_saveexec_b64 s[2:3], s[2:3]
	s_cbranch_execz .LBB2619_93
; %bb.84:
	v_lshl_or_b32 v16, s30, 8, v2
	v_mov_b32_e32 v17, 0
	v_lshlrev_b64 v[18:19], 2, v[16:17]
	v_mov_b32_e32 v3, s15
	v_add_co_u32_e32 v18, vcc, s14, v18
	v_addc_co_u32_e32 v19, vcc, v3, v19, vcc
	v_or_b32_e32 v16, 2.0, v29
	s_mov_b64 s[4:5], 0
	s_brev_b32 s10, 1
	s_mov_b32 s11, s30
	v_mov_b32_e32 v40, 0
	global_store_dword v[18:19], v16, off
                                        ; implicit-def: $sgpr6_sgpr7
	s_branch .LBB2619_87
.LBB2619_85:                            ;   in Loop: Header=BB2619_87 Depth=1
	s_or_b64 exec, exec, s[8:9]
.LBB2619_86:                            ;   in Loop: Header=BB2619_87 Depth=1
	s_or_b64 exec, exec, s[6:7]
	v_and_b32_e32 v20, 0x3fffffff, v41
	v_add_u32_e32 v40, v20, v40
	v_cmp_eq_u32_e64 s[6:7], s10, v16
	s_and_b64 s[8:9], exec, s[6:7]
	s_or_b64 s[4:5], s[8:9], s[4:5]
	s_andn2_b64 exec, exec, s[4:5]
	s_cbranch_execz .LBB2619_92
.LBB2619_87:                            ; =>This Loop Header: Depth=1
                                        ;     Child Loop BB2619_90 Depth 2
	s_or_b64 s[6:7], s[6:7], exec
	s_cmp_eq_u32 s11, 0
	s_cbranch_scc1 .LBB2619_91
; %bb.88:                               ;   in Loop: Header=BB2619_87 Depth=1
	s_add_i32 s11, s11, -1
	v_lshl_or_b32 v16, s11, 8, v2
	v_lshlrev_b64 v[20:21], 2, v[16:17]
	v_add_co_u32_e32 v20, vcc, s14, v20
	v_addc_co_u32_e32 v21, vcc, v3, v21, vcc
	global_load_dword v41, v[20:21], off glc
	s_waitcnt vmcnt(0)
	v_and_b32_e32 v16, -2.0, v41
	v_cmp_eq_u32_e32 vcc, 0, v16
	s_and_saveexec_b64 s[6:7], vcc
	s_cbranch_execz .LBB2619_86
; %bb.89:                               ;   in Loop: Header=BB2619_87 Depth=1
	s_mov_b64 s[8:9], 0
.LBB2619_90:                            ;   Parent Loop BB2619_87 Depth=1
                                        ; =>  This Inner Loop Header: Depth=2
	global_load_dword v41, v[20:21], off glc
	s_waitcnt vmcnt(0)
	v_and_b32_e32 v16, -2.0, v41
	v_cmp_ne_u32_e32 vcc, 0, v16
	s_or_b64 s[8:9], vcc, s[8:9]
	s_andn2_b64 exec, exec, s[8:9]
	s_cbranch_execnz .LBB2619_90
	s_branch .LBB2619_85
.LBB2619_91:                            ;   in Loop: Header=BB2619_87 Depth=1
                                        ; implicit-def: $sgpr11
	s_and_b64 s[8:9], exec, s[6:7]
	s_or_b64 s[4:5], s[8:9], s[4:5]
	s_andn2_b64 exec, exec, s[4:5]
	s_cbranch_execnz .LBB2619_87
.LBB2619_92:
	s_or_b64 exec, exec, s[4:5]
	v_add_u32_e32 v3, v40, v29
	v_or_b32_e32 v3, 0x80000000, v3
	global_store_dword v[18:19], v3, off
	v_lshlrev_b32_e32 v18, 3, v2
	global_load_dwordx2 v[16:17], v18, s[16:17]
	v_sub_co_u32_e32 v19, vcc, v40, v12
	v_subb_co_u32_e32 v20, vcc, 0, v13, vcc
	v_mov_b32_e32 v3, 0
	s_waitcnt vmcnt(0)
	v_add_co_u32_e32 v16, vcc, v19, v16
	v_addc_co_u32_e32 v17, vcc, v20, v17, vcc
	ds_write_b64 v18, v[16:17]
.LBB2619_93:
	s_or_b64 exec, exec, s[2:3]
	v_lshlrev_b64 v[16:17], 3, v[2:3]
	v_lshlrev_b32_e32 v19, 3, v2
	v_add3_u32 v23, v24, v36, v23
	v_mov_b32_e32 v24, s27
	v_add_co_u32_e32 v16, vcc, s26, v16
	s_mov_b32 s6, 0
	v_add_u32_e32 v18, v38, v22
	v_add_u32_e32 v20, 0x800, v19
	v_add3_u32 v21, v35, v39, v33
	v_add3_u32 v22, v32, v34, v31
	;; [unrolled: 1-line block ×4, first 2 shown]
	v_addc_co_u32_e32 v17, vcc, v24, v17, vcc
	s_brev_b32 s7, 1
	v_bfrev_b32_e32 v24, -2
	s_mov_b32 s8, s6
.LBB2619_94:                            ; =>This Inner Loop Header: Depth=1
	v_add_u32_e32 v26, s8, v18
	v_add_u32_e32 v30, s8, v25
	;; [unrolled: 1-line block ×6, first 2 shown]
	v_min_u32_e32 v26, 0x800, v26
	v_min_u32_e32 v30, 0x800, v30
	;; [unrolled: 1-line block ×6, first 2 shown]
	v_lshlrev_b32_e32 v26, 3, v26
	v_lshlrev_b32_e32 v30, 3, v30
	v_lshlrev_b32_e32 v31, 3, v31
	v_lshlrev_b32_e32 v32, 3, v32
	v_lshlrev_b32_e32 v33, 3, v33
	v_lshlrev_b32_e32 v28, 3, v28
	ds_write_b64 v26, v[0:1] offset:2048
	ds_write_b64 v28, v[4:5] offset:2048
	;; [unrolled: 1-line block ×6, first 2 shown]
	s_waitcnt lgkmcnt(0)
	s_barrier
	ds_read_b64 v[30:31], v19 offset:2048
	ds_read_b64 v[32:33], v20 offset:8192
	s_addk_i32 s8, 0xf800
	s_cmpk_lg_i32 s8, 0xe800
	s_waitcnt lgkmcnt(1)
	v_cmp_ne_u64_e32 vcc, s[6:7], v[30:31]
	v_cmp_gt_i64_e64 s[2:3], 0, v[30:31]
	v_cndmask_b32_e32 v35, v24, v31, vcc
	v_cndmask_b32_e64 v26, v24, 0, s[2:3]
	s_waitcnt lgkmcnt(0)
	v_cmp_ne_u64_e64 s[2:3], s[6:7], v[32:33]
	v_ashrrev_i32_e32 v39, 31, v33
	v_cndmask_b32_e32 v34, -1, v30, vcc
	v_ashrrev_i32_e32 v28, 31, v31
	v_cndmask_b32_e64 v37, v24, v33, s[2:3]
	v_xor_b32_e32 v31, v26, v31
	v_cndmask_b32_e64 v36, -1, v32, s[2:3]
	v_not_b32_e32 v26, v39
	v_lshrrev_b64 v[34:35], s20, v[34:35]
	v_cmp_gt_i64_e64 s[4:5], 0, v[32:33]
	v_not_b32_e32 v28, v28
	v_lshrrev_b64 v[36:37], s20, v[36:37]
	v_xor_b32_e32 v32, v26, v32
	v_and_b32_e32 v26, s13, v34
	v_xor_b32_e32 v30, v28, v30
	v_and_b32_e32 v28, s13, v36
	v_lshlrev_b32_e32 v26, 3, v26
	v_lshlrev_b32_e32 v28, 3, v28
	ds_read_b64 v[34:35], v26
	ds_read_b64 v[36:37], v28
	v_cndmask_b32_e64 v38, v24, 0, s[4:5]
	v_xor_b32_e32 v33, v38, v33
	s_waitcnt lgkmcnt(1)
	v_lshlrev_b64 v[34:35], 3, v[34:35]
	v_add_co_u32_e32 v34, vcc, v16, v34
	s_waitcnt lgkmcnt(0)
	v_lshlrev_b64 v[36:37], 3, v[36:37]
	v_addc_co_u32_e32 v35, vcc, v17, v35, vcc
	v_add_co_u32_e32 v26, vcc, v16, v36
	v_addc_co_u32_e32 v28, vcc, v17, v37, vcc
	global_store_dwordx2 v[34:35], v[30:31], off
	v_add_co_u32_e32 v30, vcc, 0x2000, v26
	v_addc_co_u32_e32 v31, vcc, 0, v28, vcc
	v_add_co_u32_e32 v16, vcc, 0x4000, v16
	v_addc_co_u32_e32 v17, vcc, 0, v17, vcc
	global_store_dwordx2 v[30:31], v[32:33], off
	s_barrier
	s_cbranch_scc1 .LBB2619_94
; %bb.95:
	s_add_i32 s12, s12, -1
	s_cmp_eq_u32 s12, s30
	s_cselect_b64 s[2:3], -1, 0
	s_and_b64 s[2:3], s[0:1], s[2:3]
.LBB2619_96:
	s_and_saveexec_b64 s[0:1], s[2:3]
	s_cbranch_execnz .LBB2619_98
; %bb.97:
	s_endpgm
.LBB2619_98:
	v_lshlrev_b32_e32 v6, 3, v2
	v_lshlrev_b64 v[0:1], 3, v[2:3]
	ds_read_b64 v[2:3], v6
	v_add_co_u32_e32 v4, vcc, v12, v29
	v_addc_co_u32_e32 v5, vcc, 0, v13, vcc
	v_mov_b32_e32 v7, s19
	v_add_co_u32_e32 v0, vcc, s18, v0
	v_addc_co_u32_e32 v1, vcc, v7, v1, vcc
	s_waitcnt lgkmcnt(0)
	v_add_co_u32_e32 v2, vcc, v4, v2
	v_addc_co_u32_e32 v3, vcc, v5, v3, vcc
	global_store_dwordx2 v[0:1], v[2:3], off
	s_endpgm
	.section	.rodata,"a",@progbits
	.p2align	6, 0x0
	.amdhsa_kernel _ZN7rocprim17ROCPRIM_400000_NS6detail17trampoline_kernelINS0_14default_configENS1_35radix_sort_onesweep_config_selectorIdNS0_10empty_typeEEEZZNS1_29radix_sort_onesweep_iterationIS3_Lb1EPdS8_PS5_S9_mNS0_19identity_decomposerENS1_16block_id_wrapperIjLb1EEEEE10hipError_tT1_PNSt15iterator_traitsISE_E10value_typeET2_T3_PNSF_ISK_E10value_typeET4_T5_PSP_SQ_PNS1_23onesweep_lookback_stateEbbT6_jjT7_P12ihipStream_tbENKUlT_T0_SE_SJ_E_clIS8_S8_S9_S9_EEDaSX_SY_SE_SJ_EUlSX_E_NS1_11comp_targetILNS1_3genE4ELNS1_11target_archE910ELNS1_3gpuE8ELNS1_3repE0EEENS1_47radix_sort_onesweep_sort_config_static_selectorELNS0_4arch9wavefront6targetE1EEEvSE_
		.amdhsa_group_segment_fixed_size 20552
		.amdhsa_private_segment_fixed_size 0
		.amdhsa_kernarg_size 344
		.amdhsa_user_sgpr_count 6
		.amdhsa_user_sgpr_private_segment_buffer 1
		.amdhsa_user_sgpr_dispatch_ptr 0
		.amdhsa_user_sgpr_queue_ptr 0
		.amdhsa_user_sgpr_kernarg_segment_ptr 1
		.amdhsa_user_sgpr_dispatch_id 0
		.amdhsa_user_sgpr_flat_scratch_init 0
		.amdhsa_user_sgpr_kernarg_preload_length 0
		.amdhsa_user_sgpr_kernarg_preload_offset 0
		.amdhsa_user_sgpr_private_segment_size 0
		.amdhsa_uses_dynamic_stack 0
		.amdhsa_system_sgpr_private_segment_wavefront_offset 0
		.amdhsa_system_sgpr_workgroup_id_x 1
		.amdhsa_system_sgpr_workgroup_id_y 0
		.amdhsa_system_sgpr_workgroup_id_z 0
		.amdhsa_system_sgpr_workgroup_info 0
		.amdhsa_system_vgpr_workitem_id 2
		.amdhsa_next_free_vgpr 44
		.amdhsa_next_free_sgpr 35
		.amdhsa_accum_offset 44
		.amdhsa_reserve_vcc 1
		.amdhsa_reserve_flat_scratch 0
		.amdhsa_float_round_mode_32 0
		.amdhsa_float_round_mode_16_64 0
		.amdhsa_float_denorm_mode_32 3
		.amdhsa_float_denorm_mode_16_64 3
		.amdhsa_dx10_clamp 1
		.amdhsa_ieee_mode 1
		.amdhsa_fp16_overflow 0
		.amdhsa_tg_split 0
		.amdhsa_exception_fp_ieee_invalid_op 0
		.amdhsa_exception_fp_denorm_src 0
		.amdhsa_exception_fp_ieee_div_zero 0
		.amdhsa_exception_fp_ieee_overflow 0
		.amdhsa_exception_fp_ieee_underflow 0
		.amdhsa_exception_fp_ieee_inexact 0
		.amdhsa_exception_int_div_zero 0
	.end_amdhsa_kernel
	.section	.text._ZN7rocprim17ROCPRIM_400000_NS6detail17trampoline_kernelINS0_14default_configENS1_35radix_sort_onesweep_config_selectorIdNS0_10empty_typeEEEZZNS1_29radix_sort_onesweep_iterationIS3_Lb1EPdS8_PS5_S9_mNS0_19identity_decomposerENS1_16block_id_wrapperIjLb1EEEEE10hipError_tT1_PNSt15iterator_traitsISE_E10value_typeET2_T3_PNSF_ISK_E10value_typeET4_T5_PSP_SQ_PNS1_23onesweep_lookback_stateEbbT6_jjT7_P12ihipStream_tbENKUlT_T0_SE_SJ_E_clIS8_S8_S9_S9_EEDaSX_SY_SE_SJ_EUlSX_E_NS1_11comp_targetILNS1_3genE4ELNS1_11target_archE910ELNS1_3gpuE8ELNS1_3repE0EEENS1_47radix_sort_onesweep_sort_config_static_selectorELNS0_4arch9wavefront6targetE1EEEvSE_,"axG",@progbits,_ZN7rocprim17ROCPRIM_400000_NS6detail17trampoline_kernelINS0_14default_configENS1_35radix_sort_onesweep_config_selectorIdNS0_10empty_typeEEEZZNS1_29radix_sort_onesweep_iterationIS3_Lb1EPdS8_PS5_S9_mNS0_19identity_decomposerENS1_16block_id_wrapperIjLb1EEEEE10hipError_tT1_PNSt15iterator_traitsISE_E10value_typeET2_T3_PNSF_ISK_E10value_typeET4_T5_PSP_SQ_PNS1_23onesweep_lookback_stateEbbT6_jjT7_P12ihipStream_tbENKUlT_T0_SE_SJ_E_clIS8_S8_S9_S9_EEDaSX_SY_SE_SJ_EUlSX_E_NS1_11comp_targetILNS1_3genE4ELNS1_11target_archE910ELNS1_3gpuE8ELNS1_3repE0EEENS1_47radix_sort_onesweep_sort_config_static_selectorELNS0_4arch9wavefront6targetE1EEEvSE_,comdat
.Lfunc_end2619:
	.size	_ZN7rocprim17ROCPRIM_400000_NS6detail17trampoline_kernelINS0_14default_configENS1_35radix_sort_onesweep_config_selectorIdNS0_10empty_typeEEEZZNS1_29radix_sort_onesweep_iterationIS3_Lb1EPdS8_PS5_S9_mNS0_19identity_decomposerENS1_16block_id_wrapperIjLb1EEEEE10hipError_tT1_PNSt15iterator_traitsISE_E10value_typeET2_T3_PNSF_ISK_E10value_typeET4_T5_PSP_SQ_PNS1_23onesweep_lookback_stateEbbT6_jjT7_P12ihipStream_tbENKUlT_T0_SE_SJ_E_clIS8_S8_S9_S9_EEDaSX_SY_SE_SJ_EUlSX_E_NS1_11comp_targetILNS1_3genE4ELNS1_11target_archE910ELNS1_3gpuE8ELNS1_3repE0EEENS1_47radix_sort_onesweep_sort_config_static_selectorELNS0_4arch9wavefront6targetE1EEEvSE_, .Lfunc_end2619-_ZN7rocprim17ROCPRIM_400000_NS6detail17trampoline_kernelINS0_14default_configENS1_35radix_sort_onesweep_config_selectorIdNS0_10empty_typeEEEZZNS1_29radix_sort_onesweep_iterationIS3_Lb1EPdS8_PS5_S9_mNS0_19identity_decomposerENS1_16block_id_wrapperIjLb1EEEEE10hipError_tT1_PNSt15iterator_traitsISE_E10value_typeET2_T3_PNSF_ISK_E10value_typeET4_T5_PSP_SQ_PNS1_23onesweep_lookback_stateEbbT6_jjT7_P12ihipStream_tbENKUlT_T0_SE_SJ_E_clIS8_S8_S9_S9_EEDaSX_SY_SE_SJ_EUlSX_E_NS1_11comp_targetILNS1_3genE4ELNS1_11target_archE910ELNS1_3gpuE8ELNS1_3repE0EEENS1_47radix_sort_onesweep_sort_config_static_selectorELNS0_4arch9wavefront6targetE1EEEvSE_
                                        ; -- End function
	.section	.AMDGPU.csdata,"",@progbits
; Kernel info:
; codeLenInByte = 9320
; NumSgprs: 39
; NumVgprs: 44
; NumAgprs: 0
; TotalNumVgprs: 44
; ScratchSize: 0
; MemoryBound: 0
; FloatMode: 240
; IeeeMode: 1
; LDSByteSize: 20552 bytes/workgroup (compile time only)
; SGPRBlocks: 4
; VGPRBlocks: 5
; NumSGPRsForWavesPerEU: 39
; NumVGPRsForWavesPerEU: 44
; AccumOffset: 44
; Occupancy: 8
; WaveLimiterHint : 1
; COMPUTE_PGM_RSRC2:SCRATCH_EN: 0
; COMPUTE_PGM_RSRC2:USER_SGPR: 6
; COMPUTE_PGM_RSRC2:TRAP_HANDLER: 0
; COMPUTE_PGM_RSRC2:TGID_X_EN: 1
; COMPUTE_PGM_RSRC2:TGID_Y_EN: 0
; COMPUTE_PGM_RSRC2:TGID_Z_EN: 0
; COMPUTE_PGM_RSRC2:TIDIG_COMP_CNT: 2
; COMPUTE_PGM_RSRC3_GFX90A:ACCUM_OFFSET: 10
; COMPUTE_PGM_RSRC3_GFX90A:TG_SPLIT: 0
	.section	.text._ZN7rocprim17ROCPRIM_400000_NS6detail17trampoline_kernelINS0_14default_configENS1_35radix_sort_onesweep_config_selectorIdNS0_10empty_typeEEEZZNS1_29radix_sort_onesweep_iterationIS3_Lb1EPdS8_PS5_S9_mNS0_19identity_decomposerENS1_16block_id_wrapperIjLb1EEEEE10hipError_tT1_PNSt15iterator_traitsISE_E10value_typeET2_T3_PNSF_ISK_E10value_typeET4_T5_PSP_SQ_PNS1_23onesweep_lookback_stateEbbT6_jjT7_P12ihipStream_tbENKUlT_T0_SE_SJ_E_clIS8_S8_S9_S9_EEDaSX_SY_SE_SJ_EUlSX_E_NS1_11comp_targetILNS1_3genE3ELNS1_11target_archE908ELNS1_3gpuE7ELNS1_3repE0EEENS1_47radix_sort_onesweep_sort_config_static_selectorELNS0_4arch9wavefront6targetE1EEEvSE_,"axG",@progbits,_ZN7rocprim17ROCPRIM_400000_NS6detail17trampoline_kernelINS0_14default_configENS1_35radix_sort_onesweep_config_selectorIdNS0_10empty_typeEEEZZNS1_29radix_sort_onesweep_iterationIS3_Lb1EPdS8_PS5_S9_mNS0_19identity_decomposerENS1_16block_id_wrapperIjLb1EEEEE10hipError_tT1_PNSt15iterator_traitsISE_E10value_typeET2_T3_PNSF_ISK_E10value_typeET4_T5_PSP_SQ_PNS1_23onesweep_lookback_stateEbbT6_jjT7_P12ihipStream_tbENKUlT_T0_SE_SJ_E_clIS8_S8_S9_S9_EEDaSX_SY_SE_SJ_EUlSX_E_NS1_11comp_targetILNS1_3genE3ELNS1_11target_archE908ELNS1_3gpuE7ELNS1_3repE0EEENS1_47radix_sort_onesweep_sort_config_static_selectorELNS0_4arch9wavefront6targetE1EEEvSE_,comdat
	.protected	_ZN7rocprim17ROCPRIM_400000_NS6detail17trampoline_kernelINS0_14default_configENS1_35radix_sort_onesweep_config_selectorIdNS0_10empty_typeEEEZZNS1_29radix_sort_onesweep_iterationIS3_Lb1EPdS8_PS5_S9_mNS0_19identity_decomposerENS1_16block_id_wrapperIjLb1EEEEE10hipError_tT1_PNSt15iterator_traitsISE_E10value_typeET2_T3_PNSF_ISK_E10value_typeET4_T5_PSP_SQ_PNS1_23onesweep_lookback_stateEbbT6_jjT7_P12ihipStream_tbENKUlT_T0_SE_SJ_E_clIS8_S8_S9_S9_EEDaSX_SY_SE_SJ_EUlSX_E_NS1_11comp_targetILNS1_3genE3ELNS1_11target_archE908ELNS1_3gpuE7ELNS1_3repE0EEENS1_47radix_sort_onesweep_sort_config_static_selectorELNS0_4arch9wavefront6targetE1EEEvSE_ ; -- Begin function _ZN7rocprim17ROCPRIM_400000_NS6detail17trampoline_kernelINS0_14default_configENS1_35radix_sort_onesweep_config_selectorIdNS0_10empty_typeEEEZZNS1_29radix_sort_onesweep_iterationIS3_Lb1EPdS8_PS5_S9_mNS0_19identity_decomposerENS1_16block_id_wrapperIjLb1EEEEE10hipError_tT1_PNSt15iterator_traitsISE_E10value_typeET2_T3_PNSF_ISK_E10value_typeET4_T5_PSP_SQ_PNS1_23onesweep_lookback_stateEbbT6_jjT7_P12ihipStream_tbENKUlT_T0_SE_SJ_E_clIS8_S8_S9_S9_EEDaSX_SY_SE_SJ_EUlSX_E_NS1_11comp_targetILNS1_3genE3ELNS1_11target_archE908ELNS1_3gpuE7ELNS1_3repE0EEENS1_47radix_sort_onesweep_sort_config_static_selectorELNS0_4arch9wavefront6targetE1EEEvSE_
	.globl	_ZN7rocprim17ROCPRIM_400000_NS6detail17trampoline_kernelINS0_14default_configENS1_35radix_sort_onesweep_config_selectorIdNS0_10empty_typeEEEZZNS1_29radix_sort_onesweep_iterationIS3_Lb1EPdS8_PS5_S9_mNS0_19identity_decomposerENS1_16block_id_wrapperIjLb1EEEEE10hipError_tT1_PNSt15iterator_traitsISE_E10value_typeET2_T3_PNSF_ISK_E10value_typeET4_T5_PSP_SQ_PNS1_23onesweep_lookback_stateEbbT6_jjT7_P12ihipStream_tbENKUlT_T0_SE_SJ_E_clIS8_S8_S9_S9_EEDaSX_SY_SE_SJ_EUlSX_E_NS1_11comp_targetILNS1_3genE3ELNS1_11target_archE908ELNS1_3gpuE7ELNS1_3repE0EEENS1_47radix_sort_onesweep_sort_config_static_selectorELNS0_4arch9wavefront6targetE1EEEvSE_
	.p2align	8
	.type	_ZN7rocprim17ROCPRIM_400000_NS6detail17trampoline_kernelINS0_14default_configENS1_35radix_sort_onesweep_config_selectorIdNS0_10empty_typeEEEZZNS1_29radix_sort_onesweep_iterationIS3_Lb1EPdS8_PS5_S9_mNS0_19identity_decomposerENS1_16block_id_wrapperIjLb1EEEEE10hipError_tT1_PNSt15iterator_traitsISE_E10value_typeET2_T3_PNSF_ISK_E10value_typeET4_T5_PSP_SQ_PNS1_23onesweep_lookback_stateEbbT6_jjT7_P12ihipStream_tbENKUlT_T0_SE_SJ_E_clIS8_S8_S9_S9_EEDaSX_SY_SE_SJ_EUlSX_E_NS1_11comp_targetILNS1_3genE3ELNS1_11target_archE908ELNS1_3gpuE7ELNS1_3repE0EEENS1_47radix_sort_onesweep_sort_config_static_selectorELNS0_4arch9wavefront6targetE1EEEvSE_,@function
_ZN7rocprim17ROCPRIM_400000_NS6detail17trampoline_kernelINS0_14default_configENS1_35radix_sort_onesweep_config_selectorIdNS0_10empty_typeEEEZZNS1_29radix_sort_onesweep_iterationIS3_Lb1EPdS8_PS5_S9_mNS0_19identity_decomposerENS1_16block_id_wrapperIjLb1EEEEE10hipError_tT1_PNSt15iterator_traitsISE_E10value_typeET2_T3_PNSF_ISK_E10value_typeET4_T5_PSP_SQ_PNS1_23onesweep_lookback_stateEbbT6_jjT7_P12ihipStream_tbENKUlT_T0_SE_SJ_E_clIS8_S8_S9_S9_EEDaSX_SY_SE_SJ_EUlSX_E_NS1_11comp_targetILNS1_3genE3ELNS1_11target_archE908ELNS1_3gpuE7ELNS1_3repE0EEENS1_47radix_sort_onesweep_sort_config_static_selectorELNS0_4arch9wavefront6targetE1EEEvSE_: ; @_ZN7rocprim17ROCPRIM_400000_NS6detail17trampoline_kernelINS0_14default_configENS1_35radix_sort_onesweep_config_selectorIdNS0_10empty_typeEEEZZNS1_29radix_sort_onesweep_iterationIS3_Lb1EPdS8_PS5_S9_mNS0_19identity_decomposerENS1_16block_id_wrapperIjLb1EEEEE10hipError_tT1_PNSt15iterator_traitsISE_E10value_typeET2_T3_PNSF_ISK_E10value_typeET4_T5_PSP_SQ_PNS1_23onesweep_lookback_stateEbbT6_jjT7_P12ihipStream_tbENKUlT_T0_SE_SJ_E_clIS8_S8_S9_S9_EEDaSX_SY_SE_SJ_EUlSX_E_NS1_11comp_targetILNS1_3genE3ELNS1_11target_archE908ELNS1_3gpuE7ELNS1_3repE0EEENS1_47radix_sort_onesweep_sort_config_static_selectorELNS0_4arch9wavefront6targetE1EEEvSE_
; %bb.0:
	.section	.rodata,"a",@progbits
	.p2align	6, 0x0
	.amdhsa_kernel _ZN7rocprim17ROCPRIM_400000_NS6detail17trampoline_kernelINS0_14default_configENS1_35radix_sort_onesweep_config_selectorIdNS0_10empty_typeEEEZZNS1_29radix_sort_onesweep_iterationIS3_Lb1EPdS8_PS5_S9_mNS0_19identity_decomposerENS1_16block_id_wrapperIjLb1EEEEE10hipError_tT1_PNSt15iterator_traitsISE_E10value_typeET2_T3_PNSF_ISK_E10value_typeET4_T5_PSP_SQ_PNS1_23onesweep_lookback_stateEbbT6_jjT7_P12ihipStream_tbENKUlT_T0_SE_SJ_E_clIS8_S8_S9_S9_EEDaSX_SY_SE_SJ_EUlSX_E_NS1_11comp_targetILNS1_3genE3ELNS1_11target_archE908ELNS1_3gpuE7ELNS1_3repE0EEENS1_47radix_sort_onesweep_sort_config_static_selectorELNS0_4arch9wavefront6targetE1EEEvSE_
		.amdhsa_group_segment_fixed_size 0
		.amdhsa_private_segment_fixed_size 0
		.amdhsa_kernarg_size 88
		.amdhsa_user_sgpr_count 6
		.amdhsa_user_sgpr_private_segment_buffer 1
		.amdhsa_user_sgpr_dispatch_ptr 0
		.amdhsa_user_sgpr_queue_ptr 0
		.amdhsa_user_sgpr_kernarg_segment_ptr 1
		.amdhsa_user_sgpr_dispatch_id 0
		.amdhsa_user_sgpr_flat_scratch_init 0
		.amdhsa_user_sgpr_kernarg_preload_length 0
		.amdhsa_user_sgpr_kernarg_preload_offset 0
		.amdhsa_user_sgpr_private_segment_size 0
		.amdhsa_uses_dynamic_stack 0
		.amdhsa_system_sgpr_private_segment_wavefront_offset 0
		.amdhsa_system_sgpr_workgroup_id_x 1
		.amdhsa_system_sgpr_workgroup_id_y 0
		.amdhsa_system_sgpr_workgroup_id_z 0
		.amdhsa_system_sgpr_workgroup_info 0
		.amdhsa_system_vgpr_workitem_id 0
		.amdhsa_next_free_vgpr 1
		.amdhsa_next_free_sgpr 0
		.amdhsa_accum_offset 4
		.amdhsa_reserve_vcc 0
		.amdhsa_reserve_flat_scratch 0
		.amdhsa_float_round_mode_32 0
		.amdhsa_float_round_mode_16_64 0
		.amdhsa_float_denorm_mode_32 3
		.amdhsa_float_denorm_mode_16_64 3
		.amdhsa_dx10_clamp 1
		.amdhsa_ieee_mode 1
		.amdhsa_fp16_overflow 0
		.amdhsa_tg_split 0
		.amdhsa_exception_fp_ieee_invalid_op 0
		.amdhsa_exception_fp_denorm_src 0
		.amdhsa_exception_fp_ieee_div_zero 0
		.amdhsa_exception_fp_ieee_overflow 0
		.amdhsa_exception_fp_ieee_underflow 0
		.amdhsa_exception_fp_ieee_inexact 0
		.amdhsa_exception_int_div_zero 0
	.end_amdhsa_kernel
	.section	.text._ZN7rocprim17ROCPRIM_400000_NS6detail17trampoline_kernelINS0_14default_configENS1_35radix_sort_onesweep_config_selectorIdNS0_10empty_typeEEEZZNS1_29radix_sort_onesweep_iterationIS3_Lb1EPdS8_PS5_S9_mNS0_19identity_decomposerENS1_16block_id_wrapperIjLb1EEEEE10hipError_tT1_PNSt15iterator_traitsISE_E10value_typeET2_T3_PNSF_ISK_E10value_typeET4_T5_PSP_SQ_PNS1_23onesweep_lookback_stateEbbT6_jjT7_P12ihipStream_tbENKUlT_T0_SE_SJ_E_clIS8_S8_S9_S9_EEDaSX_SY_SE_SJ_EUlSX_E_NS1_11comp_targetILNS1_3genE3ELNS1_11target_archE908ELNS1_3gpuE7ELNS1_3repE0EEENS1_47radix_sort_onesweep_sort_config_static_selectorELNS0_4arch9wavefront6targetE1EEEvSE_,"axG",@progbits,_ZN7rocprim17ROCPRIM_400000_NS6detail17trampoline_kernelINS0_14default_configENS1_35radix_sort_onesweep_config_selectorIdNS0_10empty_typeEEEZZNS1_29radix_sort_onesweep_iterationIS3_Lb1EPdS8_PS5_S9_mNS0_19identity_decomposerENS1_16block_id_wrapperIjLb1EEEEE10hipError_tT1_PNSt15iterator_traitsISE_E10value_typeET2_T3_PNSF_ISK_E10value_typeET4_T5_PSP_SQ_PNS1_23onesweep_lookback_stateEbbT6_jjT7_P12ihipStream_tbENKUlT_T0_SE_SJ_E_clIS8_S8_S9_S9_EEDaSX_SY_SE_SJ_EUlSX_E_NS1_11comp_targetILNS1_3genE3ELNS1_11target_archE908ELNS1_3gpuE7ELNS1_3repE0EEENS1_47radix_sort_onesweep_sort_config_static_selectorELNS0_4arch9wavefront6targetE1EEEvSE_,comdat
.Lfunc_end2620:
	.size	_ZN7rocprim17ROCPRIM_400000_NS6detail17trampoline_kernelINS0_14default_configENS1_35radix_sort_onesweep_config_selectorIdNS0_10empty_typeEEEZZNS1_29radix_sort_onesweep_iterationIS3_Lb1EPdS8_PS5_S9_mNS0_19identity_decomposerENS1_16block_id_wrapperIjLb1EEEEE10hipError_tT1_PNSt15iterator_traitsISE_E10value_typeET2_T3_PNSF_ISK_E10value_typeET4_T5_PSP_SQ_PNS1_23onesweep_lookback_stateEbbT6_jjT7_P12ihipStream_tbENKUlT_T0_SE_SJ_E_clIS8_S8_S9_S9_EEDaSX_SY_SE_SJ_EUlSX_E_NS1_11comp_targetILNS1_3genE3ELNS1_11target_archE908ELNS1_3gpuE7ELNS1_3repE0EEENS1_47radix_sort_onesweep_sort_config_static_selectorELNS0_4arch9wavefront6targetE1EEEvSE_, .Lfunc_end2620-_ZN7rocprim17ROCPRIM_400000_NS6detail17trampoline_kernelINS0_14default_configENS1_35radix_sort_onesweep_config_selectorIdNS0_10empty_typeEEEZZNS1_29radix_sort_onesweep_iterationIS3_Lb1EPdS8_PS5_S9_mNS0_19identity_decomposerENS1_16block_id_wrapperIjLb1EEEEE10hipError_tT1_PNSt15iterator_traitsISE_E10value_typeET2_T3_PNSF_ISK_E10value_typeET4_T5_PSP_SQ_PNS1_23onesweep_lookback_stateEbbT6_jjT7_P12ihipStream_tbENKUlT_T0_SE_SJ_E_clIS8_S8_S9_S9_EEDaSX_SY_SE_SJ_EUlSX_E_NS1_11comp_targetILNS1_3genE3ELNS1_11target_archE908ELNS1_3gpuE7ELNS1_3repE0EEENS1_47radix_sort_onesweep_sort_config_static_selectorELNS0_4arch9wavefront6targetE1EEEvSE_
                                        ; -- End function
	.section	.AMDGPU.csdata,"",@progbits
; Kernel info:
; codeLenInByte = 0
; NumSgprs: 4
; NumVgprs: 0
; NumAgprs: 0
; TotalNumVgprs: 0
; ScratchSize: 0
; MemoryBound: 0
; FloatMode: 240
; IeeeMode: 1
; LDSByteSize: 0 bytes/workgroup (compile time only)
; SGPRBlocks: 0
; VGPRBlocks: 0
; NumSGPRsForWavesPerEU: 4
; NumVGPRsForWavesPerEU: 1
; AccumOffset: 4
; Occupancy: 8
; WaveLimiterHint : 0
; COMPUTE_PGM_RSRC2:SCRATCH_EN: 0
; COMPUTE_PGM_RSRC2:USER_SGPR: 6
; COMPUTE_PGM_RSRC2:TRAP_HANDLER: 0
; COMPUTE_PGM_RSRC2:TGID_X_EN: 1
; COMPUTE_PGM_RSRC2:TGID_Y_EN: 0
; COMPUTE_PGM_RSRC2:TGID_Z_EN: 0
; COMPUTE_PGM_RSRC2:TIDIG_COMP_CNT: 0
; COMPUTE_PGM_RSRC3_GFX90A:ACCUM_OFFSET: 0
; COMPUTE_PGM_RSRC3_GFX90A:TG_SPLIT: 0
	.section	.text._ZN7rocprim17ROCPRIM_400000_NS6detail17trampoline_kernelINS0_14default_configENS1_35radix_sort_onesweep_config_selectorIdNS0_10empty_typeEEEZZNS1_29radix_sort_onesweep_iterationIS3_Lb1EPdS8_PS5_S9_mNS0_19identity_decomposerENS1_16block_id_wrapperIjLb1EEEEE10hipError_tT1_PNSt15iterator_traitsISE_E10value_typeET2_T3_PNSF_ISK_E10value_typeET4_T5_PSP_SQ_PNS1_23onesweep_lookback_stateEbbT6_jjT7_P12ihipStream_tbENKUlT_T0_SE_SJ_E_clIS8_S8_S9_S9_EEDaSX_SY_SE_SJ_EUlSX_E_NS1_11comp_targetILNS1_3genE10ELNS1_11target_archE1201ELNS1_3gpuE5ELNS1_3repE0EEENS1_47radix_sort_onesweep_sort_config_static_selectorELNS0_4arch9wavefront6targetE1EEEvSE_,"axG",@progbits,_ZN7rocprim17ROCPRIM_400000_NS6detail17trampoline_kernelINS0_14default_configENS1_35radix_sort_onesweep_config_selectorIdNS0_10empty_typeEEEZZNS1_29radix_sort_onesweep_iterationIS3_Lb1EPdS8_PS5_S9_mNS0_19identity_decomposerENS1_16block_id_wrapperIjLb1EEEEE10hipError_tT1_PNSt15iterator_traitsISE_E10value_typeET2_T3_PNSF_ISK_E10value_typeET4_T5_PSP_SQ_PNS1_23onesweep_lookback_stateEbbT6_jjT7_P12ihipStream_tbENKUlT_T0_SE_SJ_E_clIS8_S8_S9_S9_EEDaSX_SY_SE_SJ_EUlSX_E_NS1_11comp_targetILNS1_3genE10ELNS1_11target_archE1201ELNS1_3gpuE5ELNS1_3repE0EEENS1_47radix_sort_onesweep_sort_config_static_selectorELNS0_4arch9wavefront6targetE1EEEvSE_,comdat
	.protected	_ZN7rocprim17ROCPRIM_400000_NS6detail17trampoline_kernelINS0_14default_configENS1_35radix_sort_onesweep_config_selectorIdNS0_10empty_typeEEEZZNS1_29radix_sort_onesweep_iterationIS3_Lb1EPdS8_PS5_S9_mNS0_19identity_decomposerENS1_16block_id_wrapperIjLb1EEEEE10hipError_tT1_PNSt15iterator_traitsISE_E10value_typeET2_T3_PNSF_ISK_E10value_typeET4_T5_PSP_SQ_PNS1_23onesweep_lookback_stateEbbT6_jjT7_P12ihipStream_tbENKUlT_T0_SE_SJ_E_clIS8_S8_S9_S9_EEDaSX_SY_SE_SJ_EUlSX_E_NS1_11comp_targetILNS1_3genE10ELNS1_11target_archE1201ELNS1_3gpuE5ELNS1_3repE0EEENS1_47radix_sort_onesweep_sort_config_static_selectorELNS0_4arch9wavefront6targetE1EEEvSE_ ; -- Begin function _ZN7rocprim17ROCPRIM_400000_NS6detail17trampoline_kernelINS0_14default_configENS1_35radix_sort_onesweep_config_selectorIdNS0_10empty_typeEEEZZNS1_29radix_sort_onesweep_iterationIS3_Lb1EPdS8_PS5_S9_mNS0_19identity_decomposerENS1_16block_id_wrapperIjLb1EEEEE10hipError_tT1_PNSt15iterator_traitsISE_E10value_typeET2_T3_PNSF_ISK_E10value_typeET4_T5_PSP_SQ_PNS1_23onesweep_lookback_stateEbbT6_jjT7_P12ihipStream_tbENKUlT_T0_SE_SJ_E_clIS8_S8_S9_S9_EEDaSX_SY_SE_SJ_EUlSX_E_NS1_11comp_targetILNS1_3genE10ELNS1_11target_archE1201ELNS1_3gpuE5ELNS1_3repE0EEENS1_47radix_sort_onesweep_sort_config_static_selectorELNS0_4arch9wavefront6targetE1EEEvSE_
	.globl	_ZN7rocprim17ROCPRIM_400000_NS6detail17trampoline_kernelINS0_14default_configENS1_35radix_sort_onesweep_config_selectorIdNS0_10empty_typeEEEZZNS1_29radix_sort_onesweep_iterationIS3_Lb1EPdS8_PS5_S9_mNS0_19identity_decomposerENS1_16block_id_wrapperIjLb1EEEEE10hipError_tT1_PNSt15iterator_traitsISE_E10value_typeET2_T3_PNSF_ISK_E10value_typeET4_T5_PSP_SQ_PNS1_23onesweep_lookback_stateEbbT6_jjT7_P12ihipStream_tbENKUlT_T0_SE_SJ_E_clIS8_S8_S9_S9_EEDaSX_SY_SE_SJ_EUlSX_E_NS1_11comp_targetILNS1_3genE10ELNS1_11target_archE1201ELNS1_3gpuE5ELNS1_3repE0EEENS1_47radix_sort_onesweep_sort_config_static_selectorELNS0_4arch9wavefront6targetE1EEEvSE_
	.p2align	8
	.type	_ZN7rocprim17ROCPRIM_400000_NS6detail17trampoline_kernelINS0_14default_configENS1_35radix_sort_onesweep_config_selectorIdNS0_10empty_typeEEEZZNS1_29radix_sort_onesweep_iterationIS3_Lb1EPdS8_PS5_S9_mNS0_19identity_decomposerENS1_16block_id_wrapperIjLb1EEEEE10hipError_tT1_PNSt15iterator_traitsISE_E10value_typeET2_T3_PNSF_ISK_E10value_typeET4_T5_PSP_SQ_PNS1_23onesweep_lookback_stateEbbT6_jjT7_P12ihipStream_tbENKUlT_T0_SE_SJ_E_clIS8_S8_S9_S9_EEDaSX_SY_SE_SJ_EUlSX_E_NS1_11comp_targetILNS1_3genE10ELNS1_11target_archE1201ELNS1_3gpuE5ELNS1_3repE0EEENS1_47radix_sort_onesweep_sort_config_static_selectorELNS0_4arch9wavefront6targetE1EEEvSE_,@function
_ZN7rocprim17ROCPRIM_400000_NS6detail17trampoline_kernelINS0_14default_configENS1_35radix_sort_onesweep_config_selectorIdNS0_10empty_typeEEEZZNS1_29radix_sort_onesweep_iterationIS3_Lb1EPdS8_PS5_S9_mNS0_19identity_decomposerENS1_16block_id_wrapperIjLb1EEEEE10hipError_tT1_PNSt15iterator_traitsISE_E10value_typeET2_T3_PNSF_ISK_E10value_typeET4_T5_PSP_SQ_PNS1_23onesweep_lookback_stateEbbT6_jjT7_P12ihipStream_tbENKUlT_T0_SE_SJ_E_clIS8_S8_S9_S9_EEDaSX_SY_SE_SJ_EUlSX_E_NS1_11comp_targetILNS1_3genE10ELNS1_11target_archE1201ELNS1_3gpuE5ELNS1_3repE0EEENS1_47radix_sort_onesweep_sort_config_static_selectorELNS0_4arch9wavefront6targetE1EEEvSE_: ; @_ZN7rocprim17ROCPRIM_400000_NS6detail17trampoline_kernelINS0_14default_configENS1_35radix_sort_onesweep_config_selectorIdNS0_10empty_typeEEEZZNS1_29radix_sort_onesweep_iterationIS3_Lb1EPdS8_PS5_S9_mNS0_19identity_decomposerENS1_16block_id_wrapperIjLb1EEEEE10hipError_tT1_PNSt15iterator_traitsISE_E10value_typeET2_T3_PNSF_ISK_E10value_typeET4_T5_PSP_SQ_PNS1_23onesweep_lookback_stateEbbT6_jjT7_P12ihipStream_tbENKUlT_T0_SE_SJ_E_clIS8_S8_S9_S9_EEDaSX_SY_SE_SJ_EUlSX_E_NS1_11comp_targetILNS1_3genE10ELNS1_11target_archE1201ELNS1_3gpuE5ELNS1_3repE0EEENS1_47radix_sort_onesweep_sort_config_static_selectorELNS0_4arch9wavefront6targetE1EEEvSE_
; %bb.0:
	.section	.rodata,"a",@progbits
	.p2align	6, 0x0
	.amdhsa_kernel _ZN7rocprim17ROCPRIM_400000_NS6detail17trampoline_kernelINS0_14default_configENS1_35radix_sort_onesweep_config_selectorIdNS0_10empty_typeEEEZZNS1_29radix_sort_onesweep_iterationIS3_Lb1EPdS8_PS5_S9_mNS0_19identity_decomposerENS1_16block_id_wrapperIjLb1EEEEE10hipError_tT1_PNSt15iterator_traitsISE_E10value_typeET2_T3_PNSF_ISK_E10value_typeET4_T5_PSP_SQ_PNS1_23onesweep_lookback_stateEbbT6_jjT7_P12ihipStream_tbENKUlT_T0_SE_SJ_E_clIS8_S8_S9_S9_EEDaSX_SY_SE_SJ_EUlSX_E_NS1_11comp_targetILNS1_3genE10ELNS1_11target_archE1201ELNS1_3gpuE5ELNS1_3repE0EEENS1_47radix_sort_onesweep_sort_config_static_selectorELNS0_4arch9wavefront6targetE1EEEvSE_
		.amdhsa_group_segment_fixed_size 0
		.amdhsa_private_segment_fixed_size 0
		.amdhsa_kernarg_size 88
		.amdhsa_user_sgpr_count 6
		.amdhsa_user_sgpr_private_segment_buffer 1
		.amdhsa_user_sgpr_dispatch_ptr 0
		.amdhsa_user_sgpr_queue_ptr 0
		.amdhsa_user_sgpr_kernarg_segment_ptr 1
		.amdhsa_user_sgpr_dispatch_id 0
		.amdhsa_user_sgpr_flat_scratch_init 0
		.amdhsa_user_sgpr_kernarg_preload_length 0
		.amdhsa_user_sgpr_kernarg_preload_offset 0
		.amdhsa_user_sgpr_private_segment_size 0
		.amdhsa_uses_dynamic_stack 0
		.amdhsa_system_sgpr_private_segment_wavefront_offset 0
		.amdhsa_system_sgpr_workgroup_id_x 1
		.amdhsa_system_sgpr_workgroup_id_y 0
		.amdhsa_system_sgpr_workgroup_id_z 0
		.amdhsa_system_sgpr_workgroup_info 0
		.amdhsa_system_vgpr_workitem_id 0
		.amdhsa_next_free_vgpr 1
		.amdhsa_next_free_sgpr 0
		.amdhsa_accum_offset 4
		.amdhsa_reserve_vcc 0
		.amdhsa_reserve_flat_scratch 0
		.amdhsa_float_round_mode_32 0
		.amdhsa_float_round_mode_16_64 0
		.amdhsa_float_denorm_mode_32 3
		.amdhsa_float_denorm_mode_16_64 3
		.amdhsa_dx10_clamp 1
		.amdhsa_ieee_mode 1
		.amdhsa_fp16_overflow 0
		.amdhsa_tg_split 0
		.amdhsa_exception_fp_ieee_invalid_op 0
		.amdhsa_exception_fp_denorm_src 0
		.amdhsa_exception_fp_ieee_div_zero 0
		.amdhsa_exception_fp_ieee_overflow 0
		.amdhsa_exception_fp_ieee_underflow 0
		.amdhsa_exception_fp_ieee_inexact 0
		.amdhsa_exception_int_div_zero 0
	.end_amdhsa_kernel
	.section	.text._ZN7rocprim17ROCPRIM_400000_NS6detail17trampoline_kernelINS0_14default_configENS1_35radix_sort_onesweep_config_selectorIdNS0_10empty_typeEEEZZNS1_29radix_sort_onesweep_iterationIS3_Lb1EPdS8_PS5_S9_mNS0_19identity_decomposerENS1_16block_id_wrapperIjLb1EEEEE10hipError_tT1_PNSt15iterator_traitsISE_E10value_typeET2_T3_PNSF_ISK_E10value_typeET4_T5_PSP_SQ_PNS1_23onesweep_lookback_stateEbbT6_jjT7_P12ihipStream_tbENKUlT_T0_SE_SJ_E_clIS8_S8_S9_S9_EEDaSX_SY_SE_SJ_EUlSX_E_NS1_11comp_targetILNS1_3genE10ELNS1_11target_archE1201ELNS1_3gpuE5ELNS1_3repE0EEENS1_47radix_sort_onesweep_sort_config_static_selectorELNS0_4arch9wavefront6targetE1EEEvSE_,"axG",@progbits,_ZN7rocprim17ROCPRIM_400000_NS6detail17trampoline_kernelINS0_14default_configENS1_35radix_sort_onesweep_config_selectorIdNS0_10empty_typeEEEZZNS1_29radix_sort_onesweep_iterationIS3_Lb1EPdS8_PS5_S9_mNS0_19identity_decomposerENS1_16block_id_wrapperIjLb1EEEEE10hipError_tT1_PNSt15iterator_traitsISE_E10value_typeET2_T3_PNSF_ISK_E10value_typeET4_T5_PSP_SQ_PNS1_23onesweep_lookback_stateEbbT6_jjT7_P12ihipStream_tbENKUlT_T0_SE_SJ_E_clIS8_S8_S9_S9_EEDaSX_SY_SE_SJ_EUlSX_E_NS1_11comp_targetILNS1_3genE10ELNS1_11target_archE1201ELNS1_3gpuE5ELNS1_3repE0EEENS1_47radix_sort_onesweep_sort_config_static_selectorELNS0_4arch9wavefront6targetE1EEEvSE_,comdat
.Lfunc_end2621:
	.size	_ZN7rocprim17ROCPRIM_400000_NS6detail17trampoline_kernelINS0_14default_configENS1_35radix_sort_onesweep_config_selectorIdNS0_10empty_typeEEEZZNS1_29radix_sort_onesweep_iterationIS3_Lb1EPdS8_PS5_S9_mNS0_19identity_decomposerENS1_16block_id_wrapperIjLb1EEEEE10hipError_tT1_PNSt15iterator_traitsISE_E10value_typeET2_T3_PNSF_ISK_E10value_typeET4_T5_PSP_SQ_PNS1_23onesweep_lookback_stateEbbT6_jjT7_P12ihipStream_tbENKUlT_T0_SE_SJ_E_clIS8_S8_S9_S9_EEDaSX_SY_SE_SJ_EUlSX_E_NS1_11comp_targetILNS1_3genE10ELNS1_11target_archE1201ELNS1_3gpuE5ELNS1_3repE0EEENS1_47radix_sort_onesweep_sort_config_static_selectorELNS0_4arch9wavefront6targetE1EEEvSE_, .Lfunc_end2621-_ZN7rocprim17ROCPRIM_400000_NS6detail17trampoline_kernelINS0_14default_configENS1_35radix_sort_onesweep_config_selectorIdNS0_10empty_typeEEEZZNS1_29radix_sort_onesweep_iterationIS3_Lb1EPdS8_PS5_S9_mNS0_19identity_decomposerENS1_16block_id_wrapperIjLb1EEEEE10hipError_tT1_PNSt15iterator_traitsISE_E10value_typeET2_T3_PNSF_ISK_E10value_typeET4_T5_PSP_SQ_PNS1_23onesweep_lookback_stateEbbT6_jjT7_P12ihipStream_tbENKUlT_T0_SE_SJ_E_clIS8_S8_S9_S9_EEDaSX_SY_SE_SJ_EUlSX_E_NS1_11comp_targetILNS1_3genE10ELNS1_11target_archE1201ELNS1_3gpuE5ELNS1_3repE0EEENS1_47radix_sort_onesweep_sort_config_static_selectorELNS0_4arch9wavefront6targetE1EEEvSE_
                                        ; -- End function
	.section	.AMDGPU.csdata,"",@progbits
; Kernel info:
; codeLenInByte = 0
; NumSgprs: 4
; NumVgprs: 0
; NumAgprs: 0
; TotalNumVgprs: 0
; ScratchSize: 0
; MemoryBound: 0
; FloatMode: 240
; IeeeMode: 1
; LDSByteSize: 0 bytes/workgroup (compile time only)
; SGPRBlocks: 0
; VGPRBlocks: 0
; NumSGPRsForWavesPerEU: 4
; NumVGPRsForWavesPerEU: 1
; AccumOffset: 4
; Occupancy: 8
; WaveLimiterHint : 0
; COMPUTE_PGM_RSRC2:SCRATCH_EN: 0
; COMPUTE_PGM_RSRC2:USER_SGPR: 6
; COMPUTE_PGM_RSRC2:TRAP_HANDLER: 0
; COMPUTE_PGM_RSRC2:TGID_X_EN: 1
; COMPUTE_PGM_RSRC2:TGID_Y_EN: 0
; COMPUTE_PGM_RSRC2:TGID_Z_EN: 0
; COMPUTE_PGM_RSRC2:TIDIG_COMP_CNT: 0
; COMPUTE_PGM_RSRC3_GFX90A:ACCUM_OFFSET: 0
; COMPUTE_PGM_RSRC3_GFX90A:TG_SPLIT: 0
	.section	.text._ZN7rocprim17ROCPRIM_400000_NS6detail17trampoline_kernelINS0_14default_configENS1_35radix_sort_onesweep_config_selectorIdNS0_10empty_typeEEEZZNS1_29radix_sort_onesweep_iterationIS3_Lb1EPdS8_PS5_S9_mNS0_19identity_decomposerENS1_16block_id_wrapperIjLb1EEEEE10hipError_tT1_PNSt15iterator_traitsISE_E10value_typeET2_T3_PNSF_ISK_E10value_typeET4_T5_PSP_SQ_PNS1_23onesweep_lookback_stateEbbT6_jjT7_P12ihipStream_tbENKUlT_T0_SE_SJ_E_clIS8_S8_S9_S9_EEDaSX_SY_SE_SJ_EUlSX_E_NS1_11comp_targetILNS1_3genE9ELNS1_11target_archE1100ELNS1_3gpuE3ELNS1_3repE0EEENS1_47radix_sort_onesweep_sort_config_static_selectorELNS0_4arch9wavefront6targetE1EEEvSE_,"axG",@progbits,_ZN7rocprim17ROCPRIM_400000_NS6detail17trampoline_kernelINS0_14default_configENS1_35radix_sort_onesweep_config_selectorIdNS0_10empty_typeEEEZZNS1_29radix_sort_onesweep_iterationIS3_Lb1EPdS8_PS5_S9_mNS0_19identity_decomposerENS1_16block_id_wrapperIjLb1EEEEE10hipError_tT1_PNSt15iterator_traitsISE_E10value_typeET2_T3_PNSF_ISK_E10value_typeET4_T5_PSP_SQ_PNS1_23onesweep_lookback_stateEbbT6_jjT7_P12ihipStream_tbENKUlT_T0_SE_SJ_E_clIS8_S8_S9_S9_EEDaSX_SY_SE_SJ_EUlSX_E_NS1_11comp_targetILNS1_3genE9ELNS1_11target_archE1100ELNS1_3gpuE3ELNS1_3repE0EEENS1_47radix_sort_onesweep_sort_config_static_selectorELNS0_4arch9wavefront6targetE1EEEvSE_,comdat
	.protected	_ZN7rocprim17ROCPRIM_400000_NS6detail17trampoline_kernelINS0_14default_configENS1_35radix_sort_onesweep_config_selectorIdNS0_10empty_typeEEEZZNS1_29radix_sort_onesweep_iterationIS3_Lb1EPdS8_PS5_S9_mNS0_19identity_decomposerENS1_16block_id_wrapperIjLb1EEEEE10hipError_tT1_PNSt15iterator_traitsISE_E10value_typeET2_T3_PNSF_ISK_E10value_typeET4_T5_PSP_SQ_PNS1_23onesweep_lookback_stateEbbT6_jjT7_P12ihipStream_tbENKUlT_T0_SE_SJ_E_clIS8_S8_S9_S9_EEDaSX_SY_SE_SJ_EUlSX_E_NS1_11comp_targetILNS1_3genE9ELNS1_11target_archE1100ELNS1_3gpuE3ELNS1_3repE0EEENS1_47radix_sort_onesweep_sort_config_static_selectorELNS0_4arch9wavefront6targetE1EEEvSE_ ; -- Begin function _ZN7rocprim17ROCPRIM_400000_NS6detail17trampoline_kernelINS0_14default_configENS1_35radix_sort_onesweep_config_selectorIdNS0_10empty_typeEEEZZNS1_29radix_sort_onesweep_iterationIS3_Lb1EPdS8_PS5_S9_mNS0_19identity_decomposerENS1_16block_id_wrapperIjLb1EEEEE10hipError_tT1_PNSt15iterator_traitsISE_E10value_typeET2_T3_PNSF_ISK_E10value_typeET4_T5_PSP_SQ_PNS1_23onesweep_lookback_stateEbbT6_jjT7_P12ihipStream_tbENKUlT_T0_SE_SJ_E_clIS8_S8_S9_S9_EEDaSX_SY_SE_SJ_EUlSX_E_NS1_11comp_targetILNS1_3genE9ELNS1_11target_archE1100ELNS1_3gpuE3ELNS1_3repE0EEENS1_47radix_sort_onesweep_sort_config_static_selectorELNS0_4arch9wavefront6targetE1EEEvSE_
	.globl	_ZN7rocprim17ROCPRIM_400000_NS6detail17trampoline_kernelINS0_14default_configENS1_35radix_sort_onesweep_config_selectorIdNS0_10empty_typeEEEZZNS1_29radix_sort_onesweep_iterationIS3_Lb1EPdS8_PS5_S9_mNS0_19identity_decomposerENS1_16block_id_wrapperIjLb1EEEEE10hipError_tT1_PNSt15iterator_traitsISE_E10value_typeET2_T3_PNSF_ISK_E10value_typeET4_T5_PSP_SQ_PNS1_23onesweep_lookback_stateEbbT6_jjT7_P12ihipStream_tbENKUlT_T0_SE_SJ_E_clIS8_S8_S9_S9_EEDaSX_SY_SE_SJ_EUlSX_E_NS1_11comp_targetILNS1_3genE9ELNS1_11target_archE1100ELNS1_3gpuE3ELNS1_3repE0EEENS1_47radix_sort_onesweep_sort_config_static_selectorELNS0_4arch9wavefront6targetE1EEEvSE_
	.p2align	8
	.type	_ZN7rocprim17ROCPRIM_400000_NS6detail17trampoline_kernelINS0_14default_configENS1_35radix_sort_onesweep_config_selectorIdNS0_10empty_typeEEEZZNS1_29radix_sort_onesweep_iterationIS3_Lb1EPdS8_PS5_S9_mNS0_19identity_decomposerENS1_16block_id_wrapperIjLb1EEEEE10hipError_tT1_PNSt15iterator_traitsISE_E10value_typeET2_T3_PNSF_ISK_E10value_typeET4_T5_PSP_SQ_PNS1_23onesweep_lookback_stateEbbT6_jjT7_P12ihipStream_tbENKUlT_T0_SE_SJ_E_clIS8_S8_S9_S9_EEDaSX_SY_SE_SJ_EUlSX_E_NS1_11comp_targetILNS1_3genE9ELNS1_11target_archE1100ELNS1_3gpuE3ELNS1_3repE0EEENS1_47radix_sort_onesweep_sort_config_static_selectorELNS0_4arch9wavefront6targetE1EEEvSE_,@function
_ZN7rocprim17ROCPRIM_400000_NS6detail17trampoline_kernelINS0_14default_configENS1_35radix_sort_onesweep_config_selectorIdNS0_10empty_typeEEEZZNS1_29radix_sort_onesweep_iterationIS3_Lb1EPdS8_PS5_S9_mNS0_19identity_decomposerENS1_16block_id_wrapperIjLb1EEEEE10hipError_tT1_PNSt15iterator_traitsISE_E10value_typeET2_T3_PNSF_ISK_E10value_typeET4_T5_PSP_SQ_PNS1_23onesweep_lookback_stateEbbT6_jjT7_P12ihipStream_tbENKUlT_T0_SE_SJ_E_clIS8_S8_S9_S9_EEDaSX_SY_SE_SJ_EUlSX_E_NS1_11comp_targetILNS1_3genE9ELNS1_11target_archE1100ELNS1_3gpuE3ELNS1_3repE0EEENS1_47radix_sort_onesweep_sort_config_static_selectorELNS0_4arch9wavefront6targetE1EEEvSE_: ; @_ZN7rocprim17ROCPRIM_400000_NS6detail17trampoline_kernelINS0_14default_configENS1_35radix_sort_onesweep_config_selectorIdNS0_10empty_typeEEEZZNS1_29radix_sort_onesweep_iterationIS3_Lb1EPdS8_PS5_S9_mNS0_19identity_decomposerENS1_16block_id_wrapperIjLb1EEEEE10hipError_tT1_PNSt15iterator_traitsISE_E10value_typeET2_T3_PNSF_ISK_E10value_typeET4_T5_PSP_SQ_PNS1_23onesweep_lookback_stateEbbT6_jjT7_P12ihipStream_tbENKUlT_T0_SE_SJ_E_clIS8_S8_S9_S9_EEDaSX_SY_SE_SJ_EUlSX_E_NS1_11comp_targetILNS1_3genE9ELNS1_11target_archE1100ELNS1_3gpuE3ELNS1_3repE0EEENS1_47radix_sort_onesweep_sort_config_static_selectorELNS0_4arch9wavefront6targetE1EEEvSE_
; %bb.0:
	.section	.rodata,"a",@progbits
	.p2align	6, 0x0
	.amdhsa_kernel _ZN7rocprim17ROCPRIM_400000_NS6detail17trampoline_kernelINS0_14default_configENS1_35radix_sort_onesweep_config_selectorIdNS0_10empty_typeEEEZZNS1_29radix_sort_onesweep_iterationIS3_Lb1EPdS8_PS5_S9_mNS0_19identity_decomposerENS1_16block_id_wrapperIjLb1EEEEE10hipError_tT1_PNSt15iterator_traitsISE_E10value_typeET2_T3_PNSF_ISK_E10value_typeET4_T5_PSP_SQ_PNS1_23onesweep_lookback_stateEbbT6_jjT7_P12ihipStream_tbENKUlT_T0_SE_SJ_E_clIS8_S8_S9_S9_EEDaSX_SY_SE_SJ_EUlSX_E_NS1_11comp_targetILNS1_3genE9ELNS1_11target_archE1100ELNS1_3gpuE3ELNS1_3repE0EEENS1_47radix_sort_onesweep_sort_config_static_selectorELNS0_4arch9wavefront6targetE1EEEvSE_
		.amdhsa_group_segment_fixed_size 0
		.amdhsa_private_segment_fixed_size 0
		.amdhsa_kernarg_size 88
		.amdhsa_user_sgpr_count 6
		.amdhsa_user_sgpr_private_segment_buffer 1
		.amdhsa_user_sgpr_dispatch_ptr 0
		.amdhsa_user_sgpr_queue_ptr 0
		.amdhsa_user_sgpr_kernarg_segment_ptr 1
		.amdhsa_user_sgpr_dispatch_id 0
		.amdhsa_user_sgpr_flat_scratch_init 0
		.amdhsa_user_sgpr_kernarg_preload_length 0
		.amdhsa_user_sgpr_kernarg_preload_offset 0
		.amdhsa_user_sgpr_private_segment_size 0
		.amdhsa_uses_dynamic_stack 0
		.amdhsa_system_sgpr_private_segment_wavefront_offset 0
		.amdhsa_system_sgpr_workgroup_id_x 1
		.amdhsa_system_sgpr_workgroup_id_y 0
		.amdhsa_system_sgpr_workgroup_id_z 0
		.amdhsa_system_sgpr_workgroup_info 0
		.amdhsa_system_vgpr_workitem_id 0
		.amdhsa_next_free_vgpr 1
		.amdhsa_next_free_sgpr 0
		.amdhsa_accum_offset 4
		.amdhsa_reserve_vcc 0
		.amdhsa_reserve_flat_scratch 0
		.amdhsa_float_round_mode_32 0
		.amdhsa_float_round_mode_16_64 0
		.amdhsa_float_denorm_mode_32 3
		.amdhsa_float_denorm_mode_16_64 3
		.amdhsa_dx10_clamp 1
		.amdhsa_ieee_mode 1
		.amdhsa_fp16_overflow 0
		.amdhsa_tg_split 0
		.amdhsa_exception_fp_ieee_invalid_op 0
		.amdhsa_exception_fp_denorm_src 0
		.amdhsa_exception_fp_ieee_div_zero 0
		.amdhsa_exception_fp_ieee_overflow 0
		.amdhsa_exception_fp_ieee_underflow 0
		.amdhsa_exception_fp_ieee_inexact 0
		.amdhsa_exception_int_div_zero 0
	.end_amdhsa_kernel
	.section	.text._ZN7rocprim17ROCPRIM_400000_NS6detail17trampoline_kernelINS0_14default_configENS1_35radix_sort_onesweep_config_selectorIdNS0_10empty_typeEEEZZNS1_29radix_sort_onesweep_iterationIS3_Lb1EPdS8_PS5_S9_mNS0_19identity_decomposerENS1_16block_id_wrapperIjLb1EEEEE10hipError_tT1_PNSt15iterator_traitsISE_E10value_typeET2_T3_PNSF_ISK_E10value_typeET4_T5_PSP_SQ_PNS1_23onesweep_lookback_stateEbbT6_jjT7_P12ihipStream_tbENKUlT_T0_SE_SJ_E_clIS8_S8_S9_S9_EEDaSX_SY_SE_SJ_EUlSX_E_NS1_11comp_targetILNS1_3genE9ELNS1_11target_archE1100ELNS1_3gpuE3ELNS1_3repE0EEENS1_47radix_sort_onesweep_sort_config_static_selectorELNS0_4arch9wavefront6targetE1EEEvSE_,"axG",@progbits,_ZN7rocprim17ROCPRIM_400000_NS6detail17trampoline_kernelINS0_14default_configENS1_35radix_sort_onesweep_config_selectorIdNS0_10empty_typeEEEZZNS1_29radix_sort_onesweep_iterationIS3_Lb1EPdS8_PS5_S9_mNS0_19identity_decomposerENS1_16block_id_wrapperIjLb1EEEEE10hipError_tT1_PNSt15iterator_traitsISE_E10value_typeET2_T3_PNSF_ISK_E10value_typeET4_T5_PSP_SQ_PNS1_23onesweep_lookback_stateEbbT6_jjT7_P12ihipStream_tbENKUlT_T0_SE_SJ_E_clIS8_S8_S9_S9_EEDaSX_SY_SE_SJ_EUlSX_E_NS1_11comp_targetILNS1_3genE9ELNS1_11target_archE1100ELNS1_3gpuE3ELNS1_3repE0EEENS1_47radix_sort_onesweep_sort_config_static_selectorELNS0_4arch9wavefront6targetE1EEEvSE_,comdat
.Lfunc_end2622:
	.size	_ZN7rocprim17ROCPRIM_400000_NS6detail17trampoline_kernelINS0_14default_configENS1_35radix_sort_onesweep_config_selectorIdNS0_10empty_typeEEEZZNS1_29radix_sort_onesweep_iterationIS3_Lb1EPdS8_PS5_S9_mNS0_19identity_decomposerENS1_16block_id_wrapperIjLb1EEEEE10hipError_tT1_PNSt15iterator_traitsISE_E10value_typeET2_T3_PNSF_ISK_E10value_typeET4_T5_PSP_SQ_PNS1_23onesweep_lookback_stateEbbT6_jjT7_P12ihipStream_tbENKUlT_T0_SE_SJ_E_clIS8_S8_S9_S9_EEDaSX_SY_SE_SJ_EUlSX_E_NS1_11comp_targetILNS1_3genE9ELNS1_11target_archE1100ELNS1_3gpuE3ELNS1_3repE0EEENS1_47radix_sort_onesweep_sort_config_static_selectorELNS0_4arch9wavefront6targetE1EEEvSE_, .Lfunc_end2622-_ZN7rocprim17ROCPRIM_400000_NS6detail17trampoline_kernelINS0_14default_configENS1_35radix_sort_onesweep_config_selectorIdNS0_10empty_typeEEEZZNS1_29radix_sort_onesweep_iterationIS3_Lb1EPdS8_PS5_S9_mNS0_19identity_decomposerENS1_16block_id_wrapperIjLb1EEEEE10hipError_tT1_PNSt15iterator_traitsISE_E10value_typeET2_T3_PNSF_ISK_E10value_typeET4_T5_PSP_SQ_PNS1_23onesweep_lookback_stateEbbT6_jjT7_P12ihipStream_tbENKUlT_T0_SE_SJ_E_clIS8_S8_S9_S9_EEDaSX_SY_SE_SJ_EUlSX_E_NS1_11comp_targetILNS1_3genE9ELNS1_11target_archE1100ELNS1_3gpuE3ELNS1_3repE0EEENS1_47radix_sort_onesweep_sort_config_static_selectorELNS0_4arch9wavefront6targetE1EEEvSE_
                                        ; -- End function
	.section	.AMDGPU.csdata,"",@progbits
; Kernel info:
; codeLenInByte = 0
; NumSgprs: 4
; NumVgprs: 0
; NumAgprs: 0
; TotalNumVgprs: 0
; ScratchSize: 0
; MemoryBound: 0
; FloatMode: 240
; IeeeMode: 1
; LDSByteSize: 0 bytes/workgroup (compile time only)
; SGPRBlocks: 0
; VGPRBlocks: 0
; NumSGPRsForWavesPerEU: 4
; NumVGPRsForWavesPerEU: 1
; AccumOffset: 4
; Occupancy: 8
; WaveLimiterHint : 0
; COMPUTE_PGM_RSRC2:SCRATCH_EN: 0
; COMPUTE_PGM_RSRC2:USER_SGPR: 6
; COMPUTE_PGM_RSRC2:TRAP_HANDLER: 0
; COMPUTE_PGM_RSRC2:TGID_X_EN: 1
; COMPUTE_PGM_RSRC2:TGID_Y_EN: 0
; COMPUTE_PGM_RSRC2:TGID_Z_EN: 0
; COMPUTE_PGM_RSRC2:TIDIG_COMP_CNT: 0
; COMPUTE_PGM_RSRC3_GFX90A:ACCUM_OFFSET: 0
; COMPUTE_PGM_RSRC3_GFX90A:TG_SPLIT: 0
	.section	.text._ZN7rocprim17ROCPRIM_400000_NS6detail17trampoline_kernelINS0_14default_configENS1_35radix_sort_onesweep_config_selectorIdNS0_10empty_typeEEEZZNS1_29radix_sort_onesweep_iterationIS3_Lb1EPdS8_PS5_S9_mNS0_19identity_decomposerENS1_16block_id_wrapperIjLb1EEEEE10hipError_tT1_PNSt15iterator_traitsISE_E10value_typeET2_T3_PNSF_ISK_E10value_typeET4_T5_PSP_SQ_PNS1_23onesweep_lookback_stateEbbT6_jjT7_P12ihipStream_tbENKUlT_T0_SE_SJ_E_clIS8_S8_S9_S9_EEDaSX_SY_SE_SJ_EUlSX_E_NS1_11comp_targetILNS1_3genE8ELNS1_11target_archE1030ELNS1_3gpuE2ELNS1_3repE0EEENS1_47radix_sort_onesweep_sort_config_static_selectorELNS0_4arch9wavefront6targetE1EEEvSE_,"axG",@progbits,_ZN7rocprim17ROCPRIM_400000_NS6detail17trampoline_kernelINS0_14default_configENS1_35radix_sort_onesweep_config_selectorIdNS0_10empty_typeEEEZZNS1_29radix_sort_onesweep_iterationIS3_Lb1EPdS8_PS5_S9_mNS0_19identity_decomposerENS1_16block_id_wrapperIjLb1EEEEE10hipError_tT1_PNSt15iterator_traitsISE_E10value_typeET2_T3_PNSF_ISK_E10value_typeET4_T5_PSP_SQ_PNS1_23onesweep_lookback_stateEbbT6_jjT7_P12ihipStream_tbENKUlT_T0_SE_SJ_E_clIS8_S8_S9_S9_EEDaSX_SY_SE_SJ_EUlSX_E_NS1_11comp_targetILNS1_3genE8ELNS1_11target_archE1030ELNS1_3gpuE2ELNS1_3repE0EEENS1_47radix_sort_onesweep_sort_config_static_selectorELNS0_4arch9wavefront6targetE1EEEvSE_,comdat
	.protected	_ZN7rocprim17ROCPRIM_400000_NS6detail17trampoline_kernelINS0_14default_configENS1_35radix_sort_onesweep_config_selectorIdNS0_10empty_typeEEEZZNS1_29radix_sort_onesweep_iterationIS3_Lb1EPdS8_PS5_S9_mNS0_19identity_decomposerENS1_16block_id_wrapperIjLb1EEEEE10hipError_tT1_PNSt15iterator_traitsISE_E10value_typeET2_T3_PNSF_ISK_E10value_typeET4_T5_PSP_SQ_PNS1_23onesweep_lookback_stateEbbT6_jjT7_P12ihipStream_tbENKUlT_T0_SE_SJ_E_clIS8_S8_S9_S9_EEDaSX_SY_SE_SJ_EUlSX_E_NS1_11comp_targetILNS1_3genE8ELNS1_11target_archE1030ELNS1_3gpuE2ELNS1_3repE0EEENS1_47radix_sort_onesweep_sort_config_static_selectorELNS0_4arch9wavefront6targetE1EEEvSE_ ; -- Begin function _ZN7rocprim17ROCPRIM_400000_NS6detail17trampoline_kernelINS0_14default_configENS1_35radix_sort_onesweep_config_selectorIdNS0_10empty_typeEEEZZNS1_29radix_sort_onesweep_iterationIS3_Lb1EPdS8_PS5_S9_mNS0_19identity_decomposerENS1_16block_id_wrapperIjLb1EEEEE10hipError_tT1_PNSt15iterator_traitsISE_E10value_typeET2_T3_PNSF_ISK_E10value_typeET4_T5_PSP_SQ_PNS1_23onesweep_lookback_stateEbbT6_jjT7_P12ihipStream_tbENKUlT_T0_SE_SJ_E_clIS8_S8_S9_S9_EEDaSX_SY_SE_SJ_EUlSX_E_NS1_11comp_targetILNS1_3genE8ELNS1_11target_archE1030ELNS1_3gpuE2ELNS1_3repE0EEENS1_47radix_sort_onesweep_sort_config_static_selectorELNS0_4arch9wavefront6targetE1EEEvSE_
	.globl	_ZN7rocprim17ROCPRIM_400000_NS6detail17trampoline_kernelINS0_14default_configENS1_35radix_sort_onesweep_config_selectorIdNS0_10empty_typeEEEZZNS1_29radix_sort_onesweep_iterationIS3_Lb1EPdS8_PS5_S9_mNS0_19identity_decomposerENS1_16block_id_wrapperIjLb1EEEEE10hipError_tT1_PNSt15iterator_traitsISE_E10value_typeET2_T3_PNSF_ISK_E10value_typeET4_T5_PSP_SQ_PNS1_23onesweep_lookback_stateEbbT6_jjT7_P12ihipStream_tbENKUlT_T0_SE_SJ_E_clIS8_S8_S9_S9_EEDaSX_SY_SE_SJ_EUlSX_E_NS1_11comp_targetILNS1_3genE8ELNS1_11target_archE1030ELNS1_3gpuE2ELNS1_3repE0EEENS1_47radix_sort_onesweep_sort_config_static_selectorELNS0_4arch9wavefront6targetE1EEEvSE_
	.p2align	8
	.type	_ZN7rocprim17ROCPRIM_400000_NS6detail17trampoline_kernelINS0_14default_configENS1_35radix_sort_onesweep_config_selectorIdNS0_10empty_typeEEEZZNS1_29radix_sort_onesweep_iterationIS3_Lb1EPdS8_PS5_S9_mNS0_19identity_decomposerENS1_16block_id_wrapperIjLb1EEEEE10hipError_tT1_PNSt15iterator_traitsISE_E10value_typeET2_T3_PNSF_ISK_E10value_typeET4_T5_PSP_SQ_PNS1_23onesweep_lookback_stateEbbT6_jjT7_P12ihipStream_tbENKUlT_T0_SE_SJ_E_clIS8_S8_S9_S9_EEDaSX_SY_SE_SJ_EUlSX_E_NS1_11comp_targetILNS1_3genE8ELNS1_11target_archE1030ELNS1_3gpuE2ELNS1_3repE0EEENS1_47radix_sort_onesweep_sort_config_static_selectorELNS0_4arch9wavefront6targetE1EEEvSE_,@function
_ZN7rocprim17ROCPRIM_400000_NS6detail17trampoline_kernelINS0_14default_configENS1_35radix_sort_onesweep_config_selectorIdNS0_10empty_typeEEEZZNS1_29radix_sort_onesweep_iterationIS3_Lb1EPdS8_PS5_S9_mNS0_19identity_decomposerENS1_16block_id_wrapperIjLb1EEEEE10hipError_tT1_PNSt15iterator_traitsISE_E10value_typeET2_T3_PNSF_ISK_E10value_typeET4_T5_PSP_SQ_PNS1_23onesweep_lookback_stateEbbT6_jjT7_P12ihipStream_tbENKUlT_T0_SE_SJ_E_clIS8_S8_S9_S9_EEDaSX_SY_SE_SJ_EUlSX_E_NS1_11comp_targetILNS1_3genE8ELNS1_11target_archE1030ELNS1_3gpuE2ELNS1_3repE0EEENS1_47radix_sort_onesweep_sort_config_static_selectorELNS0_4arch9wavefront6targetE1EEEvSE_: ; @_ZN7rocprim17ROCPRIM_400000_NS6detail17trampoline_kernelINS0_14default_configENS1_35radix_sort_onesweep_config_selectorIdNS0_10empty_typeEEEZZNS1_29radix_sort_onesweep_iterationIS3_Lb1EPdS8_PS5_S9_mNS0_19identity_decomposerENS1_16block_id_wrapperIjLb1EEEEE10hipError_tT1_PNSt15iterator_traitsISE_E10value_typeET2_T3_PNSF_ISK_E10value_typeET4_T5_PSP_SQ_PNS1_23onesweep_lookback_stateEbbT6_jjT7_P12ihipStream_tbENKUlT_T0_SE_SJ_E_clIS8_S8_S9_S9_EEDaSX_SY_SE_SJ_EUlSX_E_NS1_11comp_targetILNS1_3genE8ELNS1_11target_archE1030ELNS1_3gpuE2ELNS1_3repE0EEENS1_47radix_sort_onesweep_sort_config_static_selectorELNS0_4arch9wavefront6targetE1EEEvSE_
; %bb.0:
	.section	.rodata,"a",@progbits
	.p2align	6, 0x0
	.amdhsa_kernel _ZN7rocprim17ROCPRIM_400000_NS6detail17trampoline_kernelINS0_14default_configENS1_35radix_sort_onesweep_config_selectorIdNS0_10empty_typeEEEZZNS1_29radix_sort_onesweep_iterationIS3_Lb1EPdS8_PS5_S9_mNS0_19identity_decomposerENS1_16block_id_wrapperIjLb1EEEEE10hipError_tT1_PNSt15iterator_traitsISE_E10value_typeET2_T3_PNSF_ISK_E10value_typeET4_T5_PSP_SQ_PNS1_23onesweep_lookback_stateEbbT6_jjT7_P12ihipStream_tbENKUlT_T0_SE_SJ_E_clIS8_S8_S9_S9_EEDaSX_SY_SE_SJ_EUlSX_E_NS1_11comp_targetILNS1_3genE8ELNS1_11target_archE1030ELNS1_3gpuE2ELNS1_3repE0EEENS1_47radix_sort_onesweep_sort_config_static_selectorELNS0_4arch9wavefront6targetE1EEEvSE_
		.amdhsa_group_segment_fixed_size 0
		.amdhsa_private_segment_fixed_size 0
		.amdhsa_kernarg_size 88
		.amdhsa_user_sgpr_count 6
		.amdhsa_user_sgpr_private_segment_buffer 1
		.amdhsa_user_sgpr_dispatch_ptr 0
		.amdhsa_user_sgpr_queue_ptr 0
		.amdhsa_user_sgpr_kernarg_segment_ptr 1
		.amdhsa_user_sgpr_dispatch_id 0
		.amdhsa_user_sgpr_flat_scratch_init 0
		.amdhsa_user_sgpr_kernarg_preload_length 0
		.amdhsa_user_sgpr_kernarg_preload_offset 0
		.amdhsa_user_sgpr_private_segment_size 0
		.amdhsa_uses_dynamic_stack 0
		.amdhsa_system_sgpr_private_segment_wavefront_offset 0
		.amdhsa_system_sgpr_workgroup_id_x 1
		.amdhsa_system_sgpr_workgroup_id_y 0
		.amdhsa_system_sgpr_workgroup_id_z 0
		.amdhsa_system_sgpr_workgroup_info 0
		.amdhsa_system_vgpr_workitem_id 0
		.amdhsa_next_free_vgpr 1
		.amdhsa_next_free_sgpr 0
		.amdhsa_accum_offset 4
		.amdhsa_reserve_vcc 0
		.amdhsa_reserve_flat_scratch 0
		.amdhsa_float_round_mode_32 0
		.amdhsa_float_round_mode_16_64 0
		.amdhsa_float_denorm_mode_32 3
		.amdhsa_float_denorm_mode_16_64 3
		.amdhsa_dx10_clamp 1
		.amdhsa_ieee_mode 1
		.amdhsa_fp16_overflow 0
		.amdhsa_tg_split 0
		.amdhsa_exception_fp_ieee_invalid_op 0
		.amdhsa_exception_fp_denorm_src 0
		.amdhsa_exception_fp_ieee_div_zero 0
		.amdhsa_exception_fp_ieee_overflow 0
		.amdhsa_exception_fp_ieee_underflow 0
		.amdhsa_exception_fp_ieee_inexact 0
		.amdhsa_exception_int_div_zero 0
	.end_amdhsa_kernel
	.section	.text._ZN7rocprim17ROCPRIM_400000_NS6detail17trampoline_kernelINS0_14default_configENS1_35radix_sort_onesweep_config_selectorIdNS0_10empty_typeEEEZZNS1_29radix_sort_onesweep_iterationIS3_Lb1EPdS8_PS5_S9_mNS0_19identity_decomposerENS1_16block_id_wrapperIjLb1EEEEE10hipError_tT1_PNSt15iterator_traitsISE_E10value_typeET2_T3_PNSF_ISK_E10value_typeET4_T5_PSP_SQ_PNS1_23onesweep_lookback_stateEbbT6_jjT7_P12ihipStream_tbENKUlT_T0_SE_SJ_E_clIS8_S8_S9_S9_EEDaSX_SY_SE_SJ_EUlSX_E_NS1_11comp_targetILNS1_3genE8ELNS1_11target_archE1030ELNS1_3gpuE2ELNS1_3repE0EEENS1_47radix_sort_onesweep_sort_config_static_selectorELNS0_4arch9wavefront6targetE1EEEvSE_,"axG",@progbits,_ZN7rocprim17ROCPRIM_400000_NS6detail17trampoline_kernelINS0_14default_configENS1_35radix_sort_onesweep_config_selectorIdNS0_10empty_typeEEEZZNS1_29radix_sort_onesweep_iterationIS3_Lb1EPdS8_PS5_S9_mNS0_19identity_decomposerENS1_16block_id_wrapperIjLb1EEEEE10hipError_tT1_PNSt15iterator_traitsISE_E10value_typeET2_T3_PNSF_ISK_E10value_typeET4_T5_PSP_SQ_PNS1_23onesweep_lookback_stateEbbT6_jjT7_P12ihipStream_tbENKUlT_T0_SE_SJ_E_clIS8_S8_S9_S9_EEDaSX_SY_SE_SJ_EUlSX_E_NS1_11comp_targetILNS1_3genE8ELNS1_11target_archE1030ELNS1_3gpuE2ELNS1_3repE0EEENS1_47radix_sort_onesweep_sort_config_static_selectorELNS0_4arch9wavefront6targetE1EEEvSE_,comdat
.Lfunc_end2623:
	.size	_ZN7rocprim17ROCPRIM_400000_NS6detail17trampoline_kernelINS0_14default_configENS1_35radix_sort_onesweep_config_selectorIdNS0_10empty_typeEEEZZNS1_29radix_sort_onesweep_iterationIS3_Lb1EPdS8_PS5_S9_mNS0_19identity_decomposerENS1_16block_id_wrapperIjLb1EEEEE10hipError_tT1_PNSt15iterator_traitsISE_E10value_typeET2_T3_PNSF_ISK_E10value_typeET4_T5_PSP_SQ_PNS1_23onesweep_lookback_stateEbbT6_jjT7_P12ihipStream_tbENKUlT_T0_SE_SJ_E_clIS8_S8_S9_S9_EEDaSX_SY_SE_SJ_EUlSX_E_NS1_11comp_targetILNS1_3genE8ELNS1_11target_archE1030ELNS1_3gpuE2ELNS1_3repE0EEENS1_47radix_sort_onesweep_sort_config_static_selectorELNS0_4arch9wavefront6targetE1EEEvSE_, .Lfunc_end2623-_ZN7rocprim17ROCPRIM_400000_NS6detail17trampoline_kernelINS0_14default_configENS1_35radix_sort_onesweep_config_selectorIdNS0_10empty_typeEEEZZNS1_29radix_sort_onesweep_iterationIS3_Lb1EPdS8_PS5_S9_mNS0_19identity_decomposerENS1_16block_id_wrapperIjLb1EEEEE10hipError_tT1_PNSt15iterator_traitsISE_E10value_typeET2_T3_PNSF_ISK_E10value_typeET4_T5_PSP_SQ_PNS1_23onesweep_lookback_stateEbbT6_jjT7_P12ihipStream_tbENKUlT_T0_SE_SJ_E_clIS8_S8_S9_S9_EEDaSX_SY_SE_SJ_EUlSX_E_NS1_11comp_targetILNS1_3genE8ELNS1_11target_archE1030ELNS1_3gpuE2ELNS1_3repE0EEENS1_47radix_sort_onesweep_sort_config_static_selectorELNS0_4arch9wavefront6targetE1EEEvSE_
                                        ; -- End function
	.section	.AMDGPU.csdata,"",@progbits
; Kernel info:
; codeLenInByte = 0
; NumSgprs: 4
; NumVgprs: 0
; NumAgprs: 0
; TotalNumVgprs: 0
; ScratchSize: 0
; MemoryBound: 0
; FloatMode: 240
; IeeeMode: 1
; LDSByteSize: 0 bytes/workgroup (compile time only)
; SGPRBlocks: 0
; VGPRBlocks: 0
; NumSGPRsForWavesPerEU: 4
; NumVGPRsForWavesPerEU: 1
; AccumOffset: 4
; Occupancy: 8
; WaveLimiterHint : 0
; COMPUTE_PGM_RSRC2:SCRATCH_EN: 0
; COMPUTE_PGM_RSRC2:USER_SGPR: 6
; COMPUTE_PGM_RSRC2:TRAP_HANDLER: 0
; COMPUTE_PGM_RSRC2:TGID_X_EN: 1
; COMPUTE_PGM_RSRC2:TGID_Y_EN: 0
; COMPUTE_PGM_RSRC2:TGID_Z_EN: 0
; COMPUTE_PGM_RSRC2:TIDIG_COMP_CNT: 0
; COMPUTE_PGM_RSRC3_GFX90A:ACCUM_OFFSET: 0
; COMPUTE_PGM_RSRC3_GFX90A:TG_SPLIT: 0
	.section	.text._ZN7rocprim17ROCPRIM_400000_NS6detail17trampoline_kernelINS0_14default_configENS1_35radix_sort_onesweep_config_selectorIdNS0_10empty_typeEEEZZNS1_29radix_sort_onesweep_iterationIS3_Lb1EPdS8_PS5_S9_mNS0_19identity_decomposerENS1_16block_id_wrapperIjLb0EEEEE10hipError_tT1_PNSt15iterator_traitsISE_E10value_typeET2_T3_PNSF_ISK_E10value_typeET4_T5_PSP_SQ_PNS1_23onesweep_lookback_stateEbbT6_jjT7_P12ihipStream_tbENKUlT_T0_SE_SJ_E_clIS8_S8_S9_S9_EEDaSX_SY_SE_SJ_EUlSX_E_NS1_11comp_targetILNS1_3genE0ELNS1_11target_archE4294967295ELNS1_3gpuE0ELNS1_3repE0EEENS1_47radix_sort_onesweep_sort_config_static_selectorELNS0_4arch9wavefront6targetE1EEEvSE_,"axG",@progbits,_ZN7rocprim17ROCPRIM_400000_NS6detail17trampoline_kernelINS0_14default_configENS1_35radix_sort_onesweep_config_selectorIdNS0_10empty_typeEEEZZNS1_29radix_sort_onesweep_iterationIS3_Lb1EPdS8_PS5_S9_mNS0_19identity_decomposerENS1_16block_id_wrapperIjLb0EEEEE10hipError_tT1_PNSt15iterator_traitsISE_E10value_typeET2_T3_PNSF_ISK_E10value_typeET4_T5_PSP_SQ_PNS1_23onesweep_lookback_stateEbbT6_jjT7_P12ihipStream_tbENKUlT_T0_SE_SJ_E_clIS8_S8_S9_S9_EEDaSX_SY_SE_SJ_EUlSX_E_NS1_11comp_targetILNS1_3genE0ELNS1_11target_archE4294967295ELNS1_3gpuE0ELNS1_3repE0EEENS1_47radix_sort_onesweep_sort_config_static_selectorELNS0_4arch9wavefront6targetE1EEEvSE_,comdat
	.protected	_ZN7rocprim17ROCPRIM_400000_NS6detail17trampoline_kernelINS0_14default_configENS1_35radix_sort_onesweep_config_selectorIdNS0_10empty_typeEEEZZNS1_29radix_sort_onesweep_iterationIS3_Lb1EPdS8_PS5_S9_mNS0_19identity_decomposerENS1_16block_id_wrapperIjLb0EEEEE10hipError_tT1_PNSt15iterator_traitsISE_E10value_typeET2_T3_PNSF_ISK_E10value_typeET4_T5_PSP_SQ_PNS1_23onesweep_lookback_stateEbbT6_jjT7_P12ihipStream_tbENKUlT_T0_SE_SJ_E_clIS8_S8_S9_S9_EEDaSX_SY_SE_SJ_EUlSX_E_NS1_11comp_targetILNS1_3genE0ELNS1_11target_archE4294967295ELNS1_3gpuE0ELNS1_3repE0EEENS1_47radix_sort_onesweep_sort_config_static_selectorELNS0_4arch9wavefront6targetE1EEEvSE_ ; -- Begin function _ZN7rocprim17ROCPRIM_400000_NS6detail17trampoline_kernelINS0_14default_configENS1_35radix_sort_onesweep_config_selectorIdNS0_10empty_typeEEEZZNS1_29radix_sort_onesweep_iterationIS3_Lb1EPdS8_PS5_S9_mNS0_19identity_decomposerENS1_16block_id_wrapperIjLb0EEEEE10hipError_tT1_PNSt15iterator_traitsISE_E10value_typeET2_T3_PNSF_ISK_E10value_typeET4_T5_PSP_SQ_PNS1_23onesweep_lookback_stateEbbT6_jjT7_P12ihipStream_tbENKUlT_T0_SE_SJ_E_clIS8_S8_S9_S9_EEDaSX_SY_SE_SJ_EUlSX_E_NS1_11comp_targetILNS1_3genE0ELNS1_11target_archE4294967295ELNS1_3gpuE0ELNS1_3repE0EEENS1_47radix_sort_onesweep_sort_config_static_selectorELNS0_4arch9wavefront6targetE1EEEvSE_
	.globl	_ZN7rocprim17ROCPRIM_400000_NS6detail17trampoline_kernelINS0_14default_configENS1_35radix_sort_onesweep_config_selectorIdNS0_10empty_typeEEEZZNS1_29radix_sort_onesweep_iterationIS3_Lb1EPdS8_PS5_S9_mNS0_19identity_decomposerENS1_16block_id_wrapperIjLb0EEEEE10hipError_tT1_PNSt15iterator_traitsISE_E10value_typeET2_T3_PNSF_ISK_E10value_typeET4_T5_PSP_SQ_PNS1_23onesweep_lookback_stateEbbT6_jjT7_P12ihipStream_tbENKUlT_T0_SE_SJ_E_clIS8_S8_S9_S9_EEDaSX_SY_SE_SJ_EUlSX_E_NS1_11comp_targetILNS1_3genE0ELNS1_11target_archE4294967295ELNS1_3gpuE0ELNS1_3repE0EEENS1_47radix_sort_onesweep_sort_config_static_selectorELNS0_4arch9wavefront6targetE1EEEvSE_
	.p2align	8
	.type	_ZN7rocprim17ROCPRIM_400000_NS6detail17trampoline_kernelINS0_14default_configENS1_35radix_sort_onesweep_config_selectorIdNS0_10empty_typeEEEZZNS1_29radix_sort_onesweep_iterationIS3_Lb1EPdS8_PS5_S9_mNS0_19identity_decomposerENS1_16block_id_wrapperIjLb0EEEEE10hipError_tT1_PNSt15iterator_traitsISE_E10value_typeET2_T3_PNSF_ISK_E10value_typeET4_T5_PSP_SQ_PNS1_23onesweep_lookback_stateEbbT6_jjT7_P12ihipStream_tbENKUlT_T0_SE_SJ_E_clIS8_S8_S9_S9_EEDaSX_SY_SE_SJ_EUlSX_E_NS1_11comp_targetILNS1_3genE0ELNS1_11target_archE4294967295ELNS1_3gpuE0ELNS1_3repE0EEENS1_47radix_sort_onesweep_sort_config_static_selectorELNS0_4arch9wavefront6targetE1EEEvSE_,@function
_ZN7rocprim17ROCPRIM_400000_NS6detail17trampoline_kernelINS0_14default_configENS1_35radix_sort_onesweep_config_selectorIdNS0_10empty_typeEEEZZNS1_29radix_sort_onesweep_iterationIS3_Lb1EPdS8_PS5_S9_mNS0_19identity_decomposerENS1_16block_id_wrapperIjLb0EEEEE10hipError_tT1_PNSt15iterator_traitsISE_E10value_typeET2_T3_PNSF_ISK_E10value_typeET4_T5_PSP_SQ_PNS1_23onesweep_lookback_stateEbbT6_jjT7_P12ihipStream_tbENKUlT_T0_SE_SJ_E_clIS8_S8_S9_S9_EEDaSX_SY_SE_SJ_EUlSX_E_NS1_11comp_targetILNS1_3genE0ELNS1_11target_archE4294967295ELNS1_3gpuE0ELNS1_3repE0EEENS1_47radix_sort_onesweep_sort_config_static_selectorELNS0_4arch9wavefront6targetE1EEEvSE_: ; @_ZN7rocprim17ROCPRIM_400000_NS6detail17trampoline_kernelINS0_14default_configENS1_35radix_sort_onesweep_config_selectorIdNS0_10empty_typeEEEZZNS1_29radix_sort_onesweep_iterationIS3_Lb1EPdS8_PS5_S9_mNS0_19identity_decomposerENS1_16block_id_wrapperIjLb0EEEEE10hipError_tT1_PNSt15iterator_traitsISE_E10value_typeET2_T3_PNSF_ISK_E10value_typeET4_T5_PSP_SQ_PNS1_23onesweep_lookback_stateEbbT6_jjT7_P12ihipStream_tbENKUlT_T0_SE_SJ_E_clIS8_S8_S9_S9_EEDaSX_SY_SE_SJ_EUlSX_E_NS1_11comp_targetILNS1_3genE0ELNS1_11target_archE4294967295ELNS1_3gpuE0ELNS1_3repE0EEENS1_47radix_sort_onesweep_sort_config_static_selectorELNS0_4arch9wavefront6targetE1EEEvSE_
; %bb.0:
	.section	.rodata,"a",@progbits
	.p2align	6, 0x0
	.amdhsa_kernel _ZN7rocprim17ROCPRIM_400000_NS6detail17trampoline_kernelINS0_14default_configENS1_35radix_sort_onesweep_config_selectorIdNS0_10empty_typeEEEZZNS1_29radix_sort_onesweep_iterationIS3_Lb1EPdS8_PS5_S9_mNS0_19identity_decomposerENS1_16block_id_wrapperIjLb0EEEEE10hipError_tT1_PNSt15iterator_traitsISE_E10value_typeET2_T3_PNSF_ISK_E10value_typeET4_T5_PSP_SQ_PNS1_23onesweep_lookback_stateEbbT6_jjT7_P12ihipStream_tbENKUlT_T0_SE_SJ_E_clIS8_S8_S9_S9_EEDaSX_SY_SE_SJ_EUlSX_E_NS1_11comp_targetILNS1_3genE0ELNS1_11target_archE4294967295ELNS1_3gpuE0ELNS1_3repE0EEENS1_47radix_sort_onesweep_sort_config_static_selectorELNS0_4arch9wavefront6targetE1EEEvSE_
		.amdhsa_group_segment_fixed_size 0
		.amdhsa_private_segment_fixed_size 0
		.amdhsa_kernarg_size 88
		.amdhsa_user_sgpr_count 6
		.amdhsa_user_sgpr_private_segment_buffer 1
		.amdhsa_user_sgpr_dispatch_ptr 0
		.amdhsa_user_sgpr_queue_ptr 0
		.amdhsa_user_sgpr_kernarg_segment_ptr 1
		.amdhsa_user_sgpr_dispatch_id 0
		.amdhsa_user_sgpr_flat_scratch_init 0
		.amdhsa_user_sgpr_kernarg_preload_length 0
		.amdhsa_user_sgpr_kernarg_preload_offset 0
		.amdhsa_user_sgpr_private_segment_size 0
		.amdhsa_uses_dynamic_stack 0
		.amdhsa_system_sgpr_private_segment_wavefront_offset 0
		.amdhsa_system_sgpr_workgroup_id_x 1
		.amdhsa_system_sgpr_workgroup_id_y 0
		.amdhsa_system_sgpr_workgroup_id_z 0
		.amdhsa_system_sgpr_workgroup_info 0
		.amdhsa_system_vgpr_workitem_id 0
		.amdhsa_next_free_vgpr 1
		.amdhsa_next_free_sgpr 0
		.amdhsa_accum_offset 4
		.amdhsa_reserve_vcc 0
		.amdhsa_reserve_flat_scratch 0
		.amdhsa_float_round_mode_32 0
		.amdhsa_float_round_mode_16_64 0
		.amdhsa_float_denorm_mode_32 3
		.amdhsa_float_denorm_mode_16_64 3
		.amdhsa_dx10_clamp 1
		.amdhsa_ieee_mode 1
		.amdhsa_fp16_overflow 0
		.amdhsa_tg_split 0
		.amdhsa_exception_fp_ieee_invalid_op 0
		.amdhsa_exception_fp_denorm_src 0
		.amdhsa_exception_fp_ieee_div_zero 0
		.amdhsa_exception_fp_ieee_overflow 0
		.amdhsa_exception_fp_ieee_underflow 0
		.amdhsa_exception_fp_ieee_inexact 0
		.amdhsa_exception_int_div_zero 0
	.end_amdhsa_kernel
	.section	.text._ZN7rocprim17ROCPRIM_400000_NS6detail17trampoline_kernelINS0_14default_configENS1_35radix_sort_onesweep_config_selectorIdNS0_10empty_typeEEEZZNS1_29radix_sort_onesweep_iterationIS3_Lb1EPdS8_PS5_S9_mNS0_19identity_decomposerENS1_16block_id_wrapperIjLb0EEEEE10hipError_tT1_PNSt15iterator_traitsISE_E10value_typeET2_T3_PNSF_ISK_E10value_typeET4_T5_PSP_SQ_PNS1_23onesweep_lookback_stateEbbT6_jjT7_P12ihipStream_tbENKUlT_T0_SE_SJ_E_clIS8_S8_S9_S9_EEDaSX_SY_SE_SJ_EUlSX_E_NS1_11comp_targetILNS1_3genE0ELNS1_11target_archE4294967295ELNS1_3gpuE0ELNS1_3repE0EEENS1_47radix_sort_onesweep_sort_config_static_selectorELNS0_4arch9wavefront6targetE1EEEvSE_,"axG",@progbits,_ZN7rocprim17ROCPRIM_400000_NS6detail17trampoline_kernelINS0_14default_configENS1_35radix_sort_onesweep_config_selectorIdNS0_10empty_typeEEEZZNS1_29radix_sort_onesweep_iterationIS3_Lb1EPdS8_PS5_S9_mNS0_19identity_decomposerENS1_16block_id_wrapperIjLb0EEEEE10hipError_tT1_PNSt15iterator_traitsISE_E10value_typeET2_T3_PNSF_ISK_E10value_typeET4_T5_PSP_SQ_PNS1_23onesweep_lookback_stateEbbT6_jjT7_P12ihipStream_tbENKUlT_T0_SE_SJ_E_clIS8_S8_S9_S9_EEDaSX_SY_SE_SJ_EUlSX_E_NS1_11comp_targetILNS1_3genE0ELNS1_11target_archE4294967295ELNS1_3gpuE0ELNS1_3repE0EEENS1_47radix_sort_onesweep_sort_config_static_selectorELNS0_4arch9wavefront6targetE1EEEvSE_,comdat
.Lfunc_end2624:
	.size	_ZN7rocprim17ROCPRIM_400000_NS6detail17trampoline_kernelINS0_14default_configENS1_35radix_sort_onesweep_config_selectorIdNS0_10empty_typeEEEZZNS1_29radix_sort_onesweep_iterationIS3_Lb1EPdS8_PS5_S9_mNS0_19identity_decomposerENS1_16block_id_wrapperIjLb0EEEEE10hipError_tT1_PNSt15iterator_traitsISE_E10value_typeET2_T3_PNSF_ISK_E10value_typeET4_T5_PSP_SQ_PNS1_23onesweep_lookback_stateEbbT6_jjT7_P12ihipStream_tbENKUlT_T0_SE_SJ_E_clIS8_S8_S9_S9_EEDaSX_SY_SE_SJ_EUlSX_E_NS1_11comp_targetILNS1_3genE0ELNS1_11target_archE4294967295ELNS1_3gpuE0ELNS1_3repE0EEENS1_47radix_sort_onesweep_sort_config_static_selectorELNS0_4arch9wavefront6targetE1EEEvSE_, .Lfunc_end2624-_ZN7rocprim17ROCPRIM_400000_NS6detail17trampoline_kernelINS0_14default_configENS1_35radix_sort_onesweep_config_selectorIdNS0_10empty_typeEEEZZNS1_29radix_sort_onesweep_iterationIS3_Lb1EPdS8_PS5_S9_mNS0_19identity_decomposerENS1_16block_id_wrapperIjLb0EEEEE10hipError_tT1_PNSt15iterator_traitsISE_E10value_typeET2_T3_PNSF_ISK_E10value_typeET4_T5_PSP_SQ_PNS1_23onesweep_lookback_stateEbbT6_jjT7_P12ihipStream_tbENKUlT_T0_SE_SJ_E_clIS8_S8_S9_S9_EEDaSX_SY_SE_SJ_EUlSX_E_NS1_11comp_targetILNS1_3genE0ELNS1_11target_archE4294967295ELNS1_3gpuE0ELNS1_3repE0EEENS1_47radix_sort_onesweep_sort_config_static_selectorELNS0_4arch9wavefront6targetE1EEEvSE_
                                        ; -- End function
	.section	.AMDGPU.csdata,"",@progbits
; Kernel info:
; codeLenInByte = 0
; NumSgprs: 4
; NumVgprs: 0
; NumAgprs: 0
; TotalNumVgprs: 0
; ScratchSize: 0
; MemoryBound: 0
; FloatMode: 240
; IeeeMode: 1
; LDSByteSize: 0 bytes/workgroup (compile time only)
; SGPRBlocks: 0
; VGPRBlocks: 0
; NumSGPRsForWavesPerEU: 4
; NumVGPRsForWavesPerEU: 1
; AccumOffset: 4
; Occupancy: 8
; WaveLimiterHint : 0
; COMPUTE_PGM_RSRC2:SCRATCH_EN: 0
; COMPUTE_PGM_RSRC2:USER_SGPR: 6
; COMPUTE_PGM_RSRC2:TRAP_HANDLER: 0
; COMPUTE_PGM_RSRC2:TGID_X_EN: 1
; COMPUTE_PGM_RSRC2:TGID_Y_EN: 0
; COMPUTE_PGM_RSRC2:TGID_Z_EN: 0
; COMPUTE_PGM_RSRC2:TIDIG_COMP_CNT: 0
; COMPUTE_PGM_RSRC3_GFX90A:ACCUM_OFFSET: 0
; COMPUTE_PGM_RSRC3_GFX90A:TG_SPLIT: 0
	.section	.text._ZN7rocprim17ROCPRIM_400000_NS6detail17trampoline_kernelINS0_14default_configENS1_35radix_sort_onesweep_config_selectorIdNS0_10empty_typeEEEZZNS1_29radix_sort_onesweep_iterationIS3_Lb1EPdS8_PS5_S9_mNS0_19identity_decomposerENS1_16block_id_wrapperIjLb0EEEEE10hipError_tT1_PNSt15iterator_traitsISE_E10value_typeET2_T3_PNSF_ISK_E10value_typeET4_T5_PSP_SQ_PNS1_23onesweep_lookback_stateEbbT6_jjT7_P12ihipStream_tbENKUlT_T0_SE_SJ_E_clIS8_S8_S9_S9_EEDaSX_SY_SE_SJ_EUlSX_E_NS1_11comp_targetILNS1_3genE6ELNS1_11target_archE950ELNS1_3gpuE13ELNS1_3repE0EEENS1_47radix_sort_onesweep_sort_config_static_selectorELNS0_4arch9wavefront6targetE1EEEvSE_,"axG",@progbits,_ZN7rocprim17ROCPRIM_400000_NS6detail17trampoline_kernelINS0_14default_configENS1_35radix_sort_onesweep_config_selectorIdNS0_10empty_typeEEEZZNS1_29radix_sort_onesweep_iterationIS3_Lb1EPdS8_PS5_S9_mNS0_19identity_decomposerENS1_16block_id_wrapperIjLb0EEEEE10hipError_tT1_PNSt15iterator_traitsISE_E10value_typeET2_T3_PNSF_ISK_E10value_typeET4_T5_PSP_SQ_PNS1_23onesweep_lookback_stateEbbT6_jjT7_P12ihipStream_tbENKUlT_T0_SE_SJ_E_clIS8_S8_S9_S9_EEDaSX_SY_SE_SJ_EUlSX_E_NS1_11comp_targetILNS1_3genE6ELNS1_11target_archE950ELNS1_3gpuE13ELNS1_3repE0EEENS1_47radix_sort_onesweep_sort_config_static_selectorELNS0_4arch9wavefront6targetE1EEEvSE_,comdat
	.protected	_ZN7rocprim17ROCPRIM_400000_NS6detail17trampoline_kernelINS0_14default_configENS1_35radix_sort_onesweep_config_selectorIdNS0_10empty_typeEEEZZNS1_29radix_sort_onesweep_iterationIS3_Lb1EPdS8_PS5_S9_mNS0_19identity_decomposerENS1_16block_id_wrapperIjLb0EEEEE10hipError_tT1_PNSt15iterator_traitsISE_E10value_typeET2_T3_PNSF_ISK_E10value_typeET4_T5_PSP_SQ_PNS1_23onesweep_lookback_stateEbbT6_jjT7_P12ihipStream_tbENKUlT_T0_SE_SJ_E_clIS8_S8_S9_S9_EEDaSX_SY_SE_SJ_EUlSX_E_NS1_11comp_targetILNS1_3genE6ELNS1_11target_archE950ELNS1_3gpuE13ELNS1_3repE0EEENS1_47radix_sort_onesweep_sort_config_static_selectorELNS0_4arch9wavefront6targetE1EEEvSE_ ; -- Begin function _ZN7rocprim17ROCPRIM_400000_NS6detail17trampoline_kernelINS0_14default_configENS1_35radix_sort_onesweep_config_selectorIdNS0_10empty_typeEEEZZNS1_29radix_sort_onesweep_iterationIS3_Lb1EPdS8_PS5_S9_mNS0_19identity_decomposerENS1_16block_id_wrapperIjLb0EEEEE10hipError_tT1_PNSt15iterator_traitsISE_E10value_typeET2_T3_PNSF_ISK_E10value_typeET4_T5_PSP_SQ_PNS1_23onesweep_lookback_stateEbbT6_jjT7_P12ihipStream_tbENKUlT_T0_SE_SJ_E_clIS8_S8_S9_S9_EEDaSX_SY_SE_SJ_EUlSX_E_NS1_11comp_targetILNS1_3genE6ELNS1_11target_archE950ELNS1_3gpuE13ELNS1_3repE0EEENS1_47radix_sort_onesweep_sort_config_static_selectorELNS0_4arch9wavefront6targetE1EEEvSE_
	.globl	_ZN7rocprim17ROCPRIM_400000_NS6detail17trampoline_kernelINS0_14default_configENS1_35radix_sort_onesweep_config_selectorIdNS0_10empty_typeEEEZZNS1_29radix_sort_onesweep_iterationIS3_Lb1EPdS8_PS5_S9_mNS0_19identity_decomposerENS1_16block_id_wrapperIjLb0EEEEE10hipError_tT1_PNSt15iterator_traitsISE_E10value_typeET2_T3_PNSF_ISK_E10value_typeET4_T5_PSP_SQ_PNS1_23onesweep_lookback_stateEbbT6_jjT7_P12ihipStream_tbENKUlT_T0_SE_SJ_E_clIS8_S8_S9_S9_EEDaSX_SY_SE_SJ_EUlSX_E_NS1_11comp_targetILNS1_3genE6ELNS1_11target_archE950ELNS1_3gpuE13ELNS1_3repE0EEENS1_47radix_sort_onesweep_sort_config_static_selectorELNS0_4arch9wavefront6targetE1EEEvSE_
	.p2align	8
	.type	_ZN7rocprim17ROCPRIM_400000_NS6detail17trampoline_kernelINS0_14default_configENS1_35radix_sort_onesweep_config_selectorIdNS0_10empty_typeEEEZZNS1_29radix_sort_onesweep_iterationIS3_Lb1EPdS8_PS5_S9_mNS0_19identity_decomposerENS1_16block_id_wrapperIjLb0EEEEE10hipError_tT1_PNSt15iterator_traitsISE_E10value_typeET2_T3_PNSF_ISK_E10value_typeET4_T5_PSP_SQ_PNS1_23onesweep_lookback_stateEbbT6_jjT7_P12ihipStream_tbENKUlT_T0_SE_SJ_E_clIS8_S8_S9_S9_EEDaSX_SY_SE_SJ_EUlSX_E_NS1_11comp_targetILNS1_3genE6ELNS1_11target_archE950ELNS1_3gpuE13ELNS1_3repE0EEENS1_47radix_sort_onesweep_sort_config_static_selectorELNS0_4arch9wavefront6targetE1EEEvSE_,@function
_ZN7rocprim17ROCPRIM_400000_NS6detail17trampoline_kernelINS0_14default_configENS1_35radix_sort_onesweep_config_selectorIdNS0_10empty_typeEEEZZNS1_29radix_sort_onesweep_iterationIS3_Lb1EPdS8_PS5_S9_mNS0_19identity_decomposerENS1_16block_id_wrapperIjLb0EEEEE10hipError_tT1_PNSt15iterator_traitsISE_E10value_typeET2_T3_PNSF_ISK_E10value_typeET4_T5_PSP_SQ_PNS1_23onesweep_lookback_stateEbbT6_jjT7_P12ihipStream_tbENKUlT_T0_SE_SJ_E_clIS8_S8_S9_S9_EEDaSX_SY_SE_SJ_EUlSX_E_NS1_11comp_targetILNS1_3genE6ELNS1_11target_archE950ELNS1_3gpuE13ELNS1_3repE0EEENS1_47radix_sort_onesweep_sort_config_static_selectorELNS0_4arch9wavefront6targetE1EEEvSE_: ; @_ZN7rocprim17ROCPRIM_400000_NS6detail17trampoline_kernelINS0_14default_configENS1_35radix_sort_onesweep_config_selectorIdNS0_10empty_typeEEEZZNS1_29radix_sort_onesweep_iterationIS3_Lb1EPdS8_PS5_S9_mNS0_19identity_decomposerENS1_16block_id_wrapperIjLb0EEEEE10hipError_tT1_PNSt15iterator_traitsISE_E10value_typeET2_T3_PNSF_ISK_E10value_typeET4_T5_PSP_SQ_PNS1_23onesweep_lookback_stateEbbT6_jjT7_P12ihipStream_tbENKUlT_T0_SE_SJ_E_clIS8_S8_S9_S9_EEDaSX_SY_SE_SJ_EUlSX_E_NS1_11comp_targetILNS1_3genE6ELNS1_11target_archE950ELNS1_3gpuE13ELNS1_3repE0EEENS1_47radix_sort_onesweep_sort_config_static_selectorELNS0_4arch9wavefront6targetE1EEEvSE_
; %bb.0:
	.section	.rodata,"a",@progbits
	.p2align	6, 0x0
	.amdhsa_kernel _ZN7rocprim17ROCPRIM_400000_NS6detail17trampoline_kernelINS0_14default_configENS1_35radix_sort_onesweep_config_selectorIdNS0_10empty_typeEEEZZNS1_29radix_sort_onesweep_iterationIS3_Lb1EPdS8_PS5_S9_mNS0_19identity_decomposerENS1_16block_id_wrapperIjLb0EEEEE10hipError_tT1_PNSt15iterator_traitsISE_E10value_typeET2_T3_PNSF_ISK_E10value_typeET4_T5_PSP_SQ_PNS1_23onesweep_lookback_stateEbbT6_jjT7_P12ihipStream_tbENKUlT_T0_SE_SJ_E_clIS8_S8_S9_S9_EEDaSX_SY_SE_SJ_EUlSX_E_NS1_11comp_targetILNS1_3genE6ELNS1_11target_archE950ELNS1_3gpuE13ELNS1_3repE0EEENS1_47radix_sort_onesweep_sort_config_static_selectorELNS0_4arch9wavefront6targetE1EEEvSE_
		.amdhsa_group_segment_fixed_size 0
		.amdhsa_private_segment_fixed_size 0
		.amdhsa_kernarg_size 88
		.amdhsa_user_sgpr_count 6
		.amdhsa_user_sgpr_private_segment_buffer 1
		.amdhsa_user_sgpr_dispatch_ptr 0
		.amdhsa_user_sgpr_queue_ptr 0
		.amdhsa_user_sgpr_kernarg_segment_ptr 1
		.amdhsa_user_sgpr_dispatch_id 0
		.amdhsa_user_sgpr_flat_scratch_init 0
		.amdhsa_user_sgpr_kernarg_preload_length 0
		.amdhsa_user_sgpr_kernarg_preload_offset 0
		.amdhsa_user_sgpr_private_segment_size 0
		.amdhsa_uses_dynamic_stack 0
		.amdhsa_system_sgpr_private_segment_wavefront_offset 0
		.amdhsa_system_sgpr_workgroup_id_x 1
		.amdhsa_system_sgpr_workgroup_id_y 0
		.amdhsa_system_sgpr_workgroup_id_z 0
		.amdhsa_system_sgpr_workgroup_info 0
		.amdhsa_system_vgpr_workitem_id 0
		.amdhsa_next_free_vgpr 1
		.amdhsa_next_free_sgpr 0
		.amdhsa_accum_offset 4
		.amdhsa_reserve_vcc 0
		.amdhsa_reserve_flat_scratch 0
		.amdhsa_float_round_mode_32 0
		.amdhsa_float_round_mode_16_64 0
		.amdhsa_float_denorm_mode_32 3
		.amdhsa_float_denorm_mode_16_64 3
		.amdhsa_dx10_clamp 1
		.amdhsa_ieee_mode 1
		.amdhsa_fp16_overflow 0
		.amdhsa_tg_split 0
		.amdhsa_exception_fp_ieee_invalid_op 0
		.amdhsa_exception_fp_denorm_src 0
		.amdhsa_exception_fp_ieee_div_zero 0
		.amdhsa_exception_fp_ieee_overflow 0
		.amdhsa_exception_fp_ieee_underflow 0
		.amdhsa_exception_fp_ieee_inexact 0
		.amdhsa_exception_int_div_zero 0
	.end_amdhsa_kernel
	.section	.text._ZN7rocprim17ROCPRIM_400000_NS6detail17trampoline_kernelINS0_14default_configENS1_35radix_sort_onesweep_config_selectorIdNS0_10empty_typeEEEZZNS1_29radix_sort_onesweep_iterationIS3_Lb1EPdS8_PS5_S9_mNS0_19identity_decomposerENS1_16block_id_wrapperIjLb0EEEEE10hipError_tT1_PNSt15iterator_traitsISE_E10value_typeET2_T3_PNSF_ISK_E10value_typeET4_T5_PSP_SQ_PNS1_23onesweep_lookback_stateEbbT6_jjT7_P12ihipStream_tbENKUlT_T0_SE_SJ_E_clIS8_S8_S9_S9_EEDaSX_SY_SE_SJ_EUlSX_E_NS1_11comp_targetILNS1_3genE6ELNS1_11target_archE950ELNS1_3gpuE13ELNS1_3repE0EEENS1_47radix_sort_onesweep_sort_config_static_selectorELNS0_4arch9wavefront6targetE1EEEvSE_,"axG",@progbits,_ZN7rocprim17ROCPRIM_400000_NS6detail17trampoline_kernelINS0_14default_configENS1_35radix_sort_onesweep_config_selectorIdNS0_10empty_typeEEEZZNS1_29radix_sort_onesweep_iterationIS3_Lb1EPdS8_PS5_S9_mNS0_19identity_decomposerENS1_16block_id_wrapperIjLb0EEEEE10hipError_tT1_PNSt15iterator_traitsISE_E10value_typeET2_T3_PNSF_ISK_E10value_typeET4_T5_PSP_SQ_PNS1_23onesweep_lookback_stateEbbT6_jjT7_P12ihipStream_tbENKUlT_T0_SE_SJ_E_clIS8_S8_S9_S9_EEDaSX_SY_SE_SJ_EUlSX_E_NS1_11comp_targetILNS1_3genE6ELNS1_11target_archE950ELNS1_3gpuE13ELNS1_3repE0EEENS1_47radix_sort_onesweep_sort_config_static_selectorELNS0_4arch9wavefront6targetE1EEEvSE_,comdat
.Lfunc_end2625:
	.size	_ZN7rocprim17ROCPRIM_400000_NS6detail17trampoline_kernelINS0_14default_configENS1_35radix_sort_onesweep_config_selectorIdNS0_10empty_typeEEEZZNS1_29radix_sort_onesweep_iterationIS3_Lb1EPdS8_PS5_S9_mNS0_19identity_decomposerENS1_16block_id_wrapperIjLb0EEEEE10hipError_tT1_PNSt15iterator_traitsISE_E10value_typeET2_T3_PNSF_ISK_E10value_typeET4_T5_PSP_SQ_PNS1_23onesweep_lookback_stateEbbT6_jjT7_P12ihipStream_tbENKUlT_T0_SE_SJ_E_clIS8_S8_S9_S9_EEDaSX_SY_SE_SJ_EUlSX_E_NS1_11comp_targetILNS1_3genE6ELNS1_11target_archE950ELNS1_3gpuE13ELNS1_3repE0EEENS1_47radix_sort_onesweep_sort_config_static_selectorELNS0_4arch9wavefront6targetE1EEEvSE_, .Lfunc_end2625-_ZN7rocprim17ROCPRIM_400000_NS6detail17trampoline_kernelINS0_14default_configENS1_35radix_sort_onesweep_config_selectorIdNS0_10empty_typeEEEZZNS1_29radix_sort_onesweep_iterationIS3_Lb1EPdS8_PS5_S9_mNS0_19identity_decomposerENS1_16block_id_wrapperIjLb0EEEEE10hipError_tT1_PNSt15iterator_traitsISE_E10value_typeET2_T3_PNSF_ISK_E10value_typeET4_T5_PSP_SQ_PNS1_23onesweep_lookback_stateEbbT6_jjT7_P12ihipStream_tbENKUlT_T0_SE_SJ_E_clIS8_S8_S9_S9_EEDaSX_SY_SE_SJ_EUlSX_E_NS1_11comp_targetILNS1_3genE6ELNS1_11target_archE950ELNS1_3gpuE13ELNS1_3repE0EEENS1_47radix_sort_onesweep_sort_config_static_selectorELNS0_4arch9wavefront6targetE1EEEvSE_
                                        ; -- End function
	.section	.AMDGPU.csdata,"",@progbits
; Kernel info:
; codeLenInByte = 0
; NumSgprs: 4
; NumVgprs: 0
; NumAgprs: 0
; TotalNumVgprs: 0
; ScratchSize: 0
; MemoryBound: 0
; FloatMode: 240
; IeeeMode: 1
; LDSByteSize: 0 bytes/workgroup (compile time only)
; SGPRBlocks: 0
; VGPRBlocks: 0
; NumSGPRsForWavesPerEU: 4
; NumVGPRsForWavesPerEU: 1
; AccumOffset: 4
; Occupancy: 8
; WaveLimiterHint : 0
; COMPUTE_PGM_RSRC2:SCRATCH_EN: 0
; COMPUTE_PGM_RSRC2:USER_SGPR: 6
; COMPUTE_PGM_RSRC2:TRAP_HANDLER: 0
; COMPUTE_PGM_RSRC2:TGID_X_EN: 1
; COMPUTE_PGM_RSRC2:TGID_Y_EN: 0
; COMPUTE_PGM_RSRC2:TGID_Z_EN: 0
; COMPUTE_PGM_RSRC2:TIDIG_COMP_CNT: 0
; COMPUTE_PGM_RSRC3_GFX90A:ACCUM_OFFSET: 0
; COMPUTE_PGM_RSRC3_GFX90A:TG_SPLIT: 0
	.section	.text._ZN7rocprim17ROCPRIM_400000_NS6detail17trampoline_kernelINS0_14default_configENS1_35radix_sort_onesweep_config_selectorIdNS0_10empty_typeEEEZZNS1_29radix_sort_onesweep_iterationIS3_Lb1EPdS8_PS5_S9_mNS0_19identity_decomposerENS1_16block_id_wrapperIjLb0EEEEE10hipError_tT1_PNSt15iterator_traitsISE_E10value_typeET2_T3_PNSF_ISK_E10value_typeET4_T5_PSP_SQ_PNS1_23onesweep_lookback_stateEbbT6_jjT7_P12ihipStream_tbENKUlT_T0_SE_SJ_E_clIS8_S8_S9_S9_EEDaSX_SY_SE_SJ_EUlSX_E_NS1_11comp_targetILNS1_3genE5ELNS1_11target_archE942ELNS1_3gpuE9ELNS1_3repE0EEENS1_47radix_sort_onesweep_sort_config_static_selectorELNS0_4arch9wavefront6targetE1EEEvSE_,"axG",@progbits,_ZN7rocprim17ROCPRIM_400000_NS6detail17trampoline_kernelINS0_14default_configENS1_35radix_sort_onesweep_config_selectorIdNS0_10empty_typeEEEZZNS1_29radix_sort_onesweep_iterationIS3_Lb1EPdS8_PS5_S9_mNS0_19identity_decomposerENS1_16block_id_wrapperIjLb0EEEEE10hipError_tT1_PNSt15iterator_traitsISE_E10value_typeET2_T3_PNSF_ISK_E10value_typeET4_T5_PSP_SQ_PNS1_23onesweep_lookback_stateEbbT6_jjT7_P12ihipStream_tbENKUlT_T0_SE_SJ_E_clIS8_S8_S9_S9_EEDaSX_SY_SE_SJ_EUlSX_E_NS1_11comp_targetILNS1_3genE5ELNS1_11target_archE942ELNS1_3gpuE9ELNS1_3repE0EEENS1_47radix_sort_onesweep_sort_config_static_selectorELNS0_4arch9wavefront6targetE1EEEvSE_,comdat
	.protected	_ZN7rocprim17ROCPRIM_400000_NS6detail17trampoline_kernelINS0_14default_configENS1_35radix_sort_onesweep_config_selectorIdNS0_10empty_typeEEEZZNS1_29radix_sort_onesweep_iterationIS3_Lb1EPdS8_PS5_S9_mNS0_19identity_decomposerENS1_16block_id_wrapperIjLb0EEEEE10hipError_tT1_PNSt15iterator_traitsISE_E10value_typeET2_T3_PNSF_ISK_E10value_typeET4_T5_PSP_SQ_PNS1_23onesweep_lookback_stateEbbT6_jjT7_P12ihipStream_tbENKUlT_T0_SE_SJ_E_clIS8_S8_S9_S9_EEDaSX_SY_SE_SJ_EUlSX_E_NS1_11comp_targetILNS1_3genE5ELNS1_11target_archE942ELNS1_3gpuE9ELNS1_3repE0EEENS1_47radix_sort_onesweep_sort_config_static_selectorELNS0_4arch9wavefront6targetE1EEEvSE_ ; -- Begin function _ZN7rocprim17ROCPRIM_400000_NS6detail17trampoline_kernelINS0_14default_configENS1_35radix_sort_onesweep_config_selectorIdNS0_10empty_typeEEEZZNS1_29radix_sort_onesweep_iterationIS3_Lb1EPdS8_PS5_S9_mNS0_19identity_decomposerENS1_16block_id_wrapperIjLb0EEEEE10hipError_tT1_PNSt15iterator_traitsISE_E10value_typeET2_T3_PNSF_ISK_E10value_typeET4_T5_PSP_SQ_PNS1_23onesweep_lookback_stateEbbT6_jjT7_P12ihipStream_tbENKUlT_T0_SE_SJ_E_clIS8_S8_S9_S9_EEDaSX_SY_SE_SJ_EUlSX_E_NS1_11comp_targetILNS1_3genE5ELNS1_11target_archE942ELNS1_3gpuE9ELNS1_3repE0EEENS1_47radix_sort_onesweep_sort_config_static_selectorELNS0_4arch9wavefront6targetE1EEEvSE_
	.globl	_ZN7rocprim17ROCPRIM_400000_NS6detail17trampoline_kernelINS0_14default_configENS1_35radix_sort_onesweep_config_selectorIdNS0_10empty_typeEEEZZNS1_29radix_sort_onesweep_iterationIS3_Lb1EPdS8_PS5_S9_mNS0_19identity_decomposerENS1_16block_id_wrapperIjLb0EEEEE10hipError_tT1_PNSt15iterator_traitsISE_E10value_typeET2_T3_PNSF_ISK_E10value_typeET4_T5_PSP_SQ_PNS1_23onesweep_lookback_stateEbbT6_jjT7_P12ihipStream_tbENKUlT_T0_SE_SJ_E_clIS8_S8_S9_S9_EEDaSX_SY_SE_SJ_EUlSX_E_NS1_11comp_targetILNS1_3genE5ELNS1_11target_archE942ELNS1_3gpuE9ELNS1_3repE0EEENS1_47radix_sort_onesweep_sort_config_static_selectorELNS0_4arch9wavefront6targetE1EEEvSE_
	.p2align	8
	.type	_ZN7rocprim17ROCPRIM_400000_NS6detail17trampoline_kernelINS0_14default_configENS1_35radix_sort_onesweep_config_selectorIdNS0_10empty_typeEEEZZNS1_29radix_sort_onesweep_iterationIS3_Lb1EPdS8_PS5_S9_mNS0_19identity_decomposerENS1_16block_id_wrapperIjLb0EEEEE10hipError_tT1_PNSt15iterator_traitsISE_E10value_typeET2_T3_PNSF_ISK_E10value_typeET4_T5_PSP_SQ_PNS1_23onesweep_lookback_stateEbbT6_jjT7_P12ihipStream_tbENKUlT_T0_SE_SJ_E_clIS8_S8_S9_S9_EEDaSX_SY_SE_SJ_EUlSX_E_NS1_11comp_targetILNS1_3genE5ELNS1_11target_archE942ELNS1_3gpuE9ELNS1_3repE0EEENS1_47radix_sort_onesweep_sort_config_static_selectorELNS0_4arch9wavefront6targetE1EEEvSE_,@function
_ZN7rocprim17ROCPRIM_400000_NS6detail17trampoline_kernelINS0_14default_configENS1_35radix_sort_onesweep_config_selectorIdNS0_10empty_typeEEEZZNS1_29radix_sort_onesweep_iterationIS3_Lb1EPdS8_PS5_S9_mNS0_19identity_decomposerENS1_16block_id_wrapperIjLb0EEEEE10hipError_tT1_PNSt15iterator_traitsISE_E10value_typeET2_T3_PNSF_ISK_E10value_typeET4_T5_PSP_SQ_PNS1_23onesweep_lookback_stateEbbT6_jjT7_P12ihipStream_tbENKUlT_T0_SE_SJ_E_clIS8_S8_S9_S9_EEDaSX_SY_SE_SJ_EUlSX_E_NS1_11comp_targetILNS1_3genE5ELNS1_11target_archE942ELNS1_3gpuE9ELNS1_3repE0EEENS1_47radix_sort_onesweep_sort_config_static_selectorELNS0_4arch9wavefront6targetE1EEEvSE_: ; @_ZN7rocprim17ROCPRIM_400000_NS6detail17trampoline_kernelINS0_14default_configENS1_35radix_sort_onesweep_config_selectorIdNS0_10empty_typeEEEZZNS1_29radix_sort_onesweep_iterationIS3_Lb1EPdS8_PS5_S9_mNS0_19identity_decomposerENS1_16block_id_wrapperIjLb0EEEEE10hipError_tT1_PNSt15iterator_traitsISE_E10value_typeET2_T3_PNSF_ISK_E10value_typeET4_T5_PSP_SQ_PNS1_23onesweep_lookback_stateEbbT6_jjT7_P12ihipStream_tbENKUlT_T0_SE_SJ_E_clIS8_S8_S9_S9_EEDaSX_SY_SE_SJ_EUlSX_E_NS1_11comp_targetILNS1_3genE5ELNS1_11target_archE942ELNS1_3gpuE9ELNS1_3repE0EEENS1_47radix_sort_onesweep_sort_config_static_selectorELNS0_4arch9wavefront6targetE1EEEvSE_
; %bb.0:
	.section	.rodata,"a",@progbits
	.p2align	6, 0x0
	.amdhsa_kernel _ZN7rocprim17ROCPRIM_400000_NS6detail17trampoline_kernelINS0_14default_configENS1_35radix_sort_onesweep_config_selectorIdNS0_10empty_typeEEEZZNS1_29radix_sort_onesweep_iterationIS3_Lb1EPdS8_PS5_S9_mNS0_19identity_decomposerENS1_16block_id_wrapperIjLb0EEEEE10hipError_tT1_PNSt15iterator_traitsISE_E10value_typeET2_T3_PNSF_ISK_E10value_typeET4_T5_PSP_SQ_PNS1_23onesweep_lookback_stateEbbT6_jjT7_P12ihipStream_tbENKUlT_T0_SE_SJ_E_clIS8_S8_S9_S9_EEDaSX_SY_SE_SJ_EUlSX_E_NS1_11comp_targetILNS1_3genE5ELNS1_11target_archE942ELNS1_3gpuE9ELNS1_3repE0EEENS1_47radix_sort_onesweep_sort_config_static_selectorELNS0_4arch9wavefront6targetE1EEEvSE_
		.amdhsa_group_segment_fixed_size 0
		.amdhsa_private_segment_fixed_size 0
		.amdhsa_kernarg_size 88
		.amdhsa_user_sgpr_count 6
		.amdhsa_user_sgpr_private_segment_buffer 1
		.amdhsa_user_sgpr_dispatch_ptr 0
		.amdhsa_user_sgpr_queue_ptr 0
		.amdhsa_user_sgpr_kernarg_segment_ptr 1
		.amdhsa_user_sgpr_dispatch_id 0
		.amdhsa_user_sgpr_flat_scratch_init 0
		.amdhsa_user_sgpr_kernarg_preload_length 0
		.amdhsa_user_sgpr_kernarg_preload_offset 0
		.amdhsa_user_sgpr_private_segment_size 0
		.amdhsa_uses_dynamic_stack 0
		.amdhsa_system_sgpr_private_segment_wavefront_offset 0
		.amdhsa_system_sgpr_workgroup_id_x 1
		.amdhsa_system_sgpr_workgroup_id_y 0
		.amdhsa_system_sgpr_workgroup_id_z 0
		.amdhsa_system_sgpr_workgroup_info 0
		.amdhsa_system_vgpr_workitem_id 0
		.amdhsa_next_free_vgpr 1
		.amdhsa_next_free_sgpr 0
		.amdhsa_accum_offset 4
		.amdhsa_reserve_vcc 0
		.amdhsa_reserve_flat_scratch 0
		.amdhsa_float_round_mode_32 0
		.amdhsa_float_round_mode_16_64 0
		.amdhsa_float_denorm_mode_32 3
		.amdhsa_float_denorm_mode_16_64 3
		.amdhsa_dx10_clamp 1
		.amdhsa_ieee_mode 1
		.amdhsa_fp16_overflow 0
		.amdhsa_tg_split 0
		.amdhsa_exception_fp_ieee_invalid_op 0
		.amdhsa_exception_fp_denorm_src 0
		.amdhsa_exception_fp_ieee_div_zero 0
		.amdhsa_exception_fp_ieee_overflow 0
		.amdhsa_exception_fp_ieee_underflow 0
		.amdhsa_exception_fp_ieee_inexact 0
		.amdhsa_exception_int_div_zero 0
	.end_amdhsa_kernel
	.section	.text._ZN7rocprim17ROCPRIM_400000_NS6detail17trampoline_kernelINS0_14default_configENS1_35radix_sort_onesweep_config_selectorIdNS0_10empty_typeEEEZZNS1_29radix_sort_onesweep_iterationIS3_Lb1EPdS8_PS5_S9_mNS0_19identity_decomposerENS1_16block_id_wrapperIjLb0EEEEE10hipError_tT1_PNSt15iterator_traitsISE_E10value_typeET2_T3_PNSF_ISK_E10value_typeET4_T5_PSP_SQ_PNS1_23onesweep_lookback_stateEbbT6_jjT7_P12ihipStream_tbENKUlT_T0_SE_SJ_E_clIS8_S8_S9_S9_EEDaSX_SY_SE_SJ_EUlSX_E_NS1_11comp_targetILNS1_3genE5ELNS1_11target_archE942ELNS1_3gpuE9ELNS1_3repE0EEENS1_47radix_sort_onesweep_sort_config_static_selectorELNS0_4arch9wavefront6targetE1EEEvSE_,"axG",@progbits,_ZN7rocprim17ROCPRIM_400000_NS6detail17trampoline_kernelINS0_14default_configENS1_35radix_sort_onesweep_config_selectorIdNS0_10empty_typeEEEZZNS1_29radix_sort_onesweep_iterationIS3_Lb1EPdS8_PS5_S9_mNS0_19identity_decomposerENS1_16block_id_wrapperIjLb0EEEEE10hipError_tT1_PNSt15iterator_traitsISE_E10value_typeET2_T3_PNSF_ISK_E10value_typeET4_T5_PSP_SQ_PNS1_23onesweep_lookback_stateEbbT6_jjT7_P12ihipStream_tbENKUlT_T0_SE_SJ_E_clIS8_S8_S9_S9_EEDaSX_SY_SE_SJ_EUlSX_E_NS1_11comp_targetILNS1_3genE5ELNS1_11target_archE942ELNS1_3gpuE9ELNS1_3repE0EEENS1_47radix_sort_onesweep_sort_config_static_selectorELNS0_4arch9wavefront6targetE1EEEvSE_,comdat
.Lfunc_end2626:
	.size	_ZN7rocprim17ROCPRIM_400000_NS6detail17trampoline_kernelINS0_14default_configENS1_35radix_sort_onesweep_config_selectorIdNS0_10empty_typeEEEZZNS1_29radix_sort_onesweep_iterationIS3_Lb1EPdS8_PS5_S9_mNS0_19identity_decomposerENS1_16block_id_wrapperIjLb0EEEEE10hipError_tT1_PNSt15iterator_traitsISE_E10value_typeET2_T3_PNSF_ISK_E10value_typeET4_T5_PSP_SQ_PNS1_23onesweep_lookback_stateEbbT6_jjT7_P12ihipStream_tbENKUlT_T0_SE_SJ_E_clIS8_S8_S9_S9_EEDaSX_SY_SE_SJ_EUlSX_E_NS1_11comp_targetILNS1_3genE5ELNS1_11target_archE942ELNS1_3gpuE9ELNS1_3repE0EEENS1_47radix_sort_onesweep_sort_config_static_selectorELNS0_4arch9wavefront6targetE1EEEvSE_, .Lfunc_end2626-_ZN7rocprim17ROCPRIM_400000_NS6detail17trampoline_kernelINS0_14default_configENS1_35radix_sort_onesweep_config_selectorIdNS0_10empty_typeEEEZZNS1_29radix_sort_onesweep_iterationIS3_Lb1EPdS8_PS5_S9_mNS0_19identity_decomposerENS1_16block_id_wrapperIjLb0EEEEE10hipError_tT1_PNSt15iterator_traitsISE_E10value_typeET2_T3_PNSF_ISK_E10value_typeET4_T5_PSP_SQ_PNS1_23onesweep_lookback_stateEbbT6_jjT7_P12ihipStream_tbENKUlT_T0_SE_SJ_E_clIS8_S8_S9_S9_EEDaSX_SY_SE_SJ_EUlSX_E_NS1_11comp_targetILNS1_3genE5ELNS1_11target_archE942ELNS1_3gpuE9ELNS1_3repE0EEENS1_47radix_sort_onesweep_sort_config_static_selectorELNS0_4arch9wavefront6targetE1EEEvSE_
                                        ; -- End function
	.section	.AMDGPU.csdata,"",@progbits
; Kernel info:
; codeLenInByte = 0
; NumSgprs: 4
; NumVgprs: 0
; NumAgprs: 0
; TotalNumVgprs: 0
; ScratchSize: 0
; MemoryBound: 0
; FloatMode: 240
; IeeeMode: 1
; LDSByteSize: 0 bytes/workgroup (compile time only)
; SGPRBlocks: 0
; VGPRBlocks: 0
; NumSGPRsForWavesPerEU: 4
; NumVGPRsForWavesPerEU: 1
; AccumOffset: 4
; Occupancy: 8
; WaveLimiterHint : 0
; COMPUTE_PGM_RSRC2:SCRATCH_EN: 0
; COMPUTE_PGM_RSRC2:USER_SGPR: 6
; COMPUTE_PGM_RSRC2:TRAP_HANDLER: 0
; COMPUTE_PGM_RSRC2:TGID_X_EN: 1
; COMPUTE_PGM_RSRC2:TGID_Y_EN: 0
; COMPUTE_PGM_RSRC2:TGID_Z_EN: 0
; COMPUTE_PGM_RSRC2:TIDIG_COMP_CNT: 0
; COMPUTE_PGM_RSRC3_GFX90A:ACCUM_OFFSET: 0
; COMPUTE_PGM_RSRC3_GFX90A:TG_SPLIT: 0
	.section	.text._ZN7rocprim17ROCPRIM_400000_NS6detail17trampoline_kernelINS0_14default_configENS1_35radix_sort_onesweep_config_selectorIdNS0_10empty_typeEEEZZNS1_29radix_sort_onesweep_iterationIS3_Lb1EPdS8_PS5_S9_mNS0_19identity_decomposerENS1_16block_id_wrapperIjLb0EEEEE10hipError_tT1_PNSt15iterator_traitsISE_E10value_typeET2_T3_PNSF_ISK_E10value_typeET4_T5_PSP_SQ_PNS1_23onesweep_lookback_stateEbbT6_jjT7_P12ihipStream_tbENKUlT_T0_SE_SJ_E_clIS8_S8_S9_S9_EEDaSX_SY_SE_SJ_EUlSX_E_NS1_11comp_targetILNS1_3genE2ELNS1_11target_archE906ELNS1_3gpuE6ELNS1_3repE0EEENS1_47radix_sort_onesweep_sort_config_static_selectorELNS0_4arch9wavefront6targetE1EEEvSE_,"axG",@progbits,_ZN7rocprim17ROCPRIM_400000_NS6detail17trampoline_kernelINS0_14default_configENS1_35radix_sort_onesweep_config_selectorIdNS0_10empty_typeEEEZZNS1_29radix_sort_onesweep_iterationIS3_Lb1EPdS8_PS5_S9_mNS0_19identity_decomposerENS1_16block_id_wrapperIjLb0EEEEE10hipError_tT1_PNSt15iterator_traitsISE_E10value_typeET2_T3_PNSF_ISK_E10value_typeET4_T5_PSP_SQ_PNS1_23onesweep_lookback_stateEbbT6_jjT7_P12ihipStream_tbENKUlT_T0_SE_SJ_E_clIS8_S8_S9_S9_EEDaSX_SY_SE_SJ_EUlSX_E_NS1_11comp_targetILNS1_3genE2ELNS1_11target_archE906ELNS1_3gpuE6ELNS1_3repE0EEENS1_47radix_sort_onesweep_sort_config_static_selectorELNS0_4arch9wavefront6targetE1EEEvSE_,comdat
	.protected	_ZN7rocprim17ROCPRIM_400000_NS6detail17trampoline_kernelINS0_14default_configENS1_35radix_sort_onesweep_config_selectorIdNS0_10empty_typeEEEZZNS1_29radix_sort_onesweep_iterationIS3_Lb1EPdS8_PS5_S9_mNS0_19identity_decomposerENS1_16block_id_wrapperIjLb0EEEEE10hipError_tT1_PNSt15iterator_traitsISE_E10value_typeET2_T3_PNSF_ISK_E10value_typeET4_T5_PSP_SQ_PNS1_23onesweep_lookback_stateEbbT6_jjT7_P12ihipStream_tbENKUlT_T0_SE_SJ_E_clIS8_S8_S9_S9_EEDaSX_SY_SE_SJ_EUlSX_E_NS1_11comp_targetILNS1_3genE2ELNS1_11target_archE906ELNS1_3gpuE6ELNS1_3repE0EEENS1_47radix_sort_onesweep_sort_config_static_selectorELNS0_4arch9wavefront6targetE1EEEvSE_ ; -- Begin function _ZN7rocprim17ROCPRIM_400000_NS6detail17trampoline_kernelINS0_14default_configENS1_35radix_sort_onesweep_config_selectorIdNS0_10empty_typeEEEZZNS1_29radix_sort_onesweep_iterationIS3_Lb1EPdS8_PS5_S9_mNS0_19identity_decomposerENS1_16block_id_wrapperIjLb0EEEEE10hipError_tT1_PNSt15iterator_traitsISE_E10value_typeET2_T3_PNSF_ISK_E10value_typeET4_T5_PSP_SQ_PNS1_23onesweep_lookback_stateEbbT6_jjT7_P12ihipStream_tbENKUlT_T0_SE_SJ_E_clIS8_S8_S9_S9_EEDaSX_SY_SE_SJ_EUlSX_E_NS1_11comp_targetILNS1_3genE2ELNS1_11target_archE906ELNS1_3gpuE6ELNS1_3repE0EEENS1_47radix_sort_onesweep_sort_config_static_selectorELNS0_4arch9wavefront6targetE1EEEvSE_
	.globl	_ZN7rocprim17ROCPRIM_400000_NS6detail17trampoline_kernelINS0_14default_configENS1_35radix_sort_onesweep_config_selectorIdNS0_10empty_typeEEEZZNS1_29radix_sort_onesweep_iterationIS3_Lb1EPdS8_PS5_S9_mNS0_19identity_decomposerENS1_16block_id_wrapperIjLb0EEEEE10hipError_tT1_PNSt15iterator_traitsISE_E10value_typeET2_T3_PNSF_ISK_E10value_typeET4_T5_PSP_SQ_PNS1_23onesweep_lookback_stateEbbT6_jjT7_P12ihipStream_tbENKUlT_T0_SE_SJ_E_clIS8_S8_S9_S9_EEDaSX_SY_SE_SJ_EUlSX_E_NS1_11comp_targetILNS1_3genE2ELNS1_11target_archE906ELNS1_3gpuE6ELNS1_3repE0EEENS1_47radix_sort_onesweep_sort_config_static_selectorELNS0_4arch9wavefront6targetE1EEEvSE_
	.p2align	8
	.type	_ZN7rocprim17ROCPRIM_400000_NS6detail17trampoline_kernelINS0_14default_configENS1_35radix_sort_onesweep_config_selectorIdNS0_10empty_typeEEEZZNS1_29radix_sort_onesweep_iterationIS3_Lb1EPdS8_PS5_S9_mNS0_19identity_decomposerENS1_16block_id_wrapperIjLb0EEEEE10hipError_tT1_PNSt15iterator_traitsISE_E10value_typeET2_T3_PNSF_ISK_E10value_typeET4_T5_PSP_SQ_PNS1_23onesweep_lookback_stateEbbT6_jjT7_P12ihipStream_tbENKUlT_T0_SE_SJ_E_clIS8_S8_S9_S9_EEDaSX_SY_SE_SJ_EUlSX_E_NS1_11comp_targetILNS1_3genE2ELNS1_11target_archE906ELNS1_3gpuE6ELNS1_3repE0EEENS1_47radix_sort_onesweep_sort_config_static_selectorELNS0_4arch9wavefront6targetE1EEEvSE_,@function
_ZN7rocprim17ROCPRIM_400000_NS6detail17trampoline_kernelINS0_14default_configENS1_35radix_sort_onesweep_config_selectorIdNS0_10empty_typeEEEZZNS1_29radix_sort_onesweep_iterationIS3_Lb1EPdS8_PS5_S9_mNS0_19identity_decomposerENS1_16block_id_wrapperIjLb0EEEEE10hipError_tT1_PNSt15iterator_traitsISE_E10value_typeET2_T3_PNSF_ISK_E10value_typeET4_T5_PSP_SQ_PNS1_23onesweep_lookback_stateEbbT6_jjT7_P12ihipStream_tbENKUlT_T0_SE_SJ_E_clIS8_S8_S9_S9_EEDaSX_SY_SE_SJ_EUlSX_E_NS1_11comp_targetILNS1_3genE2ELNS1_11target_archE906ELNS1_3gpuE6ELNS1_3repE0EEENS1_47radix_sort_onesweep_sort_config_static_selectorELNS0_4arch9wavefront6targetE1EEEvSE_: ; @_ZN7rocprim17ROCPRIM_400000_NS6detail17trampoline_kernelINS0_14default_configENS1_35radix_sort_onesweep_config_selectorIdNS0_10empty_typeEEEZZNS1_29radix_sort_onesweep_iterationIS3_Lb1EPdS8_PS5_S9_mNS0_19identity_decomposerENS1_16block_id_wrapperIjLb0EEEEE10hipError_tT1_PNSt15iterator_traitsISE_E10value_typeET2_T3_PNSF_ISK_E10value_typeET4_T5_PSP_SQ_PNS1_23onesweep_lookback_stateEbbT6_jjT7_P12ihipStream_tbENKUlT_T0_SE_SJ_E_clIS8_S8_S9_S9_EEDaSX_SY_SE_SJ_EUlSX_E_NS1_11comp_targetILNS1_3genE2ELNS1_11target_archE906ELNS1_3gpuE6ELNS1_3repE0EEENS1_47radix_sort_onesweep_sort_config_static_selectorELNS0_4arch9wavefront6targetE1EEEvSE_
; %bb.0:
	.section	.rodata,"a",@progbits
	.p2align	6, 0x0
	.amdhsa_kernel _ZN7rocprim17ROCPRIM_400000_NS6detail17trampoline_kernelINS0_14default_configENS1_35radix_sort_onesweep_config_selectorIdNS0_10empty_typeEEEZZNS1_29radix_sort_onesweep_iterationIS3_Lb1EPdS8_PS5_S9_mNS0_19identity_decomposerENS1_16block_id_wrapperIjLb0EEEEE10hipError_tT1_PNSt15iterator_traitsISE_E10value_typeET2_T3_PNSF_ISK_E10value_typeET4_T5_PSP_SQ_PNS1_23onesweep_lookback_stateEbbT6_jjT7_P12ihipStream_tbENKUlT_T0_SE_SJ_E_clIS8_S8_S9_S9_EEDaSX_SY_SE_SJ_EUlSX_E_NS1_11comp_targetILNS1_3genE2ELNS1_11target_archE906ELNS1_3gpuE6ELNS1_3repE0EEENS1_47radix_sort_onesweep_sort_config_static_selectorELNS0_4arch9wavefront6targetE1EEEvSE_
		.amdhsa_group_segment_fixed_size 0
		.amdhsa_private_segment_fixed_size 0
		.amdhsa_kernarg_size 88
		.amdhsa_user_sgpr_count 6
		.amdhsa_user_sgpr_private_segment_buffer 1
		.amdhsa_user_sgpr_dispatch_ptr 0
		.amdhsa_user_sgpr_queue_ptr 0
		.amdhsa_user_sgpr_kernarg_segment_ptr 1
		.amdhsa_user_sgpr_dispatch_id 0
		.amdhsa_user_sgpr_flat_scratch_init 0
		.amdhsa_user_sgpr_kernarg_preload_length 0
		.amdhsa_user_sgpr_kernarg_preload_offset 0
		.amdhsa_user_sgpr_private_segment_size 0
		.amdhsa_uses_dynamic_stack 0
		.amdhsa_system_sgpr_private_segment_wavefront_offset 0
		.amdhsa_system_sgpr_workgroup_id_x 1
		.amdhsa_system_sgpr_workgroup_id_y 0
		.amdhsa_system_sgpr_workgroup_id_z 0
		.amdhsa_system_sgpr_workgroup_info 0
		.amdhsa_system_vgpr_workitem_id 0
		.amdhsa_next_free_vgpr 1
		.amdhsa_next_free_sgpr 0
		.amdhsa_accum_offset 4
		.amdhsa_reserve_vcc 0
		.amdhsa_reserve_flat_scratch 0
		.amdhsa_float_round_mode_32 0
		.amdhsa_float_round_mode_16_64 0
		.amdhsa_float_denorm_mode_32 3
		.amdhsa_float_denorm_mode_16_64 3
		.amdhsa_dx10_clamp 1
		.amdhsa_ieee_mode 1
		.amdhsa_fp16_overflow 0
		.amdhsa_tg_split 0
		.amdhsa_exception_fp_ieee_invalid_op 0
		.amdhsa_exception_fp_denorm_src 0
		.amdhsa_exception_fp_ieee_div_zero 0
		.amdhsa_exception_fp_ieee_overflow 0
		.amdhsa_exception_fp_ieee_underflow 0
		.amdhsa_exception_fp_ieee_inexact 0
		.amdhsa_exception_int_div_zero 0
	.end_amdhsa_kernel
	.section	.text._ZN7rocprim17ROCPRIM_400000_NS6detail17trampoline_kernelINS0_14default_configENS1_35radix_sort_onesweep_config_selectorIdNS0_10empty_typeEEEZZNS1_29radix_sort_onesweep_iterationIS3_Lb1EPdS8_PS5_S9_mNS0_19identity_decomposerENS1_16block_id_wrapperIjLb0EEEEE10hipError_tT1_PNSt15iterator_traitsISE_E10value_typeET2_T3_PNSF_ISK_E10value_typeET4_T5_PSP_SQ_PNS1_23onesweep_lookback_stateEbbT6_jjT7_P12ihipStream_tbENKUlT_T0_SE_SJ_E_clIS8_S8_S9_S9_EEDaSX_SY_SE_SJ_EUlSX_E_NS1_11comp_targetILNS1_3genE2ELNS1_11target_archE906ELNS1_3gpuE6ELNS1_3repE0EEENS1_47radix_sort_onesweep_sort_config_static_selectorELNS0_4arch9wavefront6targetE1EEEvSE_,"axG",@progbits,_ZN7rocprim17ROCPRIM_400000_NS6detail17trampoline_kernelINS0_14default_configENS1_35radix_sort_onesweep_config_selectorIdNS0_10empty_typeEEEZZNS1_29radix_sort_onesweep_iterationIS3_Lb1EPdS8_PS5_S9_mNS0_19identity_decomposerENS1_16block_id_wrapperIjLb0EEEEE10hipError_tT1_PNSt15iterator_traitsISE_E10value_typeET2_T3_PNSF_ISK_E10value_typeET4_T5_PSP_SQ_PNS1_23onesweep_lookback_stateEbbT6_jjT7_P12ihipStream_tbENKUlT_T0_SE_SJ_E_clIS8_S8_S9_S9_EEDaSX_SY_SE_SJ_EUlSX_E_NS1_11comp_targetILNS1_3genE2ELNS1_11target_archE906ELNS1_3gpuE6ELNS1_3repE0EEENS1_47radix_sort_onesweep_sort_config_static_selectorELNS0_4arch9wavefront6targetE1EEEvSE_,comdat
.Lfunc_end2627:
	.size	_ZN7rocprim17ROCPRIM_400000_NS6detail17trampoline_kernelINS0_14default_configENS1_35radix_sort_onesweep_config_selectorIdNS0_10empty_typeEEEZZNS1_29radix_sort_onesweep_iterationIS3_Lb1EPdS8_PS5_S9_mNS0_19identity_decomposerENS1_16block_id_wrapperIjLb0EEEEE10hipError_tT1_PNSt15iterator_traitsISE_E10value_typeET2_T3_PNSF_ISK_E10value_typeET4_T5_PSP_SQ_PNS1_23onesweep_lookback_stateEbbT6_jjT7_P12ihipStream_tbENKUlT_T0_SE_SJ_E_clIS8_S8_S9_S9_EEDaSX_SY_SE_SJ_EUlSX_E_NS1_11comp_targetILNS1_3genE2ELNS1_11target_archE906ELNS1_3gpuE6ELNS1_3repE0EEENS1_47radix_sort_onesweep_sort_config_static_selectorELNS0_4arch9wavefront6targetE1EEEvSE_, .Lfunc_end2627-_ZN7rocprim17ROCPRIM_400000_NS6detail17trampoline_kernelINS0_14default_configENS1_35radix_sort_onesweep_config_selectorIdNS0_10empty_typeEEEZZNS1_29radix_sort_onesweep_iterationIS3_Lb1EPdS8_PS5_S9_mNS0_19identity_decomposerENS1_16block_id_wrapperIjLb0EEEEE10hipError_tT1_PNSt15iterator_traitsISE_E10value_typeET2_T3_PNSF_ISK_E10value_typeET4_T5_PSP_SQ_PNS1_23onesweep_lookback_stateEbbT6_jjT7_P12ihipStream_tbENKUlT_T0_SE_SJ_E_clIS8_S8_S9_S9_EEDaSX_SY_SE_SJ_EUlSX_E_NS1_11comp_targetILNS1_3genE2ELNS1_11target_archE906ELNS1_3gpuE6ELNS1_3repE0EEENS1_47radix_sort_onesweep_sort_config_static_selectorELNS0_4arch9wavefront6targetE1EEEvSE_
                                        ; -- End function
	.section	.AMDGPU.csdata,"",@progbits
; Kernel info:
; codeLenInByte = 0
; NumSgprs: 4
; NumVgprs: 0
; NumAgprs: 0
; TotalNumVgprs: 0
; ScratchSize: 0
; MemoryBound: 0
; FloatMode: 240
; IeeeMode: 1
; LDSByteSize: 0 bytes/workgroup (compile time only)
; SGPRBlocks: 0
; VGPRBlocks: 0
; NumSGPRsForWavesPerEU: 4
; NumVGPRsForWavesPerEU: 1
; AccumOffset: 4
; Occupancy: 8
; WaveLimiterHint : 0
; COMPUTE_PGM_RSRC2:SCRATCH_EN: 0
; COMPUTE_PGM_RSRC2:USER_SGPR: 6
; COMPUTE_PGM_RSRC2:TRAP_HANDLER: 0
; COMPUTE_PGM_RSRC2:TGID_X_EN: 1
; COMPUTE_PGM_RSRC2:TGID_Y_EN: 0
; COMPUTE_PGM_RSRC2:TGID_Z_EN: 0
; COMPUTE_PGM_RSRC2:TIDIG_COMP_CNT: 0
; COMPUTE_PGM_RSRC3_GFX90A:ACCUM_OFFSET: 0
; COMPUTE_PGM_RSRC3_GFX90A:TG_SPLIT: 0
	.section	.text._ZN7rocprim17ROCPRIM_400000_NS6detail17trampoline_kernelINS0_14default_configENS1_35radix_sort_onesweep_config_selectorIdNS0_10empty_typeEEEZZNS1_29radix_sort_onesweep_iterationIS3_Lb1EPdS8_PS5_S9_mNS0_19identity_decomposerENS1_16block_id_wrapperIjLb0EEEEE10hipError_tT1_PNSt15iterator_traitsISE_E10value_typeET2_T3_PNSF_ISK_E10value_typeET4_T5_PSP_SQ_PNS1_23onesweep_lookback_stateEbbT6_jjT7_P12ihipStream_tbENKUlT_T0_SE_SJ_E_clIS8_S8_S9_S9_EEDaSX_SY_SE_SJ_EUlSX_E_NS1_11comp_targetILNS1_3genE4ELNS1_11target_archE910ELNS1_3gpuE8ELNS1_3repE0EEENS1_47radix_sort_onesweep_sort_config_static_selectorELNS0_4arch9wavefront6targetE1EEEvSE_,"axG",@progbits,_ZN7rocprim17ROCPRIM_400000_NS6detail17trampoline_kernelINS0_14default_configENS1_35radix_sort_onesweep_config_selectorIdNS0_10empty_typeEEEZZNS1_29radix_sort_onesweep_iterationIS3_Lb1EPdS8_PS5_S9_mNS0_19identity_decomposerENS1_16block_id_wrapperIjLb0EEEEE10hipError_tT1_PNSt15iterator_traitsISE_E10value_typeET2_T3_PNSF_ISK_E10value_typeET4_T5_PSP_SQ_PNS1_23onesweep_lookback_stateEbbT6_jjT7_P12ihipStream_tbENKUlT_T0_SE_SJ_E_clIS8_S8_S9_S9_EEDaSX_SY_SE_SJ_EUlSX_E_NS1_11comp_targetILNS1_3genE4ELNS1_11target_archE910ELNS1_3gpuE8ELNS1_3repE0EEENS1_47radix_sort_onesweep_sort_config_static_selectorELNS0_4arch9wavefront6targetE1EEEvSE_,comdat
	.protected	_ZN7rocprim17ROCPRIM_400000_NS6detail17trampoline_kernelINS0_14default_configENS1_35radix_sort_onesweep_config_selectorIdNS0_10empty_typeEEEZZNS1_29radix_sort_onesweep_iterationIS3_Lb1EPdS8_PS5_S9_mNS0_19identity_decomposerENS1_16block_id_wrapperIjLb0EEEEE10hipError_tT1_PNSt15iterator_traitsISE_E10value_typeET2_T3_PNSF_ISK_E10value_typeET4_T5_PSP_SQ_PNS1_23onesweep_lookback_stateEbbT6_jjT7_P12ihipStream_tbENKUlT_T0_SE_SJ_E_clIS8_S8_S9_S9_EEDaSX_SY_SE_SJ_EUlSX_E_NS1_11comp_targetILNS1_3genE4ELNS1_11target_archE910ELNS1_3gpuE8ELNS1_3repE0EEENS1_47radix_sort_onesweep_sort_config_static_selectorELNS0_4arch9wavefront6targetE1EEEvSE_ ; -- Begin function _ZN7rocprim17ROCPRIM_400000_NS6detail17trampoline_kernelINS0_14default_configENS1_35radix_sort_onesweep_config_selectorIdNS0_10empty_typeEEEZZNS1_29radix_sort_onesweep_iterationIS3_Lb1EPdS8_PS5_S9_mNS0_19identity_decomposerENS1_16block_id_wrapperIjLb0EEEEE10hipError_tT1_PNSt15iterator_traitsISE_E10value_typeET2_T3_PNSF_ISK_E10value_typeET4_T5_PSP_SQ_PNS1_23onesweep_lookback_stateEbbT6_jjT7_P12ihipStream_tbENKUlT_T0_SE_SJ_E_clIS8_S8_S9_S9_EEDaSX_SY_SE_SJ_EUlSX_E_NS1_11comp_targetILNS1_3genE4ELNS1_11target_archE910ELNS1_3gpuE8ELNS1_3repE0EEENS1_47radix_sort_onesweep_sort_config_static_selectorELNS0_4arch9wavefront6targetE1EEEvSE_
	.globl	_ZN7rocprim17ROCPRIM_400000_NS6detail17trampoline_kernelINS0_14default_configENS1_35radix_sort_onesweep_config_selectorIdNS0_10empty_typeEEEZZNS1_29radix_sort_onesweep_iterationIS3_Lb1EPdS8_PS5_S9_mNS0_19identity_decomposerENS1_16block_id_wrapperIjLb0EEEEE10hipError_tT1_PNSt15iterator_traitsISE_E10value_typeET2_T3_PNSF_ISK_E10value_typeET4_T5_PSP_SQ_PNS1_23onesweep_lookback_stateEbbT6_jjT7_P12ihipStream_tbENKUlT_T0_SE_SJ_E_clIS8_S8_S9_S9_EEDaSX_SY_SE_SJ_EUlSX_E_NS1_11comp_targetILNS1_3genE4ELNS1_11target_archE910ELNS1_3gpuE8ELNS1_3repE0EEENS1_47radix_sort_onesweep_sort_config_static_selectorELNS0_4arch9wavefront6targetE1EEEvSE_
	.p2align	8
	.type	_ZN7rocprim17ROCPRIM_400000_NS6detail17trampoline_kernelINS0_14default_configENS1_35radix_sort_onesweep_config_selectorIdNS0_10empty_typeEEEZZNS1_29radix_sort_onesweep_iterationIS3_Lb1EPdS8_PS5_S9_mNS0_19identity_decomposerENS1_16block_id_wrapperIjLb0EEEEE10hipError_tT1_PNSt15iterator_traitsISE_E10value_typeET2_T3_PNSF_ISK_E10value_typeET4_T5_PSP_SQ_PNS1_23onesweep_lookback_stateEbbT6_jjT7_P12ihipStream_tbENKUlT_T0_SE_SJ_E_clIS8_S8_S9_S9_EEDaSX_SY_SE_SJ_EUlSX_E_NS1_11comp_targetILNS1_3genE4ELNS1_11target_archE910ELNS1_3gpuE8ELNS1_3repE0EEENS1_47radix_sort_onesweep_sort_config_static_selectorELNS0_4arch9wavefront6targetE1EEEvSE_,@function
_ZN7rocprim17ROCPRIM_400000_NS6detail17trampoline_kernelINS0_14default_configENS1_35radix_sort_onesweep_config_selectorIdNS0_10empty_typeEEEZZNS1_29radix_sort_onesweep_iterationIS3_Lb1EPdS8_PS5_S9_mNS0_19identity_decomposerENS1_16block_id_wrapperIjLb0EEEEE10hipError_tT1_PNSt15iterator_traitsISE_E10value_typeET2_T3_PNSF_ISK_E10value_typeET4_T5_PSP_SQ_PNS1_23onesweep_lookback_stateEbbT6_jjT7_P12ihipStream_tbENKUlT_T0_SE_SJ_E_clIS8_S8_S9_S9_EEDaSX_SY_SE_SJ_EUlSX_E_NS1_11comp_targetILNS1_3genE4ELNS1_11target_archE910ELNS1_3gpuE8ELNS1_3repE0EEENS1_47radix_sort_onesweep_sort_config_static_selectorELNS0_4arch9wavefront6targetE1EEEvSE_: ; @_ZN7rocprim17ROCPRIM_400000_NS6detail17trampoline_kernelINS0_14default_configENS1_35radix_sort_onesweep_config_selectorIdNS0_10empty_typeEEEZZNS1_29radix_sort_onesweep_iterationIS3_Lb1EPdS8_PS5_S9_mNS0_19identity_decomposerENS1_16block_id_wrapperIjLb0EEEEE10hipError_tT1_PNSt15iterator_traitsISE_E10value_typeET2_T3_PNSF_ISK_E10value_typeET4_T5_PSP_SQ_PNS1_23onesweep_lookback_stateEbbT6_jjT7_P12ihipStream_tbENKUlT_T0_SE_SJ_E_clIS8_S8_S9_S9_EEDaSX_SY_SE_SJ_EUlSX_E_NS1_11comp_targetILNS1_3genE4ELNS1_11target_archE910ELNS1_3gpuE8ELNS1_3repE0EEENS1_47radix_sort_onesweep_sort_config_static_selectorELNS0_4arch9wavefront6targetE1EEEvSE_
; %bb.0:
	s_load_dwordx4 s[16:19], s[4:5], 0x44
	s_load_dwordx2 s[24:25], s[4:5], 0x38
	s_load_dwordx4 s[20:23], s[4:5], 0x0
	s_load_dwordx4 s[12:15], s[4:5], 0x28
	s_mul_i32 s26, s6, 0x1800
	s_waitcnt lgkmcnt(0)
	s_cmp_ge_u32 s6, s18
	v_mbcnt_lo_u32_b32 v24, -1, 0
	s_cbranch_scc0 .LBB2628_53
; %bb.1:
	s_load_dword s7, s[4:5], 0x20
	s_mul_i32 s2, s18, 0xffffe800
	s_mov_b32 s27, 0
	s_lshl_b64 s[0:1], s[26:27], 3
	v_mbcnt_hi_u32_b32 v1, -1, v24
	s_waitcnt lgkmcnt(0)
	s_add_i32 s7, s7, s2
	v_and_b32_e32 v2, 0x3ff, v0
	s_add_u32 s0, s20, s0
	v_and_b32_e32 v3, 63, v1
	s_addc_u32 s1, s21, s1
	v_and_b32_e32 v4, 0x3c0, v2
	v_lshlrev_b32_e32 v5, 3, v3
	v_mul_u32_u24_e32 v4, 6, v4
	v_mov_b32_e32 v6, s1
	v_add_co_u32_e32 v5, vcc, s0, v5
	v_addc_co_u32_e32 v6, vcc, 0, v6, vcc
	v_lshlrev_b32_e32 v7, 3, v4
	v_add_co_u32_e32 v16, vcc, v5, v7
	v_addc_co_u32_e32 v17, vcc, 0, v6, vcc
	v_or_b32_e32 v3, v3, v4
	v_pk_mov_b32 v[6:7], -1, -1
	v_cmp_gt_u32_e32 vcc, s7, v3
	v_pk_mov_b32 v[4:5], v[6:7], v[6:7] op_sel:[0,1]
	s_and_saveexec_b64 s[0:1], vcc
	s_cbranch_execz .LBB2628_3
; %bb.2:
	global_load_dwordx2 v[4:5], v[16:17], off
.LBB2628_3:
	s_or_b64 exec, exec, s[0:1]
	v_or_b32_e32 v8, 64, v3
	v_cmp_gt_u32_e32 vcc, s7, v8
	s_and_saveexec_b64 s[0:1], vcc
	s_cbranch_execz .LBB2628_5
; %bb.4:
	global_load_dwordx2 v[6:7], v[16:17], off offset:512
.LBB2628_5:
	s_or_b64 exec, exec, s[0:1]
	v_add_u32_e32 v8, 0x80, v3
	v_pk_mov_b32 v[10:11], -1, -1
	v_cmp_gt_u32_e32 vcc, s7, v8
	v_pk_mov_b32 v[8:9], v[10:11], v[10:11] op_sel:[0,1]
	s_and_saveexec_b64 s[0:1], vcc
	s_cbranch_execz .LBB2628_7
; %bb.6:
	global_load_dwordx2 v[8:9], v[16:17], off offset:1024
.LBB2628_7:
	s_or_b64 exec, exec, s[0:1]
	v_add_u32_e32 v12, 0xc0, v3
	v_cmp_gt_u32_e32 vcc, s7, v12
	s_and_saveexec_b64 s[0:1], vcc
	s_cbranch_execz .LBB2628_9
; %bb.8:
	global_load_dwordx2 v[10:11], v[16:17], off offset:1536
.LBB2628_9:
	s_or_b64 exec, exec, s[0:1]
	v_add_u32_e32 v12, 0x100, v3
	v_cmp_gt_u32_e32 vcc, s7, v12
	v_pk_mov_b32 v[12:13], -1, -1
	v_pk_mov_b32 v[14:15], v[12:13], v[12:13] op_sel:[0,1]
	s_and_saveexec_b64 s[0:1], vcc
	s_cbranch_execz .LBB2628_11
; %bb.10:
	global_load_dwordx2 v[14:15], v[16:17], off offset:2048
.LBB2628_11:
	s_or_b64 exec, exec, s[0:1]
	v_add_u32_e32 v3, 0x140, v3
	v_cmp_gt_u32_e32 vcc, s7, v3
	s_and_saveexec_b64 s[0:1], vcc
	s_cbranch_execz .LBB2628_13
; %bb.12:
	global_load_dwordx2 v[12:13], v[16:17], off offset:2560
.LBB2628_13:
	s_or_b64 exec, exec, s[0:1]
	s_load_dword s0, s[4:5], 0x64
	s_load_dword s27, s[4:5], 0x58
	s_add_u32 s1, s4, 0x58
	s_addc_u32 s2, s5, 0
	v_mov_b32_e32 v16, 0
	s_waitcnt lgkmcnt(0)
	s_lshr_b32 s8, s0, 16
	s_cmp_lt_u32 s6, s27
	s_cselect_b32 s0, 12, 18
	s_add_u32 s0, s1, s0
	s_addc_u32 s1, s2, 0
	global_load_ushort v20, v16, s[0:1]
	v_bfrev_b32_e32 v21, -2
	s_waitcnt vmcnt(1)
	v_ashrrev_i32_e32 v3, 31, v5
	v_cmp_gt_i64_e32 vcc, 0, v[4:5]
	s_mov_b32 s2, 0
	v_cndmask_b32_e64 v19, v21, 0, vcc
	v_not_b32_e32 v23, v3
	s_brev_b32 s3, 1
	v_xor_b32_e32 v5, v19, v5
	v_xor_b32_e32 v4, v23, v4
	v_mul_u32_u24_e32 v18, 5, v2
	v_cmp_ne_u64_e32 vcc, s[2:3], v[4:5]
	v_lshlrev_b32_e32 v3, 2, v18
	v_cndmask_b32_e32 v19, v21, v5, vcc
	v_cndmask_b32_e32 v18, -1, v4, vcc
	s_lshl_b32 s0, -1, s17
	v_bfe_u32 v17, v0, 10, 10
	v_bfe_u32 v22, v0, 20, 10
	v_lshrrev_b64 v[18:19], s16, v[18:19]
	s_not_b32 s28, s0
	v_mad_u32_u24 v19, v22, s8, v17
	v_and_b32_e32 v22, s28, v18
	v_and_b32_e32 v18, 1, v22
	v_add_co_u32_e32 v23, vcc, -1, v18
	v_lshlrev_b32_e32 v17, 30, v22
	v_addc_co_u32_e64 v26, s[0:1], 0, -1, vcc
	v_cmp_ne_u32_e32 vcc, 0, v18
	v_cmp_gt_i64_e64 s[0:1], 0, v[16:17]
	v_not_b32_e32 v18, v17
	v_lshlrev_b32_e32 v17, 29, v22
	v_xor_b32_e32 v26, vcc_hi, v26
	v_xor_b32_e32 v23, vcc_lo, v23
	v_ashrrev_i32_e32 v18, 31, v18
	v_cmp_gt_i64_e32 vcc, 0, v[16:17]
	v_not_b32_e32 v27, v17
	v_lshlrev_b32_e32 v17, 28, v22
	v_and_b32_e32 v26, exec_hi, v26
	v_and_b32_e32 v23, exec_lo, v23
	v_xor_b32_e32 v28, s1, v18
	v_xor_b32_e32 v18, s0, v18
	v_ashrrev_i32_e32 v27, 31, v27
	v_cmp_gt_i64_e64 s[0:1], 0, v[16:17]
	v_not_b32_e32 v29, v17
	v_lshlrev_b32_e32 v17, 27, v22
	v_and_b32_e32 v26, v26, v28
	v_and_b32_e32 v18, v23, v18
	v_xor_b32_e32 v23, vcc_hi, v27
	v_xor_b32_e32 v27, vcc_lo, v27
	v_ashrrev_i32_e32 v28, 31, v29
	v_cmp_gt_i64_e32 vcc, 0, v[16:17]
	v_not_b32_e32 v29, v17
	v_lshlrev_b32_e32 v17, 26, v22
	v_and_b32_e32 v23, v26, v23
	v_and_b32_e32 v18, v18, v27
	v_xor_b32_e32 v26, s1, v28
	v_xor_b32_e32 v27, s0, v28
	v_ashrrev_i32_e32 v28, 31, v29
	v_cmp_gt_i64_e64 s[0:1], 0, v[16:17]
	v_not_b32_e32 v17, v17
	v_and_b32_e32 v23, v23, v26
	v_and_b32_e32 v18, v18, v27
	v_xor_b32_e32 v26, vcc_hi, v28
	v_xor_b32_e32 v27, vcc_lo, v28
	v_ashrrev_i32_e32 v17, 31, v17
	v_and_b32_e32 v23, v23, v26
	v_and_b32_e32 v18, v18, v27
	v_xor_b32_e32 v26, s1, v17
	v_xor_b32_e32 v17, s0, v17
	v_and_b32_e32 v27, v18, v17
	v_lshlrev_b32_e32 v17, 25, v22
	v_cmp_gt_i64_e32 vcc, 0, v[16:17]
	v_not_b32_e32 v17, v17
	v_ashrrev_i32_e32 v17, 31, v17
	v_lshl_add_u32 v25, v22, 4, v22
	v_and_b32_e32 v26, v23, v26
	ds_write2_b32 v3, v16, v16 offset0:16 offset1:17
	ds_write2_b32 v3, v16, v16 offset0:18 offset1:19
	ds_write_b32 v3, v16 offset:80
	s_waitcnt lgkmcnt(0)
	s_barrier
	s_waitcnt vmcnt(0)
	v_mad_u64_u32 v[18:19], s[0:1], v19, v20, v[2:3]
	v_lshrrev_b32_e32 v23, 6, v18
	v_xor_b32_e32 v18, vcc_hi, v17
	v_xor_b32_e32 v17, vcc_lo, v17
	v_add_lshl_u32 v20, v23, v25, 2
	v_and_b32_e32 v25, v27, v17
	v_lshlrev_b32_e32 v17, 24, v22
	v_cmp_gt_i64_e32 vcc, 0, v[16:17]
	v_not_b32_e32 v17, v17
	v_ashrrev_i32_e32 v17, 31, v17
	v_and_b32_e32 v18, v26, v18
	v_xor_b32_e32 v19, vcc_hi, v17
	v_xor_b32_e32 v17, vcc_lo, v17
	v_and_b32_e32 v19, v18, v19
	v_and_b32_e32 v18, v25, v17
	v_mbcnt_lo_u32_b32 v17, v18, 0
	v_mbcnt_hi_u32_b32 v25, v19, v17
	v_cmp_eq_u32_e32 vcc, 0, v25
	v_cmp_ne_u64_e64 s[0:1], 0, v[18:19]
	s_and_b64 s[8:9], s[0:1], vcc
	s_waitcnt lgkmcnt(0)
	; wave barrier
	s_and_saveexec_b64 s[0:1], s[8:9]
	s_cbranch_execz .LBB2628_15
; %bb.14:
	v_bcnt_u32_b32 v17, v18, 0
	v_bcnt_u32_b32 v17, v19, v17
	ds_write_b32 v20, v17 offset:64
.LBB2628_15:
	s_or_b64 exec, exec, s[0:1]
	v_cmp_gt_i64_e32 vcc, 0, v[6:7]
	v_ashrrev_i32_e32 v18, 31, v7
	v_cndmask_b32_e64 v17, v21, 0, vcc
	v_not_b32_e32 v18, v18
	v_xor_b32_e32 v7, v17, v7
	v_xor_b32_e32 v6, v18, v6
	v_cmp_ne_u64_e32 vcc, s[2:3], v[6:7]
	v_cndmask_b32_e32 v19, v21, v7, vcc
	v_cndmask_b32_e32 v18, -1, v6, vcc
	v_lshrrev_b64 v[18:19], s16, v[18:19]
	v_and_b32_e32 v18, s28, v18
	v_lshl_add_u32 v17, v18, 4, v18
	v_add_lshl_u32 v21, v23, v17, 2
	v_and_b32_e32 v17, 1, v18
	v_add_co_u32_e32 v19, vcc, -1, v17
	v_addc_co_u32_e64 v22, s[0:1], 0, -1, vcc
	v_cmp_ne_u32_e32 vcc, 0, v17
	v_xor_b32_e32 v17, vcc_hi, v22
	v_and_b32_e32 v22, exec_hi, v17
	v_lshlrev_b32_e32 v17, 30, v18
	v_xor_b32_e32 v19, vcc_lo, v19
	v_cmp_gt_i64_e32 vcc, 0, v[16:17]
	v_not_b32_e32 v17, v17
	v_ashrrev_i32_e32 v17, 31, v17
	v_and_b32_e32 v19, exec_lo, v19
	v_xor_b32_e32 v27, vcc_hi, v17
	v_xor_b32_e32 v17, vcc_lo, v17
	v_and_b32_e32 v19, v19, v17
	v_lshlrev_b32_e32 v17, 29, v18
	v_cmp_gt_i64_e32 vcc, 0, v[16:17]
	v_not_b32_e32 v17, v17
	v_ashrrev_i32_e32 v17, 31, v17
	v_and_b32_e32 v22, v22, v27
	v_xor_b32_e32 v27, vcc_hi, v17
	v_xor_b32_e32 v17, vcc_lo, v17
	v_and_b32_e32 v19, v19, v17
	v_lshlrev_b32_e32 v17, 28, v18
	v_cmp_gt_i64_e32 vcc, 0, v[16:17]
	v_not_b32_e32 v17, v17
	v_ashrrev_i32_e32 v17, 31, v17
	v_and_b32_e32 v22, v22, v27
	v_xor_b32_e32 v27, vcc_hi, v17
	v_xor_b32_e32 v17, vcc_lo, v17
	v_and_b32_e32 v19, v19, v17
	v_lshlrev_b32_e32 v17, 27, v18
	v_cmp_gt_i64_e32 vcc, 0, v[16:17]
	v_not_b32_e32 v17, v17
	v_ashrrev_i32_e32 v17, 31, v17
	v_and_b32_e32 v22, v22, v27
	v_xor_b32_e32 v27, vcc_hi, v17
	v_xor_b32_e32 v17, vcc_lo, v17
	v_and_b32_e32 v19, v19, v17
	v_lshlrev_b32_e32 v17, 26, v18
	v_cmp_gt_i64_e32 vcc, 0, v[16:17]
	v_not_b32_e32 v17, v17
	v_ashrrev_i32_e32 v17, 31, v17
	v_and_b32_e32 v22, v22, v27
	v_xor_b32_e32 v27, vcc_hi, v17
	v_xor_b32_e32 v17, vcc_lo, v17
	v_and_b32_e32 v19, v19, v17
	v_lshlrev_b32_e32 v17, 25, v18
	v_cmp_gt_i64_e32 vcc, 0, v[16:17]
	v_not_b32_e32 v17, v17
	v_ashrrev_i32_e32 v17, 31, v17
	v_and_b32_e32 v22, v22, v27
	v_xor_b32_e32 v27, vcc_hi, v17
	v_xor_b32_e32 v17, vcc_lo, v17
	v_and_b32_e32 v19, v19, v17
	v_lshlrev_b32_e32 v17, 24, v18
	v_cmp_gt_i64_e32 vcc, 0, v[16:17]
	v_not_b32_e32 v16, v17
	v_ashrrev_i32_e32 v16, 31, v16
	v_xor_b32_e32 v17, vcc_hi, v16
	v_xor_b32_e32 v16, vcc_lo, v16
	; wave barrier
	ds_read_b32 v26, v21 offset:64
	v_and_b32_e32 v22, v22, v27
	v_and_b32_e32 v16, v19, v16
	;; [unrolled: 1-line block ×3, first 2 shown]
	v_mbcnt_lo_u32_b32 v18, v16, 0
	v_mbcnt_hi_u32_b32 v27, v17, v18
	v_cmp_eq_u32_e32 vcc, 0, v27
	v_cmp_ne_u64_e64 s[0:1], 0, v[16:17]
	s_and_b64 s[2:3], s[0:1], vcc
	; wave barrier
	s_and_saveexec_b64 s[0:1], s[2:3]
	s_cbranch_execz .LBB2628_17
; %bb.16:
	v_bcnt_u32_b32 v16, v16, 0
	v_bcnt_u32_b32 v16, v17, v16
	s_waitcnt lgkmcnt(0)
	v_add_u32_e32 v16, v26, v16
	ds_write_b32 v21, v16 offset:64
.LBB2628_17:
	s_or_b64 exec, exec, s[0:1]
	v_bfrev_b32_e32 v29, -2
	v_cmp_gt_i64_e32 vcc, 0, v[8:9]
	v_ashrrev_i32_e32 v18, 31, v9
	s_mov_b32 s2, 0
	v_cndmask_b32_e64 v17, v29, 0, vcc
	v_not_b32_e32 v18, v18
	s_brev_b32 s3, 1
	v_xor_b32_e32 v9, v17, v9
	v_xor_b32_e32 v8, v18, v8
	v_cmp_ne_u64_e32 vcc, s[2:3], v[8:9]
	v_cndmask_b32_e32 v19, v29, v9, vcc
	v_cndmask_b32_e32 v18, -1, v8, vcc
	v_lshrrev_b64 v[18:19], s16, v[18:19]
	v_and_b32_e32 v18, s28, v18
	v_lshl_add_u32 v17, v18, 4, v18
	v_add_lshl_u32 v22, v23, v17, 2
	v_and_b32_e32 v17, 1, v18
	v_add_co_u32_e32 v19, vcc, -1, v17
	v_addc_co_u32_e64 v30, s[0:1], 0, -1, vcc
	v_cmp_ne_u32_e32 vcc, 0, v17
	v_xor_b32_e32 v17, vcc_hi, v30
	v_mov_b32_e32 v16, 0
	v_and_b32_e32 v30, exec_hi, v17
	v_lshlrev_b32_e32 v17, 30, v18
	v_xor_b32_e32 v19, vcc_lo, v19
	v_cmp_gt_i64_e32 vcc, 0, v[16:17]
	v_not_b32_e32 v17, v17
	v_ashrrev_i32_e32 v17, 31, v17
	v_and_b32_e32 v19, exec_lo, v19
	v_xor_b32_e32 v31, vcc_hi, v17
	v_xor_b32_e32 v17, vcc_lo, v17
	v_and_b32_e32 v19, v19, v17
	v_lshlrev_b32_e32 v17, 29, v18
	v_cmp_gt_i64_e32 vcc, 0, v[16:17]
	v_not_b32_e32 v17, v17
	v_ashrrev_i32_e32 v17, 31, v17
	v_and_b32_e32 v30, v30, v31
	v_xor_b32_e32 v31, vcc_hi, v17
	v_xor_b32_e32 v17, vcc_lo, v17
	v_and_b32_e32 v19, v19, v17
	v_lshlrev_b32_e32 v17, 28, v18
	v_cmp_gt_i64_e32 vcc, 0, v[16:17]
	v_not_b32_e32 v17, v17
	v_ashrrev_i32_e32 v17, 31, v17
	v_and_b32_e32 v30, v30, v31
	;; [unrolled: 8-line block ×5, first 2 shown]
	v_xor_b32_e32 v31, vcc_hi, v17
	v_xor_b32_e32 v17, vcc_lo, v17
	v_and_b32_e32 v30, v30, v31
	v_and_b32_e32 v31, v19, v17
	v_lshlrev_b32_e32 v17, 24, v18
	v_cmp_gt_i64_e32 vcc, 0, v[16:17]
	v_not_b32_e32 v17, v17
	v_ashrrev_i32_e32 v17, 31, v17
	v_xor_b32_e32 v18, vcc_hi, v17
	v_xor_b32_e32 v17, vcc_lo, v17
	; wave barrier
	ds_read_b32 v28, v22 offset:64
	v_and_b32_e32 v19, v30, v18
	v_and_b32_e32 v18, v31, v17
	v_mbcnt_lo_u32_b32 v17, v18, 0
	v_mbcnt_hi_u32_b32 v30, v19, v17
	v_cmp_eq_u32_e32 vcc, 0, v30
	v_cmp_ne_u64_e64 s[0:1], 0, v[18:19]
	s_and_b64 s[8:9], s[0:1], vcc
	; wave barrier
	s_and_saveexec_b64 s[0:1], s[8:9]
	s_cbranch_execz .LBB2628_19
; %bb.18:
	v_bcnt_u32_b32 v17, v18, 0
	v_bcnt_u32_b32 v17, v19, v17
	s_waitcnt lgkmcnt(0)
	v_add_u32_e32 v17, v28, v17
	ds_write_b32 v22, v17 offset:64
.LBB2628_19:
	s_or_b64 exec, exec, s[0:1]
	v_cmp_gt_i64_e32 vcc, 0, v[10:11]
	v_ashrrev_i32_e32 v18, 31, v11
	v_cndmask_b32_e64 v17, v29, 0, vcc
	v_not_b32_e32 v18, v18
	v_xor_b32_e32 v11, v17, v11
	v_xor_b32_e32 v10, v18, v10
	v_cmp_ne_u64_e32 vcc, s[2:3], v[10:11]
	v_cndmask_b32_e32 v19, v29, v11, vcc
	v_cndmask_b32_e32 v18, -1, v10, vcc
	v_lshrrev_b64 v[18:19], s16, v[18:19]
	v_and_b32_e32 v18, s28, v18
	v_lshl_add_u32 v17, v18, 4, v18
	v_add_lshl_u32 v29, v23, v17, 2
	v_and_b32_e32 v17, 1, v18
	v_add_co_u32_e32 v19, vcc, -1, v17
	v_addc_co_u32_e64 v32, s[0:1], 0, -1, vcc
	v_cmp_ne_u32_e32 vcc, 0, v17
	v_xor_b32_e32 v17, vcc_hi, v32
	v_and_b32_e32 v32, exec_hi, v17
	v_lshlrev_b32_e32 v17, 30, v18
	v_xor_b32_e32 v19, vcc_lo, v19
	v_cmp_gt_i64_e32 vcc, 0, v[16:17]
	v_not_b32_e32 v17, v17
	v_ashrrev_i32_e32 v17, 31, v17
	v_and_b32_e32 v19, exec_lo, v19
	v_xor_b32_e32 v33, vcc_hi, v17
	v_xor_b32_e32 v17, vcc_lo, v17
	v_and_b32_e32 v19, v19, v17
	v_lshlrev_b32_e32 v17, 29, v18
	v_cmp_gt_i64_e32 vcc, 0, v[16:17]
	v_not_b32_e32 v17, v17
	v_ashrrev_i32_e32 v17, 31, v17
	v_and_b32_e32 v32, v32, v33
	v_xor_b32_e32 v33, vcc_hi, v17
	v_xor_b32_e32 v17, vcc_lo, v17
	v_and_b32_e32 v19, v19, v17
	v_lshlrev_b32_e32 v17, 28, v18
	v_cmp_gt_i64_e32 vcc, 0, v[16:17]
	v_not_b32_e32 v17, v17
	v_ashrrev_i32_e32 v17, 31, v17
	v_and_b32_e32 v32, v32, v33
	;; [unrolled: 8-line block ×5, first 2 shown]
	v_xor_b32_e32 v33, vcc_hi, v17
	v_xor_b32_e32 v17, vcc_lo, v17
	v_and_b32_e32 v19, v19, v17
	v_lshlrev_b32_e32 v17, 24, v18
	v_cmp_gt_i64_e32 vcc, 0, v[16:17]
	v_not_b32_e32 v16, v17
	v_ashrrev_i32_e32 v16, 31, v16
	v_xor_b32_e32 v17, vcc_hi, v16
	v_xor_b32_e32 v16, vcc_lo, v16
	; wave barrier
	ds_read_b32 v31, v29 offset:64
	v_and_b32_e32 v32, v32, v33
	v_and_b32_e32 v16, v19, v16
	v_and_b32_e32 v17, v32, v17
	v_mbcnt_lo_u32_b32 v18, v16, 0
	v_mbcnt_hi_u32_b32 v32, v17, v18
	v_cmp_eq_u32_e32 vcc, 0, v32
	v_cmp_ne_u64_e64 s[0:1], 0, v[16:17]
	s_and_b64 s[2:3], s[0:1], vcc
	; wave barrier
	s_and_saveexec_b64 s[0:1], s[2:3]
	s_cbranch_execz .LBB2628_21
; %bb.20:
	v_bcnt_u32_b32 v16, v16, 0
	v_bcnt_u32_b32 v16, v17, v16
	s_waitcnt lgkmcnt(0)
	v_add_u32_e32 v16, v31, v16
	ds_write_b32 v29, v16 offset:64
.LBB2628_21:
	s_or_b64 exec, exec, s[0:1]
	v_bfrev_b32_e32 v35, -2
	v_cmp_gt_i64_e32 vcc, 0, v[14:15]
	v_ashrrev_i32_e32 v17, 31, v15
	s_mov_b32 s2, 0
	v_cndmask_b32_e64 v16, v35, 0, vcc
	v_not_b32_e32 v17, v17
	s_brev_b32 s3, 1
	v_xor_b32_e32 v15, v16, v15
	v_xor_b32_e32 v14, v17, v14
	v_cmp_ne_u64_e32 vcc, s[2:3], v[14:15]
	v_cndmask_b32_e32 v17, v35, v15, vcc
	v_cndmask_b32_e32 v16, -1, v14, vcc
	v_lshrrev_b64 v[16:17], s16, v[16:17]
	v_and_b32_e32 v16, s28, v16
	v_lshl_add_u32 v17, v16, 4, v16
	v_add_lshl_u32 v36, v23, v17, 2
	v_and_b32_e32 v17, 1, v16
	v_add_co_u32_e32 v19, vcc, -1, v17
	v_addc_co_u32_e64 v34, s[0:1], 0, -1, vcc
	v_cmp_ne_u32_e32 vcc, 0, v17
	v_xor_b32_e32 v19, vcc_lo, v19
	v_mov_b32_e32 v18, 0
	v_xor_b32_e32 v17, vcc_hi, v34
	v_and_b32_e32 v34, exec_lo, v19
	v_lshlrev_b32_e32 v19, 30, v16
	v_cmp_gt_i64_e32 vcc, 0, v[18:19]
	v_not_b32_e32 v19, v19
	v_ashrrev_i32_e32 v19, 31, v19
	v_xor_b32_e32 v37, vcc_hi, v19
	v_xor_b32_e32 v19, vcc_lo, v19
	v_and_b32_e32 v34, v34, v19
	v_lshlrev_b32_e32 v19, 29, v16
	v_cmp_gt_i64_e32 vcc, 0, v[18:19]
	v_not_b32_e32 v19, v19
	v_and_b32_e32 v17, exec_hi, v17
	v_ashrrev_i32_e32 v19, 31, v19
	v_and_b32_e32 v17, v17, v37
	v_xor_b32_e32 v37, vcc_hi, v19
	v_xor_b32_e32 v19, vcc_lo, v19
	v_and_b32_e32 v34, v34, v19
	v_lshlrev_b32_e32 v19, 28, v16
	v_cmp_gt_i64_e32 vcc, 0, v[18:19]
	v_not_b32_e32 v19, v19
	v_ashrrev_i32_e32 v19, 31, v19
	v_and_b32_e32 v17, v17, v37
	v_xor_b32_e32 v37, vcc_hi, v19
	v_xor_b32_e32 v19, vcc_lo, v19
	v_and_b32_e32 v34, v34, v19
	v_lshlrev_b32_e32 v19, 27, v16
	v_cmp_gt_i64_e32 vcc, 0, v[18:19]
	v_not_b32_e32 v19, v19
	;; [unrolled: 8-line block ×4, first 2 shown]
	v_ashrrev_i32_e32 v19, 31, v19
	v_and_b32_e32 v17, v17, v37
	v_xor_b32_e32 v37, vcc_hi, v19
	v_xor_b32_e32 v19, vcc_lo, v19
	v_and_b32_e32 v34, v34, v19
	v_lshlrev_b32_e32 v19, 24, v16
	v_not_b32_e32 v16, v19
	v_cmp_gt_i64_e32 vcc, 0, v[18:19]
	v_ashrrev_i32_e32 v16, 31, v16
	v_xor_b32_e32 v19, vcc_hi, v16
	v_xor_b32_e32 v16, vcc_lo, v16
	; wave barrier
	ds_read_b32 v33, v36 offset:64
	v_and_b32_e32 v17, v17, v37
	v_and_b32_e32 v16, v34, v16
	v_and_b32_e32 v17, v17, v19
	v_mbcnt_lo_u32_b32 v19, v16, 0
	v_mbcnt_hi_u32_b32 v34, v17, v19
	v_cmp_eq_u32_e32 vcc, 0, v34
	v_cmp_ne_u64_e64 s[0:1], 0, v[16:17]
	s_and_b64 s[8:9], s[0:1], vcc
	; wave barrier
	s_and_saveexec_b64 s[0:1], s[8:9]
	s_cbranch_execz .LBB2628_23
; %bb.22:
	v_bcnt_u32_b32 v16, v16, 0
	v_bcnt_u32_b32 v16, v17, v16
	s_waitcnt lgkmcnt(0)
	v_add_u32_e32 v16, v33, v16
	ds_write_b32 v36, v16 offset:64
.LBB2628_23:
	s_or_b64 exec, exec, s[0:1]
	v_cmp_gt_i64_e32 vcc, 0, v[12:13]
	v_ashrrev_i32_e32 v17, 31, v13
	v_cndmask_b32_e64 v16, v35, 0, vcc
	v_not_b32_e32 v19, v17
	v_xor_b32_e32 v17, v16, v13
	v_xor_b32_e32 v16, v19, v12
	v_cmp_ne_u64_e32 vcc, s[2:3], v[16:17]
	v_cndmask_b32_e32 v13, v35, v17, vcc
	v_cndmask_b32_e32 v12, -1, v16, vcc
	v_lshrrev_b64 v[12:13], s16, v[12:13]
	v_and_b32_e32 v12, s28, v12
	v_lshl_add_u32 v13, v12, 4, v12
	v_add_lshl_u32 v23, v13, v23, 2
	v_and_b32_e32 v13, 1, v12
	v_add_co_u32_e32 v19, vcc, -1, v13
	v_addc_co_u32_e64 v37, s[0:1], 0, -1, vcc
	v_cmp_ne_u32_e32 vcc, 0, v13
	v_xor_b32_e32 v19, vcc_lo, v19
	v_xor_b32_e32 v13, vcc_hi, v37
	v_and_b32_e32 v37, exec_lo, v19
	v_lshlrev_b32_e32 v19, 30, v12
	v_cmp_gt_i64_e32 vcc, 0, v[18:19]
	v_not_b32_e32 v19, v19
	v_ashrrev_i32_e32 v19, 31, v19
	v_xor_b32_e32 v39, vcc_hi, v19
	v_xor_b32_e32 v19, vcc_lo, v19
	v_and_b32_e32 v37, v37, v19
	v_lshlrev_b32_e32 v19, 29, v12
	v_cmp_gt_i64_e32 vcc, 0, v[18:19]
	v_not_b32_e32 v19, v19
	v_and_b32_e32 v13, exec_hi, v13
	v_ashrrev_i32_e32 v19, 31, v19
	v_and_b32_e32 v13, v13, v39
	v_xor_b32_e32 v39, vcc_hi, v19
	v_xor_b32_e32 v19, vcc_lo, v19
	v_and_b32_e32 v37, v37, v19
	v_lshlrev_b32_e32 v19, 28, v12
	v_cmp_gt_i64_e32 vcc, 0, v[18:19]
	v_not_b32_e32 v19, v19
	v_ashrrev_i32_e32 v19, 31, v19
	v_and_b32_e32 v13, v13, v39
	v_xor_b32_e32 v39, vcc_hi, v19
	v_xor_b32_e32 v19, vcc_lo, v19
	v_and_b32_e32 v37, v37, v19
	v_lshlrev_b32_e32 v19, 27, v12
	v_cmp_gt_i64_e32 vcc, 0, v[18:19]
	v_not_b32_e32 v19, v19
	;; [unrolled: 8-line block ×4, first 2 shown]
	v_ashrrev_i32_e32 v19, 31, v19
	v_and_b32_e32 v13, v13, v39
	v_xor_b32_e32 v39, vcc_hi, v19
	v_xor_b32_e32 v19, vcc_lo, v19
	v_and_b32_e32 v37, v37, v19
	v_lshlrev_b32_e32 v19, 24, v12
	v_not_b32_e32 v12, v19
	v_cmp_gt_i64_e32 vcc, 0, v[18:19]
	v_ashrrev_i32_e32 v12, 31, v12
	v_xor_b32_e32 v18, vcc_hi, v12
	v_xor_b32_e32 v12, vcc_lo, v12
	; wave barrier
	ds_read_b32 v35, v23 offset:64
	v_and_b32_e32 v13, v13, v39
	v_and_b32_e32 v12, v37, v12
	;; [unrolled: 1-line block ×3, first 2 shown]
	v_mbcnt_lo_u32_b32 v18, v12, 0
	v_mbcnt_hi_u32_b32 v37, v13, v18
	v_cmp_eq_u32_e32 vcc, 0, v37
	v_cmp_ne_u64_e64 s[0:1], 0, v[12:13]
	v_add_u32_e32 v38, 64, v3
	s_and_b64 s[2:3], s[0:1], vcc
	; wave barrier
	s_and_saveexec_b64 s[0:1], s[2:3]
	s_cbranch_execz .LBB2628_25
; %bb.24:
	v_bcnt_u32_b32 v12, v12, 0
	v_bcnt_u32_b32 v12, v13, v12
	s_waitcnt lgkmcnt(0)
	v_add_u32_e32 v12, v35, v12
	ds_write_b32 v23, v12 offset:64
.LBB2628_25:
	s_or_b64 exec, exec, s[0:1]
	; wave barrier
	s_waitcnt lgkmcnt(0)
	s_barrier
	ds_read2_b32 v[18:19], v3 offset0:16 offset1:17
	ds_read2_b32 v[12:13], v38 offset0:2 offset1:3
	ds_read_b32 v39, v38 offset:16
	v_cmp_lt_u32_e64 s[10:11], 31, v1
	s_waitcnt lgkmcnt(1)
	v_add3_u32 v40, v19, v18, v12
	s_waitcnt lgkmcnt(0)
	v_add3_u32 v39, v40, v13, v39
	v_and_b32_e32 v40, 15, v1
	v_cmp_eq_u32_e32 vcc, 0, v40
	v_mov_b32_dpp v41, v39 row_shr:1 row_mask:0xf bank_mask:0xf
	v_cndmask_b32_e64 v41, v41, 0, vcc
	v_add_u32_e32 v39, v41, v39
	v_cmp_lt_u32_e64 s[0:1], 1, v40
	v_cmp_lt_u32_e64 s[2:3], 3, v40
	v_mov_b32_dpp v41, v39 row_shr:2 row_mask:0xf bank_mask:0xf
	v_cndmask_b32_e64 v41, 0, v41, s[0:1]
	v_add_u32_e32 v39, v39, v41
	v_cmp_lt_u32_e64 s[8:9], 7, v40
	s_nop 0
	v_mov_b32_dpp v41, v39 row_shr:4 row_mask:0xf bank_mask:0xf
	v_cndmask_b32_e64 v41, 0, v41, s[2:3]
	v_add_u32_e32 v39, v39, v41
	s_nop 1
	v_mov_b32_dpp v41, v39 row_shr:8 row_mask:0xf bank_mask:0xf
	v_cndmask_b32_e64 v40, 0, v41, s[8:9]
	v_add_u32_e32 v39, v39, v40
	v_bfe_i32 v41, v1, 4, 1
	s_nop 0
	v_mov_b32_dpp v40, v39 row_bcast:15 row_mask:0xf bank_mask:0xf
	v_and_b32_e32 v40, v41, v40
	v_add_u32_e32 v39, v39, v40
	v_and_b32_e32 v41, 63, v2
	s_nop 0
	v_mov_b32_dpp v40, v39 row_bcast:31 row_mask:0xf bank_mask:0xf
	v_cndmask_b32_e64 v40, 0, v40, s[10:11]
	v_add_u32_e32 v39, v39, v40
	v_lshrrev_b32_e32 v40, 6, v2
	v_cmp_eq_u32_e64 s[10:11], 63, v41
	s_and_saveexec_b64 s[18:19], s[10:11]
	s_cbranch_execz .LBB2628_27
; %bb.26:
	v_lshlrev_b32_e32 v41, 2, v40
	ds_write_b32 v41, v39
.LBB2628_27:
	s_or_b64 exec, exec, s[18:19]
	v_cmp_gt_u32_e64 s[10:11], 16, v2
	s_waitcnt lgkmcnt(0)
	s_barrier
	s_and_saveexec_b64 s[18:19], s[10:11]
	s_cbranch_execz .LBB2628_29
; %bb.28:
	v_lshlrev_b32_e32 v41, 2, v2
	ds_read_b32 v42, v41
	s_waitcnt lgkmcnt(0)
	s_nop 0
	v_mov_b32_dpp v43, v42 row_shr:1 row_mask:0xf bank_mask:0xf
	v_cndmask_b32_e64 v43, v43, 0, vcc
	v_add_u32_e32 v42, v43, v42
	s_nop 1
	v_mov_b32_dpp v43, v42 row_shr:2 row_mask:0xf bank_mask:0xf
	v_cndmask_b32_e64 v43, 0, v43, s[0:1]
	v_add_u32_e32 v42, v42, v43
	s_nop 1
	v_mov_b32_dpp v43, v42 row_shr:4 row_mask:0xf bank_mask:0xf
	v_cndmask_b32_e64 v43, 0, v43, s[2:3]
	;; [unrolled: 4-line block ×3, first 2 shown]
	v_add_u32_e32 v42, v42, v43
	ds_write_b32 v41, v42
.LBB2628_29:
	s_or_b64 exec, exec, s[18:19]
	v_cmp_lt_u32_e32 vcc, 63, v2
	v_mov_b32_e32 v41, 0
	s_waitcnt lgkmcnt(0)
	s_barrier
	s_and_saveexec_b64 s[0:1], vcc
	s_cbranch_execz .LBB2628_31
; %bb.30:
	v_lshl_add_u32 v40, v40, 2, -4
	ds_read_b32 v41, v40
.LBB2628_31:
	s_or_b64 exec, exec, s[0:1]
	v_add_u32_e32 v40, -1, v1
	v_and_b32_e32 v42, 64, v1
	v_cmp_lt_i32_e32 vcc, v40, v42
	v_cndmask_b32_e32 v40, v40, v1, vcc
	s_waitcnt lgkmcnt(0)
	v_add_u32_e32 v39, v41, v39
	v_lshlrev_b32_e32 v40, 2, v40
	ds_bpermute_b32 v39, v40, v39
	v_cmp_eq_u32_e32 vcc, 0, v1
	s_movk_i32 s2, 0xff
	s_movk_i32 s0, 0x100
	v_cmp_gt_u32_e64 s[0:1], s0, v2
	s_waitcnt lgkmcnt(0)
	v_cndmask_b32_e32 v1, v39, v41, vcc
	v_cmp_ne_u32_e32 vcc, 0, v2
	v_cndmask_b32_e32 v1, 0, v1, vcc
	v_add_u32_e32 v18, v1, v18
	v_add_u32_e32 v19, v18, v19
	;; [unrolled: 1-line block ×4, first 2 shown]
	ds_write2_b32 v3, v1, v18 offset0:16 offset1:17
	ds_write2_b32 v38, v19, v12 offset0:2 offset1:3
	ds_write_b32 v38, v13 offset:16
	s_waitcnt lgkmcnt(0)
	s_barrier
	ds_read_b32 v40, v20 offset:64
	ds_read_b32 v1, v21 offset:64
	;; [unrolled: 1-line block ×6, first 2 shown]
	v_cmp_lt_u32_e32 vcc, s2, v2
	v_pk_mov_b32 v[12:13], 0, 0
                                        ; implicit-def: $vgpr29
	s_and_saveexec_b64 s[8:9], s[0:1]
	s_cbranch_execz .LBB2628_35
; %bb.32:
	v_mul_u32_u24_e32 v3, 17, v2
	v_lshlrev_b32_e32 v13, 2, v3
	ds_read_b32 v12, v13 offset:64
	v_cmp_ne_u32_e64 s[2:3], s2, v2
	v_mov_b32_e32 v3, 0x1800
	s_and_saveexec_b64 s[10:11], s[2:3]
	s_cbranch_execz .LBB2628_34
; %bb.33:
	ds_read_b32 v3, v13 offset:132
.LBB2628_34:
	s_or_b64 exec, exec, s[10:11]
	s_waitcnt lgkmcnt(0)
	v_sub_u32_e32 v29, v3, v12
	v_mov_b32_e32 v13, 0
.LBB2628_35:
	s_or_b64 exec, exec, s[8:9]
	s_waitcnt lgkmcnt(0)
	s_barrier
	s_and_saveexec_b64 s[2:3], vcc
	s_xor_b64 s[2:3], exec, s[2:3]
; %bb.36:
	v_mov_b32_e32 v3, 0
; %bb.37:
	s_andn2_saveexec_b64 s[2:3], s[2:3]
	s_cbranch_execz .LBB2628_47
; %bb.38:
	v_lshl_or_b32 v18, s6, 8, v2
	v_mov_b32_e32 v19, 0
	v_lshlrev_b64 v[20:21], 2, v[18:19]
	v_mov_b32_e32 v3, s25
	v_add_co_u32_e32 v20, vcc, s24, v20
	v_addc_co_u32_e32 v21, vcc, v3, v21, vcc
	v_or_b32_e32 v18, 2.0, v29
	s_mov_b64 s[8:9], 0
	s_brev_b32 s29, 1
	s_mov_b32 s30, s6
	v_mov_b32_e32 v42, 0
	global_store_dword v[20:21], v18, off
                                        ; implicit-def: $sgpr10_sgpr11
	s_branch .LBB2628_40
.LBB2628_39:                            ;   in Loop: Header=BB2628_40 Depth=1
	s_or_b64 exec, exec, s[10:11]
	v_and_b32_e32 v22, 0x3fffffff, v43
	v_add_u32_e32 v42, v22, v42
	v_cmp_eq_u32_e64 s[10:11], s29, v18
	s_and_b64 s[18:19], exec, s[10:11]
	s_or_b64 s[8:9], s[18:19], s[8:9]
	s_andn2_b64 exec, exec, s[8:9]
	s_cbranch_execz .LBB2628_46
.LBB2628_40:                            ; =>This Loop Header: Depth=1
                                        ;     Child Loop BB2628_43 Depth 2
	s_or_b64 s[10:11], s[10:11], exec
	s_cmp_eq_u32 s30, 0
	s_cbranch_scc1 .LBB2628_45
; %bb.41:                               ;   in Loop: Header=BB2628_40 Depth=1
	s_add_i32 s30, s30, -1
	v_lshl_or_b32 v18, s30, 8, v2
	v_lshlrev_b64 v[22:23], 2, v[18:19]
	v_add_co_u32_e32 v22, vcc, s24, v22
	v_addc_co_u32_e32 v23, vcc, v3, v23, vcc
	global_load_dword v43, v[22:23], off glc
	s_waitcnt vmcnt(0)
	v_and_b32_e32 v18, -2.0, v43
	v_cmp_eq_u32_e32 vcc, 0, v18
	s_and_saveexec_b64 s[10:11], vcc
	s_cbranch_execz .LBB2628_39
; %bb.42:                               ;   in Loop: Header=BB2628_40 Depth=1
	s_mov_b64 s[18:19], 0
.LBB2628_43:                            ;   Parent Loop BB2628_40 Depth=1
                                        ; =>  This Inner Loop Header: Depth=2
	global_load_dword v43, v[22:23], off glc
	s_waitcnt vmcnt(0)
	v_and_b32_e32 v18, -2.0, v43
	v_cmp_ne_u32_e32 vcc, 0, v18
	s_or_b64 s[18:19], vcc, s[18:19]
	s_andn2_b64 exec, exec, s[18:19]
	s_cbranch_execnz .LBB2628_43
; %bb.44:                               ;   in Loop: Header=BB2628_40 Depth=1
	s_or_b64 exec, exec, s[18:19]
	s_branch .LBB2628_39
.LBB2628_45:                            ;   in Loop: Header=BB2628_40 Depth=1
                                        ; implicit-def: $sgpr30
	s_and_b64 s[18:19], exec, s[10:11]
	s_or_b64 s[8:9], s[18:19], s[8:9]
	s_andn2_b64 exec, exec, s[8:9]
	s_cbranch_execnz .LBB2628_40
.LBB2628_46:
	s_or_b64 exec, exec, s[8:9]
	v_add_u32_e32 v3, v42, v29
	v_or_b32_e32 v3, 0x80000000, v3
	global_store_dword v[20:21], v3, off
	v_lshlrev_b32_e32 v20, 3, v2
	global_load_dwordx2 v[18:19], v20, s[12:13]
	v_sub_co_u32_e32 v21, vcc, v42, v12
	v_subb_co_u32_e32 v22, vcc, 0, v13, vcc
	v_mov_b32_e32 v3, 0
	s_waitcnt vmcnt(0)
	v_add_co_u32_e32 v18, vcc, v21, v18
	v_addc_co_u32_e32 v19, vcc, v22, v19, vcc
	ds_write_b64 v20, v[18:19]
.LBB2628_47:
	s_or_b64 exec, exec, s[2:3]
	v_add_u32_e32 v19, v40, v25
	v_add3_u32 v25, v32, v39, v31
	v_add3_u32 v28, v30, v38, v28
	v_lshlrev_b64 v[30:31], 3, v[2:3]
	v_lshlrev_b32_e32 v20, 3, v2
	v_add3_u32 v26, v27, v1, v26
	v_mov_b32_e32 v1, s23
	v_add_co_u32_e32 v18, vcc, s22, v30
	s_mov_b32 s8, 0
	v_add_u32_e32 v21, 0x800, v20
	v_add3_u32 v22, v37, v41, v35
	v_add3_u32 v23, v34, v36, v33
	v_addc_co_u32_e32 v1, vcc, v1, v31, vcc
	s_brev_b32 s9, 1
	v_bfrev_b32_e32 v27, -2
	v_mov_b32_e32 v30, v2
	s_mov_b32 s18, s8
	s_branch .LBB2628_49
.LBB2628_48:                            ;   in Loop: Header=BB2628_49 Depth=1
	s_or_b64 exec, exec, s[10:11]
	s_addk_i32 s18, 0xf800
	v_add_co_u32_e32 v18, vcc, 0x4000, v18
	v_addc_co_u32_e32 v1, vcc, 0, v1, vcc
	s_cmpk_eq_i32 s18, 0xe800
	v_add_u32_e32 v30, 0x800, v30
	s_barrier
	s_cbranch_scc1 .LBB2628_54
.LBB2628_49:                            ; =>This Inner Loop Header: Depth=1
	v_add_u32_e32 v31, s18, v19
	v_min_u32_e32 v31, 0x800, v31
	v_lshlrev_b32_e32 v31, 3, v31
	ds_write_b64 v31, v[4:5] offset:2048
	v_add_u32_e32 v31, s18, v26
	v_min_u32_e32 v31, 0x800, v31
	v_lshlrev_b32_e32 v31, 3, v31
	ds_write_b64 v31, v[6:7] offset:2048
	;; [unrolled: 4-line block ×5, first 2 shown]
	v_add_u32_e32 v31, s18, v22
	v_min_u32_e32 v31, 0x800, v31
	v_lshlrev_b32_e32 v31, 3, v31
	v_cmp_gt_u32_e32 vcc, s7, v30
	ds_write_b64 v31, v[16:17] offset:2048
	s_waitcnt lgkmcnt(0)
	s_barrier
	s_and_saveexec_b64 s[10:11], vcc
	s_cbranch_execz .LBB2628_51
; %bb.50:                               ;   in Loop: Header=BB2628_49 Depth=1
	ds_read_b64 v[32:33], v20 offset:2048
	s_waitcnt lgkmcnt(0)
	v_cmp_ne_u64_e32 vcc, s[8:9], v[32:33]
	v_cndmask_b32_e32 v35, v27, v33, vcc
	v_cndmask_b32_e32 v34, -1, v32, vcc
	v_lshrrev_b64 v[34:35], s16, v[34:35]
	v_and_b32_e32 v34, s28, v34
	v_lshlrev_b32_e32 v34, 3, v34
	ds_read_b64 v[34:35], v34
	v_cmp_gt_i64_e64 s[2:3], 0, v[32:33]
	v_ashrrev_i32_e32 v36, 31, v33
	v_cndmask_b32_e64 v31, v27, 0, s[2:3]
	v_not_b32_e32 v36, v36
	s_waitcnt lgkmcnt(0)
	v_lshlrev_b64 v[34:35], 3, v[34:35]
	v_add_co_u32_e32 v34, vcc, v18, v34
	v_xor_b32_e32 v33, v31, v33
	v_xor_b32_e32 v32, v36, v32
	v_addc_co_u32_e32 v35, vcc, v1, v35, vcc
	global_store_dwordx2 v[34:35], v[32:33], off
.LBB2628_51:                            ;   in Loop: Header=BB2628_49 Depth=1
	s_or_b64 exec, exec, s[10:11]
	v_add_u32_e32 v31, 0x400, v30
	v_cmp_gt_u32_e32 vcc, s7, v31
	s_and_saveexec_b64 s[10:11], vcc
	s_cbranch_execz .LBB2628_48
; %bb.52:                               ;   in Loop: Header=BB2628_49 Depth=1
	ds_read_b64 v[32:33], v21 offset:8192
	s_waitcnt lgkmcnt(0)
	v_cmp_ne_u64_e32 vcc, s[8:9], v[32:33]
	v_cndmask_b32_e32 v35, v27, v33, vcc
	v_cndmask_b32_e32 v34, -1, v32, vcc
	v_lshrrev_b64 v[34:35], s16, v[34:35]
	v_and_b32_e32 v34, s28, v34
	v_lshlrev_b32_e32 v34, 3, v34
	ds_read_b64 v[34:35], v34
	v_cmp_gt_i64_e64 s[2:3], 0, v[32:33]
	v_cndmask_b32_e64 v31, v27, 0, s[2:3]
	v_ashrrev_i32_e32 v36, 31, v33
	v_xor_b32_e32 v33, v31, v33
	s_waitcnt lgkmcnt(0)
	v_lshlrev_b64 v[34:35], 3, v[34:35]
	v_add_co_u32_e32 v31, vcc, v18, v34
	v_addc_co_u32_e32 v35, vcc, v1, v35, vcc
	v_not_b32_e32 v36, v36
	v_add_co_u32_e32 v34, vcc, 0x2000, v31
	v_xor_b32_e32 v32, v36, v32
	v_addc_co_u32_e32 v35, vcc, 0, v35, vcc
	global_store_dwordx2 v[34:35], v[32:33], off
	s_branch .LBB2628_48
.LBB2628_53:
	s_mov_b64 s[0:1], 0
                                        ; implicit-def: $vgpr2
                                        ; implicit-def: $vgpr12_vgpr13
                                        ; implicit-def: $vgpr29
	s_cbranch_execnz .LBB2628_55
	s_branch .LBB2628_92
.LBB2628_54:
	s_add_i32 s27, s27, -1
	s_cmp_eq_u32 s27, s6
	s_cselect_b64 s[2:3], -1, 0
	s_and_b64 s[0:1], s[0:1], s[2:3]
	s_branch .LBB2628_92
.LBB2628_55:
	s_mov_b32 s27, 0
	v_mbcnt_hi_u32_b32 v3, -1, v24
	s_lshl_b64 s[0:1], s[26:27], 3
	v_and_b32_e32 v1, 63, v3
	s_add_u32 s0, s20, s0
	v_lshlrev_b32_e32 v1, 3, v1
	v_add_co_u32_e32 v1, vcc, s0, v1
	s_load_dword s7, s[4:5], 0x58
	s_load_dword s0, s[4:5], 0x64
	v_and_b32_e32 v2, 0x3ff, v0
	s_addc_u32 s1, s21, s1
	v_and_b32_e32 v4, 0x3c0, v2
	v_mul_u32_u24_e32 v4, 6, v4
	v_mov_b32_e32 v5, s1
	v_addc_co_u32_e32 v5, vcc, 0, v5, vcc
	v_lshlrev_b32_e32 v4, 3, v4
	s_add_u32 s1, s4, 0x58
	v_add_co_u32_e32 v16, vcc, v1, v4
	s_addc_u32 s2, s5, 0
	s_waitcnt lgkmcnt(0)
	s_lshr_b32 s4, s0, 16
	v_addc_co_u32_e32 v17, vcc, 0, v5, vcc
	s_cmp_lt_u32 s6, s7
	global_load_dwordx2 v[22:23], v[16:17], off
	s_cselect_b32 s0, 12, 18
	s_add_u32 s0, s1, s0
	v_mov_b32_e32 v6, 0
	s_addc_u32 s1, s2, 0
	global_load_ushort v7, v6, s[0:1]
	v_mul_u32_u24_e32 v4, 5, v2
	v_lshlrev_b32_e32 v18, 2, v4
	ds_write2_b32 v18, v6, v6 offset0:16 offset1:17
	ds_write2_b32 v18, v6, v6 offset0:18 offset1:19
	ds_write_b32 v18, v6 offset:80
	global_load_dwordx2 v[4:5], v[16:17], off offset:512
	global_load_dwordx2 v[14:15], v[16:17], off offset:1024
	;; [unrolled: 1-line block ×5, first 2 shown]
	v_bfe_u32 v1, v0, 10, 10
	v_bfe_u32 v0, v0, 20, 10
	v_bfrev_b32_e32 v20, -2
	v_mad_u32_u24 v19, v0, s4, v1
	s_brev_b32 s3, 1
	s_mov_b32 s2, s27
	s_lshl_b32 s0, -1, s17
	s_not_b32 s17, s0
	s_waitcnt lgkmcnt(0)
	s_barrier
	s_waitcnt lgkmcnt(0)
	; wave barrier
	s_waitcnt vmcnt(6)
	v_cmp_gt_i64_e32 vcc, 0, v[22:23]
	v_ashrrev_i32_e32 v1, 31, v23
	v_cndmask_b32_e64 v0, v20, 0, vcc
	v_not_b32_e32 v16, v1
	v_xor_b32_e32 v1, v0, v23
	v_xor_b32_e32 v0, v16, v22
	s_waitcnt vmcnt(5)
	v_mad_u64_u32 v[16:17], s[0:1], v19, v7, v[2:3]
	v_cmp_ne_u64_e32 vcc, s[2:3], v[0:1]
	v_cndmask_b32_e32 v17, v20, v1, vcc
	v_lshrrev_b32_e32 v21, 6, v16
	v_cndmask_b32_e32 v16, -1, v0, vcc
	v_lshrrev_b64 v[16:17], s16, v[16:17]
	v_and_b32_e32 v16, s17, v16
	v_lshl_add_u32 v17, v16, 4, v16
	v_and_b32_e32 v22, 1, v16
	v_add_lshl_u32 v19, v21, v17, 2
	v_add_co_u32_e32 v17, vcc, -1, v22
	v_lshlrev_b32_e32 v7, 30, v16
	v_addc_co_u32_e64 v23, s[0:1], 0, -1, vcc
	v_cmp_ne_u32_e32 vcc, 0, v22
	v_cmp_gt_i64_e64 s[0:1], 0, v[6:7]
	v_not_b32_e32 v22, v7
	v_lshlrev_b32_e32 v7, 29, v16
	v_xor_b32_e32 v23, vcc_hi, v23
	v_xor_b32_e32 v17, vcc_lo, v17
	v_ashrrev_i32_e32 v22, 31, v22
	v_cmp_gt_i64_e32 vcc, 0, v[6:7]
	v_not_b32_e32 v24, v7
	v_lshlrev_b32_e32 v7, 28, v16
	v_and_b32_e32 v23, exec_hi, v23
	v_and_b32_e32 v17, exec_lo, v17
	v_xor_b32_e32 v25, s1, v22
	v_xor_b32_e32 v22, s0, v22
	v_ashrrev_i32_e32 v24, 31, v24
	v_cmp_gt_i64_e64 s[0:1], 0, v[6:7]
	v_not_b32_e32 v7, v7
	v_and_b32_e32 v23, v23, v25
	v_and_b32_e32 v17, v17, v22
	v_xor_b32_e32 v22, vcc_hi, v24
	v_xor_b32_e32 v24, vcc_lo, v24
	v_ashrrev_i32_e32 v7, 31, v7
	v_and_b32_e32 v22, v23, v22
	v_and_b32_e32 v17, v17, v24
	v_xor_b32_e32 v23, s1, v7
	v_xor_b32_e32 v7, s0, v7
	v_and_b32_e32 v17, v17, v7
	v_lshlrev_b32_e32 v7, 27, v16
	v_cmp_gt_i64_e32 vcc, 0, v[6:7]
	v_not_b32_e32 v7, v7
	v_ashrrev_i32_e32 v7, 31, v7
	v_and_b32_e32 v22, v22, v23
	v_xor_b32_e32 v23, vcc_hi, v7
	v_xor_b32_e32 v7, vcc_lo, v7
	v_and_b32_e32 v17, v17, v7
	v_lshlrev_b32_e32 v7, 26, v16
	v_cmp_gt_i64_e32 vcc, 0, v[6:7]
	v_not_b32_e32 v7, v7
	v_ashrrev_i32_e32 v7, 31, v7
	v_and_b32_e32 v22, v22, v23
	v_xor_b32_e32 v23, vcc_hi, v7
	v_xor_b32_e32 v7, vcc_lo, v7
	v_and_b32_e32 v17, v17, v7
	v_lshlrev_b32_e32 v7, 25, v16
	v_cmp_gt_i64_e32 vcc, 0, v[6:7]
	v_not_b32_e32 v7, v7
	v_ashrrev_i32_e32 v7, 31, v7
	v_and_b32_e32 v22, v22, v23
	v_xor_b32_e32 v23, vcc_hi, v7
	v_xor_b32_e32 v7, vcc_lo, v7
	v_and_b32_e32 v22, v22, v23
	v_and_b32_e32 v23, v17, v7
	v_lshlrev_b32_e32 v7, 24, v16
	v_cmp_gt_i64_e32 vcc, 0, v[6:7]
	v_not_b32_e32 v7, v7
	v_ashrrev_i32_e32 v7, 31, v7
	v_xor_b32_e32 v16, vcc_hi, v7
	v_xor_b32_e32 v7, vcc_lo, v7
	v_and_b32_e32 v17, v22, v16
	v_and_b32_e32 v16, v23, v7
	v_mbcnt_lo_u32_b32 v7, v16, 0
	v_mbcnt_hi_u32_b32 v22, v17, v7
	v_cmp_eq_u32_e32 vcc, 0, v22
	v_cmp_ne_u64_e64 s[0:1], 0, v[16:17]
	s_and_b64 s[4:5], s[0:1], vcc
	s_and_saveexec_b64 s[0:1], s[4:5]
	s_cbranch_execz .LBB2628_57
; %bb.56:
	v_bcnt_u32_b32 v7, v16, 0
	v_bcnt_u32_b32 v7, v17, v7
	ds_write_b32 v19, v7 offset:64
.LBB2628_57:
	s_or_b64 exec, exec, s[0:1]
	s_waitcnt vmcnt(4)
	v_cmp_gt_i64_e32 vcc, 0, v[4:5]
	v_ashrrev_i32_e32 v16, 31, v5
	v_cndmask_b32_e64 v7, v20, 0, vcc
	v_not_b32_e32 v16, v16
	v_xor_b32_e32 v5, v7, v5
	v_xor_b32_e32 v4, v16, v4
	v_cmp_ne_u64_e32 vcc, s[2:3], v[4:5]
	v_cndmask_b32_e32 v17, v20, v5, vcc
	v_cndmask_b32_e32 v16, -1, v4, vcc
	v_lshrrev_b64 v[16:17], s16, v[16:17]
	v_and_b32_e32 v16, s17, v16
	v_lshl_add_u32 v7, v16, 4, v16
	v_add_lshl_u32 v20, v21, v7, 2
	v_and_b32_e32 v7, 1, v16
	v_add_co_u32_e32 v17, vcc, -1, v7
	v_addc_co_u32_e64 v24, s[0:1], 0, -1, vcc
	v_cmp_ne_u32_e32 vcc, 0, v7
	v_xor_b32_e32 v7, vcc_hi, v24
	v_and_b32_e32 v24, exec_hi, v7
	v_lshlrev_b32_e32 v7, 30, v16
	v_xor_b32_e32 v17, vcc_lo, v17
	v_cmp_gt_i64_e32 vcc, 0, v[6:7]
	v_not_b32_e32 v7, v7
	v_ashrrev_i32_e32 v7, 31, v7
	v_and_b32_e32 v17, exec_lo, v17
	v_xor_b32_e32 v25, vcc_hi, v7
	v_xor_b32_e32 v7, vcc_lo, v7
	v_and_b32_e32 v17, v17, v7
	v_lshlrev_b32_e32 v7, 29, v16
	v_cmp_gt_i64_e32 vcc, 0, v[6:7]
	v_not_b32_e32 v7, v7
	v_ashrrev_i32_e32 v7, 31, v7
	v_and_b32_e32 v24, v24, v25
	v_xor_b32_e32 v25, vcc_hi, v7
	v_xor_b32_e32 v7, vcc_lo, v7
	v_and_b32_e32 v17, v17, v7
	v_lshlrev_b32_e32 v7, 28, v16
	v_cmp_gt_i64_e32 vcc, 0, v[6:7]
	v_not_b32_e32 v7, v7
	v_ashrrev_i32_e32 v7, 31, v7
	v_and_b32_e32 v24, v24, v25
	;; [unrolled: 8-line block ×5, first 2 shown]
	v_xor_b32_e32 v25, vcc_hi, v7
	v_xor_b32_e32 v7, vcc_lo, v7
	v_and_b32_e32 v17, v17, v7
	v_lshlrev_b32_e32 v7, 24, v16
	v_cmp_gt_i64_e32 vcc, 0, v[6:7]
	v_not_b32_e32 v6, v7
	v_ashrrev_i32_e32 v6, 31, v6
	v_xor_b32_e32 v7, vcc_hi, v6
	v_xor_b32_e32 v6, vcc_lo, v6
	; wave barrier
	ds_read_b32 v23, v20 offset:64
	v_and_b32_e32 v24, v24, v25
	v_and_b32_e32 v6, v17, v6
	;; [unrolled: 1-line block ×3, first 2 shown]
	v_mbcnt_lo_u32_b32 v16, v6, 0
	v_mbcnt_hi_u32_b32 v24, v7, v16
	v_cmp_eq_u32_e32 vcc, 0, v24
	v_cmp_ne_u64_e64 s[0:1], 0, v[6:7]
	s_and_b64 s[2:3], s[0:1], vcc
	; wave barrier
	s_and_saveexec_b64 s[0:1], s[2:3]
	s_cbranch_execz .LBB2628_59
; %bb.58:
	v_bcnt_u32_b32 v6, v6, 0
	v_bcnt_u32_b32 v6, v7, v6
	s_waitcnt lgkmcnt(0)
	v_add_u32_e32 v6, v23, v6
	ds_write_b32 v20, v6 offset:64
.LBB2628_59:
	s_or_b64 exec, exec, s[0:1]
	v_bfrev_b32_e32 v27, -2
	s_waitcnt vmcnt(3)
	v_cmp_gt_i64_e32 vcc, 0, v[14:15]
	v_ashrrev_i32_e32 v7, 31, v15
	s_mov_b32 s2, 0
	v_cndmask_b32_e64 v6, v27, 0, vcc
	v_not_b32_e32 v17, v7
	s_brev_b32 s3, 1
	v_xor_b32_e32 v7, v6, v15
	v_xor_b32_e32 v6, v17, v14
	v_cmp_ne_u64_e32 vcc, s[2:3], v[6:7]
	v_cndmask_b32_e32 v15, v27, v7, vcc
	v_cndmask_b32_e32 v14, -1, v6, vcc
	v_lshrrev_b64 v[14:15], s16, v[14:15]
	v_and_b32_e32 v14, s17, v14
	v_lshl_add_u32 v15, v14, 4, v14
	v_add_lshl_u32 v28, v21, v15, 2
	v_and_b32_e32 v15, 1, v14
	v_add_co_u32_e32 v17, vcc, -1, v15
	v_addc_co_u32_e64 v26, s[0:1], 0, -1, vcc
	v_cmp_ne_u32_e32 vcc, 0, v15
	v_xor_b32_e32 v17, vcc_lo, v17
	v_mov_b32_e32 v16, 0
	v_xor_b32_e32 v15, vcc_hi, v26
	v_and_b32_e32 v26, exec_lo, v17
	v_lshlrev_b32_e32 v17, 30, v14
	v_cmp_gt_i64_e32 vcc, 0, v[16:17]
	v_not_b32_e32 v17, v17
	v_ashrrev_i32_e32 v17, 31, v17
	v_xor_b32_e32 v29, vcc_hi, v17
	v_xor_b32_e32 v17, vcc_lo, v17
	v_and_b32_e32 v26, v26, v17
	v_lshlrev_b32_e32 v17, 29, v14
	v_cmp_gt_i64_e32 vcc, 0, v[16:17]
	v_not_b32_e32 v17, v17
	v_and_b32_e32 v15, exec_hi, v15
	v_ashrrev_i32_e32 v17, 31, v17
	v_and_b32_e32 v15, v15, v29
	v_xor_b32_e32 v29, vcc_hi, v17
	v_xor_b32_e32 v17, vcc_lo, v17
	v_and_b32_e32 v26, v26, v17
	v_lshlrev_b32_e32 v17, 28, v14
	v_cmp_gt_i64_e32 vcc, 0, v[16:17]
	v_not_b32_e32 v17, v17
	v_ashrrev_i32_e32 v17, 31, v17
	v_and_b32_e32 v15, v15, v29
	v_xor_b32_e32 v29, vcc_hi, v17
	v_xor_b32_e32 v17, vcc_lo, v17
	v_and_b32_e32 v26, v26, v17
	v_lshlrev_b32_e32 v17, 27, v14
	v_cmp_gt_i64_e32 vcc, 0, v[16:17]
	v_not_b32_e32 v17, v17
	;; [unrolled: 8-line block ×4, first 2 shown]
	v_ashrrev_i32_e32 v17, 31, v17
	v_and_b32_e32 v15, v15, v29
	v_xor_b32_e32 v29, vcc_hi, v17
	v_xor_b32_e32 v17, vcc_lo, v17
	v_and_b32_e32 v26, v26, v17
	v_lshlrev_b32_e32 v17, 24, v14
	v_not_b32_e32 v14, v17
	v_cmp_gt_i64_e32 vcc, 0, v[16:17]
	v_ashrrev_i32_e32 v14, 31, v14
	v_xor_b32_e32 v17, vcc_hi, v14
	v_xor_b32_e32 v14, vcc_lo, v14
	; wave barrier
	ds_read_b32 v25, v28 offset:64
	v_and_b32_e32 v15, v15, v29
	v_and_b32_e32 v14, v26, v14
	;; [unrolled: 1-line block ×3, first 2 shown]
	v_mbcnt_lo_u32_b32 v17, v14, 0
	v_mbcnt_hi_u32_b32 v26, v15, v17
	v_cmp_eq_u32_e32 vcc, 0, v26
	v_cmp_ne_u64_e64 s[0:1], 0, v[14:15]
	s_and_b64 s[4:5], s[0:1], vcc
	; wave barrier
	s_and_saveexec_b64 s[0:1], s[4:5]
	s_cbranch_execz .LBB2628_61
; %bb.60:
	v_bcnt_u32_b32 v14, v14, 0
	v_bcnt_u32_b32 v14, v15, v14
	s_waitcnt lgkmcnt(0)
	v_add_u32_e32 v14, v25, v14
	ds_write_b32 v28, v14 offset:64
.LBB2628_61:
	s_or_b64 exec, exec, s[0:1]
	s_waitcnt vmcnt(2)
	v_cmp_gt_i64_e32 vcc, 0, v[8:9]
	v_ashrrev_i32_e32 v15, 31, v9
	v_cndmask_b32_e64 v14, v27, 0, vcc
	v_not_b32_e32 v15, v15
	v_xor_b32_e32 v9, v14, v9
	v_xor_b32_e32 v8, v15, v8
	v_cmp_ne_u64_e32 vcc, s[2:3], v[8:9]
	v_cndmask_b32_e32 v15, v27, v9, vcc
	v_cndmask_b32_e32 v14, -1, v8, vcc
	v_lshrrev_b64 v[14:15], s16, v[14:15]
	v_and_b32_e32 v14, s17, v14
	v_lshl_add_u32 v15, v14, 4, v14
	v_add_lshl_u32 v29, v21, v15, 2
	v_and_b32_e32 v15, 1, v14
	v_add_co_u32_e32 v17, vcc, -1, v15
	v_addc_co_u32_e64 v30, s[0:1], 0, -1, vcc
	v_cmp_ne_u32_e32 vcc, 0, v15
	v_xor_b32_e32 v17, vcc_lo, v17
	v_xor_b32_e32 v15, vcc_hi, v30
	v_and_b32_e32 v30, exec_lo, v17
	v_lshlrev_b32_e32 v17, 30, v14
	v_cmp_gt_i64_e32 vcc, 0, v[16:17]
	v_not_b32_e32 v17, v17
	v_ashrrev_i32_e32 v17, 31, v17
	v_xor_b32_e32 v31, vcc_hi, v17
	v_xor_b32_e32 v17, vcc_lo, v17
	v_and_b32_e32 v30, v30, v17
	v_lshlrev_b32_e32 v17, 29, v14
	v_cmp_gt_i64_e32 vcc, 0, v[16:17]
	v_not_b32_e32 v17, v17
	v_and_b32_e32 v15, exec_hi, v15
	v_ashrrev_i32_e32 v17, 31, v17
	v_and_b32_e32 v15, v15, v31
	v_xor_b32_e32 v31, vcc_hi, v17
	v_xor_b32_e32 v17, vcc_lo, v17
	v_and_b32_e32 v30, v30, v17
	v_lshlrev_b32_e32 v17, 28, v14
	v_cmp_gt_i64_e32 vcc, 0, v[16:17]
	v_not_b32_e32 v17, v17
	v_ashrrev_i32_e32 v17, 31, v17
	v_and_b32_e32 v15, v15, v31
	v_xor_b32_e32 v31, vcc_hi, v17
	v_xor_b32_e32 v17, vcc_lo, v17
	v_and_b32_e32 v30, v30, v17
	v_lshlrev_b32_e32 v17, 27, v14
	v_cmp_gt_i64_e32 vcc, 0, v[16:17]
	v_not_b32_e32 v17, v17
	;; [unrolled: 8-line block ×4, first 2 shown]
	v_ashrrev_i32_e32 v17, 31, v17
	v_and_b32_e32 v15, v15, v31
	v_xor_b32_e32 v31, vcc_hi, v17
	v_xor_b32_e32 v17, vcc_lo, v17
	v_and_b32_e32 v30, v30, v17
	v_lshlrev_b32_e32 v17, 24, v14
	v_not_b32_e32 v14, v17
	v_cmp_gt_i64_e32 vcc, 0, v[16:17]
	v_ashrrev_i32_e32 v14, 31, v14
	v_xor_b32_e32 v16, vcc_hi, v14
	v_xor_b32_e32 v14, vcc_lo, v14
	; wave barrier
	ds_read_b32 v27, v29 offset:64
	v_and_b32_e32 v15, v15, v31
	v_and_b32_e32 v14, v30, v14
	;; [unrolled: 1-line block ×3, first 2 shown]
	v_mbcnt_lo_u32_b32 v16, v14, 0
	v_mbcnt_hi_u32_b32 v30, v15, v16
	v_cmp_eq_u32_e32 vcc, 0, v30
	v_cmp_ne_u64_e64 s[0:1], 0, v[14:15]
	s_and_b64 s[2:3], s[0:1], vcc
	; wave barrier
	s_and_saveexec_b64 s[0:1], s[2:3]
	s_cbranch_execz .LBB2628_63
; %bb.62:
	v_bcnt_u32_b32 v14, v14, 0
	v_bcnt_u32_b32 v14, v15, v14
	s_waitcnt lgkmcnt(0)
	v_add_u32_e32 v14, v27, v14
	ds_write_b32 v29, v14 offset:64
.LBB2628_63:
	s_or_b64 exec, exec, s[0:1]
	v_bfrev_b32_e32 v33, -2
	s_waitcnt vmcnt(1)
	v_cmp_gt_i64_e32 vcc, 0, v[10:11]
	v_ashrrev_i32_e32 v15, 31, v11
	s_mov_b32 s2, 0
	v_cndmask_b32_e64 v14, v33, 0, vcc
	v_not_b32_e32 v15, v15
	s_brev_b32 s3, 1
	v_xor_b32_e32 v11, v14, v11
	v_xor_b32_e32 v10, v15, v10
	v_cmp_ne_u64_e32 vcc, s[2:3], v[10:11]
	v_cndmask_b32_e32 v15, v33, v11, vcc
	v_cndmask_b32_e32 v14, -1, v10, vcc
	v_lshrrev_b64 v[14:15], s16, v[14:15]
	v_and_b32_e32 v14, s17, v14
	v_lshl_add_u32 v15, v14, 4, v14
	v_add_lshl_u32 v34, v15, v21, 2
	v_and_b32_e32 v15, 1, v14
	v_add_co_u32_e32 v17, vcc, -1, v15
	v_addc_co_u32_e64 v32, s[0:1], 0, -1, vcc
	v_cmp_ne_u32_e32 vcc, 0, v15
	v_xor_b32_e32 v17, vcc_lo, v17
	v_mov_b32_e32 v16, 0
	v_xor_b32_e32 v15, vcc_hi, v32
	v_and_b32_e32 v32, exec_lo, v17
	v_lshlrev_b32_e32 v17, 30, v14
	v_cmp_gt_i64_e32 vcc, 0, v[16:17]
	v_not_b32_e32 v17, v17
	v_ashrrev_i32_e32 v17, 31, v17
	v_xor_b32_e32 v35, vcc_hi, v17
	v_xor_b32_e32 v17, vcc_lo, v17
	v_and_b32_e32 v32, v32, v17
	v_lshlrev_b32_e32 v17, 29, v14
	v_cmp_gt_i64_e32 vcc, 0, v[16:17]
	v_not_b32_e32 v17, v17
	v_and_b32_e32 v15, exec_hi, v15
	v_ashrrev_i32_e32 v17, 31, v17
	v_and_b32_e32 v15, v15, v35
	v_xor_b32_e32 v35, vcc_hi, v17
	v_xor_b32_e32 v17, vcc_lo, v17
	v_and_b32_e32 v32, v32, v17
	v_lshlrev_b32_e32 v17, 28, v14
	v_cmp_gt_i64_e32 vcc, 0, v[16:17]
	v_not_b32_e32 v17, v17
	v_ashrrev_i32_e32 v17, 31, v17
	v_and_b32_e32 v15, v15, v35
	v_xor_b32_e32 v35, vcc_hi, v17
	v_xor_b32_e32 v17, vcc_lo, v17
	v_and_b32_e32 v32, v32, v17
	v_lshlrev_b32_e32 v17, 27, v14
	v_cmp_gt_i64_e32 vcc, 0, v[16:17]
	v_not_b32_e32 v17, v17
	;; [unrolled: 8-line block ×4, first 2 shown]
	v_ashrrev_i32_e32 v17, 31, v17
	v_and_b32_e32 v15, v15, v35
	v_xor_b32_e32 v35, vcc_hi, v17
	v_xor_b32_e32 v17, vcc_lo, v17
	v_and_b32_e32 v32, v32, v17
	v_lshlrev_b32_e32 v17, 24, v14
	v_not_b32_e32 v14, v17
	v_cmp_gt_i64_e32 vcc, 0, v[16:17]
	v_ashrrev_i32_e32 v14, 31, v14
	v_xor_b32_e32 v17, vcc_hi, v14
	v_xor_b32_e32 v14, vcc_lo, v14
	; wave barrier
	ds_read_b32 v31, v34 offset:64
	v_and_b32_e32 v15, v15, v35
	v_and_b32_e32 v14, v32, v14
	;; [unrolled: 1-line block ×3, first 2 shown]
	v_mbcnt_lo_u32_b32 v17, v14, 0
	v_mbcnt_hi_u32_b32 v32, v15, v17
	v_cmp_eq_u32_e32 vcc, 0, v32
	v_cmp_ne_u64_e64 s[0:1], 0, v[14:15]
	s_and_b64 s[4:5], s[0:1], vcc
	; wave barrier
	s_and_saveexec_b64 s[0:1], s[4:5]
	s_cbranch_execz .LBB2628_65
; %bb.64:
	v_bcnt_u32_b32 v14, v14, 0
	v_bcnt_u32_b32 v14, v15, v14
	s_waitcnt lgkmcnt(0)
	v_add_u32_e32 v14, v31, v14
	ds_write_b32 v34, v14 offset:64
.LBB2628_65:
	s_or_b64 exec, exec, s[0:1]
	s_waitcnt vmcnt(0)
	v_cmp_gt_i64_e32 vcc, 0, v[12:13]
	v_ashrrev_i32_e32 v15, 31, v13
	v_cndmask_b32_e64 v14, v33, 0, vcc
	v_not_b32_e32 v17, v15
	v_xor_b32_e32 v15, v14, v13
	v_xor_b32_e32 v14, v17, v12
	v_cmp_ne_u64_e32 vcc, s[2:3], v[14:15]
	v_cndmask_b32_e32 v13, v33, v15, vcc
	v_cndmask_b32_e32 v12, -1, v14, vcc
	v_lshrrev_b64 v[12:13], s16, v[12:13]
	v_and_b32_e32 v12, s17, v12
	v_lshl_add_u32 v13, v12, 4, v12
	v_add_lshl_u32 v21, v13, v21, 2
	v_and_b32_e32 v13, 1, v12
	v_add_co_u32_e32 v17, vcc, -1, v13
	v_addc_co_u32_e64 v35, s[0:1], 0, -1, vcc
	v_cmp_ne_u32_e32 vcc, 0, v13
	v_xor_b32_e32 v17, vcc_lo, v17
	v_xor_b32_e32 v13, vcc_hi, v35
	v_and_b32_e32 v35, exec_lo, v17
	v_lshlrev_b32_e32 v17, 30, v12
	v_cmp_gt_i64_e32 vcc, 0, v[16:17]
	v_not_b32_e32 v17, v17
	v_ashrrev_i32_e32 v17, 31, v17
	v_xor_b32_e32 v37, vcc_hi, v17
	v_xor_b32_e32 v17, vcc_lo, v17
	v_and_b32_e32 v35, v35, v17
	v_lshlrev_b32_e32 v17, 29, v12
	v_cmp_gt_i64_e32 vcc, 0, v[16:17]
	v_not_b32_e32 v17, v17
	v_and_b32_e32 v13, exec_hi, v13
	v_ashrrev_i32_e32 v17, 31, v17
	v_and_b32_e32 v13, v13, v37
	v_xor_b32_e32 v37, vcc_hi, v17
	v_xor_b32_e32 v17, vcc_lo, v17
	v_and_b32_e32 v35, v35, v17
	v_lshlrev_b32_e32 v17, 28, v12
	v_cmp_gt_i64_e32 vcc, 0, v[16:17]
	v_not_b32_e32 v17, v17
	v_ashrrev_i32_e32 v17, 31, v17
	v_and_b32_e32 v13, v13, v37
	v_xor_b32_e32 v37, vcc_hi, v17
	v_xor_b32_e32 v17, vcc_lo, v17
	v_and_b32_e32 v35, v35, v17
	v_lshlrev_b32_e32 v17, 27, v12
	v_cmp_gt_i64_e32 vcc, 0, v[16:17]
	v_not_b32_e32 v17, v17
	;; [unrolled: 8-line block ×4, first 2 shown]
	v_ashrrev_i32_e32 v17, 31, v17
	v_and_b32_e32 v13, v13, v37
	v_xor_b32_e32 v37, vcc_hi, v17
	v_xor_b32_e32 v17, vcc_lo, v17
	v_and_b32_e32 v35, v35, v17
	v_lshlrev_b32_e32 v17, 24, v12
	v_not_b32_e32 v12, v17
	v_cmp_gt_i64_e32 vcc, 0, v[16:17]
	v_ashrrev_i32_e32 v12, 31, v12
	v_xor_b32_e32 v16, vcc_hi, v12
	v_xor_b32_e32 v12, vcc_lo, v12
	; wave barrier
	ds_read_b32 v33, v21 offset:64
	v_and_b32_e32 v13, v13, v37
	v_and_b32_e32 v12, v35, v12
	;; [unrolled: 1-line block ×3, first 2 shown]
	v_mbcnt_lo_u32_b32 v16, v12, 0
	v_mbcnt_hi_u32_b32 v35, v13, v16
	v_cmp_eq_u32_e32 vcc, 0, v35
	v_cmp_ne_u64_e64 s[0:1], 0, v[12:13]
	v_add_u32_e32 v36, 64, v18
	s_and_b64 s[2:3], s[0:1], vcc
	; wave barrier
	s_and_saveexec_b64 s[0:1], s[2:3]
	s_cbranch_execz .LBB2628_67
; %bb.66:
	v_bcnt_u32_b32 v12, v12, 0
	v_bcnt_u32_b32 v12, v13, v12
	s_waitcnt lgkmcnt(0)
	v_add_u32_e32 v12, v33, v12
	ds_write_b32 v21, v12 offset:64
.LBB2628_67:
	s_or_b64 exec, exec, s[0:1]
	; wave barrier
	s_waitcnt lgkmcnt(0)
	s_barrier
	ds_read2_b32 v[16:17], v18 offset0:16 offset1:17
	ds_read2_b32 v[12:13], v36 offset0:2 offset1:3
	ds_read_b32 v37, v36 offset:16
	v_cmp_lt_u32_e64 s[8:9], 31, v3
	s_waitcnt lgkmcnt(1)
	v_add3_u32 v38, v17, v16, v12
	s_waitcnt lgkmcnt(0)
	v_add3_u32 v37, v38, v13, v37
	v_and_b32_e32 v38, 15, v3
	v_cmp_eq_u32_e32 vcc, 0, v38
	v_mov_b32_dpp v39, v37 row_shr:1 row_mask:0xf bank_mask:0xf
	v_cndmask_b32_e64 v39, v39, 0, vcc
	v_add_u32_e32 v37, v39, v37
	v_cmp_lt_u32_e64 s[0:1], 1, v38
	v_cmp_lt_u32_e64 s[2:3], 3, v38
	v_mov_b32_dpp v39, v37 row_shr:2 row_mask:0xf bank_mask:0xf
	v_cndmask_b32_e64 v39, 0, v39, s[0:1]
	v_add_u32_e32 v37, v37, v39
	v_cmp_lt_u32_e64 s[4:5], 7, v38
	s_nop 0
	v_mov_b32_dpp v39, v37 row_shr:4 row_mask:0xf bank_mask:0xf
	v_cndmask_b32_e64 v39, 0, v39, s[2:3]
	v_add_u32_e32 v37, v37, v39
	s_nop 1
	v_mov_b32_dpp v39, v37 row_shr:8 row_mask:0xf bank_mask:0xf
	v_cndmask_b32_e64 v38, 0, v39, s[4:5]
	v_add_u32_e32 v37, v37, v38
	v_bfe_i32 v39, v3, 4, 1
	s_nop 0
	v_mov_b32_dpp v38, v37 row_bcast:15 row_mask:0xf bank_mask:0xf
	v_and_b32_e32 v38, v39, v38
	v_add_u32_e32 v37, v37, v38
	v_and_b32_e32 v39, 63, v2
	s_nop 0
	v_mov_b32_dpp v38, v37 row_bcast:31 row_mask:0xf bank_mask:0xf
	v_cndmask_b32_e64 v38, 0, v38, s[8:9]
	v_add_u32_e32 v37, v37, v38
	v_lshrrev_b32_e32 v38, 6, v2
	v_cmp_eq_u32_e64 s[8:9], 63, v39
	s_and_saveexec_b64 s[10:11], s[8:9]
	s_cbranch_execz .LBB2628_69
; %bb.68:
	v_lshlrev_b32_e32 v39, 2, v38
	ds_write_b32 v39, v37
.LBB2628_69:
	s_or_b64 exec, exec, s[10:11]
	v_cmp_gt_u32_e64 s[8:9], 16, v2
	s_waitcnt lgkmcnt(0)
	s_barrier
	s_and_saveexec_b64 s[10:11], s[8:9]
	s_cbranch_execz .LBB2628_71
; %bb.70:
	v_lshlrev_b32_e32 v39, 2, v2
	ds_read_b32 v40, v39
	s_waitcnt lgkmcnt(0)
	s_nop 0
	v_mov_b32_dpp v41, v40 row_shr:1 row_mask:0xf bank_mask:0xf
	v_cndmask_b32_e64 v41, v41, 0, vcc
	v_add_u32_e32 v40, v41, v40
	s_nop 1
	v_mov_b32_dpp v41, v40 row_shr:2 row_mask:0xf bank_mask:0xf
	v_cndmask_b32_e64 v41, 0, v41, s[0:1]
	v_add_u32_e32 v40, v40, v41
	s_nop 1
	v_mov_b32_dpp v41, v40 row_shr:4 row_mask:0xf bank_mask:0xf
	v_cndmask_b32_e64 v41, 0, v41, s[2:3]
	;; [unrolled: 4-line block ×3, first 2 shown]
	v_add_u32_e32 v40, v40, v41
	ds_write_b32 v39, v40
.LBB2628_71:
	s_or_b64 exec, exec, s[10:11]
	v_cmp_lt_u32_e32 vcc, 63, v2
	v_mov_b32_e32 v39, 0
	s_waitcnt lgkmcnt(0)
	s_barrier
	s_and_saveexec_b64 s[0:1], vcc
	s_cbranch_execz .LBB2628_73
; %bb.72:
	v_lshl_add_u32 v38, v38, 2, -4
	ds_read_b32 v39, v38
.LBB2628_73:
	s_or_b64 exec, exec, s[0:1]
	v_add_u32_e32 v38, -1, v3
	v_and_b32_e32 v40, 64, v3
	v_cmp_lt_i32_e32 vcc, v38, v40
	v_cndmask_b32_e32 v38, v38, v3, vcc
	s_waitcnt lgkmcnt(0)
	v_add_u32_e32 v37, v39, v37
	v_lshlrev_b32_e32 v38, 2, v38
	ds_bpermute_b32 v37, v38, v37
	v_cmp_eq_u32_e32 vcc, 0, v3
	s_movk_i32 s2, 0xff
	s_movk_i32 s0, 0x100
	v_cmp_gt_u32_e64 s[0:1], s0, v2
	s_waitcnt lgkmcnt(0)
	v_cndmask_b32_e32 v3, v37, v39, vcc
	v_cmp_ne_u32_e32 vcc, 0, v2
	v_cndmask_b32_e32 v3, 0, v3, vcc
	v_add_u32_e32 v16, v3, v16
	v_add_u32_e32 v17, v16, v17
	;; [unrolled: 1-line block ×4, first 2 shown]
	ds_write2_b32 v18, v3, v16 offset0:16 offset1:17
	ds_write2_b32 v36, v17, v12 offset0:2 offset1:3
	ds_write_b32 v36, v13 offset:16
	s_waitcnt lgkmcnt(0)
	s_barrier
	ds_read_b32 v38, v19 offset:64
	ds_read_b32 v36, v20 offset:64
	;; [unrolled: 1-line block ×6, first 2 shown]
	v_cmp_lt_u32_e32 vcc, s2, v2
	v_pk_mov_b32 v[12:13], 0, 0
                                        ; implicit-def: $vgpr29
	s_and_saveexec_b64 s[4:5], s[0:1]
	s_cbranch_execz .LBB2628_77
; %bb.74:
	v_mul_u32_u24_e32 v3, 17, v2
	v_lshlrev_b32_e32 v13, 2, v3
	ds_read_b32 v12, v13 offset:64
	v_cmp_ne_u32_e64 s[2:3], s2, v2
	v_mov_b32_e32 v3, 0x1800
	s_and_saveexec_b64 s[8:9], s[2:3]
	s_cbranch_execz .LBB2628_76
; %bb.75:
	ds_read_b32 v3, v13 offset:132
.LBB2628_76:
	s_or_b64 exec, exec, s[8:9]
	s_waitcnt lgkmcnt(0)
	v_sub_u32_e32 v29, v3, v12
	v_mov_b32_e32 v13, 0
.LBB2628_77:
	s_or_b64 exec, exec, s[4:5]
	s_waitcnt lgkmcnt(0)
	s_barrier
	s_and_saveexec_b64 s[2:3], vcc
	s_xor_b64 s[2:3], exec, s[2:3]
; %bb.78:
	v_mov_b32_e32 v3, 0
; %bb.79:
	s_andn2_saveexec_b64 s[2:3], s[2:3]
	s_cbranch_execz .LBB2628_89
; %bb.80:
	v_lshl_or_b32 v16, s6, 8, v2
	v_mov_b32_e32 v17, 0
	v_lshlrev_b64 v[18:19], 2, v[16:17]
	v_mov_b32_e32 v3, s25
	v_add_co_u32_e32 v18, vcc, s24, v18
	v_addc_co_u32_e32 v19, vcc, v3, v19, vcc
	v_or_b32_e32 v16, 2.0, v29
	s_mov_b64 s[4:5], 0
	s_brev_b32 s18, 1
	s_mov_b32 s19, s6
	v_mov_b32_e32 v40, 0
	global_store_dword v[18:19], v16, off
                                        ; implicit-def: $sgpr8_sgpr9
	s_branch .LBB2628_83
.LBB2628_81:                            ;   in Loop: Header=BB2628_83 Depth=1
	s_or_b64 exec, exec, s[10:11]
.LBB2628_82:                            ;   in Loop: Header=BB2628_83 Depth=1
	s_or_b64 exec, exec, s[8:9]
	v_and_b32_e32 v20, 0x3fffffff, v41
	v_add_u32_e32 v40, v20, v40
	v_cmp_eq_u32_e64 s[8:9], s18, v16
	s_and_b64 s[10:11], exec, s[8:9]
	s_or_b64 s[4:5], s[10:11], s[4:5]
	s_andn2_b64 exec, exec, s[4:5]
	s_cbranch_execz .LBB2628_88
.LBB2628_83:                            ; =>This Loop Header: Depth=1
                                        ;     Child Loop BB2628_86 Depth 2
	s_or_b64 s[8:9], s[8:9], exec
	s_cmp_eq_u32 s19, 0
	s_cbranch_scc1 .LBB2628_87
; %bb.84:                               ;   in Loop: Header=BB2628_83 Depth=1
	s_add_i32 s19, s19, -1
	v_lshl_or_b32 v16, s19, 8, v2
	v_lshlrev_b64 v[20:21], 2, v[16:17]
	v_add_co_u32_e32 v20, vcc, s24, v20
	v_addc_co_u32_e32 v21, vcc, v3, v21, vcc
	global_load_dword v41, v[20:21], off glc
	s_waitcnt vmcnt(0)
	v_and_b32_e32 v16, -2.0, v41
	v_cmp_eq_u32_e32 vcc, 0, v16
	s_and_saveexec_b64 s[8:9], vcc
	s_cbranch_execz .LBB2628_82
; %bb.85:                               ;   in Loop: Header=BB2628_83 Depth=1
	s_mov_b64 s[10:11], 0
.LBB2628_86:                            ;   Parent Loop BB2628_83 Depth=1
                                        ; =>  This Inner Loop Header: Depth=2
	global_load_dword v41, v[20:21], off glc
	s_waitcnt vmcnt(0)
	v_and_b32_e32 v16, -2.0, v41
	v_cmp_ne_u32_e32 vcc, 0, v16
	s_or_b64 s[10:11], vcc, s[10:11]
	s_andn2_b64 exec, exec, s[10:11]
	s_cbranch_execnz .LBB2628_86
	s_branch .LBB2628_81
.LBB2628_87:                            ;   in Loop: Header=BB2628_83 Depth=1
                                        ; implicit-def: $sgpr19
	s_and_b64 s[10:11], exec, s[8:9]
	s_or_b64 s[4:5], s[10:11], s[4:5]
	s_andn2_b64 exec, exec, s[4:5]
	s_cbranch_execnz .LBB2628_83
.LBB2628_88:
	s_or_b64 exec, exec, s[4:5]
	v_add_u32_e32 v3, v40, v29
	v_or_b32_e32 v3, 0x80000000, v3
	global_store_dword v[18:19], v3, off
	v_lshlrev_b32_e32 v18, 3, v2
	global_load_dwordx2 v[16:17], v18, s[12:13]
	v_sub_co_u32_e32 v19, vcc, v40, v12
	v_subb_co_u32_e32 v20, vcc, 0, v13, vcc
	v_mov_b32_e32 v3, 0
	s_waitcnt vmcnt(0)
	v_add_co_u32_e32 v16, vcc, v19, v16
	v_addc_co_u32_e32 v17, vcc, v20, v17, vcc
	ds_write_b64 v18, v[16:17]
.LBB2628_89:
	s_or_b64 exec, exec, s[2:3]
	v_lshlrev_b64 v[16:17], 3, v[2:3]
	v_lshlrev_b32_e32 v19, 3, v2
	v_add3_u32 v23, v24, v36, v23
	v_mov_b32_e32 v24, s23
	v_add_co_u32_e32 v16, vcc, s22, v16
	s_mov_b32 s8, 0
	v_add_u32_e32 v18, v38, v22
	v_add_u32_e32 v20, 0x800, v19
	v_add3_u32 v21, v35, v39, v33
	v_add3_u32 v22, v32, v34, v31
	;; [unrolled: 1-line block ×4, first 2 shown]
	v_addc_co_u32_e32 v17, vcc, v24, v17, vcc
	s_brev_b32 s9, 1
	v_bfrev_b32_e32 v24, -2
	s_mov_b32 s10, s8
.LBB2628_90:                            ; =>This Inner Loop Header: Depth=1
	v_add_u32_e32 v26, s10, v18
	v_add_u32_e32 v30, s10, v25
	;; [unrolled: 1-line block ×6, first 2 shown]
	v_min_u32_e32 v26, 0x800, v26
	v_min_u32_e32 v30, 0x800, v30
	;; [unrolled: 1-line block ×6, first 2 shown]
	v_lshlrev_b32_e32 v26, 3, v26
	v_lshlrev_b32_e32 v30, 3, v30
	;; [unrolled: 1-line block ×6, first 2 shown]
	ds_write_b64 v26, v[0:1] offset:2048
	ds_write_b64 v28, v[4:5] offset:2048
	;; [unrolled: 1-line block ×6, first 2 shown]
	s_waitcnt lgkmcnt(0)
	s_barrier
	ds_read_b64 v[30:31], v19 offset:2048
	ds_read_b64 v[32:33], v20 offset:8192
	s_addk_i32 s10, 0xf800
	s_cmpk_lg_i32 s10, 0xe800
	s_waitcnt lgkmcnt(1)
	v_cmp_ne_u64_e32 vcc, s[8:9], v[30:31]
	v_cmp_gt_i64_e64 s[2:3], 0, v[30:31]
	v_cndmask_b32_e32 v35, v24, v31, vcc
	v_cndmask_b32_e64 v26, v24, 0, s[2:3]
	s_waitcnt lgkmcnt(0)
	v_cmp_ne_u64_e64 s[2:3], s[8:9], v[32:33]
	v_ashrrev_i32_e32 v39, 31, v33
	v_cndmask_b32_e32 v34, -1, v30, vcc
	v_ashrrev_i32_e32 v28, 31, v31
	v_cndmask_b32_e64 v37, v24, v33, s[2:3]
	v_xor_b32_e32 v31, v26, v31
	v_cndmask_b32_e64 v36, -1, v32, s[2:3]
	v_not_b32_e32 v26, v39
	v_lshrrev_b64 v[34:35], s16, v[34:35]
	v_cmp_gt_i64_e64 s[4:5], 0, v[32:33]
	v_not_b32_e32 v28, v28
	v_lshrrev_b64 v[36:37], s16, v[36:37]
	v_xor_b32_e32 v32, v26, v32
	v_and_b32_e32 v26, s17, v34
	v_xor_b32_e32 v30, v28, v30
	v_and_b32_e32 v28, s17, v36
	v_lshlrev_b32_e32 v26, 3, v26
	v_lshlrev_b32_e32 v28, 3, v28
	ds_read_b64 v[34:35], v26
	ds_read_b64 v[36:37], v28
	v_cndmask_b32_e64 v38, v24, 0, s[4:5]
	v_xor_b32_e32 v33, v38, v33
	s_waitcnt lgkmcnt(1)
	v_lshlrev_b64 v[34:35], 3, v[34:35]
	v_add_co_u32_e32 v34, vcc, v16, v34
	s_waitcnt lgkmcnt(0)
	v_lshlrev_b64 v[36:37], 3, v[36:37]
	v_addc_co_u32_e32 v35, vcc, v17, v35, vcc
	v_add_co_u32_e32 v26, vcc, v16, v36
	v_addc_co_u32_e32 v28, vcc, v17, v37, vcc
	global_store_dwordx2 v[34:35], v[30:31], off
	v_add_co_u32_e32 v30, vcc, 0x2000, v26
	v_addc_co_u32_e32 v31, vcc, 0, v28, vcc
	v_add_co_u32_e32 v16, vcc, 0x4000, v16
	v_addc_co_u32_e32 v17, vcc, 0, v17, vcc
	global_store_dwordx2 v[30:31], v[32:33], off
	s_barrier
	s_cbranch_scc1 .LBB2628_90
; %bb.91:
	s_add_i32 s7, s7, -1
	s_cmp_eq_u32 s7, s6
	s_cselect_b64 s[2:3], -1, 0
	s_and_b64 s[0:1], s[0:1], s[2:3]
.LBB2628_92:
	s_and_saveexec_b64 s[2:3], s[0:1]
	s_cbranch_execnz .LBB2628_94
; %bb.93:
	s_endpgm
.LBB2628_94:
	v_lshlrev_b32_e32 v6, 3, v2
	v_lshlrev_b64 v[0:1], 3, v[2:3]
	ds_read_b64 v[2:3], v6
	v_add_co_u32_e32 v4, vcc, v12, v29
	v_addc_co_u32_e32 v5, vcc, 0, v13, vcc
	v_mov_b32_e32 v7, s15
	v_add_co_u32_e32 v0, vcc, s14, v0
	v_addc_co_u32_e32 v1, vcc, v7, v1, vcc
	s_waitcnt lgkmcnt(0)
	v_add_co_u32_e32 v2, vcc, v4, v2
	v_addc_co_u32_e32 v3, vcc, v5, v3, vcc
	global_store_dwordx2 v[0:1], v[2:3], off
	s_endpgm
	.section	.rodata,"a",@progbits
	.p2align	6, 0x0
	.amdhsa_kernel _ZN7rocprim17ROCPRIM_400000_NS6detail17trampoline_kernelINS0_14default_configENS1_35radix_sort_onesweep_config_selectorIdNS0_10empty_typeEEEZZNS1_29radix_sort_onesweep_iterationIS3_Lb1EPdS8_PS5_S9_mNS0_19identity_decomposerENS1_16block_id_wrapperIjLb0EEEEE10hipError_tT1_PNSt15iterator_traitsISE_E10value_typeET2_T3_PNSF_ISK_E10value_typeET4_T5_PSP_SQ_PNS1_23onesweep_lookback_stateEbbT6_jjT7_P12ihipStream_tbENKUlT_T0_SE_SJ_E_clIS8_S8_S9_S9_EEDaSX_SY_SE_SJ_EUlSX_E_NS1_11comp_targetILNS1_3genE4ELNS1_11target_archE910ELNS1_3gpuE8ELNS1_3repE0EEENS1_47radix_sort_onesweep_sort_config_static_selectorELNS0_4arch9wavefront6targetE1EEEvSE_
		.amdhsa_group_segment_fixed_size 20552
		.amdhsa_private_segment_fixed_size 0
		.amdhsa_kernarg_size 344
		.amdhsa_user_sgpr_count 6
		.amdhsa_user_sgpr_private_segment_buffer 1
		.amdhsa_user_sgpr_dispatch_ptr 0
		.amdhsa_user_sgpr_queue_ptr 0
		.amdhsa_user_sgpr_kernarg_segment_ptr 1
		.amdhsa_user_sgpr_dispatch_id 0
		.amdhsa_user_sgpr_flat_scratch_init 0
		.amdhsa_user_sgpr_kernarg_preload_length 0
		.amdhsa_user_sgpr_kernarg_preload_offset 0
		.amdhsa_user_sgpr_private_segment_size 0
		.amdhsa_uses_dynamic_stack 0
		.amdhsa_system_sgpr_private_segment_wavefront_offset 0
		.amdhsa_system_sgpr_workgroup_id_x 1
		.amdhsa_system_sgpr_workgroup_id_y 0
		.amdhsa_system_sgpr_workgroup_id_z 0
		.amdhsa_system_sgpr_workgroup_info 0
		.amdhsa_system_vgpr_workitem_id 2
		.amdhsa_next_free_vgpr 44
		.amdhsa_next_free_sgpr 31
		.amdhsa_accum_offset 44
		.amdhsa_reserve_vcc 1
		.amdhsa_reserve_flat_scratch 0
		.amdhsa_float_round_mode_32 0
		.amdhsa_float_round_mode_16_64 0
		.amdhsa_float_denorm_mode_32 3
		.amdhsa_float_denorm_mode_16_64 3
		.amdhsa_dx10_clamp 1
		.amdhsa_ieee_mode 1
		.amdhsa_fp16_overflow 0
		.amdhsa_tg_split 0
		.amdhsa_exception_fp_ieee_invalid_op 0
		.amdhsa_exception_fp_denorm_src 0
		.amdhsa_exception_fp_ieee_div_zero 0
		.amdhsa_exception_fp_ieee_overflow 0
		.amdhsa_exception_fp_ieee_underflow 0
		.amdhsa_exception_fp_ieee_inexact 0
		.amdhsa_exception_int_div_zero 0
	.end_amdhsa_kernel
	.section	.text._ZN7rocprim17ROCPRIM_400000_NS6detail17trampoline_kernelINS0_14default_configENS1_35radix_sort_onesweep_config_selectorIdNS0_10empty_typeEEEZZNS1_29radix_sort_onesweep_iterationIS3_Lb1EPdS8_PS5_S9_mNS0_19identity_decomposerENS1_16block_id_wrapperIjLb0EEEEE10hipError_tT1_PNSt15iterator_traitsISE_E10value_typeET2_T3_PNSF_ISK_E10value_typeET4_T5_PSP_SQ_PNS1_23onesweep_lookback_stateEbbT6_jjT7_P12ihipStream_tbENKUlT_T0_SE_SJ_E_clIS8_S8_S9_S9_EEDaSX_SY_SE_SJ_EUlSX_E_NS1_11comp_targetILNS1_3genE4ELNS1_11target_archE910ELNS1_3gpuE8ELNS1_3repE0EEENS1_47radix_sort_onesweep_sort_config_static_selectorELNS0_4arch9wavefront6targetE1EEEvSE_,"axG",@progbits,_ZN7rocprim17ROCPRIM_400000_NS6detail17trampoline_kernelINS0_14default_configENS1_35radix_sort_onesweep_config_selectorIdNS0_10empty_typeEEEZZNS1_29radix_sort_onesweep_iterationIS3_Lb1EPdS8_PS5_S9_mNS0_19identity_decomposerENS1_16block_id_wrapperIjLb0EEEEE10hipError_tT1_PNSt15iterator_traitsISE_E10value_typeET2_T3_PNSF_ISK_E10value_typeET4_T5_PSP_SQ_PNS1_23onesweep_lookback_stateEbbT6_jjT7_P12ihipStream_tbENKUlT_T0_SE_SJ_E_clIS8_S8_S9_S9_EEDaSX_SY_SE_SJ_EUlSX_E_NS1_11comp_targetILNS1_3genE4ELNS1_11target_archE910ELNS1_3gpuE8ELNS1_3repE0EEENS1_47radix_sort_onesweep_sort_config_static_selectorELNS0_4arch9wavefront6targetE1EEEvSE_,comdat
.Lfunc_end2628:
	.size	_ZN7rocprim17ROCPRIM_400000_NS6detail17trampoline_kernelINS0_14default_configENS1_35radix_sort_onesweep_config_selectorIdNS0_10empty_typeEEEZZNS1_29radix_sort_onesweep_iterationIS3_Lb1EPdS8_PS5_S9_mNS0_19identity_decomposerENS1_16block_id_wrapperIjLb0EEEEE10hipError_tT1_PNSt15iterator_traitsISE_E10value_typeET2_T3_PNSF_ISK_E10value_typeET4_T5_PSP_SQ_PNS1_23onesweep_lookback_stateEbbT6_jjT7_P12ihipStream_tbENKUlT_T0_SE_SJ_E_clIS8_S8_S9_S9_EEDaSX_SY_SE_SJ_EUlSX_E_NS1_11comp_targetILNS1_3genE4ELNS1_11target_archE910ELNS1_3gpuE8ELNS1_3repE0EEENS1_47radix_sort_onesweep_sort_config_static_selectorELNS0_4arch9wavefront6targetE1EEEvSE_, .Lfunc_end2628-_ZN7rocprim17ROCPRIM_400000_NS6detail17trampoline_kernelINS0_14default_configENS1_35radix_sort_onesweep_config_selectorIdNS0_10empty_typeEEEZZNS1_29radix_sort_onesweep_iterationIS3_Lb1EPdS8_PS5_S9_mNS0_19identity_decomposerENS1_16block_id_wrapperIjLb0EEEEE10hipError_tT1_PNSt15iterator_traitsISE_E10value_typeET2_T3_PNSF_ISK_E10value_typeET4_T5_PSP_SQ_PNS1_23onesweep_lookback_stateEbbT6_jjT7_P12ihipStream_tbENKUlT_T0_SE_SJ_E_clIS8_S8_S9_S9_EEDaSX_SY_SE_SJ_EUlSX_E_NS1_11comp_targetILNS1_3genE4ELNS1_11target_archE910ELNS1_3gpuE8ELNS1_3repE0EEENS1_47radix_sort_onesweep_sort_config_static_selectorELNS0_4arch9wavefront6targetE1EEEvSE_
                                        ; -- End function
	.section	.AMDGPU.csdata,"",@progbits
; Kernel info:
; codeLenInByte = 9192
; NumSgprs: 35
; NumVgprs: 44
; NumAgprs: 0
; TotalNumVgprs: 44
; ScratchSize: 0
; MemoryBound: 0
; FloatMode: 240
; IeeeMode: 1
; LDSByteSize: 20552 bytes/workgroup (compile time only)
; SGPRBlocks: 4
; VGPRBlocks: 5
; NumSGPRsForWavesPerEU: 35
; NumVGPRsForWavesPerEU: 44
; AccumOffset: 44
; Occupancy: 8
; WaveLimiterHint : 1
; COMPUTE_PGM_RSRC2:SCRATCH_EN: 0
; COMPUTE_PGM_RSRC2:USER_SGPR: 6
; COMPUTE_PGM_RSRC2:TRAP_HANDLER: 0
; COMPUTE_PGM_RSRC2:TGID_X_EN: 1
; COMPUTE_PGM_RSRC2:TGID_Y_EN: 0
; COMPUTE_PGM_RSRC2:TGID_Z_EN: 0
; COMPUTE_PGM_RSRC2:TIDIG_COMP_CNT: 2
; COMPUTE_PGM_RSRC3_GFX90A:ACCUM_OFFSET: 10
; COMPUTE_PGM_RSRC3_GFX90A:TG_SPLIT: 0
	.section	.text._ZN7rocprim17ROCPRIM_400000_NS6detail17trampoline_kernelINS0_14default_configENS1_35radix_sort_onesweep_config_selectorIdNS0_10empty_typeEEEZZNS1_29radix_sort_onesweep_iterationIS3_Lb1EPdS8_PS5_S9_mNS0_19identity_decomposerENS1_16block_id_wrapperIjLb0EEEEE10hipError_tT1_PNSt15iterator_traitsISE_E10value_typeET2_T3_PNSF_ISK_E10value_typeET4_T5_PSP_SQ_PNS1_23onesweep_lookback_stateEbbT6_jjT7_P12ihipStream_tbENKUlT_T0_SE_SJ_E_clIS8_S8_S9_S9_EEDaSX_SY_SE_SJ_EUlSX_E_NS1_11comp_targetILNS1_3genE3ELNS1_11target_archE908ELNS1_3gpuE7ELNS1_3repE0EEENS1_47radix_sort_onesweep_sort_config_static_selectorELNS0_4arch9wavefront6targetE1EEEvSE_,"axG",@progbits,_ZN7rocprim17ROCPRIM_400000_NS6detail17trampoline_kernelINS0_14default_configENS1_35radix_sort_onesweep_config_selectorIdNS0_10empty_typeEEEZZNS1_29radix_sort_onesweep_iterationIS3_Lb1EPdS8_PS5_S9_mNS0_19identity_decomposerENS1_16block_id_wrapperIjLb0EEEEE10hipError_tT1_PNSt15iterator_traitsISE_E10value_typeET2_T3_PNSF_ISK_E10value_typeET4_T5_PSP_SQ_PNS1_23onesweep_lookback_stateEbbT6_jjT7_P12ihipStream_tbENKUlT_T0_SE_SJ_E_clIS8_S8_S9_S9_EEDaSX_SY_SE_SJ_EUlSX_E_NS1_11comp_targetILNS1_3genE3ELNS1_11target_archE908ELNS1_3gpuE7ELNS1_3repE0EEENS1_47radix_sort_onesweep_sort_config_static_selectorELNS0_4arch9wavefront6targetE1EEEvSE_,comdat
	.protected	_ZN7rocprim17ROCPRIM_400000_NS6detail17trampoline_kernelINS0_14default_configENS1_35radix_sort_onesweep_config_selectorIdNS0_10empty_typeEEEZZNS1_29radix_sort_onesweep_iterationIS3_Lb1EPdS8_PS5_S9_mNS0_19identity_decomposerENS1_16block_id_wrapperIjLb0EEEEE10hipError_tT1_PNSt15iterator_traitsISE_E10value_typeET2_T3_PNSF_ISK_E10value_typeET4_T5_PSP_SQ_PNS1_23onesweep_lookback_stateEbbT6_jjT7_P12ihipStream_tbENKUlT_T0_SE_SJ_E_clIS8_S8_S9_S9_EEDaSX_SY_SE_SJ_EUlSX_E_NS1_11comp_targetILNS1_3genE3ELNS1_11target_archE908ELNS1_3gpuE7ELNS1_3repE0EEENS1_47radix_sort_onesweep_sort_config_static_selectorELNS0_4arch9wavefront6targetE1EEEvSE_ ; -- Begin function _ZN7rocprim17ROCPRIM_400000_NS6detail17trampoline_kernelINS0_14default_configENS1_35radix_sort_onesweep_config_selectorIdNS0_10empty_typeEEEZZNS1_29radix_sort_onesweep_iterationIS3_Lb1EPdS8_PS5_S9_mNS0_19identity_decomposerENS1_16block_id_wrapperIjLb0EEEEE10hipError_tT1_PNSt15iterator_traitsISE_E10value_typeET2_T3_PNSF_ISK_E10value_typeET4_T5_PSP_SQ_PNS1_23onesweep_lookback_stateEbbT6_jjT7_P12ihipStream_tbENKUlT_T0_SE_SJ_E_clIS8_S8_S9_S9_EEDaSX_SY_SE_SJ_EUlSX_E_NS1_11comp_targetILNS1_3genE3ELNS1_11target_archE908ELNS1_3gpuE7ELNS1_3repE0EEENS1_47radix_sort_onesweep_sort_config_static_selectorELNS0_4arch9wavefront6targetE1EEEvSE_
	.globl	_ZN7rocprim17ROCPRIM_400000_NS6detail17trampoline_kernelINS0_14default_configENS1_35radix_sort_onesweep_config_selectorIdNS0_10empty_typeEEEZZNS1_29radix_sort_onesweep_iterationIS3_Lb1EPdS8_PS5_S9_mNS0_19identity_decomposerENS1_16block_id_wrapperIjLb0EEEEE10hipError_tT1_PNSt15iterator_traitsISE_E10value_typeET2_T3_PNSF_ISK_E10value_typeET4_T5_PSP_SQ_PNS1_23onesweep_lookback_stateEbbT6_jjT7_P12ihipStream_tbENKUlT_T0_SE_SJ_E_clIS8_S8_S9_S9_EEDaSX_SY_SE_SJ_EUlSX_E_NS1_11comp_targetILNS1_3genE3ELNS1_11target_archE908ELNS1_3gpuE7ELNS1_3repE0EEENS1_47radix_sort_onesweep_sort_config_static_selectorELNS0_4arch9wavefront6targetE1EEEvSE_
	.p2align	8
	.type	_ZN7rocprim17ROCPRIM_400000_NS6detail17trampoline_kernelINS0_14default_configENS1_35radix_sort_onesweep_config_selectorIdNS0_10empty_typeEEEZZNS1_29radix_sort_onesweep_iterationIS3_Lb1EPdS8_PS5_S9_mNS0_19identity_decomposerENS1_16block_id_wrapperIjLb0EEEEE10hipError_tT1_PNSt15iterator_traitsISE_E10value_typeET2_T3_PNSF_ISK_E10value_typeET4_T5_PSP_SQ_PNS1_23onesweep_lookback_stateEbbT6_jjT7_P12ihipStream_tbENKUlT_T0_SE_SJ_E_clIS8_S8_S9_S9_EEDaSX_SY_SE_SJ_EUlSX_E_NS1_11comp_targetILNS1_3genE3ELNS1_11target_archE908ELNS1_3gpuE7ELNS1_3repE0EEENS1_47radix_sort_onesweep_sort_config_static_selectorELNS0_4arch9wavefront6targetE1EEEvSE_,@function
_ZN7rocprim17ROCPRIM_400000_NS6detail17trampoline_kernelINS0_14default_configENS1_35radix_sort_onesweep_config_selectorIdNS0_10empty_typeEEEZZNS1_29radix_sort_onesweep_iterationIS3_Lb1EPdS8_PS5_S9_mNS0_19identity_decomposerENS1_16block_id_wrapperIjLb0EEEEE10hipError_tT1_PNSt15iterator_traitsISE_E10value_typeET2_T3_PNSF_ISK_E10value_typeET4_T5_PSP_SQ_PNS1_23onesweep_lookback_stateEbbT6_jjT7_P12ihipStream_tbENKUlT_T0_SE_SJ_E_clIS8_S8_S9_S9_EEDaSX_SY_SE_SJ_EUlSX_E_NS1_11comp_targetILNS1_3genE3ELNS1_11target_archE908ELNS1_3gpuE7ELNS1_3repE0EEENS1_47radix_sort_onesweep_sort_config_static_selectorELNS0_4arch9wavefront6targetE1EEEvSE_: ; @_ZN7rocprim17ROCPRIM_400000_NS6detail17trampoline_kernelINS0_14default_configENS1_35radix_sort_onesweep_config_selectorIdNS0_10empty_typeEEEZZNS1_29radix_sort_onesweep_iterationIS3_Lb1EPdS8_PS5_S9_mNS0_19identity_decomposerENS1_16block_id_wrapperIjLb0EEEEE10hipError_tT1_PNSt15iterator_traitsISE_E10value_typeET2_T3_PNSF_ISK_E10value_typeET4_T5_PSP_SQ_PNS1_23onesweep_lookback_stateEbbT6_jjT7_P12ihipStream_tbENKUlT_T0_SE_SJ_E_clIS8_S8_S9_S9_EEDaSX_SY_SE_SJ_EUlSX_E_NS1_11comp_targetILNS1_3genE3ELNS1_11target_archE908ELNS1_3gpuE7ELNS1_3repE0EEENS1_47radix_sort_onesweep_sort_config_static_selectorELNS0_4arch9wavefront6targetE1EEEvSE_
; %bb.0:
	.section	.rodata,"a",@progbits
	.p2align	6, 0x0
	.amdhsa_kernel _ZN7rocprim17ROCPRIM_400000_NS6detail17trampoline_kernelINS0_14default_configENS1_35radix_sort_onesweep_config_selectorIdNS0_10empty_typeEEEZZNS1_29radix_sort_onesweep_iterationIS3_Lb1EPdS8_PS5_S9_mNS0_19identity_decomposerENS1_16block_id_wrapperIjLb0EEEEE10hipError_tT1_PNSt15iterator_traitsISE_E10value_typeET2_T3_PNSF_ISK_E10value_typeET4_T5_PSP_SQ_PNS1_23onesweep_lookback_stateEbbT6_jjT7_P12ihipStream_tbENKUlT_T0_SE_SJ_E_clIS8_S8_S9_S9_EEDaSX_SY_SE_SJ_EUlSX_E_NS1_11comp_targetILNS1_3genE3ELNS1_11target_archE908ELNS1_3gpuE7ELNS1_3repE0EEENS1_47radix_sort_onesweep_sort_config_static_selectorELNS0_4arch9wavefront6targetE1EEEvSE_
		.amdhsa_group_segment_fixed_size 0
		.amdhsa_private_segment_fixed_size 0
		.amdhsa_kernarg_size 88
		.amdhsa_user_sgpr_count 6
		.amdhsa_user_sgpr_private_segment_buffer 1
		.amdhsa_user_sgpr_dispatch_ptr 0
		.amdhsa_user_sgpr_queue_ptr 0
		.amdhsa_user_sgpr_kernarg_segment_ptr 1
		.amdhsa_user_sgpr_dispatch_id 0
		.amdhsa_user_sgpr_flat_scratch_init 0
		.amdhsa_user_sgpr_kernarg_preload_length 0
		.amdhsa_user_sgpr_kernarg_preload_offset 0
		.amdhsa_user_sgpr_private_segment_size 0
		.amdhsa_uses_dynamic_stack 0
		.amdhsa_system_sgpr_private_segment_wavefront_offset 0
		.amdhsa_system_sgpr_workgroup_id_x 1
		.amdhsa_system_sgpr_workgroup_id_y 0
		.amdhsa_system_sgpr_workgroup_id_z 0
		.amdhsa_system_sgpr_workgroup_info 0
		.amdhsa_system_vgpr_workitem_id 0
		.amdhsa_next_free_vgpr 1
		.amdhsa_next_free_sgpr 0
		.amdhsa_accum_offset 4
		.amdhsa_reserve_vcc 0
		.amdhsa_reserve_flat_scratch 0
		.amdhsa_float_round_mode_32 0
		.amdhsa_float_round_mode_16_64 0
		.amdhsa_float_denorm_mode_32 3
		.amdhsa_float_denorm_mode_16_64 3
		.amdhsa_dx10_clamp 1
		.amdhsa_ieee_mode 1
		.amdhsa_fp16_overflow 0
		.amdhsa_tg_split 0
		.amdhsa_exception_fp_ieee_invalid_op 0
		.amdhsa_exception_fp_denorm_src 0
		.amdhsa_exception_fp_ieee_div_zero 0
		.amdhsa_exception_fp_ieee_overflow 0
		.amdhsa_exception_fp_ieee_underflow 0
		.amdhsa_exception_fp_ieee_inexact 0
		.amdhsa_exception_int_div_zero 0
	.end_amdhsa_kernel
	.section	.text._ZN7rocprim17ROCPRIM_400000_NS6detail17trampoline_kernelINS0_14default_configENS1_35radix_sort_onesweep_config_selectorIdNS0_10empty_typeEEEZZNS1_29radix_sort_onesweep_iterationIS3_Lb1EPdS8_PS5_S9_mNS0_19identity_decomposerENS1_16block_id_wrapperIjLb0EEEEE10hipError_tT1_PNSt15iterator_traitsISE_E10value_typeET2_T3_PNSF_ISK_E10value_typeET4_T5_PSP_SQ_PNS1_23onesweep_lookback_stateEbbT6_jjT7_P12ihipStream_tbENKUlT_T0_SE_SJ_E_clIS8_S8_S9_S9_EEDaSX_SY_SE_SJ_EUlSX_E_NS1_11comp_targetILNS1_3genE3ELNS1_11target_archE908ELNS1_3gpuE7ELNS1_3repE0EEENS1_47radix_sort_onesweep_sort_config_static_selectorELNS0_4arch9wavefront6targetE1EEEvSE_,"axG",@progbits,_ZN7rocprim17ROCPRIM_400000_NS6detail17trampoline_kernelINS0_14default_configENS1_35radix_sort_onesweep_config_selectorIdNS0_10empty_typeEEEZZNS1_29radix_sort_onesweep_iterationIS3_Lb1EPdS8_PS5_S9_mNS0_19identity_decomposerENS1_16block_id_wrapperIjLb0EEEEE10hipError_tT1_PNSt15iterator_traitsISE_E10value_typeET2_T3_PNSF_ISK_E10value_typeET4_T5_PSP_SQ_PNS1_23onesweep_lookback_stateEbbT6_jjT7_P12ihipStream_tbENKUlT_T0_SE_SJ_E_clIS8_S8_S9_S9_EEDaSX_SY_SE_SJ_EUlSX_E_NS1_11comp_targetILNS1_3genE3ELNS1_11target_archE908ELNS1_3gpuE7ELNS1_3repE0EEENS1_47radix_sort_onesweep_sort_config_static_selectorELNS0_4arch9wavefront6targetE1EEEvSE_,comdat
.Lfunc_end2629:
	.size	_ZN7rocprim17ROCPRIM_400000_NS6detail17trampoline_kernelINS0_14default_configENS1_35radix_sort_onesweep_config_selectorIdNS0_10empty_typeEEEZZNS1_29radix_sort_onesweep_iterationIS3_Lb1EPdS8_PS5_S9_mNS0_19identity_decomposerENS1_16block_id_wrapperIjLb0EEEEE10hipError_tT1_PNSt15iterator_traitsISE_E10value_typeET2_T3_PNSF_ISK_E10value_typeET4_T5_PSP_SQ_PNS1_23onesweep_lookback_stateEbbT6_jjT7_P12ihipStream_tbENKUlT_T0_SE_SJ_E_clIS8_S8_S9_S9_EEDaSX_SY_SE_SJ_EUlSX_E_NS1_11comp_targetILNS1_3genE3ELNS1_11target_archE908ELNS1_3gpuE7ELNS1_3repE0EEENS1_47radix_sort_onesweep_sort_config_static_selectorELNS0_4arch9wavefront6targetE1EEEvSE_, .Lfunc_end2629-_ZN7rocprim17ROCPRIM_400000_NS6detail17trampoline_kernelINS0_14default_configENS1_35radix_sort_onesweep_config_selectorIdNS0_10empty_typeEEEZZNS1_29radix_sort_onesweep_iterationIS3_Lb1EPdS8_PS5_S9_mNS0_19identity_decomposerENS1_16block_id_wrapperIjLb0EEEEE10hipError_tT1_PNSt15iterator_traitsISE_E10value_typeET2_T3_PNSF_ISK_E10value_typeET4_T5_PSP_SQ_PNS1_23onesweep_lookback_stateEbbT6_jjT7_P12ihipStream_tbENKUlT_T0_SE_SJ_E_clIS8_S8_S9_S9_EEDaSX_SY_SE_SJ_EUlSX_E_NS1_11comp_targetILNS1_3genE3ELNS1_11target_archE908ELNS1_3gpuE7ELNS1_3repE0EEENS1_47radix_sort_onesweep_sort_config_static_selectorELNS0_4arch9wavefront6targetE1EEEvSE_
                                        ; -- End function
	.section	.AMDGPU.csdata,"",@progbits
; Kernel info:
; codeLenInByte = 0
; NumSgprs: 4
; NumVgprs: 0
; NumAgprs: 0
; TotalNumVgprs: 0
; ScratchSize: 0
; MemoryBound: 0
; FloatMode: 240
; IeeeMode: 1
; LDSByteSize: 0 bytes/workgroup (compile time only)
; SGPRBlocks: 0
; VGPRBlocks: 0
; NumSGPRsForWavesPerEU: 4
; NumVGPRsForWavesPerEU: 1
; AccumOffset: 4
; Occupancy: 8
; WaveLimiterHint : 0
; COMPUTE_PGM_RSRC2:SCRATCH_EN: 0
; COMPUTE_PGM_RSRC2:USER_SGPR: 6
; COMPUTE_PGM_RSRC2:TRAP_HANDLER: 0
; COMPUTE_PGM_RSRC2:TGID_X_EN: 1
; COMPUTE_PGM_RSRC2:TGID_Y_EN: 0
; COMPUTE_PGM_RSRC2:TGID_Z_EN: 0
; COMPUTE_PGM_RSRC2:TIDIG_COMP_CNT: 0
; COMPUTE_PGM_RSRC3_GFX90A:ACCUM_OFFSET: 0
; COMPUTE_PGM_RSRC3_GFX90A:TG_SPLIT: 0
	.section	.text._ZN7rocprim17ROCPRIM_400000_NS6detail17trampoline_kernelINS0_14default_configENS1_35radix_sort_onesweep_config_selectorIdNS0_10empty_typeEEEZZNS1_29radix_sort_onesweep_iterationIS3_Lb1EPdS8_PS5_S9_mNS0_19identity_decomposerENS1_16block_id_wrapperIjLb0EEEEE10hipError_tT1_PNSt15iterator_traitsISE_E10value_typeET2_T3_PNSF_ISK_E10value_typeET4_T5_PSP_SQ_PNS1_23onesweep_lookback_stateEbbT6_jjT7_P12ihipStream_tbENKUlT_T0_SE_SJ_E_clIS8_S8_S9_S9_EEDaSX_SY_SE_SJ_EUlSX_E_NS1_11comp_targetILNS1_3genE10ELNS1_11target_archE1201ELNS1_3gpuE5ELNS1_3repE0EEENS1_47radix_sort_onesweep_sort_config_static_selectorELNS0_4arch9wavefront6targetE1EEEvSE_,"axG",@progbits,_ZN7rocprim17ROCPRIM_400000_NS6detail17trampoline_kernelINS0_14default_configENS1_35radix_sort_onesweep_config_selectorIdNS0_10empty_typeEEEZZNS1_29radix_sort_onesweep_iterationIS3_Lb1EPdS8_PS5_S9_mNS0_19identity_decomposerENS1_16block_id_wrapperIjLb0EEEEE10hipError_tT1_PNSt15iterator_traitsISE_E10value_typeET2_T3_PNSF_ISK_E10value_typeET4_T5_PSP_SQ_PNS1_23onesweep_lookback_stateEbbT6_jjT7_P12ihipStream_tbENKUlT_T0_SE_SJ_E_clIS8_S8_S9_S9_EEDaSX_SY_SE_SJ_EUlSX_E_NS1_11comp_targetILNS1_3genE10ELNS1_11target_archE1201ELNS1_3gpuE5ELNS1_3repE0EEENS1_47radix_sort_onesweep_sort_config_static_selectorELNS0_4arch9wavefront6targetE1EEEvSE_,comdat
	.protected	_ZN7rocprim17ROCPRIM_400000_NS6detail17trampoline_kernelINS0_14default_configENS1_35radix_sort_onesweep_config_selectorIdNS0_10empty_typeEEEZZNS1_29radix_sort_onesweep_iterationIS3_Lb1EPdS8_PS5_S9_mNS0_19identity_decomposerENS1_16block_id_wrapperIjLb0EEEEE10hipError_tT1_PNSt15iterator_traitsISE_E10value_typeET2_T3_PNSF_ISK_E10value_typeET4_T5_PSP_SQ_PNS1_23onesweep_lookback_stateEbbT6_jjT7_P12ihipStream_tbENKUlT_T0_SE_SJ_E_clIS8_S8_S9_S9_EEDaSX_SY_SE_SJ_EUlSX_E_NS1_11comp_targetILNS1_3genE10ELNS1_11target_archE1201ELNS1_3gpuE5ELNS1_3repE0EEENS1_47radix_sort_onesweep_sort_config_static_selectorELNS0_4arch9wavefront6targetE1EEEvSE_ ; -- Begin function _ZN7rocprim17ROCPRIM_400000_NS6detail17trampoline_kernelINS0_14default_configENS1_35radix_sort_onesweep_config_selectorIdNS0_10empty_typeEEEZZNS1_29radix_sort_onesweep_iterationIS3_Lb1EPdS8_PS5_S9_mNS0_19identity_decomposerENS1_16block_id_wrapperIjLb0EEEEE10hipError_tT1_PNSt15iterator_traitsISE_E10value_typeET2_T3_PNSF_ISK_E10value_typeET4_T5_PSP_SQ_PNS1_23onesweep_lookback_stateEbbT6_jjT7_P12ihipStream_tbENKUlT_T0_SE_SJ_E_clIS8_S8_S9_S9_EEDaSX_SY_SE_SJ_EUlSX_E_NS1_11comp_targetILNS1_3genE10ELNS1_11target_archE1201ELNS1_3gpuE5ELNS1_3repE0EEENS1_47radix_sort_onesweep_sort_config_static_selectorELNS0_4arch9wavefront6targetE1EEEvSE_
	.globl	_ZN7rocprim17ROCPRIM_400000_NS6detail17trampoline_kernelINS0_14default_configENS1_35radix_sort_onesweep_config_selectorIdNS0_10empty_typeEEEZZNS1_29radix_sort_onesweep_iterationIS3_Lb1EPdS8_PS5_S9_mNS0_19identity_decomposerENS1_16block_id_wrapperIjLb0EEEEE10hipError_tT1_PNSt15iterator_traitsISE_E10value_typeET2_T3_PNSF_ISK_E10value_typeET4_T5_PSP_SQ_PNS1_23onesweep_lookback_stateEbbT6_jjT7_P12ihipStream_tbENKUlT_T0_SE_SJ_E_clIS8_S8_S9_S9_EEDaSX_SY_SE_SJ_EUlSX_E_NS1_11comp_targetILNS1_3genE10ELNS1_11target_archE1201ELNS1_3gpuE5ELNS1_3repE0EEENS1_47radix_sort_onesweep_sort_config_static_selectorELNS0_4arch9wavefront6targetE1EEEvSE_
	.p2align	8
	.type	_ZN7rocprim17ROCPRIM_400000_NS6detail17trampoline_kernelINS0_14default_configENS1_35radix_sort_onesweep_config_selectorIdNS0_10empty_typeEEEZZNS1_29radix_sort_onesweep_iterationIS3_Lb1EPdS8_PS5_S9_mNS0_19identity_decomposerENS1_16block_id_wrapperIjLb0EEEEE10hipError_tT1_PNSt15iterator_traitsISE_E10value_typeET2_T3_PNSF_ISK_E10value_typeET4_T5_PSP_SQ_PNS1_23onesweep_lookback_stateEbbT6_jjT7_P12ihipStream_tbENKUlT_T0_SE_SJ_E_clIS8_S8_S9_S9_EEDaSX_SY_SE_SJ_EUlSX_E_NS1_11comp_targetILNS1_3genE10ELNS1_11target_archE1201ELNS1_3gpuE5ELNS1_3repE0EEENS1_47radix_sort_onesweep_sort_config_static_selectorELNS0_4arch9wavefront6targetE1EEEvSE_,@function
_ZN7rocprim17ROCPRIM_400000_NS6detail17trampoline_kernelINS0_14default_configENS1_35radix_sort_onesweep_config_selectorIdNS0_10empty_typeEEEZZNS1_29radix_sort_onesweep_iterationIS3_Lb1EPdS8_PS5_S9_mNS0_19identity_decomposerENS1_16block_id_wrapperIjLb0EEEEE10hipError_tT1_PNSt15iterator_traitsISE_E10value_typeET2_T3_PNSF_ISK_E10value_typeET4_T5_PSP_SQ_PNS1_23onesweep_lookback_stateEbbT6_jjT7_P12ihipStream_tbENKUlT_T0_SE_SJ_E_clIS8_S8_S9_S9_EEDaSX_SY_SE_SJ_EUlSX_E_NS1_11comp_targetILNS1_3genE10ELNS1_11target_archE1201ELNS1_3gpuE5ELNS1_3repE0EEENS1_47radix_sort_onesweep_sort_config_static_selectorELNS0_4arch9wavefront6targetE1EEEvSE_: ; @_ZN7rocprim17ROCPRIM_400000_NS6detail17trampoline_kernelINS0_14default_configENS1_35radix_sort_onesweep_config_selectorIdNS0_10empty_typeEEEZZNS1_29radix_sort_onesweep_iterationIS3_Lb1EPdS8_PS5_S9_mNS0_19identity_decomposerENS1_16block_id_wrapperIjLb0EEEEE10hipError_tT1_PNSt15iterator_traitsISE_E10value_typeET2_T3_PNSF_ISK_E10value_typeET4_T5_PSP_SQ_PNS1_23onesweep_lookback_stateEbbT6_jjT7_P12ihipStream_tbENKUlT_T0_SE_SJ_E_clIS8_S8_S9_S9_EEDaSX_SY_SE_SJ_EUlSX_E_NS1_11comp_targetILNS1_3genE10ELNS1_11target_archE1201ELNS1_3gpuE5ELNS1_3repE0EEENS1_47radix_sort_onesweep_sort_config_static_selectorELNS0_4arch9wavefront6targetE1EEEvSE_
; %bb.0:
	.section	.rodata,"a",@progbits
	.p2align	6, 0x0
	.amdhsa_kernel _ZN7rocprim17ROCPRIM_400000_NS6detail17trampoline_kernelINS0_14default_configENS1_35radix_sort_onesweep_config_selectorIdNS0_10empty_typeEEEZZNS1_29radix_sort_onesweep_iterationIS3_Lb1EPdS8_PS5_S9_mNS0_19identity_decomposerENS1_16block_id_wrapperIjLb0EEEEE10hipError_tT1_PNSt15iterator_traitsISE_E10value_typeET2_T3_PNSF_ISK_E10value_typeET4_T5_PSP_SQ_PNS1_23onesweep_lookback_stateEbbT6_jjT7_P12ihipStream_tbENKUlT_T0_SE_SJ_E_clIS8_S8_S9_S9_EEDaSX_SY_SE_SJ_EUlSX_E_NS1_11comp_targetILNS1_3genE10ELNS1_11target_archE1201ELNS1_3gpuE5ELNS1_3repE0EEENS1_47radix_sort_onesweep_sort_config_static_selectorELNS0_4arch9wavefront6targetE1EEEvSE_
		.amdhsa_group_segment_fixed_size 0
		.amdhsa_private_segment_fixed_size 0
		.amdhsa_kernarg_size 88
		.amdhsa_user_sgpr_count 6
		.amdhsa_user_sgpr_private_segment_buffer 1
		.amdhsa_user_sgpr_dispatch_ptr 0
		.amdhsa_user_sgpr_queue_ptr 0
		.amdhsa_user_sgpr_kernarg_segment_ptr 1
		.amdhsa_user_sgpr_dispatch_id 0
		.amdhsa_user_sgpr_flat_scratch_init 0
		.amdhsa_user_sgpr_kernarg_preload_length 0
		.amdhsa_user_sgpr_kernarg_preload_offset 0
		.amdhsa_user_sgpr_private_segment_size 0
		.amdhsa_uses_dynamic_stack 0
		.amdhsa_system_sgpr_private_segment_wavefront_offset 0
		.amdhsa_system_sgpr_workgroup_id_x 1
		.amdhsa_system_sgpr_workgroup_id_y 0
		.amdhsa_system_sgpr_workgroup_id_z 0
		.amdhsa_system_sgpr_workgroup_info 0
		.amdhsa_system_vgpr_workitem_id 0
		.amdhsa_next_free_vgpr 1
		.amdhsa_next_free_sgpr 0
		.amdhsa_accum_offset 4
		.amdhsa_reserve_vcc 0
		.amdhsa_reserve_flat_scratch 0
		.amdhsa_float_round_mode_32 0
		.amdhsa_float_round_mode_16_64 0
		.amdhsa_float_denorm_mode_32 3
		.amdhsa_float_denorm_mode_16_64 3
		.amdhsa_dx10_clamp 1
		.amdhsa_ieee_mode 1
		.amdhsa_fp16_overflow 0
		.amdhsa_tg_split 0
		.amdhsa_exception_fp_ieee_invalid_op 0
		.amdhsa_exception_fp_denorm_src 0
		.amdhsa_exception_fp_ieee_div_zero 0
		.amdhsa_exception_fp_ieee_overflow 0
		.amdhsa_exception_fp_ieee_underflow 0
		.amdhsa_exception_fp_ieee_inexact 0
		.amdhsa_exception_int_div_zero 0
	.end_amdhsa_kernel
	.section	.text._ZN7rocprim17ROCPRIM_400000_NS6detail17trampoline_kernelINS0_14default_configENS1_35radix_sort_onesweep_config_selectorIdNS0_10empty_typeEEEZZNS1_29radix_sort_onesweep_iterationIS3_Lb1EPdS8_PS5_S9_mNS0_19identity_decomposerENS1_16block_id_wrapperIjLb0EEEEE10hipError_tT1_PNSt15iterator_traitsISE_E10value_typeET2_T3_PNSF_ISK_E10value_typeET4_T5_PSP_SQ_PNS1_23onesweep_lookback_stateEbbT6_jjT7_P12ihipStream_tbENKUlT_T0_SE_SJ_E_clIS8_S8_S9_S9_EEDaSX_SY_SE_SJ_EUlSX_E_NS1_11comp_targetILNS1_3genE10ELNS1_11target_archE1201ELNS1_3gpuE5ELNS1_3repE0EEENS1_47radix_sort_onesweep_sort_config_static_selectorELNS0_4arch9wavefront6targetE1EEEvSE_,"axG",@progbits,_ZN7rocprim17ROCPRIM_400000_NS6detail17trampoline_kernelINS0_14default_configENS1_35radix_sort_onesweep_config_selectorIdNS0_10empty_typeEEEZZNS1_29radix_sort_onesweep_iterationIS3_Lb1EPdS8_PS5_S9_mNS0_19identity_decomposerENS1_16block_id_wrapperIjLb0EEEEE10hipError_tT1_PNSt15iterator_traitsISE_E10value_typeET2_T3_PNSF_ISK_E10value_typeET4_T5_PSP_SQ_PNS1_23onesweep_lookback_stateEbbT6_jjT7_P12ihipStream_tbENKUlT_T0_SE_SJ_E_clIS8_S8_S9_S9_EEDaSX_SY_SE_SJ_EUlSX_E_NS1_11comp_targetILNS1_3genE10ELNS1_11target_archE1201ELNS1_3gpuE5ELNS1_3repE0EEENS1_47radix_sort_onesweep_sort_config_static_selectorELNS0_4arch9wavefront6targetE1EEEvSE_,comdat
.Lfunc_end2630:
	.size	_ZN7rocprim17ROCPRIM_400000_NS6detail17trampoline_kernelINS0_14default_configENS1_35radix_sort_onesweep_config_selectorIdNS0_10empty_typeEEEZZNS1_29radix_sort_onesweep_iterationIS3_Lb1EPdS8_PS5_S9_mNS0_19identity_decomposerENS1_16block_id_wrapperIjLb0EEEEE10hipError_tT1_PNSt15iterator_traitsISE_E10value_typeET2_T3_PNSF_ISK_E10value_typeET4_T5_PSP_SQ_PNS1_23onesweep_lookback_stateEbbT6_jjT7_P12ihipStream_tbENKUlT_T0_SE_SJ_E_clIS8_S8_S9_S9_EEDaSX_SY_SE_SJ_EUlSX_E_NS1_11comp_targetILNS1_3genE10ELNS1_11target_archE1201ELNS1_3gpuE5ELNS1_3repE0EEENS1_47radix_sort_onesweep_sort_config_static_selectorELNS0_4arch9wavefront6targetE1EEEvSE_, .Lfunc_end2630-_ZN7rocprim17ROCPRIM_400000_NS6detail17trampoline_kernelINS0_14default_configENS1_35radix_sort_onesweep_config_selectorIdNS0_10empty_typeEEEZZNS1_29radix_sort_onesweep_iterationIS3_Lb1EPdS8_PS5_S9_mNS0_19identity_decomposerENS1_16block_id_wrapperIjLb0EEEEE10hipError_tT1_PNSt15iterator_traitsISE_E10value_typeET2_T3_PNSF_ISK_E10value_typeET4_T5_PSP_SQ_PNS1_23onesweep_lookback_stateEbbT6_jjT7_P12ihipStream_tbENKUlT_T0_SE_SJ_E_clIS8_S8_S9_S9_EEDaSX_SY_SE_SJ_EUlSX_E_NS1_11comp_targetILNS1_3genE10ELNS1_11target_archE1201ELNS1_3gpuE5ELNS1_3repE0EEENS1_47radix_sort_onesweep_sort_config_static_selectorELNS0_4arch9wavefront6targetE1EEEvSE_
                                        ; -- End function
	.section	.AMDGPU.csdata,"",@progbits
; Kernel info:
; codeLenInByte = 0
; NumSgprs: 4
; NumVgprs: 0
; NumAgprs: 0
; TotalNumVgprs: 0
; ScratchSize: 0
; MemoryBound: 0
; FloatMode: 240
; IeeeMode: 1
; LDSByteSize: 0 bytes/workgroup (compile time only)
; SGPRBlocks: 0
; VGPRBlocks: 0
; NumSGPRsForWavesPerEU: 4
; NumVGPRsForWavesPerEU: 1
; AccumOffset: 4
; Occupancy: 8
; WaveLimiterHint : 0
; COMPUTE_PGM_RSRC2:SCRATCH_EN: 0
; COMPUTE_PGM_RSRC2:USER_SGPR: 6
; COMPUTE_PGM_RSRC2:TRAP_HANDLER: 0
; COMPUTE_PGM_RSRC2:TGID_X_EN: 1
; COMPUTE_PGM_RSRC2:TGID_Y_EN: 0
; COMPUTE_PGM_RSRC2:TGID_Z_EN: 0
; COMPUTE_PGM_RSRC2:TIDIG_COMP_CNT: 0
; COMPUTE_PGM_RSRC3_GFX90A:ACCUM_OFFSET: 0
; COMPUTE_PGM_RSRC3_GFX90A:TG_SPLIT: 0
	.section	.text._ZN7rocprim17ROCPRIM_400000_NS6detail17trampoline_kernelINS0_14default_configENS1_35radix_sort_onesweep_config_selectorIdNS0_10empty_typeEEEZZNS1_29radix_sort_onesweep_iterationIS3_Lb1EPdS8_PS5_S9_mNS0_19identity_decomposerENS1_16block_id_wrapperIjLb0EEEEE10hipError_tT1_PNSt15iterator_traitsISE_E10value_typeET2_T3_PNSF_ISK_E10value_typeET4_T5_PSP_SQ_PNS1_23onesweep_lookback_stateEbbT6_jjT7_P12ihipStream_tbENKUlT_T0_SE_SJ_E_clIS8_S8_S9_S9_EEDaSX_SY_SE_SJ_EUlSX_E_NS1_11comp_targetILNS1_3genE9ELNS1_11target_archE1100ELNS1_3gpuE3ELNS1_3repE0EEENS1_47radix_sort_onesweep_sort_config_static_selectorELNS0_4arch9wavefront6targetE1EEEvSE_,"axG",@progbits,_ZN7rocprim17ROCPRIM_400000_NS6detail17trampoline_kernelINS0_14default_configENS1_35radix_sort_onesweep_config_selectorIdNS0_10empty_typeEEEZZNS1_29radix_sort_onesweep_iterationIS3_Lb1EPdS8_PS5_S9_mNS0_19identity_decomposerENS1_16block_id_wrapperIjLb0EEEEE10hipError_tT1_PNSt15iterator_traitsISE_E10value_typeET2_T3_PNSF_ISK_E10value_typeET4_T5_PSP_SQ_PNS1_23onesweep_lookback_stateEbbT6_jjT7_P12ihipStream_tbENKUlT_T0_SE_SJ_E_clIS8_S8_S9_S9_EEDaSX_SY_SE_SJ_EUlSX_E_NS1_11comp_targetILNS1_3genE9ELNS1_11target_archE1100ELNS1_3gpuE3ELNS1_3repE0EEENS1_47radix_sort_onesweep_sort_config_static_selectorELNS0_4arch9wavefront6targetE1EEEvSE_,comdat
	.protected	_ZN7rocprim17ROCPRIM_400000_NS6detail17trampoline_kernelINS0_14default_configENS1_35radix_sort_onesweep_config_selectorIdNS0_10empty_typeEEEZZNS1_29radix_sort_onesweep_iterationIS3_Lb1EPdS8_PS5_S9_mNS0_19identity_decomposerENS1_16block_id_wrapperIjLb0EEEEE10hipError_tT1_PNSt15iterator_traitsISE_E10value_typeET2_T3_PNSF_ISK_E10value_typeET4_T5_PSP_SQ_PNS1_23onesweep_lookback_stateEbbT6_jjT7_P12ihipStream_tbENKUlT_T0_SE_SJ_E_clIS8_S8_S9_S9_EEDaSX_SY_SE_SJ_EUlSX_E_NS1_11comp_targetILNS1_3genE9ELNS1_11target_archE1100ELNS1_3gpuE3ELNS1_3repE0EEENS1_47radix_sort_onesweep_sort_config_static_selectorELNS0_4arch9wavefront6targetE1EEEvSE_ ; -- Begin function _ZN7rocprim17ROCPRIM_400000_NS6detail17trampoline_kernelINS0_14default_configENS1_35radix_sort_onesweep_config_selectorIdNS0_10empty_typeEEEZZNS1_29radix_sort_onesweep_iterationIS3_Lb1EPdS8_PS5_S9_mNS0_19identity_decomposerENS1_16block_id_wrapperIjLb0EEEEE10hipError_tT1_PNSt15iterator_traitsISE_E10value_typeET2_T3_PNSF_ISK_E10value_typeET4_T5_PSP_SQ_PNS1_23onesweep_lookback_stateEbbT6_jjT7_P12ihipStream_tbENKUlT_T0_SE_SJ_E_clIS8_S8_S9_S9_EEDaSX_SY_SE_SJ_EUlSX_E_NS1_11comp_targetILNS1_3genE9ELNS1_11target_archE1100ELNS1_3gpuE3ELNS1_3repE0EEENS1_47radix_sort_onesweep_sort_config_static_selectorELNS0_4arch9wavefront6targetE1EEEvSE_
	.globl	_ZN7rocprim17ROCPRIM_400000_NS6detail17trampoline_kernelINS0_14default_configENS1_35radix_sort_onesweep_config_selectorIdNS0_10empty_typeEEEZZNS1_29radix_sort_onesweep_iterationIS3_Lb1EPdS8_PS5_S9_mNS0_19identity_decomposerENS1_16block_id_wrapperIjLb0EEEEE10hipError_tT1_PNSt15iterator_traitsISE_E10value_typeET2_T3_PNSF_ISK_E10value_typeET4_T5_PSP_SQ_PNS1_23onesweep_lookback_stateEbbT6_jjT7_P12ihipStream_tbENKUlT_T0_SE_SJ_E_clIS8_S8_S9_S9_EEDaSX_SY_SE_SJ_EUlSX_E_NS1_11comp_targetILNS1_3genE9ELNS1_11target_archE1100ELNS1_3gpuE3ELNS1_3repE0EEENS1_47radix_sort_onesweep_sort_config_static_selectorELNS0_4arch9wavefront6targetE1EEEvSE_
	.p2align	8
	.type	_ZN7rocprim17ROCPRIM_400000_NS6detail17trampoline_kernelINS0_14default_configENS1_35radix_sort_onesweep_config_selectorIdNS0_10empty_typeEEEZZNS1_29radix_sort_onesweep_iterationIS3_Lb1EPdS8_PS5_S9_mNS0_19identity_decomposerENS1_16block_id_wrapperIjLb0EEEEE10hipError_tT1_PNSt15iterator_traitsISE_E10value_typeET2_T3_PNSF_ISK_E10value_typeET4_T5_PSP_SQ_PNS1_23onesweep_lookback_stateEbbT6_jjT7_P12ihipStream_tbENKUlT_T0_SE_SJ_E_clIS8_S8_S9_S9_EEDaSX_SY_SE_SJ_EUlSX_E_NS1_11comp_targetILNS1_3genE9ELNS1_11target_archE1100ELNS1_3gpuE3ELNS1_3repE0EEENS1_47radix_sort_onesweep_sort_config_static_selectorELNS0_4arch9wavefront6targetE1EEEvSE_,@function
_ZN7rocprim17ROCPRIM_400000_NS6detail17trampoline_kernelINS0_14default_configENS1_35radix_sort_onesweep_config_selectorIdNS0_10empty_typeEEEZZNS1_29radix_sort_onesweep_iterationIS3_Lb1EPdS8_PS5_S9_mNS0_19identity_decomposerENS1_16block_id_wrapperIjLb0EEEEE10hipError_tT1_PNSt15iterator_traitsISE_E10value_typeET2_T3_PNSF_ISK_E10value_typeET4_T5_PSP_SQ_PNS1_23onesweep_lookback_stateEbbT6_jjT7_P12ihipStream_tbENKUlT_T0_SE_SJ_E_clIS8_S8_S9_S9_EEDaSX_SY_SE_SJ_EUlSX_E_NS1_11comp_targetILNS1_3genE9ELNS1_11target_archE1100ELNS1_3gpuE3ELNS1_3repE0EEENS1_47radix_sort_onesweep_sort_config_static_selectorELNS0_4arch9wavefront6targetE1EEEvSE_: ; @_ZN7rocprim17ROCPRIM_400000_NS6detail17trampoline_kernelINS0_14default_configENS1_35radix_sort_onesweep_config_selectorIdNS0_10empty_typeEEEZZNS1_29radix_sort_onesweep_iterationIS3_Lb1EPdS8_PS5_S9_mNS0_19identity_decomposerENS1_16block_id_wrapperIjLb0EEEEE10hipError_tT1_PNSt15iterator_traitsISE_E10value_typeET2_T3_PNSF_ISK_E10value_typeET4_T5_PSP_SQ_PNS1_23onesweep_lookback_stateEbbT6_jjT7_P12ihipStream_tbENKUlT_T0_SE_SJ_E_clIS8_S8_S9_S9_EEDaSX_SY_SE_SJ_EUlSX_E_NS1_11comp_targetILNS1_3genE9ELNS1_11target_archE1100ELNS1_3gpuE3ELNS1_3repE0EEENS1_47radix_sort_onesweep_sort_config_static_selectorELNS0_4arch9wavefront6targetE1EEEvSE_
; %bb.0:
	.section	.rodata,"a",@progbits
	.p2align	6, 0x0
	.amdhsa_kernel _ZN7rocprim17ROCPRIM_400000_NS6detail17trampoline_kernelINS0_14default_configENS1_35radix_sort_onesweep_config_selectorIdNS0_10empty_typeEEEZZNS1_29radix_sort_onesweep_iterationIS3_Lb1EPdS8_PS5_S9_mNS0_19identity_decomposerENS1_16block_id_wrapperIjLb0EEEEE10hipError_tT1_PNSt15iterator_traitsISE_E10value_typeET2_T3_PNSF_ISK_E10value_typeET4_T5_PSP_SQ_PNS1_23onesweep_lookback_stateEbbT6_jjT7_P12ihipStream_tbENKUlT_T0_SE_SJ_E_clIS8_S8_S9_S9_EEDaSX_SY_SE_SJ_EUlSX_E_NS1_11comp_targetILNS1_3genE9ELNS1_11target_archE1100ELNS1_3gpuE3ELNS1_3repE0EEENS1_47radix_sort_onesweep_sort_config_static_selectorELNS0_4arch9wavefront6targetE1EEEvSE_
		.amdhsa_group_segment_fixed_size 0
		.amdhsa_private_segment_fixed_size 0
		.amdhsa_kernarg_size 88
		.amdhsa_user_sgpr_count 6
		.amdhsa_user_sgpr_private_segment_buffer 1
		.amdhsa_user_sgpr_dispatch_ptr 0
		.amdhsa_user_sgpr_queue_ptr 0
		.amdhsa_user_sgpr_kernarg_segment_ptr 1
		.amdhsa_user_sgpr_dispatch_id 0
		.amdhsa_user_sgpr_flat_scratch_init 0
		.amdhsa_user_sgpr_kernarg_preload_length 0
		.amdhsa_user_sgpr_kernarg_preload_offset 0
		.amdhsa_user_sgpr_private_segment_size 0
		.amdhsa_uses_dynamic_stack 0
		.amdhsa_system_sgpr_private_segment_wavefront_offset 0
		.amdhsa_system_sgpr_workgroup_id_x 1
		.amdhsa_system_sgpr_workgroup_id_y 0
		.amdhsa_system_sgpr_workgroup_id_z 0
		.amdhsa_system_sgpr_workgroup_info 0
		.amdhsa_system_vgpr_workitem_id 0
		.amdhsa_next_free_vgpr 1
		.amdhsa_next_free_sgpr 0
		.amdhsa_accum_offset 4
		.amdhsa_reserve_vcc 0
		.amdhsa_reserve_flat_scratch 0
		.amdhsa_float_round_mode_32 0
		.amdhsa_float_round_mode_16_64 0
		.amdhsa_float_denorm_mode_32 3
		.amdhsa_float_denorm_mode_16_64 3
		.amdhsa_dx10_clamp 1
		.amdhsa_ieee_mode 1
		.amdhsa_fp16_overflow 0
		.amdhsa_tg_split 0
		.amdhsa_exception_fp_ieee_invalid_op 0
		.amdhsa_exception_fp_denorm_src 0
		.amdhsa_exception_fp_ieee_div_zero 0
		.amdhsa_exception_fp_ieee_overflow 0
		.amdhsa_exception_fp_ieee_underflow 0
		.amdhsa_exception_fp_ieee_inexact 0
		.amdhsa_exception_int_div_zero 0
	.end_amdhsa_kernel
	.section	.text._ZN7rocprim17ROCPRIM_400000_NS6detail17trampoline_kernelINS0_14default_configENS1_35radix_sort_onesweep_config_selectorIdNS0_10empty_typeEEEZZNS1_29radix_sort_onesweep_iterationIS3_Lb1EPdS8_PS5_S9_mNS0_19identity_decomposerENS1_16block_id_wrapperIjLb0EEEEE10hipError_tT1_PNSt15iterator_traitsISE_E10value_typeET2_T3_PNSF_ISK_E10value_typeET4_T5_PSP_SQ_PNS1_23onesweep_lookback_stateEbbT6_jjT7_P12ihipStream_tbENKUlT_T0_SE_SJ_E_clIS8_S8_S9_S9_EEDaSX_SY_SE_SJ_EUlSX_E_NS1_11comp_targetILNS1_3genE9ELNS1_11target_archE1100ELNS1_3gpuE3ELNS1_3repE0EEENS1_47radix_sort_onesweep_sort_config_static_selectorELNS0_4arch9wavefront6targetE1EEEvSE_,"axG",@progbits,_ZN7rocprim17ROCPRIM_400000_NS6detail17trampoline_kernelINS0_14default_configENS1_35radix_sort_onesweep_config_selectorIdNS0_10empty_typeEEEZZNS1_29radix_sort_onesweep_iterationIS3_Lb1EPdS8_PS5_S9_mNS0_19identity_decomposerENS1_16block_id_wrapperIjLb0EEEEE10hipError_tT1_PNSt15iterator_traitsISE_E10value_typeET2_T3_PNSF_ISK_E10value_typeET4_T5_PSP_SQ_PNS1_23onesweep_lookback_stateEbbT6_jjT7_P12ihipStream_tbENKUlT_T0_SE_SJ_E_clIS8_S8_S9_S9_EEDaSX_SY_SE_SJ_EUlSX_E_NS1_11comp_targetILNS1_3genE9ELNS1_11target_archE1100ELNS1_3gpuE3ELNS1_3repE0EEENS1_47radix_sort_onesweep_sort_config_static_selectorELNS0_4arch9wavefront6targetE1EEEvSE_,comdat
.Lfunc_end2631:
	.size	_ZN7rocprim17ROCPRIM_400000_NS6detail17trampoline_kernelINS0_14default_configENS1_35radix_sort_onesweep_config_selectorIdNS0_10empty_typeEEEZZNS1_29radix_sort_onesweep_iterationIS3_Lb1EPdS8_PS5_S9_mNS0_19identity_decomposerENS1_16block_id_wrapperIjLb0EEEEE10hipError_tT1_PNSt15iterator_traitsISE_E10value_typeET2_T3_PNSF_ISK_E10value_typeET4_T5_PSP_SQ_PNS1_23onesweep_lookback_stateEbbT6_jjT7_P12ihipStream_tbENKUlT_T0_SE_SJ_E_clIS8_S8_S9_S9_EEDaSX_SY_SE_SJ_EUlSX_E_NS1_11comp_targetILNS1_3genE9ELNS1_11target_archE1100ELNS1_3gpuE3ELNS1_3repE0EEENS1_47radix_sort_onesweep_sort_config_static_selectorELNS0_4arch9wavefront6targetE1EEEvSE_, .Lfunc_end2631-_ZN7rocprim17ROCPRIM_400000_NS6detail17trampoline_kernelINS0_14default_configENS1_35radix_sort_onesweep_config_selectorIdNS0_10empty_typeEEEZZNS1_29radix_sort_onesweep_iterationIS3_Lb1EPdS8_PS5_S9_mNS0_19identity_decomposerENS1_16block_id_wrapperIjLb0EEEEE10hipError_tT1_PNSt15iterator_traitsISE_E10value_typeET2_T3_PNSF_ISK_E10value_typeET4_T5_PSP_SQ_PNS1_23onesweep_lookback_stateEbbT6_jjT7_P12ihipStream_tbENKUlT_T0_SE_SJ_E_clIS8_S8_S9_S9_EEDaSX_SY_SE_SJ_EUlSX_E_NS1_11comp_targetILNS1_3genE9ELNS1_11target_archE1100ELNS1_3gpuE3ELNS1_3repE0EEENS1_47radix_sort_onesweep_sort_config_static_selectorELNS0_4arch9wavefront6targetE1EEEvSE_
                                        ; -- End function
	.section	.AMDGPU.csdata,"",@progbits
; Kernel info:
; codeLenInByte = 0
; NumSgprs: 4
; NumVgprs: 0
; NumAgprs: 0
; TotalNumVgprs: 0
; ScratchSize: 0
; MemoryBound: 0
; FloatMode: 240
; IeeeMode: 1
; LDSByteSize: 0 bytes/workgroup (compile time only)
; SGPRBlocks: 0
; VGPRBlocks: 0
; NumSGPRsForWavesPerEU: 4
; NumVGPRsForWavesPerEU: 1
; AccumOffset: 4
; Occupancy: 8
; WaveLimiterHint : 0
; COMPUTE_PGM_RSRC2:SCRATCH_EN: 0
; COMPUTE_PGM_RSRC2:USER_SGPR: 6
; COMPUTE_PGM_RSRC2:TRAP_HANDLER: 0
; COMPUTE_PGM_RSRC2:TGID_X_EN: 1
; COMPUTE_PGM_RSRC2:TGID_Y_EN: 0
; COMPUTE_PGM_RSRC2:TGID_Z_EN: 0
; COMPUTE_PGM_RSRC2:TIDIG_COMP_CNT: 0
; COMPUTE_PGM_RSRC3_GFX90A:ACCUM_OFFSET: 0
; COMPUTE_PGM_RSRC3_GFX90A:TG_SPLIT: 0
	.section	.text._ZN7rocprim17ROCPRIM_400000_NS6detail17trampoline_kernelINS0_14default_configENS1_35radix_sort_onesweep_config_selectorIdNS0_10empty_typeEEEZZNS1_29radix_sort_onesweep_iterationIS3_Lb1EPdS8_PS5_S9_mNS0_19identity_decomposerENS1_16block_id_wrapperIjLb0EEEEE10hipError_tT1_PNSt15iterator_traitsISE_E10value_typeET2_T3_PNSF_ISK_E10value_typeET4_T5_PSP_SQ_PNS1_23onesweep_lookback_stateEbbT6_jjT7_P12ihipStream_tbENKUlT_T0_SE_SJ_E_clIS8_S8_S9_S9_EEDaSX_SY_SE_SJ_EUlSX_E_NS1_11comp_targetILNS1_3genE8ELNS1_11target_archE1030ELNS1_3gpuE2ELNS1_3repE0EEENS1_47radix_sort_onesweep_sort_config_static_selectorELNS0_4arch9wavefront6targetE1EEEvSE_,"axG",@progbits,_ZN7rocprim17ROCPRIM_400000_NS6detail17trampoline_kernelINS0_14default_configENS1_35radix_sort_onesweep_config_selectorIdNS0_10empty_typeEEEZZNS1_29radix_sort_onesweep_iterationIS3_Lb1EPdS8_PS5_S9_mNS0_19identity_decomposerENS1_16block_id_wrapperIjLb0EEEEE10hipError_tT1_PNSt15iterator_traitsISE_E10value_typeET2_T3_PNSF_ISK_E10value_typeET4_T5_PSP_SQ_PNS1_23onesweep_lookback_stateEbbT6_jjT7_P12ihipStream_tbENKUlT_T0_SE_SJ_E_clIS8_S8_S9_S9_EEDaSX_SY_SE_SJ_EUlSX_E_NS1_11comp_targetILNS1_3genE8ELNS1_11target_archE1030ELNS1_3gpuE2ELNS1_3repE0EEENS1_47radix_sort_onesweep_sort_config_static_selectorELNS0_4arch9wavefront6targetE1EEEvSE_,comdat
	.protected	_ZN7rocprim17ROCPRIM_400000_NS6detail17trampoline_kernelINS0_14default_configENS1_35radix_sort_onesweep_config_selectorIdNS0_10empty_typeEEEZZNS1_29radix_sort_onesweep_iterationIS3_Lb1EPdS8_PS5_S9_mNS0_19identity_decomposerENS1_16block_id_wrapperIjLb0EEEEE10hipError_tT1_PNSt15iterator_traitsISE_E10value_typeET2_T3_PNSF_ISK_E10value_typeET4_T5_PSP_SQ_PNS1_23onesweep_lookback_stateEbbT6_jjT7_P12ihipStream_tbENKUlT_T0_SE_SJ_E_clIS8_S8_S9_S9_EEDaSX_SY_SE_SJ_EUlSX_E_NS1_11comp_targetILNS1_3genE8ELNS1_11target_archE1030ELNS1_3gpuE2ELNS1_3repE0EEENS1_47radix_sort_onesweep_sort_config_static_selectorELNS0_4arch9wavefront6targetE1EEEvSE_ ; -- Begin function _ZN7rocprim17ROCPRIM_400000_NS6detail17trampoline_kernelINS0_14default_configENS1_35radix_sort_onesweep_config_selectorIdNS0_10empty_typeEEEZZNS1_29radix_sort_onesweep_iterationIS3_Lb1EPdS8_PS5_S9_mNS0_19identity_decomposerENS1_16block_id_wrapperIjLb0EEEEE10hipError_tT1_PNSt15iterator_traitsISE_E10value_typeET2_T3_PNSF_ISK_E10value_typeET4_T5_PSP_SQ_PNS1_23onesweep_lookback_stateEbbT6_jjT7_P12ihipStream_tbENKUlT_T0_SE_SJ_E_clIS8_S8_S9_S9_EEDaSX_SY_SE_SJ_EUlSX_E_NS1_11comp_targetILNS1_3genE8ELNS1_11target_archE1030ELNS1_3gpuE2ELNS1_3repE0EEENS1_47radix_sort_onesweep_sort_config_static_selectorELNS0_4arch9wavefront6targetE1EEEvSE_
	.globl	_ZN7rocprim17ROCPRIM_400000_NS6detail17trampoline_kernelINS0_14default_configENS1_35radix_sort_onesweep_config_selectorIdNS0_10empty_typeEEEZZNS1_29radix_sort_onesweep_iterationIS3_Lb1EPdS8_PS5_S9_mNS0_19identity_decomposerENS1_16block_id_wrapperIjLb0EEEEE10hipError_tT1_PNSt15iterator_traitsISE_E10value_typeET2_T3_PNSF_ISK_E10value_typeET4_T5_PSP_SQ_PNS1_23onesweep_lookback_stateEbbT6_jjT7_P12ihipStream_tbENKUlT_T0_SE_SJ_E_clIS8_S8_S9_S9_EEDaSX_SY_SE_SJ_EUlSX_E_NS1_11comp_targetILNS1_3genE8ELNS1_11target_archE1030ELNS1_3gpuE2ELNS1_3repE0EEENS1_47radix_sort_onesweep_sort_config_static_selectorELNS0_4arch9wavefront6targetE1EEEvSE_
	.p2align	8
	.type	_ZN7rocprim17ROCPRIM_400000_NS6detail17trampoline_kernelINS0_14default_configENS1_35radix_sort_onesweep_config_selectorIdNS0_10empty_typeEEEZZNS1_29radix_sort_onesweep_iterationIS3_Lb1EPdS8_PS5_S9_mNS0_19identity_decomposerENS1_16block_id_wrapperIjLb0EEEEE10hipError_tT1_PNSt15iterator_traitsISE_E10value_typeET2_T3_PNSF_ISK_E10value_typeET4_T5_PSP_SQ_PNS1_23onesweep_lookback_stateEbbT6_jjT7_P12ihipStream_tbENKUlT_T0_SE_SJ_E_clIS8_S8_S9_S9_EEDaSX_SY_SE_SJ_EUlSX_E_NS1_11comp_targetILNS1_3genE8ELNS1_11target_archE1030ELNS1_3gpuE2ELNS1_3repE0EEENS1_47radix_sort_onesweep_sort_config_static_selectorELNS0_4arch9wavefront6targetE1EEEvSE_,@function
_ZN7rocprim17ROCPRIM_400000_NS6detail17trampoline_kernelINS0_14default_configENS1_35radix_sort_onesweep_config_selectorIdNS0_10empty_typeEEEZZNS1_29radix_sort_onesweep_iterationIS3_Lb1EPdS8_PS5_S9_mNS0_19identity_decomposerENS1_16block_id_wrapperIjLb0EEEEE10hipError_tT1_PNSt15iterator_traitsISE_E10value_typeET2_T3_PNSF_ISK_E10value_typeET4_T5_PSP_SQ_PNS1_23onesweep_lookback_stateEbbT6_jjT7_P12ihipStream_tbENKUlT_T0_SE_SJ_E_clIS8_S8_S9_S9_EEDaSX_SY_SE_SJ_EUlSX_E_NS1_11comp_targetILNS1_3genE8ELNS1_11target_archE1030ELNS1_3gpuE2ELNS1_3repE0EEENS1_47radix_sort_onesweep_sort_config_static_selectorELNS0_4arch9wavefront6targetE1EEEvSE_: ; @_ZN7rocprim17ROCPRIM_400000_NS6detail17trampoline_kernelINS0_14default_configENS1_35radix_sort_onesweep_config_selectorIdNS0_10empty_typeEEEZZNS1_29radix_sort_onesweep_iterationIS3_Lb1EPdS8_PS5_S9_mNS0_19identity_decomposerENS1_16block_id_wrapperIjLb0EEEEE10hipError_tT1_PNSt15iterator_traitsISE_E10value_typeET2_T3_PNSF_ISK_E10value_typeET4_T5_PSP_SQ_PNS1_23onesweep_lookback_stateEbbT6_jjT7_P12ihipStream_tbENKUlT_T0_SE_SJ_E_clIS8_S8_S9_S9_EEDaSX_SY_SE_SJ_EUlSX_E_NS1_11comp_targetILNS1_3genE8ELNS1_11target_archE1030ELNS1_3gpuE2ELNS1_3repE0EEENS1_47radix_sort_onesweep_sort_config_static_selectorELNS0_4arch9wavefront6targetE1EEEvSE_
; %bb.0:
	.section	.rodata,"a",@progbits
	.p2align	6, 0x0
	.amdhsa_kernel _ZN7rocprim17ROCPRIM_400000_NS6detail17trampoline_kernelINS0_14default_configENS1_35radix_sort_onesweep_config_selectorIdNS0_10empty_typeEEEZZNS1_29radix_sort_onesweep_iterationIS3_Lb1EPdS8_PS5_S9_mNS0_19identity_decomposerENS1_16block_id_wrapperIjLb0EEEEE10hipError_tT1_PNSt15iterator_traitsISE_E10value_typeET2_T3_PNSF_ISK_E10value_typeET4_T5_PSP_SQ_PNS1_23onesweep_lookback_stateEbbT6_jjT7_P12ihipStream_tbENKUlT_T0_SE_SJ_E_clIS8_S8_S9_S9_EEDaSX_SY_SE_SJ_EUlSX_E_NS1_11comp_targetILNS1_3genE8ELNS1_11target_archE1030ELNS1_3gpuE2ELNS1_3repE0EEENS1_47radix_sort_onesweep_sort_config_static_selectorELNS0_4arch9wavefront6targetE1EEEvSE_
		.amdhsa_group_segment_fixed_size 0
		.amdhsa_private_segment_fixed_size 0
		.amdhsa_kernarg_size 88
		.amdhsa_user_sgpr_count 6
		.amdhsa_user_sgpr_private_segment_buffer 1
		.amdhsa_user_sgpr_dispatch_ptr 0
		.amdhsa_user_sgpr_queue_ptr 0
		.amdhsa_user_sgpr_kernarg_segment_ptr 1
		.amdhsa_user_sgpr_dispatch_id 0
		.amdhsa_user_sgpr_flat_scratch_init 0
		.amdhsa_user_sgpr_kernarg_preload_length 0
		.amdhsa_user_sgpr_kernarg_preload_offset 0
		.amdhsa_user_sgpr_private_segment_size 0
		.amdhsa_uses_dynamic_stack 0
		.amdhsa_system_sgpr_private_segment_wavefront_offset 0
		.amdhsa_system_sgpr_workgroup_id_x 1
		.amdhsa_system_sgpr_workgroup_id_y 0
		.amdhsa_system_sgpr_workgroup_id_z 0
		.amdhsa_system_sgpr_workgroup_info 0
		.amdhsa_system_vgpr_workitem_id 0
		.amdhsa_next_free_vgpr 1
		.amdhsa_next_free_sgpr 0
		.amdhsa_accum_offset 4
		.amdhsa_reserve_vcc 0
		.amdhsa_reserve_flat_scratch 0
		.amdhsa_float_round_mode_32 0
		.amdhsa_float_round_mode_16_64 0
		.amdhsa_float_denorm_mode_32 3
		.amdhsa_float_denorm_mode_16_64 3
		.amdhsa_dx10_clamp 1
		.amdhsa_ieee_mode 1
		.amdhsa_fp16_overflow 0
		.amdhsa_tg_split 0
		.amdhsa_exception_fp_ieee_invalid_op 0
		.amdhsa_exception_fp_denorm_src 0
		.amdhsa_exception_fp_ieee_div_zero 0
		.amdhsa_exception_fp_ieee_overflow 0
		.amdhsa_exception_fp_ieee_underflow 0
		.amdhsa_exception_fp_ieee_inexact 0
		.amdhsa_exception_int_div_zero 0
	.end_amdhsa_kernel
	.section	.text._ZN7rocprim17ROCPRIM_400000_NS6detail17trampoline_kernelINS0_14default_configENS1_35radix_sort_onesweep_config_selectorIdNS0_10empty_typeEEEZZNS1_29radix_sort_onesweep_iterationIS3_Lb1EPdS8_PS5_S9_mNS0_19identity_decomposerENS1_16block_id_wrapperIjLb0EEEEE10hipError_tT1_PNSt15iterator_traitsISE_E10value_typeET2_T3_PNSF_ISK_E10value_typeET4_T5_PSP_SQ_PNS1_23onesweep_lookback_stateEbbT6_jjT7_P12ihipStream_tbENKUlT_T0_SE_SJ_E_clIS8_S8_S9_S9_EEDaSX_SY_SE_SJ_EUlSX_E_NS1_11comp_targetILNS1_3genE8ELNS1_11target_archE1030ELNS1_3gpuE2ELNS1_3repE0EEENS1_47radix_sort_onesweep_sort_config_static_selectorELNS0_4arch9wavefront6targetE1EEEvSE_,"axG",@progbits,_ZN7rocprim17ROCPRIM_400000_NS6detail17trampoline_kernelINS0_14default_configENS1_35radix_sort_onesweep_config_selectorIdNS0_10empty_typeEEEZZNS1_29radix_sort_onesweep_iterationIS3_Lb1EPdS8_PS5_S9_mNS0_19identity_decomposerENS1_16block_id_wrapperIjLb0EEEEE10hipError_tT1_PNSt15iterator_traitsISE_E10value_typeET2_T3_PNSF_ISK_E10value_typeET4_T5_PSP_SQ_PNS1_23onesweep_lookback_stateEbbT6_jjT7_P12ihipStream_tbENKUlT_T0_SE_SJ_E_clIS8_S8_S9_S9_EEDaSX_SY_SE_SJ_EUlSX_E_NS1_11comp_targetILNS1_3genE8ELNS1_11target_archE1030ELNS1_3gpuE2ELNS1_3repE0EEENS1_47radix_sort_onesweep_sort_config_static_selectorELNS0_4arch9wavefront6targetE1EEEvSE_,comdat
.Lfunc_end2632:
	.size	_ZN7rocprim17ROCPRIM_400000_NS6detail17trampoline_kernelINS0_14default_configENS1_35radix_sort_onesweep_config_selectorIdNS0_10empty_typeEEEZZNS1_29radix_sort_onesweep_iterationIS3_Lb1EPdS8_PS5_S9_mNS0_19identity_decomposerENS1_16block_id_wrapperIjLb0EEEEE10hipError_tT1_PNSt15iterator_traitsISE_E10value_typeET2_T3_PNSF_ISK_E10value_typeET4_T5_PSP_SQ_PNS1_23onesweep_lookback_stateEbbT6_jjT7_P12ihipStream_tbENKUlT_T0_SE_SJ_E_clIS8_S8_S9_S9_EEDaSX_SY_SE_SJ_EUlSX_E_NS1_11comp_targetILNS1_3genE8ELNS1_11target_archE1030ELNS1_3gpuE2ELNS1_3repE0EEENS1_47radix_sort_onesweep_sort_config_static_selectorELNS0_4arch9wavefront6targetE1EEEvSE_, .Lfunc_end2632-_ZN7rocprim17ROCPRIM_400000_NS6detail17trampoline_kernelINS0_14default_configENS1_35radix_sort_onesweep_config_selectorIdNS0_10empty_typeEEEZZNS1_29radix_sort_onesweep_iterationIS3_Lb1EPdS8_PS5_S9_mNS0_19identity_decomposerENS1_16block_id_wrapperIjLb0EEEEE10hipError_tT1_PNSt15iterator_traitsISE_E10value_typeET2_T3_PNSF_ISK_E10value_typeET4_T5_PSP_SQ_PNS1_23onesweep_lookback_stateEbbT6_jjT7_P12ihipStream_tbENKUlT_T0_SE_SJ_E_clIS8_S8_S9_S9_EEDaSX_SY_SE_SJ_EUlSX_E_NS1_11comp_targetILNS1_3genE8ELNS1_11target_archE1030ELNS1_3gpuE2ELNS1_3repE0EEENS1_47radix_sort_onesweep_sort_config_static_selectorELNS0_4arch9wavefront6targetE1EEEvSE_
                                        ; -- End function
	.section	.AMDGPU.csdata,"",@progbits
; Kernel info:
; codeLenInByte = 0
; NumSgprs: 4
; NumVgprs: 0
; NumAgprs: 0
; TotalNumVgprs: 0
; ScratchSize: 0
; MemoryBound: 0
; FloatMode: 240
; IeeeMode: 1
; LDSByteSize: 0 bytes/workgroup (compile time only)
; SGPRBlocks: 0
; VGPRBlocks: 0
; NumSGPRsForWavesPerEU: 4
; NumVGPRsForWavesPerEU: 1
; AccumOffset: 4
; Occupancy: 8
; WaveLimiterHint : 0
; COMPUTE_PGM_RSRC2:SCRATCH_EN: 0
; COMPUTE_PGM_RSRC2:USER_SGPR: 6
; COMPUTE_PGM_RSRC2:TRAP_HANDLER: 0
; COMPUTE_PGM_RSRC2:TGID_X_EN: 1
; COMPUTE_PGM_RSRC2:TGID_Y_EN: 0
; COMPUTE_PGM_RSRC2:TGID_Z_EN: 0
; COMPUTE_PGM_RSRC2:TIDIG_COMP_CNT: 0
; COMPUTE_PGM_RSRC3_GFX90A:ACCUM_OFFSET: 0
; COMPUTE_PGM_RSRC3_GFX90A:TG_SPLIT: 0
	.section	.text._ZN7rocprim17ROCPRIM_400000_NS6detail17trampoline_kernelINS0_14default_configENS1_37merge_sort_block_sort_config_selectorI14custom_numericNS0_10empty_typeEEEZNS1_21merge_sort_block_sortIS3_N6thrust23THRUST_200600_302600_NS6detail15normal_iteratorINSA_10device_ptrIS5_EEEESF_PS6_SG_NSA_7greaterIS5_EEEE10hipError_tT0_T1_T2_T3_mRjT4_P12ihipStream_tbNS1_7vsmem_tEEUlT_E_NS1_11comp_targetILNS1_3genE0ELNS1_11target_archE4294967295ELNS1_3gpuE0ELNS1_3repE0EEENS1_30default_config_static_selectorELNS0_4arch9wavefront6targetE1EEEvSL_,"axG",@progbits,_ZN7rocprim17ROCPRIM_400000_NS6detail17trampoline_kernelINS0_14default_configENS1_37merge_sort_block_sort_config_selectorI14custom_numericNS0_10empty_typeEEEZNS1_21merge_sort_block_sortIS3_N6thrust23THRUST_200600_302600_NS6detail15normal_iteratorINSA_10device_ptrIS5_EEEESF_PS6_SG_NSA_7greaterIS5_EEEE10hipError_tT0_T1_T2_T3_mRjT4_P12ihipStream_tbNS1_7vsmem_tEEUlT_E_NS1_11comp_targetILNS1_3genE0ELNS1_11target_archE4294967295ELNS1_3gpuE0ELNS1_3repE0EEENS1_30default_config_static_selectorELNS0_4arch9wavefront6targetE1EEEvSL_,comdat
	.protected	_ZN7rocprim17ROCPRIM_400000_NS6detail17trampoline_kernelINS0_14default_configENS1_37merge_sort_block_sort_config_selectorI14custom_numericNS0_10empty_typeEEEZNS1_21merge_sort_block_sortIS3_N6thrust23THRUST_200600_302600_NS6detail15normal_iteratorINSA_10device_ptrIS5_EEEESF_PS6_SG_NSA_7greaterIS5_EEEE10hipError_tT0_T1_T2_T3_mRjT4_P12ihipStream_tbNS1_7vsmem_tEEUlT_E_NS1_11comp_targetILNS1_3genE0ELNS1_11target_archE4294967295ELNS1_3gpuE0ELNS1_3repE0EEENS1_30default_config_static_selectorELNS0_4arch9wavefront6targetE1EEEvSL_ ; -- Begin function _ZN7rocprim17ROCPRIM_400000_NS6detail17trampoline_kernelINS0_14default_configENS1_37merge_sort_block_sort_config_selectorI14custom_numericNS0_10empty_typeEEEZNS1_21merge_sort_block_sortIS3_N6thrust23THRUST_200600_302600_NS6detail15normal_iteratorINSA_10device_ptrIS5_EEEESF_PS6_SG_NSA_7greaterIS5_EEEE10hipError_tT0_T1_T2_T3_mRjT4_P12ihipStream_tbNS1_7vsmem_tEEUlT_E_NS1_11comp_targetILNS1_3genE0ELNS1_11target_archE4294967295ELNS1_3gpuE0ELNS1_3repE0EEENS1_30default_config_static_selectorELNS0_4arch9wavefront6targetE1EEEvSL_
	.globl	_ZN7rocprim17ROCPRIM_400000_NS6detail17trampoline_kernelINS0_14default_configENS1_37merge_sort_block_sort_config_selectorI14custom_numericNS0_10empty_typeEEEZNS1_21merge_sort_block_sortIS3_N6thrust23THRUST_200600_302600_NS6detail15normal_iteratorINSA_10device_ptrIS5_EEEESF_PS6_SG_NSA_7greaterIS5_EEEE10hipError_tT0_T1_T2_T3_mRjT4_P12ihipStream_tbNS1_7vsmem_tEEUlT_E_NS1_11comp_targetILNS1_3genE0ELNS1_11target_archE4294967295ELNS1_3gpuE0ELNS1_3repE0EEENS1_30default_config_static_selectorELNS0_4arch9wavefront6targetE1EEEvSL_
	.p2align	8
	.type	_ZN7rocprim17ROCPRIM_400000_NS6detail17trampoline_kernelINS0_14default_configENS1_37merge_sort_block_sort_config_selectorI14custom_numericNS0_10empty_typeEEEZNS1_21merge_sort_block_sortIS3_N6thrust23THRUST_200600_302600_NS6detail15normal_iteratorINSA_10device_ptrIS5_EEEESF_PS6_SG_NSA_7greaterIS5_EEEE10hipError_tT0_T1_T2_T3_mRjT4_P12ihipStream_tbNS1_7vsmem_tEEUlT_E_NS1_11comp_targetILNS1_3genE0ELNS1_11target_archE4294967295ELNS1_3gpuE0ELNS1_3repE0EEENS1_30default_config_static_selectorELNS0_4arch9wavefront6targetE1EEEvSL_,@function
_ZN7rocprim17ROCPRIM_400000_NS6detail17trampoline_kernelINS0_14default_configENS1_37merge_sort_block_sort_config_selectorI14custom_numericNS0_10empty_typeEEEZNS1_21merge_sort_block_sortIS3_N6thrust23THRUST_200600_302600_NS6detail15normal_iteratorINSA_10device_ptrIS5_EEEESF_PS6_SG_NSA_7greaterIS5_EEEE10hipError_tT0_T1_T2_T3_mRjT4_P12ihipStream_tbNS1_7vsmem_tEEUlT_E_NS1_11comp_targetILNS1_3genE0ELNS1_11target_archE4294967295ELNS1_3gpuE0ELNS1_3repE0EEENS1_30default_config_static_selectorELNS0_4arch9wavefront6targetE1EEEvSL_: ; @_ZN7rocprim17ROCPRIM_400000_NS6detail17trampoline_kernelINS0_14default_configENS1_37merge_sort_block_sort_config_selectorI14custom_numericNS0_10empty_typeEEEZNS1_21merge_sort_block_sortIS3_N6thrust23THRUST_200600_302600_NS6detail15normal_iteratorINSA_10device_ptrIS5_EEEESF_PS6_SG_NSA_7greaterIS5_EEEE10hipError_tT0_T1_T2_T3_mRjT4_P12ihipStream_tbNS1_7vsmem_tEEUlT_E_NS1_11comp_targetILNS1_3genE0ELNS1_11target_archE4294967295ELNS1_3gpuE0ELNS1_3repE0EEENS1_30default_config_static_selectorELNS0_4arch9wavefront6targetE1EEEvSL_
; %bb.0:
	.section	.rodata,"a",@progbits
	.p2align	6, 0x0
	.amdhsa_kernel _ZN7rocprim17ROCPRIM_400000_NS6detail17trampoline_kernelINS0_14default_configENS1_37merge_sort_block_sort_config_selectorI14custom_numericNS0_10empty_typeEEEZNS1_21merge_sort_block_sortIS3_N6thrust23THRUST_200600_302600_NS6detail15normal_iteratorINSA_10device_ptrIS5_EEEESF_PS6_SG_NSA_7greaterIS5_EEEE10hipError_tT0_T1_T2_T3_mRjT4_P12ihipStream_tbNS1_7vsmem_tEEUlT_E_NS1_11comp_targetILNS1_3genE0ELNS1_11target_archE4294967295ELNS1_3gpuE0ELNS1_3repE0EEENS1_30default_config_static_selectorELNS0_4arch9wavefront6targetE1EEEvSL_
		.amdhsa_group_segment_fixed_size 0
		.amdhsa_private_segment_fixed_size 0
		.amdhsa_kernarg_size 64
		.amdhsa_user_sgpr_count 6
		.amdhsa_user_sgpr_private_segment_buffer 1
		.amdhsa_user_sgpr_dispatch_ptr 0
		.amdhsa_user_sgpr_queue_ptr 0
		.amdhsa_user_sgpr_kernarg_segment_ptr 1
		.amdhsa_user_sgpr_dispatch_id 0
		.amdhsa_user_sgpr_flat_scratch_init 0
		.amdhsa_user_sgpr_kernarg_preload_length 0
		.amdhsa_user_sgpr_kernarg_preload_offset 0
		.amdhsa_user_sgpr_private_segment_size 0
		.amdhsa_uses_dynamic_stack 0
		.amdhsa_system_sgpr_private_segment_wavefront_offset 0
		.amdhsa_system_sgpr_workgroup_id_x 1
		.amdhsa_system_sgpr_workgroup_id_y 0
		.amdhsa_system_sgpr_workgroup_id_z 0
		.amdhsa_system_sgpr_workgroup_info 0
		.amdhsa_system_vgpr_workitem_id 0
		.amdhsa_next_free_vgpr 1
		.amdhsa_next_free_sgpr 0
		.amdhsa_accum_offset 4
		.amdhsa_reserve_vcc 0
		.amdhsa_reserve_flat_scratch 0
		.amdhsa_float_round_mode_32 0
		.amdhsa_float_round_mode_16_64 0
		.amdhsa_float_denorm_mode_32 3
		.amdhsa_float_denorm_mode_16_64 3
		.amdhsa_dx10_clamp 1
		.amdhsa_ieee_mode 1
		.amdhsa_fp16_overflow 0
		.amdhsa_tg_split 0
		.amdhsa_exception_fp_ieee_invalid_op 0
		.amdhsa_exception_fp_denorm_src 0
		.amdhsa_exception_fp_ieee_div_zero 0
		.amdhsa_exception_fp_ieee_overflow 0
		.amdhsa_exception_fp_ieee_underflow 0
		.amdhsa_exception_fp_ieee_inexact 0
		.amdhsa_exception_int_div_zero 0
	.end_amdhsa_kernel
	.section	.text._ZN7rocprim17ROCPRIM_400000_NS6detail17trampoline_kernelINS0_14default_configENS1_37merge_sort_block_sort_config_selectorI14custom_numericNS0_10empty_typeEEEZNS1_21merge_sort_block_sortIS3_N6thrust23THRUST_200600_302600_NS6detail15normal_iteratorINSA_10device_ptrIS5_EEEESF_PS6_SG_NSA_7greaterIS5_EEEE10hipError_tT0_T1_T2_T3_mRjT4_P12ihipStream_tbNS1_7vsmem_tEEUlT_E_NS1_11comp_targetILNS1_3genE0ELNS1_11target_archE4294967295ELNS1_3gpuE0ELNS1_3repE0EEENS1_30default_config_static_selectorELNS0_4arch9wavefront6targetE1EEEvSL_,"axG",@progbits,_ZN7rocprim17ROCPRIM_400000_NS6detail17trampoline_kernelINS0_14default_configENS1_37merge_sort_block_sort_config_selectorI14custom_numericNS0_10empty_typeEEEZNS1_21merge_sort_block_sortIS3_N6thrust23THRUST_200600_302600_NS6detail15normal_iteratorINSA_10device_ptrIS5_EEEESF_PS6_SG_NSA_7greaterIS5_EEEE10hipError_tT0_T1_T2_T3_mRjT4_P12ihipStream_tbNS1_7vsmem_tEEUlT_E_NS1_11comp_targetILNS1_3genE0ELNS1_11target_archE4294967295ELNS1_3gpuE0ELNS1_3repE0EEENS1_30default_config_static_selectorELNS0_4arch9wavefront6targetE1EEEvSL_,comdat
.Lfunc_end2633:
	.size	_ZN7rocprim17ROCPRIM_400000_NS6detail17trampoline_kernelINS0_14default_configENS1_37merge_sort_block_sort_config_selectorI14custom_numericNS0_10empty_typeEEEZNS1_21merge_sort_block_sortIS3_N6thrust23THRUST_200600_302600_NS6detail15normal_iteratorINSA_10device_ptrIS5_EEEESF_PS6_SG_NSA_7greaterIS5_EEEE10hipError_tT0_T1_T2_T3_mRjT4_P12ihipStream_tbNS1_7vsmem_tEEUlT_E_NS1_11comp_targetILNS1_3genE0ELNS1_11target_archE4294967295ELNS1_3gpuE0ELNS1_3repE0EEENS1_30default_config_static_selectorELNS0_4arch9wavefront6targetE1EEEvSL_, .Lfunc_end2633-_ZN7rocprim17ROCPRIM_400000_NS6detail17trampoline_kernelINS0_14default_configENS1_37merge_sort_block_sort_config_selectorI14custom_numericNS0_10empty_typeEEEZNS1_21merge_sort_block_sortIS3_N6thrust23THRUST_200600_302600_NS6detail15normal_iteratorINSA_10device_ptrIS5_EEEESF_PS6_SG_NSA_7greaterIS5_EEEE10hipError_tT0_T1_T2_T3_mRjT4_P12ihipStream_tbNS1_7vsmem_tEEUlT_E_NS1_11comp_targetILNS1_3genE0ELNS1_11target_archE4294967295ELNS1_3gpuE0ELNS1_3repE0EEENS1_30default_config_static_selectorELNS0_4arch9wavefront6targetE1EEEvSL_
                                        ; -- End function
	.section	.AMDGPU.csdata,"",@progbits
; Kernel info:
; codeLenInByte = 0
; NumSgprs: 4
; NumVgprs: 0
; NumAgprs: 0
; TotalNumVgprs: 0
; ScratchSize: 0
; MemoryBound: 0
; FloatMode: 240
; IeeeMode: 1
; LDSByteSize: 0 bytes/workgroup (compile time only)
; SGPRBlocks: 0
; VGPRBlocks: 0
; NumSGPRsForWavesPerEU: 4
; NumVGPRsForWavesPerEU: 1
; AccumOffset: 4
; Occupancy: 8
; WaveLimiterHint : 0
; COMPUTE_PGM_RSRC2:SCRATCH_EN: 0
; COMPUTE_PGM_RSRC2:USER_SGPR: 6
; COMPUTE_PGM_RSRC2:TRAP_HANDLER: 0
; COMPUTE_PGM_RSRC2:TGID_X_EN: 1
; COMPUTE_PGM_RSRC2:TGID_Y_EN: 0
; COMPUTE_PGM_RSRC2:TGID_Z_EN: 0
; COMPUTE_PGM_RSRC2:TIDIG_COMP_CNT: 0
; COMPUTE_PGM_RSRC3_GFX90A:ACCUM_OFFSET: 0
; COMPUTE_PGM_RSRC3_GFX90A:TG_SPLIT: 0
	.section	.text._ZN7rocprim17ROCPRIM_400000_NS6detail17trampoline_kernelINS0_14default_configENS1_37merge_sort_block_sort_config_selectorI14custom_numericNS0_10empty_typeEEEZNS1_21merge_sort_block_sortIS3_N6thrust23THRUST_200600_302600_NS6detail15normal_iteratorINSA_10device_ptrIS5_EEEESF_PS6_SG_NSA_7greaterIS5_EEEE10hipError_tT0_T1_T2_T3_mRjT4_P12ihipStream_tbNS1_7vsmem_tEEUlT_E_NS1_11comp_targetILNS1_3genE5ELNS1_11target_archE942ELNS1_3gpuE9ELNS1_3repE0EEENS1_30default_config_static_selectorELNS0_4arch9wavefront6targetE1EEEvSL_,"axG",@progbits,_ZN7rocprim17ROCPRIM_400000_NS6detail17trampoline_kernelINS0_14default_configENS1_37merge_sort_block_sort_config_selectorI14custom_numericNS0_10empty_typeEEEZNS1_21merge_sort_block_sortIS3_N6thrust23THRUST_200600_302600_NS6detail15normal_iteratorINSA_10device_ptrIS5_EEEESF_PS6_SG_NSA_7greaterIS5_EEEE10hipError_tT0_T1_T2_T3_mRjT4_P12ihipStream_tbNS1_7vsmem_tEEUlT_E_NS1_11comp_targetILNS1_3genE5ELNS1_11target_archE942ELNS1_3gpuE9ELNS1_3repE0EEENS1_30default_config_static_selectorELNS0_4arch9wavefront6targetE1EEEvSL_,comdat
	.protected	_ZN7rocprim17ROCPRIM_400000_NS6detail17trampoline_kernelINS0_14default_configENS1_37merge_sort_block_sort_config_selectorI14custom_numericNS0_10empty_typeEEEZNS1_21merge_sort_block_sortIS3_N6thrust23THRUST_200600_302600_NS6detail15normal_iteratorINSA_10device_ptrIS5_EEEESF_PS6_SG_NSA_7greaterIS5_EEEE10hipError_tT0_T1_T2_T3_mRjT4_P12ihipStream_tbNS1_7vsmem_tEEUlT_E_NS1_11comp_targetILNS1_3genE5ELNS1_11target_archE942ELNS1_3gpuE9ELNS1_3repE0EEENS1_30default_config_static_selectorELNS0_4arch9wavefront6targetE1EEEvSL_ ; -- Begin function _ZN7rocprim17ROCPRIM_400000_NS6detail17trampoline_kernelINS0_14default_configENS1_37merge_sort_block_sort_config_selectorI14custom_numericNS0_10empty_typeEEEZNS1_21merge_sort_block_sortIS3_N6thrust23THRUST_200600_302600_NS6detail15normal_iteratorINSA_10device_ptrIS5_EEEESF_PS6_SG_NSA_7greaterIS5_EEEE10hipError_tT0_T1_T2_T3_mRjT4_P12ihipStream_tbNS1_7vsmem_tEEUlT_E_NS1_11comp_targetILNS1_3genE5ELNS1_11target_archE942ELNS1_3gpuE9ELNS1_3repE0EEENS1_30default_config_static_selectorELNS0_4arch9wavefront6targetE1EEEvSL_
	.globl	_ZN7rocprim17ROCPRIM_400000_NS6detail17trampoline_kernelINS0_14default_configENS1_37merge_sort_block_sort_config_selectorI14custom_numericNS0_10empty_typeEEEZNS1_21merge_sort_block_sortIS3_N6thrust23THRUST_200600_302600_NS6detail15normal_iteratorINSA_10device_ptrIS5_EEEESF_PS6_SG_NSA_7greaterIS5_EEEE10hipError_tT0_T1_T2_T3_mRjT4_P12ihipStream_tbNS1_7vsmem_tEEUlT_E_NS1_11comp_targetILNS1_3genE5ELNS1_11target_archE942ELNS1_3gpuE9ELNS1_3repE0EEENS1_30default_config_static_selectorELNS0_4arch9wavefront6targetE1EEEvSL_
	.p2align	8
	.type	_ZN7rocprim17ROCPRIM_400000_NS6detail17trampoline_kernelINS0_14default_configENS1_37merge_sort_block_sort_config_selectorI14custom_numericNS0_10empty_typeEEEZNS1_21merge_sort_block_sortIS3_N6thrust23THRUST_200600_302600_NS6detail15normal_iteratorINSA_10device_ptrIS5_EEEESF_PS6_SG_NSA_7greaterIS5_EEEE10hipError_tT0_T1_T2_T3_mRjT4_P12ihipStream_tbNS1_7vsmem_tEEUlT_E_NS1_11comp_targetILNS1_3genE5ELNS1_11target_archE942ELNS1_3gpuE9ELNS1_3repE0EEENS1_30default_config_static_selectorELNS0_4arch9wavefront6targetE1EEEvSL_,@function
_ZN7rocprim17ROCPRIM_400000_NS6detail17trampoline_kernelINS0_14default_configENS1_37merge_sort_block_sort_config_selectorI14custom_numericNS0_10empty_typeEEEZNS1_21merge_sort_block_sortIS3_N6thrust23THRUST_200600_302600_NS6detail15normal_iteratorINSA_10device_ptrIS5_EEEESF_PS6_SG_NSA_7greaterIS5_EEEE10hipError_tT0_T1_T2_T3_mRjT4_P12ihipStream_tbNS1_7vsmem_tEEUlT_E_NS1_11comp_targetILNS1_3genE5ELNS1_11target_archE942ELNS1_3gpuE9ELNS1_3repE0EEENS1_30default_config_static_selectorELNS0_4arch9wavefront6targetE1EEEvSL_: ; @_ZN7rocprim17ROCPRIM_400000_NS6detail17trampoline_kernelINS0_14default_configENS1_37merge_sort_block_sort_config_selectorI14custom_numericNS0_10empty_typeEEEZNS1_21merge_sort_block_sortIS3_N6thrust23THRUST_200600_302600_NS6detail15normal_iteratorINSA_10device_ptrIS5_EEEESF_PS6_SG_NSA_7greaterIS5_EEEE10hipError_tT0_T1_T2_T3_mRjT4_P12ihipStream_tbNS1_7vsmem_tEEUlT_E_NS1_11comp_targetILNS1_3genE5ELNS1_11target_archE942ELNS1_3gpuE9ELNS1_3repE0EEENS1_30default_config_static_selectorELNS0_4arch9wavefront6targetE1EEEvSL_
; %bb.0:
	.section	.rodata,"a",@progbits
	.p2align	6, 0x0
	.amdhsa_kernel _ZN7rocprim17ROCPRIM_400000_NS6detail17trampoline_kernelINS0_14default_configENS1_37merge_sort_block_sort_config_selectorI14custom_numericNS0_10empty_typeEEEZNS1_21merge_sort_block_sortIS3_N6thrust23THRUST_200600_302600_NS6detail15normal_iteratorINSA_10device_ptrIS5_EEEESF_PS6_SG_NSA_7greaterIS5_EEEE10hipError_tT0_T1_T2_T3_mRjT4_P12ihipStream_tbNS1_7vsmem_tEEUlT_E_NS1_11comp_targetILNS1_3genE5ELNS1_11target_archE942ELNS1_3gpuE9ELNS1_3repE0EEENS1_30default_config_static_selectorELNS0_4arch9wavefront6targetE1EEEvSL_
		.amdhsa_group_segment_fixed_size 0
		.amdhsa_private_segment_fixed_size 0
		.amdhsa_kernarg_size 64
		.amdhsa_user_sgpr_count 6
		.amdhsa_user_sgpr_private_segment_buffer 1
		.amdhsa_user_sgpr_dispatch_ptr 0
		.amdhsa_user_sgpr_queue_ptr 0
		.amdhsa_user_sgpr_kernarg_segment_ptr 1
		.amdhsa_user_sgpr_dispatch_id 0
		.amdhsa_user_sgpr_flat_scratch_init 0
		.amdhsa_user_sgpr_kernarg_preload_length 0
		.amdhsa_user_sgpr_kernarg_preload_offset 0
		.amdhsa_user_sgpr_private_segment_size 0
		.amdhsa_uses_dynamic_stack 0
		.amdhsa_system_sgpr_private_segment_wavefront_offset 0
		.amdhsa_system_sgpr_workgroup_id_x 1
		.amdhsa_system_sgpr_workgroup_id_y 0
		.amdhsa_system_sgpr_workgroup_id_z 0
		.amdhsa_system_sgpr_workgroup_info 0
		.amdhsa_system_vgpr_workitem_id 0
		.amdhsa_next_free_vgpr 1
		.amdhsa_next_free_sgpr 0
		.amdhsa_accum_offset 4
		.amdhsa_reserve_vcc 0
		.amdhsa_reserve_flat_scratch 0
		.amdhsa_float_round_mode_32 0
		.amdhsa_float_round_mode_16_64 0
		.amdhsa_float_denorm_mode_32 3
		.amdhsa_float_denorm_mode_16_64 3
		.amdhsa_dx10_clamp 1
		.amdhsa_ieee_mode 1
		.amdhsa_fp16_overflow 0
		.amdhsa_tg_split 0
		.amdhsa_exception_fp_ieee_invalid_op 0
		.amdhsa_exception_fp_denorm_src 0
		.amdhsa_exception_fp_ieee_div_zero 0
		.amdhsa_exception_fp_ieee_overflow 0
		.amdhsa_exception_fp_ieee_underflow 0
		.amdhsa_exception_fp_ieee_inexact 0
		.amdhsa_exception_int_div_zero 0
	.end_amdhsa_kernel
	.section	.text._ZN7rocprim17ROCPRIM_400000_NS6detail17trampoline_kernelINS0_14default_configENS1_37merge_sort_block_sort_config_selectorI14custom_numericNS0_10empty_typeEEEZNS1_21merge_sort_block_sortIS3_N6thrust23THRUST_200600_302600_NS6detail15normal_iteratorINSA_10device_ptrIS5_EEEESF_PS6_SG_NSA_7greaterIS5_EEEE10hipError_tT0_T1_T2_T3_mRjT4_P12ihipStream_tbNS1_7vsmem_tEEUlT_E_NS1_11comp_targetILNS1_3genE5ELNS1_11target_archE942ELNS1_3gpuE9ELNS1_3repE0EEENS1_30default_config_static_selectorELNS0_4arch9wavefront6targetE1EEEvSL_,"axG",@progbits,_ZN7rocprim17ROCPRIM_400000_NS6detail17trampoline_kernelINS0_14default_configENS1_37merge_sort_block_sort_config_selectorI14custom_numericNS0_10empty_typeEEEZNS1_21merge_sort_block_sortIS3_N6thrust23THRUST_200600_302600_NS6detail15normal_iteratorINSA_10device_ptrIS5_EEEESF_PS6_SG_NSA_7greaterIS5_EEEE10hipError_tT0_T1_T2_T3_mRjT4_P12ihipStream_tbNS1_7vsmem_tEEUlT_E_NS1_11comp_targetILNS1_3genE5ELNS1_11target_archE942ELNS1_3gpuE9ELNS1_3repE0EEENS1_30default_config_static_selectorELNS0_4arch9wavefront6targetE1EEEvSL_,comdat
.Lfunc_end2634:
	.size	_ZN7rocprim17ROCPRIM_400000_NS6detail17trampoline_kernelINS0_14default_configENS1_37merge_sort_block_sort_config_selectorI14custom_numericNS0_10empty_typeEEEZNS1_21merge_sort_block_sortIS3_N6thrust23THRUST_200600_302600_NS6detail15normal_iteratorINSA_10device_ptrIS5_EEEESF_PS6_SG_NSA_7greaterIS5_EEEE10hipError_tT0_T1_T2_T3_mRjT4_P12ihipStream_tbNS1_7vsmem_tEEUlT_E_NS1_11comp_targetILNS1_3genE5ELNS1_11target_archE942ELNS1_3gpuE9ELNS1_3repE0EEENS1_30default_config_static_selectorELNS0_4arch9wavefront6targetE1EEEvSL_, .Lfunc_end2634-_ZN7rocprim17ROCPRIM_400000_NS6detail17trampoline_kernelINS0_14default_configENS1_37merge_sort_block_sort_config_selectorI14custom_numericNS0_10empty_typeEEEZNS1_21merge_sort_block_sortIS3_N6thrust23THRUST_200600_302600_NS6detail15normal_iteratorINSA_10device_ptrIS5_EEEESF_PS6_SG_NSA_7greaterIS5_EEEE10hipError_tT0_T1_T2_T3_mRjT4_P12ihipStream_tbNS1_7vsmem_tEEUlT_E_NS1_11comp_targetILNS1_3genE5ELNS1_11target_archE942ELNS1_3gpuE9ELNS1_3repE0EEENS1_30default_config_static_selectorELNS0_4arch9wavefront6targetE1EEEvSL_
                                        ; -- End function
	.section	.AMDGPU.csdata,"",@progbits
; Kernel info:
; codeLenInByte = 0
; NumSgprs: 4
; NumVgprs: 0
; NumAgprs: 0
; TotalNumVgprs: 0
; ScratchSize: 0
; MemoryBound: 0
; FloatMode: 240
; IeeeMode: 1
; LDSByteSize: 0 bytes/workgroup (compile time only)
; SGPRBlocks: 0
; VGPRBlocks: 0
; NumSGPRsForWavesPerEU: 4
; NumVGPRsForWavesPerEU: 1
; AccumOffset: 4
; Occupancy: 8
; WaveLimiterHint : 0
; COMPUTE_PGM_RSRC2:SCRATCH_EN: 0
; COMPUTE_PGM_RSRC2:USER_SGPR: 6
; COMPUTE_PGM_RSRC2:TRAP_HANDLER: 0
; COMPUTE_PGM_RSRC2:TGID_X_EN: 1
; COMPUTE_PGM_RSRC2:TGID_Y_EN: 0
; COMPUTE_PGM_RSRC2:TGID_Z_EN: 0
; COMPUTE_PGM_RSRC2:TIDIG_COMP_CNT: 0
; COMPUTE_PGM_RSRC3_GFX90A:ACCUM_OFFSET: 0
; COMPUTE_PGM_RSRC3_GFX90A:TG_SPLIT: 0
	.section	.text._ZN7rocprim17ROCPRIM_400000_NS6detail17trampoline_kernelINS0_14default_configENS1_37merge_sort_block_sort_config_selectorI14custom_numericNS0_10empty_typeEEEZNS1_21merge_sort_block_sortIS3_N6thrust23THRUST_200600_302600_NS6detail15normal_iteratorINSA_10device_ptrIS5_EEEESF_PS6_SG_NSA_7greaterIS5_EEEE10hipError_tT0_T1_T2_T3_mRjT4_P12ihipStream_tbNS1_7vsmem_tEEUlT_E_NS1_11comp_targetILNS1_3genE4ELNS1_11target_archE910ELNS1_3gpuE8ELNS1_3repE0EEENS1_30default_config_static_selectorELNS0_4arch9wavefront6targetE1EEEvSL_,"axG",@progbits,_ZN7rocprim17ROCPRIM_400000_NS6detail17trampoline_kernelINS0_14default_configENS1_37merge_sort_block_sort_config_selectorI14custom_numericNS0_10empty_typeEEEZNS1_21merge_sort_block_sortIS3_N6thrust23THRUST_200600_302600_NS6detail15normal_iteratorINSA_10device_ptrIS5_EEEESF_PS6_SG_NSA_7greaterIS5_EEEE10hipError_tT0_T1_T2_T3_mRjT4_P12ihipStream_tbNS1_7vsmem_tEEUlT_E_NS1_11comp_targetILNS1_3genE4ELNS1_11target_archE910ELNS1_3gpuE8ELNS1_3repE0EEENS1_30default_config_static_selectorELNS0_4arch9wavefront6targetE1EEEvSL_,comdat
	.protected	_ZN7rocprim17ROCPRIM_400000_NS6detail17trampoline_kernelINS0_14default_configENS1_37merge_sort_block_sort_config_selectorI14custom_numericNS0_10empty_typeEEEZNS1_21merge_sort_block_sortIS3_N6thrust23THRUST_200600_302600_NS6detail15normal_iteratorINSA_10device_ptrIS5_EEEESF_PS6_SG_NSA_7greaterIS5_EEEE10hipError_tT0_T1_T2_T3_mRjT4_P12ihipStream_tbNS1_7vsmem_tEEUlT_E_NS1_11comp_targetILNS1_3genE4ELNS1_11target_archE910ELNS1_3gpuE8ELNS1_3repE0EEENS1_30default_config_static_selectorELNS0_4arch9wavefront6targetE1EEEvSL_ ; -- Begin function _ZN7rocprim17ROCPRIM_400000_NS6detail17trampoline_kernelINS0_14default_configENS1_37merge_sort_block_sort_config_selectorI14custom_numericNS0_10empty_typeEEEZNS1_21merge_sort_block_sortIS3_N6thrust23THRUST_200600_302600_NS6detail15normal_iteratorINSA_10device_ptrIS5_EEEESF_PS6_SG_NSA_7greaterIS5_EEEE10hipError_tT0_T1_T2_T3_mRjT4_P12ihipStream_tbNS1_7vsmem_tEEUlT_E_NS1_11comp_targetILNS1_3genE4ELNS1_11target_archE910ELNS1_3gpuE8ELNS1_3repE0EEENS1_30default_config_static_selectorELNS0_4arch9wavefront6targetE1EEEvSL_
	.globl	_ZN7rocprim17ROCPRIM_400000_NS6detail17trampoline_kernelINS0_14default_configENS1_37merge_sort_block_sort_config_selectorI14custom_numericNS0_10empty_typeEEEZNS1_21merge_sort_block_sortIS3_N6thrust23THRUST_200600_302600_NS6detail15normal_iteratorINSA_10device_ptrIS5_EEEESF_PS6_SG_NSA_7greaterIS5_EEEE10hipError_tT0_T1_T2_T3_mRjT4_P12ihipStream_tbNS1_7vsmem_tEEUlT_E_NS1_11comp_targetILNS1_3genE4ELNS1_11target_archE910ELNS1_3gpuE8ELNS1_3repE0EEENS1_30default_config_static_selectorELNS0_4arch9wavefront6targetE1EEEvSL_
	.p2align	8
	.type	_ZN7rocprim17ROCPRIM_400000_NS6detail17trampoline_kernelINS0_14default_configENS1_37merge_sort_block_sort_config_selectorI14custom_numericNS0_10empty_typeEEEZNS1_21merge_sort_block_sortIS3_N6thrust23THRUST_200600_302600_NS6detail15normal_iteratorINSA_10device_ptrIS5_EEEESF_PS6_SG_NSA_7greaterIS5_EEEE10hipError_tT0_T1_T2_T3_mRjT4_P12ihipStream_tbNS1_7vsmem_tEEUlT_E_NS1_11comp_targetILNS1_3genE4ELNS1_11target_archE910ELNS1_3gpuE8ELNS1_3repE0EEENS1_30default_config_static_selectorELNS0_4arch9wavefront6targetE1EEEvSL_,@function
_ZN7rocprim17ROCPRIM_400000_NS6detail17trampoline_kernelINS0_14default_configENS1_37merge_sort_block_sort_config_selectorI14custom_numericNS0_10empty_typeEEEZNS1_21merge_sort_block_sortIS3_N6thrust23THRUST_200600_302600_NS6detail15normal_iteratorINSA_10device_ptrIS5_EEEESF_PS6_SG_NSA_7greaterIS5_EEEE10hipError_tT0_T1_T2_T3_mRjT4_P12ihipStream_tbNS1_7vsmem_tEEUlT_E_NS1_11comp_targetILNS1_3genE4ELNS1_11target_archE910ELNS1_3gpuE8ELNS1_3repE0EEENS1_30default_config_static_selectorELNS0_4arch9wavefront6targetE1EEEvSL_: ; @_ZN7rocprim17ROCPRIM_400000_NS6detail17trampoline_kernelINS0_14default_configENS1_37merge_sort_block_sort_config_selectorI14custom_numericNS0_10empty_typeEEEZNS1_21merge_sort_block_sortIS3_N6thrust23THRUST_200600_302600_NS6detail15normal_iteratorINSA_10device_ptrIS5_EEEESF_PS6_SG_NSA_7greaterIS5_EEEE10hipError_tT0_T1_T2_T3_mRjT4_P12ihipStream_tbNS1_7vsmem_tEEUlT_E_NS1_11comp_targetILNS1_3genE4ELNS1_11target_archE910ELNS1_3gpuE8ELNS1_3repE0EEENS1_30default_config_static_selectorELNS0_4arch9wavefront6targetE1EEEvSL_
; %bb.0:
	s_load_dwordx2 s[12:13], s[4:5], 0x40
	s_load_dword s0, s[4:5], 0x0
	s_add_u32 s10, s4, 64
	s_addc_u32 s11, s5, 0
	s_waitcnt lgkmcnt(0)
	s_mul_i32 s1, s13, s8
	s_add_i32 s1, s1, s7
	s_mul_i32 s1, s1, s12
	s_add_i32 s18, s1, s6
	s_cmp_ge_u32 s18, s0
	s_cbranch_scc1 .LBB2635_154
; %bb.1:
	s_load_dwordx2 s[20:21], s[4:5], 0x8
	s_load_dwordx4 s[0:3], s[4:5], 0x18
	s_mul_i32 s8, s18, 0x5000
	s_mul_hi_u32 s7, s18, 0x5000
	s_mov_b32 s19, 0
	s_waitcnt lgkmcnt(0)
	s_lshr_b64 s[4:5], s[20:21], 10
	s_add_u32 s16, s0, s8
	s_addc_u32 s17, s1, s7
	s_add_u32 s14, s2, s8
	s_addc_u32 s15, s3, s7
	v_and_b32_e32 v13, 0x3ff, v0
	s_cmp_lg_u64 s[4:5], s[18:19]
	v_bfe_u32 v19, v0, 10, 10
	v_bfe_u32 v23, v0, 20, 10
	v_lshrrev_b32_e32 v26, 5, v13
	v_mul_u32_u24_e32 v25, 20, v13
	v_lshlrev_b32_e32 v15, 2, v13
	v_lshrrev_b32_e32 v24, 3, v13
	s_cbranch_scc0 .LBB2635_85
; %bb.2:
	v_mad_u64_u32 v[0:1], s[0:1], v13, 20, s[16:17]
	v_add_co_u32_e32 v2, vcc, 0x1000, v0
	v_addc_co_u32_e32 v3, vcc, 0, v1, vcc
	v_add_co_u32_e32 v4, vcc, 0x2000, v0
	flat_load_dword v6, v[0:1]
	v_addc_co_u32_e32 v5, vcc, 0, v1, vcc
	flat_load_dword v7, v[2:3] offset:1024
	flat_load_dword v8, v[4:5] offset:2048
	v_add_co_u32_e32 v0, vcc, 0x3000, v0
	v_addc_co_u32_e32 v1, vcc, 0, v1, vcc
	flat_load_dword v0, v[0:1] offset:3072
	v_add_u32_e32 v2, 0x200, v13
	v_add_u32_e32 v3, 0x300, v13
	v_add_u32_e32 v1, 0x100, v13
	v_lshrrev_b32_e32 v2, 5, v2
	v_lshrrev_b32_e32 v3, 5, v3
	v_add_u32_e32 v4, v24, v15
	v_lshrrev_b32_e32 v1, 5, v1
	v_mad_u32_u24 v29, v2, 20, v25
	v_mad_u32_u24 v30, v3, 20, v25
	;; [unrolled: 1-line block ×3, first 2 shown]
	v_mul_u32_u24_e32 v31, 20, v4
	v_mad_u32_u24 v28, v1, 20, v25
	v_add_u32_e32 v4, 0x2808, v29
	v_add_u32_e32 v5, 0x3c00, v30
	;; [unrolled: 1-line block ×6, first 2 shown]
	s_movk_i32 s2, 0x400
	s_waitcnt vmcnt(0) lgkmcnt(0)
	ds_write2_b32 v27, v6, v6 offset1:1
	ds_write2_b32 v27, v6, v6 offset0:2 offset1:3
	ds_write_b32 v27, v6 offset:16
	ds_write2_b32 v1, v7, v7 offset1:1
	ds_write2_b32 v2, v7, v7 offset1:1
	ds_write_b32 v28, v7 offset:5136
	ds_write2_b32 v3, v8, v8 offset1:1
	ds_write2_b32 v4, v8, v8 offset1:1
	;; [unrolled: 3-line block ×3, first 2 shown]
	ds_write_b32 v30, v0 offset:15376
	s_waitcnt lgkmcnt(0)
	s_barrier
	ds_read2_b32 v[6:7], v31 offset1:5
	ds_read2_b32 v[4:5], v31 offset0:10 offset1:15
	s_waitcnt lgkmcnt(0)
	s_barrier
	s_load_dword s0, s[10:11], 0xc
	v_mov_b32_e32 v0, 0
	v_pk_mov_b32 v[20:21], v[4:5], v[4:5] op_sel:[0,1]
	v_mov_b32_e32 v10, v6
	v_mov_b32_e32 v14, v7
	s_waitcnt lgkmcnt(0)
	s_lshr_b32 s3, s0, 16
	s_cmp_lt_u32 s6, s12
	s_cselect_b32 s0, 12, 18
	s_add_u32 s0, s10, s0
	s_addc_u32 s1, s11, 0
	global_load_ushort v2, v0, s[0:1]
	v_pk_mov_b32 v[0:1], v[6:7], v[6:7] op_sel:[0,1]
	v_mad_u32_u24 v1, v23, s3, v19
	v_mov_b32_e32 v16, v4
	v_mov_b32_e32 v18, v5
	s_waitcnt vmcnt(0)
	v_mul_lo_u32 v1, v1, v2
	v_add_lshl_u32 v2, v1, v13, 2
	v_cmp_gt_u32_e32 vcc, s2, v2
	s_and_saveexec_b64 s[0:1], vcc
	s_cbranch_execz .LBB2635_4
; %bb.3:
	v_min_i32_e32 v0, v7, v6
	v_max_i32_e32 v1, v7, v6
	v_min_i32_e32 v3, v5, v4
	v_max_i32_e32 v4, v5, v4
	v_max_i32_e32 v5, v4, v0
	v_cmp_gt_i32_e32 vcc, v4, v1
	v_min_i32_e32 v7, v4, v0
	v_cndmask_b32_e32 v8, v5, v1, vcc
	v_cndmask_b32_e32 v6, v1, v5, vcc
	v_cmp_lt_i32_e32 vcc, v0, v3
	v_cndmask_b32_e32 v0, v7, v3, vcc
	v_cndmask_b32_e32 v5, v3, v7, vcc
	v_min_i32_e32 v4, v0, v8
	v_max_i32_e32 v7, v0, v8
	v_pk_mov_b32 v[0:1], v[6:7], v[6:7] op_sel:[0,1]
	v_pk_mov_b32 v[20:21], v[4:5], v[4:5] op_sel:[0,1]
	v_mov_b32_e32 v10, v6
	v_mov_b32_e32 v14, v7
	;; [unrolled: 1-line block ×4, first 2 shown]
.LBB2635_4:
	s_or_b64 exec, exec, s[0:1]
	v_mbcnt_lo_u32_b32 v1, -1, 0
	v_mbcnt_hi_u32_b32 v1, -1, v1
	v_and_b32_e32 v2, 0xffffff00, v2
	v_mul_lo_u32 v22, v2, 20
	v_lshlrev_b32_e32 v33, 2, v1
	s_movk_i32 s0, 0x50
	v_sub_u32_e64 v32, s2, v2 clamp
	v_mad_u32_u24 v34, v1, s0, v22
	v_mov_b32_e32 v8, v7
	v_mov_b32_e32 v9, v7
	;; [unrolled: 1-line block ×4, first 2 shown]
	v_or_b32_e32 v1, 4, v33
	ds_write_b128 v34, v[6:9] offset:16
	v_mov_b32_e32 v8, v4
	v_mov_b32_e32 v9, v4
	ds_write_b128 v34, v[2:5] offset:48
	v_mov_b32_e32 v2, v5
	v_mov_b32_e32 v3, v5
	v_mov_b32_e32 v4, v5
	v_min_u32_e32 v1, v32, v1
	v_mov_b32_e32 v36, v6
	v_mov_b32_e32 v37, v6
	;; [unrolled: 1-line block ×5, first 2 shown]
	ds_write_b128 v34, v[2:5] offset:64
	v_add_u32_e32 v2, 4, v1
	ds_write_b128 v34, v[6:9] offset:32
	v_and_b32_e32 v6, 0x1f8, v33
	v_min_u32_e32 v3, v32, v2
	v_and_b32_e32 v2, 4, v33
	v_min_u32_e32 v7, v32, v2
	v_sub_u32_e32 v4, v1, v6
	v_sub_u32_e32 v5, v3, v1
	v_sub_u32_e64 v5, v7, v5 clamp
	v_min_u32_e32 v8, v7, v4
	v_mad_u32_u24 v2, v6, 20, v22
	v_cmp_lt_u32_e32 vcc, v5, v8
	ds_write_b128 v34, v[36:39]
	; wave barrier
	s_and_saveexec_b64 s[0:1], vcc
	s_cbranch_execz .LBB2635_8
; %bb.5:
	v_mul_u32_u24_e32 v4, 20, v1
	v_mul_u32_u24_e32 v9, 20, v7
	v_add3_u32 v4, v22, v4, v9
	s_mov_b64 s[2:3], 0
.LBB2635_6:                             ; =>This Inner Loop Header: Depth=1
	v_add_u32_e32 v9, v8, v5
	v_lshrrev_b32_e32 v9, 1, v9
	v_not_b32_e32 v11, v9
	v_mad_u64_u32 v[36:37], s[4:5], v9, 20, v[2:3]
	v_mad_u64_u32 v[38:39], s[4:5], v11, 20, v[4:5]
	ds_read_b32 v11, v36
	ds_read_b32 v12, v38
	v_add_u32_e32 v17, 1, v9
	s_waitcnt lgkmcnt(0)
	v_cmp_gt_i32_e32 vcc, v12, v11
	v_cndmask_b32_e32 v8, v8, v9, vcc
	v_cndmask_b32_e32 v5, v17, v5, vcc
	v_cmp_ge_u32_e32 vcc, v5, v8
	s_or_b64 s[2:3], vcc, s[2:3]
	s_andn2_b64 exec, exec, s[2:3]
	s_cbranch_execnz .LBB2635_6
; %bb.7:
	s_or_b64 exec, exec, s[2:3]
.LBB2635_8:
	s_or_b64 exec, exec, s[0:1]
	v_add_u32_e32 v4, v1, v7
	v_add_u32_e32 v6, v5, v6
	v_sub_u32_e32 v7, v4, v5
	v_cmp_le_u32_e32 vcc, v6, v1
	v_cmp_le_u32_e64 s[0:1], v7, v3
	s_or_b64 s[0:1], vcc, s[0:1]
	s_and_saveexec_b64 s[22:23], s[0:1]
	s_cbranch_execz .LBB2635_14
; %bb.9:
	v_cmp_lt_u32_e32 vcc, v6, v1
	v_mov_b32_e32 v0, 0
	v_mov_b32_e32 v4, 0
	s_and_saveexec_b64 s[0:1], vcc
	s_cbranch_execz .LBB2635_11
; %bb.10:
	v_mad_u64_u32 v[4:5], s[2:3], v5, 20, v[2:3]
	ds_read_b32 v4, v4
.LBB2635_11:
	s_or_b64 exec, exec, s[0:1]
	v_cmp_ge_u32_e64 s[0:1], v7, v3
	v_cmp_lt_u32_e64 s[2:3], v7, v3
	s_and_saveexec_b64 s[4:5], s[2:3]
	s_cbranch_execz .LBB2635_13
; %bb.12:
	v_mad_u64_u32 v[8:9], s[2:3], v7, 20, v[22:23]
	ds_read_b32 v0, v8
.LBB2635_13:
	s_or_b64 exec, exec, s[4:5]
	s_waitcnt lgkmcnt(0)
	v_cmp_le_i32_e64 s[2:3], v0, v4
	s_and_b64 s[2:3], vcc, s[2:3]
	s_or_b64 vcc, s[0:1], s[2:3]
	v_cndmask_b32_e32 v2, v7, v6, vcc
	v_cndmask_b32_e32 v5, v3, v1, vcc
	v_add_u32_e32 v2, 1, v2
	v_add_u32_e32 v5, -1, v5
	v_min_u32_e32 v5, v2, v5
	v_mad_u64_u32 v[8:9], s[0:1], v5, 20, v[22:23]
	ds_read_b32 v5, v8
	v_cndmask_b32_e32 v9, v2, v7, vcc
	v_cndmask_b32_e32 v2, v6, v2, vcc
	v_cmp_lt_u32_e64 s[2:3], v2, v1
	v_cmp_ge_u32_e64 s[0:1], v9, v3
	s_waitcnt lgkmcnt(0)
	v_cndmask_b32_e32 v8, v5, v0, vcc
	v_cndmask_b32_e32 v5, v4, v5, vcc
	v_cmp_le_i32_e64 s[4:5], v8, v5
	s_and_b64 s[2:3], s[2:3], s[4:5]
	s_or_b64 s[0:1], s[0:1], s[2:3]
	v_cndmask_b32_e64 v6, v9, v2, s[0:1]
	v_cndmask_b32_e64 v7, v3, v1, s[0:1]
	v_add_u32_e32 v10, 1, v6
	v_add_u32_e32 v6, -1, v7
	v_min_u32_e32 v6, v10, v6
	v_mad_u64_u32 v[6:7], s[2:3], v6, 20, v[22:23]
	ds_read_b32 v6, v6
	v_cndmask_b32_e64 v2, v2, v10, s[0:1]
	v_cndmask_b32_e64 v9, v10, v9, s[0:1]
	v_cmp_lt_u32_e64 s[4:5], v2, v1
	v_cmp_ge_u32_e64 s[2:3], v9, v3
	s_waitcnt lgkmcnt(0)
	v_cndmask_b32_e64 v11, v6, v8, s[0:1]
	v_cndmask_b32_e64 v12, v5, v6, s[0:1]
	v_cmp_le_i32_e64 s[8:9], v11, v12
	s_and_b64 s[4:5], s[4:5], s[8:9]
	s_or_b64 s[2:3], s[2:3], s[4:5]
	v_cndmask_b32_e64 v6, v9, v2, s[2:3]
	v_cndmask_b32_e64 v7, v3, v1, s[2:3]
	v_add_u32_e32 v17, 1, v6
	v_add_u32_e32 v6, -1, v7
	v_min_u32_e32 v6, v17, v6
	v_mad_u64_u32 v[6:7], s[4:5], v6, 20, v[22:23]
	ds_read_b32 v6, v6
	v_cndmask_b32_e32 v10, v0, v4, vcc
	v_cndmask_b32_e64 v14, v8, v5, s[0:1]
	v_cndmask_b32_e64 v2, v2, v17, s[2:3]
	v_cndmask_b32_e64 v4, v17, v9, s[2:3]
	s_waitcnt lgkmcnt(0)
	v_cndmask_b32_e64 v0, v12, v6, s[2:3]
	v_cndmask_b32_e64 v5, v6, v11, s[2:3]
	v_max_i32_e32 v6, v5, v0
	v_cmp_lt_u32_e32 vcc, v2, v1
	v_cndmask_b32_e64 v16, v11, v12, s[2:3]
	v_cndmask_b32_e32 v1, v5, v6, vcc
	v_cmp_lt_u32_e32 vcc, v4, v3
	v_cndmask_b32_e32 v18, v0, v1, vcc
	v_pk_mov_b32 v[0:1], v[10:11], v[10:11] op_sel:[0,1]
	v_pk_mov_b32 v[20:21], v[16:17], v[16:17] op_sel:[0,1]
.LBB2635_14:
	s_or_b64 exec, exec, s[22:23]
	v_mov_b32_e32 v1, v0
	v_mov_b32_e32 v2, v0
	;; [unrolled: 1-line block ×3, first 2 shown]
	v_and_b32_e32 v6, 0x1f0, v33
	; wave barrier
	ds_write_b128 v34, v[0:3]
	v_or_b32_e32 v1, 8, v6
	v_mov_b32_e32 v11, v14
	v_mov_b32_e32 v12, v14
	;; [unrolled: 1-line block ×5, first 2 shown]
	v_min_u32_e32 v1, v32, v1
	ds_write_b96 v34, v[10:12] offset:16
	ds_write2_b32 v34, v14, v14 offset0:7 offset1:8
	ds_write2_b64 v34, v[20:21], v[2:3] offset0:5 offset1:6
	ds_write2_b32 v34, v14, v16 offset0:9 offset1:14
	ds_write2_b32 v34, v18, v18 offset0:15 offset1:16
	;; [unrolled: 1-line block ×3, first 2 shown]
	ds_write_b32 v34, v18 offset:76
	v_add_u32_e32 v2, 8, v1
	v_min_u32_e32 v3, v32, v2
	v_and_b32_e32 v2, 12, v33
	v_min_u32_e32 v7, v32, v2
	v_sub_u32_e32 v4, v1, v6
	v_sub_u32_e32 v5, v3, v1
	v_sub_u32_e64 v5, v7, v5 clamp
	v_min_u32_e32 v8, v7, v4
	v_mad_u32_u24 v2, v6, 20, v22
	v_cmp_lt_u32_e32 vcc, v5, v8
	; wave barrier
	s_and_saveexec_b64 s[0:1], vcc
	s_cbranch_execz .LBB2635_18
; %bb.15:
	v_mul_u32_u24_e32 v4, 20, v1
	v_mul_u32_u24_e32 v9, 20, v7
	v_add3_u32 v4, v22, v4, v9
	s_mov_b64 s[2:3], 0
.LBB2635_16:                            ; =>This Inner Loop Header: Depth=1
	v_add_u32_e32 v9, v8, v5
	v_lshrrev_b32_e32 v9, 1, v9
	v_not_b32_e32 v11, v9
	v_mad_u64_u32 v[36:37], s[4:5], v9, 20, v[2:3]
	v_mad_u64_u32 v[38:39], s[4:5], v11, 20, v[4:5]
	ds_read_b32 v11, v36
	ds_read_b32 v12, v38
	v_add_u32_e32 v17, 1, v9
	s_waitcnt lgkmcnt(0)
	v_cmp_gt_i32_e32 vcc, v12, v11
	v_cndmask_b32_e32 v8, v8, v9, vcc
	v_cndmask_b32_e32 v5, v17, v5, vcc
	v_cmp_ge_u32_e32 vcc, v5, v8
	s_or_b64 s[2:3], vcc, s[2:3]
	s_andn2_b64 exec, exec, s[2:3]
	s_cbranch_execnz .LBB2635_16
; %bb.17:
	s_or_b64 exec, exec, s[2:3]
.LBB2635_18:
	s_or_b64 exec, exec, s[0:1]
	v_add_u32_e32 v4, v1, v7
	v_add_u32_e32 v6, v5, v6
	v_sub_u32_e32 v7, v4, v5
	v_cmp_le_u32_e32 vcc, v6, v1
	v_cmp_le_u32_e64 s[0:1], v7, v3
	s_or_b64 s[0:1], vcc, s[0:1]
	s_and_saveexec_b64 s[22:23], s[0:1]
	s_cbranch_execz .LBB2635_24
; %bb.19:
	v_cmp_lt_u32_e32 vcc, v6, v1
	v_mov_b32_e32 v0, 0
	v_mov_b32_e32 v4, 0
	s_and_saveexec_b64 s[0:1], vcc
	s_cbranch_execz .LBB2635_21
; %bb.20:
	v_mad_u64_u32 v[4:5], s[2:3], v5, 20, v[2:3]
	ds_read_b32 v4, v4
.LBB2635_21:
	s_or_b64 exec, exec, s[0:1]
	v_cmp_ge_u32_e64 s[0:1], v7, v3
	v_cmp_lt_u32_e64 s[2:3], v7, v3
	s_and_saveexec_b64 s[4:5], s[2:3]
	s_cbranch_execz .LBB2635_23
; %bb.22:
	v_mad_u64_u32 v[8:9], s[2:3], v7, 20, v[22:23]
	ds_read_b32 v0, v8
.LBB2635_23:
	s_or_b64 exec, exec, s[4:5]
	s_waitcnt lgkmcnt(0)
	v_cmp_le_i32_e64 s[2:3], v0, v4
	s_and_b64 s[2:3], vcc, s[2:3]
	s_or_b64 vcc, s[0:1], s[2:3]
	v_cndmask_b32_e32 v2, v7, v6, vcc
	v_cndmask_b32_e32 v5, v3, v1, vcc
	v_add_u32_e32 v2, 1, v2
	v_add_u32_e32 v5, -1, v5
	v_min_u32_e32 v5, v2, v5
	v_mad_u64_u32 v[8:9], s[0:1], v5, 20, v[22:23]
	ds_read_b32 v5, v8
	v_cndmask_b32_e32 v9, v2, v7, vcc
	v_cndmask_b32_e32 v2, v6, v2, vcc
	v_cmp_lt_u32_e64 s[2:3], v2, v1
	v_cmp_ge_u32_e64 s[0:1], v9, v3
	s_waitcnt lgkmcnt(0)
	v_cndmask_b32_e32 v8, v5, v0, vcc
	v_cndmask_b32_e32 v5, v4, v5, vcc
	v_cmp_le_i32_e64 s[4:5], v8, v5
	s_and_b64 s[2:3], s[2:3], s[4:5]
	s_or_b64 s[0:1], s[0:1], s[2:3]
	v_cndmask_b32_e64 v6, v9, v2, s[0:1]
	v_cndmask_b32_e64 v7, v3, v1, s[0:1]
	v_add_u32_e32 v10, 1, v6
	v_add_u32_e32 v6, -1, v7
	v_min_u32_e32 v6, v10, v6
	v_mad_u64_u32 v[6:7], s[2:3], v6, 20, v[22:23]
	ds_read_b32 v6, v6
	v_cndmask_b32_e64 v2, v2, v10, s[0:1]
	v_cndmask_b32_e64 v9, v10, v9, s[0:1]
	v_cmp_lt_u32_e64 s[4:5], v2, v1
	v_cmp_ge_u32_e64 s[2:3], v9, v3
	s_waitcnt lgkmcnt(0)
	v_cndmask_b32_e64 v11, v6, v8, s[0:1]
	v_cndmask_b32_e64 v12, v5, v6, s[0:1]
	v_cmp_le_i32_e64 s[8:9], v11, v12
	s_and_b64 s[4:5], s[4:5], s[8:9]
	s_or_b64 s[2:3], s[2:3], s[4:5]
	v_cndmask_b32_e64 v6, v9, v2, s[2:3]
	v_cndmask_b32_e64 v7, v3, v1, s[2:3]
	v_add_u32_e32 v17, 1, v6
	v_add_u32_e32 v6, -1, v7
	v_min_u32_e32 v6, v17, v6
	v_mad_u64_u32 v[6:7], s[4:5], v6, 20, v[22:23]
	ds_read_b32 v6, v6
	v_cndmask_b32_e32 v10, v0, v4, vcc
	v_cndmask_b32_e64 v14, v8, v5, s[0:1]
	v_cndmask_b32_e64 v2, v2, v17, s[2:3]
	;; [unrolled: 1-line block ×3, first 2 shown]
	s_waitcnt lgkmcnt(0)
	v_cndmask_b32_e64 v0, v12, v6, s[2:3]
	v_cndmask_b32_e64 v5, v6, v11, s[2:3]
	v_max_i32_e32 v6, v5, v0
	v_cmp_lt_u32_e32 vcc, v2, v1
	v_cndmask_b32_e64 v16, v11, v12, s[2:3]
	v_cndmask_b32_e32 v1, v5, v6, vcc
	v_cmp_lt_u32_e32 vcc, v4, v3
	v_cndmask_b32_e32 v18, v0, v1, vcc
	v_pk_mov_b32 v[0:1], v[10:11], v[10:11] op_sel:[0,1]
	v_pk_mov_b32 v[20:21], v[16:17], v[16:17] op_sel:[0,1]
.LBB2635_24:
	s_or_b64 exec, exec, s[22:23]
	v_mov_b32_e32 v1, v10
	v_mov_b32_e32 v2, v0
	;; [unrolled: 1-line block ×3, first 2 shown]
	v_and_b32_e32 v9, 0x1e0, v33
	; wave barrier
	ds_write_b128 v34, v[0:3]
	v_mov_b32_e32 v11, v14
	v_mov_b32_e32 v12, v14
	;; [unrolled: 1-line block ×5, first 2 shown]
	v_or_b32_e32 v1, 16, v9
	ds_write_b96 v34, v[10:12] offset:16
	ds_write2_b32 v34, v14, v14 offset0:7 offset1:8
	ds_write2_b64 v34, v[20:21], v[2:3] offset0:5 offset1:6
	ds_write2_b32 v34, v14, v16 offset0:9 offset1:14
	ds_write2_b32 v34, v18, v18 offset0:15 offset1:16
	;; [unrolled: 1-line block ×3, first 2 shown]
	ds_write_b32 v34, v18 offset:76
	v_min_u32_e32 v3, v32, v1
	v_add_u32_e32 v1, 16, v3
	v_min_u32_e32 v6, v32, v1
	v_and_b32_e32 v1, 28, v33
	v_min_u32_e32 v11, v32, v1
	v_sub_u32_e32 v1, v3, v9
	v_sub_u32_e32 v4, v6, v3
	v_sub_u32_e64 v8, v11, v4 clamp
	v_min_u32_e32 v1, v11, v1
	v_mov_b32_e32 v5, v14
	v_mov_b32_e32 v7, v18
	v_mad_u32_u24 v2, v9, 20, v22
	v_cmp_lt_u32_e32 vcc, v8, v1
	; wave barrier
	s_and_saveexec_b64 s[0:1], vcc
	s_cbranch_execz .LBB2635_28
; %bb.25:
	v_mul_u32_u24_e32 v4, 20, v3
	v_mul_u32_u24_e32 v12, 20, v11
	v_add3_u32 v4, v22, v4, v12
	s_mov_b64 s[2:3], 0
.LBB2635_26:                            ; =>This Inner Loop Header: Depth=1
	v_add_u32_e32 v12, v1, v8
	v_lshrrev_b32_e32 v12, 1, v12
	v_not_b32_e32 v17, v12
	v_mad_u64_u32 v[36:37], s[4:5], v12, 20, v[2:3]
	v_mad_u64_u32 v[38:39], s[4:5], v17, 20, v[4:5]
	ds_read_b32 v17, v36
	ds_read_b32 v21, v38
	v_add_u32_e32 v35, 1, v12
	s_waitcnt lgkmcnt(0)
	v_cmp_gt_i32_e32 vcc, v21, v17
	v_cndmask_b32_e32 v1, v1, v12, vcc
	v_cndmask_b32_e32 v8, v35, v8, vcc
	v_cmp_ge_u32_e32 vcc, v8, v1
	s_or_b64 s[2:3], vcc, s[2:3]
	s_andn2_b64 exec, exec, s[2:3]
	s_cbranch_execnz .LBB2635_26
; %bb.27:
	s_or_b64 exec, exec, s[2:3]
.LBB2635_28:
	s_or_b64 exec, exec, s[0:1]
	v_add_u32_e32 v4, v8, v9
	v_add_u32_e32 v9, v3, v11
	v_sub_u32_e32 v9, v9, v8
	v_cmp_le_u32_e32 vcc, v4, v3
	v_cmp_le_u32_e64 s[0:1], v9, v6
	v_mov_b32_e32 v1, v10
	v_mov_b32_e32 v21, v16
	s_or_b64 s[0:1], vcc, s[0:1]
	s_and_saveexec_b64 s[22:23], s[0:1]
	s_cbranch_execz .LBB2635_34
; %bb.29:
	v_cmp_lt_u32_e32 vcc, v4, v3
	v_mov_b32_e32 v0, 0
	v_mov_b32_e32 v1, 0
	s_and_saveexec_b64 s[0:1], vcc
	s_cbranch_execz .LBB2635_31
; %bb.30:
	v_mad_u64_u32 v[10:11], s[2:3], v8, 20, v[2:3]
	ds_read_b32 v1, v10
.LBB2635_31:
	s_or_b64 exec, exec, s[0:1]
	v_cmp_ge_u32_e64 s[0:1], v9, v6
	v_cmp_lt_u32_e64 s[2:3], v9, v6
	s_and_saveexec_b64 s[4:5], s[2:3]
	s_cbranch_execz .LBB2635_33
; %bb.32:
	v_mad_u64_u32 v[10:11], s[2:3], v9, 20, v[22:23]
	ds_read_b32 v0, v10
.LBB2635_33:
	s_or_b64 exec, exec, s[4:5]
	s_waitcnt lgkmcnt(0)
	v_cmp_le_i32_e64 s[2:3], v0, v1
	s_and_b64 s[2:3], vcc, s[2:3]
	s_or_b64 vcc, s[0:1], s[2:3]
	v_cndmask_b32_e32 v2, v9, v4, vcc
	v_cndmask_b32_e32 v5, v6, v3, vcc
	v_add_u32_e32 v2, 1, v2
	v_add_u32_e32 v5, -1, v5
	v_min_u32_e32 v5, v2, v5
	v_mad_u64_u32 v[10:11], s[0:1], v5, 20, v[22:23]
	ds_read_b32 v5, v10
	v_cndmask_b32_e32 v9, v2, v9, vcc
	v_cndmask_b32_e32 v2, v4, v2, vcc
	v_cmp_lt_u32_e64 s[2:3], v2, v3
	v_cmp_ge_u32_e64 s[0:1], v9, v6
	s_waitcnt lgkmcnt(0)
	v_cndmask_b32_e32 v7, v5, v0, vcc
	v_cndmask_b32_e32 v8, v1, v5, vcc
	v_cmp_le_i32_e64 s[4:5], v7, v8
	s_and_b64 s[2:3], s[2:3], s[4:5]
	s_or_b64 s[0:1], s[0:1], s[2:3]
	v_cndmask_b32_e64 v4, v9, v2, s[0:1]
	v_cndmask_b32_e64 v5, v6, v3, s[0:1]
	v_add_u32_e32 v10, 1, v4
	v_add_u32_e32 v4, -1, v5
	v_min_u32_e32 v4, v10, v4
	v_mad_u64_u32 v[4:5], s[2:3], v4, 20, v[22:23]
	ds_read_b32 v4, v4
	v_cndmask_b32_e64 v2, v2, v10, s[0:1]
	v_cndmask_b32_e64 v9, v10, v9, s[0:1]
	v_cmp_lt_u32_e64 s[4:5], v2, v3
	v_cmp_ge_u32_e64 s[2:3], v9, v6
	s_waitcnt lgkmcnt(0)
	v_cndmask_b32_e64 v11, v4, v7, s[0:1]
	v_cndmask_b32_e64 v12, v8, v4, s[0:1]
	v_cmp_le_i32_e64 s[8:9], v11, v12
	s_and_b64 s[4:5], s[4:5], s[8:9]
	s_or_b64 s[2:3], s[2:3], s[4:5]
	v_cndmask_b32_e64 v4, v9, v2, s[2:3]
	v_cndmask_b32_e64 v5, v6, v3, s[2:3]
	v_add_u32_e32 v17, 1, v4
	v_add_u32_e32 v4, -1, v5
	v_min_u32_e32 v4, v17, v4
	v_mad_u64_u32 v[4:5], s[4:5], v4, 20, v[22:23]
	ds_read_b32 v4, v4
	v_cndmask_b32_e32 v10, v0, v1, vcc
	v_cndmask_b32_e64 v2, v2, v17, s[2:3]
	v_cndmask_b32_e64 v1, v17, v9, s[2:3]
	v_cmp_lt_u32_e32 vcc, v2, v3
	s_waitcnt lgkmcnt(0)
	v_cndmask_b32_e64 v0, v12, v4, s[2:3]
	v_cndmask_b32_e64 v4, v4, v11, s[2:3]
	v_max_i32_e32 v5, v4, v0
	v_cndmask_b32_e64 v16, v11, v12, s[2:3]
	v_cndmask_b32_e32 v2, v4, v5, vcc
	v_cmp_lt_u32_e32 vcc, v1, v6
	v_cndmask_b32_e64 v14, v7, v8, s[0:1]
	v_cndmask_b32_e32 v18, v0, v2, vcc
	v_mov_b32_e32 v11, v10
	v_mov_b32_e32 v17, v16
	;; [unrolled: 1-line block ×4, first 2 shown]
	v_pk_mov_b32 v[0:1], v[10:11], v[10:11] op_sel:[0,1]
	v_pk_mov_b32 v[20:21], v[16:17], v[16:17] op_sel:[0,1]
.LBB2635_34:
	s_or_b64 exec, exec, s[22:23]
	v_mov_b32_e32 v2, v0
	v_mov_b32_e32 v3, v1
	; wave barrier
	ds_write_b128 v34, v[0:3]
	v_mov_b32_e32 v11, v14
	v_mov_b32_e32 v12, v5
	;; [unrolled: 1-line block ×4, first 2 shown]
	v_and_b32_e32 v9, 0x1c0, v33
	ds_write_b96 v34, v[10:12] offset:16
	ds_write2_b32 v34, v14, v5 offset0:7 offset1:8
	ds_write2_b64 v34, v[20:21], v[2:3] offset0:5 offset1:6
	ds_write2_b32 v34, v14, v16 offset0:9 offset1:14
	ds_write2_b32 v34, v18, v7 offset0:15 offset1:16
	;; [unrolled: 1-line block ×3, first 2 shown]
	ds_write_b32 v34, v18 offset:76
	v_or_b32_e32 v2, 32, v9
	v_min_u32_e32 v3, v32, v2
	v_add_u32_e32 v2, 32, v3
	v_min_u32_e32 v6, v32, v2
	v_and_b32_e32 v2, 60, v33
	v_min_u32_e32 v11, v32, v2
	v_sub_u32_e32 v4, v3, v9
	v_sub_u32_e32 v8, v6, v3
	v_sub_u32_e64 v8, v11, v8 clamp
	v_min_u32_e32 v12, v11, v4
	v_mad_u32_u24 v2, v9, 20, v22
	v_cmp_lt_u32_e32 vcc, v8, v12
	; wave barrier
	s_and_saveexec_b64 s[0:1], vcc
	s_cbranch_execz .LBB2635_38
; %bb.35:
	v_mul_u32_u24_e32 v4, 20, v3
	v_mul_u32_u24_e32 v17, 20, v11
	v_add3_u32 v4, v22, v4, v17
	s_mov_b64 s[2:3], 0
.LBB2635_36:                            ; =>This Inner Loop Header: Depth=1
	v_add_u32_e32 v17, v12, v8
	v_lshrrev_b32_e32 v17, 1, v17
	v_not_b32_e32 v34, v17
	v_mad_u64_u32 v[32:33], s[4:5], v17, 20, v[2:3]
	v_mad_u64_u32 v[34:35], s[4:5], v34, 20, v[4:5]
	ds_read_b32 v32, v32
	ds_read_b32 v33, v34
	v_add_u32_e32 v34, 1, v17
	s_waitcnt lgkmcnt(0)
	v_cmp_gt_i32_e32 vcc, v33, v32
	v_cndmask_b32_e32 v12, v12, v17, vcc
	v_cndmask_b32_e32 v8, v34, v8, vcc
	v_cmp_ge_u32_e32 vcc, v8, v12
	s_or_b64 s[2:3], vcc, s[2:3]
	s_andn2_b64 exec, exec, s[2:3]
	s_cbranch_execnz .LBB2635_36
; %bb.37:
	s_or_b64 exec, exec, s[2:3]
.LBB2635_38:
	s_or_b64 exec, exec, s[0:1]
	v_add_u32_e32 v4, v8, v9
	v_add_u32_e32 v9, v3, v11
	v_sub_u32_e32 v9, v9, v8
	v_cmp_le_u32_e32 vcc, v4, v3
	v_cmp_le_u32_e64 s[0:1], v9, v6
	s_or_b64 s[0:1], vcc, s[0:1]
	s_and_saveexec_b64 s[22:23], s[0:1]
	s_cbranch_execz .LBB2635_44
; %bb.39:
	v_cmp_lt_u32_e32 vcc, v4, v3
	v_mov_b32_e32 v0, 0
	v_mov_b32_e32 v1, 0
	s_and_saveexec_b64 s[0:1], vcc
	s_cbranch_execz .LBB2635_41
; %bb.40:
	v_mad_u64_u32 v[10:11], s[2:3], v8, 20, v[2:3]
	ds_read_b32 v1, v10
.LBB2635_41:
	s_or_b64 exec, exec, s[0:1]
	v_cmp_ge_u32_e64 s[0:1], v9, v6
	v_cmp_lt_u32_e64 s[2:3], v9, v6
	s_and_saveexec_b64 s[4:5], s[2:3]
	s_cbranch_execz .LBB2635_43
; %bb.42:
	v_mad_u64_u32 v[10:11], s[2:3], v9, 20, v[22:23]
	ds_read_b32 v0, v10
.LBB2635_43:
	s_or_b64 exec, exec, s[4:5]
	s_waitcnt lgkmcnt(0)
	v_cmp_le_i32_e64 s[2:3], v0, v1
	s_and_b64 s[2:3], vcc, s[2:3]
	s_or_b64 vcc, s[0:1], s[2:3]
	v_cndmask_b32_e32 v2, v9, v4, vcc
	v_cndmask_b32_e32 v5, v6, v3, vcc
	v_add_u32_e32 v2, 1, v2
	v_add_u32_e32 v5, -1, v5
	v_min_u32_e32 v5, v2, v5
	v_mad_u64_u32 v[10:11], s[0:1], v5, 20, v[22:23]
	ds_read_b32 v5, v10
	v_cndmask_b32_e32 v9, v2, v9, vcc
	v_cndmask_b32_e32 v2, v4, v2, vcc
	v_cmp_lt_u32_e64 s[2:3], v2, v3
	v_cmp_ge_u32_e64 s[0:1], v9, v6
	s_waitcnt lgkmcnt(0)
	v_cndmask_b32_e32 v7, v5, v0, vcc
	v_cndmask_b32_e32 v8, v1, v5, vcc
	v_cmp_le_i32_e64 s[4:5], v7, v8
	s_and_b64 s[2:3], s[2:3], s[4:5]
	s_or_b64 s[0:1], s[0:1], s[2:3]
	v_cndmask_b32_e64 v4, v9, v2, s[0:1]
	v_cndmask_b32_e64 v5, v6, v3, s[0:1]
	v_add_u32_e32 v10, 1, v4
	v_add_u32_e32 v4, -1, v5
	v_min_u32_e32 v4, v10, v4
	v_mad_u64_u32 v[4:5], s[2:3], v4, 20, v[22:23]
	ds_read_b32 v4, v4
	v_cndmask_b32_e64 v2, v2, v10, s[0:1]
	v_cndmask_b32_e64 v9, v10, v9, s[0:1]
	v_cmp_lt_u32_e64 s[4:5], v2, v3
	v_cmp_ge_u32_e64 s[2:3], v9, v6
	s_waitcnt lgkmcnt(0)
	v_cndmask_b32_e64 v11, v4, v7, s[0:1]
	v_cndmask_b32_e64 v12, v8, v4, s[0:1]
	v_cmp_le_i32_e64 s[8:9], v11, v12
	s_and_b64 s[4:5], s[4:5], s[8:9]
	s_or_b64 s[2:3], s[2:3], s[4:5]
	v_cndmask_b32_e64 v4, v9, v2, s[2:3]
	v_cndmask_b32_e64 v5, v6, v3, s[2:3]
	v_add_u32_e32 v17, 1, v4
	v_add_u32_e32 v4, -1, v5
	v_min_u32_e32 v4, v17, v4
	v_mad_u64_u32 v[4:5], s[4:5], v4, 20, v[22:23]
	ds_read_b32 v4, v4
	v_cndmask_b32_e32 v10, v0, v1, vcc
	v_cndmask_b32_e64 v2, v2, v17, s[2:3]
	v_cndmask_b32_e64 v1, v17, v9, s[2:3]
	v_cmp_lt_u32_e32 vcc, v2, v3
	s_waitcnt lgkmcnt(0)
	v_cndmask_b32_e64 v0, v12, v4, s[2:3]
	v_cndmask_b32_e64 v4, v4, v11, s[2:3]
	v_max_i32_e32 v5, v4, v0
	v_cndmask_b32_e64 v16, v11, v12, s[2:3]
	v_cndmask_b32_e32 v2, v4, v5, vcc
	v_cmp_lt_u32_e32 vcc, v1, v6
	v_cndmask_b32_e64 v14, v7, v8, s[0:1]
	v_cndmask_b32_e32 v18, v0, v2, vcc
	v_mov_b32_e32 v11, v10
	v_mov_b32_e32 v17, v16
	;; [unrolled: 1-line block ×4, first 2 shown]
	v_pk_mov_b32 v[0:1], v[10:11], v[10:11] op_sel:[0,1]
	v_pk_mov_b32 v[20:21], v[16:17], v[16:17] op_sel:[0,1]
.LBB2635_44:
	s_or_b64 exec, exec, s[22:23]
	v_mul_u32_u24_e32 v6, 20, v15
	v_mov_b32_e32 v2, v0
	v_mov_b32_e32 v3, v1
	;; [unrolled: 1-line block ×4, first 2 shown]
	; wave barrier
	s_waitcnt lgkmcnt(0)
	s_barrier
	ds_write_b128 v6, v[0:3]
	ds_write_b96 v6, v[10:12] offset:16
	ds_write2_b32 v6, v14, v5 offset0:7 offset1:8
	v_mov_b32_e32 v2, v20
	v_mov_b32_e32 v3, v21
	v_and_b32_e32 v11, 0xf80, v15
	ds_write2_b64 v6, v[20:21], v[2:3] offset0:5 offset1:6
	ds_write2_b32 v6, v14, v16 offset0:9 offset1:14
	ds_write2_b32 v6, v18, v7 offset0:15 offset1:16
	;; [unrolled: 1-line block ×3, first 2 shown]
	ds_write_b32 v6, v18 offset:76
	v_or_b32_e32 v2, 64, v11
	v_min_u32_e32 v3, 0x400, v2
	v_min_u32_e32 v2, 0x3c0, v2
	v_add_u32_e32 v8, 64, v2
	v_and_b32_e32 v12, 0x7c, v15
	v_sub_u32_e32 v4, v3, v11
	v_sub_u32_e32 v9, v8, v3
	v_sub_u32_e64 v9, v12, v9 clamp
	v_min_u32_e32 v17, v12, v4
	v_mul_u32_u24_e32 v2, 20, v11
	v_cmp_lt_u32_e32 vcc, v9, v17
	s_waitcnt lgkmcnt(0)
	s_barrier
	s_and_saveexec_b64 s[0:1], vcc
	s_cbranch_execz .LBB2635_48
; %bb.45:
	v_mul_u32_u24_e32 v4, 20, v12
	v_mad_u32_u24 v4, v3, 20, v4
	s_mov_b64 s[2:3], 0
.LBB2635_46:                            ; =>This Inner Loop Header: Depth=1
	v_add_u32_e32 v22, v17, v9
	v_lshrrev_b32_e32 v22, 1, v22
	v_not_b32_e32 v34, v22
	v_mad_u64_u32 v[32:33], s[4:5], v22, 20, v[2:3]
	v_mad_u64_u32 v[34:35], s[4:5], v34, 20, v[4:5]
	ds_read_b32 v32, v32
	ds_read_b32 v33, v34
	v_add_u32_e32 v34, 1, v22
	s_waitcnt lgkmcnt(0)
	v_cmp_gt_i32_e32 vcc, v33, v32
	v_cndmask_b32_e32 v17, v17, v22, vcc
	v_cndmask_b32_e32 v9, v34, v9, vcc
	v_cmp_ge_u32_e32 vcc, v9, v17
	s_or_b64 s[2:3], vcc, s[2:3]
	s_andn2_b64 exec, exec, s[2:3]
	s_cbranch_execnz .LBB2635_46
; %bb.47:
	s_or_b64 exec, exec, s[2:3]
.LBB2635_48:
	s_or_b64 exec, exec, s[0:1]
	v_sub_u32_e32 v12, v12, v9
	v_add_u32_e32 v4, v9, v11
	v_add_u32_e32 v11, v12, v3
	v_cmp_le_u32_e32 vcc, v4, v3
	v_cmp_le_u32_e64 s[0:1], v11, v8
	s_or_b64 s[0:1], vcc, s[0:1]
	s_and_saveexec_b64 s[22:23], s[0:1]
	s_cbranch_execz .LBB2635_54
; %bb.49:
	v_cmp_lt_u32_e32 vcc, v4, v3
	v_mov_b32_e32 v0, 0
	v_mov_b32_e32 v1, 0
	s_and_saveexec_b64 s[0:1], vcc
	s_cbranch_execz .LBB2635_51
; %bb.50:
	v_mad_u64_u32 v[16:17], s[2:3], v9, 20, v[2:3]
	ds_read_b32 v1, v16
.LBB2635_51:
	s_or_b64 exec, exec, s[0:1]
	v_cmp_ge_u32_e64 s[0:1], v11, v8
	v_cmp_lt_u32_e64 s[2:3], v11, v8
	s_and_saveexec_b64 s[4:5], s[2:3]
	s_cbranch_execz .LBB2635_53
; %bb.52:
	v_mul_lo_u32 v0, v11, 20
	ds_read_b32 v0, v0
.LBB2635_53:
	s_or_b64 exec, exec, s[4:5]
	s_waitcnt lgkmcnt(0)
	v_cmp_le_i32_e64 s[2:3], v0, v1
	s_and_b64 s[2:3], vcc, s[2:3]
	s_or_b64 vcc, s[0:1], s[2:3]
	v_cndmask_b32_e32 v2, v11, v4, vcc
	v_cndmask_b32_e32 v5, v8, v3, vcc
	v_add_u32_e32 v2, 1, v2
	v_add_u32_e32 v5, -1, v5
	v_min_u32_e32 v5, v2, v5
	v_mul_lo_u32 v5, v5, 20
	ds_read_b32 v5, v5
	v_cndmask_b32_e32 v7, v2, v11, vcc
	v_cndmask_b32_e32 v2, v4, v2, vcc
	v_cmp_lt_u32_e64 s[2:3], v2, v3
	v_cmp_ge_u32_e64 s[0:1], v7, v8
	s_waitcnt lgkmcnt(0)
	v_cndmask_b32_e32 v9, v5, v0, vcc
	v_cndmask_b32_e32 v5, v1, v5, vcc
	v_cmp_le_i32_e64 s[4:5], v9, v5
	s_and_b64 s[2:3], s[2:3], s[4:5]
	s_or_b64 s[0:1], s[0:1], s[2:3]
	v_cndmask_b32_e64 v4, v7, v2, s[0:1]
	v_cndmask_b32_e64 v10, v8, v3, s[0:1]
	v_add_u32_e32 v4, 1, v4
	v_add_u32_e32 v10, -1, v10
	v_min_u32_e32 v10, v4, v10
	v_mul_lo_u32 v10, v10, 20
	ds_read_b32 v10, v10
	v_cndmask_b32_e64 v2, v2, v4, s[0:1]
	v_cndmask_b32_e64 v7, v4, v7, s[0:1]
	v_cmp_lt_u32_e64 s[4:5], v2, v3
	v_cmp_ge_u32_e64 s[2:3], v7, v8
	s_waitcnt lgkmcnt(0)
	v_cndmask_b32_e64 v11, v10, v9, s[0:1]
	v_cndmask_b32_e64 v12, v5, v10, s[0:1]
	v_cmp_le_i32_e64 s[8:9], v11, v12
	s_and_b64 s[4:5], s[4:5], s[8:9]
	s_or_b64 s[2:3], s[2:3], s[4:5]
	v_cndmask_b32_e64 v4, v7, v2, s[2:3]
	v_cndmask_b32_e64 v10, v8, v3, s[2:3]
	v_add_u32_e32 v4, 1, v4
	v_add_u32_e32 v10, -1, v10
	v_min_u32_e32 v10, v4, v10
	v_mul_lo_u32 v10, v10, 20
	ds_read_b32 v17, v10
	v_cndmask_b32_e32 v10, v0, v1, vcc
	v_cndmask_b32_e64 v14, v9, v5, s[0:1]
	v_cndmask_b32_e64 v2, v2, v4, s[2:3]
	;; [unrolled: 1-line block ×3, first 2 shown]
	s_waitcnt lgkmcnt(0)
	v_cndmask_b32_e64 v0, v12, v17, s[2:3]
	v_cndmask_b32_e64 v5, v17, v11, s[2:3]
	v_max_i32_e32 v4, v5, v0
	v_cmp_lt_u32_e32 vcc, v2, v3
	v_cndmask_b32_e64 v16, v11, v12, s[2:3]
	v_cndmask_b32_e32 v2, v5, v4, vcc
	v_cmp_lt_u32_e32 vcc, v1, v8
	v_cndmask_b32_e32 v18, v0, v2, vcc
	v_mov_b32_e32 v11, v10
	v_mov_b32_e32 v17, v16
	;; [unrolled: 1-line block ×4, first 2 shown]
	v_pk_mov_b32 v[0:1], v[10:11], v[10:11] op_sel:[0,1]
	v_pk_mov_b32 v[20:21], v[16:17], v[16:17] op_sel:[0,1]
.LBB2635_54:
	s_or_b64 exec, exec, s[22:23]
	v_mov_b32_e32 v2, v0
	v_mov_b32_e32 v3, v1
	;; [unrolled: 1-line block ×4, first 2 shown]
	s_barrier
	ds_write_b128 v6, v[0:3]
	ds_write_b96 v6, v[10:12] offset:16
	ds_write2_b32 v6, v14, v5 offset0:7 offset1:8
	v_mov_b32_e32 v2, v20
	v_mov_b32_e32 v3, v21
	v_and_b32_e32 v11, 0xf00, v15
	ds_write2_b64 v6, v[20:21], v[2:3] offset0:5 offset1:6
	ds_write2_b32 v6, v14, v16 offset0:9 offset1:14
	ds_write2_b32 v6, v18, v7 offset0:15 offset1:16
	;; [unrolled: 1-line block ×3, first 2 shown]
	ds_write_b32 v6, v18 offset:76
	v_or_b32_e32 v2, 0x80, v11
	v_min_u32_e32 v3, 0x400, v2
	v_min_u32_e32 v2, 0x380, v2
	v_add_u32_e32 v8, 0x80, v2
	v_and_b32_e32 v12, 0xfc, v15
	v_sub_u32_e32 v4, v3, v11
	v_sub_u32_e32 v9, v8, v3
	v_sub_u32_e64 v9, v12, v9 clamp
	v_min_u32_e32 v17, v12, v4
	v_mul_u32_u24_e32 v2, 20, v11
	v_cmp_lt_u32_e32 vcc, v9, v17
	s_waitcnt lgkmcnt(0)
	s_barrier
	s_and_saveexec_b64 s[0:1], vcc
	s_cbranch_execz .LBB2635_58
; %bb.55:
	v_mul_u32_u24_e32 v4, 20, v12
	v_mad_u32_u24 v4, v3, 20, v4
	s_mov_b64 s[2:3], 0
.LBB2635_56:                            ; =>This Inner Loop Header: Depth=1
	v_add_u32_e32 v22, v17, v9
	v_lshrrev_b32_e32 v22, 1, v22
	v_not_b32_e32 v34, v22
	v_mad_u64_u32 v[32:33], s[4:5], v22, 20, v[2:3]
	v_mad_u64_u32 v[34:35], s[4:5], v34, 20, v[4:5]
	ds_read_b32 v32, v32
	ds_read_b32 v33, v34
	v_add_u32_e32 v34, 1, v22
	s_waitcnt lgkmcnt(0)
	v_cmp_gt_i32_e32 vcc, v33, v32
	v_cndmask_b32_e32 v17, v17, v22, vcc
	v_cndmask_b32_e32 v9, v34, v9, vcc
	v_cmp_ge_u32_e32 vcc, v9, v17
	s_or_b64 s[2:3], vcc, s[2:3]
	s_andn2_b64 exec, exec, s[2:3]
	s_cbranch_execnz .LBB2635_56
; %bb.57:
	s_or_b64 exec, exec, s[2:3]
.LBB2635_58:
	s_or_b64 exec, exec, s[0:1]
	v_sub_u32_e32 v12, v12, v9
	v_add_u32_e32 v4, v9, v11
	v_add_u32_e32 v11, v12, v3
	v_cmp_le_u32_e32 vcc, v4, v3
	v_cmp_le_u32_e64 s[0:1], v11, v8
	s_or_b64 s[0:1], vcc, s[0:1]
	s_and_saveexec_b64 s[22:23], s[0:1]
	s_cbranch_execz .LBB2635_64
; %bb.59:
	v_cmp_lt_u32_e32 vcc, v4, v3
	v_mov_b32_e32 v0, 0
	v_mov_b32_e32 v1, 0
	s_and_saveexec_b64 s[0:1], vcc
	s_cbranch_execz .LBB2635_61
; %bb.60:
	v_mad_u64_u32 v[16:17], s[2:3], v9, 20, v[2:3]
	ds_read_b32 v1, v16
.LBB2635_61:
	s_or_b64 exec, exec, s[0:1]
	v_cmp_ge_u32_e64 s[0:1], v11, v8
	v_cmp_lt_u32_e64 s[2:3], v11, v8
	s_and_saveexec_b64 s[4:5], s[2:3]
	s_cbranch_execz .LBB2635_63
; %bb.62:
	v_mul_lo_u32 v0, v11, 20
	ds_read_b32 v0, v0
.LBB2635_63:
	s_or_b64 exec, exec, s[4:5]
	s_waitcnt lgkmcnt(0)
	v_cmp_le_i32_e64 s[2:3], v0, v1
	s_and_b64 s[2:3], vcc, s[2:3]
	s_or_b64 vcc, s[0:1], s[2:3]
	v_cndmask_b32_e32 v2, v11, v4, vcc
	v_cndmask_b32_e32 v5, v8, v3, vcc
	v_add_u32_e32 v2, 1, v2
	v_add_u32_e32 v5, -1, v5
	v_min_u32_e32 v5, v2, v5
	v_mul_lo_u32 v5, v5, 20
	ds_read_b32 v5, v5
	v_cndmask_b32_e32 v7, v2, v11, vcc
	v_cndmask_b32_e32 v2, v4, v2, vcc
	v_cmp_lt_u32_e64 s[2:3], v2, v3
	v_cmp_ge_u32_e64 s[0:1], v7, v8
	s_waitcnt lgkmcnt(0)
	v_cndmask_b32_e32 v9, v5, v0, vcc
	v_cndmask_b32_e32 v5, v1, v5, vcc
	v_cmp_le_i32_e64 s[4:5], v9, v5
	s_and_b64 s[2:3], s[2:3], s[4:5]
	s_or_b64 s[0:1], s[0:1], s[2:3]
	v_cndmask_b32_e64 v4, v7, v2, s[0:1]
	v_cndmask_b32_e64 v10, v8, v3, s[0:1]
	v_add_u32_e32 v4, 1, v4
	v_add_u32_e32 v10, -1, v10
	v_min_u32_e32 v10, v4, v10
	v_mul_lo_u32 v10, v10, 20
	ds_read_b32 v10, v10
	v_cndmask_b32_e64 v2, v2, v4, s[0:1]
	v_cndmask_b32_e64 v7, v4, v7, s[0:1]
	v_cmp_lt_u32_e64 s[4:5], v2, v3
	v_cmp_ge_u32_e64 s[2:3], v7, v8
	s_waitcnt lgkmcnt(0)
	v_cndmask_b32_e64 v11, v10, v9, s[0:1]
	v_cndmask_b32_e64 v12, v5, v10, s[0:1]
	v_cmp_le_i32_e64 s[8:9], v11, v12
	s_and_b64 s[4:5], s[4:5], s[8:9]
	s_or_b64 s[2:3], s[2:3], s[4:5]
	v_cndmask_b32_e64 v4, v7, v2, s[2:3]
	v_cndmask_b32_e64 v10, v8, v3, s[2:3]
	v_add_u32_e32 v4, 1, v4
	v_add_u32_e32 v10, -1, v10
	v_min_u32_e32 v10, v4, v10
	v_mul_lo_u32 v10, v10, 20
	ds_read_b32 v17, v10
	v_cndmask_b32_e32 v10, v0, v1, vcc
	v_cndmask_b32_e64 v14, v9, v5, s[0:1]
	v_cndmask_b32_e64 v2, v2, v4, s[2:3]
	;; [unrolled: 1-line block ×3, first 2 shown]
	s_waitcnt lgkmcnt(0)
	v_cndmask_b32_e64 v0, v12, v17, s[2:3]
	v_cndmask_b32_e64 v5, v17, v11, s[2:3]
	v_max_i32_e32 v4, v5, v0
	v_cmp_lt_u32_e32 vcc, v2, v3
	v_cndmask_b32_e64 v16, v11, v12, s[2:3]
	v_cndmask_b32_e32 v2, v5, v4, vcc
	v_cmp_lt_u32_e32 vcc, v1, v8
	v_cndmask_b32_e32 v18, v0, v2, vcc
	v_mov_b32_e32 v11, v10
	v_mov_b32_e32 v17, v16
	v_mov_b32_e32 v5, v14
	v_mov_b32_e32 v7, v18
	v_pk_mov_b32 v[0:1], v[10:11], v[10:11] op_sel:[0,1]
	v_pk_mov_b32 v[20:21], v[16:17], v[16:17] op_sel:[0,1]
.LBB2635_64:
	s_or_b64 exec, exec, s[22:23]
	v_mov_b32_e32 v2, v0
	v_mov_b32_e32 v3, v1
	;; [unrolled: 1-line block ×4, first 2 shown]
	s_barrier
	ds_write_b128 v6, v[0:3]
	ds_write_b96 v6, v[10:12] offset:16
	ds_write2_b32 v6, v14, v5 offset0:7 offset1:8
	v_mov_b32_e32 v2, v20
	v_mov_b32_e32 v3, v21
	v_and_b32_e32 v11, 0xe00, v15
	ds_write2_b64 v6, v[20:21], v[2:3] offset0:5 offset1:6
	ds_write2_b32 v6, v14, v16 offset0:9 offset1:14
	ds_write2_b32 v6, v18, v7 offset0:15 offset1:16
	;; [unrolled: 1-line block ×3, first 2 shown]
	ds_write_b32 v6, v18 offset:76
	v_or_b32_e32 v2, 0x100, v11
	v_min_u32_e32 v3, 0x400, v2
	v_min_u32_e32 v2, 0x300, v2
	v_add_u32_e32 v8, 0x100, v2
	v_and_b32_e32 v12, 0x1fc, v15
	v_sub_u32_e32 v4, v3, v11
	v_sub_u32_e32 v9, v8, v3
	v_sub_u32_e64 v9, v12, v9 clamp
	v_min_u32_e32 v17, v12, v4
	v_mul_u32_u24_e32 v2, 20, v11
	v_cmp_lt_u32_e32 vcc, v9, v17
	s_waitcnt lgkmcnt(0)
	s_barrier
	s_and_saveexec_b64 s[0:1], vcc
	s_cbranch_execz .LBB2635_68
; %bb.65:
	v_mul_u32_u24_e32 v4, 20, v12
	v_mad_u32_u24 v4, v3, 20, v4
	s_mov_b64 s[2:3], 0
.LBB2635_66:                            ; =>This Inner Loop Header: Depth=1
	v_add_u32_e32 v22, v17, v9
	v_lshrrev_b32_e32 v22, 1, v22
	v_not_b32_e32 v34, v22
	v_mad_u64_u32 v[32:33], s[4:5], v22, 20, v[2:3]
	v_mad_u64_u32 v[34:35], s[4:5], v34, 20, v[4:5]
	ds_read_b32 v32, v32
	ds_read_b32 v33, v34
	v_add_u32_e32 v34, 1, v22
	s_waitcnt lgkmcnt(0)
	v_cmp_gt_i32_e32 vcc, v33, v32
	v_cndmask_b32_e32 v17, v17, v22, vcc
	v_cndmask_b32_e32 v9, v34, v9, vcc
	v_cmp_ge_u32_e32 vcc, v9, v17
	s_or_b64 s[2:3], vcc, s[2:3]
	s_andn2_b64 exec, exec, s[2:3]
	s_cbranch_execnz .LBB2635_66
; %bb.67:
	s_or_b64 exec, exec, s[2:3]
.LBB2635_68:
	s_or_b64 exec, exec, s[0:1]
	v_sub_u32_e32 v12, v12, v9
	v_add_u32_e32 v4, v9, v11
	v_add_u32_e32 v11, v12, v3
	v_cmp_le_u32_e32 vcc, v4, v3
	v_cmp_le_u32_e64 s[0:1], v11, v8
	s_or_b64 s[0:1], vcc, s[0:1]
	s_and_saveexec_b64 s[22:23], s[0:1]
	s_cbranch_execz .LBB2635_74
; %bb.69:
	v_cmp_lt_u32_e32 vcc, v4, v3
	v_mov_b32_e32 v0, 0
	v_mov_b32_e32 v1, 0
	s_and_saveexec_b64 s[0:1], vcc
	s_cbranch_execz .LBB2635_71
; %bb.70:
	v_mad_u64_u32 v[16:17], s[2:3], v9, 20, v[2:3]
	ds_read_b32 v1, v16
.LBB2635_71:
	s_or_b64 exec, exec, s[0:1]
	v_cmp_ge_u32_e64 s[0:1], v11, v8
	v_cmp_lt_u32_e64 s[2:3], v11, v8
	s_and_saveexec_b64 s[4:5], s[2:3]
	s_cbranch_execz .LBB2635_73
; %bb.72:
	v_mul_lo_u32 v0, v11, 20
	ds_read_b32 v0, v0
.LBB2635_73:
	s_or_b64 exec, exec, s[4:5]
	s_waitcnt lgkmcnt(0)
	v_cmp_le_i32_e64 s[2:3], v0, v1
	s_and_b64 s[2:3], vcc, s[2:3]
	s_or_b64 vcc, s[0:1], s[2:3]
	v_cndmask_b32_e32 v2, v11, v4, vcc
	v_cndmask_b32_e32 v5, v8, v3, vcc
	v_add_u32_e32 v2, 1, v2
	v_add_u32_e32 v5, -1, v5
	v_min_u32_e32 v5, v2, v5
	v_mul_lo_u32 v5, v5, 20
	ds_read_b32 v5, v5
	v_cndmask_b32_e32 v7, v2, v11, vcc
	v_cndmask_b32_e32 v2, v4, v2, vcc
	v_cmp_lt_u32_e64 s[2:3], v2, v3
	v_cmp_ge_u32_e64 s[0:1], v7, v8
	s_waitcnt lgkmcnt(0)
	v_cndmask_b32_e32 v9, v5, v0, vcc
	v_cndmask_b32_e32 v5, v1, v5, vcc
	v_cmp_le_i32_e64 s[4:5], v9, v5
	s_and_b64 s[2:3], s[2:3], s[4:5]
	s_or_b64 s[0:1], s[0:1], s[2:3]
	v_cndmask_b32_e64 v4, v7, v2, s[0:1]
	v_cndmask_b32_e64 v10, v8, v3, s[0:1]
	v_add_u32_e32 v4, 1, v4
	v_add_u32_e32 v10, -1, v10
	v_min_u32_e32 v10, v4, v10
	v_mul_lo_u32 v10, v10, 20
	ds_read_b32 v10, v10
	v_cndmask_b32_e64 v2, v2, v4, s[0:1]
	v_cndmask_b32_e64 v7, v4, v7, s[0:1]
	v_cmp_lt_u32_e64 s[4:5], v2, v3
	v_cmp_ge_u32_e64 s[2:3], v7, v8
	s_waitcnt lgkmcnt(0)
	v_cndmask_b32_e64 v11, v10, v9, s[0:1]
	v_cndmask_b32_e64 v12, v5, v10, s[0:1]
	v_cmp_le_i32_e64 s[8:9], v11, v12
	s_and_b64 s[4:5], s[4:5], s[8:9]
	s_or_b64 s[2:3], s[2:3], s[4:5]
	v_cndmask_b32_e64 v4, v7, v2, s[2:3]
	v_cndmask_b32_e64 v10, v8, v3, s[2:3]
	v_add_u32_e32 v4, 1, v4
	v_add_u32_e32 v10, -1, v10
	v_min_u32_e32 v10, v4, v10
	v_mul_lo_u32 v10, v10, 20
	ds_read_b32 v17, v10
	v_cndmask_b32_e32 v10, v0, v1, vcc
	v_cndmask_b32_e64 v14, v9, v5, s[0:1]
	v_cndmask_b32_e64 v2, v2, v4, s[2:3]
	;; [unrolled: 1-line block ×3, first 2 shown]
	s_waitcnt lgkmcnt(0)
	v_cndmask_b32_e64 v0, v12, v17, s[2:3]
	v_cndmask_b32_e64 v5, v17, v11, s[2:3]
	v_max_i32_e32 v4, v5, v0
	v_cmp_lt_u32_e32 vcc, v2, v3
	v_cndmask_b32_e64 v16, v11, v12, s[2:3]
	v_cndmask_b32_e32 v2, v5, v4, vcc
	v_cmp_lt_u32_e32 vcc, v1, v8
	v_cndmask_b32_e32 v18, v0, v2, vcc
	v_mov_b32_e32 v11, v10
	v_mov_b32_e32 v17, v16
	;; [unrolled: 1-line block ×4, first 2 shown]
	v_pk_mov_b32 v[0:1], v[10:11], v[10:11] op_sel:[0,1]
	v_pk_mov_b32 v[20:21], v[16:17], v[16:17] op_sel:[0,1]
.LBB2635_74:
	s_or_b64 exec, exec, s[22:23]
	v_mov_b32_e32 v2, v0
	v_mov_b32_e32 v3, v1
	s_barrier
	ds_write_b128 v6, v[0:3]
	v_mov_b32_e32 v11, v14
	v_mov_b32_e32 v12, v5
	;; [unrolled: 1-line block ×4, first 2 shown]
	v_and_b32_e32 v8, 0xc00, v15
	ds_write_b96 v6, v[10:12] offset:16
	ds_write2_b32 v6, v14, v5 offset0:7 offset1:8
	ds_write2_b64 v6, v[20:21], v[2:3] offset0:5 offset1:6
	ds_write2_b32 v6, v14, v16 offset0:9 offset1:14
	ds_write2_b32 v6, v18, v7 offset0:15 offset1:16
	;; [unrolled: 1-line block ×3, first 2 shown]
	ds_write_b32 v6, v18 offset:76
	v_or_b32_e32 v2, 0x200, v8
	v_min_u32_e32 v3, 0x400, v2
	v_and_b32_e32 v9, 0x3fc, v15
	v_sub_u32_e32 v4, v3, v8
	v_sub_u32_e32 v6, 0x400, v3
	v_sub_u32_e64 v6, v9, v6 clamp
	v_min_u32_e32 v11, v9, v4
	v_mul_u32_u24_e32 v2, 20, v8
	v_cmp_lt_u32_e32 vcc, v6, v11
	s_waitcnt lgkmcnt(0)
	s_barrier
	s_and_saveexec_b64 s[0:1], vcc
	s_cbranch_execz .LBB2635_78
; %bb.75:
	v_mul_u32_u24_e32 v4, 20, v9
	v_mad_u32_u24 v4, v3, 20, v4
	s_mov_b64 s[2:3], 0
.LBB2635_76:                            ; =>This Inner Loop Header: Depth=1
	v_add_u32_e32 v12, v11, v6
	v_lshrrev_b32_e32 v12, 1, v12
	v_not_b32_e32 v17, v12
	v_mad_u64_u32 v[32:33], s[4:5], v12, 20, v[2:3]
	v_mad_u64_u32 v[34:35], s[4:5], v17, 20, v[4:5]
	ds_read_b32 v17, v32
	ds_read_b32 v22, v34
	v_add_u32_e32 v32, 1, v12
	s_waitcnt lgkmcnt(0)
	v_cmp_gt_i32_e32 vcc, v22, v17
	v_cndmask_b32_e32 v11, v11, v12, vcc
	v_cndmask_b32_e32 v6, v32, v6, vcc
	v_cmp_ge_u32_e32 vcc, v6, v11
	s_or_b64 s[2:3], vcc, s[2:3]
	s_andn2_b64 exec, exec, s[2:3]
	s_cbranch_execnz .LBB2635_76
; %bb.77:
	s_or_b64 exec, exec, s[2:3]
.LBB2635_78:
	s_or_b64 exec, exec, s[0:1]
	v_sub_u32_e32 v9, v9, v6
	v_add_u32_e32 v4, v6, v8
	v_add_u32_e32 v8, v9, v3
	s_movk_i32 s0, 0x401
	v_cmp_le_u32_e32 vcc, v4, v3
	v_cmp_gt_u32_e64 s[0:1], s0, v8
	s_or_b64 s[0:1], vcc, s[0:1]
	s_and_saveexec_b64 s[22:23], s[0:1]
	s_cbranch_execz .LBB2635_84
; %bb.79:
	v_cmp_lt_u32_e32 vcc, v4, v3
	v_mov_b32_e32 v0, 0
	v_mov_b32_e32 v1, 0
	s_and_saveexec_b64 s[0:1], vcc
	s_cbranch_execz .LBB2635_81
; %bb.80:
	v_mad_u64_u32 v[6:7], s[2:3], v6, 20, v[2:3]
	ds_read_b32 v1, v6
.LBB2635_81:
	s_or_b64 exec, exec, s[0:1]
	s_movk_i32 s8, 0x3ff
	s_movk_i32 s7, 0x400
	v_cmp_lt_u32_e64 s[0:1], s8, v8
	v_cmp_gt_u32_e64 s[2:3], s7, v8
	s_and_saveexec_b64 s[4:5], s[2:3]
	s_cbranch_execz .LBB2635_83
; %bb.82:
	v_mul_lo_u32 v0, v8, 20
	ds_read_b32 v0, v0
.LBB2635_83:
	s_or_b64 exec, exec, s[4:5]
	s_waitcnt lgkmcnt(0)
	v_cmp_le_i32_e64 s[2:3], v0, v1
	s_and_b64 s[2:3], vcc, s[2:3]
	s_or_b64 vcc, s[0:1], s[2:3]
	v_cndmask_b32_e32 v2, v8, v4, vcc
	v_add_u32_e32 v5, -1, v3
	v_mov_b32_e32 v6, 0x3ff
	v_add_u32_e32 v2, 1, v2
	v_cndmask_b32_e32 v7, v6, v5, vcc
	v_min_u32_e32 v7, v2, v7
	v_mul_lo_u32 v7, v7, 20
	ds_read_b32 v7, v7
	v_cndmask_b32_e32 v8, v2, v8, vcc
	v_cndmask_b32_e32 v2, v4, v2, vcc
	v_cmp_lt_u32_e64 s[2:3], v2, v3
	v_cmp_lt_u32_e64 s[0:1], s8, v8
	s_waitcnt lgkmcnt(0)
	v_cndmask_b32_e32 v9, v7, v0, vcc
	v_cndmask_b32_e32 v7, v1, v7, vcc
	v_cmp_le_i32_e64 s[4:5], v9, v7
	s_and_b64 s[2:3], s[2:3], s[4:5]
	s_or_b64 s[0:1], s[0:1], s[2:3]
	v_cndmask_b32_e64 v4, v8, v2, s[0:1]
	v_add_u32_e32 v4, 1, v4
	v_cndmask_b32_e64 v10, v6, v5, s[0:1]
	v_min_u32_e32 v10, v4, v10
	v_mul_lo_u32 v10, v10, 20
	ds_read_b32 v10, v10
	v_cndmask_b32_e64 v8, v4, v8, s[0:1]
	v_cndmask_b32_e64 v2, v2, v4, s[0:1]
	v_cmp_lt_u32_e64 s[2:3], s8, v8
	v_cmp_lt_u32_e64 s[4:5], v2, v3
	s_waitcnt lgkmcnt(0)
	v_cndmask_b32_e64 v11, v10, v9, s[0:1]
	v_cndmask_b32_e64 v12, v7, v10, s[0:1]
	v_cmp_le_i32_e64 s[8:9], v11, v12
	s_and_b64 s[4:5], s[4:5], s[8:9]
	s_or_b64 s[2:3], s[2:3], s[4:5]
	v_cndmask_b32_e64 v4, v8, v2, s[2:3]
	v_add_u32_e32 v4, 1, v4
	v_cndmask_b32_e64 v5, v6, v5, s[2:3]
	v_min_u32_e32 v5, v4, v5
	v_mul_lo_u32 v5, v5, 20
	ds_read_b32 v5, v5
	v_cndmask_b32_e32 v10, v0, v1, vcc
	v_cndmask_b32_e64 v2, v2, v4, s[2:3]
	v_cndmask_b32_e64 v1, v4, v8, s[2:3]
	v_cmp_lt_u32_e32 vcc, v2, v3
	s_waitcnt lgkmcnt(0)
	v_cndmask_b32_e64 v0, v12, v5, s[2:3]
	v_cndmask_b32_e64 v5, v5, v11, s[2:3]
	v_max_i32_e32 v4, v5, v0
	v_cndmask_b32_e64 v16, v11, v12, s[2:3]
	v_cndmask_b32_e32 v2, v5, v4, vcc
	v_cmp_gt_u32_e32 vcc, s7, v1
	v_cndmask_b32_e64 v14, v9, v7, s[0:1]
	v_cndmask_b32_e32 v18, v0, v2, vcc
	v_mov_b32_e32 v11, v10
	v_mov_b32_e32 v17, v16
	;; [unrolled: 1-line block ×4, first 2 shown]
	v_pk_mov_b32 v[0:1], v[10:11], v[10:11] op_sel:[0,1]
	v_pk_mov_b32 v[20:21], v[16:17], v[16:17] op_sel:[0,1]
.LBB2635_84:
	s_or_b64 exec, exec, s[22:23]
	s_barrier
	s_barrier
	ds_write2_b32 v31, v0, v1 offset1:1
	ds_write2_b32 v31, v0, v1 offset0:2 offset1:3
	ds_write2_b32 v31, v14, v5 offset0:5 offset1:6
	;; [unrolled: 1-line block ×9, first 2 shown]
	s_waitcnt lgkmcnt(0)
	s_barrier
	ds_read_b32 v2, v27
	ds_read_b32 v28, v28 offset:5120
	ds_read_b32 v32, v29 offset:10240
	;; [unrolled: 1-line block ×3, first 2 shown]
	v_mad_u64_u32 v[8:9], s[0:1], v13, 20, s[14:15]
	s_waitcnt lgkmcnt(3)
	v_mov_b32_e32 v3, v2
	v_mov_b32_e32 v4, v2
	;; [unrolled: 1-line block ×3, first 2 shown]
	s_movk_i32 s0, 0x1000
	flat_store_dwordx4 v[8:9], v[2:5]
	flat_store_dword v[8:9], v2 offset:16
	v_add_co_u32_e32 v2, vcc, s0, v8
	s_waitcnt lgkmcnt(0)
	v_mov_b32_e32 v29, v28
	v_mov_b32_e32 v30, v28
	;; [unrolled: 1-line block ×3, first 2 shown]
	v_addc_co_u32_e32 v3, vcc, 0, v9, vcc
	flat_store_dwordx4 v[2:3], v[28:31] offset:1024
	flat_store_dword v[2:3], v28 offset:1040
	v_add_co_u32_e32 v2, vcc, 0x2000, v8
	v_mov_b32_e32 v33, v32
	v_mov_b32_e32 v34, v32
	;; [unrolled: 1-line block ×3, first 2 shown]
	v_addc_co_u32_e32 v3, vcc, 0, v9, vcc
	flat_store_dwordx4 v[2:3], v[32:35] offset:2048
	flat_store_dword v[2:3], v32 offset:2064
	s_mov_b64 s[22:23], -1
	s_branch .LBB2635_152
.LBB2635_85:
	s_mov_b64 s[22:23], 0
                                        ; implicit-def: $vgpr0
                                        ; implicit-def: $vgpr8_vgpr9
	s_cbranch_execz .LBB2635_152
; %bb.86:
	s_lshl_b64 s[0:1], s[18:19], 10
	s_sub_i32 s18, s20, s0
	v_cmp_gt_u32_e32 vcc, s18, v13
	v_mov_b32_e32 v0, 0
	v_mov_b32_e32 v1, 0
	s_and_saveexec_b64 s[0:1], vcc
	s_cbranch_execz .LBB2635_88
; %bb.87:
	v_mad_u64_u32 v[2:3], s[2:3], v13, 20, s[16:17]
	flat_load_dword v1, v[2:3]
.LBB2635_88:
	s_or_b64 exec, exec, s[0:1]
	v_add_u32_e32 v3, 0x100, v13
	v_cmp_gt_u32_e64 s[2:3], s18, v3
	s_and_saveexec_b64 s[0:1], s[2:3]
	s_cbranch_execz .LBB2635_90
; %bb.89:
	v_mad_u64_u32 v[4:5], s[4:5], v3, 20, s[16:17]
	flat_load_dword v0, v[4:5]
.LBB2635_90:
	s_or_b64 exec, exec, s[0:1]
	v_add_u32_e32 v5, 0x200, v13
	v_cmp_gt_u32_e64 s[0:1], s18, v5
	v_mov_b32_e32 v2, 0
	v_mov_b32_e32 v4, 0
	s_and_saveexec_b64 s[4:5], s[0:1]
	s_cbranch_execz .LBB2635_92
; %bb.91:
	v_mad_u64_u32 v[6:7], s[8:9], v5, 20, s[16:17]
	flat_load_dword v4, v[6:7]
.LBB2635_92:
	s_or_b64 exec, exec, s[4:5]
	v_add_u32_e32 v6, 0x300, v13
	v_cmp_gt_u32_e64 s[22:23], s18, v6
	s_and_saveexec_b64 s[4:5], s[22:23]
	s_cbranch_execz .LBB2635_94
; %bb.93:
	v_mad_u64_u32 v[8:9], s[8:9], v6, 20, s[16:17]
	flat_load_dword v2, v[8:9]
.LBB2635_94:
	s_or_b64 exec, exec, s[4:5]
	v_mad_u32_u24 v16, v26, 20, v25
	s_waitcnt vmcnt(0) lgkmcnt(0)
	ds_write2_b32 v16, v1, v1 offset1:1
	ds_write2_b32 v16, v1, v1 offset0:2 offset1:3
	ds_write_b32 v16, v1 offset:16
	v_lshrrev_b32_e32 v1, 5, v3
	v_mad_u32_u24 v17, v1, 20, v25
	v_add_u32_e32 v1, 0x1400, v17
	ds_write2_b32 v1, v0, v0 offset1:1
	v_add_u32_e32 v1, 0x1408, v17
	ds_write2_b32 v1, v0, v0 offset1:1
	ds_write_b32 v17, v0 offset:5136
	v_lshrrev_b32_e32 v0, 5, v5
	v_mad_u32_u24 v18, v0, 20, v25
	v_add_u32_e32 v0, 0x2800, v18
	ds_write2_b32 v0, v4, v4 offset1:1
	v_add_u32_e32 v0, 0x2808, v18
	ds_write2_b32 v0, v4, v4 offset1:1
	ds_write_b32 v18, v4 offset:10256
	v_lshrrev_b32_e32 v0, 5, v6
	v_mad_u32_u24 v20, v0, 20, v25
	v_add_u32_e32 v0, 0x3c00, v20
	ds_write2_b32 v0, v2, v2 offset1:1
	v_add_u32_e32 v0, 0x3c08, v20
	ds_write2_b32 v0, v2, v2 offset1:1
	ds_write_b32 v20, v2 offset:15376
	v_add_u32_e32 v0, v24, v15
	v_mul_u32_u24_e32 v21, 20, v0
	s_waitcnt lgkmcnt(0)
	s_barrier
	ds_read2_b32 v[0:1], v21 offset1:5
	ds_read2_b32 v[2:3], v21 offset0:10 offset1:15
	s_waitcnt lgkmcnt(0)
	s_barrier
	s_load_dword s4, s[10:11], 0xc
	v_mov_b32_e32 v4, 0
	s_movk_i32 s16, 0x50
	s_waitcnt lgkmcnt(0)
	s_lshr_b32 s8, s4, 16
	s_cmp_lt_u32 s6, s12
	s_cselect_b32 s4, 12, 18
	s_add_u32 s4, s10, s4
	s_addc_u32 s5, s11, 0
	global_load_ushort v5, v4, s[4:5]
	v_mad_u32_u24 v8, v23, s8, v19
	v_mbcnt_lo_u32_b32 v4, -1, 0
	v_mbcnt_hi_u32_b32 v6, -1, v4
	v_cmp_gt_i32_e64 s[4:5], v1, v0
	v_cmp_gt_i32_e64 s[6:7], v3, v2
	v_lshlrev_b32_e32 v22, 2, v6
	v_or_b32_e32 v7, 4, v22
	v_and_b32_e32 v9, 4, v22
	v_and_b32_e32 v4, 0x1f8, v22
	s_waitcnt vmcnt(0)
	v_mul_lo_u32 v5, v8, v5
	v_add_lshl_u32 v5, v5, v13, 2
	v_sub_u32_e64 v8, s18, v5 clamp
	v_cmp_lt_u32_e64 s[8:9], 1, v8
	v_cmp_lt_u32_e64 s[10:11], 3, v8
	v_and_b32_e32 v5, 0xffffff00, v5
	s_and_b64 s[4:5], s[8:9], s[4:5]
	s_and_b64 s[6:7], s[10:11], s[6:7]
	v_sub_u32_e64 v19, s18, v5 clamp
	v_cndmask_b32_e64 v10, v1, v0, s[4:5]
	v_cndmask_b32_e64 v0, v0, v1, s[4:5]
	;; [unrolled: 1-line block ×3, first 2 shown]
	v_cmp_lt_u32_e64 s[12:13], 2, v8
	v_min_u32_e32 v7, v19, v7
	v_cmp_gt_i32_e64 s[4:5], v1, v10
	v_cndmask_b32_e64 v11, v3, v2, s[6:7]
	v_add_u32_e32 v2, 4, v7
	s_and_b64 s[4:5], s[12:13], s[4:5]
	v_mul_lo_u32 v8, v5, 20
	v_min_u32_e32 v5, v19, v9
	v_min_u32_e32 v9, v19, v2
	v_cndmask_b32_e64 v2, v1, v10, s[4:5]
	v_cndmask_b32_e64 v1, v10, v1, s[4:5]
	v_cmp_gt_i32_e64 s[4:5], v11, v2
	v_cmp_gt_i32_e64 s[6:7], v1, v0
	s_and_b64 s[4:5], s[10:11], s[4:5]
	s_and_b64 s[6:7], s[8:9], s[6:7]
	v_cndmask_b32_e64 v14, v11, v2, s[4:5]
	v_cndmask_b32_e64 v12, v1, v0, s[6:7]
	;; [unrolled: 1-line block ×3, first 2 shown]
	v_cmp_gt_i32_e64 s[4:5], v11, v12
	v_cndmask_b32_e64 v0, v0, v1, s[6:7]
	s_and_b64 s[4:5], s[12:13], s[4:5]
	v_mad_u32_u24 v23, v6, s16, v8
	v_cndmask_b32_e64 v10, v11, v12, s[4:5]
	v_mov_b32_e32 v1, v0
	v_mov_b32_e32 v2, v0
	;; [unrolled: 1-line block ×3, first 2 shown]
	v_cndmask_b32_e64 v12, v12, v11, s[4:5]
	ds_write2_b32 v23, v14, v14 offset0:15 offset1:16
	ds_write2_b32 v23, v14, v14 offset0:17 offset1:18
	ds_write_b32 v23, v14 offset:76
	ds_write_b128 v23, v[0:3]
	v_mov_b32_e32 v1, v12
	v_sub_u32_e32 v26, v7, v4
	v_mov_b32_e32 v11, v10
	v_mov_b32_e32 v24, v10
	;; [unrolled: 1-line block ×4, first 2 shown]
	ds_write2_b32 v23, v12, v12 offset0:7 offset1:8
	ds_write2_b64 v23, v[10:11], v[24:25] offset0:5 offset1:6
	ds_write2_b32 v23, v12, v10 offset0:9 offset1:14
	ds_write_b96 v23, v[0:2] offset:16
	v_sub_u32_e32 v1, v9, v7
	v_sub_u32_e64 v1, v5, v1 clamp
	v_min_u32_e32 v3, v5, v26
	v_mad_u32_u24 v6, v4, 20, v8
	v_cmp_lt_u32_e64 s[4:5], v1, v3
	; wave barrier
	s_and_saveexec_b64 s[6:7], s[4:5]
	s_cbranch_execz .LBB2635_98
; %bb.95:
	v_mul_u32_u24_e32 v2, 20, v7
	v_mul_u32_u24_e32 v11, 20, v5
	v_add3_u32 v2, v8, v2, v11
	s_mov_b64 s[8:9], 0
.LBB2635_96:                            ; =>This Inner Loop Header: Depth=1
	v_add_u32_e32 v11, v3, v1
	v_lshrrev_b32_e32 v11, 1, v11
	v_not_b32_e32 v26, v11
	v_mad_u64_u32 v[24:25], s[4:5], v11, 20, v[6:7]
	v_mad_u64_u32 v[26:27], s[4:5], v26, 20, v[2:3]
	ds_read_b32 v24, v24
	ds_read_b32 v25, v26
	v_add_u32_e32 v26, 1, v11
	s_waitcnt lgkmcnt(0)
	v_cmp_gt_i32_e64 s[4:5], v25, v24
	v_cndmask_b32_e64 v3, v3, v11, s[4:5]
	v_cndmask_b32_e64 v1, v26, v1, s[4:5]
	v_cmp_ge_u32_e64 s[4:5], v1, v3
	s_or_b64 s[8:9], s[4:5], s[8:9]
	s_andn2_b64 exec, exec, s[8:9]
	s_cbranch_execnz .LBB2635_96
; %bb.97:
	s_or_b64 exec, exec, s[8:9]
.LBB2635_98:
	s_or_b64 exec, exec, s[6:7]
	v_add_u32_e32 v2, v7, v5
	v_add_u32_e32 v3, v1, v4
	v_sub_u32_e32 v11, v2, v1
	v_cmp_le_u32_e64 s[4:5], v3, v7
	v_cmp_le_u32_e64 s[6:7], v11, v9
	s_or_b64 s[4:5], s[4:5], s[6:7]
	v_pk_mov_b32 v[4:5], v[0:1], v[0:1] op_sel:[0,1]
	s_and_saveexec_b64 s[16:17], s[4:5]
	s_cbranch_execz .LBB2635_104
; %bb.99:
	v_cmp_lt_u32_e64 s[4:5], v3, v7
	v_mov_b32_e32 v0, 0
	v_mov_b32_e32 v2, 0
	s_and_saveexec_b64 s[6:7], s[4:5]
	s_cbranch_execz .LBB2635_101
; %bb.100:
	v_mad_u64_u32 v[4:5], s[8:9], v1, 20, v[6:7]
	ds_read_b32 v2, v4
.LBB2635_101:
	s_or_b64 exec, exec, s[6:7]
	v_cmp_ge_u32_e64 s[6:7], v11, v9
	v_cmp_lt_u32_e64 s[8:9], v11, v9
	s_and_saveexec_b64 s[10:11], s[8:9]
	s_cbranch_execz .LBB2635_103
; %bb.102:
	v_mad_u64_u32 v[0:1], s[8:9], v11, 20, v[8:9]
	ds_read_b32 v0, v0
.LBB2635_103:
	s_or_b64 exec, exec, s[10:11]
	s_waitcnt lgkmcnt(0)
	v_cmp_le_i32_e64 s[8:9], v0, v2
	s_and_b64 s[4:5], s[4:5], s[8:9]
	s_or_b64 s[4:5], s[6:7], s[4:5]
	v_cndmask_b32_e64 v1, v11, v3, s[4:5]
	v_cndmask_b32_e64 v4, v9, v7, s[4:5]
	v_add_u32_e32 v1, 1, v1
	v_add_u32_e32 v4, -1, v4
	v_min_u32_e32 v4, v1, v4
	v_mad_u64_u32 v[4:5], s[6:7], v4, 20, v[8:9]
	ds_read_b32 v4, v4
	v_cndmask_b32_e64 v11, v1, v11, s[4:5]
	v_cndmask_b32_e64 v1, v3, v1, s[4:5]
	v_cmp_lt_u32_e64 s[8:9], v1, v7
	v_cmp_ge_u32_e64 s[6:7], v11, v9
	s_waitcnt lgkmcnt(0)
	v_cndmask_b32_e64 v6, v4, v0, s[4:5]
	v_cndmask_b32_e64 v10, v2, v4, s[4:5]
	v_cmp_le_i32_e64 s[10:11], v6, v10
	s_and_b64 s[8:9], s[8:9], s[10:11]
	s_or_b64 s[6:7], s[6:7], s[8:9]
	v_cndmask_b32_e64 v3, v11, v1, s[6:7]
	v_cndmask_b32_e64 v4, v9, v7, s[6:7]
	v_add_u32_e32 v3, 1, v3
	v_add_u32_e32 v4, -1, v4
	v_min_u32_e32 v4, v3, v4
	v_mad_u64_u32 v[4:5], s[8:9], v4, 20, v[8:9]
	ds_read_b32 v4, v4
	v_cndmask_b32_e64 v1, v1, v3, s[6:7]
	v_cndmask_b32_e64 v11, v3, v11, s[6:7]
	v_cmp_lt_u32_e64 s[10:11], v1, v7
	v_cmp_ge_u32_e64 s[8:9], v11, v9
	s_waitcnt lgkmcnt(0)
	v_cndmask_b32_e64 v14, v4, v6, s[6:7]
	v_cndmask_b32_e64 v24, v10, v4, s[6:7]
	v_cmp_le_i32_e64 s[12:13], v14, v24
	s_and_b64 s[10:11], s[10:11], s[12:13]
	s_or_b64 s[8:9], s[8:9], s[10:11]
	v_cndmask_b32_e64 v3, v11, v1, s[8:9]
	v_cndmask_b32_e64 v4, v9, v7, s[8:9]
	v_add_u32_e32 v3, 1, v3
	v_add_u32_e32 v4, -1, v4
	v_min_u32_e32 v4, v3, v4
	v_mad_u64_u32 v[4:5], s[10:11], v4, 20, v[8:9]
	ds_read_b32 v4, v4
	v_cndmask_b32_e64 v0, v0, v2, s[4:5]
	v_cndmask_b32_e64 v1, v1, v3, s[8:9]
	;; [unrolled: 1-line block ×3, first 2 shown]
	v_cmp_lt_u32_e64 s[4:5], v1, v7
	s_waitcnt lgkmcnt(0)
	v_cndmask_b32_e64 v2, v24, v4, s[8:9]
	v_cndmask_b32_e64 v4, v4, v14, s[8:9]
	v_max_i32_e32 v3, v4, v2
	v_cndmask_b32_e64 v1, v4, v3, s[4:5]
	v_cmp_lt_u32_e64 s[4:5], v5, v9
	v_cndmask_b32_e64 v12, v6, v10, s[6:7]
	v_cndmask_b32_e64 v10, v14, v24, s[8:9]
	;; [unrolled: 1-line block ×3, first 2 shown]
	v_pk_mov_b32 v[4:5], v[0:1], v[0:1] op_sel:[0,1]
.LBB2635_104:
	s_or_b64 exec, exec, s[16:17]
	v_mov_b32_e32 v5, v0
	v_mov_b32_e32 v6, v4
	;; [unrolled: 1-line block ×5, first 2 shown]
	v_and_b32_e32 v25, 0x1f0, v22
	; wave barrier
	ds_write_b128 v23, v[4:7]
	ds_write_b96 v23, v[0:2] offset:16
	ds_write2_b32 v23, v12, v12 offset0:7 offset1:8
	v_or_b32_e32 v1, 8, v25
	v_min_u32_e32 v1, v19, v1
	v_mov_b32_e32 v11, v10
	v_mov_b32_e32 v6, v10
	;; [unrolled: 1-line block ×3, first 2 shown]
	v_add_u32_e32 v2, 8, v1
	ds_write2_b64 v23, v[10:11], v[6:7] offset0:5 offset1:6
	ds_write2_b32 v23, v12, v10 offset0:9 offset1:14
	ds_write2_b32 v23, v14, v14 offset0:15 offset1:16
	;; [unrolled: 1-line block ×3, first 2 shown]
	ds_write_b32 v23, v14 offset:76
	v_min_u32_e32 v7, v19, v2
	v_and_b32_e32 v2, 12, v22
	v_min_u32_e32 v26, v19, v2
	v_sub_u32_e32 v5, v1, v25
	v_sub_u32_e32 v6, v7, v1
	v_sub_u32_e64 v24, v26, v6 clamp
	v_min_u32_e32 v5, v26, v5
	v_mov_b32_e32 v3, v12
	v_mov_b32_e32 v9, v14
	v_mad_u32_u24 v2, v25, 20, v8
	v_cmp_lt_u32_e64 s[4:5], v24, v5
	; wave barrier
	s_and_saveexec_b64 s[6:7], s[4:5]
	s_cbranch_execz .LBB2635_108
; %bb.105:
	v_mul_u32_u24_e32 v6, 20, v1
	v_mul_u32_u24_e32 v11, 20, v26
	v_add3_u32 v6, v8, v6, v11
	s_mov_b64 s[8:9], 0
.LBB2635_106:                           ; =>This Inner Loop Header: Depth=1
	v_add_u32_e32 v11, v5, v24
	v_lshrrev_b32_e32 v11, 1, v11
	v_not_b32_e32 v27, v11
	v_mad_u64_u32 v[28:29], s[4:5], v11, 20, v[2:3]
	v_mad_u64_u32 v[30:31], s[4:5], v27, 20, v[6:7]
	ds_read_b32 v27, v28
	ds_read_b32 v28, v30
	v_add_u32_e32 v29, 1, v11
	s_waitcnt lgkmcnt(0)
	v_cmp_gt_i32_e64 s[4:5], v28, v27
	v_cndmask_b32_e64 v5, v5, v11, s[4:5]
	v_cndmask_b32_e64 v24, v29, v24, s[4:5]
	v_cmp_ge_u32_e64 s[4:5], v24, v5
	s_or_b64 s[8:9], s[4:5], s[8:9]
	s_andn2_b64 exec, exec, s[8:9]
	s_cbranch_execnz .LBB2635_106
; %bb.107:
	s_or_b64 exec, exec, s[8:9]
.LBB2635_108:
	s_or_b64 exec, exec, s[6:7]
	v_add_u32_e32 v6, v24, v25
	v_add_u32_e32 v25, v1, v26
	v_sub_u32_e32 v25, v25, v24
	v_cmp_le_u32_e64 s[4:5], v6, v1
	v_cmp_le_u32_e64 s[6:7], v25, v7
	v_mov_b32_e32 v5, v0
	v_mov_b32_e32 v11, v10
	s_or_b64 s[4:5], s[4:5], s[6:7]
	s_and_saveexec_b64 s[16:17], s[4:5]
	s_cbranch_execz .LBB2635_114
; %bb.109:
	v_cmp_lt_u32_e64 s[4:5], v6, v1
	v_mov_b32_e32 v0, 0
	v_mov_b32_e32 v3, 0
	s_and_saveexec_b64 s[6:7], s[4:5]
	s_cbranch_execz .LBB2635_111
; %bb.110:
	v_mad_u64_u32 v[2:3], s[8:9], v24, 20, v[2:3]
	ds_read_b32 v3, v2
.LBB2635_111:
	s_or_b64 exec, exec, s[6:7]
	v_cmp_ge_u32_e64 s[6:7], v25, v7
	v_cmp_lt_u32_e64 s[8:9], v25, v7
	s_and_saveexec_b64 s[10:11], s[8:9]
	s_cbranch_execz .LBB2635_113
; %bb.112:
	v_mad_u64_u32 v[4:5], s[8:9], v25, 20, v[8:9]
	ds_read_b32 v0, v4
.LBB2635_113:
	s_or_b64 exec, exec, s[10:11]
	s_waitcnt lgkmcnt(0)
	v_cmp_le_i32_e64 s[8:9], v0, v3
	s_and_b64 s[4:5], s[4:5], s[8:9]
	s_or_b64 s[4:5], s[6:7], s[4:5]
	v_cndmask_b32_e64 v2, v25, v6, s[4:5]
	v_cndmask_b32_e64 v4, v7, v1, s[4:5]
	v_add_u32_e32 v2, 1, v2
	v_add_u32_e32 v4, -1, v4
	v_min_u32_e32 v4, v2, v4
	v_mad_u64_u32 v[4:5], s[6:7], v4, 20, v[8:9]
	ds_read_b32 v4, v4
	v_cndmask_b32_e64 v11, v2, v25, s[4:5]
	v_cndmask_b32_e64 v2, v6, v2, s[4:5]
	v_cmp_lt_u32_e64 s[8:9], v2, v1
	v_cmp_ge_u32_e64 s[6:7], v11, v7
	s_waitcnt lgkmcnt(0)
	v_cndmask_b32_e64 v9, v4, v0, s[4:5]
	v_cndmask_b32_e64 v10, v3, v4, s[4:5]
	v_cmp_le_i32_e64 s[10:11], v9, v10
	s_and_b64 s[8:9], s[8:9], s[10:11]
	s_or_b64 s[6:7], s[6:7], s[8:9]
	v_cndmask_b32_e64 v4, v11, v2, s[6:7]
	v_cndmask_b32_e64 v5, v7, v1, s[6:7]
	v_add_u32_e32 v6, 1, v4
	v_add_u32_e32 v4, -1, v5
	v_min_u32_e32 v4, v6, v4
	v_mad_u64_u32 v[4:5], s[8:9], v4, 20, v[8:9]
	ds_read_b32 v4, v4
	v_cndmask_b32_e64 v2, v2, v6, s[6:7]
	v_cndmask_b32_e64 v11, v6, v11, s[6:7]
	v_cmp_lt_u32_e64 s[10:11], v2, v1
	v_cmp_ge_u32_e64 s[8:9], v11, v7
	s_waitcnt lgkmcnt(0)
	v_cndmask_b32_e64 v14, v4, v9, s[6:7]
	v_cndmask_b32_e64 v24, v10, v4, s[6:7]
	v_cmp_le_i32_e64 s[12:13], v14, v24
	s_and_b64 s[10:11], s[10:11], s[12:13]
	s_or_b64 s[8:9], s[8:9], s[10:11]
	v_cndmask_b32_e64 v4, v11, v2, s[8:9]
	v_cndmask_b32_e64 v5, v7, v1, s[8:9]
	v_add_u32_e32 v6, 1, v4
	v_add_u32_e32 v4, -1, v5
	v_min_u32_e32 v4, v6, v4
	v_mad_u64_u32 v[4:5], s[10:11], v4, 20, v[8:9]
	ds_read_b32 v4, v4
	v_cndmask_b32_e64 v0, v0, v3, s[4:5]
	v_cndmask_b32_e64 v2, v2, v6, s[8:9]
	;; [unrolled: 1-line block ×3, first 2 shown]
	v_cmp_lt_u32_e64 s[4:5], v2, v1
	s_waitcnt lgkmcnt(0)
	v_cndmask_b32_e64 v3, v24, v4, s[8:9]
	v_cndmask_b32_e64 v4, v4, v14, s[8:9]
	v_max_i32_e32 v6, v4, v3
	v_cndmask_b32_e64 v1, v4, v6, s[4:5]
	v_cmp_lt_u32_e64 s[4:5], v5, v7
	v_cndmask_b32_e64 v12, v9, v10, s[6:7]
	v_cndmask_b32_e64 v10, v14, v24, s[8:9]
	;; [unrolled: 1-line block ×3, first 2 shown]
	v_mov_b32_e32 v1, v0
	v_mov_b32_e32 v3, v12
	;; [unrolled: 1-line block ×4, first 2 shown]
	v_pk_mov_b32 v[4:5], v[0:1], v[0:1] op_sel:[0,1]
.LBB2635_114:
	s_or_b64 exec, exec, s[16:17]
	v_mov_b32_e32 v6, v4
	v_mov_b32_e32 v7, v5
	;; [unrolled: 1-line block ×4, first 2 shown]
	v_and_b32_e32 v25, 0x1e0, v22
	; wave barrier
	ds_write_b128 v23, v[4:7]
	ds_write_b96 v23, v[0:2] offset:16
	ds_write2_b32 v23, v12, v3 offset0:7 offset1:8
	v_or_b32_e32 v1, 16, v25
	v_min_u32_e32 v1, v19, v1
	v_mov_b32_e32 v6, v10
	v_mov_b32_e32 v7, v11
	v_add_u32_e32 v2, 16, v1
	ds_write2_b64 v23, v[10:11], v[6:7] offset0:5 offset1:6
	ds_write2_b32 v23, v12, v10 offset0:9 offset1:14
	ds_write2_b32 v23, v14, v9 offset0:15 offset1:16
	;; [unrolled: 1-line block ×3, first 2 shown]
	ds_write_b32 v23, v14 offset:76
	v_min_u32_e32 v7, v19, v2
	v_and_b32_e32 v2, 28, v22
	v_min_u32_e32 v26, v19, v2
	v_sub_u32_e32 v6, v1, v25
	v_sub_u32_e32 v24, v7, v1
	v_sub_u32_e64 v24, v26, v24 clamp
	v_min_u32_e32 v27, v26, v6
	v_mad_u32_u24 v2, v25, 20, v8
	v_cmp_lt_u32_e64 s[4:5], v24, v27
	; wave barrier
	s_and_saveexec_b64 s[6:7], s[4:5]
	s_cbranch_execz .LBB2635_118
; %bb.115:
	v_mul_u32_u24_e32 v6, 20, v1
	v_mul_u32_u24_e32 v28, 20, v26
	v_add3_u32 v6, v8, v6, v28
	s_mov_b64 s[8:9], 0
.LBB2635_116:                           ; =>This Inner Loop Header: Depth=1
	v_add_u32_e32 v28, v27, v24
	v_lshrrev_b32_e32 v32, 1, v28
	v_not_b32_e32 v30, v32
	v_mad_u64_u32 v[28:29], s[4:5], v32, 20, v[2:3]
	v_mad_u64_u32 v[30:31], s[4:5], v30, 20, v[6:7]
	ds_read_b32 v28, v28
	ds_read_b32 v29, v30
	v_add_u32_e32 v30, 1, v32
	s_waitcnt lgkmcnt(0)
	v_cmp_gt_i32_e64 s[4:5], v29, v28
	v_cndmask_b32_e64 v27, v27, v32, s[4:5]
	v_cndmask_b32_e64 v24, v30, v24, s[4:5]
	v_cmp_ge_u32_e64 s[4:5], v24, v27
	s_or_b64 s[8:9], s[4:5], s[8:9]
	s_andn2_b64 exec, exec, s[8:9]
	s_cbranch_execnz .LBB2635_116
; %bb.117:
	s_or_b64 exec, exec, s[8:9]
.LBB2635_118:
	s_or_b64 exec, exec, s[6:7]
	v_add_u32_e32 v6, v24, v25
	v_add_u32_e32 v25, v1, v26
	v_sub_u32_e32 v25, v25, v24
	v_cmp_le_u32_e64 s[4:5], v6, v1
	v_cmp_le_u32_e64 s[6:7], v25, v7
	s_or_b64 s[4:5], s[4:5], s[6:7]
	s_and_saveexec_b64 s[16:17], s[4:5]
	s_cbranch_execz .LBB2635_124
; %bb.119:
	v_cmp_lt_u32_e64 s[4:5], v6, v1
	v_mov_b32_e32 v0, 0
	v_mov_b32_e32 v3, 0
	s_and_saveexec_b64 s[6:7], s[4:5]
	s_cbranch_execz .LBB2635_121
; %bb.120:
	v_mad_u64_u32 v[2:3], s[8:9], v24, 20, v[2:3]
	ds_read_b32 v3, v2
.LBB2635_121:
	s_or_b64 exec, exec, s[6:7]
	v_cmp_ge_u32_e64 s[6:7], v25, v7
	v_cmp_lt_u32_e64 s[8:9], v25, v7
	s_and_saveexec_b64 s[10:11], s[8:9]
	s_cbranch_execz .LBB2635_123
; %bb.122:
	v_mad_u64_u32 v[4:5], s[8:9], v25, 20, v[8:9]
	ds_read_b32 v0, v4
.LBB2635_123:
	s_or_b64 exec, exec, s[10:11]
	s_waitcnt lgkmcnt(0)
	v_cmp_le_i32_e64 s[8:9], v0, v3
	s_and_b64 s[4:5], s[4:5], s[8:9]
	s_or_b64 s[4:5], s[6:7], s[4:5]
	v_cndmask_b32_e64 v2, v25, v6, s[4:5]
	v_cndmask_b32_e64 v4, v7, v1, s[4:5]
	v_add_u32_e32 v2, 1, v2
	v_add_u32_e32 v4, -1, v4
	v_min_u32_e32 v4, v2, v4
	v_mad_u64_u32 v[4:5], s[6:7], v4, 20, v[8:9]
	ds_read_b32 v4, v4
	v_cndmask_b32_e64 v11, v2, v25, s[4:5]
	v_cndmask_b32_e64 v2, v6, v2, s[4:5]
	v_cmp_lt_u32_e64 s[8:9], v2, v1
	v_cmp_ge_u32_e64 s[6:7], v11, v7
	s_waitcnt lgkmcnt(0)
	v_cndmask_b32_e64 v9, v4, v0, s[4:5]
	v_cndmask_b32_e64 v10, v3, v4, s[4:5]
	v_cmp_le_i32_e64 s[10:11], v9, v10
	s_and_b64 s[8:9], s[8:9], s[10:11]
	s_or_b64 s[6:7], s[6:7], s[8:9]
	v_cndmask_b32_e64 v4, v11, v2, s[6:7]
	v_cndmask_b32_e64 v5, v7, v1, s[6:7]
	v_add_u32_e32 v6, 1, v4
	v_add_u32_e32 v4, -1, v5
	v_min_u32_e32 v4, v6, v4
	v_mad_u64_u32 v[4:5], s[8:9], v4, 20, v[8:9]
	ds_read_b32 v4, v4
	v_cndmask_b32_e64 v2, v2, v6, s[6:7]
	v_cndmask_b32_e64 v11, v6, v11, s[6:7]
	v_cmp_lt_u32_e64 s[10:11], v2, v1
	v_cmp_ge_u32_e64 s[8:9], v11, v7
	s_waitcnt lgkmcnt(0)
	v_cndmask_b32_e64 v14, v4, v9, s[6:7]
	v_cndmask_b32_e64 v24, v10, v4, s[6:7]
	v_cmp_le_i32_e64 s[12:13], v14, v24
	s_and_b64 s[10:11], s[10:11], s[12:13]
	s_or_b64 s[8:9], s[8:9], s[10:11]
	v_cndmask_b32_e64 v4, v11, v2, s[8:9]
	v_cndmask_b32_e64 v5, v7, v1, s[8:9]
	v_add_u32_e32 v6, 1, v4
	v_add_u32_e32 v4, -1, v5
	v_min_u32_e32 v4, v6, v4
	v_mad_u64_u32 v[4:5], s[10:11], v4, 20, v[8:9]
	ds_read_b32 v4, v4
	v_cndmask_b32_e64 v0, v0, v3, s[4:5]
	v_cndmask_b32_e64 v2, v2, v6, s[8:9]
	;; [unrolled: 1-line block ×3, first 2 shown]
	v_cmp_lt_u32_e64 s[4:5], v2, v1
	s_waitcnt lgkmcnt(0)
	v_cndmask_b32_e64 v3, v24, v4, s[8:9]
	v_cndmask_b32_e64 v4, v4, v14, s[8:9]
	v_max_i32_e32 v6, v4, v3
	v_cndmask_b32_e64 v1, v4, v6, s[4:5]
	v_cmp_lt_u32_e64 s[4:5], v5, v7
	v_cndmask_b32_e64 v12, v9, v10, s[6:7]
	v_cndmask_b32_e64 v10, v14, v24, s[8:9]
	;; [unrolled: 1-line block ×3, first 2 shown]
	v_mov_b32_e32 v1, v0
	v_mov_b32_e32 v3, v12
	;; [unrolled: 1-line block ×4, first 2 shown]
	v_pk_mov_b32 v[4:5], v[0:1], v[0:1] op_sel:[0,1]
.LBB2635_124:
	s_or_b64 exec, exec, s[16:17]
	v_mov_b32_e32 v6, v4
	v_mov_b32_e32 v7, v5
	; wave barrier
	ds_write_b128 v23, v[4:7]
	v_mov_b32_e32 v1, v12
	v_mov_b32_e32 v2, v3
	v_and_b32_e32 v6, 0x1c0, v22
	ds_write_b96 v23, v[0:2] offset:16
	ds_write2_b32 v23, v12, v3 offset0:7 offset1:8
	v_or_b32_e32 v1, 32, v6
	v_mov_b32_e32 v2, v10
	v_mov_b32_e32 v3, v11
	v_min_u32_e32 v1, v19, v1
	ds_write2_b64 v23, v[10:11], v[2:3] offset0:5 offset1:6
	ds_write2_b32 v23, v12, v10 offset0:9 offset1:14
	ds_write2_b32 v23, v14, v9 offset0:15 offset1:16
	;; [unrolled: 1-line block ×3, first 2 shown]
	ds_write_b32 v23, v14 offset:76
	v_add_u32_e32 v2, 32, v1
	v_min_u32_e32 v3, v19, v2
	v_and_b32_e32 v2, 60, v22
	v_min_u32_e32 v7, v19, v2
	v_sub_u32_e32 v4, v1, v6
	v_sub_u32_e32 v5, v3, v1
	v_sub_u32_e64 v5, v7, v5 clamp
	v_min_u32_e32 v9, v7, v4
	v_mad_u32_u24 v2, v6, 20, v8
	v_cmp_lt_u32_e64 s[4:5], v5, v9
	; wave barrier
	s_and_saveexec_b64 s[6:7], s[4:5]
	s_cbranch_execz .LBB2635_128
; %bb.125:
	v_mul_u32_u24_e32 v4, 20, v1
	v_mul_u32_u24_e32 v11, 20, v7
	v_add3_u32 v4, v8, v4, v11
	s_mov_b64 s[8:9], 0
.LBB2635_126:                           ; =>This Inner Loop Header: Depth=1
	v_add_u32_e32 v11, v9, v5
	v_lshrrev_b32_e32 v11, 1, v11
	v_not_b32_e32 v19, v11
	v_mad_u64_u32 v[22:23], s[4:5], v11, 20, v[2:3]
	v_mad_u64_u32 v[24:25], s[4:5], v19, 20, v[4:5]
	ds_read_b32 v19, v22
	ds_read_b32 v22, v24
	v_add_u32_e32 v23, 1, v11
	s_waitcnt lgkmcnt(0)
	v_cmp_gt_i32_e64 s[4:5], v22, v19
	v_cndmask_b32_e64 v9, v9, v11, s[4:5]
	v_cndmask_b32_e64 v5, v23, v5, s[4:5]
	v_cmp_ge_u32_e64 s[4:5], v5, v9
	s_or_b64 s[8:9], s[4:5], s[8:9]
	s_andn2_b64 exec, exec, s[8:9]
	s_cbranch_execnz .LBB2635_126
; %bb.127:
	s_or_b64 exec, exec, s[8:9]
.LBB2635_128:
	s_or_b64 exec, exec, s[6:7]
	v_add_u32_e32 v4, v1, v7
	v_add_u32_e32 v6, v5, v6
	v_sub_u32_e32 v7, v4, v5
	v_cmp_le_u32_e64 s[4:5], v6, v1
	v_cmp_le_u32_e64 s[6:7], v7, v3
	s_or_b64 s[4:5], s[4:5], s[6:7]
	s_and_saveexec_b64 s[16:17], s[4:5]
	s_cbranch_execz .LBB2635_134
; %bb.129:
	v_cmp_lt_u32_e64 s[4:5], v6, v1
	v_mov_b32_e32 v0, 0
	v_mov_b32_e32 v4, 0
	s_and_saveexec_b64 s[6:7], s[4:5]
	s_cbranch_execz .LBB2635_131
; %bb.130:
	v_mad_u64_u32 v[4:5], s[8:9], v5, 20, v[2:3]
	ds_read_b32 v4, v4
.LBB2635_131:
	s_or_b64 exec, exec, s[6:7]
	v_cmp_ge_u32_e64 s[6:7], v7, v3
	v_cmp_lt_u32_e64 s[8:9], v7, v3
	s_and_saveexec_b64 s[10:11], s[8:9]
	s_cbranch_execz .LBB2635_133
; %bb.132:
	v_mad_u64_u32 v[10:11], s[8:9], v7, 20, v[8:9]
	ds_read_b32 v0, v10
.LBB2635_133:
	s_or_b64 exec, exec, s[10:11]
	s_waitcnt lgkmcnt(0)
	v_cmp_le_i32_e64 s[8:9], v0, v4
	s_and_b64 s[4:5], s[4:5], s[8:9]
	s_or_b64 s[4:5], s[6:7], s[4:5]
	v_cndmask_b32_e64 v2, v7, v6, s[4:5]
	v_cndmask_b32_e64 v5, v3, v1, s[4:5]
	v_add_u32_e32 v2, 1, v2
	v_add_u32_e32 v5, -1, v5
	v_min_u32_e32 v5, v2, v5
	v_mad_u64_u32 v[10:11], s[6:7], v5, 20, v[8:9]
	ds_read_b32 v5, v10
	v_cndmask_b32_e64 v10, v2, v7, s[4:5]
	v_cndmask_b32_e64 v2, v6, v2, s[4:5]
	v_cmp_lt_u32_e64 s[8:9], v2, v1
	v_cmp_ge_u32_e64 s[6:7], v10, v3
	s_waitcnt lgkmcnt(0)
	v_cndmask_b32_e64 v9, v5, v0, s[4:5]
	v_cndmask_b32_e64 v5, v4, v5, s[4:5]
	v_cmp_le_i32_e64 s[10:11], v9, v5
	s_and_b64 s[8:9], s[8:9], s[10:11]
	s_or_b64 s[6:7], s[6:7], s[8:9]
	v_cndmask_b32_e64 v6, v10, v2, s[6:7]
	v_cndmask_b32_e64 v7, v3, v1, s[6:7]
	v_add_u32_e32 v11, 1, v6
	v_add_u32_e32 v6, -1, v7
	v_min_u32_e32 v6, v11, v6
	v_mad_u64_u32 v[6:7], s[8:9], v6, 20, v[8:9]
	ds_read_b32 v6, v6
	v_cndmask_b32_e64 v2, v2, v11, s[6:7]
	v_cndmask_b32_e64 v22, v11, v10, s[6:7]
	v_cmp_lt_u32_e64 s[10:11], v2, v1
	v_cmp_ge_u32_e64 s[8:9], v22, v3
	s_waitcnt lgkmcnt(0)
	v_cndmask_b32_e64 v14, v6, v9, s[6:7]
	v_cndmask_b32_e64 v19, v5, v6, s[6:7]
	v_cmp_le_i32_e64 s[12:13], v14, v19
	s_and_b64 s[10:11], s[10:11], s[12:13]
	s_or_b64 s[8:9], s[8:9], s[10:11]
	v_cndmask_b32_e64 v6, v22, v2, s[8:9]
	v_cndmask_b32_e64 v7, v3, v1, s[8:9]
	v_add_u32_e32 v11, 1, v6
	v_add_u32_e32 v6, -1, v7
	v_min_u32_e32 v6, v11, v6
	v_mad_u64_u32 v[6:7], s[10:11], v6, 20, v[8:9]
	ds_read_b32 v6, v6
	v_cndmask_b32_e64 v0, v0, v4, s[4:5]
	v_cndmask_b32_e64 v2, v2, v11, s[8:9]
	;; [unrolled: 1-line block ×4, first 2 shown]
	s_waitcnt lgkmcnt(0)
	v_cndmask_b32_e64 v4, v19, v6, s[8:9]
	v_cndmask_b32_e64 v6, v6, v14, s[8:9]
	v_max_i32_e32 v7, v6, v4
	v_cmp_lt_u32_e64 s[4:5], v2, v1
	v_cndmask_b32_e64 v1, v6, v7, s[4:5]
	v_cmp_lt_u32_e64 s[4:5], v5, v3
	v_cndmask_b32_e64 v10, v14, v19, s[8:9]
	v_cndmask_b32_e64 v14, v4, v1, s[4:5]
.LBB2635_134:
	s_or_b64 exec, exec, s[16:17]
	s_cmpk_lt_u32 s18, 0x41
	; wave barrier
	s_waitcnt lgkmcnt(0)
	s_barrier
	s_cbranch_scc1 .LBB2635_147
; %bb.135:
	v_mul_u32_u24_e32 v5, 20, v15
	s_mov_b32 s19, 64
	s_branch .LBB2635_138
.LBB2635_136:                           ;   in Loop: Header=BB2635_138 Depth=1
	s_or_b64 exec, exec, s[10:11]
	s_waitcnt lgkmcnt(0)
	v_cmp_le_i32_e64 s[8:9], v0, v4
	s_and_b64 s[4:5], s[4:5], s[8:9]
	s_or_b64 s[4:5], s[6:7], s[4:5]
	v_cndmask_b32_e64 v2, v8, v7, s[4:5]
	v_cndmask_b32_e64 v6, v3, v1, s[4:5]
	v_add_u32_e32 v2, 1, v2
	v_add_u32_e32 v6, -1, v6
	v_min_u32_e32 v6, v2, v6
	v_mul_lo_u32 v6, v6, 20
	ds_read_b32 v6, v6
	v_cndmask_b32_e64 v8, v2, v8, s[4:5]
	v_cndmask_b32_e64 v2, v7, v2, s[4:5]
	v_cmp_lt_u32_e64 s[8:9], v2, v1
	v_cmp_ge_u32_e64 s[6:7], v8, v3
	s_waitcnt lgkmcnt(0)
	v_cndmask_b32_e64 v9, v6, v0, s[4:5]
	v_cndmask_b32_e64 v6, v4, v6, s[4:5]
	v_cmp_le_i32_e64 s[10:11], v9, v6
	s_and_b64 s[8:9], s[8:9], s[10:11]
	s_or_b64 s[6:7], s[6:7], s[8:9]
	v_cndmask_b32_e64 v7, v8, v2, s[6:7]
	v_cndmask_b32_e64 v10, v3, v1, s[6:7]
	v_add_u32_e32 v7, 1, v7
	v_add_u32_e32 v10, -1, v10
	v_min_u32_e32 v10, v7, v10
	v_mul_lo_u32 v10, v10, 20
	ds_read_b32 v10, v10
	v_cndmask_b32_e64 v2, v2, v7, s[6:7]
	v_cndmask_b32_e64 v8, v7, v8, s[6:7]
	v_cmp_lt_u32_e64 s[10:11], v2, v1
	v_cmp_ge_u32_e64 s[8:9], v8, v3
	s_waitcnt lgkmcnt(0)
	v_cndmask_b32_e64 v11, v10, v9, s[6:7]
	v_cndmask_b32_e64 v14, v6, v10, s[6:7]
	v_cmp_le_i32_e64 s[12:13], v11, v14
	s_and_b64 s[10:11], s[10:11], s[12:13]
	s_or_b64 s[8:9], s[8:9], s[10:11]
	v_cndmask_b32_e64 v7, v8, v2, s[8:9]
	v_cndmask_b32_e64 v10, v3, v1, s[8:9]
	v_add_u32_e32 v7, 1, v7
	v_add_u32_e32 v10, -1, v10
	v_min_u32_e32 v10, v7, v10
	v_mul_lo_u32 v10, v10, 20
	ds_read_b32 v19, v10
	v_cndmask_b32_e64 v0, v0, v4, s[4:5]
	v_cndmask_b32_e64 v12, v9, v6, s[6:7]
	v_cndmask_b32_e64 v6, v7, v8, s[8:9]
	v_cndmask_b32_e64 v2, v2, v7, s[8:9]
	s_waitcnt lgkmcnt(0)
	v_cndmask_b32_e64 v4, v14, v19, s[8:9]
	v_cndmask_b32_e64 v8, v19, v11, s[8:9]
	v_max_i32_e32 v7, v8, v4
	v_cmp_lt_u32_e64 s[4:5], v2, v1
	v_cndmask_b32_e64 v1, v8, v7, s[4:5]
	v_cmp_lt_u32_e64 s[4:5], v6, v3
	v_cndmask_b32_e64 v10, v11, v14, s[8:9]
	v_cndmask_b32_e64 v14, v4, v1, s[4:5]
.LBB2635_137:                           ;   in Loop: Header=BB2635_138 Depth=1
	s_or_b64 exec, exec, s[16:17]
	s_cmp_lt_u32 s19, s18
	s_barrier
	s_cbranch_scc0 .LBB2635_147
.LBB2635_138:                           ; =>This Loop Header: Depth=1
                                        ;     Child Loop BB2635_140 Depth 2
	s_mov_b32 s4, s19
	s_lshl_b32 s19, s19, 1
	v_mov_b32_e32 v1, v0
	v_mov_b32_e32 v2, v0
	;; [unrolled: 1-line block ×3, first 2 shown]
	s_sub_i32 s6, 0, s19
	ds_write_b128 v5, v[0:3]
	v_mov_b32_e32 v1, v12
	v_mov_b32_e32 v2, v12
	v_and_b32_e32 v7, s6, v15
	ds_write_b96 v5, v[0:2] offset:16
	ds_write2_b32 v5, v12, v12 offset0:7 offset1:8
	v_add_u32_e32 v1, s4, v7
	v_mov_b32_e32 v11, v10
	v_mov_b32_e32 v2, v10
	;; [unrolled: 1-line block ×3, first 2 shown]
	v_min_u32_e32 v1, s18, v1
	ds_write2_b64 v5, v[10:11], v[2:3] offset0:5 offset1:6
	ds_write2_b32 v5, v12, v10 offset0:9 offset1:14
	ds_write2_b32 v5, v14, v14 offset0:15 offset1:16
	;; [unrolled: 1-line block ×3, first 2 shown]
	ds_write_b32 v5, v14 offset:76
	s_add_i32 s5, s19, -1
	v_add_u32_e32 v2, s4, v1
	v_min_u32_e32 v3, s18, v2
	v_and_b32_e32 v2, s5, v15
	v_min_u32_e32 v8, s18, v2
	v_sub_u32_e32 v4, v1, v7
	v_sub_u32_e32 v6, v3, v1
	v_sub_u32_e64 v6, v8, v6 clamp
	v_min_u32_e32 v9, v8, v4
	v_mul_u32_u24_e32 v2, 20, v7
	v_cmp_lt_u32_e64 s[4:5], v6, v9
	s_waitcnt lgkmcnt(0)
	s_barrier
	s_and_saveexec_b64 s[6:7], s[4:5]
	s_cbranch_execz .LBB2635_142
; %bb.139:                              ;   in Loop: Header=BB2635_138 Depth=1
	v_mul_lo_u32 v4, v1, 20
	v_mad_u32_u24 v4, v8, 20, v4
	s_mov_b64 s[8:9], 0
.LBB2635_140:                           ;   Parent Loop BB2635_138 Depth=1
                                        ; =>  This Inner Loop Header: Depth=2
	v_add_u32_e32 v11, v9, v6
	v_lshrrev_b32_e32 v11, 1, v11
	v_not_b32_e32 v19, v11
	v_mad_u64_u32 v[22:23], s[4:5], v11, 20, v[2:3]
	v_mad_u64_u32 v[24:25], s[4:5], v19, 20, v[4:5]
	ds_read_b32 v19, v22
	ds_read_b32 v22, v24
	v_add_u32_e32 v23, 1, v11
	s_waitcnt lgkmcnt(0)
	v_cmp_gt_i32_e64 s[4:5], v22, v19
	v_cndmask_b32_e64 v9, v9, v11, s[4:5]
	v_cndmask_b32_e64 v6, v23, v6, s[4:5]
	v_cmp_ge_u32_e64 s[4:5], v6, v9
	s_or_b64 s[8:9], s[4:5], s[8:9]
	s_andn2_b64 exec, exec, s[8:9]
	s_cbranch_execnz .LBB2635_140
; %bb.141:                              ;   in Loop: Header=BB2635_138 Depth=1
	s_or_b64 exec, exec, s[8:9]
.LBB2635_142:                           ;   in Loop: Header=BB2635_138 Depth=1
	s_or_b64 exec, exec, s[6:7]
	v_sub_u32_e32 v4, v8, v6
	v_add_u32_e32 v7, v6, v7
	v_add_u32_e32 v8, v4, v1
	v_cmp_le_u32_e64 s[4:5], v7, v1
	v_cmp_le_u32_e64 s[6:7], v8, v3
	s_or_b64 s[4:5], s[4:5], s[6:7]
	s_and_saveexec_b64 s[16:17], s[4:5]
	s_cbranch_execz .LBB2635_137
; %bb.143:                              ;   in Loop: Header=BB2635_138 Depth=1
	v_cmp_lt_u32_e64 s[4:5], v7, v1
	v_mov_b32_e32 v0, 0
	v_mov_b32_e32 v4, 0
	s_and_saveexec_b64 s[6:7], s[4:5]
	s_cbranch_execz .LBB2635_145
; %bb.144:                              ;   in Loop: Header=BB2635_138 Depth=1
	v_mad_u64_u32 v[10:11], s[8:9], v6, 20, v[2:3]
	ds_read_b32 v4, v10
.LBB2635_145:                           ;   in Loop: Header=BB2635_138 Depth=1
	s_or_b64 exec, exec, s[6:7]
	v_cmp_ge_u32_e64 s[6:7], v8, v3
	v_cmp_lt_u32_e64 s[8:9], v8, v3
	s_and_saveexec_b64 s[10:11], s[8:9]
	s_cbranch_execz .LBB2635_136
; %bb.146:                              ;   in Loop: Header=BB2635_138 Depth=1
	v_mul_lo_u32 v0, v8, 20
	ds_read_b32 v0, v0
	s_branch .LBB2635_136
.LBB2635_147:
	s_barrier
	ds_write2_b32 v21, v0, v0 offset1:1
	ds_write2_b32 v21, v0, v0 offset0:2 offset1:3
	ds_write2_b32 v21, v12, v12 offset0:5 offset1:6
	;; [unrolled: 1-line block ×9, first 2 shown]
	s_waitcnt lgkmcnt(0)
	s_barrier
	ds_read_b32 v4, v17 offset:5120
	ds_read_b32 v2, v18 offset:10240
	;; [unrolled: 1-line block ×3, first 2 shown]
	v_mad_u64_u32 v[8:9], s[4:5], v13, 20, s[14:15]
	s_and_saveexec_b64 s[4:5], vcc
	s_cbranch_execnz .LBB2635_155
; %bb.148:
	s_or_b64 exec, exec, s[4:5]
	s_and_saveexec_b64 s[4:5], s[2:3]
	s_cbranch_execnz .LBB2635_156
.LBB2635_149:
	s_or_b64 exec, exec, s[4:5]
	s_and_saveexec_b64 s[2:3], s[0:1]
	s_cbranch_execz .LBB2635_151
.LBB2635_150:
	v_add_co_u32_e32 v6, vcc, 0x2000, v8
	s_waitcnt lgkmcnt(0)
	v_mov_b32_e32 v3, v2
	v_mov_b32_e32 v4, v2
	;; [unrolled: 1-line block ×3, first 2 shown]
	v_addc_co_u32_e32 v7, vcc, 0, v9, vcc
	flat_store_dwordx4 v[6:7], v[2:5] offset:2048
	flat_store_dword v[6:7], v2 offset:2064
.LBB2635_151:
	s_or_b64 exec, exec, s[2:3]
.LBB2635_152:
	s_and_saveexec_b64 s[0:1], s[22:23]
	s_cbranch_execz .LBB2635_154
; %bb.153:
	s_waitcnt lgkmcnt(0)
	v_add_co_u32_e32 v4, vcc, 0x3000, v8
	v_mov_b32_e32 v1, v0
	v_mov_b32_e32 v2, v0
	;; [unrolled: 1-line block ×3, first 2 shown]
	v_addc_co_u32_e32 v5, vcc, 0, v9, vcc
	flat_store_dwordx4 v[4:5], v[0:3] offset:3072
	flat_store_dword v[4:5], v0 offset:3088
.LBB2635_154:
	s_endpgm
.LBB2635_155:
	ds_read_b32 v10, v16
	s_waitcnt lgkmcnt(0)
	v_mov_b32_e32 v11, v10
	v_mov_b32_e32 v12, v10
	;; [unrolled: 1-line block ×3, first 2 shown]
	flat_store_dwordx4 v[8:9], v[10:13]
	flat_store_dword v[8:9], v10 offset:16
	s_or_b64 exec, exec, s[4:5]
	s_and_saveexec_b64 s[4:5], s[2:3]
	s_cbranch_execz .LBB2635_149
.LBB2635_156:
	v_add_co_u32_e32 v10, vcc, 0x1000, v8
	s_waitcnt lgkmcnt(0)
	v_mov_b32_e32 v5, v4
	v_mov_b32_e32 v6, v4
	;; [unrolled: 1-line block ×3, first 2 shown]
	v_addc_co_u32_e32 v11, vcc, 0, v9, vcc
	flat_store_dwordx4 v[10:11], v[4:7] offset:1024
	flat_store_dword v[10:11], v4 offset:1040
	s_or_b64 exec, exec, s[4:5]
	s_and_saveexec_b64 s[2:3], s[0:1]
	s_cbranch_execnz .LBB2635_150
	s_branch .LBB2635_151
	.section	.rodata,"a",@progbits
	.p2align	6, 0x0
	.amdhsa_kernel _ZN7rocprim17ROCPRIM_400000_NS6detail17trampoline_kernelINS0_14default_configENS1_37merge_sort_block_sort_config_selectorI14custom_numericNS0_10empty_typeEEEZNS1_21merge_sort_block_sortIS3_N6thrust23THRUST_200600_302600_NS6detail15normal_iteratorINSA_10device_ptrIS5_EEEESF_PS6_SG_NSA_7greaterIS5_EEEE10hipError_tT0_T1_T2_T3_mRjT4_P12ihipStream_tbNS1_7vsmem_tEEUlT_E_NS1_11comp_targetILNS1_3genE4ELNS1_11target_archE910ELNS1_3gpuE8ELNS1_3repE0EEENS1_30default_config_static_selectorELNS0_4arch9wavefront6targetE1EEEvSL_
		.amdhsa_group_segment_fixed_size 21120
		.amdhsa_private_segment_fixed_size 0
		.amdhsa_kernarg_size 320
		.amdhsa_user_sgpr_count 6
		.amdhsa_user_sgpr_private_segment_buffer 1
		.amdhsa_user_sgpr_dispatch_ptr 0
		.amdhsa_user_sgpr_queue_ptr 0
		.amdhsa_user_sgpr_kernarg_segment_ptr 1
		.amdhsa_user_sgpr_dispatch_id 0
		.amdhsa_user_sgpr_flat_scratch_init 0
		.amdhsa_user_sgpr_kernarg_preload_length 0
		.amdhsa_user_sgpr_kernarg_preload_offset 0
		.amdhsa_user_sgpr_private_segment_size 0
		.amdhsa_uses_dynamic_stack 0
		.amdhsa_system_sgpr_private_segment_wavefront_offset 0
		.amdhsa_system_sgpr_workgroup_id_x 1
		.amdhsa_system_sgpr_workgroup_id_y 1
		.amdhsa_system_sgpr_workgroup_id_z 1
		.amdhsa_system_sgpr_workgroup_info 0
		.amdhsa_system_vgpr_workitem_id 2
		.amdhsa_next_free_vgpr 40
		.amdhsa_next_free_sgpr 24
		.amdhsa_accum_offset 40
		.amdhsa_reserve_vcc 1
		.amdhsa_reserve_flat_scratch 0
		.amdhsa_float_round_mode_32 0
		.amdhsa_float_round_mode_16_64 0
		.amdhsa_float_denorm_mode_32 3
		.amdhsa_float_denorm_mode_16_64 3
		.amdhsa_dx10_clamp 1
		.amdhsa_ieee_mode 1
		.amdhsa_fp16_overflow 0
		.amdhsa_tg_split 0
		.amdhsa_exception_fp_ieee_invalid_op 0
		.amdhsa_exception_fp_denorm_src 0
		.amdhsa_exception_fp_ieee_div_zero 0
		.amdhsa_exception_fp_ieee_overflow 0
		.amdhsa_exception_fp_ieee_underflow 0
		.amdhsa_exception_fp_ieee_inexact 0
		.amdhsa_exception_int_div_zero 0
	.end_amdhsa_kernel
	.section	.text._ZN7rocprim17ROCPRIM_400000_NS6detail17trampoline_kernelINS0_14default_configENS1_37merge_sort_block_sort_config_selectorI14custom_numericNS0_10empty_typeEEEZNS1_21merge_sort_block_sortIS3_N6thrust23THRUST_200600_302600_NS6detail15normal_iteratorINSA_10device_ptrIS5_EEEESF_PS6_SG_NSA_7greaterIS5_EEEE10hipError_tT0_T1_T2_T3_mRjT4_P12ihipStream_tbNS1_7vsmem_tEEUlT_E_NS1_11comp_targetILNS1_3genE4ELNS1_11target_archE910ELNS1_3gpuE8ELNS1_3repE0EEENS1_30default_config_static_selectorELNS0_4arch9wavefront6targetE1EEEvSL_,"axG",@progbits,_ZN7rocprim17ROCPRIM_400000_NS6detail17trampoline_kernelINS0_14default_configENS1_37merge_sort_block_sort_config_selectorI14custom_numericNS0_10empty_typeEEEZNS1_21merge_sort_block_sortIS3_N6thrust23THRUST_200600_302600_NS6detail15normal_iteratorINSA_10device_ptrIS5_EEEESF_PS6_SG_NSA_7greaterIS5_EEEE10hipError_tT0_T1_T2_T3_mRjT4_P12ihipStream_tbNS1_7vsmem_tEEUlT_E_NS1_11comp_targetILNS1_3genE4ELNS1_11target_archE910ELNS1_3gpuE8ELNS1_3repE0EEENS1_30default_config_static_selectorELNS0_4arch9wavefront6targetE1EEEvSL_,comdat
.Lfunc_end2635:
	.size	_ZN7rocprim17ROCPRIM_400000_NS6detail17trampoline_kernelINS0_14default_configENS1_37merge_sort_block_sort_config_selectorI14custom_numericNS0_10empty_typeEEEZNS1_21merge_sort_block_sortIS3_N6thrust23THRUST_200600_302600_NS6detail15normal_iteratorINSA_10device_ptrIS5_EEEESF_PS6_SG_NSA_7greaterIS5_EEEE10hipError_tT0_T1_T2_T3_mRjT4_P12ihipStream_tbNS1_7vsmem_tEEUlT_E_NS1_11comp_targetILNS1_3genE4ELNS1_11target_archE910ELNS1_3gpuE8ELNS1_3repE0EEENS1_30default_config_static_selectorELNS0_4arch9wavefront6targetE1EEEvSL_, .Lfunc_end2635-_ZN7rocprim17ROCPRIM_400000_NS6detail17trampoline_kernelINS0_14default_configENS1_37merge_sort_block_sort_config_selectorI14custom_numericNS0_10empty_typeEEEZNS1_21merge_sort_block_sortIS3_N6thrust23THRUST_200600_302600_NS6detail15normal_iteratorINSA_10device_ptrIS5_EEEESF_PS6_SG_NSA_7greaterIS5_EEEE10hipError_tT0_T1_T2_T3_mRjT4_P12ihipStream_tbNS1_7vsmem_tEEUlT_E_NS1_11comp_targetILNS1_3genE4ELNS1_11target_archE910ELNS1_3gpuE8ELNS1_3repE0EEENS1_30default_config_static_selectorELNS0_4arch9wavefront6targetE1EEEvSL_
                                        ; -- End function
	.section	.AMDGPU.csdata,"",@progbits
; Kernel info:
; codeLenInByte = 12532
; NumSgprs: 28
; NumVgprs: 40
; NumAgprs: 0
; TotalNumVgprs: 40
; ScratchSize: 0
; MemoryBound: 0
; FloatMode: 240
; IeeeMode: 1
; LDSByteSize: 21120 bytes/workgroup (compile time only)
; SGPRBlocks: 3
; VGPRBlocks: 4
; NumSGPRsForWavesPerEU: 28
; NumVGPRsForWavesPerEU: 40
; AccumOffset: 40
; Occupancy: 3
; WaveLimiterHint : 1
; COMPUTE_PGM_RSRC2:SCRATCH_EN: 0
; COMPUTE_PGM_RSRC2:USER_SGPR: 6
; COMPUTE_PGM_RSRC2:TRAP_HANDLER: 0
; COMPUTE_PGM_RSRC2:TGID_X_EN: 1
; COMPUTE_PGM_RSRC2:TGID_Y_EN: 1
; COMPUTE_PGM_RSRC2:TGID_Z_EN: 1
; COMPUTE_PGM_RSRC2:TIDIG_COMP_CNT: 2
; COMPUTE_PGM_RSRC3_GFX90A:ACCUM_OFFSET: 9
; COMPUTE_PGM_RSRC3_GFX90A:TG_SPLIT: 0
	.section	.text._ZN7rocprim17ROCPRIM_400000_NS6detail17trampoline_kernelINS0_14default_configENS1_37merge_sort_block_sort_config_selectorI14custom_numericNS0_10empty_typeEEEZNS1_21merge_sort_block_sortIS3_N6thrust23THRUST_200600_302600_NS6detail15normal_iteratorINSA_10device_ptrIS5_EEEESF_PS6_SG_NSA_7greaterIS5_EEEE10hipError_tT0_T1_T2_T3_mRjT4_P12ihipStream_tbNS1_7vsmem_tEEUlT_E_NS1_11comp_targetILNS1_3genE3ELNS1_11target_archE908ELNS1_3gpuE7ELNS1_3repE0EEENS1_30default_config_static_selectorELNS0_4arch9wavefront6targetE1EEEvSL_,"axG",@progbits,_ZN7rocprim17ROCPRIM_400000_NS6detail17trampoline_kernelINS0_14default_configENS1_37merge_sort_block_sort_config_selectorI14custom_numericNS0_10empty_typeEEEZNS1_21merge_sort_block_sortIS3_N6thrust23THRUST_200600_302600_NS6detail15normal_iteratorINSA_10device_ptrIS5_EEEESF_PS6_SG_NSA_7greaterIS5_EEEE10hipError_tT0_T1_T2_T3_mRjT4_P12ihipStream_tbNS1_7vsmem_tEEUlT_E_NS1_11comp_targetILNS1_3genE3ELNS1_11target_archE908ELNS1_3gpuE7ELNS1_3repE0EEENS1_30default_config_static_selectorELNS0_4arch9wavefront6targetE1EEEvSL_,comdat
	.protected	_ZN7rocprim17ROCPRIM_400000_NS6detail17trampoline_kernelINS0_14default_configENS1_37merge_sort_block_sort_config_selectorI14custom_numericNS0_10empty_typeEEEZNS1_21merge_sort_block_sortIS3_N6thrust23THRUST_200600_302600_NS6detail15normal_iteratorINSA_10device_ptrIS5_EEEESF_PS6_SG_NSA_7greaterIS5_EEEE10hipError_tT0_T1_T2_T3_mRjT4_P12ihipStream_tbNS1_7vsmem_tEEUlT_E_NS1_11comp_targetILNS1_3genE3ELNS1_11target_archE908ELNS1_3gpuE7ELNS1_3repE0EEENS1_30default_config_static_selectorELNS0_4arch9wavefront6targetE1EEEvSL_ ; -- Begin function _ZN7rocprim17ROCPRIM_400000_NS6detail17trampoline_kernelINS0_14default_configENS1_37merge_sort_block_sort_config_selectorI14custom_numericNS0_10empty_typeEEEZNS1_21merge_sort_block_sortIS3_N6thrust23THRUST_200600_302600_NS6detail15normal_iteratorINSA_10device_ptrIS5_EEEESF_PS6_SG_NSA_7greaterIS5_EEEE10hipError_tT0_T1_T2_T3_mRjT4_P12ihipStream_tbNS1_7vsmem_tEEUlT_E_NS1_11comp_targetILNS1_3genE3ELNS1_11target_archE908ELNS1_3gpuE7ELNS1_3repE0EEENS1_30default_config_static_selectorELNS0_4arch9wavefront6targetE1EEEvSL_
	.globl	_ZN7rocprim17ROCPRIM_400000_NS6detail17trampoline_kernelINS0_14default_configENS1_37merge_sort_block_sort_config_selectorI14custom_numericNS0_10empty_typeEEEZNS1_21merge_sort_block_sortIS3_N6thrust23THRUST_200600_302600_NS6detail15normal_iteratorINSA_10device_ptrIS5_EEEESF_PS6_SG_NSA_7greaterIS5_EEEE10hipError_tT0_T1_T2_T3_mRjT4_P12ihipStream_tbNS1_7vsmem_tEEUlT_E_NS1_11comp_targetILNS1_3genE3ELNS1_11target_archE908ELNS1_3gpuE7ELNS1_3repE0EEENS1_30default_config_static_selectorELNS0_4arch9wavefront6targetE1EEEvSL_
	.p2align	8
	.type	_ZN7rocprim17ROCPRIM_400000_NS6detail17trampoline_kernelINS0_14default_configENS1_37merge_sort_block_sort_config_selectorI14custom_numericNS0_10empty_typeEEEZNS1_21merge_sort_block_sortIS3_N6thrust23THRUST_200600_302600_NS6detail15normal_iteratorINSA_10device_ptrIS5_EEEESF_PS6_SG_NSA_7greaterIS5_EEEE10hipError_tT0_T1_T2_T3_mRjT4_P12ihipStream_tbNS1_7vsmem_tEEUlT_E_NS1_11comp_targetILNS1_3genE3ELNS1_11target_archE908ELNS1_3gpuE7ELNS1_3repE0EEENS1_30default_config_static_selectorELNS0_4arch9wavefront6targetE1EEEvSL_,@function
_ZN7rocprim17ROCPRIM_400000_NS6detail17trampoline_kernelINS0_14default_configENS1_37merge_sort_block_sort_config_selectorI14custom_numericNS0_10empty_typeEEEZNS1_21merge_sort_block_sortIS3_N6thrust23THRUST_200600_302600_NS6detail15normal_iteratorINSA_10device_ptrIS5_EEEESF_PS6_SG_NSA_7greaterIS5_EEEE10hipError_tT0_T1_T2_T3_mRjT4_P12ihipStream_tbNS1_7vsmem_tEEUlT_E_NS1_11comp_targetILNS1_3genE3ELNS1_11target_archE908ELNS1_3gpuE7ELNS1_3repE0EEENS1_30default_config_static_selectorELNS0_4arch9wavefront6targetE1EEEvSL_: ; @_ZN7rocprim17ROCPRIM_400000_NS6detail17trampoline_kernelINS0_14default_configENS1_37merge_sort_block_sort_config_selectorI14custom_numericNS0_10empty_typeEEEZNS1_21merge_sort_block_sortIS3_N6thrust23THRUST_200600_302600_NS6detail15normal_iteratorINSA_10device_ptrIS5_EEEESF_PS6_SG_NSA_7greaterIS5_EEEE10hipError_tT0_T1_T2_T3_mRjT4_P12ihipStream_tbNS1_7vsmem_tEEUlT_E_NS1_11comp_targetILNS1_3genE3ELNS1_11target_archE908ELNS1_3gpuE7ELNS1_3repE0EEENS1_30default_config_static_selectorELNS0_4arch9wavefront6targetE1EEEvSL_
; %bb.0:
	.section	.rodata,"a",@progbits
	.p2align	6, 0x0
	.amdhsa_kernel _ZN7rocprim17ROCPRIM_400000_NS6detail17trampoline_kernelINS0_14default_configENS1_37merge_sort_block_sort_config_selectorI14custom_numericNS0_10empty_typeEEEZNS1_21merge_sort_block_sortIS3_N6thrust23THRUST_200600_302600_NS6detail15normal_iteratorINSA_10device_ptrIS5_EEEESF_PS6_SG_NSA_7greaterIS5_EEEE10hipError_tT0_T1_T2_T3_mRjT4_P12ihipStream_tbNS1_7vsmem_tEEUlT_E_NS1_11comp_targetILNS1_3genE3ELNS1_11target_archE908ELNS1_3gpuE7ELNS1_3repE0EEENS1_30default_config_static_selectorELNS0_4arch9wavefront6targetE1EEEvSL_
		.amdhsa_group_segment_fixed_size 0
		.amdhsa_private_segment_fixed_size 0
		.amdhsa_kernarg_size 64
		.amdhsa_user_sgpr_count 6
		.amdhsa_user_sgpr_private_segment_buffer 1
		.amdhsa_user_sgpr_dispatch_ptr 0
		.amdhsa_user_sgpr_queue_ptr 0
		.amdhsa_user_sgpr_kernarg_segment_ptr 1
		.amdhsa_user_sgpr_dispatch_id 0
		.amdhsa_user_sgpr_flat_scratch_init 0
		.amdhsa_user_sgpr_kernarg_preload_length 0
		.amdhsa_user_sgpr_kernarg_preload_offset 0
		.amdhsa_user_sgpr_private_segment_size 0
		.amdhsa_uses_dynamic_stack 0
		.amdhsa_system_sgpr_private_segment_wavefront_offset 0
		.amdhsa_system_sgpr_workgroup_id_x 1
		.amdhsa_system_sgpr_workgroup_id_y 0
		.amdhsa_system_sgpr_workgroup_id_z 0
		.amdhsa_system_sgpr_workgroup_info 0
		.amdhsa_system_vgpr_workitem_id 0
		.amdhsa_next_free_vgpr 1
		.amdhsa_next_free_sgpr 0
		.amdhsa_accum_offset 4
		.amdhsa_reserve_vcc 0
		.amdhsa_reserve_flat_scratch 0
		.amdhsa_float_round_mode_32 0
		.amdhsa_float_round_mode_16_64 0
		.amdhsa_float_denorm_mode_32 3
		.amdhsa_float_denorm_mode_16_64 3
		.amdhsa_dx10_clamp 1
		.amdhsa_ieee_mode 1
		.amdhsa_fp16_overflow 0
		.amdhsa_tg_split 0
		.amdhsa_exception_fp_ieee_invalid_op 0
		.amdhsa_exception_fp_denorm_src 0
		.amdhsa_exception_fp_ieee_div_zero 0
		.amdhsa_exception_fp_ieee_overflow 0
		.amdhsa_exception_fp_ieee_underflow 0
		.amdhsa_exception_fp_ieee_inexact 0
		.amdhsa_exception_int_div_zero 0
	.end_amdhsa_kernel
	.section	.text._ZN7rocprim17ROCPRIM_400000_NS6detail17trampoline_kernelINS0_14default_configENS1_37merge_sort_block_sort_config_selectorI14custom_numericNS0_10empty_typeEEEZNS1_21merge_sort_block_sortIS3_N6thrust23THRUST_200600_302600_NS6detail15normal_iteratorINSA_10device_ptrIS5_EEEESF_PS6_SG_NSA_7greaterIS5_EEEE10hipError_tT0_T1_T2_T3_mRjT4_P12ihipStream_tbNS1_7vsmem_tEEUlT_E_NS1_11comp_targetILNS1_3genE3ELNS1_11target_archE908ELNS1_3gpuE7ELNS1_3repE0EEENS1_30default_config_static_selectorELNS0_4arch9wavefront6targetE1EEEvSL_,"axG",@progbits,_ZN7rocprim17ROCPRIM_400000_NS6detail17trampoline_kernelINS0_14default_configENS1_37merge_sort_block_sort_config_selectorI14custom_numericNS0_10empty_typeEEEZNS1_21merge_sort_block_sortIS3_N6thrust23THRUST_200600_302600_NS6detail15normal_iteratorINSA_10device_ptrIS5_EEEESF_PS6_SG_NSA_7greaterIS5_EEEE10hipError_tT0_T1_T2_T3_mRjT4_P12ihipStream_tbNS1_7vsmem_tEEUlT_E_NS1_11comp_targetILNS1_3genE3ELNS1_11target_archE908ELNS1_3gpuE7ELNS1_3repE0EEENS1_30default_config_static_selectorELNS0_4arch9wavefront6targetE1EEEvSL_,comdat
.Lfunc_end2636:
	.size	_ZN7rocprim17ROCPRIM_400000_NS6detail17trampoline_kernelINS0_14default_configENS1_37merge_sort_block_sort_config_selectorI14custom_numericNS0_10empty_typeEEEZNS1_21merge_sort_block_sortIS3_N6thrust23THRUST_200600_302600_NS6detail15normal_iteratorINSA_10device_ptrIS5_EEEESF_PS6_SG_NSA_7greaterIS5_EEEE10hipError_tT0_T1_T2_T3_mRjT4_P12ihipStream_tbNS1_7vsmem_tEEUlT_E_NS1_11comp_targetILNS1_3genE3ELNS1_11target_archE908ELNS1_3gpuE7ELNS1_3repE0EEENS1_30default_config_static_selectorELNS0_4arch9wavefront6targetE1EEEvSL_, .Lfunc_end2636-_ZN7rocprim17ROCPRIM_400000_NS6detail17trampoline_kernelINS0_14default_configENS1_37merge_sort_block_sort_config_selectorI14custom_numericNS0_10empty_typeEEEZNS1_21merge_sort_block_sortIS3_N6thrust23THRUST_200600_302600_NS6detail15normal_iteratorINSA_10device_ptrIS5_EEEESF_PS6_SG_NSA_7greaterIS5_EEEE10hipError_tT0_T1_T2_T3_mRjT4_P12ihipStream_tbNS1_7vsmem_tEEUlT_E_NS1_11comp_targetILNS1_3genE3ELNS1_11target_archE908ELNS1_3gpuE7ELNS1_3repE0EEENS1_30default_config_static_selectorELNS0_4arch9wavefront6targetE1EEEvSL_
                                        ; -- End function
	.section	.AMDGPU.csdata,"",@progbits
; Kernel info:
; codeLenInByte = 0
; NumSgprs: 4
; NumVgprs: 0
; NumAgprs: 0
; TotalNumVgprs: 0
; ScratchSize: 0
; MemoryBound: 0
; FloatMode: 240
; IeeeMode: 1
; LDSByteSize: 0 bytes/workgroup (compile time only)
; SGPRBlocks: 0
; VGPRBlocks: 0
; NumSGPRsForWavesPerEU: 4
; NumVGPRsForWavesPerEU: 1
; AccumOffset: 4
; Occupancy: 8
; WaveLimiterHint : 0
; COMPUTE_PGM_RSRC2:SCRATCH_EN: 0
; COMPUTE_PGM_RSRC2:USER_SGPR: 6
; COMPUTE_PGM_RSRC2:TRAP_HANDLER: 0
; COMPUTE_PGM_RSRC2:TGID_X_EN: 1
; COMPUTE_PGM_RSRC2:TGID_Y_EN: 0
; COMPUTE_PGM_RSRC2:TGID_Z_EN: 0
; COMPUTE_PGM_RSRC2:TIDIG_COMP_CNT: 0
; COMPUTE_PGM_RSRC3_GFX90A:ACCUM_OFFSET: 0
; COMPUTE_PGM_RSRC3_GFX90A:TG_SPLIT: 0
	.section	.text._ZN7rocprim17ROCPRIM_400000_NS6detail17trampoline_kernelINS0_14default_configENS1_37merge_sort_block_sort_config_selectorI14custom_numericNS0_10empty_typeEEEZNS1_21merge_sort_block_sortIS3_N6thrust23THRUST_200600_302600_NS6detail15normal_iteratorINSA_10device_ptrIS5_EEEESF_PS6_SG_NSA_7greaterIS5_EEEE10hipError_tT0_T1_T2_T3_mRjT4_P12ihipStream_tbNS1_7vsmem_tEEUlT_E_NS1_11comp_targetILNS1_3genE2ELNS1_11target_archE906ELNS1_3gpuE6ELNS1_3repE0EEENS1_30default_config_static_selectorELNS0_4arch9wavefront6targetE1EEEvSL_,"axG",@progbits,_ZN7rocprim17ROCPRIM_400000_NS6detail17trampoline_kernelINS0_14default_configENS1_37merge_sort_block_sort_config_selectorI14custom_numericNS0_10empty_typeEEEZNS1_21merge_sort_block_sortIS3_N6thrust23THRUST_200600_302600_NS6detail15normal_iteratorINSA_10device_ptrIS5_EEEESF_PS6_SG_NSA_7greaterIS5_EEEE10hipError_tT0_T1_T2_T3_mRjT4_P12ihipStream_tbNS1_7vsmem_tEEUlT_E_NS1_11comp_targetILNS1_3genE2ELNS1_11target_archE906ELNS1_3gpuE6ELNS1_3repE0EEENS1_30default_config_static_selectorELNS0_4arch9wavefront6targetE1EEEvSL_,comdat
	.protected	_ZN7rocprim17ROCPRIM_400000_NS6detail17trampoline_kernelINS0_14default_configENS1_37merge_sort_block_sort_config_selectorI14custom_numericNS0_10empty_typeEEEZNS1_21merge_sort_block_sortIS3_N6thrust23THRUST_200600_302600_NS6detail15normal_iteratorINSA_10device_ptrIS5_EEEESF_PS6_SG_NSA_7greaterIS5_EEEE10hipError_tT0_T1_T2_T3_mRjT4_P12ihipStream_tbNS1_7vsmem_tEEUlT_E_NS1_11comp_targetILNS1_3genE2ELNS1_11target_archE906ELNS1_3gpuE6ELNS1_3repE0EEENS1_30default_config_static_selectorELNS0_4arch9wavefront6targetE1EEEvSL_ ; -- Begin function _ZN7rocprim17ROCPRIM_400000_NS6detail17trampoline_kernelINS0_14default_configENS1_37merge_sort_block_sort_config_selectorI14custom_numericNS0_10empty_typeEEEZNS1_21merge_sort_block_sortIS3_N6thrust23THRUST_200600_302600_NS6detail15normal_iteratorINSA_10device_ptrIS5_EEEESF_PS6_SG_NSA_7greaterIS5_EEEE10hipError_tT0_T1_T2_T3_mRjT4_P12ihipStream_tbNS1_7vsmem_tEEUlT_E_NS1_11comp_targetILNS1_3genE2ELNS1_11target_archE906ELNS1_3gpuE6ELNS1_3repE0EEENS1_30default_config_static_selectorELNS0_4arch9wavefront6targetE1EEEvSL_
	.globl	_ZN7rocprim17ROCPRIM_400000_NS6detail17trampoline_kernelINS0_14default_configENS1_37merge_sort_block_sort_config_selectorI14custom_numericNS0_10empty_typeEEEZNS1_21merge_sort_block_sortIS3_N6thrust23THRUST_200600_302600_NS6detail15normal_iteratorINSA_10device_ptrIS5_EEEESF_PS6_SG_NSA_7greaterIS5_EEEE10hipError_tT0_T1_T2_T3_mRjT4_P12ihipStream_tbNS1_7vsmem_tEEUlT_E_NS1_11comp_targetILNS1_3genE2ELNS1_11target_archE906ELNS1_3gpuE6ELNS1_3repE0EEENS1_30default_config_static_selectorELNS0_4arch9wavefront6targetE1EEEvSL_
	.p2align	8
	.type	_ZN7rocprim17ROCPRIM_400000_NS6detail17trampoline_kernelINS0_14default_configENS1_37merge_sort_block_sort_config_selectorI14custom_numericNS0_10empty_typeEEEZNS1_21merge_sort_block_sortIS3_N6thrust23THRUST_200600_302600_NS6detail15normal_iteratorINSA_10device_ptrIS5_EEEESF_PS6_SG_NSA_7greaterIS5_EEEE10hipError_tT0_T1_T2_T3_mRjT4_P12ihipStream_tbNS1_7vsmem_tEEUlT_E_NS1_11comp_targetILNS1_3genE2ELNS1_11target_archE906ELNS1_3gpuE6ELNS1_3repE0EEENS1_30default_config_static_selectorELNS0_4arch9wavefront6targetE1EEEvSL_,@function
_ZN7rocprim17ROCPRIM_400000_NS6detail17trampoline_kernelINS0_14default_configENS1_37merge_sort_block_sort_config_selectorI14custom_numericNS0_10empty_typeEEEZNS1_21merge_sort_block_sortIS3_N6thrust23THRUST_200600_302600_NS6detail15normal_iteratorINSA_10device_ptrIS5_EEEESF_PS6_SG_NSA_7greaterIS5_EEEE10hipError_tT0_T1_T2_T3_mRjT4_P12ihipStream_tbNS1_7vsmem_tEEUlT_E_NS1_11comp_targetILNS1_3genE2ELNS1_11target_archE906ELNS1_3gpuE6ELNS1_3repE0EEENS1_30default_config_static_selectorELNS0_4arch9wavefront6targetE1EEEvSL_: ; @_ZN7rocprim17ROCPRIM_400000_NS6detail17trampoline_kernelINS0_14default_configENS1_37merge_sort_block_sort_config_selectorI14custom_numericNS0_10empty_typeEEEZNS1_21merge_sort_block_sortIS3_N6thrust23THRUST_200600_302600_NS6detail15normal_iteratorINSA_10device_ptrIS5_EEEESF_PS6_SG_NSA_7greaterIS5_EEEE10hipError_tT0_T1_T2_T3_mRjT4_P12ihipStream_tbNS1_7vsmem_tEEUlT_E_NS1_11comp_targetILNS1_3genE2ELNS1_11target_archE906ELNS1_3gpuE6ELNS1_3repE0EEENS1_30default_config_static_selectorELNS0_4arch9wavefront6targetE1EEEvSL_
; %bb.0:
	.section	.rodata,"a",@progbits
	.p2align	6, 0x0
	.amdhsa_kernel _ZN7rocprim17ROCPRIM_400000_NS6detail17trampoline_kernelINS0_14default_configENS1_37merge_sort_block_sort_config_selectorI14custom_numericNS0_10empty_typeEEEZNS1_21merge_sort_block_sortIS3_N6thrust23THRUST_200600_302600_NS6detail15normal_iteratorINSA_10device_ptrIS5_EEEESF_PS6_SG_NSA_7greaterIS5_EEEE10hipError_tT0_T1_T2_T3_mRjT4_P12ihipStream_tbNS1_7vsmem_tEEUlT_E_NS1_11comp_targetILNS1_3genE2ELNS1_11target_archE906ELNS1_3gpuE6ELNS1_3repE0EEENS1_30default_config_static_selectorELNS0_4arch9wavefront6targetE1EEEvSL_
		.amdhsa_group_segment_fixed_size 0
		.amdhsa_private_segment_fixed_size 0
		.amdhsa_kernarg_size 64
		.amdhsa_user_sgpr_count 6
		.amdhsa_user_sgpr_private_segment_buffer 1
		.amdhsa_user_sgpr_dispatch_ptr 0
		.amdhsa_user_sgpr_queue_ptr 0
		.amdhsa_user_sgpr_kernarg_segment_ptr 1
		.amdhsa_user_sgpr_dispatch_id 0
		.amdhsa_user_sgpr_flat_scratch_init 0
		.amdhsa_user_sgpr_kernarg_preload_length 0
		.amdhsa_user_sgpr_kernarg_preload_offset 0
		.amdhsa_user_sgpr_private_segment_size 0
		.amdhsa_uses_dynamic_stack 0
		.amdhsa_system_sgpr_private_segment_wavefront_offset 0
		.amdhsa_system_sgpr_workgroup_id_x 1
		.amdhsa_system_sgpr_workgroup_id_y 0
		.amdhsa_system_sgpr_workgroup_id_z 0
		.amdhsa_system_sgpr_workgroup_info 0
		.amdhsa_system_vgpr_workitem_id 0
		.amdhsa_next_free_vgpr 1
		.amdhsa_next_free_sgpr 0
		.amdhsa_accum_offset 4
		.amdhsa_reserve_vcc 0
		.amdhsa_reserve_flat_scratch 0
		.amdhsa_float_round_mode_32 0
		.amdhsa_float_round_mode_16_64 0
		.amdhsa_float_denorm_mode_32 3
		.amdhsa_float_denorm_mode_16_64 3
		.amdhsa_dx10_clamp 1
		.amdhsa_ieee_mode 1
		.amdhsa_fp16_overflow 0
		.amdhsa_tg_split 0
		.amdhsa_exception_fp_ieee_invalid_op 0
		.amdhsa_exception_fp_denorm_src 0
		.amdhsa_exception_fp_ieee_div_zero 0
		.amdhsa_exception_fp_ieee_overflow 0
		.amdhsa_exception_fp_ieee_underflow 0
		.amdhsa_exception_fp_ieee_inexact 0
		.amdhsa_exception_int_div_zero 0
	.end_amdhsa_kernel
	.section	.text._ZN7rocprim17ROCPRIM_400000_NS6detail17trampoline_kernelINS0_14default_configENS1_37merge_sort_block_sort_config_selectorI14custom_numericNS0_10empty_typeEEEZNS1_21merge_sort_block_sortIS3_N6thrust23THRUST_200600_302600_NS6detail15normal_iteratorINSA_10device_ptrIS5_EEEESF_PS6_SG_NSA_7greaterIS5_EEEE10hipError_tT0_T1_T2_T3_mRjT4_P12ihipStream_tbNS1_7vsmem_tEEUlT_E_NS1_11comp_targetILNS1_3genE2ELNS1_11target_archE906ELNS1_3gpuE6ELNS1_3repE0EEENS1_30default_config_static_selectorELNS0_4arch9wavefront6targetE1EEEvSL_,"axG",@progbits,_ZN7rocprim17ROCPRIM_400000_NS6detail17trampoline_kernelINS0_14default_configENS1_37merge_sort_block_sort_config_selectorI14custom_numericNS0_10empty_typeEEEZNS1_21merge_sort_block_sortIS3_N6thrust23THRUST_200600_302600_NS6detail15normal_iteratorINSA_10device_ptrIS5_EEEESF_PS6_SG_NSA_7greaterIS5_EEEE10hipError_tT0_T1_T2_T3_mRjT4_P12ihipStream_tbNS1_7vsmem_tEEUlT_E_NS1_11comp_targetILNS1_3genE2ELNS1_11target_archE906ELNS1_3gpuE6ELNS1_3repE0EEENS1_30default_config_static_selectorELNS0_4arch9wavefront6targetE1EEEvSL_,comdat
.Lfunc_end2637:
	.size	_ZN7rocprim17ROCPRIM_400000_NS6detail17trampoline_kernelINS0_14default_configENS1_37merge_sort_block_sort_config_selectorI14custom_numericNS0_10empty_typeEEEZNS1_21merge_sort_block_sortIS3_N6thrust23THRUST_200600_302600_NS6detail15normal_iteratorINSA_10device_ptrIS5_EEEESF_PS6_SG_NSA_7greaterIS5_EEEE10hipError_tT0_T1_T2_T3_mRjT4_P12ihipStream_tbNS1_7vsmem_tEEUlT_E_NS1_11comp_targetILNS1_3genE2ELNS1_11target_archE906ELNS1_3gpuE6ELNS1_3repE0EEENS1_30default_config_static_selectorELNS0_4arch9wavefront6targetE1EEEvSL_, .Lfunc_end2637-_ZN7rocprim17ROCPRIM_400000_NS6detail17trampoline_kernelINS0_14default_configENS1_37merge_sort_block_sort_config_selectorI14custom_numericNS0_10empty_typeEEEZNS1_21merge_sort_block_sortIS3_N6thrust23THRUST_200600_302600_NS6detail15normal_iteratorINSA_10device_ptrIS5_EEEESF_PS6_SG_NSA_7greaterIS5_EEEE10hipError_tT0_T1_T2_T3_mRjT4_P12ihipStream_tbNS1_7vsmem_tEEUlT_E_NS1_11comp_targetILNS1_3genE2ELNS1_11target_archE906ELNS1_3gpuE6ELNS1_3repE0EEENS1_30default_config_static_selectorELNS0_4arch9wavefront6targetE1EEEvSL_
                                        ; -- End function
	.section	.AMDGPU.csdata,"",@progbits
; Kernel info:
; codeLenInByte = 0
; NumSgprs: 4
; NumVgprs: 0
; NumAgprs: 0
; TotalNumVgprs: 0
; ScratchSize: 0
; MemoryBound: 0
; FloatMode: 240
; IeeeMode: 1
; LDSByteSize: 0 bytes/workgroup (compile time only)
; SGPRBlocks: 0
; VGPRBlocks: 0
; NumSGPRsForWavesPerEU: 4
; NumVGPRsForWavesPerEU: 1
; AccumOffset: 4
; Occupancy: 8
; WaveLimiterHint : 0
; COMPUTE_PGM_RSRC2:SCRATCH_EN: 0
; COMPUTE_PGM_RSRC2:USER_SGPR: 6
; COMPUTE_PGM_RSRC2:TRAP_HANDLER: 0
; COMPUTE_PGM_RSRC2:TGID_X_EN: 1
; COMPUTE_PGM_RSRC2:TGID_Y_EN: 0
; COMPUTE_PGM_RSRC2:TGID_Z_EN: 0
; COMPUTE_PGM_RSRC2:TIDIG_COMP_CNT: 0
; COMPUTE_PGM_RSRC3_GFX90A:ACCUM_OFFSET: 0
; COMPUTE_PGM_RSRC3_GFX90A:TG_SPLIT: 0
	.section	.text._ZN7rocprim17ROCPRIM_400000_NS6detail17trampoline_kernelINS0_14default_configENS1_37merge_sort_block_sort_config_selectorI14custom_numericNS0_10empty_typeEEEZNS1_21merge_sort_block_sortIS3_N6thrust23THRUST_200600_302600_NS6detail15normal_iteratorINSA_10device_ptrIS5_EEEESF_PS6_SG_NSA_7greaterIS5_EEEE10hipError_tT0_T1_T2_T3_mRjT4_P12ihipStream_tbNS1_7vsmem_tEEUlT_E_NS1_11comp_targetILNS1_3genE10ELNS1_11target_archE1201ELNS1_3gpuE5ELNS1_3repE0EEENS1_30default_config_static_selectorELNS0_4arch9wavefront6targetE1EEEvSL_,"axG",@progbits,_ZN7rocprim17ROCPRIM_400000_NS6detail17trampoline_kernelINS0_14default_configENS1_37merge_sort_block_sort_config_selectorI14custom_numericNS0_10empty_typeEEEZNS1_21merge_sort_block_sortIS3_N6thrust23THRUST_200600_302600_NS6detail15normal_iteratorINSA_10device_ptrIS5_EEEESF_PS6_SG_NSA_7greaterIS5_EEEE10hipError_tT0_T1_T2_T3_mRjT4_P12ihipStream_tbNS1_7vsmem_tEEUlT_E_NS1_11comp_targetILNS1_3genE10ELNS1_11target_archE1201ELNS1_3gpuE5ELNS1_3repE0EEENS1_30default_config_static_selectorELNS0_4arch9wavefront6targetE1EEEvSL_,comdat
	.protected	_ZN7rocprim17ROCPRIM_400000_NS6detail17trampoline_kernelINS0_14default_configENS1_37merge_sort_block_sort_config_selectorI14custom_numericNS0_10empty_typeEEEZNS1_21merge_sort_block_sortIS3_N6thrust23THRUST_200600_302600_NS6detail15normal_iteratorINSA_10device_ptrIS5_EEEESF_PS6_SG_NSA_7greaterIS5_EEEE10hipError_tT0_T1_T2_T3_mRjT4_P12ihipStream_tbNS1_7vsmem_tEEUlT_E_NS1_11comp_targetILNS1_3genE10ELNS1_11target_archE1201ELNS1_3gpuE5ELNS1_3repE0EEENS1_30default_config_static_selectorELNS0_4arch9wavefront6targetE1EEEvSL_ ; -- Begin function _ZN7rocprim17ROCPRIM_400000_NS6detail17trampoline_kernelINS0_14default_configENS1_37merge_sort_block_sort_config_selectorI14custom_numericNS0_10empty_typeEEEZNS1_21merge_sort_block_sortIS3_N6thrust23THRUST_200600_302600_NS6detail15normal_iteratorINSA_10device_ptrIS5_EEEESF_PS6_SG_NSA_7greaterIS5_EEEE10hipError_tT0_T1_T2_T3_mRjT4_P12ihipStream_tbNS1_7vsmem_tEEUlT_E_NS1_11comp_targetILNS1_3genE10ELNS1_11target_archE1201ELNS1_3gpuE5ELNS1_3repE0EEENS1_30default_config_static_selectorELNS0_4arch9wavefront6targetE1EEEvSL_
	.globl	_ZN7rocprim17ROCPRIM_400000_NS6detail17trampoline_kernelINS0_14default_configENS1_37merge_sort_block_sort_config_selectorI14custom_numericNS0_10empty_typeEEEZNS1_21merge_sort_block_sortIS3_N6thrust23THRUST_200600_302600_NS6detail15normal_iteratorINSA_10device_ptrIS5_EEEESF_PS6_SG_NSA_7greaterIS5_EEEE10hipError_tT0_T1_T2_T3_mRjT4_P12ihipStream_tbNS1_7vsmem_tEEUlT_E_NS1_11comp_targetILNS1_3genE10ELNS1_11target_archE1201ELNS1_3gpuE5ELNS1_3repE0EEENS1_30default_config_static_selectorELNS0_4arch9wavefront6targetE1EEEvSL_
	.p2align	8
	.type	_ZN7rocprim17ROCPRIM_400000_NS6detail17trampoline_kernelINS0_14default_configENS1_37merge_sort_block_sort_config_selectorI14custom_numericNS0_10empty_typeEEEZNS1_21merge_sort_block_sortIS3_N6thrust23THRUST_200600_302600_NS6detail15normal_iteratorINSA_10device_ptrIS5_EEEESF_PS6_SG_NSA_7greaterIS5_EEEE10hipError_tT0_T1_T2_T3_mRjT4_P12ihipStream_tbNS1_7vsmem_tEEUlT_E_NS1_11comp_targetILNS1_3genE10ELNS1_11target_archE1201ELNS1_3gpuE5ELNS1_3repE0EEENS1_30default_config_static_selectorELNS0_4arch9wavefront6targetE1EEEvSL_,@function
_ZN7rocprim17ROCPRIM_400000_NS6detail17trampoline_kernelINS0_14default_configENS1_37merge_sort_block_sort_config_selectorI14custom_numericNS0_10empty_typeEEEZNS1_21merge_sort_block_sortIS3_N6thrust23THRUST_200600_302600_NS6detail15normal_iteratorINSA_10device_ptrIS5_EEEESF_PS6_SG_NSA_7greaterIS5_EEEE10hipError_tT0_T1_T2_T3_mRjT4_P12ihipStream_tbNS1_7vsmem_tEEUlT_E_NS1_11comp_targetILNS1_3genE10ELNS1_11target_archE1201ELNS1_3gpuE5ELNS1_3repE0EEENS1_30default_config_static_selectorELNS0_4arch9wavefront6targetE1EEEvSL_: ; @_ZN7rocprim17ROCPRIM_400000_NS6detail17trampoline_kernelINS0_14default_configENS1_37merge_sort_block_sort_config_selectorI14custom_numericNS0_10empty_typeEEEZNS1_21merge_sort_block_sortIS3_N6thrust23THRUST_200600_302600_NS6detail15normal_iteratorINSA_10device_ptrIS5_EEEESF_PS6_SG_NSA_7greaterIS5_EEEE10hipError_tT0_T1_T2_T3_mRjT4_P12ihipStream_tbNS1_7vsmem_tEEUlT_E_NS1_11comp_targetILNS1_3genE10ELNS1_11target_archE1201ELNS1_3gpuE5ELNS1_3repE0EEENS1_30default_config_static_selectorELNS0_4arch9wavefront6targetE1EEEvSL_
; %bb.0:
	.section	.rodata,"a",@progbits
	.p2align	6, 0x0
	.amdhsa_kernel _ZN7rocprim17ROCPRIM_400000_NS6detail17trampoline_kernelINS0_14default_configENS1_37merge_sort_block_sort_config_selectorI14custom_numericNS0_10empty_typeEEEZNS1_21merge_sort_block_sortIS3_N6thrust23THRUST_200600_302600_NS6detail15normal_iteratorINSA_10device_ptrIS5_EEEESF_PS6_SG_NSA_7greaterIS5_EEEE10hipError_tT0_T1_T2_T3_mRjT4_P12ihipStream_tbNS1_7vsmem_tEEUlT_E_NS1_11comp_targetILNS1_3genE10ELNS1_11target_archE1201ELNS1_3gpuE5ELNS1_3repE0EEENS1_30default_config_static_selectorELNS0_4arch9wavefront6targetE1EEEvSL_
		.amdhsa_group_segment_fixed_size 0
		.amdhsa_private_segment_fixed_size 0
		.amdhsa_kernarg_size 64
		.amdhsa_user_sgpr_count 6
		.amdhsa_user_sgpr_private_segment_buffer 1
		.amdhsa_user_sgpr_dispatch_ptr 0
		.amdhsa_user_sgpr_queue_ptr 0
		.amdhsa_user_sgpr_kernarg_segment_ptr 1
		.amdhsa_user_sgpr_dispatch_id 0
		.amdhsa_user_sgpr_flat_scratch_init 0
		.amdhsa_user_sgpr_kernarg_preload_length 0
		.amdhsa_user_sgpr_kernarg_preload_offset 0
		.amdhsa_user_sgpr_private_segment_size 0
		.amdhsa_uses_dynamic_stack 0
		.amdhsa_system_sgpr_private_segment_wavefront_offset 0
		.amdhsa_system_sgpr_workgroup_id_x 1
		.amdhsa_system_sgpr_workgroup_id_y 0
		.amdhsa_system_sgpr_workgroup_id_z 0
		.amdhsa_system_sgpr_workgroup_info 0
		.amdhsa_system_vgpr_workitem_id 0
		.amdhsa_next_free_vgpr 1
		.amdhsa_next_free_sgpr 0
		.amdhsa_accum_offset 4
		.amdhsa_reserve_vcc 0
		.amdhsa_reserve_flat_scratch 0
		.amdhsa_float_round_mode_32 0
		.amdhsa_float_round_mode_16_64 0
		.amdhsa_float_denorm_mode_32 3
		.amdhsa_float_denorm_mode_16_64 3
		.amdhsa_dx10_clamp 1
		.amdhsa_ieee_mode 1
		.amdhsa_fp16_overflow 0
		.amdhsa_tg_split 0
		.amdhsa_exception_fp_ieee_invalid_op 0
		.amdhsa_exception_fp_denorm_src 0
		.amdhsa_exception_fp_ieee_div_zero 0
		.amdhsa_exception_fp_ieee_overflow 0
		.amdhsa_exception_fp_ieee_underflow 0
		.amdhsa_exception_fp_ieee_inexact 0
		.amdhsa_exception_int_div_zero 0
	.end_amdhsa_kernel
	.section	.text._ZN7rocprim17ROCPRIM_400000_NS6detail17trampoline_kernelINS0_14default_configENS1_37merge_sort_block_sort_config_selectorI14custom_numericNS0_10empty_typeEEEZNS1_21merge_sort_block_sortIS3_N6thrust23THRUST_200600_302600_NS6detail15normal_iteratorINSA_10device_ptrIS5_EEEESF_PS6_SG_NSA_7greaterIS5_EEEE10hipError_tT0_T1_T2_T3_mRjT4_P12ihipStream_tbNS1_7vsmem_tEEUlT_E_NS1_11comp_targetILNS1_3genE10ELNS1_11target_archE1201ELNS1_3gpuE5ELNS1_3repE0EEENS1_30default_config_static_selectorELNS0_4arch9wavefront6targetE1EEEvSL_,"axG",@progbits,_ZN7rocprim17ROCPRIM_400000_NS6detail17trampoline_kernelINS0_14default_configENS1_37merge_sort_block_sort_config_selectorI14custom_numericNS0_10empty_typeEEEZNS1_21merge_sort_block_sortIS3_N6thrust23THRUST_200600_302600_NS6detail15normal_iteratorINSA_10device_ptrIS5_EEEESF_PS6_SG_NSA_7greaterIS5_EEEE10hipError_tT0_T1_T2_T3_mRjT4_P12ihipStream_tbNS1_7vsmem_tEEUlT_E_NS1_11comp_targetILNS1_3genE10ELNS1_11target_archE1201ELNS1_3gpuE5ELNS1_3repE0EEENS1_30default_config_static_selectorELNS0_4arch9wavefront6targetE1EEEvSL_,comdat
.Lfunc_end2638:
	.size	_ZN7rocprim17ROCPRIM_400000_NS6detail17trampoline_kernelINS0_14default_configENS1_37merge_sort_block_sort_config_selectorI14custom_numericNS0_10empty_typeEEEZNS1_21merge_sort_block_sortIS3_N6thrust23THRUST_200600_302600_NS6detail15normal_iteratorINSA_10device_ptrIS5_EEEESF_PS6_SG_NSA_7greaterIS5_EEEE10hipError_tT0_T1_T2_T3_mRjT4_P12ihipStream_tbNS1_7vsmem_tEEUlT_E_NS1_11comp_targetILNS1_3genE10ELNS1_11target_archE1201ELNS1_3gpuE5ELNS1_3repE0EEENS1_30default_config_static_selectorELNS0_4arch9wavefront6targetE1EEEvSL_, .Lfunc_end2638-_ZN7rocprim17ROCPRIM_400000_NS6detail17trampoline_kernelINS0_14default_configENS1_37merge_sort_block_sort_config_selectorI14custom_numericNS0_10empty_typeEEEZNS1_21merge_sort_block_sortIS3_N6thrust23THRUST_200600_302600_NS6detail15normal_iteratorINSA_10device_ptrIS5_EEEESF_PS6_SG_NSA_7greaterIS5_EEEE10hipError_tT0_T1_T2_T3_mRjT4_P12ihipStream_tbNS1_7vsmem_tEEUlT_E_NS1_11comp_targetILNS1_3genE10ELNS1_11target_archE1201ELNS1_3gpuE5ELNS1_3repE0EEENS1_30default_config_static_selectorELNS0_4arch9wavefront6targetE1EEEvSL_
                                        ; -- End function
	.section	.AMDGPU.csdata,"",@progbits
; Kernel info:
; codeLenInByte = 0
; NumSgprs: 4
; NumVgprs: 0
; NumAgprs: 0
; TotalNumVgprs: 0
; ScratchSize: 0
; MemoryBound: 0
; FloatMode: 240
; IeeeMode: 1
; LDSByteSize: 0 bytes/workgroup (compile time only)
; SGPRBlocks: 0
; VGPRBlocks: 0
; NumSGPRsForWavesPerEU: 4
; NumVGPRsForWavesPerEU: 1
; AccumOffset: 4
; Occupancy: 8
; WaveLimiterHint : 0
; COMPUTE_PGM_RSRC2:SCRATCH_EN: 0
; COMPUTE_PGM_RSRC2:USER_SGPR: 6
; COMPUTE_PGM_RSRC2:TRAP_HANDLER: 0
; COMPUTE_PGM_RSRC2:TGID_X_EN: 1
; COMPUTE_PGM_RSRC2:TGID_Y_EN: 0
; COMPUTE_PGM_RSRC2:TGID_Z_EN: 0
; COMPUTE_PGM_RSRC2:TIDIG_COMP_CNT: 0
; COMPUTE_PGM_RSRC3_GFX90A:ACCUM_OFFSET: 0
; COMPUTE_PGM_RSRC3_GFX90A:TG_SPLIT: 0
	.section	.text._ZN7rocprim17ROCPRIM_400000_NS6detail17trampoline_kernelINS0_14default_configENS1_37merge_sort_block_sort_config_selectorI14custom_numericNS0_10empty_typeEEEZNS1_21merge_sort_block_sortIS3_N6thrust23THRUST_200600_302600_NS6detail15normal_iteratorINSA_10device_ptrIS5_EEEESF_PS6_SG_NSA_7greaterIS5_EEEE10hipError_tT0_T1_T2_T3_mRjT4_P12ihipStream_tbNS1_7vsmem_tEEUlT_E_NS1_11comp_targetILNS1_3genE10ELNS1_11target_archE1200ELNS1_3gpuE4ELNS1_3repE0EEENS1_30default_config_static_selectorELNS0_4arch9wavefront6targetE1EEEvSL_,"axG",@progbits,_ZN7rocprim17ROCPRIM_400000_NS6detail17trampoline_kernelINS0_14default_configENS1_37merge_sort_block_sort_config_selectorI14custom_numericNS0_10empty_typeEEEZNS1_21merge_sort_block_sortIS3_N6thrust23THRUST_200600_302600_NS6detail15normal_iteratorINSA_10device_ptrIS5_EEEESF_PS6_SG_NSA_7greaterIS5_EEEE10hipError_tT0_T1_T2_T3_mRjT4_P12ihipStream_tbNS1_7vsmem_tEEUlT_E_NS1_11comp_targetILNS1_3genE10ELNS1_11target_archE1200ELNS1_3gpuE4ELNS1_3repE0EEENS1_30default_config_static_selectorELNS0_4arch9wavefront6targetE1EEEvSL_,comdat
	.protected	_ZN7rocprim17ROCPRIM_400000_NS6detail17trampoline_kernelINS0_14default_configENS1_37merge_sort_block_sort_config_selectorI14custom_numericNS0_10empty_typeEEEZNS1_21merge_sort_block_sortIS3_N6thrust23THRUST_200600_302600_NS6detail15normal_iteratorINSA_10device_ptrIS5_EEEESF_PS6_SG_NSA_7greaterIS5_EEEE10hipError_tT0_T1_T2_T3_mRjT4_P12ihipStream_tbNS1_7vsmem_tEEUlT_E_NS1_11comp_targetILNS1_3genE10ELNS1_11target_archE1200ELNS1_3gpuE4ELNS1_3repE0EEENS1_30default_config_static_selectorELNS0_4arch9wavefront6targetE1EEEvSL_ ; -- Begin function _ZN7rocprim17ROCPRIM_400000_NS6detail17trampoline_kernelINS0_14default_configENS1_37merge_sort_block_sort_config_selectorI14custom_numericNS0_10empty_typeEEEZNS1_21merge_sort_block_sortIS3_N6thrust23THRUST_200600_302600_NS6detail15normal_iteratorINSA_10device_ptrIS5_EEEESF_PS6_SG_NSA_7greaterIS5_EEEE10hipError_tT0_T1_T2_T3_mRjT4_P12ihipStream_tbNS1_7vsmem_tEEUlT_E_NS1_11comp_targetILNS1_3genE10ELNS1_11target_archE1200ELNS1_3gpuE4ELNS1_3repE0EEENS1_30default_config_static_selectorELNS0_4arch9wavefront6targetE1EEEvSL_
	.globl	_ZN7rocprim17ROCPRIM_400000_NS6detail17trampoline_kernelINS0_14default_configENS1_37merge_sort_block_sort_config_selectorI14custom_numericNS0_10empty_typeEEEZNS1_21merge_sort_block_sortIS3_N6thrust23THRUST_200600_302600_NS6detail15normal_iteratorINSA_10device_ptrIS5_EEEESF_PS6_SG_NSA_7greaterIS5_EEEE10hipError_tT0_T1_T2_T3_mRjT4_P12ihipStream_tbNS1_7vsmem_tEEUlT_E_NS1_11comp_targetILNS1_3genE10ELNS1_11target_archE1200ELNS1_3gpuE4ELNS1_3repE0EEENS1_30default_config_static_selectorELNS0_4arch9wavefront6targetE1EEEvSL_
	.p2align	8
	.type	_ZN7rocprim17ROCPRIM_400000_NS6detail17trampoline_kernelINS0_14default_configENS1_37merge_sort_block_sort_config_selectorI14custom_numericNS0_10empty_typeEEEZNS1_21merge_sort_block_sortIS3_N6thrust23THRUST_200600_302600_NS6detail15normal_iteratorINSA_10device_ptrIS5_EEEESF_PS6_SG_NSA_7greaterIS5_EEEE10hipError_tT0_T1_T2_T3_mRjT4_P12ihipStream_tbNS1_7vsmem_tEEUlT_E_NS1_11comp_targetILNS1_3genE10ELNS1_11target_archE1200ELNS1_3gpuE4ELNS1_3repE0EEENS1_30default_config_static_selectorELNS0_4arch9wavefront6targetE1EEEvSL_,@function
_ZN7rocprim17ROCPRIM_400000_NS6detail17trampoline_kernelINS0_14default_configENS1_37merge_sort_block_sort_config_selectorI14custom_numericNS0_10empty_typeEEEZNS1_21merge_sort_block_sortIS3_N6thrust23THRUST_200600_302600_NS6detail15normal_iteratorINSA_10device_ptrIS5_EEEESF_PS6_SG_NSA_7greaterIS5_EEEE10hipError_tT0_T1_T2_T3_mRjT4_P12ihipStream_tbNS1_7vsmem_tEEUlT_E_NS1_11comp_targetILNS1_3genE10ELNS1_11target_archE1200ELNS1_3gpuE4ELNS1_3repE0EEENS1_30default_config_static_selectorELNS0_4arch9wavefront6targetE1EEEvSL_: ; @_ZN7rocprim17ROCPRIM_400000_NS6detail17trampoline_kernelINS0_14default_configENS1_37merge_sort_block_sort_config_selectorI14custom_numericNS0_10empty_typeEEEZNS1_21merge_sort_block_sortIS3_N6thrust23THRUST_200600_302600_NS6detail15normal_iteratorINSA_10device_ptrIS5_EEEESF_PS6_SG_NSA_7greaterIS5_EEEE10hipError_tT0_T1_T2_T3_mRjT4_P12ihipStream_tbNS1_7vsmem_tEEUlT_E_NS1_11comp_targetILNS1_3genE10ELNS1_11target_archE1200ELNS1_3gpuE4ELNS1_3repE0EEENS1_30default_config_static_selectorELNS0_4arch9wavefront6targetE1EEEvSL_
; %bb.0:
	.section	.rodata,"a",@progbits
	.p2align	6, 0x0
	.amdhsa_kernel _ZN7rocprim17ROCPRIM_400000_NS6detail17trampoline_kernelINS0_14default_configENS1_37merge_sort_block_sort_config_selectorI14custom_numericNS0_10empty_typeEEEZNS1_21merge_sort_block_sortIS3_N6thrust23THRUST_200600_302600_NS6detail15normal_iteratorINSA_10device_ptrIS5_EEEESF_PS6_SG_NSA_7greaterIS5_EEEE10hipError_tT0_T1_T2_T3_mRjT4_P12ihipStream_tbNS1_7vsmem_tEEUlT_E_NS1_11comp_targetILNS1_3genE10ELNS1_11target_archE1200ELNS1_3gpuE4ELNS1_3repE0EEENS1_30default_config_static_selectorELNS0_4arch9wavefront6targetE1EEEvSL_
		.amdhsa_group_segment_fixed_size 0
		.amdhsa_private_segment_fixed_size 0
		.amdhsa_kernarg_size 64
		.amdhsa_user_sgpr_count 6
		.amdhsa_user_sgpr_private_segment_buffer 1
		.amdhsa_user_sgpr_dispatch_ptr 0
		.amdhsa_user_sgpr_queue_ptr 0
		.amdhsa_user_sgpr_kernarg_segment_ptr 1
		.amdhsa_user_sgpr_dispatch_id 0
		.amdhsa_user_sgpr_flat_scratch_init 0
		.amdhsa_user_sgpr_kernarg_preload_length 0
		.amdhsa_user_sgpr_kernarg_preload_offset 0
		.amdhsa_user_sgpr_private_segment_size 0
		.amdhsa_uses_dynamic_stack 0
		.amdhsa_system_sgpr_private_segment_wavefront_offset 0
		.amdhsa_system_sgpr_workgroup_id_x 1
		.amdhsa_system_sgpr_workgroup_id_y 0
		.amdhsa_system_sgpr_workgroup_id_z 0
		.amdhsa_system_sgpr_workgroup_info 0
		.amdhsa_system_vgpr_workitem_id 0
		.amdhsa_next_free_vgpr 1
		.amdhsa_next_free_sgpr 0
		.amdhsa_accum_offset 4
		.amdhsa_reserve_vcc 0
		.amdhsa_reserve_flat_scratch 0
		.amdhsa_float_round_mode_32 0
		.amdhsa_float_round_mode_16_64 0
		.amdhsa_float_denorm_mode_32 3
		.amdhsa_float_denorm_mode_16_64 3
		.amdhsa_dx10_clamp 1
		.amdhsa_ieee_mode 1
		.amdhsa_fp16_overflow 0
		.amdhsa_tg_split 0
		.amdhsa_exception_fp_ieee_invalid_op 0
		.amdhsa_exception_fp_denorm_src 0
		.amdhsa_exception_fp_ieee_div_zero 0
		.amdhsa_exception_fp_ieee_overflow 0
		.amdhsa_exception_fp_ieee_underflow 0
		.amdhsa_exception_fp_ieee_inexact 0
		.amdhsa_exception_int_div_zero 0
	.end_amdhsa_kernel
	.section	.text._ZN7rocprim17ROCPRIM_400000_NS6detail17trampoline_kernelINS0_14default_configENS1_37merge_sort_block_sort_config_selectorI14custom_numericNS0_10empty_typeEEEZNS1_21merge_sort_block_sortIS3_N6thrust23THRUST_200600_302600_NS6detail15normal_iteratorINSA_10device_ptrIS5_EEEESF_PS6_SG_NSA_7greaterIS5_EEEE10hipError_tT0_T1_T2_T3_mRjT4_P12ihipStream_tbNS1_7vsmem_tEEUlT_E_NS1_11comp_targetILNS1_3genE10ELNS1_11target_archE1200ELNS1_3gpuE4ELNS1_3repE0EEENS1_30default_config_static_selectorELNS0_4arch9wavefront6targetE1EEEvSL_,"axG",@progbits,_ZN7rocprim17ROCPRIM_400000_NS6detail17trampoline_kernelINS0_14default_configENS1_37merge_sort_block_sort_config_selectorI14custom_numericNS0_10empty_typeEEEZNS1_21merge_sort_block_sortIS3_N6thrust23THRUST_200600_302600_NS6detail15normal_iteratorINSA_10device_ptrIS5_EEEESF_PS6_SG_NSA_7greaterIS5_EEEE10hipError_tT0_T1_T2_T3_mRjT4_P12ihipStream_tbNS1_7vsmem_tEEUlT_E_NS1_11comp_targetILNS1_3genE10ELNS1_11target_archE1200ELNS1_3gpuE4ELNS1_3repE0EEENS1_30default_config_static_selectorELNS0_4arch9wavefront6targetE1EEEvSL_,comdat
.Lfunc_end2639:
	.size	_ZN7rocprim17ROCPRIM_400000_NS6detail17trampoline_kernelINS0_14default_configENS1_37merge_sort_block_sort_config_selectorI14custom_numericNS0_10empty_typeEEEZNS1_21merge_sort_block_sortIS3_N6thrust23THRUST_200600_302600_NS6detail15normal_iteratorINSA_10device_ptrIS5_EEEESF_PS6_SG_NSA_7greaterIS5_EEEE10hipError_tT0_T1_T2_T3_mRjT4_P12ihipStream_tbNS1_7vsmem_tEEUlT_E_NS1_11comp_targetILNS1_3genE10ELNS1_11target_archE1200ELNS1_3gpuE4ELNS1_3repE0EEENS1_30default_config_static_selectorELNS0_4arch9wavefront6targetE1EEEvSL_, .Lfunc_end2639-_ZN7rocprim17ROCPRIM_400000_NS6detail17trampoline_kernelINS0_14default_configENS1_37merge_sort_block_sort_config_selectorI14custom_numericNS0_10empty_typeEEEZNS1_21merge_sort_block_sortIS3_N6thrust23THRUST_200600_302600_NS6detail15normal_iteratorINSA_10device_ptrIS5_EEEESF_PS6_SG_NSA_7greaterIS5_EEEE10hipError_tT0_T1_T2_T3_mRjT4_P12ihipStream_tbNS1_7vsmem_tEEUlT_E_NS1_11comp_targetILNS1_3genE10ELNS1_11target_archE1200ELNS1_3gpuE4ELNS1_3repE0EEENS1_30default_config_static_selectorELNS0_4arch9wavefront6targetE1EEEvSL_
                                        ; -- End function
	.section	.AMDGPU.csdata,"",@progbits
; Kernel info:
; codeLenInByte = 0
; NumSgprs: 4
; NumVgprs: 0
; NumAgprs: 0
; TotalNumVgprs: 0
; ScratchSize: 0
; MemoryBound: 0
; FloatMode: 240
; IeeeMode: 1
; LDSByteSize: 0 bytes/workgroup (compile time only)
; SGPRBlocks: 0
; VGPRBlocks: 0
; NumSGPRsForWavesPerEU: 4
; NumVGPRsForWavesPerEU: 1
; AccumOffset: 4
; Occupancy: 8
; WaveLimiterHint : 0
; COMPUTE_PGM_RSRC2:SCRATCH_EN: 0
; COMPUTE_PGM_RSRC2:USER_SGPR: 6
; COMPUTE_PGM_RSRC2:TRAP_HANDLER: 0
; COMPUTE_PGM_RSRC2:TGID_X_EN: 1
; COMPUTE_PGM_RSRC2:TGID_Y_EN: 0
; COMPUTE_PGM_RSRC2:TGID_Z_EN: 0
; COMPUTE_PGM_RSRC2:TIDIG_COMP_CNT: 0
; COMPUTE_PGM_RSRC3_GFX90A:ACCUM_OFFSET: 0
; COMPUTE_PGM_RSRC3_GFX90A:TG_SPLIT: 0
	.section	.text._ZN7rocprim17ROCPRIM_400000_NS6detail17trampoline_kernelINS0_14default_configENS1_37merge_sort_block_sort_config_selectorI14custom_numericNS0_10empty_typeEEEZNS1_21merge_sort_block_sortIS3_N6thrust23THRUST_200600_302600_NS6detail15normal_iteratorINSA_10device_ptrIS5_EEEESF_PS6_SG_NSA_7greaterIS5_EEEE10hipError_tT0_T1_T2_T3_mRjT4_P12ihipStream_tbNS1_7vsmem_tEEUlT_E_NS1_11comp_targetILNS1_3genE9ELNS1_11target_archE1100ELNS1_3gpuE3ELNS1_3repE0EEENS1_30default_config_static_selectorELNS0_4arch9wavefront6targetE1EEEvSL_,"axG",@progbits,_ZN7rocprim17ROCPRIM_400000_NS6detail17trampoline_kernelINS0_14default_configENS1_37merge_sort_block_sort_config_selectorI14custom_numericNS0_10empty_typeEEEZNS1_21merge_sort_block_sortIS3_N6thrust23THRUST_200600_302600_NS6detail15normal_iteratorINSA_10device_ptrIS5_EEEESF_PS6_SG_NSA_7greaterIS5_EEEE10hipError_tT0_T1_T2_T3_mRjT4_P12ihipStream_tbNS1_7vsmem_tEEUlT_E_NS1_11comp_targetILNS1_3genE9ELNS1_11target_archE1100ELNS1_3gpuE3ELNS1_3repE0EEENS1_30default_config_static_selectorELNS0_4arch9wavefront6targetE1EEEvSL_,comdat
	.protected	_ZN7rocprim17ROCPRIM_400000_NS6detail17trampoline_kernelINS0_14default_configENS1_37merge_sort_block_sort_config_selectorI14custom_numericNS0_10empty_typeEEEZNS1_21merge_sort_block_sortIS3_N6thrust23THRUST_200600_302600_NS6detail15normal_iteratorINSA_10device_ptrIS5_EEEESF_PS6_SG_NSA_7greaterIS5_EEEE10hipError_tT0_T1_T2_T3_mRjT4_P12ihipStream_tbNS1_7vsmem_tEEUlT_E_NS1_11comp_targetILNS1_3genE9ELNS1_11target_archE1100ELNS1_3gpuE3ELNS1_3repE0EEENS1_30default_config_static_selectorELNS0_4arch9wavefront6targetE1EEEvSL_ ; -- Begin function _ZN7rocprim17ROCPRIM_400000_NS6detail17trampoline_kernelINS0_14default_configENS1_37merge_sort_block_sort_config_selectorI14custom_numericNS0_10empty_typeEEEZNS1_21merge_sort_block_sortIS3_N6thrust23THRUST_200600_302600_NS6detail15normal_iteratorINSA_10device_ptrIS5_EEEESF_PS6_SG_NSA_7greaterIS5_EEEE10hipError_tT0_T1_T2_T3_mRjT4_P12ihipStream_tbNS1_7vsmem_tEEUlT_E_NS1_11comp_targetILNS1_3genE9ELNS1_11target_archE1100ELNS1_3gpuE3ELNS1_3repE0EEENS1_30default_config_static_selectorELNS0_4arch9wavefront6targetE1EEEvSL_
	.globl	_ZN7rocprim17ROCPRIM_400000_NS6detail17trampoline_kernelINS0_14default_configENS1_37merge_sort_block_sort_config_selectorI14custom_numericNS0_10empty_typeEEEZNS1_21merge_sort_block_sortIS3_N6thrust23THRUST_200600_302600_NS6detail15normal_iteratorINSA_10device_ptrIS5_EEEESF_PS6_SG_NSA_7greaterIS5_EEEE10hipError_tT0_T1_T2_T3_mRjT4_P12ihipStream_tbNS1_7vsmem_tEEUlT_E_NS1_11comp_targetILNS1_3genE9ELNS1_11target_archE1100ELNS1_3gpuE3ELNS1_3repE0EEENS1_30default_config_static_selectorELNS0_4arch9wavefront6targetE1EEEvSL_
	.p2align	8
	.type	_ZN7rocprim17ROCPRIM_400000_NS6detail17trampoline_kernelINS0_14default_configENS1_37merge_sort_block_sort_config_selectorI14custom_numericNS0_10empty_typeEEEZNS1_21merge_sort_block_sortIS3_N6thrust23THRUST_200600_302600_NS6detail15normal_iteratorINSA_10device_ptrIS5_EEEESF_PS6_SG_NSA_7greaterIS5_EEEE10hipError_tT0_T1_T2_T3_mRjT4_P12ihipStream_tbNS1_7vsmem_tEEUlT_E_NS1_11comp_targetILNS1_3genE9ELNS1_11target_archE1100ELNS1_3gpuE3ELNS1_3repE0EEENS1_30default_config_static_selectorELNS0_4arch9wavefront6targetE1EEEvSL_,@function
_ZN7rocprim17ROCPRIM_400000_NS6detail17trampoline_kernelINS0_14default_configENS1_37merge_sort_block_sort_config_selectorI14custom_numericNS0_10empty_typeEEEZNS1_21merge_sort_block_sortIS3_N6thrust23THRUST_200600_302600_NS6detail15normal_iteratorINSA_10device_ptrIS5_EEEESF_PS6_SG_NSA_7greaterIS5_EEEE10hipError_tT0_T1_T2_T3_mRjT4_P12ihipStream_tbNS1_7vsmem_tEEUlT_E_NS1_11comp_targetILNS1_3genE9ELNS1_11target_archE1100ELNS1_3gpuE3ELNS1_3repE0EEENS1_30default_config_static_selectorELNS0_4arch9wavefront6targetE1EEEvSL_: ; @_ZN7rocprim17ROCPRIM_400000_NS6detail17trampoline_kernelINS0_14default_configENS1_37merge_sort_block_sort_config_selectorI14custom_numericNS0_10empty_typeEEEZNS1_21merge_sort_block_sortIS3_N6thrust23THRUST_200600_302600_NS6detail15normal_iteratorINSA_10device_ptrIS5_EEEESF_PS6_SG_NSA_7greaterIS5_EEEE10hipError_tT0_T1_T2_T3_mRjT4_P12ihipStream_tbNS1_7vsmem_tEEUlT_E_NS1_11comp_targetILNS1_3genE9ELNS1_11target_archE1100ELNS1_3gpuE3ELNS1_3repE0EEENS1_30default_config_static_selectorELNS0_4arch9wavefront6targetE1EEEvSL_
; %bb.0:
	.section	.rodata,"a",@progbits
	.p2align	6, 0x0
	.amdhsa_kernel _ZN7rocprim17ROCPRIM_400000_NS6detail17trampoline_kernelINS0_14default_configENS1_37merge_sort_block_sort_config_selectorI14custom_numericNS0_10empty_typeEEEZNS1_21merge_sort_block_sortIS3_N6thrust23THRUST_200600_302600_NS6detail15normal_iteratorINSA_10device_ptrIS5_EEEESF_PS6_SG_NSA_7greaterIS5_EEEE10hipError_tT0_T1_T2_T3_mRjT4_P12ihipStream_tbNS1_7vsmem_tEEUlT_E_NS1_11comp_targetILNS1_3genE9ELNS1_11target_archE1100ELNS1_3gpuE3ELNS1_3repE0EEENS1_30default_config_static_selectorELNS0_4arch9wavefront6targetE1EEEvSL_
		.amdhsa_group_segment_fixed_size 0
		.amdhsa_private_segment_fixed_size 0
		.amdhsa_kernarg_size 64
		.amdhsa_user_sgpr_count 6
		.amdhsa_user_sgpr_private_segment_buffer 1
		.amdhsa_user_sgpr_dispatch_ptr 0
		.amdhsa_user_sgpr_queue_ptr 0
		.amdhsa_user_sgpr_kernarg_segment_ptr 1
		.amdhsa_user_sgpr_dispatch_id 0
		.amdhsa_user_sgpr_flat_scratch_init 0
		.amdhsa_user_sgpr_kernarg_preload_length 0
		.amdhsa_user_sgpr_kernarg_preload_offset 0
		.amdhsa_user_sgpr_private_segment_size 0
		.amdhsa_uses_dynamic_stack 0
		.amdhsa_system_sgpr_private_segment_wavefront_offset 0
		.amdhsa_system_sgpr_workgroup_id_x 1
		.amdhsa_system_sgpr_workgroup_id_y 0
		.amdhsa_system_sgpr_workgroup_id_z 0
		.amdhsa_system_sgpr_workgroup_info 0
		.amdhsa_system_vgpr_workitem_id 0
		.amdhsa_next_free_vgpr 1
		.amdhsa_next_free_sgpr 0
		.amdhsa_accum_offset 4
		.amdhsa_reserve_vcc 0
		.amdhsa_reserve_flat_scratch 0
		.amdhsa_float_round_mode_32 0
		.amdhsa_float_round_mode_16_64 0
		.amdhsa_float_denorm_mode_32 3
		.amdhsa_float_denorm_mode_16_64 3
		.amdhsa_dx10_clamp 1
		.amdhsa_ieee_mode 1
		.amdhsa_fp16_overflow 0
		.amdhsa_tg_split 0
		.amdhsa_exception_fp_ieee_invalid_op 0
		.amdhsa_exception_fp_denorm_src 0
		.amdhsa_exception_fp_ieee_div_zero 0
		.amdhsa_exception_fp_ieee_overflow 0
		.amdhsa_exception_fp_ieee_underflow 0
		.amdhsa_exception_fp_ieee_inexact 0
		.amdhsa_exception_int_div_zero 0
	.end_amdhsa_kernel
	.section	.text._ZN7rocprim17ROCPRIM_400000_NS6detail17trampoline_kernelINS0_14default_configENS1_37merge_sort_block_sort_config_selectorI14custom_numericNS0_10empty_typeEEEZNS1_21merge_sort_block_sortIS3_N6thrust23THRUST_200600_302600_NS6detail15normal_iteratorINSA_10device_ptrIS5_EEEESF_PS6_SG_NSA_7greaterIS5_EEEE10hipError_tT0_T1_T2_T3_mRjT4_P12ihipStream_tbNS1_7vsmem_tEEUlT_E_NS1_11comp_targetILNS1_3genE9ELNS1_11target_archE1100ELNS1_3gpuE3ELNS1_3repE0EEENS1_30default_config_static_selectorELNS0_4arch9wavefront6targetE1EEEvSL_,"axG",@progbits,_ZN7rocprim17ROCPRIM_400000_NS6detail17trampoline_kernelINS0_14default_configENS1_37merge_sort_block_sort_config_selectorI14custom_numericNS0_10empty_typeEEEZNS1_21merge_sort_block_sortIS3_N6thrust23THRUST_200600_302600_NS6detail15normal_iteratorINSA_10device_ptrIS5_EEEESF_PS6_SG_NSA_7greaterIS5_EEEE10hipError_tT0_T1_T2_T3_mRjT4_P12ihipStream_tbNS1_7vsmem_tEEUlT_E_NS1_11comp_targetILNS1_3genE9ELNS1_11target_archE1100ELNS1_3gpuE3ELNS1_3repE0EEENS1_30default_config_static_selectorELNS0_4arch9wavefront6targetE1EEEvSL_,comdat
.Lfunc_end2640:
	.size	_ZN7rocprim17ROCPRIM_400000_NS6detail17trampoline_kernelINS0_14default_configENS1_37merge_sort_block_sort_config_selectorI14custom_numericNS0_10empty_typeEEEZNS1_21merge_sort_block_sortIS3_N6thrust23THRUST_200600_302600_NS6detail15normal_iteratorINSA_10device_ptrIS5_EEEESF_PS6_SG_NSA_7greaterIS5_EEEE10hipError_tT0_T1_T2_T3_mRjT4_P12ihipStream_tbNS1_7vsmem_tEEUlT_E_NS1_11comp_targetILNS1_3genE9ELNS1_11target_archE1100ELNS1_3gpuE3ELNS1_3repE0EEENS1_30default_config_static_selectorELNS0_4arch9wavefront6targetE1EEEvSL_, .Lfunc_end2640-_ZN7rocprim17ROCPRIM_400000_NS6detail17trampoline_kernelINS0_14default_configENS1_37merge_sort_block_sort_config_selectorI14custom_numericNS0_10empty_typeEEEZNS1_21merge_sort_block_sortIS3_N6thrust23THRUST_200600_302600_NS6detail15normal_iteratorINSA_10device_ptrIS5_EEEESF_PS6_SG_NSA_7greaterIS5_EEEE10hipError_tT0_T1_T2_T3_mRjT4_P12ihipStream_tbNS1_7vsmem_tEEUlT_E_NS1_11comp_targetILNS1_3genE9ELNS1_11target_archE1100ELNS1_3gpuE3ELNS1_3repE0EEENS1_30default_config_static_selectorELNS0_4arch9wavefront6targetE1EEEvSL_
                                        ; -- End function
	.section	.AMDGPU.csdata,"",@progbits
; Kernel info:
; codeLenInByte = 0
; NumSgprs: 4
; NumVgprs: 0
; NumAgprs: 0
; TotalNumVgprs: 0
; ScratchSize: 0
; MemoryBound: 0
; FloatMode: 240
; IeeeMode: 1
; LDSByteSize: 0 bytes/workgroup (compile time only)
; SGPRBlocks: 0
; VGPRBlocks: 0
; NumSGPRsForWavesPerEU: 4
; NumVGPRsForWavesPerEU: 1
; AccumOffset: 4
; Occupancy: 8
; WaveLimiterHint : 0
; COMPUTE_PGM_RSRC2:SCRATCH_EN: 0
; COMPUTE_PGM_RSRC2:USER_SGPR: 6
; COMPUTE_PGM_RSRC2:TRAP_HANDLER: 0
; COMPUTE_PGM_RSRC2:TGID_X_EN: 1
; COMPUTE_PGM_RSRC2:TGID_Y_EN: 0
; COMPUTE_PGM_RSRC2:TGID_Z_EN: 0
; COMPUTE_PGM_RSRC2:TIDIG_COMP_CNT: 0
; COMPUTE_PGM_RSRC3_GFX90A:ACCUM_OFFSET: 0
; COMPUTE_PGM_RSRC3_GFX90A:TG_SPLIT: 0
	.section	.text._ZN7rocprim17ROCPRIM_400000_NS6detail17trampoline_kernelINS0_14default_configENS1_37merge_sort_block_sort_config_selectorI14custom_numericNS0_10empty_typeEEEZNS1_21merge_sort_block_sortIS3_N6thrust23THRUST_200600_302600_NS6detail15normal_iteratorINSA_10device_ptrIS5_EEEESF_PS6_SG_NSA_7greaterIS5_EEEE10hipError_tT0_T1_T2_T3_mRjT4_P12ihipStream_tbNS1_7vsmem_tEEUlT_E_NS1_11comp_targetILNS1_3genE8ELNS1_11target_archE1030ELNS1_3gpuE2ELNS1_3repE0EEENS1_30default_config_static_selectorELNS0_4arch9wavefront6targetE1EEEvSL_,"axG",@progbits,_ZN7rocprim17ROCPRIM_400000_NS6detail17trampoline_kernelINS0_14default_configENS1_37merge_sort_block_sort_config_selectorI14custom_numericNS0_10empty_typeEEEZNS1_21merge_sort_block_sortIS3_N6thrust23THRUST_200600_302600_NS6detail15normal_iteratorINSA_10device_ptrIS5_EEEESF_PS6_SG_NSA_7greaterIS5_EEEE10hipError_tT0_T1_T2_T3_mRjT4_P12ihipStream_tbNS1_7vsmem_tEEUlT_E_NS1_11comp_targetILNS1_3genE8ELNS1_11target_archE1030ELNS1_3gpuE2ELNS1_3repE0EEENS1_30default_config_static_selectorELNS0_4arch9wavefront6targetE1EEEvSL_,comdat
	.protected	_ZN7rocprim17ROCPRIM_400000_NS6detail17trampoline_kernelINS0_14default_configENS1_37merge_sort_block_sort_config_selectorI14custom_numericNS0_10empty_typeEEEZNS1_21merge_sort_block_sortIS3_N6thrust23THRUST_200600_302600_NS6detail15normal_iteratorINSA_10device_ptrIS5_EEEESF_PS6_SG_NSA_7greaterIS5_EEEE10hipError_tT0_T1_T2_T3_mRjT4_P12ihipStream_tbNS1_7vsmem_tEEUlT_E_NS1_11comp_targetILNS1_3genE8ELNS1_11target_archE1030ELNS1_3gpuE2ELNS1_3repE0EEENS1_30default_config_static_selectorELNS0_4arch9wavefront6targetE1EEEvSL_ ; -- Begin function _ZN7rocprim17ROCPRIM_400000_NS6detail17trampoline_kernelINS0_14default_configENS1_37merge_sort_block_sort_config_selectorI14custom_numericNS0_10empty_typeEEEZNS1_21merge_sort_block_sortIS3_N6thrust23THRUST_200600_302600_NS6detail15normal_iteratorINSA_10device_ptrIS5_EEEESF_PS6_SG_NSA_7greaterIS5_EEEE10hipError_tT0_T1_T2_T3_mRjT4_P12ihipStream_tbNS1_7vsmem_tEEUlT_E_NS1_11comp_targetILNS1_3genE8ELNS1_11target_archE1030ELNS1_3gpuE2ELNS1_3repE0EEENS1_30default_config_static_selectorELNS0_4arch9wavefront6targetE1EEEvSL_
	.globl	_ZN7rocprim17ROCPRIM_400000_NS6detail17trampoline_kernelINS0_14default_configENS1_37merge_sort_block_sort_config_selectorI14custom_numericNS0_10empty_typeEEEZNS1_21merge_sort_block_sortIS3_N6thrust23THRUST_200600_302600_NS6detail15normal_iteratorINSA_10device_ptrIS5_EEEESF_PS6_SG_NSA_7greaterIS5_EEEE10hipError_tT0_T1_T2_T3_mRjT4_P12ihipStream_tbNS1_7vsmem_tEEUlT_E_NS1_11comp_targetILNS1_3genE8ELNS1_11target_archE1030ELNS1_3gpuE2ELNS1_3repE0EEENS1_30default_config_static_selectorELNS0_4arch9wavefront6targetE1EEEvSL_
	.p2align	8
	.type	_ZN7rocprim17ROCPRIM_400000_NS6detail17trampoline_kernelINS0_14default_configENS1_37merge_sort_block_sort_config_selectorI14custom_numericNS0_10empty_typeEEEZNS1_21merge_sort_block_sortIS3_N6thrust23THRUST_200600_302600_NS6detail15normal_iteratorINSA_10device_ptrIS5_EEEESF_PS6_SG_NSA_7greaterIS5_EEEE10hipError_tT0_T1_T2_T3_mRjT4_P12ihipStream_tbNS1_7vsmem_tEEUlT_E_NS1_11comp_targetILNS1_3genE8ELNS1_11target_archE1030ELNS1_3gpuE2ELNS1_3repE0EEENS1_30default_config_static_selectorELNS0_4arch9wavefront6targetE1EEEvSL_,@function
_ZN7rocprim17ROCPRIM_400000_NS6detail17trampoline_kernelINS0_14default_configENS1_37merge_sort_block_sort_config_selectorI14custom_numericNS0_10empty_typeEEEZNS1_21merge_sort_block_sortIS3_N6thrust23THRUST_200600_302600_NS6detail15normal_iteratorINSA_10device_ptrIS5_EEEESF_PS6_SG_NSA_7greaterIS5_EEEE10hipError_tT0_T1_T2_T3_mRjT4_P12ihipStream_tbNS1_7vsmem_tEEUlT_E_NS1_11comp_targetILNS1_3genE8ELNS1_11target_archE1030ELNS1_3gpuE2ELNS1_3repE0EEENS1_30default_config_static_selectorELNS0_4arch9wavefront6targetE1EEEvSL_: ; @_ZN7rocprim17ROCPRIM_400000_NS6detail17trampoline_kernelINS0_14default_configENS1_37merge_sort_block_sort_config_selectorI14custom_numericNS0_10empty_typeEEEZNS1_21merge_sort_block_sortIS3_N6thrust23THRUST_200600_302600_NS6detail15normal_iteratorINSA_10device_ptrIS5_EEEESF_PS6_SG_NSA_7greaterIS5_EEEE10hipError_tT0_T1_T2_T3_mRjT4_P12ihipStream_tbNS1_7vsmem_tEEUlT_E_NS1_11comp_targetILNS1_3genE8ELNS1_11target_archE1030ELNS1_3gpuE2ELNS1_3repE0EEENS1_30default_config_static_selectorELNS0_4arch9wavefront6targetE1EEEvSL_
; %bb.0:
	.section	.rodata,"a",@progbits
	.p2align	6, 0x0
	.amdhsa_kernel _ZN7rocprim17ROCPRIM_400000_NS6detail17trampoline_kernelINS0_14default_configENS1_37merge_sort_block_sort_config_selectorI14custom_numericNS0_10empty_typeEEEZNS1_21merge_sort_block_sortIS3_N6thrust23THRUST_200600_302600_NS6detail15normal_iteratorINSA_10device_ptrIS5_EEEESF_PS6_SG_NSA_7greaterIS5_EEEE10hipError_tT0_T1_T2_T3_mRjT4_P12ihipStream_tbNS1_7vsmem_tEEUlT_E_NS1_11comp_targetILNS1_3genE8ELNS1_11target_archE1030ELNS1_3gpuE2ELNS1_3repE0EEENS1_30default_config_static_selectorELNS0_4arch9wavefront6targetE1EEEvSL_
		.amdhsa_group_segment_fixed_size 0
		.amdhsa_private_segment_fixed_size 0
		.amdhsa_kernarg_size 64
		.amdhsa_user_sgpr_count 6
		.amdhsa_user_sgpr_private_segment_buffer 1
		.amdhsa_user_sgpr_dispatch_ptr 0
		.amdhsa_user_sgpr_queue_ptr 0
		.amdhsa_user_sgpr_kernarg_segment_ptr 1
		.amdhsa_user_sgpr_dispatch_id 0
		.amdhsa_user_sgpr_flat_scratch_init 0
		.amdhsa_user_sgpr_kernarg_preload_length 0
		.amdhsa_user_sgpr_kernarg_preload_offset 0
		.amdhsa_user_sgpr_private_segment_size 0
		.amdhsa_uses_dynamic_stack 0
		.amdhsa_system_sgpr_private_segment_wavefront_offset 0
		.amdhsa_system_sgpr_workgroup_id_x 1
		.amdhsa_system_sgpr_workgroup_id_y 0
		.amdhsa_system_sgpr_workgroup_id_z 0
		.amdhsa_system_sgpr_workgroup_info 0
		.amdhsa_system_vgpr_workitem_id 0
		.amdhsa_next_free_vgpr 1
		.amdhsa_next_free_sgpr 0
		.amdhsa_accum_offset 4
		.amdhsa_reserve_vcc 0
		.amdhsa_reserve_flat_scratch 0
		.amdhsa_float_round_mode_32 0
		.amdhsa_float_round_mode_16_64 0
		.amdhsa_float_denorm_mode_32 3
		.amdhsa_float_denorm_mode_16_64 3
		.amdhsa_dx10_clamp 1
		.amdhsa_ieee_mode 1
		.amdhsa_fp16_overflow 0
		.amdhsa_tg_split 0
		.amdhsa_exception_fp_ieee_invalid_op 0
		.amdhsa_exception_fp_denorm_src 0
		.amdhsa_exception_fp_ieee_div_zero 0
		.amdhsa_exception_fp_ieee_overflow 0
		.amdhsa_exception_fp_ieee_underflow 0
		.amdhsa_exception_fp_ieee_inexact 0
		.amdhsa_exception_int_div_zero 0
	.end_amdhsa_kernel
	.section	.text._ZN7rocprim17ROCPRIM_400000_NS6detail17trampoline_kernelINS0_14default_configENS1_37merge_sort_block_sort_config_selectorI14custom_numericNS0_10empty_typeEEEZNS1_21merge_sort_block_sortIS3_N6thrust23THRUST_200600_302600_NS6detail15normal_iteratorINSA_10device_ptrIS5_EEEESF_PS6_SG_NSA_7greaterIS5_EEEE10hipError_tT0_T1_T2_T3_mRjT4_P12ihipStream_tbNS1_7vsmem_tEEUlT_E_NS1_11comp_targetILNS1_3genE8ELNS1_11target_archE1030ELNS1_3gpuE2ELNS1_3repE0EEENS1_30default_config_static_selectorELNS0_4arch9wavefront6targetE1EEEvSL_,"axG",@progbits,_ZN7rocprim17ROCPRIM_400000_NS6detail17trampoline_kernelINS0_14default_configENS1_37merge_sort_block_sort_config_selectorI14custom_numericNS0_10empty_typeEEEZNS1_21merge_sort_block_sortIS3_N6thrust23THRUST_200600_302600_NS6detail15normal_iteratorINSA_10device_ptrIS5_EEEESF_PS6_SG_NSA_7greaterIS5_EEEE10hipError_tT0_T1_T2_T3_mRjT4_P12ihipStream_tbNS1_7vsmem_tEEUlT_E_NS1_11comp_targetILNS1_3genE8ELNS1_11target_archE1030ELNS1_3gpuE2ELNS1_3repE0EEENS1_30default_config_static_selectorELNS0_4arch9wavefront6targetE1EEEvSL_,comdat
.Lfunc_end2641:
	.size	_ZN7rocprim17ROCPRIM_400000_NS6detail17trampoline_kernelINS0_14default_configENS1_37merge_sort_block_sort_config_selectorI14custom_numericNS0_10empty_typeEEEZNS1_21merge_sort_block_sortIS3_N6thrust23THRUST_200600_302600_NS6detail15normal_iteratorINSA_10device_ptrIS5_EEEESF_PS6_SG_NSA_7greaterIS5_EEEE10hipError_tT0_T1_T2_T3_mRjT4_P12ihipStream_tbNS1_7vsmem_tEEUlT_E_NS1_11comp_targetILNS1_3genE8ELNS1_11target_archE1030ELNS1_3gpuE2ELNS1_3repE0EEENS1_30default_config_static_selectorELNS0_4arch9wavefront6targetE1EEEvSL_, .Lfunc_end2641-_ZN7rocprim17ROCPRIM_400000_NS6detail17trampoline_kernelINS0_14default_configENS1_37merge_sort_block_sort_config_selectorI14custom_numericNS0_10empty_typeEEEZNS1_21merge_sort_block_sortIS3_N6thrust23THRUST_200600_302600_NS6detail15normal_iteratorINSA_10device_ptrIS5_EEEESF_PS6_SG_NSA_7greaterIS5_EEEE10hipError_tT0_T1_T2_T3_mRjT4_P12ihipStream_tbNS1_7vsmem_tEEUlT_E_NS1_11comp_targetILNS1_3genE8ELNS1_11target_archE1030ELNS1_3gpuE2ELNS1_3repE0EEENS1_30default_config_static_selectorELNS0_4arch9wavefront6targetE1EEEvSL_
                                        ; -- End function
	.section	.AMDGPU.csdata,"",@progbits
; Kernel info:
; codeLenInByte = 0
; NumSgprs: 4
; NumVgprs: 0
; NumAgprs: 0
; TotalNumVgprs: 0
; ScratchSize: 0
; MemoryBound: 0
; FloatMode: 240
; IeeeMode: 1
; LDSByteSize: 0 bytes/workgroup (compile time only)
; SGPRBlocks: 0
; VGPRBlocks: 0
; NumSGPRsForWavesPerEU: 4
; NumVGPRsForWavesPerEU: 1
; AccumOffset: 4
; Occupancy: 8
; WaveLimiterHint : 0
; COMPUTE_PGM_RSRC2:SCRATCH_EN: 0
; COMPUTE_PGM_RSRC2:USER_SGPR: 6
; COMPUTE_PGM_RSRC2:TRAP_HANDLER: 0
; COMPUTE_PGM_RSRC2:TGID_X_EN: 1
; COMPUTE_PGM_RSRC2:TGID_Y_EN: 0
; COMPUTE_PGM_RSRC2:TGID_Z_EN: 0
; COMPUTE_PGM_RSRC2:TIDIG_COMP_CNT: 0
; COMPUTE_PGM_RSRC3_GFX90A:ACCUM_OFFSET: 0
; COMPUTE_PGM_RSRC3_GFX90A:TG_SPLIT: 0
	.section	.text._ZN7rocprim17ROCPRIM_400000_NS6detail17trampoline_kernelINS0_14default_configENS1_38merge_sort_block_merge_config_selectorI14custom_numericNS0_10empty_typeEEEZZNS1_27merge_sort_block_merge_implIS3_N6thrust23THRUST_200600_302600_NS6detail15normal_iteratorINSA_10device_ptrIS5_EEEEPS6_mNSA_7greaterIS5_EEEE10hipError_tT0_T1_T2_jT3_P12ihipStream_tbPNSt15iterator_traitsISK_E10value_typeEPNSQ_ISL_E10value_typeEPSM_NS1_7vsmem_tEENKUlT_SK_SL_SM_E_clIPS5_SF_SG_SG_EESJ_SZ_SK_SL_SM_EUlSZ_E_NS1_11comp_targetILNS1_3genE0ELNS1_11target_archE4294967295ELNS1_3gpuE0ELNS1_3repE0EEENS1_48merge_mergepath_partition_config_static_selectorELNS0_4arch9wavefront6targetE1EEEvSL_,"axG",@progbits,_ZN7rocprim17ROCPRIM_400000_NS6detail17trampoline_kernelINS0_14default_configENS1_38merge_sort_block_merge_config_selectorI14custom_numericNS0_10empty_typeEEEZZNS1_27merge_sort_block_merge_implIS3_N6thrust23THRUST_200600_302600_NS6detail15normal_iteratorINSA_10device_ptrIS5_EEEEPS6_mNSA_7greaterIS5_EEEE10hipError_tT0_T1_T2_jT3_P12ihipStream_tbPNSt15iterator_traitsISK_E10value_typeEPNSQ_ISL_E10value_typeEPSM_NS1_7vsmem_tEENKUlT_SK_SL_SM_E_clIPS5_SF_SG_SG_EESJ_SZ_SK_SL_SM_EUlSZ_E_NS1_11comp_targetILNS1_3genE0ELNS1_11target_archE4294967295ELNS1_3gpuE0ELNS1_3repE0EEENS1_48merge_mergepath_partition_config_static_selectorELNS0_4arch9wavefront6targetE1EEEvSL_,comdat
	.protected	_ZN7rocprim17ROCPRIM_400000_NS6detail17trampoline_kernelINS0_14default_configENS1_38merge_sort_block_merge_config_selectorI14custom_numericNS0_10empty_typeEEEZZNS1_27merge_sort_block_merge_implIS3_N6thrust23THRUST_200600_302600_NS6detail15normal_iteratorINSA_10device_ptrIS5_EEEEPS6_mNSA_7greaterIS5_EEEE10hipError_tT0_T1_T2_jT3_P12ihipStream_tbPNSt15iterator_traitsISK_E10value_typeEPNSQ_ISL_E10value_typeEPSM_NS1_7vsmem_tEENKUlT_SK_SL_SM_E_clIPS5_SF_SG_SG_EESJ_SZ_SK_SL_SM_EUlSZ_E_NS1_11comp_targetILNS1_3genE0ELNS1_11target_archE4294967295ELNS1_3gpuE0ELNS1_3repE0EEENS1_48merge_mergepath_partition_config_static_selectorELNS0_4arch9wavefront6targetE1EEEvSL_ ; -- Begin function _ZN7rocprim17ROCPRIM_400000_NS6detail17trampoline_kernelINS0_14default_configENS1_38merge_sort_block_merge_config_selectorI14custom_numericNS0_10empty_typeEEEZZNS1_27merge_sort_block_merge_implIS3_N6thrust23THRUST_200600_302600_NS6detail15normal_iteratorINSA_10device_ptrIS5_EEEEPS6_mNSA_7greaterIS5_EEEE10hipError_tT0_T1_T2_jT3_P12ihipStream_tbPNSt15iterator_traitsISK_E10value_typeEPNSQ_ISL_E10value_typeEPSM_NS1_7vsmem_tEENKUlT_SK_SL_SM_E_clIPS5_SF_SG_SG_EESJ_SZ_SK_SL_SM_EUlSZ_E_NS1_11comp_targetILNS1_3genE0ELNS1_11target_archE4294967295ELNS1_3gpuE0ELNS1_3repE0EEENS1_48merge_mergepath_partition_config_static_selectorELNS0_4arch9wavefront6targetE1EEEvSL_
	.globl	_ZN7rocprim17ROCPRIM_400000_NS6detail17trampoline_kernelINS0_14default_configENS1_38merge_sort_block_merge_config_selectorI14custom_numericNS0_10empty_typeEEEZZNS1_27merge_sort_block_merge_implIS3_N6thrust23THRUST_200600_302600_NS6detail15normal_iteratorINSA_10device_ptrIS5_EEEEPS6_mNSA_7greaterIS5_EEEE10hipError_tT0_T1_T2_jT3_P12ihipStream_tbPNSt15iterator_traitsISK_E10value_typeEPNSQ_ISL_E10value_typeEPSM_NS1_7vsmem_tEENKUlT_SK_SL_SM_E_clIPS5_SF_SG_SG_EESJ_SZ_SK_SL_SM_EUlSZ_E_NS1_11comp_targetILNS1_3genE0ELNS1_11target_archE4294967295ELNS1_3gpuE0ELNS1_3repE0EEENS1_48merge_mergepath_partition_config_static_selectorELNS0_4arch9wavefront6targetE1EEEvSL_
	.p2align	8
	.type	_ZN7rocprim17ROCPRIM_400000_NS6detail17trampoline_kernelINS0_14default_configENS1_38merge_sort_block_merge_config_selectorI14custom_numericNS0_10empty_typeEEEZZNS1_27merge_sort_block_merge_implIS3_N6thrust23THRUST_200600_302600_NS6detail15normal_iteratorINSA_10device_ptrIS5_EEEEPS6_mNSA_7greaterIS5_EEEE10hipError_tT0_T1_T2_jT3_P12ihipStream_tbPNSt15iterator_traitsISK_E10value_typeEPNSQ_ISL_E10value_typeEPSM_NS1_7vsmem_tEENKUlT_SK_SL_SM_E_clIPS5_SF_SG_SG_EESJ_SZ_SK_SL_SM_EUlSZ_E_NS1_11comp_targetILNS1_3genE0ELNS1_11target_archE4294967295ELNS1_3gpuE0ELNS1_3repE0EEENS1_48merge_mergepath_partition_config_static_selectorELNS0_4arch9wavefront6targetE1EEEvSL_,@function
_ZN7rocprim17ROCPRIM_400000_NS6detail17trampoline_kernelINS0_14default_configENS1_38merge_sort_block_merge_config_selectorI14custom_numericNS0_10empty_typeEEEZZNS1_27merge_sort_block_merge_implIS3_N6thrust23THRUST_200600_302600_NS6detail15normal_iteratorINSA_10device_ptrIS5_EEEEPS6_mNSA_7greaterIS5_EEEE10hipError_tT0_T1_T2_jT3_P12ihipStream_tbPNSt15iterator_traitsISK_E10value_typeEPNSQ_ISL_E10value_typeEPSM_NS1_7vsmem_tEENKUlT_SK_SL_SM_E_clIPS5_SF_SG_SG_EESJ_SZ_SK_SL_SM_EUlSZ_E_NS1_11comp_targetILNS1_3genE0ELNS1_11target_archE4294967295ELNS1_3gpuE0ELNS1_3repE0EEENS1_48merge_mergepath_partition_config_static_selectorELNS0_4arch9wavefront6targetE1EEEvSL_: ; @_ZN7rocprim17ROCPRIM_400000_NS6detail17trampoline_kernelINS0_14default_configENS1_38merge_sort_block_merge_config_selectorI14custom_numericNS0_10empty_typeEEEZZNS1_27merge_sort_block_merge_implIS3_N6thrust23THRUST_200600_302600_NS6detail15normal_iteratorINSA_10device_ptrIS5_EEEEPS6_mNSA_7greaterIS5_EEEE10hipError_tT0_T1_T2_jT3_P12ihipStream_tbPNSt15iterator_traitsISK_E10value_typeEPNSQ_ISL_E10value_typeEPSM_NS1_7vsmem_tEENKUlT_SK_SL_SM_E_clIPS5_SF_SG_SG_EESJ_SZ_SK_SL_SM_EUlSZ_E_NS1_11comp_targetILNS1_3genE0ELNS1_11target_archE4294967295ELNS1_3gpuE0ELNS1_3repE0EEENS1_48merge_mergepath_partition_config_static_selectorELNS0_4arch9wavefront6targetE1EEEvSL_
; %bb.0:
	.section	.rodata,"a",@progbits
	.p2align	6, 0x0
	.amdhsa_kernel _ZN7rocprim17ROCPRIM_400000_NS6detail17trampoline_kernelINS0_14default_configENS1_38merge_sort_block_merge_config_selectorI14custom_numericNS0_10empty_typeEEEZZNS1_27merge_sort_block_merge_implIS3_N6thrust23THRUST_200600_302600_NS6detail15normal_iteratorINSA_10device_ptrIS5_EEEEPS6_mNSA_7greaterIS5_EEEE10hipError_tT0_T1_T2_jT3_P12ihipStream_tbPNSt15iterator_traitsISK_E10value_typeEPNSQ_ISL_E10value_typeEPSM_NS1_7vsmem_tEENKUlT_SK_SL_SM_E_clIPS5_SF_SG_SG_EESJ_SZ_SK_SL_SM_EUlSZ_E_NS1_11comp_targetILNS1_3genE0ELNS1_11target_archE4294967295ELNS1_3gpuE0ELNS1_3repE0EEENS1_48merge_mergepath_partition_config_static_selectorELNS0_4arch9wavefront6targetE1EEEvSL_
		.amdhsa_group_segment_fixed_size 0
		.amdhsa_private_segment_fixed_size 0
		.amdhsa_kernarg_size 48
		.amdhsa_user_sgpr_count 6
		.amdhsa_user_sgpr_private_segment_buffer 1
		.amdhsa_user_sgpr_dispatch_ptr 0
		.amdhsa_user_sgpr_queue_ptr 0
		.amdhsa_user_sgpr_kernarg_segment_ptr 1
		.amdhsa_user_sgpr_dispatch_id 0
		.amdhsa_user_sgpr_flat_scratch_init 0
		.amdhsa_user_sgpr_kernarg_preload_length 0
		.amdhsa_user_sgpr_kernarg_preload_offset 0
		.amdhsa_user_sgpr_private_segment_size 0
		.amdhsa_uses_dynamic_stack 0
		.amdhsa_system_sgpr_private_segment_wavefront_offset 0
		.amdhsa_system_sgpr_workgroup_id_x 1
		.amdhsa_system_sgpr_workgroup_id_y 0
		.amdhsa_system_sgpr_workgroup_id_z 0
		.amdhsa_system_sgpr_workgroup_info 0
		.amdhsa_system_vgpr_workitem_id 0
		.amdhsa_next_free_vgpr 1
		.amdhsa_next_free_sgpr 0
		.amdhsa_accum_offset 4
		.amdhsa_reserve_vcc 0
		.amdhsa_reserve_flat_scratch 0
		.amdhsa_float_round_mode_32 0
		.amdhsa_float_round_mode_16_64 0
		.amdhsa_float_denorm_mode_32 3
		.amdhsa_float_denorm_mode_16_64 3
		.amdhsa_dx10_clamp 1
		.amdhsa_ieee_mode 1
		.amdhsa_fp16_overflow 0
		.amdhsa_tg_split 0
		.amdhsa_exception_fp_ieee_invalid_op 0
		.amdhsa_exception_fp_denorm_src 0
		.amdhsa_exception_fp_ieee_div_zero 0
		.amdhsa_exception_fp_ieee_overflow 0
		.amdhsa_exception_fp_ieee_underflow 0
		.amdhsa_exception_fp_ieee_inexact 0
		.amdhsa_exception_int_div_zero 0
	.end_amdhsa_kernel
	.section	.text._ZN7rocprim17ROCPRIM_400000_NS6detail17trampoline_kernelINS0_14default_configENS1_38merge_sort_block_merge_config_selectorI14custom_numericNS0_10empty_typeEEEZZNS1_27merge_sort_block_merge_implIS3_N6thrust23THRUST_200600_302600_NS6detail15normal_iteratorINSA_10device_ptrIS5_EEEEPS6_mNSA_7greaterIS5_EEEE10hipError_tT0_T1_T2_jT3_P12ihipStream_tbPNSt15iterator_traitsISK_E10value_typeEPNSQ_ISL_E10value_typeEPSM_NS1_7vsmem_tEENKUlT_SK_SL_SM_E_clIPS5_SF_SG_SG_EESJ_SZ_SK_SL_SM_EUlSZ_E_NS1_11comp_targetILNS1_3genE0ELNS1_11target_archE4294967295ELNS1_3gpuE0ELNS1_3repE0EEENS1_48merge_mergepath_partition_config_static_selectorELNS0_4arch9wavefront6targetE1EEEvSL_,"axG",@progbits,_ZN7rocprim17ROCPRIM_400000_NS6detail17trampoline_kernelINS0_14default_configENS1_38merge_sort_block_merge_config_selectorI14custom_numericNS0_10empty_typeEEEZZNS1_27merge_sort_block_merge_implIS3_N6thrust23THRUST_200600_302600_NS6detail15normal_iteratorINSA_10device_ptrIS5_EEEEPS6_mNSA_7greaterIS5_EEEE10hipError_tT0_T1_T2_jT3_P12ihipStream_tbPNSt15iterator_traitsISK_E10value_typeEPNSQ_ISL_E10value_typeEPSM_NS1_7vsmem_tEENKUlT_SK_SL_SM_E_clIPS5_SF_SG_SG_EESJ_SZ_SK_SL_SM_EUlSZ_E_NS1_11comp_targetILNS1_3genE0ELNS1_11target_archE4294967295ELNS1_3gpuE0ELNS1_3repE0EEENS1_48merge_mergepath_partition_config_static_selectorELNS0_4arch9wavefront6targetE1EEEvSL_,comdat
.Lfunc_end2642:
	.size	_ZN7rocprim17ROCPRIM_400000_NS6detail17trampoline_kernelINS0_14default_configENS1_38merge_sort_block_merge_config_selectorI14custom_numericNS0_10empty_typeEEEZZNS1_27merge_sort_block_merge_implIS3_N6thrust23THRUST_200600_302600_NS6detail15normal_iteratorINSA_10device_ptrIS5_EEEEPS6_mNSA_7greaterIS5_EEEE10hipError_tT0_T1_T2_jT3_P12ihipStream_tbPNSt15iterator_traitsISK_E10value_typeEPNSQ_ISL_E10value_typeEPSM_NS1_7vsmem_tEENKUlT_SK_SL_SM_E_clIPS5_SF_SG_SG_EESJ_SZ_SK_SL_SM_EUlSZ_E_NS1_11comp_targetILNS1_3genE0ELNS1_11target_archE4294967295ELNS1_3gpuE0ELNS1_3repE0EEENS1_48merge_mergepath_partition_config_static_selectorELNS0_4arch9wavefront6targetE1EEEvSL_, .Lfunc_end2642-_ZN7rocprim17ROCPRIM_400000_NS6detail17trampoline_kernelINS0_14default_configENS1_38merge_sort_block_merge_config_selectorI14custom_numericNS0_10empty_typeEEEZZNS1_27merge_sort_block_merge_implIS3_N6thrust23THRUST_200600_302600_NS6detail15normal_iteratorINSA_10device_ptrIS5_EEEEPS6_mNSA_7greaterIS5_EEEE10hipError_tT0_T1_T2_jT3_P12ihipStream_tbPNSt15iterator_traitsISK_E10value_typeEPNSQ_ISL_E10value_typeEPSM_NS1_7vsmem_tEENKUlT_SK_SL_SM_E_clIPS5_SF_SG_SG_EESJ_SZ_SK_SL_SM_EUlSZ_E_NS1_11comp_targetILNS1_3genE0ELNS1_11target_archE4294967295ELNS1_3gpuE0ELNS1_3repE0EEENS1_48merge_mergepath_partition_config_static_selectorELNS0_4arch9wavefront6targetE1EEEvSL_
                                        ; -- End function
	.section	.AMDGPU.csdata,"",@progbits
; Kernel info:
; codeLenInByte = 0
; NumSgprs: 4
; NumVgprs: 0
; NumAgprs: 0
; TotalNumVgprs: 0
; ScratchSize: 0
; MemoryBound: 0
; FloatMode: 240
; IeeeMode: 1
; LDSByteSize: 0 bytes/workgroup (compile time only)
; SGPRBlocks: 0
; VGPRBlocks: 0
; NumSGPRsForWavesPerEU: 4
; NumVGPRsForWavesPerEU: 1
; AccumOffset: 4
; Occupancy: 8
; WaveLimiterHint : 0
; COMPUTE_PGM_RSRC2:SCRATCH_EN: 0
; COMPUTE_PGM_RSRC2:USER_SGPR: 6
; COMPUTE_PGM_RSRC2:TRAP_HANDLER: 0
; COMPUTE_PGM_RSRC2:TGID_X_EN: 1
; COMPUTE_PGM_RSRC2:TGID_Y_EN: 0
; COMPUTE_PGM_RSRC2:TGID_Z_EN: 0
; COMPUTE_PGM_RSRC2:TIDIG_COMP_CNT: 0
; COMPUTE_PGM_RSRC3_GFX90A:ACCUM_OFFSET: 0
; COMPUTE_PGM_RSRC3_GFX90A:TG_SPLIT: 0
	.section	.text._ZN7rocprim17ROCPRIM_400000_NS6detail17trampoline_kernelINS0_14default_configENS1_38merge_sort_block_merge_config_selectorI14custom_numericNS0_10empty_typeEEEZZNS1_27merge_sort_block_merge_implIS3_N6thrust23THRUST_200600_302600_NS6detail15normal_iteratorINSA_10device_ptrIS5_EEEEPS6_mNSA_7greaterIS5_EEEE10hipError_tT0_T1_T2_jT3_P12ihipStream_tbPNSt15iterator_traitsISK_E10value_typeEPNSQ_ISL_E10value_typeEPSM_NS1_7vsmem_tEENKUlT_SK_SL_SM_E_clIPS5_SF_SG_SG_EESJ_SZ_SK_SL_SM_EUlSZ_E_NS1_11comp_targetILNS1_3genE10ELNS1_11target_archE1201ELNS1_3gpuE5ELNS1_3repE0EEENS1_48merge_mergepath_partition_config_static_selectorELNS0_4arch9wavefront6targetE1EEEvSL_,"axG",@progbits,_ZN7rocprim17ROCPRIM_400000_NS6detail17trampoline_kernelINS0_14default_configENS1_38merge_sort_block_merge_config_selectorI14custom_numericNS0_10empty_typeEEEZZNS1_27merge_sort_block_merge_implIS3_N6thrust23THRUST_200600_302600_NS6detail15normal_iteratorINSA_10device_ptrIS5_EEEEPS6_mNSA_7greaterIS5_EEEE10hipError_tT0_T1_T2_jT3_P12ihipStream_tbPNSt15iterator_traitsISK_E10value_typeEPNSQ_ISL_E10value_typeEPSM_NS1_7vsmem_tEENKUlT_SK_SL_SM_E_clIPS5_SF_SG_SG_EESJ_SZ_SK_SL_SM_EUlSZ_E_NS1_11comp_targetILNS1_3genE10ELNS1_11target_archE1201ELNS1_3gpuE5ELNS1_3repE0EEENS1_48merge_mergepath_partition_config_static_selectorELNS0_4arch9wavefront6targetE1EEEvSL_,comdat
	.protected	_ZN7rocprim17ROCPRIM_400000_NS6detail17trampoline_kernelINS0_14default_configENS1_38merge_sort_block_merge_config_selectorI14custom_numericNS0_10empty_typeEEEZZNS1_27merge_sort_block_merge_implIS3_N6thrust23THRUST_200600_302600_NS6detail15normal_iteratorINSA_10device_ptrIS5_EEEEPS6_mNSA_7greaterIS5_EEEE10hipError_tT0_T1_T2_jT3_P12ihipStream_tbPNSt15iterator_traitsISK_E10value_typeEPNSQ_ISL_E10value_typeEPSM_NS1_7vsmem_tEENKUlT_SK_SL_SM_E_clIPS5_SF_SG_SG_EESJ_SZ_SK_SL_SM_EUlSZ_E_NS1_11comp_targetILNS1_3genE10ELNS1_11target_archE1201ELNS1_3gpuE5ELNS1_3repE0EEENS1_48merge_mergepath_partition_config_static_selectorELNS0_4arch9wavefront6targetE1EEEvSL_ ; -- Begin function _ZN7rocprim17ROCPRIM_400000_NS6detail17trampoline_kernelINS0_14default_configENS1_38merge_sort_block_merge_config_selectorI14custom_numericNS0_10empty_typeEEEZZNS1_27merge_sort_block_merge_implIS3_N6thrust23THRUST_200600_302600_NS6detail15normal_iteratorINSA_10device_ptrIS5_EEEEPS6_mNSA_7greaterIS5_EEEE10hipError_tT0_T1_T2_jT3_P12ihipStream_tbPNSt15iterator_traitsISK_E10value_typeEPNSQ_ISL_E10value_typeEPSM_NS1_7vsmem_tEENKUlT_SK_SL_SM_E_clIPS5_SF_SG_SG_EESJ_SZ_SK_SL_SM_EUlSZ_E_NS1_11comp_targetILNS1_3genE10ELNS1_11target_archE1201ELNS1_3gpuE5ELNS1_3repE0EEENS1_48merge_mergepath_partition_config_static_selectorELNS0_4arch9wavefront6targetE1EEEvSL_
	.globl	_ZN7rocprim17ROCPRIM_400000_NS6detail17trampoline_kernelINS0_14default_configENS1_38merge_sort_block_merge_config_selectorI14custom_numericNS0_10empty_typeEEEZZNS1_27merge_sort_block_merge_implIS3_N6thrust23THRUST_200600_302600_NS6detail15normal_iteratorINSA_10device_ptrIS5_EEEEPS6_mNSA_7greaterIS5_EEEE10hipError_tT0_T1_T2_jT3_P12ihipStream_tbPNSt15iterator_traitsISK_E10value_typeEPNSQ_ISL_E10value_typeEPSM_NS1_7vsmem_tEENKUlT_SK_SL_SM_E_clIPS5_SF_SG_SG_EESJ_SZ_SK_SL_SM_EUlSZ_E_NS1_11comp_targetILNS1_3genE10ELNS1_11target_archE1201ELNS1_3gpuE5ELNS1_3repE0EEENS1_48merge_mergepath_partition_config_static_selectorELNS0_4arch9wavefront6targetE1EEEvSL_
	.p2align	8
	.type	_ZN7rocprim17ROCPRIM_400000_NS6detail17trampoline_kernelINS0_14default_configENS1_38merge_sort_block_merge_config_selectorI14custom_numericNS0_10empty_typeEEEZZNS1_27merge_sort_block_merge_implIS3_N6thrust23THRUST_200600_302600_NS6detail15normal_iteratorINSA_10device_ptrIS5_EEEEPS6_mNSA_7greaterIS5_EEEE10hipError_tT0_T1_T2_jT3_P12ihipStream_tbPNSt15iterator_traitsISK_E10value_typeEPNSQ_ISL_E10value_typeEPSM_NS1_7vsmem_tEENKUlT_SK_SL_SM_E_clIPS5_SF_SG_SG_EESJ_SZ_SK_SL_SM_EUlSZ_E_NS1_11comp_targetILNS1_3genE10ELNS1_11target_archE1201ELNS1_3gpuE5ELNS1_3repE0EEENS1_48merge_mergepath_partition_config_static_selectorELNS0_4arch9wavefront6targetE1EEEvSL_,@function
_ZN7rocprim17ROCPRIM_400000_NS6detail17trampoline_kernelINS0_14default_configENS1_38merge_sort_block_merge_config_selectorI14custom_numericNS0_10empty_typeEEEZZNS1_27merge_sort_block_merge_implIS3_N6thrust23THRUST_200600_302600_NS6detail15normal_iteratorINSA_10device_ptrIS5_EEEEPS6_mNSA_7greaterIS5_EEEE10hipError_tT0_T1_T2_jT3_P12ihipStream_tbPNSt15iterator_traitsISK_E10value_typeEPNSQ_ISL_E10value_typeEPSM_NS1_7vsmem_tEENKUlT_SK_SL_SM_E_clIPS5_SF_SG_SG_EESJ_SZ_SK_SL_SM_EUlSZ_E_NS1_11comp_targetILNS1_3genE10ELNS1_11target_archE1201ELNS1_3gpuE5ELNS1_3repE0EEENS1_48merge_mergepath_partition_config_static_selectorELNS0_4arch9wavefront6targetE1EEEvSL_: ; @_ZN7rocprim17ROCPRIM_400000_NS6detail17trampoline_kernelINS0_14default_configENS1_38merge_sort_block_merge_config_selectorI14custom_numericNS0_10empty_typeEEEZZNS1_27merge_sort_block_merge_implIS3_N6thrust23THRUST_200600_302600_NS6detail15normal_iteratorINSA_10device_ptrIS5_EEEEPS6_mNSA_7greaterIS5_EEEE10hipError_tT0_T1_T2_jT3_P12ihipStream_tbPNSt15iterator_traitsISK_E10value_typeEPNSQ_ISL_E10value_typeEPSM_NS1_7vsmem_tEENKUlT_SK_SL_SM_E_clIPS5_SF_SG_SG_EESJ_SZ_SK_SL_SM_EUlSZ_E_NS1_11comp_targetILNS1_3genE10ELNS1_11target_archE1201ELNS1_3gpuE5ELNS1_3repE0EEENS1_48merge_mergepath_partition_config_static_selectorELNS0_4arch9wavefront6targetE1EEEvSL_
; %bb.0:
	.section	.rodata,"a",@progbits
	.p2align	6, 0x0
	.amdhsa_kernel _ZN7rocprim17ROCPRIM_400000_NS6detail17trampoline_kernelINS0_14default_configENS1_38merge_sort_block_merge_config_selectorI14custom_numericNS0_10empty_typeEEEZZNS1_27merge_sort_block_merge_implIS3_N6thrust23THRUST_200600_302600_NS6detail15normal_iteratorINSA_10device_ptrIS5_EEEEPS6_mNSA_7greaterIS5_EEEE10hipError_tT0_T1_T2_jT3_P12ihipStream_tbPNSt15iterator_traitsISK_E10value_typeEPNSQ_ISL_E10value_typeEPSM_NS1_7vsmem_tEENKUlT_SK_SL_SM_E_clIPS5_SF_SG_SG_EESJ_SZ_SK_SL_SM_EUlSZ_E_NS1_11comp_targetILNS1_3genE10ELNS1_11target_archE1201ELNS1_3gpuE5ELNS1_3repE0EEENS1_48merge_mergepath_partition_config_static_selectorELNS0_4arch9wavefront6targetE1EEEvSL_
		.amdhsa_group_segment_fixed_size 0
		.amdhsa_private_segment_fixed_size 0
		.amdhsa_kernarg_size 48
		.amdhsa_user_sgpr_count 6
		.amdhsa_user_sgpr_private_segment_buffer 1
		.amdhsa_user_sgpr_dispatch_ptr 0
		.amdhsa_user_sgpr_queue_ptr 0
		.amdhsa_user_sgpr_kernarg_segment_ptr 1
		.amdhsa_user_sgpr_dispatch_id 0
		.amdhsa_user_sgpr_flat_scratch_init 0
		.amdhsa_user_sgpr_kernarg_preload_length 0
		.amdhsa_user_sgpr_kernarg_preload_offset 0
		.amdhsa_user_sgpr_private_segment_size 0
		.amdhsa_uses_dynamic_stack 0
		.amdhsa_system_sgpr_private_segment_wavefront_offset 0
		.amdhsa_system_sgpr_workgroup_id_x 1
		.amdhsa_system_sgpr_workgroup_id_y 0
		.amdhsa_system_sgpr_workgroup_id_z 0
		.amdhsa_system_sgpr_workgroup_info 0
		.amdhsa_system_vgpr_workitem_id 0
		.amdhsa_next_free_vgpr 1
		.amdhsa_next_free_sgpr 0
		.amdhsa_accum_offset 4
		.amdhsa_reserve_vcc 0
		.amdhsa_reserve_flat_scratch 0
		.amdhsa_float_round_mode_32 0
		.amdhsa_float_round_mode_16_64 0
		.amdhsa_float_denorm_mode_32 3
		.amdhsa_float_denorm_mode_16_64 3
		.amdhsa_dx10_clamp 1
		.amdhsa_ieee_mode 1
		.amdhsa_fp16_overflow 0
		.amdhsa_tg_split 0
		.amdhsa_exception_fp_ieee_invalid_op 0
		.amdhsa_exception_fp_denorm_src 0
		.amdhsa_exception_fp_ieee_div_zero 0
		.amdhsa_exception_fp_ieee_overflow 0
		.amdhsa_exception_fp_ieee_underflow 0
		.amdhsa_exception_fp_ieee_inexact 0
		.amdhsa_exception_int_div_zero 0
	.end_amdhsa_kernel
	.section	.text._ZN7rocprim17ROCPRIM_400000_NS6detail17trampoline_kernelINS0_14default_configENS1_38merge_sort_block_merge_config_selectorI14custom_numericNS0_10empty_typeEEEZZNS1_27merge_sort_block_merge_implIS3_N6thrust23THRUST_200600_302600_NS6detail15normal_iteratorINSA_10device_ptrIS5_EEEEPS6_mNSA_7greaterIS5_EEEE10hipError_tT0_T1_T2_jT3_P12ihipStream_tbPNSt15iterator_traitsISK_E10value_typeEPNSQ_ISL_E10value_typeEPSM_NS1_7vsmem_tEENKUlT_SK_SL_SM_E_clIPS5_SF_SG_SG_EESJ_SZ_SK_SL_SM_EUlSZ_E_NS1_11comp_targetILNS1_3genE10ELNS1_11target_archE1201ELNS1_3gpuE5ELNS1_3repE0EEENS1_48merge_mergepath_partition_config_static_selectorELNS0_4arch9wavefront6targetE1EEEvSL_,"axG",@progbits,_ZN7rocprim17ROCPRIM_400000_NS6detail17trampoline_kernelINS0_14default_configENS1_38merge_sort_block_merge_config_selectorI14custom_numericNS0_10empty_typeEEEZZNS1_27merge_sort_block_merge_implIS3_N6thrust23THRUST_200600_302600_NS6detail15normal_iteratorINSA_10device_ptrIS5_EEEEPS6_mNSA_7greaterIS5_EEEE10hipError_tT0_T1_T2_jT3_P12ihipStream_tbPNSt15iterator_traitsISK_E10value_typeEPNSQ_ISL_E10value_typeEPSM_NS1_7vsmem_tEENKUlT_SK_SL_SM_E_clIPS5_SF_SG_SG_EESJ_SZ_SK_SL_SM_EUlSZ_E_NS1_11comp_targetILNS1_3genE10ELNS1_11target_archE1201ELNS1_3gpuE5ELNS1_3repE0EEENS1_48merge_mergepath_partition_config_static_selectorELNS0_4arch9wavefront6targetE1EEEvSL_,comdat
.Lfunc_end2643:
	.size	_ZN7rocprim17ROCPRIM_400000_NS6detail17trampoline_kernelINS0_14default_configENS1_38merge_sort_block_merge_config_selectorI14custom_numericNS0_10empty_typeEEEZZNS1_27merge_sort_block_merge_implIS3_N6thrust23THRUST_200600_302600_NS6detail15normal_iteratorINSA_10device_ptrIS5_EEEEPS6_mNSA_7greaterIS5_EEEE10hipError_tT0_T1_T2_jT3_P12ihipStream_tbPNSt15iterator_traitsISK_E10value_typeEPNSQ_ISL_E10value_typeEPSM_NS1_7vsmem_tEENKUlT_SK_SL_SM_E_clIPS5_SF_SG_SG_EESJ_SZ_SK_SL_SM_EUlSZ_E_NS1_11comp_targetILNS1_3genE10ELNS1_11target_archE1201ELNS1_3gpuE5ELNS1_3repE0EEENS1_48merge_mergepath_partition_config_static_selectorELNS0_4arch9wavefront6targetE1EEEvSL_, .Lfunc_end2643-_ZN7rocprim17ROCPRIM_400000_NS6detail17trampoline_kernelINS0_14default_configENS1_38merge_sort_block_merge_config_selectorI14custom_numericNS0_10empty_typeEEEZZNS1_27merge_sort_block_merge_implIS3_N6thrust23THRUST_200600_302600_NS6detail15normal_iteratorINSA_10device_ptrIS5_EEEEPS6_mNSA_7greaterIS5_EEEE10hipError_tT0_T1_T2_jT3_P12ihipStream_tbPNSt15iterator_traitsISK_E10value_typeEPNSQ_ISL_E10value_typeEPSM_NS1_7vsmem_tEENKUlT_SK_SL_SM_E_clIPS5_SF_SG_SG_EESJ_SZ_SK_SL_SM_EUlSZ_E_NS1_11comp_targetILNS1_3genE10ELNS1_11target_archE1201ELNS1_3gpuE5ELNS1_3repE0EEENS1_48merge_mergepath_partition_config_static_selectorELNS0_4arch9wavefront6targetE1EEEvSL_
                                        ; -- End function
	.section	.AMDGPU.csdata,"",@progbits
; Kernel info:
; codeLenInByte = 0
; NumSgprs: 4
; NumVgprs: 0
; NumAgprs: 0
; TotalNumVgprs: 0
; ScratchSize: 0
; MemoryBound: 0
; FloatMode: 240
; IeeeMode: 1
; LDSByteSize: 0 bytes/workgroup (compile time only)
; SGPRBlocks: 0
; VGPRBlocks: 0
; NumSGPRsForWavesPerEU: 4
; NumVGPRsForWavesPerEU: 1
; AccumOffset: 4
; Occupancy: 8
; WaveLimiterHint : 0
; COMPUTE_PGM_RSRC2:SCRATCH_EN: 0
; COMPUTE_PGM_RSRC2:USER_SGPR: 6
; COMPUTE_PGM_RSRC2:TRAP_HANDLER: 0
; COMPUTE_PGM_RSRC2:TGID_X_EN: 1
; COMPUTE_PGM_RSRC2:TGID_Y_EN: 0
; COMPUTE_PGM_RSRC2:TGID_Z_EN: 0
; COMPUTE_PGM_RSRC2:TIDIG_COMP_CNT: 0
; COMPUTE_PGM_RSRC3_GFX90A:ACCUM_OFFSET: 0
; COMPUTE_PGM_RSRC3_GFX90A:TG_SPLIT: 0
	.section	.text._ZN7rocprim17ROCPRIM_400000_NS6detail17trampoline_kernelINS0_14default_configENS1_38merge_sort_block_merge_config_selectorI14custom_numericNS0_10empty_typeEEEZZNS1_27merge_sort_block_merge_implIS3_N6thrust23THRUST_200600_302600_NS6detail15normal_iteratorINSA_10device_ptrIS5_EEEEPS6_mNSA_7greaterIS5_EEEE10hipError_tT0_T1_T2_jT3_P12ihipStream_tbPNSt15iterator_traitsISK_E10value_typeEPNSQ_ISL_E10value_typeEPSM_NS1_7vsmem_tEENKUlT_SK_SL_SM_E_clIPS5_SF_SG_SG_EESJ_SZ_SK_SL_SM_EUlSZ_E_NS1_11comp_targetILNS1_3genE5ELNS1_11target_archE942ELNS1_3gpuE9ELNS1_3repE0EEENS1_48merge_mergepath_partition_config_static_selectorELNS0_4arch9wavefront6targetE1EEEvSL_,"axG",@progbits,_ZN7rocprim17ROCPRIM_400000_NS6detail17trampoline_kernelINS0_14default_configENS1_38merge_sort_block_merge_config_selectorI14custom_numericNS0_10empty_typeEEEZZNS1_27merge_sort_block_merge_implIS3_N6thrust23THRUST_200600_302600_NS6detail15normal_iteratorINSA_10device_ptrIS5_EEEEPS6_mNSA_7greaterIS5_EEEE10hipError_tT0_T1_T2_jT3_P12ihipStream_tbPNSt15iterator_traitsISK_E10value_typeEPNSQ_ISL_E10value_typeEPSM_NS1_7vsmem_tEENKUlT_SK_SL_SM_E_clIPS5_SF_SG_SG_EESJ_SZ_SK_SL_SM_EUlSZ_E_NS1_11comp_targetILNS1_3genE5ELNS1_11target_archE942ELNS1_3gpuE9ELNS1_3repE0EEENS1_48merge_mergepath_partition_config_static_selectorELNS0_4arch9wavefront6targetE1EEEvSL_,comdat
	.protected	_ZN7rocprim17ROCPRIM_400000_NS6detail17trampoline_kernelINS0_14default_configENS1_38merge_sort_block_merge_config_selectorI14custom_numericNS0_10empty_typeEEEZZNS1_27merge_sort_block_merge_implIS3_N6thrust23THRUST_200600_302600_NS6detail15normal_iteratorINSA_10device_ptrIS5_EEEEPS6_mNSA_7greaterIS5_EEEE10hipError_tT0_T1_T2_jT3_P12ihipStream_tbPNSt15iterator_traitsISK_E10value_typeEPNSQ_ISL_E10value_typeEPSM_NS1_7vsmem_tEENKUlT_SK_SL_SM_E_clIPS5_SF_SG_SG_EESJ_SZ_SK_SL_SM_EUlSZ_E_NS1_11comp_targetILNS1_3genE5ELNS1_11target_archE942ELNS1_3gpuE9ELNS1_3repE0EEENS1_48merge_mergepath_partition_config_static_selectorELNS0_4arch9wavefront6targetE1EEEvSL_ ; -- Begin function _ZN7rocprim17ROCPRIM_400000_NS6detail17trampoline_kernelINS0_14default_configENS1_38merge_sort_block_merge_config_selectorI14custom_numericNS0_10empty_typeEEEZZNS1_27merge_sort_block_merge_implIS3_N6thrust23THRUST_200600_302600_NS6detail15normal_iteratorINSA_10device_ptrIS5_EEEEPS6_mNSA_7greaterIS5_EEEE10hipError_tT0_T1_T2_jT3_P12ihipStream_tbPNSt15iterator_traitsISK_E10value_typeEPNSQ_ISL_E10value_typeEPSM_NS1_7vsmem_tEENKUlT_SK_SL_SM_E_clIPS5_SF_SG_SG_EESJ_SZ_SK_SL_SM_EUlSZ_E_NS1_11comp_targetILNS1_3genE5ELNS1_11target_archE942ELNS1_3gpuE9ELNS1_3repE0EEENS1_48merge_mergepath_partition_config_static_selectorELNS0_4arch9wavefront6targetE1EEEvSL_
	.globl	_ZN7rocprim17ROCPRIM_400000_NS6detail17trampoline_kernelINS0_14default_configENS1_38merge_sort_block_merge_config_selectorI14custom_numericNS0_10empty_typeEEEZZNS1_27merge_sort_block_merge_implIS3_N6thrust23THRUST_200600_302600_NS6detail15normal_iteratorINSA_10device_ptrIS5_EEEEPS6_mNSA_7greaterIS5_EEEE10hipError_tT0_T1_T2_jT3_P12ihipStream_tbPNSt15iterator_traitsISK_E10value_typeEPNSQ_ISL_E10value_typeEPSM_NS1_7vsmem_tEENKUlT_SK_SL_SM_E_clIPS5_SF_SG_SG_EESJ_SZ_SK_SL_SM_EUlSZ_E_NS1_11comp_targetILNS1_3genE5ELNS1_11target_archE942ELNS1_3gpuE9ELNS1_3repE0EEENS1_48merge_mergepath_partition_config_static_selectorELNS0_4arch9wavefront6targetE1EEEvSL_
	.p2align	8
	.type	_ZN7rocprim17ROCPRIM_400000_NS6detail17trampoline_kernelINS0_14default_configENS1_38merge_sort_block_merge_config_selectorI14custom_numericNS0_10empty_typeEEEZZNS1_27merge_sort_block_merge_implIS3_N6thrust23THRUST_200600_302600_NS6detail15normal_iteratorINSA_10device_ptrIS5_EEEEPS6_mNSA_7greaterIS5_EEEE10hipError_tT0_T1_T2_jT3_P12ihipStream_tbPNSt15iterator_traitsISK_E10value_typeEPNSQ_ISL_E10value_typeEPSM_NS1_7vsmem_tEENKUlT_SK_SL_SM_E_clIPS5_SF_SG_SG_EESJ_SZ_SK_SL_SM_EUlSZ_E_NS1_11comp_targetILNS1_3genE5ELNS1_11target_archE942ELNS1_3gpuE9ELNS1_3repE0EEENS1_48merge_mergepath_partition_config_static_selectorELNS0_4arch9wavefront6targetE1EEEvSL_,@function
_ZN7rocprim17ROCPRIM_400000_NS6detail17trampoline_kernelINS0_14default_configENS1_38merge_sort_block_merge_config_selectorI14custom_numericNS0_10empty_typeEEEZZNS1_27merge_sort_block_merge_implIS3_N6thrust23THRUST_200600_302600_NS6detail15normal_iteratorINSA_10device_ptrIS5_EEEEPS6_mNSA_7greaterIS5_EEEE10hipError_tT0_T1_T2_jT3_P12ihipStream_tbPNSt15iterator_traitsISK_E10value_typeEPNSQ_ISL_E10value_typeEPSM_NS1_7vsmem_tEENKUlT_SK_SL_SM_E_clIPS5_SF_SG_SG_EESJ_SZ_SK_SL_SM_EUlSZ_E_NS1_11comp_targetILNS1_3genE5ELNS1_11target_archE942ELNS1_3gpuE9ELNS1_3repE0EEENS1_48merge_mergepath_partition_config_static_selectorELNS0_4arch9wavefront6targetE1EEEvSL_: ; @_ZN7rocprim17ROCPRIM_400000_NS6detail17trampoline_kernelINS0_14default_configENS1_38merge_sort_block_merge_config_selectorI14custom_numericNS0_10empty_typeEEEZZNS1_27merge_sort_block_merge_implIS3_N6thrust23THRUST_200600_302600_NS6detail15normal_iteratorINSA_10device_ptrIS5_EEEEPS6_mNSA_7greaterIS5_EEEE10hipError_tT0_T1_T2_jT3_P12ihipStream_tbPNSt15iterator_traitsISK_E10value_typeEPNSQ_ISL_E10value_typeEPSM_NS1_7vsmem_tEENKUlT_SK_SL_SM_E_clIPS5_SF_SG_SG_EESJ_SZ_SK_SL_SM_EUlSZ_E_NS1_11comp_targetILNS1_3genE5ELNS1_11target_archE942ELNS1_3gpuE9ELNS1_3repE0EEENS1_48merge_mergepath_partition_config_static_selectorELNS0_4arch9wavefront6targetE1EEEvSL_
; %bb.0:
	.section	.rodata,"a",@progbits
	.p2align	6, 0x0
	.amdhsa_kernel _ZN7rocprim17ROCPRIM_400000_NS6detail17trampoline_kernelINS0_14default_configENS1_38merge_sort_block_merge_config_selectorI14custom_numericNS0_10empty_typeEEEZZNS1_27merge_sort_block_merge_implIS3_N6thrust23THRUST_200600_302600_NS6detail15normal_iteratorINSA_10device_ptrIS5_EEEEPS6_mNSA_7greaterIS5_EEEE10hipError_tT0_T1_T2_jT3_P12ihipStream_tbPNSt15iterator_traitsISK_E10value_typeEPNSQ_ISL_E10value_typeEPSM_NS1_7vsmem_tEENKUlT_SK_SL_SM_E_clIPS5_SF_SG_SG_EESJ_SZ_SK_SL_SM_EUlSZ_E_NS1_11comp_targetILNS1_3genE5ELNS1_11target_archE942ELNS1_3gpuE9ELNS1_3repE0EEENS1_48merge_mergepath_partition_config_static_selectorELNS0_4arch9wavefront6targetE1EEEvSL_
		.amdhsa_group_segment_fixed_size 0
		.amdhsa_private_segment_fixed_size 0
		.amdhsa_kernarg_size 48
		.amdhsa_user_sgpr_count 6
		.amdhsa_user_sgpr_private_segment_buffer 1
		.amdhsa_user_sgpr_dispatch_ptr 0
		.amdhsa_user_sgpr_queue_ptr 0
		.amdhsa_user_sgpr_kernarg_segment_ptr 1
		.amdhsa_user_sgpr_dispatch_id 0
		.amdhsa_user_sgpr_flat_scratch_init 0
		.amdhsa_user_sgpr_kernarg_preload_length 0
		.amdhsa_user_sgpr_kernarg_preload_offset 0
		.amdhsa_user_sgpr_private_segment_size 0
		.amdhsa_uses_dynamic_stack 0
		.amdhsa_system_sgpr_private_segment_wavefront_offset 0
		.amdhsa_system_sgpr_workgroup_id_x 1
		.amdhsa_system_sgpr_workgroup_id_y 0
		.amdhsa_system_sgpr_workgroup_id_z 0
		.amdhsa_system_sgpr_workgroup_info 0
		.amdhsa_system_vgpr_workitem_id 0
		.amdhsa_next_free_vgpr 1
		.amdhsa_next_free_sgpr 0
		.amdhsa_accum_offset 4
		.amdhsa_reserve_vcc 0
		.amdhsa_reserve_flat_scratch 0
		.amdhsa_float_round_mode_32 0
		.amdhsa_float_round_mode_16_64 0
		.amdhsa_float_denorm_mode_32 3
		.amdhsa_float_denorm_mode_16_64 3
		.amdhsa_dx10_clamp 1
		.amdhsa_ieee_mode 1
		.amdhsa_fp16_overflow 0
		.amdhsa_tg_split 0
		.amdhsa_exception_fp_ieee_invalid_op 0
		.amdhsa_exception_fp_denorm_src 0
		.amdhsa_exception_fp_ieee_div_zero 0
		.amdhsa_exception_fp_ieee_overflow 0
		.amdhsa_exception_fp_ieee_underflow 0
		.amdhsa_exception_fp_ieee_inexact 0
		.amdhsa_exception_int_div_zero 0
	.end_amdhsa_kernel
	.section	.text._ZN7rocprim17ROCPRIM_400000_NS6detail17trampoline_kernelINS0_14default_configENS1_38merge_sort_block_merge_config_selectorI14custom_numericNS0_10empty_typeEEEZZNS1_27merge_sort_block_merge_implIS3_N6thrust23THRUST_200600_302600_NS6detail15normal_iteratorINSA_10device_ptrIS5_EEEEPS6_mNSA_7greaterIS5_EEEE10hipError_tT0_T1_T2_jT3_P12ihipStream_tbPNSt15iterator_traitsISK_E10value_typeEPNSQ_ISL_E10value_typeEPSM_NS1_7vsmem_tEENKUlT_SK_SL_SM_E_clIPS5_SF_SG_SG_EESJ_SZ_SK_SL_SM_EUlSZ_E_NS1_11comp_targetILNS1_3genE5ELNS1_11target_archE942ELNS1_3gpuE9ELNS1_3repE0EEENS1_48merge_mergepath_partition_config_static_selectorELNS0_4arch9wavefront6targetE1EEEvSL_,"axG",@progbits,_ZN7rocprim17ROCPRIM_400000_NS6detail17trampoline_kernelINS0_14default_configENS1_38merge_sort_block_merge_config_selectorI14custom_numericNS0_10empty_typeEEEZZNS1_27merge_sort_block_merge_implIS3_N6thrust23THRUST_200600_302600_NS6detail15normal_iteratorINSA_10device_ptrIS5_EEEEPS6_mNSA_7greaterIS5_EEEE10hipError_tT0_T1_T2_jT3_P12ihipStream_tbPNSt15iterator_traitsISK_E10value_typeEPNSQ_ISL_E10value_typeEPSM_NS1_7vsmem_tEENKUlT_SK_SL_SM_E_clIPS5_SF_SG_SG_EESJ_SZ_SK_SL_SM_EUlSZ_E_NS1_11comp_targetILNS1_3genE5ELNS1_11target_archE942ELNS1_3gpuE9ELNS1_3repE0EEENS1_48merge_mergepath_partition_config_static_selectorELNS0_4arch9wavefront6targetE1EEEvSL_,comdat
.Lfunc_end2644:
	.size	_ZN7rocprim17ROCPRIM_400000_NS6detail17trampoline_kernelINS0_14default_configENS1_38merge_sort_block_merge_config_selectorI14custom_numericNS0_10empty_typeEEEZZNS1_27merge_sort_block_merge_implIS3_N6thrust23THRUST_200600_302600_NS6detail15normal_iteratorINSA_10device_ptrIS5_EEEEPS6_mNSA_7greaterIS5_EEEE10hipError_tT0_T1_T2_jT3_P12ihipStream_tbPNSt15iterator_traitsISK_E10value_typeEPNSQ_ISL_E10value_typeEPSM_NS1_7vsmem_tEENKUlT_SK_SL_SM_E_clIPS5_SF_SG_SG_EESJ_SZ_SK_SL_SM_EUlSZ_E_NS1_11comp_targetILNS1_3genE5ELNS1_11target_archE942ELNS1_3gpuE9ELNS1_3repE0EEENS1_48merge_mergepath_partition_config_static_selectorELNS0_4arch9wavefront6targetE1EEEvSL_, .Lfunc_end2644-_ZN7rocprim17ROCPRIM_400000_NS6detail17trampoline_kernelINS0_14default_configENS1_38merge_sort_block_merge_config_selectorI14custom_numericNS0_10empty_typeEEEZZNS1_27merge_sort_block_merge_implIS3_N6thrust23THRUST_200600_302600_NS6detail15normal_iteratorINSA_10device_ptrIS5_EEEEPS6_mNSA_7greaterIS5_EEEE10hipError_tT0_T1_T2_jT3_P12ihipStream_tbPNSt15iterator_traitsISK_E10value_typeEPNSQ_ISL_E10value_typeEPSM_NS1_7vsmem_tEENKUlT_SK_SL_SM_E_clIPS5_SF_SG_SG_EESJ_SZ_SK_SL_SM_EUlSZ_E_NS1_11comp_targetILNS1_3genE5ELNS1_11target_archE942ELNS1_3gpuE9ELNS1_3repE0EEENS1_48merge_mergepath_partition_config_static_selectorELNS0_4arch9wavefront6targetE1EEEvSL_
                                        ; -- End function
	.section	.AMDGPU.csdata,"",@progbits
; Kernel info:
; codeLenInByte = 0
; NumSgprs: 4
; NumVgprs: 0
; NumAgprs: 0
; TotalNumVgprs: 0
; ScratchSize: 0
; MemoryBound: 0
; FloatMode: 240
; IeeeMode: 1
; LDSByteSize: 0 bytes/workgroup (compile time only)
; SGPRBlocks: 0
; VGPRBlocks: 0
; NumSGPRsForWavesPerEU: 4
; NumVGPRsForWavesPerEU: 1
; AccumOffset: 4
; Occupancy: 8
; WaveLimiterHint : 0
; COMPUTE_PGM_RSRC2:SCRATCH_EN: 0
; COMPUTE_PGM_RSRC2:USER_SGPR: 6
; COMPUTE_PGM_RSRC2:TRAP_HANDLER: 0
; COMPUTE_PGM_RSRC2:TGID_X_EN: 1
; COMPUTE_PGM_RSRC2:TGID_Y_EN: 0
; COMPUTE_PGM_RSRC2:TGID_Z_EN: 0
; COMPUTE_PGM_RSRC2:TIDIG_COMP_CNT: 0
; COMPUTE_PGM_RSRC3_GFX90A:ACCUM_OFFSET: 0
; COMPUTE_PGM_RSRC3_GFX90A:TG_SPLIT: 0
	.section	.text._ZN7rocprim17ROCPRIM_400000_NS6detail17trampoline_kernelINS0_14default_configENS1_38merge_sort_block_merge_config_selectorI14custom_numericNS0_10empty_typeEEEZZNS1_27merge_sort_block_merge_implIS3_N6thrust23THRUST_200600_302600_NS6detail15normal_iteratorINSA_10device_ptrIS5_EEEEPS6_mNSA_7greaterIS5_EEEE10hipError_tT0_T1_T2_jT3_P12ihipStream_tbPNSt15iterator_traitsISK_E10value_typeEPNSQ_ISL_E10value_typeEPSM_NS1_7vsmem_tEENKUlT_SK_SL_SM_E_clIPS5_SF_SG_SG_EESJ_SZ_SK_SL_SM_EUlSZ_E_NS1_11comp_targetILNS1_3genE4ELNS1_11target_archE910ELNS1_3gpuE8ELNS1_3repE0EEENS1_48merge_mergepath_partition_config_static_selectorELNS0_4arch9wavefront6targetE1EEEvSL_,"axG",@progbits,_ZN7rocprim17ROCPRIM_400000_NS6detail17trampoline_kernelINS0_14default_configENS1_38merge_sort_block_merge_config_selectorI14custom_numericNS0_10empty_typeEEEZZNS1_27merge_sort_block_merge_implIS3_N6thrust23THRUST_200600_302600_NS6detail15normal_iteratorINSA_10device_ptrIS5_EEEEPS6_mNSA_7greaterIS5_EEEE10hipError_tT0_T1_T2_jT3_P12ihipStream_tbPNSt15iterator_traitsISK_E10value_typeEPNSQ_ISL_E10value_typeEPSM_NS1_7vsmem_tEENKUlT_SK_SL_SM_E_clIPS5_SF_SG_SG_EESJ_SZ_SK_SL_SM_EUlSZ_E_NS1_11comp_targetILNS1_3genE4ELNS1_11target_archE910ELNS1_3gpuE8ELNS1_3repE0EEENS1_48merge_mergepath_partition_config_static_selectorELNS0_4arch9wavefront6targetE1EEEvSL_,comdat
	.protected	_ZN7rocprim17ROCPRIM_400000_NS6detail17trampoline_kernelINS0_14default_configENS1_38merge_sort_block_merge_config_selectorI14custom_numericNS0_10empty_typeEEEZZNS1_27merge_sort_block_merge_implIS3_N6thrust23THRUST_200600_302600_NS6detail15normal_iteratorINSA_10device_ptrIS5_EEEEPS6_mNSA_7greaterIS5_EEEE10hipError_tT0_T1_T2_jT3_P12ihipStream_tbPNSt15iterator_traitsISK_E10value_typeEPNSQ_ISL_E10value_typeEPSM_NS1_7vsmem_tEENKUlT_SK_SL_SM_E_clIPS5_SF_SG_SG_EESJ_SZ_SK_SL_SM_EUlSZ_E_NS1_11comp_targetILNS1_3genE4ELNS1_11target_archE910ELNS1_3gpuE8ELNS1_3repE0EEENS1_48merge_mergepath_partition_config_static_selectorELNS0_4arch9wavefront6targetE1EEEvSL_ ; -- Begin function _ZN7rocprim17ROCPRIM_400000_NS6detail17trampoline_kernelINS0_14default_configENS1_38merge_sort_block_merge_config_selectorI14custom_numericNS0_10empty_typeEEEZZNS1_27merge_sort_block_merge_implIS3_N6thrust23THRUST_200600_302600_NS6detail15normal_iteratorINSA_10device_ptrIS5_EEEEPS6_mNSA_7greaterIS5_EEEE10hipError_tT0_T1_T2_jT3_P12ihipStream_tbPNSt15iterator_traitsISK_E10value_typeEPNSQ_ISL_E10value_typeEPSM_NS1_7vsmem_tEENKUlT_SK_SL_SM_E_clIPS5_SF_SG_SG_EESJ_SZ_SK_SL_SM_EUlSZ_E_NS1_11comp_targetILNS1_3genE4ELNS1_11target_archE910ELNS1_3gpuE8ELNS1_3repE0EEENS1_48merge_mergepath_partition_config_static_selectorELNS0_4arch9wavefront6targetE1EEEvSL_
	.globl	_ZN7rocprim17ROCPRIM_400000_NS6detail17trampoline_kernelINS0_14default_configENS1_38merge_sort_block_merge_config_selectorI14custom_numericNS0_10empty_typeEEEZZNS1_27merge_sort_block_merge_implIS3_N6thrust23THRUST_200600_302600_NS6detail15normal_iteratorINSA_10device_ptrIS5_EEEEPS6_mNSA_7greaterIS5_EEEE10hipError_tT0_T1_T2_jT3_P12ihipStream_tbPNSt15iterator_traitsISK_E10value_typeEPNSQ_ISL_E10value_typeEPSM_NS1_7vsmem_tEENKUlT_SK_SL_SM_E_clIPS5_SF_SG_SG_EESJ_SZ_SK_SL_SM_EUlSZ_E_NS1_11comp_targetILNS1_3genE4ELNS1_11target_archE910ELNS1_3gpuE8ELNS1_3repE0EEENS1_48merge_mergepath_partition_config_static_selectorELNS0_4arch9wavefront6targetE1EEEvSL_
	.p2align	8
	.type	_ZN7rocprim17ROCPRIM_400000_NS6detail17trampoline_kernelINS0_14default_configENS1_38merge_sort_block_merge_config_selectorI14custom_numericNS0_10empty_typeEEEZZNS1_27merge_sort_block_merge_implIS3_N6thrust23THRUST_200600_302600_NS6detail15normal_iteratorINSA_10device_ptrIS5_EEEEPS6_mNSA_7greaterIS5_EEEE10hipError_tT0_T1_T2_jT3_P12ihipStream_tbPNSt15iterator_traitsISK_E10value_typeEPNSQ_ISL_E10value_typeEPSM_NS1_7vsmem_tEENKUlT_SK_SL_SM_E_clIPS5_SF_SG_SG_EESJ_SZ_SK_SL_SM_EUlSZ_E_NS1_11comp_targetILNS1_3genE4ELNS1_11target_archE910ELNS1_3gpuE8ELNS1_3repE0EEENS1_48merge_mergepath_partition_config_static_selectorELNS0_4arch9wavefront6targetE1EEEvSL_,@function
_ZN7rocprim17ROCPRIM_400000_NS6detail17trampoline_kernelINS0_14default_configENS1_38merge_sort_block_merge_config_selectorI14custom_numericNS0_10empty_typeEEEZZNS1_27merge_sort_block_merge_implIS3_N6thrust23THRUST_200600_302600_NS6detail15normal_iteratorINSA_10device_ptrIS5_EEEEPS6_mNSA_7greaterIS5_EEEE10hipError_tT0_T1_T2_jT3_P12ihipStream_tbPNSt15iterator_traitsISK_E10value_typeEPNSQ_ISL_E10value_typeEPSM_NS1_7vsmem_tEENKUlT_SK_SL_SM_E_clIPS5_SF_SG_SG_EESJ_SZ_SK_SL_SM_EUlSZ_E_NS1_11comp_targetILNS1_3genE4ELNS1_11target_archE910ELNS1_3gpuE8ELNS1_3repE0EEENS1_48merge_mergepath_partition_config_static_selectorELNS0_4arch9wavefront6targetE1EEEvSL_: ; @_ZN7rocprim17ROCPRIM_400000_NS6detail17trampoline_kernelINS0_14default_configENS1_38merge_sort_block_merge_config_selectorI14custom_numericNS0_10empty_typeEEEZZNS1_27merge_sort_block_merge_implIS3_N6thrust23THRUST_200600_302600_NS6detail15normal_iteratorINSA_10device_ptrIS5_EEEEPS6_mNSA_7greaterIS5_EEEE10hipError_tT0_T1_T2_jT3_P12ihipStream_tbPNSt15iterator_traitsISK_E10value_typeEPNSQ_ISL_E10value_typeEPSM_NS1_7vsmem_tEENKUlT_SK_SL_SM_E_clIPS5_SF_SG_SG_EESJ_SZ_SK_SL_SM_EUlSZ_E_NS1_11comp_targetILNS1_3genE4ELNS1_11target_archE910ELNS1_3gpuE8ELNS1_3repE0EEENS1_48merge_mergepath_partition_config_static_selectorELNS0_4arch9wavefront6targetE1EEEvSL_
; %bb.0:
	s_load_dword s0, s[4:5], 0x0
	v_lshl_or_b32 v0, s6, 7, v0
	s_waitcnt lgkmcnt(0)
	v_cmp_gt_u32_e32 vcc, s0, v0
	s_and_saveexec_b64 s[0:1], vcc
	s_cbranch_execz .LBB2645_6
; %bb.1:
	s_load_dwordx4 s[0:3], s[4:5], 0x8
	s_load_dwordx2 s[6:7], s[4:5], 0x28
	v_mov_b32_e32 v5, 0
	s_waitcnt lgkmcnt(0)
	v_mov_b32_e32 v1, s0
	v_alignbit_b32 v1, s1, v1, 8
	v_and_b32_e32 v1, -2, v1
	v_add_u32_e32 v2, -1, v1
	v_sub_u32_e32 v1, 0, v1
	v_and_b32_e32 v4, v0, v1
	v_lshlrev_b64 v[8:9], 9, v[4:5]
	v_mov_b32_e32 v4, s3
	v_cmp_lt_u64_e32 vcc, s[2:3], v[8:9]
	v_mov_b32_e32 v7, s2
	v_and_b32_e32 v6, v2, v0
	v_cndmask_b32_e32 v1, v9, v4, vcc
	v_cndmask_b32_e32 v2, v8, v7, vcc
	v_mov_b32_e32 v3, s1
	v_add_co_u32_e32 v8, vcc, s0, v8
	v_addc_co_u32_e32 v9, vcc, v9, v3, vcc
	v_cmp_lt_u64_e32 vcc, s[2:3], v[8:9]
	v_cndmask_b32_e32 v10, v8, v7, vcc
	v_cndmask_b32_e32 v3, v9, v4, vcc
	v_mov_b32_e32 v9, s1
	v_add_co_u32_e32 v8, vcc, s0, v10
	v_addc_co_u32_e32 v9, vcc, v3, v9, vcc
	v_cmp_lt_u64_e32 vcc, s[2:3], v[8:9]
	v_cndmask_b32_e32 v14, v8, v7, vcc
	v_cndmask_b32_e32 v11, v9, v4, vcc
	v_sub_co_u32_e32 v8, vcc, v14, v2
	v_mov_b32_e32 v7, v5
	v_subb_co_u32_e32 v9, vcc, v11, v1, vcc
	v_lshlrev_b64 v[4:5], 9, v[6:7]
	v_cmp_lt_u64_e32 vcc, v[8:9], v[4:5]
	v_cndmask_b32_e32 v13, v5, v9, vcc
	v_cndmask_b32_e32 v12, v4, v8, vcc
	v_sub_co_u32_e32 v6, vcc, v10, v2
	v_subb_co_u32_e32 v7, vcc, v3, v1, vcc
	v_sub_co_u32_e32 v4, vcc, v10, v14
	v_subb_co_u32_e32 v5, vcc, v3, v11, vcc
	v_add_co_u32_e32 v4, vcc, v12, v4
	v_addc_co_u32_e32 v5, vcc, v13, v5, vcc
	v_cmp_gt_u64_e32 vcc, v[4:5], v[12:13]
	v_cndmask_b32_e64 v5, v5, 0, vcc
	v_cndmask_b32_e64 v4, v4, 0, vcc
	v_cmp_lt_u64_e32 vcc, v[12:13], v[6:7]
	v_cndmask_b32_e32 v7, v7, v13, vcc
	v_cndmask_b32_e32 v6, v6, v12, vcc
	v_cmp_lt_u64_e32 vcc, v[4:5], v[6:7]
	s_and_saveexec_b64 s[0:1], vcc
	s_cbranch_execz .LBB2645_5
; %bb.2:
	s_load_dwordx2 s[2:3], s[4:5], 0x18
	s_waitcnt lgkmcnt(0)
	v_mad_u64_u32 v[8:9], s[4:5], v2, 20, s[2:3]
	v_mov_b32_e32 v14, v9
	v_mad_u64_u32 v[10:11], s[2:3], v10, 20, s[2:3]
	v_mad_u64_u32 v[14:15], s[2:3], v1, 20, v[14:15]
	v_mov_b32_e32 v9, v14
	v_mov_b32_e32 v14, v11
	v_mad_u64_u32 v[14:15], s[2:3], v3, 20, v[14:15]
	v_mov_b32_e32 v11, v14
	v_mad_u64_u32 v[10:11], s[2:3], v12, 20, v[10:11]
	;; [unrolled: 2-line block ×3, first 2 shown]
	v_mov_b32_e32 v11, v12
	s_mov_b64 s[2:3], 0
.LBB2645_3:                             ; =>This Inner Loop Header: Depth=1
	v_add_co_u32_e32 v12, vcc, v6, v4
	v_addc_co_u32_e32 v13, vcc, v7, v5, vcc
	v_lshrrev_b64 v[14:15], 1, v[12:13]
	v_alignbit_b32 v3, v13, v12, 1
	v_lshrrev_b32_e32 v17, 1, v13
	v_not_b32_e32 v18, v14
	v_mad_u64_u32 v[12:13], s[4:5], v3, 20, v[8:9]
	v_mov_b32_e32 v16, v13
	v_mad_u64_u32 v[18:19], s[4:5], v18, 20, v[10:11]
	v_not_b32_e32 v21, v15
	v_mad_u64_u32 v[16:17], s[4:5], v17, 20, v[16:17]
	v_mov_b32_e32 v20, v19
	v_mov_b32_e32 v13, v16
	v_mad_u64_u32 v[16:17], s[4:5], v21, 20, v[20:21]
	v_mov_b32_e32 v19, v16
	global_load_dword v3, v[12:13], off
	global_load_dword v16, v[18:19], off
	v_add_co_u32_e32 v12, vcc, 1, v14
	v_addc_co_u32_e32 v13, vcc, 0, v15, vcc
	s_waitcnt vmcnt(0)
	v_cmp_gt_i32_e32 vcc, v16, v3
	v_cndmask_b32_e32 v7, v7, v15, vcc
	v_cndmask_b32_e32 v6, v6, v14, vcc
	;; [unrolled: 1-line block ×4, first 2 shown]
	v_cmp_ge_u64_e32 vcc, v[4:5], v[6:7]
	s_or_b64 s[2:3], vcc, s[2:3]
	s_andn2_b64 exec, exec, s[2:3]
	s_cbranch_execnz .LBB2645_3
; %bb.4:
	s_or_b64 exec, exec, s[2:3]
.LBB2645_5:
	s_or_b64 exec, exec, s[0:1]
	v_add_co_u32_e32 v2, vcc, v4, v2
	v_addc_co_u32_e32 v3, vcc, v5, v1, vcc
	v_mov_b32_e32 v1, 0
	v_lshlrev_b64 v[0:1], 3, v[0:1]
	v_mov_b32_e32 v4, s7
	v_add_co_u32_e32 v0, vcc, s6, v0
	v_addc_co_u32_e32 v1, vcc, v4, v1, vcc
	global_store_dwordx2 v[0:1], v[2:3], off
.LBB2645_6:
	s_endpgm
	.section	.rodata,"a",@progbits
	.p2align	6, 0x0
	.amdhsa_kernel _ZN7rocprim17ROCPRIM_400000_NS6detail17trampoline_kernelINS0_14default_configENS1_38merge_sort_block_merge_config_selectorI14custom_numericNS0_10empty_typeEEEZZNS1_27merge_sort_block_merge_implIS3_N6thrust23THRUST_200600_302600_NS6detail15normal_iteratorINSA_10device_ptrIS5_EEEEPS6_mNSA_7greaterIS5_EEEE10hipError_tT0_T1_T2_jT3_P12ihipStream_tbPNSt15iterator_traitsISK_E10value_typeEPNSQ_ISL_E10value_typeEPSM_NS1_7vsmem_tEENKUlT_SK_SL_SM_E_clIPS5_SF_SG_SG_EESJ_SZ_SK_SL_SM_EUlSZ_E_NS1_11comp_targetILNS1_3genE4ELNS1_11target_archE910ELNS1_3gpuE8ELNS1_3repE0EEENS1_48merge_mergepath_partition_config_static_selectorELNS0_4arch9wavefront6targetE1EEEvSL_
		.amdhsa_group_segment_fixed_size 0
		.amdhsa_private_segment_fixed_size 0
		.amdhsa_kernarg_size 48
		.amdhsa_user_sgpr_count 6
		.amdhsa_user_sgpr_private_segment_buffer 1
		.amdhsa_user_sgpr_dispatch_ptr 0
		.amdhsa_user_sgpr_queue_ptr 0
		.amdhsa_user_sgpr_kernarg_segment_ptr 1
		.amdhsa_user_sgpr_dispatch_id 0
		.amdhsa_user_sgpr_flat_scratch_init 0
		.amdhsa_user_sgpr_kernarg_preload_length 0
		.amdhsa_user_sgpr_kernarg_preload_offset 0
		.amdhsa_user_sgpr_private_segment_size 0
		.amdhsa_uses_dynamic_stack 0
		.amdhsa_system_sgpr_private_segment_wavefront_offset 0
		.amdhsa_system_sgpr_workgroup_id_x 1
		.amdhsa_system_sgpr_workgroup_id_y 0
		.amdhsa_system_sgpr_workgroup_id_z 0
		.amdhsa_system_sgpr_workgroup_info 0
		.amdhsa_system_vgpr_workitem_id 0
		.amdhsa_next_free_vgpr 22
		.amdhsa_next_free_sgpr 8
		.amdhsa_accum_offset 24
		.amdhsa_reserve_vcc 1
		.amdhsa_reserve_flat_scratch 0
		.amdhsa_float_round_mode_32 0
		.amdhsa_float_round_mode_16_64 0
		.amdhsa_float_denorm_mode_32 3
		.amdhsa_float_denorm_mode_16_64 3
		.amdhsa_dx10_clamp 1
		.amdhsa_ieee_mode 1
		.amdhsa_fp16_overflow 0
		.amdhsa_tg_split 0
		.amdhsa_exception_fp_ieee_invalid_op 0
		.amdhsa_exception_fp_denorm_src 0
		.amdhsa_exception_fp_ieee_div_zero 0
		.amdhsa_exception_fp_ieee_overflow 0
		.amdhsa_exception_fp_ieee_underflow 0
		.amdhsa_exception_fp_ieee_inexact 0
		.amdhsa_exception_int_div_zero 0
	.end_amdhsa_kernel
	.section	.text._ZN7rocprim17ROCPRIM_400000_NS6detail17trampoline_kernelINS0_14default_configENS1_38merge_sort_block_merge_config_selectorI14custom_numericNS0_10empty_typeEEEZZNS1_27merge_sort_block_merge_implIS3_N6thrust23THRUST_200600_302600_NS6detail15normal_iteratorINSA_10device_ptrIS5_EEEEPS6_mNSA_7greaterIS5_EEEE10hipError_tT0_T1_T2_jT3_P12ihipStream_tbPNSt15iterator_traitsISK_E10value_typeEPNSQ_ISL_E10value_typeEPSM_NS1_7vsmem_tEENKUlT_SK_SL_SM_E_clIPS5_SF_SG_SG_EESJ_SZ_SK_SL_SM_EUlSZ_E_NS1_11comp_targetILNS1_3genE4ELNS1_11target_archE910ELNS1_3gpuE8ELNS1_3repE0EEENS1_48merge_mergepath_partition_config_static_selectorELNS0_4arch9wavefront6targetE1EEEvSL_,"axG",@progbits,_ZN7rocprim17ROCPRIM_400000_NS6detail17trampoline_kernelINS0_14default_configENS1_38merge_sort_block_merge_config_selectorI14custom_numericNS0_10empty_typeEEEZZNS1_27merge_sort_block_merge_implIS3_N6thrust23THRUST_200600_302600_NS6detail15normal_iteratorINSA_10device_ptrIS5_EEEEPS6_mNSA_7greaterIS5_EEEE10hipError_tT0_T1_T2_jT3_P12ihipStream_tbPNSt15iterator_traitsISK_E10value_typeEPNSQ_ISL_E10value_typeEPSM_NS1_7vsmem_tEENKUlT_SK_SL_SM_E_clIPS5_SF_SG_SG_EESJ_SZ_SK_SL_SM_EUlSZ_E_NS1_11comp_targetILNS1_3genE4ELNS1_11target_archE910ELNS1_3gpuE8ELNS1_3repE0EEENS1_48merge_mergepath_partition_config_static_selectorELNS0_4arch9wavefront6targetE1EEEvSL_,comdat
.Lfunc_end2645:
	.size	_ZN7rocprim17ROCPRIM_400000_NS6detail17trampoline_kernelINS0_14default_configENS1_38merge_sort_block_merge_config_selectorI14custom_numericNS0_10empty_typeEEEZZNS1_27merge_sort_block_merge_implIS3_N6thrust23THRUST_200600_302600_NS6detail15normal_iteratorINSA_10device_ptrIS5_EEEEPS6_mNSA_7greaterIS5_EEEE10hipError_tT0_T1_T2_jT3_P12ihipStream_tbPNSt15iterator_traitsISK_E10value_typeEPNSQ_ISL_E10value_typeEPSM_NS1_7vsmem_tEENKUlT_SK_SL_SM_E_clIPS5_SF_SG_SG_EESJ_SZ_SK_SL_SM_EUlSZ_E_NS1_11comp_targetILNS1_3genE4ELNS1_11target_archE910ELNS1_3gpuE8ELNS1_3repE0EEENS1_48merge_mergepath_partition_config_static_selectorELNS0_4arch9wavefront6targetE1EEEvSL_, .Lfunc_end2645-_ZN7rocprim17ROCPRIM_400000_NS6detail17trampoline_kernelINS0_14default_configENS1_38merge_sort_block_merge_config_selectorI14custom_numericNS0_10empty_typeEEEZZNS1_27merge_sort_block_merge_implIS3_N6thrust23THRUST_200600_302600_NS6detail15normal_iteratorINSA_10device_ptrIS5_EEEEPS6_mNSA_7greaterIS5_EEEE10hipError_tT0_T1_T2_jT3_P12ihipStream_tbPNSt15iterator_traitsISK_E10value_typeEPNSQ_ISL_E10value_typeEPSM_NS1_7vsmem_tEENKUlT_SK_SL_SM_E_clIPS5_SF_SG_SG_EESJ_SZ_SK_SL_SM_EUlSZ_E_NS1_11comp_targetILNS1_3genE4ELNS1_11target_archE910ELNS1_3gpuE8ELNS1_3repE0EEENS1_48merge_mergepath_partition_config_static_selectorELNS0_4arch9wavefront6targetE1EEEvSL_
                                        ; -- End function
	.section	.AMDGPU.csdata,"",@progbits
; Kernel info:
; codeLenInByte = 552
; NumSgprs: 12
; NumVgprs: 22
; NumAgprs: 0
; TotalNumVgprs: 22
; ScratchSize: 0
; MemoryBound: 0
; FloatMode: 240
; IeeeMode: 1
; LDSByteSize: 0 bytes/workgroup (compile time only)
; SGPRBlocks: 1
; VGPRBlocks: 2
; NumSGPRsForWavesPerEU: 12
; NumVGPRsForWavesPerEU: 22
; AccumOffset: 24
; Occupancy: 8
; WaveLimiterHint : 0
; COMPUTE_PGM_RSRC2:SCRATCH_EN: 0
; COMPUTE_PGM_RSRC2:USER_SGPR: 6
; COMPUTE_PGM_RSRC2:TRAP_HANDLER: 0
; COMPUTE_PGM_RSRC2:TGID_X_EN: 1
; COMPUTE_PGM_RSRC2:TGID_Y_EN: 0
; COMPUTE_PGM_RSRC2:TGID_Z_EN: 0
; COMPUTE_PGM_RSRC2:TIDIG_COMP_CNT: 0
; COMPUTE_PGM_RSRC3_GFX90A:ACCUM_OFFSET: 5
; COMPUTE_PGM_RSRC3_GFX90A:TG_SPLIT: 0
	.section	.text._ZN7rocprim17ROCPRIM_400000_NS6detail17trampoline_kernelINS0_14default_configENS1_38merge_sort_block_merge_config_selectorI14custom_numericNS0_10empty_typeEEEZZNS1_27merge_sort_block_merge_implIS3_N6thrust23THRUST_200600_302600_NS6detail15normal_iteratorINSA_10device_ptrIS5_EEEEPS6_mNSA_7greaterIS5_EEEE10hipError_tT0_T1_T2_jT3_P12ihipStream_tbPNSt15iterator_traitsISK_E10value_typeEPNSQ_ISL_E10value_typeEPSM_NS1_7vsmem_tEENKUlT_SK_SL_SM_E_clIPS5_SF_SG_SG_EESJ_SZ_SK_SL_SM_EUlSZ_E_NS1_11comp_targetILNS1_3genE3ELNS1_11target_archE908ELNS1_3gpuE7ELNS1_3repE0EEENS1_48merge_mergepath_partition_config_static_selectorELNS0_4arch9wavefront6targetE1EEEvSL_,"axG",@progbits,_ZN7rocprim17ROCPRIM_400000_NS6detail17trampoline_kernelINS0_14default_configENS1_38merge_sort_block_merge_config_selectorI14custom_numericNS0_10empty_typeEEEZZNS1_27merge_sort_block_merge_implIS3_N6thrust23THRUST_200600_302600_NS6detail15normal_iteratorINSA_10device_ptrIS5_EEEEPS6_mNSA_7greaterIS5_EEEE10hipError_tT0_T1_T2_jT3_P12ihipStream_tbPNSt15iterator_traitsISK_E10value_typeEPNSQ_ISL_E10value_typeEPSM_NS1_7vsmem_tEENKUlT_SK_SL_SM_E_clIPS5_SF_SG_SG_EESJ_SZ_SK_SL_SM_EUlSZ_E_NS1_11comp_targetILNS1_3genE3ELNS1_11target_archE908ELNS1_3gpuE7ELNS1_3repE0EEENS1_48merge_mergepath_partition_config_static_selectorELNS0_4arch9wavefront6targetE1EEEvSL_,comdat
	.protected	_ZN7rocprim17ROCPRIM_400000_NS6detail17trampoline_kernelINS0_14default_configENS1_38merge_sort_block_merge_config_selectorI14custom_numericNS0_10empty_typeEEEZZNS1_27merge_sort_block_merge_implIS3_N6thrust23THRUST_200600_302600_NS6detail15normal_iteratorINSA_10device_ptrIS5_EEEEPS6_mNSA_7greaterIS5_EEEE10hipError_tT0_T1_T2_jT3_P12ihipStream_tbPNSt15iterator_traitsISK_E10value_typeEPNSQ_ISL_E10value_typeEPSM_NS1_7vsmem_tEENKUlT_SK_SL_SM_E_clIPS5_SF_SG_SG_EESJ_SZ_SK_SL_SM_EUlSZ_E_NS1_11comp_targetILNS1_3genE3ELNS1_11target_archE908ELNS1_3gpuE7ELNS1_3repE0EEENS1_48merge_mergepath_partition_config_static_selectorELNS0_4arch9wavefront6targetE1EEEvSL_ ; -- Begin function _ZN7rocprim17ROCPRIM_400000_NS6detail17trampoline_kernelINS0_14default_configENS1_38merge_sort_block_merge_config_selectorI14custom_numericNS0_10empty_typeEEEZZNS1_27merge_sort_block_merge_implIS3_N6thrust23THRUST_200600_302600_NS6detail15normal_iteratorINSA_10device_ptrIS5_EEEEPS6_mNSA_7greaterIS5_EEEE10hipError_tT0_T1_T2_jT3_P12ihipStream_tbPNSt15iterator_traitsISK_E10value_typeEPNSQ_ISL_E10value_typeEPSM_NS1_7vsmem_tEENKUlT_SK_SL_SM_E_clIPS5_SF_SG_SG_EESJ_SZ_SK_SL_SM_EUlSZ_E_NS1_11comp_targetILNS1_3genE3ELNS1_11target_archE908ELNS1_3gpuE7ELNS1_3repE0EEENS1_48merge_mergepath_partition_config_static_selectorELNS0_4arch9wavefront6targetE1EEEvSL_
	.globl	_ZN7rocprim17ROCPRIM_400000_NS6detail17trampoline_kernelINS0_14default_configENS1_38merge_sort_block_merge_config_selectorI14custom_numericNS0_10empty_typeEEEZZNS1_27merge_sort_block_merge_implIS3_N6thrust23THRUST_200600_302600_NS6detail15normal_iteratorINSA_10device_ptrIS5_EEEEPS6_mNSA_7greaterIS5_EEEE10hipError_tT0_T1_T2_jT3_P12ihipStream_tbPNSt15iterator_traitsISK_E10value_typeEPNSQ_ISL_E10value_typeEPSM_NS1_7vsmem_tEENKUlT_SK_SL_SM_E_clIPS5_SF_SG_SG_EESJ_SZ_SK_SL_SM_EUlSZ_E_NS1_11comp_targetILNS1_3genE3ELNS1_11target_archE908ELNS1_3gpuE7ELNS1_3repE0EEENS1_48merge_mergepath_partition_config_static_selectorELNS0_4arch9wavefront6targetE1EEEvSL_
	.p2align	8
	.type	_ZN7rocprim17ROCPRIM_400000_NS6detail17trampoline_kernelINS0_14default_configENS1_38merge_sort_block_merge_config_selectorI14custom_numericNS0_10empty_typeEEEZZNS1_27merge_sort_block_merge_implIS3_N6thrust23THRUST_200600_302600_NS6detail15normal_iteratorINSA_10device_ptrIS5_EEEEPS6_mNSA_7greaterIS5_EEEE10hipError_tT0_T1_T2_jT3_P12ihipStream_tbPNSt15iterator_traitsISK_E10value_typeEPNSQ_ISL_E10value_typeEPSM_NS1_7vsmem_tEENKUlT_SK_SL_SM_E_clIPS5_SF_SG_SG_EESJ_SZ_SK_SL_SM_EUlSZ_E_NS1_11comp_targetILNS1_3genE3ELNS1_11target_archE908ELNS1_3gpuE7ELNS1_3repE0EEENS1_48merge_mergepath_partition_config_static_selectorELNS0_4arch9wavefront6targetE1EEEvSL_,@function
_ZN7rocprim17ROCPRIM_400000_NS6detail17trampoline_kernelINS0_14default_configENS1_38merge_sort_block_merge_config_selectorI14custom_numericNS0_10empty_typeEEEZZNS1_27merge_sort_block_merge_implIS3_N6thrust23THRUST_200600_302600_NS6detail15normal_iteratorINSA_10device_ptrIS5_EEEEPS6_mNSA_7greaterIS5_EEEE10hipError_tT0_T1_T2_jT3_P12ihipStream_tbPNSt15iterator_traitsISK_E10value_typeEPNSQ_ISL_E10value_typeEPSM_NS1_7vsmem_tEENKUlT_SK_SL_SM_E_clIPS5_SF_SG_SG_EESJ_SZ_SK_SL_SM_EUlSZ_E_NS1_11comp_targetILNS1_3genE3ELNS1_11target_archE908ELNS1_3gpuE7ELNS1_3repE0EEENS1_48merge_mergepath_partition_config_static_selectorELNS0_4arch9wavefront6targetE1EEEvSL_: ; @_ZN7rocprim17ROCPRIM_400000_NS6detail17trampoline_kernelINS0_14default_configENS1_38merge_sort_block_merge_config_selectorI14custom_numericNS0_10empty_typeEEEZZNS1_27merge_sort_block_merge_implIS3_N6thrust23THRUST_200600_302600_NS6detail15normal_iteratorINSA_10device_ptrIS5_EEEEPS6_mNSA_7greaterIS5_EEEE10hipError_tT0_T1_T2_jT3_P12ihipStream_tbPNSt15iterator_traitsISK_E10value_typeEPNSQ_ISL_E10value_typeEPSM_NS1_7vsmem_tEENKUlT_SK_SL_SM_E_clIPS5_SF_SG_SG_EESJ_SZ_SK_SL_SM_EUlSZ_E_NS1_11comp_targetILNS1_3genE3ELNS1_11target_archE908ELNS1_3gpuE7ELNS1_3repE0EEENS1_48merge_mergepath_partition_config_static_selectorELNS0_4arch9wavefront6targetE1EEEvSL_
; %bb.0:
	.section	.rodata,"a",@progbits
	.p2align	6, 0x0
	.amdhsa_kernel _ZN7rocprim17ROCPRIM_400000_NS6detail17trampoline_kernelINS0_14default_configENS1_38merge_sort_block_merge_config_selectorI14custom_numericNS0_10empty_typeEEEZZNS1_27merge_sort_block_merge_implIS3_N6thrust23THRUST_200600_302600_NS6detail15normal_iteratorINSA_10device_ptrIS5_EEEEPS6_mNSA_7greaterIS5_EEEE10hipError_tT0_T1_T2_jT3_P12ihipStream_tbPNSt15iterator_traitsISK_E10value_typeEPNSQ_ISL_E10value_typeEPSM_NS1_7vsmem_tEENKUlT_SK_SL_SM_E_clIPS5_SF_SG_SG_EESJ_SZ_SK_SL_SM_EUlSZ_E_NS1_11comp_targetILNS1_3genE3ELNS1_11target_archE908ELNS1_3gpuE7ELNS1_3repE0EEENS1_48merge_mergepath_partition_config_static_selectorELNS0_4arch9wavefront6targetE1EEEvSL_
		.amdhsa_group_segment_fixed_size 0
		.amdhsa_private_segment_fixed_size 0
		.amdhsa_kernarg_size 48
		.amdhsa_user_sgpr_count 6
		.amdhsa_user_sgpr_private_segment_buffer 1
		.amdhsa_user_sgpr_dispatch_ptr 0
		.amdhsa_user_sgpr_queue_ptr 0
		.amdhsa_user_sgpr_kernarg_segment_ptr 1
		.amdhsa_user_sgpr_dispatch_id 0
		.amdhsa_user_sgpr_flat_scratch_init 0
		.amdhsa_user_sgpr_kernarg_preload_length 0
		.amdhsa_user_sgpr_kernarg_preload_offset 0
		.amdhsa_user_sgpr_private_segment_size 0
		.amdhsa_uses_dynamic_stack 0
		.amdhsa_system_sgpr_private_segment_wavefront_offset 0
		.amdhsa_system_sgpr_workgroup_id_x 1
		.amdhsa_system_sgpr_workgroup_id_y 0
		.amdhsa_system_sgpr_workgroup_id_z 0
		.amdhsa_system_sgpr_workgroup_info 0
		.amdhsa_system_vgpr_workitem_id 0
		.amdhsa_next_free_vgpr 1
		.amdhsa_next_free_sgpr 0
		.amdhsa_accum_offset 4
		.amdhsa_reserve_vcc 0
		.amdhsa_reserve_flat_scratch 0
		.amdhsa_float_round_mode_32 0
		.amdhsa_float_round_mode_16_64 0
		.amdhsa_float_denorm_mode_32 3
		.amdhsa_float_denorm_mode_16_64 3
		.amdhsa_dx10_clamp 1
		.amdhsa_ieee_mode 1
		.amdhsa_fp16_overflow 0
		.amdhsa_tg_split 0
		.amdhsa_exception_fp_ieee_invalid_op 0
		.amdhsa_exception_fp_denorm_src 0
		.amdhsa_exception_fp_ieee_div_zero 0
		.amdhsa_exception_fp_ieee_overflow 0
		.amdhsa_exception_fp_ieee_underflow 0
		.amdhsa_exception_fp_ieee_inexact 0
		.amdhsa_exception_int_div_zero 0
	.end_amdhsa_kernel
	.section	.text._ZN7rocprim17ROCPRIM_400000_NS6detail17trampoline_kernelINS0_14default_configENS1_38merge_sort_block_merge_config_selectorI14custom_numericNS0_10empty_typeEEEZZNS1_27merge_sort_block_merge_implIS3_N6thrust23THRUST_200600_302600_NS6detail15normal_iteratorINSA_10device_ptrIS5_EEEEPS6_mNSA_7greaterIS5_EEEE10hipError_tT0_T1_T2_jT3_P12ihipStream_tbPNSt15iterator_traitsISK_E10value_typeEPNSQ_ISL_E10value_typeEPSM_NS1_7vsmem_tEENKUlT_SK_SL_SM_E_clIPS5_SF_SG_SG_EESJ_SZ_SK_SL_SM_EUlSZ_E_NS1_11comp_targetILNS1_3genE3ELNS1_11target_archE908ELNS1_3gpuE7ELNS1_3repE0EEENS1_48merge_mergepath_partition_config_static_selectorELNS0_4arch9wavefront6targetE1EEEvSL_,"axG",@progbits,_ZN7rocprim17ROCPRIM_400000_NS6detail17trampoline_kernelINS0_14default_configENS1_38merge_sort_block_merge_config_selectorI14custom_numericNS0_10empty_typeEEEZZNS1_27merge_sort_block_merge_implIS3_N6thrust23THRUST_200600_302600_NS6detail15normal_iteratorINSA_10device_ptrIS5_EEEEPS6_mNSA_7greaterIS5_EEEE10hipError_tT0_T1_T2_jT3_P12ihipStream_tbPNSt15iterator_traitsISK_E10value_typeEPNSQ_ISL_E10value_typeEPSM_NS1_7vsmem_tEENKUlT_SK_SL_SM_E_clIPS5_SF_SG_SG_EESJ_SZ_SK_SL_SM_EUlSZ_E_NS1_11comp_targetILNS1_3genE3ELNS1_11target_archE908ELNS1_3gpuE7ELNS1_3repE0EEENS1_48merge_mergepath_partition_config_static_selectorELNS0_4arch9wavefront6targetE1EEEvSL_,comdat
.Lfunc_end2646:
	.size	_ZN7rocprim17ROCPRIM_400000_NS6detail17trampoline_kernelINS0_14default_configENS1_38merge_sort_block_merge_config_selectorI14custom_numericNS0_10empty_typeEEEZZNS1_27merge_sort_block_merge_implIS3_N6thrust23THRUST_200600_302600_NS6detail15normal_iteratorINSA_10device_ptrIS5_EEEEPS6_mNSA_7greaterIS5_EEEE10hipError_tT0_T1_T2_jT3_P12ihipStream_tbPNSt15iterator_traitsISK_E10value_typeEPNSQ_ISL_E10value_typeEPSM_NS1_7vsmem_tEENKUlT_SK_SL_SM_E_clIPS5_SF_SG_SG_EESJ_SZ_SK_SL_SM_EUlSZ_E_NS1_11comp_targetILNS1_3genE3ELNS1_11target_archE908ELNS1_3gpuE7ELNS1_3repE0EEENS1_48merge_mergepath_partition_config_static_selectorELNS0_4arch9wavefront6targetE1EEEvSL_, .Lfunc_end2646-_ZN7rocprim17ROCPRIM_400000_NS6detail17trampoline_kernelINS0_14default_configENS1_38merge_sort_block_merge_config_selectorI14custom_numericNS0_10empty_typeEEEZZNS1_27merge_sort_block_merge_implIS3_N6thrust23THRUST_200600_302600_NS6detail15normal_iteratorINSA_10device_ptrIS5_EEEEPS6_mNSA_7greaterIS5_EEEE10hipError_tT0_T1_T2_jT3_P12ihipStream_tbPNSt15iterator_traitsISK_E10value_typeEPNSQ_ISL_E10value_typeEPSM_NS1_7vsmem_tEENKUlT_SK_SL_SM_E_clIPS5_SF_SG_SG_EESJ_SZ_SK_SL_SM_EUlSZ_E_NS1_11comp_targetILNS1_3genE3ELNS1_11target_archE908ELNS1_3gpuE7ELNS1_3repE0EEENS1_48merge_mergepath_partition_config_static_selectorELNS0_4arch9wavefront6targetE1EEEvSL_
                                        ; -- End function
	.section	.AMDGPU.csdata,"",@progbits
; Kernel info:
; codeLenInByte = 0
; NumSgprs: 4
; NumVgprs: 0
; NumAgprs: 0
; TotalNumVgprs: 0
; ScratchSize: 0
; MemoryBound: 0
; FloatMode: 240
; IeeeMode: 1
; LDSByteSize: 0 bytes/workgroup (compile time only)
; SGPRBlocks: 0
; VGPRBlocks: 0
; NumSGPRsForWavesPerEU: 4
; NumVGPRsForWavesPerEU: 1
; AccumOffset: 4
; Occupancy: 8
; WaveLimiterHint : 0
; COMPUTE_PGM_RSRC2:SCRATCH_EN: 0
; COMPUTE_PGM_RSRC2:USER_SGPR: 6
; COMPUTE_PGM_RSRC2:TRAP_HANDLER: 0
; COMPUTE_PGM_RSRC2:TGID_X_EN: 1
; COMPUTE_PGM_RSRC2:TGID_Y_EN: 0
; COMPUTE_PGM_RSRC2:TGID_Z_EN: 0
; COMPUTE_PGM_RSRC2:TIDIG_COMP_CNT: 0
; COMPUTE_PGM_RSRC3_GFX90A:ACCUM_OFFSET: 0
; COMPUTE_PGM_RSRC3_GFX90A:TG_SPLIT: 0
	.section	.text._ZN7rocprim17ROCPRIM_400000_NS6detail17trampoline_kernelINS0_14default_configENS1_38merge_sort_block_merge_config_selectorI14custom_numericNS0_10empty_typeEEEZZNS1_27merge_sort_block_merge_implIS3_N6thrust23THRUST_200600_302600_NS6detail15normal_iteratorINSA_10device_ptrIS5_EEEEPS6_mNSA_7greaterIS5_EEEE10hipError_tT0_T1_T2_jT3_P12ihipStream_tbPNSt15iterator_traitsISK_E10value_typeEPNSQ_ISL_E10value_typeEPSM_NS1_7vsmem_tEENKUlT_SK_SL_SM_E_clIPS5_SF_SG_SG_EESJ_SZ_SK_SL_SM_EUlSZ_E_NS1_11comp_targetILNS1_3genE2ELNS1_11target_archE906ELNS1_3gpuE6ELNS1_3repE0EEENS1_48merge_mergepath_partition_config_static_selectorELNS0_4arch9wavefront6targetE1EEEvSL_,"axG",@progbits,_ZN7rocprim17ROCPRIM_400000_NS6detail17trampoline_kernelINS0_14default_configENS1_38merge_sort_block_merge_config_selectorI14custom_numericNS0_10empty_typeEEEZZNS1_27merge_sort_block_merge_implIS3_N6thrust23THRUST_200600_302600_NS6detail15normal_iteratorINSA_10device_ptrIS5_EEEEPS6_mNSA_7greaterIS5_EEEE10hipError_tT0_T1_T2_jT3_P12ihipStream_tbPNSt15iterator_traitsISK_E10value_typeEPNSQ_ISL_E10value_typeEPSM_NS1_7vsmem_tEENKUlT_SK_SL_SM_E_clIPS5_SF_SG_SG_EESJ_SZ_SK_SL_SM_EUlSZ_E_NS1_11comp_targetILNS1_3genE2ELNS1_11target_archE906ELNS1_3gpuE6ELNS1_3repE0EEENS1_48merge_mergepath_partition_config_static_selectorELNS0_4arch9wavefront6targetE1EEEvSL_,comdat
	.protected	_ZN7rocprim17ROCPRIM_400000_NS6detail17trampoline_kernelINS0_14default_configENS1_38merge_sort_block_merge_config_selectorI14custom_numericNS0_10empty_typeEEEZZNS1_27merge_sort_block_merge_implIS3_N6thrust23THRUST_200600_302600_NS6detail15normal_iteratorINSA_10device_ptrIS5_EEEEPS6_mNSA_7greaterIS5_EEEE10hipError_tT0_T1_T2_jT3_P12ihipStream_tbPNSt15iterator_traitsISK_E10value_typeEPNSQ_ISL_E10value_typeEPSM_NS1_7vsmem_tEENKUlT_SK_SL_SM_E_clIPS5_SF_SG_SG_EESJ_SZ_SK_SL_SM_EUlSZ_E_NS1_11comp_targetILNS1_3genE2ELNS1_11target_archE906ELNS1_3gpuE6ELNS1_3repE0EEENS1_48merge_mergepath_partition_config_static_selectorELNS0_4arch9wavefront6targetE1EEEvSL_ ; -- Begin function _ZN7rocprim17ROCPRIM_400000_NS6detail17trampoline_kernelINS0_14default_configENS1_38merge_sort_block_merge_config_selectorI14custom_numericNS0_10empty_typeEEEZZNS1_27merge_sort_block_merge_implIS3_N6thrust23THRUST_200600_302600_NS6detail15normal_iteratorINSA_10device_ptrIS5_EEEEPS6_mNSA_7greaterIS5_EEEE10hipError_tT0_T1_T2_jT3_P12ihipStream_tbPNSt15iterator_traitsISK_E10value_typeEPNSQ_ISL_E10value_typeEPSM_NS1_7vsmem_tEENKUlT_SK_SL_SM_E_clIPS5_SF_SG_SG_EESJ_SZ_SK_SL_SM_EUlSZ_E_NS1_11comp_targetILNS1_3genE2ELNS1_11target_archE906ELNS1_3gpuE6ELNS1_3repE0EEENS1_48merge_mergepath_partition_config_static_selectorELNS0_4arch9wavefront6targetE1EEEvSL_
	.globl	_ZN7rocprim17ROCPRIM_400000_NS6detail17trampoline_kernelINS0_14default_configENS1_38merge_sort_block_merge_config_selectorI14custom_numericNS0_10empty_typeEEEZZNS1_27merge_sort_block_merge_implIS3_N6thrust23THRUST_200600_302600_NS6detail15normal_iteratorINSA_10device_ptrIS5_EEEEPS6_mNSA_7greaterIS5_EEEE10hipError_tT0_T1_T2_jT3_P12ihipStream_tbPNSt15iterator_traitsISK_E10value_typeEPNSQ_ISL_E10value_typeEPSM_NS1_7vsmem_tEENKUlT_SK_SL_SM_E_clIPS5_SF_SG_SG_EESJ_SZ_SK_SL_SM_EUlSZ_E_NS1_11comp_targetILNS1_3genE2ELNS1_11target_archE906ELNS1_3gpuE6ELNS1_3repE0EEENS1_48merge_mergepath_partition_config_static_selectorELNS0_4arch9wavefront6targetE1EEEvSL_
	.p2align	8
	.type	_ZN7rocprim17ROCPRIM_400000_NS6detail17trampoline_kernelINS0_14default_configENS1_38merge_sort_block_merge_config_selectorI14custom_numericNS0_10empty_typeEEEZZNS1_27merge_sort_block_merge_implIS3_N6thrust23THRUST_200600_302600_NS6detail15normal_iteratorINSA_10device_ptrIS5_EEEEPS6_mNSA_7greaterIS5_EEEE10hipError_tT0_T1_T2_jT3_P12ihipStream_tbPNSt15iterator_traitsISK_E10value_typeEPNSQ_ISL_E10value_typeEPSM_NS1_7vsmem_tEENKUlT_SK_SL_SM_E_clIPS5_SF_SG_SG_EESJ_SZ_SK_SL_SM_EUlSZ_E_NS1_11comp_targetILNS1_3genE2ELNS1_11target_archE906ELNS1_3gpuE6ELNS1_3repE0EEENS1_48merge_mergepath_partition_config_static_selectorELNS0_4arch9wavefront6targetE1EEEvSL_,@function
_ZN7rocprim17ROCPRIM_400000_NS6detail17trampoline_kernelINS0_14default_configENS1_38merge_sort_block_merge_config_selectorI14custom_numericNS0_10empty_typeEEEZZNS1_27merge_sort_block_merge_implIS3_N6thrust23THRUST_200600_302600_NS6detail15normal_iteratorINSA_10device_ptrIS5_EEEEPS6_mNSA_7greaterIS5_EEEE10hipError_tT0_T1_T2_jT3_P12ihipStream_tbPNSt15iterator_traitsISK_E10value_typeEPNSQ_ISL_E10value_typeEPSM_NS1_7vsmem_tEENKUlT_SK_SL_SM_E_clIPS5_SF_SG_SG_EESJ_SZ_SK_SL_SM_EUlSZ_E_NS1_11comp_targetILNS1_3genE2ELNS1_11target_archE906ELNS1_3gpuE6ELNS1_3repE0EEENS1_48merge_mergepath_partition_config_static_selectorELNS0_4arch9wavefront6targetE1EEEvSL_: ; @_ZN7rocprim17ROCPRIM_400000_NS6detail17trampoline_kernelINS0_14default_configENS1_38merge_sort_block_merge_config_selectorI14custom_numericNS0_10empty_typeEEEZZNS1_27merge_sort_block_merge_implIS3_N6thrust23THRUST_200600_302600_NS6detail15normal_iteratorINSA_10device_ptrIS5_EEEEPS6_mNSA_7greaterIS5_EEEE10hipError_tT0_T1_T2_jT3_P12ihipStream_tbPNSt15iterator_traitsISK_E10value_typeEPNSQ_ISL_E10value_typeEPSM_NS1_7vsmem_tEENKUlT_SK_SL_SM_E_clIPS5_SF_SG_SG_EESJ_SZ_SK_SL_SM_EUlSZ_E_NS1_11comp_targetILNS1_3genE2ELNS1_11target_archE906ELNS1_3gpuE6ELNS1_3repE0EEENS1_48merge_mergepath_partition_config_static_selectorELNS0_4arch9wavefront6targetE1EEEvSL_
; %bb.0:
	.section	.rodata,"a",@progbits
	.p2align	6, 0x0
	.amdhsa_kernel _ZN7rocprim17ROCPRIM_400000_NS6detail17trampoline_kernelINS0_14default_configENS1_38merge_sort_block_merge_config_selectorI14custom_numericNS0_10empty_typeEEEZZNS1_27merge_sort_block_merge_implIS3_N6thrust23THRUST_200600_302600_NS6detail15normal_iteratorINSA_10device_ptrIS5_EEEEPS6_mNSA_7greaterIS5_EEEE10hipError_tT0_T1_T2_jT3_P12ihipStream_tbPNSt15iterator_traitsISK_E10value_typeEPNSQ_ISL_E10value_typeEPSM_NS1_7vsmem_tEENKUlT_SK_SL_SM_E_clIPS5_SF_SG_SG_EESJ_SZ_SK_SL_SM_EUlSZ_E_NS1_11comp_targetILNS1_3genE2ELNS1_11target_archE906ELNS1_3gpuE6ELNS1_3repE0EEENS1_48merge_mergepath_partition_config_static_selectorELNS0_4arch9wavefront6targetE1EEEvSL_
		.amdhsa_group_segment_fixed_size 0
		.amdhsa_private_segment_fixed_size 0
		.amdhsa_kernarg_size 48
		.amdhsa_user_sgpr_count 6
		.amdhsa_user_sgpr_private_segment_buffer 1
		.amdhsa_user_sgpr_dispatch_ptr 0
		.amdhsa_user_sgpr_queue_ptr 0
		.amdhsa_user_sgpr_kernarg_segment_ptr 1
		.amdhsa_user_sgpr_dispatch_id 0
		.amdhsa_user_sgpr_flat_scratch_init 0
		.amdhsa_user_sgpr_kernarg_preload_length 0
		.amdhsa_user_sgpr_kernarg_preload_offset 0
		.amdhsa_user_sgpr_private_segment_size 0
		.amdhsa_uses_dynamic_stack 0
		.amdhsa_system_sgpr_private_segment_wavefront_offset 0
		.amdhsa_system_sgpr_workgroup_id_x 1
		.amdhsa_system_sgpr_workgroup_id_y 0
		.amdhsa_system_sgpr_workgroup_id_z 0
		.amdhsa_system_sgpr_workgroup_info 0
		.amdhsa_system_vgpr_workitem_id 0
		.amdhsa_next_free_vgpr 1
		.amdhsa_next_free_sgpr 0
		.amdhsa_accum_offset 4
		.amdhsa_reserve_vcc 0
		.amdhsa_reserve_flat_scratch 0
		.amdhsa_float_round_mode_32 0
		.amdhsa_float_round_mode_16_64 0
		.amdhsa_float_denorm_mode_32 3
		.amdhsa_float_denorm_mode_16_64 3
		.amdhsa_dx10_clamp 1
		.amdhsa_ieee_mode 1
		.amdhsa_fp16_overflow 0
		.amdhsa_tg_split 0
		.amdhsa_exception_fp_ieee_invalid_op 0
		.amdhsa_exception_fp_denorm_src 0
		.amdhsa_exception_fp_ieee_div_zero 0
		.amdhsa_exception_fp_ieee_overflow 0
		.amdhsa_exception_fp_ieee_underflow 0
		.amdhsa_exception_fp_ieee_inexact 0
		.amdhsa_exception_int_div_zero 0
	.end_amdhsa_kernel
	.section	.text._ZN7rocprim17ROCPRIM_400000_NS6detail17trampoline_kernelINS0_14default_configENS1_38merge_sort_block_merge_config_selectorI14custom_numericNS0_10empty_typeEEEZZNS1_27merge_sort_block_merge_implIS3_N6thrust23THRUST_200600_302600_NS6detail15normal_iteratorINSA_10device_ptrIS5_EEEEPS6_mNSA_7greaterIS5_EEEE10hipError_tT0_T1_T2_jT3_P12ihipStream_tbPNSt15iterator_traitsISK_E10value_typeEPNSQ_ISL_E10value_typeEPSM_NS1_7vsmem_tEENKUlT_SK_SL_SM_E_clIPS5_SF_SG_SG_EESJ_SZ_SK_SL_SM_EUlSZ_E_NS1_11comp_targetILNS1_3genE2ELNS1_11target_archE906ELNS1_3gpuE6ELNS1_3repE0EEENS1_48merge_mergepath_partition_config_static_selectorELNS0_4arch9wavefront6targetE1EEEvSL_,"axG",@progbits,_ZN7rocprim17ROCPRIM_400000_NS6detail17trampoline_kernelINS0_14default_configENS1_38merge_sort_block_merge_config_selectorI14custom_numericNS0_10empty_typeEEEZZNS1_27merge_sort_block_merge_implIS3_N6thrust23THRUST_200600_302600_NS6detail15normal_iteratorINSA_10device_ptrIS5_EEEEPS6_mNSA_7greaterIS5_EEEE10hipError_tT0_T1_T2_jT3_P12ihipStream_tbPNSt15iterator_traitsISK_E10value_typeEPNSQ_ISL_E10value_typeEPSM_NS1_7vsmem_tEENKUlT_SK_SL_SM_E_clIPS5_SF_SG_SG_EESJ_SZ_SK_SL_SM_EUlSZ_E_NS1_11comp_targetILNS1_3genE2ELNS1_11target_archE906ELNS1_3gpuE6ELNS1_3repE0EEENS1_48merge_mergepath_partition_config_static_selectorELNS0_4arch9wavefront6targetE1EEEvSL_,comdat
.Lfunc_end2647:
	.size	_ZN7rocprim17ROCPRIM_400000_NS6detail17trampoline_kernelINS0_14default_configENS1_38merge_sort_block_merge_config_selectorI14custom_numericNS0_10empty_typeEEEZZNS1_27merge_sort_block_merge_implIS3_N6thrust23THRUST_200600_302600_NS6detail15normal_iteratorINSA_10device_ptrIS5_EEEEPS6_mNSA_7greaterIS5_EEEE10hipError_tT0_T1_T2_jT3_P12ihipStream_tbPNSt15iterator_traitsISK_E10value_typeEPNSQ_ISL_E10value_typeEPSM_NS1_7vsmem_tEENKUlT_SK_SL_SM_E_clIPS5_SF_SG_SG_EESJ_SZ_SK_SL_SM_EUlSZ_E_NS1_11comp_targetILNS1_3genE2ELNS1_11target_archE906ELNS1_3gpuE6ELNS1_3repE0EEENS1_48merge_mergepath_partition_config_static_selectorELNS0_4arch9wavefront6targetE1EEEvSL_, .Lfunc_end2647-_ZN7rocprim17ROCPRIM_400000_NS6detail17trampoline_kernelINS0_14default_configENS1_38merge_sort_block_merge_config_selectorI14custom_numericNS0_10empty_typeEEEZZNS1_27merge_sort_block_merge_implIS3_N6thrust23THRUST_200600_302600_NS6detail15normal_iteratorINSA_10device_ptrIS5_EEEEPS6_mNSA_7greaterIS5_EEEE10hipError_tT0_T1_T2_jT3_P12ihipStream_tbPNSt15iterator_traitsISK_E10value_typeEPNSQ_ISL_E10value_typeEPSM_NS1_7vsmem_tEENKUlT_SK_SL_SM_E_clIPS5_SF_SG_SG_EESJ_SZ_SK_SL_SM_EUlSZ_E_NS1_11comp_targetILNS1_3genE2ELNS1_11target_archE906ELNS1_3gpuE6ELNS1_3repE0EEENS1_48merge_mergepath_partition_config_static_selectorELNS0_4arch9wavefront6targetE1EEEvSL_
                                        ; -- End function
	.section	.AMDGPU.csdata,"",@progbits
; Kernel info:
; codeLenInByte = 0
; NumSgprs: 4
; NumVgprs: 0
; NumAgprs: 0
; TotalNumVgprs: 0
; ScratchSize: 0
; MemoryBound: 0
; FloatMode: 240
; IeeeMode: 1
; LDSByteSize: 0 bytes/workgroup (compile time only)
; SGPRBlocks: 0
; VGPRBlocks: 0
; NumSGPRsForWavesPerEU: 4
; NumVGPRsForWavesPerEU: 1
; AccumOffset: 4
; Occupancy: 8
; WaveLimiterHint : 0
; COMPUTE_PGM_RSRC2:SCRATCH_EN: 0
; COMPUTE_PGM_RSRC2:USER_SGPR: 6
; COMPUTE_PGM_RSRC2:TRAP_HANDLER: 0
; COMPUTE_PGM_RSRC2:TGID_X_EN: 1
; COMPUTE_PGM_RSRC2:TGID_Y_EN: 0
; COMPUTE_PGM_RSRC2:TGID_Z_EN: 0
; COMPUTE_PGM_RSRC2:TIDIG_COMP_CNT: 0
; COMPUTE_PGM_RSRC3_GFX90A:ACCUM_OFFSET: 0
; COMPUTE_PGM_RSRC3_GFX90A:TG_SPLIT: 0
	.section	.text._ZN7rocprim17ROCPRIM_400000_NS6detail17trampoline_kernelINS0_14default_configENS1_38merge_sort_block_merge_config_selectorI14custom_numericNS0_10empty_typeEEEZZNS1_27merge_sort_block_merge_implIS3_N6thrust23THRUST_200600_302600_NS6detail15normal_iteratorINSA_10device_ptrIS5_EEEEPS6_mNSA_7greaterIS5_EEEE10hipError_tT0_T1_T2_jT3_P12ihipStream_tbPNSt15iterator_traitsISK_E10value_typeEPNSQ_ISL_E10value_typeEPSM_NS1_7vsmem_tEENKUlT_SK_SL_SM_E_clIPS5_SF_SG_SG_EESJ_SZ_SK_SL_SM_EUlSZ_E_NS1_11comp_targetILNS1_3genE9ELNS1_11target_archE1100ELNS1_3gpuE3ELNS1_3repE0EEENS1_48merge_mergepath_partition_config_static_selectorELNS0_4arch9wavefront6targetE1EEEvSL_,"axG",@progbits,_ZN7rocprim17ROCPRIM_400000_NS6detail17trampoline_kernelINS0_14default_configENS1_38merge_sort_block_merge_config_selectorI14custom_numericNS0_10empty_typeEEEZZNS1_27merge_sort_block_merge_implIS3_N6thrust23THRUST_200600_302600_NS6detail15normal_iteratorINSA_10device_ptrIS5_EEEEPS6_mNSA_7greaterIS5_EEEE10hipError_tT0_T1_T2_jT3_P12ihipStream_tbPNSt15iterator_traitsISK_E10value_typeEPNSQ_ISL_E10value_typeEPSM_NS1_7vsmem_tEENKUlT_SK_SL_SM_E_clIPS5_SF_SG_SG_EESJ_SZ_SK_SL_SM_EUlSZ_E_NS1_11comp_targetILNS1_3genE9ELNS1_11target_archE1100ELNS1_3gpuE3ELNS1_3repE0EEENS1_48merge_mergepath_partition_config_static_selectorELNS0_4arch9wavefront6targetE1EEEvSL_,comdat
	.protected	_ZN7rocprim17ROCPRIM_400000_NS6detail17trampoline_kernelINS0_14default_configENS1_38merge_sort_block_merge_config_selectorI14custom_numericNS0_10empty_typeEEEZZNS1_27merge_sort_block_merge_implIS3_N6thrust23THRUST_200600_302600_NS6detail15normal_iteratorINSA_10device_ptrIS5_EEEEPS6_mNSA_7greaterIS5_EEEE10hipError_tT0_T1_T2_jT3_P12ihipStream_tbPNSt15iterator_traitsISK_E10value_typeEPNSQ_ISL_E10value_typeEPSM_NS1_7vsmem_tEENKUlT_SK_SL_SM_E_clIPS5_SF_SG_SG_EESJ_SZ_SK_SL_SM_EUlSZ_E_NS1_11comp_targetILNS1_3genE9ELNS1_11target_archE1100ELNS1_3gpuE3ELNS1_3repE0EEENS1_48merge_mergepath_partition_config_static_selectorELNS0_4arch9wavefront6targetE1EEEvSL_ ; -- Begin function _ZN7rocprim17ROCPRIM_400000_NS6detail17trampoline_kernelINS0_14default_configENS1_38merge_sort_block_merge_config_selectorI14custom_numericNS0_10empty_typeEEEZZNS1_27merge_sort_block_merge_implIS3_N6thrust23THRUST_200600_302600_NS6detail15normal_iteratorINSA_10device_ptrIS5_EEEEPS6_mNSA_7greaterIS5_EEEE10hipError_tT0_T1_T2_jT3_P12ihipStream_tbPNSt15iterator_traitsISK_E10value_typeEPNSQ_ISL_E10value_typeEPSM_NS1_7vsmem_tEENKUlT_SK_SL_SM_E_clIPS5_SF_SG_SG_EESJ_SZ_SK_SL_SM_EUlSZ_E_NS1_11comp_targetILNS1_3genE9ELNS1_11target_archE1100ELNS1_3gpuE3ELNS1_3repE0EEENS1_48merge_mergepath_partition_config_static_selectorELNS0_4arch9wavefront6targetE1EEEvSL_
	.globl	_ZN7rocprim17ROCPRIM_400000_NS6detail17trampoline_kernelINS0_14default_configENS1_38merge_sort_block_merge_config_selectorI14custom_numericNS0_10empty_typeEEEZZNS1_27merge_sort_block_merge_implIS3_N6thrust23THRUST_200600_302600_NS6detail15normal_iteratorINSA_10device_ptrIS5_EEEEPS6_mNSA_7greaterIS5_EEEE10hipError_tT0_T1_T2_jT3_P12ihipStream_tbPNSt15iterator_traitsISK_E10value_typeEPNSQ_ISL_E10value_typeEPSM_NS1_7vsmem_tEENKUlT_SK_SL_SM_E_clIPS5_SF_SG_SG_EESJ_SZ_SK_SL_SM_EUlSZ_E_NS1_11comp_targetILNS1_3genE9ELNS1_11target_archE1100ELNS1_3gpuE3ELNS1_3repE0EEENS1_48merge_mergepath_partition_config_static_selectorELNS0_4arch9wavefront6targetE1EEEvSL_
	.p2align	8
	.type	_ZN7rocprim17ROCPRIM_400000_NS6detail17trampoline_kernelINS0_14default_configENS1_38merge_sort_block_merge_config_selectorI14custom_numericNS0_10empty_typeEEEZZNS1_27merge_sort_block_merge_implIS3_N6thrust23THRUST_200600_302600_NS6detail15normal_iteratorINSA_10device_ptrIS5_EEEEPS6_mNSA_7greaterIS5_EEEE10hipError_tT0_T1_T2_jT3_P12ihipStream_tbPNSt15iterator_traitsISK_E10value_typeEPNSQ_ISL_E10value_typeEPSM_NS1_7vsmem_tEENKUlT_SK_SL_SM_E_clIPS5_SF_SG_SG_EESJ_SZ_SK_SL_SM_EUlSZ_E_NS1_11comp_targetILNS1_3genE9ELNS1_11target_archE1100ELNS1_3gpuE3ELNS1_3repE0EEENS1_48merge_mergepath_partition_config_static_selectorELNS0_4arch9wavefront6targetE1EEEvSL_,@function
_ZN7rocprim17ROCPRIM_400000_NS6detail17trampoline_kernelINS0_14default_configENS1_38merge_sort_block_merge_config_selectorI14custom_numericNS0_10empty_typeEEEZZNS1_27merge_sort_block_merge_implIS3_N6thrust23THRUST_200600_302600_NS6detail15normal_iteratorINSA_10device_ptrIS5_EEEEPS6_mNSA_7greaterIS5_EEEE10hipError_tT0_T1_T2_jT3_P12ihipStream_tbPNSt15iterator_traitsISK_E10value_typeEPNSQ_ISL_E10value_typeEPSM_NS1_7vsmem_tEENKUlT_SK_SL_SM_E_clIPS5_SF_SG_SG_EESJ_SZ_SK_SL_SM_EUlSZ_E_NS1_11comp_targetILNS1_3genE9ELNS1_11target_archE1100ELNS1_3gpuE3ELNS1_3repE0EEENS1_48merge_mergepath_partition_config_static_selectorELNS0_4arch9wavefront6targetE1EEEvSL_: ; @_ZN7rocprim17ROCPRIM_400000_NS6detail17trampoline_kernelINS0_14default_configENS1_38merge_sort_block_merge_config_selectorI14custom_numericNS0_10empty_typeEEEZZNS1_27merge_sort_block_merge_implIS3_N6thrust23THRUST_200600_302600_NS6detail15normal_iteratorINSA_10device_ptrIS5_EEEEPS6_mNSA_7greaterIS5_EEEE10hipError_tT0_T1_T2_jT3_P12ihipStream_tbPNSt15iterator_traitsISK_E10value_typeEPNSQ_ISL_E10value_typeEPSM_NS1_7vsmem_tEENKUlT_SK_SL_SM_E_clIPS5_SF_SG_SG_EESJ_SZ_SK_SL_SM_EUlSZ_E_NS1_11comp_targetILNS1_3genE9ELNS1_11target_archE1100ELNS1_3gpuE3ELNS1_3repE0EEENS1_48merge_mergepath_partition_config_static_selectorELNS0_4arch9wavefront6targetE1EEEvSL_
; %bb.0:
	.section	.rodata,"a",@progbits
	.p2align	6, 0x0
	.amdhsa_kernel _ZN7rocprim17ROCPRIM_400000_NS6detail17trampoline_kernelINS0_14default_configENS1_38merge_sort_block_merge_config_selectorI14custom_numericNS0_10empty_typeEEEZZNS1_27merge_sort_block_merge_implIS3_N6thrust23THRUST_200600_302600_NS6detail15normal_iteratorINSA_10device_ptrIS5_EEEEPS6_mNSA_7greaterIS5_EEEE10hipError_tT0_T1_T2_jT3_P12ihipStream_tbPNSt15iterator_traitsISK_E10value_typeEPNSQ_ISL_E10value_typeEPSM_NS1_7vsmem_tEENKUlT_SK_SL_SM_E_clIPS5_SF_SG_SG_EESJ_SZ_SK_SL_SM_EUlSZ_E_NS1_11comp_targetILNS1_3genE9ELNS1_11target_archE1100ELNS1_3gpuE3ELNS1_3repE0EEENS1_48merge_mergepath_partition_config_static_selectorELNS0_4arch9wavefront6targetE1EEEvSL_
		.amdhsa_group_segment_fixed_size 0
		.amdhsa_private_segment_fixed_size 0
		.amdhsa_kernarg_size 48
		.amdhsa_user_sgpr_count 6
		.amdhsa_user_sgpr_private_segment_buffer 1
		.amdhsa_user_sgpr_dispatch_ptr 0
		.amdhsa_user_sgpr_queue_ptr 0
		.amdhsa_user_sgpr_kernarg_segment_ptr 1
		.amdhsa_user_sgpr_dispatch_id 0
		.amdhsa_user_sgpr_flat_scratch_init 0
		.amdhsa_user_sgpr_kernarg_preload_length 0
		.amdhsa_user_sgpr_kernarg_preload_offset 0
		.amdhsa_user_sgpr_private_segment_size 0
		.amdhsa_uses_dynamic_stack 0
		.amdhsa_system_sgpr_private_segment_wavefront_offset 0
		.amdhsa_system_sgpr_workgroup_id_x 1
		.amdhsa_system_sgpr_workgroup_id_y 0
		.amdhsa_system_sgpr_workgroup_id_z 0
		.amdhsa_system_sgpr_workgroup_info 0
		.amdhsa_system_vgpr_workitem_id 0
		.amdhsa_next_free_vgpr 1
		.amdhsa_next_free_sgpr 0
		.amdhsa_accum_offset 4
		.amdhsa_reserve_vcc 0
		.amdhsa_reserve_flat_scratch 0
		.amdhsa_float_round_mode_32 0
		.amdhsa_float_round_mode_16_64 0
		.amdhsa_float_denorm_mode_32 3
		.amdhsa_float_denorm_mode_16_64 3
		.amdhsa_dx10_clamp 1
		.amdhsa_ieee_mode 1
		.amdhsa_fp16_overflow 0
		.amdhsa_tg_split 0
		.amdhsa_exception_fp_ieee_invalid_op 0
		.amdhsa_exception_fp_denorm_src 0
		.amdhsa_exception_fp_ieee_div_zero 0
		.amdhsa_exception_fp_ieee_overflow 0
		.amdhsa_exception_fp_ieee_underflow 0
		.amdhsa_exception_fp_ieee_inexact 0
		.amdhsa_exception_int_div_zero 0
	.end_amdhsa_kernel
	.section	.text._ZN7rocprim17ROCPRIM_400000_NS6detail17trampoline_kernelINS0_14default_configENS1_38merge_sort_block_merge_config_selectorI14custom_numericNS0_10empty_typeEEEZZNS1_27merge_sort_block_merge_implIS3_N6thrust23THRUST_200600_302600_NS6detail15normal_iteratorINSA_10device_ptrIS5_EEEEPS6_mNSA_7greaterIS5_EEEE10hipError_tT0_T1_T2_jT3_P12ihipStream_tbPNSt15iterator_traitsISK_E10value_typeEPNSQ_ISL_E10value_typeEPSM_NS1_7vsmem_tEENKUlT_SK_SL_SM_E_clIPS5_SF_SG_SG_EESJ_SZ_SK_SL_SM_EUlSZ_E_NS1_11comp_targetILNS1_3genE9ELNS1_11target_archE1100ELNS1_3gpuE3ELNS1_3repE0EEENS1_48merge_mergepath_partition_config_static_selectorELNS0_4arch9wavefront6targetE1EEEvSL_,"axG",@progbits,_ZN7rocprim17ROCPRIM_400000_NS6detail17trampoline_kernelINS0_14default_configENS1_38merge_sort_block_merge_config_selectorI14custom_numericNS0_10empty_typeEEEZZNS1_27merge_sort_block_merge_implIS3_N6thrust23THRUST_200600_302600_NS6detail15normal_iteratorINSA_10device_ptrIS5_EEEEPS6_mNSA_7greaterIS5_EEEE10hipError_tT0_T1_T2_jT3_P12ihipStream_tbPNSt15iterator_traitsISK_E10value_typeEPNSQ_ISL_E10value_typeEPSM_NS1_7vsmem_tEENKUlT_SK_SL_SM_E_clIPS5_SF_SG_SG_EESJ_SZ_SK_SL_SM_EUlSZ_E_NS1_11comp_targetILNS1_3genE9ELNS1_11target_archE1100ELNS1_3gpuE3ELNS1_3repE0EEENS1_48merge_mergepath_partition_config_static_selectorELNS0_4arch9wavefront6targetE1EEEvSL_,comdat
.Lfunc_end2648:
	.size	_ZN7rocprim17ROCPRIM_400000_NS6detail17trampoline_kernelINS0_14default_configENS1_38merge_sort_block_merge_config_selectorI14custom_numericNS0_10empty_typeEEEZZNS1_27merge_sort_block_merge_implIS3_N6thrust23THRUST_200600_302600_NS6detail15normal_iteratorINSA_10device_ptrIS5_EEEEPS6_mNSA_7greaterIS5_EEEE10hipError_tT0_T1_T2_jT3_P12ihipStream_tbPNSt15iterator_traitsISK_E10value_typeEPNSQ_ISL_E10value_typeEPSM_NS1_7vsmem_tEENKUlT_SK_SL_SM_E_clIPS5_SF_SG_SG_EESJ_SZ_SK_SL_SM_EUlSZ_E_NS1_11comp_targetILNS1_3genE9ELNS1_11target_archE1100ELNS1_3gpuE3ELNS1_3repE0EEENS1_48merge_mergepath_partition_config_static_selectorELNS0_4arch9wavefront6targetE1EEEvSL_, .Lfunc_end2648-_ZN7rocprim17ROCPRIM_400000_NS6detail17trampoline_kernelINS0_14default_configENS1_38merge_sort_block_merge_config_selectorI14custom_numericNS0_10empty_typeEEEZZNS1_27merge_sort_block_merge_implIS3_N6thrust23THRUST_200600_302600_NS6detail15normal_iteratorINSA_10device_ptrIS5_EEEEPS6_mNSA_7greaterIS5_EEEE10hipError_tT0_T1_T2_jT3_P12ihipStream_tbPNSt15iterator_traitsISK_E10value_typeEPNSQ_ISL_E10value_typeEPSM_NS1_7vsmem_tEENKUlT_SK_SL_SM_E_clIPS5_SF_SG_SG_EESJ_SZ_SK_SL_SM_EUlSZ_E_NS1_11comp_targetILNS1_3genE9ELNS1_11target_archE1100ELNS1_3gpuE3ELNS1_3repE0EEENS1_48merge_mergepath_partition_config_static_selectorELNS0_4arch9wavefront6targetE1EEEvSL_
                                        ; -- End function
	.section	.AMDGPU.csdata,"",@progbits
; Kernel info:
; codeLenInByte = 0
; NumSgprs: 4
; NumVgprs: 0
; NumAgprs: 0
; TotalNumVgprs: 0
; ScratchSize: 0
; MemoryBound: 0
; FloatMode: 240
; IeeeMode: 1
; LDSByteSize: 0 bytes/workgroup (compile time only)
; SGPRBlocks: 0
; VGPRBlocks: 0
; NumSGPRsForWavesPerEU: 4
; NumVGPRsForWavesPerEU: 1
; AccumOffset: 4
; Occupancy: 8
; WaveLimiterHint : 0
; COMPUTE_PGM_RSRC2:SCRATCH_EN: 0
; COMPUTE_PGM_RSRC2:USER_SGPR: 6
; COMPUTE_PGM_RSRC2:TRAP_HANDLER: 0
; COMPUTE_PGM_RSRC2:TGID_X_EN: 1
; COMPUTE_PGM_RSRC2:TGID_Y_EN: 0
; COMPUTE_PGM_RSRC2:TGID_Z_EN: 0
; COMPUTE_PGM_RSRC2:TIDIG_COMP_CNT: 0
; COMPUTE_PGM_RSRC3_GFX90A:ACCUM_OFFSET: 0
; COMPUTE_PGM_RSRC3_GFX90A:TG_SPLIT: 0
	.section	.text._ZN7rocprim17ROCPRIM_400000_NS6detail17trampoline_kernelINS0_14default_configENS1_38merge_sort_block_merge_config_selectorI14custom_numericNS0_10empty_typeEEEZZNS1_27merge_sort_block_merge_implIS3_N6thrust23THRUST_200600_302600_NS6detail15normal_iteratorINSA_10device_ptrIS5_EEEEPS6_mNSA_7greaterIS5_EEEE10hipError_tT0_T1_T2_jT3_P12ihipStream_tbPNSt15iterator_traitsISK_E10value_typeEPNSQ_ISL_E10value_typeEPSM_NS1_7vsmem_tEENKUlT_SK_SL_SM_E_clIPS5_SF_SG_SG_EESJ_SZ_SK_SL_SM_EUlSZ_E_NS1_11comp_targetILNS1_3genE8ELNS1_11target_archE1030ELNS1_3gpuE2ELNS1_3repE0EEENS1_48merge_mergepath_partition_config_static_selectorELNS0_4arch9wavefront6targetE1EEEvSL_,"axG",@progbits,_ZN7rocprim17ROCPRIM_400000_NS6detail17trampoline_kernelINS0_14default_configENS1_38merge_sort_block_merge_config_selectorI14custom_numericNS0_10empty_typeEEEZZNS1_27merge_sort_block_merge_implIS3_N6thrust23THRUST_200600_302600_NS6detail15normal_iteratorINSA_10device_ptrIS5_EEEEPS6_mNSA_7greaterIS5_EEEE10hipError_tT0_T1_T2_jT3_P12ihipStream_tbPNSt15iterator_traitsISK_E10value_typeEPNSQ_ISL_E10value_typeEPSM_NS1_7vsmem_tEENKUlT_SK_SL_SM_E_clIPS5_SF_SG_SG_EESJ_SZ_SK_SL_SM_EUlSZ_E_NS1_11comp_targetILNS1_3genE8ELNS1_11target_archE1030ELNS1_3gpuE2ELNS1_3repE0EEENS1_48merge_mergepath_partition_config_static_selectorELNS0_4arch9wavefront6targetE1EEEvSL_,comdat
	.protected	_ZN7rocprim17ROCPRIM_400000_NS6detail17trampoline_kernelINS0_14default_configENS1_38merge_sort_block_merge_config_selectorI14custom_numericNS0_10empty_typeEEEZZNS1_27merge_sort_block_merge_implIS3_N6thrust23THRUST_200600_302600_NS6detail15normal_iteratorINSA_10device_ptrIS5_EEEEPS6_mNSA_7greaterIS5_EEEE10hipError_tT0_T1_T2_jT3_P12ihipStream_tbPNSt15iterator_traitsISK_E10value_typeEPNSQ_ISL_E10value_typeEPSM_NS1_7vsmem_tEENKUlT_SK_SL_SM_E_clIPS5_SF_SG_SG_EESJ_SZ_SK_SL_SM_EUlSZ_E_NS1_11comp_targetILNS1_3genE8ELNS1_11target_archE1030ELNS1_3gpuE2ELNS1_3repE0EEENS1_48merge_mergepath_partition_config_static_selectorELNS0_4arch9wavefront6targetE1EEEvSL_ ; -- Begin function _ZN7rocprim17ROCPRIM_400000_NS6detail17trampoline_kernelINS0_14default_configENS1_38merge_sort_block_merge_config_selectorI14custom_numericNS0_10empty_typeEEEZZNS1_27merge_sort_block_merge_implIS3_N6thrust23THRUST_200600_302600_NS6detail15normal_iteratorINSA_10device_ptrIS5_EEEEPS6_mNSA_7greaterIS5_EEEE10hipError_tT0_T1_T2_jT3_P12ihipStream_tbPNSt15iterator_traitsISK_E10value_typeEPNSQ_ISL_E10value_typeEPSM_NS1_7vsmem_tEENKUlT_SK_SL_SM_E_clIPS5_SF_SG_SG_EESJ_SZ_SK_SL_SM_EUlSZ_E_NS1_11comp_targetILNS1_3genE8ELNS1_11target_archE1030ELNS1_3gpuE2ELNS1_3repE0EEENS1_48merge_mergepath_partition_config_static_selectorELNS0_4arch9wavefront6targetE1EEEvSL_
	.globl	_ZN7rocprim17ROCPRIM_400000_NS6detail17trampoline_kernelINS0_14default_configENS1_38merge_sort_block_merge_config_selectorI14custom_numericNS0_10empty_typeEEEZZNS1_27merge_sort_block_merge_implIS3_N6thrust23THRUST_200600_302600_NS6detail15normal_iteratorINSA_10device_ptrIS5_EEEEPS6_mNSA_7greaterIS5_EEEE10hipError_tT0_T1_T2_jT3_P12ihipStream_tbPNSt15iterator_traitsISK_E10value_typeEPNSQ_ISL_E10value_typeEPSM_NS1_7vsmem_tEENKUlT_SK_SL_SM_E_clIPS5_SF_SG_SG_EESJ_SZ_SK_SL_SM_EUlSZ_E_NS1_11comp_targetILNS1_3genE8ELNS1_11target_archE1030ELNS1_3gpuE2ELNS1_3repE0EEENS1_48merge_mergepath_partition_config_static_selectorELNS0_4arch9wavefront6targetE1EEEvSL_
	.p2align	8
	.type	_ZN7rocprim17ROCPRIM_400000_NS6detail17trampoline_kernelINS0_14default_configENS1_38merge_sort_block_merge_config_selectorI14custom_numericNS0_10empty_typeEEEZZNS1_27merge_sort_block_merge_implIS3_N6thrust23THRUST_200600_302600_NS6detail15normal_iteratorINSA_10device_ptrIS5_EEEEPS6_mNSA_7greaterIS5_EEEE10hipError_tT0_T1_T2_jT3_P12ihipStream_tbPNSt15iterator_traitsISK_E10value_typeEPNSQ_ISL_E10value_typeEPSM_NS1_7vsmem_tEENKUlT_SK_SL_SM_E_clIPS5_SF_SG_SG_EESJ_SZ_SK_SL_SM_EUlSZ_E_NS1_11comp_targetILNS1_3genE8ELNS1_11target_archE1030ELNS1_3gpuE2ELNS1_3repE0EEENS1_48merge_mergepath_partition_config_static_selectorELNS0_4arch9wavefront6targetE1EEEvSL_,@function
_ZN7rocprim17ROCPRIM_400000_NS6detail17trampoline_kernelINS0_14default_configENS1_38merge_sort_block_merge_config_selectorI14custom_numericNS0_10empty_typeEEEZZNS1_27merge_sort_block_merge_implIS3_N6thrust23THRUST_200600_302600_NS6detail15normal_iteratorINSA_10device_ptrIS5_EEEEPS6_mNSA_7greaterIS5_EEEE10hipError_tT0_T1_T2_jT3_P12ihipStream_tbPNSt15iterator_traitsISK_E10value_typeEPNSQ_ISL_E10value_typeEPSM_NS1_7vsmem_tEENKUlT_SK_SL_SM_E_clIPS5_SF_SG_SG_EESJ_SZ_SK_SL_SM_EUlSZ_E_NS1_11comp_targetILNS1_3genE8ELNS1_11target_archE1030ELNS1_3gpuE2ELNS1_3repE0EEENS1_48merge_mergepath_partition_config_static_selectorELNS0_4arch9wavefront6targetE1EEEvSL_: ; @_ZN7rocprim17ROCPRIM_400000_NS6detail17trampoline_kernelINS0_14default_configENS1_38merge_sort_block_merge_config_selectorI14custom_numericNS0_10empty_typeEEEZZNS1_27merge_sort_block_merge_implIS3_N6thrust23THRUST_200600_302600_NS6detail15normal_iteratorINSA_10device_ptrIS5_EEEEPS6_mNSA_7greaterIS5_EEEE10hipError_tT0_T1_T2_jT3_P12ihipStream_tbPNSt15iterator_traitsISK_E10value_typeEPNSQ_ISL_E10value_typeEPSM_NS1_7vsmem_tEENKUlT_SK_SL_SM_E_clIPS5_SF_SG_SG_EESJ_SZ_SK_SL_SM_EUlSZ_E_NS1_11comp_targetILNS1_3genE8ELNS1_11target_archE1030ELNS1_3gpuE2ELNS1_3repE0EEENS1_48merge_mergepath_partition_config_static_selectorELNS0_4arch9wavefront6targetE1EEEvSL_
; %bb.0:
	.section	.rodata,"a",@progbits
	.p2align	6, 0x0
	.amdhsa_kernel _ZN7rocprim17ROCPRIM_400000_NS6detail17trampoline_kernelINS0_14default_configENS1_38merge_sort_block_merge_config_selectorI14custom_numericNS0_10empty_typeEEEZZNS1_27merge_sort_block_merge_implIS3_N6thrust23THRUST_200600_302600_NS6detail15normal_iteratorINSA_10device_ptrIS5_EEEEPS6_mNSA_7greaterIS5_EEEE10hipError_tT0_T1_T2_jT3_P12ihipStream_tbPNSt15iterator_traitsISK_E10value_typeEPNSQ_ISL_E10value_typeEPSM_NS1_7vsmem_tEENKUlT_SK_SL_SM_E_clIPS5_SF_SG_SG_EESJ_SZ_SK_SL_SM_EUlSZ_E_NS1_11comp_targetILNS1_3genE8ELNS1_11target_archE1030ELNS1_3gpuE2ELNS1_3repE0EEENS1_48merge_mergepath_partition_config_static_selectorELNS0_4arch9wavefront6targetE1EEEvSL_
		.amdhsa_group_segment_fixed_size 0
		.amdhsa_private_segment_fixed_size 0
		.amdhsa_kernarg_size 48
		.amdhsa_user_sgpr_count 6
		.amdhsa_user_sgpr_private_segment_buffer 1
		.amdhsa_user_sgpr_dispatch_ptr 0
		.amdhsa_user_sgpr_queue_ptr 0
		.amdhsa_user_sgpr_kernarg_segment_ptr 1
		.amdhsa_user_sgpr_dispatch_id 0
		.amdhsa_user_sgpr_flat_scratch_init 0
		.amdhsa_user_sgpr_kernarg_preload_length 0
		.amdhsa_user_sgpr_kernarg_preload_offset 0
		.amdhsa_user_sgpr_private_segment_size 0
		.amdhsa_uses_dynamic_stack 0
		.amdhsa_system_sgpr_private_segment_wavefront_offset 0
		.amdhsa_system_sgpr_workgroup_id_x 1
		.amdhsa_system_sgpr_workgroup_id_y 0
		.amdhsa_system_sgpr_workgroup_id_z 0
		.amdhsa_system_sgpr_workgroup_info 0
		.amdhsa_system_vgpr_workitem_id 0
		.amdhsa_next_free_vgpr 1
		.amdhsa_next_free_sgpr 0
		.amdhsa_accum_offset 4
		.amdhsa_reserve_vcc 0
		.amdhsa_reserve_flat_scratch 0
		.amdhsa_float_round_mode_32 0
		.amdhsa_float_round_mode_16_64 0
		.amdhsa_float_denorm_mode_32 3
		.amdhsa_float_denorm_mode_16_64 3
		.amdhsa_dx10_clamp 1
		.amdhsa_ieee_mode 1
		.amdhsa_fp16_overflow 0
		.amdhsa_tg_split 0
		.amdhsa_exception_fp_ieee_invalid_op 0
		.amdhsa_exception_fp_denorm_src 0
		.amdhsa_exception_fp_ieee_div_zero 0
		.amdhsa_exception_fp_ieee_overflow 0
		.amdhsa_exception_fp_ieee_underflow 0
		.amdhsa_exception_fp_ieee_inexact 0
		.amdhsa_exception_int_div_zero 0
	.end_amdhsa_kernel
	.section	.text._ZN7rocprim17ROCPRIM_400000_NS6detail17trampoline_kernelINS0_14default_configENS1_38merge_sort_block_merge_config_selectorI14custom_numericNS0_10empty_typeEEEZZNS1_27merge_sort_block_merge_implIS3_N6thrust23THRUST_200600_302600_NS6detail15normal_iteratorINSA_10device_ptrIS5_EEEEPS6_mNSA_7greaterIS5_EEEE10hipError_tT0_T1_T2_jT3_P12ihipStream_tbPNSt15iterator_traitsISK_E10value_typeEPNSQ_ISL_E10value_typeEPSM_NS1_7vsmem_tEENKUlT_SK_SL_SM_E_clIPS5_SF_SG_SG_EESJ_SZ_SK_SL_SM_EUlSZ_E_NS1_11comp_targetILNS1_3genE8ELNS1_11target_archE1030ELNS1_3gpuE2ELNS1_3repE0EEENS1_48merge_mergepath_partition_config_static_selectorELNS0_4arch9wavefront6targetE1EEEvSL_,"axG",@progbits,_ZN7rocprim17ROCPRIM_400000_NS6detail17trampoline_kernelINS0_14default_configENS1_38merge_sort_block_merge_config_selectorI14custom_numericNS0_10empty_typeEEEZZNS1_27merge_sort_block_merge_implIS3_N6thrust23THRUST_200600_302600_NS6detail15normal_iteratorINSA_10device_ptrIS5_EEEEPS6_mNSA_7greaterIS5_EEEE10hipError_tT0_T1_T2_jT3_P12ihipStream_tbPNSt15iterator_traitsISK_E10value_typeEPNSQ_ISL_E10value_typeEPSM_NS1_7vsmem_tEENKUlT_SK_SL_SM_E_clIPS5_SF_SG_SG_EESJ_SZ_SK_SL_SM_EUlSZ_E_NS1_11comp_targetILNS1_3genE8ELNS1_11target_archE1030ELNS1_3gpuE2ELNS1_3repE0EEENS1_48merge_mergepath_partition_config_static_selectorELNS0_4arch9wavefront6targetE1EEEvSL_,comdat
.Lfunc_end2649:
	.size	_ZN7rocprim17ROCPRIM_400000_NS6detail17trampoline_kernelINS0_14default_configENS1_38merge_sort_block_merge_config_selectorI14custom_numericNS0_10empty_typeEEEZZNS1_27merge_sort_block_merge_implIS3_N6thrust23THRUST_200600_302600_NS6detail15normal_iteratorINSA_10device_ptrIS5_EEEEPS6_mNSA_7greaterIS5_EEEE10hipError_tT0_T1_T2_jT3_P12ihipStream_tbPNSt15iterator_traitsISK_E10value_typeEPNSQ_ISL_E10value_typeEPSM_NS1_7vsmem_tEENKUlT_SK_SL_SM_E_clIPS5_SF_SG_SG_EESJ_SZ_SK_SL_SM_EUlSZ_E_NS1_11comp_targetILNS1_3genE8ELNS1_11target_archE1030ELNS1_3gpuE2ELNS1_3repE0EEENS1_48merge_mergepath_partition_config_static_selectorELNS0_4arch9wavefront6targetE1EEEvSL_, .Lfunc_end2649-_ZN7rocprim17ROCPRIM_400000_NS6detail17trampoline_kernelINS0_14default_configENS1_38merge_sort_block_merge_config_selectorI14custom_numericNS0_10empty_typeEEEZZNS1_27merge_sort_block_merge_implIS3_N6thrust23THRUST_200600_302600_NS6detail15normal_iteratorINSA_10device_ptrIS5_EEEEPS6_mNSA_7greaterIS5_EEEE10hipError_tT0_T1_T2_jT3_P12ihipStream_tbPNSt15iterator_traitsISK_E10value_typeEPNSQ_ISL_E10value_typeEPSM_NS1_7vsmem_tEENKUlT_SK_SL_SM_E_clIPS5_SF_SG_SG_EESJ_SZ_SK_SL_SM_EUlSZ_E_NS1_11comp_targetILNS1_3genE8ELNS1_11target_archE1030ELNS1_3gpuE2ELNS1_3repE0EEENS1_48merge_mergepath_partition_config_static_selectorELNS0_4arch9wavefront6targetE1EEEvSL_
                                        ; -- End function
	.section	.AMDGPU.csdata,"",@progbits
; Kernel info:
; codeLenInByte = 0
; NumSgprs: 4
; NumVgprs: 0
; NumAgprs: 0
; TotalNumVgprs: 0
; ScratchSize: 0
; MemoryBound: 0
; FloatMode: 240
; IeeeMode: 1
; LDSByteSize: 0 bytes/workgroup (compile time only)
; SGPRBlocks: 0
; VGPRBlocks: 0
; NumSGPRsForWavesPerEU: 4
; NumVGPRsForWavesPerEU: 1
; AccumOffset: 4
; Occupancy: 8
; WaveLimiterHint : 0
; COMPUTE_PGM_RSRC2:SCRATCH_EN: 0
; COMPUTE_PGM_RSRC2:USER_SGPR: 6
; COMPUTE_PGM_RSRC2:TRAP_HANDLER: 0
; COMPUTE_PGM_RSRC2:TGID_X_EN: 1
; COMPUTE_PGM_RSRC2:TGID_Y_EN: 0
; COMPUTE_PGM_RSRC2:TGID_Z_EN: 0
; COMPUTE_PGM_RSRC2:TIDIG_COMP_CNT: 0
; COMPUTE_PGM_RSRC3_GFX90A:ACCUM_OFFSET: 0
; COMPUTE_PGM_RSRC3_GFX90A:TG_SPLIT: 0
	.section	.text._ZN7rocprim17ROCPRIM_400000_NS6detail17trampoline_kernelINS0_14default_configENS1_38merge_sort_block_merge_config_selectorI14custom_numericNS0_10empty_typeEEEZZNS1_27merge_sort_block_merge_implIS3_N6thrust23THRUST_200600_302600_NS6detail15normal_iteratorINSA_10device_ptrIS5_EEEEPS6_mNSA_7greaterIS5_EEEE10hipError_tT0_T1_T2_jT3_P12ihipStream_tbPNSt15iterator_traitsISK_E10value_typeEPNSQ_ISL_E10value_typeEPSM_NS1_7vsmem_tEENKUlT_SK_SL_SM_E_clIPS5_SF_SG_SG_EESJ_SZ_SK_SL_SM_EUlSZ_E0_NS1_11comp_targetILNS1_3genE0ELNS1_11target_archE4294967295ELNS1_3gpuE0ELNS1_3repE0EEENS1_38merge_mergepath_config_static_selectorELNS0_4arch9wavefront6targetE1EEEvSL_,"axG",@progbits,_ZN7rocprim17ROCPRIM_400000_NS6detail17trampoline_kernelINS0_14default_configENS1_38merge_sort_block_merge_config_selectorI14custom_numericNS0_10empty_typeEEEZZNS1_27merge_sort_block_merge_implIS3_N6thrust23THRUST_200600_302600_NS6detail15normal_iteratorINSA_10device_ptrIS5_EEEEPS6_mNSA_7greaterIS5_EEEE10hipError_tT0_T1_T2_jT3_P12ihipStream_tbPNSt15iterator_traitsISK_E10value_typeEPNSQ_ISL_E10value_typeEPSM_NS1_7vsmem_tEENKUlT_SK_SL_SM_E_clIPS5_SF_SG_SG_EESJ_SZ_SK_SL_SM_EUlSZ_E0_NS1_11comp_targetILNS1_3genE0ELNS1_11target_archE4294967295ELNS1_3gpuE0ELNS1_3repE0EEENS1_38merge_mergepath_config_static_selectorELNS0_4arch9wavefront6targetE1EEEvSL_,comdat
	.protected	_ZN7rocprim17ROCPRIM_400000_NS6detail17trampoline_kernelINS0_14default_configENS1_38merge_sort_block_merge_config_selectorI14custom_numericNS0_10empty_typeEEEZZNS1_27merge_sort_block_merge_implIS3_N6thrust23THRUST_200600_302600_NS6detail15normal_iteratorINSA_10device_ptrIS5_EEEEPS6_mNSA_7greaterIS5_EEEE10hipError_tT0_T1_T2_jT3_P12ihipStream_tbPNSt15iterator_traitsISK_E10value_typeEPNSQ_ISL_E10value_typeEPSM_NS1_7vsmem_tEENKUlT_SK_SL_SM_E_clIPS5_SF_SG_SG_EESJ_SZ_SK_SL_SM_EUlSZ_E0_NS1_11comp_targetILNS1_3genE0ELNS1_11target_archE4294967295ELNS1_3gpuE0ELNS1_3repE0EEENS1_38merge_mergepath_config_static_selectorELNS0_4arch9wavefront6targetE1EEEvSL_ ; -- Begin function _ZN7rocprim17ROCPRIM_400000_NS6detail17trampoline_kernelINS0_14default_configENS1_38merge_sort_block_merge_config_selectorI14custom_numericNS0_10empty_typeEEEZZNS1_27merge_sort_block_merge_implIS3_N6thrust23THRUST_200600_302600_NS6detail15normal_iteratorINSA_10device_ptrIS5_EEEEPS6_mNSA_7greaterIS5_EEEE10hipError_tT0_T1_T2_jT3_P12ihipStream_tbPNSt15iterator_traitsISK_E10value_typeEPNSQ_ISL_E10value_typeEPSM_NS1_7vsmem_tEENKUlT_SK_SL_SM_E_clIPS5_SF_SG_SG_EESJ_SZ_SK_SL_SM_EUlSZ_E0_NS1_11comp_targetILNS1_3genE0ELNS1_11target_archE4294967295ELNS1_3gpuE0ELNS1_3repE0EEENS1_38merge_mergepath_config_static_selectorELNS0_4arch9wavefront6targetE1EEEvSL_
	.globl	_ZN7rocprim17ROCPRIM_400000_NS6detail17trampoline_kernelINS0_14default_configENS1_38merge_sort_block_merge_config_selectorI14custom_numericNS0_10empty_typeEEEZZNS1_27merge_sort_block_merge_implIS3_N6thrust23THRUST_200600_302600_NS6detail15normal_iteratorINSA_10device_ptrIS5_EEEEPS6_mNSA_7greaterIS5_EEEE10hipError_tT0_T1_T2_jT3_P12ihipStream_tbPNSt15iterator_traitsISK_E10value_typeEPNSQ_ISL_E10value_typeEPSM_NS1_7vsmem_tEENKUlT_SK_SL_SM_E_clIPS5_SF_SG_SG_EESJ_SZ_SK_SL_SM_EUlSZ_E0_NS1_11comp_targetILNS1_3genE0ELNS1_11target_archE4294967295ELNS1_3gpuE0ELNS1_3repE0EEENS1_38merge_mergepath_config_static_selectorELNS0_4arch9wavefront6targetE1EEEvSL_
	.p2align	8
	.type	_ZN7rocprim17ROCPRIM_400000_NS6detail17trampoline_kernelINS0_14default_configENS1_38merge_sort_block_merge_config_selectorI14custom_numericNS0_10empty_typeEEEZZNS1_27merge_sort_block_merge_implIS3_N6thrust23THRUST_200600_302600_NS6detail15normal_iteratorINSA_10device_ptrIS5_EEEEPS6_mNSA_7greaterIS5_EEEE10hipError_tT0_T1_T2_jT3_P12ihipStream_tbPNSt15iterator_traitsISK_E10value_typeEPNSQ_ISL_E10value_typeEPSM_NS1_7vsmem_tEENKUlT_SK_SL_SM_E_clIPS5_SF_SG_SG_EESJ_SZ_SK_SL_SM_EUlSZ_E0_NS1_11comp_targetILNS1_3genE0ELNS1_11target_archE4294967295ELNS1_3gpuE0ELNS1_3repE0EEENS1_38merge_mergepath_config_static_selectorELNS0_4arch9wavefront6targetE1EEEvSL_,@function
_ZN7rocprim17ROCPRIM_400000_NS6detail17trampoline_kernelINS0_14default_configENS1_38merge_sort_block_merge_config_selectorI14custom_numericNS0_10empty_typeEEEZZNS1_27merge_sort_block_merge_implIS3_N6thrust23THRUST_200600_302600_NS6detail15normal_iteratorINSA_10device_ptrIS5_EEEEPS6_mNSA_7greaterIS5_EEEE10hipError_tT0_T1_T2_jT3_P12ihipStream_tbPNSt15iterator_traitsISK_E10value_typeEPNSQ_ISL_E10value_typeEPSM_NS1_7vsmem_tEENKUlT_SK_SL_SM_E_clIPS5_SF_SG_SG_EESJ_SZ_SK_SL_SM_EUlSZ_E0_NS1_11comp_targetILNS1_3genE0ELNS1_11target_archE4294967295ELNS1_3gpuE0ELNS1_3repE0EEENS1_38merge_mergepath_config_static_selectorELNS0_4arch9wavefront6targetE1EEEvSL_: ; @_ZN7rocprim17ROCPRIM_400000_NS6detail17trampoline_kernelINS0_14default_configENS1_38merge_sort_block_merge_config_selectorI14custom_numericNS0_10empty_typeEEEZZNS1_27merge_sort_block_merge_implIS3_N6thrust23THRUST_200600_302600_NS6detail15normal_iteratorINSA_10device_ptrIS5_EEEEPS6_mNSA_7greaterIS5_EEEE10hipError_tT0_T1_T2_jT3_P12ihipStream_tbPNSt15iterator_traitsISK_E10value_typeEPNSQ_ISL_E10value_typeEPSM_NS1_7vsmem_tEENKUlT_SK_SL_SM_E_clIPS5_SF_SG_SG_EESJ_SZ_SK_SL_SM_EUlSZ_E0_NS1_11comp_targetILNS1_3genE0ELNS1_11target_archE4294967295ELNS1_3gpuE0ELNS1_3repE0EEENS1_38merge_mergepath_config_static_selectorELNS0_4arch9wavefront6targetE1EEEvSL_
; %bb.0:
	.section	.rodata,"a",@progbits
	.p2align	6, 0x0
	.amdhsa_kernel _ZN7rocprim17ROCPRIM_400000_NS6detail17trampoline_kernelINS0_14default_configENS1_38merge_sort_block_merge_config_selectorI14custom_numericNS0_10empty_typeEEEZZNS1_27merge_sort_block_merge_implIS3_N6thrust23THRUST_200600_302600_NS6detail15normal_iteratorINSA_10device_ptrIS5_EEEEPS6_mNSA_7greaterIS5_EEEE10hipError_tT0_T1_T2_jT3_P12ihipStream_tbPNSt15iterator_traitsISK_E10value_typeEPNSQ_ISL_E10value_typeEPSM_NS1_7vsmem_tEENKUlT_SK_SL_SM_E_clIPS5_SF_SG_SG_EESJ_SZ_SK_SL_SM_EUlSZ_E0_NS1_11comp_targetILNS1_3genE0ELNS1_11target_archE4294967295ELNS1_3gpuE0ELNS1_3repE0EEENS1_38merge_mergepath_config_static_selectorELNS0_4arch9wavefront6targetE1EEEvSL_
		.amdhsa_group_segment_fixed_size 0
		.amdhsa_private_segment_fixed_size 0
		.amdhsa_kernarg_size 72
		.amdhsa_user_sgpr_count 6
		.amdhsa_user_sgpr_private_segment_buffer 1
		.amdhsa_user_sgpr_dispatch_ptr 0
		.amdhsa_user_sgpr_queue_ptr 0
		.amdhsa_user_sgpr_kernarg_segment_ptr 1
		.amdhsa_user_sgpr_dispatch_id 0
		.amdhsa_user_sgpr_flat_scratch_init 0
		.amdhsa_user_sgpr_kernarg_preload_length 0
		.amdhsa_user_sgpr_kernarg_preload_offset 0
		.amdhsa_user_sgpr_private_segment_size 0
		.amdhsa_uses_dynamic_stack 0
		.amdhsa_system_sgpr_private_segment_wavefront_offset 0
		.amdhsa_system_sgpr_workgroup_id_x 1
		.amdhsa_system_sgpr_workgroup_id_y 0
		.amdhsa_system_sgpr_workgroup_id_z 0
		.amdhsa_system_sgpr_workgroup_info 0
		.amdhsa_system_vgpr_workitem_id 0
		.amdhsa_next_free_vgpr 1
		.amdhsa_next_free_sgpr 0
		.amdhsa_accum_offset 4
		.amdhsa_reserve_vcc 0
		.amdhsa_reserve_flat_scratch 0
		.amdhsa_float_round_mode_32 0
		.amdhsa_float_round_mode_16_64 0
		.amdhsa_float_denorm_mode_32 3
		.amdhsa_float_denorm_mode_16_64 3
		.amdhsa_dx10_clamp 1
		.amdhsa_ieee_mode 1
		.amdhsa_fp16_overflow 0
		.amdhsa_tg_split 0
		.amdhsa_exception_fp_ieee_invalid_op 0
		.amdhsa_exception_fp_denorm_src 0
		.amdhsa_exception_fp_ieee_div_zero 0
		.amdhsa_exception_fp_ieee_overflow 0
		.amdhsa_exception_fp_ieee_underflow 0
		.amdhsa_exception_fp_ieee_inexact 0
		.amdhsa_exception_int_div_zero 0
	.end_amdhsa_kernel
	.section	.text._ZN7rocprim17ROCPRIM_400000_NS6detail17trampoline_kernelINS0_14default_configENS1_38merge_sort_block_merge_config_selectorI14custom_numericNS0_10empty_typeEEEZZNS1_27merge_sort_block_merge_implIS3_N6thrust23THRUST_200600_302600_NS6detail15normal_iteratorINSA_10device_ptrIS5_EEEEPS6_mNSA_7greaterIS5_EEEE10hipError_tT0_T1_T2_jT3_P12ihipStream_tbPNSt15iterator_traitsISK_E10value_typeEPNSQ_ISL_E10value_typeEPSM_NS1_7vsmem_tEENKUlT_SK_SL_SM_E_clIPS5_SF_SG_SG_EESJ_SZ_SK_SL_SM_EUlSZ_E0_NS1_11comp_targetILNS1_3genE0ELNS1_11target_archE4294967295ELNS1_3gpuE0ELNS1_3repE0EEENS1_38merge_mergepath_config_static_selectorELNS0_4arch9wavefront6targetE1EEEvSL_,"axG",@progbits,_ZN7rocprim17ROCPRIM_400000_NS6detail17trampoline_kernelINS0_14default_configENS1_38merge_sort_block_merge_config_selectorI14custom_numericNS0_10empty_typeEEEZZNS1_27merge_sort_block_merge_implIS3_N6thrust23THRUST_200600_302600_NS6detail15normal_iteratorINSA_10device_ptrIS5_EEEEPS6_mNSA_7greaterIS5_EEEE10hipError_tT0_T1_T2_jT3_P12ihipStream_tbPNSt15iterator_traitsISK_E10value_typeEPNSQ_ISL_E10value_typeEPSM_NS1_7vsmem_tEENKUlT_SK_SL_SM_E_clIPS5_SF_SG_SG_EESJ_SZ_SK_SL_SM_EUlSZ_E0_NS1_11comp_targetILNS1_3genE0ELNS1_11target_archE4294967295ELNS1_3gpuE0ELNS1_3repE0EEENS1_38merge_mergepath_config_static_selectorELNS0_4arch9wavefront6targetE1EEEvSL_,comdat
.Lfunc_end2650:
	.size	_ZN7rocprim17ROCPRIM_400000_NS6detail17trampoline_kernelINS0_14default_configENS1_38merge_sort_block_merge_config_selectorI14custom_numericNS0_10empty_typeEEEZZNS1_27merge_sort_block_merge_implIS3_N6thrust23THRUST_200600_302600_NS6detail15normal_iteratorINSA_10device_ptrIS5_EEEEPS6_mNSA_7greaterIS5_EEEE10hipError_tT0_T1_T2_jT3_P12ihipStream_tbPNSt15iterator_traitsISK_E10value_typeEPNSQ_ISL_E10value_typeEPSM_NS1_7vsmem_tEENKUlT_SK_SL_SM_E_clIPS5_SF_SG_SG_EESJ_SZ_SK_SL_SM_EUlSZ_E0_NS1_11comp_targetILNS1_3genE0ELNS1_11target_archE4294967295ELNS1_3gpuE0ELNS1_3repE0EEENS1_38merge_mergepath_config_static_selectorELNS0_4arch9wavefront6targetE1EEEvSL_, .Lfunc_end2650-_ZN7rocprim17ROCPRIM_400000_NS6detail17trampoline_kernelINS0_14default_configENS1_38merge_sort_block_merge_config_selectorI14custom_numericNS0_10empty_typeEEEZZNS1_27merge_sort_block_merge_implIS3_N6thrust23THRUST_200600_302600_NS6detail15normal_iteratorINSA_10device_ptrIS5_EEEEPS6_mNSA_7greaterIS5_EEEE10hipError_tT0_T1_T2_jT3_P12ihipStream_tbPNSt15iterator_traitsISK_E10value_typeEPNSQ_ISL_E10value_typeEPSM_NS1_7vsmem_tEENKUlT_SK_SL_SM_E_clIPS5_SF_SG_SG_EESJ_SZ_SK_SL_SM_EUlSZ_E0_NS1_11comp_targetILNS1_3genE0ELNS1_11target_archE4294967295ELNS1_3gpuE0ELNS1_3repE0EEENS1_38merge_mergepath_config_static_selectorELNS0_4arch9wavefront6targetE1EEEvSL_
                                        ; -- End function
	.section	.AMDGPU.csdata,"",@progbits
; Kernel info:
; codeLenInByte = 0
; NumSgprs: 4
; NumVgprs: 0
; NumAgprs: 0
; TotalNumVgprs: 0
; ScratchSize: 0
; MemoryBound: 0
; FloatMode: 240
; IeeeMode: 1
; LDSByteSize: 0 bytes/workgroup (compile time only)
; SGPRBlocks: 0
; VGPRBlocks: 0
; NumSGPRsForWavesPerEU: 4
; NumVGPRsForWavesPerEU: 1
; AccumOffset: 4
; Occupancy: 8
; WaveLimiterHint : 0
; COMPUTE_PGM_RSRC2:SCRATCH_EN: 0
; COMPUTE_PGM_RSRC2:USER_SGPR: 6
; COMPUTE_PGM_RSRC2:TRAP_HANDLER: 0
; COMPUTE_PGM_RSRC2:TGID_X_EN: 1
; COMPUTE_PGM_RSRC2:TGID_Y_EN: 0
; COMPUTE_PGM_RSRC2:TGID_Z_EN: 0
; COMPUTE_PGM_RSRC2:TIDIG_COMP_CNT: 0
; COMPUTE_PGM_RSRC3_GFX90A:ACCUM_OFFSET: 0
; COMPUTE_PGM_RSRC3_GFX90A:TG_SPLIT: 0
	.section	.text._ZN7rocprim17ROCPRIM_400000_NS6detail17trampoline_kernelINS0_14default_configENS1_38merge_sort_block_merge_config_selectorI14custom_numericNS0_10empty_typeEEEZZNS1_27merge_sort_block_merge_implIS3_N6thrust23THRUST_200600_302600_NS6detail15normal_iteratorINSA_10device_ptrIS5_EEEEPS6_mNSA_7greaterIS5_EEEE10hipError_tT0_T1_T2_jT3_P12ihipStream_tbPNSt15iterator_traitsISK_E10value_typeEPNSQ_ISL_E10value_typeEPSM_NS1_7vsmem_tEENKUlT_SK_SL_SM_E_clIPS5_SF_SG_SG_EESJ_SZ_SK_SL_SM_EUlSZ_E0_NS1_11comp_targetILNS1_3genE10ELNS1_11target_archE1201ELNS1_3gpuE5ELNS1_3repE0EEENS1_38merge_mergepath_config_static_selectorELNS0_4arch9wavefront6targetE1EEEvSL_,"axG",@progbits,_ZN7rocprim17ROCPRIM_400000_NS6detail17trampoline_kernelINS0_14default_configENS1_38merge_sort_block_merge_config_selectorI14custom_numericNS0_10empty_typeEEEZZNS1_27merge_sort_block_merge_implIS3_N6thrust23THRUST_200600_302600_NS6detail15normal_iteratorINSA_10device_ptrIS5_EEEEPS6_mNSA_7greaterIS5_EEEE10hipError_tT0_T1_T2_jT3_P12ihipStream_tbPNSt15iterator_traitsISK_E10value_typeEPNSQ_ISL_E10value_typeEPSM_NS1_7vsmem_tEENKUlT_SK_SL_SM_E_clIPS5_SF_SG_SG_EESJ_SZ_SK_SL_SM_EUlSZ_E0_NS1_11comp_targetILNS1_3genE10ELNS1_11target_archE1201ELNS1_3gpuE5ELNS1_3repE0EEENS1_38merge_mergepath_config_static_selectorELNS0_4arch9wavefront6targetE1EEEvSL_,comdat
	.protected	_ZN7rocprim17ROCPRIM_400000_NS6detail17trampoline_kernelINS0_14default_configENS1_38merge_sort_block_merge_config_selectorI14custom_numericNS0_10empty_typeEEEZZNS1_27merge_sort_block_merge_implIS3_N6thrust23THRUST_200600_302600_NS6detail15normal_iteratorINSA_10device_ptrIS5_EEEEPS6_mNSA_7greaterIS5_EEEE10hipError_tT0_T1_T2_jT3_P12ihipStream_tbPNSt15iterator_traitsISK_E10value_typeEPNSQ_ISL_E10value_typeEPSM_NS1_7vsmem_tEENKUlT_SK_SL_SM_E_clIPS5_SF_SG_SG_EESJ_SZ_SK_SL_SM_EUlSZ_E0_NS1_11comp_targetILNS1_3genE10ELNS1_11target_archE1201ELNS1_3gpuE5ELNS1_3repE0EEENS1_38merge_mergepath_config_static_selectorELNS0_4arch9wavefront6targetE1EEEvSL_ ; -- Begin function _ZN7rocprim17ROCPRIM_400000_NS6detail17trampoline_kernelINS0_14default_configENS1_38merge_sort_block_merge_config_selectorI14custom_numericNS0_10empty_typeEEEZZNS1_27merge_sort_block_merge_implIS3_N6thrust23THRUST_200600_302600_NS6detail15normal_iteratorINSA_10device_ptrIS5_EEEEPS6_mNSA_7greaterIS5_EEEE10hipError_tT0_T1_T2_jT3_P12ihipStream_tbPNSt15iterator_traitsISK_E10value_typeEPNSQ_ISL_E10value_typeEPSM_NS1_7vsmem_tEENKUlT_SK_SL_SM_E_clIPS5_SF_SG_SG_EESJ_SZ_SK_SL_SM_EUlSZ_E0_NS1_11comp_targetILNS1_3genE10ELNS1_11target_archE1201ELNS1_3gpuE5ELNS1_3repE0EEENS1_38merge_mergepath_config_static_selectorELNS0_4arch9wavefront6targetE1EEEvSL_
	.globl	_ZN7rocprim17ROCPRIM_400000_NS6detail17trampoline_kernelINS0_14default_configENS1_38merge_sort_block_merge_config_selectorI14custom_numericNS0_10empty_typeEEEZZNS1_27merge_sort_block_merge_implIS3_N6thrust23THRUST_200600_302600_NS6detail15normal_iteratorINSA_10device_ptrIS5_EEEEPS6_mNSA_7greaterIS5_EEEE10hipError_tT0_T1_T2_jT3_P12ihipStream_tbPNSt15iterator_traitsISK_E10value_typeEPNSQ_ISL_E10value_typeEPSM_NS1_7vsmem_tEENKUlT_SK_SL_SM_E_clIPS5_SF_SG_SG_EESJ_SZ_SK_SL_SM_EUlSZ_E0_NS1_11comp_targetILNS1_3genE10ELNS1_11target_archE1201ELNS1_3gpuE5ELNS1_3repE0EEENS1_38merge_mergepath_config_static_selectorELNS0_4arch9wavefront6targetE1EEEvSL_
	.p2align	8
	.type	_ZN7rocprim17ROCPRIM_400000_NS6detail17trampoline_kernelINS0_14default_configENS1_38merge_sort_block_merge_config_selectorI14custom_numericNS0_10empty_typeEEEZZNS1_27merge_sort_block_merge_implIS3_N6thrust23THRUST_200600_302600_NS6detail15normal_iteratorINSA_10device_ptrIS5_EEEEPS6_mNSA_7greaterIS5_EEEE10hipError_tT0_T1_T2_jT3_P12ihipStream_tbPNSt15iterator_traitsISK_E10value_typeEPNSQ_ISL_E10value_typeEPSM_NS1_7vsmem_tEENKUlT_SK_SL_SM_E_clIPS5_SF_SG_SG_EESJ_SZ_SK_SL_SM_EUlSZ_E0_NS1_11comp_targetILNS1_3genE10ELNS1_11target_archE1201ELNS1_3gpuE5ELNS1_3repE0EEENS1_38merge_mergepath_config_static_selectorELNS0_4arch9wavefront6targetE1EEEvSL_,@function
_ZN7rocprim17ROCPRIM_400000_NS6detail17trampoline_kernelINS0_14default_configENS1_38merge_sort_block_merge_config_selectorI14custom_numericNS0_10empty_typeEEEZZNS1_27merge_sort_block_merge_implIS3_N6thrust23THRUST_200600_302600_NS6detail15normal_iteratorINSA_10device_ptrIS5_EEEEPS6_mNSA_7greaterIS5_EEEE10hipError_tT0_T1_T2_jT3_P12ihipStream_tbPNSt15iterator_traitsISK_E10value_typeEPNSQ_ISL_E10value_typeEPSM_NS1_7vsmem_tEENKUlT_SK_SL_SM_E_clIPS5_SF_SG_SG_EESJ_SZ_SK_SL_SM_EUlSZ_E0_NS1_11comp_targetILNS1_3genE10ELNS1_11target_archE1201ELNS1_3gpuE5ELNS1_3repE0EEENS1_38merge_mergepath_config_static_selectorELNS0_4arch9wavefront6targetE1EEEvSL_: ; @_ZN7rocprim17ROCPRIM_400000_NS6detail17trampoline_kernelINS0_14default_configENS1_38merge_sort_block_merge_config_selectorI14custom_numericNS0_10empty_typeEEEZZNS1_27merge_sort_block_merge_implIS3_N6thrust23THRUST_200600_302600_NS6detail15normal_iteratorINSA_10device_ptrIS5_EEEEPS6_mNSA_7greaterIS5_EEEE10hipError_tT0_T1_T2_jT3_P12ihipStream_tbPNSt15iterator_traitsISK_E10value_typeEPNSQ_ISL_E10value_typeEPSM_NS1_7vsmem_tEENKUlT_SK_SL_SM_E_clIPS5_SF_SG_SG_EESJ_SZ_SK_SL_SM_EUlSZ_E0_NS1_11comp_targetILNS1_3genE10ELNS1_11target_archE1201ELNS1_3gpuE5ELNS1_3repE0EEENS1_38merge_mergepath_config_static_selectorELNS0_4arch9wavefront6targetE1EEEvSL_
; %bb.0:
	.section	.rodata,"a",@progbits
	.p2align	6, 0x0
	.amdhsa_kernel _ZN7rocprim17ROCPRIM_400000_NS6detail17trampoline_kernelINS0_14default_configENS1_38merge_sort_block_merge_config_selectorI14custom_numericNS0_10empty_typeEEEZZNS1_27merge_sort_block_merge_implIS3_N6thrust23THRUST_200600_302600_NS6detail15normal_iteratorINSA_10device_ptrIS5_EEEEPS6_mNSA_7greaterIS5_EEEE10hipError_tT0_T1_T2_jT3_P12ihipStream_tbPNSt15iterator_traitsISK_E10value_typeEPNSQ_ISL_E10value_typeEPSM_NS1_7vsmem_tEENKUlT_SK_SL_SM_E_clIPS5_SF_SG_SG_EESJ_SZ_SK_SL_SM_EUlSZ_E0_NS1_11comp_targetILNS1_3genE10ELNS1_11target_archE1201ELNS1_3gpuE5ELNS1_3repE0EEENS1_38merge_mergepath_config_static_selectorELNS0_4arch9wavefront6targetE1EEEvSL_
		.amdhsa_group_segment_fixed_size 0
		.amdhsa_private_segment_fixed_size 0
		.amdhsa_kernarg_size 72
		.amdhsa_user_sgpr_count 6
		.amdhsa_user_sgpr_private_segment_buffer 1
		.amdhsa_user_sgpr_dispatch_ptr 0
		.amdhsa_user_sgpr_queue_ptr 0
		.amdhsa_user_sgpr_kernarg_segment_ptr 1
		.amdhsa_user_sgpr_dispatch_id 0
		.amdhsa_user_sgpr_flat_scratch_init 0
		.amdhsa_user_sgpr_kernarg_preload_length 0
		.amdhsa_user_sgpr_kernarg_preload_offset 0
		.amdhsa_user_sgpr_private_segment_size 0
		.amdhsa_uses_dynamic_stack 0
		.amdhsa_system_sgpr_private_segment_wavefront_offset 0
		.amdhsa_system_sgpr_workgroup_id_x 1
		.amdhsa_system_sgpr_workgroup_id_y 0
		.amdhsa_system_sgpr_workgroup_id_z 0
		.amdhsa_system_sgpr_workgroup_info 0
		.amdhsa_system_vgpr_workitem_id 0
		.amdhsa_next_free_vgpr 1
		.amdhsa_next_free_sgpr 0
		.amdhsa_accum_offset 4
		.amdhsa_reserve_vcc 0
		.amdhsa_reserve_flat_scratch 0
		.amdhsa_float_round_mode_32 0
		.amdhsa_float_round_mode_16_64 0
		.amdhsa_float_denorm_mode_32 3
		.amdhsa_float_denorm_mode_16_64 3
		.amdhsa_dx10_clamp 1
		.amdhsa_ieee_mode 1
		.amdhsa_fp16_overflow 0
		.amdhsa_tg_split 0
		.amdhsa_exception_fp_ieee_invalid_op 0
		.amdhsa_exception_fp_denorm_src 0
		.amdhsa_exception_fp_ieee_div_zero 0
		.amdhsa_exception_fp_ieee_overflow 0
		.amdhsa_exception_fp_ieee_underflow 0
		.amdhsa_exception_fp_ieee_inexact 0
		.amdhsa_exception_int_div_zero 0
	.end_amdhsa_kernel
	.section	.text._ZN7rocprim17ROCPRIM_400000_NS6detail17trampoline_kernelINS0_14default_configENS1_38merge_sort_block_merge_config_selectorI14custom_numericNS0_10empty_typeEEEZZNS1_27merge_sort_block_merge_implIS3_N6thrust23THRUST_200600_302600_NS6detail15normal_iteratorINSA_10device_ptrIS5_EEEEPS6_mNSA_7greaterIS5_EEEE10hipError_tT0_T1_T2_jT3_P12ihipStream_tbPNSt15iterator_traitsISK_E10value_typeEPNSQ_ISL_E10value_typeEPSM_NS1_7vsmem_tEENKUlT_SK_SL_SM_E_clIPS5_SF_SG_SG_EESJ_SZ_SK_SL_SM_EUlSZ_E0_NS1_11comp_targetILNS1_3genE10ELNS1_11target_archE1201ELNS1_3gpuE5ELNS1_3repE0EEENS1_38merge_mergepath_config_static_selectorELNS0_4arch9wavefront6targetE1EEEvSL_,"axG",@progbits,_ZN7rocprim17ROCPRIM_400000_NS6detail17trampoline_kernelINS0_14default_configENS1_38merge_sort_block_merge_config_selectorI14custom_numericNS0_10empty_typeEEEZZNS1_27merge_sort_block_merge_implIS3_N6thrust23THRUST_200600_302600_NS6detail15normal_iteratorINSA_10device_ptrIS5_EEEEPS6_mNSA_7greaterIS5_EEEE10hipError_tT0_T1_T2_jT3_P12ihipStream_tbPNSt15iterator_traitsISK_E10value_typeEPNSQ_ISL_E10value_typeEPSM_NS1_7vsmem_tEENKUlT_SK_SL_SM_E_clIPS5_SF_SG_SG_EESJ_SZ_SK_SL_SM_EUlSZ_E0_NS1_11comp_targetILNS1_3genE10ELNS1_11target_archE1201ELNS1_3gpuE5ELNS1_3repE0EEENS1_38merge_mergepath_config_static_selectorELNS0_4arch9wavefront6targetE1EEEvSL_,comdat
.Lfunc_end2651:
	.size	_ZN7rocprim17ROCPRIM_400000_NS6detail17trampoline_kernelINS0_14default_configENS1_38merge_sort_block_merge_config_selectorI14custom_numericNS0_10empty_typeEEEZZNS1_27merge_sort_block_merge_implIS3_N6thrust23THRUST_200600_302600_NS6detail15normal_iteratorINSA_10device_ptrIS5_EEEEPS6_mNSA_7greaterIS5_EEEE10hipError_tT0_T1_T2_jT3_P12ihipStream_tbPNSt15iterator_traitsISK_E10value_typeEPNSQ_ISL_E10value_typeEPSM_NS1_7vsmem_tEENKUlT_SK_SL_SM_E_clIPS5_SF_SG_SG_EESJ_SZ_SK_SL_SM_EUlSZ_E0_NS1_11comp_targetILNS1_3genE10ELNS1_11target_archE1201ELNS1_3gpuE5ELNS1_3repE0EEENS1_38merge_mergepath_config_static_selectorELNS0_4arch9wavefront6targetE1EEEvSL_, .Lfunc_end2651-_ZN7rocprim17ROCPRIM_400000_NS6detail17trampoline_kernelINS0_14default_configENS1_38merge_sort_block_merge_config_selectorI14custom_numericNS0_10empty_typeEEEZZNS1_27merge_sort_block_merge_implIS3_N6thrust23THRUST_200600_302600_NS6detail15normal_iteratorINSA_10device_ptrIS5_EEEEPS6_mNSA_7greaterIS5_EEEE10hipError_tT0_T1_T2_jT3_P12ihipStream_tbPNSt15iterator_traitsISK_E10value_typeEPNSQ_ISL_E10value_typeEPSM_NS1_7vsmem_tEENKUlT_SK_SL_SM_E_clIPS5_SF_SG_SG_EESJ_SZ_SK_SL_SM_EUlSZ_E0_NS1_11comp_targetILNS1_3genE10ELNS1_11target_archE1201ELNS1_3gpuE5ELNS1_3repE0EEENS1_38merge_mergepath_config_static_selectorELNS0_4arch9wavefront6targetE1EEEvSL_
                                        ; -- End function
	.section	.AMDGPU.csdata,"",@progbits
; Kernel info:
; codeLenInByte = 0
; NumSgprs: 4
; NumVgprs: 0
; NumAgprs: 0
; TotalNumVgprs: 0
; ScratchSize: 0
; MemoryBound: 0
; FloatMode: 240
; IeeeMode: 1
; LDSByteSize: 0 bytes/workgroup (compile time only)
; SGPRBlocks: 0
; VGPRBlocks: 0
; NumSGPRsForWavesPerEU: 4
; NumVGPRsForWavesPerEU: 1
; AccumOffset: 4
; Occupancy: 8
; WaveLimiterHint : 0
; COMPUTE_PGM_RSRC2:SCRATCH_EN: 0
; COMPUTE_PGM_RSRC2:USER_SGPR: 6
; COMPUTE_PGM_RSRC2:TRAP_HANDLER: 0
; COMPUTE_PGM_RSRC2:TGID_X_EN: 1
; COMPUTE_PGM_RSRC2:TGID_Y_EN: 0
; COMPUTE_PGM_RSRC2:TGID_Z_EN: 0
; COMPUTE_PGM_RSRC2:TIDIG_COMP_CNT: 0
; COMPUTE_PGM_RSRC3_GFX90A:ACCUM_OFFSET: 0
; COMPUTE_PGM_RSRC3_GFX90A:TG_SPLIT: 0
	.section	.text._ZN7rocprim17ROCPRIM_400000_NS6detail17trampoline_kernelINS0_14default_configENS1_38merge_sort_block_merge_config_selectorI14custom_numericNS0_10empty_typeEEEZZNS1_27merge_sort_block_merge_implIS3_N6thrust23THRUST_200600_302600_NS6detail15normal_iteratorINSA_10device_ptrIS5_EEEEPS6_mNSA_7greaterIS5_EEEE10hipError_tT0_T1_T2_jT3_P12ihipStream_tbPNSt15iterator_traitsISK_E10value_typeEPNSQ_ISL_E10value_typeEPSM_NS1_7vsmem_tEENKUlT_SK_SL_SM_E_clIPS5_SF_SG_SG_EESJ_SZ_SK_SL_SM_EUlSZ_E0_NS1_11comp_targetILNS1_3genE5ELNS1_11target_archE942ELNS1_3gpuE9ELNS1_3repE0EEENS1_38merge_mergepath_config_static_selectorELNS0_4arch9wavefront6targetE1EEEvSL_,"axG",@progbits,_ZN7rocprim17ROCPRIM_400000_NS6detail17trampoline_kernelINS0_14default_configENS1_38merge_sort_block_merge_config_selectorI14custom_numericNS0_10empty_typeEEEZZNS1_27merge_sort_block_merge_implIS3_N6thrust23THRUST_200600_302600_NS6detail15normal_iteratorINSA_10device_ptrIS5_EEEEPS6_mNSA_7greaterIS5_EEEE10hipError_tT0_T1_T2_jT3_P12ihipStream_tbPNSt15iterator_traitsISK_E10value_typeEPNSQ_ISL_E10value_typeEPSM_NS1_7vsmem_tEENKUlT_SK_SL_SM_E_clIPS5_SF_SG_SG_EESJ_SZ_SK_SL_SM_EUlSZ_E0_NS1_11comp_targetILNS1_3genE5ELNS1_11target_archE942ELNS1_3gpuE9ELNS1_3repE0EEENS1_38merge_mergepath_config_static_selectorELNS0_4arch9wavefront6targetE1EEEvSL_,comdat
	.protected	_ZN7rocprim17ROCPRIM_400000_NS6detail17trampoline_kernelINS0_14default_configENS1_38merge_sort_block_merge_config_selectorI14custom_numericNS0_10empty_typeEEEZZNS1_27merge_sort_block_merge_implIS3_N6thrust23THRUST_200600_302600_NS6detail15normal_iteratorINSA_10device_ptrIS5_EEEEPS6_mNSA_7greaterIS5_EEEE10hipError_tT0_T1_T2_jT3_P12ihipStream_tbPNSt15iterator_traitsISK_E10value_typeEPNSQ_ISL_E10value_typeEPSM_NS1_7vsmem_tEENKUlT_SK_SL_SM_E_clIPS5_SF_SG_SG_EESJ_SZ_SK_SL_SM_EUlSZ_E0_NS1_11comp_targetILNS1_3genE5ELNS1_11target_archE942ELNS1_3gpuE9ELNS1_3repE0EEENS1_38merge_mergepath_config_static_selectorELNS0_4arch9wavefront6targetE1EEEvSL_ ; -- Begin function _ZN7rocprim17ROCPRIM_400000_NS6detail17trampoline_kernelINS0_14default_configENS1_38merge_sort_block_merge_config_selectorI14custom_numericNS0_10empty_typeEEEZZNS1_27merge_sort_block_merge_implIS3_N6thrust23THRUST_200600_302600_NS6detail15normal_iteratorINSA_10device_ptrIS5_EEEEPS6_mNSA_7greaterIS5_EEEE10hipError_tT0_T1_T2_jT3_P12ihipStream_tbPNSt15iterator_traitsISK_E10value_typeEPNSQ_ISL_E10value_typeEPSM_NS1_7vsmem_tEENKUlT_SK_SL_SM_E_clIPS5_SF_SG_SG_EESJ_SZ_SK_SL_SM_EUlSZ_E0_NS1_11comp_targetILNS1_3genE5ELNS1_11target_archE942ELNS1_3gpuE9ELNS1_3repE0EEENS1_38merge_mergepath_config_static_selectorELNS0_4arch9wavefront6targetE1EEEvSL_
	.globl	_ZN7rocprim17ROCPRIM_400000_NS6detail17trampoline_kernelINS0_14default_configENS1_38merge_sort_block_merge_config_selectorI14custom_numericNS0_10empty_typeEEEZZNS1_27merge_sort_block_merge_implIS3_N6thrust23THRUST_200600_302600_NS6detail15normal_iteratorINSA_10device_ptrIS5_EEEEPS6_mNSA_7greaterIS5_EEEE10hipError_tT0_T1_T2_jT3_P12ihipStream_tbPNSt15iterator_traitsISK_E10value_typeEPNSQ_ISL_E10value_typeEPSM_NS1_7vsmem_tEENKUlT_SK_SL_SM_E_clIPS5_SF_SG_SG_EESJ_SZ_SK_SL_SM_EUlSZ_E0_NS1_11comp_targetILNS1_3genE5ELNS1_11target_archE942ELNS1_3gpuE9ELNS1_3repE0EEENS1_38merge_mergepath_config_static_selectorELNS0_4arch9wavefront6targetE1EEEvSL_
	.p2align	8
	.type	_ZN7rocprim17ROCPRIM_400000_NS6detail17trampoline_kernelINS0_14default_configENS1_38merge_sort_block_merge_config_selectorI14custom_numericNS0_10empty_typeEEEZZNS1_27merge_sort_block_merge_implIS3_N6thrust23THRUST_200600_302600_NS6detail15normal_iteratorINSA_10device_ptrIS5_EEEEPS6_mNSA_7greaterIS5_EEEE10hipError_tT0_T1_T2_jT3_P12ihipStream_tbPNSt15iterator_traitsISK_E10value_typeEPNSQ_ISL_E10value_typeEPSM_NS1_7vsmem_tEENKUlT_SK_SL_SM_E_clIPS5_SF_SG_SG_EESJ_SZ_SK_SL_SM_EUlSZ_E0_NS1_11comp_targetILNS1_3genE5ELNS1_11target_archE942ELNS1_3gpuE9ELNS1_3repE0EEENS1_38merge_mergepath_config_static_selectorELNS0_4arch9wavefront6targetE1EEEvSL_,@function
_ZN7rocprim17ROCPRIM_400000_NS6detail17trampoline_kernelINS0_14default_configENS1_38merge_sort_block_merge_config_selectorI14custom_numericNS0_10empty_typeEEEZZNS1_27merge_sort_block_merge_implIS3_N6thrust23THRUST_200600_302600_NS6detail15normal_iteratorINSA_10device_ptrIS5_EEEEPS6_mNSA_7greaterIS5_EEEE10hipError_tT0_T1_T2_jT3_P12ihipStream_tbPNSt15iterator_traitsISK_E10value_typeEPNSQ_ISL_E10value_typeEPSM_NS1_7vsmem_tEENKUlT_SK_SL_SM_E_clIPS5_SF_SG_SG_EESJ_SZ_SK_SL_SM_EUlSZ_E0_NS1_11comp_targetILNS1_3genE5ELNS1_11target_archE942ELNS1_3gpuE9ELNS1_3repE0EEENS1_38merge_mergepath_config_static_selectorELNS0_4arch9wavefront6targetE1EEEvSL_: ; @_ZN7rocprim17ROCPRIM_400000_NS6detail17trampoline_kernelINS0_14default_configENS1_38merge_sort_block_merge_config_selectorI14custom_numericNS0_10empty_typeEEEZZNS1_27merge_sort_block_merge_implIS3_N6thrust23THRUST_200600_302600_NS6detail15normal_iteratorINSA_10device_ptrIS5_EEEEPS6_mNSA_7greaterIS5_EEEE10hipError_tT0_T1_T2_jT3_P12ihipStream_tbPNSt15iterator_traitsISK_E10value_typeEPNSQ_ISL_E10value_typeEPSM_NS1_7vsmem_tEENKUlT_SK_SL_SM_E_clIPS5_SF_SG_SG_EESJ_SZ_SK_SL_SM_EUlSZ_E0_NS1_11comp_targetILNS1_3genE5ELNS1_11target_archE942ELNS1_3gpuE9ELNS1_3repE0EEENS1_38merge_mergepath_config_static_selectorELNS0_4arch9wavefront6targetE1EEEvSL_
; %bb.0:
	.section	.rodata,"a",@progbits
	.p2align	6, 0x0
	.amdhsa_kernel _ZN7rocprim17ROCPRIM_400000_NS6detail17trampoline_kernelINS0_14default_configENS1_38merge_sort_block_merge_config_selectorI14custom_numericNS0_10empty_typeEEEZZNS1_27merge_sort_block_merge_implIS3_N6thrust23THRUST_200600_302600_NS6detail15normal_iteratorINSA_10device_ptrIS5_EEEEPS6_mNSA_7greaterIS5_EEEE10hipError_tT0_T1_T2_jT3_P12ihipStream_tbPNSt15iterator_traitsISK_E10value_typeEPNSQ_ISL_E10value_typeEPSM_NS1_7vsmem_tEENKUlT_SK_SL_SM_E_clIPS5_SF_SG_SG_EESJ_SZ_SK_SL_SM_EUlSZ_E0_NS1_11comp_targetILNS1_3genE5ELNS1_11target_archE942ELNS1_3gpuE9ELNS1_3repE0EEENS1_38merge_mergepath_config_static_selectorELNS0_4arch9wavefront6targetE1EEEvSL_
		.amdhsa_group_segment_fixed_size 0
		.amdhsa_private_segment_fixed_size 0
		.amdhsa_kernarg_size 72
		.amdhsa_user_sgpr_count 6
		.amdhsa_user_sgpr_private_segment_buffer 1
		.amdhsa_user_sgpr_dispatch_ptr 0
		.amdhsa_user_sgpr_queue_ptr 0
		.amdhsa_user_sgpr_kernarg_segment_ptr 1
		.amdhsa_user_sgpr_dispatch_id 0
		.amdhsa_user_sgpr_flat_scratch_init 0
		.amdhsa_user_sgpr_kernarg_preload_length 0
		.amdhsa_user_sgpr_kernarg_preload_offset 0
		.amdhsa_user_sgpr_private_segment_size 0
		.amdhsa_uses_dynamic_stack 0
		.amdhsa_system_sgpr_private_segment_wavefront_offset 0
		.amdhsa_system_sgpr_workgroup_id_x 1
		.amdhsa_system_sgpr_workgroup_id_y 0
		.amdhsa_system_sgpr_workgroup_id_z 0
		.amdhsa_system_sgpr_workgroup_info 0
		.amdhsa_system_vgpr_workitem_id 0
		.amdhsa_next_free_vgpr 1
		.amdhsa_next_free_sgpr 0
		.amdhsa_accum_offset 4
		.amdhsa_reserve_vcc 0
		.amdhsa_reserve_flat_scratch 0
		.amdhsa_float_round_mode_32 0
		.amdhsa_float_round_mode_16_64 0
		.amdhsa_float_denorm_mode_32 3
		.amdhsa_float_denorm_mode_16_64 3
		.amdhsa_dx10_clamp 1
		.amdhsa_ieee_mode 1
		.amdhsa_fp16_overflow 0
		.amdhsa_tg_split 0
		.amdhsa_exception_fp_ieee_invalid_op 0
		.amdhsa_exception_fp_denorm_src 0
		.amdhsa_exception_fp_ieee_div_zero 0
		.amdhsa_exception_fp_ieee_overflow 0
		.amdhsa_exception_fp_ieee_underflow 0
		.amdhsa_exception_fp_ieee_inexact 0
		.amdhsa_exception_int_div_zero 0
	.end_amdhsa_kernel
	.section	.text._ZN7rocprim17ROCPRIM_400000_NS6detail17trampoline_kernelINS0_14default_configENS1_38merge_sort_block_merge_config_selectorI14custom_numericNS0_10empty_typeEEEZZNS1_27merge_sort_block_merge_implIS3_N6thrust23THRUST_200600_302600_NS6detail15normal_iteratorINSA_10device_ptrIS5_EEEEPS6_mNSA_7greaterIS5_EEEE10hipError_tT0_T1_T2_jT3_P12ihipStream_tbPNSt15iterator_traitsISK_E10value_typeEPNSQ_ISL_E10value_typeEPSM_NS1_7vsmem_tEENKUlT_SK_SL_SM_E_clIPS5_SF_SG_SG_EESJ_SZ_SK_SL_SM_EUlSZ_E0_NS1_11comp_targetILNS1_3genE5ELNS1_11target_archE942ELNS1_3gpuE9ELNS1_3repE0EEENS1_38merge_mergepath_config_static_selectorELNS0_4arch9wavefront6targetE1EEEvSL_,"axG",@progbits,_ZN7rocprim17ROCPRIM_400000_NS6detail17trampoline_kernelINS0_14default_configENS1_38merge_sort_block_merge_config_selectorI14custom_numericNS0_10empty_typeEEEZZNS1_27merge_sort_block_merge_implIS3_N6thrust23THRUST_200600_302600_NS6detail15normal_iteratorINSA_10device_ptrIS5_EEEEPS6_mNSA_7greaterIS5_EEEE10hipError_tT0_T1_T2_jT3_P12ihipStream_tbPNSt15iterator_traitsISK_E10value_typeEPNSQ_ISL_E10value_typeEPSM_NS1_7vsmem_tEENKUlT_SK_SL_SM_E_clIPS5_SF_SG_SG_EESJ_SZ_SK_SL_SM_EUlSZ_E0_NS1_11comp_targetILNS1_3genE5ELNS1_11target_archE942ELNS1_3gpuE9ELNS1_3repE0EEENS1_38merge_mergepath_config_static_selectorELNS0_4arch9wavefront6targetE1EEEvSL_,comdat
.Lfunc_end2652:
	.size	_ZN7rocprim17ROCPRIM_400000_NS6detail17trampoline_kernelINS0_14default_configENS1_38merge_sort_block_merge_config_selectorI14custom_numericNS0_10empty_typeEEEZZNS1_27merge_sort_block_merge_implIS3_N6thrust23THRUST_200600_302600_NS6detail15normal_iteratorINSA_10device_ptrIS5_EEEEPS6_mNSA_7greaterIS5_EEEE10hipError_tT0_T1_T2_jT3_P12ihipStream_tbPNSt15iterator_traitsISK_E10value_typeEPNSQ_ISL_E10value_typeEPSM_NS1_7vsmem_tEENKUlT_SK_SL_SM_E_clIPS5_SF_SG_SG_EESJ_SZ_SK_SL_SM_EUlSZ_E0_NS1_11comp_targetILNS1_3genE5ELNS1_11target_archE942ELNS1_3gpuE9ELNS1_3repE0EEENS1_38merge_mergepath_config_static_selectorELNS0_4arch9wavefront6targetE1EEEvSL_, .Lfunc_end2652-_ZN7rocprim17ROCPRIM_400000_NS6detail17trampoline_kernelINS0_14default_configENS1_38merge_sort_block_merge_config_selectorI14custom_numericNS0_10empty_typeEEEZZNS1_27merge_sort_block_merge_implIS3_N6thrust23THRUST_200600_302600_NS6detail15normal_iteratorINSA_10device_ptrIS5_EEEEPS6_mNSA_7greaterIS5_EEEE10hipError_tT0_T1_T2_jT3_P12ihipStream_tbPNSt15iterator_traitsISK_E10value_typeEPNSQ_ISL_E10value_typeEPSM_NS1_7vsmem_tEENKUlT_SK_SL_SM_E_clIPS5_SF_SG_SG_EESJ_SZ_SK_SL_SM_EUlSZ_E0_NS1_11comp_targetILNS1_3genE5ELNS1_11target_archE942ELNS1_3gpuE9ELNS1_3repE0EEENS1_38merge_mergepath_config_static_selectorELNS0_4arch9wavefront6targetE1EEEvSL_
                                        ; -- End function
	.section	.AMDGPU.csdata,"",@progbits
; Kernel info:
; codeLenInByte = 0
; NumSgprs: 4
; NumVgprs: 0
; NumAgprs: 0
; TotalNumVgprs: 0
; ScratchSize: 0
; MemoryBound: 0
; FloatMode: 240
; IeeeMode: 1
; LDSByteSize: 0 bytes/workgroup (compile time only)
; SGPRBlocks: 0
; VGPRBlocks: 0
; NumSGPRsForWavesPerEU: 4
; NumVGPRsForWavesPerEU: 1
; AccumOffset: 4
; Occupancy: 8
; WaveLimiterHint : 0
; COMPUTE_PGM_RSRC2:SCRATCH_EN: 0
; COMPUTE_PGM_RSRC2:USER_SGPR: 6
; COMPUTE_PGM_RSRC2:TRAP_HANDLER: 0
; COMPUTE_PGM_RSRC2:TGID_X_EN: 1
; COMPUTE_PGM_RSRC2:TGID_Y_EN: 0
; COMPUTE_PGM_RSRC2:TGID_Z_EN: 0
; COMPUTE_PGM_RSRC2:TIDIG_COMP_CNT: 0
; COMPUTE_PGM_RSRC3_GFX90A:ACCUM_OFFSET: 0
; COMPUTE_PGM_RSRC3_GFX90A:TG_SPLIT: 0
	.section	.text._ZN7rocprim17ROCPRIM_400000_NS6detail17trampoline_kernelINS0_14default_configENS1_38merge_sort_block_merge_config_selectorI14custom_numericNS0_10empty_typeEEEZZNS1_27merge_sort_block_merge_implIS3_N6thrust23THRUST_200600_302600_NS6detail15normal_iteratorINSA_10device_ptrIS5_EEEEPS6_mNSA_7greaterIS5_EEEE10hipError_tT0_T1_T2_jT3_P12ihipStream_tbPNSt15iterator_traitsISK_E10value_typeEPNSQ_ISL_E10value_typeEPSM_NS1_7vsmem_tEENKUlT_SK_SL_SM_E_clIPS5_SF_SG_SG_EESJ_SZ_SK_SL_SM_EUlSZ_E0_NS1_11comp_targetILNS1_3genE4ELNS1_11target_archE910ELNS1_3gpuE8ELNS1_3repE0EEENS1_38merge_mergepath_config_static_selectorELNS0_4arch9wavefront6targetE1EEEvSL_,"axG",@progbits,_ZN7rocprim17ROCPRIM_400000_NS6detail17trampoline_kernelINS0_14default_configENS1_38merge_sort_block_merge_config_selectorI14custom_numericNS0_10empty_typeEEEZZNS1_27merge_sort_block_merge_implIS3_N6thrust23THRUST_200600_302600_NS6detail15normal_iteratorINSA_10device_ptrIS5_EEEEPS6_mNSA_7greaterIS5_EEEE10hipError_tT0_T1_T2_jT3_P12ihipStream_tbPNSt15iterator_traitsISK_E10value_typeEPNSQ_ISL_E10value_typeEPSM_NS1_7vsmem_tEENKUlT_SK_SL_SM_E_clIPS5_SF_SG_SG_EESJ_SZ_SK_SL_SM_EUlSZ_E0_NS1_11comp_targetILNS1_3genE4ELNS1_11target_archE910ELNS1_3gpuE8ELNS1_3repE0EEENS1_38merge_mergepath_config_static_selectorELNS0_4arch9wavefront6targetE1EEEvSL_,comdat
	.protected	_ZN7rocprim17ROCPRIM_400000_NS6detail17trampoline_kernelINS0_14default_configENS1_38merge_sort_block_merge_config_selectorI14custom_numericNS0_10empty_typeEEEZZNS1_27merge_sort_block_merge_implIS3_N6thrust23THRUST_200600_302600_NS6detail15normal_iteratorINSA_10device_ptrIS5_EEEEPS6_mNSA_7greaterIS5_EEEE10hipError_tT0_T1_T2_jT3_P12ihipStream_tbPNSt15iterator_traitsISK_E10value_typeEPNSQ_ISL_E10value_typeEPSM_NS1_7vsmem_tEENKUlT_SK_SL_SM_E_clIPS5_SF_SG_SG_EESJ_SZ_SK_SL_SM_EUlSZ_E0_NS1_11comp_targetILNS1_3genE4ELNS1_11target_archE910ELNS1_3gpuE8ELNS1_3repE0EEENS1_38merge_mergepath_config_static_selectorELNS0_4arch9wavefront6targetE1EEEvSL_ ; -- Begin function _ZN7rocprim17ROCPRIM_400000_NS6detail17trampoline_kernelINS0_14default_configENS1_38merge_sort_block_merge_config_selectorI14custom_numericNS0_10empty_typeEEEZZNS1_27merge_sort_block_merge_implIS3_N6thrust23THRUST_200600_302600_NS6detail15normal_iteratorINSA_10device_ptrIS5_EEEEPS6_mNSA_7greaterIS5_EEEE10hipError_tT0_T1_T2_jT3_P12ihipStream_tbPNSt15iterator_traitsISK_E10value_typeEPNSQ_ISL_E10value_typeEPSM_NS1_7vsmem_tEENKUlT_SK_SL_SM_E_clIPS5_SF_SG_SG_EESJ_SZ_SK_SL_SM_EUlSZ_E0_NS1_11comp_targetILNS1_3genE4ELNS1_11target_archE910ELNS1_3gpuE8ELNS1_3repE0EEENS1_38merge_mergepath_config_static_selectorELNS0_4arch9wavefront6targetE1EEEvSL_
	.globl	_ZN7rocprim17ROCPRIM_400000_NS6detail17trampoline_kernelINS0_14default_configENS1_38merge_sort_block_merge_config_selectorI14custom_numericNS0_10empty_typeEEEZZNS1_27merge_sort_block_merge_implIS3_N6thrust23THRUST_200600_302600_NS6detail15normal_iteratorINSA_10device_ptrIS5_EEEEPS6_mNSA_7greaterIS5_EEEE10hipError_tT0_T1_T2_jT3_P12ihipStream_tbPNSt15iterator_traitsISK_E10value_typeEPNSQ_ISL_E10value_typeEPSM_NS1_7vsmem_tEENKUlT_SK_SL_SM_E_clIPS5_SF_SG_SG_EESJ_SZ_SK_SL_SM_EUlSZ_E0_NS1_11comp_targetILNS1_3genE4ELNS1_11target_archE910ELNS1_3gpuE8ELNS1_3repE0EEENS1_38merge_mergepath_config_static_selectorELNS0_4arch9wavefront6targetE1EEEvSL_
	.p2align	8
	.type	_ZN7rocprim17ROCPRIM_400000_NS6detail17trampoline_kernelINS0_14default_configENS1_38merge_sort_block_merge_config_selectorI14custom_numericNS0_10empty_typeEEEZZNS1_27merge_sort_block_merge_implIS3_N6thrust23THRUST_200600_302600_NS6detail15normal_iteratorINSA_10device_ptrIS5_EEEEPS6_mNSA_7greaterIS5_EEEE10hipError_tT0_T1_T2_jT3_P12ihipStream_tbPNSt15iterator_traitsISK_E10value_typeEPNSQ_ISL_E10value_typeEPSM_NS1_7vsmem_tEENKUlT_SK_SL_SM_E_clIPS5_SF_SG_SG_EESJ_SZ_SK_SL_SM_EUlSZ_E0_NS1_11comp_targetILNS1_3genE4ELNS1_11target_archE910ELNS1_3gpuE8ELNS1_3repE0EEENS1_38merge_mergepath_config_static_selectorELNS0_4arch9wavefront6targetE1EEEvSL_,@function
_ZN7rocprim17ROCPRIM_400000_NS6detail17trampoline_kernelINS0_14default_configENS1_38merge_sort_block_merge_config_selectorI14custom_numericNS0_10empty_typeEEEZZNS1_27merge_sort_block_merge_implIS3_N6thrust23THRUST_200600_302600_NS6detail15normal_iteratorINSA_10device_ptrIS5_EEEEPS6_mNSA_7greaterIS5_EEEE10hipError_tT0_T1_T2_jT3_P12ihipStream_tbPNSt15iterator_traitsISK_E10value_typeEPNSQ_ISL_E10value_typeEPSM_NS1_7vsmem_tEENKUlT_SK_SL_SM_E_clIPS5_SF_SG_SG_EESJ_SZ_SK_SL_SM_EUlSZ_E0_NS1_11comp_targetILNS1_3genE4ELNS1_11target_archE910ELNS1_3gpuE8ELNS1_3repE0EEENS1_38merge_mergepath_config_static_selectorELNS0_4arch9wavefront6targetE1EEEvSL_: ; @_ZN7rocprim17ROCPRIM_400000_NS6detail17trampoline_kernelINS0_14default_configENS1_38merge_sort_block_merge_config_selectorI14custom_numericNS0_10empty_typeEEEZZNS1_27merge_sort_block_merge_implIS3_N6thrust23THRUST_200600_302600_NS6detail15normal_iteratorINSA_10device_ptrIS5_EEEEPS6_mNSA_7greaterIS5_EEEE10hipError_tT0_T1_T2_jT3_P12ihipStream_tbPNSt15iterator_traitsISK_E10value_typeEPNSQ_ISL_E10value_typeEPSM_NS1_7vsmem_tEENKUlT_SK_SL_SM_E_clIPS5_SF_SG_SG_EESJ_SZ_SK_SL_SM_EUlSZ_E0_NS1_11comp_targetILNS1_3genE4ELNS1_11target_archE910ELNS1_3gpuE8ELNS1_3repE0EEENS1_38merge_mergepath_config_static_selectorELNS0_4arch9wavefront6targetE1EEEvSL_
; %bb.0:
	s_load_dwordx2 s[22:23], s[4:5], 0x48
	s_load_dword s0, s[4:5], 0x38
	s_add_u32 s20, s4, 0x48
	s_addc_u32 s21, s5, 0
	s_waitcnt lgkmcnt(0)
	s_mul_i32 s1, s23, s8
	s_add_i32 s1, s1, s7
	s_mul_i32 s1, s1, s22
	s_add_i32 s18, s1, s6
	s_cmp_ge_u32 s18, s0
	s_cbranch_scc1 .LBB2653_35
; %bb.1:
	s_load_dwordx2 s[0:1], s[4:5], 0x40
	s_load_dwordx4 s[12:15], s[4:5], 0x8
	s_load_dwordx4 s[8:11], s[4:5], 0x28
	s_mov_b32 s19, 0
	s_lshl_b64 s[2:3], s[18:19], 3
	s_waitcnt lgkmcnt(0)
	s_add_u32 s0, s0, s2
	s_addc_u32 s1, s1, s3
	v_mov_b32_e32 v1, s10
	v_alignbit_b32 v1, s11, v1, 8
	v_readfirstlane_b32 s4, v1
	s_and_b32 s4, s4, -2
	s_sub_i32 s30, 0, s4
	s_and_b32 s24, s18, s30
	s_mov_b32 s25, s19
	s_lshl_b64 s[4:5], s[24:25], 9
	s_lshl_b64 s[16:17], s[18:19], 9
	s_sub_u32 s7, s16, s4
	s_load_dwordx4 s[0:3], s[0:1], 0x0
	s_subb_u32 s23, s17, s5
	s_lshl_b64 s[24:25], s[24:25], 10
	s_add_u32 s24, s24, s10
	s_addc_u32 s25, s25, s11
	s_add_u32 s7, s24, s7
	s_addc_u32 s23, s25, s23
	s_waitcnt lgkmcnt(0)
	s_sub_u32 s26, s7, s2
	s_subb_u32 s3, s23, s3
	s_add_u32 s26, s26, 0x200
	s_addc_u32 s27, s3, 0
	v_pk_mov_b32 v[2:3], s[26:27], s[26:27] op_sel:[0,1]
	v_cmp_lt_u64_e32 vcc, s[8:9], v[2:3]
	s_and_b64 s[28:29], vcc, exec
	s_cselect_b32 s3, s8, s26
	s_or_b32 s26, s18, s30
	s_cmp_lg_u32 s26, -1
	s_cbranch_scc1 .LBB2653_3
; %bb.2:
	s_sub_u32 s4, s24, s4
	s_subb_u32 s5, s25, s5
	v_pk_mov_b32 v[2:3], s[4:5], s[4:5] op_sel:[0,1]
	v_cmp_lt_u64_e32 vcc, s[8:9], v[2:3]
	s_and_b64 s[2:3], vcc, exec
	s_cselect_b32 s2, s8, s4
	s_add_u32 s4, s4, s10
	s_addc_u32 s5, s5, s11
	v_pk_mov_b32 v[2:3], s[4:5], s[4:5] op_sel:[0,1]
	v_cmp_lt_u64_e32 vcc, s[8:9], v[2:3]
	s_and_b64 s[10:11], vcc, exec
	s_cselect_b32 s3, s8, s4
.LBB2653_3:
	s_lshr_b64 s[4:5], s[8:9], 9
	s_cmp_lg_u64 s[4:5], s[18:19]
	s_cselect_b64 s[10:11], -1, 0
	s_sub_u32 s24, s7, s0
	s_subb_u32 s25, s23, s1
	v_pk_mov_b32 v[2:3], s[24:25], s[24:25] op_sel:[0,1]
	v_cmp_lt_u64_e32 vcc, s[8:9], v[2:3]
	s_and_b64 s[26:27], vcc, exec
	s_cselect_b32 s7, s9, s25
	s_cselect_b32 s24, s8, s24
	s_sub_i32 s9, s2, s0
	s_mul_i32 s1, s1, 20
	s_mul_hi_u32 s2, s0, 20
	s_sub_i32 s23, s3, s24
	s_add_i32 s2, s2, s1
	s_mul_i32 s0, s0, 20
	s_add_u32 s0, s12, s0
	s_addc_u32 s1, s13, s2
	s_mul_i32 s7, s7, 20
	s_mul_hi_u32 s2, s24, 20
	s_add_i32 s3, s2, s7
	s_mul_i32 s24, s24, 20
	s_add_u32 s2, s12, s24
	s_addc_u32 s3, s13, s3
	s_cmp_lt_u32 s6, s22
	v_mov_b32_e32 v1, 0
	s_cselect_b32 s6, 12, 18
	global_load_dword v2, v1, s[20:21] offset:14
	s_add_u32 s6, s20, s6
	s_addc_u32 s7, s21, 0
	global_load_ushort v1, v1, s[6:7]
	s_cmp_eq_u64 s[4:5], s[18:19]
	s_waitcnt vmcnt(1)
	v_lshrrev_b32_e32 v3, 16, v2
	v_and_b32_e32 v2, 0xffff, v2
	v_mul_lo_u32 v2, v2, v3
	s_waitcnt vmcnt(0)
	v_mul_lo_u32 v1, v2, v1
	v_add_u32_e32 v5, v1, v0
	v_add_u32_e32 v3, v5, v1
	s_cbranch_scc1 .LBB2653_6
; %bb.4:
	v_subrev_u32_e32 v2, s9, v0
	v_mad_u64_u32 v[6:7], s[4:5], v0, 20, s[0:1]
	v_mad_u64_u32 v[8:9], s[4:5], v2, 20, s[2:3]
	v_cmp_gt_u32_e32 vcc, s9, v0
	v_cndmask_b32_e32 v7, v9, v7, vcc
	v_cndmask_b32_e32 v6, v8, v6, vcc
	v_subrev_u32_e32 v4, s9, v5
	global_load_dword v2, v[6:7], off
	v_mad_u64_u32 v[6:7], s[4:5], v5, 20, s[0:1]
	v_mad_u64_u32 v[8:9], s[4:5], v4, 20, s[2:3]
	v_cmp_gt_u32_e32 vcc, s9, v5
	v_cndmask_b32_e32 v7, v9, v7, vcc
	v_cndmask_b32_e32 v6, v8, v6, vcc
	v_subrev_u32_e32 v8, s9, v3
	global_load_dword v4, v[6:7], off
	v_mad_u64_u32 v[6:7], s[4:5], v3, 20, s[0:1]
	v_mad_u64_u32 v[8:9], s[4:5], v8, 20, s[2:3]
	v_cmp_gt_u32_e32 vcc, s9, v3
	v_cndmask_b32_e32 v7, v9, v7, vcc
	v_cndmask_b32_e32 v6, v8, v6, vcc
	global_load_dword v6, v[6:7], off
	v_add_u32_e32 v7, v3, v1
	s_add_i32 s12, s9, s23
	s_mov_b64 s[4:5], -1
	s_cbranch_execz .LBB2653_7
; %bb.5:
                                        ; implicit-def: $sgpr6
	v_mov_b32_e32 v5, s12
	v_mov_b32_e32 v8, s6
	s_and_saveexec_b64 s[6:7], s[4:5]
	s_cbranch_execnz .LBB2653_14
	s_branch .LBB2653_15
.LBB2653_6:
	s_mov_b64 s[4:5], 0
                                        ; implicit-def: $vgpr7
                                        ; implicit-def: $vgpr2
                                        ; implicit-def: $vgpr4
                                        ; implicit-def: $vgpr6
                                        ; implicit-def: $sgpr12
.LBB2653_7:
	s_add_i32 s12, s9, s23
	v_cmp_gt_u32_e32 vcc, s12, v0
	s_waitcnt vmcnt(1)
	v_mov_b32_e32 v4, 0
	v_mov_b32_e32 v2, 0
	s_and_saveexec_b64 s[4:5], vcc
	s_cbranch_execz .LBB2653_9
; %bb.8:
	v_subrev_u32_e32 v2, s9, v0
	s_waitcnt vmcnt(0)
	v_mad_u64_u32 v[6:7], s[6:7], v0, 20, s[0:1]
	v_mad_u64_u32 v[8:9], s[6:7], v2, 20, s[2:3]
	v_cmp_gt_u32_e32 vcc, s9, v0
	v_cndmask_b32_e32 v7, v9, v7, vcc
	v_cndmask_b32_e32 v6, v8, v6, vcc
	global_load_dword v2, v[6:7], off
.LBB2653_9:
	s_or_b64 exec, exec, s[4:5]
	v_cmp_gt_u32_e32 vcc, s12, v5
	s_and_saveexec_b64 s[4:5], vcc
	s_cbranch_execz .LBB2653_11
; %bb.10:
	v_subrev_u32_e32 v4, s9, v5
	s_waitcnt vmcnt(0)
	v_mad_u64_u32 v[6:7], s[6:7], v5, 20, s[0:1]
	v_mad_u64_u32 v[8:9], s[6:7], v4, 20, s[2:3]
	v_cmp_gt_u32_e32 vcc, s9, v5
	v_cndmask_b32_e32 v5, v9, v7, vcc
	v_cndmask_b32_e32 v4, v8, v6, vcc
	global_load_dword v4, v[4:5], off
.LBB2653_11:
	s_or_b64 exec, exec, s[4:5]
	v_cmp_gt_u32_e32 vcc, s12, v3
	s_waitcnt vmcnt(0)
	v_mov_b32_e32 v6, 0
	s_and_saveexec_b64 s[4:5], vcc
	s_cbranch_execz .LBB2653_13
; %bb.12:
	v_subrev_u32_e32 v5, s9, v3
	v_mad_u64_u32 v[6:7], s[6:7], v3, 20, s[0:1]
	v_mad_u64_u32 v[8:9], s[6:7], v5, 20, s[2:3]
	v_cmp_gt_u32_e32 vcc, s9, v3
	v_cndmask_b32_e32 v7, v9, v7, vcc
	v_cndmask_b32_e32 v6, v8, v6, vcc
	global_load_dword v6, v[6:7], off
.LBB2653_13:
	s_or_b64 exec, exec, s[4:5]
	v_add_u32_e32 v7, v3, v1
	v_cmp_gt_u32_e64 s[4:5], s12, v7
	s_mov_b32 s6, 0
	v_mov_b32_e32 v5, s12
	v_mov_b32_e32 v8, s6
	s_and_saveexec_b64 s[6:7], s[4:5]
	s_cbranch_execz .LBB2653_15
.LBB2653_14:
	v_subrev_u32_e32 v1, s9, v7
	v_mad_u64_u32 v[8:9], s[0:1], v7, 20, s[0:1]
	v_mad_u64_u32 v[10:11], s[0:1], v1, 20, s[2:3]
	v_cmp_gt_u32_e32 vcc, s9, v7
	v_cndmask_b32_e32 v9, v11, v9, vcc
	v_cndmask_b32_e32 v8, v10, v8, vcc
	global_load_dword v8, v[8:9], off
	v_mov_b32_e32 v5, s12
.LBB2653_15:
	s_or_b64 exec, exec, s[6:7]
	v_mov_b32_e32 v7, 0x1400
	v_mul_u32_u24_e32 v1, 20, v0
	v_mad_u32_u24 v7, v0, 20, v7
	s_waitcnt vmcnt(2)
	ds_write2_b32 v1, v2, v2 offset1:1
	ds_write2_b32 v1, v2, v2 offset0:2 offset1:3
	s_waitcnt vmcnt(0)
	ds_write2_b32 v7, v6, v6 offset1:1
	v_mov_b32_e32 v7, 0x1408
	v_mov_b32_e32 v3, 0xa00
	v_mad_u32_u24 v7, v0, 20, v7
	v_mad_u32_u24 v3, v0, 20, v3
	ds_write2_b32 v7, v6, v6 offset1:1
	v_mov_b32_e32 v7, 0x1e00
	ds_write2_b32 v3, v4, v4 offset1:1
	v_mov_b32_e32 v3, 0xa08
	v_mad_u32_u24 v7, v0, 20, v7
	v_mad_u32_u24 v3, v0, 20, v3
	ds_write2_b32 v7, v8, v8 offset1:1
	v_mov_b32_e32 v7, 0x1e08
	ds_write2_b32 v3, v4, v4 offset1:1
	v_add_u32_e32 v3, 16, v1
	v_mad_u32_u24 v7, v0, 20, v7
	ds_write2st64_b32 v3, v2, v4 offset1:10
	ds_write2_b32 v7, v8, v8 offset1:1
	ds_write2st64_b32 v3, v6, v8 offset0:20 offset1:30
	v_lshlrev_b32_e32 v3, 2, v0
	v_min_u32_e32 v9, v5, v3
	v_sub_u32_e64 v7, v9, s23 clamp
	v_min_u32_e32 v11, s9, v9
	v_cmp_lt_u32_e32 vcc, v7, v11
	s_waitcnt lgkmcnt(0)
	s_barrier
	s_and_saveexec_b64 s[0:1], vcc
	s_cbranch_execz .LBB2653_19
; %bb.16:
	s_mul_i32 s2, s9, 20
	v_mad_u32_u24 v10, v9, 20, s2
	s_mov_b64 s[2:3], 0
.LBB2653_17:                            ; =>This Inner Loop Header: Depth=1
	v_add_u32_e32 v12, v11, v7
	v_lshrrev_b32_e32 v14, 1, v12
	v_not_b32_e32 v12, v14
	v_mul_lo_u32 v15, v14, 20
	v_mad_u64_u32 v[12:13], s[4:5], v12, 20, v[10:11]
	ds_read_b32 v13, v15
	ds_read_b32 v12, v12
	v_add_u32_e32 v15, 1, v14
	s_waitcnt lgkmcnt(0)
	v_cmp_gt_i32_e32 vcc, v12, v13
	v_cndmask_b32_e32 v11, v11, v14, vcc
	v_cndmask_b32_e32 v7, v15, v7, vcc
	v_cmp_ge_u32_e32 vcc, v7, v11
	s_or_b64 s[2:3], vcc, s[2:3]
	s_andn2_b64 exec, exec, s[2:3]
	s_cbranch_execnz .LBB2653_17
; %bb.18:
	s_or_b64 exec, exec, s[2:3]
.LBB2653_19:
	s_or_b64 exec, exec, s[0:1]
	v_sub_u32_e32 v9, v9, v7
	v_add_u32_e32 v9, s9, v9
	v_cmp_ge_u32_e32 vcc, s9, v7
	v_cmp_le_u32_e64 s[0:1], v9, v5
	s_or_b64 s[0:1], vcc, s[0:1]
	s_and_saveexec_b64 s[12:13], s[0:1]
	s_cbranch_execz .LBB2653_25
; %bb.20:
	v_cmp_gt_u32_e32 vcc, s9, v7
	v_mov_b32_e32 v2, 0
	v_mov_b32_e32 v4, 0
	s_and_saveexec_b64 s[0:1], vcc
	s_cbranch_execz .LBB2653_22
; %bb.21:
	v_mul_lo_u32 v4, v7, 20
	ds_read_b32 v4, v4
.LBB2653_22:
	s_or_b64 exec, exec, s[0:1]
	v_cmp_ge_u32_e64 s[0:1], v9, v5
	v_cmp_lt_u32_e64 s[2:3], v9, v5
	s_and_saveexec_b64 s[4:5], s[2:3]
	s_cbranch_execz .LBB2653_24
; %bb.23:
	v_mul_lo_u32 v2, v9, 20
	ds_read_b32 v2, v2
.LBB2653_24:
	s_or_b64 exec, exec, s[4:5]
	s_waitcnt lgkmcnt(0)
	v_cmp_le_i32_e64 s[2:3], v2, v4
	s_and_b64 s[2:3], vcc, s[2:3]
	s_or_b64 vcc, s[0:1], s[2:3]
	v_mov_b32_e32 v8, s9
	v_cndmask_b32_e32 v6, v9, v7, vcc
	v_cndmask_b32_e32 v10, v5, v8, vcc
	v_add_u32_e32 v6, 1, v6
	v_add_u32_e32 v10, -1, v10
	v_min_u32_e32 v10, v6, v10
	v_mul_lo_u32 v10, v10, 20
	ds_read_b32 v10, v10
	v_cndmask_b32_e32 v9, v6, v9, vcc
	v_cndmask_b32_e32 v6, v7, v6, vcc
	v_cmp_gt_u32_e64 s[2:3], s9, v6
	v_cmp_ge_u32_e64 s[0:1], v9, v5
	s_waitcnt lgkmcnt(0)
	v_cndmask_b32_e32 v11, v10, v2, vcc
	v_cndmask_b32_e32 v10, v4, v10, vcc
	v_cmp_le_i32_e64 s[4:5], v11, v10
	s_and_b64 s[2:3], s[2:3], s[4:5]
	s_or_b64 s[0:1], s[0:1], s[2:3]
	v_cndmask_b32_e64 v7, v9, v6, s[0:1]
	v_cndmask_b32_e64 v12, v5, v8, s[0:1]
	v_add_u32_e32 v7, 1, v7
	v_add_u32_e32 v12, -1, v12
	v_min_u32_e32 v12, v7, v12
	v_mul_lo_u32 v12, v12, 20
	ds_read_b32 v12, v12
	v_cndmask_b32_e64 v9, v7, v9, s[0:1]
	v_cndmask_b32_e64 v7, v6, v7, s[0:1]
	v_cmp_gt_u32_e64 s[4:5], s9, v7
	v_cmp_ge_u32_e64 s[2:3], v9, v5
	s_waitcnt lgkmcnt(0)
	v_cndmask_b32_e64 v13, v12, v11, s[0:1]
	v_cndmask_b32_e64 v12, v10, v12, s[0:1]
	v_cmp_le_i32_e64 s[6:7], v13, v12
	s_and_b64 s[4:5], s[4:5], s[6:7]
	s_or_b64 s[2:3], s[2:3], s[4:5]
	v_cndmask_b32_e64 v6, v9, v7, s[2:3]
	v_cndmask_b32_e64 v8, v5, v8, s[2:3]
	v_add_u32_e32 v14, 1, v6
	v_add_u32_e32 v6, -1, v8
	v_min_u32_e32 v6, v14, v6
	v_mul_lo_u32 v6, v6, 20
	ds_read_b32 v8, v6
	v_cndmask_b32_e32 v2, v2, v4, vcc
	v_cndmask_b32_e64 v4, v11, v10, s[0:1]
	v_cndmask_b32_e64 v7, v7, v14, s[2:3]
	v_cndmask_b32_e64 v6, v13, v12, s[2:3]
	s_waitcnt lgkmcnt(0)
	v_cndmask_b32_e64 v10, v8, v13, s[2:3]
	v_cndmask_b32_e64 v8, v12, v8, s[2:3]
	;; [unrolled: 1-line block ×3, first 2 shown]
	v_cmp_gt_u32_e64 s[0:1], s9, v7
	v_cmp_le_i32_e64 s[2:3], v10, v8
	v_cmp_ge_u32_e32 vcc, v9, v5
	s_and_b64 s[0:1], s[0:1], s[2:3]
	s_or_b64 vcc, vcc, s[0:1]
	v_cndmask_b32_e32 v8, v10, v8, vcc
.LBB2653_25:
	s_or_b64 exec, exec, s[12:13]
	v_lshrrev_b32_e32 v5, 3, v0
	v_mul_u32_u24_e32 v3, 20, v3
	v_mad_u32_u24 v3, v5, 20, v3
	s_barrier
	s_barrier
	ds_write2_b32 v3, v2, v2 offset1:1
	ds_write2_b32 v3, v2, v2 offset0:2 offset1:3
	ds_write2_b32 v3, v4, v4 offset0:5 offset1:6
	;; [unrolled: 1-line block ×9, first 2 shown]
	v_lshrrev_b32_e32 v2, 5, v0
	v_or_b32_e32 v7, 0x80, v0
	s_mul_i32 s0, s17, 20
	s_mul_hi_u32 s1, s16, 20
	v_mad_u32_u24 v8, v2, 20, v1
	v_lshrrev_b32_e32 v2, 5, v7
	v_or_b32_e32 v5, 0x100, v0
	s_add_i32 s1, s1, s0
	s_mul_i32 s0, s16, 20
	v_mad_u32_u24 v4, v2, 20, v1
	v_lshrrev_b32_e32 v2, 5, v5
	v_or_b32_e32 v3, 0x180, v0
	s_add_u32 s0, s14, s0
	v_mad_u32_u24 v9, v2, 20, v1
	v_lshrrev_b32_e32 v2, 5, v3
	s_addc_u32 s1, s15, s1
	v_mad_u32_u24 v1, v2, 20, v1
	s_and_b64 vcc, exec, s[10:11]
	s_waitcnt lgkmcnt(0)
	s_cbranch_vccz .LBB2653_27
; %bb.26:
	s_barrier
	ds_read_b32 v10, v8
	ds_read_b32 v14, v4 offset:2560
	ds_read_b32 v18, v9 offset:5120
	;; [unrolled: 1-line block ×3, first 2 shown]
	v_mad_u64_u32 v[22:23], s[2:3], v0, 20, s[0:1]
	s_waitcnt lgkmcnt(3)
	v_mov_b32_e32 v11, v10
	v_mov_b32_e32 v12, v10
	;; [unrolled: 1-line block ×3, first 2 shown]
	global_store_dwordx4 v[22:23], v[10:13], off
	global_store_dword v[22:23], v10, off offset:16
	v_add_co_u32_e32 v10, vcc, 0x1000, v22
	s_waitcnt lgkmcnt(2)
	v_mov_b32_e32 v15, v14
	v_mov_b32_e32 v16, v14
	;; [unrolled: 1-line block ×3, first 2 shown]
	s_waitcnt lgkmcnt(1)
	v_mov_b32_e32 v19, v18
	v_mov_b32_e32 v20, v18
	;; [unrolled: 1-line block ×3, first 2 shown]
	v_addc_co_u32_e32 v11, vcc, 0, v23, vcc
	global_store_dwordx4 v[22:23], v[14:17], off offset:2560
	global_store_dword v[22:23], v14, off offset:2576
	global_store_dwordx4 v[10:11], v[18:21], off offset:1024
	global_store_dword v[10:11], v18, off offset:1040
	s_mov_b64 s[2:3], -1
	s_cbranch_execz .LBB2653_28
	s_branch .LBB2653_33
.LBB2653_27:
	s_mov_b64 s[2:3], 0
                                        ; implicit-def: $vgpr2
.LBB2653_28:
	s_barrier
	s_waitcnt lgkmcnt(0)
	ds_read_b32 v6, v4 offset:2560
	ds_read_b32 v4, v9 offset:5120
	;; [unrolled: 1-line block ×3, first 2 shown]
	s_sub_i32 s4, s8, s16
	v_mad_u64_u32 v[10:11], s[2:3], v0, 20, s[0:1]
	v_cmp_gt_u32_e32 vcc, s4, v0
	s_and_saveexec_b64 s[2:3], vcc
	s_cbranch_execnz .LBB2653_36
; %bb.29:
	s_or_b64 exec, exec, s[2:3]
	v_cmp_gt_u32_e32 vcc, s4, v7
	s_and_saveexec_b64 s[2:3], vcc
	s_cbranch_execnz .LBB2653_37
.LBB2653_30:
	s_or_b64 exec, exec, s[2:3]
	v_cmp_gt_u32_e32 vcc, s4, v5
	s_and_saveexec_b64 s[2:3], vcc
	s_cbranch_execz .LBB2653_32
.LBB2653_31:
	v_add_co_u32_e32 v8, vcc, 0x1000, v10
	s_waitcnt lgkmcnt(1)
	v_mov_b32_e32 v5, v4
	v_mov_b32_e32 v6, v4
	;; [unrolled: 1-line block ×3, first 2 shown]
	v_addc_co_u32_e32 v9, vcc, 0, v11, vcc
	global_store_dwordx4 v[8:9], v[4:7], off offset:1024
	global_store_dword v[8:9], v4, off offset:1040
.LBB2653_32:
	s_or_b64 exec, exec, s[2:3]
	v_cmp_gt_u32_e64 s[2:3], s4, v3
.LBB2653_33:
	s_and_saveexec_b64 s[4:5], s[2:3]
	s_cbranch_execz .LBB2653_35
; %bb.34:
	v_mad_u64_u32 v[0:1], s[0:1], v0, 20, s[0:1]
	v_add_co_u32_e32 v0, vcc, 0x1000, v0
	s_waitcnt lgkmcnt(0)
	v_mov_b32_e32 v3, v2
	v_mov_b32_e32 v4, v2
	;; [unrolled: 1-line block ×3, first 2 shown]
	v_addc_co_u32_e32 v1, vcc, 0, v1, vcc
	global_store_dwordx4 v[0:1], v[2:5], off offset:3584
	global_store_dword v[0:1], v2, off offset:3600
.LBB2653_35:
	s_endpgm
.LBB2653_36:
	ds_read_b32 v12, v8
	s_waitcnt lgkmcnt(0)
	v_mov_b32_e32 v13, v12
	v_mov_b32_e32 v14, v12
	;; [unrolled: 1-line block ×3, first 2 shown]
	global_store_dwordx4 v[10:11], v[12:15], off
	global_store_dword v[10:11], v12, off offset:16
	s_or_b64 exec, exec, s[2:3]
	v_cmp_gt_u32_e32 vcc, s4, v7
	s_and_saveexec_b64 s[2:3], vcc
	s_cbranch_execz .LBB2653_30
.LBB2653_37:
	s_waitcnt lgkmcnt(2)
	v_mov_b32_e32 v7, v6
	v_mov_b32_e32 v8, v6
	;; [unrolled: 1-line block ×3, first 2 shown]
	global_store_dwordx4 v[10:11], v[6:9], off offset:2560
	global_store_dword v[10:11], v6, off offset:2576
	s_or_b64 exec, exec, s[2:3]
	v_cmp_gt_u32_e32 vcc, s4, v5
	s_and_saveexec_b64 s[2:3], vcc
	s_cbranch_execnz .LBB2653_31
	s_branch .LBB2653_32
	.section	.rodata,"a",@progbits
	.p2align	6, 0x0
	.amdhsa_kernel _ZN7rocprim17ROCPRIM_400000_NS6detail17trampoline_kernelINS0_14default_configENS1_38merge_sort_block_merge_config_selectorI14custom_numericNS0_10empty_typeEEEZZNS1_27merge_sort_block_merge_implIS3_N6thrust23THRUST_200600_302600_NS6detail15normal_iteratorINSA_10device_ptrIS5_EEEEPS6_mNSA_7greaterIS5_EEEE10hipError_tT0_T1_T2_jT3_P12ihipStream_tbPNSt15iterator_traitsISK_E10value_typeEPNSQ_ISL_E10value_typeEPSM_NS1_7vsmem_tEENKUlT_SK_SL_SM_E_clIPS5_SF_SG_SG_EESJ_SZ_SK_SL_SM_EUlSZ_E0_NS1_11comp_targetILNS1_3genE4ELNS1_11target_archE910ELNS1_3gpuE8ELNS1_3repE0EEENS1_38merge_mergepath_config_static_selectorELNS0_4arch9wavefront6targetE1EEEvSL_
		.amdhsa_group_segment_fixed_size 10560
		.amdhsa_private_segment_fixed_size 0
		.amdhsa_kernarg_size 328
		.amdhsa_user_sgpr_count 6
		.amdhsa_user_sgpr_private_segment_buffer 1
		.amdhsa_user_sgpr_dispatch_ptr 0
		.amdhsa_user_sgpr_queue_ptr 0
		.amdhsa_user_sgpr_kernarg_segment_ptr 1
		.amdhsa_user_sgpr_dispatch_id 0
		.amdhsa_user_sgpr_flat_scratch_init 0
		.amdhsa_user_sgpr_kernarg_preload_length 0
		.amdhsa_user_sgpr_kernarg_preload_offset 0
		.amdhsa_user_sgpr_private_segment_size 0
		.amdhsa_uses_dynamic_stack 0
		.amdhsa_system_sgpr_private_segment_wavefront_offset 0
		.amdhsa_system_sgpr_workgroup_id_x 1
		.amdhsa_system_sgpr_workgroup_id_y 1
		.amdhsa_system_sgpr_workgroup_id_z 1
		.amdhsa_system_sgpr_workgroup_info 0
		.amdhsa_system_vgpr_workitem_id 0
		.amdhsa_next_free_vgpr 24
		.amdhsa_next_free_sgpr 31
		.amdhsa_accum_offset 24
		.amdhsa_reserve_vcc 1
		.amdhsa_reserve_flat_scratch 0
		.amdhsa_float_round_mode_32 0
		.amdhsa_float_round_mode_16_64 0
		.amdhsa_float_denorm_mode_32 3
		.amdhsa_float_denorm_mode_16_64 3
		.amdhsa_dx10_clamp 1
		.amdhsa_ieee_mode 1
		.amdhsa_fp16_overflow 0
		.amdhsa_tg_split 0
		.amdhsa_exception_fp_ieee_invalid_op 0
		.amdhsa_exception_fp_denorm_src 0
		.amdhsa_exception_fp_ieee_div_zero 0
		.amdhsa_exception_fp_ieee_overflow 0
		.amdhsa_exception_fp_ieee_underflow 0
		.amdhsa_exception_fp_ieee_inexact 0
		.amdhsa_exception_int_div_zero 0
	.end_amdhsa_kernel
	.section	.text._ZN7rocprim17ROCPRIM_400000_NS6detail17trampoline_kernelINS0_14default_configENS1_38merge_sort_block_merge_config_selectorI14custom_numericNS0_10empty_typeEEEZZNS1_27merge_sort_block_merge_implIS3_N6thrust23THRUST_200600_302600_NS6detail15normal_iteratorINSA_10device_ptrIS5_EEEEPS6_mNSA_7greaterIS5_EEEE10hipError_tT0_T1_T2_jT3_P12ihipStream_tbPNSt15iterator_traitsISK_E10value_typeEPNSQ_ISL_E10value_typeEPSM_NS1_7vsmem_tEENKUlT_SK_SL_SM_E_clIPS5_SF_SG_SG_EESJ_SZ_SK_SL_SM_EUlSZ_E0_NS1_11comp_targetILNS1_3genE4ELNS1_11target_archE910ELNS1_3gpuE8ELNS1_3repE0EEENS1_38merge_mergepath_config_static_selectorELNS0_4arch9wavefront6targetE1EEEvSL_,"axG",@progbits,_ZN7rocprim17ROCPRIM_400000_NS6detail17trampoline_kernelINS0_14default_configENS1_38merge_sort_block_merge_config_selectorI14custom_numericNS0_10empty_typeEEEZZNS1_27merge_sort_block_merge_implIS3_N6thrust23THRUST_200600_302600_NS6detail15normal_iteratorINSA_10device_ptrIS5_EEEEPS6_mNSA_7greaterIS5_EEEE10hipError_tT0_T1_T2_jT3_P12ihipStream_tbPNSt15iterator_traitsISK_E10value_typeEPNSQ_ISL_E10value_typeEPSM_NS1_7vsmem_tEENKUlT_SK_SL_SM_E_clIPS5_SF_SG_SG_EESJ_SZ_SK_SL_SM_EUlSZ_E0_NS1_11comp_targetILNS1_3genE4ELNS1_11target_archE910ELNS1_3gpuE8ELNS1_3repE0EEENS1_38merge_mergepath_config_static_selectorELNS0_4arch9wavefront6targetE1EEEvSL_,comdat
.Lfunc_end2653:
	.size	_ZN7rocprim17ROCPRIM_400000_NS6detail17trampoline_kernelINS0_14default_configENS1_38merge_sort_block_merge_config_selectorI14custom_numericNS0_10empty_typeEEEZZNS1_27merge_sort_block_merge_implIS3_N6thrust23THRUST_200600_302600_NS6detail15normal_iteratorINSA_10device_ptrIS5_EEEEPS6_mNSA_7greaterIS5_EEEE10hipError_tT0_T1_T2_jT3_P12ihipStream_tbPNSt15iterator_traitsISK_E10value_typeEPNSQ_ISL_E10value_typeEPSM_NS1_7vsmem_tEENKUlT_SK_SL_SM_E_clIPS5_SF_SG_SG_EESJ_SZ_SK_SL_SM_EUlSZ_E0_NS1_11comp_targetILNS1_3genE4ELNS1_11target_archE910ELNS1_3gpuE8ELNS1_3repE0EEENS1_38merge_mergepath_config_static_selectorELNS0_4arch9wavefront6targetE1EEEvSL_, .Lfunc_end2653-_ZN7rocprim17ROCPRIM_400000_NS6detail17trampoline_kernelINS0_14default_configENS1_38merge_sort_block_merge_config_selectorI14custom_numericNS0_10empty_typeEEEZZNS1_27merge_sort_block_merge_implIS3_N6thrust23THRUST_200600_302600_NS6detail15normal_iteratorINSA_10device_ptrIS5_EEEEPS6_mNSA_7greaterIS5_EEEE10hipError_tT0_T1_T2_jT3_P12ihipStream_tbPNSt15iterator_traitsISK_E10value_typeEPNSQ_ISL_E10value_typeEPSM_NS1_7vsmem_tEENKUlT_SK_SL_SM_E_clIPS5_SF_SG_SG_EESJ_SZ_SK_SL_SM_EUlSZ_E0_NS1_11comp_targetILNS1_3genE4ELNS1_11target_archE910ELNS1_3gpuE8ELNS1_3repE0EEENS1_38merge_mergepath_config_static_selectorELNS0_4arch9wavefront6targetE1EEEvSL_
                                        ; -- End function
	.section	.AMDGPU.csdata,"",@progbits
; Kernel info:
; codeLenInByte = 2424
; NumSgprs: 35
; NumVgprs: 24
; NumAgprs: 0
; TotalNumVgprs: 24
; ScratchSize: 0
; MemoryBound: 0
; FloatMode: 240
; IeeeMode: 1
; LDSByteSize: 10560 bytes/workgroup (compile time only)
; SGPRBlocks: 4
; VGPRBlocks: 2
; NumSGPRsForWavesPerEU: 35
; NumVGPRsForWavesPerEU: 24
; AccumOffset: 24
; Occupancy: 3
; WaveLimiterHint : 1
; COMPUTE_PGM_RSRC2:SCRATCH_EN: 0
; COMPUTE_PGM_RSRC2:USER_SGPR: 6
; COMPUTE_PGM_RSRC2:TRAP_HANDLER: 0
; COMPUTE_PGM_RSRC2:TGID_X_EN: 1
; COMPUTE_PGM_RSRC2:TGID_Y_EN: 1
; COMPUTE_PGM_RSRC2:TGID_Z_EN: 1
; COMPUTE_PGM_RSRC2:TIDIG_COMP_CNT: 0
; COMPUTE_PGM_RSRC3_GFX90A:ACCUM_OFFSET: 5
; COMPUTE_PGM_RSRC3_GFX90A:TG_SPLIT: 0
	.section	.text._ZN7rocprim17ROCPRIM_400000_NS6detail17trampoline_kernelINS0_14default_configENS1_38merge_sort_block_merge_config_selectorI14custom_numericNS0_10empty_typeEEEZZNS1_27merge_sort_block_merge_implIS3_N6thrust23THRUST_200600_302600_NS6detail15normal_iteratorINSA_10device_ptrIS5_EEEEPS6_mNSA_7greaterIS5_EEEE10hipError_tT0_T1_T2_jT3_P12ihipStream_tbPNSt15iterator_traitsISK_E10value_typeEPNSQ_ISL_E10value_typeEPSM_NS1_7vsmem_tEENKUlT_SK_SL_SM_E_clIPS5_SF_SG_SG_EESJ_SZ_SK_SL_SM_EUlSZ_E0_NS1_11comp_targetILNS1_3genE3ELNS1_11target_archE908ELNS1_3gpuE7ELNS1_3repE0EEENS1_38merge_mergepath_config_static_selectorELNS0_4arch9wavefront6targetE1EEEvSL_,"axG",@progbits,_ZN7rocprim17ROCPRIM_400000_NS6detail17trampoline_kernelINS0_14default_configENS1_38merge_sort_block_merge_config_selectorI14custom_numericNS0_10empty_typeEEEZZNS1_27merge_sort_block_merge_implIS3_N6thrust23THRUST_200600_302600_NS6detail15normal_iteratorINSA_10device_ptrIS5_EEEEPS6_mNSA_7greaterIS5_EEEE10hipError_tT0_T1_T2_jT3_P12ihipStream_tbPNSt15iterator_traitsISK_E10value_typeEPNSQ_ISL_E10value_typeEPSM_NS1_7vsmem_tEENKUlT_SK_SL_SM_E_clIPS5_SF_SG_SG_EESJ_SZ_SK_SL_SM_EUlSZ_E0_NS1_11comp_targetILNS1_3genE3ELNS1_11target_archE908ELNS1_3gpuE7ELNS1_3repE0EEENS1_38merge_mergepath_config_static_selectorELNS0_4arch9wavefront6targetE1EEEvSL_,comdat
	.protected	_ZN7rocprim17ROCPRIM_400000_NS6detail17trampoline_kernelINS0_14default_configENS1_38merge_sort_block_merge_config_selectorI14custom_numericNS0_10empty_typeEEEZZNS1_27merge_sort_block_merge_implIS3_N6thrust23THRUST_200600_302600_NS6detail15normal_iteratorINSA_10device_ptrIS5_EEEEPS6_mNSA_7greaterIS5_EEEE10hipError_tT0_T1_T2_jT3_P12ihipStream_tbPNSt15iterator_traitsISK_E10value_typeEPNSQ_ISL_E10value_typeEPSM_NS1_7vsmem_tEENKUlT_SK_SL_SM_E_clIPS5_SF_SG_SG_EESJ_SZ_SK_SL_SM_EUlSZ_E0_NS1_11comp_targetILNS1_3genE3ELNS1_11target_archE908ELNS1_3gpuE7ELNS1_3repE0EEENS1_38merge_mergepath_config_static_selectorELNS0_4arch9wavefront6targetE1EEEvSL_ ; -- Begin function _ZN7rocprim17ROCPRIM_400000_NS6detail17trampoline_kernelINS0_14default_configENS1_38merge_sort_block_merge_config_selectorI14custom_numericNS0_10empty_typeEEEZZNS1_27merge_sort_block_merge_implIS3_N6thrust23THRUST_200600_302600_NS6detail15normal_iteratorINSA_10device_ptrIS5_EEEEPS6_mNSA_7greaterIS5_EEEE10hipError_tT0_T1_T2_jT3_P12ihipStream_tbPNSt15iterator_traitsISK_E10value_typeEPNSQ_ISL_E10value_typeEPSM_NS1_7vsmem_tEENKUlT_SK_SL_SM_E_clIPS5_SF_SG_SG_EESJ_SZ_SK_SL_SM_EUlSZ_E0_NS1_11comp_targetILNS1_3genE3ELNS1_11target_archE908ELNS1_3gpuE7ELNS1_3repE0EEENS1_38merge_mergepath_config_static_selectorELNS0_4arch9wavefront6targetE1EEEvSL_
	.globl	_ZN7rocprim17ROCPRIM_400000_NS6detail17trampoline_kernelINS0_14default_configENS1_38merge_sort_block_merge_config_selectorI14custom_numericNS0_10empty_typeEEEZZNS1_27merge_sort_block_merge_implIS3_N6thrust23THRUST_200600_302600_NS6detail15normal_iteratorINSA_10device_ptrIS5_EEEEPS6_mNSA_7greaterIS5_EEEE10hipError_tT0_T1_T2_jT3_P12ihipStream_tbPNSt15iterator_traitsISK_E10value_typeEPNSQ_ISL_E10value_typeEPSM_NS1_7vsmem_tEENKUlT_SK_SL_SM_E_clIPS5_SF_SG_SG_EESJ_SZ_SK_SL_SM_EUlSZ_E0_NS1_11comp_targetILNS1_3genE3ELNS1_11target_archE908ELNS1_3gpuE7ELNS1_3repE0EEENS1_38merge_mergepath_config_static_selectorELNS0_4arch9wavefront6targetE1EEEvSL_
	.p2align	8
	.type	_ZN7rocprim17ROCPRIM_400000_NS6detail17trampoline_kernelINS0_14default_configENS1_38merge_sort_block_merge_config_selectorI14custom_numericNS0_10empty_typeEEEZZNS1_27merge_sort_block_merge_implIS3_N6thrust23THRUST_200600_302600_NS6detail15normal_iteratorINSA_10device_ptrIS5_EEEEPS6_mNSA_7greaterIS5_EEEE10hipError_tT0_T1_T2_jT3_P12ihipStream_tbPNSt15iterator_traitsISK_E10value_typeEPNSQ_ISL_E10value_typeEPSM_NS1_7vsmem_tEENKUlT_SK_SL_SM_E_clIPS5_SF_SG_SG_EESJ_SZ_SK_SL_SM_EUlSZ_E0_NS1_11comp_targetILNS1_3genE3ELNS1_11target_archE908ELNS1_3gpuE7ELNS1_3repE0EEENS1_38merge_mergepath_config_static_selectorELNS0_4arch9wavefront6targetE1EEEvSL_,@function
_ZN7rocprim17ROCPRIM_400000_NS6detail17trampoline_kernelINS0_14default_configENS1_38merge_sort_block_merge_config_selectorI14custom_numericNS0_10empty_typeEEEZZNS1_27merge_sort_block_merge_implIS3_N6thrust23THRUST_200600_302600_NS6detail15normal_iteratorINSA_10device_ptrIS5_EEEEPS6_mNSA_7greaterIS5_EEEE10hipError_tT0_T1_T2_jT3_P12ihipStream_tbPNSt15iterator_traitsISK_E10value_typeEPNSQ_ISL_E10value_typeEPSM_NS1_7vsmem_tEENKUlT_SK_SL_SM_E_clIPS5_SF_SG_SG_EESJ_SZ_SK_SL_SM_EUlSZ_E0_NS1_11comp_targetILNS1_3genE3ELNS1_11target_archE908ELNS1_3gpuE7ELNS1_3repE0EEENS1_38merge_mergepath_config_static_selectorELNS0_4arch9wavefront6targetE1EEEvSL_: ; @_ZN7rocprim17ROCPRIM_400000_NS6detail17trampoline_kernelINS0_14default_configENS1_38merge_sort_block_merge_config_selectorI14custom_numericNS0_10empty_typeEEEZZNS1_27merge_sort_block_merge_implIS3_N6thrust23THRUST_200600_302600_NS6detail15normal_iteratorINSA_10device_ptrIS5_EEEEPS6_mNSA_7greaterIS5_EEEE10hipError_tT0_T1_T2_jT3_P12ihipStream_tbPNSt15iterator_traitsISK_E10value_typeEPNSQ_ISL_E10value_typeEPSM_NS1_7vsmem_tEENKUlT_SK_SL_SM_E_clIPS5_SF_SG_SG_EESJ_SZ_SK_SL_SM_EUlSZ_E0_NS1_11comp_targetILNS1_3genE3ELNS1_11target_archE908ELNS1_3gpuE7ELNS1_3repE0EEENS1_38merge_mergepath_config_static_selectorELNS0_4arch9wavefront6targetE1EEEvSL_
; %bb.0:
	.section	.rodata,"a",@progbits
	.p2align	6, 0x0
	.amdhsa_kernel _ZN7rocprim17ROCPRIM_400000_NS6detail17trampoline_kernelINS0_14default_configENS1_38merge_sort_block_merge_config_selectorI14custom_numericNS0_10empty_typeEEEZZNS1_27merge_sort_block_merge_implIS3_N6thrust23THRUST_200600_302600_NS6detail15normal_iteratorINSA_10device_ptrIS5_EEEEPS6_mNSA_7greaterIS5_EEEE10hipError_tT0_T1_T2_jT3_P12ihipStream_tbPNSt15iterator_traitsISK_E10value_typeEPNSQ_ISL_E10value_typeEPSM_NS1_7vsmem_tEENKUlT_SK_SL_SM_E_clIPS5_SF_SG_SG_EESJ_SZ_SK_SL_SM_EUlSZ_E0_NS1_11comp_targetILNS1_3genE3ELNS1_11target_archE908ELNS1_3gpuE7ELNS1_3repE0EEENS1_38merge_mergepath_config_static_selectorELNS0_4arch9wavefront6targetE1EEEvSL_
		.amdhsa_group_segment_fixed_size 0
		.amdhsa_private_segment_fixed_size 0
		.amdhsa_kernarg_size 72
		.amdhsa_user_sgpr_count 6
		.amdhsa_user_sgpr_private_segment_buffer 1
		.amdhsa_user_sgpr_dispatch_ptr 0
		.amdhsa_user_sgpr_queue_ptr 0
		.amdhsa_user_sgpr_kernarg_segment_ptr 1
		.amdhsa_user_sgpr_dispatch_id 0
		.amdhsa_user_sgpr_flat_scratch_init 0
		.amdhsa_user_sgpr_kernarg_preload_length 0
		.amdhsa_user_sgpr_kernarg_preload_offset 0
		.amdhsa_user_sgpr_private_segment_size 0
		.amdhsa_uses_dynamic_stack 0
		.amdhsa_system_sgpr_private_segment_wavefront_offset 0
		.amdhsa_system_sgpr_workgroup_id_x 1
		.amdhsa_system_sgpr_workgroup_id_y 0
		.amdhsa_system_sgpr_workgroup_id_z 0
		.amdhsa_system_sgpr_workgroup_info 0
		.amdhsa_system_vgpr_workitem_id 0
		.amdhsa_next_free_vgpr 1
		.amdhsa_next_free_sgpr 0
		.amdhsa_accum_offset 4
		.amdhsa_reserve_vcc 0
		.amdhsa_reserve_flat_scratch 0
		.amdhsa_float_round_mode_32 0
		.amdhsa_float_round_mode_16_64 0
		.amdhsa_float_denorm_mode_32 3
		.amdhsa_float_denorm_mode_16_64 3
		.amdhsa_dx10_clamp 1
		.amdhsa_ieee_mode 1
		.amdhsa_fp16_overflow 0
		.amdhsa_tg_split 0
		.amdhsa_exception_fp_ieee_invalid_op 0
		.amdhsa_exception_fp_denorm_src 0
		.amdhsa_exception_fp_ieee_div_zero 0
		.amdhsa_exception_fp_ieee_overflow 0
		.amdhsa_exception_fp_ieee_underflow 0
		.amdhsa_exception_fp_ieee_inexact 0
		.amdhsa_exception_int_div_zero 0
	.end_amdhsa_kernel
	.section	.text._ZN7rocprim17ROCPRIM_400000_NS6detail17trampoline_kernelINS0_14default_configENS1_38merge_sort_block_merge_config_selectorI14custom_numericNS0_10empty_typeEEEZZNS1_27merge_sort_block_merge_implIS3_N6thrust23THRUST_200600_302600_NS6detail15normal_iteratorINSA_10device_ptrIS5_EEEEPS6_mNSA_7greaterIS5_EEEE10hipError_tT0_T1_T2_jT3_P12ihipStream_tbPNSt15iterator_traitsISK_E10value_typeEPNSQ_ISL_E10value_typeEPSM_NS1_7vsmem_tEENKUlT_SK_SL_SM_E_clIPS5_SF_SG_SG_EESJ_SZ_SK_SL_SM_EUlSZ_E0_NS1_11comp_targetILNS1_3genE3ELNS1_11target_archE908ELNS1_3gpuE7ELNS1_3repE0EEENS1_38merge_mergepath_config_static_selectorELNS0_4arch9wavefront6targetE1EEEvSL_,"axG",@progbits,_ZN7rocprim17ROCPRIM_400000_NS6detail17trampoline_kernelINS0_14default_configENS1_38merge_sort_block_merge_config_selectorI14custom_numericNS0_10empty_typeEEEZZNS1_27merge_sort_block_merge_implIS3_N6thrust23THRUST_200600_302600_NS6detail15normal_iteratorINSA_10device_ptrIS5_EEEEPS6_mNSA_7greaterIS5_EEEE10hipError_tT0_T1_T2_jT3_P12ihipStream_tbPNSt15iterator_traitsISK_E10value_typeEPNSQ_ISL_E10value_typeEPSM_NS1_7vsmem_tEENKUlT_SK_SL_SM_E_clIPS5_SF_SG_SG_EESJ_SZ_SK_SL_SM_EUlSZ_E0_NS1_11comp_targetILNS1_3genE3ELNS1_11target_archE908ELNS1_3gpuE7ELNS1_3repE0EEENS1_38merge_mergepath_config_static_selectorELNS0_4arch9wavefront6targetE1EEEvSL_,comdat
.Lfunc_end2654:
	.size	_ZN7rocprim17ROCPRIM_400000_NS6detail17trampoline_kernelINS0_14default_configENS1_38merge_sort_block_merge_config_selectorI14custom_numericNS0_10empty_typeEEEZZNS1_27merge_sort_block_merge_implIS3_N6thrust23THRUST_200600_302600_NS6detail15normal_iteratorINSA_10device_ptrIS5_EEEEPS6_mNSA_7greaterIS5_EEEE10hipError_tT0_T1_T2_jT3_P12ihipStream_tbPNSt15iterator_traitsISK_E10value_typeEPNSQ_ISL_E10value_typeEPSM_NS1_7vsmem_tEENKUlT_SK_SL_SM_E_clIPS5_SF_SG_SG_EESJ_SZ_SK_SL_SM_EUlSZ_E0_NS1_11comp_targetILNS1_3genE3ELNS1_11target_archE908ELNS1_3gpuE7ELNS1_3repE0EEENS1_38merge_mergepath_config_static_selectorELNS0_4arch9wavefront6targetE1EEEvSL_, .Lfunc_end2654-_ZN7rocprim17ROCPRIM_400000_NS6detail17trampoline_kernelINS0_14default_configENS1_38merge_sort_block_merge_config_selectorI14custom_numericNS0_10empty_typeEEEZZNS1_27merge_sort_block_merge_implIS3_N6thrust23THRUST_200600_302600_NS6detail15normal_iteratorINSA_10device_ptrIS5_EEEEPS6_mNSA_7greaterIS5_EEEE10hipError_tT0_T1_T2_jT3_P12ihipStream_tbPNSt15iterator_traitsISK_E10value_typeEPNSQ_ISL_E10value_typeEPSM_NS1_7vsmem_tEENKUlT_SK_SL_SM_E_clIPS5_SF_SG_SG_EESJ_SZ_SK_SL_SM_EUlSZ_E0_NS1_11comp_targetILNS1_3genE3ELNS1_11target_archE908ELNS1_3gpuE7ELNS1_3repE0EEENS1_38merge_mergepath_config_static_selectorELNS0_4arch9wavefront6targetE1EEEvSL_
                                        ; -- End function
	.section	.AMDGPU.csdata,"",@progbits
; Kernel info:
; codeLenInByte = 0
; NumSgprs: 4
; NumVgprs: 0
; NumAgprs: 0
; TotalNumVgprs: 0
; ScratchSize: 0
; MemoryBound: 0
; FloatMode: 240
; IeeeMode: 1
; LDSByteSize: 0 bytes/workgroup (compile time only)
; SGPRBlocks: 0
; VGPRBlocks: 0
; NumSGPRsForWavesPerEU: 4
; NumVGPRsForWavesPerEU: 1
; AccumOffset: 4
; Occupancy: 8
; WaveLimiterHint : 0
; COMPUTE_PGM_RSRC2:SCRATCH_EN: 0
; COMPUTE_PGM_RSRC2:USER_SGPR: 6
; COMPUTE_PGM_RSRC2:TRAP_HANDLER: 0
; COMPUTE_PGM_RSRC2:TGID_X_EN: 1
; COMPUTE_PGM_RSRC2:TGID_Y_EN: 0
; COMPUTE_PGM_RSRC2:TGID_Z_EN: 0
; COMPUTE_PGM_RSRC2:TIDIG_COMP_CNT: 0
; COMPUTE_PGM_RSRC3_GFX90A:ACCUM_OFFSET: 0
; COMPUTE_PGM_RSRC3_GFX90A:TG_SPLIT: 0
	.section	.text._ZN7rocprim17ROCPRIM_400000_NS6detail17trampoline_kernelINS0_14default_configENS1_38merge_sort_block_merge_config_selectorI14custom_numericNS0_10empty_typeEEEZZNS1_27merge_sort_block_merge_implIS3_N6thrust23THRUST_200600_302600_NS6detail15normal_iteratorINSA_10device_ptrIS5_EEEEPS6_mNSA_7greaterIS5_EEEE10hipError_tT0_T1_T2_jT3_P12ihipStream_tbPNSt15iterator_traitsISK_E10value_typeEPNSQ_ISL_E10value_typeEPSM_NS1_7vsmem_tEENKUlT_SK_SL_SM_E_clIPS5_SF_SG_SG_EESJ_SZ_SK_SL_SM_EUlSZ_E0_NS1_11comp_targetILNS1_3genE2ELNS1_11target_archE906ELNS1_3gpuE6ELNS1_3repE0EEENS1_38merge_mergepath_config_static_selectorELNS0_4arch9wavefront6targetE1EEEvSL_,"axG",@progbits,_ZN7rocprim17ROCPRIM_400000_NS6detail17trampoline_kernelINS0_14default_configENS1_38merge_sort_block_merge_config_selectorI14custom_numericNS0_10empty_typeEEEZZNS1_27merge_sort_block_merge_implIS3_N6thrust23THRUST_200600_302600_NS6detail15normal_iteratorINSA_10device_ptrIS5_EEEEPS6_mNSA_7greaterIS5_EEEE10hipError_tT0_T1_T2_jT3_P12ihipStream_tbPNSt15iterator_traitsISK_E10value_typeEPNSQ_ISL_E10value_typeEPSM_NS1_7vsmem_tEENKUlT_SK_SL_SM_E_clIPS5_SF_SG_SG_EESJ_SZ_SK_SL_SM_EUlSZ_E0_NS1_11comp_targetILNS1_3genE2ELNS1_11target_archE906ELNS1_3gpuE6ELNS1_3repE0EEENS1_38merge_mergepath_config_static_selectorELNS0_4arch9wavefront6targetE1EEEvSL_,comdat
	.protected	_ZN7rocprim17ROCPRIM_400000_NS6detail17trampoline_kernelINS0_14default_configENS1_38merge_sort_block_merge_config_selectorI14custom_numericNS0_10empty_typeEEEZZNS1_27merge_sort_block_merge_implIS3_N6thrust23THRUST_200600_302600_NS6detail15normal_iteratorINSA_10device_ptrIS5_EEEEPS6_mNSA_7greaterIS5_EEEE10hipError_tT0_T1_T2_jT3_P12ihipStream_tbPNSt15iterator_traitsISK_E10value_typeEPNSQ_ISL_E10value_typeEPSM_NS1_7vsmem_tEENKUlT_SK_SL_SM_E_clIPS5_SF_SG_SG_EESJ_SZ_SK_SL_SM_EUlSZ_E0_NS1_11comp_targetILNS1_3genE2ELNS1_11target_archE906ELNS1_3gpuE6ELNS1_3repE0EEENS1_38merge_mergepath_config_static_selectorELNS0_4arch9wavefront6targetE1EEEvSL_ ; -- Begin function _ZN7rocprim17ROCPRIM_400000_NS6detail17trampoline_kernelINS0_14default_configENS1_38merge_sort_block_merge_config_selectorI14custom_numericNS0_10empty_typeEEEZZNS1_27merge_sort_block_merge_implIS3_N6thrust23THRUST_200600_302600_NS6detail15normal_iteratorINSA_10device_ptrIS5_EEEEPS6_mNSA_7greaterIS5_EEEE10hipError_tT0_T1_T2_jT3_P12ihipStream_tbPNSt15iterator_traitsISK_E10value_typeEPNSQ_ISL_E10value_typeEPSM_NS1_7vsmem_tEENKUlT_SK_SL_SM_E_clIPS5_SF_SG_SG_EESJ_SZ_SK_SL_SM_EUlSZ_E0_NS1_11comp_targetILNS1_3genE2ELNS1_11target_archE906ELNS1_3gpuE6ELNS1_3repE0EEENS1_38merge_mergepath_config_static_selectorELNS0_4arch9wavefront6targetE1EEEvSL_
	.globl	_ZN7rocprim17ROCPRIM_400000_NS6detail17trampoline_kernelINS0_14default_configENS1_38merge_sort_block_merge_config_selectorI14custom_numericNS0_10empty_typeEEEZZNS1_27merge_sort_block_merge_implIS3_N6thrust23THRUST_200600_302600_NS6detail15normal_iteratorINSA_10device_ptrIS5_EEEEPS6_mNSA_7greaterIS5_EEEE10hipError_tT0_T1_T2_jT3_P12ihipStream_tbPNSt15iterator_traitsISK_E10value_typeEPNSQ_ISL_E10value_typeEPSM_NS1_7vsmem_tEENKUlT_SK_SL_SM_E_clIPS5_SF_SG_SG_EESJ_SZ_SK_SL_SM_EUlSZ_E0_NS1_11comp_targetILNS1_3genE2ELNS1_11target_archE906ELNS1_3gpuE6ELNS1_3repE0EEENS1_38merge_mergepath_config_static_selectorELNS0_4arch9wavefront6targetE1EEEvSL_
	.p2align	8
	.type	_ZN7rocprim17ROCPRIM_400000_NS6detail17trampoline_kernelINS0_14default_configENS1_38merge_sort_block_merge_config_selectorI14custom_numericNS0_10empty_typeEEEZZNS1_27merge_sort_block_merge_implIS3_N6thrust23THRUST_200600_302600_NS6detail15normal_iteratorINSA_10device_ptrIS5_EEEEPS6_mNSA_7greaterIS5_EEEE10hipError_tT0_T1_T2_jT3_P12ihipStream_tbPNSt15iterator_traitsISK_E10value_typeEPNSQ_ISL_E10value_typeEPSM_NS1_7vsmem_tEENKUlT_SK_SL_SM_E_clIPS5_SF_SG_SG_EESJ_SZ_SK_SL_SM_EUlSZ_E0_NS1_11comp_targetILNS1_3genE2ELNS1_11target_archE906ELNS1_3gpuE6ELNS1_3repE0EEENS1_38merge_mergepath_config_static_selectorELNS0_4arch9wavefront6targetE1EEEvSL_,@function
_ZN7rocprim17ROCPRIM_400000_NS6detail17trampoline_kernelINS0_14default_configENS1_38merge_sort_block_merge_config_selectorI14custom_numericNS0_10empty_typeEEEZZNS1_27merge_sort_block_merge_implIS3_N6thrust23THRUST_200600_302600_NS6detail15normal_iteratorINSA_10device_ptrIS5_EEEEPS6_mNSA_7greaterIS5_EEEE10hipError_tT0_T1_T2_jT3_P12ihipStream_tbPNSt15iterator_traitsISK_E10value_typeEPNSQ_ISL_E10value_typeEPSM_NS1_7vsmem_tEENKUlT_SK_SL_SM_E_clIPS5_SF_SG_SG_EESJ_SZ_SK_SL_SM_EUlSZ_E0_NS1_11comp_targetILNS1_3genE2ELNS1_11target_archE906ELNS1_3gpuE6ELNS1_3repE0EEENS1_38merge_mergepath_config_static_selectorELNS0_4arch9wavefront6targetE1EEEvSL_: ; @_ZN7rocprim17ROCPRIM_400000_NS6detail17trampoline_kernelINS0_14default_configENS1_38merge_sort_block_merge_config_selectorI14custom_numericNS0_10empty_typeEEEZZNS1_27merge_sort_block_merge_implIS3_N6thrust23THRUST_200600_302600_NS6detail15normal_iteratorINSA_10device_ptrIS5_EEEEPS6_mNSA_7greaterIS5_EEEE10hipError_tT0_T1_T2_jT3_P12ihipStream_tbPNSt15iterator_traitsISK_E10value_typeEPNSQ_ISL_E10value_typeEPSM_NS1_7vsmem_tEENKUlT_SK_SL_SM_E_clIPS5_SF_SG_SG_EESJ_SZ_SK_SL_SM_EUlSZ_E0_NS1_11comp_targetILNS1_3genE2ELNS1_11target_archE906ELNS1_3gpuE6ELNS1_3repE0EEENS1_38merge_mergepath_config_static_selectorELNS0_4arch9wavefront6targetE1EEEvSL_
; %bb.0:
	.section	.rodata,"a",@progbits
	.p2align	6, 0x0
	.amdhsa_kernel _ZN7rocprim17ROCPRIM_400000_NS6detail17trampoline_kernelINS0_14default_configENS1_38merge_sort_block_merge_config_selectorI14custom_numericNS0_10empty_typeEEEZZNS1_27merge_sort_block_merge_implIS3_N6thrust23THRUST_200600_302600_NS6detail15normal_iteratorINSA_10device_ptrIS5_EEEEPS6_mNSA_7greaterIS5_EEEE10hipError_tT0_T1_T2_jT3_P12ihipStream_tbPNSt15iterator_traitsISK_E10value_typeEPNSQ_ISL_E10value_typeEPSM_NS1_7vsmem_tEENKUlT_SK_SL_SM_E_clIPS5_SF_SG_SG_EESJ_SZ_SK_SL_SM_EUlSZ_E0_NS1_11comp_targetILNS1_3genE2ELNS1_11target_archE906ELNS1_3gpuE6ELNS1_3repE0EEENS1_38merge_mergepath_config_static_selectorELNS0_4arch9wavefront6targetE1EEEvSL_
		.amdhsa_group_segment_fixed_size 0
		.amdhsa_private_segment_fixed_size 0
		.amdhsa_kernarg_size 72
		.amdhsa_user_sgpr_count 6
		.amdhsa_user_sgpr_private_segment_buffer 1
		.amdhsa_user_sgpr_dispatch_ptr 0
		.amdhsa_user_sgpr_queue_ptr 0
		.amdhsa_user_sgpr_kernarg_segment_ptr 1
		.amdhsa_user_sgpr_dispatch_id 0
		.amdhsa_user_sgpr_flat_scratch_init 0
		.amdhsa_user_sgpr_kernarg_preload_length 0
		.amdhsa_user_sgpr_kernarg_preload_offset 0
		.amdhsa_user_sgpr_private_segment_size 0
		.amdhsa_uses_dynamic_stack 0
		.amdhsa_system_sgpr_private_segment_wavefront_offset 0
		.amdhsa_system_sgpr_workgroup_id_x 1
		.amdhsa_system_sgpr_workgroup_id_y 0
		.amdhsa_system_sgpr_workgroup_id_z 0
		.amdhsa_system_sgpr_workgroup_info 0
		.amdhsa_system_vgpr_workitem_id 0
		.amdhsa_next_free_vgpr 1
		.amdhsa_next_free_sgpr 0
		.amdhsa_accum_offset 4
		.amdhsa_reserve_vcc 0
		.amdhsa_reserve_flat_scratch 0
		.amdhsa_float_round_mode_32 0
		.amdhsa_float_round_mode_16_64 0
		.amdhsa_float_denorm_mode_32 3
		.amdhsa_float_denorm_mode_16_64 3
		.amdhsa_dx10_clamp 1
		.amdhsa_ieee_mode 1
		.amdhsa_fp16_overflow 0
		.amdhsa_tg_split 0
		.amdhsa_exception_fp_ieee_invalid_op 0
		.amdhsa_exception_fp_denorm_src 0
		.amdhsa_exception_fp_ieee_div_zero 0
		.amdhsa_exception_fp_ieee_overflow 0
		.amdhsa_exception_fp_ieee_underflow 0
		.amdhsa_exception_fp_ieee_inexact 0
		.amdhsa_exception_int_div_zero 0
	.end_amdhsa_kernel
	.section	.text._ZN7rocprim17ROCPRIM_400000_NS6detail17trampoline_kernelINS0_14default_configENS1_38merge_sort_block_merge_config_selectorI14custom_numericNS0_10empty_typeEEEZZNS1_27merge_sort_block_merge_implIS3_N6thrust23THRUST_200600_302600_NS6detail15normal_iteratorINSA_10device_ptrIS5_EEEEPS6_mNSA_7greaterIS5_EEEE10hipError_tT0_T1_T2_jT3_P12ihipStream_tbPNSt15iterator_traitsISK_E10value_typeEPNSQ_ISL_E10value_typeEPSM_NS1_7vsmem_tEENKUlT_SK_SL_SM_E_clIPS5_SF_SG_SG_EESJ_SZ_SK_SL_SM_EUlSZ_E0_NS1_11comp_targetILNS1_3genE2ELNS1_11target_archE906ELNS1_3gpuE6ELNS1_3repE0EEENS1_38merge_mergepath_config_static_selectorELNS0_4arch9wavefront6targetE1EEEvSL_,"axG",@progbits,_ZN7rocprim17ROCPRIM_400000_NS6detail17trampoline_kernelINS0_14default_configENS1_38merge_sort_block_merge_config_selectorI14custom_numericNS0_10empty_typeEEEZZNS1_27merge_sort_block_merge_implIS3_N6thrust23THRUST_200600_302600_NS6detail15normal_iteratorINSA_10device_ptrIS5_EEEEPS6_mNSA_7greaterIS5_EEEE10hipError_tT0_T1_T2_jT3_P12ihipStream_tbPNSt15iterator_traitsISK_E10value_typeEPNSQ_ISL_E10value_typeEPSM_NS1_7vsmem_tEENKUlT_SK_SL_SM_E_clIPS5_SF_SG_SG_EESJ_SZ_SK_SL_SM_EUlSZ_E0_NS1_11comp_targetILNS1_3genE2ELNS1_11target_archE906ELNS1_3gpuE6ELNS1_3repE0EEENS1_38merge_mergepath_config_static_selectorELNS0_4arch9wavefront6targetE1EEEvSL_,comdat
.Lfunc_end2655:
	.size	_ZN7rocprim17ROCPRIM_400000_NS6detail17trampoline_kernelINS0_14default_configENS1_38merge_sort_block_merge_config_selectorI14custom_numericNS0_10empty_typeEEEZZNS1_27merge_sort_block_merge_implIS3_N6thrust23THRUST_200600_302600_NS6detail15normal_iteratorINSA_10device_ptrIS5_EEEEPS6_mNSA_7greaterIS5_EEEE10hipError_tT0_T1_T2_jT3_P12ihipStream_tbPNSt15iterator_traitsISK_E10value_typeEPNSQ_ISL_E10value_typeEPSM_NS1_7vsmem_tEENKUlT_SK_SL_SM_E_clIPS5_SF_SG_SG_EESJ_SZ_SK_SL_SM_EUlSZ_E0_NS1_11comp_targetILNS1_3genE2ELNS1_11target_archE906ELNS1_3gpuE6ELNS1_3repE0EEENS1_38merge_mergepath_config_static_selectorELNS0_4arch9wavefront6targetE1EEEvSL_, .Lfunc_end2655-_ZN7rocprim17ROCPRIM_400000_NS6detail17trampoline_kernelINS0_14default_configENS1_38merge_sort_block_merge_config_selectorI14custom_numericNS0_10empty_typeEEEZZNS1_27merge_sort_block_merge_implIS3_N6thrust23THRUST_200600_302600_NS6detail15normal_iteratorINSA_10device_ptrIS5_EEEEPS6_mNSA_7greaterIS5_EEEE10hipError_tT0_T1_T2_jT3_P12ihipStream_tbPNSt15iterator_traitsISK_E10value_typeEPNSQ_ISL_E10value_typeEPSM_NS1_7vsmem_tEENKUlT_SK_SL_SM_E_clIPS5_SF_SG_SG_EESJ_SZ_SK_SL_SM_EUlSZ_E0_NS1_11comp_targetILNS1_3genE2ELNS1_11target_archE906ELNS1_3gpuE6ELNS1_3repE0EEENS1_38merge_mergepath_config_static_selectorELNS0_4arch9wavefront6targetE1EEEvSL_
                                        ; -- End function
	.section	.AMDGPU.csdata,"",@progbits
; Kernel info:
; codeLenInByte = 0
; NumSgprs: 4
; NumVgprs: 0
; NumAgprs: 0
; TotalNumVgprs: 0
; ScratchSize: 0
; MemoryBound: 0
; FloatMode: 240
; IeeeMode: 1
; LDSByteSize: 0 bytes/workgroup (compile time only)
; SGPRBlocks: 0
; VGPRBlocks: 0
; NumSGPRsForWavesPerEU: 4
; NumVGPRsForWavesPerEU: 1
; AccumOffset: 4
; Occupancy: 8
; WaveLimiterHint : 0
; COMPUTE_PGM_RSRC2:SCRATCH_EN: 0
; COMPUTE_PGM_RSRC2:USER_SGPR: 6
; COMPUTE_PGM_RSRC2:TRAP_HANDLER: 0
; COMPUTE_PGM_RSRC2:TGID_X_EN: 1
; COMPUTE_PGM_RSRC2:TGID_Y_EN: 0
; COMPUTE_PGM_RSRC2:TGID_Z_EN: 0
; COMPUTE_PGM_RSRC2:TIDIG_COMP_CNT: 0
; COMPUTE_PGM_RSRC3_GFX90A:ACCUM_OFFSET: 0
; COMPUTE_PGM_RSRC3_GFX90A:TG_SPLIT: 0
	.section	.text._ZN7rocprim17ROCPRIM_400000_NS6detail17trampoline_kernelINS0_14default_configENS1_38merge_sort_block_merge_config_selectorI14custom_numericNS0_10empty_typeEEEZZNS1_27merge_sort_block_merge_implIS3_N6thrust23THRUST_200600_302600_NS6detail15normal_iteratorINSA_10device_ptrIS5_EEEEPS6_mNSA_7greaterIS5_EEEE10hipError_tT0_T1_T2_jT3_P12ihipStream_tbPNSt15iterator_traitsISK_E10value_typeEPNSQ_ISL_E10value_typeEPSM_NS1_7vsmem_tEENKUlT_SK_SL_SM_E_clIPS5_SF_SG_SG_EESJ_SZ_SK_SL_SM_EUlSZ_E0_NS1_11comp_targetILNS1_3genE9ELNS1_11target_archE1100ELNS1_3gpuE3ELNS1_3repE0EEENS1_38merge_mergepath_config_static_selectorELNS0_4arch9wavefront6targetE1EEEvSL_,"axG",@progbits,_ZN7rocprim17ROCPRIM_400000_NS6detail17trampoline_kernelINS0_14default_configENS1_38merge_sort_block_merge_config_selectorI14custom_numericNS0_10empty_typeEEEZZNS1_27merge_sort_block_merge_implIS3_N6thrust23THRUST_200600_302600_NS6detail15normal_iteratorINSA_10device_ptrIS5_EEEEPS6_mNSA_7greaterIS5_EEEE10hipError_tT0_T1_T2_jT3_P12ihipStream_tbPNSt15iterator_traitsISK_E10value_typeEPNSQ_ISL_E10value_typeEPSM_NS1_7vsmem_tEENKUlT_SK_SL_SM_E_clIPS5_SF_SG_SG_EESJ_SZ_SK_SL_SM_EUlSZ_E0_NS1_11comp_targetILNS1_3genE9ELNS1_11target_archE1100ELNS1_3gpuE3ELNS1_3repE0EEENS1_38merge_mergepath_config_static_selectorELNS0_4arch9wavefront6targetE1EEEvSL_,comdat
	.protected	_ZN7rocprim17ROCPRIM_400000_NS6detail17trampoline_kernelINS0_14default_configENS1_38merge_sort_block_merge_config_selectorI14custom_numericNS0_10empty_typeEEEZZNS1_27merge_sort_block_merge_implIS3_N6thrust23THRUST_200600_302600_NS6detail15normal_iteratorINSA_10device_ptrIS5_EEEEPS6_mNSA_7greaterIS5_EEEE10hipError_tT0_T1_T2_jT3_P12ihipStream_tbPNSt15iterator_traitsISK_E10value_typeEPNSQ_ISL_E10value_typeEPSM_NS1_7vsmem_tEENKUlT_SK_SL_SM_E_clIPS5_SF_SG_SG_EESJ_SZ_SK_SL_SM_EUlSZ_E0_NS1_11comp_targetILNS1_3genE9ELNS1_11target_archE1100ELNS1_3gpuE3ELNS1_3repE0EEENS1_38merge_mergepath_config_static_selectorELNS0_4arch9wavefront6targetE1EEEvSL_ ; -- Begin function _ZN7rocprim17ROCPRIM_400000_NS6detail17trampoline_kernelINS0_14default_configENS1_38merge_sort_block_merge_config_selectorI14custom_numericNS0_10empty_typeEEEZZNS1_27merge_sort_block_merge_implIS3_N6thrust23THRUST_200600_302600_NS6detail15normal_iteratorINSA_10device_ptrIS5_EEEEPS6_mNSA_7greaterIS5_EEEE10hipError_tT0_T1_T2_jT3_P12ihipStream_tbPNSt15iterator_traitsISK_E10value_typeEPNSQ_ISL_E10value_typeEPSM_NS1_7vsmem_tEENKUlT_SK_SL_SM_E_clIPS5_SF_SG_SG_EESJ_SZ_SK_SL_SM_EUlSZ_E0_NS1_11comp_targetILNS1_3genE9ELNS1_11target_archE1100ELNS1_3gpuE3ELNS1_3repE0EEENS1_38merge_mergepath_config_static_selectorELNS0_4arch9wavefront6targetE1EEEvSL_
	.globl	_ZN7rocprim17ROCPRIM_400000_NS6detail17trampoline_kernelINS0_14default_configENS1_38merge_sort_block_merge_config_selectorI14custom_numericNS0_10empty_typeEEEZZNS1_27merge_sort_block_merge_implIS3_N6thrust23THRUST_200600_302600_NS6detail15normal_iteratorINSA_10device_ptrIS5_EEEEPS6_mNSA_7greaterIS5_EEEE10hipError_tT0_T1_T2_jT3_P12ihipStream_tbPNSt15iterator_traitsISK_E10value_typeEPNSQ_ISL_E10value_typeEPSM_NS1_7vsmem_tEENKUlT_SK_SL_SM_E_clIPS5_SF_SG_SG_EESJ_SZ_SK_SL_SM_EUlSZ_E0_NS1_11comp_targetILNS1_3genE9ELNS1_11target_archE1100ELNS1_3gpuE3ELNS1_3repE0EEENS1_38merge_mergepath_config_static_selectorELNS0_4arch9wavefront6targetE1EEEvSL_
	.p2align	8
	.type	_ZN7rocprim17ROCPRIM_400000_NS6detail17trampoline_kernelINS0_14default_configENS1_38merge_sort_block_merge_config_selectorI14custom_numericNS0_10empty_typeEEEZZNS1_27merge_sort_block_merge_implIS3_N6thrust23THRUST_200600_302600_NS6detail15normal_iteratorINSA_10device_ptrIS5_EEEEPS6_mNSA_7greaterIS5_EEEE10hipError_tT0_T1_T2_jT3_P12ihipStream_tbPNSt15iterator_traitsISK_E10value_typeEPNSQ_ISL_E10value_typeEPSM_NS1_7vsmem_tEENKUlT_SK_SL_SM_E_clIPS5_SF_SG_SG_EESJ_SZ_SK_SL_SM_EUlSZ_E0_NS1_11comp_targetILNS1_3genE9ELNS1_11target_archE1100ELNS1_3gpuE3ELNS1_3repE0EEENS1_38merge_mergepath_config_static_selectorELNS0_4arch9wavefront6targetE1EEEvSL_,@function
_ZN7rocprim17ROCPRIM_400000_NS6detail17trampoline_kernelINS0_14default_configENS1_38merge_sort_block_merge_config_selectorI14custom_numericNS0_10empty_typeEEEZZNS1_27merge_sort_block_merge_implIS3_N6thrust23THRUST_200600_302600_NS6detail15normal_iteratorINSA_10device_ptrIS5_EEEEPS6_mNSA_7greaterIS5_EEEE10hipError_tT0_T1_T2_jT3_P12ihipStream_tbPNSt15iterator_traitsISK_E10value_typeEPNSQ_ISL_E10value_typeEPSM_NS1_7vsmem_tEENKUlT_SK_SL_SM_E_clIPS5_SF_SG_SG_EESJ_SZ_SK_SL_SM_EUlSZ_E0_NS1_11comp_targetILNS1_3genE9ELNS1_11target_archE1100ELNS1_3gpuE3ELNS1_3repE0EEENS1_38merge_mergepath_config_static_selectorELNS0_4arch9wavefront6targetE1EEEvSL_: ; @_ZN7rocprim17ROCPRIM_400000_NS6detail17trampoline_kernelINS0_14default_configENS1_38merge_sort_block_merge_config_selectorI14custom_numericNS0_10empty_typeEEEZZNS1_27merge_sort_block_merge_implIS3_N6thrust23THRUST_200600_302600_NS6detail15normal_iteratorINSA_10device_ptrIS5_EEEEPS6_mNSA_7greaterIS5_EEEE10hipError_tT0_T1_T2_jT3_P12ihipStream_tbPNSt15iterator_traitsISK_E10value_typeEPNSQ_ISL_E10value_typeEPSM_NS1_7vsmem_tEENKUlT_SK_SL_SM_E_clIPS5_SF_SG_SG_EESJ_SZ_SK_SL_SM_EUlSZ_E0_NS1_11comp_targetILNS1_3genE9ELNS1_11target_archE1100ELNS1_3gpuE3ELNS1_3repE0EEENS1_38merge_mergepath_config_static_selectorELNS0_4arch9wavefront6targetE1EEEvSL_
; %bb.0:
	.section	.rodata,"a",@progbits
	.p2align	6, 0x0
	.amdhsa_kernel _ZN7rocprim17ROCPRIM_400000_NS6detail17trampoline_kernelINS0_14default_configENS1_38merge_sort_block_merge_config_selectorI14custom_numericNS0_10empty_typeEEEZZNS1_27merge_sort_block_merge_implIS3_N6thrust23THRUST_200600_302600_NS6detail15normal_iteratorINSA_10device_ptrIS5_EEEEPS6_mNSA_7greaterIS5_EEEE10hipError_tT0_T1_T2_jT3_P12ihipStream_tbPNSt15iterator_traitsISK_E10value_typeEPNSQ_ISL_E10value_typeEPSM_NS1_7vsmem_tEENKUlT_SK_SL_SM_E_clIPS5_SF_SG_SG_EESJ_SZ_SK_SL_SM_EUlSZ_E0_NS1_11comp_targetILNS1_3genE9ELNS1_11target_archE1100ELNS1_3gpuE3ELNS1_3repE0EEENS1_38merge_mergepath_config_static_selectorELNS0_4arch9wavefront6targetE1EEEvSL_
		.amdhsa_group_segment_fixed_size 0
		.amdhsa_private_segment_fixed_size 0
		.amdhsa_kernarg_size 72
		.amdhsa_user_sgpr_count 6
		.amdhsa_user_sgpr_private_segment_buffer 1
		.amdhsa_user_sgpr_dispatch_ptr 0
		.amdhsa_user_sgpr_queue_ptr 0
		.amdhsa_user_sgpr_kernarg_segment_ptr 1
		.amdhsa_user_sgpr_dispatch_id 0
		.amdhsa_user_sgpr_flat_scratch_init 0
		.amdhsa_user_sgpr_kernarg_preload_length 0
		.amdhsa_user_sgpr_kernarg_preload_offset 0
		.amdhsa_user_sgpr_private_segment_size 0
		.amdhsa_uses_dynamic_stack 0
		.amdhsa_system_sgpr_private_segment_wavefront_offset 0
		.amdhsa_system_sgpr_workgroup_id_x 1
		.amdhsa_system_sgpr_workgroup_id_y 0
		.amdhsa_system_sgpr_workgroup_id_z 0
		.amdhsa_system_sgpr_workgroup_info 0
		.amdhsa_system_vgpr_workitem_id 0
		.amdhsa_next_free_vgpr 1
		.amdhsa_next_free_sgpr 0
		.amdhsa_accum_offset 4
		.amdhsa_reserve_vcc 0
		.amdhsa_reserve_flat_scratch 0
		.amdhsa_float_round_mode_32 0
		.amdhsa_float_round_mode_16_64 0
		.amdhsa_float_denorm_mode_32 3
		.amdhsa_float_denorm_mode_16_64 3
		.amdhsa_dx10_clamp 1
		.amdhsa_ieee_mode 1
		.amdhsa_fp16_overflow 0
		.amdhsa_tg_split 0
		.amdhsa_exception_fp_ieee_invalid_op 0
		.amdhsa_exception_fp_denorm_src 0
		.amdhsa_exception_fp_ieee_div_zero 0
		.amdhsa_exception_fp_ieee_overflow 0
		.amdhsa_exception_fp_ieee_underflow 0
		.amdhsa_exception_fp_ieee_inexact 0
		.amdhsa_exception_int_div_zero 0
	.end_amdhsa_kernel
	.section	.text._ZN7rocprim17ROCPRIM_400000_NS6detail17trampoline_kernelINS0_14default_configENS1_38merge_sort_block_merge_config_selectorI14custom_numericNS0_10empty_typeEEEZZNS1_27merge_sort_block_merge_implIS3_N6thrust23THRUST_200600_302600_NS6detail15normal_iteratorINSA_10device_ptrIS5_EEEEPS6_mNSA_7greaterIS5_EEEE10hipError_tT0_T1_T2_jT3_P12ihipStream_tbPNSt15iterator_traitsISK_E10value_typeEPNSQ_ISL_E10value_typeEPSM_NS1_7vsmem_tEENKUlT_SK_SL_SM_E_clIPS5_SF_SG_SG_EESJ_SZ_SK_SL_SM_EUlSZ_E0_NS1_11comp_targetILNS1_3genE9ELNS1_11target_archE1100ELNS1_3gpuE3ELNS1_3repE0EEENS1_38merge_mergepath_config_static_selectorELNS0_4arch9wavefront6targetE1EEEvSL_,"axG",@progbits,_ZN7rocprim17ROCPRIM_400000_NS6detail17trampoline_kernelINS0_14default_configENS1_38merge_sort_block_merge_config_selectorI14custom_numericNS0_10empty_typeEEEZZNS1_27merge_sort_block_merge_implIS3_N6thrust23THRUST_200600_302600_NS6detail15normal_iteratorINSA_10device_ptrIS5_EEEEPS6_mNSA_7greaterIS5_EEEE10hipError_tT0_T1_T2_jT3_P12ihipStream_tbPNSt15iterator_traitsISK_E10value_typeEPNSQ_ISL_E10value_typeEPSM_NS1_7vsmem_tEENKUlT_SK_SL_SM_E_clIPS5_SF_SG_SG_EESJ_SZ_SK_SL_SM_EUlSZ_E0_NS1_11comp_targetILNS1_3genE9ELNS1_11target_archE1100ELNS1_3gpuE3ELNS1_3repE0EEENS1_38merge_mergepath_config_static_selectorELNS0_4arch9wavefront6targetE1EEEvSL_,comdat
.Lfunc_end2656:
	.size	_ZN7rocprim17ROCPRIM_400000_NS6detail17trampoline_kernelINS0_14default_configENS1_38merge_sort_block_merge_config_selectorI14custom_numericNS0_10empty_typeEEEZZNS1_27merge_sort_block_merge_implIS3_N6thrust23THRUST_200600_302600_NS6detail15normal_iteratorINSA_10device_ptrIS5_EEEEPS6_mNSA_7greaterIS5_EEEE10hipError_tT0_T1_T2_jT3_P12ihipStream_tbPNSt15iterator_traitsISK_E10value_typeEPNSQ_ISL_E10value_typeEPSM_NS1_7vsmem_tEENKUlT_SK_SL_SM_E_clIPS5_SF_SG_SG_EESJ_SZ_SK_SL_SM_EUlSZ_E0_NS1_11comp_targetILNS1_3genE9ELNS1_11target_archE1100ELNS1_3gpuE3ELNS1_3repE0EEENS1_38merge_mergepath_config_static_selectorELNS0_4arch9wavefront6targetE1EEEvSL_, .Lfunc_end2656-_ZN7rocprim17ROCPRIM_400000_NS6detail17trampoline_kernelINS0_14default_configENS1_38merge_sort_block_merge_config_selectorI14custom_numericNS0_10empty_typeEEEZZNS1_27merge_sort_block_merge_implIS3_N6thrust23THRUST_200600_302600_NS6detail15normal_iteratorINSA_10device_ptrIS5_EEEEPS6_mNSA_7greaterIS5_EEEE10hipError_tT0_T1_T2_jT3_P12ihipStream_tbPNSt15iterator_traitsISK_E10value_typeEPNSQ_ISL_E10value_typeEPSM_NS1_7vsmem_tEENKUlT_SK_SL_SM_E_clIPS5_SF_SG_SG_EESJ_SZ_SK_SL_SM_EUlSZ_E0_NS1_11comp_targetILNS1_3genE9ELNS1_11target_archE1100ELNS1_3gpuE3ELNS1_3repE0EEENS1_38merge_mergepath_config_static_selectorELNS0_4arch9wavefront6targetE1EEEvSL_
                                        ; -- End function
	.section	.AMDGPU.csdata,"",@progbits
; Kernel info:
; codeLenInByte = 0
; NumSgprs: 4
; NumVgprs: 0
; NumAgprs: 0
; TotalNumVgprs: 0
; ScratchSize: 0
; MemoryBound: 0
; FloatMode: 240
; IeeeMode: 1
; LDSByteSize: 0 bytes/workgroup (compile time only)
; SGPRBlocks: 0
; VGPRBlocks: 0
; NumSGPRsForWavesPerEU: 4
; NumVGPRsForWavesPerEU: 1
; AccumOffset: 4
; Occupancy: 8
; WaveLimiterHint : 0
; COMPUTE_PGM_RSRC2:SCRATCH_EN: 0
; COMPUTE_PGM_RSRC2:USER_SGPR: 6
; COMPUTE_PGM_RSRC2:TRAP_HANDLER: 0
; COMPUTE_PGM_RSRC2:TGID_X_EN: 1
; COMPUTE_PGM_RSRC2:TGID_Y_EN: 0
; COMPUTE_PGM_RSRC2:TGID_Z_EN: 0
; COMPUTE_PGM_RSRC2:TIDIG_COMP_CNT: 0
; COMPUTE_PGM_RSRC3_GFX90A:ACCUM_OFFSET: 0
; COMPUTE_PGM_RSRC3_GFX90A:TG_SPLIT: 0
	.section	.text._ZN7rocprim17ROCPRIM_400000_NS6detail17trampoline_kernelINS0_14default_configENS1_38merge_sort_block_merge_config_selectorI14custom_numericNS0_10empty_typeEEEZZNS1_27merge_sort_block_merge_implIS3_N6thrust23THRUST_200600_302600_NS6detail15normal_iteratorINSA_10device_ptrIS5_EEEEPS6_mNSA_7greaterIS5_EEEE10hipError_tT0_T1_T2_jT3_P12ihipStream_tbPNSt15iterator_traitsISK_E10value_typeEPNSQ_ISL_E10value_typeEPSM_NS1_7vsmem_tEENKUlT_SK_SL_SM_E_clIPS5_SF_SG_SG_EESJ_SZ_SK_SL_SM_EUlSZ_E0_NS1_11comp_targetILNS1_3genE8ELNS1_11target_archE1030ELNS1_3gpuE2ELNS1_3repE0EEENS1_38merge_mergepath_config_static_selectorELNS0_4arch9wavefront6targetE1EEEvSL_,"axG",@progbits,_ZN7rocprim17ROCPRIM_400000_NS6detail17trampoline_kernelINS0_14default_configENS1_38merge_sort_block_merge_config_selectorI14custom_numericNS0_10empty_typeEEEZZNS1_27merge_sort_block_merge_implIS3_N6thrust23THRUST_200600_302600_NS6detail15normal_iteratorINSA_10device_ptrIS5_EEEEPS6_mNSA_7greaterIS5_EEEE10hipError_tT0_T1_T2_jT3_P12ihipStream_tbPNSt15iterator_traitsISK_E10value_typeEPNSQ_ISL_E10value_typeEPSM_NS1_7vsmem_tEENKUlT_SK_SL_SM_E_clIPS5_SF_SG_SG_EESJ_SZ_SK_SL_SM_EUlSZ_E0_NS1_11comp_targetILNS1_3genE8ELNS1_11target_archE1030ELNS1_3gpuE2ELNS1_3repE0EEENS1_38merge_mergepath_config_static_selectorELNS0_4arch9wavefront6targetE1EEEvSL_,comdat
	.protected	_ZN7rocprim17ROCPRIM_400000_NS6detail17trampoline_kernelINS0_14default_configENS1_38merge_sort_block_merge_config_selectorI14custom_numericNS0_10empty_typeEEEZZNS1_27merge_sort_block_merge_implIS3_N6thrust23THRUST_200600_302600_NS6detail15normal_iteratorINSA_10device_ptrIS5_EEEEPS6_mNSA_7greaterIS5_EEEE10hipError_tT0_T1_T2_jT3_P12ihipStream_tbPNSt15iterator_traitsISK_E10value_typeEPNSQ_ISL_E10value_typeEPSM_NS1_7vsmem_tEENKUlT_SK_SL_SM_E_clIPS5_SF_SG_SG_EESJ_SZ_SK_SL_SM_EUlSZ_E0_NS1_11comp_targetILNS1_3genE8ELNS1_11target_archE1030ELNS1_3gpuE2ELNS1_3repE0EEENS1_38merge_mergepath_config_static_selectorELNS0_4arch9wavefront6targetE1EEEvSL_ ; -- Begin function _ZN7rocprim17ROCPRIM_400000_NS6detail17trampoline_kernelINS0_14default_configENS1_38merge_sort_block_merge_config_selectorI14custom_numericNS0_10empty_typeEEEZZNS1_27merge_sort_block_merge_implIS3_N6thrust23THRUST_200600_302600_NS6detail15normal_iteratorINSA_10device_ptrIS5_EEEEPS6_mNSA_7greaterIS5_EEEE10hipError_tT0_T1_T2_jT3_P12ihipStream_tbPNSt15iterator_traitsISK_E10value_typeEPNSQ_ISL_E10value_typeEPSM_NS1_7vsmem_tEENKUlT_SK_SL_SM_E_clIPS5_SF_SG_SG_EESJ_SZ_SK_SL_SM_EUlSZ_E0_NS1_11comp_targetILNS1_3genE8ELNS1_11target_archE1030ELNS1_3gpuE2ELNS1_3repE0EEENS1_38merge_mergepath_config_static_selectorELNS0_4arch9wavefront6targetE1EEEvSL_
	.globl	_ZN7rocprim17ROCPRIM_400000_NS6detail17trampoline_kernelINS0_14default_configENS1_38merge_sort_block_merge_config_selectorI14custom_numericNS0_10empty_typeEEEZZNS1_27merge_sort_block_merge_implIS3_N6thrust23THRUST_200600_302600_NS6detail15normal_iteratorINSA_10device_ptrIS5_EEEEPS6_mNSA_7greaterIS5_EEEE10hipError_tT0_T1_T2_jT3_P12ihipStream_tbPNSt15iterator_traitsISK_E10value_typeEPNSQ_ISL_E10value_typeEPSM_NS1_7vsmem_tEENKUlT_SK_SL_SM_E_clIPS5_SF_SG_SG_EESJ_SZ_SK_SL_SM_EUlSZ_E0_NS1_11comp_targetILNS1_3genE8ELNS1_11target_archE1030ELNS1_3gpuE2ELNS1_3repE0EEENS1_38merge_mergepath_config_static_selectorELNS0_4arch9wavefront6targetE1EEEvSL_
	.p2align	8
	.type	_ZN7rocprim17ROCPRIM_400000_NS6detail17trampoline_kernelINS0_14default_configENS1_38merge_sort_block_merge_config_selectorI14custom_numericNS0_10empty_typeEEEZZNS1_27merge_sort_block_merge_implIS3_N6thrust23THRUST_200600_302600_NS6detail15normal_iteratorINSA_10device_ptrIS5_EEEEPS6_mNSA_7greaterIS5_EEEE10hipError_tT0_T1_T2_jT3_P12ihipStream_tbPNSt15iterator_traitsISK_E10value_typeEPNSQ_ISL_E10value_typeEPSM_NS1_7vsmem_tEENKUlT_SK_SL_SM_E_clIPS5_SF_SG_SG_EESJ_SZ_SK_SL_SM_EUlSZ_E0_NS1_11comp_targetILNS1_3genE8ELNS1_11target_archE1030ELNS1_3gpuE2ELNS1_3repE0EEENS1_38merge_mergepath_config_static_selectorELNS0_4arch9wavefront6targetE1EEEvSL_,@function
_ZN7rocprim17ROCPRIM_400000_NS6detail17trampoline_kernelINS0_14default_configENS1_38merge_sort_block_merge_config_selectorI14custom_numericNS0_10empty_typeEEEZZNS1_27merge_sort_block_merge_implIS3_N6thrust23THRUST_200600_302600_NS6detail15normal_iteratorINSA_10device_ptrIS5_EEEEPS6_mNSA_7greaterIS5_EEEE10hipError_tT0_T1_T2_jT3_P12ihipStream_tbPNSt15iterator_traitsISK_E10value_typeEPNSQ_ISL_E10value_typeEPSM_NS1_7vsmem_tEENKUlT_SK_SL_SM_E_clIPS5_SF_SG_SG_EESJ_SZ_SK_SL_SM_EUlSZ_E0_NS1_11comp_targetILNS1_3genE8ELNS1_11target_archE1030ELNS1_3gpuE2ELNS1_3repE0EEENS1_38merge_mergepath_config_static_selectorELNS0_4arch9wavefront6targetE1EEEvSL_: ; @_ZN7rocprim17ROCPRIM_400000_NS6detail17trampoline_kernelINS0_14default_configENS1_38merge_sort_block_merge_config_selectorI14custom_numericNS0_10empty_typeEEEZZNS1_27merge_sort_block_merge_implIS3_N6thrust23THRUST_200600_302600_NS6detail15normal_iteratorINSA_10device_ptrIS5_EEEEPS6_mNSA_7greaterIS5_EEEE10hipError_tT0_T1_T2_jT3_P12ihipStream_tbPNSt15iterator_traitsISK_E10value_typeEPNSQ_ISL_E10value_typeEPSM_NS1_7vsmem_tEENKUlT_SK_SL_SM_E_clIPS5_SF_SG_SG_EESJ_SZ_SK_SL_SM_EUlSZ_E0_NS1_11comp_targetILNS1_3genE8ELNS1_11target_archE1030ELNS1_3gpuE2ELNS1_3repE0EEENS1_38merge_mergepath_config_static_selectorELNS0_4arch9wavefront6targetE1EEEvSL_
; %bb.0:
	.section	.rodata,"a",@progbits
	.p2align	6, 0x0
	.amdhsa_kernel _ZN7rocprim17ROCPRIM_400000_NS6detail17trampoline_kernelINS0_14default_configENS1_38merge_sort_block_merge_config_selectorI14custom_numericNS0_10empty_typeEEEZZNS1_27merge_sort_block_merge_implIS3_N6thrust23THRUST_200600_302600_NS6detail15normal_iteratorINSA_10device_ptrIS5_EEEEPS6_mNSA_7greaterIS5_EEEE10hipError_tT0_T1_T2_jT3_P12ihipStream_tbPNSt15iterator_traitsISK_E10value_typeEPNSQ_ISL_E10value_typeEPSM_NS1_7vsmem_tEENKUlT_SK_SL_SM_E_clIPS5_SF_SG_SG_EESJ_SZ_SK_SL_SM_EUlSZ_E0_NS1_11comp_targetILNS1_3genE8ELNS1_11target_archE1030ELNS1_3gpuE2ELNS1_3repE0EEENS1_38merge_mergepath_config_static_selectorELNS0_4arch9wavefront6targetE1EEEvSL_
		.amdhsa_group_segment_fixed_size 0
		.amdhsa_private_segment_fixed_size 0
		.amdhsa_kernarg_size 72
		.amdhsa_user_sgpr_count 6
		.amdhsa_user_sgpr_private_segment_buffer 1
		.amdhsa_user_sgpr_dispatch_ptr 0
		.amdhsa_user_sgpr_queue_ptr 0
		.amdhsa_user_sgpr_kernarg_segment_ptr 1
		.amdhsa_user_sgpr_dispatch_id 0
		.amdhsa_user_sgpr_flat_scratch_init 0
		.amdhsa_user_sgpr_kernarg_preload_length 0
		.amdhsa_user_sgpr_kernarg_preload_offset 0
		.amdhsa_user_sgpr_private_segment_size 0
		.amdhsa_uses_dynamic_stack 0
		.amdhsa_system_sgpr_private_segment_wavefront_offset 0
		.amdhsa_system_sgpr_workgroup_id_x 1
		.amdhsa_system_sgpr_workgroup_id_y 0
		.amdhsa_system_sgpr_workgroup_id_z 0
		.amdhsa_system_sgpr_workgroup_info 0
		.amdhsa_system_vgpr_workitem_id 0
		.amdhsa_next_free_vgpr 1
		.amdhsa_next_free_sgpr 0
		.amdhsa_accum_offset 4
		.amdhsa_reserve_vcc 0
		.amdhsa_reserve_flat_scratch 0
		.amdhsa_float_round_mode_32 0
		.amdhsa_float_round_mode_16_64 0
		.amdhsa_float_denorm_mode_32 3
		.amdhsa_float_denorm_mode_16_64 3
		.amdhsa_dx10_clamp 1
		.amdhsa_ieee_mode 1
		.amdhsa_fp16_overflow 0
		.amdhsa_tg_split 0
		.amdhsa_exception_fp_ieee_invalid_op 0
		.amdhsa_exception_fp_denorm_src 0
		.amdhsa_exception_fp_ieee_div_zero 0
		.amdhsa_exception_fp_ieee_overflow 0
		.amdhsa_exception_fp_ieee_underflow 0
		.amdhsa_exception_fp_ieee_inexact 0
		.amdhsa_exception_int_div_zero 0
	.end_amdhsa_kernel
	.section	.text._ZN7rocprim17ROCPRIM_400000_NS6detail17trampoline_kernelINS0_14default_configENS1_38merge_sort_block_merge_config_selectorI14custom_numericNS0_10empty_typeEEEZZNS1_27merge_sort_block_merge_implIS3_N6thrust23THRUST_200600_302600_NS6detail15normal_iteratorINSA_10device_ptrIS5_EEEEPS6_mNSA_7greaterIS5_EEEE10hipError_tT0_T1_T2_jT3_P12ihipStream_tbPNSt15iterator_traitsISK_E10value_typeEPNSQ_ISL_E10value_typeEPSM_NS1_7vsmem_tEENKUlT_SK_SL_SM_E_clIPS5_SF_SG_SG_EESJ_SZ_SK_SL_SM_EUlSZ_E0_NS1_11comp_targetILNS1_3genE8ELNS1_11target_archE1030ELNS1_3gpuE2ELNS1_3repE0EEENS1_38merge_mergepath_config_static_selectorELNS0_4arch9wavefront6targetE1EEEvSL_,"axG",@progbits,_ZN7rocprim17ROCPRIM_400000_NS6detail17trampoline_kernelINS0_14default_configENS1_38merge_sort_block_merge_config_selectorI14custom_numericNS0_10empty_typeEEEZZNS1_27merge_sort_block_merge_implIS3_N6thrust23THRUST_200600_302600_NS6detail15normal_iteratorINSA_10device_ptrIS5_EEEEPS6_mNSA_7greaterIS5_EEEE10hipError_tT0_T1_T2_jT3_P12ihipStream_tbPNSt15iterator_traitsISK_E10value_typeEPNSQ_ISL_E10value_typeEPSM_NS1_7vsmem_tEENKUlT_SK_SL_SM_E_clIPS5_SF_SG_SG_EESJ_SZ_SK_SL_SM_EUlSZ_E0_NS1_11comp_targetILNS1_3genE8ELNS1_11target_archE1030ELNS1_3gpuE2ELNS1_3repE0EEENS1_38merge_mergepath_config_static_selectorELNS0_4arch9wavefront6targetE1EEEvSL_,comdat
.Lfunc_end2657:
	.size	_ZN7rocprim17ROCPRIM_400000_NS6detail17trampoline_kernelINS0_14default_configENS1_38merge_sort_block_merge_config_selectorI14custom_numericNS0_10empty_typeEEEZZNS1_27merge_sort_block_merge_implIS3_N6thrust23THRUST_200600_302600_NS6detail15normal_iteratorINSA_10device_ptrIS5_EEEEPS6_mNSA_7greaterIS5_EEEE10hipError_tT0_T1_T2_jT3_P12ihipStream_tbPNSt15iterator_traitsISK_E10value_typeEPNSQ_ISL_E10value_typeEPSM_NS1_7vsmem_tEENKUlT_SK_SL_SM_E_clIPS5_SF_SG_SG_EESJ_SZ_SK_SL_SM_EUlSZ_E0_NS1_11comp_targetILNS1_3genE8ELNS1_11target_archE1030ELNS1_3gpuE2ELNS1_3repE0EEENS1_38merge_mergepath_config_static_selectorELNS0_4arch9wavefront6targetE1EEEvSL_, .Lfunc_end2657-_ZN7rocprim17ROCPRIM_400000_NS6detail17trampoline_kernelINS0_14default_configENS1_38merge_sort_block_merge_config_selectorI14custom_numericNS0_10empty_typeEEEZZNS1_27merge_sort_block_merge_implIS3_N6thrust23THRUST_200600_302600_NS6detail15normal_iteratorINSA_10device_ptrIS5_EEEEPS6_mNSA_7greaterIS5_EEEE10hipError_tT0_T1_T2_jT3_P12ihipStream_tbPNSt15iterator_traitsISK_E10value_typeEPNSQ_ISL_E10value_typeEPSM_NS1_7vsmem_tEENKUlT_SK_SL_SM_E_clIPS5_SF_SG_SG_EESJ_SZ_SK_SL_SM_EUlSZ_E0_NS1_11comp_targetILNS1_3genE8ELNS1_11target_archE1030ELNS1_3gpuE2ELNS1_3repE0EEENS1_38merge_mergepath_config_static_selectorELNS0_4arch9wavefront6targetE1EEEvSL_
                                        ; -- End function
	.section	.AMDGPU.csdata,"",@progbits
; Kernel info:
; codeLenInByte = 0
; NumSgprs: 4
; NumVgprs: 0
; NumAgprs: 0
; TotalNumVgprs: 0
; ScratchSize: 0
; MemoryBound: 0
; FloatMode: 240
; IeeeMode: 1
; LDSByteSize: 0 bytes/workgroup (compile time only)
; SGPRBlocks: 0
; VGPRBlocks: 0
; NumSGPRsForWavesPerEU: 4
; NumVGPRsForWavesPerEU: 1
; AccumOffset: 4
; Occupancy: 8
; WaveLimiterHint : 0
; COMPUTE_PGM_RSRC2:SCRATCH_EN: 0
; COMPUTE_PGM_RSRC2:USER_SGPR: 6
; COMPUTE_PGM_RSRC2:TRAP_HANDLER: 0
; COMPUTE_PGM_RSRC2:TGID_X_EN: 1
; COMPUTE_PGM_RSRC2:TGID_Y_EN: 0
; COMPUTE_PGM_RSRC2:TGID_Z_EN: 0
; COMPUTE_PGM_RSRC2:TIDIG_COMP_CNT: 0
; COMPUTE_PGM_RSRC3_GFX90A:ACCUM_OFFSET: 0
; COMPUTE_PGM_RSRC3_GFX90A:TG_SPLIT: 0
	.section	.text._ZN7rocprim17ROCPRIM_400000_NS6detail17trampoline_kernelINS0_14default_configENS1_38merge_sort_block_merge_config_selectorI14custom_numericNS0_10empty_typeEEEZZNS1_27merge_sort_block_merge_implIS3_N6thrust23THRUST_200600_302600_NS6detail15normal_iteratorINSA_10device_ptrIS5_EEEEPS6_mNSA_7greaterIS5_EEEE10hipError_tT0_T1_T2_jT3_P12ihipStream_tbPNSt15iterator_traitsISK_E10value_typeEPNSQ_ISL_E10value_typeEPSM_NS1_7vsmem_tEENKUlT_SK_SL_SM_E_clIPS5_SF_SG_SG_EESJ_SZ_SK_SL_SM_EUlSZ_E1_NS1_11comp_targetILNS1_3genE0ELNS1_11target_archE4294967295ELNS1_3gpuE0ELNS1_3repE0EEENS1_36merge_oddeven_config_static_selectorELNS0_4arch9wavefront6targetE1EEEvSL_,"axG",@progbits,_ZN7rocprim17ROCPRIM_400000_NS6detail17trampoline_kernelINS0_14default_configENS1_38merge_sort_block_merge_config_selectorI14custom_numericNS0_10empty_typeEEEZZNS1_27merge_sort_block_merge_implIS3_N6thrust23THRUST_200600_302600_NS6detail15normal_iteratorINSA_10device_ptrIS5_EEEEPS6_mNSA_7greaterIS5_EEEE10hipError_tT0_T1_T2_jT3_P12ihipStream_tbPNSt15iterator_traitsISK_E10value_typeEPNSQ_ISL_E10value_typeEPSM_NS1_7vsmem_tEENKUlT_SK_SL_SM_E_clIPS5_SF_SG_SG_EESJ_SZ_SK_SL_SM_EUlSZ_E1_NS1_11comp_targetILNS1_3genE0ELNS1_11target_archE4294967295ELNS1_3gpuE0ELNS1_3repE0EEENS1_36merge_oddeven_config_static_selectorELNS0_4arch9wavefront6targetE1EEEvSL_,comdat
	.protected	_ZN7rocprim17ROCPRIM_400000_NS6detail17trampoline_kernelINS0_14default_configENS1_38merge_sort_block_merge_config_selectorI14custom_numericNS0_10empty_typeEEEZZNS1_27merge_sort_block_merge_implIS3_N6thrust23THRUST_200600_302600_NS6detail15normal_iteratorINSA_10device_ptrIS5_EEEEPS6_mNSA_7greaterIS5_EEEE10hipError_tT0_T1_T2_jT3_P12ihipStream_tbPNSt15iterator_traitsISK_E10value_typeEPNSQ_ISL_E10value_typeEPSM_NS1_7vsmem_tEENKUlT_SK_SL_SM_E_clIPS5_SF_SG_SG_EESJ_SZ_SK_SL_SM_EUlSZ_E1_NS1_11comp_targetILNS1_3genE0ELNS1_11target_archE4294967295ELNS1_3gpuE0ELNS1_3repE0EEENS1_36merge_oddeven_config_static_selectorELNS0_4arch9wavefront6targetE1EEEvSL_ ; -- Begin function _ZN7rocprim17ROCPRIM_400000_NS6detail17trampoline_kernelINS0_14default_configENS1_38merge_sort_block_merge_config_selectorI14custom_numericNS0_10empty_typeEEEZZNS1_27merge_sort_block_merge_implIS3_N6thrust23THRUST_200600_302600_NS6detail15normal_iteratorINSA_10device_ptrIS5_EEEEPS6_mNSA_7greaterIS5_EEEE10hipError_tT0_T1_T2_jT3_P12ihipStream_tbPNSt15iterator_traitsISK_E10value_typeEPNSQ_ISL_E10value_typeEPSM_NS1_7vsmem_tEENKUlT_SK_SL_SM_E_clIPS5_SF_SG_SG_EESJ_SZ_SK_SL_SM_EUlSZ_E1_NS1_11comp_targetILNS1_3genE0ELNS1_11target_archE4294967295ELNS1_3gpuE0ELNS1_3repE0EEENS1_36merge_oddeven_config_static_selectorELNS0_4arch9wavefront6targetE1EEEvSL_
	.globl	_ZN7rocprim17ROCPRIM_400000_NS6detail17trampoline_kernelINS0_14default_configENS1_38merge_sort_block_merge_config_selectorI14custom_numericNS0_10empty_typeEEEZZNS1_27merge_sort_block_merge_implIS3_N6thrust23THRUST_200600_302600_NS6detail15normal_iteratorINSA_10device_ptrIS5_EEEEPS6_mNSA_7greaterIS5_EEEE10hipError_tT0_T1_T2_jT3_P12ihipStream_tbPNSt15iterator_traitsISK_E10value_typeEPNSQ_ISL_E10value_typeEPSM_NS1_7vsmem_tEENKUlT_SK_SL_SM_E_clIPS5_SF_SG_SG_EESJ_SZ_SK_SL_SM_EUlSZ_E1_NS1_11comp_targetILNS1_3genE0ELNS1_11target_archE4294967295ELNS1_3gpuE0ELNS1_3repE0EEENS1_36merge_oddeven_config_static_selectorELNS0_4arch9wavefront6targetE1EEEvSL_
	.p2align	8
	.type	_ZN7rocprim17ROCPRIM_400000_NS6detail17trampoline_kernelINS0_14default_configENS1_38merge_sort_block_merge_config_selectorI14custom_numericNS0_10empty_typeEEEZZNS1_27merge_sort_block_merge_implIS3_N6thrust23THRUST_200600_302600_NS6detail15normal_iteratorINSA_10device_ptrIS5_EEEEPS6_mNSA_7greaterIS5_EEEE10hipError_tT0_T1_T2_jT3_P12ihipStream_tbPNSt15iterator_traitsISK_E10value_typeEPNSQ_ISL_E10value_typeEPSM_NS1_7vsmem_tEENKUlT_SK_SL_SM_E_clIPS5_SF_SG_SG_EESJ_SZ_SK_SL_SM_EUlSZ_E1_NS1_11comp_targetILNS1_3genE0ELNS1_11target_archE4294967295ELNS1_3gpuE0ELNS1_3repE0EEENS1_36merge_oddeven_config_static_selectorELNS0_4arch9wavefront6targetE1EEEvSL_,@function
_ZN7rocprim17ROCPRIM_400000_NS6detail17trampoline_kernelINS0_14default_configENS1_38merge_sort_block_merge_config_selectorI14custom_numericNS0_10empty_typeEEEZZNS1_27merge_sort_block_merge_implIS3_N6thrust23THRUST_200600_302600_NS6detail15normal_iteratorINSA_10device_ptrIS5_EEEEPS6_mNSA_7greaterIS5_EEEE10hipError_tT0_T1_T2_jT3_P12ihipStream_tbPNSt15iterator_traitsISK_E10value_typeEPNSQ_ISL_E10value_typeEPSM_NS1_7vsmem_tEENKUlT_SK_SL_SM_E_clIPS5_SF_SG_SG_EESJ_SZ_SK_SL_SM_EUlSZ_E1_NS1_11comp_targetILNS1_3genE0ELNS1_11target_archE4294967295ELNS1_3gpuE0ELNS1_3repE0EEENS1_36merge_oddeven_config_static_selectorELNS0_4arch9wavefront6targetE1EEEvSL_: ; @_ZN7rocprim17ROCPRIM_400000_NS6detail17trampoline_kernelINS0_14default_configENS1_38merge_sort_block_merge_config_selectorI14custom_numericNS0_10empty_typeEEEZZNS1_27merge_sort_block_merge_implIS3_N6thrust23THRUST_200600_302600_NS6detail15normal_iteratorINSA_10device_ptrIS5_EEEEPS6_mNSA_7greaterIS5_EEEE10hipError_tT0_T1_T2_jT3_P12ihipStream_tbPNSt15iterator_traitsISK_E10value_typeEPNSQ_ISL_E10value_typeEPSM_NS1_7vsmem_tEENKUlT_SK_SL_SM_E_clIPS5_SF_SG_SG_EESJ_SZ_SK_SL_SM_EUlSZ_E1_NS1_11comp_targetILNS1_3genE0ELNS1_11target_archE4294967295ELNS1_3gpuE0ELNS1_3repE0EEENS1_36merge_oddeven_config_static_selectorELNS0_4arch9wavefront6targetE1EEEvSL_
; %bb.0:
	.section	.rodata,"a",@progbits
	.p2align	6, 0x0
	.amdhsa_kernel _ZN7rocprim17ROCPRIM_400000_NS6detail17trampoline_kernelINS0_14default_configENS1_38merge_sort_block_merge_config_selectorI14custom_numericNS0_10empty_typeEEEZZNS1_27merge_sort_block_merge_implIS3_N6thrust23THRUST_200600_302600_NS6detail15normal_iteratorINSA_10device_ptrIS5_EEEEPS6_mNSA_7greaterIS5_EEEE10hipError_tT0_T1_T2_jT3_P12ihipStream_tbPNSt15iterator_traitsISK_E10value_typeEPNSQ_ISL_E10value_typeEPSM_NS1_7vsmem_tEENKUlT_SK_SL_SM_E_clIPS5_SF_SG_SG_EESJ_SZ_SK_SL_SM_EUlSZ_E1_NS1_11comp_targetILNS1_3genE0ELNS1_11target_archE4294967295ELNS1_3gpuE0ELNS1_3repE0EEENS1_36merge_oddeven_config_static_selectorELNS0_4arch9wavefront6targetE1EEEvSL_
		.amdhsa_group_segment_fixed_size 0
		.amdhsa_private_segment_fixed_size 0
		.amdhsa_kernarg_size 56
		.amdhsa_user_sgpr_count 6
		.amdhsa_user_sgpr_private_segment_buffer 1
		.amdhsa_user_sgpr_dispatch_ptr 0
		.amdhsa_user_sgpr_queue_ptr 0
		.amdhsa_user_sgpr_kernarg_segment_ptr 1
		.amdhsa_user_sgpr_dispatch_id 0
		.amdhsa_user_sgpr_flat_scratch_init 0
		.amdhsa_user_sgpr_kernarg_preload_length 0
		.amdhsa_user_sgpr_kernarg_preload_offset 0
		.amdhsa_user_sgpr_private_segment_size 0
		.amdhsa_uses_dynamic_stack 0
		.amdhsa_system_sgpr_private_segment_wavefront_offset 0
		.amdhsa_system_sgpr_workgroup_id_x 1
		.amdhsa_system_sgpr_workgroup_id_y 0
		.amdhsa_system_sgpr_workgroup_id_z 0
		.amdhsa_system_sgpr_workgroup_info 0
		.amdhsa_system_vgpr_workitem_id 0
		.amdhsa_next_free_vgpr 1
		.amdhsa_next_free_sgpr 0
		.amdhsa_accum_offset 4
		.amdhsa_reserve_vcc 0
		.amdhsa_reserve_flat_scratch 0
		.amdhsa_float_round_mode_32 0
		.amdhsa_float_round_mode_16_64 0
		.amdhsa_float_denorm_mode_32 3
		.amdhsa_float_denorm_mode_16_64 3
		.amdhsa_dx10_clamp 1
		.amdhsa_ieee_mode 1
		.amdhsa_fp16_overflow 0
		.amdhsa_tg_split 0
		.amdhsa_exception_fp_ieee_invalid_op 0
		.amdhsa_exception_fp_denorm_src 0
		.amdhsa_exception_fp_ieee_div_zero 0
		.amdhsa_exception_fp_ieee_overflow 0
		.amdhsa_exception_fp_ieee_underflow 0
		.amdhsa_exception_fp_ieee_inexact 0
		.amdhsa_exception_int_div_zero 0
	.end_amdhsa_kernel
	.section	.text._ZN7rocprim17ROCPRIM_400000_NS6detail17trampoline_kernelINS0_14default_configENS1_38merge_sort_block_merge_config_selectorI14custom_numericNS0_10empty_typeEEEZZNS1_27merge_sort_block_merge_implIS3_N6thrust23THRUST_200600_302600_NS6detail15normal_iteratorINSA_10device_ptrIS5_EEEEPS6_mNSA_7greaterIS5_EEEE10hipError_tT0_T1_T2_jT3_P12ihipStream_tbPNSt15iterator_traitsISK_E10value_typeEPNSQ_ISL_E10value_typeEPSM_NS1_7vsmem_tEENKUlT_SK_SL_SM_E_clIPS5_SF_SG_SG_EESJ_SZ_SK_SL_SM_EUlSZ_E1_NS1_11comp_targetILNS1_3genE0ELNS1_11target_archE4294967295ELNS1_3gpuE0ELNS1_3repE0EEENS1_36merge_oddeven_config_static_selectorELNS0_4arch9wavefront6targetE1EEEvSL_,"axG",@progbits,_ZN7rocprim17ROCPRIM_400000_NS6detail17trampoline_kernelINS0_14default_configENS1_38merge_sort_block_merge_config_selectorI14custom_numericNS0_10empty_typeEEEZZNS1_27merge_sort_block_merge_implIS3_N6thrust23THRUST_200600_302600_NS6detail15normal_iteratorINSA_10device_ptrIS5_EEEEPS6_mNSA_7greaterIS5_EEEE10hipError_tT0_T1_T2_jT3_P12ihipStream_tbPNSt15iterator_traitsISK_E10value_typeEPNSQ_ISL_E10value_typeEPSM_NS1_7vsmem_tEENKUlT_SK_SL_SM_E_clIPS5_SF_SG_SG_EESJ_SZ_SK_SL_SM_EUlSZ_E1_NS1_11comp_targetILNS1_3genE0ELNS1_11target_archE4294967295ELNS1_3gpuE0ELNS1_3repE0EEENS1_36merge_oddeven_config_static_selectorELNS0_4arch9wavefront6targetE1EEEvSL_,comdat
.Lfunc_end2658:
	.size	_ZN7rocprim17ROCPRIM_400000_NS6detail17trampoline_kernelINS0_14default_configENS1_38merge_sort_block_merge_config_selectorI14custom_numericNS0_10empty_typeEEEZZNS1_27merge_sort_block_merge_implIS3_N6thrust23THRUST_200600_302600_NS6detail15normal_iteratorINSA_10device_ptrIS5_EEEEPS6_mNSA_7greaterIS5_EEEE10hipError_tT0_T1_T2_jT3_P12ihipStream_tbPNSt15iterator_traitsISK_E10value_typeEPNSQ_ISL_E10value_typeEPSM_NS1_7vsmem_tEENKUlT_SK_SL_SM_E_clIPS5_SF_SG_SG_EESJ_SZ_SK_SL_SM_EUlSZ_E1_NS1_11comp_targetILNS1_3genE0ELNS1_11target_archE4294967295ELNS1_3gpuE0ELNS1_3repE0EEENS1_36merge_oddeven_config_static_selectorELNS0_4arch9wavefront6targetE1EEEvSL_, .Lfunc_end2658-_ZN7rocprim17ROCPRIM_400000_NS6detail17trampoline_kernelINS0_14default_configENS1_38merge_sort_block_merge_config_selectorI14custom_numericNS0_10empty_typeEEEZZNS1_27merge_sort_block_merge_implIS3_N6thrust23THRUST_200600_302600_NS6detail15normal_iteratorINSA_10device_ptrIS5_EEEEPS6_mNSA_7greaterIS5_EEEE10hipError_tT0_T1_T2_jT3_P12ihipStream_tbPNSt15iterator_traitsISK_E10value_typeEPNSQ_ISL_E10value_typeEPSM_NS1_7vsmem_tEENKUlT_SK_SL_SM_E_clIPS5_SF_SG_SG_EESJ_SZ_SK_SL_SM_EUlSZ_E1_NS1_11comp_targetILNS1_3genE0ELNS1_11target_archE4294967295ELNS1_3gpuE0ELNS1_3repE0EEENS1_36merge_oddeven_config_static_selectorELNS0_4arch9wavefront6targetE1EEEvSL_
                                        ; -- End function
	.section	.AMDGPU.csdata,"",@progbits
; Kernel info:
; codeLenInByte = 0
; NumSgprs: 4
; NumVgprs: 0
; NumAgprs: 0
; TotalNumVgprs: 0
; ScratchSize: 0
; MemoryBound: 0
; FloatMode: 240
; IeeeMode: 1
; LDSByteSize: 0 bytes/workgroup (compile time only)
; SGPRBlocks: 0
; VGPRBlocks: 0
; NumSGPRsForWavesPerEU: 4
; NumVGPRsForWavesPerEU: 1
; AccumOffset: 4
; Occupancy: 8
; WaveLimiterHint : 0
; COMPUTE_PGM_RSRC2:SCRATCH_EN: 0
; COMPUTE_PGM_RSRC2:USER_SGPR: 6
; COMPUTE_PGM_RSRC2:TRAP_HANDLER: 0
; COMPUTE_PGM_RSRC2:TGID_X_EN: 1
; COMPUTE_PGM_RSRC2:TGID_Y_EN: 0
; COMPUTE_PGM_RSRC2:TGID_Z_EN: 0
; COMPUTE_PGM_RSRC2:TIDIG_COMP_CNT: 0
; COMPUTE_PGM_RSRC3_GFX90A:ACCUM_OFFSET: 0
; COMPUTE_PGM_RSRC3_GFX90A:TG_SPLIT: 0
	.section	.text._ZN7rocprim17ROCPRIM_400000_NS6detail17trampoline_kernelINS0_14default_configENS1_38merge_sort_block_merge_config_selectorI14custom_numericNS0_10empty_typeEEEZZNS1_27merge_sort_block_merge_implIS3_N6thrust23THRUST_200600_302600_NS6detail15normal_iteratorINSA_10device_ptrIS5_EEEEPS6_mNSA_7greaterIS5_EEEE10hipError_tT0_T1_T2_jT3_P12ihipStream_tbPNSt15iterator_traitsISK_E10value_typeEPNSQ_ISL_E10value_typeEPSM_NS1_7vsmem_tEENKUlT_SK_SL_SM_E_clIPS5_SF_SG_SG_EESJ_SZ_SK_SL_SM_EUlSZ_E1_NS1_11comp_targetILNS1_3genE10ELNS1_11target_archE1201ELNS1_3gpuE5ELNS1_3repE0EEENS1_36merge_oddeven_config_static_selectorELNS0_4arch9wavefront6targetE1EEEvSL_,"axG",@progbits,_ZN7rocprim17ROCPRIM_400000_NS6detail17trampoline_kernelINS0_14default_configENS1_38merge_sort_block_merge_config_selectorI14custom_numericNS0_10empty_typeEEEZZNS1_27merge_sort_block_merge_implIS3_N6thrust23THRUST_200600_302600_NS6detail15normal_iteratorINSA_10device_ptrIS5_EEEEPS6_mNSA_7greaterIS5_EEEE10hipError_tT0_T1_T2_jT3_P12ihipStream_tbPNSt15iterator_traitsISK_E10value_typeEPNSQ_ISL_E10value_typeEPSM_NS1_7vsmem_tEENKUlT_SK_SL_SM_E_clIPS5_SF_SG_SG_EESJ_SZ_SK_SL_SM_EUlSZ_E1_NS1_11comp_targetILNS1_3genE10ELNS1_11target_archE1201ELNS1_3gpuE5ELNS1_3repE0EEENS1_36merge_oddeven_config_static_selectorELNS0_4arch9wavefront6targetE1EEEvSL_,comdat
	.protected	_ZN7rocprim17ROCPRIM_400000_NS6detail17trampoline_kernelINS0_14default_configENS1_38merge_sort_block_merge_config_selectorI14custom_numericNS0_10empty_typeEEEZZNS1_27merge_sort_block_merge_implIS3_N6thrust23THRUST_200600_302600_NS6detail15normal_iteratorINSA_10device_ptrIS5_EEEEPS6_mNSA_7greaterIS5_EEEE10hipError_tT0_T1_T2_jT3_P12ihipStream_tbPNSt15iterator_traitsISK_E10value_typeEPNSQ_ISL_E10value_typeEPSM_NS1_7vsmem_tEENKUlT_SK_SL_SM_E_clIPS5_SF_SG_SG_EESJ_SZ_SK_SL_SM_EUlSZ_E1_NS1_11comp_targetILNS1_3genE10ELNS1_11target_archE1201ELNS1_3gpuE5ELNS1_3repE0EEENS1_36merge_oddeven_config_static_selectorELNS0_4arch9wavefront6targetE1EEEvSL_ ; -- Begin function _ZN7rocprim17ROCPRIM_400000_NS6detail17trampoline_kernelINS0_14default_configENS1_38merge_sort_block_merge_config_selectorI14custom_numericNS0_10empty_typeEEEZZNS1_27merge_sort_block_merge_implIS3_N6thrust23THRUST_200600_302600_NS6detail15normal_iteratorINSA_10device_ptrIS5_EEEEPS6_mNSA_7greaterIS5_EEEE10hipError_tT0_T1_T2_jT3_P12ihipStream_tbPNSt15iterator_traitsISK_E10value_typeEPNSQ_ISL_E10value_typeEPSM_NS1_7vsmem_tEENKUlT_SK_SL_SM_E_clIPS5_SF_SG_SG_EESJ_SZ_SK_SL_SM_EUlSZ_E1_NS1_11comp_targetILNS1_3genE10ELNS1_11target_archE1201ELNS1_3gpuE5ELNS1_3repE0EEENS1_36merge_oddeven_config_static_selectorELNS0_4arch9wavefront6targetE1EEEvSL_
	.globl	_ZN7rocprim17ROCPRIM_400000_NS6detail17trampoline_kernelINS0_14default_configENS1_38merge_sort_block_merge_config_selectorI14custom_numericNS0_10empty_typeEEEZZNS1_27merge_sort_block_merge_implIS3_N6thrust23THRUST_200600_302600_NS6detail15normal_iteratorINSA_10device_ptrIS5_EEEEPS6_mNSA_7greaterIS5_EEEE10hipError_tT0_T1_T2_jT3_P12ihipStream_tbPNSt15iterator_traitsISK_E10value_typeEPNSQ_ISL_E10value_typeEPSM_NS1_7vsmem_tEENKUlT_SK_SL_SM_E_clIPS5_SF_SG_SG_EESJ_SZ_SK_SL_SM_EUlSZ_E1_NS1_11comp_targetILNS1_3genE10ELNS1_11target_archE1201ELNS1_3gpuE5ELNS1_3repE0EEENS1_36merge_oddeven_config_static_selectorELNS0_4arch9wavefront6targetE1EEEvSL_
	.p2align	8
	.type	_ZN7rocprim17ROCPRIM_400000_NS6detail17trampoline_kernelINS0_14default_configENS1_38merge_sort_block_merge_config_selectorI14custom_numericNS0_10empty_typeEEEZZNS1_27merge_sort_block_merge_implIS3_N6thrust23THRUST_200600_302600_NS6detail15normal_iteratorINSA_10device_ptrIS5_EEEEPS6_mNSA_7greaterIS5_EEEE10hipError_tT0_T1_T2_jT3_P12ihipStream_tbPNSt15iterator_traitsISK_E10value_typeEPNSQ_ISL_E10value_typeEPSM_NS1_7vsmem_tEENKUlT_SK_SL_SM_E_clIPS5_SF_SG_SG_EESJ_SZ_SK_SL_SM_EUlSZ_E1_NS1_11comp_targetILNS1_3genE10ELNS1_11target_archE1201ELNS1_3gpuE5ELNS1_3repE0EEENS1_36merge_oddeven_config_static_selectorELNS0_4arch9wavefront6targetE1EEEvSL_,@function
_ZN7rocprim17ROCPRIM_400000_NS6detail17trampoline_kernelINS0_14default_configENS1_38merge_sort_block_merge_config_selectorI14custom_numericNS0_10empty_typeEEEZZNS1_27merge_sort_block_merge_implIS3_N6thrust23THRUST_200600_302600_NS6detail15normal_iteratorINSA_10device_ptrIS5_EEEEPS6_mNSA_7greaterIS5_EEEE10hipError_tT0_T1_T2_jT3_P12ihipStream_tbPNSt15iterator_traitsISK_E10value_typeEPNSQ_ISL_E10value_typeEPSM_NS1_7vsmem_tEENKUlT_SK_SL_SM_E_clIPS5_SF_SG_SG_EESJ_SZ_SK_SL_SM_EUlSZ_E1_NS1_11comp_targetILNS1_3genE10ELNS1_11target_archE1201ELNS1_3gpuE5ELNS1_3repE0EEENS1_36merge_oddeven_config_static_selectorELNS0_4arch9wavefront6targetE1EEEvSL_: ; @_ZN7rocprim17ROCPRIM_400000_NS6detail17trampoline_kernelINS0_14default_configENS1_38merge_sort_block_merge_config_selectorI14custom_numericNS0_10empty_typeEEEZZNS1_27merge_sort_block_merge_implIS3_N6thrust23THRUST_200600_302600_NS6detail15normal_iteratorINSA_10device_ptrIS5_EEEEPS6_mNSA_7greaterIS5_EEEE10hipError_tT0_T1_T2_jT3_P12ihipStream_tbPNSt15iterator_traitsISK_E10value_typeEPNSQ_ISL_E10value_typeEPSM_NS1_7vsmem_tEENKUlT_SK_SL_SM_E_clIPS5_SF_SG_SG_EESJ_SZ_SK_SL_SM_EUlSZ_E1_NS1_11comp_targetILNS1_3genE10ELNS1_11target_archE1201ELNS1_3gpuE5ELNS1_3repE0EEENS1_36merge_oddeven_config_static_selectorELNS0_4arch9wavefront6targetE1EEEvSL_
; %bb.0:
	.section	.rodata,"a",@progbits
	.p2align	6, 0x0
	.amdhsa_kernel _ZN7rocprim17ROCPRIM_400000_NS6detail17trampoline_kernelINS0_14default_configENS1_38merge_sort_block_merge_config_selectorI14custom_numericNS0_10empty_typeEEEZZNS1_27merge_sort_block_merge_implIS3_N6thrust23THRUST_200600_302600_NS6detail15normal_iteratorINSA_10device_ptrIS5_EEEEPS6_mNSA_7greaterIS5_EEEE10hipError_tT0_T1_T2_jT3_P12ihipStream_tbPNSt15iterator_traitsISK_E10value_typeEPNSQ_ISL_E10value_typeEPSM_NS1_7vsmem_tEENKUlT_SK_SL_SM_E_clIPS5_SF_SG_SG_EESJ_SZ_SK_SL_SM_EUlSZ_E1_NS1_11comp_targetILNS1_3genE10ELNS1_11target_archE1201ELNS1_3gpuE5ELNS1_3repE0EEENS1_36merge_oddeven_config_static_selectorELNS0_4arch9wavefront6targetE1EEEvSL_
		.amdhsa_group_segment_fixed_size 0
		.amdhsa_private_segment_fixed_size 0
		.amdhsa_kernarg_size 56
		.amdhsa_user_sgpr_count 6
		.amdhsa_user_sgpr_private_segment_buffer 1
		.amdhsa_user_sgpr_dispatch_ptr 0
		.amdhsa_user_sgpr_queue_ptr 0
		.amdhsa_user_sgpr_kernarg_segment_ptr 1
		.amdhsa_user_sgpr_dispatch_id 0
		.amdhsa_user_sgpr_flat_scratch_init 0
		.amdhsa_user_sgpr_kernarg_preload_length 0
		.amdhsa_user_sgpr_kernarg_preload_offset 0
		.amdhsa_user_sgpr_private_segment_size 0
		.amdhsa_uses_dynamic_stack 0
		.amdhsa_system_sgpr_private_segment_wavefront_offset 0
		.amdhsa_system_sgpr_workgroup_id_x 1
		.amdhsa_system_sgpr_workgroup_id_y 0
		.amdhsa_system_sgpr_workgroup_id_z 0
		.amdhsa_system_sgpr_workgroup_info 0
		.amdhsa_system_vgpr_workitem_id 0
		.amdhsa_next_free_vgpr 1
		.amdhsa_next_free_sgpr 0
		.amdhsa_accum_offset 4
		.amdhsa_reserve_vcc 0
		.amdhsa_reserve_flat_scratch 0
		.amdhsa_float_round_mode_32 0
		.amdhsa_float_round_mode_16_64 0
		.amdhsa_float_denorm_mode_32 3
		.amdhsa_float_denorm_mode_16_64 3
		.amdhsa_dx10_clamp 1
		.amdhsa_ieee_mode 1
		.amdhsa_fp16_overflow 0
		.amdhsa_tg_split 0
		.amdhsa_exception_fp_ieee_invalid_op 0
		.amdhsa_exception_fp_denorm_src 0
		.amdhsa_exception_fp_ieee_div_zero 0
		.amdhsa_exception_fp_ieee_overflow 0
		.amdhsa_exception_fp_ieee_underflow 0
		.amdhsa_exception_fp_ieee_inexact 0
		.amdhsa_exception_int_div_zero 0
	.end_amdhsa_kernel
	.section	.text._ZN7rocprim17ROCPRIM_400000_NS6detail17trampoline_kernelINS0_14default_configENS1_38merge_sort_block_merge_config_selectorI14custom_numericNS0_10empty_typeEEEZZNS1_27merge_sort_block_merge_implIS3_N6thrust23THRUST_200600_302600_NS6detail15normal_iteratorINSA_10device_ptrIS5_EEEEPS6_mNSA_7greaterIS5_EEEE10hipError_tT0_T1_T2_jT3_P12ihipStream_tbPNSt15iterator_traitsISK_E10value_typeEPNSQ_ISL_E10value_typeEPSM_NS1_7vsmem_tEENKUlT_SK_SL_SM_E_clIPS5_SF_SG_SG_EESJ_SZ_SK_SL_SM_EUlSZ_E1_NS1_11comp_targetILNS1_3genE10ELNS1_11target_archE1201ELNS1_3gpuE5ELNS1_3repE0EEENS1_36merge_oddeven_config_static_selectorELNS0_4arch9wavefront6targetE1EEEvSL_,"axG",@progbits,_ZN7rocprim17ROCPRIM_400000_NS6detail17trampoline_kernelINS0_14default_configENS1_38merge_sort_block_merge_config_selectorI14custom_numericNS0_10empty_typeEEEZZNS1_27merge_sort_block_merge_implIS3_N6thrust23THRUST_200600_302600_NS6detail15normal_iteratorINSA_10device_ptrIS5_EEEEPS6_mNSA_7greaterIS5_EEEE10hipError_tT0_T1_T2_jT3_P12ihipStream_tbPNSt15iterator_traitsISK_E10value_typeEPNSQ_ISL_E10value_typeEPSM_NS1_7vsmem_tEENKUlT_SK_SL_SM_E_clIPS5_SF_SG_SG_EESJ_SZ_SK_SL_SM_EUlSZ_E1_NS1_11comp_targetILNS1_3genE10ELNS1_11target_archE1201ELNS1_3gpuE5ELNS1_3repE0EEENS1_36merge_oddeven_config_static_selectorELNS0_4arch9wavefront6targetE1EEEvSL_,comdat
.Lfunc_end2659:
	.size	_ZN7rocprim17ROCPRIM_400000_NS6detail17trampoline_kernelINS0_14default_configENS1_38merge_sort_block_merge_config_selectorI14custom_numericNS0_10empty_typeEEEZZNS1_27merge_sort_block_merge_implIS3_N6thrust23THRUST_200600_302600_NS6detail15normal_iteratorINSA_10device_ptrIS5_EEEEPS6_mNSA_7greaterIS5_EEEE10hipError_tT0_T1_T2_jT3_P12ihipStream_tbPNSt15iterator_traitsISK_E10value_typeEPNSQ_ISL_E10value_typeEPSM_NS1_7vsmem_tEENKUlT_SK_SL_SM_E_clIPS5_SF_SG_SG_EESJ_SZ_SK_SL_SM_EUlSZ_E1_NS1_11comp_targetILNS1_3genE10ELNS1_11target_archE1201ELNS1_3gpuE5ELNS1_3repE0EEENS1_36merge_oddeven_config_static_selectorELNS0_4arch9wavefront6targetE1EEEvSL_, .Lfunc_end2659-_ZN7rocprim17ROCPRIM_400000_NS6detail17trampoline_kernelINS0_14default_configENS1_38merge_sort_block_merge_config_selectorI14custom_numericNS0_10empty_typeEEEZZNS1_27merge_sort_block_merge_implIS3_N6thrust23THRUST_200600_302600_NS6detail15normal_iteratorINSA_10device_ptrIS5_EEEEPS6_mNSA_7greaterIS5_EEEE10hipError_tT0_T1_T2_jT3_P12ihipStream_tbPNSt15iterator_traitsISK_E10value_typeEPNSQ_ISL_E10value_typeEPSM_NS1_7vsmem_tEENKUlT_SK_SL_SM_E_clIPS5_SF_SG_SG_EESJ_SZ_SK_SL_SM_EUlSZ_E1_NS1_11comp_targetILNS1_3genE10ELNS1_11target_archE1201ELNS1_3gpuE5ELNS1_3repE0EEENS1_36merge_oddeven_config_static_selectorELNS0_4arch9wavefront6targetE1EEEvSL_
                                        ; -- End function
	.section	.AMDGPU.csdata,"",@progbits
; Kernel info:
; codeLenInByte = 0
; NumSgprs: 4
; NumVgprs: 0
; NumAgprs: 0
; TotalNumVgprs: 0
; ScratchSize: 0
; MemoryBound: 0
; FloatMode: 240
; IeeeMode: 1
; LDSByteSize: 0 bytes/workgroup (compile time only)
; SGPRBlocks: 0
; VGPRBlocks: 0
; NumSGPRsForWavesPerEU: 4
; NumVGPRsForWavesPerEU: 1
; AccumOffset: 4
; Occupancy: 8
; WaveLimiterHint : 0
; COMPUTE_PGM_RSRC2:SCRATCH_EN: 0
; COMPUTE_PGM_RSRC2:USER_SGPR: 6
; COMPUTE_PGM_RSRC2:TRAP_HANDLER: 0
; COMPUTE_PGM_RSRC2:TGID_X_EN: 1
; COMPUTE_PGM_RSRC2:TGID_Y_EN: 0
; COMPUTE_PGM_RSRC2:TGID_Z_EN: 0
; COMPUTE_PGM_RSRC2:TIDIG_COMP_CNT: 0
; COMPUTE_PGM_RSRC3_GFX90A:ACCUM_OFFSET: 0
; COMPUTE_PGM_RSRC3_GFX90A:TG_SPLIT: 0
	.section	.text._ZN7rocprim17ROCPRIM_400000_NS6detail17trampoline_kernelINS0_14default_configENS1_38merge_sort_block_merge_config_selectorI14custom_numericNS0_10empty_typeEEEZZNS1_27merge_sort_block_merge_implIS3_N6thrust23THRUST_200600_302600_NS6detail15normal_iteratorINSA_10device_ptrIS5_EEEEPS6_mNSA_7greaterIS5_EEEE10hipError_tT0_T1_T2_jT3_P12ihipStream_tbPNSt15iterator_traitsISK_E10value_typeEPNSQ_ISL_E10value_typeEPSM_NS1_7vsmem_tEENKUlT_SK_SL_SM_E_clIPS5_SF_SG_SG_EESJ_SZ_SK_SL_SM_EUlSZ_E1_NS1_11comp_targetILNS1_3genE5ELNS1_11target_archE942ELNS1_3gpuE9ELNS1_3repE0EEENS1_36merge_oddeven_config_static_selectorELNS0_4arch9wavefront6targetE1EEEvSL_,"axG",@progbits,_ZN7rocprim17ROCPRIM_400000_NS6detail17trampoline_kernelINS0_14default_configENS1_38merge_sort_block_merge_config_selectorI14custom_numericNS0_10empty_typeEEEZZNS1_27merge_sort_block_merge_implIS3_N6thrust23THRUST_200600_302600_NS6detail15normal_iteratorINSA_10device_ptrIS5_EEEEPS6_mNSA_7greaterIS5_EEEE10hipError_tT0_T1_T2_jT3_P12ihipStream_tbPNSt15iterator_traitsISK_E10value_typeEPNSQ_ISL_E10value_typeEPSM_NS1_7vsmem_tEENKUlT_SK_SL_SM_E_clIPS5_SF_SG_SG_EESJ_SZ_SK_SL_SM_EUlSZ_E1_NS1_11comp_targetILNS1_3genE5ELNS1_11target_archE942ELNS1_3gpuE9ELNS1_3repE0EEENS1_36merge_oddeven_config_static_selectorELNS0_4arch9wavefront6targetE1EEEvSL_,comdat
	.protected	_ZN7rocprim17ROCPRIM_400000_NS6detail17trampoline_kernelINS0_14default_configENS1_38merge_sort_block_merge_config_selectorI14custom_numericNS0_10empty_typeEEEZZNS1_27merge_sort_block_merge_implIS3_N6thrust23THRUST_200600_302600_NS6detail15normal_iteratorINSA_10device_ptrIS5_EEEEPS6_mNSA_7greaterIS5_EEEE10hipError_tT0_T1_T2_jT3_P12ihipStream_tbPNSt15iterator_traitsISK_E10value_typeEPNSQ_ISL_E10value_typeEPSM_NS1_7vsmem_tEENKUlT_SK_SL_SM_E_clIPS5_SF_SG_SG_EESJ_SZ_SK_SL_SM_EUlSZ_E1_NS1_11comp_targetILNS1_3genE5ELNS1_11target_archE942ELNS1_3gpuE9ELNS1_3repE0EEENS1_36merge_oddeven_config_static_selectorELNS0_4arch9wavefront6targetE1EEEvSL_ ; -- Begin function _ZN7rocprim17ROCPRIM_400000_NS6detail17trampoline_kernelINS0_14default_configENS1_38merge_sort_block_merge_config_selectorI14custom_numericNS0_10empty_typeEEEZZNS1_27merge_sort_block_merge_implIS3_N6thrust23THRUST_200600_302600_NS6detail15normal_iteratorINSA_10device_ptrIS5_EEEEPS6_mNSA_7greaterIS5_EEEE10hipError_tT0_T1_T2_jT3_P12ihipStream_tbPNSt15iterator_traitsISK_E10value_typeEPNSQ_ISL_E10value_typeEPSM_NS1_7vsmem_tEENKUlT_SK_SL_SM_E_clIPS5_SF_SG_SG_EESJ_SZ_SK_SL_SM_EUlSZ_E1_NS1_11comp_targetILNS1_3genE5ELNS1_11target_archE942ELNS1_3gpuE9ELNS1_3repE0EEENS1_36merge_oddeven_config_static_selectorELNS0_4arch9wavefront6targetE1EEEvSL_
	.globl	_ZN7rocprim17ROCPRIM_400000_NS6detail17trampoline_kernelINS0_14default_configENS1_38merge_sort_block_merge_config_selectorI14custom_numericNS0_10empty_typeEEEZZNS1_27merge_sort_block_merge_implIS3_N6thrust23THRUST_200600_302600_NS6detail15normal_iteratorINSA_10device_ptrIS5_EEEEPS6_mNSA_7greaterIS5_EEEE10hipError_tT0_T1_T2_jT3_P12ihipStream_tbPNSt15iterator_traitsISK_E10value_typeEPNSQ_ISL_E10value_typeEPSM_NS1_7vsmem_tEENKUlT_SK_SL_SM_E_clIPS5_SF_SG_SG_EESJ_SZ_SK_SL_SM_EUlSZ_E1_NS1_11comp_targetILNS1_3genE5ELNS1_11target_archE942ELNS1_3gpuE9ELNS1_3repE0EEENS1_36merge_oddeven_config_static_selectorELNS0_4arch9wavefront6targetE1EEEvSL_
	.p2align	8
	.type	_ZN7rocprim17ROCPRIM_400000_NS6detail17trampoline_kernelINS0_14default_configENS1_38merge_sort_block_merge_config_selectorI14custom_numericNS0_10empty_typeEEEZZNS1_27merge_sort_block_merge_implIS3_N6thrust23THRUST_200600_302600_NS6detail15normal_iteratorINSA_10device_ptrIS5_EEEEPS6_mNSA_7greaterIS5_EEEE10hipError_tT0_T1_T2_jT3_P12ihipStream_tbPNSt15iterator_traitsISK_E10value_typeEPNSQ_ISL_E10value_typeEPSM_NS1_7vsmem_tEENKUlT_SK_SL_SM_E_clIPS5_SF_SG_SG_EESJ_SZ_SK_SL_SM_EUlSZ_E1_NS1_11comp_targetILNS1_3genE5ELNS1_11target_archE942ELNS1_3gpuE9ELNS1_3repE0EEENS1_36merge_oddeven_config_static_selectorELNS0_4arch9wavefront6targetE1EEEvSL_,@function
_ZN7rocprim17ROCPRIM_400000_NS6detail17trampoline_kernelINS0_14default_configENS1_38merge_sort_block_merge_config_selectorI14custom_numericNS0_10empty_typeEEEZZNS1_27merge_sort_block_merge_implIS3_N6thrust23THRUST_200600_302600_NS6detail15normal_iteratorINSA_10device_ptrIS5_EEEEPS6_mNSA_7greaterIS5_EEEE10hipError_tT0_T1_T2_jT3_P12ihipStream_tbPNSt15iterator_traitsISK_E10value_typeEPNSQ_ISL_E10value_typeEPSM_NS1_7vsmem_tEENKUlT_SK_SL_SM_E_clIPS5_SF_SG_SG_EESJ_SZ_SK_SL_SM_EUlSZ_E1_NS1_11comp_targetILNS1_3genE5ELNS1_11target_archE942ELNS1_3gpuE9ELNS1_3repE0EEENS1_36merge_oddeven_config_static_selectorELNS0_4arch9wavefront6targetE1EEEvSL_: ; @_ZN7rocprim17ROCPRIM_400000_NS6detail17trampoline_kernelINS0_14default_configENS1_38merge_sort_block_merge_config_selectorI14custom_numericNS0_10empty_typeEEEZZNS1_27merge_sort_block_merge_implIS3_N6thrust23THRUST_200600_302600_NS6detail15normal_iteratorINSA_10device_ptrIS5_EEEEPS6_mNSA_7greaterIS5_EEEE10hipError_tT0_T1_T2_jT3_P12ihipStream_tbPNSt15iterator_traitsISK_E10value_typeEPNSQ_ISL_E10value_typeEPSM_NS1_7vsmem_tEENKUlT_SK_SL_SM_E_clIPS5_SF_SG_SG_EESJ_SZ_SK_SL_SM_EUlSZ_E1_NS1_11comp_targetILNS1_3genE5ELNS1_11target_archE942ELNS1_3gpuE9ELNS1_3repE0EEENS1_36merge_oddeven_config_static_selectorELNS0_4arch9wavefront6targetE1EEEvSL_
; %bb.0:
	.section	.rodata,"a",@progbits
	.p2align	6, 0x0
	.amdhsa_kernel _ZN7rocprim17ROCPRIM_400000_NS6detail17trampoline_kernelINS0_14default_configENS1_38merge_sort_block_merge_config_selectorI14custom_numericNS0_10empty_typeEEEZZNS1_27merge_sort_block_merge_implIS3_N6thrust23THRUST_200600_302600_NS6detail15normal_iteratorINSA_10device_ptrIS5_EEEEPS6_mNSA_7greaterIS5_EEEE10hipError_tT0_T1_T2_jT3_P12ihipStream_tbPNSt15iterator_traitsISK_E10value_typeEPNSQ_ISL_E10value_typeEPSM_NS1_7vsmem_tEENKUlT_SK_SL_SM_E_clIPS5_SF_SG_SG_EESJ_SZ_SK_SL_SM_EUlSZ_E1_NS1_11comp_targetILNS1_3genE5ELNS1_11target_archE942ELNS1_3gpuE9ELNS1_3repE0EEENS1_36merge_oddeven_config_static_selectorELNS0_4arch9wavefront6targetE1EEEvSL_
		.amdhsa_group_segment_fixed_size 0
		.amdhsa_private_segment_fixed_size 0
		.amdhsa_kernarg_size 56
		.amdhsa_user_sgpr_count 6
		.amdhsa_user_sgpr_private_segment_buffer 1
		.amdhsa_user_sgpr_dispatch_ptr 0
		.amdhsa_user_sgpr_queue_ptr 0
		.amdhsa_user_sgpr_kernarg_segment_ptr 1
		.amdhsa_user_sgpr_dispatch_id 0
		.amdhsa_user_sgpr_flat_scratch_init 0
		.amdhsa_user_sgpr_kernarg_preload_length 0
		.amdhsa_user_sgpr_kernarg_preload_offset 0
		.amdhsa_user_sgpr_private_segment_size 0
		.amdhsa_uses_dynamic_stack 0
		.amdhsa_system_sgpr_private_segment_wavefront_offset 0
		.amdhsa_system_sgpr_workgroup_id_x 1
		.amdhsa_system_sgpr_workgroup_id_y 0
		.amdhsa_system_sgpr_workgroup_id_z 0
		.amdhsa_system_sgpr_workgroup_info 0
		.amdhsa_system_vgpr_workitem_id 0
		.amdhsa_next_free_vgpr 1
		.amdhsa_next_free_sgpr 0
		.amdhsa_accum_offset 4
		.amdhsa_reserve_vcc 0
		.amdhsa_reserve_flat_scratch 0
		.amdhsa_float_round_mode_32 0
		.amdhsa_float_round_mode_16_64 0
		.amdhsa_float_denorm_mode_32 3
		.amdhsa_float_denorm_mode_16_64 3
		.amdhsa_dx10_clamp 1
		.amdhsa_ieee_mode 1
		.amdhsa_fp16_overflow 0
		.amdhsa_tg_split 0
		.amdhsa_exception_fp_ieee_invalid_op 0
		.amdhsa_exception_fp_denorm_src 0
		.amdhsa_exception_fp_ieee_div_zero 0
		.amdhsa_exception_fp_ieee_overflow 0
		.amdhsa_exception_fp_ieee_underflow 0
		.amdhsa_exception_fp_ieee_inexact 0
		.amdhsa_exception_int_div_zero 0
	.end_amdhsa_kernel
	.section	.text._ZN7rocprim17ROCPRIM_400000_NS6detail17trampoline_kernelINS0_14default_configENS1_38merge_sort_block_merge_config_selectorI14custom_numericNS0_10empty_typeEEEZZNS1_27merge_sort_block_merge_implIS3_N6thrust23THRUST_200600_302600_NS6detail15normal_iteratorINSA_10device_ptrIS5_EEEEPS6_mNSA_7greaterIS5_EEEE10hipError_tT0_T1_T2_jT3_P12ihipStream_tbPNSt15iterator_traitsISK_E10value_typeEPNSQ_ISL_E10value_typeEPSM_NS1_7vsmem_tEENKUlT_SK_SL_SM_E_clIPS5_SF_SG_SG_EESJ_SZ_SK_SL_SM_EUlSZ_E1_NS1_11comp_targetILNS1_3genE5ELNS1_11target_archE942ELNS1_3gpuE9ELNS1_3repE0EEENS1_36merge_oddeven_config_static_selectorELNS0_4arch9wavefront6targetE1EEEvSL_,"axG",@progbits,_ZN7rocprim17ROCPRIM_400000_NS6detail17trampoline_kernelINS0_14default_configENS1_38merge_sort_block_merge_config_selectorI14custom_numericNS0_10empty_typeEEEZZNS1_27merge_sort_block_merge_implIS3_N6thrust23THRUST_200600_302600_NS6detail15normal_iteratorINSA_10device_ptrIS5_EEEEPS6_mNSA_7greaterIS5_EEEE10hipError_tT0_T1_T2_jT3_P12ihipStream_tbPNSt15iterator_traitsISK_E10value_typeEPNSQ_ISL_E10value_typeEPSM_NS1_7vsmem_tEENKUlT_SK_SL_SM_E_clIPS5_SF_SG_SG_EESJ_SZ_SK_SL_SM_EUlSZ_E1_NS1_11comp_targetILNS1_3genE5ELNS1_11target_archE942ELNS1_3gpuE9ELNS1_3repE0EEENS1_36merge_oddeven_config_static_selectorELNS0_4arch9wavefront6targetE1EEEvSL_,comdat
.Lfunc_end2660:
	.size	_ZN7rocprim17ROCPRIM_400000_NS6detail17trampoline_kernelINS0_14default_configENS1_38merge_sort_block_merge_config_selectorI14custom_numericNS0_10empty_typeEEEZZNS1_27merge_sort_block_merge_implIS3_N6thrust23THRUST_200600_302600_NS6detail15normal_iteratorINSA_10device_ptrIS5_EEEEPS6_mNSA_7greaterIS5_EEEE10hipError_tT0_T1_T2_jT3_P12ihipStream_tbPNSt15iterator_traitsISK_E10value_typeEPNSQ_ISL_E10value_typeEPSM_NS1_7vsmem_tEENKUlT_SK_SL_SM_E_clIPS5_SF_SG_SG_EESJ_SZ_SK_SL_SM_EUlSZ_E1_NS1_11comp_targetILNS1_3genE5ELNS1_11target_archE942ELNS1_3gpuE9ELNS1_3repE0EEENS1_36merge_oddeven_config_static_selectorELNS0_4arch9wavefront6targetE1EEEvSL_, .Lfunc_end2660-_ZN7rocprim17ROCPRIM_400000_NS6detail17trampoline_kernelINS0_14default_configENS1_38merge_sort_block_merge_config_selectorI14custom_numericNS0_10empty_typeEEEZZNS1_27merge_sort_block_merge_implIS3_N6thrust23THRUST_200600_302600_NS6detail15normal_iteratorINSA_10device_ptrIS5_EEEEPS6_mNSA_7greaterIS5_EEEE10hipError_tT0_T1_T2_jT3_P12ihipStream_tbPNSt15iterator_traitsISK_E10value_typeEPNSQ_ISL_E10value_typeEPSM_NS1_7vsmem_tEENKUlT_SK_SL_SM_E_clIPS5_SF_SG_SG_EESJ_SZ_SK_SL_SM_EUlSZ_E1_NS1_11comp_targetILNS1_3genE5ELNS1_11target_archE942ELNS1_3gpuE9ELNS1_3repE0EEENS1_36merge_oddeven_config_static_selectorELNS0_4arch9wavefront6targetE1EEEvSL_
                                        ; -- End function
	.section	.AMDGPU.csdata,"",@progbits
; Kernel info:
; codeLenInByte = 0
; NumSgprs: 4
; NumVgprs: 0
; NumAgprs: 0
; TotalNumVgprs: 0
; ScratchSize: 0
; MemoryBound: 0
; FloatMode: 240
; IeeeMode: 1
; LDSByteSize: 0 bytes/workgroup (compile time only)
; SGPRBlocks: 0
; VGPRBlocks: 0
; NumSGPRsForWavesPerEU: 4
; NumVGPRsForWavesPerEU: 1
; AccumOffset: 4
; Occupancy: 8
; WaveLimiterHint : 0
; COMPUTE_PGM_RSRC2:SCRATCH_EN: 0
; COMPUTE_PGM_RSRC2:USER_SGPR: 6
; COMPUTE_PGM_RSRC2:TRAP_HANDLER: 0
; COMPUTE_PGM_RSRC2:TGID_X_EN: 1
; COMPUTE_PGM_RSRC2:TGID_Y_EN: 0
; COMPUTE_PGM_RSRC2:TGID_Z_EN: 0
; COMPUTE_PGM_RSRC2:TIDIG_COMP_CNT: 0
; COMPUTE_PGM_RSRC3_GFX90A:ACCUM_OFFSET: 0
; COMPUTE_PGM_RSRC3_GFX90A:TG_SPLIT: 0
	.section	.text._ZN7rocprim17ROCPRIM_400000_NS6detail17trampoline_kernelINS0_14default_configENS1_38merge_sort_block_merge_config_selectorI14custom_numericNS0_10empty_typeEEEZZNS1_27merge_sort_block_merge_implIS3_N6thrust23THRUST_200600_302600_NS6detail15normal_iteratorINSA_10device_ptrIS5_EEEEPS6_mNSA_7greaterIS5_EEEE10hipError_tT0_T1_T2_jT3_P12ihipStream_tbPNSt15iterator_traitsISK_E10value_typeEPNSQ_ISL_E10value_typeEPSM_NS1_7vsmem_tEENKUlT_SK_SL_SM_E_clIPS5_SF_SG_SG_EESJ_SZ_SK_SL_SM_EUlSZ_E1_NS1_11comp_targetILNS1_3genE4ELNS1_11target_archE910ELNS1_3gpuE8ELNS1_3repE0EEENS1_36merge_oddeven_config_static_selectorELNS0_4arch9wavefront6targetE1EEEvSL_,"axG",@progbits,_ZN7rocprim17ROCPRIM_400000_NS6detail17trampoline_kernelINS0_14default_configENS1_38merge_sort_block_merge_config_selectorI14custom_numericNS0_10empty_typeEEEZZNS1_27merge_sort_block_merge_implIS3_N6thrust23THRUST_200600_302600_NS6detail15normal_iteratorINSA_10device_ptrIS5_EEEEPS6_mNSA_7greaterIS5_EEEE10hipError_tT0_T1_T2_jT3_P12ihipStream_tbPNSt15iterator_traitsISK_E10value_typeEPNSQ_ISL_E10value_typeEPSM_NS1_7vsmem_tEENKUlT_SK_SL_SM_E_clIPS5_SF_SG_SG_EESJ_SZ_SK_SL_SM_EUlSZ_E1_NS1_11comp_targetILNS1_3genE4ELNS1_11target_archE910ELNS1_3gpuE8ELNS1_3repE0EEENS1_36merge_oddeven_config_static_selectorELNS0_4arch9wavefront6targetE1EEEvSL_,comdat
	.protected	_ZN7rocprim17ROCPRIM_400000_NS6detail17trampoline_kernelINS0_14default_configENS1_38merge_sort_block_merge_config_selectorI14custom_numericNS0_10empty_typeEEEZZNS1_27merge_sort_block_merge_implIS3_N6thrust23THRUST_200600_302600_NS6detail15normal_iteratorINSA_10device_ptrIS5_EEEEPS6_mNSA_7greaterIS5_EEEE10hipError_tT0_T1_T2_jT3_P12ihipStream_tbPNSt15iterator_traitsISK_E10value_typeEPNSQ_ISL_E10value_typeEPSM_NS1_7vsmem_tEENKUlT_SK_SL_SM_E_clIPS5_SF_SG_SG_EESJ_SZ_SK_SL_SM_EUlSZ_E1_NS1_11comp_targetILNS1_3genE4ELNS1_11target_archE910ELNS1_3gpuE8ELNS1_3repE0EEENS1_36merge_oddeven_config_static_selectorELNS0_4arch9wavefront6targetE1EEEvSL_ ; -- Begin function _ZN7rocprim17ROCPRIM_400000_NS6detail17trampoline_kernelINS0_14default_configENS1_38merge_sort_block_merge_config_selectorI14custom_numericNS0_10empty_typeEEEZZNS1_27merge_sort_block_merge_implIS3_N6thrust23THRUST_200600_302600_NS6detail15normal_iteratorINSA_10device_ptrIS5_EEEEPS6_mNSA_7greaterIS5_EEEE10hipError_tT0_T1_T2_jT3_P12ihipStream_tbPNSt15iterator_traitsISK_E10value_typeEPNSQ_ISL_E10value_typeEPSM_NS1_7vsmem_tEENKUlT_SK_SL_SM_E_clIPS5_SF_SG_SG_EESJ_SZ_SK_SL_SM_EUlSZ_E1_NS1_11comp_targetILNS1_3genE4ELNS1_11target_archE910ELNS1_3gpuE8ELNS1_3repE0EEENS1_36merge_oddeven_config_static_selectorELNS0_4arch9wavefront6targetE1EEEvSL_
	.globl	_ZN7rocprim17ROCPRIM_400000_NS6detail17trampoline_kernelINS0_14default_configENS1_38merge_sort_block_merge_config_selectorI14custom_numericNS0_10empty_typeEEEZZNS1_27merge_sort_block_merge_implIS3_N6thrust23THRUST_200600_302600_NS6detail15normal_iteratorINSA_10device_ptrIS5_EEEEPS6_mNSA_7greaterIS5_EEEE10hipError_tT0_T1_T2_jT3_P12ihipStream_tbPNSt15iterator_traitsISK_E10value_typeEPNSQ_ISL_E10value_typeEPSM_NS1_7vsmem_tEENKUlT_SK_SL_SM_E_clIPS5_SF_SG_SG_EESJ_SZ_SK_SL_SM_EUlSZ_E1_NS1_11comp_targetILNS1_3genE4ELNS1_11target_archE910ELNS1_3gpuE8ELNS1_3repE0EEENS1_36merge_oddeven_config_static_selectorELNS0_4arch9wavefront6targetE1EEEvSL_
	.p2align	8
	.type	_ZN7rocprim17ROCPRIM_400000_NS6detail17trampoline_kernelINS0_14default_configENS1_38merge_sort_block_merge_config_selectorI14custom_numericNS0_10empty_typeEEEZZNS1_27merge_sort_block_merge_implIS3_N6thrust23THRUST_200600_302600_NS6detail15normal_iteratorINSA_10device_ptrIS5_EEEEPS6_mNSA_7greaterIS5_EEEE10hipError_tT0_T1_T2_jT3_P12ihipStream_tbPNSt15iterator_traitsISK_E10value_typeEPNSQ_ISL_E10value_typeEPSM_NS1_7vsmem_tEENKUlT_SK_SL_SM_E_clIPS5_SF_SG_SG_EESJ_SZ_SK_SL_SM_EUlSZ_E1_NS1_11comp_targetILNS1_3genE4ELNS1_11target_archE910ELNS1_3gpuE8ELNS1_3repE0EEENS1_36merge_oddeven_config_static_selectorELNS0_4arch9wavefront6targetE1EEEvSL_,@function
_ZN7rocprim17ROCPRIM_400000_NS6detail17trampoline_kernelINS0_14default_configENS1_38merge_sort_block_merge_config_selectorI14custom_numericNS0_10empty_typeEEEZZNS1_27merge_sort_block_merge_implIS3_N6thrust23THRUST_200600_302600_NS6detail15normal_iteratorINSA_10device_ptrIS5_EEEEPS6_mNSA_7greaterIS5_EEEE10hipError_tT0_T1_T2_jT3_P12ihipStream_tbPNSt15iterator_traitsISK_E10value_typeEPNSQ_ISL_E10value_typeEPSM_NS1_7vsmem_tEENKUlT_SK_SL_SM_E_clIPS5_SF_SG_SG_EESJ_SZ_SK_SL_SM_EUlSZ_E1_NS1_11comp_targetILNS1_3genE4ELNS1_11target_archE910ELNS1_3gpuE8ELNS1_3repE0EEENS1_36merge_oddeven_config_static_selectorELNS0_4arch9wavefront6targetE1EEEvSL_: ; @_ZN7rocprim17ROCPRIM_400000_NS6detail17trampoline_kernelINS0_14default_configENS1_38merge_sort_block_merge_config_selectorI14custom_numericNS0_10empty_typeEEEZZNS1_27merge_sort_block_merge_implIS3_N6thrust23THRUST_200600_302600_NS6detail15normal_iteratorINSA_10device_ptrIS5_EEEEPS6_mNSA_7greaterIS5_EEEE10hipError_tT0_T1_T2_jT3_P12ihipStream_tbPNSt15iterator_traitsISK_E10value_typeEPNSQ_ISL_E10value_typeEPSM_NS1_7vsmem_tEENKUlT_SK_SL_SM_E_clIPS5_SF_SG_SG_EESJ_SZ_SK_SL_SM_EUlSZ_E1_NS1_11comp_targetILNS1_3genE4ELNS1_11target_archE910ELNS1_3gpuE8ELNS1_3repE0EEENS1_36merge_oddeven_config_static_selectorELNS0_4arch9wavefront6targetE1EEEvSL_
; %bb.0:
	s_load_dword s17, s[4:5], 0x20
	s_lshl_b32 s7, s6, 7
	s_waitcnt lgkmcnt(0)
	s_lshr_b32 s0, s17, 7
	s_cmp_lg_u32 s6, s0
	s_cselect_b64 s[14:15], -1, 0
	s_cmp_eq_u32 s6, s0
	s_cselect_b64 s[12:13], -1, 0
	s_sub_i32 s0, s17, s7
	v_cmp_gt_u32_e64 s[2:3], s0, v0
	s_or_b64 s[0:1], s[14:15], s[2:3]
	s_and_saveexec_b64 s[8:9], s[0:1]
	s_cbranch_execz .LBB2661_20
; %bb.1:
	s_load_dwordx4 s[8:11], s[4:5], 0x0
	s_load_dword s18, s[4:5], 0x28
	s_mul_i32 s0, s7, 20
	s_mul_hi_u32 s1, s7, 20
	v_add_u32_e32 v1, s7, v0
	s_waitcnt lgkmcnt(0)
	s_add_u32 s0, s8, s0
	s_addc_u32 s1, s9, s1
	v_mad_u64_u32 v[2:3], s[0:1], v0, 20, s[0:1]
	global_load_dword v2, v[2:3], off
	s_lshr_b32 s0, s18, 7
	s_sub_i32 s1, 0, s0
	s_and_b32 s1, s6, s1
	s_and_b32 s0, s1, s0
	s_lshl_b32 s19, s1, 7
	s_sub_i32 s6, 0, s18
	s_cmp_eq_u32 s0, 0
	s_cselect_b64 s[0:1], -1, 0
	s_and_b64 s[4:5], s[0:1], exec
	s_cselect_b32 s16, s18, s6
	s_add_i32 s16, s16, s19
	s_cmp_lt_u32 s16, s17
	s_cbranch_scc1 .LBB2661_3
; %bb.2:
	v_cmp_gt_u32_e32 vcc, s17, v1
	s_or_b64 s[4:5], vcc, s[14:15]
	s_and_b64 s[4:5], s[4:5], exec
	s_cbranch_execz .LBB2661_4
	s_branch .LBB2661_18
.LBB2661_3:
	s_mov_b64 s[4:5], 0
.LBB2661_4:
	s_min_u32 s14, s16, s17
	s_add_i32 s6, s14, s18
	s_min_u32 s15, s6, s17
	s_min_u32 s6, s19, s14
	s_add_i32 s19, s19, s14
	v_subrev_u32_e32 v0, s19, v1
	v_add_u32_e32 v0, s6, v0
	s_and_b64 vcc, exec, s[12:13]
	s_cbranch_vccz .LBB2661_12
; %bb.5:
                                        ; implicit-def: $vgpr1
	s_and_saveexec_b64 s[6:7], s[2:3]
	s_cbranch_execz .LBB2661_11
; %bb.6:
	s_cmp_ge_u32 s16, s15
	v_mov_b32_e32 v1, s14
	s_cbranch_scc1 .LBB2661_10
; %bb.7:
	s_mov_b64 s[2:3], 0
	v_mov_b32_e32 v3, s15
	v_mov_b32_e32 v1, s14
.LBB2661_8:                             ; =>This Inner Loop Header: Depth=1
	v_add_u32_e32 v4, v1, v3
	v_lshrrev_b32_e32 v6, 1, v4
	v_mad_u64_u32 v[4:5], s[12:13], v6, 20, s[8:9]
	global_load_dword v4, v[4:5], off
	v_add_u32_e32 v5, 1, v6
	s_waitcnt vmcnt(0)
	v_cmp_gt_i32_e32 vcc, v4, v2
	v_cndmask_b32_e64 v7, 0, 1, vcc
	v_cmp_le_i32_e32 vcc, v2, v4
	v_cndmask_b32_e64 v4, 0, 1, vcc
	v_cndmask_b32_e64 v4, v4, v7, s[0:1]
	v_and_b32_e32 v4, 1, v4
	v_cmp_eq_u32_e32 vcc, 1, v4
	v_cndmask_b32_e32 v3, v6, v3, vcc
	v_cndmask_b32_e32 v1, v1, v5, vcc
	v_cmp_ge_u32_e32 vcc, v1, v3
	s_or_b64 s[2:3], vcc, s[2:3]
	s_andn2_b64 exec, exec, s[2:3]
	s_cbranch_execnz .LBB2661_8
; %bb.9:
	s_or_b64 exec, exec, s[2:3]
.LBB2661_10:
	v_add_u32_e32 v1, v1, v0
	s_or_b64 s[4:5], s[4:5], exec
.LBB2661_11:
	s_or_b64 exec, exec, s[6:7]
	s_branch .LBB2661_18
.LBB2661_12:
                                        ; implicit-def: $vgpr1
	s_cbranch_execz .LBB2661_18
; %bb.13:
	s_cmp_ge_u32 s16, s15
	v_mov_b32_e32 v1, s14
	s_cbranch_scc1 .LBB2661_17
; %bb.14:
	s_mov_b64 s[2:3], 0
	v_mov_b32_e32 v3, s15
	v_mov_b32_e32 v1, s14
.LBB2661_15:                            ; =>This Inner Loop Header: Depth=1
	v_add_u32_e32 v4, v1, v3
	v_lshrrev_b32_e32 v6, 1, v4
	v_mad_u64_u32 v[4:5], s[4:5], v6, 20, s[8:9]
	global_load_dword v4, v[4:5], off
	v_add_u32_e32 v5, 1, v6
	s_waitcnt vmcnt(0)
	v_cmp_gt_i32_e32 vcc, v4, v2
	v_cndmask_b32_e64 v7, 0, 1, vcc
	v_cmp_le_i32_e32 vcc, v2, v4
	v_cndmask_b32_e64 v4, 0, 1, vcc
	v_cndmask_b32_e64 v4, v4, v7, s[0:1]
	v_and_b32_e32 v4, 1, v4
	v_cmp_eq_u32_e32 vcc, 1, v4
	v_cndmask_b32_e32 v3, v6, v3, vcc
	v_cndmask_b32_e32 v1, v1, v5, vcc
	v_cmp_ge_u32_e32 vcc, v1, v3
	s_or_b64 s[2:3], vcc, s[2:3]
	s_andn2_b64 exec, exec, s[2:3]
	s_cbranch_execnz .LBB2661_15
; %bb.16:
	s_or_b64 exec, exec, s[2:3]
.LBB2661_17:
	v_add_u32_e32 v1, v1, v0
	s_mov_b64 s[4:5], -1
.LBB2661_18:
	s_and_b64 exec, exec, s[4:5]
	s_cbranch_execz .LBB2661_20
; %bb.19:
	v_mov_b32_e32 v4, s10
	v_mov_b32_e32 v5, s11
	v_mad_u64_u32 v[0:1], s[0:1], v1, 20, v[4:5]
	s_waitcnt vmcnt(0)
	v_mov_b32_e32 v3, v2
	v_mov_b32_e32 v4, v2
	;; [unrolled: 1-line block ×3, first 2 shown]
	global_store_dwordx4 v[0:1], v[2:5], off
	global_store_dword v[0:1], v2, off offset:16
.LBB2661_20:
	s_endpgm
	.section	.rodata,"a",@progbits
	.p2align	6, 0x0
	.amdhsa_kernel _ZN7rocprim17ROCPRIM_400000_NS6detail17trampoline_kernelINS0_14default_configENS1_38merge_sort_block_merge_config_selectorI14custom_numericNS0_10empty_typeEEEZZNS1_27merge_sort_block_merge_implIS3_N6thrust23THRUST_200600_302600_NS6detail15normal_iteratorINSA_10device_ptrIS5_EEEEPS6_mNSA_7greaterIS5_EEEE10hipError_tT0_T1_T2_jT3_P12ihipStream_tbPNSt15iterator_traitsISK_E10value_typeEPNSQ_ISL_E10value_typeEPSM_NS1_7vsmem_tEENKUlT_SK_SL_SM_E_clIPS5_SF_SG_SG_EESJ_SZ_SK_SL_SM_EUlSZ_E1_NS1_11comp_targetILNS1_3genE4ELNS1_11target_archE910ELNS1_3gpuE8ELNS1_3repE0EEENS1_36merge_oddeven_config_static_selectorELNS0_4arch9wavefront6targetE1EEEvSL_
		.amdhsa_group_segment_fixed_size 0
		.amdhsa_private_segment_fixed_size 0
		.amdhsa_kernarg_size 56
		.amdhsa_user_sgpr_count 6
		.amdhsa_user_sgpr_private_segment_buffer 1
		.amdhsa_user_sgpr_dispatch_ptr 0
		.amdhsa_user_sgpr_queue_ptr 0
		.amdhsa_user_sgpr_kernarg_segment_ptr 1
		.amdhsa_user_sgpr_dispatch_id 0
		.amdhsa_user_sgpr_flat_scratch_init 0
		.amdhsa_user_sgpr_kernarg_preload_length 0
		.amdhsa_user_sgpr_kernarg_preload_offset 0
		.amdhsa_user_sgpr_private_segment_size 0
		.amdhsa_uses_dynamic_stack 0
		.amdhsa_system_sgpr_private_segment_wavefront_offset 0
		.amdhsa_system_sgpr_workgroup_id_x 1
		.amdhsa_system_sgpr_workgroup_id_y 0
		.amdhsa_system_sgpr_workgroup_id_z 0
		.amdhsa_system_sgpr_workgroup_info 0
		.amdhsa_system_vgpr_workitem_id 0
		.amdhsa_next_free_vgpr 8
		.amdhsa_next_free_sgpr 20
		.amdhsa_accum_offset 8
		.amdhsa_reserve_vcc 1
		.amdhsa_reserve_flat_scratch 0
		.amdhsa_float_round_mode_32 0
		.amdhsa_float_round_mode_16_64 0
		.amdhsa_float_denorm_mode_32 3
		.amdhsa_float_denorm_mode_16_64 3
		.amdhsa_dx10_clamp 1
		.amdhsa_ieee_mode 1
		.amdhsa_fp16_overflow 0
		.amdhsa_tg_split 0
		.amdhsa_exception_fp_ieee_invalid_op 0
		.amdhsa_exception_fp_denorm_src 0
		.amdhsa_exception_fp_ieee_div_zero 0
		.amdhsa_exception_fp_ieee_overflow 0
		.amdhsa_exception_fp_ieee_underflow 0
		.amdhsa_exception_fp_ieee_inexact 0
		.amdhsa_exception_int_div_zero 0
	.end_amdhsa_kernel
	.section	.text._ZN7rocprim17ROCPRIM_400000_NS6detail17trampoline_kernelINS0_14default_configENS1_38merge_sort_block_merge_config_selectorI14custom_numericNS0_10empty_typeEEEZZNS1_27merge_sort_block_merge_implIS3_N6thrust23THRUST_200600_302600_NS6detail15normal_iteratorINSA_10device_ptrIS5_EEEEPS6_mNSA_7greaterIS5_EEEE10hipError_tT0_T1_T2_jT3_P12ihipStream_tbPNSt15iterator_traitsISK_E10value_typeEPNSQ_ISL_E10value_typeEPSM_NS1_7vsmem_tEENKUlT_SK_SL_SM_E_clIPS5_SF_SG_SG_EESJ_SZ_SK_SL_SM_EUlSZ_E1_NS1_11comp_targetILNS1_3genE4ELNS1_11target_archE910ELNS1_3gpuE8ELNS1_3repE0EEENS1_36merge_oddeven_config_static_selectorELNS0_4arch9wavefront6targetE1EEEvSL_,"axG",@progbits,_ZN7rocprim17ROCPRIM_400000_NS6detail17trampoline_kernelINS0_14default_configENS1_38merge_sort_block_merge_config_selectorI14custom_numericNS0_10empty_typeEEEZZNS1_27merge_sort_block_merge_implIS3_N6thrust23THRUST_200600_302600_NS6detail15normal_iteratorINSA_10device_ptrIS5_EEEEPS6_mNSA_7greaterIS5_EEEE10hipError_tT0_T1_T2_jT3_P12ihipStream_tbPNSt15iterator_traitsISK_E10value_typeEPNSQ_ISL_E10value_typeEPSM_NS1_7vsmem_tEENKUlT_SK_SL_SM_E_clIPS5_SF_SG_SG_EESJ_SZ_SK_SL_SM_EUlSZ_E1_NS1_11comp_targetILNS1_3genE4ELNS1_11target_archE910ELNS1_3gpuE8ELNS1_3repE0EEENS1_36merge_oddeven_config_static_selectorELNS0_4arch9wavefront6targetE1EEEvSL_,comdat
.Lfunc_end2661:
	.size	_ZN7rocprim17ROCPRIM_400000_NS6detail17trampoline_kernelINS0_14default_configENS1_38merge_sort_block_merge_config_selectorI14custom_numericNS0_10empty_typeEEEZZNS1_27merge_sort_block_merge_implIS3_N6thrust23THRUST_200600_302600_NS6detail15normal_iteratorINSA_10device_ptrIS5_EEEEPS6_mNSA_7greaterIS5_EEEE10hipError_tT0_T1_T2_jT3_P12ihipStream_tbPNSt15iterator_traitsISK_E10value_typeEPNSQ_ISL_E10value_typeEPSM_NS1_7vsmem_tEENKUlT_SK_SL_SM_E_clIPS5_SF_SG_SG_EESJ_SZ_SK_SL_SM_EUlSZ_E1_NS1_11comp_targetILNS1_3genE4ELNS1_11target_archE910ELNS1_3gpuE8ELNS1_3repE0EEENS1_36merge_oddeven_config_static_selectorELNS0_4arch9wavefront6targetE1EEEvSL_, .Lfunc_end2661-_ZN7rocprim17ROCPRIM_400000_NS6detail17trampoline_kernelINS0_14default_configENS1_38merge_sort_block_merge_config_selectorI14custom_numericNS0_10empty_typeEEEZZNS1_27merge_sort_block_merge_implIS3_N6thrust23THRUST_200600_302600_NS6detail15normal_iteratorINSA_10device_ptrIS5_EEEEPS6_mNSA_7greaterIS5_EEEE10hipError_tT0_T1_T2_jT3_P12ihipStream_tbPNSt15iterator_traitsISK_E10value_typeEPNSQ_ISL_E10value_typeEPSM_NS1_7vsmem_tEENKUlT_SK_SL_SM_E_clIPS5_SF_SG_SG_EESJ_SZ_SK_SL_SM_EUlSZ_E1_NS1_11comp_targetILNS1_3genE4ELNS1_11target_archE910ELNS1_3gpuE8ELNS1_3repE0EEENS1_36merge_oddeven_config_static_selectorELNS0_4arch9wavefront6targetE1EEEvSL_
                                        ; -- End function
	.section	.AMDGPU.csdata,"",@progbits
; Kernel info:
; codeLenInByte = 572
; NumSgprs: 24
; NumVgprs: 8
; NumAgprs: 0
; TotalNumVgprs: 8
; ScratchSize: 0
; MemoryBound: 0
; FloatMode: 240
; IeeeMode: 1
; LDSByteSize: 0 bytes/workgroup (compile time only)
; SGPRBlocks: 2
; VGPRBlocks: 0
; NumSGPRsForWavesPerEU: 24
; NumVGPRsForWavesPerEU: 8
; AccumOffset: 8
; Occupancy: 8
; WaveLimiterHint : 0
; COMPUTE_PGM_RSRC2:SCRATCH_EN: 0
; COMPUTE_PGM_RSRC2:USER_SGPR: 6
; COMPUTE_PGM_RSRC2:TRAP_HANDLER: 0
; COMPUTE_PGM_RSRC2:TGID_X_EN: 1
; COMPUTE_PGM_RSRC2:TGID_Y_EN: 0
; COMPUTE_PGM_RSRC2:TGID_Z_EN: 0
; COMPUTE_PGM_RSRC2:TIDIG_COMP_CNT: 0
; COMPUTE_PGM_RSRC3_GFX90A:ACCUM_OFFSET: 1
; COMPUTE_PGM_RSRC3_GFX90A:TG_SPLIT: 0
	.section	.text._ZN7rocprim17ROCPRIM_400000_NS6detail17trampoline_kernelINS0_14default_configENS1_38merge_sort_block_merge_config_selectorI14custom_numericNS0_10empty_typeEEEZZNS1_27merge_sort_block_merge_implIS3_N6thrust23THRUST_200600_302600_NS6detail15normal_iteratorINSA_10device_ptrIS5_EEEEPS6_mNSA_7greaterIS5_EEEE10hipError_tT0_T1_T2_jT3_P12ihipStream_tbPNSt15iterator_traitsISK_E10value_typeEPNSQ_ISL_E10value_typeEPSM_NS1_7vsmem_tEENKUlT_SK_SL_SM_E_clIPS5_SF_SG_SG_EESJ_SZ_SK_SL_SM_EUlSZ_E1_NS1_11comp_targetILNS1_3genE3ELNS1_11target_archE908ELNS1_3gpuE7ELNS1_3repE0EEENS1_36merge_oddeven_config_static_selectorELNS0_4arch9wavefront6targetE1EEEvSL_,"axG",@progbits,_ZN7rocprim17ROCPRIM_400000_NS6detail17trampoline_kernelINS0_14default_configENS1_38merge_sort_block_merge_config_selectorI14custom_numericNS0_10empty_typeEEEZZNS1_27merge_sort_block_merge_implIS3_N6thrust23THRUST_200600_302600_NS6detail15normal_iteratorINSA_10device_ptrIS5_EEEEPS6_mNSA_7greaterIS5_EEEE10hipError_tT0_T1_T2_jT3_P12ihipStream_tbPNSt15iterator_traitsISK_E10value_typeEPNSQ_ISL_E10value_typeEPSM_NS1_7vsmem_tEENKUlT_SK_SL_SM_E_clIPS5_SF_SG_SG_EESJ_SZ_SK_SL_SM_EUlSZ_E1_NS1_11comp_targetILNS1_3genE3ELNS1_11target_archE908ELNS1_3gpuE7ELNS1_3repE0EEENS1_36merge_oddeven_config_static_selectorELNS0_4arch9wavefront6targetE1EEEvSL_,comdat
	.protected	_ZN7rocprim17ROCPRIM_400000_NS6detail17trampoline_kernelINS0_14default_configENS1_38merge_sort_block_merge_config_selectorI14custom_numericNS0_10empty_typeEEEZZNS1_27merge_sort_block_merge_implIS3_N6thrust23THRUST_200600_302600_NS6detail15normal_iteratorINSA_10device_ptrIS5_EEEEPS6_mNSA_7greaterIS5_EEEE10hipError_tT0_T1_T2_jT3_P12ihipStream_tbPNSt15iterator_traitsISK_E10value_typeEPNSQ_ISL_E10value_typeEPSM_NS1_7vsmem_tEENKUlT_SK_SL_SM_E_clIPS5_SF_SG_SG_EESJ_SZ_SK_SL_SM_EUlSZ_E1_NS1_11comp_targetILNS1_3genE3ELNS1_11target_archE908ELNS1_3gpuE7ELNS1_3repE0EEENS1_36merge_oddeven_config_static_selectorELNS0_4arch9wavefront6targetE1EEEvSL_ ; -- Begin function _ZN7rocprim17ROCPRIM_400000_NS6detail17trampoline_kernelINS0_14default_configENS1_38merge_sort_block_merge_config_selectorI14custom_numericNS0_10empty_typeEEEZZNS1_27merge_sort_block_merge_implIS3_N6thrust23THRUST_200600_302600_NS6detail15normal_iteratorINSA_10device_ptrIS5_EEEEPS6_mNSA_7greaterIS5_EEEE10hipError_tT0_T1_T2_jT3_P12ihipStream_tbPNSt15iterator_traitsISK_E10value_typeEPNSQ_ISL_E10value_typeEPSM_NS1_7vsmem_tEENKUlT_SK_SL_SM_E_clIPS5_SF_SG_SG_EESJ_SZ_SK_SL_SM_EUlSZ_E1_NS1_11comp_targetILNS1_3genE3ELNS1_11target_archE908ELNS1_3gpuE7ELNS1_3repE0EEENS1_36merge_oddeven_config_static_selectorELNS0_4arch9wavefront6targetE1EEEvSL_
	.globl	_ZN7rocprim17ROCPRIM_400000_NS6detail17trampoline_kernelINS0_14default_configENS1_38merge_sort_block_merge_config_selectorI14custom_numericNS0_10empty_typeEEEZZNS1_27merge_sort_block_merge_implIS3_N6thrust23THRUST_200600_302600_NS6detail15normal_iteratorINSA_10device_ptrIS5_EEEEPS6_mNSA_7greaterIS5_EEEE10hipError_tT0_T1_T2_jT3_P12ihipStream_tbPNSt15iterator_traitsISK_E10value_typeEPNSQ_ISL_E10value_typeEPSM_NS1_7vsmem_tEENKUlT_SK_SL_SM_E_clIPS5_SF_SG_SG_EESJ_SZ_SK_SL_SM_EUlSZ_E1_NS1_11comp_targetILNS1_3genE3ELNS1_11target_archE908ELNS1_3gpuE7ELNS1_3repE0EEENS1_36merge_oddeven_config_static_selectorELNS0_4arch9wavefront6targetE1EEEvSL_
	.p2align	8
	.type	_ZN7rocprim17ROCPRIM_400000_NS6detail17trampoline_kernelINS0_14default_configENS1_38merge_sort_block_merge_config_selectorI14custom_numericNS0_10empty_typeEEEZZNS1_27merge_sort_block_merge_implIS3_N6thrust23THRUST_200600_302600_NS6detail15normal_iteratorINSA_10device_ptrIS5_EEEEPS6_mNSA_7greaterIS5_EEEE10hipError_tT0_T1_T2_jT3_P12ihipStream_tbPNSt15iterator_traitsISK_E10value_typeEPNSQ_ISL_E10value_typeEPSM_NS1_7vsmem_tEENKUlT_SK_SL_SM_E_clIPS5_SF_SG_SG_EESJ_SZ_SK_SL_SM_EUlSZ_E1_NS1_11comp_targetILNS1_3genE3ELNS1_11target_archE908ELNS1_3gpuE7ELNS1_3repE0EEENS1_36merge_oddeven_config_static_selectorELNS0_4arch9wavefront6targetE1EEEvSL_,@function
_ZN7rocprim17ROCPRIM_400000_NS6detail17trampoline_kernelINS0_14default_configENS1_38merge_sort_block_merge_config_selectorI14custom_numericNS0_10empty_typeEEEZZNS1_27merge_sort_block_merge_implIS3_N6thrust23THRUST_200600_302600_NS6detail15normal_iteratorINSA_10device_ptrIS5_EEEEPS6_mNSA_7greaterIS5_EEEE10hipError_tT0_T1_T2_jT3_P12ihipStream_tbPNSt15iterator_traitsISK_E10value_typeEPNSQ_ISL_E10value_typeEPSM_NS1_7vsmem_tEENKUlT_SK_SL_SM_E_clIPS5_SF_SG_SG_EESJ_SZ_SK_SL_SM_EUlSZ_E1_NS1_11comp_targetILNS1_3genE3ELNS1_11target_archE908ELNS1_3gpuE7ELNS1_3repE0EEENS1_36merge_oddeven_config_static_selectorELNS0_4arch9wavefront6targetE1EEEvSL_: ; @_ZN7rocprim17ROCPRIM_400000_NS6detail17trampoline_kernelINS0_14default_configENS1_38merge_sort_block_merge_config_selectorI14custom_numericNS0_10empty_typeEEEZZNS1_27merge_sort_block_merge_implIS3_N6thrust23THRUST_200600_302600_NS6detail15normal_iteratorINSA_10device_ptrIS5_EEEEPS6_mNSA_7greaterIS5_EEEE10hipError_tT0_T1_T2_jT3_P12ihipStream_tbPNSt15iterator_traitsISK_E10value_typeEPNSQ_ISL_E10value_typeEPSM_NS1_7vsmem_tEENKUlT_SK_SL_SM_E_clIPS5_SF_SG_SG_EESJ_SZ_SK_SL_SM_EUlSZ_E1_NS1_11comp_targetILNS1_3genE3ELNS1_11target_archE908ELNS1_3gpuE7ELNS1_3repE0EEENS1_36merge_oddeven_config_static_selectorELNS0_4arch9wavefront6targetE1EEEvSL_
; %bb.0:
	.section	.rodata,"a",@progbits
	.p2align	6, 0x0
	.amdhsa_kernel _ZN7rocprim17ROCPRIM_400000_NS6detail17trampoline_kernelINS0_14default_configENS1_38merge_sort_block_merge_config_selectorI14custom_numericNS0_10empty_typeEEEZZNS1_27merge_sort_block_merge_implIS3_N6thrust23THRUST_200600_302600_NS6detail15normal_iteratorINSA_10device_ptrIS5_EEEEPS6_mNSA_7greaterIS5_EEEE10hipError_tT0_T1_T2_jT3_P12ihipStream_tbPNSt15iterator_traitsISK_E10value_typeEPNSQ_ISL_E10value_typeEPSM_NS1_7vsmem_tEENKUlT_SK_SL_SM_E_clIPS5_SF_SG_SG_EESJ_SZ_SK_SL_SM_EUlSZ_E1_NS1_11comp_targetILNS1_3genE3ELNS1_11target_archE908ELNS1_3gpuE7ELNS1_3repE0EEENS1_36merge_oddeven_config_static_selectorELNS0_4arch9wavefront6targetE1EEEvSL_
		.amdhsa_group_segment_fixed_size 0
		.amdhsa_private_segment_fixed_size 0
		.amdhsa_kernarg_size 56
		.amdhsa_user_sgpr_count 6
		.amdhsa_user_sgpr_private_segment_buffer 1
		.amdhsa_user_sgpr_dispatch_ptr 0
		.amdhsa_user_sgpr_queue_ptr 0
		.amdhsa_user_sgpr_kernarg_segment_ptr 1
		.amdhsa_user_sgpr_dispatch_id 0
		.amdhsa_user_sgpr_flat_scratch_init 0
		.amdhsa_user_sgpr_kernarg_preload_length 0
		.amdhsa_user_sgpr_kernarg_preload_offset 0
		.amdhsa_user_sgpr_private_segment_size 0
		.amdhsa_uses_dynamic_stack 0
		.amdhsa_system_sgpr_private_segment_wavefront_offset 0
		.amdhsa_system_sgpr_workgroup_id_x 1
		.amdhsa_system_sgpr_workgroup_id_y 0
		.amdhsa_system_sgpr_workgroup_id_z 0
		.amdhsa_system_sgpr_workgroup_info 0
		.amdhsa_system_vgpr_workitem_id 0
		.amdhsa_next_free_vgpr 1
		.amdhsa_next_free_sgpr 0
		.amdhsa_accum_offset 4
		.amdhsa_reserve_vcc 0
		.amdhsa_reserve_flat_scratch 0
		.amdhsa_float_round_mode_32 0
		.amdhsa_float_round_mode_16_64 0
		.amdhsa_float_denorm_mode_32 3
		.amdhsa_float_denorm_mode_16_64 3
		.amdhsa_dx10_clamp 1
		.amdhsa_ieee_mode 1
		.amdhsa_fp16_overflow 0
		.amdhsa_tg_split 0
		.amdhsa_exception_fp_ieee_invalid_op 0
		.amdhsa_exception_fp_denorm_src 0
		.amdhsa_exception_fp_ieee_div_zero 0
		.amdhsa_exception_fp_ieee_overflow 0
		.amdhsa_exception_fp_ieee_underflow 0
		.amdhsa_exception_fp_ieee_inexact 0
		.amdhsa_exception_int_div_zero 0
	.end_amdhsa_kernel
	.section	.text._ZN7rocprim17ROCPRIM_400000_NS6detail17trampoline_kernelINS0_14default_configENS1_38merge_sort_block_merge_config_selectorI14custom_numericNS0_10empty_typeEEEZZNS1_27merge_sort_block_merge_implIS3_N6thrust23THRUST_200600_302600_NS6detail15normal_iteratorINSA_10device_ptrIS5_EEEEPS6_mNSA_7greaterIS5_EEEE10hipError_tT0_T1_T2_jT3_P12ihipStream_tbPNSt15iterator_traitsISK_E10value_typeEPNSQ_ISL_E10value_typeEPSM_NS1_7vsmem_tEENKUlT_SK_SL_SM_E_clIPS5_SF_SG_SG_EESJ_SZ_SK_SL_SM_EUlSZ_E1_NS1_11comp_targetILNS1_3genE3ELNS1_11target_archE908ELNS1_3gpuE7ELNS1_3repE0EEENS1_36merge_oddeven_config_static_selectorELNS0_4arch9wavefront6targetE1EEEvSL_,"axG",@progbits,_ZN7rocprim17ROCPRIM_400000_NS6detail17trampoline_kernelINS0_14default_configENS1_38merge_sort_block_merge_config_selectorI14custom_numericNS0_10empty_typeEEEZZNS1_27merge_sort_block_merge_implIS3_N6thrust23THRUST_200600_302600_NS6detail15normal_iteratorINSA_10device_ptrIS5_EEEEPS6_mNSA_7greaterIS5_EEEE10hipError_tT0_T1_T2_jT3_P12ihipStream_tbPNSt15iterator_traitsISK_E10value_typeEPNSQ_ISL_E10value_typeEPSM_NS1_7vsmem_tEENKUlT_SK_SL_SM_E_clIPS5_SF_SG_SG_EESJ_SZ_SK_SL_SM_EUlSZ_E1_NS1_11comp_targetILNS1_3genE3ELNS1_11target_archE908ELNS1_3gpuE7ELNS1_3repE0EEENS1_36merge_oddeven_config_static_selectorELNS0_4arch9wavefront6targetE1EEEvSL_,comdat
.Lfunc_end2662:
	.size	_ZN7rocprim17ROCPRIM_400000_NS6detail17trampoline_kernelINS0_14default_configENS1_38merge_sort_block_merge_config_selectorI14custom_numericNS0_10empty_typeEEEZZNS1_27merge_sort_block_merge_implIS3_N6thrust23THRUST_200600_302600_NS6detail15normal_iteratorINSA_10device_ptrIS5_EEEEPS6_mNSA_7greaterIS5_EEEE10hipError_tT0_T1_T2_jT3_P12ihipStream_tbPNSt15iterator_traitsISK_E10value_typeEPNSQ_ISL_E10value_typeEPSM_NS1_7vsmem_tEENKUlT_SK_SL_SM_E_clIPS5_SF_SG_SG_EESJ_SZ_SK_SL_SM_EUlSZ_E1_NS1_11comp_targetILNS1_3genE3ELNS1_11target_archE908ELNS1_3gpuE7ELNS1_3repE0EEENS1_36merge_oddeven_config_static_selectorELNS0_4arch9wavefront6targetE1EEEvSL_, .Lfunc_end2662-_ZN7rocprim17ROCPRIM_400000_NS6detail17trampoline_kernelINS0_14default_configENS1_38merge_sort_block_merge_config_selectorI14custom_numericNS0_10empty_typeEEEZZNS1_27merge_sort_block_merge_implIS3_N6thrust23THRUST_200600_302600_NS6detail15normal_iteratorINSA_10device_ptrIS5_EEEEPS6_mNSA_7greaterIS5_EEEE10hipError_tT0_T1_T2_jT3_P12ihipStream_tbPNSt15iterator_traitsISK_E10value_typeEPNSQ_ISL_E10value_typeEPSM_NS1_7vsmem_tEENKUlT_SK_SL_SM_E_clIPS5_SF_SG_SG_EESJ_SZ_SK_SL_SM_EUlSZ_E1_NS1_11comp_targetILNS1_3genE3ELNS1_11target_archE908ELNS1_3gpuE7ELNS1_3repE0EEENS1_36merge_oddeven_config_static_selectorELNS0_4arch9wavefront6targetE1EEEvSL_
                                        ; -- End function
	.section	.AMDGPU.csdata,"",@progbits
; Kernel info:
; codeLenInByte = 0
; NumSgprs: 4
; NumVgprs: 0
; NumAgprs: 0
; TotalNumVgprs: 0
; ScratchSize: 0
; MemoryBound: 0
; FloatMode: 240
; IeeeMode: 1
; LDSByteSize: 0 bytes/workgroup (compile time only)
; SGPRBlocks: 0
; VGPRBlocks: 0
; NumSGPRsForWavesPerEU: 4
; NumVGPRsForWavesPerEU: 1
; AccumOffset: 4
; Occupancy: 8
; WaveLimiterHint : 0
; COMPUTE_PGM_RSRC2:SCRATCH_EN: 0
; COMPUTE_PGM_RSRC2:USER_SGPR: 6
; COMPUTE_PGM_RSRC2:TRAP_HANDLER: 0
; COMPUTE_PGM_RSRC2:TGID_X_EN: 1
; COMPUTE_PGM_RSRC2:TGID_Y_EN: 0
; COMPUTE_PGM_RSRC2:TGID_Z_EN: 0
; COMPUTE_PGM_RSRC2:TIDIG_COMP_CNT: 0
; COMPUTE_PGM_RSRC3_GFX90A:ACCUM_OFFSET: 0
; COMPUTE_PGM_RSRC3_GFX90A:TG_SPLIT: 0
	.section	.text._ZN7rocprim17ROCPRIM_400000_NS6detail17trampoline_kernelINS0_14default_configENS1_38merge_sort_block_merge_config_selectorI14custom_numericNS0_10empty_typeEEEZZNS1_27merge_sort_block_merge_implIS3_N6thrust23THRUST_200600_302600_NS6detail15normal_iteratorINSA_10device_ptrIS5_EEEEPS6_mNSA_7greaterIS5_EEEE10hipError_tT0_T1_T2_jT3_P12ihipStream_tbPNSt15iterator_traitsISK_E10value_typeEPNSQ_ISL_E10value_typeEPSM_NS1_7vsmem_tEENKUlT_SK_SL_SM_E_clIPS5_SF_SG_SG_EESJ_SZ_SK_SL_SM_EUlSZ_E1_NS1_11comp_targetILNS1_3genE2ELNS1_11target_archE906ELNS1_3gpuE6ELNS1_3repE0EEENS1_36merge_oddeven_config_static_selectorELNS0_4arch9wavefront6targetE1EEEvSL_,"axG",@progbits,_ZN7rocprim17ROCPRIM_400000_NS6detail17trampoline_kernelINS0_14default_configENS1_38merge_sort_block_merge_config_selectorI14custom_numericNS0_10empty_typeEEEZZNS1_27merge_sort_block_merge_implIS3_N6thrust23THRUST_200600_302600_NS6detail15normal_iteratorINSA_10device_ptrIS5_EEEEPS6_mNSA_7greaterIS5_EEEE10hipError_tT0_T1_T2_jT3_P12ihipStream_tbPNSt15iterator_traitsISK_E10value_typeEPNSQ_ISL_E10value_typeEPSM_NS1_7vsmem_tEENKUlT_SK_SL_SM_E_clIPS5_SF_SG_SG_EESJ_SZ_SK_SL_SM_EUlSZ_E1_NS1_11comp_targetILNS1_3genE2ELNS1_11target_archE906ELNS1_3gpuE6ELNS1_3repE0EEENS1_36merge_oddeven_config_static_selectorELNS0_4arch9wavefront6targetE1EEEvSL_,comdat
	.protected	_ZN7rocprim17ROCPRIM_400000_NS6detail17trampoline_kernelINS0_14default_configENS1_38merge_sort_block_merge_config_selectorI14custom_numericNS0_10empty_typeEEEZZNS1_27merge_sort_block_merge_implIS3_N6thrust23THRUST_200600_302600_NS6detail15normal_iteratorINSA_10device_ptrIS5_EEEEPS6_mNSA_7greaterIS5_EEEE10hipError_tT0_T1_T2_jT3_P12ihipStream_tbPNSt15iterator_traitsISK_E10value_typeEPNSQ_ISL_E10value_typeEPSM_NS1_7vsmem_tEENKUlT_SK_SL_SM_E_clIPS5_SF_SG_SG_EESJ_SZ_SK_SL_SM_EUlSZ_E1_NS1_11comp_targetILNS1_3genE2ELNS1_11target_archE906ELNS1_3gpuE6ELNS1_3repE0EEENS1_36merge_oddeven_config_static_selectorELNS0_4arch9wavefront6targetE1EEEvSL_ ; -- Begin function _ZN7rocprim17ROCPRIM_400000_NS6detail17trampoline_kernelINS0_14default_configENS1_38merge_sort_block_merge_config_selectorI14custom_numericNS0_10empty_typeEEEZZNS1_27merge_sort_block_merge_implIS3_N6thrust23THRUST_200600_302600_NS6detail15normal_iteratorINSA_10device_ptrIS5_EEEEPS6_mNSA_7greaterIS5_EEEE10hipError_tT0_T1_T2_jT3_P12ihipStream_tbPNSt15iterator_traitsISK_E10value_typeEPNSQ_ISL_E10value_typeEPSM_NS1_7vsmem_tEENKUlT_SK_SL_SM_E_clIPS5_SF_SG_SG_EESJ_SZ_SK_SL_SM_EUlSZ_E1_NS1_11comp_targetILNS1_3genE2ELNS1_11target_archE906ELNS1_3gpuE6ELNS1_3repE0EEENS1_36merge_oddeven_config_static_selectorELNS0_4arch9wavefront6targetE1EEEvSL_
	.globl	_ZN7rocprim17ROCPRIM_400000_NS6detail17trampoline_kernelINS0_14default_configENS1_38merge_sort_block_merge_config_selectorI14custom_numericNS0_10empty_typeEEEZZNS1_27merge_sort_block_merge_implIS3_N6thrust23THRUST_200600_302600_NS6detail15normal_iteratorINSA_10device_ptrIS5_EEEEPS6_mNSA_7greaterIS5_EEEE10hipError_tT0_T1_T2_jT3_P12ihipStream_tbPNSt15iterator_traitsISK_E10value_typeEPNSQ_ISL_E10value_typeEPSM_NS1_7vsmem_tEENKUlT_SK_SL_SM_E_clIPS5_SF_SG_SG_EESJ_SZ_SK_SL_SM_EUlSZ_E1_NS1_11comp_targetILNS1_3genE2ELNS1_11target_archE906ELNS1_3gpuE6ELNS1_3repE0EEENS1_36merge_oddeven_config_static_selectorELNS0_4arch9wavefront6targetE1EEEvSL_
	.p2align	8
	.type	_ZN7rocprim17ROCPRIM_400000_NS6detail17trampoline_kernelINS0_14default_configENS1_38merge_sort_block_merge_config_selectorI14custom_numericNS0_10empty_typeEEEZZNS1_27merge_sort_block_merge_implIS3_N6thrust23THRUST_200600_302600_NS6detail15normal_iteratorINSA_10device_ptrIS5_EEEEPS6_mNSA_7greaterIS5_EEEE10hipError_tT0_T1_T2_jT3_P12ihipStream_tbPNSt15iterator_traitsISK_E10value_typeEPNSQ_ISL_E10value_typeEPSM_NS1_7vsmem_tEENKUlT_SK_SL_SM_E_clIPS5_SF_SG_SG_EESJ_SZ_SK_SL_SM_EUlSZ_E1_NS1_11comp_targetILNS1_3genE2ELNS1_11target_archE906ELNS1_3gpuE6ELNS1_3repE0EEENS1_36merge_oddeven_config_static_selectorELNS0_4arch9wavefront6targetE1EEEvSL_,@function
_ZN7rocprim17ROCPRIM_400000_NS6detail17trampoline_kernelINS0_14default_configENS1_38merge_sort_block_merge_config_selectorI14custom_numericNS0_10empty_typeEEEZZNS1_27merge_sort_block_merge_implIS3_N6thrust23THRUST_200600_302600_NS6detail15normal_iteratorINSA_10device_ptrIS5_EEEEPS6_mNSA_7greaterIS5_EEEE10hipError_tT0_T1_T2_jT3_P12ihipStream_tbPNSt15iterator_traitsISK_E10value_typeEPNSQ_ISL_E10value_typeEPSM_NS1_7vsmem_tEENKUlT_SK_SL_SM_E_clIPS5_SF_SG_SG_EESJ_SZ_SK_SL_SM_EUlSZ_E1_NS1_11comp_targetILNS1_3genE2ELNS1_11target_archE906ELNS1_3gpuE6ELNS1_3repE0EEENS1_36merge_oddeven_config_static_selectorELNS0_4arch9wavefront6targetE1EEEvSL_: ; @_ZN7rocprim17ROCPRIM_400000_NS6detail17trampoline_kernelINS0_14default_configENS1_38merge_sort_block_merge_config_selectorI14custom_numericNS0_10empty_typeEEEZZNS1_27merge_sort_block_merge_implIS3_N6thrust23THRUST_200600_302600_NS6detail15normal_iteratorINSA_10device_ptrIS5_EEEEPS6_mNSA_7greaterIS5_EEEE10hipError_tT0_T1_T2_jT3_P12ihipStream_tbPNSt15iterator_traitsISK_E10value_typeEPNSQ_ISL_E10value_typeEPSM_NS1_7vsmem_tEENKUlT_SK_SL_SM_E_clIPS5_SF_SG_SG_EESJ_SZ_SK_SL_SM_EUlSZ_E1_NS1_11comp_targetILNS1_3genE2ELNS1_11target_archE906ELNS1_3gpuE6ELNS1_3repE0EEENS1_36merge_oddeven_config_static_selectorELNS0_4arch9wavefront6targetE1EEEvSL_
; %bb.0:
	.section	.rodata,"a",@progbits
	.p2align	6, 0x0
	.amdhsa_kernel _ZN7rocprim17ROCPRIM_400000_NS6detail17trampoline_kernelINS0_14default_configENS1_38merge_sort_block_merge_config_selectorI14custom_numericNS0_10empty_typeEEEZZNS1_27merge_sort_block_merge_implIS3_N6thrust23THRUST_200600_302600_NS6detail15normal_iteratorINSA_10device_ptrIS5_EEEEPS6_mNSA_7greaterIS5_EEEE10hipError_tT0_T1_T2_jT3_P12ihipStream_tbPNSt15iterator_traitsISK_E10value_typeEPNSQ_ISL_E10value_typeEPSM_NS1_7vsmem_tEENKUlT_SK_SL_SM_E_clIPS5_SF_SG_SG_EESJ_SZ_SK_SL_SM_EUlSZ_E1_NS1_11comp_targetILNS1_3genE2ELNS1_11target_archE906ELNS1_3gpuE6ELNS1_3repE0EEENS1_36merge_oddeven_config_static_selectorELNS0_4arch9wavefront6targetE1EEEvSL_
		.amdhsa_group_segment_fixed_size 0
		.amdhsa_private_segment_fixed_size 0
		.amdhsa_kernarg_size 56
		.amdhsa_user_sgpr_count 6
		.amdhsa_user_sgpr_private_segment_buffer 1
		.amdhsa_user_sgpr_dispatch_ptr 0
		.amdhsa_user_sgpr_queue_ptr 0
		.amdhsa_user_sgpr_kernarg_segment_ptr 1
		.amdhsa_user_sgpr_dispatch_id 0
		.amdhsa_user_sgpr_flat_scratch_init 0
		.amdhsa_user_sgpr_kernarg_preload_length 0
		.amdhsa_user_sgpr_kernarg_preload_offset 0
		.amdhsa_user_sgpr_private_segment_size 0
		.amdhsa_uses_dynamic_stack 0
		.amdhsa_system_sgpr_private_segment_wavefront_offset 0
		.amdhsa_system_sgpr_workgroup_id_x 1
		.amdhsa_system_sgpr_workgroup_id_y 0
		.amdhsa_system_sgpr_workgroup_id_z 0
		.amdhsa_system_sgpr_workgroup_info 0
		.amdhsa_system_vgpr_workitem_id 0
		.amdhsa_next_free_vgpr 1
		.amdhsa_next_free_sgpr 0
		.amdhsa_accum_offset 4
		.amdhsa_reserve_vcc 0
		.amdhsa_reserve_flat_scratch 0
		.amdhsa_float_round_mode_32 0
		.amdhsa_float_round_mode_16_64 0
		.amdhsa_float_denorm_mode_32 3
		.amdhsa_float_denorm_mode_16_64 3
		.amdhsa_dx10_clamp 1
		.amdhsa_ieee_mode 1
		.amdhsa_fp16_overflow 0
		.amdhsa_tg_split 0
		.amdhsa_exception_fp_ieee_invalid_op 0
		.amdhsa_exception_fp_denorm_src 0
		.amdhsa_exception_fp_ieee_div_zero 0
		.amdhsa_exception_fp_ieee_overflow 0
		.amdhsa_exception_fp_ieee_underflow 0
		.amdhsa_exception_fp_ieee_inexact 0
		.amdhsa_exception_int_div_zero 0
	.end_amdhsa_kernel
	.section	.text._ZN7rocprim17ROCPRIM_400000_NS6detail17trampoline_kernelINS0_14default_configENS1_38merge_sort_block_merge_config_selectorI14custom_numericNS0_10empty_typeEEEZZNS1_27merge_sort_block_merge_implIS3_N6thrust23THRUST_200600_302600_NS6detail15normal_iteratorINSA_10device_ptrIS5_EEEEPS6_mNSA_7greaterIS5_EEEE10hipError_tT0_T1_T2_jT3_P12ihipStream_tbPNSt15iterator_traitsISK_E10value_typeEPNSQ_ISL_E10value_typeEPSM_NS1_7vsmem_tEENKUlT_SK_SL_SM_E_clIPS5_SF_SG_SG_EESJ_SZ_SK_SL_SM_EUlSZ_E1_NS1_11comp_targetILNS1_3genE2ELNS1_11target_archE906ELNS1_3gpuE6ELNS1_3repE0EEENS1_36merge_oddeven_config_static_selectorELNS0_4arch9wavefront6targetE1EEEvSL_,"axG",@progbits,_ZN7rocprim17ROCPRIM_400000_NS6detail17trampoline_kernelINS0_14default_configENS1_38merge_sort_block_merge_config_selectorI14custom_numericNS0_10empty_typeEEEZZNS1_27merge_sort_block_merge_implIS3_N6thrust23THRUST_200600_302600_NS6detail15normal_iteratorINSA_10device_ptrIS5_EEEEPS6_mNSA_7greaterIS5_EEEE10hipError_tT0_T1_T2_jT3_P12ihipStream_tbPNSt15iterator_traitsISK_E10value_typeEPNSQ_ISL_E10value_typeEPSM_NS1_7vsmem_tEENKUlT_SK_SL_SM_E_clIPS5_SF_SG_SG_EESJ_SZ_SK_SL_SM_EUlSZ_E1_NS1_11comp_targetILNS1_3genE2ELNS1_11target_archE906ELNS1_3gpuE6ELNS1_3repE0EEENS1_36merge_oddeven_config_static_selectorELNS0_4arch9wavefront6targetE1EEEvSL_,comdat
.Lfunc_end2663:
	.size	_ZN7rocprim17ROCPRIM_400000_NS6detail17trampoline_kernelINS0_14default_configENS1_38merge_sort_block_merge_config_selectorI14custom_numericNS0_10empty_typeEEEZZNS1_27merge_sort_block_merge_implIS3_N6thrust23THRUST_200600_302600_NS6detail15normal_iteratorINSA_10device_ptrIS5_EEEEPS6_mNSA_7greaterIS5_EEEE10hipError_tT0_T1_T2_jT3_P12ihipStream_tbPNSt15iterator_traitsISK_E10value_typeEPNSQ_ISL_E10value_typeEPSM_NS1_7vsmem_tEENKUlT_SK_SL_SM_E_clIPS5_SF_SG_SG_EESJ_SZ_SK_SL_SM_EUlSZ_E1_NS1_11comp_targetILNS1_3genE2ELNS1_11target_archE906ELNS1_3gpuE6ELNS1_3repE0EEENS1_36merge_oddeven_config_static_selectorELNS0_4arch9wavefront6targetE1EEEvSL_, .Lfunc_end2663-_ZN7rocprim17ROCPRIM_400000_NS6detail17trampoline_kernelINS0_14default_configENS1_38merge_sort_block_merge_config_selectorI14custom_numericNS0_10empty_typeEEEZZNS1_27merge_sort_block_merge_implIS3_N6thrust23THRUST_200600_302600_NS6detail15normal_iteratorINSA_10device_ptrIS5_EEEEPS6_mNSA_7greaterIS5_EEEE10hipError_tT0_T1_T2_jT3_P12ihipStream_tbPNSt15iterator_traitsISK_E10value_typeEPNSQ_ISL_E10value_typeEPSM_NS1_7vsmem_tEENKUlT_SK_SL_SM_E_clIPS5_SF_SG_SG_EESJ_SZ_SK_SL_SM_EUlSZ_E1_NS1_11comp_targetILNS1_3genE2ELNS1_11target_archE906ELNS1_3gpuE6ELNS1_3repE0EEENS1_36merge_oddeven_config_static_selectorELNS0_4arch9wavefront6targetE1EEEvSL_
                                        ; -- End function
	.section	.AMDGPU.csdata,"",@progbits
; Kernel info:
; codeLenInByte = 0
; NumSgprs: 4
; NumVgprs: 0
; NumAgprs: 0
; TotalNumVgprs: 0
; ScratchSize: 0
; MemoryBound: 0
; FloatMode: 240
; IeeeMode: 1
; LDSByteSize: 0 bytes/workgroup (compile time only)
; SGPRBlocks: 0
; VGPRBlocks: 0
; NumSGPRsForWavesPerEU: 4
; NumVGPRsForWavesPerEU: 1
; AccumOffset: 4
; Occupancy: 8
; WaveLimiterHint : 0
; COMPUTE_PGM_RSRC2:SCRATCH_EN: 0
; COMPUTE_PGM_RSRC2:USER_SGPR: 6
; COMPUTE_PGM_RSRC2:TRAP_HANDLER: 0
; COMPUTE_PGM_RSRC2:TGID_X_EN: 1
; COMPUTE_PGM_RSRC2:TGID_Y_EN: 0
; COMPUTE_PGM_RSRC2:TGID_Z_EN: 0
; COMPUTE_PGM_RSRC2:TIDIG_COMP_CNT: 0
; COMPUTE_PGM_RSRC3_GFX90A:ACCUM_OFFSET: 0
; COMPUTE_PGM_RSRC3_GFX90A:TG_SPLIT: 0
	.section	.text._ZN7rocprim17ROCPRIM_400000_NS6detail17trampoline_kernelINS0_14default_configENS1_38merge_sort_block_merge_config_selectorI14custom_numericNS0_10empty_typeEEEZZNS1_27merge_sort_block_merge_implIS3_N6thrust23THRUST_200600_302600_NS6detail15normal_iteratorINSA_10device_ptrIS5_EEEEPS6_mNSA_7greaterIS5_EEEE10hipError_tT0_T1_T2_jT3_P12ihipStream_tbPNSt15iterator_traitsISK_E10value_typeEPNSQ_ISL_E10value_typeEPSM_NS1_7vsmem_tEENKUlT_SK_SL_SM_E_clIPS5_SF_SG_SG_EESJ_SZ_SK_SL_SM_EUlSZ_E1_NS1_11comp_targetILNS1_3genE9ELNS1_11target_archE1100ELNS1_3gpuE3ELNS1_3repE0EEENS1_36merge_oddeven_config_static_selectorELNS0_4arch9wavefront6targetE1EEEvSL_,"axG",@progbits,_ZN7rocprim17ROCPRIM_400000_NS6detail17trampoline_kernelINS0_14default_configENS1_38merge_sort_block_merge_config_selectorI14custom_numericNS0_10empty_typeEEEZZNS1_27merge_sort_block_merge_implIS3_N6thrust23THRUST_200600_302600_NS6detail15normal_iteratorINSA_10device_ptrIS5_EEEEPS6_mNSA_7greaterIS5_EEEE10hipError_tT0_T1_T2_jT3_P12ihipStream_tbPNSt15iterator_traitsISK_E10value_typeEPNSQ_ISL_E10value_typeEPSM_NS1_7vsmem_tEENKUlT_SK_SL_SM_E_clIPS5_SF_SG_SG_EESJ_SZ_SK_SL_SM_EUlSZ_E1_NS1_11comp_targetILNS1_3genE9ELNS1_11target_archE1100ELNS1_3gpuE3ELNS1_3repE0EEENS1_36merge_oddeven_config_static_selectorELNS0_4arch9wavefront6targetE1EEEvSL_,comdat
	.protected	_ZN7rocprim17ROCPRIM_400000_NS6detail17trampoline_kernelINS0_14default_configENS1_38merge_sort_block_merge_config_selectorI14custom_numericNS0_10empty_typeEEEZZNS1_27merge_sort_block_merge_implIS3_N6thrust23THRUST_200600_302600_NS6detail15normal_iteratorINSA_10device_ptrIS5_EEEEPS6_mNSA_7greaterIS5_EEEE10hipError_tT0_T1_T2_jT3_P12ihipStream_tbPNSt15iterator_traitsISK_E10value_typeEPNSQ_ISL_E10value_typeEPSM_NS1_7vsmem_tEENKUlT_SK_SL_SM_E_clIPS5_SF_SG_SG_EESJ_SZ_SK_SL_SM_EUlSZ_E1_NS1_11comp_targetILNS1_3genE9ELNS1_11target_archE1100ELNS1_3gpuE3ELNS1_3repE0EEENS1_36merge_oddeven_config_static_selectorELNS0_4arch9wavefront6targetE1EEEvSL_ ; -- Begin function _ZN7rocprim17ROCPRIM_400000_NS6detail17trampoline_kernelINS0_14default_configENS1_38merge_sort_block_merge_config_selectorI14custom_numericNS0_10empty_typeEEEZZNS1_27merge_sort_block_merge_implIS3_N6thrust23THRUST_200600_302600_NS6detail15normal_iteratorINSA_10device_ptrIS5_EEEEPS6_mNSA_7greaterIS5_EEEE10hipError_tT0_T1_T2_jT3_P12ihipStream_tbPNSt15iterator_traitsISK_E10value_typeEPNSQ_ISL_E10value_typeEPSM_NS1_7vsmem_tEENKUlT_SK_SL_SM_E_clIPS5_SF_SG_SG_EESJ_SZ_SK_SL_SM_EUlSZ_E1_NS1_11comp_targetILNS1_3genE9ELNS1_11target_archE1100ELNS1_3gpuE3ELNS1_3repE0EEENS1_36merge_oddeven_config_static_selectorELNS0_4arch9wavefront6targetE1EEEvSL_
	.globl	_ZN7rocprim17ROCPRIM_400000_NS6detail17trampoline_kernelINS0_14default_configENS1_38merge_sort_block_merge_config_selectorI14custom_numericNS0_10empty_typeEEEZZNS1_27merge_sort_block_merge_implIS3_N6thrust23THRUST_200600_302600_NS6detail15normal_iteratorINSA_10device_ptrIS5_EEEEPS6_mNSA_7greaterIS5_EEEE10hipError_tT0_T1_T2_jT3_P12ihipStream_tbPNSt15iterator_traitsISK_E10value_typeEPNSQ_ISL_E10value_typeEPSM_NS1_7vsmem_tEENKUlT_SK_SL_SM_E_clIPS5_SF_SG_SG_EESJ_SZ_SK_SL_SM_EUlSZ_E1_NS1_11comp_targetILNS1_3genE9ELNS1_11target_archE1100ELNS1_3gpuE3ELNS1_3repE0EEENS1_36merge_oddeven_config_static_selectorELNS0_4arch9wavefront6targetE1EEEvSL_
	.p2align	8
	.type	_ZN7rocprim17ROCPRIM_400000_NS6detail17trampoline_kernelINS0_14default_configENS1_38merge_sort_block_merge_config_selectorI14custom_numericNS0_10empty_typeEEEZZNS1_27merge_sort_block_merge_implIS3_N6thrust23THRUST_200600_302600_NS6detail15normal_iteratorINSA_10device_ptrIS5_EEEEPS6_mNSA_7greaterIS5_EEEE10hipError_tT0_T1_T2_jT3_P12ihipStream_tbPNSt15iterator_traitsISK_E10value_typeEPNSQ_ISL_E10value_typeEPSM_NS1_7vsmem_tEENKUlT_SK_SL_SM_E_clIPS5_SF_SG_SG_EESJ_SZ_SK_SL_SM_EUlSZ_E1_NS1_11comp_targetILNS1_3genE9ELNS1_11target_archE1100ELNS1_3gpuE3ELNS1_3repE0EEENS1_36merge_oddeven_config_static_selectorELNS0_4arch9wavefront6targetE1EEEvSL_,@function
_ZN7rocprim17ROCPRIM_400000_NS6detail17trampoline_kernelINS0_14default_configENS1_38merge_sort_block_merge_config_selectorI14custom_numericNS0_10empty_typeEEEZZNS1_27merge_sort_block_merge_implIS3_N6thrust23THRUST_200600_302600_NS6detail15normal_iteratorINSA_10device_ptrIS5_EEEEPS6_mNSA_7greaterIS5_EEEE10hipError_tT0_T1_T2_jT3_P12ihipStream_tbPNSt15iterator_traitsISK_E10value_typeEPNSQ_ISL_E10value_typeEPSM_NS1_7vsmem_tEENKUlT_SK_SL_SM_E_clIPS5_SF_SG_SG_EESJ_SZ_SK_SL_SM_EUlSZ_E1_NS1_11comp_targetILNS1_3genE9ELNS1_11target_archE1100ELNS1_3gpuE3ELNS1_3repE0EEENS1_36merge_oddeven_config_static_selectorELNS0_4arch9wavefront6targetE1EEEvSL_: ; @_ZN7rocprim17ROCPRIM_400000_NS6detail17trampoline_kernelINS0_14default_configENS1_38merge_sort_block_merge_config_selectorI14custom_numericNS0_10empty_typeEEEZZNS1_27merge_sort_block_merge_implIS3_N6thrust23THRUST_200600_302600_NS6detail15normal_iteratorINSA_10device_ptrIS5_EEEEPS6_mNSA_7greaterIS5_EEEE10hipError_tT0_T1_T2_jT3_P12ihipStream_tbPNSt15iterator_traitsISK_E10value_typeEPNSQ_ISL_E10value_typeEPSM_NS1_7vsmem_tEENKUlT_SK_SL_SM_E_clIPS5_SF_SG_SG_EESJ_SZ_SK_SL_SM_EUlSZ_E1_NS1_11comp_targetILNS1_3genE9ELNS1_11target_archE1100ELNS1_3gpuE3ELNS1_3repE0EEENS1_36merge_oddeven_config_static_selectorELNS0_4arch9wavefront6targetE1EEEvSL_
; %bb.0:
	.section	.rodata,"a",@progbits
	.p2align	6, 0x0
	.amdhsa_kernel _ZN7rocprim17ROCPRIM_400000_NS6detail17trampoline_kernelINS0_14default_configENS1_38merge_sort_block_merge_config_selectorI14custom_numericNS0_10empty_typeEEEZZNS1_27merge_sort_block_merge_implIS3_N6thrust23THRUST_200600_302600_NS6detail15normal_iteratorINSA_10device_ptrIS5_EEEEPS6_mNSA_7greaterIS5_EEEE10hipError_tT0_T1_T2_jT3_P12ihipStream_tbPNSt15iterator_traitsISK_E10value_typeEPNSQ_ISL_E10value_typeEPSM_NS1_7vsmem_tEENKUlT_SK_SL_SM_E_clIPS5_SF_SG_SG_EESJ_SZ_SK_SL_SM_EUlSZ_E1_NS1_11comp_targetILNS1_3genE9ELNS1_11target_archE1100ELNS1_3gpuE3ELNS1_3repE0EEENS1_36merge_oddeven_config_static_selectorELNS0_4arch9wavefront6targetE1EEEvSL_
		.amdhsa_group_segment_fixed_size 0
		.amdhsa_private_segment_fixed_size 0
		.amdhsa_kernarg_size 56
		.amdhsa_user_sgpr_count 6
		.amdhsa_user_sgpr_private_segment_buffer 1
		.amdhsa_user_sgpr_dispatch_ptr 0
		.amdhsa_user_sgpr_queue_ptr 0
		.amdhsa_user_sgpr_kernarg_segment_ptr 1
		.amdhsa_user_sgpr_dispatch_id 0
		.amdhsa_user_sgpr_flat_scratch_init 0
		.amdhsa_user_sgpr_kernarg_preload_length 0
		.amdhsa_user_sgpr_kernarg_preload_offset 0
		.amdhsa_user_sgpr_private_segment_size 0
		.amdhsa_uses_dynamic_stack 0
		.amdhsa_system_sgpr_private_segment_wavefront_offset 0
		.amdhsa_system_sgpr_workgroup_id_x 1
		.amdhsa_system_sgpr_workgroup_id_y 0
		.amdhsa_system_sgpr_workgroup_id_z 0
		.amdhsa_system_sgpr_workgroup_info 0
		.amdhsa_system_vgpr_workitem_id 0
		.amdhsa_next_free_vgpr 1
		.amdhsa_next_free_sgpr 0
		.amdhsa_accum_offset 4
		.amdhsa_reserve_vcc 0
		.amdhsa_reserve_flat_scratch 0
		.amdhsa_float_round_mode_32 0
		.amdhsa_float_round_mode_16_64 0
		.amdhsa_float_denorm_mode_32 3
		.amdhsa_float_denorm_mode_16_64 3
		.amdhsa_dx10_clamp 1
		.amdhsa_ieee_mode 1
		.amdhsa_fp16_overflow 0
		.amdhsa_tg_split 0
		.amdhsa_exception_fp_ieee_invalid_op 0
		.amdhsa_exception_fp_denorm_src 0
		.amdhsa_exception_fp_ieee_div_zero 0
		.amdhsa_exception_fp_ieee_overflow 0
		.amdhsa_exception_fp_ieee_underflow 0
		.amdhsa_exception_fp_ieee_inexact 0
		.amdhsa_exception_int_div_zero 0
	.end_amdhsa_kernel
	.section	.text._ZN7rocprim17ROCPRIM_400000_NS6detail17trampoline_kernelINS0_14default_configENS1_38merge_sort_block_merge_config_selectorI14custom_numericNS0_10empty_typeEEEZZNS1_27merge_sort_block_merge_implIS3_N6thrust23THRUST_200600_302600_NS6detail15normal_iteratorINSA_10device_ptrIS5_EEEEPS6_mNSA_7greaterIS5_EEEE10hipError_tT0_T1_T2_jT3_P12ihipStream_tbPNSt15iterator_traitsISK_E10value_typeEPNSQ_ISL_E10value_typeEPSM_NS1_7vsmem_tEENKUlT_SK_SL_SM_E_clIPS5_SF_SG_SG_EESJ_SZ_SK_SL_SM_EUlSZ_E1_NS1_11comp_targetILNS1_3genE9ELNS1_11target_archE1100ELNS1_3gpuE3ELNS1_3repE0EEENS1_36merge_oddeven_config_static_selectorELNS0_4arch9wavefront6targetE1EEEvSL_,"axG",@progbits,_ZN7rocprim17ROCPRIM_400000_NS6detail17trampoline_kernelINS0_14default_configENS1_38merge_sort_block_merge_config_selectorI14custom_numericNS0_10empty_typeEEEZZNS1_27merge_sort_block_merge_implIS3_N6thrust23THRUST_200600_302600_NS6detail15normal_iteratorINSA_10device_ptrIS5_EEEEPS6_mNSA_7greaterIS5_EEEE10hipError_tT0_T1_T2_jT3_P12ihipStream_tbPNSt15iterator_traitsISK_E10value_typeEPNSQ_ISL_E10value_typeEPSM_NS1_7vsmem_tEENKUlT_SK_SL_SM_E_clIPS5_SF_SG_SG_EESJ_SZ_SK_SL_SM_EUlSZ_E1_NS1_11comp_targetILNS1_3genE9ELNS1_11target_archE1100ELNS1_3gpuE3ELNS1_3repE0EEENS1_36merge_oddeven_config_static_selectorELNS0_4arch9wavefront6targetE1EEEvSL_,comdat
.Lfunc_end2664:
	.size	_ZN7rocprim17ROCPRIM_400000_NS6detail17trampoline_kernelINS0_14default_configENS1_38merge_sort_block_merge_config_selectorI14custom_numericNS0_10empty_typeEEEZZNS1_27merge_sort_block_merge_implIS3_N6thrust23THRUST_200600_302600_NS6detail15normal_iteratorINSA_10device_ptrIS5_EEEEPS6_mNSA_7greaterIS5_EEEE10hipError_tT0_T1_T2_jT3_P12ihipStream_tbPNSt15iterator_traitsISK_E10value_typeEPNSQ_ISL_E10value_typeEPSM_NS1_7vsmem_tEENKUlT_SK_SL_SM_E_clIPS5_SF_SG_SG_EESJ_SZ_SK_SL_SM_EUlSZ_E1_NS1_11comp_targetILNS1_3genE9ELNS1_11target_archE1100ELNS1_3gpuE3ELNS1_3repE0EEENS1_36merge_oddeven_config_static_selectorELNS0_4arch9wavefront6targetE1EEEvSL_, .Lfunc_end2664-_ZN7rocprim17ROCPRIM_400000_NS6detail17trampoline_kernelINS0_14default_configENS1_38merge_sort_block_merge_config_selectorI14custom_numericNS0_10empty_typeEEEZZNS1_27merge_sort_block_merge_implIS3_N6thrust23THRUST_200600_302600_NS6detail15normal_iteratorINSA_10device_ptrIS5_EEEEPS6_mNSA_7greaterIS5_EEEE10hipError_tT0_T1_T2_jT3_P12ihipStream_tbPNSt15iterator_traitsISK_E10value_typeEPNSQ_ISL_E10value_typeEPSM_NS1_7vsmem_tEENKUlT_SK_SL_SM_E_clIPS5_SF_SG_SG_EESJ_SZ_SK_SL_SM_EUlSZ_E1_NS1_11comp_targetILNS1_3genE9ELNS1_11target_archE1100ELNS1_3gpuE3ELNS1_3repE0EEENS1_36merge_oddeven_config_static_selectorELNS0_4arch9wavefront6targetE1EEEvSL_
                                        ; -- End function
	.section	.AMDGPU.csdata,"",@progbits
; Kernel info:
; codeLenInByte = 0
; NumSgprs: 4
; NumVgprs: 0
; NumAgprs: 0
; TotalNumVgprs: 0
; ScratchSize: 0
; MemoryBound: 0
; FloatMode: 240
; IeeeMode: 1
; LDSByteSize: 0 bytes/workgroup (compile time only)
; SGPRBlocks: 0
; VGPRBlocks: 0
; NumSGPRsForWavesPerEU: 4
; NumVGPRsForWavesPerEU: 1
; AccumOffset: 4
; Occupancy: 8
; WaveLimiterHint : 0
; COMPUTE_PGM_RSRC2:SCRATCH_EN: 0
; COMPUTE_PGM_RSRC2:USER_SGPR: 6
; COMPUTE_PGM_RSRC2:TRAP_HANDLER: 0
; COMPUTE_PGM_RSRC2:TGID_X_EN: 1
; COMPUTE_PGM_RSRC2:TGID_Y_EN: 0
; COMPUTE_PGM_RSRC2:TGID_Z_EN: 0
; COMPUTE_PGM_RSRC2:TIDIG_COMP_CNT: 0
; COMPUTE_PGM_RSRC3_GFX90A:ACCUM_OFFSET: 0
; COMPUTE_PGM_RSRC3_GFX90A:TG_SPLIT: 0
	.section	.text._ZN7rocprim17ROCPRIM_400000_NS6detail17trampoline_kernelINS0_14default_configENS1_38merge_sort_block_merge_config_selectorI14custom_numericNS0_10empty_typeEEEZZNS1_27merge_sort_block_merge_implIS3_N6thrust23THRUST_200600_302600_NS6detail15normal_iteratorINSA_10device_ptrIS5_EEEEPS6_mNSA_7greaterIS5_EEEE10hipError_tT0_T1_T2_jT3_P12ihipStream_tbPNSt15iterator_traitsISK_E10value_typeEPNSQ_ISL_E10value_typeEPSM_NS1_7vsmem_tEENKUlT_SK_SL_SM_E_clIPS5_SF_SG_SG_EESJ_SZ_SK_SL_SM_EUlSZ_E1_NS1_11comp_targetILNS1_3genE8ELNS1_11target_archE1030ELNS1_3gpuE2ELNS1_3repE0EEENS1_36merge_oddeven_config_static_selectorELNS0_4arch9wavefront6targetE1EEEvSL_,"axG",@progbits,_ZN7rocprim17ROCPRIM_400000_NS6detail17trampoline_kernelINS0_14default_configENS1_38merge_sort_block_merge_config_selectorI14custom_numericNS0_10empty_typeEEEZZNS1_27merge_sort_block_merge_implIS3_N6thrust23THRUST_200600_302600_NS6detail15normal_iteratorINSA_10device_ptrIS5_EEEEPS6_mNSA_7greaterIS5_EEEE10hipError_tT0_T1_T2_jT3_P12ihipStream_tbPNSt15iterator_traitsISK_E10value_typeEPNSQ_ISL_E10value_typeEPSM_NS1_7vsmem_tEENKUlT_SK_SL_SM_E_clIPS5_SF_SG_SG_EESJ_SZ_SK_SL_SM_EUlSZ_E1_NS1_11comp_targetILNS1_3genE8ELNS1_11target_archE1030ELNS1_3gpuE2ELNS1_3repE0EEENS1_36merge_oddeven_config_static_selectorELNS0_4arch9wavefront6targetE1EEEvSL_,comdat
	.protected	_ZN7rocprim17ROCPRIM_400000_NS6detail17trampoline_kernelINS0_14default_configENS1_38merge_sort_block_merge_config_selectorI14custom_numericNS0_10empty_typeEEEZZNS1_27merge_sort_block_merge_implIS3_N6thrust23THRUST_200600_302600_NS6detail15normal_iteratorINSA_10device_ptrIS5_EEEEPS6_mNSA_7greaterIS5_EEEE10hipError_tT0_T1_T2_jT3_P12ihipStream_tbPNSt15iterator_traitsISK_E10value_typeEPNSQ_ISL_E10value_typeEPSM_NS1_7vsmem_tEENKUlT_SK_SL_SM_E_clIPS5_SF_SG_SG_EESJ_SZ_SK_SL_SM_EUlSZ_E1_NS1_11comp_targetILNS1_3genE8ELNS1_11target_archE1030ELNS1_3gpuE2ELNS1_3repE0EEENS1_36merge_oddeven_config_static_selectorELNS0_4arch9wavefront6targetE1EEEvSL_ ; -- Begin function _ZN7rocprim17ROCPRIM_400000_NS6detail17trampoline_kernelINS0_14default_configENS1_38merge_sort_block_merge_config_selectorI14custom_numericNS0_10empty_typeEEEZZNS1_27merge_sort_block_merge_implIS3_N6thrust23THRUST_200600_302600_NS6detail15normal_iteratorINSA_10device_ptrIS5_EEEEPS6_mNSA_7greaterIS5_EEEE10hipError_tT0_T1_T2_jT3_P12ihipStream_tbPNSt15iterator_traitsISK_E10value_typeEPNSQ_ISL_E10value_typeEPSM_NS1_7vsmem_tEENKUlT_SK_SL_SM_E_clIPS5_SF_SG_SG_EESJ_SZ_SK_SL_SM_EUlSZ_E1_NS1_11comp_targetILNS1_3genE8ELNS1_11target_archE1030ELNS1_3gpuE2ELNS1_3repE0EEENS1_36merge_oddeven_config_static_selectorELNS0_4arch9wavefront6targetE1EEEvSL_
	.globl	_ZN7rocprim17ROCPRIM_400000_NS6detail17trampoline_kernelINS0_14default_configENS1_38merge_sort_block_merge_config_selectorI14custom_numericNS0_10empty_typeEEEZZNS1_27merge_sort_block_merge_implIS3_N6thrust23THRUST_200600_302600_NS6detail15normal_iteratorINSA_10device_ptrIS5_EEEEPS6_mNSA_7greaterIS5_EEEE10hipError_tT0_T1_T2_jT3_P12ihipStream_tbPNSt15iterator_traitsISK_E10value_typeEPNSQ_ISL_E10value_typeEPSM_NS1_7vsmem_tEENKUlT_SK_SL_SM_E_clIPS5_SF_SG_SG_EESJ_SZ_SK_SL_SM_EUlSZ_E1_NS1_11comp_targetILNS1_3genE8ELNS1_11target_archE1030ELNS1_3gpuE2ELNS1_3repE0EEENS1_36merge_oddeven_config_static_selectorELNS0_4arch9wavefront6targetE1EEEvSL_
	.p2align	8
	.type	_ZN7rocprim17ROCPRIM_400000_NS6detail17trampoline_kernelINS0_14default_configENS1_38merge_sort_block_merge_config_selectorI14custom_numericNS0_10empty_typeEEEZZNS1_27merge_sort_block_merge_implIS3_N6thrust23THRUST_200600_302600_NS6detail15normal_iteratorINSA_10device_ptrIS5_EEEEPS6_mNSA_7greaterIS5_EEEE10hipError_tT0_T1_T2_jT3_P12ihipStream_tbPNSt15iterator_traitsISK_E10value_typeEPNSQ_ISL_E10value_typeEPSM_NS1_7vsmem_tEENKUlT_SK_SL_SM_E_clIPS5_SF_SG_SG_EESJ_SZ_SK_SL_SM_EUlSZ_E1_NS1_11comp_targetILNS1_3genE8ELNS1_11target_archE1030ELNS1_3gpuE2ELNS1_3repE0EEENS1_36merge_oddeven_config_static_selectorELNS0_4arch9wavefront6targetE1EEEvSL_,@function
_ZN7rocprim17ROCPRIM_400000_NS6detail17trampoline_kernelINS0_14default_configENS1_38merge_sort_block_merge_config_selectorI14custom_numericNS0_10empty_typeEEEZZNS1_27merge_sort_block_merge_implIS3_N6thrust23THRUST_200600_302600_NS6detail15normal_iteratorINSA_10device_ptrIS5_EEEEPS6_mNSA_7greaterIS5_EEEE10hipError_tT0_T1_T2_jT3_P12ihipStream_tbPNSt15iterator_traitsISK_E10value_typeEPNSQ_ISL_E10value_typeEPSM_NS1_7vsmem_tEENKUlT_SK_SL_SM_E_clIPS5_SF_SG_SG_EESJ_SZ_SK_SL_SM_EUlSZ_E1_NS1_11comp_targetILNS1_3genE8ELNS1_11target_archE1030ELNS1_3gpuE2ELNS1_3repE0EEENS1_36merge_oddeven_config_static_selectorELNS0_4arch9wavefront6targetE1EEEvSL_: ; @_ZN7rocprim17ROCPRIM_400000_NS6detail17trampoline_kernelINS0_14default_configENS1_38merge_sort_block_merge_config_selectorI14custom_numericNS0_10empty_typeEEEZZNS1_27merge_sort_block_merge_implIS3_N6thrust23THRUST_200600_302600_NS6detail15normal_iteratorINSA_10device_ptrIS5_EEEEPS6_mNSA_7greaterIS5_EEEE10hipError_tT0_T1_T2_jT3_P12ihipStream_tbPNSt15iterator_traitsISK_E10value_typeEPNSQ_ISL_E10value_typeEPSM_NS1_7vsmem_tEENKUlT_SK_SL_SM_E_clIPS5_SF_SG_SG_EESJ_SZ_SK_SL_SM_EUlSZ_E1_NS1_11comp_targetILNS1_3genE8ELNS1_11target_archE1030ELNS1_3gpuE2ELNS1_3repE0EEENS1_36merge_oddeven_config_static_selectorELNS0_4arch9wavefront6targetE1EEEvSL_
; %bb.0:
	.section	.rodata,"a",@progbits
	.p2align	6, 0x0
	.amdhsa_kernel _ZN7rocprim17ROCPRIM_400000_NS6detail17trampoline_kernelINS0_14default_configENS1_38merge_sort_block_merge_config_selectorI14custom_numericNS0_10empty_typeEEEZZNS1_27merge_sort_block_merge_implIS3_N6thrust23THRUST_200600_302600_NS6detail15normal_iteratorINSA_10device_ptrIS5_EEEEPS6_mNSA_7greaterIS5_EEEE10hipError_tT0_T1_T2_jT3_P12ihipStream_tbPNSt15iterator_traitsISK_E10value_typeEPNSQ_ISL_E10value_typeEPSM_NS1_7vsmem_tEENKUlT_SK_SL_SM_E_clIPS5_SF_SG_SG_EESJ_SZ_SK_SL_SM_EUlSZ_E1_NS1_11comp_targetILNS1_3genE8ELNS1_11target_archE1030ELNS1_3gpuE2ELNS1_3repE0EEENS1_36merge_oddeven_config_static_selectorELNS0_4arch9wavefront6targetE1EEEvSL_
		.amdhsa_group_segment_fixed_size 0
		.amdhsa_private_segment_fixed_size 0
		.amdhsa_kernarg_size 56
		.amdhsa_user_sgpr_count 6
		.amdhsa_user_sgpr_private_segment_buffer 1
		.amdhsa_user_sgpr_dispatch_ptr 0
		.amdhsa_user_sgpr_queue_ptr 0
		.amdhsa_user_sgpr_kernarg_segment_ptr 1
		.amdhsa_user_sgpr_dispatch_id 0
		.amdhsa_user_sgpr_flat_scratch_init 0
		.amdhsa_user_sgpr_kernarg_preload_length 0
		.amdhsa_user_sgpr_kernarg_preload_offset 0
		.amdhsa_user_sgpr_private_segment_size 0
		.amdhsa_uses_dynamic_stack 0
		.amdhsa_system_sgpr_private_segment_wavefront_offset 0
		.amdhsa_system_sgpr_workgroup_id_x 1
		.amdhsa_system_sgpr_workgroup_id_y 0
		.amdhsa_system_sgpr_workgroup_id_z 0
		.amdhsa_system_sgpr_workgroup_info 0
		.amdhsa_system_vgpr_workitem_id 0
		.amdhsa_next_free_vgpr 1
		.amdhsa_next_free_sgpr 0
		.amdhsa_accum_offset 4
		.amdhsa_reserve_vcc 0
		.amdhsa_reserve_flat_scratch 0
		.amdhsa_float_round_mode_32 0
		.amdhsa_float_round_mode_16_64 0
		.amdhsa_float_denorm_mode_32 3
		.amdhsa_float_denorm_mode_16_64 3
		.amdhsa_dx10_clamp 1
		.amdhsa_ieee_mode 1
		.amdhsa_fp16_overflow 0
		.amdhsa_tg_split 0
		.amdhsa_exception_fp_ieee_invalid_op 0
		.amdhsa_exception_fp_denorm_src 0
		.amdhsa_exception_fp_ieee_div_zero 0
		.amdhsa_exception_fp_ieee_overflow 0
		.amdhsa_exception_fp_ieee_underflow 0
		.amdhsa_exception_fp_ieee_inexact 0
		.amdhsa_exception_int_div_zero 0
	.end_amdhsa_kernel
	.section	.text._ZN7rocprim17ROCPRIM_400000_NS6detail17trampoline_kernelINS0_14default_configENS1_38merge_sort_block_merge_config_selectorI14custom_numericNS0_10empty_typeEEEZZNS1_27merge_sort_block_merge_implIS3_N6thrust23THRUST_200600_302600_NS6detail15normal_iteratorINSA_10device_ptrIS5_EEEEPS6_mNSA_7greaterIS5_EEEE10hipError_tT0_T1_T2_jT3_P12ihipStream_tbPNSt15iterator_traitsISK_E10value_typeEPNSQ_ISL_E10value_typeEPSM_NS1_7vsmem_tEENKUlT_SK_SL_SM_E_clIPS5_SF_SG_SG_EESJ_SZ_SK_SL_SM_EUlSZ_E1_NS1_11comp_targetILNS1_3genE8ELNS1_11target_archE1030ELNS1_3gpuE2ELNS1_3repE0EEENS1_36merge_oddeven_config_static_selectorELNS0_4arch9wavefront6targetE1EEEvSL_,"axG",@progbits,_ZN7rocprim17ROCPRIM_400000_NS6detail17trampoline_kernelINS0_14default_configENS1_38merge_sort_block_merge_config_selectorI14custom_numericNS0_10empty_typeEEEZZNS1_27merge_sort_block_merge_implIS3_N6thrust23THRUST_200600_302600_NS6detail15normal_iteratorINSA_10device_ptrIS5_EEEEPS6_mNSA_7greaterIS5_EEEE10hipError_tT0_T1_T2_jT3_P12ihipStream_tbPNSt15iterator_traitsISK_E10value_typeEPNSQ_ISL_E10value_typeEPSM_NS1_7vsmem_tEENKUlT_SK_SL_SM_E_clIPS5_SF_SG_SG_EESJ_SZ_SK_SL_SM_EUlSZ_E1_NS1_11comp_targetILNS1_3genE8ELNS1_11target_archE1030ELNS1_3gpuE2ELNS1_3repE0EEENS1_36merge_oddeven_config_static_selectorELNS0_4arch9wavefront6targetE1EEEvSL_,comdat
.Lfunc_end2665:
	.size	_ZN7rocprim17ROCPRIM_400000_NS6detail17trampoline_kernelINS0_14default_configENS1_38merge_sort_block_merge_config_selectorI14custom_numericNS0_10empty_typeEEEZZNS1_27merge_sort_block_merge_implIS3_N6thrust23THRUST_200600_302600_NS6detail15normal_iteratorINSA_10device_ptrIS5_EEEEPS6_mNSA_7greaterIS5_EEEE10hipError_tT0_T1_T2_jT3_P12ihipStream_tbPNSt15iterator_traitsISK_E10value_typeEPNSQ_ISL_E10value_typeEPSM_NS1_7vsmem_tEENKUlT_SK_SL_SM_E_clIPS5_SF_SG_SG_EESJ_SZ_SK_SL_SM_EUlSZ_E1_NS1_11comp_targetILNS1_3genE8ELNS1_11target_archE1030ELNS1_3gpuE2ELNS1_3repE0EEENS1_36merge_oddeven_config_static_selectorELNS0_4arch9wavefront6targetE1EEEvSL_, .Lfunc_end2665-_ZN7rocprim17ROCPRIM_400000_NS6detail17trampoline_kernelINS0_14default_configENS1_38merge_sort_block_merge_config_selectorI14custom_numericNS0_10empty_typeEEEZZNS1_27merge_sort_block_merge_implIS3_N6thrust23THRUST_200600_302600_NS6detail15normal_iteratorINSA_10device_ptrIS5_EEEEPS6_mNSA_7greaterIS5_EEEE10hipError_tT0_T1_T2_jT3_P12ihipStream_tbPNSt15iterator_traitsISK_E10value_typeEPNSQ_ISL_E10value_typeEPSM_NS1_7vsmem_tEENKUlT_SK_SL_SM_E_clIPS5_SF_SG_SG_EESJ_SZ_SK_SL_SM_EUlSZ_E1_NS1_11comp_targetILNS1_3genE8ELNS1_11target_archE1030ELNS1_3gpuE2ELNS1_3repE0EEENS1_36merge_oddeven_config_static_selectorELNS0_4arch9wavefront6targetE1EEEvSL_
                                        ; -- End function
	.section	.AMDGPU.csdata,"",@progbits
; Kernel info:
; codeLenInByte = 0
; NumSgprs: 4
; NumVgprs: 0
; NumAgprs: 0
; TotalNumVgprs: 0
; ScratchSize: 0
; MemoryBound: 0
; FloatMode: 240
; IeeeMode: 1
; LDSByteSize: 0 bytes/workgroup (compile time only)
; SGPRBlocks: 0
; VGPRBlocks: 0
; NumSGPRsForWavesPerEU: 4
; NumVGPRsForWavesPerEU: 1
; AccumOffset: 4
; Occupancy: 8
; WaveLimiterHint : 0
; COMPUTE_PGM_RSRC2:SCRATCH_EN: 0
; COMPUTE_PGM_RSRC2:USER_SGPR: 6
; COMPUTE_PGM_RSRC2:TRAP_HANDLER: 0
; COMPUTE_PGM_RSRC2:TGID_X_EN: 1
; COMPUTE_PGM_RSRC2:TGID_Y_EN: 0
; COMPUTE_PGM_RSRC2:TGID_Z_EN: 0
; COMPUTE_PGM_RSRC2:TIDIG_COMP_CNT: 0
; COMPUTE_PGM_RSRC3_GFX90A:ACCUM_OFFSET: 0
; COMPUTE_PGM_RSRC3_GFX90A:TG_SPLIT: 0
	.section	.text._ZN7rocprim17ROCPRIM_400000_NS6detail17trampoline_kernelINS0_14default_configENS1_38merge_sort_block_merge_config_selectorI14custom_numericNS0_10empty_typeEEEZZNS1_27merge_sort_block_merge_implIS3_N6thrust23THRUST_200600_302600_NS6detail15normal_iteratorINSA_10device_ptrIS5_EEEEPS6_mNSA_7greaterIS5_EEEE10hipError_tT0_T1_T2_jT3_P12ihipStream_tbPNSt15iterator_traitsISK_E10value_typeEPNSQ_ISL_E10value_typeEPSM_NS1_7vsmem_tEENKUlT_SK_SL_SM_E_clISF_PS5_SG_SG_EESJ_SZ_SK_SL_SM_EUlSZ_E_NS1_11comp_targetILNS1_3genE0ELNS1_11target_archE4294967295ELNS1_3gpuE0ELNS1_3repE0EEENS1_48merge_mergepath_partition_config_static_selectorELNS0_4arch9wavefront6targetE1EEEvSL_,"axG",@progbits,_ZN7rocprim17ROCPRIM_400000_NS6detail17trampoline_kernelINS0_14default_configENS1_38merge_sort_block_merge_config_selectorI14custom_numericNS0_10empty_typeEEEZZNS1_27merge_sort_block_merge_implIS3_N6thrust23THRUST_200600_302600_NS6detail15normal_iteratorINSA_10device_ptrIS5_EEEEPS6_mNSA_7greaterIS5_EEEE10hipError_tT0_T1_T2_jT3_P12ihipStream_tbPNSt15iterator_traitsISK_E10value_typeEPNSQ_ISL_E10value_typeEPSM_NS1_7vsmem_tEENKUlT_SK_SL_SM_E_clISF_PS5_SG_SG_EESJ_SZ_SK_SL_SM_EUlSZ_E_NS1_11comp_targetILNS1_3genE0ELNS1_11target_archE4294967295ELNS1_3gpuE0ELNS1_3repE0EEENS1_48merge_mergepath_partition_config_static_selectorELNS0_4arch9wavefront6targetE1EEEvSL_,comdat
	.protected	_ZN7rocprim17ROCPRIM_400000_NS6detail17trampoline_kernelINS0_14default_configENS1_38merge_sort_block_merge_config_selectorI14custom_numericNS0_10empty_typeEEEZZNS1_27merge_sort_block_merge_implIS3_N6thrust23THRUST_200600_302600_NS6detail15normal_iteratorINSA_10device_ptrIS5_EEEEPS6_mNSA_7greaterIS5_EEEE10hipError_tT0_T1_T2_jT3_P12ihipStream_tbPNSt15iterator_traitsISK_E10value_typeEPNSQ_ISL_E10value_typeEPSM_NS1_7vsmem_tEENKUlT_SK_SL_SM_E_clISF_PS5_SG_SG_EESJ_SZ_SK_SL_SM_EUlSZ_E_NS1_11comp_targetILNS1_3genE0ELNS1_11target_archE4294967295ELNS1_3gpuE0ELNS1_3repE0EEENS1_48merge_mergepath_partition_config_static_selectorELNS0_4arch9wavefront6targetE1EEEvSL_ ; -- Begin function _ZN7rocprim17ROCPRIM_400000_NS6detail17trampoline_kernelINS0_14default_configENS1_38merge_sort_block_merge_config_selectorI14custom_numericNS0_10empty_typeEEEZZNS1_27merge_sort_block_merge_implIS3_N6thrust23THRUST_200600_302600_NS6detail15normal_iteratorINSA_10device_ptrIS5_EEEEPS6_mNSA_7greaterIS5_EEEE10hipError_tT0_T1_T2_jT3_P12ihipStream_tbPNSt15iterator_traitsISK_E10value_typeEPNSQ_ISL_E10value_typeEPSM_NS1_7vsmem_tEENKUlT_SK_SL_SM_E_clISF_PS5_SG_SG_EESJ_SZ_SK_SL_SM_EUlSZ_E_NS1_11comp_targetILNS1_3genE0ELNS1_11target_archE4294967295ELNS1_3gpuE0ELNS1_3repE0EEENS1_48merge_mergepath_partition_config_static_selectorELNS0_4arch9wavefront6targetE1EEEvSL_
	.globl	_ZN7rocprim17ROCPRIM_400000_NS6detail17trampoline_kernelINS0_14default_configENS1_38merge_sort_block_merge_config_selectorI14custom_numericNS0_10empty_typeEEEZZNS1_27merge_sort_block_merge_implIS3_N6thrust23THRUST_200600_302600_NS6detail15normal_iteratorINSA_10device_ptrIS5_EEEEPS6_mNSA_7greaterIS5_EEEE10hipError_tT0_T1_T2_jT3_P12ihipStream_tbPNSt15iterator_traitsISK_E10value_typeEPNSQ_ISL_E10value_typeEPSM_NS1_7vsmem_tEENKUlT_SK_SL_SM_E_clISF_PS5_SG_SG_EESJ_SZ_SK_SL_SM_EUlSZ_E_NS1_11comp_targetILNS1_3genE0ELNS1_11target_archE4294967295ELNS1_3gpuE0ELNS1_3repE0EEENS1_48merge_mergepath_partition_config_static_selectorELNS0_4arch9wavefront6targetE1EEEvSL_
	.p2align	8
	.type	_ZN7rocprim17ROCPRIM_400000_NS6detail17trampoline_kernelINS0_14default_configENS1_38merge_sort_block_merge_config_selectorI14custom_numericNS0_10empty_typeEEEZZNS1_27merge_sort_block_merge_implIS3_N6thrust23THRUST_200600_302600_NS6detail15normal_iteratorINSA_10device_ptrIS5_EEEEPS6_mNSA_7greaterIS5_EEEE10hipError_tT0_T1_T2_jT3_P12ihipStream_tbPNSt15iterator_traitsISK_E10value_typeEPNSQ_ISL_E10value_typeEPSM_NS1_7vsmem_tEENKUlT_SK_SL_SM_E_clISF_PS5_SG_SG_EESJ_SZ_SK_SL_SM_EUlSZ_E_NS1_11comp_targetILNS1_3genE0ELNS1_11target_archE4294967295ELNS1_3gpuE0ELNS1_3repE0EEENS1_48merge_mergepath_partition_config_static_selectorELNS0_4arch9wavefront6targetE1EEEvSL_,@function
_ZN7rocprim17ROCPRIM_400000_NS6detail17trampoline_kernelINS0_14default_configENS1_38merge_sort_block_merge_config_selectorI14custom_numericNS0_10empty_typeEEEZZNS1_27merge_sort_block_merge_implIS3_N6thrust23THRUST_200600_302600_NS6detail15normal_iteratorINSA_10device_ptrIS5_EEEEPS6_mNSA_7greaterIS5_EEEE10hipError_tT0_T1_T2_jT3_P12ihipStream_tbPNSt15iterator_traitsISK_E10value_typeEPNSQ_ISL_E10value_typeEPSM_NS1_7vsmem_tEENKUlT_SK_SL_SM_E_clISF_PS5_SG_SG_EESJ_SZ_SK_SL_SM_EUlSZ_E_NS1_11comp_targetILNS1_3genE0ELNS1_11target_archE4294967295ELNS1_3gpuE0ELNS1_3repE0EEENS1_48merge_mergepath_partition_config_static_selectorELNS0_4arch9wavefront6targetE1EEEvSL_: ; @_ZN7rocprim17ROCPRIM_400000_NS6detail17trampoline_kernelINS0_14default_configENS1_38merge_sort_block_merge_config_selectorI14custom_numericNS0_10empty_typeEEEZZNS1_27merge_sort_block_merge_implIS3_N6thrust23THRUST_200600_302600_NS6detail15normal_iteratorINSA_10device_ptrIS5_EEEEPS6_mNSA_7greaterIS5_EEEE10hipError_tT0_T1_T2_jT3_P12ihipStream_tbPNSt15iterator_traitsISK_E10value_typeEPNSQ_ISL_E10value_typeEPSM_NS1_7vsmem_tEENKUlT_SK_SL_SM_E_clISF_PS5_SG_SG_EESJ_SZ_SK_SL_SM_EUlSZ_E_NS1_11comp_targetILNS1_3genE0ELNS1_11target_archE4294967295ELNS1_3gpuE0ELNS1_3repE0EEENS1_48merge_mergepath_partition_config_static_selectorELNS0_4arch9wavefront6targetE1EEEvSL_
; %bb.0:
	.section	.rodata,"a",@progbits
	.p2align	6, 0x0
	.amdhsa_kernel _ZN7rocprim17ROCPRIM_400000_NS6detail17trampoline_kernelINS0_14default_configENS1_38merge_sort_block_merge_config_selectorI14custom_numericNS0_10empty_typeEEEZZNS1_27merge_sort_block_merge_implIS3_N6thrust23THRUST_200600_302600_NS6detail15normal_iteratorINSA_10device_ptrIS5_EEEEPS6_mNSA_7greaterIS5_EEEE10hipError_tT0_T1_T2_jT3_P12ihipStream_tbPNSt15iterator_traitsISK_E10value_typeEPNSQ_ISL_E10value_typeEPSM_NS1_7vsmem_tEENKUlT_SK_SL_SM_E_clISF_PS5_SG_SG_EESJ_SZ_SK_SL_SM_EUlSZ_E_NS1_11comp_targetILNS1_3genE0ELNS1_11target_archE4294967295ELNS1_3gpuE0ELNS1_3repE0EEENS1_48merge_mergepath_partition_config_static_selectorELNS0_4arch9wavefront6targetE1EEEvSL_
		.amdhsa_group_segment_fixed_size 0
		.amdhsa_private_segment_fixed_size 0
		.amdhsa_kernarg_size 48
		.amdhsa_user_sgpr_count 6
		.amdhsa_user_sgpr_private_segment_buffer 1
		.amdhsa_user_sgpr_dispatch_ptr 0
		.amdhsa_user_sgpr_queue_ptr 0
		.amdhsa_user_sgpr_kernarg_segment_ptr 1
		.amdhsa_user_sgpr_dispatch_id 0
		.amdhsa_user_sgpr_flat_scratch_init 0
		.amdhsa_user_sgpr_kernarg_preload_length 0
		.amdhsa_user_sgpr_kernarg_preload_offset 0
		.amdhsa_user_sgpr_private_segment_size 0
		.amdhsa_uses_dynamic_stack 0
		.amdhsa_system_sgpr_private_segment_wavefront_offset 0
		.amdhsa_system_sgpr_workgroup_id_x 1
		.amdhsa_system_sgpr_workgroup_id_y 0
		.amdhsa_system_sgpr_workgroup_id_z 0
		.amdhsa_system_sgpr_workgroup_info 0
		.amdhsa_system_vgpr_workitem_id 0
		.amdhsa_next_free_vgpr 1
		.amdhsa_next_free_sgpr 0
		.amdhsa_accum_offset 4
		.amdhsa_reserve_vcc 0
		.amdhsa_reserve_flat_scratch 0
		.amdhsa_float_round_mode_32 0
		.amdhsa_float_round_mode_16_64 0
		.amdhsa_float_denorm_mode_32 3
		.amdhsa_float_denorm_mode_16_64 3
		.amdhsa_dx10_clamp 1
		.amdhsa_ieee_mode 1
		.amdhsa_fp16_overflow 0
		.amdhsa_tg_split 0
		.amdhsa_exception_fp_ieee_invalid_op 0
		.amdhsa_exception_fp_denorm_src 0
		.amdhsa_exception_fp_ieee_div_zero 0
		.amdhsa_exception_fp_ieee_overflow 0
		.amdhsa_exception_fp_ieee_underflow 0
		.amdhsa_exception_fp_ieee_inexact 0
		.amdhsa_exception_int_div_zero 0
	.end_amdhsa_kernel
	.section	.text._ZN7rocprim17ROCPRIM_400000_NS6detail17trampoline_kernelINS0_14default_configENS1_38merge_sort_block_merge_config_selectorI14custom_numericNS0_10empty_typeEEEZZNS1_27merge_sort_block_merge_implIS3_N6thrust23THRUST_200600_302600_NS6detail15normal_iteratorINSA_10device_ptrIS5_EEEEPS6_mNSA_7greaterIS5_EEEE10hipError_tT0_T1_T2_jT3_P12ihipStream_tbPNSt15iterator_traitsISK_E10value_typeEPNSQ_ISL_E10value_typeEPSM_NS1_7vsmem_tEENKUlT_SK_SL_SM_E_clISF_PS5_SG_SG_EESJ_SZ_SK_SL_SM_EUlSZ_E_NS1_11comp_targetILNS1_3genE0ELNS1_11target_archE4294967295ELNS1_3gpuE0ELNS1_3repE0EEENS1_48merge_mergepath_partition_config_static_selectorELNS0_4arch9wavefront6targetE1EEEvSL_,"axG",@progbits,_ZN7rocprim17ROCPRIM_400000_NS6detail17trampoline_kernelINS0_14default_configENS1_38merge_sort_block_merge_config_selectorI14custom_numericNS0_10empty_typeEEEZZNS1_27merge_sort_block_merge_implIS3_N6thrust23THRUST_200600_302600_NS6detail15normal_iteratorINSA_10device_ptrIS5_EEEEPS6_mNSA_7greaterIS5_EEEE10hipError_tT0_T1_T2_jT3_P12ihipStream_tbPNSt15iterator_traitsISK_E10value_typeEPNSQ_ISL_E10value_typeEPSM_NS1_7vsmem_tEENKUlT_SK_SL_SM_E_clISF_PS5_SG_SG_EESJ_SZ_SK_SL_SM_EUlSZ_E_NS1_11comp_targetILNS1_3genE0ELNS1_11target_archE4294967295ELNS1_3gpuE0ELNS1_3repE0EEENS1_48merge_mergepath_partition_config_static_selectorELNS0_4arch9wavefront6targetE1EEEvSL_,comdat
.Lfunc_end2666:
	.size	_ZN7rocprim17ROCPRIM_400000_NS6detail17trampoline_kernelINS0_14default_configENS1_38merge_sort_block_merge_config_selectorI14custom_numericNS0_10empty_typeEEEZZNS1_27merge_sort_block_merge_implIS3_N6thrust23THRUST_200600_302600_NS6detail15normal_iteratorINSA_10device_ptrIS5_EEEEPS6_mNSA_7greaterIS5_EEEE10hipError_tT0_T1_T2_jT3_P12ihipStream_tbPNSt15iterator_traitsISK_E10value_typeEPNSQ_ISL_E10value_typeEPSM_NS1_7vsmem_tEENKUlT_SK_SL_SM_E_clISF_PS5_SG_SG_EESJ_SZ_SK_SL_SM_EUlSZ_E_NS1_11comp_targetILNS1_3genE0ELNS1_11target_archE4294967295ELNS1_3gpuE0ELNS1_3repE0EEENS1_48merge_mergepath_partition_config_static_selectorELNS0_4arch9wavefront6targetE1EEEvSL_, .Lfunc_end2666-_ZN7rocprim17ROCPRIM_400000_NS6detail17trampoline_kernelINS0_14default_configENS1_38merge_sort_block_merge_config_selectorI14custom_numericNS0_10empty_typeEEEZZNS1_27merge_sort_block_merge_implIS3_N6thrust23THRUST_200600_302600_NS6detail15normal_iteratorINSA_10device_ptrIS5_EEEEPS6_mNSA_7greaterIS5_EEEE10hipError_tT0_T1_T2_jT3_P12ihipStream_tbPNSt15iterator_traitsISK_E10value_typeEPNSQ_ISL_E10value_typeEPSM_NS1_7vsmem_tEENKUlT_SK_SL_SM_E_clISF_PS5_SG_SG_EESJ_SZ_SK_SL_SM_EUlSZ_E_NS1_11comp_targetILNS1_3genE0ELNS1_11target_archE4294967295ELNS1_3gpuE0ELNS1_3repE0EEENS1_48merge_mergepath_partition_config_static_selectorELNS0_4arch9wavefront6targetE1EEEvSL_
                                        ; -- End function
	.section	.AMDGPU.csdata,"",@progbits
; Kernel info:
; codeLenInByte = 0
; NumSgprs: 4
; NumVgprs: 0
; NumAgprs: 0
; TotalNumVgprs: 0
; ScratchSize: 0
; MemoryBound: 0
; FloatMode: 240
; IeeeMode: 1
; LDSByteSize: 0 bytes/workgroup (compile time only)
; SGPRBlocks: 0
; VGPRBlocks: 0
; NumSGPRsForWavesPerEU: 4
; NumVGPRsForWavesPerEU: 1
; AccumOffset: 4
; Occupancy: 8
; WaveLimiterHint : 0
; COMPUTE_PGM_RSRC2:SCRATCH_EN: 0
; COMPUTE_PGM_RSRC2:USER_SGPR: 6
; COMPUTE_PGM_RSRC2:TRAP_HANDLER: 0
; COMPUTE_PGM_RSRC2:TGID_X_EN: 1
; COMPUTE_PGM_RSRC2:TGID_Y_EN: 0
; COMPUTE_PGM_RSRC2:TGID_Z_EN: 0
; COMPUTE_PGM_RSRC2:TIDIG_COMP_CNT: 0
; COMPUTE_PGM_RSRC3_GFX90A:ACCUM_OFFSET: 0
; COMPUTE_PGM_RSRC3_GFX90A:TG_SPLIT: 0
	.section	.text._ZN7rocprim17ROCPRIM_400000_NS6detail17trampoline_kernelINS0_14default_configENS1_38merge_sort_block_merge_config_selectorI14custom_numericNS0_10empty_typeEEEZZNS1_27merge_sort_block_merge_implIS3_N6thrust23THRUST_200600_302600_NS6detail15normal_iteratorINSA_10device_ptrIS5_EEEEPS6_mNSA_7greaterIS5_EEEE10hipError_tT0_T1_T2_jT3_P12ihipStream_tbPNSt15iterator_traitsISK_E10value_typeEPNSQ_ISL_E10value_typeEPSM_NS1_7vsmem_tEENKUlT_SK_SL_SM_E_clISF_PS5_SG_SG_EESJ_SZ_SK_SL_SM_EUlSZ_E_NS1_11comp_targetILNS1_3genE10ELNS1_11target_archE1201ELNS1_3gpuE5ELNS1_3repE0EEENS1_48merge_mergepath_partition_config_static_selectorELNS0_4arch9wavefront6targetE1EEEvSL_,"axG",@progbits,_ZN7rocprim17ROCPRIM_400000_NS6detail17trampoline_kernelINS0_14default_configENS1_38merge_sort_block_merge_config_selectorI14custom_numericNS0_10empty_typeEEEZZNS1_27merge_sort_block_merge_implIS3_N6thrust23THRUST_200600_302600_NS6detail15normal_iteratorINSA_10device_ptrIS5_EEEEPS6_mNSA_7greaterIS5_EEEE10hipError_tT0_T1_T2_jT3_P12ihipStream_tbPNSt15iterator_traitsISK_E10value_typeEPNSQ_ISL_E10value_typeEPSM_NS1_7vsmem_tEENKUlT_SK_SL_SM_E_clISF_PS5_SG_SG_EESJ_SZ_SK_SL_SM_EUlSZ_E_NS1_11comp_targetILNS1_3genE10ELNS1_11target_archE1201ELNS1_3gpuE5ELNS1_3repE0EEENS1_48merge_mergepath_partition_config_static_selectorELNS0_4arch9wavefront6targetE1EEEvSL_,comdat
	.protected	_ZN7rocprim17ROCPRIM_400000_NS6detail17trampoline_kernelINS0_14default_configENS1_38merge_sort_block_merge_config_selectorI14custom_numericNS0_10empty_typeEEEZZNS1_27merge_sort_block_merge_implIS3_N6thrust23THRUST_200600_302600_NS6detail15normal_iteratorINSA_10device_ptrIS5_EEEEPS6_mNSA_7greaterIS5_EEEE10hipError_tT0_T1_T2_jT3_P12ihipStream_tbPNSt15iterator_traitsISK_E10value_typeEPNSQ_ISL_E10value_typeEPSM_NS1_7vsmem_tEENKUlT_SK_SL_SM_E_clISF_PS5_SG_SG_EESJ_SZ_SK_SL_SM_EUlSZ_E_NS1_11comp_targetILNS1_3genE10ELNS1_11target_archE1201ELNS1_3gpuE5ELNS1_3repE0EEENS1_48merge_mergepath_partition_config_static_selectorELNS0_4arch9wavefront6targetE1EEEvSL_ ; -- Begin function _ZN7rocprim17ROCPRIM_400000_NS6detail17trampoline_kernelINS0_14default_configENS1_38merge_sort_block_merge_config_selectorI14custom_numericNS0_10empty_typeEEEZZNS1_27merge_sort_block_merge_implIS3_N6thrust23THRUST_200600_302600_NS6detail15normal_iteratorINSA_10device_ptrIS5_EEEEPS6_mNSA_7greaterIS5_EEEE10hipError_tT0_T1_T2_jT3_P12ihipStream_tbPNSt15iterator_traitsISK_E10value_typeEPNSQ_ISL_E10value_typeEPSM_NS1_7vsmem_tEENKUlT_SK_SL_SM_E_clISF_PS5_SG_SG_EESJ_SZ_SK_SL_SM_EUlSZ_E_NS1_11comp_targetILNS1_3genE10ELNS1_11target_archE1201ELNS1_3gpuE5ELNS1_3repE0EEENS1_48merge_mergepath_partition_config_static_selectorELNS0_4arch9wavefront6targetE1EEEvSL_
	.globl	_ZN7rocprim17ROCPRIM_400000_NS6detail17trampoline_kernelINS0_14default_configENS1_38merge_sort_block_merge_config_selectorI14custom_numericNS0_10empty_typeEEEZZNS1_27merge_sort_block_merge_implIS3_N6thrust23THRUST_200600_302600_NS6detail15normal_iteratorINSA_10device_ptrIS5_EEEEPS6_mNSA_7greaterIS5_EEEE10hipError_tT0_T1_T2_jT3_P12ihipStream_tbPNSt15iterator_traitsISK_E10value_typeEPNSQ_ISL_E10value_typeEPSM_NS1_7vsmem_tEENKUlT_SK_SL_SM_E_clISF_PS5_SG_SG_EESJ_SZ_SK_SL_SM_EUlSZ_E_NS1_11comp_targetILNS1_3genE10ELNS1_11target_archE1201ELNS1_3gpuE5ELNS1_3repE0EEENS1_48merge_mergepath_partition_config_static_selectorELNS0_4arch9wavefront6targetE1EEEvSL_
	.p2align	8
	.type	_ZN7rocprim17ROCPRIM_400000_NS6detail17trampoline_kernelINS0_14default_configENS1_38merge_sort_block_merge_config_selectorI14custom_numericNS0_10empty_typeEEEZZNS1_27merge_sort_block_merge_implIS3_N6thrust23THRUST_200600_302600_NS6detail15normal_iteratorINSA_10device_ptrIS5_EEEEPS6_mNSA_7greaterIS5_EEEE10hipError_tT0_T1_T2_jT3_P12ihipStream_tbPNSt15iterator_traitsISK_E10value_typeEPNSQ_ISL_E10value_typeEPSM_NS1_7vsmem_tEENKUlT_SK_SL_SM_E_clISF_PS5_SG_SG_EESJ_SZ_SK_SL_SM_EUlSZ_E_NS1_11comp_targetILNS1_3genE10ELNS1_11target_archE1201ELNS1_3gpuE5ELNS1_3repE0EEENS1_48merge_mergepath_partition_config_static_selectorELNS0_4arch9wavefront6targetE1EEEvSL_,@function
_ZN7rocprim17ROCPRIM_400000_NS6detail17trampoline_kernelINS0_14default_configENS1_38merge_sort_block_merge_config_selectorI14custom_numericNS0_10empty_typeEEEZZNS1_27merge_sort_block_merge_implIS3_N6thrust23THRUST_200600_302600_NS6detail15normal_iteratorINSA_10device_ptrIS5_EEEEPS6_mNSA_7greaterIS5_EEEE10hipError_tT0_T1_T2_jT3_P12ihipStream_tbPNSt15iterator_traitsISK_E10value_typeEPNSQ_ISL_E10value_typeEPSM_NS1_7vsmem_tEENKUlT_SK_SL_SM_E_clISF_PS5_SG_SG_EESJ_SZ_SK_SL_SM_EUlSZ_E_NS1_11comp_targetILNS1_3genE10ELNS1_11target_archE1201ELNS1_3gpuE5ELNS1_3repE0EEENS1_48merge_mergepath_partition_config_static_selectorELNS0_4arch9wavefront6targetE1EEEvSL_: ; @_ZN7rocprim17ROCPRIM_400000_NS6detail17trampoline_kernelINS0_14default_configENS1_38merge_sort_block_merge_config_selectorI14custom_numericNS0_10empty_typeEEEZZNS1_27merge_sort_block_merge_implIS3_N6thrust23THRUST_200600_302600_NS6detail15normal_iteratorINSA_10device_ptrIS5_EEEEPS6_mNSA_7greaterIS5_EEEE10hipError_tT0_T1_T2_jT3_P12ihipStream_tbPNSt15iterator_traitsISK_E10value_typeEPNSQ_ISL_E10value_typeEPSM_NS1_7vsmem_tEENKUlT_SK_SL_SM_E_clISF_PS5_SG_SG_EESJ_SZ_SK_SL_SM_EUlSZ_E_NS1_11comp_targetILNS1_3genE10ELNS1_11target_archE1201ELNS1_3gpuE5ELNS1_3repE0EEENS1_48merge_mergepath_partition_config_static_selectorELNS0_4arch9wavefront6targetE1EEEvSL_
; %bb.0:
	.section	.rodata,"a",@progbits
	.p2align	6, 0x0
	.amdhsa_kernel _ZN7rocprim17ROCPRIM_400000_NS6detail17trampoline_kernelINS0_14default_configENS1_38merge_sort_block_merge_config_selectorI14custom_numericNS0_10empty_typeEEEZZNS1_27merge_sort_block_merge_implIS3_N6thrust23THRUST_200600_302600_NS6detail15normal_iteratorINSA_10device_ptrIS5_EEEEPS6_mNSA_7greaterIS5_EEEE10hipError_tT0_T1_T2_jT3_P12ihipStream_tbPNSt15iterator_traitsISK_E10value_typeEPNSQ_ISL_E10value_typeEPSM_NS1_7vsmem_tEENKUlT_SK_SL_SM_E_clISF_PS5_SG_SG_EESJ_SZ_SK_SL_SM_EUlSZ_E_NS1_11comp_targetILNS1_3genE10ELNS1_11target_archE1201ELNS1_3gpuE5ELNS1_3repE0EEENS1_48merge_mergepath_partition_config_static_selectorELNS0_4arch9wavefront6targetE1EEEvSL_
		.amdhsa_group_segment_fixed_size 0
		.amdhsa_private_segment_fixed_size 0
		.amdhsa_kernarg_size 48
		.amdhsa_user_sgpr_count 6
		.amdhsa_user_sgpr_private_segment_buffer 1
		.amdhsa_user_sgpr_dispatch_ptr 0
		.amdhsa_user_sgpr_queue_ptr 0
		.amdhsa_user_sgpr_kernarg_segment_ptr 1
		.amdhsa_user_sgpr_dispatch_id 0
		.amdhsa_user_sgpr_flat_scratch_init 0
		.amdhsa_user_sgpr_kernarg_preload_length 0
		.amdhsa_user_sgpr_kernarg_preload_offset 0
		.amdhsa_user_sgpr_private_segment_size 0
		.amdhsa_uses_dynamic_stack 0
		.amdhsa_system_sgpr_private_segment_wavefront_offset 0
		.amdhsa_system_sgpr_workgroup_id_x 1
		.amdhsa_system_sgpr_workgroup_id_y 0
		.amdhsa_system_sgpr_workgroup_id_z 0
		.amdhsa_system_sgpr_workgroup_info 0
		.amdhsa_system_vgpr_workitem_id 0
		.amdhsa_next_free_vgpr 1
		.amdhsa_next_free_sgpr 0
		.amdhsa_accum_offset 4
		.amdhsa_reserve_vcc 0
		.amdhsa_reserve_flat_scratch 0
		.amdhsa_float_round_mode_32 0
		.amdhsa_float_round_mode_16_64 0
		.amdhsa_float_denorm_mode_32 3
		.amdhsa_float_denorm_mode_16_64 3
		.amdhsa_dx10_clamp 1
		.amdhsa_ieee_mode 1
		.amdhsa_fp16_overflow 0
		.amdhsa_tg_split 0
		.amdhsa_exception_fp_ieee_invalid_op 0
		.amdhsa_exception_fp_denorm_src 0
		.amdhsa_exception_fp_ieee_div_zero 0
		.amdhsa_exception_fp_ieee_overflow 0
		.amdhsa_exception_fp_ieee_underflow 0
		.amdhsa_exception_fp_ieee_inexact 0
		.amdhsa_exception_int_div_zero 0
	.end_amdhsa_kernel
	.section	.text._ZN7rocprim17ROCPRIM_400000_NS6detail17trampoline_kernelINS0_14default_configENS1_38merge_sort_block_merge_config_selectorI14custom_numericNS0_10empty_typeEEEZZNS1_27merge_sort_block_merge_implIS3_N6thrust23THRUST_200600_302600_NS6detail15normal_iteratorINSA_10device_ptrIS5_EEEEPS6_mNSA_7greaterIS5_EEEE10hipError_tT0_T1_T2_jT3_P12ihipStream_tbPNSt15iterator_traitsISK_E10value_typeEPNSQ_ISL_E10value_typeEPSM_NS1_7vsmem_tEENKUlT_SK_SL_SM_E_clISF_PS5_SG_SG_EESJ_SZ_SK_SL_SM_EUlSZ_E_NS1_11comp_targetILNS1_3genE10ELNS1_11target_archE1201ELNS1_3gpuE5ELNS1_3repE0EEENS1_48merge_mergepath_partition_config_static_selectorELNS0_4arch9wavefront6targetE1EEEvSL_,"axG",@progbits,_ZN7rocprim17ROCPRIM_400000_NS6detail17trampoline_kernelINS0_14default_configENS1_38merge_sort_block_merge_config_selectorI14custom_numericNS0_10empty_typeEEEZZNS1_27merge_sort_block_merge_implIS3_N6thrust23THRUST_200600_302600_NS6detail15normal_iteratorINSA_10device_ptrIS5_EEEEPS6_mNSA_7greaterIS5_EEEE10hipError_tT0_T1_T2_jT3_P12ihipStream_tbPNSt15iterator_traitsISK_E10value_typeEPNSQ_ISL_E10value_typeEPSM_NS1_7vsmem_tEENKUlT_SK_SL_SM_E_clISF_PS5_SG_SG_EESJ_SZ_SK_SL_SM_EUlSZ_E_NS1_11comp_targetILNS1_3genE10ELNS1_11target_archE1201ELNS1_3gpuE5ELNS1_3repE0EEENS1_48merge_mergepath_partition_config_static_selectorELNS0_4arch9wavefront6targetE1EEEvSL_,comdat
.Lfunc_end2667:
	.size	_ZN7rocprim17ROCPRIM_400000_NS6detail17trampoline_kernelINS0_14default_configENS1_38merge_sort_block_merge_config_selectorI14custom_numericNS0_10empty_typeEEEZZNS1_27merge_sort_block_merge_implIS3_N6thrust23THRUST_200600_302600_NS6detail15normal_iteratorINSA_10device_ptrIS5_EEEEPS6_mNSA_7greaterIS5_EEEE10hipError_tT0_T1_T2_jT3_P12ihipStream_tbPNSt15iterator_traitsISK_E10value_typeEPNSQ_ISL_E10value_typeEPSM_NS1_7vsmem_tEENKUlT_SK_SL_SM_E_clISF_PS5_SG_SG_EESJ_SZ_SK_SL_SM_EUlSZ_E_NS1_11comp_targetILNS1_3genE10ELNS1_11target_archE1201ELNS1_3gpuE5ELNS1_3repE0EEENS1_48merge_mergepath_partition_config_static_selectorELNS0_4arch9wavefront6targetE1EEEvSL_, .Lfunc_end2667-_ZN7rocprim17ROCPRIM_400000_NS6detail17trampoline_kernelINS0_14default_configENS1_38merge_sort_block_merge_config_selectorI14custom_numericNS0_10empty_typeEEEZZNS1_27merge_sort_block_merge_implIS3_N6thrust23THRUST_200600_302600_NS6detail15normal_iteratorINSA_10device_ptrIS5_EEEEPS6_mNSA_7greaterIS5_EEEE10hipError_tT0_T1_T2_jT3_P12ihipStream_tbPNSt15iterator_traitsISK_E10value_typeEPNSQ_ISL_E10value_typeEPSM_NS1_7vsmem_tEENKUlT_SK_SL_SM_E_clISF_PS5_SG_SG_EESJ_SZ_SK_SL_SM_EUlSZ_E_NS1_11comp_targetILNS1_3genE10ELNS1_11target_archE1201ELNS1_3gpuE5ELNS1_3repE0EEENS1_48merge_mergepath_partition_config_static_selectorELNS0_4arch9wavefront6targetE1EEEvSL_
                                        ; -- End function
	.section	.AMDGPU.csdata,"",@progbits
; Kernel info:
; codeLenInByte = 0
; NumSgprs: 4
; NumVgprs: 0
; NumAgprs: 0
; TotalNumVgprs: 0
; ScratchSize: 0
; MemoryBound: 0
; FloatMode: 240
; IeeeMode: 1
; LDSByteSize: 0 bytes/workgroup (compile time only)
; SGPRBlocks: 0
; VGPRBlocks: 0
; NumSGPRsForWavesPerEU: 4
; NumVGPRsForWavesPerEU: 1
; AccumOffset: 4
; Occupancy: 8
; WaveLimiterHint : 0
; COMPUTE_PGM_RSRC2:SCRATCH_EN: 0
; COMPUTE_PGM_RSRC2:USER_SGPR: 6
; COMPUTE_PGM_RSRC2:TRAP_HANDLER: 0
; COMPUTE_PGM_RSRC2:TGID_X_EN: 1
; COMPUTE_PGM_RSRC2:TGID_Y_EN: 0
; COMPUTE_PGM_RSRC2:TGID_Z_EN: 0
; COMPUTE_PGM_RSRC2:TIDIG_COMP_CNT: 0
; COMPUTE_PGM_RSRC3_GFX90A:ACCUM_OFFSET: 0
; COMPUTE_PGM_RSRC3_GFX90A:TG_SPLIT: 0
	.section	.text._ZN7rocprim17ROCPRIM_400000_NS6detail17trampoline_kernelINS0_14default_configENS1_38merge_sort_block_merge_config_selectorI14custom_numericNS0_10empty_typeEEEZZNS1_27merge_sort_block_merge_implIS3_N6thrust23THRUST_200600_302600_NS6detail15normal_iteratorINSA_10device_ptrIS5_EEEEPS6_mNSA_7greaterIS5_EEEE10hipError_tT0_T1_T2_jT3_P12ihipStream_tbPNSt15iterator_traitsISK_E10value_typeEPNSQ_ISL_E10value_typeEPSM_NS1_7vsmem_tEENKUlT_SK_SL_SM_E_clISF_PS5_SG_SG_EESJ_SZ_SK_SL_SM_EUlSZ_E_NS1_11comp_targetILNS1_3genE5ELNS1_11target_archE942ELNS1_3gpuE9ELNS1_3repE0EEENS1_48merge_mergepath_partition_config_static_selectorELNS0_4arch9wavefront6targetE1EEEvSL_,"axG",@progbits,_ZN7rocprim17ROCPRIM_400000_NS6detail17trampoline_kernelINS0_14default_configENS1_38merge_sort_block_merge_config_selectorI14custom_numericNS0_10empty_typeEEEZZNS1_27merge_sort_block_merge_implIS3_N6thrust23THRUST_200600_302600_NS6detail15normal_iteratorINSA_10device_ptrIS5_EEEEPS6_mNSA_7greaterIS5_EEEE10hipError_tT0_T1_T2_jT3_P12ihipStream_tbPNSt15iterator_traitsISK_E10value_typeEPNSQ_ISL_E10value_typeEPSM_NS1_7vsmem_tEENKUlT_SK_SL_SM_E_clISF_PS5_SG_SG_EESJ_SZ_SK_SL_SM_EUlSZ_E_NS1_11comp_targetILNS1_3genE5ELNS1_11target_archE942ELNS1_3gpuE9ELNS1_3repE0EEENS1_48merge_mergepath_partition_config_static_selectorELNS0_4arch9wavefront6targetE1EEEvSL_,comdat
	.protected	_ZN7rocprim17ROCPRIM_400000_NS6detail17trampoline_kernelINS0_14default_configENS1_38merge_sort_block_merge_config_selectorI14custom_numericNS0_10empty_typeEEEZZNS1_27merge_sort_block_merge_implIS3_N6thrust23THRUST_200600_302600_NS6detail15normal_iteratorINSA_10device_ptrIS5_EEEEPS6_mNSA_7greaterIS5_EEEE10hipError_tT0_T1_T2_jT3_P12ihipStream_tbPNSt15iterator_traitsISK_E10value_typeEPNSQ_ISL_E10value_typeEPSM_NS1_7vsmem_tEENKUlT_SK_SL_SM_E_clISF_PS5_SG_SG_EESJ_SZ_SK_SL_SM_EUlSZ_E_NS1_11comp_targetILNS1_3genE5ELNS1_11target_archE942ELNS1_3gpuE9ELNS1_3repE0EEENS1_48merge_mergepath_partition_config_static_selectorELNS0_4arch9wavefront6targetE1EEEvSL_ ; -- Begin function _ZN7rocprim17ROCPRIM_400000_NS6detail17trampoline_kernelINS0_14default_configENS1_38merge_sort_block_merge_config_selectorI14custom_numericNS0_10empty_typeEEEZZNS1_27merge_sort_block_merge_implIS3_N6thrust23THRUST_200600_302600_NS6detail15normal_iteratorINSA_10device_ptrIS5_EEEEPS6_mNSA_7greaterIS5_EEEE10hipError_tT0_T1_T2_jT3_P12ihipStream_tbPNSt15iterator_traitsISK_E10value_typeEPNSQ_ISL_E10value_typeEPSM_NS1_7vsmem_tEENKUlT_SK_SL_SM_E_clISF_PS5_SG_SG_EESJ_SZ_SK_SL_SM_EUlSZ_E_NS1_11comp_targetILNS1_3genE5ELNS1_11target_archE942ELNS1_3gpuE9ELNS1_3repE0EEENS1_48merge_mergepath_partition_config_static_selectorELNS0_4arch9wavefront6targetE1EEEvSL_
	.globl	_ZN7rocprim17ROCPRIM_400000_NS6detail17trampoline_kernelINS0_14default_configENS1_38merge_sort_block_merge_config_selectorI14custom_numericNS0_10empty_typeEEEZZNS1_27merge_sort_block_merge_implIS3_N6thrust23THRUST_200600_302600_NS6detail15normal_iteratorINSA_10device_ptrIS5_EEEEPS6_mNSA_7greaterIS5_EEEE10hipError_tT0_T1_T2_jT3_P12ihipStream_tbPNSt15iterator_traitsISK_E10value_typeEPNSQ_ISL_E10value_typeEPSM_NS1_7vsmem_tEENKUlT_SK_SL_SM_E_clISF_PS5_SG_SG_EESJ_SZ_SK_SL_SM_EUlSZ_E_NS1_11comp_targetILNS1_3genE5ELNS1_11target_archE942ELNS1_3gpuE9ELNS1_3repE0EEENS1_48merge_mergepath_partition_config_static_selectorELNS0_4arch9wavefront6targetE1EEEvSL_
	.p2align	8
	.type	_ZN7rocprim17ROCPRIM_400000_NS6detail17trampoline_kernelINS0_14default_configENS1_38merge_sort_block_merge_config_selectorI14custom_numericNS0_10empty_typeEEEZZNS1_27merge_sort_block_merge_implIS3_N6thrust23THRUST_200600_302600_NS6detail15normal_iteratorINSA_10device_ptrIS5_EEEEPS6_mNSA_7greaterIS5_EEEE10hipError_tT0_T1_T2_jT3_P12ihipStream_tbPNSt15iterator_traitsISK_E10value_typeEPNSQ_ISL_E10value_typeEPSM_NS1_7vsmem_tEENKUlT_SK_SL_SM_E_clISF_PS5_SG_SG_EESJ_SZ_SK_SL_SM_EUlSZ_E_NS1_11comp_targetILNS1_3genE5ELNS1_11target_archE942ELNS1_3gpuE9ELNS1_3repE0EEENS1_48merge_mergepath_partition_config_static_selectorELNS0_4arch9wavefront6targetE1EEEvSL_,@function
_ZN7rocprim17ROCPRIM_400000_NS6detail17trampoline_kernelINS0_14default_configENS1_38merge_sort_block_merge_config_selectorI14custom_numericNS0_10empty_typeEEEZZNS1_27merge_sort_block_merge_implIS3_N6thrust23THRUST_200600_302600_NS6detail15normal_iteratorINSA_10device_ptrIS5_EEEEPS6_mNSA_7greaterIS5_EEEE10hipError_tT0_T1_T2_jT3_P12ihipStream_tbPNSt15iterator_traitsISK_E10value_typeEPNSQ_ISL_E10value_typeEPSM_NS1_7vsmem_tEENKUlT_SK_SL_SM_E_clISF_PS5_SG_SG_EESJ_SZ_SK_SL_SM_EUlSZ_E_NS1_11comp_targetILNS1_3genE5ELNS1_11target_archE942ELNS1_3gpuE9ELNS1_3repE0EEENS1_48merge_mergepath_partition_config_static_selectorELNS0_4arch9wavefront6targetE1EEEvSL_: ; @_ZN7rocprim17ROCPRIM_400000_NS6detail17trampoline_kernelINS0_14default_configENS1_38merge_sort_block_merge_config_selectorI14custom_numericNS0_10empty_typeEEEZZNS1_27merge_sort_block_merge_implIS3_N6thrust23THRUST_200600_302600_NS6detail15normal_iteratorINSA_10device_ptrIS5_EEEEPS6_mNSA_7greaterIS5_EEEE10hipError_tT0_T1_T2_jT3_P12ihipStream_tbPNSt15iterator_traitsISK_E10value_typeEPNSQ_ISL_E10value_typeEPSM_NS1_7vsmem_tEENKUlT_SK_SL_SM_E_clISF_PS5_SG_SG_EESJ_SZ_SK_SL_SM_EUlSZ_E_NS1_11comp_targetILNS1_3genE5ELNS1_11target_archE942ELNS1_3gpuE9ELNS1_3repE0EEENS1_48merge_mergepath_partition_config_static_selectorELNS0_4arch9wavefront6targetE1EEEvSL_
; %bb.0:
	.section	.rodata,"a",@progbits
	.p2align	6, 0x0
	.amdhsa_kernel _ZN7rocprim17ROCPRIM_400000_NS6detail17trampoline_kernelINS0_14default_configENS1_38merge_sort_block_merge_config_selectorI14custom_numericNS0_10empty_typeEEEZZNS1_27merge_sort_block_merge_implIS3_N6thrust23THRUST_200600_302600_NS6detail15normal_iteratorINSA_10device_ptrIS5_EEEEPS6_mNSA_7greaterIS5_EEEE10hipError_tT0_T1_T2_jT3_P12ihipStream_tbPNSt15iterator_traitsISK_E10value_typeEPNSQ_ISL_E10value_typeEPSM_NS1_7vsmem_tEENKUlT_SK_SL_SM_E_clISF_PS5_SG_SG_EESJ_SZ_SK_SL_SM_EUlSZ_E_NS1_11comp_targetILNS1_3genE5ELNS1_11target_archE942ELNS1_3gpuE9ELNS1_3repE0EEENS1_48merge_mergepath_partition_config_static_selectorELNS0_4arch9wavefront6targetE1EEEvSL_
		.amdhsa_group_segment_fixed_size 0
		.amdhsa_private_segment_fixed_size 0
		.amdhsa_kernarg_size 48
		.amdhsa_user_sgpr_count 6
		.amdhsa_user_sgpr_private_segment_buffer 1
		.amdhsa_user_sgpr_dispatch_ptr 0
		.amdhsa_user_sgpr_queue_ptr 0
		.amdhsa_user_sgpr_kernarg_segment_ptr 1
		.amdhsa_user_sgpr_dispatch_id 0
		.amdhsa_user_sgpr_flat_scratch_init 0
		.amdhsa_user_sgpr_kernarg_preload_length 0
		.amdhsa_user_sgpr_kernarg_preload_offset 0
		.amdhsa_user_sgpr_private_segment_size 0
		.amdhsa_uses_dynamic_stack 0
		.amdhsa_system_sgpr_private_segment_wavefront_offset 0
		.amdhsa_system_sgpr_workgroup_id_x 1
		.amdhsa_system_sgpr_workgroup_id_y 0
		.amdhsa_system_sgpr_workgroup_id_z 0
		.amdhsa_system_sgpr_workgroup_info 0
		.amdhsa_system_vgpr_workitem_id 0
		.amdhsa_next_free_vgpr 1
		.amdhsa_next_free_sgpr 0
		.amdhsa_accum_offset 4
		.amdhsa_reserve_vcc 0
		.amdhsa_reserve_flat_scratch 0
		.amdhsa_float_round_mode_32 0
		.amdhsa_float_round_mode_16_64 0
		.amdhsa_float_denorm_mode_32 3
		.amdhsa_float_denorm_mode_16_64 3
		.amdhsa_dx10_clamp 1
		.amdhsa_ieee_mode 1
		.amdhsa_fp16_overflow 0
		.amdhsa_tg_split 0
		.amdhsa_exception_fp_ieee_invalid_op 0
		.amdhsa_exception_fp_denorm_src 0
		.amdhsa_exception_fp_ieee_div_zero 0
		.amdhsa_exception_fp_ieee_overflow 0
		.amdhsa_exception_fp_ieee_underflow 0
		.amdhsa_exception_fp_ieee_inexact 0
		.amdhsa_exception_int_div_zero 0
	.end_amdhsa_kernel
	.section	.text._ZN7rocprim17ROCPRIM_400000_NS6detail17trampoline_kernelINS0_14default_configENS1_38merge_sort_block_merge_config_selectorI14custom_numericNS0_10empty_typeEEEZZNS1_27merge_sort_block_merge_implIS3_N6thrust23THRUST_200600_302600_NS6detail15normal_iteratorINSA_10device_ptrIS5_EEEEPS6_mNSA_7greaterIS5_EEEE10hipError_tT0_T1_T2_jT3_P12ihipStream_tbPNSt15iterator_traitsISK_E10value_typeEPNSQ_ISL_E10value_typeEPSM_NS1_7vsmem_tEENKUlT_SK_SL_SM_E_clISF_PS5_SG_SG_EESJ_SZ_SK_SL_SM_EUlSZ_E_NS1_11comp_targetILNS1_3genE5ELNS1_11target_archE942ELNS1_3gpuE9ELNS1_3repE0EEENS1_48merge_mergepath_partition_config_static_selectorELNS0_4arch9wavefront6targetE1EEEvSL_,"axG",@progbits,_ZN7rocprim17ROCPRIM_400000_NS6detail17trampoline_kernelINS0_14default_configENS1_38merge_sort_block_merge_config_selectorI14custom_numericNS0_10empty_typeEEEZZNS1_27merge_sort_block_merge_implIS3_N6thrust23THRUST_200600_302600_NS6detail15normal_iteratorINSA_10device_ptrIS5_EEEEPS6_mNSA_7greaterIS5_EEEE10hipError_tT0_T1_T2_jT3_P12ihipStream_tbPNSt15iterator_traitsISK_E10value_typeEPNSQ_ISL_E10value_typeEPSM_NS1_7vsmem_tEENKUlT_SK_SL_SM_E_clISF_PS5_SG_SG_EESJ_SZ_SK_SL_SM_EUlSZ_E_NS1_11comp_targetILNS1_3genE5ELNS1_11target_archE942ELNS1_3gpuE9ELNS1_3repE0EEENS1_48merge_mergepath_partition_config_static_selectorELNS0_4arch9wavefront6targetE1EEEvSL_,comdat
.Lfunc_end2668:
	.size	_ZN7rocprim17ROCPRIM_400000_NS6detail17trampoline_kernelINS0_14default_configENS1_38merge_sort_block_merge_config_selectorI14custom_numericNS0_10empty_typeEEEZZNS1_27merge_sort_block_merge_implIS3_N6thrust23THRUST_200600_302600_NS6detail15normal_iteratorINSA_10device_ptrIS5_EEEEPS6_mNSA_7greaterIS5_EEEE10hipError_tT0_T1_T2_jT3_P12ihipStream_tbPNSt15iterator_traitsISK_E10value_typeEPNSQ_ISL_E10value_typeEPSM_NS1_7vsmem_tEENKUlT_SK_SL_SM_E_clISF_PS5_SG_SG_EESJ_SZ_SK_SL_SM_EUlSZ_E_NS1_11comp_targetILNS1_3genE5ELNS1_11target_archE942ELNS1_3gpuE9ELNS1_3repE0EEENS1_48merge_mergepath_partition_config_static_selectorELNS0_4arch9wavefront6targetE1EEEvSL_, .Lfunc_end2668-_ZN7rocprim17ROCPRIM_400000_NS6detail17trampoline_kernelINS0_14default_configENS1_38merge_sort_block_merge_config_selectorI14custom_numericNS0_10empty_typeEEEZZNS1_27merge_sort_block_merge_implIS3_N6thrust23THRUST_200600_302600_NS6detail15normal_iteratorINSA_10device_ptrIS5_EEEEPS6_mNSA_7greaterIS5_EEEE10hipError_tT0_T1_T2_jT3_P12ihipStream_tbPNSt15iterator_traitsISK_E10value_typeEPNSQ_ISL_E10value_typeEPSM_NS1_7vsmem_tEENKUlT_SK_SL_SM_E_clISF_PS5_SG_SG_EESJ_SZ_SK_SL_SM_EUlSZ_E_NS1_11comp_targetILNS1_3genE5ELNS1_11target_archE942ELNS1_3gpuE9ELNS1_3repE0EEENS1_48merge_mergepath_partition_config_static_selectorELNS0_4arch9wavefront6targetE1EEEvSL_
                                        ; -- End function
	.section	.AMDGPU.csdata,"",@progbits
; Kernel info:
; codeLenInByte = 0
; NumSgprs: 4
; NumVgprs: 0
; NumAgprs: 0
; TotalNumVgprs: 0
; ScratchSize: 0
; MemoryBound: 0
; FloatMode: 240
; IeeeMode: 1
; LDSByteSize: 0 bytes/workgroup (compile time only)
; SGPRBlocks: 0
; VGPRBlocks: 0
; NumSGPRsForWavesPerEU: 4
; NumVGPRsForWavesPerEU: 1
; AccumOffset: 4
; Occupancy: 8
; WaveLimiterHint : 0
; COMPUTE_PGM_RSRC2:SCRATCH_EN: 0
; COMPUTE_PGM_RSRC2:USER_SGPR: 6
; COMPUTE_PGM_RSRC2:TRAP_HANDLER: 0
; COMPUTE_PGM_RSRC2:TGID_X_EN: 1
; COMPUTE_PGM_RSRC2:TGID_Y_EN: 0
; COMPUTE_PGM_RSRC2:TGID_Z_EN: 0
; COMPUTE_PGM_RSRC2:TIDIG_COMP_CNT: 0
; COMPUTE_PGM_RSRC3_GFX90A:ACCUM_OFFSET: 0
; COMPUTE_PGM_RSRC3_GFX90A:TG_SPLIT: 0
	.section	.text._ZN7rocprim17ROCPRIM_400000_NS6detail17trampoline_kernelINS0_14default_configENS1_38merge_sort_block_merge_config_selectorI14custom_numericNS0_10empty_typeEEEZZNS1_27merge_sort_block_merge_implIS3_N6thrust23THRUST_200600_302600_NS6detail15normal_iteratorINSA_10device_ptrIS5_EEEEPS6_mNSA_7greaterIS5_EEEE10hipError_tT0_T1_T2_jT3_P12ihipStream_tbPNSt15iterator_traitsISK_E10value_typeEPNSQ_ISL_E10value_typeEPSM_NS1_7vsmem_tEENKUlT_SK_SL_SM_E_clISF_PS5_SG_SG_EESJ_SZ_SK_SL_SM_EUlSZ_E_NS1_11comp_targetILNS1_3genE4ELNS1_11target_archE910ELNS1_3gpuE8ELNS1_3repE0EEENS1_48merge_mergepath_partition_config_static_selectorELNS0_4arch9wavefront6targetE1EEEvSL_,"axG",@progbits,_ZN7rocprim17ROCPRIM_400000_NS6detail17trampoline_kernelINS0_14default_configENS1_38merge_sort_block_merge_config_selectorI14custom_numericNS0_10empty_typeEEEZZNS1_27merge_sort_block_merge_implIS3_N6thrust23THRUST_200600_302600_NS6detail15normal_iteratorINSA_10device_ptrIS5_EEEEPS6_mNSA_7greaterIS5_EEEE10hipError_tT0_T1_T2_jT3_P12ihipStream_tbPNSt15iterator_traitsISK_E10value_typeEPNSQ_ISL_E10value_typeEPSM_NS1_7vsmem_tEENKUlT_SK_SL_SM_E_clISF_PS5_SG_SG_EESJ_SZ_SK_SL_SM_EUlSZ_E_NS1_11comp_targetILNS1_3genE4ELNS1_11target_archE910ELNS1_3gpuE8ELNS1_3repE0EEENS1_48merge_mergepath_partition_config_static_selectorELNS0_4arch9wavefront6targetE1EEEvSL_,comdat
	.protected	_ZN7rocprim17ROCPRIM_400000_NS6detail17trampoline_kernelINS0_14default_configENS1_38merge_sort_block_merge_config_selectorI14custom_numericNS0_10empty_typeEEEZZNS1_27merge_sort_block_merge_implIS3_N6thrust23THRUST_200600_302600_NS6detail15normal_iteratorINSA_10device_ptrIS5_EEEEPS6_mNSA_7greaterIS5_EEEE10hipError_tT0_T1_T2_jT3_P12ihipStream_tbPNSt15iterator_traitsISK_E10value_typeEPNSQ_ISL_E10value_typeEPSM_NS1_7vsmem_tEENKUlT_SK_SL_SM_E_clISF_PS5_SG_SG_EESJ_SZ_SK_SL_SM_EUlSZ_E_NS1_11comp_targetILNS1_3genE4ELNS1_11target_archE910ELNS1_3gpuE8ELNS1_3repE0EEENS1_48merge_mergepath_partition_config_static_selectorELNS0_4arch9wavefront6targetE1EEEvSL_ ; -- Begin function _ZN7rocprim17ROCPRIM_400000_NS6detail17trampoline_kernelINS0_14default_configENS1_38merge_sort_block_merge_config_selectorI14custom_numericNS0_10empty_typeEEEZZNS1_27merge_sort_block_merge_implIS3_N6thrust23THRUST_200600_302600_NS6detail15normal_iteratorINSA_10device_ptrIS5_EEEEPS6_mNSA_7greaterIS5_EEEE10hipError_tT0_T1_T2_jT3_P12ihipStream_tbPNSt15iterator_traitsISK_E10value_typeEPNSQ_ISL_E10value_typeEPSM_NS1_7vsmem_tEENKUlT_SK_SL_SM_E_clISF_PS5_SG_SG_EESJ_SZ_SK_SL_SM_EUlSZ_E_NS1_11comp_targetILNS1_3genE4ELNS1_11target_archE910ELNS1_3gpuE8ELNS1_3repE0EEENS1_48merge_mergepath_partition_config_static_selectorELNS0_4arch9wavefront6targetE1EEEvSL_
	.globl	_ZN7rocprim17ROCPRIM_400000_NS6detail17trampoline_kernelINS0_14default_configENS1_38merge_sort_block_merge_config_selectorI14custom_numericNS0_10empty_typeEEEZZNS1_27merge_sort_block_merge_implIS3_N6thrust23THRUST_200600_302600_NS6detail15normal_iteratorINSA_10device_ptrIS5_EEEEPS6_mNSA_7greaterIS5_EEEE10hipError_tT0_T1_T2_jT3_P12ihipStream_tbPNSt15iterator_traitsISK_E10value_typeEPNSQ_ISL_E10value_typeEPSM_NS1_7vsmem_tEENKUlT_SK_SL_SM_E_clISF_PS5_SG_SG_EESJ_SZ_SK_SL_SM_EUlSZ_E_NS1_11comp_targetILNS1_3genE4ELNS1_11target_archE910ELNS1_3gpuE8ELNS1_3repE0EEENS1_48merge_mergepath_partition_config_static_selectorELNS0_4arch9wavefront6targetE1EEEvSL_
	.p2align	8
	.type	_ZN7rocprim17ROCPRIM_400000_NS6detail17trampoline_kernelINS0_14default_configENS1_38merge_sort_block_merge_config_selectorI14custom_numericNS0_10empty_typeEEEZZNS1_27merge_sort_block_merge_implIS3_N6thrust23THRUST_200600_302600_NS6detail15normal_iteratorINSA_10device_ptrIS5_EEEEPS6_mNSA_7greaterIS5_EEEE10hipError_tT0_T1_T2_jT3_P12ihipStream_tbPNSt15iterator_traitsISK_E10value_typeEPNSQ_ISL_E10value_typeEPSM_NS1_7vsmem_tEENKUlT_SK_SL_SM_E_clISF_PS5_SG_SG_EESJ_SZ_SK_SL_SM_EUlSZ_E_NS1_11comp_targetILNS1_3genE4ELNS1_11target_archE910ELNS1_3gpuE8ELNS1_3repE0EEENS1_48merge_mergepath_partition_config_static_selectorELNS0_4arch9wavefront6targetE1EEEvSL_,@function
_ZN7rocprim17ROCPRIM_400000_NS6detail17trampoline_kernelINS0_14default_configENS1_38merge_sort_block_merge_config_selectorI14custom_numericNS0_10empty_typeEEEZZNS1_27merge_sort_block_merge_implIS3_N6thrust23THRUST_200600_302600_NS6detail15normal_iteratorINSA_10device_ptrIS5_EEEEPS6_mNSA_7greaterIS5_EEEE10hipError_tT0_T1_T2_jT3_P12ihipStream_tbPNSt15iterator_traitsISK_E10value_typeEPNSQ_ISL_E10value_typeEPSM_NS1_7vsmem_tEENKUlT_SK_SL_SM_E_clISF_PS5_SG_SG_EESJ_SZ_SK_SL_SM_EUlSZ_E_NS1_11comp_targetILNS1_3genE4ELNS1_11target_archE910ELNS1_3gpuE8ELNS1_3repE0EEENS1_48merge_mergepath_partition_config_static_selectorELNS0_4arch9wavefront6targetE1EEEvSL_: ; @_ZN7rocprim17ROCPRIM_400000_NS6detail17trampoline_kernelINS0_14default_configENS1_38merge_sort_block_merge_config_selectorI14custom_numericNS0_10empty_typeEEEZZNS1_27merge_sort_block_merge_implIS3_N6thrust23THRUST_200600_302600_NS6detail15normal_iteratorINSA_10device_ptrIS5_EEEEPS6_mNSA_7greaterIS5_EEEE10hipError_tT0_T1_T2_jT3_P12ihipStream_tbPNSt15iterator_traitsISK_E10value_typeEPNSQ_ISL_E10value_typeEPSM_NS1_7vsmem_tEENKUlT_SK_SL_SM_E_clISF_PS5_SG_SG_EESJ_SZ_SK_SL_SM_EUlSZ_E_NS1_11comp_targetILNS1_3genE4ELNS1_11target_archE910ELNS1_3gpuE8ELNS1_3repE0EEENS1_48merge_mergepath_partition_config_static_selectorELNS0_4arch9wavefront6targetE1EEEvSL_
; %bb.0:
	s_load_dword s0, s[4:5], 0x0
	v_lshl_or_b32 v0, s6, 7, v0
	s_waitcnt lgkmcnt(0)
	v_cmp_gt_u32_e32 vcc, s0, v0
	s_and_saveexec_b64 s[0:1], vcc
	s_cbranch_execz .LBB2669_6
; %bb.1:
	s_load_dwordx4 s[0:3], s[4:5], 0x8
	s_load_dwordx2 s[6:7], s[4:5], 0x28
	v_mov_b32_e32 v5, 0
	s_waitcnt lgkmcnt(0)
	v_mov_b32_e32 v1, s0
	v_alignbit_b32 v1, s1, v1, 8
	v_and_b32_e32 v1, -2, v1
	v_add_u32_e32 v2, -1, v1
	v_sub_u32_e32 v1, 0, v1
	v_and_b32_e32 v4, v0, v1
	v_lshlrev_b64 v[8:9], 9, v[4:5]
	v_mov_b32_e32 v4, s3
	v_cmp_lt_u64_e32 vcc, s[2:3], v[8:9]
	v_mov_b32_e32 v7, s2
	v_and_b32_e32 v6, v2, v0
	v_cndmask_b32_e32 v1, v9, v4, vcc
	v_cndmask_b32_e32 v2, v8, v7, vcc
	v_mov_b32_e32 v3, s1
	v_add_co_u32_e32 v8, vcc, s0, v8
	v_addc_co_u32_e32 v9, vcc, v9, v3, vcc
	v_cmp_lt_u64_e32 vcc, s[2:3], v[8:9]
	v_cndmask_b32_e32 v10, v8, v7, vcc
	v_cndmask_b32_e32 v3, v9, v4, vcc
	v_mov_b32_e32 v9, s1
	v_add_co_u32_e32 v8, vcc, s0, v10
	v_addc_co_u32_e32 v9, vcc, v3, v9, vcc
	v_cmp_lt_u64_e32 vcc, s[2:3], v[8:9]
	v_cndmask_b32_e32 v14, v8, v7, vcc
	v_cndmask_b32_e32 v11, v9, v4, vcc
	v_sub_co_u32_e32 v8, vcc, v14, v2
	v_mov_b32_e32 v7, v5
	v_subb_co_u32_e32 v9, vcc, v11, v1, vcc
	v_lshlrev_b64 v[4:5], 9, v[6:7]
	v_cmp_lt_u64_e32 vcc, v[8:9], v[4:5]
	v_cndmask_b32_e32 v13, v5, v9, vcc
	v_cndmask_b32_e32 v12, v4, v8, vcc
	v_sub_co_u32_e32 v6, vcc, v10, v2
	v_subb_co_u32_e32 v7, vcc, v3, v1, vcc
	v_sub_co_u32_e32 v4, vcc, v10, v14
	v_subb_co_u32_e32 v5, vcc, v3, v11, vcc
	v_add_co_u32_e32 v4, vcc, v12, v4
	v_addc_co_u32_e32 v5, vcc, v13, v5, vcc
	v_cmp_gt_u64_e32 vcc, v[4:5], v[12:13]
	v_cndmask_b32_e64 v5, v5, 0, vcc
	v_cndmask_b32_e64 v4, v4, 0, vcc
	v_cmp_lt_u64_e32 vcc, v[12:13], v[6:7]
	v_cndmask_b32_e32 v7, v7, v13, vcc
	v_cndmask_b32_e32 v6, v6, v12, vcc
	v_cmp_lt_u64_e32 vcc, v[4:5], v[6:7]
	s_and_saveexec_b64 s[0:1], vcc
	s_cbranch_execz .LBB2669_5
; %bb.2:
	s_load_dwordx2 s[2:3], s[4:5], 0x18
	s_waitcnt lgkmcnt(0)
	v_mad_u64_u32 v[8:9], s[4:5], v2, 20, s[2:3]
	v_mov_b32_e32 v14, v9
	v_mad_u64_u32 v[10:11], s[2:3], v10, 20, s[2:3]
	v_mad_u64_u32 v[14:15], s[2:3], v1, 20, v[14:15]
	v_mov_b32_e32 v9, v14
	v_mov_b32_e32 v14, v11
	v_mad_u64_u32 v[14:15], s[2:3], v3, 20, v[14:15]
	v_mov_b32_e32 v11, v14
	v_mad_u64_u32 v[10:11], s[2:3], v12, 20, v[10:11]
	;; [unrolled: 2-line block ×3, first 2 shown]
	v_mov_b32_e32 v11, v12
	s_mov_b64 s[2:3], 0
.LBB2669_3:                             ; =>This Inner Loop Header: Depth=1
	v_add_co_u32_e32 v12, vcc, v6, v4
	v_addc_co_u32_e32 v13, vcc, v7, v5, vcc
	v_lshrrev_b64 v[14:15], 1, v[12:13]
	v_alignbit_b32 v3, v13, v12, 1
	v_lshrrev_b32_e32 v17, 1, v13
	v_not_b32_e32 v18, v14
	v_mad_u64_u32 v[12:13], s[4:5], v3, 20, v[8:9]
	v_mov_b32_e32 v16, v13
	v_mad_u64_u32 v[18:19], s[4:5], v18, 20, v[10:11]
	v_not_b32_e32 v21, v15
	v_mad_u64_u32 v[16:17], s[4:5], v17, 20, v[16:17]
	v_mov_b32_e32 v20, v19
	v_mov_b32_e32 v13, v16
	v_mad_u64_u32 v[16:17], s[4:5], v21, 20, v[20:21]
	v_mov_b32_e32 v19, v16
	flat_load_dword v3, v[12:13]
	flat_load_dword v16, v[18:19]
	v_add_co_u32_e32 v12, vcc, 1, v14
	v_addc_co_u32_e32 v13, vcc, 0, v15, vcc
	s_waitcnt vmcnt(0) lgkmcnt(0)
	v_cmp_gt_i32_e32 vcc, v16, v3
	v_cndmask_b32_e32 v7, v7, v15, vcc
	v_cndmask_b32_e32 v6, v6, v14, vcc
	v_cndmask_b32_e32 v5, v13, v5, vcc
	v_cndmask_b32_e32 v4, v12, v4, vcc
	v_cmp_ge_u64_e32 vcc, v[4:5], v[6:7]
	s_or_b64 s[2:3], vcc, s[2:3]
	s_andn2_b64 exec, exec, s[2:3]
	s_cbranch_execnz .LBB2669_3
; %bb.4:
	s_or_b64 exec, exec, s[2:3]
.LBB2669_5:
	s_or_b64 exec, exec, s[0:1]
	v_add_co_u32_e32 v2, vcc, v4, v2
	v_addc_co_u32_e32 v3, vcc, v5, v1, vcc
	v_mov_b32_e32 v1, 0
	v_lshlrev_b64 v[0:1], 3, v[0:1]
	v_mov_b32_e32 v4, s7
	v_add_co_u32_e32 v0, vcc, s6, v0
	v_addc_co_u32_e32 v1, vcc, v4, v1, vcc
	global_store_dwordx2 v[0:1], v[2:3], off
.LBB2669_6:
	s_endpgm
	.section	.rodata,"a",@progbits
	.p2align	6, 0x0
	.amdhsa_kernel _ZN7rocprim17ROCPRIM_400000_NS6detail17trampoline_kernelINS0_14default_configENS1_38merge_sort_block_merge_config_selectorI14custom_numericNS0_10empty_typeEEEZZNS1_27merge_sort_block_merge_implIS3_N6thrust23THRUST_200600_302600_NS6detail15normal_iteratorINSA_10device_ptrIS5_EEEEPS6_mNSA_7greaterIS5_EEEE10hipError_tT0_T1_T2_jT3_P12ihipStream_tbPNSt15iterator_traitsISK_E10value_typeEPNSQ_ISL_E10value_typeEPSM_NS1_7vsmem_tEENKUlT_SK_SL_SM_E_clISF_PS5_SG_SG_EESJ_SZ_SK_SL_SM_EUlSZ_E_NS1_11comp_targetILNS1_3genE4ELNS1_11target_archE910ELNS1_3gpuE8ELNS1_3repE0EEENS1_48merge_mergepath_partition_config_static_selectorELNS0_4arch9wavefront6targetE1EEEvSL_
		.amdhsa_group_segment_fixed_size 0
		.amdhsa_private_segment_fixed_size 0
		.amdhsa_kernarg_size 48
		.amdhsa_user_sgpr_count 6
		.amdhsa_user_sgpr_private_segment_buffer 1
		.amdhsa_user_sgpr_dispatch_ptr 0
		.amdhsa_user_sgpr_queue_ptr 0
		.amdhsa_user_sgpr_kernarg_segment_ptr 1
		.amdhsa_user_sgpr_dispatch_id 0
		.amdhsa_user_sgpr_flat_scratch_init 0
		.amdhsa_user_sgpr_kernarg_preload_length 0
		.amdhsa_user_sgpr_kernarg_preload_offset 0
		.amdhsa_user_sgpr_private_segment_size 0
		.amdhsa_uses_dynamic_stack 0
		.amdhsa_system_sgpr_private_segment_wavefront_offset 0
		.amdhsa_system_sgpr_workgroup_id_x 1
		.amdhsa_system_sgpr_workgroup_id_y 0
		.amdhsa_system_sgpr_workgroup_id_z 0
		.amdhsa_system_sgpr_workgroup_info 0
		.amdhsa_system_vgpr_workitem_id 0
		.amdhsa_next_free_vgpr 22
		.amdhsa_next_free_sgpr 8
		.amdhsa_accum_offset 24
		.amdhsa_reserve_vcc 1
		.amdhsa_reserve_flat_scratch 0
		.amdhsa_float_round_mode_32 0
		.amdhsa_float_round_mode_16_64 0
		.amdhsa_float_denorm_mode_32 3
		.amdhsa_float_denorm_mode_16_64 3
		.amdhsa_dx10_clamp 1
		.amdhsa_ieee_mode 1
		.amdhsa_fp16_overflow 0
		.amdhsa_tg_split 0
		.amdhsa_exception_fp_ieee_invalid_op 0
		.amdhsa_exception_fp_denorm_src 0
		.amdhsa_exception_fp_ieee_div_zero 0
		.amdhsa_exception_fp_ieee_overflow 0
		.amdhsa_exception_fp_ieee_underflow 0
		.amdhsa_exception_fp_ieee_inexact 0
		.amdhsa_exception_int_div_zero 0
	.end_amdhsa_kernel
	.section	.text._ZN7rocprim17ROCPRIM_400000_NS6detail17trampoline_kernelINS0_14default_configENS1_38merge_sort_block_merge_config_selectorI14custom_numericNS0_10empty_typeEEEZZNS1_27merge_sort_block_merge_implIS3_N6thrust23THRUST_200600_302600_NS6detail15normal_iteratorINSA_10device_ptrIS5_EEEEPS6_mNSA_7greaterIS5_EEEE10hipError_tT0_T1_T2_jT3_P12ihipStream_tbPNSt15iterator_traitsISK_E10value_typeEPNSQ_ISL_E10value_typeEPSM_NS1_7vsmem_tEENKUlT_SK_SL_SM_E_clISF_PS5_SG_SG_EESJ_SZ_SK_SL_SM_EUlSZ_E_NS1_11comp_targetILNS1_3genE4ELNS1_11target_archE910ELNS1_3gpuE8ELNS1_3repE0EEENS1_48merge_mergepath_partition_config_static_selectorELNS0_4arch9wavefront6targetE1EEEvSL_,"axG",@progbits,_ZN7rocprim17ROCPRIM_400000_NS6detail17trampoline_kernelINS0_14default_configENS1_38merge_sort_block_merge_config_selectorI14custom_numericNS0_10empty_typeEEEZZNS1_27merge_sort_block_merge_implIS3_N6thrust23THRUST_200600_302600_NS6detail15normal_iteratorINSA_10device_ptrIS5_EEEEPS6_mNSA_7greaterIS5_EEEE10hipError_tT0_T1_T2_jT3_P12ihipStream_tbPNSt15iterator_traitsISK_E10value_typeEPNSQ_ISL_E10value_typeEPSM_NS1_7vsmem_tEENKUlT_SK_SL_SM_E_clISF_PS5_SG_SG_EESJ_SZ_SK_SL_SM_EUlSZ_E_NS1_11comp_targetILNS1_3genE4ELNS1_11target_archE910ELNS1_3gpuE8ELNS1_3repE0EEENS1_48merge_mergepath_partition_config_static_selectorELNS0_4arch9wavefront6targetE1EEEvSL_,comdat
.Lfunc_end2669:
	.size	_ZN7rocprim17ROCPRIM_400000_NS6detail17trampoline_kernelINS0_14default_configENS1_38merge_sort_block_merge_config_selectorI14custom_numericNS0_10empty_typeEEEZZNS1_27merge_sort_block_merge_implIS3_N6thrust23THRUST_200600_302600_NS6detail15normal_iteratorINSA_10device_ptrIS5_EEEEPS6_mNSA_7greaterIS5_EEEE10hipError_tT0_T1_T2_jT3_P12ihipStream_tbPNSt15iterator_traitsISK_E10value_typeEPNSQ_ISL_E10value_typeEPSM_NS1_7vsmem_tEENKUlT_SK_SL_SM_E_clISF_PS5_SG_SG_EESJ_SZ_SK_SL_SM_EUlSZ_E_NS1_11comp_targetILNS1_3genE4ELNS1_11target_archE910ELNS1_3gpuE8ELNS1_3repE0EEENS1_48merge_mergepath_partition_config_static_selectorELNS0_4arch9wavefront6targetE1EEEvSL_, .Lfunc_end2669-_ZN7rocprim17ROCPRIM_400000_NS6detail17trampoline_kernelINS0_14default_configENS1_38merge_sort_block_merge_config_selectorI14custom_numericNS0_10empty_typeEEEZZNS1_27merge_sort_block_merge_implIS3_N6thrust23THRUST_200600_302600_NS6detail15normal_iteratorINSA_10device_ptrIS5_EEEEPS6_mNSA_7greaterIS5_EEEE10hipError_tT0_T1_T2_jT3_P12ihipStream_tbPNSt15iterator_traitsISK_E10value_typeEPNSQ_ISL_E10value_typeEPSM_NS1_7vsmem_tEENKUlT_SK_SL_SM_E_clISF_PS5_SG_SG_EESJ_SZ_SK_SL_SM_EUlSZ_E_NS1_11comp_targetILNS1_3genE4ELNS1_11target_archE910ELNS1_3gpuE8ELNS1_3repE0EEENS1_48merge_mergepath_partition_config_static_selectorELNS0_4arch9wavefront6targetE1EEEvSL_
                                        ; -- End function
	.section	.AMDGPU.csdata,"",@progbits
; Kernel info:
; codeLenInByte = 552
; NumSgprs: 12
; NumVgprs: 22
; NumAgprs: 0
; TotalNumVgprs: 22
; ScratchSize: 0
; MemoryBound: 0
; FloatMode: 240
; IeeeMode: 1
; LDSByteSize: 0 bytes/workgroup (compile time only)
; SGPRBlocks: 1
; VGPRBlocks: 2
; NumSGPRsForWavesPerEU: 12
; NumVGPRsForWavesPerEU: 22
; AccumOffset: 24
; Occupancy: 8
; WaveLimiterHint : 0
; COMPUTE_PGM_RSRC2:SCRATCH_EN: 0
; COMPUTE_PGM_RSRC2:USER_SGPR: 6
; COMPUTE_PGM_RSRC2:TRAP_HANDLER: 0
; COMPUTE_PGM_RSRC2:TGID_X_EN: 1
; COMPUTE_PGM_RSRC2:TGID_Y_EN: 0
; COMPUTE_PGM_RSRC2:TGID_Z_EN: 0
; COMPUTE_PGM_RSRC2:TIDIG_COMP_CNT: 0
; COMPUTE_PGM_RSRC3_GFX90A:ACCUM_OFFSET: 5
; COMPUTE_PGM_RSRC3_GFX90A:TG_SPLIT: 0
	.section	.text._ZN7rocprim17ROCPRIM_400000_NS6detail17trampoline_kernelINS0_14default_configENS1_38merge_sort_block_merge_config_selectorI14custom_numericNS0_10empty_typeEEEZZNS1_27merge_sort_block_merge_implIS3_N6thrust23THRUST_200600_302600_NS6detail15normal_iteratorINSA_10device_ptrIS5_EEEEPS6_mNSA_7greaterIS5_EEEE10hipError_tT0_T1_T2_jT3_P12ihipStream_tbPNSt15iterator_traitsISK_E10value_typeEPNSQ_ISL_E10value_typeEPSM_NS1_7vsmem_tEENKUlT_SK_SL_SM_E_clISF_PS5_SG_SG_EESJ_SZ_SK_SL_SM_EUlSZ_E_NS1_11comp_targetILNS1_3genE3ELNS1_11target_archE908ELNS1_3gpuE7ELNS1_3repE0EEENS1_48merge_mergepath_partition_config_static_selectorELNS0_4arch9wavefront6targetE1EEEvSL_,"axG",@progbits,_ZN7rocprim17ROCPRIM_400000_NS6detail17trampoline_kernelINS0_14default_configENS1_38merge_sort_block_merge_config_selectorI14custom_numericNS0_10empty_typeEEEZZNS1_27merge_sort_block_merge_implIS3_N6thrust23THRUST_200600_302600_NS6detail15normal_iteratorINSA_10device_ptrIS5_EEEEPS6_mNSA_7greaterIS5_EEEE10hipError_tT0_T1_T2_jT3_P12ihipStream_tbPNSt15iterator_traitsISK_E10value_typeEPNSQ_ISL_E10value_typeEPSM_NS1_7vsmem_tEENKUlT_SK_SL_SM_E_clISF_PS5_SG_SG_EESJ_SZ_SK_SL_SM_EUlSZ_E_NS1_11comp_targetILNS1_3genE3ELNS1_11target_archE908ELNS1_3gpuE7ELNS1_3repE0EEENS1_48merge_mergepath_partition_config_static_selectorELNS0_4arch9wavefront6targetE1EEEvSL_,comdat
	.protected	_ZN7rocprim17ROCPRIM_400000_NS6detail17trampoline_kernelINS0_14default_configENS1_38merge_sort_block_merge_config_selectorI14custom_numericNS0_10empty_typeEEEZZNS1_27merge_sort_block_merge_implIS3_N6thrust23THRUST_200600_302600_NS6detail15normal_iteratorINSA_10device_ptrIS5_EEEEPS6_mNSA_7greaterIS5_EEEE10hipError_tT0_T1_T2_jT3_P12ihipStream_tbPNSt15iterator_traitsISK_E10value_typeEPNSQ_ISL_E10value_typeEPSM_NS1_7vsmem_tEENKUlT_SK_SL_SM_E_clISF_PS5_SG_SG_EESJ_SZ_SK_SL_SM_EUlSZ_E_NS1_11comp_targetILNS1_3genE3ELNS1_11target_archE908ELNS1_3gpuE7ELNS1_3repE0EEENS1_48merge_mergepath_partition_config_static_selectorELNS0_4arch9wavefront6targetE1EEEvSL_ ; -- Begin function _ZN7rocprim17ROCPRIM_400000_NS6detail17trampoline_kernelINS0_14default_configENS1_38merge_sort_block_merge_config_selectorI14custom_numericNS0_10empty_typeEEEZZNS1_27merge_sort_block_merge_implIS3_N6thrust23THRUST_200600_302600_NS6detail15normal_iteratorINSA_10device_ptrIS5_EEEEPS6_mNSA_7greaterIS5_EEEE10hipError_tT0_T1_T2_jT3_P12ihipStream_tbPNSt15iterator_traitsISK_E10value_typeEPNSQ_ISL_E10value_typeEPSM_NS1_7vsmem_tEENKUlT_SK_SL_SM_E_clISF_PS5_SG_SG_EESJ_SZ_SK_SL_SM_EUlSZ_E_NS1_11comp_targetILNS1_3genE3ELNS1_11target_archE908ELNS1_3gpuE7ELNS1_3repE0EEENS1_48merge_mergepath_partition_config_static_selectorELNS0_4arch9wavefront6targetE1EEEvSL_
	.globl	_ZN7rocprim17ROCPRIM_400000_NS6detail17trampoline_kernelINS0_14default_configENS1_38merge_sort_block_merge_config_selectorI14custom_numericNS0_10empty_typeEEEZZNS1_27merge_sort_block_merge_implIS3_N6thrust23THRUST_200600_302600_NS6detail15normal_iteratorINSA_10device_ptrIS5_EEEEPS6_mNSA_7greaterIS5_EEEE10hipError_tT0_T1_T2_jT3_P12ihipStream_tbPNSt15iterator_traitsISK_E10value_typeEPNSQ_ISL_E10value_typeEPSM_NS1_7vsmem_tEENKUlT_SK_SL_SM_E_clISF_PS5_SG_SG_EESJ_SZ_SK_SL_SM_EUlSZ_E_NS1_11comp_targetILNS1_3genE3ELNS1_11target_archE908ELNS1_3gpuE7ELNS1_3repE0EEENS1_48merge_mergepath_partition_config_static_selectorELNS0_4arch9wavefront6targetE1EEEvSL_
	.p2align	8
	.type	_ZN7rocprim17ROCPRIM_400000_NS6detail17trampoline_kernelINS0_14default_configENS1_38merge_sort_block_merge_config_selectorI14custom_numericNS0_10empty_typeEEEZZNS1_27merge_sort_block_merge_implIS3_N6thrust23THRUST_200600_302600_NS6detail15normal_iteratorINSA_10device_ptrIS5_EEEEPS6_mNSA_7greaterIS5_EEEE10hipError_tT0_T1_T2_jT3_P12ihipStream_tbPNSt15iterator_traitsISK_E10value_typeEPNSQ_ISL_E10value_typeEPSM_NS1_7vsmem_tEENKUlT_SK_SL_SM_E_clISF_PS5_SG_SG_EESJ_SZ_SK_SL_SM_EUlSZ_E_NS1_11comp_targetILNS1_3genE3ELNS1_11target_archE908ELNS1_3gpuE7ELNS1_3repE0EEENS1_48merge_mergepath_partition_config_static_selectorELNS0_4arch9wavefront6targetE1EEEvSL_,@function
_ZN7rocprim17ROCPRIM_400000_NS6detail17trampoline_kernelINS0_14default_configENS1_38merge_sort_block_merge_config_selectorI14custom_numericNS0_10empty_typeEEEZZNS1_27merge_sort_block_merge_implIS3_N6thrust23THRUST_200600_302600_NS6detail15normal_iteratorINSA_10device_ptrIS5_EEEEPS6_mNSA_7greaterIS5_EEEE10hipError_tT0_T1_T2_jT3_P12ihipStream_tbPNSt15iterator_traitsISK_E10value_typeEPNSQ_ISL_E10value_typeEPSM_NS1_7vsmem_tEENKUlT_SK_SL_SM_E_clISF_PS5_SG_SG_EESJ_SZ_SK_SL_SM_EUlSZ_E_NS1_11comp_targetILNS1_3genE3ELNS1_11target_archE908ELNS1_3gpuE7ELNS1_3repE0EEENS1_48merge_mergepath_partition_config_static_selectorELNS0_4arch9wavefront6targetE1EEEvSL_: ; @_ZN7rocprim17ROCPRIM_400000_NS6detail17trampoline_kernelINS0_14default_configENS1_38merge_sort_block_merge_config_selectorI14custom_numericNS0_10empty_typeEEEZZNS1_27merge_sort_block_merge_implIS3_N6thrust23THRUST_200600_302600_NS6detail15normal_iteratorINSA_10device_ptrIS5_EEEEPS6_mNSA_7greaterIS5_EEEE10hipError_tT0_T1_T2_jT3_P12ihipStream_tbPNSt15iterator_traitsISK_E10value_typeEPNSQ_ISL_E10value_typeEPSM_NS1_7vsmem_tEENKUlT_SK_SL_SM_E_clISF_PS5_SG_SG_EESJ_SZ_SK_SL_SM_EUlSZ_E_NS1_11comp_targetILNS1_3genE3ELNS1_11target_archE908ELNS1_3gpuE7ELNS1_3repE0EEENS1_48merge_mergepath_partition_config_static_selectorELNS0_4arch9wavefront6targetE1EEEvSL_
; %bb.0:
	.section	.rodata,"a",@progbits
	.p2align	6, 0x0
	.amdhsa_kernel _ZN7rocprim17ROCPRIM_400000_NS6detail17trampoline_kernelINS0_14default_configENS1_38merge_sort_block_merge_config_selectorI14custom_numericNS0_10empty_typeEEEZZNS1_27merge_sort_block_merge_implIS3_N6thrust23THRUST_200600_302600_NS6detail15normal_iteratorINSA_10device_ptrIS5_EEEEPS6_mNSA_7greaterIS5_EEEE10hipError_tT0_T1_T2_jT3_P12ihipStream_tbPNSt15iterator_traitsISK_E10value_typeEPNSQ_ISL_E10value_typeEPSM_NS1_7vsmem_tEENKUlT_SK_SL_SM_E_clISF_PS5_SG_SG_EESJ_SZ_SK_SL_SM_EUlSZ_E_NS1_11comp_targetILNS1_3genE3ELNS1_11target_archE908ELNS1_3gpuE7ELNS1_3repE0EEENS1_48merge_mergepath_partition_config_static_selectorELNS0_4arch9wavefront6targetE1EEEvSL_
		.amdhsa_group_segment_fixed_size 0
		.amdhsa_private_segment_fixed_size 0
		.amdhsa_kernarg_size 48
		.amdhsa_user_sgpr_count 6
		.amdhsa_user_sgpr_private_segment_buffer 1
		.amdhsa_user_sgpr_dispatch_ptr 0
		.amdhsa_user_sgpr_queue_ptr 0
		.amdhsa_user_sgpr_kernarg_segment_ptr 1
		.amdhsa_user_sgpr_dispatch_id 0
		.amdhsa_user_sgpr_flat_scratch_init 0
		.amdhsa_user_sgpr_kernarg_preload_length 0
		.amdhsa_user_sgpr_kernarg_preload_offset 0
		.amdhsa_user_sgpr_private_segment_size 0
		.amdhsa_uses_dynamic_stack 0
		.amdhsa_system_sgpr_private_segment_wavefront_offset 0
		.amdhsa_system_sgpr_workgroup_id_x 1
		.amdhsa_system_sgpr_workgroup_id_y 0
		.amdhsa_system_sgpr_workgroup_id_z 0
		.amdhsa_system_sgpr_workgroup_info 0
		.amdhsa_system_vgpr_workitem_id 0
		.amdhsa_next_free_vgpr 1
		.amdhsa_next_free_sgpr 0
		.amdhsa_accum_offset 4
		.amdhsa_reserve_vcc 0
		.amdhsa_reserve_flat_scratch 0
		.amdhsa_float_round_mode_32 0
		.amdhsa_float_round_mode_16_64 0
		.amdhsa_float_denorm_mode_32 3
		.amdhsa_float_denorm_mode_16_64 3
		.amdhsa_dx10_clamp 1
		.amdhsa_ieee_mode 1
		.amdhsa_fp16_overflow 0
		.amdhsa_tg_split 0
		.amdhsa_exception_fp_ieee_invalid_op 0
		.amdhsa_exception_fp_denorm_src 0
		.amdhsa_exception_fp_ieee_div_zero 0
		.amdhsa_exception_fp_ieee_overflow 0
		.amdhsa_exception_fp_ieee_underflow 0
		.amdhsa_exception_fp_ieee_inexact 0
		.amdhsa_exception_int_div_zero 0
	.end_amdhsa_kernel
	.section	.text._ZN7rocprim17ROCPRIM_400000_NS6detail17trampoline_kernelINS0_14default_configENS1_38merge_sort_block_merge_config_selectorI14custom_numericNS0_10empty_typeEEEZZNS1_27merge_sort_block_merge_implIS3_N6thrust23THRUST_200600_302600_NS6detail15normal_iteratorINSA_10device_ptrIS5_EEEEPS6_mNSA_7greaterIS5_EEEE10hipError_tT0_T1_T2_jT3_P12ihipStream_tbPNSt15iterator_traitsISK_E10value_typeEPNSQ_ISL_E10value_typeEPSM_NS1_7vsmem_tEENKUlT_SK_SL_SM_E_clISF_PS5_SG_SG_EESJ_SZ_SK_SL_SM_EUlSZ_E_NS1_11comp_targetILNS1_3genE3ELNS1_11target_archE908ELNS1_3gpuE7ELNS1_3repE0EEENS1_48merge_mergepath_partition_config_static_selectorELNS0_4arch9wavefront6targetE1EEEvSL_,"axG",@progbits,_ZN7rocprim17ROCPRIM_400000_NS6detail17trampoline_kernelINS0_14default_configENS1_38merge_sort_block_merge_config_selectorI14custom_numericNS0_10empty_typeEEEZZNS1_27merge_sort_block_merge_implIS3_N6thrust23THRUST_200600_302600_NS6detail15normal_iteratorINSA_10device_ptrIS5_EEEEPS6_mNSA_7greaterIS5_EEEE10hipError_tT0_T1_T2_jT3_P12ihipStream_tbPNSt15iterator_traitsISK_E10value_typeEPNSQ_ISL_E10value_typeEPSM_NS1_7vsmem_tEENKUlT_SK_SL_SM_E_clISF_PS5_SG_SG_EESJ_SZ_SK_SL_SM_EUlSZ_E_NS1_11comp_targetILNS1_3genE3ELNS1_11target_archE908ELNS1_3gpuE7ELNS1_3repE0EEENS1_48merge_mergepath_partition_config_static_selectorELNS0_4arch9wavefront6targetE1EEEvSL_,comdat
.Lfunc_end2670:
	.size	_ZN7rocprim17ROCPRIM_400000_NS6detail17trampoline_kernelINS0_14default_configENS1_38merge_sort_block_merge_config_selectorI14custom_numericNS0_10empty_typeEEEZZNS1_27merge_sort_block_merge_implIS3_N6thrust23THRUST_200600_302600_NS6detail15normal_iteratorINSA_10device_ptrIS5_EEEEPS6_mNSA_7greaterIS5_EEEE10hipError_tT0_T1_T2_jT3_P12ihipStream_tbPNSt15iterator_traitsISK_E10value_typeEPNSQ_ISL_E10value_typeEPSM_NS1_7vsmem_tEENKUlT_SK_SL_SM_E_clISF_PS5_SG_SG_EESJ_SZ_SK_SL_SM_EUlSZ_E_NS1_11comp_targetILNS1_3genE3ELNS1_11target_archE908ELNS1_3gpuE7ELNS1_3repE0EEENS1_48merge_mergepath_partition_config_static_selectorELNS0_4arch9wavefront6targetE1EEEvSL_, .Lfunc_end2670-_ZN7rocprim17ROCPRIM_400000_NS6detail17trampoline_kernelINS0_14default_configENS1_38merge_sort_block_merge_config_selectorI14custom_numericNS0_10empty_typeEEEZZNS1_27merge_sort_block_merge_implIS3_N6thrust23THRUST_200600_302600_NS6detail15normal_iteratorINSA_10device_ptrIS5_EEEEPS6_mNSA_7greaterIS5_EEEE10hipError_tT0_T1_T2_jT3_P12ihipStream_tbPNSt15iterator_traitsISK_E10value_typeEPNSQ_ISL_E10value_typeEPSM_NS1_7vsmem_tEENKUlT_SK_SL_SM_E_clISF_PS5_SG_SG_EESJ_SZ_SK_SL_SM_EUlSZ_E_NS1_11comp_targetILNS1_3genE3ELNS1_11target_archE908ELNS1_3gpuE7ELNS1_3repE0EEENS1_48merge_mergepath_partition_config_static_selectorELNS0_4arch9wavefront6targetE1EEEvSL_
                                        ; -- End function
	.section	.AMDGPU.csdata,"",@progbits
; Kernel info:
; codeLenInByte = 0
; NumSgprs: 4
; NumVgprs: 0
; NumAgprs: 0
; TotalNumVgprs: 0
; ScratchSize: 0
; MemoryBound: 0
; FloatMode: 240
; IeeeMode: 1
; LDSByteSize: 0 bytes/workgroup (compile time only)
; SGPRBlocks: 0
; VGPRBlocks: 0
; NumSGPRsForWavesPerEU: 4
; NumVGPRsForWavesPerEU: 1
; AccumOffset: 4
; Occupancy: 8
; WaveLimiterHint : 0
; COMPUTE_PGM_RSRC2:SCRATCH_EN: 0
; COMPUTE_PGM_RSRC2:USER_SGPR: 6
; COMPUTE_PGM_RSRC2:TRAP_HANDLER: 0
; COMPUTE_PGM_RSRC2:TGID_X_EN: 1
; COMPUTE_PGM_RSRC2:TGID_Y_EN: 0
; COMPUTE_PGM_RSRC2:TGID_Z_EN: 0
; COMPUTE_PGM_RSRC2:TIDIG_COMP_CNT: 0
; COMPUTE_PGM_RSRC3_GFX90A:ACCUM_OFFSET: 0
; COMPUTE_PGM_RSRC3_GFX90A:TG_SPLIT: 0
	.section	.text._ZN7rocprim17ROCPRIM_400000_NS6detail17trampoline_kernelINS0_14default_configENS1_38merge_sort_block_merge_config_selectorI14custom_numericNS0_10empty_typeEEEZZNS1_27merge_sort_block_merge_implIS3_N6thrust23THRUST_200600_302600_NS6detail15normal_iteratorINSA_10device_ptrIS5_EEEEPS6_mNSA_7greaterIS5_EEEE10hipError_tT0_T1_T2_jT3_P12ihipStream_tbPNSt15iterator_traitsISK_E10value_typeEPNSQ_ISL_E10value_typeEPSM_NS1_7vsmem_tEENKUlT_SK_SL_SM_E_clISF_PS5_SG_SG_EESJ_SZ_SK_SL_SM_EUlSZ_E_NS1_11comp_targetILNS1_3genE2ELNS1_11target_archE906ELNS1_3gpuE6ELNS1_3repE0EEENS1_48merge_mergepath_partition_config_static_selectorELNS0_4arch9wavefront6targetE1EEEvSL_,"axG",@progbits,_ZN7rocprim17ROCPRIM_400000_NS6detail17trampoline_kernelINS0_14default_configENS1_38merge_sort_block_merge_config_selectorI14custom_numericNS0_10empty_typeEEEZZNS1_27merge_sort_block_merge_implIS3_N6thrust23THRUST_200600_302600_NS6detail15normal_iteratorINSA_10device_ptrIS5_EEEEPS6_mNSA_7greaterIS5_EEEE10hipError_tT0_T1_T2_jT3_P12ihipStream_tbPNSt15iterator_traitsISK_E10value_typeEPNSQ_ISL_E10value_typeEPSM_NS1_7vsmem_tEENKUlT_SK_SL_SM_E_clISF_PS5_SG_SG_EESJ_SZ_SK_SL_SM_EUlSZ_E_NS1_11comp_targetILNS1_3genE2ELNS1_11target_archE906ELNS1_3gpuE6ELNS1_3repE0EEENS1_48merge_mergepath_partition_config_static_selectorELNS0_4arch9wavefront6targetE1EEEvSL_,comdat
	.protected	_ZN7rocprim17ROCPRIM_400000_NS6detail17trampoline_kernelINS0_14default_configENS1_38merge_sort_block_merge_config_selectorI14custom_numericNS0_10empty_typeEEEZZNS1_27merge_sort_block_merge_implIS3_N6thrust23THRUST_200600_302600_NS6detail15normal_iteratorINSA_10device_ptrIS5_EEEEPS6_mNSA_7greaterIS5_EEEE10hipError_tT0_T1_T2_jT3_P12ihipStream_tbPNSt15iterator_traitsISK_E10value_typeEPNSQ_ISL_E10value_typeEPSM_NS1_7vsmem_tEENKUlT_SK_SL_SM_E_clISF_PS5_SG_SG_EESJ_SZ_SK_SL_SM_EUlSZ_E_NS1_11comp_targetILNS1_3genE2ELNS1_11target_archE906ELNS1_3gpuE6ELNS1_3repE0EEENS1_48merge_mergepath_partition_config_static_selectorELNS0_4arch9wavefront6targetE1EEEvSL_ ; -- Begin function _ZN7rocprim17ROCPRIM_400000_NS6detail17trampoline_kernelINS0_14default_configENS1_38merge_sort_block_merge_config_selectorI14custom_numericNS0_10empty_typeEEEZZNS1_27merge_sort_block_merge_implIS3_N6thrust23THRUST_200600_302600_NS6detail15normal_iteratorINSA_10device_ptrIS5_EEEEPS6_mNSA_7greaterIS5_EEEE10hipError_tT0_T1_T2_jT3_P12ihipStream_tbPNSt15iterator_traitsISK_E10value_typeEPNSQ_ISL_E10value_typeEPSM_NS1_7vsmem_tEENKUlT_SK_SL_SM_E_clISF_PS5_SG_SG_EESJ_SZ_SK_SL_SM_EUlSZ_E_NS1_11comp_targetILNS1_3genE2ELNS1_11target_archE906ELNS1_3gpuE6ELNS1_3repE0EEENS1_48merge_mergepath_partition_config_static_selectorELNS0_4arch9wavefront6targetE1EEEvSL_
	.globl	_ZN7rocprim17ROCPRIM_400000_NS6detail17trampoline_kernelINS0_14default_configENS1_38merge_sort_block_merge_config_selectorI14custom_numericNS0_10empty_typeEEEZZNS1_27merge_sort_block_merge_implIS3_N6thrust23THRUST_200600_302600_NS6detail15normal_iteratorINSA_10device_ptrIS5_EEEEPS6_mNSA_7greaterIS5_EEEE10hipError_tT0_T1_T2_jT3_P12ihipStream_tbPNSt15iterator_traitsISK_E10value_typeEPNSQ_ISL_E10value_typeEPSM_NS1_7vsmem_tEENKUlT_SK_SL_SM_E_clISF_PS5_SG_SG_EESJ_SZ_SK_SL_SM_EUlSZ_E_NS1_11comp_targetILNS1_3genE2ELNS1_11target_archE906ELNS1_3gpuE6ELNS1_3repE0EEENS1_48merge_mergepath_partition_config_static_selectorELNS0_4arch9wavefront6targetE1EEEvSL_
	.p2align	8
	.type	_ZN7rocprim17ROCPRIM_400000_NS6detail17trampoline_kernelINS0_14default_configENS1_38merge_sort_block_merge_config_selectorI14custom_numericNS0_10empty_typeEEEZZNS1_27merge_sort_block_merge_implIS3_N6thrust23THRUST_200600_302600_NS6detail15normal_iteratorINSA_10device_ptrIS5_EEEEPS6_mNSA_7greaterIS5_EEEE10hipError_tT0_T1_T2_jT3_P12ihipStream_tbPNSt15iterator_traitsISK_E10value_typeEPNSQ_ISL_E10value_typeEPSM_NS1_7vsmem_tEENKUlT_SK_SL_SM_E_clISF_PS5_SG_SG_EESJ_SZ_SK_SL_SM_EUlSZ_E_NS1_11comp_targetILNS1_3genE2ELNS1_11target_archE906ELNS1_3gpuE6ELNS1_3repE0EEENS1_48merge_mergepath_partition_config_static_selectorELNS0_4arch9wavefront6targetE1EEEvSL_,@function
_ZN7rocprim17ROCPRIM_400000_NS6detail17trampoline_kernelINS0_14default_configENS1_38merge_sort_block_merge_config_selectorI14custom_numericNS0_10empty_typeEEEZZNS1_27merge_sort_block_merge_implIS3_N6thrust23THRUST_200600_302600_NS6detail15normal_iteratorINSA_10device_ptrIS5_EEEEPS6_mNSA_7greaterIS5_EEEE10hipError_tT0_T1_T2_jT3_P12ihipStream_tbPNSt15iterator_traitsISK_E10value_typeEPNSQ_ISL_E10value_typeEPSM_NS1_7vsmem_tEENKUlT_SK_SL_SM_E_clISF_PS5_SG_SG_EESJ_SZ_SK_SL_SM_EUlSZ_E_NS1_11comp_targetILNS1_3genE2ELNS1_11target_archE906ELNS1_3gpuE6ELNS1_3repE0EEENS1_48merge_mergepath_partition_config_static_selectorELNS0_4arch9wavefront6targetE1EEEvSL_: ; @_ZN7rocprim17ROCPRIM_400000_NS6detail17trampoline_kernelINS0_14default_configENS1_38merge_sort_block_merge_config_selectorI14custom_numericNS0_10empty_typeEEEZZNS1_27merge_sort_block_merge_implIS3_N6thrust23THRUST_200600_302600_NS6detail15normal_iteratorINSA_10device_ptrIS5_EEEEPS6_mNSA_7greaterIS5_EEEE10hipError_tT0_T1_T2_jT3_P12ihipStream_tbPNSt15iterator_traitsISK_E10value_typeEPNSQ_ISL_E10value_typeEPSM_NS1_7vsmem_tEENKUlT_SK_SL_SM_E_clISF_PS5_SG_SG_EESJ_SZ_SK_SL_SM_EUlSZ_E_NS1_11comp_targetILNS1_3genE2ELNS1_11target_archE906ELNS1_3gpuE6ELNS1_3repE0EEENS1_48merge_mergepath_partition_config_static_selectorELNS0_4arch9wavefront6targetE1EEEvSL_
; %bb.0:
	.section	.rodata,"a",@progbits
	.p2align	6, 0x0
	.amdhsa_kernel _ZN7rocprim17ROCPRIM_400000_NS6detail17trampoline_kernelINS0_14default_configENS1_38merge_sort_block_merge_config_selectorI14custom_numericNS0_10empty_typeEEEZZNS1_27merge_sort_block_merge_implIS3_N6thrust23THRUST_200600_302600_NS6detail15normal_iteratorINSA_10device_ptrIS5_EEEEPS6_mNSA_7greaterIS5_EEEE10hipError_tT0_T1_T2_jT3_P12ihipStream_tbPNSt15iterator_traitsISK_E10value_typeEPNSQ_ISL_E10value_typeEPSM_NS1_7vsmem_tEENKUlT_SK_SL_SM_E_clISF_PS5_SG_SG_EESJ_SZ_SK_SL_SM_EUlSZ_E_NS1_11comp_targetILNS1_3genE2ELNS1_11target_archE906ELNS1_3gpuE6ELNS1_3repE0EEENS1_48merge_mergepath_partition_config_static_selectorELNS0_4arch9wavefront6targetE1EEEvSL_
		.amdhsa_group_segment_fixed_size 0
		.amdhsa_private_segment_fixed_size 0
		.amdhsa_kernarg_size 48
		.amdhsa_user_sgpr_count 6
		.amdhsa_user_sgpr_private_segment_buffer 1
		.amdhsa_user_sgpr_dispatch_ptr 0
		.amdhsa_user_sgpr_queue_ptr 0
		.amdhsa_user_sgpr_kernarg_segment_ptr 1
		.amdhsa_user_sgpr_dispatch_id 0
		.amdhsa_user_sgpr_flat_scratch_init 0
		.amdhsa_user_sgpr_kernarg_preload_length 0
		.amdhsa_user_sgpr_kernarg_preload_offset 0
		.amdhsa_user_sgpr_private_segment_size 0
		.amdhsa_uses_dynamic_stack 0
		.amdhsa_system_sgpr_private_segment_wavefront_offset 0
		.amdhsa_system_sgpr_workgroup_id_x 1
		.amdhsa_system_sgpr_workgroup_id_y 0
		.amdhsa_system_sgpr_workgroup_id_z 0
		.amdhsa_system_sgpr_workgroup_info 0
		.amdhsa_system_vgpr_workitem_id 0
		.amdhsa_next_free_vgpr 1
		.amdhsa_next_free_sgpr 0
		.amdhsa_accum_offset 4
		.amdhsa_reserve_vcc 0
		.amdhsa_reserve_flat_scratch 0
		.amdhsa_float_round_mode_32 0
		.amdhsa_float_round_mode_16_64 0
		.amdhsa_float_denorm_mode_32 3
		.amdhsa_float_denorm_mode_16_64 3
		.amdhsa_dx10_clamp 1
		.amdhsa_ieee_mode 1
		.amdhsa_fp16_overflow 0
		.amdhsa_tg_split 0
		.amdhsa_exception_fp_ieee_invalid_op 0
		.amdhsa_exception_fp_denorm_src 0
		.amdhsa_exception_fp_ieee_div_zero 0
		.amdhsa_exception_fp_ieee_overflow 0
		.amdhsa_exception_fp_ieee_underflow 0
		.amdhsa_exception_fp_ieee_inexact 0
		.amdhsa_exception_int_div_zero 0
	.end_amdhsa_kernel
	.section	.text._ZN7rocprim17ROCPRIM_400000_NS6detail17trampoline_kernelINS0_14default_configENS1_38merge_sort_block_merge_config_selectorI14custom_numericNS0_10empty_typeEEEZZNS1_27merge_sort_block_merge_implIS3_N6thrust23THRUST_200600_302600_NS6detail15normal_iteratorINSA_10device_ptrIS5_EEEEPS6_mNSA_7greaterIS5_EEEE10hipError_tT0_T1_T2_jT3_P12ihipStream_tbPNSt15iterator_traitsISK_E10value_typeEPNSQ_ISL_E10value_typeEPSM_NS1_7vsmem_tEENKUlT_SK_SL_SM_E_clISF_PS5_SG_SG_EESJ_SZ_SK_SL_SM_EUlSZ_E_NS1_11comp_targetILNS1_3genE2ELNS1_11target_archE906ELNS1_3gpuE6ELNS1_3repE0EEENS1_48merge_mergepath_partition_config_static_selectorELNS0_4arch9wavefront6targetE1EEEvSL_,"axG",@progbits,_ZN7rocprim17ROCPRIM_400000_NS6detail17trampoline_kernelINS0_14default_configENS1_38merge_sort_block_merge_config_selectorI14custom_numericNS0_10empty_typeEEEZZNS1_27merge_sort_block_merge_implIS3_N6thrust23THRUST_200600_302600_NS6detail15normal_iteratorINSA_10device_ptrIS5_EEEEPS6_mNSA_7greaterIS5_EEEE10hipError_tT0_T1_T2_jT3_P12ihipStream_tbPNSt15iterator_traitsISK_E10value_typeEPNSQ_ISL_E10value_typeEPSM_NS1_7vsmem_tEENKUlT_SK_SL_SM_E_clISF_PS5_SG_SG_EESJ_SZ_SK_SL_SM_EUlSZ_E_NS1_11comp_targetILNS1_3genE2ELNS1_11target_archE906ELNS1_3gpuE6ELNS1_3repE0EEENS1_48merge_mergepath_partition_config_static_selectorELNS0_4arch9wavefront6targetE1EEEvSL_,comdat
.Lfunc_end2671:
	.size	_ZN7rocprim17ROCPRIM_400000_NS6detail17trampoline_kernelINS0_14default_configENS1_38merge_sort_block_merge_config_selectorI14custom_numericNS0_10empty_typeEEEZZNS1_27merge_sort_block_merge_implIS3_N6thrust23THRUST_200600_302600_NS6detail15normal_iteratorINSA_10device_ptrIS5_EEEEPS6_mNSA_7greaterIS5_EEEE10hipError_tT0_T1_T2_jT3_P12ihipStream_tbPNSt15iterator_traitsISK_E10value_typeEPNSQ_ISL_E10value_typeEPSM_NS1_7vsmem_tEENKUlT_SK_SL_SM_E_clISF_PS5_SG_SG_EESJ_SZ_SK_SL_SM_EUlSZ_E_NS1_11comp_targetILNS1_3genE2ELNS1_11target_archE906ELNS1_3gpuE6ELNS1_3repE0EEENS1_48merge_mergepath_partition_config_static_selectorELNS0_4arch9wavefront6targetE1EEEvSL_, .Lfunc_end2671-_ZN7rocprim17ROCPRIM_400000_NS6detail17trampoline_kernelINS0_14default_configENS1_38merge_sort_block_merge_config_selectorI14custom_numericNS0_10empty_typeEEEZZNS1_27merge_sort_block_merge_implIS3_N6thrust23THRUST_200600_302600_NS6detail15normal_iteratorINSA_10device_ptrIS5_EEEEPS6_mNSA_7greaterIS5_EEEE10hipError_tT0_T1_T2_jT3_P12ihipStream_tbPNSt15iterator_traitsISK_E10value_typeEPNSQ_ISL_E10value_typeEPSM_NS1_7vsmem_tEENKUlT_SK_SL_SM_E_clISF_PS5_SG_SG_EESJ_SZ_SK_SL_SM_EUlSZ_E_NS1_11comp_targetILNS1_3genE2ELNS1_11target_archE906ELNS1_3gpuE6ELNS1_3repE0EEENS1_48merge_mergepath_partition_config_static_selectorELNS0_4arch9wavefront6targetE1EEEvSL_
                                        ; -- End function
	.section	.AMDGPU.csdata,"",@progbits
; Kernel info:
; codeLenInByte = 0
; NumSgprs: 4
; NumVgprs: 0
; NumAgprs: 0
; TotalNumVgprs: 0
; ScratchSize: 0
; MemoryBound: 0
; FloatMode: 240
; IeeeMode: 1
; LDSByteSize: 0 bytes/workgroup (compile time only)
; SGPRBlocks: 0
; VGPRBlocks: 0
; NumSGPRsForWavesPerEU: 4
; NumVGPRsForWavesPerEU: 1
; AccumOffset: 4
; Occupancy: 8
; WaveLimiterHint : 0
; COMPUTE_PGM_RSRC2:SCRATCH_EN: 0
; COMPUTE_PGM_RSRC2:USER_SGPR: 6
; COMPUTE_PGM_RSRC2:TRAP_HANDLER: 0
; COMPUTE_PGM_RSRC2:TGID_X_EN: 1
; COMPUTE_PGM_RSRC2:TGID_Y_EN: 0
; COMPUTE_PGM_RSRC2:TGID_Z_EN: 0
; COMPUTE_PGM_RSRC2:TIDIG_COMP_CNT: 0
; COMPUTE_PGM_RSRC3_GFX90A:ACCUM_OFFSET: 0
; COMPUTE_PGM_RSRC3_GFX90A:TG_SPLIT: 0
	.section	.text._ZN7rocprim17ROCPRIM_400000_NS6detail17trampoline_kernelINS0_14default_configENS1_38merge_sort_block_merge_config_selectorI14custom_numericNS0_10empty_typeEEEZZNS1_27merge_sort_block_merge_implIS3_N6thrust23THRUST_200600_302600_NS6detail15normal_iteratorINSA_10device_ptrIS5_EEEEPS6_mNSA_7greaterIS5_EEEE10hipError_tT0_T1_T2_jT3_P12ihipStream_tbPNSt15iterator_traitsISK_E10value_typeEPNSQ_ISL_E10value_typeEPSM_NS1_7vsmem_tEENKUlT_SK_SL_SM_E_clISF_PS5_SG_SG_EESJ_SZ_SK_SL_SM_EUlSZ_E_NS1_11comp_targetILNS1_3genE9ELNS1_11target_archE1100ELNS1_3gpuE3ELNS1_3repE0EEENS1_48merge_mergepath_partition_config_static_selectorELNS0_4arch9wavefront6targetE1EEEvSL_,"axG",@progbits,_ZN7rocprim17ROCPRIM_400000_NS6detail17trampoline_kernelINS0_14default_configENS1_38merge_sort_block_merge_config_selectorI14custom_numericNS0_10empty_typeEEEZZNS1_27merge_sort_block_merge_implIS3_N6thrust23THRUST_200600_302600_NS6detail15normal_iteratorINSA_10device_ptrIS5_EEEEPS6_mNSA_7greaterIS5_EEEE10hipError_tT0_T1_T2_jT3_P12ihipStream_tbPNSt15iterator_traitsISK_E10value_typeEPNSQ_ISL_E10value_typeEPSM_NS1_7vsmem_tEENKUlT_SK_SL_SM_E_clISF_PS5_SG_SG_EESJ_SZ_SK_SL_SM_EUlSZ_E_NS1_11comp_targetILNS1_3genE9ELNS1_11target_archE1100ELNS1_3gpuE3ELNS1_3repE0EEENS1_48merge_mergepath_partition_config_static_selectorELNS0_4arch9wavefront6targetE1EEEvSL_,comdat
	.protected	_ZN7rocprim17ROCPRIM_400000_NS6detail17trampoline_kernelINS0_14default_configENS1_38merge_sort_block_merge_config_selectorI14custom_numericNS0_10empty_typeEEEZZNS1_27merge_sort_block_merge_implIS3_N6thrust23THRUST_200600_302600_NS6detail15normal_iteratorINSA_10device_ptrIS5_EEEEPS6_mNSA_7greaterIS5_EEEE10hipError_tT0_T1_T2_jT3_P12ihipStream_tbPNSt15iterator_traitsISK_E10value_typeEPNSQ_ISL_E10value_typeEPSM_NS1_7vsmem_tEENKUlT_SK_SL_SM_E_clISF_PS5_SG_SG_EESJ_SZ_SK_SL_SM_EUlSZ_E_NS1_11comp_targetILNS1_3genE9ELNS1_11target_archE1100ELNS1_3gpuE3ELNS1_3repE0EEENS1_48merge_mergepath_partition_config_static_selectorELNS0_4arch9wavefront6targetE1EEEvSL_ ; -- Begin function _ZN7rocprim17ROCPRIM_400000_NS6detail17trampoline_kernelINS0_14default_configENS1_38merge_sort_block_merge_config_selectorI14custom_numericNS0_10empty_typeEEEZZNS1_27merge_sort_block_merge_implIS3_N6thrust23THRUST_200600_302600_NS6detail15normal_iteratorINSA_10device_ptrIS5_EEEEPS6_mNSA_7greaterIS5_EEEE10hipError_tT0_T1_T2_jT3_P12ihipStream_tbPNSt15iterator_traitsISK_E10value_typeEPNSQ_ISL_E10value_typeEPSM_NS1_7vsmem_tEENKUlT_SK_SL_SM_E_clISF_PS5_SG_SG_EESJ_SZ_SK_SL_SM_EUlSZ_E_NS1_11comp_targetILNS1_3genE9ELNS1_11target_archE1100ELNS1_3gpuE3ELNS1_3repE0EEENS1_48merge_mergepath_partition_config_static_selectorELNS0_4arch9wavefront6targetE1EEEvSL_
	.globl	_ZN7rocprim17ROCPRIM_400000_NS6detail17trampoline_kernelINS0_14default_configENS1_38merge_sort_block_merge_config_selectorI14custom_numericNS0_10empty_typeEEEZZNS1_27merge_sort_block_merge_implIS3_N6thrust23THRUST_200600_302600_NS6detail15normal_iteratorINSA_10device_ptrIS5_EEEEPS6_mNSA_7greaterIS5_EEEE10hipError_tT0_T1_T2_jT3_P12ihipStream_tbPNSt15iterator_traitsISK_E10value_typeEPNSQ_ISL_E10value_typeEPSM_NS1_7vsmem_tEENKUlT_SK_SL_SM_E_clISF_PS5_SG_SG_EESJ_SZ_SK_SL_SM_EUlSZ_E_NS1_11comp_targetILNS1_3genE9ELNS1_11target_archE1100ELNS1_3gpuE3ELNS1_3repE0EEENS1_48merge_mergepath_partition_config_static_selectorELNS0_4arch9wavefront6targetE1EEEvSL_
	.p2align	8
	.type	_ZN7rocprim17ROCPRIM_400000_NS6detail17trampoline_kernelINS0_14default_configENS1_38merge_sort_block_merge_config_selectorI14custom_numericNS0_10empty_typeEEEZZNS1_27merge_sort_block_merge_implIS3_N6thrust23THRUST_200600_302600_NS6detail15normal_iteratorINSA_10device_ptrIS5_EEEEPS6_mNSA_7greaterIS5_EEEE10hipError_tT0_T1_T2_jT3_P12ihipStream_tbPNSt15iterator_traitsISK_E10value_typeEPNSQ_ISL_E10value_typeEPSM_NS1_7vsmem_tEENKUlT_SK_SL_SM_E_clISF_PS5_SG_SG_EESJ_SZ_SK_SL_SM_EUlSZ_E_NS1_11comp_targetILNS1_3genE9ELNS1_11target_archE1100ELNS1_3gpuE3ELNS1_3repE0EEENS1_48merge_mergepath_partition_config_static_selectorELNS0_4arch9wavefront6targetE1EEEvSL_,@function
_ZN7rocprim17ROCPRIM_400000_NS6detail17trampoline_kernelINS0_14default_configENS1_38merge_sort_block_merge_config_selectorI14custom_numericNS0_10empty_typeEEEZZNS1_27merge_sort_block_merge_implIS3_N6thrust23THRUST_200600_302600_NS6detail15normal_iteratorINSA_10device_ptrIS5_EEEEPS6_mNSA_7greaterIS5_EEEE10hipError_tT0_T1_T2_jT3_P12ihipStream_tbPNSt15iterator_traitsISK_E10value_typeEPNSQ_ISL_E10value_typeEPSM_NS1_7vsmem_tEENKUlT_SK_SL_SM_E_clISF_PS5_SG_SG_EESJ_SZ_SK_SL_SM_EUlSZ_E_NS1_11comp_targetILNS1_3genE9ELNS1_11target_archE1100ELNS1_3gpuE3ELNS1_3repE0EEENS1_48merge_mergepath_partition_config_static_selectorELNS0_4arch9wavefront6targetE1EEEvSL_: ; @_ZN7rocprim17ROCPRIM_400000_NS6detail17trampoline_kernelINS0_14default_configENS1_38merge_sort_block_merge_config_selectorI14custom_numericNS0_10empty_typeEEEZZNS1_27merge_sort_block_merge_implIS3_N6thrust23THRUST_200600_302600_NS6detail15normal_iteratorINSA_10device_ptrIS5_EEEEPS6_mNSA_7greaterIS5_EEEE10hipError_tT0_T1_T2_jT3_P12ihipStream_tbPNSt15iterator_traitsISK_E10value_typeEPNSQ_ISL_E10value_typeEPSM_NS1_7vsmem_tEENKUlT_SK_SL_SM_E_clISF_PS5_SG_SG_EESJ_SZ_SK_SL_SM_EUlSZ_E_NS1_11comp_targetILNS1_3genE9ELNS1_11target_archE1100ELNS1_3gpuE3ELNS1_3repE0EEENS1_48merge_mergepath_partition_config_static_selectorELNS0_4arch9wavefront6targetE1EEEvSL_
; %bb.0:
	.section	.rodata,"a",@progbits
	.p2align	6, 0x0
	.amdhsa_kernel _ZN7rocprim17ROCPRIM_400000_NS6detail17trampoline_kernelINS0_14default_configENS1_38merge_sort_block_merge_config_selectorI14custom_numericNS0_10empty_typeEEEZZNS1_27merge_sort_block_merge_implIS3_N6thrust23THRUST_200600_302600_NS6detail15normal_iteratorINSA_10device_ptrIS5_EEEEPS6_mNSA_7greaterIS5_EEEE10hipError_tT0_T1_T2_jT3_P12ihipStream_tbPNSt15iterator_traitsISK_E10value_typeEPNSQ_ISL_E10value_typeEPSM_NS1_7vsmem_tEENKUlT_SK_SL_SM_E_clISF_PS5_SG_SG_EESJ_SZ_SK_SL_SM_EUlSZ_E_NS1_11comp_targetILNS1_3genE9ELNS1_11target_archE1100ELNS1_3gpuE3ELNS1_3repE0EEENS1_48merge_mergepath_partition_config_static_selectorELNS0_4arch9wavefront6targetE1EEEvSL_
		.amdhsa_group_segment_fixed_size 0
		.amdhsa_private_segment_fixed_size 0
		.amdhsa_kernarg_size 48
		.amdhsa_user_sgpr_count 6
		.amdhsa_user_sgpr_private_segment_buffer 1
		.amdhsa_user_sgpr_dispatch_ptr 0
		.amdhsa_user_sgpr_queue_ptr 0
		.amdhsa_user_sgpr_kernarg_segment_ptr 1
		.amdhsa_user_sgpr_dispatch_id 0
		.amdhsa_user_sgpr_flat_scratch_init 0
		.amdhsa_user_sgpr_kernarg_preload_length 0
		.amdhsa_user_sgpr_kernarg_preload_offset 0
		.amdhsa_user_sgpr_private_segment_size 0
		.amdhsa_uses_dynamic_stack 0
		.amdhsa_system_sgpr_private_segment_wavefront_offset 0
		.amdhsa_system_sgpr_workgroup_id_x 1
		.amdhsa_system_sgpr_workgroup_id_y 0
		.amdhsa_system_sgpr_workgroup_id_z 0
		.amdhsa_system_sgpr_workgroup_info 0
		.amdhsa_system_vgpr_workitem_id 0
		.amdhsa_next_free_vgpr 1
		.amdhsa_next_free_sgpr 0
		.amdhsa_accum_offset 4
		.amdhsa_reserve_vcc 0
		.amdhsa_reserve_flat_scratch 0
		.amdhsa_float_round_mode_32 0
		.amdhsa_float_round_mode_16_64 0
		.amdhsa_float_denorm_mode_32 3
		.amdhsa_float_denorm_mode_16_64 3
		.amdhsa_dx10_clamp 1
		.amdhsa_ieee_mode 1
		.amdhsa_fp16_overflow 0
		.amdhsa_tg_split 0
		.amdhsa_exception_fp_ieee_invalid_op 0
		.amdhsa_exception_fp_denorm_src 0
		.amdhsa_exception_fp_ieee_div_zero 0
		.amdhsa_exception_fp_ieee_overflow 0
		.amdhsa_exception_fp_ieee_underflow 0
		.amdhsa_exception_fp_ieee_inexact 0
		.amdhsa_exception_int_div_zero 0
	.end_amdhsa_kernel
	.section	.text._ZN7rocprim17ROCPRIM_400000_NS6detail17trampoline_kernelINS0_14default_configENS1_38merge_sort_block_merge_config_selectorI14custom_numericNS0_10empty_typeEEEZZNS1_27merge_sort_block_merge_implIS3_N6thrust23THRUST_200600_302600_NS6detail15normal_iteratorINSA_10device_ptrIS5_EEEEPS6_mNSA_7greaterIS5_EEEE10hipError_tT0_T1_T2_jT3_P12ihipStream_tbPNSt15iterator_traitsISK_E10value_typeEPNSQ_ISL_E10value_typeEPSM_NS1_7vsmem_tEENKUlT_SK_SL_SM_E_clISF_PS5_SG_SG_EESJ_SZ_SK_SL_SM_EUlSZ_E_NS1_11comp_targetILNS1_3genE9ELNS1_11target_archE1100ELNS1_3gpuE3ELNS1_3repE0EEENS1_48merge_mergepath_partition_config_static_selectorELNS0_4arch9wavefront6targetE1EEEvSL_,"axG",@progbits,_ZN7rocprim17ROCPRIM_400000_NS6detail17trampoline_kernelINS0_14default_configENS1_38merge_sort_block_merge_config_selectorI14custom_numericNS0_10empty_typeEEEZZNS1_27merge_sort_block_merge_implIS3_N6thrust23THRUST_200600_302600_NS6detail15normal_iteratorINSA_10device_ptrIS5_EEEEPS6_mNSA_7greaterIS5_EEEE10hipError_tT0_T1_T2_jT3_P12ihipStream_tbPNSt15iterator_traitsISK_E10value_typeEPNSQ_ISL_E10value_typeEPSM_NS1_7vsmem_tEENKUlT_SK_SL_SM_E_clISF_PS5_SG_SG_EESJ_SZ_SK_SL_SM_EUlSZ_E_NS1_11comp_targetILNS1_3genE9ELNS1_11target_archE1100ELNS1_3gpuE3ELNS1_3repE0EEENS1_48merge_mergepath_partition_config_static_selectorELNS0_4arch9wavefront6targetE1EEEvSL_,comdat
.Lfunc_end2672:
	.size	_ZN7rocprim17ROCPRIM_400000_NS6detail17trampoline_kernelINS0_14default_configENS1_38merge_sort_block_merge_config_selectorI14custom_numericNS0_10empty_typeEEEZZNS1_27merge_sort_block_merge_implIS3_N6thrust23THRUST_200600_302600_NS6detail15normal_iteratorINSA_10device_ptrIS5_EEEEPS6_mNSA_7greaterIS5_EEEE10hipError_tT0_T1_T2_jT3_P12ihipStream_tbPNSt15iterator_traitsISK_E10value_typeEPNSQ_ISL_E10value_typeEPSM_NS1_7vsmem_tEENKUlT_SK_SL_SM_E_clISF_PS5_SG_SG_EESJ_SZ_SK_SL_SM_EUlSZ_E_NS1_11comp_targetILNS1_3genE9ELNS1_11target_archE1100ELNS1_3gpuE3ELNS1_3repE0EEENS1_48merge_mergepath_partition_config_static_selectorELNS0_4arch9wavefront6targetE1EEEvSL_, .Lfunc_end2672-_ZN7rocprim17ROCPRIM_400000_NS6detail17trampoline_kernelINS0_14default_configENS1_38merge_sort_block_merge_config_selectorI14custom_numericNS0_10empty_typeEEEZZNS1_27merge_sort_block_merge_implIS3_N6thrust23THRUST_200600_302600_NS6detail15normal_iteratorINSA_10device_ptrIS5_EEEEPS6_mNSA_7greaterIS5_EEEE10hipError_tT0_T1_T2_jT3_P12ihipStream_tbPNSt15iterator_traitsISK_E10value_typeEPNSQ_ISL_E10value_typeEPSM_NS1_7vsmem_tEENKUlT_SK_SL_SM_E_clISF_PS5_SG_SG_EESJ_SZ_SK_SL_SM_EUlSZ_E_NS1_11comp_targetILNS1_3genE9ELNS1_11target_archE1100ELNS1_3gpuE3ELNS1_3repE0EEENS1_48merge_mergepath_partition_config_static_selectorELNS0_4arch9wavefront6targetE1EEEvSL_
                                        ; -- End function
	.section	.AMDGPU.csdata,"",@progbits
; Kernel info:
; codeLenInByte = 0
; NumSgprs: 4
; NumVgprs: 0
; NumAgprs: 0
; TotalNumVgprs: 0
; ScratchSize: 0
; MemoryBound: 0
; FloatMode: 240
; IeeeMode: 1
; LDSByteSize: 0 bytes/workgroup (compile time only)
; SGPRBlocks: 0
; VGPRBlocks: 0
; NumSGPRsForWavesPerEU: 4
; NumVGPRsForWavesPerEU: 1
; AccumOffset: 4
; Occupancy: 8
; WaveLimiterHint : 0
; COMPUTE_PGM_RSRC2:SCRATCH_EN: 0
; COMPUTE_PGM_RSRC2:USER_SGPR: 6
; COMPUTE_PGM_RSRC2:TRAP_HANDLER: 0
; COMPUTE_PGM_RSRC2:TGID_X_EN: 1
; COMPUTE_PGM_RSRC2:TGID_Y_EN: 0
; COMPUTE_PGM_RSRC2:TGID_Z_EN: 0
; COMPUTE_PGM_RSRC2:TIDIG_COMP_CNT: 0
; COMPUTE_PGM_RSRC3_GFX90A:ACCUM_OFFSET: 0
; COMPUTE_PGM_RSRC3_GFX90A:TG_SPLIT: 0
	.section	.text._ZN7rocprim17ROCPRIM_400000_NS6detail17trampoline_kernelINS0_14default_configENS1_38merge_sort_block_merge_config_selectorI14custom_numericNS0_10empty_typeEEEZZNS1_27merge_sort_block_merge_implIS3_N6thrust23THRUST_200600_302600_NS6detail15normal_iteratorINSA_10device_ptrIS5_EEEEPS6_mNSA_7greaterIS5_EEEE10hipError_tT0_T1_T2_jT3_P12ihipStream_tbPNSt15iterator_traitsISK_E10value_typeEPNSQ_ISL_E10value_typeEPSM_NS1_7vsmem_tEENKUlT_SK_SL_SM_E_clISF_PS5_SG_SG_EESJ_SZ_SK_SL_SM_EUlSZ_E_NS1_11comp_targetILNS1_3genE8ELNS1_11target_archE1030ELNS1_3gpuE2ELNS1_3repE0EEENS1_48merge_mergepath_partition_config_static_selectorELNS0_4arch9wavefront6targetE1EEEvSL_,"axG",@progbits,_ZN7rocprim17ROCPRIM_400000_NS6detail17trampoline_kernelINS0_14default_configENS1_38merge_sort_block_merge_config_selectorI14custom_numericNS0_10empty_typeEEEZZNS1_27merge_sort_block_merge_implIS3_N6thrust23THRUST_200600_302600_NS6detail15normal_iteratorINSA_10device_ptrIS5_EEEEPS6_mNSA_7greaterIS5_EEEE10hipError_tT0_T1_T2_jT3_P12ihipStream_tbPNSt15iterator_traitsISK_E10value_typeEPNSQ_ISL_E10value_typeEPSM_NS1_7vsmem_tEENKUlT_SK_SL_SM_E_clISF_PS5_SG_SG_EESJ_SZ_SK_SL_SM_EUlSZ_E_NS1_11comp_targetILNS1_3genE8ELNS1_11target_archE1030ELNS1_3gpuE2ELNS1_3repE0EEENS1_48merge_mergepath_partition_config_static_selectorELNS0_4arch9wavefront6targetE1EEEvSL_,comdat
	.protected	_ZN7rocprim17ROCPRIM_400000_NS6detail17trampoline_kernelINS0_14default_configENS1_38merge_sort_block_merge_config_selectorI14custom_numericNS0_10empty_typeEEEZZNS1_27merge_sort_block_merge_implIS3_N6thrust23THRUST_200600_302600_NS6detail15normal_iteratorINSA_10device_ptrIS5_EEEEPS6_mNSA_7greaterIS5_EEEE10hipError_tT0_T1_T2_jT3_P12ihipStream_tbPNSt15iterator_traitsISK_E10value_typeEPNSQ_ISL_E10value_typeEPSM_NS1_7vsmem_tEENKUlT_SK_SL_SM_E_clISF_PS5_SG_SG_EESJ_SZ_SK_SL_SM_EUlSZ_E_NS1_11comp_targetILNS1_3genE8ELNS1_11target_archE1030ELNS1_3gpuE2ELNS1_3repE0EEENS1_48merge_mergepath_partition_config_static_selectorELNS0_4arch9wavefront6targetE1EEEvSL_ ; -- Begin function _ZN7rocprim17ROCPRIM_400000_NS6detail17trampoline_kernelINS0_14default_configENS1_38merge_sort_block_merge_config_selectorI14custom_numericNS0_10empty_typeEEEZZNS1_27merge_sort_block_merge_implIS3_N6thrust23THRUST_200600_302600_NS6detail15normal_iteratorINSA_10device_ptrIS5_EEEEPS6_mNSA_7greaterIS5_EEEE10hipError_tT0_T1_T2_jT3_P12ihipStream_tbPNSt15iterator_traitsISK_E10value_typeEPNSQ_ISL_E10value_typeEPSM_NS1_7vsmem_tEENKUlT_SK_SL_SM_E_clISF_PS5_SG_SG_EESJ_SZ_SK_SL_SM_EUlSZ_E_NS1_11comp_targetILNS1_3genE8ELNS1_11target_archE1030ELNS1_3gpuE2ELNS1_3repE0EEENS1_48merge_mergepath_partition_config_static_selectorELNS0_4arch9wavefront6targetE1EEEvSL_
	.globl	_ZN7rocprim17ROCPRIM_400000_NS6detail17trampoline_kernelINS0_14default_configENS1_38merge_sort_block_merge_config_selectorI14custom_numericNS0_10empty_typeEEEZZNS1_27merge_sort_block_merge_implIS3_N6thrust23THRUST_200600_302600_NS6detail15normal_iteratorINSA_10device_ptrIS5_EEEEPS6_mNSA_7greaterIS5_EEEE10hipError_tT0_T1_T2_jT3_P12ihipStream_tbPNSt15iterator_traitsISK_E10value_typeEPNSQ_ISL_E10value_typeEPSM_NS1_7vsmem_tEENKUlT_SK_SL_SM_E_clISF_PS5_SG_SG_EESJ_SZ_SK_SL_SM_EUlSZ_E_NS1_11comp_targetILNS1_3genE8ELNS1_11target_archE1030ELNS1_3gpuE2ELNS1_3repE0EEENS1_48merge_mergepath_partition_config_static_selectorELNS0_4arch9wavefront6targetE1EEEvSL_
	.p2align	8
	.type	_ZN7rocprim17ROCPRIM_400000_NS6detail17trampoline_kernelINS0_14default_configENS1_38merge_sort_block_merge_config_selectorI14custom_numericNS0_10empty_typeEEEZZNS1_27merge_sort_block_merge_implIS3_N6thrust23THRUST_200600_302600_NS6detail15normal_iteratorINSA_10device_ptrIS5_EEEEPS6_mNSA_7greaterIS5_EEEE10hipError_tT0_T1_T2_jT3_P12ihipStream_tbPNSt15iterator_traitsISK_E10value_typeEPNSQ_ISL_E10value_typeEPSM_NS1_7vsmem_tEENKUlT_SK_SL_SM_E_clISF_PS5_SG_SG_EESJ_SZ_SK_SL_SM_EUlSZ_E_NS1_11comp_targetILNS1_3genE8ELNS1_11target_archE1030ELNS1_3gpuE2ELNS1_3repE0EEENS1_48merge_mergepath_partition_config_static_selectorELNS0_4arch9wavefront6targetE1EEEvSL_,@function
_ZN7rocprim17ROCPRIM_400000_NS6detail17trampoline_kernelINS0_14default_configENS1_38merge_sort_block_merge_config_selectorI14custom_numericNS0_10empty_typeEEEZZNS1_27merge_sort_block_merge_implIS3_N6thrust23THRUST_200600_302600_NS6detail15normal_iteratorINSA_10device_ptrIS5_EEEEPS6_mNSA_7greaterIS5_EEEE10hipError_tT0_T1_T2_jT3_P12ihipStream_tbPNSt15iterator_traitsISK_E10value_typeEPNSQ_ISL_E10value_typeEPSM_NS1_7vsmem_tEENKUlT_SK_SL_SM_E_clISF_PS5_SG_SG_EESJ_SZ_SK_SL_SM_EUlSZ_E_NS1_11comp_targetILNS1_3genE8ELNS1_11target_archE1030ELNS1_3gpuE2ELNS1_3repE0EEENS1_48merge_mergepath_partition_config_static_selectorELNS0_4arch9wavefront6targetE1EEEvSL_: ; @_ZN7rocprim17ROCPRIM_400000_NS6detail17trampoline_kernelINS0_14default_configENS1_38merge_sort_block_merge_config_selectorI14custom_numericNS0_10empty_typeEEEZZNS1_27merge_sort_block_merge_implIS3_N6thrust23THRUST_200600_302600_NS6detail15normal_iteratorINSA_10device_ptrIS5_EEEEPS6_mNSA_7greaterIS5_EEEE10hipError_tT0_T1_T2_jT3_P12ihipStream_tbPNSt15iterator_traitsISK_E10value_typeEPNSQ_ISL_E10value_typeEPSM_NS1_7vsmem_tEENKUlT_SK_SL_SM_E_clISF_PS5_SG_SG_EESJ_SZ_SK_SL_SM_EUlSZ_E_NS1_11comp_targetILNS1_3genE8ELNS1_11target_archE1030ELNS1_3gpuE2ELNS1_3repE0EEENS1_48merge_mergepath_partition_config_static_selectorELNS0_4arch9wavefront6targetE1EEEvSL_
; %bb.0:
	.section	.rodata,"a",@progbits
	.p2align	6, 0x0
	.amdhsa_kernel _ZN7rocprim17ROCPRIM_400000_NS6detail17trampoline_kernelINS0_14default_configENS1_38merge_sort_block_merge_config_selectorI14custom_numericNS0_10empty_typeEEEZZNS1_27merge_sort_block_merge_implIS3_N6thrust23THRUST_200600_302600_NS6detail15normal_iteratorINSA_10device_ptrIS5_EEEEPS6_mNSA_7greaterIS5_EEEE10hipError_tT0_T1_T2_jT3_P12ihipStream_tbPNSt15iterator_traitsISK_E10value_typeEPNSQ_ISL_E10value_typeEPSM_NS1_7vsmem_tEENKUlT_SK_SL_SM_E_clISF_PS5_SG_SG_EESJ_SZ_SK_SL_SM_EUlSZ_E_NS1_11comp_targetILNS1_3genE8ELNS1_11target_archE1030ELNS1_3gpuE2ELNS1_3repE0EEENS1_48merge_mergepath_partition_config_static_selectorELNS0_4arch9wavefront6targetE1EEEvSL_
		.amdhsa_group_segment_fixed_size 0
		.amdhsa_private_segment_fixed_size 0
		.amdhsa_kernarg_size 48
		.amdhsa_user_sgpr_count 6
		.amdhsa_user_sgpr_private_segment_buffer 1
		.amdhsa_user_sgpr_dispatch_ptr 0
		.amdhsa_user_sgpr_queue_ptr 0
		.amdhsa_user_sgpr_kernarg_segment_ptr 1
		.amdhsa_user_sgpr_dispatch_id 0
		.amdhsa_user_sgpr_flat_scratch_init 0
		.amdhsa_user_sgpr_kernarg_preload_length 0
		.amdhsa_user_sgpr_kernarg_preload_offset 0
		.amdhsa_user_sgpr_private_segment_size 0
		.amdhsa_uses_dynamic_stack 0
		.amdhsa_system_sgpr_private_segment_wavefront_offset 0
		.amdhsa_system_sgpr_workgroup_id_x 1
		.amdhsa_system_sgpr_workgroup_id_y 0
		.amdhsa_system_sgpr_workgroup_id_z 0
		.amdhsa_system_sgpr_workgroup_info 0
		.amdhsa_system_vgpr_workitem_id 0
		.amdhsa_next_free_vgpr 1
		.amdhsa_next_free_sgpr 0
		.amdhsa_accum_offset 4
		.amdhsa_reserve_vcc 0
		.amdhsa_reserve_flat_scratch 0
		.amdhsa_float_round_mode_32 0
		.amdhsa_float_round_mode_16_64 0
		.amdhsa_float_denorm_mode_32 3
		.amdhsa_float_denorm_mode_16_64 3
		.amdhsa_dx10_clamp 1
		.amdhsa_ieee_mode 1
		.amdhsa_fp16_overflow 0
		.amdhsa_tg_split 0
		.amdhsa_exception_fp_ieee_invalid_op 0
		.amdhsa_exception_fp_denorm_src 0
		.amdhsa_exception_fp_ieee_div_zero 0
		.amdhsa_exception_fp_ieee_overflow 0
		.amdhsa_exception_fp_ieee_underflow 0
		.amdhsa_exception_fp_ieee_inexact 0
		.amdhsa_exception_int_div_zero 0
	.end_amdhsa_kernel
	.section	.text._ZN7rocprim17ROCPRIM_400000_NS6detail17trampoline_kernelINS0_14default_configENS1_38merge_sort_block_merge_config_selectorI14custom_numericNS0_10empty_typeEEEZZNS1_27merge_sort_block_merge_implIS3_N6thrust23THRUST_200600_302600_NS6detail15normal_iteratorINSA_10device_ptrIS5_EEEEPS6_mNSA_7greaterIS5_EEEE10hipError_tT0_T1_T2_jT3_P12ihipStream_tbPNSt15iterator_traitsISK_E10value_typeEPNSQ_ISL_E10value_typeEPSM_NS1_7vsmem_tEENKUlT_SK_SL_SM_E_clISF_PS5_SG_SG_EESJ_SZ_SK_SL_SM_EUlSZ_E_NS1_11comp_targetILNS1_3genE8ELNS1_11target_archE1030ELNS1_3gpuE2ELNS1_3repE0EEENS1_48merge_mergepath_partition_config_static_selectorELNS0_4arch9wavefront6targetE1EEEvSL_,"axG",@progbits,_ZN7rocprim17ROCPRIM_400000_NS6detail17trampoline_kernelINS0_14default_configENS1_38merge_sort_block_merge_config_selectorI14custom_numericNS0_10empty_typeEEEZZNS1_27merge_sort_block_merge_implIS3_N6thrust23THRUST_200600_302600_NS6detail15normal_iteratorINSA_10device_ptrIS5_EEEEPS6_mNSA_7greaterIS5_EEEE10hipError_tT0_T1_T2_jT3_P12ihipStream_tbPNSt15iterator_traitsISK_E10value_typeEPNSQ_ISL_E10value_typeEPSM_NS1_7vsmem_tEENKUlT_SK_SL_SM_E_clISF_PS5_SG_SG_EESJ_SZ_SK_SL_SM_EUlSZ_E_NS1_11comp_targetILNS1_3genE8ELNS1_11target_archE1030ELNS1_3gpuE2ELNS1_3repE0EEENS1_48merge_mergepath_partition_config_static_selectorELNS0_4arch9wavefront6targetE1EEEvSL_,comdat
.Lfunc_end2673:
	.size	_ZN7rocprim17ROCPRIM_400000_NS6detail17trampoline_kernelINS0_14default_configENS1_38merge_sort_block_merge_config_selectorI14custom_numericNS0_10empty_typeEEEZZNS1_27merge_sort_block_merge_implIS3_N6thrust23THRUST_200600_302600_NS6detail15normal_iteratorINSA_10device_ptrIS5_EEEEPS6_mNSA_7greaterIS5_EEEE10hipError_tT0_T1_T2_jT3_P12ihipStream_tbPNSt15iterator_traitsISK_E10value_typeEPNSQ_ISL_E10value_typeEPSM_NS1_7vsmem_tEENKUlT_SK_SL_SM_E_clISF_PS5_SG_SG_EESJ_SZ_SK_SL_SM_EUlSZ_E_NS1_11comp_targetILNS1_3genE8ELNS1_11target_archE1030ELNS1_3gpuE2ELNS1_3repE0EEENS1_48merge_mergepath_partition_config_static_selectorELNS0_4arch9wavefront6targetE1EEEvSL_, .Lfunc_end2673-_ZN7rocprim17ROCPRIM_400000_NS6detail17trampoline_kernelINS0_14default_configENS1_38merge_sort_block_merge_config_selectorI14custom_numericNS0_10empty_typeEEEZZNS1_27merge_sort_block_merge_implIS3_N6thrust23THRUST_200600_302600_NS6detail15normal_iteratorINSA_10device_ptrIS5_EEEEPS6_mNSA_7greaterIS5_EEEE10hipError_tT0_T1_T2_jT3_P12ihipStream_tbPNSt15iterator_traitsISK_E10value_typeEPNSQ_ISL_E10value_typeEPSM_NS1_7vsmem_tEENKUlT_SK_SL_SM_E_clISF_PS5_SG_SG_EESJ_SZ_SK_SL_SM_EUlSZ_E_NS1_11comp_targetILNS1_3genE8ELNS1_11target_archE1030ELNS1_3gpuE2ELNS1_3repE0EEENS1_48merge_mergepath_partition_config_static_selectorELNS0_4arch9wavefront6targetE1EEEvSL_
                                        ; -- End function
	.section	.AMDGPU.csdata,"",@progbits
; Kernel info:
; codeLenInByte = 0
; NumSgprs: 4
; NumVgprs: 0
; NumAgprs: 0
; TotalNumVgprs: 0
; ScratchSize: 0
; MemoryBound: 0
; FloatMode: 240
; IeeeMode: 1
; LDSByteSize: 0 bytes/workgroup (compile time only)
; SGPRBlocks: 0
; VGPRBlocks: 0
; NumSGPRsForWavesPerEU: 4
; NumVGPRsForWavesPerEU: 1
; AccumOffset: 4
; Occupancy: 8
; WaveLimiterHint : 0
; COMPUTE_PGM_RSRC2:SCRATCH_EN: 0
; COMPUTE_PGM_RSRC2:USER_SGPR: 6
; COMPUTE_PGM_RSRC2:TRAP_HANDLER: 0
; COMPUTE_PGM_RSRC2:TGID_X_EN: 1
; COMPUTE_PGM_RSRC2:TGID_Y_EN: 0
; COMPUTE_PGM_RSRC2:TGID_Z_EN: 0
; COMPUTE_PGM_RSRC2:TIDIG_COMP_CNT: 0
; COMPUTE_PGM_RSRC3_GFX90A:ACCUM_OFFSET: 0
; COMPUTE_PGM_RSRC3_GFX90A:TG_SPLIT: 0
	.section	.text._ZN7rocprim17ROCPRIM_400000_NS6detail17trampoline_kernelINS0_14default_configENS1_38merge_sort_block_merge_config_selectorI14custom_numericNS0_10empty_typeEEEZZNS1_27merge_sort_block_merge_implIS3_N6thrust23THRUST_200600_302600_NS6detail15normal_iteratorINSA_10device_ptrIS5_EEEEPS6_mNSA_7greaterIS5_EEEE10hipError_tT0_T1_T2_jT3_P12ihipStream_tbPNSt15iterator_traitsISK_E10value_typeEPNSQ_ISL_E10value_typeEPSM_NS1_7vsmem_tEENKUlT_SK_SL_SM_E_clISF_PS5_SG_SG_EESJ_SZ_SK_SL_SM_EUlSZ_E0_NS1_11comp_targetILNS1_3genE0ELNS1_11target_archE4294967295ELNS1_3gpuE0ELNS1_3repE0EEENS1_38merge_mergepath_config_static_selectorELNS0_4arch9wavefront6targetE1EEEvSL_,"axG",@progbits,_ZN7rocprim17ROCPRIM_400000_NS6detail17trampoline_kernelINS0_14default_configENS1_38merge_sort_block_merge_config_selectorI14custom_numericNS0_10empty_typeEEEZZNS1_27merge_sort_block_merge_implIS3_N6thrust23THRUST_200600_302600_NS6detail15normal_iteratorINSA_10device_ptrIS5_EEEEPS6_mNSA_7greaterIS5_EEEE10hipError_tT0_T1_T2_jT3_P12ihipStream_tbPNSt15iterator_traitsISK_E10value_typeEPNSQ_ISL_E10value_typeEPSM_NS1_7vsmem_tEENKUlT_SK_SL_SM_E_clISF_PS5_SG_SG_EESJ_SZ_SK_SL_SM_EUlSZ_E0_NS1_11comp_targetILNS1_3genE0ELNS1_11target_archE4294967295ELNS1_3gpuE0ELNS1_3repE0EEENS1_38merge_mergepath_config_static_selectorELNS0_4arch9wavefront6targetE1EEEvSL_,comdat
	.protected	_ZN7rocprim17ROCPRIM_400000_NS6detail17trampoline_kernelINS0_14default_configENS1_38merge_sort_block_merge_config_selectorI14custom_numericNS0_10empty_typeEEEZZNS1_27merge_sort_block_merge_implIS3_N6thrust23THRUST_200600_302600_NS6detail15normal_iteratorINSA_10device_ptrIS5_EEEEPS6_mNSA_7greaterIS5_EEEE10hipError_tT0_T1_T2_jT3_P12ihipStream_tbPNSt15iterator_traitsISK_E10value_typeEPNSQ_ISL_E10value_typeEPSM_NS1_7vsmem_tEENKUlT_SK_SL_SM_E_clISF_PS5_SG_SG_EESJ_SZ_SK_SL_SM_EUlSZ_E0_NS1_11comp_targetILNS1_3genE0ELNS1_11target_archE4294967295ELNS1_3gpuE0ELNS1_3repE0EEENS1_38merge_mergepath_config_static_selectorELNS0_4arch9wavefront6targetE1EEEvSL_ ; -- Begin function _ZN7rocprim17ROCPRIM_400000_NS6detail17trampoline_kernelINS0_14default_configENS1_38merge_sort_block_merge_config_selectorI14custom_numericNS0_10empty_typeEEEZZNS1_27merge_sort_block_merge_implIS3_N6thrust23THRUST_200600_302600_NS6detail15normal_iteratorINSA_10device_ptrIS5_EEEEPS6_mNSA_7greaterIS5_EEEE10hipError_tT0_T1_T2_jT3_P12ihipStream_tbPNSt15iterator_traitsISK_E10value_typeEPNSQ_ISL_E10value_typeEPSM_NS1_7vsmem_tEENKUlT_SK_SL_SM_E_clISF_PS5_SG_SG_EESJ_SZ_SK_SL_SM_EUlSZ_E0_NS1_11comp_targetILNS1_3genE0ELNS1_11target_archE4294967295ELNS1_3gpuE0ELNS1_3repE0EEENS1_38merge_mergepath_config_static_selectorELNS0_4arch9wavefront6targetE1EEEvSL_
	.globl	_ZN7rocprim17ROCPRIM_400000_NS6detail17trampoline_kernelINS0_14default_configENS1_38merge_sort_block_merge_config_selectorI14custom_numericNS0_10empty_typeEEEZZNS1_27merge_sort_block_merge_implIS3_N6thrust23THRUST_200600_302600_NS6detail15normal_iteratorINSA_10device_ptrIS5_EEEEPS6_mNSA_7greaterIS5_EEEE10hipError_tT0_T1_T2_jT3_P12ihipStream_tbPNSt15iterator_traitsISK_E10value_typeEPNSQ_ISL_E10value_typeEPSM_NS1_7vsmem_tEENKUlT_SK_SL_SM_E_clISF_PS5_SG_SG_EESJ_SZ_SK_SL_SM_EUlSZ_E0_NS1_11comp_targetILNS1_3genE0ELNS1_11target_archE4294967295ELNS1_3gpuE0ELNS1_3repE0EEENS1_38merge_mergepath_config_static_selectorELNS0_4arch9wavefront6targetE1EEEvSL_
	.p2align	8
	.type	_ZN7rocprim17ROCPRIM_400000_NS6detail17trampoline_kernelINS0_14default_configENS1_38merge_sort_block_merge_config_selectorI14custom_numericNS0_10empty_typeEEEZZNS1_27merge_sort_block_merge_implIS3_N6thrust23THRUST_200600_302600_NS6detail15normal_iteratorINSA_10device_ptrIS5_EEEEPS6_mNSA_7greaterIS5_EEEE10hipError_tT0_T1_T2_jT3_P12ihipStream_tbPNSt15iterator_traitsISK_E10value_typeEPNSQ_ISL_E10value_typeEPSM_NS1_7vsmem_tEENKUlT_SK_SL_SM_E_clISF_PS5_SG_SG_EESJ_SZ_SK_SL_SM_EUlSZ_E0_NS1_11comp_targetILNS1_3genE0ELNS1_11target_archE4294967295ELNS1_3gpuE0ELNS1_3repE0EEENS1_38merge_mergepath_config_static_selectorELNS0_4arch9wavefront6targetE1EEEvSL_,@function
_ZN7rocprim17ROCPRIM_400000_NS6detail17trampoline_kernelINS0_14default_configENS1_38merge_sort_block_merge_config_selectorI14custom_numericNS0_10empty_typeEEEZZNS1_27merge_sort_block_merge_implIS3_N6thrust23THRUST_200600_302600_NS6detail15normal_iteratorINSA_10device_ptrIS5_EEEEPS6_mNSA_7greaterIS5_EEEE10hipError_tT0_T1_T2_jT3_P12ihipStream_tbPNSt15iterator_traitsISK_E10value_typeEPNSQ_ISL_E10value_typeEPSM_NS1_7vsmem_tEENKUlT_SK_SL_SM_E_clISF_PS5_SG_SG_EESJ_SZ_SK_SL_SM_EUlSZ_E0_NS1_11comp_targetILNS1_3genE0ELNS1_11target_archE4294967295ELNS1_3gpuE0ELNS1_3repE0EEENS1_38merge_mergepath_config_static_selectorELNS0_4arch9wavefront6targetE1EEEvSL_: ; @_ZN7rocprim17ROCPRIM_400000_NS6detail17trampoline_kernelINS0_14default_configENS1_38merge_sort_block_merge_config_selectorI14custom_numericNS0_10empty_typeEEEZZNS1_27merge_sort_block_merge_implIS3_N6thrust23THRUST_200600_302600_NS6detail15normal_iteratorINSA_10device_ptrIS5_EEEEPS6_mNSA_7greaterIS5_EEEE10hipError_tT0_T1_T2_jT3_P12ihipStream_tbPNSt15iterator_traitsISK_E10value_typeEPNSQ_ISL_E10value_typeEPSM_NS1_7vsmem_tEENKUlT_SK_SL_SM_E_clISF_PS5_SG_SG_EESJ_SZ_SK_SL_SM_EUlSZ_E0_NS1_11comp_targetILNS1_3genE0ELNS1_11target_archE4294967295ELNS1_3gpuE0ELNS1_3repE0EEENS1_38merge_mergepath_config_static_selectorELNS0_4arch9wavefront6targetE1EEEvSL_
; %bb.0:
	.section	.rodata,"a",@progbits
	.p2align	6, 0x0
	.amdhsa_kernel _ZN7rocprim17ROCPRIM_400000_NS6detail17trampoline_kernelINS0_14default_configENS1_38merge_sort_block_merge_config_selectorI14custom_numericNS0_10empty_typeEEEZZNS1_27merge_sort_block_merge_implIS3_N6thrust23THRUST_200600_302600_NS6detail15normal_iteratorINSA_10device_ptrIS5_EEEEPS6_mNSA_7greaterIS5_EEEE10hipError_tT0_T1_T2_jT3_P12ihipStream_tbPNSt15iterator_traitsISK_E10value_typeEPNSQ_ISL_E10value_typeEPSM_NS1_7vsmem_tEENKUlT_SK_SL_SM_E_clISF_PS5_SG_SG_EESJ_SZ_SK_SL_SM_EUlSZ_E0_NS1_11comp_targetILNS1_3genE0ELNS1_11target_archE4294967295ELNS1_3gpuE0ELNS1_3repE0EEENS1_38merge_mergepath_config_static_selectorELNS0_4arch9wavefront6targetE1EEEvSL_
		.amdhsa_group_segment_fixed_size 0
		.amdhsa_private_segment_fixed_size 0
		.amdhsa_kernarg_size 72
		.amdhsa_user_sgpr_count 6
		.amdhsa_user_sgpr_private_segment_buffer 1
		.amdhsa_user_sgpr_dispatch_ptr 0
		.amdhsa_user_sgpr_queue_ptr 0
		.amdhsa_user_sgpr_kernarg_segment_ptr 1
		.amdhsa_user_sgpr_dispatch_id 0
		.amdhsa_user_sgpr_flat_scratch_init 0
		.amdhsa_user_sgpr_kernarg_preload_length 0
		.amdhsa_user_sgpr_kernarg_preload_offset 0
		.amdhsa_user_sgpr_private_segment_size 0
		.amdhsa_uses_dynamic_stack 0
		.amdhsa_system_sgpr_private_segment_wavefront_offset 0
		.amdhsa_system_sgpr_workgroup_id_x 1
		.amdhsa_system_sgpr_workgroup_id_y 0
		.amdhsa_system_sgpr_workgroup_id_z 0
		.amdhsa_system_sgpr_workgroup_info 0
		.amdhsa_system_vgpr_workitem_id 0
		.amdhsa_next_free_vgpr 1
		.amdhsa_next_free_sgpr 0
		.amdhsa_accum_offset 4
		.amdhsa_reserve_vcc 0
		.amdhsa_reserve_flat_scratch 0
		.amdhsa_float_round_mode_32 0
		.amdhsa_float_round_mode_16_64 0
		.amdhsa_float_denorm_mode_32 3
		.amdhsa_float_denorm_mode_16_64 3
		.amdhsa_dx10_clamp 1
		.amdhsa_ieee_mode 1
		.amdhsa_fp16_overflow 0
		.amdhsa_tg_split 0
		.amdhsa_exception_fp_ieee_invalid_op 0
		.amdhsa_exception_fp_denorm_src 0
		.amdhsa_exception_fp_ieee_div_zero 0
		.amdhsa_exception_fp_ieee_overflow 0
		.amdhsa_exception_fp_ieee_underflow 0
		.amdhsa_exception_fp_ieee_inexact 0
		.amdhsa_exception_int_div_zero 0
	.end_amdhsa_kernel
	.section	.text._ZN7rocprim17ROCPRIM_400000_NS6detail17trampoline_kernelINS0_14default_configENS1_38merge_sort_block_merge_config_selectorI14custom_numericNS0_10empty_typeEEEZZNS1_27merge_sort_block_merge_implIS3_N6thrust23THRUST_200600_302600_NS6detail15normal_iteratorINSA_10device_ptrIS5_EEEEPS6_mNSA_7greaterIS5_EEEE10hipError_tT0_T1_T2_jT3_P12ihipStream_tbPNSt15iterator_traitsISK_E10value_typeEPNSQ_ISL_E10value_typeEPSM_NS1_7vsmem_tEENKUlT_SK_SL_SM_E_clISF_PS5_SG_SG_EESJ_SZ_SK_SL_SM_EUlSZ_E0_NS1_11comp_targetILNS1_3genE0ELNS1_11target_archE4294967295ELNS1_3gpuE0ELNS1_3repE0EEENS1_38merge_mergepath_config_static_selectorELNS0_4arch9wavefront6targetE1EEEvSL_,"axG",@progbits,_ZN7rocprim17ROCPRIM_400000_NS6detail17trampoline_kernelINS0_14default_configENS1_38merge_sort_block_merge_config_selectorI14custom_numericNS0_10empty_typeEEEZZNS1_27merge_sort_block_merge_implIS3_N6thrust23THRUST_200600_302600_NS6detail15normal_iteratorINSA_10device_ptrIS5_EEEEPS6_mNSA_7greaterIS5_EEEE10hipError_tT0_T1_T2_jT3_P12ihipStream_tbPNSt15iterator_traitsISK_E10value_typeEPNSQ_ISL_E10value_typeEPSM_NS1_7vsmem_tEENKUlT_SK_SL_SM_E_clISF_PS5_SG_SG_EESJ_SZ_SK_SL_SM_EUlSZ_E0_NS1_11comp_targetILNS1_3genE0ELNS1_11target_archE4294967295ELNS1_3gpuE0ELNS1_3repE0EEENS1_38merge_mergepath_config_static_selectorELNS0_4arch9wavefront6targetE1EEEvSL_,comdat
.Lfunc_end2674:
	.size	_ZN7rocprim17ROCPRIM_400000_NS6detail17trampoline_kernelINS0_14default_configENS1_38merge_sort_block_merge_config_selectorI14custom_numericNS0_10empty_typeEEEZZNS1_27merge_sort_block_merge_implIS3_N6thrust23THRUST_200600_302600_NS6detail15normal_iteratorINSA_10device_ptrIS5_EEEEPS6_mNSA_7greaterIS5_EEEE10hipError_tT0_T1_T2_jT3_P12ihipStream_tbPNSt15iterator_traitsISK_E10value_typeEPNSQ_ISL_E10value_typeEPSM_NS1_7vsmem_tEENKUlT_SK_SL_SM_E_clISF_PS5_SG_SG_EESJ_SZ_SK_SL_SM_EUlSZ_E0_NS1_11comp_targetILNS1_3genE0ELNS1_11target_archE4294967295ELNS1_3gpuE0ELNS1_3repE0EEENS1_38merge_mergepath_config_static_selectorELNS0_4arch9wavefront6targetE1EEEvSL_, .Lfunc_end2674-_ZN7rocprim17ROCPRIM_400000_NS6detail17trampoline_kernelINS0_14default_configENS1_38merge_sort_block_merge_config_selectorI14custom_numericNS0_10empty_typeEEEZZNS1_27merge_sort_block_merge_implIS3_N6thrust23THRUST_200600_302600_NS6detail15normal_iteratorINSA_10device_ptrIS5_EEEEPS6_mNSA_7greaterIS5_EEEE10hipError_tT0_T1_T2_jT3_P12ihipStream_tbPNSt15iterator_traitsISK_E10value_typeEPNSQ_ISL_E10value_typeEPSM_NS1_7vsmem_tEENKUlT_SK_SL_SM_E_clISF_PS5_SG_SG_EESJ_SZ_SK_SL_SM_EUlSZ_E0_NS1_11comp_targetILNS1_3genE0ELNS1_11target_archE4294967295ELNS1_3gpuE0ELNS1_3repE0EEENS1_38merge_mergepath_config_static_selectorELNS0_4arch9wavefront6targetE1EEEvSL_
                                        ; -- End function
	.section	.AMDGPU.csdata,"",@progbits
; Kernel info:
; codeLenInByte = 0
; NumSgprs: 4
; NumVgprs: 0
; NumAgprs: 0
; TotalNumVgprs: 0
; ScratchSize: 0
; MemoryBound: 0
; FloatMode: 240
; IeeeMode: 1
; LDSByteSize: 0 bytes/workgroup (compile time only)
; SGPRBlocks: 0
; VGPRBlocks: 0
; NumSGPRsForWavesPerEU: 4
; NumVGPRsForWavesPerEU: 1
; AccumOffset: 4
; Occupancy: 8
; WaveLimiterHint : 0
; COMPUTE_PGM_RSRC2:SCRATCH_EN: 0
; COMPUTE_PGM_RSRC2:USER_SGPR: 6
; COMPUTE_PGM_RSRC2:TRAP_HANDLER: 0
; COMPUTE_PGM_RSRC2:TGID_X_EN: 1
; COMPUTE_PGM_RSRC2:TGID_Y_EN: 0
; COMPUTE_PGM_RSRC2:TGID_Z_EN: 0
; COMPUTE_PGM_RSRC2:TIDIG_COMP_CNT: 0
; COMPUTE_PGM_RSRC3_GFX90A:ACCUM_OFFSET: 0
; COMPUTE_PGM_RSRC3_GFX90A:TG_SPLIT: 0
	.section	.text._ZN7rocprim17ROCPRIM_400000_NS6detail17trampoline_kernelINS0_14default_configENS1_38merge_sort_block_merge_config_selectorI14custom_numericNS0_10empty_typeEEEZZNS1_27merge_sort_block_merge_implIS3_N6thrust23THRUST_200600_302600_NS6detail15normal_iteratorINSA_10device_ptrIS5_EEEEPS6_mNSA_7greaterIS5_EEEE10hipError_tT0_T1_T2_jT3_P12ihipStream_tbPNSt15iterator_traitsISK_E10value_typeEPNSQ_ISL_E10value_typeEPSM_NS1_7vsmem_tEENKUlT_SK_SL_SM_E_clISF_PS5_SG_SG_EESJ_SZ_SK_SL_SM_EUlSZ_E0_NS1_11comp_targetILNS1_3genE10ELNS1_11target_archE1201ELNS1_3gpuE5ELNS1_3repE0EEENS1_38merge_mergepath_config_static_selectorELNS0_4arch9wavefront6targetE1EEEvSL_,"axG",@progbits,_ZN7rocprim17ROCPRIM_400000_NS6detail17trampoline_kernelINS0_14default_configENS1_38merge_sort_block_merge_config_selectorI14custom_numericNS0_10empty_typeEEEZZNS1_27merge_sort_block_merge_implIS3_N6thrust23THRUST_200600_302600_NS6detail15normal_iteratorINSA_10device_ptrIS5_EEEEPS6_mNSA_7greaterIS5_EEEE10hipError_tT0_T1_T2_jT3_P12ihipStream_tbPNSt15iterator_traitsISK_E10value_typeEPNSQ_ISL_E10value_typeEPSM_NS1_7vsmem_tEENKUlT_SK_SL_SM_E_clISF_PS5_SG_SG_EESJ_SZ_SK_SL_SM_EUlSZ_E0_NS1_11comp_targetILNS1_3genE10ELNS1_11target_archE1201ELNS1_3gpuE5ELNS1_3repE0EEENS1_38merge_mergepath_config_static_selectorELNS0_4arch9wavefront6targetE1EEEvSL_,comdat
	.protected	_ZN7rocprim17ROCPRIM_400000_NS6detail17trampoline_kernelINS0_14default_configENS1_38merge_sort_block_merge_config_selectorI14custom_numericNS0_10empty_typeEEEZZNS1_27merge_sort_block_merge_implIS3_N6thrust23THRUST_200600_302600_NS6detail15normal_iteratorINSA_10device_ptrIS5_EEEEPS6_mNSA_7greaterIS5_EEEE10hipError_tT0_T1_T2_jT3_P12ihipStream_tbPNSt15iterator_traitsISK_E10value_typeEPNSQ_ISL_E10value_typeEPSM_NS1_7vsmem_tEENKUlT_SK_SL_SM_E_clISF_PS5_SG_SG_EESJ_SZ_SK_SL_SM_EUlSZ_E0_NS1_11comp_targetILNS1_3genE10ELNS1_11target_archE1201ELNS1_3gpuE5ELNS1_3repE0EEENS1_38merge_mergepath_config_static_selectorELNS0_4arch9wavefront6targetE1EEEvSL_ ; -- Begin function _ZN7rocprim17ROCPRIM_400000_NS6detail17trampoline_kernelINS0_14default_configENS1_38merge_sort_block_merge_config_selectorI14custom_numericNS0_10empty_typeEEEZZNS1_27merge_sort_block_merge_implIS3_N6thrust23THRUST_200600_302600_NS6detail15normal_iteratorINSA_10device_ptrIS5_EEEEPS6_mNSA_7greaterIS5_EEEE10hipError_tT0_T1_T2_jT3_P12ihipStream_tbPNSt15iterator_traitsISK_E10value_typeEPNSQ_ISL_E10value_typeEPSM_NS1_7vsmem_tEENKUlT_SK_SL_SM_E_clISF_PS5_SG_SG_EESJ_SZ_SK_SL_SM_EUlSZ_E0_NS1_11comp_targetILNS1_3genE10ELNS1_11target_archE1201ELNS1_3gpuE5ELNS1_3repE0EEENS1_38merge_mergepath_config_static_selectorELNS0_4arch9wavefront6targetE1EEEvSL_
	.globl	_ZN7rocprim17ROCPRIM_400000_NS6detail17trampoline_kernelINS0_14default_configENS1_38merge_sort_block_merge_config_selectorI14custom_numericNS0_10empty_typeEEEZZNS1_27merge_sort_block_merge_implIS3_N6thrust23THRUST_200600_302600_NS6detail15normal_iteratorINSA_10device_ptrIS5_EEEEPS6_mNSA_7greaterIS5_EEEE10hipError_tT0_T1_T2_jT3_P12ihipStream_tbPNSt15iterator_traitsISK_E10value_typeEPNSQ_ISL_E10value_typeEPSM_NS1_7vsmem_tEENKUlT_SK_SL_SM_E_clISF_PS5_SG_SG_EESJ_SZ_SK_SL_SM_EUlSZ_E0_NS1_11comp_targetILNS1_3genE10ELNS1_11target_archE1201ELNS1_3gpuE5ELNS1_3repE0EEENS1_38merge_mergepath_config_static_selectorELNS0_4arch9wavefront6targetE1EEEvSL_
	.p2align	8
	.type	_ZN7rocprim17ROCPRIM_400000_NS6detail17trampoline_kernelINS0_14default_configENS1_38merge_sort_block_merge_config_selectorI14custom_numericNS0_10empty_typeEEEZZNS1_27merge_sort_block_merge_implIS3_N6thrust23THRUST_200600_302600_NS6detail15normal_iteratorINSA_10device_ptrIS5_EEEEPS6_mNSA_7greaterIS5_EEEE10hipError_tT0_T1_T2_jT3_P12ihipStream_tbPNSt15iterator_traitsISK_E10value_typeEPNSQ_ISL_E10value_typeEPSM_NS1_7vsmem_tEENKUlT_SK_SL_SM_E_clISF_PS5_SG_SG_EESJ_SZ_SK_SL_SM_EUlSZ_E0_NS1_11comp_targetILNS1_3genE10ELNS1_11target_archE1201ELNS1_3gpuE5ELNS1_3repE0EEENS1_38merge_mergepath_config_static_selectorELNS0_4arch9wavefront6targetE1EEEvSL_,@function
_ZN7rocprim17ROCPRIM_400000_NS6detail17trampoline_kernelINS0_14default_configENS1_38merge_sort_block_merge_config_selectorI14custom_numericNS0_10empty_typeEEEZZNS1_27merge_sort_block_merge_implIS3_N6thrust23THRUST_200600_302600_NS6detail15normal_iteratorINSA_10device_ptrIS5_EEEEPS6_mNSA_7greaterIS5_EEEE10hipError_tT0_T1_T2_jT3_P12ihipStream_tbPNSt15iterator_traitsISK_E10value_typeEPNSQ_ISL_E10value_typeEPSM_NS1_7vsmem_tEENKUlT_SK_SL_SM_E_clISF_PS5_SG_SG_EESJ_SZ_SK_SL_SM_EUlSZ_E0_NS1_11comp_targetILNS1_3genE10ELNS1_11target_archE1201ELNS1_3gpuE5ELNS1_3repE0EEENS1_38merge_mergepath_config_static_selectorELNS0_4arch9wavefront6targetE1EEEvSL_: ; @_ZN7rocprim17ROCPRIM_400000_NS6detail17trampoline_kernelINS0_14default_configENS1_38merge_sort_block_merge_config_selectorI14custom_numericNS0_10empty_typeEEEZZNS1_27merge_sort_block_merge_implIS3_N6thrust23THRUST_200600_302600_NS6detail15normal_iteratorINSA_10device_ptrIS5_EEEEPS6_mNSA_7greaterIS5_EEEE10hipError_tT0_T1_T2_jT3_P12ihipStream_tbPNSt15iterator_traitsISK_E10value_typeEPNSQ_ISL_E10value_typeEPSM_NS1_7vsmem_tEENKUlT_SK_SL_SM_E_clISF_PS5_SG_SG_EESJ_SZ_SK_SL_SM_EUlSZ_E0_NS1_11comp_targetILNS1_3genE10ELNS1_11target_archE1201ELNS1_3gpuE5ELNS1_3repE0EEENS1_38merge_mergepath_config_static_selectorELNS0_4arch9wavefront6targetE1EEEvSL_
; %bb.0:
	.section	.rodata,"a",@progbits
	.p2align	6, 0x0
	.amdhsa_kernel _ZN7rocprim17ROCPRIM_400000_NS6detail17trampoline_kernelINS0_14default_configENS1_38merge_sort_block_merge_config_selectorI14custom_numericNS0_10empty_typeEEEZZNS1_27merge_sort_block_merge_implIS3_N6thrust23THRUST_200600_302600_NS6detail15normal_iteratorINSA_10device_ptrIS5_EEEEPS6_mNSA_7greaterIS5_EEEE10hipError_tT0_T1_T2_jT3_P12ihipStream_tbPNSt15iterator_traitsISK_E10value_typeEPNSQ_ISL_E10value_typeEPSM_NS1_7vsmem_tEENKUlT_SK_SL_SM_E_clISF_PS5_SG_SG_EESJ_SZ_SK_SL_SM_EUlSZ_E0_NS1_11comp_targetILNS1_3genE10ELNS1_11target_archE1201ELNS1_3gpuE5ELNS1_3repE0EEENS1_38merge_mergepath_config_static_selectorELNS0_4arch9wavefront6targetE1EEEvSL_
		.amdhsa_group_segment_fixed_size 0
		.amdhsa_private_segment_fixed_size 0
		.amdhsa_kernarg_size 72
		.amdhsa_user_sgpr_count 6
		.amdhsa_user_sgpr_private_segment_buffer 1
		.amdhsa_user_sgpr_dispatch_ptr 0
		.amdhsa_user_sgpr_queue_ptr 0
		.amdhsa_user_sgpr_kernarg_segment_ptr 1
		.amdhsa_user_sgpr_dispatch_id 0
		.amdhsa_user_sgpr_flat_scratch_init 0
		.amdhsa_user_sgpr_kernarg_preload_length 0
		.amdhsa_user_sgpr_kernarg_preload_offset 0
		.amdhsa_user_sgpr_private_segment_size 0
		.amdhsa_uses_dynamic_stack 0
		.amdhsa_system_sgpr_private_segment_wavefront_offset 0
		.amdhsa_system_sgpr_workgroup_id_x 1
		.amdhsa_system_sgpr_workgroup_id_y 0
		.amdhsa_system_sgpr_workgroup_id_z 0
		.amdhsa_system_sgpr_workgroup_info 0
		.amdhsa_system_vgpr_workitem_id 0
		.amdhsa_next_free_vgpr 1
		.amdhsa_next_free_sgpr 0
		.amdhsa_accum_offset 4
		.amdhsa_reserve_vcc 0
		.amdhsa_reserve_flat_scratch 0
		.amdhsa_float_round_mode_32 0
		.amdhsa_float_round_mode_16_64 0
		.amdhsa_float_denorm_mode_32 3
		.amdhsa_float_denorm_mode_16_64 3
		.amdhsa_dx10_clamp 1
		.amdhsa_ieee_mode 1
		.amdhsa_fp16_overflow 0
		.amdhsa_tg_split 0
		.amdhsa_exception_fp_ieee_invalid_op 0
		.amdhsa_exception_fp_denorm_src 0
		.amdhsa_exception_fp_ieee_div_zero 0
		.amdhsa_exception_fp_ieee_overflow 0
		.amdhsa_exception_fp_ieee_underflow 0
		.amdhsa_exception_fp_ieee_inexact 0
		.amdhsa_exception_int_div_zero 0
	.end_amdhsa_kernel
	.section	.text._ZN7rocprim17ROCPRIM_400000_NS6detail17trampoline_kernelINS0_14default_configENS1_38merge_sort_block_merge_config_selectorI14custom_numericNS0_10empty_typeEEEZZNS1_27merge_sort_block_merge_implIS3_N6thrust23THRUST_200600_302600_NS6detail15normal_iteratorINSA_10device_ptrIS5_EEEEPS6_mNSA_7greaterIS5_EEEE10hipError_tT0_T1_T2_jT3_P12ihipStream_tbPNSt15iterator_traitsISK_E10value_typeEPNSQ_ISL_E10value_typeEPSM_NS1_7vsmem_tEENKUlT_SK_SL_SM_E_clISF_PS5_SG_SG_EESJ_SZ_SK_SL_SM_EUlSZ_E0_NS1_11comp_targetILNS1_3genE10ELNS1_11target_archE1201ELNS1_3gpuE5ELNS1_3repE0EEENS1_38merge_mergepath_config_static_selectorELNS0_4arch9wavefront6targetE1EEEvSL_,"axG",@progbits,_ZN7rocprim17ROCPRIM_400000_NS6detail17trampoline_kernelINS0_14default_configENS1_38merge_sort_block_merge_config_selectorI14custom_numericNS0_10empty_typeEEEZZNS1_27merge_sort_block_merge_implIS3_N6thrust23THRUST_200600_302600_NS6detail15normal_iteratorINSA_10device_ptrIS5_EEEEPS6_mNSA_7greaterIS5_EEEE10hipError_tT0_T1_T2_jT3_P12ihipStream_tbPNSt15iterator_traitsISK_E10value_typeEPNSQ_ISL_E10value_typeEPSM_NS1_7vsmem_tEENKUlT_SK_SL_SM_E_clISF_PS5_SG_SG_EESJ_SZ_SK_SL_SM_EUlSZ_E0_NS1_11comp_targetILNS1_3genE10ELNS1_11target_archE1201ELNS1_3gpuE5ELNS1_3repE0EEENS1_38merge_mergepath_config_static_selectorELNS0_4arch9wavefront6targetE1EEEvSL_,comdat
.Lfunc_end2675:
	.size	_ZN7rocprim17ROCPRIM_400000_NS6detail17trampoline_kernelINS0_14default_configENS1_38merge_sort_block_merge_config_selectorI14custom_numericNS0_10empty_typeEEEZZNS1_27merge_sort_block_merge_implIS3_N6thrust23THRUST_200600_302600_NS6detail15normal_iteratorINSA_10device_ptrIS5_EEEEPS6_mNSA_7greaterIS5_EEEE10hipError_tT0_T1_T2_jT3_P12ihipStream_tbPNSt15iterator_traitsISK_E10value_typeEPNSQ_ISL_E10value_typeEPSM_NS1_7vsmem_tEENKUlT_SK_SL_SM_E_clISF_PS5_SG_SG_EESJ_SZ_SK_SL_SM_EUlSZ_E0_NS1_11comp_targetILNS1_3genE10ELNS1_11target_archE1201ELNS1_3gpuE5ELNS1_3repE0EEENS1_38merge_mergepath_config_static_selectorELNS0_4arch9wavefront6targetE1EEEvSL_, .Lfunc_end2675-_ZN7rocprim17ROCPRIM_400000_NS6detail17trampoline_kernelINS0_14default_configENS1_38merge_sort_block_merge_config_selectorI14custom_numericNS0_10empty_typeEEEZZNS1_27merge_sort_block_merge_implIS3_N6thrust23THRUST_200600_302600_NS6detail15normal_iteratorINSA_10device_ptrIS5_EEEEPS6_mNSA_7greaterIS5_EEEE10hipError_tT0_T1_T2_jT3_P12ihipStream_tbPNSt15iterator_traitsISK_E10value_typeEPNSQ_ISL_E10value_typeEPSM_NS1_7vsmem_tEENKUlT_SK_SL_SM_E_clISF_PS5_SG_SG_EESJ_SZ_SK_SL_SM_EUlSZ_E0_NS1_11comp_targetILNS1_3genE10ELNS1_11target_archE1201ELNS1_3gpuE5ELNS1_3repE0EEENS1_38merge_mergepath_config_static_selectorELNS0_4arch9wavefront6targetE1EEEvSL_
                                        ; -- End function
	.section	.AMDGPU.csdata,"",@progbits
; Kernel info:
; codeLenInByte = 0
; NumSgprs: 4
; NumVgprs: 0
; NumAgprs: 0
; TotalNumVgprs: 0
; ScratchSize: 0
; MemoryBound: 0
; FloatMode: 240
; IeeeMode: 1
; LDSByteSize: 0 bytes/workgroup (compile time only)
; SGPRBlocks: 0
; VGPRBlocks: 0
; NumSGPRsForWavesPerEU: 4
; NumVGPRsForWavesPerEU: 1
; AccumOffset: 4
; Occupancy: 8
; WaveLimiterHint : 0
; COMPUTE_PGM_RSRC2:SCRATCH_EN: 0
; COMPUTE_PGM_RSRC2:USER_SGPR: 6
; COMPUTE_PGM_RSRC2:TRAP_HANDLER: 0
; COMPUTE_PGM_RSRC2:TGID_X_EN: 1
; COMPUTE_PGM_RSRC2:TGID_Y_EN: 0
; COMPUTE_PGM_RSRC2:TGID_Z_EN: 0
; COMPUTE_PGM_RSRC2:TIDIG_COMP_CNT: 0
; COMPUTE_PGM_RSRC3_GFX90A:ACCUM_OFFSET: 0
; COMPUTE_PGM_RSRC3_GFX90A:TG_SPLIT: 0
	.section	.text._ZN7rocprim17ROCPRIM_400000_NS6detail17trampoline_kernelINS0_14default_configENS1_38merge_sort_block_merge_config_selectorI14custom_numericNS0_10empty_typeEEEZZNS1_27merge_sort_block_merge_implIS3_N6thrust23THRUST_200600_302600_NS6detail15normal_iteratorINSA_10device_ptrIS5_EEEEPS6_mNSA_7greaterIS5_EEEE10hipError_tT0_T1_T2_jT3_P12ihipStream_tbPNSt15iterator_traitsISK_E10value_typeEPNSQ_ISL_E10value_typeEPSM_NS1_7vsmem_tEENKUlT_SK_SL_SM_E_clISF_PS5_SG_SG_EESJ_SZ_SK_SL_SM_EUlSZ_E0_NS1_11comp_targetILNS1_3genE5ELNS1_11target_archE942ELNS1_3gpuE9ELNS1_3repE0EEENS1_38merge_mergepath_config_static_selectorELNS0_4arch9wavefront6targetE1EEEvSL_,"axG",@progbits,_ZN7rocprim17ROCPRIM_400000_NS6detail17trampoline_kernelINS0_14default_configENS1_38merge_sort_block_merge_config_selectorI14custom_numericNS0_10empty_typeEEEZZNS1_27merge_sort_block_merge_implIS3_N6thrust23THRUST_200600_302600_NS6detail15normal_iteratorINSA_10device_ptrIS5_EEEEPS6_mNSA_7greaterIS5_EEEE10hipError_tT0_T1_T2_jT3_P12ihipStream_tbPNSt15iterator_traitsISK_E10value_typeEPNSQ_ISL_E10value_typeEPSM_NS1_7vsmem_tEENKUlT_SK_SL_SM_E_clISF_PS5_SG_SG_EESJ_SZ_SK_SL_SM_EUlSZ_E0_NS1_11comp_targetILNS1_3genE5ELNS1_11target_archE942ELNS1_3gpuE9ELNS1_3repE0EEENS1_38merge_mergepath_config_static_selectorELNS0_4arch9wavefront6targetE1EEEvSL_,comdat
	.protected	_ZN7rocprim17ROCPRIM_400000_NS6detail17trampoline_kernelINS0_14default_configENS1_38merge_sort_block_merge_config_selectorI14custom_numericNS0_10empty_typeEEEZZNS1_27merge_sort_block_merge_implIS3_N6thrust23THRUST_200600_302600_NS6detail15normal_iteratorINSA_10device_ptrIS5_EEEEPS6_mNSA_7greaterIS5_EEEE10hipError_tT0_T1_T2_jT3_P12ihipStream_tbPNSt15iterator_traitsISK_E10value_typeEPNSQ_ISL_E10value_typeEPSM_NS1_7vsmem_tEENKUlT_SK_SL_SM_E_clISF_PS5_SG_SG_EESJ_SZ_SK_SL_SM_EUlSZ_E0_NS1_11comp_targetILNS1_3genE5ELNS1_11target_archE942ELNS1_3gpuE9ELNS1_3repE0EEENS1_38merge_mergepath_config_static_selectorELNS0_4arch9wavefront6targetE1EEEvSL_ ; -- Begin function _ZN7rocprim17ROCPRIM_400000_NS6detail17trampoline_kernelINS0_14default_configENS1_38merge_sort_block_merge_config_selectorI14custom_numericNS0_10empty_typeEEEZZNS1_27merge_sort_block_merge_implIS3_N6thrust23THRUST_200600_302600_NS6detail15normal_iteratorINSA_10device_ptrIS5_EEEEPS6_mNSA_7greaterIS5_EEEE10hipError_tT0_T1_T2_jT3_P12ihipStream_tbPNSt15iterator_traitsISK_E10value_typeEPNSQ_ISL_E10value_typeEPSM_NS1_7vsmem_tEENKUlT_SK_SL_SM_E_clISF_PS5_SG_SG_EESJ_SZ_SK_SL_SM_EUlSZ_E0_NS1_11comp_targetILNS1_3genE5ELNS1_11target_archE942ELNS1_3gpuE9ELNS1_3repE0EEENS1_38merge_mergepath_config_static_selectorELNS0_4arch9wavefront6targetE1EEEvSL_
	.globl	_ZN7rocprim17ROCPRIM_400000_NS6detail17trampoline_kernelINS0_14default_configENS1_38merge_sort_block_merge_config_selectorI14custom_numericNS0_10empty_typeEEEZZNS1_27merge_sort_block_merge_implIS3_N6thrust23THRUST_200600_302600_NS6detail15normal_iteratorINSA_10device_ptrIS5_EEEEPS6_mNSA_7greaterIS5_EEEE10hipError_tT0_T1_T2_jT3_P12ihipStream_tbPNSt15iterator_traitsISK_E10value_typeEPNSQ_ISL_E10value_typeEPSM_NS1_7vsmem_tEENKUlT_SK_SL_SM_E_clISF_PS5_SG_SG_EESJ_SZ_SK_SL_SM_EUlSZ_E0_NS1_11comp_targetILNS1_3genE5ELNS1_11target_archE942ELNS1_3gpuE9ELNS1_3repE0EEENS1_38merge_mergepath_config_static_selectorELNS0_4arch9wavefront6targetE1EEEvSL_
	.p2align	8
	.type	_ZN7rocprim17ROCPRIM_400000_NS6detail17trampoline_kernelINS0_14default_configENS1_38merge_sort_block_merge_config_selectorI14custom_numericNS0_10empty_typeEEEZZNS1_27merge_sort_block_merge_implIS3_N6thrust23THRUST_200600_302600_NS6detail15normal_iteratorINSA_10device_ptrIS5_EEEEPS6_mNSA_7greaterIS5_EEEE10hipError_tT0_T1_T2_jT3_P12ihipStream_tbPNSt15iterator_traitsISK_E10value_typeEPNSQ_ISL_E10value_typeEPSM_NS1_7vsmem_tEENKUlT_SK_SL_SM_E_clISF_PS5_SG_SG_EESJ_SZ_SK_SL_SM_EUlSZ_E0_NS1_11comp_targetILNS1_3genE5ELNS1_11target_archE942ELNS1_3gpuE9ELNS1_3repE0EEENS1_38merge_mergepath_config_static_selectorELNS0_4arch9wavefront6targetE1EEEvSL_,@function
_ZN7rocprim17ROCPRIM_400000_NS6detail17trampoline_kernelINS0_14default_configENS1_38merge_sort_block_merge_config_selectorI14custom_numericNS0_10empty_typeEEEZZNS1_27merge_sort_block_merge_implIS3_N6thrust23THRUST_200600_302600_NS6detail15normal_iteratorINSA_10device_ptrIS5_EEEEPS6_mNSA_7greaterIS5_EEEE10hipError_tT0_T1_T2_jT3_P12ihipStream_tbPNSt15iterator_traitsISK_E10value_typeEPNSQ_ISL_E10value_typeEPSM_NS1_7vsmem_tEENKUlT_SK_SL_SM_E_clISF_PS5_SG_SG_EESJ_SZ_SK_SL_SM_EUlSZ_E0_NS1_11comp_targetILNS1_3genE5ELNS1_11target_archE942ELNS1_3gpuE9ELNS1_3repE0EEENS1_38merge_mergepath_config_static_selectorELNS0_4arch9wavefront6targetE1EEEvSL_: ; @_ZN7rocprim17ROCPRIM_400000_NS6detail17trampoline_kernelINS0_14default_configENS1_38merge_sort_block_merge_config_selectorI14custom_numericNS0_10empty_typeEEEZZNS1_27merge_sort_block_merge_implIS3_N6thrust23THRUST_200600_302600_NS6detail15normal_iteratorINSA_10device_ptrIS5_EEEEPS6_mNSA_7greaterIS5_EEEE10hipError_tT0_T1_T2_jT3_P12ihipStream_tbPNSt15iterator_traitsISK_E10value_typeEPNSQ_ISL_E10value_typeEPSM_NS1_7vsmem_tEENKUlT_SK_SL_SM_E_clISF_PS5_SG_SG_EESJ_SZ_SK_SL_SM_EUlSZ_E0_NS1_11comp_targetILNS1_3genE5ELNS1_11target_archE942ELNS1_3gpuE9ELNS1_3repE0EEENS1_38merge_mergepath_config_static_selectorELNS0_4arch9wavefront6targetE1EEEvSL_
; %bb.0:
	.section	.rodata,"a",@progbits
	.p2align	6, 0x0
	.amdhsa_kernel _ZN7rocprim17ROCPRIM_400000_NS6detail17trampoline_kernelINS0_14default_configENS1_38merge_sort_block_merge_config_selectorI14custom_numericNS0_10empty_typeEEEZZNS1_27merge_sort_block_merge_implIS3_N6thrust23THRUST_200600_302600_NS6detail15normal_iteratorINSA_10device_ptrIS5_EEEEPS6_mNSA_7greaterIS5_EEEE10hipError_tT0_T1_T2_jT3_P12ihipStream_tbPNSt15iterator_traitsISK_E10value_typeEPNSQ_ISL_E10value_typeEPSM_NS1_7vsmem_tEENKUlT_SK_SL_SM_E_clISF_PS5_SG_SG_EESJ_SZ_SK_SL_SM_EUlSZ_E0_NS1_11comp_targetILNS1_3genE5ELNS1_11target_archE942ELNS1_3gpuE9ELNS1_3repE0EEENS1_38merge_mergepath_config_static_selectorELNS0_4arch9wavefront6targetE1EEEvSL_
		.amdhsa_group_segment_fixed_size 0
		.amdhsa_private_segment_fixed_size 0
		.amdhsa_kernarg_size 72
		.amdhsa_user_sgpr_count 6
		.amdhsa_user_sgpr_private_segment_buffer 1
		.amdhsa_user_sgpr_dispatch_ptr 0
		.amdhsa_user_sgpr_queue_ptr 0
		.amdhsa_user_sgpr_kernarg_segment_ptr 1
		.amdhsa_user_sgpr_dispatch_id 0
		.amdhsa_user_sgpr_flat_scratch_init 0
		.amdhsa_user_sgpr_kernarg_preload_length 0
		.amdhsa_user_sgpr_kernarg_preload_offset 0
		.amdhsa_user_sgpr_private_segment_size 0
		.amdhsa_uses_dynamic_stack 0
		.amdhsa_system_sgpr_private_segment_wavefront_offset 0
		.amdhsa_system_sgpr_workgroup_id_x 1
		.amdhsa_system_sgpr_workgroup_id_y 0
		.amdhsa_system_sgpr_workgroup_id_z 0
		.amdhsa_system_sgpr_workgroup_info 0
		.amdhsa_system_vgpr_workitem_id 0
		.amdhsa_next_free_vgpr 1
		.amdhsa_next_free_sgpr 0
		.amdhsa_accum_offset 4
		.amdhsa_reserve_vcc 0
		.amdhsa_reserve_flat_scratch 0
		.amdhsa_float_round_mode_32 0
		.amdhsa_float_round_mode_16_64 0
		.amdhsa_float_denorm_mode_32 3
		.amdhsa_float_denorm_mode_16_64 3
		.amdhsa_dx10_clamp 1
		.amdhsa_ieee_mode 1
		.amdhsa_fp16_overflow 0
		.amdhsa_tg_split 0
		.amdhsa_exception_fp_ieee_invalid_op 0
		.amdhsa_exception_fp_denorm_src 0
		.amdhsa_exception_fp_ieee_div_zero 0
		.amdhsa_exception_fp_ieee_overflow 0
		.amdhsa_exception_fp_ieee_underflow 0
		.amdhsa_exception_fp_ieee_inexact 0
		.amdhsa_exception_int_div_zero 0
	.end_amdhsa_kernel
	.section	.text._ZN7rocprim17ROCPRIM_400000_NS6detail17trampoline_kernelINS0_14default_configENS1_38merge_sort_block_merge_config_selectorI14custom_numericNS0_10empty_typeEEEZZNS1_27merge_sort_block_merge_implIS3_N6thrust23THRUST_200600_302600_NS6detail15normal_iteratorINSA_10device_ptrIS5_EEEEPS6_mNSA_7greaterIS5_EEEE10hipError_tT0_T1_T2_jT3_P12ihipStream_tbPNSt15iterator_traitsISK_E10value_typeEPNSQ_ISL_E10value_typeEPSM_NS1_7vsmem_tEENKUlT_SK_SL_SM_E_clISF_PS5_SG_SG_EESJ_SZ_SK_SL_SM_EUlSZ_E0_NS1_11comp_targetILNS1_3genE5ELNS1_11target_archE942ELNS1_3gpuE9ELNS1_3repE0EEENS1_38merge_mergepath_config_static_selectorELNS0_4arch9wavefront6targetE1EEEvSL_,"axG",@progbits,_ZN7rocprim17ROCPRIM_400000_NS6detail17trampoline_kernelINS0_14default_configENS1_38merge_sort_block_merge_config_selectorI14custom_numericNS0_10empty_typeEEEZZNS1_27merge_sort_block_merge_implIS3_N6thrust23THRUST_200600_302600_NS6detail15normal_iteratorINSA_10device_ptrIS5_EEEEPS6_mNSA_7greaterIS5_EEEE10hipError_tT0_T1_T2_jT3_P12ihipStream_tbPNSt15iterator_traitsISK_E10value_typeEPNSQ_ISL_E10value_typeEPSM_NS1_7vsmem_tEENKUlT_SK_SL_SM_E_clISF_PS5_SG_SG_EESJ_SZ_SK_SL_SM_EUlSZ_E0_NS1_11comp_targetILNS1_3genE5ELNS1_11target_archE942ELNS1_3gpuE9ELNS1_3repE0EEENS1_38merge_mergepath_config_static_selectorELNS0_4arch9wavefront6targetE1EEEvSL_,comdat
.Lfunc_end2676:
	.size	_ZN7rocprim17ROCPRIM_400000_NS6detail17trampoline_kernelINS0_14default_configENS1_38merge_sort_block_merge_config_selectorI14custom_numericNS0_10empty_typeEEEZZNS1_27merge_sort_block_merge_implIS3_N6thrust23THRUST_200600_302600_NS6detail15normal_iteratorINSA_10device_ptrIS5_EEEEPS6_mNSA_7greaterIS5_EEEE10hipError_tT0_T1_T2_jT3_P12ihipStream_tbPNSt15iterator_traitsISK_E10value_typeEPNSQ_ISL_E10value_typeEPSM_NS1_7vsmem_tEENKUlT_SK_SL_SM_E_clISF_PS5_SG_SG_EESJ_SZ_SK_SL_SM_EUlSZ_E0_NS1_11comp_targetILNS1_3genE5ELNS1_11target_archE942ELNS1_3gpuE9ELNS1_3repE0EEENS1_38merge_mergepath_config_static_selectorELNS0_4arch9wavefront6targetE1EEEvSL_, .Lfunc_end2676-_ZN7rocprim17ROCPRIM_400000_NS6detail17trampoline_kernelINS0_14default_configENS1_38merge_sort_block_merge_config_selectorI14custom_numericNS0_10empty_typeEEEZZNS1_27merge_sort_block_merge_implIS3_N6thrust23THRUST_200600_302600_NS6detail15normal_iteratorINSA_10device_ptrIS5_EEEEPS6_mNSA_7greaterIS5_EEEE10hipError_tT0_T1_T2_jT3_P12ihipStream_tbPNSt15iterator_traitsISK_E10value_typeEPNSQ_ISL_E10value_typeEPSM_NS1_7vsmem_tEENKUlT_SK_SL_SM_E_clISF_PS5_SG_SG_EESJ_SZ_SK_SL_SM_EUlSZ_E0_NS1_11comp_targetILNS1_3genE5ELNS1_11target_archE942ELNS1_3gpuE9ELNS1_3repE0EEENS1_38merge_mergepath_config_static_selectorELNS0_4arch9wavefront6targetE1EEEvSL_
                                        ; -- End function
	.section	.AMDGPU.csdata,"",@progbits
; Kernel info:
; codeLenInByte = 0
; NumSgprs: 4
; NumVgprs: 0
; NumAgprs: 0
; TotalNumVgprs: 0
; ScratchSize: 0
; MemoryBound: 0
; FloatMode: 240
; IeeeMode: 1
; LDSByteSize: 0 bytes/workgroup (compile time only)
; SGPRBlocks: 0
; VGPRBlocks: 0
; NumSGPRsForWavesPerEU: 4
; NumVGPRsForWavesPerEU: 1
; AccumOffset: 4
; Occupancy: 8
; WaveLimiterHint : 0
; COMPUTE_PGM_RSRC2:SCRATCH_EN: 0
; COMPUTE_PGM_RSRC2:USER_SGPR: 6
; COMPUTE_PGM_RSRC2:TRAP_HANDLER: 0
; COMPUTE_PGM_RSRC2:TGID_X_EN: 1
; COMPUTE_PGM_RSRC2:TGID_Y_EN: 0
; COMPUTE_PGM_RSRC2:TGID_Z_EN: 0
; COMPUTE_PGM_RSRC2:TIDIG_COMP_CNT: 0
; COMPUTE_PGM_RSRC3_GFX90A:ACCUM_OFFSET: 0
; COMPUTE_PGM_RSRC3_GFX90A:TG_SPLIT: 0
	.section	.text._ZN7rocprim17ROCPRIM_400000_NS6detail17trampoline_kernelINS0_14default_configENS1_38merge_sort_block_merge_config_selectorI14custom_numericNS0_10empty_typeEEEZZNS1_27merge_sort_block_merge_implIS3_N6thrust23THRUST_200600_302600_NS6detail15normal_iteratorINSA_10device_ptrIS5_EEEEPS6_mNSA_7greaterIS5_EEEE10hipError_tT0_T1_T2_jT3_P12ihipStream_tbPNSt15iterator_traitsISK_E10value_typeEPNSQ_ISL_E10value_typeEPSM_NS1_7vsmem_tEENKUlT_SK_SL_SM_E_clISF_PS5_SG_SG_EESJ_SZ_SK_SL_SM_EUlSZ_E0_NS1_11comp_targetILNS1_3genE4ELNS1_11target_archE910ELNS1_3gpuE8ELNS1_3repE0EEENS1_38merge_mergepath_config_static_selectorELNS0_4arch9wavefront6targetE1EEEvSL_,"axG",@progbits,_ZN7rocprim17ROCPRIM_400000_NS6detail17trampoline_kernelINS0_14default_configENS1_38merge_sort_block_merge_config_selectorI14custom_numericNS0_10empty_typeEEEZZNS1_27merge_sort_block_merge_implIS3_N6thrust23THRUST_200600_302600_NS6detail15normal_iteratorINSA_10device_ptrIS5_EEEEPS6_mNSA_7greaterIS5_EEEE10hipError_tT0_T1_T2_jT3_P12ihipStream_tbPNSt15iterator_traitsISK_E10value_typeEPNSQ_ISL_E10value_typeEPSM_NS1_7vsmem_tEENKUlT_SK_SL_SM_E_clISF_PS5_SG_SG_EESJ_SZ_SK_SL_SM_EUlSZ_E0_NS1_11comp_targetILNS1_3genE4ELNS1_11target_archE910ELNS1_3gpuE8ELNS1_3repE0EEENS1_38merge_mergepath_config_static_selectorELNS0_4arch9wavefront6targetE1EEEvSL_,comdat
	.protected	_ZN7rocprim17ROCPRIM_400000_NS6detail17trampoline_kernelINS0_14default_configENS1_38merge_sort_block_merge_config_selectorI14custom_numericNS0_10empty_typeEEEZZNS1_27merge_sort_block_merge_implIS3_N6thrust23THRUST_200600_302600_NS6detail15normal_iteratorINSA_10device_ptrIS5_EEEEPS6_mNSA_7greaterIS5_EEEE10hipError_tT0_T1_T2_jT3_P12ihipStream_tbPNSt15iterator_traitsISK_E10value_typeEPNSQ_ISL_E10value_typeEPSM_NS1_7vsmem_tEENKUlT_SK_SL_SM_E_clISF_PS5_SG_SG_EESJ_SZ_SK_SL_SM_EUlSZ_E0_NS1_11comp_targetILNS1_3genE4ELNS1_11target_archE910ELNS1_3gpuE8ELNS1_3repE0EEENS1_38merge_mergepath_config_static_selectorELNS0_4arch9wavefront6targetE1EEEvSL_ ; -- Begin function _ZN7rocprim17ROCPRIM_400000_NS6detail17trampoline_kernelINS0_14default_configENS1_38merge_sort_block_merge_config_selectorI14custom_numericNS0_10empty_typeEEEZZNS1_27merge_sort_block_merge_implIS3_N6thrust23THRUST_200600_302600_NS6detail15normal_iteratorINSA_10device_ptrIS5_EEEEPS6_mNSA_7greaterIS5_EEEE10hipError_tT0_T1_T2_jT3_P12ihipStream_tbPNSt15iterator_traitsISK_E10value_typeEPNSQ_ISL_E10value_typeEPSM_NS1_7vsmem_tEENKUlT_SK_SL_SM_E_clISF_PS5_SG_SG_EESJ_SZ_SK_SL_SM_EUlSZ_E0_NS1_11comp_targetILNS1_3genE4ELNS1_11target_archE910ELNS1_3gpuE8ELNS1_3repE0EEENS1_38merge_mergepath_config_static_selectorELNS0_4arch9wavefront6targetE1EEEvSL_
	.globl	_ZN7rocprim17ROCPRIM_400000_NS6detail17trampoline_kernelINS0_14default_configENS1_38merge_sort_block_merge_config_selectorI14custom_numericNS0_10empty_typeEEEZZNS1_27merge_sort_block_merge_implIS3_N6thrust23THRUST_200600_302600_NS6detail15normal_iteratorINSA_10device_ptrIS5_EEEEPS6_mNSA_7greaterIS5_EEEE10hipError_tT0_T1_T2_jT3_P12ihipStream_tbPNSt15iterator_traitsISK_E10value_typeEPNSQ_ISL_E10value_typeEPSM_NS1_7vsmem_tEENKUlT_SK_SL_SM_E_clISF_PS5_SG_SG_EESJ_SZ_SK_SL_SM_EUlSZ_E0_NS1_11comp_targetILNS1_3genE4ELNS1_11target_archE910ELNS1_3gpuE8ELNS1_3repE0EEENS1_38merge_mergepath_config_static_selectorELNS0_4arch9wavefront6targetE1EEEvSL_
	.p2align	8
	.type	_ZN7rocprim17ROCPRIM_400000_NS6detail17trampoline_kernelINS0_14default_configENS1_38merge_sort_block_merge_config_selectorI14custom_numericNS0_10empty_typeEEEZZNS1_27merge_sort_block_merge_implIS3_N6thrust23THRUST_200600_302600_NS6detail15normal_iteratorINSA_10device_ptrIS5_EEEEPS6_mNSA_7greaterIS5_EEEE10hipError_tT0_T1_T2_jT3_P12ihipStream_tbPNSt15iterator_traitsISK_E10value_typeEPNSQ_ISL_E10value_typeEPSM_NS1_7vsmem_tEENKUlT_SK_SL_SM_E_clISF_PS5_SG_SG_EESJ_SZ_SK_SL_SM_EUlSZ_E0_NS1_11comp_targetILNS1_3genE4ELNS1_11target_archE910ELNS1_3gpuE8ELNS1_3repE0EEENS1_38merge_mergepath_config_static_selectorELNS0_4arch9wavefront6targetE1EEEvSL_,@function
_ZN7rocprim17ROCPRIM_400000_NS6detail17trampoline_kernelINS0_14default_configENS1_38merge_sort_block_merge_config_selectorI14custom_numericNS0_10empty_typeEEEZZNS1_27merge_sort_block_merge_implIS3_N6thrust23THRUST_200600_302600_NS6detail15normal_iteratorINSA_10device_ptrIS5_EEEEPS6_mNSA_7greaterIS5_EEEE10hipError_tT0_T1_T2_jT3_P12ihipStream_tbPNSt15iterator_traitsISK_E10value_typeEPNSQ_ISL_E10value_typeEPSM_NS1_7vsmem_tEENKUlT_SK_SL_SM_E_clISF_PS5_SG_SG_EESJ_SZ_SK_SL_SM_EUlSZ_E0_NS1_11comp_targetILNS1_3genE4ELNS1_11target_archE910ELNS1_3gpuE8ELNS1_3repE0EEENS1_38merge_mergepath_config_static_selectorELNS0_4arch9wavefront6targetE1EEEvSL_: ; @_ZN7rocprim17ROCPRIM_400000_NS6detail17trampoline_kernelINS0_14default_configENS1_38merge_sort_block_merge_config_selectorI14custom_numericNS0_10empty_typeEEEZZNS1_27merge_sort_block_merge_implIS3_N6thrust23THRUST_200600_302600_NS6detail15normal_iteratorINSA_10device_ptrIS5_EEEEPS6_mNSA_7greaterIS5_EEEE10hipError_tT0_T1_T2_jT3_P12ihipStream_tbPNSt15iterator_traitsISK_E10value_typeEPNSQ_ISL_E10value_typeEPSM_NS1_7vsmem_tEENKUlT_SK_SL_SM_E_clISF_PS5_SG_SG_EESJ_SZ_SK_SL_SM_EUlSZ_E0_NS1_11comp_targetILNS1_3genE4ELNS1_11target_archE910ELNS1_3gpuE8ELNS1_3repE0EEENS1_38merge_mergepath_config_static_selectorELNS0_4arch9wavefront6targetE1EEEvSL_
; %bb.0:
	s_load_dwordx2 s[22:23], s[4:5], 0x48
	s_load_dword s0, s[4:5], 0x38
	s_add_u32 s20, s4, 0x48
	s_addc_u32 s21, s5, 0
	s_waitcnt lgkmcnt(0)
	s_mul_i32 s1, s23, s8
	s_add_i32 s1, s1, s7
	s_mul_i32 s1, s1, s22
	s_add_i32 s18, s1, s6
	s_cmp_ge_u32 s18, s0
	s_cbranch_scc1 .LBB2677_35
; %bb.1:
	s_load_dwordx2 s[0:1], s[4:5], 0x40
	s_load_dwordx4 s[12:15], s[4:5], 0x8
	s_load_dwordx4 s[8:11], s[4:5], 0x28
	s_mov_b32 s19, 0
	s_lshl_b64 s[2:3], s[18:19], 3
	s_waitcnt lgkmcnt(0)
	s_add_u32 s0, s0, s2
	s_addc_u32 s1, s1, s3
	v_mov_b32_e32 v1, s10
	v_alignbit_b32 v1, s11, v1, 8
	v_readfirstlane_b32 s4, v1
	s_and_b32 s4, s4, -2
	s_sub_i32 s30, 0, s4
	s_and_b32 s24, s18, s30
	s_mov_b32 s25, s19
	s_lshl_b64 s[4:5], s[24:25], 9
	s_lshl_b64 s[16:17], s[18:19], 9
	s_sub_u32 s7, s16, s4
	s_load_dwordx4 s[0:3], s[0:1], 0x0
	s_subb_u32 s23, s17, s5
	s_lshl_b64 s[24:25], s[24:25], 10
	s_add_u32 s24, s24, s10
	s_addc_u32 s25, s25, s11
	s_add_u32 s7, s24, s7
	s_addc_u32 s23, s25, s23
	s_waitcnt lgkmcnt(0)
	s_sub_u32 s26, s7, s2
	s_subb_u32 s3, s23, s3
	s_add_u32 s26, s26, 0x200
	s_addc_u32 s27, s3, 0
	v_pk_mov_b32 v[2:3], s[26:27], s[26:27] op_sel:[0,1]
	v_cmp_lt_u64_e32 vcc, s[8:9], v[2:3]
	s_and_b64 s[28:29], vcc, exec
	s_cselect_b32 s3, s8, s26
	s_or_b32 s26, s18, s30
	s_cmp_lg_u32 s26, -1
	s_cbranch_scc1 .LBB2677_3
; %bb.2:
	s_sub_u32 s4, s24, s4
	s_subb_u32 s5, s25, s5
	v_pk_mov_b32 v[2:3], s[4:5], s[4:5] op_sel:[0,1]
	v_cmp_lt_u64_e32 vcc, s[8:9], v[2:3]
	s_and_b64 s[2:3], vcc, exec
	s_cselect_b32 s2, s8, s4
	s_add_u32 s4, s4, s10
	s_addc_u32 s5, s5, s11
	v_pk_mov_b32 v[2:3], s[4:5], s[4:5] op_sel:[0,1]
	v_cmp_lt_u64_e32 vcc, s[8:9], v[2:3]
	s_and_b64 s[10:11], vcc, exec
	s_cselect_b32 s3, s8, s4
.LBB2677_3:
	s_lshr_b64 s[4:5], s[8:9], 9
	s_cmp_lg_u64 s[4:5], s[18:19]
	s_cselect_b64 s[10:11], -1, 0
	s_sub_u32 s24, s7, s0
	s_subb_u32 s25, s23, s1
	v_pk_mov_b32 v[2:3], s[24:25], s[24:25] op_sel:[0,1]
	v_cmp_lt_u64_e32 vcc, s[8:9], v[2:3]
	s_and_b64 s[26:27], vcc, exec
	s_cselect_b32 s7, s9, s25
	s_cselect_b32 s24, s8, s24
	s_sub_i32 s9, s2, s0
	s_mul_i32 s1, s1, 20
	s_mul_hi_u32 s2, s0, 20
	s_sub_i32 s23, s3, s24
	s_add_i32 s2, s2, s1
	s_mul_i32 s0, s0, 20
	s_add_u32 s0, s12, s0
	s_addc_u32 s1, s13, s2
	s_mul_i32 s7, s7, 20
	s_mul_hi_u32 s2, s24, 20
	s_add_i32 s3, s2, s7
	s_mul_i32 s24, s24, 20
	s_add_u32 s2, s12, s24
	s_addc_u32 s3, s13, s3
	s_cmp_lt_u32 s6, s22
	v_mov_b32_e32 v1, 0
	s_cselect_b32 s6, 12, 18
	global_load_dword v2, v1, s[20:21] offset:14
	s_add_u32 s6, s20, s6
	s_addc_u32 s7, s21, 0
	global_load_ushort v1, v1, s[6:7]
	s_cmp_eq_u64 s[4:5], s[18:19]
	s_waitcnt vmcnt(1)
	v_lshrrev_b32_e32 v3, 16, v2
	v_and_b32_e32 v2, 0xffff, v2
	v_mul_lo_u32 v2, v2, v3
	s_waitcnt vmcnt(0)
	v_mul_lo_u32 v1, v2, v1
	v_add_u32_e32 v5, v1, v0
	v_add_u32_e32 v3, v5, v1
	s_cbranch_scc1 .LBB2677_6
; %bb.4:
	v_subrev_u32_e32 v2, s9, v0
	v_mad_u64_u32 v[6:7], s[4:5], v2, 20, s[2:3]
	v_mad_u64_u32 v[8:9], s[4:5], v0, 20, s[0:1]
	v_cmp_gt_u32_e32 vcc, s9, v0
	v_cndmask_b32_e32 v7, v7, v9, vcc
	v_cndmask_b32_e32 v6, v6, v8, vcc
	v_subrev_u32_e32 v4, s9, v5
	global_load_dword v2, v[6:7], off
	v_mad_u64_u32 v[6:7], s[4:5], v4, 20, s[2:3]
	v_mad_u64_u32 v[8:9], s[4:5], v5, 20, s[0:1]
	v_cmp_gt_u32_e32 vcc, s9, v5
	v_cndmask_b32_e32 v7, v7, v9, vcc
	v_cndmask_b32_e32 v6, v6, v8, vcc
	global_load_dword v4, v[6:7], off
	v_subrev_u32_e32 v6, s9, v3
	v_mad_u64_u32 v[6:7], s[4:5], v6, 20, s[2:3]
	v_mad_u64_u32 v[8:9], s[4:5], v3, 20, s[0:1]
	v_cmp_gt_u32_e32 vcc, s9, v3
	v_cndmask_b32_e32 v7, v7, v9, vcc
	v_cndmask_b32_e32 v6, v6, v8, vcc
	global_load_dword v6, v[6:7], off
	v_add_u32_e32 v7, v3, v1
	s_add_i32 s12, s9, s23
	s_mov_b64 s[4:5], -1
	s_cbranch_execz .LBB2677_7
; %bb.5:
                                        ; implicit-def: $sgpr6
	v_mov_b32_e32 v5, s12
	v_mov_b32_e32 v8, s6
	s_and_saveexec_b64 s[6:7], s[4:5]
	s_cbranch_execnz .LBB2677_14
	s_branch .LBB2677_15
.LBB2677_6:
	s_mov_b64 s[4:5], 0
                                        ; implicit-def: $vgpr7
                                        ; implicit-def: $vgpr2
                                        ; implicit-def: $vgpr4
                                        ; implicit-def: $vgpr6
                                        ; implicit-def: $sgpr12
.LBB2677_7:
	s_add_i32 s12, s9, s23
	v_cmp_gt_u32_e32 vcc, s12, v0
	s_waitcnt vmcnt(1)
	v_mov_b32_e32 v4, 0
	v_mov_b32_e32 v2, 0
	s_and_saveexec_b64 s[4:5], vcc
	s_cbranch_execz .LBB2677_9
; %bb.8:
	v_subrev_u32_e32 v2, s9, v0
	s_waitcnt vmcnt(0)
	v_mad_u64_u32 v[6:7], s[6:7], v0, 20, s[0:1]
	v_mad_u64_u32 v[8:9], s[6:7], v2, 20, s[2:3]
	v_cmp_gt_u32_e32 vcc, s9, v0
	v_cndmask_b32_e32 v7, v9, v7, vcc
	v_cndmask_b32_e32 v6, v8, v6, vcc
	global_load_dword v2, v[6:7], off
.LBB2677_9:
	s_or_b64 exec, exec, s[4:5]
	v_cmp_gt_u32_e32 vcc, s12, v5
	s_and_saveexec_b64 s[4:5], vcc
	s_cbranch_execz .LBB2677_11
; %bb.10:
	v_subrev_u32_e32 v4, s9, v5
	s_waitcnt vmcnt(0)
	v_mad_u64_u32 v[6:7], s[6:7], v5, 20, s[0:1]
	v_mad_u64_u32 v[8:9], s[6:7], v4, 20, s[2:3]
	v_cmp_gt_u32_e32 vcc, s9, v5
	v_cndmask_b32_e32 v5, v9, v7, vcc
	v_cndmask_b32_e32 v4, v8, v6, vcc
	global_load_dword v4, v[4:5], off
.LBB2677_11:
	s_or_b64 exec, exec, s[4:5]
	v_cmp_gt_u32_e32 vcc, s12, v3
	s_waitcnt vmcnt(0)
	v_mov_b32_e32 v6, 0
	s_and_saveexec_b64 s[4:5], vcc
	s_cbranch_execz .LBB2677_13
; %bb.12:
	v_subrev_u32_e32 v5, s9, v3
	v_mad_u64_u32 v[6:7], s[6:7], v3, 20, s[0:1]
	v_mad_u64_u32 v[8:9], s[6:7], v5, 20, s[2:3]
	v_cmp_gt_u32_e32 vcc, s9, v3
	v_cndmask_b32_e32 v7, v9, v7, vcc
	v_cndmask_b32_e32 v6, v8, v6, vcc
	global_load_dword v6, v[6:7], off
.LBB2677_13:
	s_or_b64 exec, exec, s[4:5]
	v_add_u32_e32 v7, v3, v1
	v_cmp_gt_u32_e64 s[4:5], s12, v7
	s_mov_b32 s6, 0
	v_mov_b32_e32 v5, s12
	v_mov_b32_e32 v8, s6
	s_and_saveexec_b64 s[6:7], s[4:5]
	s_cbranch_execz .LBB2677_15
.LBB2677_14:
	v_subrev_u32_e32 v1, s9, v7
	v_mad_u64_u32 v[8:9], s[2:3], v1, 20, s[2:3]
	v_mad_u64_u32 v[10:11], s[0:1], v7, 20, s[0:1]
	v_cmp_gt_u32_e32 vcc, s9, v7
	v_cndmask_b32_e32 v9, v9, v11, vcc
	v_cndmask_b32_e32 v8, v8, v10, vcc
	global_load_dword v8, v[8:9], off
	v_mov_b32_e32 v5, s12
.LBB2677_15:
	s_or_b64 exec, exec, s[6:7]
	v_mov_b32_e32 v7, 0x1400
	v_mul_u32_u24_e32 v1, 20, v0
	v_mad_u32_u24 v7, v0, 20, v7
	s_waitcnt vmcnt(2)
	ds_write2_b32 v1, v2, v2 offset1:1
	ds_write2_b32 v1, v2, v2 offset0:2 offset1:3
	s_waitcnt vmcnt(0)
	ds_write2_b32 v7, v6, v6 offset1:1
	v_mov_b32_e32 v7, 0x1408
	v_mov_b32_e32 v3, 0xa00
	v_mad_u32_u24 v7, v0, 20, v7
	v_mad_u32_u24 v3, v0, 20, v3
	ds_write2_b32 v7, v6, v6 offset1:1
	v_mov_b32_e32 v7, 0x1e00
	ds_write2_b32 v3, v4, v4 offset1:1
	v_mov_b32_e32 v3, 0xa08
	v_mad_u32_u24 v7, v0, 20, v7
	v_mad_u32_u24 v3, v0, 20, v3
	ds_write2_b32 v7, v8, v8 offset1:1
	v_mov_b32_e32 v7, 0x1e08
	ds_write2_b32 v3, v4, v4 offset1:1
	v_add_u32_e32 v3, 16, v1
	v_mad_u32_u24 v7, v0, 20, v7
	ds_write2st64_b32 v3, v2, v4 offset1:10
	ds_write2_b32 v7, v8, v8 offset1:1
	ds_write2st64_b32 v3, v6, v8 offset0:20 offset1:30
	v_lshlrev_b32_e32 v3, 2, v0
	v_min_u32_e32 v9, v5, v3
	v_sub_u32_e64 v7, v9, s23 clamp
	v_min_u32_e32 v11, s9, v9
	v_cmp_lt_u32_e32 vcc, v7, v11
	s_waitcnt lgkmcnt(0)
	s_barrier
	s_and_saveexec_b64 s[0:1], vcc
	s_cbranch_execz .LBB2677_19
; %bb.16:
	s_mul_i32 s2, s9, 20
	v_mad_u32_u24 v10, v9, 20, s2
	s_mov_b64 s[2:3], 0
.LBB2677_17:                            ; =>This Inner Loop Header: Depth=1
	v_add_u32_e32 v12, v11, v7
	v_lshrrev_b32_e32 v14, 1, v12
	v_not_b32_e32 v12, v14
	v_mul_lo_u32 v15, v14, 20
	v_mad_u64_u32 v[12:13], s[4:5], v12, 20, v[10:11]
	ds_read_b32 v13, v15
	ds_read_b32 v12, v12
	v_add_u32_e32 v15, 1, v14
	s_waitcnt lgkmcnt(0)
	v_cmp_gt_i32_e32 vcc, v12, v13
	v_cndmask_b32_e32 v11, v11, v14, vcc
	v_cndmask_b32_e32 v7, v15, v7, vcc
	v_cmp_ge_u32_e32 vcc, v7, v11
	s_or_b64 s[2:3], vcc, s[2:3]
	s_andn2_b64 exec, exec, s[2:3]
	s_cbranch_execnz .LBB2677_17
; %bb.18:
	s_or_b64 exec, exec, s[2:3]
.LBB2677_19:
	s_or_b64 exec, exec, s[0:1]
	v_sub_u32_e32 v9, v9, v7
	v_add_u32_e32 v9, s9, v9
	v_cmp_ge_u32_e32 vcc, s9, v7
	v_cmp_le_u32_e64 s[0:1], v9, v5
	s_or_b64 s[0:1], vcc, s[0:1]
	s_and_saveexec_b64 s[12:13], s[0:1]
	s_cbranch_execz .LBB2677_25
; %bb.20:
	v_cmp_gt_u32_e32 vcc, s9, v7
	v_mov_b32_e32 v2, 0
	v_mov_b32_e32 v4, 0
	s_and_saveexec_b64 s[0:1], vcc
	s_cbranch_execz .LBB2677_22
; %bb.21:
	v_mul_lo_u32 v4, v7, 20
	ds_read_b32 v4, v4
.LBB2677_22:
	s_or_b64 exec, exec, s[0:1]
	v_cmp_ge_u32_e64 s[0:1], v9, v5
	v_cmp_lt_u32_e64 s[2:3], v9, v5
	s_and_saveexec_b64 s[4:5], s[2:3]
	s_cbranch_execz .LBB2677_24
; %bb.23:
	v_mul_lo_u32 v2, v9, 20
	ds_read_b32 v2, v2
.LBB2677_24:
	s_or_b64 exec, exec, s[4:5]
	s_waitcnt lgkmcnt(0)
	v_cmp_le_i32_e64 s[2:3], v2, v4
	s_and_b64 s[2:3], vcc, s[2:3]
	s_or_b64 vcc, s[0:1], s[2:3]
	v_mov_b32_e32 v8, s9
	v_cndmask_b32_e32 v6, v9, v7, vcc
	v_cndmask_b32_e32 v10, v5, v8, vcc
	v_add_u32_e32 v6, 1, v6
	v_add_u32_e32 v10, -1, v10
	v_min_u32_e32 v10, v6, v10
	v_mul_lo_u32 v10, v10, 20
	ds_read_b32 v10, v10
	v_cndmask_b32_e32 v9, v6, v9, vcc
	v_cndmask_b32_e32 v6, v7, v6, vcc
	v_cmp_gt_u32_e64 s[2:3], s9, v6
	v_cmp_ge_u32_e64 s[0:1], v9, v5
	s_waitcnt lgkmcnt(0)
	v_cndmask_b32_e32 v11, v10, v2, vcc
	v_cndmask_b32_e32 v10, v4, v10, vcc
	v_cmp_le_i32_e64 s[4:5], v11, v10
	s_and_b64 s[2:3], s[2:3], s[4:5]
	s_or_b64 s[0:1], s[0:1], s[2:3]
	v_cndmask_b32_e64 v7, v9, v6, s[0:1]
	v_cndmask_b32_e64 v12, v5, v8, s[0:1]
	v_add_u32_e32 v7, 1, v7
	v_add_u32_e32 v12, -1, v12
	v_min_u32_e32 v12, v7, v12
	v_mul_lo_u32 v12, v12, 20
	ds_read_b32 v12, v12
	v_cndmask_b32_e64 v9, v7, v9, s[0:1]
	v_cndmask_b32_e64 v7, v6, v7, s[0:1]
	v_cmp_gt_u32_e64 s[4:5], s9, v7
	v_cmp_ge_u32_e64 s[2:3], v9, v5
	s_waitcnt lgkmcnt(0)
	v_cndmask_b32_e64 v13, v12, v11, s[0:1]
	v_cndmask_b32_e64 v12, v10, v12, s[0:1]
	v_cmp_le_i32_e64 s[6:7], v13, v12
	s_and_b64 s[4:5], s[4:5], s[6:7]
	s_or_b64 s[2:3], s[2:3], s[4:5]
	v_cndmask_b32_e64 v6, v9, v7, s[2:3]
	v_cndmask_b32_e64 v8, v5, v8, s[2:3]
	v_add_u32_e32 v14, 1, v6
	v_add_u32_e32 v6, -1, v8
	v_min_u32_e32 v6, v14, v6
	v_mul_lo_u32 v6, v6, 20
	ds_read_b32 v8, v6
	v_cndmask_b32_e32 v2, v2, v4, vcc
	v_cndmask_b32_e64 v4, v11, v10, s[0:1]
	v_cndmask_b32_e64 v7, v7, v14, s[2:3]
	;; [unrolled: 1-line block ×3, first 2 shown]
	s_waitcnt lgkmcnt(0)
	v_cndmask_b32_e64 v10, v8, v13, s[2:3]
	v_cndmask_b32_e64 v8, v12, v8, s[2:3]
	;; [unrolled: 1-line block ×3, first 2 shown]
	v_cmp_gt_u32_e64 s[0:1], s9, v7
	v_cmp_le_i32_e64 s[2:3], v10, v8
	v_cmp_ge_u32_e32 vcc, v9, v5
	s_and_b64 s[0:1], s[0:1], s[2:3]
	s_or_b64 vcc, vcc, s[0:1]
	v_cndmask_b32_e32 v8, v10, v8, vcc
.LBB2677_25:
	s_or_b64 exec, exec, s[12:13]
	v_lshrrev_b32_e32 v5, 3, v0
	v_mul_u32_u24_e32 v3, 20, v3
	v_mad_u32_u24 v3, v5, 20, v3
	s_barrier
	s_barrier
	ds_write2_b32 v3, v2, v2 offset1:1
	ds_write2_b32 v3, v2, v2 offset0:2 offset1:3
	ds_write2_b32 v3, v4, v4 offset0:5 offset1:6
	ds_write2_b32 v3, v4, v4 offset0:7 offset1:8
	ds_write2_b32 v3, v2, v4 offset0:4 offset1:9
	ds_write2_b32 v3, v6, v6 offset0:10 offset1:11
	ds_write2_b32 v3, v6, v6 offset0:12 offset1:13
	ds_write2_b32 v3, v8, v8 offset0:15 offset1:16
	ds_write2_b32 v3, v8, v8 offset0:17 offset1:18
	ds_write2_b32 v3, v6, v8 offset0:14 offset1:19
	v_lshrrev_b32_e32 v2, 5, v0
	v_or_b32_e32 v7, 0x80, v0
	s_mul_i32 s0, s17, 20
	s_mul_hi_u32 s1, s16, 20
	v_mad_u32_u24 v8, v2, 20, v1
	v_lshrrev_b32_e32 v2, 5, v7
	v_or_b32_e32 v5, 0x100, v0
	s_add_i32 s1, s1, s0
	s_mul_i32 s0, s16, 20
	v_mad_u32_u24 v4, v2, 20, v1
	v_lshrrev_b32_e32 v2, 5, v5
	v_or_b32_e32 v3, 0x180, v0
	s_add_u32 s0, s14, s0
	v_mad_u32_u24 v9, v2, 20, v1
	v_lshrrev_b32_e32 v2, 5, v3
	s_addc_u32 s1, s15, s1
	v_mad_u32_u24 v1, v2, 20, v1
	s_and_b64 vcc, exec, s[10:11]
	s_waitcnt lgkmcnt(0)
	s_cbranch_vccz .LBB2677_27
; %bb.26:
	s_barrier
	ds_read_b32 v10, v8
	ds_read_b32 v14, v4 offset:2560
	ds_read_b32 v18, v9 offset:5120
	;; [unrolled: 1-line block ×3, first 2 shown]
	v_mad_u64_u32 v[22:23], s[2:3], v0, 20, s[0:1]
	s_waitcnt lgkmcnt(3)
	v_mov_b32_e32 v11, v10
	v_mov_b32_e32 v12, v10
	;; [unrolled: 1-line block ×3, first 2 shown]
	global_store_dwordx4 v[22:23], v[10:13], off
	global_store_dword v[22:23], v10, off offset:16
	v_add_co_u32_e32 v10, vcc, 0x1000, v22
	s_waitcnt lgkmcnt(2)
	v_mov_b32_e32 v15, v14
	v_mov_b32_e32 v16, v14
	v_mov_b32_e32 v17, v14
	s_waitcnt lgkmcnt(1)
	v_mov_b32_e32 v19, v18
	v_mov_b32_e32 v20, v18
	;; [unrolled: 1-line block ×3, first 2 shown]
	v_addc_co_u32_e32 v11, vcc, 0, v23, vcc
	global_store_dwordx4 v[22:23], v[14:17], off offset:2560
	global_store_dword v[22:23], v14, off offset:2576
	global_store_dwordx4 v[10:11], v[18:21], off offset:1024
	global_store_dword v[10:11], v18, off offset:1040
	s_mov_b64 s[2:3], -1
	s_cbranch_execz .LBB2677_28
	s_branch .LBB2677_33
.LBB2677_27:
	s_mov_b64 s[2:3], 0
                                        ; implicit-def: $vgpr2
.LBB2677_28:
	s_barrier
	s_waitcnt lgkmcnt(0)
	ds_read_b32 v6, v4 offset:2560
	ds_read_b32 v4, v9 offset:5120
	;; [unrolled: 1-line block ×3, first 2 shown]
	s_sub_i32 s4, s8, s16
	v_mad_u64_u32 v[10:11], s[2:3], v0, 20, s[0:1]
	v_cmp_gt_u32_e32 vcc, s4, v0
	s_and_saveexec_b64 s[2:3], vcc
	s_cbranch_execnz .LBB2677_36
; %bb.29:
	s_or_b64 exec, exec, s[2:3]
	v_cmp_gt_u32_e32 vcc, s4, v7
	s_and_saveexec_b64 s[2:3], vcc
	s_cbranch_execnz .LBB2677_37
.LBB2677_30:
	s_or_b64 exec, exec, s[2:3]
	v_cmp_gt_u32_e32 vcc, s4, v5
	s_and_saveexec_b64 s[2:3], vcc
	s_cbranch_execz .LBB2677_32
.LBB2677_31:
	v_add_co_u32_e32 v8, vcc, 0x1000, v10
	s_waitcnt lgkmcnt(1)
	v_mov_b32_e32 v5, v4
	v_mov_b32_e32 v6, v4
	;; [unrolled: 1-line block ×3, first 2 shown]
	v_addc_co_u32_e32 v9, vcc, 0, v11, vcc
	global_store_dwordx4 v[8:9], v[4:7], off offset:1024
	global_store_dword v[8:9], v4, off offset:1040
.LBB2677_32:
	s_or_b64 exec, exec, s[2:3]
	v_cmp_gt_u32_e64 s[2:3], s4, v3
.LBB2677_33:
	s_and_saveexec_b64 s[4:5], s[2:3]
	s_cbranch_execz .LBB2677_35
; %bb.34:
	v_mad_u64_u32 v[0:1], s[0:1], v0, 20, s[0:1]
	v_add_co_u32_e32 v0, vcc, 0x1000, v0
	s_waitcnt lgkmcnt(0)
	v_mov_b32_e32 v3, v2
	v_mov_b32_e32 v4, v2
	;; [unrolled: 1-line block ×3, first 2 shown]
	v_addc_co_u32_e32 v1, vcc, 0, v1, vcc
	global_store_dwordx4 v[0:1], v[2:5], off offset:3584
	global_store_dword v[0:1], v2, off offset:3600
.LBB2677_35:
	s_endpgm
.LBB2677_36:
	ds_read_b32 v12, v8
	s_waitcnt lgkmcnt(0)
	v_mov_b32_e32 v13, v12
	v_mov_b32_e32 v14, v12
	;; [unrolled: 1-line block ×3, first 2 shown]
	global_store_dwordx4 v[10:11], v[12:15], off
	global_store_dword v[10:11], v12, off offset:16
	s_or_b64 exec, exec, s[2:3]
	v_cmp_gt_u32_e32 vcc, s4, v7
	s_and_saveexec_b64 s[2:3], vcc
	s_cbranch_execz .LBB2677_30
.LBB2677_37:
	s_waitcnt lgkmcnt(2)
	v_mov_b32_e32 v7, v6
	v_mov_b32_e32 v8, v6
	;; [unrolled: 1-line block ×3, first 2 shown]
	global_store_dwordx4 v[10:11], v[6:9], off offset:2560
	global_store_dword v[10:11], v6, off offset:2576
	s_or_b64 exec, exec, s[2:3]
	v_cmp_gt_u32_e32 vcc, s4, v5
	s_and_saveexec_b64 s[2:3], vcc
	s_cbranch_execnz .LBB2677_31
	s_branch .LBB2677_32
	.section	.rodata,"a",@progbits
	.p2align	6, 0x0
	.amdhsa_kernel _ZN7rocprim17ROCPRIM_400000_NS6detail17trampoline_kernelINS0_14default_configENS1_38merge_sort_block_merge_config_selectorI14custom_numericNS0_10empty_typeEEEZZNS1_27merge_sort_block_merge_implIS3_N6thrust23THRUST_200600_302600_NS6detail15normal_iteratorINSA_10device_ptrIS5_EEEEPS6_mNSA_7greaterIS5_EEEE10hipError_tT0_T1_T2_jT3_P12ihipStream_tbPNSt15iterator_traitsISK_E10value_typeEPNSQ_ISL_E10value_typeEPSM_NS1_7vsmem_tEENKUlT_SK_SL_SM_E_clISF_PS5_SG_SG_EESJ_SZ_SK_SL_SM_EUlSZ_E0_NS1_11comp_targetILNS1_3genE4ELNS1_11target_archE910ELNS1_3gpuE8ELNS1_3repE0EEENS1_38merge_mergepath_config_static_selectorELNS0_4arch9wavefront6targetE1EEEvSL_
		.amdhsa_group_segment_fixed_size 10560
		.amdhsa_private_segment_fixed_size 0
		.amdhsa_kernarg_size 328
		.amdhsa_user_sgpr_count 6
		.amdhsa_user_sgpr_private_segment_buffer 1
		.amdhsa_user_sgpr_dispatch_ptr 0
		.amdhsa_user_sgpr_queue_ptr 0
		.amdhsa_user_sgpr_kernarg_segment_ptr 1
		.amdhsa_user_sgpr_dispatch_id 0
		.amdhsa_user_sgpr_flat_scratch_init 0
		.amdhsa_user_sgpr_kernarg_preload_length 0
		.amdhsa_user_sgpr_kernarg_preload_offset 0
		.amdhsa_user_sgpr_private_segment_size 0
		.amdhsa_uses_dynamic_stack 0
		.amdhsa_system_sgpr_private_segment_wavefront_offset 0
		.amdhsa_system_sgpr_workgroup_id_x 1
		.amdhsa_system_sgpr_workgroup_id_y 1
		.amdhsa_system_sgpr_workgroup_id_z 1
		.amdhsa_system_sgpr_workgroup_info 0
		.amdhsa_system_vgpr_workitem_id 0
		.amdhsa_next_free_vgpr 24
		.amdhsa_next_free_sgpr 31
		.amdhsa_accum_offset 24
		.amdhsa_reserve_vcc 1
		.amdhsa_reserve_flat_scratch 0
		.amdhsa_float_round_mode_32 0
		.amdhsa_float_round_mode_16_64 0
		.amdhsa_float_denorm_mode_32 3
		.amdhsa_float_denorm_mode_16_64 3
		.amdhsa_dx10_clamp 1
		.amdhsa_ieee_mode 1
		.amdhsa_fp16_overflow 0
		.amdhsa_tg_split 0
		.amdhsa_exception_fp_ieee_invalid_op 0
		.amdhsa_exception_fp_denorm_src 0
		.amdhsa_exception_fp_ieee_div_zero 0
		.amdhsa_exception_fp_ieee_overflow 0
		.amdhsa_exception_fp_ieee_underflow 0
		.amdhsa_exception_fp_ieee_inexact 0
		.amdhsa_exception_int_div_zero 0
	.end_amdhsa_kernel
	.section	.text._ZN7rocprim17ROCPRIM_400000_NS6detail17trampoline_kernelINS0_14default_configENS1_38merge_sort_block_merge_config_selectorI14custom_numericNS0_10empty_typeEEEZZNS1_27merge_sort_block_merge_implIS3_N6thrust23THRUST_200600_302600_NS6detail15normal_iteratorINSA_10device_ptrIS5_EEEEPS6_mNSA_7greaterIS5_EEEE10hipError_tT0_T1_T2_jT3_P12ihipStream_tbPNSt15iterator_traitsISK_E10value_typeEPNSQ_ISL_E10value_typeEPSM_NS1_7vsmem_tEENKUlT_SK_SL_SM_E_clISF_PS5_SG_SG_EESJ_SZ_SK_SL_SM_EUlSZ_E0_NS1_11comp_targetILNS1_3genE4ELNS1_11target_archE910ELNS1_3gpuE8ELNS1_3repE0EEENS1_38merge_mergepath_config_static_selectorELNS0_4arch9wavefront6targetE1EEEvSL_,"axG",@progbits,_ZN7rocprim17ROCPRIM_400000_NS6detail17trampoline_kernelINS0_14default_configENS1_38merge_sort_block_merge_config_selectorI14custom_numericNS0_10empty_typeEEEZZNS1_27merge_sort_block_merge_implIS3_N6thrust23THRUST_200600_302600_NS6detail15normal_iteratorINSA_10device_ptrIS5_EEEEPS6_mNSA_7greaterIS5_EEEE10hipError_tT0_T1_T2_jT3_P12ihipStream_tbPNSt15iterator_traitsISK_E10value_typeEPNSQ_ISL_E10value_typeEPSM_NS1_7vsmem_tEENKUlT_SK_SL_SM_E_clISF_PS5_SG_SG_EESJ_SZ_SK_SL_SM_EUlSZ_E0_NS1_11comp_targetILNS1_3genE4ELNS1_11target_archE910ELNS1_3gpuE8ELNS1_3repE0EEENS1_38merge_mergepath_config_static_selectorELNS0_4arch9wavefront6targetE1EEEvSL_,comdat
.Lfunc_end2677:
	.size	_ZN7rocprim17ROCPRIM_400000_NS6detail17trampoline_kernelINS0_14default_configENS1_38merge_sort_block_merge_config_selectorI14custom_numericNS0_10empty_typeEEEZZNS1_27merge_sort_block_merge_implIS3_N6thrust23THRUST_200600_302600_NS6detail15normal_iteratorINSA_10device_ptrIS5_EEEEPS6_mNSA_7greaterIS5_EEEE10hipError_tT0_T1_T2_jT3_P12ihipStream_tbPNSt15iterator_traitsISK_E10value_typeEPNSQ_ISL_E10value_typeEPSM_NS1_7vsmem_tEENKUlT_SK_SL_SM_E_clISF_PS5_SG_SG_EESJ_SZ_SK_SL_SM_EUlSZ_E0_NS1_11comp_targetILNS1_3genE4ELNS1_11target_archE910ELNS1_3gpuE8ELNS1_3repE0EEENS1_38merge_mergepath_config_static_selectorELNS0_4arch9wavefront6targetE1EEEvSL_, .Lfunc_end2677-_ZN7rocprim17ROCPRIM_400000_NS6detail17trampoline_kernelINS0_14default_configENS1_38merge_sort_block_merge_config_selectorI14custom_numericNS0_10empty_typeEEEZZNS1_27merge_sort_block_merge_implIS3_N6thrust23THRUST_200600_302600_NS6detail15normal_iteratorINSA_10device_ptrIS5_EEEEPS6_mNSA_7greaterIS5_EEEE10hipError_tT0_T1_T2_jT3_P12ihipStream_tbPNSt15iterator_traitsISK_E10value_typeEPNSQ_ISL_E10value_typeEPSM_NS1_7vsmem_tEENKUlT_SK_SL_SM_E_clISF_PS5_SG_SG_EESJ_SZ_SK_SL_SM_EUlSZ_E0_NS1_11comp_targetILNS1_3genE4ELNS1_11target_archE910ELNS1_3gpuE8ELNS1_3repE0EEENS1_38merge_mergepath_config_static_selectorELNS0_4arch9wavefront6targetE1EEEvSL_
                                        ; -- End function
	.section	.AMDGPU.csdata,"",@progbits
; Kernel info:
; codeLenInByte = 2424
; NumSgprs: 35
; NumVgprs: 24
; NumAgprs: 0
; TotalNumVgprs: 24
; ScratchSize: 0
; MemoryBound: 0
; FloatMode: 240
; IeeeMode: 1
; LDSByteSize: 10560 bytes/workgroup (compile time only)
; SGPRBlocks: 4
; VGPRBlocks: 2
; NumSGPRsForWavesPerEU: 35
; NumVGPRsForWavesPerEU: 24
; AccumOffset: 24
; Occupancy: 3
; WaveLimiterHint : 1
; COMPUTE_PGM_RSRC2:SCRATCH_EN: 0
; COMPUTE_PGM_RSRC2:USER_SGPR: 6
; COMPUTE_PGM_RSRC2:TRAP_HANDLER: 0
; COMPUTE_PGM_RSRC2:TGID_X_EN: 1
; COMPUTE_PGM_RSRC2:TGID_Y_EN: 1
; COMPUTE_PGM_RSRC2:TGID_Z_EN: 1
; COMPUTE_PGM_RSRC2:TIDIG_COMP_CNT: 0
; COMPUTE_PGM_RSRC3_GFX90A:ACCUM_OFFSET: 5
; COMPUTE_PGM_RSRC3_GFX90A:TG_SPLIT: 0
	.section	.text._ZN7rocprim17ROCPRIM_400000_NS6detail17trampoline_kernelINS0_14default_configENS1_38merge_sort_block_merge_config_selectorI14custom_numericNS0_10empty_typeEEEZZNS1_27merge_sort_block_merge_implIS3_N6thrust23THRUST_200600_302600_NS6detail15normal_iteratorINSA_10device_ptrIS5_EEEEPS6_mNSA_7greaterIS5_EEEE10hipError_tT0_T1_T2_jT3_P12ihipStream_tbPNSt15iterator_traitsISK_E10value_typeEPNSQ_ISL_E10value_typeEPSM_NS1_7vsmem_tEENKUlT_SK_SL_SM_E_clISF_PS5_SG_SG_EESJ_SZ_SK_SL_SM_EUlSZ_E0_NS1_11comp_targetILNS1_3genE3ELNS1_11target_archE908ELNS1_3gpuE7ELNS1_3repE0EEENS1_38merge_mergepath_config_static_selectorELNS0_4arch9wavefront6targetE1EEEvSL_,"axG",@progbits,_ZN7rocprim17ROCPRIM_400000_NS6detail17trampoline_kernelINS0_14default_configENS1_38merge_sort_block_merge_config_selectorI14custom_numericNS0_10empty_typeEEEZZNS1_27merge_sort_block_merge_implIS3_N6thrust23THRUST_200600_302600_NS6detail15normal_iteratorINSA_10device_ptrIS5_EEEEPS6_mNSA_7greaterIS5_EEEE10hipError_tT0_T1_T2_jT3_P12ihipStream_tbPNSt15iterator_traitsISK_E10value_typeEPNSQ_ISL_E10value_typeEPSM_NS1_7vsmem_tEENKUlT_SK_SL_SM_E_clISF_PS5_SG_SG_EESJ_SZ_SK_SL_SM_EUlSZ_E0_NS1_11comp_targetILNS1_3genE3ELNS1_11target_archE908ELNS1_3gpuE7ELNS1_3repE0EEENS1_38merge_mergepath_config_static_selectorELNS0_4arch9wavefront6targetE1EEEvSL_,comdat
	.protected	_ZN7rocprim17ROCPRIM_400000_NS6detail17trampoline_kernelINS0_14default_configENS1_38merge_sort_block_merge_config_selectorI14custom_numericNS0_10empty_typeEEEZZNS1_27merge_sort_block_merge_implIS3_N6thrust23THRUST_200600_302600_NS6detail15normal_iteratorINSA_10device_ptrIS5_EEEEPS6_mNSA_7greaterIS5_EEEE10hipError_tT0_T1_T2_jT3_P12ihipStream_tbPNSt15iterator_traitsISK_E10value_typeEPNSQ_ISL_E10value_typeEPSM_NS1_7vsmem_tEENKUlT_SK_SL_SM_E_clISF_PS5_SG_SG_EESJ_SZ_SK_SL_SM_EUlSZ_E0_NS1_11comp_targetILNS1_3genE3ELNS1_11target_archE908ELNS1_3gpuE7ELNS1_3repE0EEENS1_38merge_mergepath_config_static_selectorELNS0_4arch9wavefront6targetE1EEEvSL_ ; -- Begin function _ZN7rocprim17ROCPRIM_400000_NS6detail17trampoline_kernelINS0_14default_configENS1_38merge_sort_block_merge_config_selectorI14custom_numericNS0_10empty_typeEEEZZNS1_27merge_sort_block_merge_implIS3_N6thrust23THRUST_200600_302600_NS6detail15normal_iteratorINSA_10device_ptrIS5_EEEEPS6_mNSA_7greaterIS5_EEEE10hipError_tT0_T1_T2_jT3_P12ihipStream_tbPNSt15iterator_traitsISK_E10value_typeEPNSQ_ISL_E10value_typeEPSM_NS1_7vsmem_tEENKUlT_SK_SL_SM_E_clISF_PS5_SG_SG_EESJ_SZ_SK_SL_SM_EUlSZ_E0_NS1_11comp_targetILNS1_3genE3ELNS1_11target_archE908ELNS1_3gpuE7ELNS1_3repE0EEENS1_38merge_mergepath_config_static_selectorELNS0_4arch9wavefront6targetE1EEEvSL_
	.globl	_ZN7rocprim17ROCPRIM_400000_NS6detail17trampoline_kernelINS0_14default_configENS1_38merge_sort_block_merge_config_selectorI14custom_numericNS0_10empty_typeEEEZZNS1_27merge_sort_block_merge_implIS3_N6thrust23THRUST_200600_302600_NS6detail15normal_iteratorINSA_10device_ptrIS5_EEEEPS6_mNSA_7greaterIS5_EEEE10hipError_tT0_T1_T2_jT3_P12ihipStream_tbPNSt15iterator_traitsISK_E10value_typeEPNSQ_ISL_E10value_typeEPSM_NS1_7vsmem_tEENKUlT_SK_SL_SM_E_clISF_PS5_SG_SG_EESJ_SZ_SK_SL_SM_EUlSZ_E0_NS1_11comp_targetILNS1_3genE3ELNS1_11target_archE908ELNS1_3gpuE7ELNS1_3repE0EEENS1_38merge_mergepath_config_static_selectorELNS0_4arch9wavefront6targetE1EEEvSL_
	.p2align	8
	.type	_ZN7rocprim17ROCPRIM_400000_NS6detail17trampoline_kernelINS0_14default_configENS1_38merge_sort_block_merge_config_selectorI14custom_numericNS0_10empty_typeEEEZZNS1_27merge_sort_block_merge_implIS3_N6thrust23THRUST_200600_302600_NS6detail15normal_iteratorINSA_10device_ptrIS5_EEEEPS6_mNSA_7greaterIS5_EEEE10hipError_tT0_T1_T2_jT3_P12ihipStream_tbPNSt15iterator_traitsISK_E10value_typeEPNSQ_ISL_E10value_typeEPSM_NS1_7vsmem_tEENKUlT_SK_SL_SM_E_clISF_PS5_SG_SG_EESJ_SZ_SK_SL_SM_EUlSZ_E0_NS1_11comp_targetILNS1_3genE3ELNS1_11target_archE908ELNS1_3gpuE7ELNS1_3repE0EEENS1_38merge_mergepath_config_static_selectorELNS0_4arch9wavefront6targetE1EEEvSL_,@function
_ZN7rocprim17ROCPRIM_400000_NS6detail17trampoline_kernelINS0_14default_configENS1_38merge_sort_block_merge_config_selectorI14custom_numericNS0_10empty_typeEEEZZNS1_27merge_sort_block_merge_implIS3_N6thrust23THRUST_200600_302600_NS6detail15normal_iteratorINSA_10device_ptrIS5_EEEEPS6_mNSA_7greaterIS5_EEEE10hipError_tT0_T1_T2_jT3_P12ihipStream_tbPNSt15iterator_traitsISK_E10value_typeEPNSQ_ISL_E10value_typeEPSM_NS1_7vsmem_tEENKUlT_SK_SL_SM_E_clISF_PS5_SG_SG_EESJ_SZ_SK_SL_SM_EUlSZ_E0_NS1_11comp_targetILNS1_3genE3ELNS1_11target_archE908ELNS1_3gpuE7ELNS1_3repE0EEENS1_38merge_mergepath_config_static_selectorELNS0_4arch9wavefront6targetE1EEEvSL_: ; @_ZN7rocprim17ROCPRIM_400000_NS6detail17trampoline_kernelINS0_14default_configENS1_38merge_sort_block_merge_config_selectorI14custom_numericNS0_10empty_typeEEEZZNS1_27merge_sort_block_merge_implIS3_N6thrust23THRUST_200600_302600_NS6detail15normal_iteratorINSA_10device_ptrIS5_EEEEPS6_mNSA_7greaterIS5_EEEE10hipError_tT0_T1_T2_jT3_P12ihipStream_tbPNSt15iterator_traitsISK_E10value_typeEPNSQ_ISL_E10value_typeEPSM_NS1_7vsmem_tEENKUlT_SK_SL_SM_E_clISF_PS5_SG_SG_EESJ_SZ_SK_SL_SM_EUlSZ_E0_NS1_11comp_targetILNS1_3genE3ELNS1_11target_archE908ELNS1_3gpuE7ELNS1_3repE0EEENS1_38merge_mergepath_config_static_selectorELNS0_4arch9wavefront6targetE1EEEvSL_
; %bb.0:
	.section	.rodata,"a",@progbits
	.p2align	6, 0x0
	.amdhsa_kernel _ZN7rocprim17ROCPRIM_400000_NS6detail17trampoline_kernelINS0_14default_configENS1_38merge_sort_block_merge_config_selectorI14custom_numericNS0_10empty_typeEEEZZNS1_27merge_sort_block_merge_implIS3_N6thrust23THRUST_200600_302600_NS6detail15normal_iteratorINSA_10device_ptrIS5_EEEEPS6_mNSA_7greaterIS5_EEEE10hipError_tT0_T1_T2_jT3_P12ihipStream_tbPNSt15iterator_traitsISK_E10value_typeEPNSQ_ISL_E10value_typeEPSM_NS1_7vsmem_tEENKUlT_SK_SL_SM_E_clISF_PS5_SG_SG_EESJ_SZ_SK_SL_SM_EUlSZ_E0_NS1_11comp_targetILNS1_3genE3ELNS1_11target_archE908ELNS1_3gpuE7ELNS1_3repE0EEENS1_38merge_mergepath_config_static_selectorELNS0_4arch9wavefront6targetE1EEEvSL_
		.amdhsa_group_segment_fixed_size 0
		.amdhsa_private_segment_fixed_size 0
		.amdhsa_kernarg_size 72
		.amdhsa_user_sgpr_count 6
		.amdhsa_user_sgpr_private_segment_buffer 1
		.amdhsa_user_sgpr_dispatch_ptr 0
		.amdhsa_user_sgpr_queue_ptr 0
		.amdhsa_user_sgpr_kernarg_segment_ptr 1
		.amdhsa_user_sgpr_dispatch_id 0
		.amdhsa_user_sgpr_flat_scratch_init 0
		.amdhsa_user_sgpr_kernarg_preload_length 0
		.amdhsa_user_sgpr_kernarg_preload_offset 0
		.amdhsa_user_sgpr_private_segment_size 0
		.amdhsa_uses_dynamic_stack 0
		.amdhsa_system_sgpr_private_segment_wavefront_offset 0
		.amdhsa_system_sgpr_workgroup_id_x 1
		.amdhsa_system_sgpr_workgroup_id_y 0
		.amdhsa_system_sgpr_workgroup_id_z 0
		.amdhsa_system_sgpr_workgroup_info 0
		.amdhsa_system_vgpr_workitem_id 0
		.amdhsa_next_free_vgpr 1
		.amdhsa_next_free_sgpr 0
		.amdhsa_accum_offset 4
		.amdhsa_reserve_vcc 0
		.amdhsa_reserve_flat_scratch 0
		.amdhsa_float_round_mode_32 0
		.amdhsa_float_round_mode_16_64 0
		.amdhsa_float_denorm_mode_32 3
		.amdhsa_float_denorm_mode_16_64 3
		.amdhsa_dx10_clamp 1
		.amdhsa_ieee_mode 1
		.amdhsa_fp16_overflow 0
		.amdhsa_tg_split 0
		.amdhsa_exception_fp_ieee_invalid_op 0
		.amdhsa_exception_fp_denorm_src 0
		.amdhsa_exception_fp_ieee_div_zero 0
		.amdhsa_exception_fp_ieee_overflow 0
		.amdhsa_exception_fp_ieee_underflow 0
		.amdhsa_exception_fp_ieee_inexact 0
		.amdhsa_exception_int_div_zero 0
	.end_amdhsa_kernel
	.section	.text._ZN7rocprim17ROCPRIM_400000_NS6detail17trampoline_kernelINS0_14default_configENS1_38merge_sort_block_merge_config_selectorI14custom_numericNS0_10empty_typeEEEZZNS1_27merge_sort_block_merge_implIS3_N6thrust23THRUST_200600_302600_NS6detail15normal_iteratorINSA_10device_ptrIS5_EEEEPS6_mNSA_7greaterIS5_EEEE10hipError_tT0_T1_T2_jT3_P12ihipStream_tbPNSt15iterator_traitsISK_E10value_typeEPNSQ_ISL_E10value_typeEPSM_NS1_7vsmem_tEENKUlT_SK_SL_SM_E_clISF_PS5_SG_SG_EESJ_SZ_SK_SL_SM_EUlSZ_E0_NS1_11comp_targetILNS1_3genE3ELNS1_11target_archE908ELNS1_3gpuE7ELNS1_3repE0EEENS1_38merge_mergepath_config_static_selectorELNS0_4arch9wavefront6targetE1EEEvSL_,"axG",@progbits,_ZN7rocprim17ROCPRIM_400000_NS6detail17trampoline_kernelINS0_14default_configENS1_38merge_sort_block_merge_config_selectorI14custom_numericNS0_10empty_typeEEEZZNS1_27merge_sort_block_merge_implIS3_N6thrust23THRUST_200600_302600_NS6detail15normal_iteratorINSA_10device_ptrIS5_EEEEPS6_mNSA_7greaterIS5_EEEE10hipError_tT0_T1_T2_jT3_P12ihipStream_tbPNSt15iterator_traitsISK_E10value_typeEPNSQ_ISL_E10value_typeEPSM_NS1_7vsmem_tEENKUlT_SK_SL_SM_E_clISF_PS5_SG_SG_EESJ_SZ_SK_SL_SM_EUlSZ_E0_NS1_11comp_targetILNS1_3genE3ELNS1_11target_archE908ELNS1_3gpuE7ELNS1_3repE0EEENS1_38merge_mergepath_config_static_selectorELNS0_4arch9wavefront6targetE1EEEvSL_,comdat
.Lfunc_end2678:
	.size	_ZN7rocprim17ROCPRIM_400000_NS6detail17trampoline_kernelINS0_14default_configENS1_38merge_sort_block_merge_config_selectorI14custom_numericNS0_10empty_typeEEEZZNS1_27merge_sort_block_merge_implIS3_N6thrust23THRUST_200600_302600_NS6detail15normal_iteratorINSA_10device_ptrIS5_EEEEPS6_mNSA_7greaterIS5_EEEE10hipError_tT0_T1_T2_jT3_P12ihipStream_tbPNSt15iterator_traitsISK_E10value_typeEPNSQ_ISL_E10value_typeEPSM_NS1_7vsmem_tEENKUlT_SK_SL_SM_E_clISF_PS5_SG_SG_EESJ_SZ_SK_SL_SM_EUlSZ_E0_NS1_11comp_targetILNS1_3genE3ELNS1_11target_archE908ELNS1_3gpuE7ELNS1_3repE0EEENS1_38merge_mergepath_config_static_selectorELNS0_4arch9wavefront6targetE1EEEvSL_, .Lfunc_end2678-_ZN7rocprim17ROCPRIM_400000_NS6detail17trampoline_kernelINS0_14default_configENS1_38merge_sort_block_merge_config_selectorI14custom_numericNS0_10empty_typeEEEZZNS1_27merge_sort_block_merge_implIS3_N6thrust23THRUST_200600_302600_NS6detail15normal_iteratorINSA_10device_ptrIS5_EEEEPS6_mNSA_7greaterIS5_EEEE10hipError_tT0_T1_T2_jT3_P12ihipStream_tbPNSt15iterator_traitsISK_E10value_typeEPNSQ_ISL_E10value_typeEPSM_NS1_7vsmem_tEENKUlT_SK_SL_SM_E_clISF_PS5_SG_SG_EESJ_SZ_SK_SL_SM_EUlSZ_E0_NS1_11comp_targetILNS1_3genE3ELNS1_11target_archE908ELNS1_3gpuE7ELNS1_3repE0EEENS1_38merge_mergepath_config_static_selectorELNS0_4arch9wavefront6targetE1EEEvSL_
                                        ; -- End function
	.section	.AMDGPU.csdata,"",@progbits
; Kernel info:
; codeLenInByte = 0
; NumSgprs: 4
; NumVgprs: 0
; NumAgprs: 0
; TotalNumVgprs: 0
; ScratchSize: 0
; MemoryBound: 0
; FloatMode: 240
; IeeeMode: 1
; LDSByteSize: 0 bytes/workgroup (compile time only)
; SGPRBlocks: 0
; VGPRBlocks: 0
; NumSGPRsForWavesPerEU: 4
; NumVGPRsForWavesPerEU: 1
; AccumOffset: 4
; Occupancy: 8
; WaveLimiterHint : 0
; COMPUTE_PGM_RSRC2:SCRATCH_EN: 0
; COMPUTE_PGM_RSRC2:USER_SGPR: 6
; COMPUTE_PGM_RSRC2:TRAP_HANDLER: 0
; COMPUTE_PGM_RSRC2:TGID_X_EN: 1
; COMPUTE_PGM_RSRC2:TGID_Y_EN: 0
; COMPUTE_PGM_RSRC2:TGID_Z_EN: 0
; COMPUTE_PGM_RSRC2:TIDIG_COMP_CNT: 0
; COMPUTE_PGM_RSRC3_GFX90A:ACCUM_OFFSET: 0
; COMPUTE_PGM_RSRC3_GFX90A:TG_SPLIT: 0
	.section	.text._ZN7rocprim17ROCPRIM_400000_NS6detail17trampoline_kernelINS0_14default_configENS1_38merge_sort_block_merge_config_selectorI14custom_numericNS0_10empty_typeEEEZZNS1_27merge_sort_block_merge_implIS3_N6thrust23THRUST_200600_302600_NS6detail15normal_iteratorINSA_10device_ptrIS5_EEEEPS6_mNSA_7greaterIS5_EEEE10hipError_tT0_T1_T2_jT3_P12ihipStream_tbPNSt15iterator_traitsISK_E10value_typeEPNSQ_ISL_E10value_typeEPSM_NS1_7vsmem_tEENKUlT_SK_SL_SM_E_clISF_PS5_SG_SG_EESJ_SZ_SK_SL_SM_EUlSZ_E0_NS1_11comp_targetILNS1_3genE2ELNS1_11target_archE906ELNS1_3gpuE6ELNS1_3repE0EEENS1_38merge_mergepath_config_static_selectorELNS0_4arch9wavefront6targetE1EEEvSL_,"axG",@progbits,_ZN7rocprim17ROCPRIM_400000_NS6detail17trampoline_kernelINS0_14default_configENS1_38merge_sort_block_merge_config_selectorI14custom_numericNS0_10empty_typeEEEZZNS1_27merge_sort_block_merge_implIS3_N6thrust23THRUST_200600_302600_NS6detail15normal_iteratorINSA_10device_ptrIS5_EEEEPS6_mNSA_7greaterIS5_EEEE10hipError_tT0_T1_T2_jT3_P12ihipStream_tbPNSt15iterator_traitsISK_E10value_typeEPNSQ_ISL_E10value_typeEPSM_NS1_7vsmem_tEENKUlT_SK_SL_SM_E_clISF_PS5_SG_SG_EESJ_SZ_SK_SL_SM_EUlSZ_E0_NS1_11comp_targetILNS1_3genE2ELNS1_11target_archE906ELNS1_3gpuE6ELNS1_3repE0EEENS1_38merge_mergepath_config_static_selectorELNS0_4arch9wavefront6targetE1EEEvSL_,comdat
	.protected	_ZN7rocprim17ROCPRIM_400000_NS6detail17trampoline_kernelINS0_14default_configENS1_38merge_sort_block_merge_config_selectorI14custom_numericNS0_10empty_typeEEEZZNS1_27merge_sort_block_merge_implIS3_N6thrust23THRUST_200600_302600_NS6detail15normal_iteratorINSA_10device_ptrIS5_EEEEPS6_mNSA_7greaterIS5_EEEE10hipError_tT0_T1_T2_jT3_P12ihipStream_tbPNSt15iterator_traitsISK_E10value_typeEPNSQ_ISL_E10value_typeEPSM_NS1_7vsmem_tEENKUlT_SK_SL_SM_E_clISF_PS5_SG_SG_EESJ_SZ_SK_SL_SM_EUlSZ_E0_NS1_11comp_targetILNS1_3genE2ELNS1_11target_archE906ELNS1_3gpuE6ELNS1_3repE0EEENS1_38merge_mergepath_config_static_selectorELNS0_4arch9wavefront6targetE1EEEvSL_ ; -- Begin function _ZN7rocprim17ROCPRIM_400000_NS6detail17trampoline_kernelINS0_14default_configENS1_38merge_sort_block_merge_config_selectorI14custom_numericNS0_10empty_typeEEEZZNS1_27merge_sort_block_merge_implIS3_N6thrust23THRUST_200600_302600_NS6detail15normal_iteratorINSA_10device_ptrIS5_EEEEPS6_mNSA_7greaterIS5_EEEE10hipError_tT0_T1_T2_jT3_P12ihipStream_tbPNSt15iterator_traitsISK_E10value_typeEPNSQ_ISL_E10value_typeEPSM_NS1_7vsmem_tEENKUlT_SK_SL_SM_E_clISF_PS5_SG_SG_EESJ_SZ_SK_SL_SM_EUlSZ_E0_NS1_11comp_targetILNS1_3genE2ELNS1_11target_archE906ELNS1_3gpuE6ELNS1_3repE0EEENS1_38merge_mergepath_config_static_selectorELNS0_4arch9wavefront6targetE1EEEvSL_
	.globl	_ZN7rocprim17ROCPRIM_400000_NS6detail17trampoline_kernelINS0_14default_configENS1_38merge_sort_block_merge_config_selectorI14custom_numericNS0_10empty_typeEEEZZNS1_27merge_sort_block_merge_implIS3_N6thrust23THRUST_200600_302600_NS6detail15normal_iteratorINSA_10device_ptrIS5_EEEEPS6_mNSA_7greaterIS5_EEEE10hipError_tT0_T1_T2_jT3_P12ihipStream_tbPNSt15iterator_traitsISK_E10value_typeEPNSQ_ISL_E10value_typeEPSM_NS1_7vsmem_tEENKUlT_SK_SL_SM_E_clISF_PS5_SG_SG_EESJ_SZ_SK_SL_SM_EUlSZ_E0_NS1_11comp_targetILNS1_3genE2ELNS1_11target_archE906ELNS1_3gpuE6ELNS1_3repE0EEENS1_38merge_mergepath_config_static_selectorELNS0_4arch9wavefront6targetE1EEEvSL_
	.p2align	8
	.type	_ZN7rocprim17ROCPRIM_400000_NS6detail17trampoline_kernelINS0_14default_configENS1_38merge_sort_block_merge_config_selectorI14custom_numericNS0_10empty_typeEEEZZNS1_27merge_sort_block_merge_implIS3_N6thrust23THRUST_200600_302600_NS6detail15normal_iteratorINSA_10device_ptrIS5_EEEEPS6_mNSA_7greaterIS5_EEEE10hipError_tT0_T1_T2_jT3_P12ihipStream_tbPNSt15iterator_traitsISK_E10value_typeEPNSQ_ISL_E10value_typeEPSM_NS1_7vsmem_tEENKUlT_SK_SL_SM_E_clISF_PS5_SG_SG_EESJ_SZ_SK_SL_SM_EUlSZ_E0_NS1_11comp_targetILNS1_3genE2ELNS1_11target_archE906ELNS1_3gpuE6ELNS1_3repE0EEENS1_38merge_mergepath_config_static_selectorELNS0_4arch9wavefront6targetE1EEEvSL_,@function
_ZN7rocprim17ROCPRIM_400000_NS6detail17trampoline_kernelINS0_14default_configENS1_38merge_sort_block_merge_config_selectorI14custom_numericNS0_10empty_typeEEEZZNS1_27merge_sort_block_merge_implIS3_N6thrust23THRUST_200600_302600_NS6detail15normal_iteratorINSA_10device_ptrIS5_EEEEPS6_mNSA_7greaterIS5_EEEE10hipError_tT0_T1_T2_jT3_P12ihipStream_tbPNSt15iterator_traitsISK_E10value_typeEPNSQ_ISL_E10value_typeEPSM_NS1_7vsmem_tEENKUlT_SK_SL_SM_E_clISF_PS5_SG_SG_EESJ_SZ_SK_SL_SM_EUlSZ_E0_NS1_11comp_targetILNS1_3genE2ELNS1_11target_archE906ELNS1_3gpuE6ELNS1_3repE0EEENS1_38merge_mergepath_config_static_selectorELNS0_4arch9wavefront6targetE1EEEvSL_: ; @_ZN7rocprim17ROCPRIM_400000_NS6detail17trampoline_kernelINS0_14default_configENS1_38merge_sort_block_merge_config_selectorI14custom_numericNS0_10empty_typeEEEZZNS1_27merge_sort_block_merge_implIS3_N6thrust23THRUST_200600_302600_NS6detail15normal_iteratorINSA_10device_ptrIS5_EEEEPS6_mNSA_7greaterIS5_EEEE10hipError_tT0_T1_T2_jT3_P12ihipStream_tbPNSt15iterator_traitsISK_E10value_typeEPNSQ_ISL_E10value_typeEPSM_NS1_7vsmem_tEENKUlT_SK_SL_SM_E_clISF_PS5_SG_SG_EESJ_SZ_SK_SL_SM_EUlSZ_E0_NS1_11comp_targetILNS1_3genE2ELNS1_11target_archE906ELNS1_3gpuE6ELNS1_3repE0EEENS1_38merge_mergepath_config_static_selectorELNS0_4arch9wavefront6targetE1EEEvSL_
; %bb.0:
	.section	.rodata,"a",@progbits
	.p2align	6, 0x0
	.amdhsa_kernel _ZN7rocprim17ROCPRIM_400000_NS6detail17trampoline_kernelINS0_14default_configENS1_38merge_sort_block_merge_config_selectorI14custom_numericNS0_10empty_typeEEEZZNS1_27merge_sort_block_merge_implIS3_N6thrust23THRUST_200600_302600_NS6detail15normal_iteratorINSA_10device_ptrIS5_EEEEPS6_mNSA_7greaterIS5_EEEE10hipError_tT0_T1_T2_jT3_P12ihipStream_tbPNSt15iterator_traitsISK_E10value_typeEPNSQ_ISL_E10value_typeEPSM_NS1_7vsmem_tEENKUlT_SK_SL_SM_E_clISF_PS5_SG_SG_EESJ_SZ_SK_SL_SM_EUlSZ_E0_NS1_11comp_targetILNS1_3genE2ELNS1_11target_archE906ELNS1_3gpuE6ELNS1_3repE0EEENS1_38merge_mergepath_config_static_selectorELNS0_4arch9wavefront6targetE1EEEvSL_
		.amdhsa_group_segment_fixed_size 0
		.amdhsa_private_segment_fixed_size 0
		.amdhsa_kernarg_size 72
		.amdhsa_user_sgpr_count 6
		.amdhsa_user_sgpr_private_segment_buffer 1
		.amdhsa_user_sgpr_dispatch_ptr 0
		.amdhsa_user_sgpr_queue_ptr 0
		.amdhsa_user_sgpr_kernarg_segment_ptr 1
		.amdhsa_user_sgpr_dispatch_id 0
		.amdhsa_user_sgpr_flat_scratch_init 0
		.amdhsa_user_sgpr_kernarg_preload_length 0
		.amdhsa_user_sgpr_kernarg_preload_offset 0
		.amdhsa_user_sgpr_private_segment_size 0
		.amdhsa_uses_dynamic_stack 0
		.amdhsa_system_sgpr_private_segment_wavefront_offset 0
		.amdhsa_system_sgpr_workgroup_id_x 1
		.amdhsa_system_sgpr_workgroup_id_y 0
		.amdhsa_system_sgpr_workgroup_id_z 0
		.amdhsa_system_sgpr_workgroup_info 0
		.amdhsa_system_vgpr_workitem_id 0
		.amdhsa_next_free_vgpr 1
		.amdhsa_next_free_sgpr 0
		.amdhsa_accum_offset 4
		.amdhsa_reserve_vcc 0
		.amdhsa_reserve_flat_scratch 0
		.amdhsa_float_round_mode_32 0
		.amdhsa_float_round_mode_16_64 0
		.amdhsa_float_denorm_mode_32 3
		.amdhsa_float_denorm_mode_16_64 3
		.amdhsa_dx10_clamp 1
		.amdhsa_ieee_mode 1
		.amdhsa_fp16_overflow 0
		.amdhsa_tg_split 0
		.amdhsa_exception_fp_ieee_invalid_op 0
		.amdhsa_exception_fp_denorm_src 0
		.amdhsa_exception_fp_ieee_div_zero 0
		.amdhsa_exception_fp_ieee_overflow 0
		.amdhsa_exception_fp_ieee_underflow 0
		.amdhsa_exception_fp_ieee_inexact 0
		.amdhsa_exception_int_div_zero 0
	.end_amdhsa_kernel
	.section	.text._ZN7rocprim17ROCPRIM_400000_NS6detail17trampoline_kernelINS0_14default_configENS1_38merge_sort_block_merge_config_selectorI14custom_numericNS0_10empty_typeEEEZZNS1_27merge_sort_block_merge_implIS3_N6thrust23THRUST_200600_302600_NS6detail15normal_iteratorINSA_10device_ptrIS5_EEEEPS6_mNSA_7greaterIS5_EEEE10hipError_tT0_T1_T2_jT3_P12ihipStream_tbPNSt15iterator_traitsISK_E10value_typeEPNSQ_ISL_E10value_typeEPSM_NS1_7vsmem_tEENKUlT_SK_SL_SM_E_clISF_PS5_SG_SG_EESJ_SZ_SK_SL_SM_EUlSZ_E0_NS1_11comp_targetILNS1_3genE2ELNS1_11target_archE906ELNS1_3gpuE6ELNS1_3repE0EEENS1_38merge_mergepath_config_static_selectorELNS0_4arch9wavefront6targetE1EEEvSL_,"axG",@progbits,_ZN7rocprim17ROCPRIM_400000_NS6detail17trampoline_kernelINS0_14default_configENS1_38merge_sort_block_merge_config_selectorI14custom_numericNS0_10empty_typeEEEZZNS1_27merge_sort_block_merge_implIS3_N6thrust23THRUST_200600_302600_NS6detail15normal_iteratorINSA_10device_ptrIS5_EEEEPS6_mNSA_7greaterIS5_EEEE10hipError_tT0_T1_T2_jT3_P12ihipStream_tbPNSt15iterator_traitsISK_E10value_typeEPNSQ_ISL_E10value_typeEPSM_NS1_7vsmem_tEENKUlT_SK_SL_SM_E_clISF_PS5_SG_SG_EESJ_SZ_SK_SL_SM_EUlSZ_E0_NS1_11comp_targetILNS1_3genE2ELNS1_11target_archE906ELNS1_3gpuE6ELNS1_3repE0EEENS1_38merge_mergepath_config_static_selectorELNS0_4arch9wavefront6targetE1EEEvSL_,comdat
.Lfunc_end2679:
	.size	_ZN7rocprim17ROCPRIM_400000_NS6detail17trampoline_kernelINS0_14default_configENS1_38merge_sort_block_merge_config_selectorI14custom_numericNS0_10empty_typeEEEZZNS1_27merge_sort_block_merge_implIS3_N6thrust23THRUST_200600_302600_NS6detail15normal_iteratorINSA_10device_ptrIS5_EEEEPS6_mNSA_7greaterIS5_EEEE10hipError_tT0_T1_T2_jT3_P12ihipStream_tbPNSt15iterator_traitsISK_E10value_typeEPNSQ_ISL_E10value_typeEPSM_NS1_7vsmem_tEENKUlT_SK_SL_SM_E_clISF_PS5_SG_SG_EESJ_SZ_SK_SL_SM_EUlSZ_E0_NS1_11comp_targetILNS1_3genE2ELNS1_11target_archE906ELNS1_3gpuE6ELNS1_3repE0EEENS1_38merge_mergepath_config_static_selectorELNS0_4arch9wavefront6targetE1EEEvSL_, .Lfunc_end2679-_ZN7rocprim17ROCPRIM_400000_NS6detail17trampoline_kernelINS0_14default_configENS1_38merge_sort_block_merge_config_selectorI14custom_numericNS0_10empty_typeEEEZZNS1_27merge_sort_block_merge_implIS3_N6thrust23THRUST_200600_302600_NS6detail15normal_iteratorINSA_10device_ptrIS5_EEEEPS6_mNSA_7greaterIS5_EEEE10hipError_tT0_T1_T2_jT3_P12ihipStream_tbPNSt15iterator_traitsISK_E10value_typeEPNSQ_ISL_E10value_typeEPSM_NS1_7vsmem_tEENKUlT_SK_SL_SM_E_clISF_PS5_SG_SG_EESJ_SZ_SK_SL_SM_EUlSZ_E0_NS1_11comp_targetILNS1_3genE2ELNS1_11target_archE906ELNS1_3gpuE6ELNS1_3repE0EEENS1_38merge_mergepath_config_static_selectorELNS0_4arch9wavefront6targetE1EEEvSL_
                                        ; -- End function
	.section	.AMDGPU.csdata,"",@progbits
; Kernel info:
; codeLenInByte = 0
; NumSgprs: 4
; NumVgprs: 0
; NumAgprs: 0
; TotalNumVgprs: 0
; ScratchSize: 0
; MemoryBound: 0
; FloatMode: 240
; IeeeMode: 1
; LDSByteSize: 0 bytes/workgroup (compile time only)
; SGPRBlocks: 0
; VGPRBlocks: 0
; NumSGPRsForWavesPerEU: 4
; NumVGPRsForWavesPerEU: 1
; AccumOffset: 4
; Occupancy: 8
; WaveLimiterHint : 0
; COMPUTE_PGM_RSRC2:SCRATCH_EN: 0
; COMPUTE_PGM_RSRC2:USER_SGPR: 6
; COMPUTE_PGM_RSRC2:TRAP_HANDLER: 0
; COMPUTE_PGM_RSRC2:TGID_X_EN: 1
; COMPUTE_PGM_RSRC2:TGID_Y_EN: 0
; COMPUTE_PGM_RSRC2:TGID_Z_EN: 0
; COMPUTE_PGM_RSRC2:TIDIG_COMP_CNT: 0
; COMPUTE_PGM_RSRC3_GFX90A:ACCUM_OFFSET: 0
; COMPUTE_PGM_RSRC3_GFX90A:TG_SPLIT: 0
	.section	.text._ZN7rocprim17ROCPRIM_400000_NS6detail17trampoline_kernelINS0_14default_configENS1_38merge_sort_block_merge_config_selectorI14custom_numericNS0_10empty_typeEEEZZNS1_27merge_sort_block_merge_implIS3_N6thrust23THRUST_200600_302600_NS6detail15normal_iteratorINSA_10device_ptrIS5_EEEEPS6_mNSA_7greaterIS5_EEEE10hipError_tT0_T1_T2_jT3_P12ihipStream_tbPNSt15iterator_traitsISK_E10value_typeEPNSQ_ISL_E10value_typeEPSM_NS1_7vsmem_tEENKUlT_SK_SL_SM_E_clISF_PS5_SG_SG_EESJ_SZ_SK_SL_SM_EUlSZ_E0_NS1_11comp_targetILNS1_3genE9ELNS1_11target_archE1100ELNS1_3gpuE3ELNS1_3repE0EEENS1_38merge_mergepath_config_static_selectorELNS0_4arch9wavefront6targetE1EEEvSL_,"axG",@progbits,_ZN7rocprim17ROCPRIM_400000_NS6detail17trampoline_kernelINS0_14default_configENS1_38merge_sort_block_merge_config_selectorI14custom_numericNS0_10empty_typeEEEZZNS1_27merge_sort_block_merge_implIS3_N6thrust23THRUST_200600_302600_NS6detail15normal_iteratorINSA_10device_ptrIS5_EEEEPS6_mNSA_7greaterIS5_EEEE10hipError_tT0_T1_T2_jT3_P12ihipStream_tbPNSt15iterator_traitsISK_E10value_typeEPNSQ_ISL_E10value_typeEPSM_NS1_7vsmem_tEENKUlT_SK_SL_SM_E_clISF_PS5_SG_SG_EESJ_SZ_SK_SL_SM_EUlSZ_E0_NS1_11comp_targetILNS1_3genE9ELNS1_11target_archE1100ELNS1_3gpuE3ELNS1_3repE0EEENS1_38merge_mergepath_config_static_selectorELNS0_4arch9wavefront6targetE1EEEvSL_,comdat
	.protected	_ZN7rocprim17ROCPRIM_400000_NS6detail17trampoline_kernelINS0_14default_configENS1_38merge_sort_block_merge_config_selectorI14custom_numericNS0_10empty_typeEEEZZNS1_27merge_sort_block_merge_implIS3_N6thrust23THRUST_200600_302600_NS6detail15normal_iteratorINSA_10device_ptrIS5_EEEEPS6_mNSA_7greaterIS5_EEEE10hipError_tT0_T1_T2_jT3_P12ihipStream_tbPNSt15iterator_traitsISK_E10value_typeEPNSQ_ISL_E10value_typeEPSM_NS1_7vsmem_tEENKUlT_SK_SL_SM_E_clISF_PS5_SG_SG_EESJ_SZ_SK_SL_SM_EUlSZ_E0_NS1_11comp_targetILNS1_3genE9ELNS1_11target_archE1100ELNS1_3gpuE3ELNS1_3repE0EEENS1_38merge_mergepath_config_static_selectorELNS0_4arch9wavefront6targetE1EEEvSL_ ; -- Begin function _ZN7rocprim17ROCPRIM_400000_NS6detail17trampoline_kernelINS0_14default_configENS1_38merge_sort_block_merge_config_selectorI14custom_numericNS0_10empty_typeEEEZZNS1_27merge_sort_block_merge_implIS3_N6thrust23THRUST_200600_302600_NS6detail15normal_iteratorINSA_10device_ptrIS5_EEEEPS6_mNSA_7greaterIS5_EEEE10hipError_tT0_T1_T2_jT3_P12ihipStream_tbPNSt15iterator_traitsISK_E10value_typeEPNSQ_ISL_E10value_typeEPSM_NS1_7vsmem_tEENKUlT_SK_SL_SM_E_clISF_PS5_SG_SG_EESJ_SZ_SK_SL_SM_EUlSZ_E0_NS1_11comp_targetILNS1_3genE9ELNS1_11target_archE1100ELNS1_3gpuE3ELNS1_3repE0EEENS1_38merge_mergepath_config_static_selectorELNS0_4arch9wavefront6targetE1EEEvSL_
	.globl	_ZN7rocprim17ROCPRIM_400000_NS6detail17trampoline_kernelINS0_14default_configENS1_38merge_sort_block_merge_config_selectorI14custom_numericNS0_10empty_typeEEEZZNS1_27merge_sort_block_merge_implIS3_N6thrust23THRUST_200600_302600_NS6detail15normal_iteratorINSA_10device_ptrIS5_EEEEPS6_mNSA_7greaterIS5_EEEE10hipError_tT0_T1_T2_jT3_P12ihipStream_tbPNSt15iterator_traitsISK_E10value_typeEPNSQ_ISL_E10value_typeEPSM_NS1_7vsmem_tEENKUlT_SK_SL_SM_E_clISF_PS5_SG_SG_EESJ_SZ_SK_SL_SM_EUlSZ_E0_NS1_11comp_targetILNS1_3genE9ELNS1_11target_archE1100ELNS1_3gpuE3ELNS1_3repE0EEENS1_38merge_mergepath_config_static_selectorELNS0_4arch9wavefront6targetE1EEEvSL_
	.p2align	8
	.type	_ZN7rocprim17ROCPRIM_400000_NS6detail17trampoline_kernelINS0_14default_configENS1_38merge_sort_block_merge_config_selectorI14custom_numericNS0_10empty_typeEEEZZNS1_27merge_sort_block_merge_implIS3_N6thrust23THRUST_200600_302600_NS6detail15normal_iteratorINSA_10device_ptrIS5_EEEEPS6_mNSA_7greaterIS5_EEEE10hipError_tT0_T1_T2_jT3_P12ihipStream_tbPNSt15iterator_traitsISK_E10value_typeEPNSQ_ISL_E10value_typeEPSM_NS1_7vsmem_tEENKUlT_SK_SL_SM_E_clISF_PS5_SG_SG_EESJ_SZ_SK_SL_SM_EUlSZ_E0_NS1_11comp_targetILNS1_3genE9ELNS1_11target_archE1100ELNS1_3gpuE3ELNS1_3repE0EEENS1_38merge_mergepath_config_static_selectorELNS0_4arch9wavefront6targetE1EEEvSL_,@function
_ZN7rocprim17ROCPRIM_400000_NS6detail17trampoline_kernelINS0_14default_configENS1_38merge_sort_block_merge_config_selectorI14custom_numericNS0_10empty_typeEEEZZNS1_27merge_sort_block_merge_implIS3_N6thrust23THRUST_200600_302600_NS6detail15normal_iteratorINSA_10device_ptrIS5_EEEEPS6_mNSA_7greaterIS5_EEEE10hipError_tT0_T1_T2_jT3_P12ihipStream_tbPNSt15iterator_traitsISK_E10value_typeEPNSQ_ISL_E10value_typeEPSM_NS1_7vsmem_tEENKUlT_SK_SL_SM_E_clISF_PS5_SG_SG_EESJ_SZ_SK_SL_SM_EUlSZ_E0_NS1_11comp_targetILNS1_3genE9ELNS1_11target_archE1100ELNS1_3gpuE3ELNS1_3repE0EEENS1_38merge_mergepath_config_static_selectorELNS0_4arch9wavefront6targetE1EEEvSL_: ; @_ZN7rocprim17ROCPRIM_400000_NS6detail17trampoline_kernelINS0_14default_configENS1_38merge_sort_block_merge_config_selectorI14custom_numericNS0_10empty_typeEEEZZNS1_27merge_sort_block_merge_implIS3_N6thrust23THRUST_200600_302600_NS6detail15normal_iteratorINSA_10device_ptrIS5_EEEEPS6_mNSA_7greaterIS5_EEEE10hipError_tT0_T1_T2_jT3_P12ihipStream_tbPNSt15iterator_traitsISK_E10value_typeEPNSQ_ISL_E10value_typeEPSM_NS1_7vsmem_tEENKUlT_SK_SL_SM_E_clISF_PS5_SG_SG_EESJ_SZ_SK_SL_SM_EUlSZ_E0_NS1_11comp_targetILNS1_3genE9ELNS1_11target_archE1100ELNS1_3gpuE3ELNS1_3repE0EEENS1_38merge_mergepath_config_static_selectorELNS0_4arch9wavefront6targetE1EEEvSL_
; %bb.0:
	.section	.rodata,"a",@progbits
	.p2align	6, 0x0
	.amdhsa_kernel _ZN7rocprim17ROCPRIM_400000_NS6detail17trampoline_kernelINS0_14default_configENS1_38merge_sort_block_merge_config_selectorI14custom_numericNS0_10empty_typeEEEZZNS1_27merge_sort_block_merge_implIS3_N6thrust23THRUST_200600_302600_NS6detail15normal_iteratorINSA_10device_ptrIS5_EEEEPS6_mNSA_7greaterIS5_EEEE10hipError_tT0_T1_T2_jT3_P12ihipStream_tbPNSt15iterator_traitsISK_E10value_typeEPNSQ_ISL_E10value_typeEPSM_NS1_7vsmem_tEENKUlT_SK_SL_SM_E_clISF_PS5_SG_SG_EESJ_SZ_SK_SL_SM_EUlSZ_E0_NS1_11comp_targetILNS1_3genE9ELNS1_11target_archE1100ELNS1_3gpuE3ELNS1_3repE0EEENS1_38merge_mergepath_config_static_selectorELNS0_4arch9wavefront6targetE1EEEvSL_
		.amdhsa_group_segment_fixed_size 0
		.amdhsa_private_segment_fixed_size 0
		.amdhsa_kernarg_size 72
		.amdhsa_user_sgpr_count 6
		.amdhsa_user_sgpr_private_segment_buffer 1
		.amdhsa_user_sgpr_dispatch_ptr 0
		.amdhsa_user_sgpr_queue_ptr 0
		.amdhsa_user_sgpr_kernarg_segment_ptr 1
		.amdhsa_user_sgpr_dispatch_id 0
		.amdhsa_user_sgpr_flat_scratch_init 0
		.amdhsa_user_sgpr_kernarg_preload_length 0
		.amdhsa_user_sgpr_kernarg_preload_offset 0
		.amdhsa_user_sgpr_private_segment_size 0
		.amdhsa_uses_dynamic_stack 0
		.amdhsa_system_sgpr_private_segment_wavefront_offset 0
		.amdhsa_system_sgpr_workgroup_id_x 1
		.amdhsa_system_sgpr_workgroup_id_y 0
		.amdhsa_system_sgpr_workgroup_id_z 0
		.amdhsa_system_sgpr_workgroup_info 0
		.amdhsa_system_vgpr_workitem_id 0
		.amdhsa_next_free_vgpr 1
		.amdhsa_next_free_sgpr 0
		.amdhsa_accum_offset 4
		.amdhsa_reserve_vcc 0
		.amdhsa_reserve_flat_scratch 0
		.amdhsa_float_round_mode_32 0
		.amdhsa_float_round_mode_16_64 0
		.amdhsa_float_denorm_mode_32 3
		.amdhsa_float_denorm_mode_16_64 3
		.amdhsa_dx10_clamp 1
		.amdhsa_ieee_mode 1
		.amdhsa_fp16_overflow 0
		.amdhsa_tg_split 0
		.amdhsa_exception_fp_ieee_invalid_op 0
		.amdhsa_exception_fp_denorm_src 0
		.amdhsa_exception_fp_ieee_div_zero 0
		.amdhsa_exception_fp_ieee_overflow 0
		.amdhsa_exception_fp_ieee_underflow 0
		.amdhsa_exception_fp_ieee_inexact 0
		.amdhsa_exception_int_div_zero 0
	.end_amdhsa_kernel
	.section	.text._ZN7rocprim17ROCPRIM_400000_NS6detail17trampoline_kernelINS0_14default_configENS1_38merge_sort_block_merge_config_selectorI14custom_numericNS0_10empty_typeEEEZZNS1_27merge_sort_block_merge_implIS3_N6thrust23THRUST_200600_302600_NS6detail15normal_iteratorINSA_10device_ptrIS5_EEEEPS6_mNSA_7greaterIS5_EEEE10hipError_tT0_T1_T2_jT3_P12ihipStream_tbPNSt15iterator_traitsISK_E10value_typeEPNSQ_ISL_E10value_typeEPSM_NS1_7vsmem_tEENKUlT_SK_SL_SM_E_clISF_PS5_SG_SG_EESJ_SZ_SK_SL_SM_EUlSZ_E0_NS1_11comp_targetILNS1_3genE9ELNS1_11target_archE1100ELNS1_3gpuE3ELNS1_3repE0EEENS1_38merge_mergepath_config_static_selectorELNS0_4arch9wavefront6targetE1EEEvSL_,"axG",@progbits,_ZN7rocprim17ROCPRIM_400000_NS6detail17trampoline_kernelINS0_14default_configENS1_38merge_sort_block_merge_config_selectorI14custom_numericNS0_10empty_typeEEEZZNS1_27merge_sort_block_merge_implIS3_N6thrust23THRUST_200600_302600_NS6detail15normal_iteratorINSA_10device_ptrIS5_EEEEPS6_mNSA_7greaterIS5_EEEE10hipError_tT0_T1_T2_jT3_P12ihipStream_tbPNSt15iterator_traitsISK_E10value_typeEPNSQ_ISL_E10value_typeEPSM_NS1_7vsmem_tEENKUlT_SK_SL_SM_E_clISF_PS5_SG_SG_EESJ_SZ_SK_SL_SM_EUlSZ_E0_NS1_11comp_targetILNS1_3genE9ELNS1_11target_archE1100ELNS1_3gpuE3ELNS1_3repE0EEENS1_38merge_mergepath_config_static_selectorELNS0_4arch9wavefront6targetE1EEEvSL_,comdat
.Lfunc_end2680:
	.size	_ZN7rocprim17ROCPRIM_400000_NS6detail17trampoline_kernelINS0_14default_configENS1_38merge_sort_block_merge_config_selectorI14custom_numericNS0_10empty_typeEEEZZNS1_27merge_sort_block_merge_implIS3_N6thrust23THRUST_200600_302600_NS6detail15normal_iteratorINSA_10device_ptrIS5_EEEEPS6_mNSA_7greaterIS5_EEEE10hipError_tT0_T1_T2_jT3_P12ihipStream_tbPNSt15iterator_traitsISK_E10value_typeEPNSQ_ISL_E10value_typeEPSM_NS1_7vsmem_tEENKUlT_SK_SL_SM_E_clISF_PS5_SG_SG_EESJ_SZ_SK_SL_SM_EUlSZ_E0_NS1_11comp_targetILNS1_3genE9ELNS1_11target_archE1100ELNS1_3gpuE3ELNS1_3repE0EEENS1_38merge_mergepath_config_static_selectorELNS0_4arch9wavefront6targetE1EEEvSL_, .Lfunc_end2680-_ZN7rocprim17ROCPRIM_400000_NS6detail17trampoline_kernelINS0_14default_configENS1_38merge_sort_block_merge_config_selectorI14custom_numericNS0_10empty_typeEEEZZNS1_27merge_sort_block_merge_implIS3_N6thrust23THRUST_200600_302600_NS6detail15normal_iteratorINSA_10device_ptrIS5_EEEEPS6_mNSA_7greaterIS5_EEEE10hipError_tT0_T1_T2_jT3_P12ihipStream_tbPNSt15iterator_traitsISK_E10value_typeEPNSQ_ISL_E10value_typeEPSM_NS1_7vsmem_tEENKUlT_SK_SL_SM_E_clISF_PS5_SG_SG_EESJ_SZ_SK_SL_SM_EUlSZ_E0_NS1_11comp_targetILNS1_3genE9ELNS1_11target_archE1100ELNS1_3gpuE3ELNS1_3repE0EEENS1_38merge_mergepath_config_static_selectorELNS0_4arch9wavefront6targetE1EEEvSL_
                                        ; -- End function
	.section	.AMDGPU.csdata,"",@progbits
; Kernel info:
; codeLenInByte = 0
; NumSgprs: 4
; NumVgprs: 0
; NumAgprs: 0
; TotalNumVgprs: 0
; ScratchSize: 0
; MemoryBound: 0
; FloatMode: 240
; IeeeMode: 1
; LDSByteSize: 0 bytes/workgroup (compile time only)
; SGPRBlocks: 0
; VGPRBlocks: 0
; NumSGPRsForWavesPerEU: 4
; NumVGPRsForWavesPerEU: 1
; AccumOffset: 4
; Occupancy: 8
; WaveLimiterHint : 0
; COMPUTE_PGM_RSRC2:SCRATCH_EN: 0
; COMPUTE_PGM_RSRC2:USER_SGPR: 6
; COMPUTE_PGM_RSRC2:TRAP_HANDLER: 0
; COMPUTE_PGM_RSRC2:TGID_X_EN: 1
; COMPUTE_PGM_RSRC2:TGID_Y_EN: 0
; COMPUTE_PGM_RSRC2:TGID_Z_EN: 0
; COMPUTE_PGM_RSRC2:TIDIG_COMP_CNT: 0
; COMPUTE_PGM_RSRC3_GFX90A:ACCUM_OFFSET: 0
; COMPUTE_PGM_RSRC3_GFX90A:TG_SPLIT: 0
	.section	.text._ZN7rocprim17ROCPRIM_400000_NS6detail17trampoline_kernelINS0_14default_configENS1_38merge_sort_block_merge_config_selectorI14custom_numericNS0_10empty_typeEEEZZNS1_27merge_sort_block_merge_implIS3_N6thrust23THRUST_200600_302600_NS6detail15normal_iteratorINSA_10device_ptrIS5_EEEEPS6_mNSA_7greaterIS5_EEEE10hipError_tT0_T1_T2_jT3_P12ihipStream_tbPNSt15iterator_traitsISK_E10value_typeEPNSQ_ISL_E10value_typeEPSM_NS1_7vsmem_tEENKUlT_SK_SL_SM_E_clISF_PS5_SG_SG_EESJ_SZ_SK_SL_SM_EUlSZ_E0_NS1_11comp_targetILNS1_3genE8ELNS1_11target_archE1030ELNS1_3gpuE2ELNS1_3repE0EEENS1_38merge_mergepath_config_static_selectorELNS0_4arch9wavefront6targetE1EEEvSL_,"axG",@progbits,_ZN7rocprim17ROCPRIM_400000_NS6detail17trampoline_kernelINS0_14default_configENS1_38merge_sort_block_merge_config_selectorI14custom_numericNS0_10empty_typeEEEZZNS1_27merge_sort_block_merge_implIS3_N6thrust23THRUST_200600_302600_NS6detail15normal_iteratorINSA_10device_ptrIS5_EEEEPS6_mNSA_7greaterIS5_EEEE10hipError_tT0_T1_T2_jT3_P12ihipStream_tbPNSt15iterator_traitsISK_E10value_typeEPNSQ_ISL_E10value_typeEPSM_NS1_7vsmem_tEENKUlT_SK_SL_SM_E_clISF_PS5_SG_SG_EESJ_SZ_SK_SL_SM_EUlSZ_E0_NS1_11comp_targetILNS1_3genE8ELNS1_11target_archE1030ELNS1_3gpuE2ELNS1_3repE0EEENS1_38merge_mergepath_config_static_selectorELNS0_4arch9wavefront6targetE1EEEvSL_,comdat
	.protected	_ZN7rocprim17ROCPRIM_400000_NS6detail17trampoline_kernelINS0_14default_configENS1_38merge_sort_block_merge_config_selectorI14custom_numericNS0_10empty_typeEEEZZNS1_27merge_sort_block_merge_implIS3_N6thrust23THRUST_200600_302600_NS6detail15normal_iteratorINSA_10device_ptrIS5_EEEEPS6_mNSA_7greaterIS5_EEEE10hipError_tT0_T1_T2_jT3_P12ihipStream_tbPNSt15iterator_traitsISK_E10value_typeEPNSQ_ISL_E10value_typeEPSM_NS1_7vsmem_tEENKUlT_SK_SL_SM_E_clISF_PS5_SG_SG_EESJ_SZ_SK_SL_SM_EUlSZ_E0_NS1_11comp_targetILNS1_3genE8ELNS1_11target_archE1030ELNS1_3gpuE2ELNS1_3repE0EEENS1_38merge_mergepath_config_static_selectorELNS0_4arch9wavefront6targetE1EEEvSL_ ; -- Begin function _ZN7rocprim17ROCPRIM_400000_NS6detail17trampoline_kernelINS0_14default_configENS1_38merge_sort_block_merge_config_selectorI14custom_numericNS0_10empty_typeEEEZZNS1_27merge_sort_block_merge_implIS3_N6thrust23THRUST_200600_302600_NS6detail15normal_iteratorINSA_10device_ptrIS5_EEEEPS6_mNSA_7greaterIS5_EEEE10hipError_tT0_T1_T2_jT3_P12ihipStream_tbPNSt15iterator_traitsISK_E10value_typeEPNSQ_ISL_E10value_typeEPSM_NS1_7vsmem_tEENKUlT_SK_SL_SM_E_clISF_PS5_SG_SG_EESJ_SZ_SK_SL_SM_EUlSZ_E0_NS1_11comp_targetILNS1_3genE8ELNS1_11target_archE1030ELNS1_3gpuE2ELNS1_3repE0EEENS1_38merge_mergepath_config_static_selectorELNS0_4arch9wavefront6targetE1EEEvSL_
	.globl	_ZN7rocprim17ROCPRIM_400000_NS6detail17trampoline_kernelINS0_14default_configENS1_38merge_sort_block_merge_config_selectorI14custom_numericNS0_10empty_typeEEEZZNS1_27merge_sort_block_merge_implIS3_N6thrust23THRUST_200600_302600_NS6detail15normal_iteratorINSA_10device_ptrIS5_EEEEPS6_mNSA_7greaterIS5_EEEE10hipError_tT0_T1_T2_jT3_P12ihipStream_tbPNSt15iterator_traitsISK_E10value_typeEPNSQ_ISL_E10value_typeEPSM_NS1_7vsmem_tEENKUlT_SK_SL_SM_E_clISF_PS5_SG_SG_EESJ_SZ_SK_SL_SM_EUlSZ_E0_NS1_11comp_targetILNS1_3genE8ELNS1_11target_archE1030ELNS1_3gpuE2ELNS1_3repE0EEENS1_38merge_mergepath_config_static_selectorELNS0_4arch9wavefront6targetE1EEEvSL_
	.p2align	8
	.type	_ZN7rocprim17ROCPRIM_400000_NS6detail17trampoline_kernelINS0_14default_configENS1_38merge_sort_block_merge_config_selectorI14custom_numericNS0_10empty_typeEEEZZNS1_27merge_sort_block_merge_implIS3_N6thrust23THRUST_200600_302600_NS6detail15normal_iteratorINSA_10device_ptrIS5_EEEEPS6_mNSA_7greaterIS5_EEEE10hipError_tT0_T1_T2_jT3_P12ihipStream_tbPNSt15iterator_traitsISK_E10value_typeEPNSQ_ISL_E10value_typeEPSM_NS1_7vsmem_tEENKUlT_SK_SL_SM_E_clISF_PS5_SG_SG_EESJ_SZ_SK_SL_SM_EUlSZ_E0_NS1_11comp_targetILNS1_3genE8ELNS1_11target_archE1030ELNS1_3gpuE2ELNS1_3repE0EEENS1_38merge_mergepath_config_static_selectorELNS0_4arch9wavefront6targetE1EEEvSL_,@function
_ZN7rocprim17ROCPRIM_400000_NS6detail17trampoline_kernelINS0_14default_configENS1_38merge_sort_block_merge_config_selectorI14custom_numericNS0_10empty_typeEEEZZNS1_27merge_sort_block_merge_implIS3_N6thrust23THRUST_200600_302600_NS6detail15normal_iteratorINSA_10device_ptrIS5_EEEEPS6_mNSA_7greaterIS5_EEEE10hipError_tT0_T1_T2_jT3_P12ihipStream_tbPNSt15iterator_traitsISK_E10value_typeEPNSQ_ISL_E10value_typeEPSM_NS1_7vsmem_tEENKUlT_SK_SL_SM_E_clISF_PS5_SG_SG_EESJ_SZ_SK_SL_SM_EUlSZ_E0_NS1_11comp_targetILNS1_3genE8ELNS1_11target_archE1030ELNS1_3gpuE2ELNS1_3repE0EEENS1_38merge_mergepath_config_static_selectorELNS0_4arch9wavefront6targetE1EEEvSL_: ; @_ZN7rocprim17ROCPRIM_400000_NS6detail17trampoline_kernelINS0_14default_configENS1_38merge_sort_block_merge_config_selectorI14custom_numericNS0_10empty_typeEEEZZNS1_27merge_sort_block_merge_implIS3_N6thrust23THRUST_200600_302600_NS6detail15normal_iteratorINSA_10device_ptrIS5_EEEEPS6_mNSA_7greaterIS5_EEEE10hipError_tT0_T1_T2_jT3_P12ihipStream_tbPNSt15iterator_traitsISK_E10value_typeEPNSQ_ISL_E10value_typeEPSM_NS1_7vsmem_tEENKUlT_SK_SL_SM_E_clISF_PS5_SG_SG_EESJ_SZ_SK_SL_SM_EUlSZ_E0_NS1_11comp_targetILNS1_3genE8ELNS1_11target_archE1030ELNS1_3gpuE2ELNS1_3repE0EEENS1_38merge_mergepath_config_static_selectorELNS0_4arch9wavefront6targetE1EEEvSL_
; %bb.0:
	.section	.rodata,"a",@progbits
	.p2align	6, 0x0
	.amdhsa_kernel _ZN7rocprim17ROCPRIM_400000_NS6detail17trampoline_kernelINS0_14default_configENS1_38merge_sort_block_merge_config_selectorI14custom_numericNS0_10empty_typeEEEZZNS1_27merge_sort_block_merge_implIS3_N6thrust23THRUST_200600_302600_NS6detail15normal_iteratorINSA_10device_ptrIS5_EEEEPS6_mNSA_7greaterIS5_EEEE10hipError_tT0_T1_T2_jT3_P12ihipStream_tbPNSt15iterator_traitsISK_E10value_typeEPNSQ_ISL_E10value_typeEPSM_NS1_7vsmem_tEENKUlT_SK_SL_SM_E_clISF_PS5_SG_SG_EESJ_SZ_SK_SL_SM_EUlSZ_E0_NS1_11comp_targetILNS1_3genE8ELNS1_11target_archE1030ELNS1_3gpuE2ELNS1_3repE0EEENS1_38merge_mergepath_config_static_selectorELNS0_4arch9wavefront6targetE1EEEvSL_
		.amdhsa_group_segment_fixed_size 0
		.amdhsa_private_segment_fixed_size 0
		.amdhsa_kernarg_size 72
		.amdhsa_user_sgpr_count 6
		.amdhsa_user_sgpr_private_segment_buffer 1
		.amdhsa_user_sgpr_dispatch_ptr 0
		.amdhsa_user_sgpr_queue_ptr 0
		.amdhsa_user_sgpr_kernarg_segment_ptr 1
		.amdhsa_user_sgpr_dispatch_id 0
		.amdhsa_user_sgpr_flat_scratch_init 0
		.amdhsa_user_sgpr_kernarg_preload_length 0
		.amdhsa_user_sgpr_kernarg_preload_offset 0
		.amdhsa_user_sgpr_private_segment_size 0
		.amdhsa_uses_dynamic_stack 0
		.amdhsa_system_sgpr_private_segment_wavefront_offset 0
		.amdhsa_system_sgpr_workgroup_id_x 1
		.amdhsa_system_sgpr_workgroup_id_y 0
		.amdhsa_system_sgpr_workgroup_id_z 0
		.amdhsa_system_sgpr_workgroup_info 0
		.amdhsa_system_vgpr_workitem_id 0
		.amdhsa_next_free_vgpr 1
		.amdhsa_next_free_sgpr 0
		.amdhsa_accum_offset 4
		.amdhsa_reserve_vcc 0
		.amdhsa_reserve_flat_scratch 0
		.amdhsa_float_round_mode_32 0
		.amdhsa_float_round_mode_16_64 0
		.amdhsa_float_denorm_mode_32 3
		.amdhsa_float_denorm_mode_16_64 3
		.amdhsa_dx10_clamp 1
		.amdhsa_ieee_mode 1
		.amdhsa_fp16_overflow 0
		.amdhsa_tg_split 0
		.amdhsa_exception_fp_ieee_invalid_op 0
		.amdhsa_exception_fp_denorm_src 0
		.amdhsa_exception_fp_ieee_div_zero 0
		.amdhsa_exception_fp_ieee_overflow 0
		.amdhsa_exception_fp_ieee_underflow 0
		.amdhsa_exception_fp_ieee_inexact 0
		.amdhsa_exception_int_div_zero 0
	.end_amdhsa_kernel
	.section	.text._ZN7rocprim17ROCPRIM_400000_NS6detail17trampoline_kernelINS0_14default_configENS1_38merge_sort_block_merge_config_selectorI14custom_numericNS0_10empty_typeEEEZZNS1_27merge_sort_block_merge_implIS3_N6thrust23THRUST_200600_302600_NS6detail15normal_iteratorINSA_10device_ptrIS5_EEEEPS6_mNSA_7greaterIS5_EEEE10hipError_tT0_T1_T2_jT3_P12ihipStream_tbPNSt15iterator_traitsISK_E10value_typeEPNSQ_ISL_E10value_typeEPSM_NS1_7vsmem_tEENKUlT_SK_SL_SM_E_clISF_PS5_SG_SG_EESJ_SZ_SK_SL_SM_EUlSZ_E0_NS1_11comp_targetILNS1_3genE8ELNS1_11target_archE1030ELNS1_3gpuE2ELNS1_3repE0EEENS1_38merge_mergepath_config_static_selectorELNS0_4arch9wavefront6targetE1EEEvSL_,"axG",@progbits,_ZN7rocprim17ROCPRIM_400000_NS6detail17trampoline_kernelINS0_14default_configENS1_38merge_sort_block_merge_config_selectorI14custom_numericNS0_10empty_typeEEEZZNS1_27merge_sort_block_merge_implIS3_N6thrust23THRUST_200600_302600_NS6detail15normal_iteratorINSA_10device_ptrIS5_EEEEPS6_mNSA_7greaterIS5_EEEE10hipError_tT0_T1_T2_jT3_P12ihipStream_tbPNSt15iterator_traitsISK_E10value_typeEPNSQ_ISL_E10value_typeEPSM_NS1_7vsmem_tEENKUlT_SK_SL_SM_E_clISF_PS5_SG_SG_EESJ_SZ_SK_SL_SM_EUlSZ_E0_NS1_11comp_targetILNS1_3genE8ELNS1_11target_archE1030ELNS1_3gpuE2ELNS1_3repE0EEENS1_38merge_mergepath_config_static_selectorELNS0_4arch9wavefront6targetE1EEEvSL_,comdat
.Lfunc_end2681:
	.size	_ZN7rocprim17ROCPRIM_400000_NS6detail17trampoline_kernelINS0_14default_configENS1_38merge_sort_block_merge_config_selectorI14custom_numericNS0_10empty_typeEEEZZNS1_27merge_sort_block_merge_implIS3_N6thrust23THRUST_200600_302600_NS6detail15normal_iteratorINSA_10device_ptrIS5_EEEEPS6_mNSA_7greaterIS5_EEEE10hipError_tT0_T1_T2_jT3_P12ihipStream_tbPNSt15iterator_traitsISK_E10value_typeEPNSQ_ISL_E10value_typeEPSM_NS1_7vsmem_tEENKUlT_SK_SL_SM_E_clISF_PS5_SG_SG_EESJ_SZ_SK_SL_SM_EUlSZ_E0_NS1_11comp_targetILNS1_3genE8ELNS1_11target_archE1030ELNS1_3gpuE2ELNS1_3repE0EEENS1_38merge_mergepath_config_static_selectorELNS0_4arch9wavefront6targetE1EEEvSL_, .Lfunc_end2681-_ZN7rocprim17ROCPRIM_400000_NS6detail17trampoline_kernelINS0_14default_configENS1_38merge_sort_block_merge_config_selectorI14custom_numericNS0_10empty_typeEEEZZNS1_27merge_sort_block_merge_implIS3_N6thrust23THRUST_200600_302600_NS6detail15normal_iteratorINSA_10device_ptrIS5_EEEEPS6_mNSA_7greaterIS5_EEEE10hipError_tT0_T1_T2_jT3_P12ihipStream_tbPNSt15iterator_traitsISK_E10value_typeEPNSQ_ISL_E10value_typeEPSM_NS1_7vsmem_tEENKUlT_SK_SL_SM_E_clISF_PS5_SG_SG_EESJ_SZ_SK_SL_SM_EUlSZ_E0_NS1_11comp_targetILNS1_3genE8ELNS1_11target_archE1030ELNS1_3gpuE2ELNS1_3repE0EEENS1_38merge_mergepath_config_static_selectorELNS0_4arch9wavefront6targetE1EEEvSL_
                                        ; -- End function
	.section	.AMDGPU.csdata,"",@progbits
; Kernel info:
; codeLenInByte = 0
; NumSgprs: 4
; NumVgprs: 0
; NumAgprs: 0
; TotalNumVgprs: 0
; ScratchSize: 0
; MemoryBound: 0
; FloatMode: 240
; IeeeMode: 1
; LDSByteSize: 0 bytes/workgroup (compile time only)
; SGPRBlocks: 0
; VGPRBlocks: 0
; NumSGPRsForWavesPerEU: 4
; NumVGPRsForWavesPerEU: 1
; AccumOffset: 4
; Occupancy: 8
; WaveLimiterHint : 0
; COMPUTE_PGM_RSRC2:SCRATCH_EN: 0
; COMPUTE_PGM_RSRC2:USER_SGPR: 6
; COMPUTE_PGM_RSRC2:TRAP_HANDLER: 0
; COMPUTE_PGM_RSRC2:TGID_X_EN: 1
; COMPUTE_PGM_RSRC2:TGID_Y_EN: 0
; COMPUTE_PGM_RSRC2:TGID_Z_EN: 0
; COMPUTE_PGM_RSRC2:TIDIG_COMP_CNT: 0
; COMPUTE_PGM_RSRC3_GFX90A:ACCUM_OFFSET: 0
; COMPUTE_PGM_RSRC3_GFX90A:TG_SPLIT: 0
	.section	.text._ZN7rocprim17ROCPRIM_400000_NS6detail17trampoline_kernelINS0_14default_configENS1_38merge_sort_block_merge_config_selectorI14custom_numericNS0_10empty_typeEEEZZNS1_27merge_sort_block_merge_implIS3_N6thrust23THRUST_200600_302600_NS6detail15normal_iteratorINSA_10device_ptrIS5_EEEEPS6_mNSA_7greaterIS5_EEEE10hipError_tT0_T1_T2_jT3_P12ihipStream_tbPNSt15iterator_traitsISK_E10value_typeEPNSQ_ISL_E10value_typeEPSM_NS1_7vsmem_tEENKUlT_SK_SL_SM_E_clISF_PS5_SG_SG_EESJ_SZ_SK_SL_SM_EUlSZ_E1_NS1_11comp_targetILNS1_3genE0ELNS1_11target_archE4294967295ELNS1_3gpuE0ELNS1_3repE0EEENS1_36merge_oddeven_config_static_selectorELNS0_4arch9wavefront6targetE1EEEvSL_,"axG",@progbits,_ZN7rocprim17ROCPRIM_400000_NS6detail17trampoline_kernelINS0_14default_configENS1_38merge_sort_block_merge_config_selectorI14custom_numericNS0_10empty_typeEEEZZNS1_27merge_sort_block_merge_implIS3_N6thrust23THRUST_200600_302600_NS6detail15normal_iteratorINSA_10device_ptrIS5_EEEEPS6_mNSA_7greaterIS5_EEEE10hipError_tT0_T1_T2_jT3_P12ihipStream_tbPNSt15iterator_traitsISK_E10value_typeEPNSQ_ISL_E10value_typeEPSM_NS1_7vsmem_tEENKUlT_SK_SL_SM_E_clISF_PS5_SG_SG_EESJ_SZ_SK_SL_SM_EUlSZ_E1_NS1_11comp_targetILNS1_3genE0ELNS1_11target_archE4294967295ELNS1_3gpuE0ELNS1_3repE0EEENS1_36merge_oddeven_config_static_selectorELNS0_4arch9wavefront6targetE1EEEvSL_,comdat
	.protected	_ZN7rocprim17ROCPRIM_400000_NS6detail17trampoline_kernelINS0_14default_configENS1_38merge_sort_block_merge_config_selectorI14custom_numericNS0_10empty_typeEEEZZNS1_27merge_sort_block_merge_implIS3_N6thrust23THRUST_200600_302600_NS6detail15normal_iteratorINSA_10device_ptrIS5_EEEEPS6_mNSA_7greaterIS5_EEEE10hipError_tT0_T1_T2_jT3_P12ihipStream_tbPNSt15iterator_traitsISK_E10value_typeEPNSQ_ISL_E10value_typeEPSM_NS1_7vsmem_tEENKUlT_SK_SL_SM_E_clISF_PS5_SG_SG_EESJ_SZ_SK_SL_SM_EUlSZ_E1_NS1_11comp_targetILNS1_3genE0ELNS1_11target_archE4294967295ELNS1_3gpuE0ELNS1_3repE0EEENS1_36merge_oddeven_config_static_selectorELNS0_4arch9wavefront6targetE1EEEvSL_ ; -- Begin function _ZN7rocprim17ROCPRIM_400000_NS6detail17trampoline_kernelINS0_14default_configENS1_38merge_sort_block_merge_config_selectorI14custom_numericNS0_10empty_typeEEEZZNS1_27merge_sort_block_merge_implIS3_N6thrust23THRUST_200600_302600_NS6detail15normal_iteratorINSA_10device_ptrIS5_EEEEPS6_mNSA_7greaterIS5_EEEE10hipError_tT0_T1_T2_jT3_P12ihipStream_tbPNSt15iterator_traitsISK_E10value_typeEPNSQ_ISL_E10value_typeEPSM_NS1_7vsmem_tEENKUlT_SK_SL_SM_E_clISF_PS5_SG_SG_EESJ_SZ_SK_SL_SM_EUlSZ_E1_NS1_11comp_targetILNS1_3genE0ELNS1_11target_archE4294967295ELNS1_3gpuE0ELNS1_3repE0EEENS1_36merge_oddeven_config_static_selectorELNS0_4arch9wavefront6targetE1EEEvSL_
	.globl	_ZN7rocprim17ROCPRIM_400000_NS6detail17trampoline_kernelINS0_14default_configENS1_38merge_sort_block_merge_config_selectorI14custom_numericNS0_10empty_typeEEEZZNS1_27merge_sort_block_merge_implIS3_N6thrust23THRUST_200600_302600_NS6detail15normal_iteratorINSA_10device_ptrIS5_EEEEPS6_mNSA_7greaterIS5_EEEE10hipError_tT0_T1_T2_jT3_P12ihipStream_tbPNSt15iterator_traitsISK_E10value_typeEPNSQ_ISL_E10value_typeEPSM_NS1_7vsmem_tEENKUlT_SK_SL_SM_E_clISF_PS5_SG_SG_EESJ_SZ_SK_SL_SM_EUlSZ_E1_NS1_11comp_targetILNS1_3genE0ELNS1_11target_archE4294967295ELNS1_3gpuE0ELNS1_3repE0EEENS1_36merge_oddeven_config_static_selectorELNS0_4arch9wavefront6targetE1EEEvSL_
	.p2align	8
	.type	_ZN7rocprim17ROCPRIM_400000_NS6detail17trampoline_kernelINS0_14default_configENS1_38merge_sort_block_merge_config_selectorI14custom_numericNS0_10empty_typeEEEZZNS1_27merge_sort_block_merge_implIS3_N6thrust23THRUST_200600_302600_NS6detail15normal_iteratorINSA_10device_ptrIS5_EEEEPS6_mNSA_7greaterIS5_EEEE10hipError_tT0_T1_T2_jT3_P12ihipStream_tbPNSt15iterator_traitsISK_E10value_typeEPNSQ_ISL_E10value_typeEPSM_NS1_7vsmem_tEENKUlT_SK_SL_SM_E_clISF_PS5_SG_SG_EESJ_SZ_SK_SL_SM_EUlSZ_E1_NS1_11comp_targetILNS1_3genE0ELNS1_11target_archE4294967295ELNS1_3gpuE0ELNS1_3repE0EEENS1_36merge_oddeven_config_static_selectorELNS0_4arch9wavefront6targetE1EEEvSL_,@function
_ZN7rocprim17ROCPRIM_400000_NS6detail17trampoline_kernelINS0_14default_configENS1_38merge_sort_block_merge_config_selectorI14custom_numericNS0_10empty_typeEEEZZNS1_27merge_sort_block_merge_implIS3_N6thrust23THRUST_200600_302600_NS6detail15normal_iteratorINSA_10device_ptrIS5_EEEEPS6_mNSA_7greaterIS5_EEEE10hipError_tT0_T1_T2_jT3_P12ihipStream_tbPNSt15iterator_traitsISK_E10value_typeEPNSQ_ISL_E10value_typeEPSM_NS1_7vsmem_tEENKUlT_SK_SL_SM_E_clISF_PS5_SG_SG_EESJ_SZ_SK_SL_SM_EUlSZ_E1_NS1_11comp_targetILNS1_3genE0ELNS1_11target_archE4294967295ELNS1_3gpuE0ELNS1_3repE0EEENS1_36merge_oddeven_config_static_selectorELNS0_4arch9wavefront6targetE1EEEvSL_: ; @_ZN7rocprim17ROCPRIM_400000_NS6detail17trampoline_kernelINS0_14default_configENS1_38merge_sort_block_merge_config_selectorI14custom_numericNS0_10empty_typeEEEZZNS1_27merge_sort_block_merge_implIS3_N6thrust23THRUST_200600_302600_NS6detail15normal_iteratorINSA_10device_ptrIS5_EEEEPS6_mNSA_7greaterIS5_EEEE10hipError_tT0_T1_T2_jT3_P12ihipStream_tbPNSt15iterator_traitsISK_E10value_typeEPNSQ_ISL_E10value_typeEPSM_NS1_7vsmem_tEENKUlT_SK_SL_SM_E_clISF_PS5_SG_SG_EESJ_SZ_SK_SL_SM_EUlSZ_E1_NS1_11comp_targetILNS1_3genE0ELNS1_11target_archE4294967295ELNS1_3gpuE0ELNS1_3repE0EEENS1_36merge_oddeven_config_static_selectorELNS0_4arch9wavefront6targetE1EEEvSL_
; %bb.0:
	.section	.rodata,"a",@progbits
	.p2align	6, 0x0
	.amdhsa_kernel _ZN7rocprim17ROCPRIM_400000_NS6detail17trampoline_kernelINS0_14default_configENS1_38merge_sort_block_merge_config_selectorI14custom_numericNS0_10empty_typeEEEZZNS1_27merge_sort_block_merge_implIS3_N6thrust23THRUST_200600_302600_NS6detail15normal_iteratorINSA_10device_ptrIS5_EEEEPS6_mNSA_7greaterIS5_EEEE10hipError_tT0_T1_T2_jT3_P12ihipStream_tbPNSt15iterator_traitsISK_E10value_typeEPNSQ_ISL_E10value_typeEPSM_NS1_7vsmem_tEENKUlT_SK_SL_SM_E_clISF_PS5_SG_SG_EESJ_SZ_SK_SL_SM_EUlSZ_E1_NS1_11comp_targetILNS1_3genE0ELNS1_11target_archE4294967295ELNS1_3gpuE0ELNS1_3repE0EEENS1_36merge_oddeven_config_static_selectorELNS0_4arch9wavefront6targetE1EEEvSL_
		.amdhsa_group_segment_fixed_size 0
		.amdhsa_private_segment_fixed_size 0
		.amdhsa_kernarg_size 56
		.amdhsa_user_sgpr_count 6
		.amdhsa_user_sgpr_private_segment_buffer 1
		.amdhsa_user_sgpr_dispatch_ptr 0
		.amdhsa_user_sgpr_queue_ptr 0
		.amdhsa_user_sgpr_kernarg_segment_ptr 1
		.amdhsa_user_sgpr_dispatch_id 0
		.amdhsa_user_sgpr_flat_scratch_init 0
		.amdhsa_user_sgpr_kernarg_preload_length 0
		.amdhsa_user_sgpr_kernarg_preload_offset 0
		.amdhsa_user_sgpr_private_segment_size 0
		.amdhsa_uses_dynamic_stack 0
		.amdhsa_system_sgpr_private_segment_wavefront_offset 0
		.amdhsa_system_sgpr_workgroup_id_x 1
		.amdhsa_system_sgpr_workgroup_id_y 0
		.amdhsa_system_sgpr_workgroup_id_z 0
		.amdhsa_system_sgpr_workgroup_info 0
		.amdhsa_system_vgpr_workitem_id 0
		.amdhsa_next_free_vgpr 1
		.amdhsa_next_free_sgpr 0
		.amdhsa_accum_offset 4
		.amdhsa_reserve_vcc 0
		.amdhsa_reserve_flat_scratch 0
		.amdhsa_float_round_mode_32 0
		.amdhsa_float_round_mode_16_64 0
		.amdhsa_float_denorm_mode_32 3
		.amdhsa_float_denorm_mode_16_64 3
		.amdhsa_dx10_clamp 1
		.amdhsa_ieee_mode 1
		.amdhsa_fp16_overflow 0
		.amdhsa_tg_split 0
		.amdhsa_exception_fp_ieee_invalid_op 0
		.amdhsa_exception_fp_denorm_src 0
		.amdhsa_exception_fp_ieee_div_zero 0
		.amdhsa_exception_fp_ieee_overflow 0
		.amdhsa_exception_fp_ieee_underflow 0
		.amdhsa_exception_fp_ieee_inexact 0
		.amdhsa_exception_int_div_zero 0
	.end_amdhsa_kernel
	.section	.text._ZN7rocprim17ROCPRIM_400000_NS6detail17trampoline_kernelINS0_14default_configENS1_38merge_sort_block_merge_config_selectorI14custom_numericNS0_10empty_typeEEEZZNS1_27merge_sort_block_merge_implIS3_N6thrust23THRUST_200600_302600_NS6detail15normal_iteratorINSA_10device_ptrIS5_EEEEPS6_mNSA_7greaterIS5_EEEE10hipError_tT0_T1_T2_jT3_P12ihipStream_tbPNSt15iterator_traitsISK_E10value_typeEPNSQ_ISL_E10value_typeEPSM_NS1_7vsmem_tEENKUlT_SK_SL_SM_E_clISF_PS5_SG_SG_EESJ_SZ_SK_SL_SM_EUlSZ_E1_NS1_11comp_targetILNS1_3genE0ELNS1_11target_archE4294967295ELNS1_3gpuE0ELNS1_3repE0EEENS1_36merge_oddeven_config_static_selectorELNS0_4arch9wavefront6targetE1EEEvSL_,"axG",@progbits,_ZN7rocprim17ROCPRIM_400000_NS6detail17trampoline_kernelINS0_14default_configENS1_38merge_sort_block_merge_config_selectorI14custom_numericNS0_10empty_typeEEEZZNS1_27merge_sort_block_merge_implIS3_N6thrust23THRUST_200600_302600_NS6detail15normal_iteratorINSA_10device_ptrIS5_EEEEPS6_mNSA_7greaterIS5_EEEE10hipError_tT0_T1_T2_jT3_P12ihipStream_tbPNSt15iterator_traitsISK_E10value_typeEPNSQ_ISL_E10value_typeEPSM_NS1_7vsmem_tEENKUlT_SK_SL_SM_E_clISF_PS5_SG_SG_EESJ_SZ_SK_SL_SM_EUlSZ_E1_NS1_11comp_targetILNS1_3genE0ELNS1_11target_archE4294967295ELNS1_3gpuE0ELNS1_3repE0EEENS1_36merge_oddeven_config_static_selectorELNS0_4arch9wavefront6targetE1EEEvSL_,comdat
.Lfunc_end2682:
	.size	_ZN7rocprim17ROCPRIM_400000_NS6detail17trampoline_kernelINS0_14default_configENS1_38merge_sort_block_merge_config_selectorI14custom_numericNS0_10empty_typeEEEZZNS1_27merge_sort_block_merge_implIS3_N6thrust23THRUST_200600_302600_NS6detail15normal_iteratorINSA_10device_ptrIS5_EEEEPS6_mNSA_7greaterIS5_EEEE10hipError_tT0_T1_T2_jT3_P12ihipStream_tbPNSt15iterator_traitsISK_E10value_typeEPNSQ_ISL_E10value_typeEPSM_NS1_7vsmem_tEENKUlT_SK_SL_SM_E_clISF_PS5_SG_SG_EESJ_SZ_SK_SL_SM_EUlSZ_E1_NS1_11comp_targetILNS1_3genE0ELNS1_11target_archE4294967295ELNS1_3gpuE0ELNS1_3repE0EEENS1_36merge_oddeven_config_static_selectorELNS0_4arch9wavefront6targetE1EEEvSL_, .Lfunc_end2682-_ZN7rocprim17ROCPRIM_400000_NS6detail17trampoline_kernelINS0_14default_configENS1_38merge_sort_block_merge_config_selectorI14custom_numericNS0_10empty_typeEEEZZNS1_27merge_sort_block_merge_implIS3_N6thrust23THRUST_200600_302600_NS6detail15normal_iteratorINSA_10device_ptrIS5_EEEEPS6_mNSA_7greaterIS5_EEEE10hipError_tT0_T1_T2_jT3_P12ihipStream_tbPNSt15iterator_traitsISK_E10value_typeEPNSQ_ISL_E10value_typeEPSM_NS1_7vsmem_tEENKUlT_SK_SL_SM_E_clISF_PS5_SG_SG_EESJ_SZ_SK_SL_SM_EUlSZ_E1_NS1_11comp_targetILNS1_3genE0ELNS1_11target_archE4294967295ELNS1_3gpuE0ELNS1_3repE0EEENS1_36merge_oddeven_config_static_selectorELNS0_4arch9wavefront6targetE1EEEvSL_
                                        ; -- End function
	.section	.AMDGPU.csdata,"",@progbits
; Kernel info:
; codeLenInByte = 0
; NumSgprs: 4
; NumVgprs: 0
; NumAgprs: 0
; TotalNumVgprs: 0
; ScratchSize: 0
; MemoryBound: 0
; FloatMode: 240
; IeeeMode: 1
; LDSByteSize: 0 bytes/workgroup (compile time only)
; SGPRBlocks: 0
; VGPRBlocks: 0
; NumSGPRsForWavesPerEU: 4
; NumVGPRsForWavesPerEU: 1
; AccumOffset: 4
; Occupancy: 8
; WaveLimiterHint : 0
; COMPUTE_PGM_RSRC2:SCRATCH_EN: 0
; COMPUTE_PGM_RSRC2:USER_SGPR: 6
; COMPUTE_PGM_RSRC2:TRAP_HANDLER: 0
; COMPUTE_PGM_RSRC2:TGID_X_EN: 1
; COMPUTE_PGM_RSRC2:TGID_Y_EN: 0
; COMPUTE_PGM_RSRC2:TGID_Z_EN: 0
; COMPUTE_PGM_RSRC2:TIDIG_COMP_CNT: 0
; COMPUTE_PGM_RSRC3_GFX90A:ACCUM_OFFSET: 0
; COMPUTE_PGM_RSRC3_GFX90A:TG_SPLIT: 0
	.section	.text._ZN7rocprim17ROCPRIM_400000_NS6detail17trampoline_kernelINS0_14default_configENS1_38merge_sort_block_merge_config_selectorI14custom_numericNS0_10empty_typeEEEZZNS1_27merge_sort_block_merge_implIS3_N6thrust23THRUST_200600_302600_NS6detail15normal_iteratorINSA_10device_ptrIS5_EEEEPS6_mNSA_7greaterIS5_EEEE10hipError_tT0_T1_T2_jT3_P12ihipStream_tbPNSt15iterator_traitsISK_E10value_typeEPNSQ_ISL_E10value_typeEPSM_NS1_7vsmem_tEENKUlT_SK_SL_SM_E_clISF_PS5_SG_SG_EESJ_SZ_SK_SL_SM_EUlSZ_E1_NS1_11comp_targetILNS1_3genE10ELNS1_11target_archE1201ELNS1_3gpuE5ELNS1_3repE0EEENS1_36merge_oddeven_config_static_selectorELNS0_4arch9wavefront6targetE1EEEvSL_,"axG",@progbits,_ZN7rocprim17ROCPRIM_400000_NS6detail17trampoline_kernelINS0_14default_configENS1_38merge_sort_block_merge_config_selectorI14custom_numericNS0_10empty_typeEEEZZNS1_27merge_sort_block_merge_implIS3_N6thrust23THRUST_200600_302600_NS6detail15normal_iteratorINSA_10device_ptrIS5_EEEEPS6_mNSA_7greaterIS5_EEEE10hipError_tT0_T1_T2_jT3_P12ihipStream_tbPNSt15iterator_traitsISK_E10value_typeEPNSQ_ISL_E10value_typeEPSM_NS1_7vsmem_tEENKUlT_SK_SL_SM_E_clISF_PS5_SG_SG_EESJ_SZ_SK_SL_SM_EUlSZ_E1_NS1_11comp_targetILNS1_3genE10ELNS1_11target_archE1201ELNS1_3gpuE5ELNS1_3repE0EEENS1_36merge_oddeven_config_static_selectorELNS0_4arch9wavefront6targetE1EEEvSL_,comdat
	.protected	_ZN7rocprim17ROCPRIM_400000_NS6detail17trampoline_kernelINS0_14default_configENS1_38merge_sort_block_merge_config_selectorI14custom_numericNS0_10empty_typeEEEZZNS1_27merge_sort_block_merge_implIS3_N6thrust23THRUST_200600_302600_NS6detail15normal_iteratorINSA_10device_ptrIS5_EEEEPS6_mNSA_7greaterIS5_EEEE10hipError_tT0_T1_T2_jT3_P12ihipStream_tbPNSt15iterator_traitsISK_E10value_typeEPNSQ_ISL_E10value_typeEPSM_NS1_7vsmem_tEENKUlT_SK_SL_SM_E_clISF_PS5_SG_SG_EESJ_SZ_SK_SL_SM_EUlSZ_E1_NS1_11comp_targetILNS1_3genE10ELNS1_11target_archE1201ELNS1_3gpuE5ELNS1_3repE0EEENS1_36merge_oddeven_config_static_selectorELNS0_4arch9wavefront6targetE1EEEvSL_ ; -- Begin function _ZN7rocprim17ROCPRIM_400000_NS6detail17trampoline_kernelINS0_14default_configENS1_38merge_sort_block_merge_config_selectorI14custom_numericNS0_10empty_typeEEEZZNS1_27merge_sort_block_merge_implIS3_N6thrust23THRUST_200600_302600_NS6detail15normal_iteratorINSA_10device_ptrIS5_EEEEPS6_mNSA_7greaterIS5_EEEE10hipError_tT0_T1_T2_jT3_P12ihipStream_tbPNSt15iterator_traitsISK_E10value_typeEPNSQ_ISL_E10value_typeEPSM_NS1_7vsmem_tEENKUlT_SK_SL_SM_E_clISF_PS5_SG_SG_EESJ_SZ_SK_SL_SM_EUlSZ_E1_NS1_11comp_targetILNS1_3genE10ELNS1_11target_archE1201ELNS1_3gpuE5ELNS1_3repE0EEENS1_36merge_oddeven_config_static_selectorELNS0_4arch9wavefront6targetE1EEEvSL_
	.globl	_ZN7rocprim17ROCPRIM_400000_NS6detail17trampoline_kernelINS0_14default_configENS1_38merge_sort_block_merge_config_selectorI14custom_numericNS0_10empty_typeEEEZZNS1_27merge_sort_block_merge_implIS3_N6thrust23THRUST_200600_302600_NS6detail15normal_iteratorINSA_10device_ptrIS5_EEEEPS6_mNSA_7greaterIS5_EEEE10hipError_tT0_T1_T2_jT3_P12ihipStream_tbPNSt15iterator_traitsISK_E10value_typeEPNSQ_ISL_E10value_typeEPSM_NS1_7vsmem_tEENKUlT_SK_SL_SM_E_clISF_PS5_SG_SG_EESJ_SZ_SK_SL_SM_EUlSZ_E1_NS1_11comp_targetILNS1_3genE10ELNS1_11target_archE1201ELNS1_3gpuE5ELNS1_3repE0EEENS1_36merge_oddeven_config_static_selectorELNS0_4arch9wavefront6targetE1EEEvSL_
	.p2align	8
	.type	_ZN7rocprim17ROCPRIM_400000_NS6detail17trampoline_kernelINS0_14default_configENS1_38merge_sort_block_merge_config_selectorI14custom_numericNS0_10empty_typeEEEZZNS1_27merge_sort_block_merge_implIS3_N6thrust23THRUST_200600_302600_NS6detail15normal_iteratorINSA_10device_ptrIS5_EEEEPS6_mNSA_7greaterIS5_EEEE10hipError_tT0_T1_T2_jT3_P12ihipStream_tbPNSt15iterator_traitsISK_E10value_typeEPNSQ_ISL_E10value_typeEPSM_NS1_7vsmem_tEENKUlT_SK_SL_SM_E_clISF_PS5_SG_SG_EESJ_SZ_SK_SL_SM_EUlSZ_E1_NS1_11comp_targetILNS1_3genE10ELNS1_11target_archE1201ELNS1_3gpuE5ELNS1_3repE0EEENS1_36merge_oddeven_config_static_selectorELNS0_4arch9wavefront6targetE1EEEvSL_,@function
_ZN7rocprim17ROCPRIM_400000_NS6detail17trampoline_kernelINS0_14default_configENS1_38merge_sort_block_merge_config_selectorI14custom_numericNS0_10empty_typeEEEZZNS1_27merge_sort_block_merge_implIS3_N6thrust23THRUST_200600_302600_NS6detail15normal_iteratorINSA_10device_ptrIS5_EEEEPS6_mNSA_7greaterIS5_EEEE10hipError_tT0_T1_T2_jT3_P12ihipStream_tbPNSt15iterator_traitsISK_E10value_typeEPNSQ_ISL_E10value_typeEPSM_NS1_7vsmem_tEENKUlT_SK_SL_SM_E_clISF_PS5_SG_SG_EESJ_SZ_SK_SL_SM_EUlSZ_E1_NS1_11comp_targetILNS1_3genE10ELNS1_11target_archE1201ELNS1_3gpuE5ELNS1_3repE0EEENS1_36merge_oddeven_config_static_selectorELNS0_4arch9wavefront6targetE1EEEvSL_: ; @_ZN7rocprim17ROCPRIM_400000_NS6detail17trampoline_kernelINS0_14default_configENS1_38merge_sort_block_merge_config_selectorI14custom_numericNS0_10empty_typeEEEZZNS1_27merge_sort_block_merge_implIS3_N6thrust23THRUST_200600_302600_NS6detail15normal_iteratorINSA_10device_ptrIS5_EEEEPS6_mNSA_7greaterIS5_EEEE10hipError_tT0_T1_T2_jT3_P12ihipStream_tbPNSt15iterator_traitsISK_E10value_typeEPNSQ_ISL_E10value_typeEPSM_NS1_7vsmem_tEENKUlT_SK_SL_SM_E_clISF_PS5_SG_SG_EESJ_SZ_SK_SL_SM_EUlSZ_E1_NS1_11comp_targetILNS1_3genE10ELNS1_11target_archE1201ELNS1_3gpuE5ELNS1_3repE0EEENS1_36merge_oddeven_config_static_selectorELNS0_4arch9wavefront6targetE1EEEvSL_
; %bb.0:
	.section	.rodata,"a",@progbits
	.p2align	6, 0x0
	.amdhsa_kernel _ZN7rocprim17ROCPRIM_400000_NS6detail17trampoline_kernelINS0_14default_configENS1_38merge_sort_block_merge_config_selectorI14custom_numericNS0_10empty_typeEEEZZNS1_27merge_sort_block_merge_implIS3_N6thrust23THRUST_200600_302600_NS6detail15normal_iteratorINSA_10device_ptrIS5_EEEEPS6_mNSA_7greaterIS5_EEEE10hipError_tT0_T1_T2_jT3_P12ihipStream_tbPNSt15iterator_traitsISK_E10value_typeEPNSQ_ISL_E10value_typeEPSM_NS1_7vsmem_tEENKUlT_SK_SL_SM_E_clISF_PS5_SG_SG_EESJ_SZ_SK_SL_SM_EUlSZ_E1_NS1_11comp_targetILNS1_3genE10ELNS1_11target_archE1201ELNS1_3gpuE5ELNS1_3repE0EEENS1_36merge_oddeven_config_static_selectorELNS0_4arch9wavefront6targetE1EEEvSL_
		.amdhsa_group_segment_fixed_size 0
		.amdhsa_private_segment_fixed_size 0
		.amdhsa_kernarg_size 56
		.amdhsa_user_sgpr_count 6
		.amdhsa_user_sgpr_private_segment_buffer 1
		.amdhsa_user_sgpr_dispatch_ptr 0
		.amdhsa_user_sgpr_queue_ptr 0
		.amdhsa_user_sgpr_kernarg_segment_ptr 1
		.amdhsa_user_sgpr_dispatch_id 0
		.amdhsa_user_sgpr_flat_scratch_init 0
		.amdhsa_user_sgpr_kernarg_preload_length 0
		.amdhsa_user_sgpr_kernarg_preload_offset 0
		.amdhsa_user_sgpr_private_segment_size 0
		.amdhsa_uses_dynamic_stack 0
		.amdhsa_system_sgpr_private_segment_wavefront_offset 0
		.amdhsa_system_sgpr_workgroup_id_x 1
		.amdhsa_system_sgpr_workgroup_id_y 0
		.amdhsa_system_sgpr_workgroup_id_z 0
		.amdhsa_system_sgpr_workgroup_info 0
		.amdhsa_system_vgpr_workitem_id 0
		.amdhsa_next_free_vgpr 1
		.amdhsa_next_free_sgpr 0
		.amdhsa_accum_offset 4
		.amdhsa_reserve_vcc 0
		.amdhsa_reserve_flat_scratch 0
		.amdhsa_float_round_mode_32 0
		.amdhsa_float_round_mode_16_64 0
		.amdhsa_float_denorm_mode_32 3
		.amdhsa_float_denorm_mode_16_64 3
		.amdhsa_dx10_clamp 1
		.amdhsa_ieee_mode 1
		.amdhsa_fp16_overflow 0
		.amdhsa_tg_split 0
		.amdhsa_exception_fp_ieee_invalid_op 0
		.amdhsa_exception_fp_denorm_src 0
		.amdhsa_exception_fp_ieee_div_zero 0
		.amdhsa_exception_fp_ieee_overflow 0
		.amdhsa_exception_fp_ieee_underflow 0
		.amdhsa_exception_fp_ieee_inexact 0
		.amdhsa_exception_int_div_zero 0
	.end_amdhsa_kernel
	.section	.text._ZN7rocprim17ROCPRIM_400000_NS6detail17trampoline_kernelINS0_14default_configENS1_38merge_sort_block_merge_config_selectorI14custom_numericNS0_10empty_typeEEEZZNS1_27merge_sort_block_merge_implIS3_N6thrust23THRUST_200600_302600_NS6detail15normal_iteratorINSA_10device_ptrIS5_EEEEPS6_mNSA_7greaterIS5_EEEE10hipError_tT0_T1_T2_jT3_P12ihipStream_tbPNSt15iterator_traitsISK_E10value_typeEPNSQ_ISL_E10value_typeEPSM_NS1_7vsmem_tEENKUlT_SK_SL_SM_E_clISF_PS5_SG_SG_EESJ_SZ_SK_SL_SM_EUlSZ_E1_NS1_11comp_targetILNS1_3genE10ELNS1_11target_archE1201ELNS1_3gpuE5ELNS1_3repE0EEENS1_36merge_oddeven_config_static_selectorELNS0_4arch9wavefront6targetE1EEEvSL_,"axG",@progbits,_ZN7rocprim17ROCPRIM_400000_NS6detail17trampoline_kernelINS0_14default_configENS1_38merge_sort_block_merge_config_selectorI14custom_numericNS0_10empty_typeEEEZZNS1_27merge_sort_block_merge_implIS3_N6thrust23THRUST_200600_302600_NS6detail15normal_iteratorINSA_10device_ptrIS5_EEEEPS6_mNSA_7greaterIS5_EEEE10hipError_tT0_T1_T2_jT3_P12ihipStream_tbPNSt15iterator_traitsISK_E10value_typeEPNSQ_ISL_E10value_typeEPSM_NS1_7vsmem_tEENKUlT_SK_SL_SM_E_clISF_PS5_SG_SG_EESJ_SZ_SK_SL_SM_EUlSZ_E1_NS1_11comp_targetILNS1_3genE10ELNS1_11target_archE1201ELNS1_3gpuE5ELNS1_3repE0EEENS1_36merge_oddeven_config_static_selectorELNS0_4arch9wavefront6targetE1EEEvSL_,comdat
.Lfunc_end2683:
	.size	_ZN7rocprim17ROCPRIM_400000_NS6detail17trampoline_kernelINS0_14default_configENS1_38merge_sort_block_merge_config_selectorI14custom_numericNS0_10empty_typeEEEZZNS1_27merge_sort_block_merge_implIS3_N6thrust23THRUST_200600_302600_NS6detail15normal_iteratorINSA_10device_ptrIS5_EEEEPS6_mNSA_7greaterIS5_EEEE10hipError_tT0_T1_T2_jT3_P12ihipStream_tbPNSt15iterator_traitsISK_E10value_typeEPNSQ_ISL_E10value_typeEPSM_NS1_7vsmem_tEENKUlT_SK_SL_SM_E_clISF_PS5_SG_SG_EESJ_SZ_SK_SL_SM_EUlSZ_E1_NS1_11comp_targetILNS1_3genE10ELNS1_11target_archE1201ELNS1_3gpuE5ELNS1_3repE0EEENS1_36merge_oddeven_config_static_selectorELNS0_4arch9wavefront6targetE1EEEvSL_, .Lfunc_end2683-_ZN7rocprim17ROCPRIM_400000_NS6detail17trampoline_kernelINS0_14default_configENS1_38merge_sort_block_merge_config_selectorI14custom_numericNS0_10empty_typeEEEZZNS1_27merge_sort_block_merge_implIS3_N6thrust23THRUST_200600_302600_NS6detail15normal_iteratorINSA_10device_ptrIS5_EEEEPS6_mNSA_7greaterIS5_EEEE10hipError_tT0_T1_T2_jT3_P12ihipStream_tbPNSt15iterator_traitsISK_E10value_typeEPNSQ_ISL_E10value_typeEPSM_NS1_7vsmem_tEENKUlT_SK_SL_SM_E_clISF_PS5_SG_SG_EESJ_SZ_SK_SL_SM_EUlSZ_E1_NS1_11comp_targetILNS1_3genE10ELNS1_11target_archE1201ELNS1_3gpuE5ELNS1_3repE0EEENS1_36merge_oddeven_config_static_selectorELNS0_4arch9wavefront6targetE1EEEvSL_
                                        ; -- End function
	.section	.AMDGPU.csdata,"",@progbits
; Kernel info:
; codeLenInByte = 0
; NumSgprs: 4
; NumVgprs: 0
; NumAgprs: 0
; TotalNumVgprs: 0
; ScratchSize: 0
; MemoryBound: 0
; FloatMode: 240
; IeeeMode: 1
; LDSByteSize: 0 bytes/workgroup (compile time only)
; SGPRBlocks: 0
; VGPRBlocks: 0
; NumSGPRsForWavesPerEU: 4
; NumVGPRsForWavesPerEU: 1
; AccumOffset: 4
; Occupancy: 8
; WaveLimiterHint : 0
; COMPUTE_PGM_RSRC2:SCRATCH_EN: 0
; COMPUTE_PGM_RSRC2:USER_SGPR: 6
; COMPUTE_PGM_RSRC2:TRAP_HANDLER: 0
; COMPUTE_PGM_RSRC2:TGID_X_EN: 1
; COMPUTE_PGM_RSRC2:TGID_Y_EN: 0
; COMPUTE_PGM_RSRC2:TGID_Z_EN: 0
; COMPUTE_PGM_RSRC2:TIDIG_COMP_CNT: 0
; COMPUTE_PGM_RSRC3_GFX90A:ACCUM_OFFSET: 0
; COMPUTE_PGM_RSRC3_GFX90A:TG_SPLIT: 0
	.section	.text._ZN7rocprim17ROCPRIM_400000_NS6detail17trampoline_kernelINS0_14default_configENS1_38merge_sort_block_merge_config_selectorI14custom_numericNS0_10empty_typeEEEZZNS1_27merge_sort_block_merge_implIS3_N6thrust23THRUST_200600_302600_NS6detail15normal_iteratorINSA_10device_ptrIS5_EEEEPS6_mNSA_7greaterIS5_EEEE10hipError_tT0_T1_T2_jT3_P12ihipStream_tbPNSt15iterator_traitsISK_E10value_typeEPNSQ_ISL_E10value_typeEPSM_NS1_7vsmem_tEENKUlT_SK_SL_SM_E_clISF_PS5_SG_SG_EESJ_SZ_SK_SL_SM_EUlSZ_E1_NS1_11comp_targetILNS1_3genE5ELNS1_11target_archE942ELNS1_3gpuE9ELNS1_3repE0EEENS1_36merge_oddeven_config_static_selectorELNS0_4arch9wavefront6targetE1EEEvSL_,"axG",@progbits,_ZN7rocprim17ROCPRIM_400000_NS6detail17trampoline_kernelINS0_14default_configENS1_38merge_sort_block_merge_config_selectorI14custom_numericNS0_10empty_typeEEEZZNS1_27merge_sort_block_merge_implIS3_N6thrust23THRUST_200600_302600_NS6detail15normal_iteratorINSA_10device_ptrIS5_EEEEPS6_mNSA_7greaterIS5_EEEE10hipError_tT0_T1_T2_jT3_P12ihipStream_tbPNSt15iterator_traitsISK_E10value_typeEPNSQ_ISL_E10value_typeEPSM_NS1_7vsmem_tEENKUlT_SK_SL_SM_E_clISF_PS5_SG_SG_EESJ_SZ_SK_SL_SM_EUlSZ_E1_NS1_11comp_targetILNS1_3genE5ELNS1_11target_archE942ELNS1_3gpuE9ELNS1_3repE0EEENS1_36merge_oddeven_config_static_selectorELNS0_4arch9wavefront6targetE1EEEvSL_,comdat
	.protected	_ZN7rocprim17ROCPRIM_400000_NS6detail17trampoline_kernelINS0_14default_configENS1_38merge_sort_block_merge_config_selectorI14custom_numericNS0_10empty_typeEEEZZNS1_27merge_sort_block_merge_implIS3_N6thrust23THRUST_200600_302600_NS6detail15normal_iteratorINSA_10device_ptrIS5_EEEEPS6_mNSA_7greaterIS5_EEEE10hipError_tT0_T1_T2_jT3_P12ihipStream_tbPNSt15iterator_traitsISK_E10value_typeEPNSQ_ISL_E10value_typeEPSM_NS1_7vsmem_tEENKUlT_SK_SL_SM_E_clISF_PS5_SG_SG_EESJ_SZ_SK_SL_SM_EUlSZ_E1_NS1_11comp_targetILNS1_3genE5ELNS1_11target_archE942ELNS1_3gpuE9ELNS1_3repE0EEENS1_36merge_oddeven_config_static_selectorELNS0_4arch9wavefront6targetE1EEEvSL_ ; -- Begin function _ZN7rocprim17ROCPRIM_400000_NS6detail17trampoline_kernelINS0_14default_configENS1_38merge_sort_block_merge_config_selectorI14custom_numericNS0_10empty_typeEEEZZNS1_27merge_sort_block_merge_implIS3_N6thrust23THRUST_200600_302600_NS6detail15normal_iteratorINSA_10device_ptrIS5_EEEEPS6_mNSA_7greaterIS5_EEEE10hipError_tT0_T1_T2_jT3_P12ihipStream_tbPNSt15iterator_traitsISK_E10value_typeEPNSQ_ISL_E10value_typeEPSM_NS1_7vsmem_tEENKUlT_SK_SL_SM_E_clISF_PS5_SG_SG_EESJ_SZ_SK_SL_SM_EUlSZ_E1_NS1_11comp_targetILNS1_3genE5ELNS1_11target_archE942ELNS1_3gpuE9ELNS1_3repE0EEENS1_36merge_oddeven_config_static_selectorELNS0_4arch9wavefront6targetE1EEEvSL_
	.globl	_ZN7rocprim17ROCPRIM_400000_NS6detail17trampoline_kernelINS0_14default_configENS1_38merge_sort_block_merge_config_selectorI14custom_numericNS0_10empty_typeEEEZZNS1_27merge_sort_block_merge_implIS3_N6thrust23THRUST_200600_302600_NS6detail15normal_iteratorINSA_10device_ptrIS5_EEEEPS6_mNSA_7greaterIS5_EEEE10hipError_tT0_T1_T2_jT3_P12ihipStream_tbPNSt15iterator_traitsISK_E10value_typeEPNSQ_ISL_E10value_typeEPSM_NS1_7vsmem_tEENKUlT_SK_SL_SM_E_clISF_PS5_SG_SG_EESJ_SZ_SK_SL_SM_EUlSZ_E1_NS1_11comp_targetILNS1_3genE5ELNS1_11target_archE942ELNS1_3gpuE9ELNS1_3repE0EEENS1_36merge_oddeven_config_static_selectorELNS0_4arch9wavefront6targetE1EEEvSL_
	.p2align	8
	.type	_ZN7rocprim17ROCPRIM_400000_NS6detail17trampoline_kernelINS0_14default_configENS1_38merge_sort_block_merge_config_selectorI14custom_numericNS0_10empty_typeEEEZZNS1_27merge_sort_block_merge_implIS3_N6thrust23THRUST_200600_302600_NS6detail15normal_iteratorINSA_10device_ptrIS5_EEEEPS6_mNSA_7greaterIS5_EEEE10hipError_tT0_T1_T2_jT3_P12ihipStream_tbPNSt15iterator_traitsISK_E10value_typeEPNSQ_ISL_E10value_typeEPSM_NS1_7vsmem_tEENKUlT_SK_SL_SM_E_clISF_PS5_SG_SG_EESJ_SZ_SK_SL_SM_EUlSZ_E1_NS1_11comp_targetILNS1_3genE5ELNS1_11target_archE942ELNS1_3gpuE9ELNS1_3repE0EEENS1_36merge_oddeven_config_static_selectorELNS0_4arch9wavefront6targetE1EEEvSL_,@function
_ZN7rocprim17ROCPRIM_400000_NS6detail17trampoline_kernelINS0_14default_configENS1_38merge_sort_block_merge_config_selectorI14custom_numericNS0_10empty_typeEEEZZNS1_27merge_sort_block_merge_implIS3_N6thrust23THRUST_200600_302600_NS6detail15normal_iteratorINSA_10device_ptrIS5_EEEEPS6_mNSA_7greaterIS5_EEEE10hipError_tT0_T1_T2_jT3_P12ihipStream_tbPNSt15iterator_traitsISK_E10value_typeEPNSQ_ISL_E10value_typeEPSM_NS1_7vsmem_tEENKUlT_SK_SL_SM_E_clISF_PS5_SG_SG_EESJ_SZ_SK_SL_SM_EUlSZ_E1_NS1_11comp_targetILNS1_3genE5ELNS1_11target_archE942ELNS1_3gpuE9ELNS1_3repE0EEENS1_36merge_oddeven_config_static_selectorELNS0_4arch9wavefront6targetE1EEEvSL_: ; @_ZN7rocprim17ROCPRIM_400000_NS6detail17trampoline_kernelINS0_14default_configENS1_38merge_sort_block_merge_config_selectorI14custom_numericNS0_10empty_typeEEEZZNS1_27merge_sort_block_merge_implIS3_N6thrust23THRUST_200600_302600_NS6detail15normal_iteratorINSA_10device_ptrIS5_EEEEPS6_mNSA_7greaterIS5_EEEE10hipError_tT0_T1_T2_jT3_P12ihipStream_tbPNSt15iterator_traitsISK_E10value_typeEPNSQ_ISL_E10value_typeEPSM_NS1_7vsmem_tEENKUlT_SK_SL_SM_E_clISF_PS5_SG_SG_EESJ_SZ_SK_SL_SM_EUlSZ_E1_NS1_11comp_targetILNS1_3genE5ELNS1_11target_archE942ELNS1_3gpuE9ELNS1_3repE0EEENS1_36merge_oddeven_config_static_selectorELNS0_4arch9wavefront6targetE1EEEvSL_
; %bb.0:
	.section	.rodata,"a",@progbits
	.p2align	6, 0x0
	.amdhsa_kernel _ZN7rocprim17ROCPRIM_400000_NS6detail17trampoline_kernelINS0_14default_configENS1_38merge_sort_block_merge_config_selectorI14custom_numericNS0_10empty_typeEEEZZNS1_27merge_sort_block_merge_implIS3_N6thrust23THRUST_200600_302600_NS6detail15normal_iteratorINSA_10device_ptrIS5_EEEEPS6_mNSA_7greaterIS5_EEEE10hipError_tT0_T1_T2_jT3_P12ihipStream_tbPNSt15iterator_traitsISK_E10value_typeEPNSQ_ISL_E10value_typeEPSM_NS1_7vsmem_tEENKUlT_SK_SL_SM_E_clISF_PS5_SG_SG_EESJ_SZ_SK_SL_SM_EUlSZ_E1_NS1_11comp_targetILNS1_3genE5ELNS1_11target_archE942ELNS1_3gpuE9ELNS1_3repE0EEENS1_36merge_oddeven_config_static_selectorELNS0_4arch9wavefront6targetE1EEEvSL_
		.amdhsa_group_segment_fixed_size 0
		.amdhsa_private_segment_fixed_size 0
		.amdhsa_kernarg_size 56
		.amdhsa_user_sgpr_count 6
		.amdhsa_user_sgpr_private_segment_buffer 1
		.amdhsa_user_sgpr_dispatch_ptr 0
		.amdhsa_user_sgpr_queue_ptr 0
		.amdhsa_user_sgpr_kernarg_segment_ptr 1
		.amdhsa_user_sgpr_dispatch_id 0
		.amdhsa_user_sgpr_flat_scratch_init 0
		.amdhsa_user_sgpr_kernarg_preload_length 0
		.amdhsa_user_sgpr_kernarg_preload_offset 0
		.amdhsa_user_sgpr_private_segment_size 0
		.amdhsa_uses_dynamic_stack 0
		.amdhsa_system_sgpr_private_segment_wavefront_offset 0
		.amdhsa_system_sgpr_workgroup_id_x 1
		.amdhsa_system_sgpr_workgroup_id_y 0
		.amdhsa_system_sgpr_workgroup_id_z 0
		.amdhsa_system_sgpr_workgroup_info 0
		.amdhsa_system_vgpr_workitem_id 0
		.amdhsa_next_free_vgpr 1
		.amdhsa_next_free_sgpr 0
		.amdhsa_accum_offset 4
		.amdhsa_reserve_vcc 0
		.amdhsa_reserve_flat_scratch 0
		.amdhsa_float_round_mode_32 0
		.amdhsa_float_round_mode_16_64 0
		.amdhsa_float_denorm_mode_32 3
		.amdhsa_float_denorm_mode_16_64 3
		.amdhsa_dx10_clamp 1
		.amdhsa_ieee_mode 1
		.amdhsa_fp16_overflow 0
		.amdhsa_tg_split 0
		.amdhsa_exception_fp_ieee_invalid_op 0
		.amdhsa_exception_fp_denorm_src 0
		.amdhsa_exception_fp_ieee_div_zero 0
		.amdhsa_exception_fp_ieee_overflow 0
		.amdhsa_exception_fp_ieee_underflow 0
		.amdhsa_exception_fp_ieee_inexact 0
		.amdhsa_exception_int_div_zero 0
	.end_amdhsa_kernel
	.section	.text._ZN7rocprim17ROCPRIM_400000_NS6detail17trampoline_kernelINS0_14default_configENS1_38merge_sort_block_merge_config_selectorI14custom_numericNS0_10empty_typeEEEZZNS1_27merge_sort_block_merge_implIS3_N6thrust23THRUST_200600_302600_NS6detail15normal_iteratorINSA_10device_ptrIS5_EEEEPS6_mNSA_7greaterIS5_EEEE10hipError_tT0_T1_T2_jT3_P12ihipStream_tbPNSt15iterator_traitsISK_E10value_typeEPNSQ_ISL_E10value_typeEPSM_NS1_7vsmem_tEENKUlT_SK_SL_SM_E_clISF_PS5_SG_SG_EESJ_SZ_SK_SL_SM_EUlSZ_E1_NS1_11comp_targetILNS1_3genE5ELNS1_11target_archE942ELNS1_3gpuE9ELNS1_3repE0EEENS1_36merge_oddeven_config_static_selectorELNS0_4arch9wavefront6targetE1EEEvSL_,"axG",@progbits,_ZN7rocprim17ROCPRIM_400000_NS6detail17trampoline_kernelINS0_14default_configENS1_38merge_sort_block_merge_config_selectorI14custom_numericNS0_10empty_typeEEEZZNS1_27merge_sort_block_merge_implIS3_N6thrust23THRUST_200600_302600_NS6detail15normal_iteratorINSA_10device_ptrIS5_EEEEPS6_mNSA_7greaterIS5_EEEE10hipError_tT0_T1_T2_jT3_P12ihipStream_tbPNSt15iterator_traitsISK_E10value_typeEPNSQ_ISL_E10value_typeEPSM_NS1_7vsmem_tEENKUlT_SK_SL_SM_E_clISF_PS5_SG_SG_EESJ_SZ_SK_SL_SM_EUlSZ_E1_NS1_11comp_targetILNS1_3genE5ELNS1_11target_archE942ELNS1_3gpuE9ELNS1_3repE0EEENS1_36merge_oddeven_config_static_selectorELNS0_4arch9wavefront6targetE1EEEvSL_,comdat
.Lfunc_end2684:
	.size	_ZN7rocprim17ROCPRIM_400000_NS6detail17trampoline_kernelINS0_14default_configENS1_38merge_sort_block_merge_config_selectorI14custom_numericNS0_10empty_typeEEEZZNS1_27merge_sort_block_merge_implIS3_N6thrust23THRUST_200600_302600_NS6detail15normal_iteratorINSA_10device_ptrIS5_EEEEPS6_mNSA_7greaterIS5_EEEE10hipError_tT0_T1_T2_jT3_P12ihipStream_tbPNSt15iterator_traitsISK_E10value_typeEPNSQ_ISL_E10value_typeEPSM_NS1_7vsmem_tEENKUlT_SK_SL_SM_E_clISF_PS5_SG_SG_EESJ_SZ_SK_SL_SM_EUlSZ_E1_NS1_11comp_targetILNS1_3genE5ELNS1_11target_archE942ELNS1_3gpuE9ELNS1_3repE0EEENS1_36merge_oddeven_config_static_selectorELNS0_4arch9wavefront6targetE1EEEvSL_, .Lfunc_end2684-_ZN7rocprim17ROCPRIM_400000_NS6detail17trampoline_kernelINS0_14default_configENS1_38merge_sort_block_merge_config_selectorI14custom_numericNS0_10empty_typeEEEZZNS1_27merge_sort_block_merge_implIS3_N6thrust23THRUST_200600_302600_NS6detail15normal_iteratorINSA_10device_ptrIS5_EEEEPS6_mNSA_7greaterIS5_EEEE10hipError_tT0_T1_T2_jT3_P12ihipStream_tbPNSt15iterator_traitsISK_E10value_typeEPNSQ_ISL_E10value_typeEPSM_NS1_7vsmem_tEENKUlT_SK_SL_SM_E_clISF_PS5_SG_SG_EESJ_SZ_SK_SL_SM_EUlSZ_E1_NS1_11comp_targetILNS1_3genE5ELNS1_11target_archE942ELNS1_3gpuE9ELNS1_3repE0EEENS1_36merge_oddeven_config_static_selectorELNS0_4arch9wavefront6targetE1EEEvSL_
                                        ; -- End function
	.section	.AMDGPU.csdata,"",@progbits
; Kernel info:
; codeLenInByte = 0
; NumSgprs: 4
; NumVgprs: 0
; NumAgprs: 0
; TotalNumVgprs: 0
; ScratchSize: 0
; MemoryBound: 0
; FloatMode: 240
; IeeeMode: 1
; LDSByteSize: 0 bytes/workgroup (compile time only)
; SGPRBlocks: 0
; VGPRBlocks: 0
; NumSGPRsForWavesPerEU: 4
; NumVGPRsForWavesPerEU: 1
; AccumOffset: 4
; Occupancy: 8
; WaveLimiterHint : 0
; COMPUTE_PGM_RSRC2:SCRATCH_EN: 0
; COMPUTE_PGM_RSRC2:USER_SGPR: 6
; COMPUTE_PGM_RSRC2:TRAP_HANDLER: 0
; COMPUTE_PGM_RSRC2:TGID_X_EN: 1
; COMPUTE_PGM_RSRC2:TGID_Y_EN: 0
; COMPUTE_PGM_RSRC2:TGID_Z_EN: 0
; COMPUTE_PGM_RSRC2:TIDIG_COMP_CNT: 0
; COMPUTE_PGM_RSRC3_GFX90A:ACCUM_OFFSET: 0
; COMPUTE_PGM_RSRC3_GFX90A:TG_SPLIT: 0
	.section	.text._ZN7rocprim17ROCPRIM_400000_NS6detail17trampoline_kernelINS0_14default_configENS1_38merge_sort_block_merge_config_selectorI14custom_numericNS0_10empty_typeEEEZZNS1_27merge_sort_block_merge_implIS3_N6thrust23THRUST_200600_302600_NS6detail15normal_iteratorINSA_10device_ptrIS5_EEEEPS6_mNSA_7greaterIS5_EEEE10hipError_tT0_T1_T2_jT3_P12ihipStream_tbPNSt15iterator_traitsISK_E10value_typeEPNSQ_ISL_E10value_typeEPSM_NS1_7vsmem_tEENKUlT_SK_SL_SM_E_clISF_PS5_SG_SG_EESJ_SZ_SK_SL_SM_EUlSZ_E1_NS1_11comp_targetILNS1_3genE4ELNS1_11target_archE910ELNS1_3gpuE8ELNS1_3repE0EEENS1_36merge_oddeven_config_static_selectorELNS0_4arch9wavefront6targetE1EEEvSL_,"axG",@progbits,_ZN7rocprim17ROCPRIM_400000_NS6detail17trampoline_kernelINS0_14default_configENS1_38merge_sort_block_merge_config_selectorI14custom_numericNS0_10empty_typeEEEZZNS1_27merge_sort_block_merge_implIS3_N6thrust23THRUST_200600_302600_NS6detail15normal_iteratorINSA_10device_ptrIS5_EEEEPS6_mNSA_7greaterIS5_EEEE10hipError_tT0_T1_T2_jT3_P12ihipStream_tbPNSt15iterator_traitsISK_E10value_typeEPNSQ_ISL_E10value_typeEPSM_NS1_7vsmem_tEENKUlT_SK_SL_SM_E_clISF_PS5_SG_SG_EESJ_SZ_SK_SL_SM_EUlSZ_E1_NS1_11comp_targetILNS1_3genE4ELNS1_11target_archE910ELNS1_3gpuE8ELNS1_3repE0EEENS1_36merge_oddeven_config_static_selectorELNS0_4arch9wavefront6targetE1EEEvSL_,comdat
	.protected	_ZN7rocprim17ROCPRIM_400000_NS6detail17trampoline_kernelINS0_14default_configENS1_38merge_sort_block_merge_config_selectorI14custom_numericNS0_10empty_typeEEEZZNS1_27merge_sort_block_merge_implIS3_N6thrust23THRUST_200600_302600_NS6detail15normal_iteratorINSA_10device_ptrIS5_EEEEPS6_mNSA_7greaterIS5_EEEE10hipError_tT0_T1_T2_jT3_P12ihipStream_tbPNSt15iterator_traitsISK_E10value_typeEPNSQ_ISL_E10value_typeEPSM_NS1_7vsmem_tEENKUlT_SK_SL_SM_E_clISF_PS5_SG_SG_EESJ_SZ_SK_SL_SM_EUlSZ_E1_NS1_11comp_targetILNS1_3genE4ELNS1_11target_archE910ELNS1_3gpuE8ELNS1_3repE0EEENS1_36merge_oddeven_config_static_selectorELNS0_4arch9wavefront6targetE1EEEvSL_ ; -- Begin function _ZN7rocprim17ROCPRIM_400000_NS6detail17trampoline_kernelINS0_14default_configENS1_38merge_sort_block_merge_config_selectorI14custom_numericNS0_10empty_typeEEEZZNS1_27merge_sort_block_merge_implIS3_N6thrust23THRUST_200600_302600_NS6detail15normal_iteratorINSA_10device_ptrIS5_EEEEPS6_mNSA_7greaterIS5_EEEE10hipError_tT0_T1_T2_jT3_P12ihipStream_tbPNSt15iterator_traitsISK_E10value_typeEPNSQ_ISL_E10value_typeEPSM_NS1_7vsmem_tEENKUlT_SK_SL_SM_E_clISF_PS5_SG_SG_EESJ_SZ_SK_SL_SM_EUlSZ_E1_NS1_11comp_targetILNS1_3genE4ELNS1_11target_archE910ELNS1_3gpuE8ELNS1_3repE0EEENS1_36merge_oddeven_config_static_selectorELNS0_4arch9wavefront6targetE1EEEvSL_
	.globl	_ZN7rocprim17ROCPRIM_400000_NS6detail17trampoline_kernelINS0_14default_configENS1_38merge_sort_block_merge_config_selectorI14custom_numericNS0_10empty_typeEEEZZNS1_27merge_sort_block_merge_implIS3_N6thrust23THRUST_200600_302600_NS6detail15normal_iteratorINSA_10device_ptrIS5_EEEEPS6_mNSA_7greaterIS5_EEEE10hipError_tT0_T1_T2_jT3_P12ihipStream_tbPNSt15iterator_traitsISK_E10value_typeEPNSQ_ISL_E10value_typeEPSM_NS1_7vsmem_tEENKUlT_SK_SL_SM_E_clISF_PS5_SG_SG_EESJ_SZ_SK_SL_SM_EUlSZ_E1_NS1_11comp_targetILNS1_3genE4ELNS1_11target_archE910ELNS1_3gpuE8ELNS1_3repE0EEENS1_36merge_oddeven_config_static_selectorELNS0_4arch9wavefront6targetE1EEEvSL_
	.p2align	8
	.type	_ZN7rocprim17ROCPRIM_400000_NS6detail17trampoline_kernelINS0_14default_configENS1_38merge_sort_block_merge_config_selectorI14custom_numericNS0_10empty_typeEEEZZNS1_27merge_sort_block_merge_implIS3_N6thrust23THRUST_200600_302600_NS6detail15normal_iteratorINSA_10device_ptrIS5_EEEEPS6_mNSA_7greaterIS5_EEEE10hipError_tT0_T1_T2_jT3_P12ihipStream_tbPNSt15iterator_traitsISK_E10value_typeEPNSQ_ISL_E10value_typeEPSM_NS1_7vsmem_tEENKUlT_SK_SL_SM_E_clISF_PS5_SG_SG_EESJ_SZ_SK_SL_SM_EUlSZ_E1_NS1_11comp_targetILNS1_3genE4ELNS1_11target_archE910ELNS1_3gpuE8ELNS1_3repE0EEENS1_36merge_oddeven_config_static_selectorELNS0_4arch9wavefront6targetE1EEEvSL_,@function
_ZN7rocprim17ROCPRIM_400000_NS6detail17trampoline_kernelINS0_14default_configENS1_38merge_sort_block_merge_config_selectorI14custom_numericNS0_10empty_typeEEEZZNS1_27merge_sort_block_merge_implIS3_N6thrust23THRUST_200600_302600_NS6detail15normal_iteratorINSA_10device_ptrIS5_EEEEPS6_mNSA_7greaterIS5_EEEE10hipError_tT0_T1_T2_jT3_P12ihipStream_tbPNSt15iterator_traitsISK_E10value_typeEPNSQ_ISL_E10value_typeEPSM_NS1_7vsmem_tEENKUlT_SK_SL_SM_E_clISF_PS5_SG_SG_EESJ_SZ_SK_SL_SM_EUlSZ_E1_NS1_11comp_targetILNS1_3genE4ELNS1_11target_archE910ELNS1_3gpuE8ELNS1_3repE0EEENS1_36merge_oddeven_config_static_selectorELNS0_4arch9wavefront6targetE1EEEvSL_: ; @_ZN7rocprim17ROCPRIM_400000_NS6detail17trampoline_kernelINS0_14default_configENS1_38merge_sort_block_merge_config_selectorI14custom_numericNS0_10empty_typeEEEZZNS1_27merge_sort_block_merge_implIS3_N6thrust23THRUST_200600_302600_NS6detail15normal_iteratorINSA_10device_ptrIS5_EEEEPS6_mNSA_7greaterIS5_EEEE10hipError_tT0_T1_T2_jT3_P12ihipStream_tbPNSt15iterator_traitsISK_E10value_typeEPNSQ_ISL_E10value_typeEPSM_NS1_7vsmem_tEENKUlT_SK_SL_SM_E_clISF_PS5_SG_SG_EESJ_SZ_SK_SL_SM_EUlSZ_E1_NS1_11comp_targetILNS1_3genE4ELNS1_11target_archE910ELNS1_3gpuE8ELNS1_3repE0EEENS1_36merge_oddeven_config_static_selectorELNS0_4arch9wavefront6targetE1EEEvSL_
; %bb.0:
	s_load_dword s17, s[4:5], 0x20
	s_lshl_b32 s7, s6, 7
	s_waitcnt lgkmcnt(0)
	s_lshr_b32 s0, s17, 7
	s_cmp_lg_u32 s6, s0
	s_cselect_b64 s[14:15], -1, 0
	s_cmp_eq_u32 s6, s0
	s_cselect_b64 s[12:13], -1, 0
	s_sub_i32 s0, s17, s7
	v_cmp_gt_u32_e64 s[2:3], s0, v0
	s_or_b64 s[0:1], s[14:15], s[2:3]
	s_and_saveexec_b64 s[8:9], s[0:1]
	s_cbranch_execz .LBB2685_20
; %bb.1:
	s_load_dwordx4 s[8:11], s[4:5], 0x0
	s_load_dword s18, s[4:5], 0x28
	s_mul_i32 s0, s7, 20
	s_mul_hi_u32 s1, s7, 20
	v_add_u32_e32 v1, s7, v0
	s_waitcnt lgkmcnt(0)
	s_add_u32 s0, s8, s0
	s_addc_u32 s1, s9, s1
	v_mad_u64_u32 v[2:3], s[0:1], v0, 20, s[0:1]
	global_load_dword v2, v[2:3], off
	s_lshr_b32 s0, s18, 7
	s_sub_i32 s1, 0, s0
	s_and_b32 s1, s6, s1
	s_and_b32 s0, s1, s0
	s_lshl_b32 s19, s1, 7
	s_sub_i32 s6, 0, s18
	s_cmp_eq_u32 s0, 0
	s_cselect_b64 s[0:1], -1, 0
	s_and_b64 s[4:5], s[0:1], exec
	s_cselect_b32 s16, s18, s6
	s_add_i32 s16, s16, s19
	s_cmp_lt_u32 s16, s17
	s_cbranch_scc1 .LBB2685_3
; %bb.2:
	v_cmp_gt_u32_e32 vcc, s17, v1
	s_or_b64 s[4:5], vcc, s[14:15]
	s_and_b64 s[4:5], s[4:5], exec
	s_cbranch_execz .LBB2685_4
	s_branch .LBB2685_18
.LBB2685_3:
	s_mov_b64 s[4:5], 0
.LBB2685_4:
	s_min_u32 s14, s16, s17
	s_add_i32 s6, s14, s18
	s_min_u32 s15, s6, s17
	s_min_u32 s6, s19, s14
	s_add_i32 s19, s19, s14
	v_subrev_u32_e32 v0, s19, v1
	v_add_u32_e32 v0, s6, v0
	s_and_b64 vcc, exec, s[12:13]
	s_cbranch_vccz .LBB2685_12
; %bb.5:
                                        ; implicit-def: $vgpr1
	s_and_saveexec_b64 s[6:7], s[2:3]
	s_cbranch_execz .LBB2685_11
; %bb.6:
	s_cmp_ge_u32 s16, s15
	v_mov_b32_e32 v1, s14
	s_cbranch_scc1 .LBB2685_10
; %bb.7:
	s_mov_b64 s[2:3], 0
	v_mov_b32_e32 v3, s15
	v_mov_b32_e32 v1, s14
.LBB2685_8:                             ; =>This Inner Loop Header: Depth=1
	v_add_u32_e32 v4, v1, v3
	v_lshrrev_b32_e32 v6, 1, v4
	v_mad_u64_u32 v[4:5], s[12:13], v6, 20, s[8:9]
	global_load_dword v4, v[4:5], off
	v_add_u32_e32 v5, 1, v6
	s_waitcnt vmcnt(0)
	v_cmp_gt_i32_e32 vcc, v4, v2
	v_cndmask_b32_e64 v7, 0, 1, vcc
	v_cmp_le_i32_e32 vcc, v2, v4
	v_cndmask_b32_e64 v4, 0, 1, vcc
	v_cndmask_b32_e64 v4, v4, v7, s[0:1]
	v_and_b32_e32 v4, 1, v4
	v_cmp_eq_u32_e32 vcc, 1, v4
	v_cndmask_b32_e32 v3, v6, v3, vcc
	v_cndmask_b32_e32 v1, v1, v5, vcc
	v_cmp_ge_u32_e32 vcc, v1, v3
	s_or_b64 s[2:3], vcc, s[2:3]
	s_andn2_b64 exec, exec, s[2:3]
	s_cbranch_execnz .LBB2685_8
; %bb.9:
	s_or_b64 exec, exec, s[2:3]
.LBB2685_10:
	v_add_u32_e32 v1, v1, v0
	s_or_b64 s[4:5], s[4:5], exec
.LBB2685_11:
	s_or_b64 exec, exec, s[6:7]
	s_branch .LBB2685_18
.LBB2685_12:
                                        ; implicit-def: $vgpr1
	s_cbranch_execz .LBB2685_18
; %bb.13:
	s_cmp_ge_u32 s16, s15
	v_mov_b32_e32 v1, s14
	s_cbranch_scc1 .LBB2685_17
; %bb.14:
	s_mov_b64 s[2:3], 0
	v_mov_b32_e32 v3, s15
	v_mov_b32_e32 v1, s14
.LBB2685_15:                            ; =>This Inner Loop Header: Depth=1
	v_add_u32_e32 v4, v1, v3
	v_lshrrev_b32_e32 v6, 1, v4
	v_mad_u64_u32 v[4:5], s[4:5], v6, 20, s[8:9]
	global_load_dword v4, v[4:5], off
	v_add_u32_e32 v5, 1, v6
	s_waitcnt vmcnt(0)
	v_cmp_gt_i32_e32 vcc, v4, v2
	v_cndmask_b32_e64 v7, 0, 1, vcc
	v_cmp_le_i32_e32 vcc, v2, v4
	v_cndmask_b32_e64 v4, 0, 1, vcc
	v_cndmask_b32_e64 v4, v4, v7, s[0:1]
	v_and_b32_e32 v4, 1, v4
	v_cmp_eq_u32_e32 vcc, 1, v4
	v_cndmask_b32_e32 v3, v6, v3, vcc
	v_cndmask_b32_e32 v1, v1, v5, vcc
	v_cmp_ge_u32_e32 vcc, v1, v3
	s_or_b64 s[2:3], vcc, s[2:3]
	s_andn2_b64 exec, exec, s[2:3]
	s_cbranch_execnz .LBB2685_15
; %bb.16:
	s_or_b64 exec, exec, s[2:3]
.LBB2685_17:
	v_add_u32_e32 v1, v1, v0
	s_mov_b64 s[4:5], -1
.LBB2685_18:
	s_and_b64 exec, exec, s[4:5]
	s_cbranch_execz .LBB2685_20
; %bb.19:
	v_mov_b32_e32 v4, s10
	v_mov_b32_e32 v5, s11
	v_mad_u64_u32 v[0:1], s[0:1], v1, 20, v[4:5]
	s_waitcnt vmcnt(0)
	v_mov_b32_e32 v3, v2
	v_mov_b32_e32 v4, v2
	v_mov_b32_e32 v5, v2
	global_store_dwordx4 v[0:1], v[2:5], off
	global_store_dword v[0:1], v2, off offset:16
.LBB2685_20:
	s_endpgm
	.section	.rodata,"a",@progbits
	.p2align	6, 0x0
	.amdhsa_kernel _ZN7rocprim17ROCPRIM_400000_NS6detail17trampoline_kernelINS0_14default_configENS1_38merge_sort_block_merge_config_selectorI14custom_numericNS0_10empty_typeEEEZZNS1_27merge_sort_block_merge_implIS3_N6thrust23THRUST_200600_302600_NS6detail15normal_iteratorINSA_10device_ptrIS5_EEEEPS6_mNSA_7greaterIS5_EEEE10hipError_tT0_T1_T2_jT3_P12ihipStream_tbPNSt15iterator_traitsISK_E10value_typeEPNSQ_ISL_E10value_typeEPSM_NS1_7vsmem_tEENKUlT_SK_SL_SM_E_clISF_PS5_SG_SG_EESJ_SZ_SK_SL_SM_EUlSZ_E1_NS1_11comp_targetILNS1_3genE4ELNS1_11target_archE910ELNS1_3gpuE8ELNS1_3repE0EEENS1_36merge_oddeven_config_static_selectorELNS0_4arch9wavefront6targetE1EEEvSL_
		.amdhsa_group_segment_fixed_size 0
		.amdhsa_private_segment_fixed_size 0
		.amdhsa_kernarg_size 56
		.amdhsa_user_sgpr_count 6
		.amdhsa_user_sgpr_private_segment_buffer 1
		.amdhsa_user_sgpr_dispatch_ptr 0
		.amdhsa_user_sgpr_queue_ptr 0
		.amdhsa_user_sgpr_kernarg_segment_ptr 1
		.amdhsa_user_sgpr_dispatch_id 0
		.amdhsa_user_sgpr_flat_scratch_init 0
		.amdhsa_user_sgpr_kernarg_preload_length 0
		.amdhsa_user_sgpr_kernarg_preload_offset 0
		.amdhsa_user_sgpr_private_segment_size 0
		.amdhsa_uses_dynamic_stack 0
		.amdhsa_system_sgpr_private_segment_wavefront_offset 0
		.amdhsa_system_sgpr_workgroup_id_x 1
		.amdhsa_system_sgpr_workgroup_id_y 0
		.amdhsa_system_sgpr_workgroup_id_z 0
		.amdhsa_system_sgpr_workgroup_info 0
		.amdhsa_system_vgpr_workitem_id 0
		.amdhsa_next_free_vgpr 8
		.amdhsa_next_free_sgpr 20
		.amdhsa_accum_offset 8
		.amdhsa_reserve_vcc 1
		.amdhsa_reserve_flat_scratch 0
		.amdhsa_float_round_mode_32 0
		.amdhsa_float_round_mode_16_64 0
		.amdhsa_float_denorm_mode_32 3
		.amdhsa_float_denorm_mode_16_64 3
		.amdhsa_dx10_clamp 1
		.amdhsa_ieee_mode 1
		.amdhsa_fp16_overflow 0
		.amdhsa_tg_split 0
		.amdhsa_exception_fp_ieee_invalid_op 0
		.amdhsa_exception_fp_denorm_src 0
		.amdhsa_exception_fp_ieee_div_zero 0
		.amdhsa_exception_fp_ieee_overflow 0
		.amdhsa_exception_fp_ieee_underflow 0
		.amdhsa_exception_fp_ieee_inexact 0
		.amdhsa_exception_int_div_zero 0
	.end_amdhsa_kernel
	.section	.text._ZN7rocprim17ROCPRIM_400000_NS6detail17trampoline_kernelINS0_14default_configENS1_38merge_sort_block_merge_config_selectorI14custom_numericNS0_10empty_typeEEEZZNS1_27merge_sort_block_merge_implIS3_N6thrust23THRUST_200600_302600_NS6detail15normal_iteratorINSA_10device_ptrIS5_EEEEPS6_mNSA_7greaterIS5_EEEE10hipError_tT0_T1_T2_jT3_P12ihipStream_tbPNSt15iterator_traitsISK_E10value_typeEPNSQ_ISL_E10value_typeEPSM_NS1_7vsmem_tEENKUlT_SK_SL_SM_E_clISF_PS5_SG_SG_EESJ_SZ_SK_SL_SM_EUlSZ_E1_NS1_11comp_targetILNS1_3genE4ELNS1_11target_archE910ELNS1_3gpuE8ELNS1_3repE0EEENS1_36merge_oddeven_config_static_selectorELNS0_4arch9wavefront6targetE1EEEvSL_,"axG",@progbits,_ZN7rocprim17ROCPRIM_400000_NS6detail17trampoline_kernelINS0_14default_configENS1_38merge_sort_block_merge_config_selectorI14custom_numericNS0_10empty_typeEEEZZNS1_27merge_sort_block_merge_implIS3_N6thrust23THRUST_200600_302600_NS6detail15normal_iteratorINSA_10device_ptrIS5_EEEEPS6_mNSA_7greaterIS5_EEEE10hipError_tT0_T1_T2_jT3_P12ihipStream_tbPNSt15iterator_traitsISK_E10value_typeEPNSQ_ISL_E10value_typeEPSM_NS1_7vsmem_tEENKUlT_SK_SL_SM_E_clISF_PS5_SG_SG_EESJ_SZ_SK_SL_SM_EUlSZ_E1_NS1_11comp_targetILNS1_3genE4ELNS1_11target_archE910ELNS1_3gpuE8ELNS1_3repE0EEENS1_36merge_oddeven_config_static_selectorELNS0_4arch9wavefront6targetE1EEEvSL_,comdat
.Lfunc_end2685:
	.size	_ZN7rocprim17ROCPRIM_400000_NS6detail17trampoline_kernelINS0_14default_configENS1_38merge_sort_block_merge_config_selectorI14custom_numericNS0_10empty_typeEEEZZNS1_27merge_sort_block_merge_implIS3_N6thrust23THRUST_200600_302600_NS6detail15normal_iteratorINSA_10device_ptrIS5_EEEEPS6_mNSA_7greaterIS5_EEEE10hipError_tT0_T1_T2_jT3_P12ihipStream_tbPNSt15iterator_traitsISK_E10value_typeEPNSQ_ISL_E10value_typeEPSM_NS1_7vsmem_tEENKUlT_SK_SL_SM_E_clISF_PS5_SG_SG_EESJ_SZ_SK_SL_SM_EUlSZ_E1_NS1_11comp_targetILNS1_3genE4ELNS1_11target_archE910ELNS1_3gpuE8ELNS1_3repE0EEENS1_36merge_oddeven_config_static_selectorELNS0_4arch9wavefront6targetE1EEEvSL_, .Lfunc_end2685-_ZN7rocprim17ROCPRIM_400000_NS6detail17trampoline_kernelINS0_14default_configENS1_38merge_sort_block_merge_config_selectorI14custom_numericNS0_10empty_typeEEEZZNS1_27merge_sort_block_merge_implIS3_N6thrust23THRUST_200600_302600_NS6detail15normal_iteratorINSA_10device_ptrIS5_EEEEPS6_mNSA_7greaterIS5_EEEE10hipError_tT0_T1_T2_jT3_P12ihipStream_tbPNSt15iterator_traitsISK_E10value_typeEPNSQ_ISL_E10value_typeEPSM_NS1_7vsmem_tEENKUlT_SK_SL_SM_E_clISF_PS5_SG_SG_EESJ_SZ_SK_SL_SM_EUlSZ_E1_NS1_11comp_targetILNS1_3genE4ELNS1_11target_archE910ELNS1_3gpuE8ELNS1_3repE0EEENS1_36merge_oddeven_config_static_selectorELNS0_4arch9wavefront6targetE1EEEvSL_
                                        ; -- End function
	.section	.AMDGPU.csdata,"",@progbits
; Kernel info:
; codeLenInByte = 572
; NumSgprs: 24
; NumVgprs: 8
; NumAgprs: 0
; TotalNumVgprs: 8
; ScratchSize: 0
; MemoryBound: 0
; FloatMode: 240
; IeeeMode: 1
; LDSByteSize: 0 bytes/workgroup (compile time only)
; SGPRBlocks: 2
; VGPRBlocks: 0
; NumSGPRsForWavesPerEU: 24
; NumVGPRsForWavesPerEU: 8
; AccumOffset: 8
; Occupancy: 8
; WaveLimiterHint : 0
; COMPUTE_PGM_RSRC2:SCRATCH_EN: 0
; COMPUTE_PGM_RSRC2:USER_SGPR: 6
; COMPUTE_PGM_RSRC2:TRAP_HANDLER: 0
; COMPUTE_PGM_RSRC2:TGID_X_EN: 1
; COMPUTE_PGM_RSRC2:TGID_Y_EN: 0
; COMPUTE_PGM_RSRC2:TGID_Z_EN: 0
; COMPUTE_PGM_RSRC2:TIDIG_COMP_CNT: 0
; COMPUTE_PGM_RSRC3_GFX90A:ACCUM_OFFSET: 1
; COMPUTE_PGM_RSRC3_GFX90A:TG_SPLIT: 0
	.section	.text._ZN7rocprim17ROCPRIM_400000_NS6detail17trampoline_kernelINS0_14default_configENS1_38merge_sort_block_merge_config_selectorI14custom_numericNS0_10empty_typeEEEZZNS1_27merge_sort_block_merge_implIS3_N6thrust23THRUST_200600_302600_NS6detail15normal_iteratorINSA_10device_ptrIS5_EEEEPS6_mNSA_7greaterIS5_EEEE10hipError_tT0_T1_T2_jT3_P12ihipStream_tbPNSt15iterator_traitsISK_E10value_typeEPNSQ_ISL_E10value_typeEPSM_NS1_7vsmem_tEENKUlT_SK_SL_SM_E_clISF_PS5_SG_SG_EESJ_SZ_SK_SL_SM_EUlSZ_E1_NS1_11comp_targetILNS1_3genE3ELNS1_11target_archE908ELNS1_3gpuE7ELNS1_3repE0EEENS1_36merge_oddeven_config_static_selectorELNS0_4arch9wavefront6targetE1EEEvSL_,"axG",@progbits,_ZN7rocprim17ROCPRIM_400000_NS6detail17trampoline_kernelINS0_14default_configENS1_38merge_sort_block_merge_config_selectorI14custom_numericNS0_10empty_typeEEEZZNS1_27merge_sort_block_merge_implIS3_N6thrust23THRUST_200600_302600_NS6detail15normal_iteratorINSA_10device_ptrIS5_EEEEPS6_mNSA_7greaterIS5_EEEE10hipError_tT0_T1_T2_jT3_P12ihipStream_tbPNSt15iterator_traitsISK_E10value_typeEPNSQ_ISL_E10value_typeEPSM_NS1_7vsmem_tEENKUlT_SK_SL_SM_E_clISF_PS5_SG_SG_EESJ_SZ_SK_SL_SM_EUlSZ_E1_NS1_11comp_targetILNS1_3genE3ELNS1_11target_archE908ELNS1_3gpuE7ELNS1_3repE0EEENS1_36merge_oddeven_config_static_selectorELNS0_4arch9wavefront6targetE1EEEvSL_,comdat
	.protected	_ZN7rocprim17ROCPRIM_400000_NS6detail17trampoline_kernelINS0_14default_configENS1_38merge_sort_block_merge_config_selectorI14custom_numericNS0_10empty_typeEEEZZNS1_27merge_sort_block_merge_implIS3_N6thrust23THRUST_200600_302600_NS6detail15normal_iteratorINSA_10device_ptrIS5_EEEEPS6_mNSA_7greaterIS5_EEEE10hipError_tT0_T1_T2_jT3_P12ihipStream_tbPNSt15iterator_traitsISK_E10value_typeEPNSQ_ISL_E10value_typeEPSM_NS1_7vsmem_tEENKUlT_SK_SL_SM_E_clISF_PS5_SG_SG_EESJ_SZ_SK_SL_SM_EUlSZ_E1_NS1_11comp_targetILNS1_3genE3ELNS1_11target_archE908ELNS1_3gpuE7ELNS1_3repE0EEENS1_36merge_oddeven_config_static_selectorELNS0_4arch9wavefront6targetE1EEEvSL_ ; -- Begin function _ZN7rocprim17ROCPRIM_400000_NS6detail17trampoline_kernelINS0_14default_configENS1_38merge_sort_block_merge_config_selectorI14custom_numericNS0_10empty_typeEEEZZNS1_27merge_sort_block_merge_implIS3_N6thrust23THRUST_200600_302600_NS6detail15normal_iteratorINSA_10device_ptrIS5_EEEEPS6_mNSA_7greaterIS5_EEEE10hipError_tT0_T1_T2_jT3_P12ihipStream_tbPNSt15iterator_traitsISK_E10value_typeEPNSQ_ISL_E10value_typeEPSM_NS1_7vsmem_tEENKUlT_SK_SL_SM_E_clISF_PS5_SG_SG_EESJ_SZ_SK_SL_SM_EUlSZ_E1_NS1_11comp_targetILNS1_3genE3ELNS1_11target_archE908ELNS1_3gpuE7ELNS1_3repE0EEENS1_36merge_oddeven_config_static_selectorELNS0_4arch9wavefront6targetE1EEEvSL_
	.globl	_ZN7rocprim17ROCPRIM_400000_NS6detail17trampoline_kernelINS0_14default_configENS1_38merge_sort_block_merge_config_selectorI14custom_numericNS0_10empty_typeEEEZZNS1_27merge_sort_block_merge_implIS3_N6thrust23THRUST_200600_302600_NS6detail15normal_iteratorINSA_10device_ptrIS5_EEEEPS6_mNSA_7greaterIS5_EEEE10hipError_tT0_T1_T2_jT3_P12ihipStream_tbPNSt15iterator_traitsISK_E10value_typeEPNSQ_ISL_E10value_typeEPSM_NS1_7vsmem_tEENKUlT_SK_SL_SM_E_clISF_PS5_SG_SG_EESJ_SZ_SK_SL_SM_EUlSZ_E1_NS1_11comp_targetILNS1_3genE3ELNS1_11target_archE908ELNS1_3gpuE7ELNS1_3repE0EEENS1_36merge_oddeven_config_static_selectorELNS0_4arch9wavefront6targetE1EEEvSL_
	.p2align	8
	.type	_ZN7rocprim17ROCPRIM_400000_NS6detail17trampoline_kernelINS0_14default_configENS1_38merge_sort_block_merge_config_selectorI14custom_numericNS0_10empty_typeEEEZZNS1_27merge_sort_block_merge_implIS3_N6thrust23THRUST_200600_302600_NS6detail15normal_iteratorINSA_10device_ptrIS5_EEEEPS6_mNSA_7greaterIS5_EEEE10hipError_tT0_T1_T2_jT3_P12ihipStream_tbPNSt15iterator_traitsISK_E10value_typeEPNSQ_ISL_E10value_typeEPSM_NS1_7vsmem_tEENKUlT_SK_SL_SM_E_clISF_PS5_SG_SG_EESJ_SZ_SK_SL_SM_EUlSZ_E1_NS1_11comp_targetILNS1_3genE3ELNS1_11target_archE908ELNS1_3gpuE7ELNS1_3repE0EEENS1_36merge_oddeven_config_static_selectorELNS0_4arch9wavefront6targetE1EEEvSL_,@function
_ZN7rocprim17ROCPRIM_400000_NS6detail17trampoline_kernelINS0_14default_configENS1_38merge_sort_block_merge_config_selectorI14custom_numericNS0_10empty_typeEEEZZNS1_27merge_sort_block_merge_implIS3_N6thrust23THRUST_200600_302600_NS6detail15normal_iteratorINSA_10device_ptrIS5_EEEEPS6_mNSA_7greaterIS5_EEEE10hipError_tT0_T1_T2_jT3_P12ihipStream_tbPNSt15iterator_traitsISK_E10value_typeEPNSQ_ISL_E10value_typeEPSM_NS1_7vsmem_tEENKUlT_SK_SL_SM_E_clISF_PS5_SG_SG_EESJ_SZ_SK_SL_SM_EUlSZ_E1_NS1_11comp_targetILNS1_3genE3ELNS1_11target_archE908ELNS1_3gpuE7ELNS1_3repE0EEENS1_36merge_oddeven_config_static_selectorELNS0_4arch9wavefront6targetE1EEEvSL_: ; @_ZN7rocprim17ROCPRIM_400000_NS6detail17trampoline_kernelINS0_14default_configENS1_38merge_sort_block_merge_config_selectorI14custom_numericNS0_10empty_typeEEEZZNS1_27merge_sort_block_merge_implIS3_N6thrust23THRUST_200600_302600_NS6detail15normal_iteratorINSA_10device_ptrIS5_EEEEPS6_mNSA_7greaterIS5_EEEE10hipError_tT0_T1_T2_jT3_P12ihipStream_tbPNSt15iterator_traitsISK_E10value_typeEPNSQ_ISL_E10value_typeEPSM_NS1_7vsmem_tEENKUlT_SK_SL_SM_E_clISF_PS5_SG_SG_EESJ_SZ_SK_SL_SM_EUlSZ_E1_NS1_11comp_targetILNS1_3genE3ELNS1_11target_archE908ELNS1_3gpuE7ELNS1_3repE0EEENS1_36merge_oddeven_config_static_selectorELNS0_4arch9wavefront6targetE1EEEvSL_
; %bb.0:
	.section	.rodata,"a",@progbits
	.p2align	6, 0x0
	.amdhsa_kernel _ZN7rocprim17ROCPRIM_400000_NS6detail17trampoline_kernelINS0_14default_configENS1_38merge_sort_block_merge_config_selectorI14custom_numericNS0_10empty_typeEEEZZNS1_27merge_sort_block_merge_implIS3_N6thrust23THRUST_200600_302600_NS6detail15normal_iteratorINSA_10device_ptrIS5_EEEEPS6_mNSA_7greaterIS5_EEEE10hipError_tT0_T1_T2_jT3_P12ihipStream_tbPNSt15iterator_traitsISK_E10value_typeEPNSQ_ISL_E10value_typeEPSM_NS1_7vsmem_tEENKUlT_SK_SL_SM_E_clISF_PS5_SG_SG_EESJ_SZ_SK_SL_SM_EUlSZ_E1_NS1_11comp_targetILNS1_3genE3ELNS1_11target_archE908ELNS1_3gpuE7ELNS1_3repE0EEENS1_36merge_oddeven_config_static_selectorELNS0_4arch9wavefront6targetE1EEEvSL_
		.amdhsa_group_segment_fixed_size 0
		.amdhsa_private_segment_fixed_size 0
		.amdhsa_kernarg_size 56
		.amdhsa_user_sgpr_count 6
		.amdhsa_user_sgpr_private_segment_buffer 1
		.amdhsa_user_sgpr_dispatch_ptr 0
		.amdhsa_user_sgpr_queue_ptr 0
		.amdhsa_user_sgpr_kernarg_segment_ptr 1
		.amdhsa_user_sgpr_dispatch_id 0
		.amdhsa_user_sgpr_flat_scratch_init 0
		.amdhsa_user_sgpr_kernarg_preload_length 0
		.amdhsa_user_sgpr_kernarg_preload_offset 0
		.amdhsa_user_sgpr_private_segment_size 0
		.amdhsa_uses_dynamic_stack 0
		.amdhsa_system_sgpr_private_segment_wavefront_offset 0
		.amdhsa_system_sgpr_workgroup_id_x 1
		.amdhsa_system_sgpr_workgroup_id_y 0
		.amdhsa_system_sgpr_workgroup_id_z 0
		.amdhsa_system_sgpr_workgroup_info 0
		.amdhsa_system_vgpr_workitem_id 0
		.amdhsa_next_free_vgpr 1
		.amdhsa_next_free_sgpr 0
		.amdhsa_accum_offset 4
		.amdhsa_reserve_vcc 0
		.amdhsa_reserve_flat_scratch 0
		.amdhsa_float_round_mode_32 0
		.amdhsa_float_round_mode_16_64 0
		.amdhsa_float_denorm_mode_32 3
		.amdhsa_float_denorm_mode_16_64 3
		.amdhsa_dx10_clamp 1
		.amdhsa_ieee_mode 1
		.amdhsa_fp16_overflow 0
		.amdhsa_tg_split 0
		.amdhsa_exception_fp_ieee_invalid_op 0
		.amdhsa_exception_fp_denorm_src 0
		.amdhsa_exception_fp_ieee_div_zero 0
		.amdhsa_exception_fp_ieee_overflow 0
		.amdhsa_exception_fp_ieee_underflow 0
		.amdhsa_exception_fp_ieee_inexact 0
		.amdhsa_exception_int_div_zero 0
	.end_amdhsa_kernel
	.section	.text._ZN7rocprim17ROCPRIM_400000_NS6detail17trampoline_kernelINS0_14default_configENS1_38merge_sort_block_merge_config_selectorI14custom_numericNS0_10empty_typeEEEZZNS1_27merge_sort_block_merge_implIS3_N6thrust23THRUST_200600_302600_NS6detail15normal_iteratorINSA_10device_ptrIS5_EEEEPS6_mNSA_7greaterIS5_EEEE10hipError_tT0_T1_T2_jT3_P12ihipStream_tbPNSt15iterator_traitsISK_E10value_typeEPNSQ_ISL_E10value_typeEPSM_NS1_7vsmem_tEENKUlT_SK_SL_SM_E_clISF_PS5_SG_SG_EESJ_SZ_SK_SL_SM_EUlSZ_E1_NS1_11comp_targetILNS1_3genE3ELNS1_11target_archE908ELNS1_3gpuE7ELNS1_3repE0EEENS1_36merge_oddeven_config_static_selectorELNS0_4arch9wavefront6targetE1EEEvSL_,"axG",@progbits,_ZN7rocprim17ROCPRIM_400000_NS6detail17trampoline_kernelINS0_14default_configENS1_38merge_sort_block_merge_config_selectorI14custom_numericNS0_10empty_typeEEEZZNS1_27merge_sort_block_merge_implIS3_N6thrust23THRUST_200600_302600_NS6detail15normal_iteratorINSA_10device_ptrIS5_EEEEPS6_mNSA_7greaterIS5_EEEE10hipError_tT0_T1_T2_jT3_P12ihipStream_tbPNSt15iterator_traitsISK_E10value_typeEPNSQ_ISL_E10value_typeEPSM_NS1_7vsmem_tEENKUlT_SK_SL_SM_E_clISF_PS5_SG_SG_EESJ_SZ_SK_SL_SM_EUlSZ_E1_NS1_11comp_targetILNS1_3genE3ELNS1_11target_archE908ELNS1_3gpuE7ELNS1_3repE0EEENS1_36merge_oddeven_config_static_selectorELNS0_4arch9wavefront6targetE1EEEvSL_,comdat
.Lfunc_end2686:
	.size	_ZN7rocprim17ROCPRIM_400000_NS6detail17trampoline_kernelINS0_14default_configENS1_38merge_sort_block_merge_config_selectorI14custom_numericNS0_10empty_typeEEEZZNS1_27merge_sort_block_merge_implIS3_N6thrust23THRUST_200600_302600_NS6detail15normal_iteratorINSA_10device_ptrIS5_EEEEPS6_mNSA_7greaterIS5_EEEE10hipError_tT0_T1_T2_jT3_P12ihipStream_tbPNSt15iterator_traitsISK_E10value_typeEPNSQ_ISL_E10value_typeEPSM_NS1_7vsmem_tEENKUlT_SK_SL_SM_E_clISF_PS5_SG_SG_EESJ_SZ_SK_SL_SM_EUlSZ_E1_NS1_11comp_targetILNS1_3genE3ELNS1_11target_archE908ELNS1_3gpuE7ELNS1_3repE0EEENS1_36merge_oddeven_config_static_selectorELNS0_4arch9wavefront6targetE1EEEvSL_, .Lfunc_end2686-_ZN7rocprim17ROCPRIM_400000_NS6detail17trampoline_kernelINS0_14default_configENS1_38merge_sort_block_merge_config_selectorI14custom_numericNS0_10empty_typeEEEZZNS1_27merge_sort_block_merge_implIS3_N6thrust23THRUST_200600_302600_NS6detail15normal_iteratorINSA_10device_ptrIS5_EEEEPS6_mNSA_7greaterIS5_EEEE10hipError_tT0_T1_T2_jT3_P12ihipStream_tbPNSt15iterator_traitsISK_E10value_typeEPNSQ_ISL_E10value_typeEPSM_NS1_7vsmem_tEENKUlT_SK_SL_SM_E_clISF_PS5_SG_SG_EESJ_SZ_SK_SL_SM_EUlSZ_E1_NS1_11comp_targetILNS1_3genE3ELNS1_11target_archE908ELNS1_3gpuE7ELNS1_3repE0EEENS1_36merge_oddeven_config_static_selectorELNS0_4arch9wavefront6targetE1EEEvSL_
                                        ; -- End function
	.section	.AMDGPU.csdata,"",@progbits
; Kernel info:
; codeLenInByte = 0
; NumSgprs: 4
; NumVgprs: 0
; NumAgprs: 0
; TotalNumVgprs: 0
; ScratchSize: 0
; MemoryBound: 0
; FloatMode: 240
; IeeeMode: 1
; LDSByteSize: 0 bytes/workgroup (compile time only)
; SGPRBlocks: 0
; VGPRBlocks: 0
; NumSGPRsForWavesPerEU: 4
; NumVGPRsForWavesPerEU: 1
; AccumOffset: 4
; Occupancy: 8
; WaveLimiterHint : 0
; COMPUTE_PGM_RSRC2:SCRATCH_EN: 0
; COMPUTE_PGM_RSRC2:USER_SGPR: 6
; COMPUTE_PGM_RSRC2:TRAP_HANDLER: 0
; COMPUTE_PGM_RSRC2:TGID_X_EN: 1
; COMPUTE_PGM_RSRC2:TGID_Y_EN: 0
; COMPUTE_PGM_RSRC2:TGID_Z_EN: 0
; COMPUTE_PGM_RSRC2:TIDIG_COMP_CNT: 0
; COMPUTE_PGM_RSRC3_GFX90A:ACCUM_OFFSET: 0
; COMPUTE_PGM_RSRC3_GFX90A:TG_SPLIT: 0
	.section	.text._ZN7rocprim17ROCPRIM_400000_NS6detail17trampoline_kernelINS0_14default_configENS1_38merge_sort_block_merge_config_selectorI14custom_numericNS0_10empty_typeEEEZZNS1_27merge_sort_block_merge_implIS3_N6thrust23THRUST_200600_302600_NS6detail15normal_iteratorINSA_10device_ptrIS5_EEEEPS6_mNSA_7greaterIS5_EEEE10hipError_tT0_T1_T2_jT3_P12ihipStream_tbPNSt15iterator_traitsISK_E10value_typeEPNSQ_ISL_E10value_typeEPSM_NS1_7vsmem_tEENKUlT_SK_SL_SM_E_clISF_PS5_SG_SG_EESJ_SZ_SK_SL_SM_EUlSZ_E1_NS1_11comp_targetILNS1_3genE2ELNS1_11target_archE906ELNS1_3gpuE6ELNS1_3repE0EEENS1_36merge_oddeven_config_static_selectorELNS0_4arch9wavefront6targetE1EEEvSL_,"axG",@progbits,_ZN7rocprim17ROCPRIM_400000_NS6detail17trampoline_kernelINS0_14default_configENS1_38merge_sort_block_merge_config_selectorI14custom_numericNS0_10empty_typeEEEZZNS1_27merge_sort_block_merge_implIS3_N6thrust23THRUST_200600_302600_NS6detail15normal_iteratorINSA_10device_ptrIS5_EEEEPS6_mNSA_7greaterIS5_EEEE10hipError_tT0_T1_T2_jT3_P12ihipStream_tbPNSt15iterator_traitsISK_E10value_typeEPNSQ_ISL_E10value_typeEPSM_NS1_7vsmem_tEENKUlT_SK_SL_SM_E_clISF_PS5_SG_SG_EESJ_SZ_SK_SL_SM_EUlSZ_E1_NS1_11comp_targetILNS1_3genE2ELNS1_11target_archE906ELNS1_3gpuE6ELNS1_3repE0EEENS1_36merge_oddeven_config_static_selectorELNS0_4arch9wavefront6targetE1EEEvSL_,comdat
	.protected	_ZN7rocprim17ROCPRIM_400000_NS6detail17trampoline_kernelINS0_14default_configENS1_38merge_sort_block_merge_config_selectorI14custom_numericNS0_10empty_typeEEEZZNS1_27merge_sort_block_merge_implIS3_N6thrust23THRUST_200600_302600_NS6detail15normal_iteratorINSA_10device_ptrIS5_EEEEPS6_mNSA_7greaterIS5_EEEE10hipError_tT0_T1_T2_jT3_P12ihipStream_tbPNSt15iterator_traitsISK_E10value_typeEPNSQ_ISL_E10value_typeEPSM_NS1_7vsmem_tEENKUlT_SK_SL_SM_E_clISF_PS5_SG_SG_EESJ_SZ_SK_SL_SM_EUlSZ_E1_NS1_11comp_targetILNS1_3genE2ELNS1_11target_archE906ELNS1_3gpuE6ELNS1_3repE0EEENS1_36merge_oddeven_config_static_selectorELNS0_4arch9wavefront6targetE1EEEvSL_ ; -- Begin function _ZN7rocprim17ROCPRIM_400000_NS6detail17trampoline_kernelINS0_14default_configENS1_38merge_sort_block_merge_config_selectorI14custom_numericNS0_10empty_typeEEEZZNS1_27merge_sort_block_merge_implIS3_N6thrust23THRUST_200600_302600_NS6detail15normal_iteratorINSA_10device_ptrIS5_EEEEPS6_mNSA_7greaterIS5_EEEE10hipError_tT0_T1_T2_jT3_P12ihipStream_tbPNSt15iterator_traitsISK_E10value_typeEPNSQ_ISL_E10value_typeEPSM_NS1_7vsmem_tEENKUlT_SK_SL_SM_E_clISF_PS5_SG_SG_EESJ_SZ_SK_SL_SM_EUlSZ_E1_NS1_11comp_targetILNS1_3genE2ELNS1_11target_archE906ELNS1_3gpuE6ELNS1_3repE0EEENS1_36merge_oddeven_config_static_selectorELNS0_4arch9wavefront6targetE1EEEvSL_
	.globl	_ZN7rocprim17ROCPRIM_400000_NS6detail17trampoline_kernelINS0_14default_configENS1_38merge_sort_block_merge_config_selectorI14custom_numericNS0_10empty_typeEEEZZNS1_27merge_sort_block_merge_implIS3_N6thrust23THRUST_200600_302600_NS6detail15normal_iteratorINSA_10device_ptrIS5_EEEEPS6_mNSA_7greaterIS5_EEEE10hipError_tT0_T1_T2_jT3_P12ihipStream_tbPNSt15iterator_traitsISK_E10value_typeEPNSQ_ISL_E10value_typeEPSM_NS1_7vsmem_tEENKUlT_SK_SL_SM_E_clISF_PS5_SG_SG_EESJ_SZ_SK_SL_SM_EUlSZ_E1_NS1_11comp_targetILNS1_3genE2ELNS1_11target_archE906ELNS1_3gpuE6ELNS1_3repE0EEENS1_36merge_oddeven_config_static_selectorELNS0_4arch9wavefront6targetE1EEEvSL_
	.p2align	8
	.type	_ZN7rocprim17ROCPRIM_400000_NS6detail17trampoline_kernelINS0_14default_configENS1_38merge_sort_block_merge_config_selectorI14custom_numericNS0_10empty_typeEEEZZNS1_27merge_sort_block_merge_implIS3_N6thrust23THRUST_200600_302600_NS6detail15normal_iteratorINSA_10device_ptrIS5_EEEEPS6_mNSA_7greaterIS5_EEEE10hipError_tT0_T1_T2_jT3_P12ihipStream_tbPNSt15iterator_traitsISK_E10value_typeEPNSQ_ISL_E10value_typeEPSM_NS1_7vsmem_tEENKUlT_SK_SL_SM_E_clISF_PS5_SG_SG_EESJ_SZ_SK_SL_SM_EUlSZ_E1_NS1_11comp_targetILNS1_3genE2ELNS1_11target_archE906ELNS1_3gpuE6ELNS1_3repE0EEENS1_36merge_oddeven_config_static_selectorELNS0_4arch9wavefront6targetE1EEEvSL_,@function
_ZN7rocprim17ROCPRIM_400000_NS6detail17trampoline_kernelINS0_14default_configENS1_38merge_sort_block_merge_config_selectorI14custom_numericNS0_10empty_typeEEEZZNS1_27merge_sort_block_merge_implIS3_N6thrust23THRUST_200600_302600_NS6detail15normal_iteratorINSA_10device_ptrIS5_EEEEPS6_mNSA_7greaterIS5_EEEE10hipError_tT0_T1_T2_jT3_P12ihipStream_tbPNSt15iterator_traitsISK_E10value_typeEPNSQ_ISL_E10value_typeEPSM_NS1_7vsmem_tEENKUlT_SK_SL_SM_E_clISF_PS5_SG_SG_EESJ_SZ_SK_SL_SM_EUlSZ_E1_NS1_11comp_targetILNS1_3genE2ELNS1_11target_archE906ELNS1_3gpuE6ELNS1_3repE0EEENS1_36merge_oddeven_config_static_selectorELNS0_4arch9wavefront6targetE1EEEvSL_: ; @_ZN7rocprim17ROCPRIM_400000_NS6detail17trampoline_kernelINS0_14default_configENS1_38merge_sort_block_merge_config_selectorI14custom_numericNS0_10empty_typeEEEZZNS1_27merge_sort_block_merge_implIS3_N6thrust23THRUST_200600_302600_NS6detail15normal_iteratorINSA_10device_ptrIS5_EEEEPS6_mNSA_7greaterIS5_EEEE10hipError_tT0_T1_T2_jT3_P12ihipStream_tbPNSt15iterator_traitsISK_E10value_typeEPNSQ_ISL_E10value_typeEPSM_NS1_7vsmem_tEENKUlT_SK_SL_SM_E_clISF_PS5_SG_SG_EESJ_SZ_SK_SL_SM_EUlSZ_E1_NS1_11comp_targetILNS1_3genE2ELNS1_11target_archE906ELNS1_3gpuE6ELNS1_3repE0EEENS1_36merge_oddeven_config_static_selectorELNS0_4arch9wavefront6targetE1EEEvSL_
; %bb.0:
	.section	.rodata,"a",@progbits
	.p2align	6, 0x0
	.amdhsa_kernel _ZN7rocprim17ROCPRIM_400000_NS6detail17trampoline_kernelINS0_14default_configENS1_38merge_sort_block_merge_config_selectorI14custom_numericNS0_10empty_typeEEEZZNS1_27merge_sort_block_merge_implIS3_N6thrust23THRUST_200600_302600_NS6detail15normal_iteratorINSA_10device_ptrIS5_EEEEPS6_mNSA_7greaterIS5_EEEE10hipError_tT0_T1_T2_jT3_P12ihipStream_tbPNSt15iterator_traitsISK_E10value_typeEPNSQ_ISL_E10value_typeEPSM_NS1_7vsmem_tEENKUlT_SK_SL_SM_E_clISF_PS5_SG_SG_EESJ_SZ_SK_SL_SM_EUlSZ_E1_NS1_11comp_targetILNS1_3genE2ELNS1_11target_archE906ELNS1_3gpuE6ELNS1_3repE0EEENS1_36merge_oddeven_config_static_selectorELNS0_4arch9wavefront6targetE1EEEvSL_
		.amdhsa_group_segment_fixed_size 0
		.amdhsa_private_segment_fixed_size 0
		.amdhsa_kernarg_size 56
		.amdhsa_user_sgpr_count 6
		.amdhsa_user_sgpr_private_segment_buffer 1
		.amdhsa_user_sgpr_dispatch_ptr 0
		.amdhsa_user_sgpr_queue_ptr 0
		.amdhsa_user_sgpr_kernarg_segment_ptr 1
		.amdhsa_user_sgpr_dispatch_id 0
		.amdhsa_user_sgpr_flat_scratch_init 0
		.amdhsa_user_sgpr_kernarg_preload_length 0
		.amdhsa_user_sgpr_kernarg_preload_offset 0
		.amdhsa_user_sgpr_private_segment_size 0
		.amdhsa_uses_dynamic_stack 0
		.amdhsa_system_sgpr_private_segment_wavefront_offset 0
		.amdhsa_system_sgpr_workgroup_id_x 1
		.amdhsa_system_sgpr_workgroup_id_y 0
		.amdhsa_system_sgpr_workgroup_id_z 0
		.amdhsa_system_sgpr_workgroup_info 0
		.amdhsa_system_vgpr_workitem_id 0
		.amdhsa_next_free_vgpr 1
		.amdhsa_next_free_sgpr 0
		.amdhsa_accum_offset 4
		.amdhsa_reserve_vcc 0
		.amdhsa_reserve_flat_scratch 0
		.amdhsa_float_round_mode_32 0
		.amdhsa_float_round_mode_16_64 0
		.amdhsa_float_denorm_mode_32 3
		.amdhsa_float_denorm_mode_16_64 3
		.amdhsa_dx10_clamp 1
		.amdhsa_ieee_mode 1
		.amdhsa_fp16_overflow 0
		.amdhsa_tg_split 0
		.amdhsa_exception_fp_ieee_invalid_op 0
		.amdhsa_exception_fp_denorm_src 0
		.amdhsa_exception_fp_ieee_div_zero 0
		.amdhsa_exception_fp_ieee_overflow 0
		.amdhsa_exception_fp_ieee_underflow 0
		.amdhsa_exception_fp_ieee_inexact 0
		.amdhsa_exception_int_div_zero 0
	.end_amdhsa_kernel
	.section	.text._ZN7rocprim17ROCPRIM_400000_NS6detail17trampoline_kernelINS0_14default_configENS1_38merge_sort_block_merge_config_selectorI14custom_numericNS0_10empty_typeEEEZZNS1_27merge_sort_block_merge_implIS3_N6thrust23THRUST_200600_302600_NS6detail15normal_iteratorINSA_10device_ptrIS5_EEEEPS6_mNSA_7greaterIS5_EEEE10hipError_tT0_T1_T2_jT3_P12ihipStream_tbPNSt15iterator_traitsISK_E10value_typeEPNSQ_ISL_E10value_typeEPSM_NS1_7vsmem_tEENKUlT_SK_SL_SM_E_clISF_PS5_SG_SG_EESJ_SZ_SK_SL_SM_EUlSZ_E1_NS1_11comp_targetILNS1_3genE2ELNS1_11target_archE906ELNS1_3gpuE6ELNS1_3repE0EEENS1_36merge_oddeven_config_static_selectorELNS0_4arch9wavefront6targetE1EEEvSL_,"axG",@progbits,_ZN7rocprim17ROCPRIM_400000_NS6detail17trampoline_kernelINS0_14default_configENS1_38merge_sort_block_merge_config_selectorI14custom_numericNS0_10empty_typeEEEZZNS1_27merge_sort_block_merge_implIS3_N6thrust23THRUST_200600_302600_NS6detail15normal_iteratorINSA_10device_ptrIS5_EEEEPS6_mNSA_7greaterIS5_EEEE10hipError_tT0_T1_T2_jT3_P12ihipStream_tbPNSt15iterator_traitsISK_E10value_typeEPNSQ_ISL_E10value_typeEPSM_NS1_7vsmem_tEENKUlT_SK_SL_SM_E_clISF_PS5_SG_SG_EESJ_SZ_SK_SL_SM_EUlSZ_E1_NS1_11comp_targetILNS1_3genE2ELNS1_11target_archE906ELNS1_3gpuE6ELNS1_3repE0EEENS1_36merge_oddeven_config_static_selectorELNS0_4arch9wavefront6targetE1EEEvSL_,comdat
.Lfunc_end2687:
	.size	_ZN7rocprim17ROCPRIM_400000_NS6detail17trampoline_kernelINS0_14default_configENS1_38merge_sort_block_merge_config_selectorI14custom_numericNS0_10empty_typeEEEZZNS1_27merge_sort_block_merge_implIS3_N6thrust23THRUST_200600_302600_NS6detail15normal_iteratorINSA_10device_ptrIS5_EEEEPS6_mNSA_7greaterIS5_EEEE10hipError_tT0_T1_T2_jT3_P12ihipStream_tbPNSt15iterator_traitsISK_E10value_typeEPNSQ_ISL_E10value_typeEPSM_NS1_7vsmem_tEENKUlT_SK_SL_SM_E_clISF_PS5_SG_SG_EESJ_SZ_SK_SL_SM_EUlSZ_E1_NS1_11comp_targetILNS1_3genE2ELNS1_11target_archE906ELNS1_3gpuE6ELNS1_3repE0EEENS1_36merge_oddeven_config_static_selectorELNS0_4arch9wavefront6targetE1EEEvSL_, .Lfunc_end2687-_ZN7rocprim17ROCPRIM_400000_NS6detail17trampoline_kernelINS0_14default_configENS1_38merge_sort_block_merge_config_selectorI14custom_numericNS0_10empty_typeEEEZZNS1_27merge_sort_block_merge_implIS3_N6thrust23THRUST_200600_302600_NS6detail15normal_iteratorINSA_10device_ptrIS5_EEEEPS6_mNSA_7greaterIS5_EEEE10hipError_tT0_T1_T2_jT3_P12ihipStream_tbPNSt15iterator_traitsISK_E10value_typeEPNSQ_ISL_E10value_typeEPSM_NS1_7vsmem_tEENKUlT_SK_SL_SM_E_clISF_PS5_SG_SG_EESJ_SZ_SK_SL_SM_EUlSZ_E1_NS1_11comp_targetILNS1_3genE2ELNS1_11target_archE906ELNS1_3gpuE6ELNS1_3repE0EEENS1_36merge_oddeven_config_static_selectorELNS0_4arch9wavefront6targetE1EEEvSL_
                                        ; -- End function
	.section	.AMDGPU.csdata,"",@progbits
; Kernel info:
; codeLenInByte = 0
; NumSgprs: 4
; NumVgprs: 0
; NumAgprs: 0
; TotalNumVgprs: 0
; ScratchSize: 0
; MemoryBound: 0
; FloatMode: 240
; IeeeMode: 1
; LDSByteSize: 0 bytes/workgroup (compile time only)
; SGPRBlocks: 0
; VGPRBlocks: 0
; NumSGPRsForWavesPerEU: 4
; NumVGPRsForWavesPerEU: 1
; AccumOffset: 4
; Occupancy: 8
; WaveLimiterHint : 0
; COMPUTE_PGM_RSRC2:SCRATCH_EN: 0
; COMPUTE_PGM_RSRC2:USER_SGPR: 6
; COMPUTE_PGM_RSRC2:TRAP_HANDLER: 0
; COMPUTE_PGM_RSRC2:TGID_X_EN: 1
; COMPUTE_PGM_RSRC2:TGID_Y_EN: 0
; COMPUTE_PGM_RSRC2:TGID_Z_EN: 0
; COMPUTE_PGM_RSRC2:TIDIG_COMP_CNT: 0
; COMPUTE_PGM_RSRC3_GFX90A:ACCUM_OFFSET: 0
; COMPUTE_PGM_RSRC3_GFX90A:TG_SPLIT: 0
	.section	.text._ZN7rocprim17ROCPRIM_400000_NS6detail17trampoline_kernelINS0_14default_configENS1_38merge_sort_block_merge_config_selectorI14custom_numericNS0_10empty_typeEEEZZNS1_27merge_sort_block_merge_implIS3_N6thrust23THRUST_200600_302600_NS6detail15normal_iteratorINSA_10device_ptrIS5_EEEEPS6_mNSA_7greaterIS5_EEEE10hipError_tT0_T1_T2_jT3_P12ihipStream_tbPNSt15iterator_traitsISK_E10value_typeEPNSQ_ISL_E10value_typeEPSM_NS1_7vsmem_tEENKUlT_SK_SL_SM_E_clISF_PS5_SG_SG_EESJ_SZ_SK_SL_SM_EUlSZ_E1_NS1_11comp_targetILNS1_3genE9ELNS1_11target_archE1100ELNS1_3gpuE3ELNS1_3repE0EEENS1_36merge_oddeven_config_static_selectorELNS0_4arch9wavefront6targetE1EEEvSL_,"axG",@progbits,_ZN7rocprim17ROCPRIM_400000_NS6detail17trampoline_kernelINS0_14default_configENS1_38merge_sort_block_merge_config_selectorI14custom_numericNS0_10empty_typeEEEZZNS1_27merge_sort_block_merge_implIS3_N6thrust23THRUST_200600_302600_NS6detail15normal_iteratorINSA_10device_ptrIS5_EEEEPS6_mNSA_7greaterIS5_EEEE10hipError_tT0_T1_T2_jT3_P12ihipStream_tbPNSt15iterator_traitsISK_E10value_typeEPNSQ_ISL_E10value_typeEPSM_NS1_7vsmem_tEENKUlT_SK_SL_SM_E_clISF_PS5_SG_SG_EESJ_SZ_SK_SL_SM_EUlSZ_E1_NS1_11comp_targetILNS1_3genE9ELNS1_11target_archE1100ELNS1_3gpuE3ELNS1_3repE0EEENS1_36merge_oddeven_config_static_selectorELNS0_4arch9wavefront6targetE1EEEvSL_,comdat
	.protected	_ZN7rocprim17ROCPRIM_400000_NS6detail17trampoline_kernelINS0_14default_configENS1_38merge_sort_block_merge_config_selectorI14custom_numericNS0_10empty_typeEEEZZNS1_27merge_sort_block_merge_implIS3_N6thrust23THRUST_200600_302600_NS6detail15normal_iteratorINSA_10device_ptrIS5_EEEEPS6_mNSA_7greaterIS5_EEEE10hipError_tT0_T1_T2_jT3_P12ihipStream_tbPNSt15iterator_traitsISK_E10value_typeEPNSQ_ISL_E10value_typeEPSM_NS1_7vsmem_tEENKUlT_SK_SL_SM_E_clISF_PS5_SG_SG_EESJ_SZ_SK_SL_SM_EUlSZ_E1_NS1_11comp_targetILNS1_3genE9ELNS1_11target_archE1100ELNS1_3gpuE3ELNS1_3repE0EEENS1_36merge_oddeven_config_static_selectorELNS0_4arch9wavefront6targetE1EEEvSL_ ; -- Begin function _ZN7rocprim17ROCPRIM_400000_NS6detail17trampoline_kernelINS0_14default_configENS1_38merge_sort_block_merge_config_selectorI14custom_numericNS0_10empty_typeEEEZZNS1_27merge_sort_block_merge_implIS3_N6thrust23THRUST_200600_302600_NS6detail15normal_iteratorINSA_10device_ptrIS5_EEEEPS6_mNSA_7greaterIS5_EEEE10hipError_tT0_T1_T2_jT3_P12ihipStream_tbPNSt15iterator_traitsISK_E10value_typeEPNSQ_ISL_E10value_typeEPSM_NS1_7vsmem_tEENKUlT_SK_SL_SM_E_clISF_PS5_SG_SG_EESJ_SZ_SK_SL_SM_EUlSZ_E1_NS1_11comp_targetILNS1_3genE9ELNS1_11target_archE1100ELNS1_3gpuE3ELNS1_3repE0EEENS1_36merge_oddeven_config_static_selectorELNS0_4arch9wavefront6targetE1EEEvSL_
	.globl	_ZN7rocprim17ROCPRIM_400000_NS6detail17trampoline_kernelINS0_14default_configENS1_38merge_sort_block_merge_config_selectorI14custom_numericNS0_10empty_typeEEEZZNS1_27merge_sort_block_merge_implIS3_N6thrust23THRUST_200600_302600_NS6detail15normal_iteratorINSA_10device_ptrIS5_EEEEPS6_mNSA_7greaterIS5_EEEE10hipError_tT0_T1_T2_jT3_P12ihipStream_tbPNSt15iterator_traitsISK_E10value_typeEPNSQ_ISL_E10value_typeEPSM_NS1_7vsmem_tEENKUlT_SK_SL_SM_E_clISF_PS5_SG_SG_EESJ_SZ_SK_SL_SM_EUlSZ_E1_NS1_11comp_targetILNS1_3genE9ELNS1_11target_archE1100ELNS1_3gpuE3ELNS1_3repE0EEENS1_36merge_oddeven_config_static_selectorELNS0_4arch9wavefront6targetE1EEEvSL_
	.p2align	8
	.type	_ZN7rocprim17ROCPRIM_400000_NS6detail17trampoline_kernelINS0_14default_configENS1_38merge_sort_block_merge_config_selectorI14custom_numericNS0_10empty_typeEEEZZNS1_27merge_sort_block_merge_implIS3_N6thrust23THRUST_200600_302600_NS6detail15normal_iteratorINSA_10device_ptrIS5_EEEEPS6_mNSA_7greaterIS5_EEEE10hipError_tT0_T1_T2_jT3_P12ihipStream_tbPNSt15iterator_traitsISK_E10value_typeEPNSQ_ISL_E10value_typeEPSM_NS1_7vsmem_tEENKUlT_SK_SL_SM_E_clISF_PS5_SG_SG_EESJ_SZ_SK_SL_SM_EUlSZ_E1_NS1_11comp_targetILNS1_3genE9ELNS1_11target_archE1100ELNS1_3gpuE3ELNS1_3repE0EEENS1_36merge_oddeven_config_static_selectorELNS0_4arch9wavefront6targetE1EEEvSL_,@function
_ZN7rocprim17ROCPRIM_400000_NS6detail17trampoline_kernelINS0_14default_configENS1_38merge_sort_block_merge_config_selectorI14custom_numericNS0_10empty_typeEEEZZNS1_27merge_sort_block_merge_implIS3_N6thrust23THRUST_200600_302600_NS6detail15normal_iteratorINSA_10device_ptrIS5_EEEEPS6_mNSA_7greaterIS5_EEEE10hipError_tT0_T1_T2_jT3_P12ihipStream_tbPNSt15iterator_traitsISK_E10value_typeEPNSQ_ISL_E10value_typeEPSM_NS1_7vsmem_tEENKUlT_SK_SL_SM_E_clISF_PS5_SG_SG_EESJ_SZ_SK_SL_SM_EUlSZ_E1_NS1_11comp_targetILNS1_3genE9ELNS1_11target_archE1100ELNS1_3gpuE3ELNS1_3repE0EEENS1_36merge_oddeven_config_static_selectorELNS0_4arch9wavefront6targetE1EEEvSL_: ; @_ZN7rocprim17ROCPRIM_400000_NS6detail17trampoline_kernelINS0_14default_configENS1_38merge_sort_block_merge_config_selectorI14custom_numericNS0_10empty_typeEEEZZNS1_27merge_sort_block_merge_implIS3_N6thrust23THRUST_200600_302600_NS6detail15normal_iteratorINSA_10device_ptrIS5_EEEEPS6_mNSA_7greaterIS5_EEEE10hipError_tT0_T1_T2_jT3_P12ihipStream_tbPNSt15iterator_traitsISK_E10value_typeEPNSQ_ISL_E10value_typeEPSM_NS1_7vsmem_tEENKUlT_SK_SL_SM_E_clISF_PS5_SG_SG_EESJ_SZ_SK_SL_SM_EUlSZ_E1_NS1_11comp_targetILNS1_3genE9ELNS1_11target_archE1100ELNS1_3gpuE3ELNS1_3repE0EEENS1_36merge_oddeven_config_static_selectorELNS0_4arch9wavefront6targetE1EEEvSL_
; %bb.0:
	.section	.rodata,"a",@progbits
	.p2align	6, 0x0
	.amdhsa_kernel _ZN7rocprim17ROCPRIM_400000_NS6detail17trampoline_kernelINS0_14default_configENS1_38merge_sort_block_merge_config_selectorI14custom_numericNS0_10empty_typeEEEZZNS1_27merge_sort_block_merge_implIS3_N6thrust23THRUST_200600_302600_NS6detail15normal_iteratorINSA_10device_ptrIS5_EEEEPS6_mNSA_7greaterIS5_EEEE10hipError_tT0_T1_T2_jT3_P12ihipStream_tbPNSt15iterator_traitsISK_E10value_typeEPNSQ_ISL_E10value_typeEPSM_NS1_7vsmem_tEENKUlT_SK_SL_SM_E_clISF_PS5_SG_SG_EESJ_SZ_SK_SL_SM_EUlSZ_E1_NS1_11comp_targetILNS1_3genE9ELNS1_11target_archE1100ELNS1_3gpuE3ELNS1_3repE0EEENS1_36merge_oddeven_config_static_selectorELNS0_4arch9wavefront6targetE1EEEvSL_
		.amdhsa_group_segment_fixed_size 0
		.amdhsa_private_segment_fixed_size 0
		.amdhsa_kernarg_size 56
		.amdhsa_user_sgpr_count 6
		.amdhsa_user_sgpr_private_segment_buffer 1
		.amdhsa_user_sgpr_dispatch_ptr 0
		.amdhsa_user_sgpr_queue_ptr 0
		.amdhsa_user_sgpr_kernarg_segment_ptr 1
		.amdhsa_user_sgpr_dispatch_id 0
		.amdhsa_user_sgpr_flat_scratch_init 0
		.amdhsa_user_sgpr_kernarg_preload_length 0
		.amdhsa_user_sgpr_kernarg_preload_offset 0
		.amdhsa_user_sgpr_private_segment_size 0
		.amdhsa_uses_dynamic_stack 0
		.amdhsa_system_sgpr_private_segment_wavefront_offset 0
		.amdhsa_system_sgpr_workgroup_id_x 1
		.amdhsa_system_sgpr_workgroup_id_y 0
		.amdhsa_system_sgpr_workgroup_id_z 0
		.amdhsa_system_sgpr_workgroup_info 0
		.amdhsa_system_vgpr_workitem_id 0
		.amdhsa_next_free_vgpr 1
		.amdhsa_next_free_sgpr 0
		.amdhsa_accum_offset 4
		.amdhsa_reserve_vcc 0
		.amdhsa_reserve_flat_scratch 0
		.amdhsa_float_round_mode_32 0
		.amdhsa_float_round_mode_16_64 0
		.amdhsa_float_denorm_mode_32 3
		.amdhsa_float_denorm_mode_16_64 3
		.amdhsa_dx10_clamp 1
		.amdhsa_ieee_mode 1
		.amdhsa_fp16_overflow 0
		.amdhsa_tg_split 0
		.amdhsa_exception_fp_ieee_invalid_op 0
		.amdhsa_exception_fp_denorm_src 0
		.amdhsa_exception_fp_ieee_div_zero 0
		.amdhsa_exception_fp_ieee_overflow 0
		.amdhsa_exception_fp_ieee_underflow 0
		.amdhsa_exception_fp_ieee_inexact 0
		.amdhsa_exception_int_div_zero 0
	.end_amdhsa_kernel
	.section	.text._ZN7rocprim17ROCPRIM_400000_NS6detail17trampoline_kernelINS0_14default_configENS1_38merge_sort_block_merge_config_selectorI14custom_numericNS0_10empty_typeEEEZZNS1_27merge_sort_block_merge_implIS3_N6thrust23THRUST_200600_302600_NS6detail15normal_iteratorINSA_10device_ptrIS5_EEEEPS6_mNSA_7greaterIS5_EEEE10hipError_tT0_T1_T2_jT3_P12ihipStream_tbPNSt15iterator_traitsISK_E10value_typeEPNSQ_ISL_E10value_typeEPSM_NS1_7vsmem_tEENKUlT_SK_SL_SM_E_clISF_PS5_SG_SG_EESJ_SZ_SK_SL_SM_EUlSZ_E1_NS1_11comp_targetILNS1_3genE9ELNS1_11target_archE1100ELNS1_3gpuE3ELNS1_3repE0EEENS1_36merge_oddeven_config_static_selectorELNS0_4arch9wavefront6targetE1EEEvSL_,"axG",@progbits,_ZN7rocprim17ROCPRIM_400000_NS6detail17trampoline_kernelINS0_14default_configENS1_38merge_sort_block_merge_config_selectorI14custom_numericNS0_10empty_typeEEEZZNS1_27merge_sort_block_merge_implIS3_N6thrust23THRUST_200600_302600_NS6detail15normal_iteratorINSA_10device_ptrIS5_EEEEPS6_mNSA_7greaterIS5_EEEE10hipError_tT0_T1_T2_jT3_P12ihipStream_tbPNSt15iterator_traitsISK_E10value_typeEPNSQ_ISL_E10value_typeEPSM_NS1_7vsmem_tEENKUlT_SK_SL_SM_E_clISF_PS5_SG_SG_EESJ_SZ_SK_SL_SM_EUlSZ_E1_NS1_11comp_targetILNS1_3genE9ELNS1_11target_archE1100ELNS1_3gpuE3ELNS1_3repE0EEENS1_36merge_oddeven_config_static_selectorELNS0_4arch9wavefront6targetE1EEEvSL_,comdat
.Lfunc_end2688:
	.size	_ZN7rocprim17ROCPRIM_400000_NS6detail17trampoline_kernelINS0_14default_configENS1_38merge_sort_block_merge_config_selectorI14custom_numericNS0_10empty_typeEEEZZNS1_27merge_sort_block_merge_implIS3_N6thrust23THRUST_200600_302600_NS6detail15normal_iteratorINSA_10device_ptrIS5_EEEEPS6_mNSA_7greaterIS5_EEEE10hipError_tT0_T1_T2_jT3_P12ihipStream_tbPNSt15iterator_traitsISK_E10value_typeEPNSQ_ISL_E10value_typeEPSM_NS1_7vsmem_tEENKUlT_SK_SL_SM_E_clISF_PS5_SG_SG_EESJ_SZ_SK_SL_SM_EUlSZ_E1_NS1_11comp_targetILNS1_3genE9ELNS1_11target_archE1100ELNS1_3gpuE3ELNS1_3repE0EEENS1_36merge_oddeven_config_static_selectorELNS0_4arch9wavefront6targetE1EEEvSL_, .Lfunc_end2688-_ZN7rocprim17ROCPRIM_400000_NS6detail17trampoline_kernelINS0_14default_configENS1_38merge_sort_block_merge_config_selectorI14custom_numericNS0_10empty_typeEEEZZNS1_27merge_sort_block_merge_implIS3_N6thrust23THRUST_200600_302600_NS6detail15normal_iteratorINSA_10device_ptrIS5_EEEEPS6_mNSA_7greaterIS5_EEEE10hipError_tT0_T1_T2_jT3_P12ihipStream_tbPNSt15iterator_traitsISK_E10value_typeEPNSQ_ISL_E10value_typeEPSM_NS1_7vsmem_tEENKUlT_SK_SL_SM_E_clISF_PS5_SG_SG_EESJ_SZ_SK_SL_SM_EUlSZ_E1_NS1_11comp_targetILNS1_3genE9ELNS1_11target_archE1100ELNS1_3gpuE3ELNS1_3repE0EEENS1_36merge_oddeven_config_static_selectorELNS0_4arch9wavefront6targetE1EEEvSL_
                                        ; -- End function
	.section	.AMDGPU.csdata,"",@progbits
; Kernel info:
; codeLenInByte = 0
; NumSgprs: 4
; NumVgprs: 0
; NumAgprs: 0
; TotalNumVgprs: 0
; ScratchSize: 0
; MemoryBound: 0
; FloatMode: 240
; IeeeMode: 1
; LDSByteSize: 0 bytes/workgroup (compile time only)
; SGPRBlocks: 0
; VGPRBlocks: 0
; NumSGPRsForWavesPerEU: 4
; NumVGPRsForWavesPerEU: 1
; AccumOffset: 4
; Occupancy: 8
; WaveLimiterHint : 0
; COMPUTE_PGM_RSRC2:SCRATCH_EN: 0
; COMPUTE_PGM_RSRC2:USER_SGPR: 6
; COMPUTE_PGM_RSRC2:TRAP_HANDLER: 0
; COMPUTE_PGM_RSRC2:TGID_X_EN: 1
; COMPUTE_PGM_RSRC2:TGID_Y_EN: 0
; COMPUTE_PGM_RSRC2:TGID_Z_EN: 0
; COMPUTE_PGM_RSRC2:TIDIG_COMP_CNT: 0
; COMPUTE_PGM_RSRC3_GFX90A:ACCUM_OFFSET: 0
; COMPUTE_PGM_RSRC3_GFX90A:TG_SPLIT: 0
	.section	.text._ZN7rocprim17ROCPRIM_400000_NS6detail17trampoline_kernelINS0_14default_configENS1_38merge_sort_block_merge_config_selectorI14custom_numericNS0_10empty_typeEEEZZNS1_27merge_sort_block_merge_implIS3_N6thrust23THRUST_200600_302600_NS6detail15normal_iteratorINSA_10device_ptrIS5_EEEEPS6_mNSA_7greaterIS5_EEEE10hipError_tT0_T1_T2_jT3_P12ihipStream_tbPNSt15iterator_traitsISK_E10value_typeEPNSQ_ISL_E10value_typeEPSM_NS1_7vsmem_tEENKUlT_SK_SL_SM_E_clISF_PS5_SG_SG_EESJ_SZ_SK_SL_SM_EUlSZ_E1_NS1_11comp_targetILNS1_3genE8ELNS1_11target_archE1030ELNS1_3gpuE2ELNS1_3repE0EEENS1_36merge_oddeven_config_static_selectorELNS0_4arch9wavefront6targetE1EEEvSL_,"axG",@progbits,_ZN7rocprim17ROCPRIM_400000_NS6detail17trampoline_kernelINS0_14default_configENS1_38merge_sort_block_merge_config_selectorI14custom_numericNS0_10empty_typeEEEZZNS1_27merge_sort_block_merge_implIS3_N6thrust23THRUST_200600_302600_NS6detail15normal_iteratorINSA_10device_ptrIS5_EEEEPS6_mNSA_7greaterIS5_EEEE10hipError_tT0_T1_T2_jT3_P12ihipStream_tbPNSt15iterator_traitsISK_E10value_typeEPNSQ_ISL_E10value_typeEPSM_NS1_7vsmem_tEENKUlT_SK_SL_SM_E_clISF_PS5_SG_SG_EESJ_SZ_SK_SL_SM_EUlSZ_E1_NS1_11comp_targetILNS1_3genE8ELNS1_11target_archE1030ELNS1_3gpuE2ELNS1_3repE0EEENS1_36merge_oddeven_config_static_selectorELNS0_4arch9wavefront6targetE1EEEvSL_,comdat
	.protected	_ZN7rocprim17ROCPRIM_400000_NS6detail17trampoline_kernelINS0_14default_configENS1_38merge_sort_block_merge_config_selectorI14custom_numericNS0_10empty_typeEEEZZNS1_27merge_sort_block_merge_implIS3_N6thrust23THRUST_200600_302600_NS6detail15normal_iteratorINSA_10device_ptrIS5_EEEEPS6_mNSA_7greaterIS5_EEEE10hipError_tT0_T1_T2_jT3_P12ihipStream_tbPNSt15iterator_traitsISK_E10value_typeEPNSQ_ISL_E10value_typeEPSM_NS1_7vsmem_tEENKUlT_SK_SL_SM_E_clISF_PS5_SG_SG_EESJ_SZ_SK_SL_SM_EUlSZ_E1_NS1_11comp_targetILNS1_3genE8ELNS1_11target_archE1030ELNS1_3gpuE2ELNS1_3repE0EEENS1_36merge_oddeven_config_static_selectorELNS0_4arch9wavefront6targetE1EEEvSL_ ; -- Begin function _ZN7rocprim17ROCPRIM_400000_NS6detail17trampoline_kernelINS0_14default_configENS1_38merge_sort_block_merge_config_selectorI14custom_numericNS0_10empty_typeEEEZZNS1_27merge_sort_block_merge_implIS3_N6thrust23THRUST_200600_302600_NS6detail15normal_iteratorINSA_10device_ptrIS5_EEEEPS6_mNSA_7greaterIS5_EEEE10hipError_tT0_T1_T2_jT3_P12ihipStream_tbPNSt15iterator_traitsISK_E10value_typeEPNSQ_ISL_E10value_typeEPSM_NS1_7vsmem_tEENKUlT_SK_SL_SM_E_clISF_PS5_SG_SG_EESJ_SZ_SK_SL_SM_EUlSZ_E1_NS1_11comp_targetILNS1_3genE8ELNS1_11target_archE1030ELNS1_3gpuE2ELNS1_3repE0EEENS1_36merge_oddeven_config_static_selectorELNS0_4arch9wavefront6targetE1EEEvSL_
	.globl	_ZN7rocprim17ROCPRIM_400000_NS6detail17trampoline_kernelINS0_14default_configENS1_38merge_sort_block_merge_config_selectorI14custom_numericNS0_10empty_typeEEEZZNS1_27merge_sort_block_merge_implIS3_N6thrust23THRUST_200600_302600_NS6detail15normal_iteratorINSA_10device_ptrIS5_EEEEPS6_mNSA_7greaterIS5_EEEE10hipError_tT0_T1_T2_jT3_P12ihipStream_tbPNSt15iterator_traitsISK_E10value_typeEPNSQ_ISL_E10value_typeEPSM_NS1_7vsmem_tEENKUlT_SK_SL_SM_E_clISF_PS5_SG_SG_EESJ_SZ_SK_SL_SM_EUlSZ_E1_NS1_11comp_targetILNS1_3genE8ELNS1_11target_archE1030ELNS1_3gpuE2ELNS1_3repE0EEENS1_36merge_oddeven_config_static_selectorELNS0_4arch9wavefront6targetE1EEEvSL_
	.p2align	8
	.type	_ZN7rocprim17ROCPRIM_400000_NS6detail17trampoline_kernelINS0_14default_configENS1_38merge_sort_block_merge_config_selectorI14custom_numericNS0_10empty_typeEEEZZNS1_27merge_sort_block_merge_implIS3_N6thrust23THRUST_200600_302600_NS6detail15normal_iteratorINSA_10device_ptrIS5_EEEEPS6_mNSA_7greaterIS5_EEEE10hipError_tT0_T1_T2_jT3_P12ihipStream_tbPNSt15iterator_traitsISK_E10value_typeEPNSQ_ISL_E10value_typeEPSM_NS1_7vsmem_tEENKUlT_SK_SL_SM_E_clISF_PS5_SG_SG_EESJ_SZ_SK_SL_SM_EUlSZ_E1_NS1_11comp_targetILNS1_3genE8ELNS1_11target_archE1030ELNS1_3gpuE2ELNS1_3repE0EEENS1_36merge_oddeven_config_static_selectorELNS0_4arch9wavefront6targetE1EEEvSL_,@function
_ZN7rocprim17ROCPRIM_400000_NS6detail17trampoline_kernelINS0_14default_configENS1_38merge_sort_block_merge_config_selectorI14custom_numericNS0_10empty_typeEEEZZNS1_27merge_sort_block_merge_implIS3_N6thrust23THRUST_200600_302600_NS6detail15normal_iteratorINSA_10device_ptrIS5_EEEEPS6_mNSA_7greaterIS5_EEEE10hipError_tT0_T1_T2_jT3_P12ihipStream_tbPNSt15iterator_traitsISK_E10value_typeEPNSQ_ISL_E10value_typeEPSM_NS1_7vsmem_tEENKUlT_SK_SL_SM_E_clISF_PS5_SG_SG_EESJ_SZ_SK_SL_SM_EUlSZ_E1_NS1_11comp_targetILNS1_3genE8ELNS1_11target_archE1030ELNS1_3gpuE2ELNS1_3repE0EEENS1_36merge_oddeven_config_static_selectorELNS0_4arch9wavefront6targetE1EEEvSL_: ; @_ZN7rocprim17ROCPRIM_400000_NS6detail17trampoline_kernelINS0_14default_configENS1_38merge_sort_block_merge_config_selectorI14custom_numericNS0_10empty_typeEEEZZNS1_27merge_sort_block_merge_implIS3_N6thrust23THRUST_200600_302600_NS6detail15normal_iteratorINSA_10device_ptrIS5_EEEEPS6_mNSA_7greaterIS5_EEEE10hipError_tT0_T1_T2_jT3_P12ihipStream_tbPNSt15iterator_traitsISK_E10value_typeEPNSQ_ISL_E10value_typeEPSM_NS1_7vsmem_tEENKUlT_SK_SL_SM_E_clISF_PS5_SG_SG_EESJ_SZ_SK_SL_SM_EUlSZ_E1_NS1_11comp_targetILNS1_3genE8ELNS1_11target_archE1030ELNS1_3gpuE2ELNS1_3repE0EEENS1_36merge_oddeven_config_static_selectorELNS0_4arch9wavefront6targetE1EEEvSL_
; %bb.0:
	.section	.rodata,"a",@progbits
	.p2align	6, 0x0
	.amdhsa_kernel _ZN7rocprim17ROCPRIM_400000_NS6detail17trampoline_kernelINS0_14default_configENS1_38merge_sort_block_merge_config_selectorI14custom_numericNS0_10empty_typeEEEZZNS1_27merge_sort_block_merge_implIS3_N6thrust23THRUST_200600_302600_NS6detail15normal_iteratorINSA_10device_ptrIS5_EEEEPS6_mNSA_7greaterIS5_EEEE10hipError_tT0_T1_T2_jT3_P12ihipStream_tbPNSt15iterator_traitsISK_E10value_typeEPNSQ_ISL_E10value_typeEPSM_NS1_7vsmem_tEENKUlT_SK_SL_SM_E_clISF_PS5_SG_SG_EESJ_SZ_SK_SL_SM_EUlSZ_E1_NS1_11comp_targetILNS1_3genE8ELNS1_11target_archE1030ELNS1_3gpuE2ELNS1_3repE0EEENS1_36merge_oddeven_config_static_selectorELNS0_4arch9wavefront6targetE1EEEvSL_
		.amdhsa_group_segment_fixed_size 0
		.amdhsa_private_segment_fixed_size 0
		.amdhsa_kernarg_size 56
		.amdhsa_user_sgpr_count 6
		.amdhsa_user_sgpr_private_segment_buffer 1
		.amdhsa_user_sgpr_dispatch_ptr 0
		.amdhsa_user_sgpr_queue_ptr 0
		.amdhsa_user_sgpr_kernarg_segment_ptr 1
		.amdhsa_user_sgpr_dispatch_id 0
		.amdhsa_user_sgpr_flat_scratch_init 0
		.amdhsa_user_sgpr_kernarg_preload_length 0
		.amdhsa_user_sgpr_kernarg_preload_offset 0
		.amdhsa_user_sgpr_private_segment_size 0
		.amdhsa_uses_dynamic_stack 0
		.amdhsa_system_sgpr_private_segment_wavefront_offset 0
		.amdhsa_system_sgpr_workgroup_id_x 1
		.amdhsa_system_sgpr_workgroup_id_y 0
		.amdhsa_system_sgpr_workgroup_id_z 0
		.amdhsa_system_sgpr_workgroup_info 0
		.amdhsa_system_vgpr_workitem_id 0
		.amdhsa_next_free_vgpr 1
		.amdhsa_next_free_sgpr 0
		.amdhsa_accum_offset 4
		.amdhsa_reserve_vcc 0
		.amdhsa_reserve_flat_scratch 0
		.amdhsa_float_round_mode_32 0
		.amdhsa_float_round_mode_16_64 0
		.amdhsa_float_denorm_mode_32 3
		.amdhsa_float_denorm_mode_16_64 3
		.amdhsa_dx10_clamp 1
		.amdhsa_ieee_mode 1
		.amdhsa_fp16_overflow 0
		.amdhsa_tg_split 0
		.amdhsa_exception_fp_ieee_invalid_op 0
		.amdhsa_exception_fp_denorm_src 0
		.amdhsa_exception_fp_ieee_div_zero 0
		.amdhsa_exception_fp_ieee_overflow 0
		.amdhsa_exception_fp_ieee_underflow 0
		.amdhsa_exception_fp_ieee_inexact 0
		.amdhsa_exception_int_div_zero 0
	.end_amdhsa_kernel
	.section	.text._ZN7rocprim17ROCPRIM_400000_NS6detail17trampoline_kernelINS0_14default_configENS1_38merge_sort_block_merge_config_selectorI14custom_numericNS0_10empty_typeEEEZZNS1_27merge_sort_block_merge_implIS3_N6thrust23THRUST_200600_302600_NS6detail15normal_iteratorINSA_10device_ptrIS5_EEEEPS6_mNSA_7greaterIS5_EEEE10hipError_tT0_T1_T2_jT3_P12ihipStream_tbPNSt15iterator_traitsISK_E10value_typeEPNSQ_ISL_E10value_typeEPSM_NS1_7vsmem_tEENKUlT_SK_SL_SM_E_clISF_PS5_SG_SG_EESJ_SZ_SK_SL_SM_EUlSZ_E1_NS1_11comp_targetILNS1_3genE8ELNS1_11target_archE1030ELNS1_3gpuE2ELNS1_3repE0EEENS1_36merge_oddeven_config_static_selectorELNS0_4arch9wavefront6targetE1EEEvSL_,"axG",@progbits,_ZN7rocprim17ROCPRIM_400000_NS6detail17trampoline_kernelINS0_14default_configENS1_38merge_sort_block_merge_config_selectorI14custom_numericNS0_10empty_typeEEEZZNS1_27merge_sort_block_merge_implIS3_N6thrust23THRUST_200600_302600_NS6detail15normal_iteratorINSA_10device_ptrIS5_EEEEPS6_mNSA_7greaterIS5_EEEE10hipError_tT0_T1_T2_jT3_P12ihipStream_tbPNSt15iterator_traitsISK_E10value_typeEPNSQ_ISL_E10value_typeEPSM_NS1_7vsmem_tEENKUlT_SK_SL_SM_E_clISF_PS5_SG_SG_EESJ_SZ_SK_SL_SM_EUlSZ_E1_NS1_11comp_targetILNS1_3genE8ELNS1_11target_archE1030ELNS1_3gpuE2ELNS1_3repE0EEENS1_36merge_oddeven_config_static_selectorELNS0_4arch9wavefront6targetE1EEEvSL_,comdat
.Lfunc_end2689:
	.size	_ZN7rocprim17ROCPRIM_400000_NS6detail17trampoline_kernelINS0_14default_configENS1_38merge_sort_block_merge_config_selectorI14custom_numericNS0_10empty_typeEEEZZNS1_27merge_sort_block_merge_implIS3_N6thrust23THRUST_200600_302600_NS6detail15normal_iteratorINSA_10device_ptrIS5_EEEEPS6_mNSA_7greaterIS5_EEEE10hipError_tT0_T1_T2_jT3_P12ihipStream_tbPNSt15iterator_traitsISK_E10value_typeEPNSQ_ISL_E10value_typeEPSM_NS1_7vsmem_tEENKUlT_SK_SL_SM_E_clISF_PS5_SG_SG_EESJ_SZ_SK_SL_SM_EUlSZ_E1_NS1_11comp_targetILNS1_3genE8ELNS1_11target_archE1030ELNS1_3gpuE2ELNS1_3repE0EEENS1_36merge_oddeven_config_static_selectorELNS0_4arch9wavefront6targetE1EEEvSL_, .Lfunc_end2689-_ZN7rocprim17ROCPRIM_400000_NS6detail17trampoline_kernelINS0_14default_configENS1_38merge_sort_block_merge_config_selectorI14custom_numericNS0_10empty_typeEEEZZNS1_27merge_sort_block_merge_implIS3_N6thrust23THRUST_200600_302600_NS6detail15normal_iteratorINSA_10device_ptrIS5_EEEEPS6_mNSA_7greaterIS5_EEEE10hipError_tT0_T1_T2_jT3_P12ihipStream_tbPNSt15iterator_traitsISK_E10value_typeEPNSQ_ISL_E10value_typeEPSM_NS1_7vsmem_tEENKUlT_SK_SL_SM_E_clISF_PS5_SG_SG_EESJ_SZ_SK_SL_SM_EUlSZ_E1_NS1_11comp_targetILNS1_3genE8ELNS1_11target_archE1030ELNS1_3gpuE2ELNS1_3repE0EEENS1_36merge_oddeven_config_static_selectorELNS0_4arch9wavefront6targetE1EEEvSL_
                                        ; -- End function
	.section	.AMDGPU.csdata,"",@progbits
; Kernel info:
; codeLenInByte = 0
; NumSgprs: 4
; NumVgprs: 0
; NumAgprs: 0
; TotalNumVgprs: 0
; ScratchSize: 0
; MemoryBound: 0
; FloatMode: 240
; IeeeMode: 1
; LDSByteSize: 0 bytes/workgroup (compile time only)
; SGPRBlocks: 0
; VGPRBlocks: 0
; NumSGPRsForWavesPerEU: 4
; NumVGPRsForWavesPerEU: 1
; AccumOffset: 4
; Occupancy: 8
; WaveLimiterHint : 0
; COMPUTE_PGM_RSRC2:SCRATCH_EN: 0
; COMPUTE_PGM_RSRC2:USER_SGPR: 6
; COMPUTE_PGM_RSRC2:TRAP_HANDLER: 0
; COMPUTE_PGM_RSRC2:TGID_X_EN: 1
; COMPUTE_PGM_RSRC2:TGID_Y_EN: 0
; COMPUTE_PGM_RSRC2:TGID_Z_EN: 0
; COMPUTE_PGM_RSRC2:TIDIG_COMP_CNT: 0
; COMPUTE_PGM_RSRC3_GFX90A:ACCUM_OFFSET: 0
; COMPUTE_PGM_RSRC3_GFX90A:TG_SPLIT: 0
	.section	.text._ZN7rocprim17ROCPRIM_400000_NS6detail44device_merge_sort_compile_time_verifier_archINS1_11comp_targetILNS1_3genE0ELNS1_11target_archE4294967295ELNS1_3gpuE0ELNS1_3repE0EEES8_NS0_14default_configES9_NS1_37merge_sort_block_sort_config_selectorIcNS0_10empty_typeEEENS1_38merge_sort_block_merge_config_selectorIcSB_EEEEvv,"axG",@progbits,_ZN7rocprim17ROCPRIM_400000_NS6detail44device_merge_sort_compile_time_verifier_archINS1_11comp_targetILNS1_3genE0ELNS1_11target_archE4294967295ELNS1_3gpuE0ELNS1_3repE0EEES8_NS0_14default_configES9_NS1_37merge_sort_block_sort_config_selectorIcNS0_10empty_typeEEENS1_38merge_sort_block_merge_config_selectorIcSB_EEEEvv,comdat
	.protected	_ZN7rocprim17ROCPRIM_400000_NS6detail44device_merge_sort_compile_time_verifier_archINS1_11comp_targetILNS1_3genE0ELNS1_11target_archE4294967295ELNS1_3gpuE0ELNS1_3repE0EEES8_NS0_14default_configES9_NS1_37merge_sort_block_sort_config_selectorIcNS0_10empty_typeEEENS1_38merge_sort_block_merge_config_selectorIcSB_EEEEvv ; -- Begin function _ZN7rocprim17ROCPRIM_400000_NS6detail44device_merge_sort_compile_time_verifier_archINS1_11comp_targetILNS1_3genE0ELNS1_11target_archE4294967295ELNS1_3gpuE0ELNS1_3repE0EEES8_NS0_14default_configES9_NS1_37merge_sort_block_sort_config_selectorIcNS0_10empty_typeEEENS1_38merge_sort_block_merge_config_selectorIcSB_EEEEvv
	.globl	_ZN7rocprim17ROCPRIM_400000_NS6detail44device_merge_sort_compile_time_verifier_archINS1_11comp_targetILNS1_3genE0ELNS1_11target_archE4294967295ELNS1_3gpuE0ELNS1_3repE0EEES8_NS0_14default_configES9_NS1_37merge_sort_block_sort_config_selectorIcNS0_10empty_typeEEENS1_38merge_sort_block_merge_config_selectorIcSB_EEEEvv
	.p2align	8
	.type	_ZN7rocprim17ROCPRIM_400000_NS6detail44device_merge_sort_compile_time_verifier_archINS1_11comp_targetILNS1_3genE0ELNS1_11target_archE4294967295ELNS1_3gpuE0ELNS1_3repE0EEES8_NS0_14default_configES9_NS1_37merge_sort_block_sort_config_selectorIcNS0_10empty_typeEEENS1_38merge_sort_block_merge_config_selectorIcSB_EEEEvv,@function
_ZN7rocprim17ROCPRIM_400000_NS6detail44device_merge_sort_compile_time_verifier_archINS1_11comp_targetILNS1_3genE0ELNS1_11target_archE4294967295ELNS1_3gpuE0ELNS1_3repE0EEES8_NS0_14default_configES9_NS1_37merge_sort_block_sort_config_selectorIcNS0_10empty_typeEEENS1_38merge_sort_block_merge_config_selectorIcSB_EEEEvv: ; @_ZN7rocprim17ROCPRIM_400000_NS6detail44device_merge_sort_compile_time_verifier_archINS1_11comp_targetILNS1_3genE0ELNS1_11target_archE4294967295ELNS1_3gpuE0ELNS1_3repE0EEES8_NS0_14default_configES9_NS1_37merge_sort_block_sort_config_selectorIcNS0_10empty_typeEEENS1_38merge_sort_block_merge_config_selectorIcSB_EEEEvv
; %bb.0:
	s_endpgm
	.section	.rodata,"a",@progbits
	.p2align	6, 0x0
	.amdhsa_kernel _ZN7rocprim17ROCPRIM_400000_NS6detail44device_merge_sort_compile_time_verifier_archINS1_11comp_targetILNS1_3genE0ELNS1_11target_archE4294967295ELNS1_3gpuE0ELNS1_3repE0EEES8_NS0_14default_configES9_NS1_37merge_sort_block_sort_config_selectorIcNS0_10empty_typeEEENS1_38merge_sort_block_merge_config_selectorIcSB_EEEEvv
		.amdhsa_group_segment_fixed_size 0
		.amdhsa_private_segment_fixed_size 0
		.amdhsa_kernarg_size 0
		.amdhsa_user_sgpr_count 4
		.amdhsa_user_sgpr_private_segment_buffer 1
		.amdhsa_user_sgpr_dispatch_ptr 0
		.amdhsa_user_sgpr_queue_ptr 0
		.amdhsa_user_sgpr_kernarg_segment_ptr 0
		.amdhsa_user_sgpr_dispatch_id 0
		.amdhsa_user_sgpr_flat_scratch_init 0
		.amdhsa_user_sgpr_kernarg_preload_length 0
		.amdhsa_user_sgpr_kernarg_preload_offset 0
		.amdhsa_user_sgpr_private_segment_size 0
		.amdhsa_uses_dynamic_stack 0
		.amdhsa_system_sgpr_private_segment_wavefront_offset 0
		.amdhsa_system_sgpr_workgroup_id_x 1
		.amdhsa_system_sgpr_workgroup_id_y 0
		.amdhsa_system_sgpr_workgroup_id_z 0
		.amdhsa_system_sgpr_workgroup_info 0
		.amdhsa_system_vgpr_workitem_id 0
		.amdhsa_next_free_vgpr 1
		.amdhsa_next_free_sgpr 0
		.amdhsa_accum_offset 4
		.amdhsa_reserve_vcc 0
		.amdhsa_reserve_flat_scratch 0
		.amdhsa_float_round_mode_32 0
		.amdhsa_float_round_mode_16_64 0
		.amdhsa_float_denorm_mode_32 3
		.amdhsa_float_denorm_mode_16_64 3
		.amdhsa_dx10_clamp 1
		.amdhsa_ieee_mode 1
		.amdhsa_fp16_overflow 0
		.amdhsa_tg_split 0
		.amdhsa_exception_fp_ieee_invalid_op 0
		.amdhsa_exception_fp_denorm_src 0
		.amdhsa_exception_fp_ieee_div_zero 0
		.amdhsa_exception_fp_ieee_overflow 0
		.amdhsa_exception_fp_ieee_underflow 0
		.amdhsa_exception_fp_ieee_inexact 0
		.amdhsa_exception_int_div_zero 0
	.end_amdhsa_kernel
	.section	.text._ZN7rocprim17ROCPRIM_400000_NS6detail44device_merge_sort_compile_time_verifier_archINS1_11comp_targetILNS1_3genE0ELNS1_11target_archE4294967295ELNS1_3gpuE0ELNS1_3repE0EEES8_NS0_14default_configES9_NS1_37merge_sort_block_sort_config_selectorIcNS0_10empty_typeEEENS1_38merge_sort_block_merge_config_selectorIcSB_EEEEvv,"axG",@progbits,_ZN7rocprim17ROCPRIM_400000_NS6detail44device_merge_sort_compile_time_verifier_archINS1_11comp_targetILNS1_3genE0ELNS1_11target_archE4294967295ELNS1_3gpuE0ELNS1_3repE0EEES8_NS0_14default_configES9_NS1_37merge_sort_block_sort_config_selectorIcNS0_10empty_typeEEENS1_38merge_sort_block_merge_config_selectorIcSB_EEEEvv,comdat
.Lfunc_end2690:
	.size	_ZN7rocprim17ROCPRIM_400000_NS6detail44device_merge_sort_compile_time_verifier_archINS1_11comp_targetILNS1_3genE0ELNS1_11target_archE4294967295ELNS1_3gpuE0ELNS1_3repE0EEES8_NS0_14default_configES9_NS1_37merge_sort_block_sort_config_selectorIcNS0_10empty_typeEEENS1_38merge_sort_block_merge_config_selectorIcSB_EEEEvv, .Lfunc_end2690-_ZN7rocprim17ROCPRIM_400000_NS6detail44device_merge_sort_compile_time_verifier_archINS1_11comp_targetILNS1_3genE0ELNS1_11target_archE4294967295ELNS1_3gpuE0ELNS1_3repE0EEES8_NS0_14default_configES9_NS1_37merge_sort_block_sort_config_selectorIcNS0_10empty_typeEEENS1_38merge_sort_block_merge_config_selectorIcSB_EEEEvv
                                        ; -- End function
	.section	.AMDGPU.csdata,"",@progbits
; Kernel info:
; codeLenInByte = 4
; NumSgprs: 4
; NumVgprs: 0
; NumAgprs: 0
; TotalNumVgprs: 0
; ScratchSize: 0
; MemoryBound: 0
; FloatMode: 240
; IeeeMode: 1
; LDSByteSize: 0 bytes/workgroup (compile time only)
; SGPRBlocks: 0
; VGPRBlocks: 0
; NumSGPRsForWavesPerEU: 4
; NumVGPRsForWavesPerEU: 1
; AccumOffset: 4
; Occupancy: 8
; WaveLimiterHint : 0
; COMPUTE_PGM_RSRC2:SCRATCH_EN: 0
; COMPUTE_PGM_RSRC2:USER_SGPR: 4
; COMPUTE_PGM_RSRC2:TRAP_HANDLER: 0
; COMPUTE_PGM_RSRC2:TGID_X_EN: 1
; COMPUTE_PGM_RSRC2:TGID_Y_EN: 0
; COMPUTE_PGM_RSRC2:TGID_Z_EN: 0
; COMPUTE_PGM_RSRC2:TIDIG_COMP_CNT: 0
; COMPUTE_PGM_RSRC3_GFX90A:ACCUM_OFFSET: 0
; COMPUTE_PGM_RSRC3_GFX90A:TG_SPLIT: 0
	.section	.text._ZN7rocprim17ROCPRIM_400000_NS6detail44device_merge_sort_compile_time_verifier_archINS1_11comp_targetILNS1_3genE5ELNS1_11target_archE942ELNS1_3gpuE9ELNS1_3repE0EEES8_NS0_14default_configES9_NS1_37merge_sort_block_sort_config_selectorIcNS0_10empty_typeEEENS1_38merge_sort_block_merge_config_selectorIcSB_EEEEvv,"axG",@progbits,_ZN7rocprim17ROCPRIM_400000_NS6detail44device_merge_sort_compile_time_verifier_archINS1_11comp_targetILNS1_3genE5ELNS1_11target_archE942ELNS1_3gpuE9ELNS1_3repE0EEES8_NS0_14default_configES9_NS1_37merge_sort_block_sort_config_selectorIcNS0_10empty_typeEEENS1_38merge_sort_block_merge_config_selectorIcSB_EEEEvv,comdat
	.protected	_ZN7rocprim17ROCPRIM_400000_NS6detail44device_merge_sort_compile_time_verifier_archINS1_11comp_targetILNS1_3genE5ELNS1_11target_archE942ELNS1_3gpuE9ELNS1_3repE0EEES8_NS0_14default_configES9_NS1_37merge_sort_block_sort_config_selectorIcNS0_10empty_typeEEENS1_38merge_sort_block_merge_config_selectorIcSB_EEEEvv ; -- Begin function _ZN7rocprim17ROCPRIM_400000_NS6detail44device_merge_sort_compile_time_verifier_archINS1_11comp_targetILNS1_3genE5ELNS1_11target_archE942ELNS1_3gpuE9ELNS1_3repE0EEES8_NS0_14default_configES9_NS1_37merge_sort_block_sort_config_selectorIcNS0_10empty_typeEEENS1_38merge_sort_block_merge_config_selectorIcSB_EEEEvv
	.globl	_ZN7rocprim17ROCPRIM_400000_NS6detail44device_merge_sort_compile_time_verifier_archINS1_11comp_targetILNS1_3genE5ELNS1_11target_archE942ELNS1_3gpuE9ELNS1_3repE0EEES8_NS0_14default_configES9_NS1_37merge_sort_block_sort_config_selectorIcNS0_10empty_typeEEENS1_38merge_sort_block_merge_config_selectorIcSB_EEEEvv
	.p2align	8
	.type	_ZN7rocprim17ROCPRIM_400000_NS6detail44device_merge_sort_compile_time_verifier_archINS1_11comp_targetILNS1_3genE5ELNS1_11target_archE942ELNS1_3gpuE9ELNS1_3repE0EEES8_NS0_14default_configES9_NS1_37merge_sort_block_sort_config_selectorIcNS0_10empty_typeEEENS1_38merge_sort_block_merge_config_selectorIcSB_EEEEvv,@function
_ZN7rocprim17ROCPRIM_400000_NS6detail44device_merge_sort_compile_time_verifier_archINS1_11comp_targetILNS1_3genE5ELNS1_11target_archE942ELNS1_3gpuE9ELNS1_3repE0EEES8_NS0_14default_configES9_NS1_37merge_sort_block_sort_config_selectorIcNS0_10empty_typeEEENS1_38merge_sort_block_merge_config_selectorIcSB_EEEEvv: ; @_ZN7rocprim17ROCPRIM_400000_NS6detail44device_merge_sort_compile_time_verifier_archINS1_11comp_targetILNS1_3genE5ELNS1_11target_archE942ELNS1_3gpuE9ELNS1_3repE0EEES8_NS0_14default_configES9_NS1_37merge_sort_block_sort_config_selectorIcNS0_10empty_typeEEENS1_38merge_sort_block_merge_config_selectorIcSB_EEEEvv
; %bb.0:
	s_endpgm
	.section	.rodata,"a",@progbits
	.p2align	6, 0x0
	.amdhsa_kernel _ZN7rocprim17ROCPRIM_400000_NS6detail44device_merge_sort_compile_time_verifier_archINS1_11comp_targetILNS1_3genE5ELNS1_11target_archE942ELNS1_3gpuE9ELNS1_3repE0EEES8_NS0_14default_configES9_NS1_37merge_sort_block_sort_config_selectorIcNS0_10empty_typeEEENS1_38merge_sort_block_merge_config_selectorIcSB_EEEEvv
		.amdhsa_group_segment_fixed_size 0
		.amdhsa_private_segment_fixed_size 0
		.amdhsa_kernarg_size 0
		.amdhsa_user_sgpr_count 4
		.amdhsa_user_sgpr_private_segment_buffer 1
		.amdhsa_user_sgpr_dispatch_ptr 0
		.amdhsa_user_sgpr_queue_ptr 0
		.amdhsa_user_sgpr_kernarg_segment_ptr 0
		.amdhsa_user_sgpr_dispatch_id 0
		.amdhsa_user_sgpr_flat_scratch_init 0
		.amdhsa_user_sgpr_kernarg_preload_length 0
		.amdhsa_user_sgpr_kernarg_preload_offset 0
		.amdhsa_user_sgpr_private_segment_size 0
		.amdhsa_uses_dynamic_stack 0
		.amdhsa_system_sgpr_private_segment_wavefront_offset 0
		.amdhsa_system_sgpr_workgroup_id_x 1
		.amdhsa_system_sgpr_workgroup_id_y 0
		.amdhsa_system_sgpr_workgroup_id_z 0
		.amdhsa_system_sgpr_workgroup_info 0
		.amdhsa_system_vgpr_workitem_id 0
		.amdhsa_next_free_vgpr 1
		.amdhsa_next_free_sgpr 0
		.amdhsa_accum_offset 4
		.amdhsa_reserve_vcc 0
		.amdhsa_reserve_flat_scratch 0
		.amdhsa_float_round_mode_32 0
		.amdhsa_float_round_mode_16_64 0
		.amdhsa_float_denorm_mode_32 3
		.amdhsa_float_denorm_mode_16_64 3
		.amdhsa_dx10_clamp 1
		.amdhsa_ieee_mode 1
		.amdhsa_fp16_overflow 0
		.amdhsa_tg_split 0
		.amdhsa_exception_fp_ieee_invalid_op 0
		.amdhsa_exception_fp_denorm_src 0
		.amdhsa_exception_fp_ieee_div_zero 0
		.amdhsa_exception_fp_ieee_overflow 0
		.amdhsa_exception_fp_ieee_underflow 0
		.amdhsa_exception_fp_ieee_inexact 0
		.amdhsa_exception_int_div_zero 0
	.end_amdhsa_kernel
	.section	.text._ZN7rocprim17ROCPRIM_400000_NS6detail44device_merge_sort_compile_time_verifier_archINS1_11comp_targetILNS1_3genE5ELNS1_11target_archE942ELNS1_3gpuE9ELNS1_3repE0EEES8_NS0_14default_configES9_NS1_37merge_sort_block_sort_config_selectorIcNS0_10empty_typeEEENS1_38merge_sort_block_merge_config_selectorIcSB_EEEEvv,"axG",@progbits,_ZN7rocprim17ROCPRIM_400000_NS6detail44device_merge_sort_compile_time_verifier_archINS1_11comp_targetILNS1_3genE5ELNS1_11target_archE942ELNS1_3gpuE9ELNS1_3repE0EEES8_NS0_14default_configES9_NS1_37merge_sort_block_sort_config_selectorIcNS0_10empty_typeEEENS1_38merge_sort_block_merge_config_selectorIcSB_EEEEvv,comdat
.Lfunc_end2691:
	.size	_ZN7rocprim17ROCPRIM_400000_NS6detail44device_merge_sort_compile_time_verifier_archINS1_11comp_targetILNS1_3genE5ELNS1_11target_archE942ELNS1_3gpuE9ELNS1_3repE0EEES8_NS0_14default_configES9_NS1_37merge_sort_block_sort_config_selectorIcNS0_10empty_typeEEENS1_38merge_sort_block_merge_config_selectorIcSB_EEEEvv, .Lfunc_end2691-_ZN7rocprim17ROCPRIM_400000_NS6detail44device_merge_sort_compile_time_verifier_archINS1_11comp_targetILNS1_3genE5ELNS1_11target_archE942ELNS1_3gpuE9ELNS1_3repE0EEES8_NS0_14default_configES9_NS1_37merge_sort_block_sort_config_selectorIcNS0_10empty_typeEEENS1_38merge_sort_block_merge_config_selectorIcSB_EEEEvv
                                        ; -- End function
	.section	.AMDGPU.csdata,"",@progbits
; Kernel info:
; codeLenInByte = 4
; NumSgprs: 4
; NumVgprs: 0
; NumAgprs: 0
; TotalNumVgprs: 0
; ScratchSize: 0
; MemoryBound: 0
; FloatMode: 240
; IeeeMode: 1
; LDSByteSize: 0 bytes/workgroup (compile time only)
; SGPRBlocks: 0
; VGPRBlocks: 0
; NumSGPRsForWavesPerEU: 4
; NumVGPRsForWavesPerEU: 1
; AccumOffset: 4
; Occupancy: 8
; WaveLimiterHint : 0
; COMPUTE_PGM_RSRC2:SCRATCH_EN: 0
; COMPUTE_PGM_RSRC2:USER_SGPR: 4
; COMPUTE_PGM_RSRC2:TRAP_HANDLER: 0
; COMPUTE_PGM_RSRC2:TGID_X_EN: 1
; COMPUTE_PGM_RSRC2:TGID_Y_EN: 0
; COMPUTE_PGM_RSRC2:TGID_Z_EN: 0
; COMPUTE_PGM_RSRC2:TIDIG_COMP_CNT: 0
; COMPUTE_PGM_RSRC3_GFX90A:ACCUM_OFFSET: 0
; COMPUTE_PGM_RSRC3_GFX90A:TG_SPLIT: 0
	.section	.text._ZN7rocprim17ROCPRIM_400000_NS6detail44device_merge_sort_compile_time_verifier_archINS1_11comp_targetILNS1_3genE4ELNS1_11target_archE910ELNS1_3gpuE8ELNS1_3repE0EEES8_NS0_14default_configES9_NS1_37merge_sort_block_sort_config_selectorIcNS0_10empty_typeEEENS1_38merge_sort_block_merge_config_selectorIcSB_EEEEvv,"axG",@progbits,_ZN7rocprim17ROCPRIM_400000_NS6detail44device_merge_sort_compile_time_verifier_archINS1_11comp_targetILNS1_3genE4ELNS1_11target_archE910ELNS1_3gpuE8ELNS1_3repE0EEES8_NS0_14default_configES9_NS1_37merge_sort_block_sort_config_selectorIcNS0_10empty_typeEEENS1_38merge_sort_block_merge_config_selectorIcSB_EEEEvv,comdat
	.protected	_ZN7rocprim17ROCPRIM_400000_NS6detail44device_merge_sort_compile_time_verifier_archINS1_11comp_targetILNS1_3genE4ELNS1_11target_archE910ELNS1_3gpuE8ELNS1_3repE0EEES8_NS0_14default_configES9_NS1_37merge_sort_block_sort_config_selectorIcNS0_10empty_typeEEENS1_38merge_sort_block_merge_config_selectorIcSB_EEEEvv ; -- Begin function _ZN7rocprim17ROCPRIM_400000_NS6detail44device_merge_sort_compile_time_verifier_archINS1_11comp_targetILNS1_3genE4ELNS1_11target_archE910ELNS1_3gpuE8ELNS1_3repE0EEES8_NS0_14default_configES9_NS1_37merge_sort_block_sort_config_selectorIcNS0_10empty_typeEEENS1_38merge_sort_block_merge_config_selectorIcSB_EEEEvv
	.globl	_ZN7rocprim17ROCPRIM_400000_NS6detail44device_merge_sort_compile_time_verifier_archINS1_11comp_targetILNS1_3genE4ELNS1_11target_archE910ELNS1_3gpuE8ELNS1_3repE0EEES8_NS0_14default_configES9_NS1_37merge_sort_block_sort_config_selectorIcNS0_10empty_typeEEENS1_38merge_sort_block_merge_config_selectorIcSB_EEEEvv
	.p2align	8
	.type	_ZN7rocprim17ROCPRIM_400000_NS6detail44device_merge_sort_compile_time_verifier_archINS1_11comp_targetILNS1_3genE4ELNS1_11target_archE910ELNS1_3gpuE8ELNS1_3repE0EEES8_NS0_14default_configES9_NS1_37merge_sort_block_sort_config_selectorIcNS0_10empty_typeEEENS1_38merge_sort_block_merge_config_selectorIcSB_EEEEvv,@function
_ZN7rocprim17ROCPRIM_400000_NS6detail44device_merge_sort_compile_time_verifier_archINS1_11comp_targetILNS1_3genE4ELNS1_11target_archE910ELNS1_3gpuE8ELNS1_3repE0EEES8_NS0_14default_configES9_NS1_37merge_sort_block_sort_config_selectorIcNS0_10empty_typeEEENS1_38merge_sort_block_merge_config_selectorIcSB_EEEEvv: ; @_ZN7rocprim17ROCPRIM_400000_NS6detail44device_merge_sort_compile_time_verifier_archINS1_11comp_targetILNS1_3genE4ELNS1_11target_archE910ELNS1_3gpuE8ELNS1_3repE0EEES8_NS0_14default_configES9_NS1_37merge_sort_block_sort_config_selectorIcNS0_10empty_typeEEENS1_38merge_sort_block_merge_config_selectorIcSB_EEEEvv
; %bb.0:
	s_endpgm
	.section	.rodata,"a",@progbits
	.p2align	6, 0x0
	.amdhsa_kernel _ZN7rocprim17ROCPRIM_400000_NS6detail44device_merge_sort_compile_time_verifier_archINS1_11comp_targetILNS1_3genE4ELNS1_11target_archE910ELNS1_3gpuE8ELNS1_3repE0EEES8_NS0_14default_configES9_NS1_37merge_sort_block_sort_config_selectorIcNS0_10empty_typeEEENS1_38merge_sort_block_merge_config_selectorIcSB_EEEEvv
		.amdhsa_group_segment_fixed_size 0
		.amdhsa_private_segment_fixed_size 0
		.amdhsa_kernarg_size 0
		.amdhsa_user_sgpr_count 4
		.amdhsa_user_sgpr_private_segment_buffer 1
		.amdhsa_user_sgpr_dispatch_ptr 0
		.amdhsa_user_sgpr_queue_ptr 0
		.amdhsa_user_sgpr_kernarg_segment_ptr 0
		.amdhsa_user_sgpr_dispatch_id 0
		.amdhsa_user_sgpr_flat_scratch_init 0
		.amdhsa_user_sgpr_kernarg_preload_length 0
		.amdhsa_user_sgpr_kernarg_preload_offset 0
		.amdhsa_user_sgpr_private_segment_size 0
		.amdhsa_uses_dynamic_stack 0
		.amdhsa_system_sgpr_private_segment_wavefront_offset 0
		.amdhsa_system_sgpr_workgroup_id_x 1
		.amdhsa_system_sgpr_workgroup_id_y 0
		.amdhsa_system_sgpr_workgroup_id_z 0
		.amdhsa_system_sgpr_workgroup_info 0
		.amdhsa_system_vgpr_workitem_id 0
		.amdhsa_next_free_vgpr 1
		.amdhsa_next_free_sgpr 0
		.amdhsa_accum_offset 4
		.amdhsa_reserve_vcc 0
		.amdhsa_reserve_flat_scratch 0
		.amdhsa_float_round_mode_32 0
		.amdhsa_float_round_mode_16_64 0
		.amdhsa_float_denorm_mode_32 3
		.amdhsa_float_denorm_mode_16_64 3
		.amdhsa_dx10_clamp 1
		.amdhsa_ieee_mode 1
		.amdhsa_fp16_overflow 0
		.amdhsa_tg_split 0
		.amdhsa_exception_fp_ieee_invalid_op 0
		.amdhsa_exception_fp_denorm_src 0
		.amdhsa_exception_fp_ieee_div_zero 0
		.amdhsa_exception_fp_ieee_overflow 0
		.amdhsa_exception_fp_ieee_underflow 0
		.amdhsa_exception_fp_ieee_inexact 0
		.amdhsa_exception_int_div_zero 0
	.end_amdhsa_kernel
	.section	.text._ZN7rocprim17ROCPRIM_400000_NS6detail44device_merge_sort_compile_time_verifier_archINS1_11comp_targetILNS1_3genE4ELNS1_11target_archE910ELNS1_3gpuE8ELNS1_3repE0EEES8_NS0_14default_configES9_NS1_37merge_sort_block_sort_config_selectorIcNS0_10empty_typeEEENS1_38merge_sort_block_merge_config_selectorIcSB_EEEEvv,"axG",@progbits,_ZN7rocprim17ROCPRIM_400000_NS6detail44device_merge_sort_compile_time_verifier_archINS1_11comp_targetILNS1_3genE4ELNS1_11target_archE910ELNS1_3gpuE8ELNS1_3repE0EEES8_NS0_14default_configES9_NS1_37merge_sort_block_sort_config_selectorIcNS0_10empty_typeEEENS1_38merge_sort_block_merge_config_selectorIcSB_EEEEvv,comdat
.Lfunc_end2692:
	.size	_ZN7rocprim17ROCPRIM_400000_NS6detail44device_merge_sort_compile_time_verifier_archINS1_11comp_targetILNS1_3genE4ELNS1_11target_archE910ELNS1_3gpuE8ELNS1_3repE0EEES8_NS0_14default_configES9_NS1_37merge_sort_block_sort_config_selectorIcNS0_10empty_typeEEENS1_38merge_sort_block_merge_config_selectorIcSB_EEEEvv, .Lfunc_end2692-_ZN7rocprim17ROCPRIM_400000_NS6detail44device_merge_sort_compile_time_verifier_archINS1_11comp_targetILNS1_3genE4ELNS1_11target_archE910ELNS1_3gpuE8ELNS1_3repE0EEES8_NS0_14default_configES9_NS1_37merge_sort_block_sort_config_selectorIcNS0_10empty_typeEEENS1_38merge_sort_block_merge_config_selectorIcSB_EEEEvv
                                        ; -- End function
	.section	.AMDGPU.csdata,"",@progbits
; Kernel info:
; codeLenInByte = 4
; NumSgprs: 4
; NumVgprs: 0
; NumAgprs: 0
; TotalNumVgprs: 0
; ScratchSize: 0
; MemoryBound: 0
; FloatMode: 240
; IeeeMode: 1
; LDSByteSize: 0 bytes/workgroup (compile time only)
; SGPRBlocks: 0
; VGPRBlocks: 0
; NumSGPRsForWavesPerEU: 4
; NumVGPRsForWavesPerEU: 1
; AccumOffset: 4
; Occupancy: 8
; WaveLimiterHint : 0
; COMPUTE_PGM_RSRC2:SCRATCH_EN: 0
; COMPUTE_PGM_RSRC2:USER_SGPR: 4
; COMPUTE_PGM_RSRC2:TRAP_HANDLER: 0
; COMPUTE_PGM_RSRC2:TGID_X_EN: 1
; COMPUTE_PGM_RSRC2:TGID_Y_EN: 0
; COMPUTE_PGM_RSRC2:TGID_Z_EN: 0
; COMPUTE_PGM_RSRC2:TIDIG_COMP_CNT: 0
; COMPUTE_PGM_RSRC3_GFX90A:ACCUM_OFFSET: 0
; COMPUTE_PGM_RSRC3_GFX90A:TG_SPLIT: 0
	.section	.text._ZN7rocprim17ROCPRIM_400000_NS6detail44device_merge_sort_compile_time_verifier_archINS1_11comp_targetILNS1_3genE3ELNS1_11target_archE908ELNS1_3gpuE7ELNS1_3repE0EEES8_NS0_14default_configES9_NS1_37merge_sort_block_sort_config_selectorIcNS0_10empty_typeEEENS1_38merge_sort_block_merge_config_selectorIcSB_EEEEvv,"axG",@progbits,_ZN7rocprim17ROCPRIM_400000_NS6detail44device_merge_sort_compile_time_verifier_archINS1_11comp_targetILNS1_3genE3ELNS1_11target_archE908ELNS1_3gpuE7ELNS1_3repE0EEES8_NS0_14default_configES9_NS1_37merge_sort_block_sort_config_selectorIcNS0_10empty_typeEEENS1_38merge_sort_block_merge_config_selectorIcSB_EEEEvv,comdat
	.protected	_ZN7rocprim17ROCPRIM_400000_NS6detail44device_merge_sort_compile_time_verifier_archINS1_11comp_targetILNS1_3genE3ELNS1_11target_archE908ELNS1_3gpuE7ELNS1_3repE0EEES8_NS0_14default_configES9_NS1_37merge_sort_block_sort_config_selectorIcNS0_10empty_typeEEENS1_38merge_sort_block_merge_config_selectorIcSB_EEEEvv ; -- Begin function _ZN7rocprim17ROCPRIM_400000_NS6detail44device_merge_sort_compile_time_verifier_archINS1_11comp_targetILNS1_3genE3ELNS1_11target_archE908ELNS1_3gpuE7ELNS1_3repE0EEES8_NS0_14default_configES9_NS1_37merge_sort_block_sort_config_selectorIcNS0_10empty_typeEEENS1_38merge_sort_block_merge_config_selectorIcSB_EEEEvv
	.globl	_ZN7rocprim17ROCPRIM_400000_NS6detail44device_merge_sort_compile_time_verifier_archINS1_11comp_targetILNS1_3genE3ELNS1_11target_archE908ELNS1_3gpuE7ELNS1_3repE0EEES8_NS0_14default_configES9_NS1_37merge_sort_block_sort_config_selectorIcNS0_10empty_typeEEENS1_38merge_sort_block_merge_config_selectorIcSB_EEEEvv
	.p2align	8
	.type	_ZN7rocprim17ROCPRIM_400000_NS6detail44device_merge_sort_compile_time_verifier_archINS1_11comp_targetILNS1_3genE3ELNS1_11target_archE908ELNS1_3gpuE7ELNS1_3repE0EEES8_NS0_14default_configES9_NS1_37merge_sort_block_sort_config_selectorIcNS0_10empty_typeEEENS1_38merge_sort_block_merge_config_selectorIcSB_EEEEvv,@function
_ZN7rocprim17ROCPRIM_400000_NS6detail44device_merge_sort_compile_time_verifier_archINS1_11comp_targetILNS1_3genE3ELNS1_11target_archE908ELNS1_3gpuE7ELNS1_3repE0EEES8_NS0_14default_configES9_NS1_37merge_sort_block_sort_config_selectorIcNS0_10empty_typeEEENS1_38merge_sort_block_merge_config_selectorIcSB_EEEEvv: ; @_ZN7rocprim17ROCPRIM_400000_NS6detail44device_merge_sort_compile_time_verifier_archINS1_11comp_targetILNS1_3genE3ELNS1_11target_archE908ELNS1_3gpuE7ELNS1_3repE0EEES8_NS0_14default_configES9_NS1_37merge_sort_block_sort_config_selectorIcNS0_10empty_typeEEENS1_38merge_sort_block_merge_config_selectorIcSB_EEEEvv
; %bb.0:
	s_endpgm
	.section	.rodata,"a",@progbits
	.p2align	6, 0x0
	.amdhsa_kernel _ZN7rocprim17ROCPRIM_400000_NS6detail44device_merge_sort_compile_time_verifier_archINS1_11comp_targetILNS1_3genE3ELNS1_11target_archE908ELNS1_3gpuE7ELNS1_3repE0EEES8_NS0_14default_configES9_NS1_37merge_sort_block_sort_config_selectorIcNS0_10empty_typeEEENS1_38merge_sort_block_merge_config_selectorIcSB_EEEEvv
		.amdhsa_group_segment_fixed_size 0
		.amdhsa_private_segment_fixed_size 0
		.amdhsa_kernarg_size 0
		.amdhsa_user_sgpr_count 4
		.amdhsa_user_sgpr_private_segment_buffer 1
		.amdhsa_user_sgpr_dispatch_ptr 0
		.amdhsa_user_sgpr_queue_ptr 0
		.amdhsa_user_sgpr_kernarg_segment_ptr 0
		.amdhsa_user_sgpr_dispatch_id 0
		.amdhsa_user_sgpr_flat_scratch_init 0
		.amdhsa_user_sgpr_kernarg_preload_length 0
		.amdhsa_user_sgpr_kernarg_preload_offset 0
		.amdhsa_user_sgpr_private_segment_size 0
		.amdhsa_uses_dynamic_stack 0
		.amdhsa_system_sgpr_private_segment_wavefront_offset 0
		.amdhsa_system_sgpr_workgroup_id_x 1
		.amdhsa_system_sgpr_workgroup_id_y 0
		.amdhsa_system_sgpr_workgroup_id_z 0
		.amdhsa_system_sgpr_workgroup_info 0
		.amdhsa_system_vgpr_workitem_id 0
		.amdhsa_next_free_vgpr 1
		.amdhsa_next_free_sgpr 0
		.amdhsa_accum_offset 4
		.amdhsa_reserve_vcc 0
		.amdhsa_reserve_flat_scratch 0
		.amdhsa_float_round_mode_32 0
		.amdhsa_float_round_mode_16_64 0
		.amdhsa_float_denorm_mode_32 3
		.amdhsa_float_denorm_mode_16_64 3
		.amdhsa_dx10_clamp 1
		.amdhsa_ieee_mode 1
		.amdhsa_fp16_overflow 0
		.amdhsa_tg_split 0
		.amdhsa_exception_fp_ieee_invalid_op 0
		.amdhsa_exception_fp_denorm_src 0
		.amdhsa_exception_fp_ieee_div_zero 0
		.amdhsa_exception_fp_ieee_overflow 0
		.amdhsa_exception_fp_ieee_underflow 0
		.amdhsa_exception_fp_ieee_inexact 0
		.amdhsa_exception_int_div_zero 0
	.end_amdhsa_kernel
	.section	.text._ZN7rocprim17ROCPRIM_400000_NS6detail44device_merge_sort_compile_time_verifier_archINS1_11comp_targetILNS1_3genE3ELNS1_11target_archE908ELNS1_3gpuE7ELNS1_3repE0EEES8_NS0_14default_configES9_NS1_37merge_sort_block_sort_config_selectorIcNS0_10empty_typeEEENS1_38merge_sort_block_merge_config_selectorIcSB_EEEEvv,"axG",@progbits,_ZN7rocprim17ROCPRIM_400000_NS6detail44device_merge_sort_compile_time_verifier_archINS1_11comp_targetILNS1_3genE3ELNS1_11target_archE908ELNS1_3gpuE7ELNS1_3repE0EEES8_NS0_14default_configES9_NS1_37merge_sort_block_sort_config_selectorIcNS0_10empty_typeEEENS1_38merge_sort_block_merge_config_selectorIcSB_EEEEvv,comdat
.Lfunc_end2693:
	.size	_ZN7rocprim17ROCPRIM_400000_NS6detail44device_merge_sort_compile_time_verifier_archINS1_11comp_targetILNS1_3genE3ELNS1_11target_archE908ELNS1_3gpuE7ELNS1_3repE0EEES8_NS0_14default_configES9_NS1_37merge_sort_block_sort_config_selectorIcNS0_10empty_typeEEENS1_38merge_sort_block_merge_config_selectorIcSB_EEEEvv, .Lfunc_end2693-_ZN7rocprim17ROCPRIM_400000_NS6detail44device_merge_sort_compile_time_verifier_archINS1_11comp_targetILNS1_3genE3ELNS1_11target_archE908ELNS1_3gpuE7ELNS1_3repE0EEES8_NS0_14default_configES9_NS1_37merge_sort_block_sort_config_selectorIcNS0_10empty_typeEEENS1_38merge_sort_block_merge_config_selectorIcSB_EEEEvv
                                        ; -- End function
	.section	.AMDGPU.csdata,"",@progbits
; Kernel info:
; codeLenInByte = 4
; NumSgprs: 4
; NumVgprs: 0
; NumAgprs: 0
; TotalNumVgprs: 0
; ScratchSize: 0
; MemoryBound: 0
; FloatMode: 240
; IeeeMode: 1
; LDSByteSize: 0 bytes/workgroup (compile time only)
; SGPRBlocks: 0
; VGPRBlocks: 0
; NumSGPRsForWavesPerEU: 4
; NumVGPRsForWavesPerEU: 1
; AccumOffset: 4
; Occupancy: 8
; WaveLimiterHint : 0
; COMPUTE_PGM_RSRC2:SCRATCH_EN: 0
; COMPUTE_PGM_RSRC2:USER_SGPR: 4
; COMPUTE_PGM_RSRC2:TRAP_HANDLER: 0
; COMPUTE_PGM_RSRC2:TGID_X_EN: 1
; COMPUTE_PGM_RSRC2:TGID_Y_EN: 0
; COMPUTE_PGM_RSRC2:TGID_Z_EN: 0
; COMPUTE_PGM_RSRC2:TIDIG_COMP_CNT: 0
; COMPUTE_PGM_RSRC3_GFX90A:ACCUM_OFFSET: 0
; COMPUTE_PGM_RSRC3_GFX90A:TG_SPLIT: 0
	.section	.text._ZN7rocprim17ROCPRIM_400000_NS6detail44device_merge_sort_compile_time_verifier_archINS1_11comp_targetILNS1_3genE2ELNS1_11target_archE906ELNS1_3gpuE6ELNS1_3repE0EEES8_NS0_14default_configES9_NS1_37merge_sort_block_sort_config_selectorIcNS0_10empty_typeEEENS1_38merge_sort_block_merge_config_selectorIcSB_EEEEvv,"axG",@progbits,_ZN7rocprim17ROCPRIM_400000_NS6detail44device_merge_sort_compile_time_verifier_archINS1_11comp_targetILNS1_3genE2ELNS1_11target_archE906ELNS1_3gpuE6ELNS1_3repE0EEES8_NS0_14default_configES9_NS1_37merge_sort_block_sort_config_selectorIcNS0_10empty_typeEEENS1_38merge_sort_block_merge_config_selectorIcSB_EEEEvv,comdat
	.protected	_ZN7rocprim17ROCPRIM_400000_NS6detail44device_merge_sort_compile_time_verifier_archINS1_11comp_targetILNS1_3genE2ELNS1_11target_archE906ELNS1_3gpuE6ELNS1_3repE0EEES8_NS0_14default_configES9_NS1_37merge_sort_block_sort_config_selectorIcNS0_10empty_typeEEENS1_38merge_sort_block_merge_config_selectorIcSB_EEEEvv ; -- Begin function _ZN7rocprim17ROCPRIM_400000_NS6detail44device_merge_sort_compile_time_verifier_archINS1_11comp_targetILNS1_3genE2ELNS1_11target_archE906ELNS1_3gpuE6ELNS1_3repE0EEES8_NS0_14default_configES9_NS1_37merge_sort_block_sort_config_selectorIcNS0_10empty_typeEEENS1_38merge_sort_block_merge_config_selectorIcSB_EEEEvv
	.globl	_ZN7rocprim17ROCPRIM_400000_NS6detail44device_merge_sort_compile_time_verifier_archINS1_11comp_targetILNS1_3genE2ELNS1_11target_archE906ELNS1_3gpuE6ELNS1_3repE0EEES8_NS0_14default_configES9_NS1_37merge_sort_block_sort_config_selectorIcNS0_10empty_typeEEENS1_38merge_sort_block_merge_config_selectorIcSB_EEEEvv
	.p2align	8
	.type	_ZN7rocprim17ROCPRIM_400000_NS6detail44device_merge_sort_compile_time_verifier_archINS1_11comp_targetILNS1_3genE2ELNS1_11target_archE906ELNS1_3gpuE6ELNS1_3repE0EEES8_NS0_14default_configES9_NS1_37merge_sort_block_sort_config_selectorIcNS0_10empty_typeEEENS1_38merge_sort_block_merge_config_selectorIcSB_EEEEvv,@function
_ZN7rocprim17ROCPRIM_400000_NS6detail44device_merge_sort_compile_time_verifier_archINS1_11comp_targetILNS1_3genE2ELNS1_11target_archE906ELNS1_3gpuE6ELNS1_3repE0EEES8_NS0_14default_configES9_NS1_37merge_sort_block_sort_config_selectorIcNS0_10empty_typeEEENS1_38merge_sort_block_merge_config_selectorIcSB_EEEEvv: ; @_ZN7rocprim17ROCPRIM_400000_NS6detail44device_merge_sort_compile_time_verifier_archINS1_11comp_targetILNS1_3genE2ELNS1_11target_archE906ELNS1_3gpuE6ELNS1_3repE0EEES8_NS0_14default_configES9_NS1_37merge_sort_block_sort_config_selectorIcNS0_10empty_typeEEENS1_38merge_sort_block_merge_config_selectorIcSB_EEEEvv
; %bb.0:
	s_endpgm
	.section	.rodata,"a",@progbits
	.p2align	6, 0x0
	.amdhsa_kernel _ZN7rocprim17ROCPRIM_400000_NS6detail44device_merge_sort_compile_time_verifier_archINS1_11comp_targetILNS1_3genE2ELNS1_11target_archE906ELNS1_3gpuE6ELNS1_3repE0EEES8_NS0_14default_configES9_NS1_37merge_sort_block_sort_config_selectorIcNS0_10empty_typeEEENS1_38merge_sort_block_merge_config_selectorIcSB_EEEEvv
		.amdhsa_group_segment_fixed_size 0
		.amdhsa_private_segment_fixed_size 0
		.amdhsa_kernarg_size 0
		.amdhsa_user_sgpr_count 4
		.amdhsa_user_sgpr_private_segment_buffer 1
		.amdhsa_user_sgpr_dispatch_ptr 0
		.amdhsa_user_sgpr_queue_ptr 0
		.amdhsa_user_sgpr_kernarg_segment_ptr 0
		.amdhsa_user_sgpr_dispatch_id 0
		.amdhsa_user_sgpr_flat_scratch_init 0
		.amdhsa_user_sgpr_kernarg_preload_length 0
		.amdhsa_user_sgpr_kernarg_preload_offset 0
		.amdhsa_user_sgpr_private_segment_size 0
		.amdhsa_uses_dynamic_stack 0
		.amdhsa_system_sgpr_private_segment_wavefront_offset 0
		.amdhsa_system_sgpr_workgroup_id_x 1
		.amdhsa_system_sgpr_workgroup_id_y 0
		.amdhsa_system_sgpr_workgroup_id_z 0
		.amdhsa_system_sgpr_workgroup_info 0
		.amdhsa_system_vgpr_workitem_id 0
		.amdhsa_next_free_vgpr 1
		.amdhsa_next_free_sgpr 0
		.amdhsa_accum_offset 4
		.amdhsa_reserve_vcc 0
		.amdhsa_reserve_flat_scratch 0
		.amdhsa_float_round_mode_32 0
		.amdhsa_float_round_mode_16_64 0
		.amdhsa_float_denorm_mode_32 3
		.amdhsa_float_denorm_mode_16_64 3
		.amdhsa_dx10_clamp 1
		.amdhsa_ieee_mode 1
		.amdhsa_fp16_overflow 0
		.amdhsa_tg_split 0
		.amdhsa_exception_fp_ieee_invalid_op 0
		.amdhsa_exception_fp_denorm_src 0
		.amdhsa_exception_fp_ieee_div_zero 0
		.amdhsa_exception_fp_ieee_overflow 0
		.amdhsa_exception_fp_ieee_underflow 0
		.amdhsa_exception_fp_ieee_inexact 0
		.amdhsa_exception_int_div_zero 0
	.end_amdhsa_kernel
	.section	.text._ZN7rocprim17ROCPRIM_400000_NS6detail44device_merge_sort_compile_time_verifier_archINS1_11comp_targetILNS1_3genE2ELNS1_11target_archE906ELNS1_3gpuE6ELNS1_3repE0EEES8_NS0_14default_configES9_NS1_37merge_sort_block_sort_config_selectorIcNS0_10empty_typeEEENS1_38merge_sort_block_merge_config_selectorIcSB_EEEEvv,"axG",@progbits,_ZN7rocprim17ROCPRIM_400000_NS6detail44device_merge_sort_compile_time_verifier_archINS1_11comp_targetILNS1_3genE2ELNS1_11target_archE906ELNS1_3gpuE6ELNS1_3repE0EEES8_NS0_14default_configES9_NS1_37merge_sort_block_sort_config_selectorIcNS0_10empty_typeEEENS1_38merge_sort_block_merge_config_selectorIcSB_EEEEvv,comdat
.Lfunc_end2694:
	.size	_ZN7rocprim17ROCPRIM_400000_NS6detail44device_merge_sort_compile_time_verifier_archINS1_11comp_targetILNS1_3genE2ELNS1_11target_archE906ELNS1_3gpuE6ELNS1_3repE0EEES8_NS0_14default_configES9_NS1_37merge_sort_block_sort_config_selectorIcNS0_10empty_typeEEENS1_38merge_sort_block_merge_config_selectorIcSB_EEEEvv, .Lfunc_end2694-_ZN7rocprim17ROCPRIM_400000_NS6detail44device_merge_sort_compile_time_verifier_archINS1_11comp_targetILNS1_3genE2ELNS1_11target_archE906ELNS1_3gpuE6ELNS1_3repE0EEES8_NS0_14default_configES9_NS1_37merge_sort_block_sort_config_selectorIcNS0_10empty_typeEEENS1_38merge_sort_block_merge_config_selectorIcSB_EEEEvv
                                        ; -- End function
	.section	.AMDGPU.csdata,"",@progbits
; Kernel info:
; codeLenInByte = 4
; NumSgprs: 4
; NumVgprs: 0
; NumAgprs: 0
; TotalNumVgprs: 0
; ScratchSize: 0
; MemoryBound: 0
; FloatMode: 240
; IeeeMode: 1
; LDSByteSize: 0 bytes/workgroup (compile time only)
; SGPRBlocks: 0
; VGPRBlocks: 0
; NumSGPRsForWavesPerEU: 4
; NumVGPRsForWavesPerEU: 1
; AccumOffset: 4
; Occupancy: 8
; WaveLimiterHint : 0
; COMPUTE_PGM_RSRC2:SCRATCH_EN: 0
; COMPUTE_PGM_RSRC2:USER_SGPR: 4
; COMPUTE_PGM_RSRC2:TRAP_HANDLER: 0
; COMPUTE_PGM_RSRC2:TGID_X_EN: 1
; COMPUTE_PGM_RSRC2:TGID_Y_EN: 0
; COMPUTE_PGM_RSRC2:TGID_Z_EN: 0
; COMPUTE_PGM_RSRC2:TIDIG_COMP_CNT: 0
; COMPUTE_PGM_RSRC3_GFX90A:ACCUM_OFFSET: 0
; COMPUTE_PGM_RSRC3_GFX90A:TG_SPLIT: 0
	.section	.text._ZN7rocprim17ROCPRIM_400000_NS6detail44device_merge_sort_compile_time_verifier_archINS1_11comp_targetILNS1_3genE10ELNS1_11target_archE1201ELNS1_3gpuE5ELNS1_3repE0EEES8_NS0_14default_configES9_NS1_37merge_sort_block_sort_config_selectorIcNS0_10empty_typeEEENS1_38merge_sort_block_merge_config_selectorIcSB_EEEEvv,"axG",@progbits,_ZN7rocprim17ROCPRIM_400000_NS6detail44device_merge_sort_compile_time_verifier_archINS1_11comp_targetILNS1_3genE10ELNS1_11target_archE1201ELNS1_3gpuE5ELNS1_3repE0EEES8_NS0_14default_configES9_NS1_37merge_sort_block_sort_config_selectorIcNS0_10empty_typeEEENS1_38merge_sort_block_merge_config_selectorIcSB_EEEEvv,comdat
	.protected	_ZN7rocprim17ROCPRIM_400000_NS6detail44device_merge_sort_compile_time_verifier_archINS1_11comp_targetILNS1_3genE10ELNS1_11target_archE1201ELNS1_3gpuE5ELNS1_3repE0EEES8_NS0_14default_configES9_NS1_37merge_sort_block_sort_config_selectorIcNS0_10empty_typeEEENS1_38merge_sort_block_merge_config_selectorIcSB_EEEEvv ; -- Begin function _ZN7rocprim17ROCPRIM_400000_NS6detail44device_merge_sort_compile_time_verifier_archINS1_11comp_targetILNS1_3genE10ELNS1_11target_archE1201ELNS1_3gpuE5ELNS1_3repE0EEES8_NS0_14default_configES9_NS1_37merge_sort_block_sort_config_selectorIcNS0_10empty_typeEEENS1_38merge_sort_block_merge_config_selectorIcSB_EEEEvv
	.globl	_ZN7rocprim17ROCPRIM_400000_NS6detail44device_merge_sort_compile_time_verifier_archINS1_11comp_targetILNS1_3genE10ELNS1_11target_archE1201ELNS1_3gpuE5ELNS1_3repE0EEES8_NS0_14default_configES9_NS1_37merge_sort_block_sort_config_selectorIcNS0_10empty_typeEEENS1_38merge_sort_block_merge_config_selectorIcSB_EEEEvv
	.p2align	8
	.type	_ZN7rocprim17ROCPRIM_400000_NS6detail44device_merge_sort_compile_time_verifier_archINS1_11comp_targetILNS1_3genE10ELNS1_11target_archE1201ELNS1_3gpuE5ELNS1_3repE0EEES8_NS0_14default_configES9_NS1_37merge_sort_block_sort_config_selectorIcNS0_10empty_typeEEENS1_38merge_sort_block_merge_config_selectorIcSB_EEEEvv,@function
_ZN7rocprim17ROCPRIM_400000_NS6detail44device_merge_sort_compile_time_verifier_archINS1_11comp_targetILNS1_3genE10ELNS1_11target_archE1201ELNS1_3gpuE5ELNS1_3repE0EEES8_NS0_14default_configES9_NS1_37merge_sort_block_sort_config_selectorIcNS0_10empty_typeEEENS1_38merge_sort_block_merge_config_selectorIcSB_EEEEvv: ; @_ZN7rocprim17ROCPRIM_400000_NS6detail44device_merge_sort_compile_time_verifier_archINS1_11comp_targetILNS1_3genE10ELNS1_11target_archE1201ELNS1_3gpuE5ELNS1_3repE0EEES8_NS0_14default_configES9_NS1_37merge_sort_block_sort_config_selectorIcNS0_10empty_typeEEENS1_38merge_sort_block_merge_config_selectorIcSB_EEEEvv
; %bb.0:
	s_endpgm
	.section	.rodata,"a",@progbits
	.p2align	6, 0x0
	.amdhsa_kernel _ZN7rocprim17ROCPRIM_400000_NS6detail44device_merge_sort_compile_time_verifier_archINS1_11comp_targetILNS1_3genE10ELNS1_11target_archE1201ELNS1_3gpuE5ELNS1_3repE0EEES8_NS0_14default_configES9_NS1_37merge_sort_block_sort_config_selectorIcNS0_10empty_typeEEENS1_38merge_sort_block_merge_config_selectorIcSB_EEEEvv
		.amdhsa_group_segment_fixed_size 0
		.amdhsa_private_segment_fixed_size 0
		.amdhsa_kernarg_size 0
		.amdhsa_user_sgpr_count 4
		.amdhsa_user_sgpr_private_segment_buffer 1
		.amdhsa_user_sgpr_dispatch_ptr 0
		.amdhsa_user_sgpr_queue_ptr 0
		.amdhsa_user_sgpr_kernarg_segment_ptr 0
		.amdhsa_user_sgpr_dispatch_id 0
		.amdhsa_user_sgpr_flat_scratch_init 0
		.amdhsa_user_sgpr_kernarg_preload_length 0
		.amdhsa_user_sgpr_kernarg_preload_offset 0
		.amdhsa_user_sgpr_private_segment_size 0
		.amdhsa_uses_dynamic_stack 0
		.amdhsa_system_sgpr_private_segment_wavefront_offset 0
		.amdhsa_system_sgpr_workgroup_id_x 1
		.amdhsa_system_sgpr_workgroup_id_y 0
		.amdhsa_system_sgpr_workgroup_id_z 0
		.amdhsa_system_sgpr_workgroup_info 0
		.amdhsa_system_vgpr_workitem_id 0
		.amdhsa_next_free_vgpr 1
		.amdhsa_next_free_sgpr 0
		.amdhsa_accum_offset 4
		.amdhsa_reserve_vcc 0
		.amdhsa_reserve_flat_scratch 0
		.amdhsa_float_round_mode_32 0
		.amdhsa_float_round_mode_16_64 0
		.amdhsa_float_denorm_mode_32 3
		.amdhsa_float_denorm_mode_16_64 3
		.amdhsa_dx10_clamp 1
		.amdhsa_ieee_mode 1
		.amdhsa_fp16_overflow 0
		.amdhsa_tg_split 0
		.amdhsa_exception_fp_ieee_invalid_op 0
		.amdhsa_exception_fp_denorm_src 0
		.amdhsa_exception_fp_ieee_div_zero 0
		.amdhsa_exception_fp_ieee_overflow 0
		.amdhsa_exception_fp_ieee_underflow 0
		.amdhsa_exception_fp_ieee_inexact 0
		.amdhsa_exception_int_div_zero 0
	.end_amdhsa_kernel
	.section	.text._ZN7rocprim17ROCPRIM_400000_NS6detail44device_merge_sort_compile_time_verifier_archINS1_11comp_targetILNS1_3genE10ELNS1_11target_archE1201ELNS1_3gpuE5ELNS1_3repE0EEES8_NS0_14default_configES9_NS1_37merge_sort_block_sort_config_selectorIcNS0_10empty_typeEEENS1_38merge_sort_block_merge_config_selectorIcSB_EEEEvv,"axG",@progbits,_ZN7rocprim17ROCPRIM_400000_NS6detail44device_merge_sort_compile_time_verifier_archINS1_11comp_targetILNS1_3genE10ELNS1_11target_archE1201ELNS1_3gpuE5ELNS1_3repE0EEES8_NS0_14default_configES9_NS1_37merge_sort_block_sort_config_selectorIcNS0_10empty_typeEEENS1_38merge_sort_block_merge_config_selectorIcSB_EEEEvv,comdat
.Lfunc_end2695:
	.size	_ZN7rocprim17ROCPRIM_400000_NS6detail44device_merge_sort_compile_time_verifier_archINS1_11comp_targetILNS1_3genE10ELNS1_11target_archE1201ELNS1_3gpuE5ELNS1_3repE0EEES8_NS0_14default_configES9_NS1_37merge_sort_block_sort_config_selectorIcNS0_10empty_typeEEENS1_38merge_sort_block_merge_config_selectorIcSB_EEEEvv, .Lfunc_end2695-_ZN7rocprim17ROCPRIM_400000_NS6detail44device_merge_sort_compile_time_verifier_archINS1_11comp_targetILNS1_3genE10ELNS1_11target_archE1201ELNS1_3gpuE5ELNS1_3repE0EEES8_NS0_14default_configES9_NS1_37merge_sort_block_sort_config_selectorIcNS0_10empty_typeEEENS1_38merge_sort_block_merge_config_selectorIcSB_EEEEvv
                                        ; -- End function
	.section	.AMDGPU.csdata,"",@progbits
; Kernel info:
; codeLenInByte = 4
; NumSgprs: 4
; NumVgprs: 0
; NumAgprs: 0
; TotalNumVgprs: 0
; ScratchSize: 0
; MemoryBound: 0
; FloatMode: 240
; IeeeMode: 1
; LDSByteSize: 0 bytes/workgroup (compile time only)
; SGPRBlocks: 0
; VGPRBlocks: 0
; NumSGPRsForWavesPerEU: 4
; NumVGPRsForWavesPerEU: 1
; AccumOffset: 4
; Occupancy: 8
; WaveLimiterHint : 0
; COMPUTE_PGM_RSRC2:SCRATCH_EN: 0
; COMPUTE_PGM_RSRC2:USER_SGPR: 4
; COMPUTE_PGM_RSRC2:TRAP_HANDLER: 0
; COMPUTE_PGM_RSRC2:TGID_X_EN: 1
; COMPUTE_PGM_RSRC2:TGID_Y_EN: 0
; COMPUTE_PGM_RSRC2:TGID_Z_EN: 0
; COMPUTE_PGM_RSRC2:TIDIG_COMP_CNT: 0
; COMPUTE_PGM_RSRC3_GFX90A:ACCUM_OFFSET: 0
; COMPUTE_PGM_RSRC3_GFX90A:TG_SPLIT: 0
	.section	.text._ZN7rocprim17ROCPRIM_400000_NS6detail44device_merge_sort_compile_time_verifier_archINS1_11comp_targetILNS1_3genE10ELNS1_11target_archE1200ELNS1_3gpuE4ELNS1_3repE0EEENS3_ILS4_10ELS5_1201ELS6_5ELS7_0EEENS0_14default_configESA_NS1_37merge_sort_block_sort_config_selectorIcNS0_10empty_typeEEENS1_38merge_sort_block_merge_config_selectorIcSC_EEEEvv,"axG",@progbits,_ZN7rocprim17ROCPRIM_400000_NS6detail44device_merge_sort_compile_time_verifier_archINS1_11comp_targetILNS1_3genE10ELNS1_11target_archE1200ELNS1_3gpuE4ELNS1_3repE0EEENS3_ILS4_10ELS5_1201ELS6_5ELS7_0EEENS0_14default_configESA_NS1_37merge_sort_block_sort_config_selectorIcNS0_10empty_typeEEENS1_38merge_sort_block_merge_config_selectorIcSC_EEEEvv,comdat
	.protected	_ZN7rocprim17ROCPRIM_400000_NS6detail44device_merge_sort_compile_time_verifier_archINS1_11comp_targetILNS1_3genE10ELNS1_11target_archE1200ELNS1_3gpuE4ELNS1_3repE0EEENS3_ILS4_10ELS5_1201ELS6_5ELS7_0EEENS0_14default_configESA_NS1_37merge_sort_block_sort_config_selectorIcNS0_10empty_typeEEENS1_38merge_sort_block_merge_config_selectorIcSC_EEEEvv ; -- Begin function _ZN7rocprim17ROCPRIM_400000_NS6detail44device_merge_sort_compile_time_verifier_archINS1_11comp_targetILNS1_3genE10ELNS1_11target_archE1200ELNS1_3gpuE4ELNS1_3repE0EEENS3_ILS4_10ELS5_1201ELS6_5ELS7_0EEENS0_14default_configESA_NS1_37merge_sort_block_sort_config_selectorIcNS0_10empty_typeEEENS1_38merge_sort_block_merge_config_selectorIcSC_EEEEvv
	.globl	_ZN7rocprim17ROCPRIM_400000_NS6detail44device_merge_sort_compile_time_verifier_archINS1_11comp_targetILNS1_3genE10ELNS1_11target_archE1200ELNS1_3gpuE4ELNS1_3repE0EEENS3_ILS4_10ELS5_1201ELS6_5ELS7_0EEENS0_14default_configESA_NS1_37merge_sort_block_sort_config_selectorIcNS0_10empty_typeEEENS1_38merge_sort_block_merge_config_selectorIcSC_EEEEvv
	.p2align	8
	.type	_ZN7rocprim17ROCPRIM_400000_NS6detail44device_merge_sort_compile_time_verifier_archINS1_11comp_targetILNS1_3genE10ELNS1_11target_archE1200ELNS1_3gpuE4ELNS1_3repE0EEENS3_ILS4_10ELS5_1201ELS6_5ELS7_0EEENS0_14default_configESA_NS1_37merge_sort_block_sort_config_selectorIcNS0_10empty_typeEEENS1_38merge_sort_block_merge_config_selectorIcSC_EEEEvv,@function
_ZN7rocprim17ROCPRIM_400000_NS6detail44device_merge_sort_compile_time_verifier_archINS1_11comp_targetILNS1_3genE10ELNS1_11target_archE1200ELNS1_3gpuE4ELNS1_3repE0EEENS3_ILS4_10ELS5_1201ELS6_5ELS7_0EEENS0_14default_configESA_NS1_37merge_sort_block_sort_config_selectorIcNS0_10empty_typeEEENS1_38merge_sort_block_merge_config_selectorIcSC_EEEEvv: ; @_ZN7rocprim17ROCPRIM_400000_NS6detail44device_merge_sort_compile_time_verifier_archINS1_11comp_targetILNS1_3genE10ELNS1_11target_archE1200ELNS1_3gpuE4ELNS1_3repE0EEENS3_ILS4_10ELS5_1201ELS6_5ELS7_0EEENS0_14default_configESA_NS1_37merge_sort_block_sort_config_selectorIcNS0_10empty_typeEEENS1_38merge_sort_block_merge_config_selectorIcSC_EEEEvv
; %bb.0:
	s_endpgm
	.section	.rodata,"a",@progbits
	.p2align	6, 0x0
	.amdhsa_kernel _ZN7rocprim17ROCPRIM_400000_NS6detail44device_merge_sort_compile_time_verifier_archINS1_11comp_targetILNS1_3genE10ELNS1_11target_archE1200ELNS1_3gpuE4ELNS1_3repE0EEENS3_ILS4_10ELS5_1201ELS6_5ELS7_0EEENS0_14default_configESA_NS1_37merge_sort_block_sort_config_selectorIcNS0_10empty_typeEEENS1_38merge_sort_block_merge_config_selectorIcSC_EEEEvv
		.amdhsa_group_segment_fixed_size 0
		.amdhsa_private_segment_fixed_size 0
		.amdhsa_kernarg_size 0
		.amdhsa_user_sgpr_count 4
		.amdhsa_user_sgpr_private_segment_buffer 1
		.amdhsa_user_sgpr_dispatch_ptr 0
		.amdhsa_user_sgpr_queue_ptr 0
		.amdhsa_user_sgpr_kernarg_segment_ptr 0
		.amdhsa_user_sgpr_dispatch_id 0
		.amdhsa_user_sgpr_flat_scratch_init 0
		.amdhsa_user_sgpr_kernarg_preload_length 0
		.amdhsa_user_sgpr_kernarg_preload_offset 0
		.amdhsa_user_sgpr_private_segment_size 0
		.amdhsa_uses_dynamic_stack 0
		.amdhsa_system_sgpr_private_segment_wavefront_offset 0
		.amdhsa_system_sgpr_workgroup_id_x 1
		.amdhsa_system_sgpr_workgroup_id_y 0
		.amdhsa_system_sgpr_workgroup_id_z 0
		.amdhsa_system_sgpr_workgroup_info 0
		.amdhsa_system_vgpr_workitem_id 0
		.amdhsa_next_free_vgpr 1
		.amdhsa_next_free_sgpr 0
		.amdhsa_accum_offset 4
		.amdhsa_reserve_vcc 0
		.amdhsa_reserve_flat_scratch 0
		.amdhsa_float_round_mode_32 0
		.amdhsa_float_round_mode_16_64 0
		.amdhsa_float_denorm_mode_32 3
		.amdhsa_float_denorm_mode_16_64 3
		.amdhsa_dx10_clamp 1
		.amdhsa_ieee_mode 1
		.amdhsa_fp16_overflow 0
		.amdhsa_tg_split 0
		.amdhsa_exception_fp_ieee_invalid_op 0
		.amdhsa_exception_fp_denorm_src 0
		.amdhsa_exception_fp_ieee_div_zero 0
		.amdhsa_exception_fp_ieee_overflow 0
		.amdhsa_exception_fp_ieee_underflow 0
		.amdhsa_exception_fp_ieee_inexact 0
		.amdhsa_exception_int_div_zero 0
	.end_amdhsa_kernel
	.section	.text._ZN7rocprim17ROCPRIM_400000_NS6detail44device_merge_sort_compile_time_verifier_archINS1_11comp_targetILNS1_3genE10ELNS1_11target_archE1200ELNS1_3gpuE4ELNS1_3repE0EEENS3_ILS4_10ELS5_1201ELS6_5ELS7_0EEENS0_14default_configESA_NS1_37merge_sort_block_sort_config_selectorIcNS0_10empty_typeEEENS1_38merge_sort_block_merge_config_selectorIcSC_EEEEvv,"axG",@progbits,_ZN7rocprim17ROCPRIM_400000_NS6detail44device_merge_sort_compile_time_verifier_archINS1_11comp_targetILNS1_3genE10ELNS1_11target_archE1200ELNS1_3gpuE4ELNS1_3repE0EEENS3_ILS4_10ELS5_1201ELS6_5ELS7_0EEENS0_14default_configESA_NS1_37merge_sort_block_sort_config_selectorIcNS0_10empty_typeEEENS1_38merge_sort_block_merge_config_selectorIcSC_EEEEvv,comdat
.Lfunc_end2696:
	.size	_ZN7rocprim17ROCPRIM_400000_NS6detail44device_merge_sort_compile_time_verifier_archINS1_11comp_targetILNS1_3genE10ELNS1_11target_archE1200ELNS1_3gpuE4ELNS1_3repE0EEENS3_ILS4_10ELS5_1201ELS6_5ELS7_0EEENS0_14default_configESA_NS1_37merge_sort_block_sort_config_selectorIcNS0_10empty_typeEEENS1_38merge_sort_block_merge_config_selectorIcSC_EEEEvv, .Lfunc_end2696-_ZN7rocprim17ROCPRIM_400000_NS6detail44device_merge_sort_compile_time_verifier_archINS1_11comp_targetILNS1_3genE10ELNS1_11target_archE1200ELNS1_3gpuE4ELNS1_3repE0EEENS3_ILS4_10ELS5_1201ELS6_5ELS7_0EEENS0_14default_configESA_NS1_37merge_sort_block_sort_config_selectorIcNS0_10empty_typeEEENS1_38merge_sort_block_merge_config_selectorIcSC_EEEEvv
                                        ; -- End function
	.section	.AMDGPU.csdata,"",@progbits
; Kernel info:
; codeLenInByte = 4
; NumSgprs: 4
; NumVgprs: 0
; NumAgprs: 0
; TotalNumVgprs: 0
; ScratchSize: 0
; MemoryBound: 0
; FloatMode: 240
; IeeeMode: 1
; LDSByteSize: 0 bytes/workgroup (compile time only)
; SGPRBlocks: 0
; VGPRBlocks: 0
; NumSGPRsForWavesPerEU: 4
; NumVGPRsForWavesPerEU: 1
; AccumOffset: 4
; Occupancy: 8
; WaveLimiterHint : 0
; COMPUTE_PGM_RSRC2:SCRATCH_EN: 0
; COMPUTE_PGM_RSRC2:USER_SGPR: 4
; COMPUTE_PGM_RSRC2:TRAP_HANDLER: 0
; COMPUTE_PGM_RSRC2:TGID_X_EN: 1
; COMPUTE_PGM_RSRC2:TGID_Y_EN: 0
; COMPUTE_PGM_RSRC2:TGID_Z_EN: 0
; COMPUTE_PGM_RSRC2:TIDIG_COMP_CNT: 0
; COMPUTE_PGM_RSRC3_GFX90A:ACCUM_OFFSET: 0
; COMPUTE_PGM_RSRC3_GFX90A:TG_SPLIT: 0
	.section	.text._ZN7rocprim17ROCPRIM_400000_NS6detail44device_merge_sort_compile_time_verifier_archINS1_11comp_targetILNS1_3genE9ELNS1_11target_archE1100ELNS1_3gpuE3ELNS1_3repE0EEES8_NS0_14default_configES9_NS1_37merge_sort_block_sort_config_selectorIcNS0_10empty_typeEEENS1_38merge_sort_block_merge_config_selectorIcSB_EEEEvv,"axG",@progbits,_ZN7rocprim17ROCPRIM_400000_NS6detail44device_merge_sort_compile_time_verifier_archINS1_11comp_targetILNS1_3genE9ELNS1_11target_archE1100ELNS1_3gpuE3ELNS1_3repE0EEES8_NS0_14default_configES9_NS1_37merge_sort_block_sort_config_selectorIcNS0_10empty_typeEEENS1_38merge_sort_block_merge_config_selectorIcSB_EEEEvv,comdat
	.protected	_ZN7rocprim17ROCPRIM_400000_NS6detail44device_merge_sort_compile_time_verifier_archINS1_11comp_targetILNS1_3genE9ELNS1_11target_archE1100ELNS1_3gpuE3ELNS1_3repE0EEES8_NS0_14default_configES9_NS1_37merge_sort_block_sort_config_selectorIcNS0_10empty_typeEEENS1_38merge_sort_block_merge_config_selectorIcSB_EEEEvv ; -- Begin function _ZN7rocprim17ROCPRIM_400000_NS6detail44device_merge_sort_compile_time_verifier_archINS1_11comp_targetILNS1_3genE9ELNS1_11target_archE1100ELNS1_3gpuE3ELNS1_3repE0EEES8_NS0_14default_configES9_NS1_37merge_sort_block_sort_config_selectorIcNS0_10empty_typeEEENS1_38merge_sort_block_merge_config_selectorIcSB_EEEEvv
	.globl	_ZN7rocprim17ROCPRIM_400000_NS6detail44device_merge_sort_compile_time_verifier_archINS1_11comp_targetILNS1_3genE9ELNS1_11target_archE1100ELNS1_3gpuE3ELNS1_3repE0EEES8_NS0_14default_configES9_NS1_37merge_sort_block_sort_config_selectorIcNS0_10empty_typeEEENS1_38merge_sort_block_merge_config_selectorIcSB_EEEEvv
	.p2align	8
	.type	_ZN7rocprim17ROCPRIM_400000_NS6detail44device_merge_sort_compile_time_verifier_archINS1_11comp_targetILNS1_3genE9ELNS1_11target_archE1100ELNS1_3gpuE3ELNS1_3repE0EEES8_NS0_14default_configES9_NS1_37merge_sort_block_sort_config_selectorIcNS0_10empty_typeEEENS1_38merge_sort_block_merge_config_selectorIcSB_EEEEvv,@function
_ZN7rocprim17ROCPRIM_400000_NS6detail44device_merge_sort_compile_time_verifier_archINS1_11comp_targetILNS1_3genE9ELNS1_11target_archE1100ELNS1_3gpuE3ELNS1_3repE0EEES8_NS0_14default_configES9_NS1_37merge_sort_block_sort_config_selectorIcNS0_10empty_typeEEENS1_38merge_sort_block_merge_config_selectorIcSB_EEEEvv: ; @_ZN7rocprim17ROCPRIM_400000_NS6detail44device_merge_sort_compile_time_verifier_archINS1_11comp_targetILNS1_3genE9ELNS1_11target_archE1100ELNS1_3gpuE3ELNS1_3repE0EEES8_NS0_14default_configES9_NS1_37merge_sort_block_sort_config_selectorIcNS0_10empty_typeEEENS1_38merge_sort_block_merge_config_selectorIcSB_EEEEvv
; %bb.0:
	s_endpgm
	.section	.rodata,"a",@progbits
	.p2align	6, 0x0
	.amdhsa_kernel _ZN7rocprim17ROCPRIM_400000_NS6detail44device_merge_sort_compile_time_verifier_archINS1_11comp_targetILNS1_3genE9ELNS1_11target_archE1100ELNS1_3gpuE3ELNS1_3repE0EEES8_NS0_14default_configES9_NS1_37merge_sort_block_sort_config_selectorIcNS0_10empty_typeEEENS1_38merge_sort_block_merge_config_selectorIcSB_EEEEvv
		.amdhsa_group_segment_fixed_size 0
		.amdhsa_private_segment_fixed_size 0
		.amdhsa_kernarg_size 0
		.amdhsa_user_sgpr_count 4
		.amdhsa_user_sgpr_private_segment_buffer 1
		.amdhsa_user_sgpr_dispatch_ptr 0
		.amdhsa_user_sgpr_queue_ptr 0
		.amdhsa_user_sgpr_kernarg_segment_ptr 0
		.amdhsa_user_sgpr_dispatch_id 0
		.amdhsa_user_sgpr_flat_scratch_init 0
		.amdhsa_user_sgpr_kernarg_preload_length 0
		.amdhsa_user_sgpr_kernarg_preload_offset 0
		.amdhsa_user_sgpr_private_segment_size 0
		.amdhsa_uses_dynamic_stack 0
		.amdhsa_system_sgpr_private_segment_wavefront_offset 0
		.amdhsa_system_sgpr_workgroup_id_x 1
		.amdhsa_system_sgpr_workgroup_id_y 0
		.amdhsa_system_sgpr_workgroup_id_z 0
		.amdhsa_system_sgpr_workgroup_info 0
		.amdhsa_system_vgpr_workitem_id 0
		.amdhsa_next_free_vgpr 1
		.amdhsa_next_free_sgpr 0
		.amdhsa_accum_offset 4
		.amdhsa_reserve_vcc 0
		.amdhsa_reserve_flat_scratch 0
		.amdhsa_float_round_mode_32 0
		.amdhsa_float_round_mode_16_64 0
		.amdhsa_float_denorm_mode_32 3
		.amdhsa_float_denorm_mode_16_64 3
		.amdhsa_dx10_clamp 1
		.amdhsa_ieee_mode 1
		.amdhsa_fp16_overflow 0
		.amdhsa_tg_split 0
		.amdhsa_exception_fp_ieee_invalid_op 0
		.amdhsa_exception_fp_denorm_src 0
		.amdhsa_exception_fp_ieee_div_zero 0
		.amdhsa_exception_fp_ieee_overflow 0
		.amdhsa_exception_fp_ieee_underflow 0
		.amdhsa_exception_fp_ieee_inexact 0
		.amdhsa_exception_int_div_zero 0
	.end_amdhsa_kernel
	.section	.text._ZN7rocprim17ROCPRIM_400000_NS6detail44device_merge_sort_compile_time_verifier_archINS1_11comp_targetILNS1_3genE9ELNS1_11target_archE1100ELNS1_3gpuE3ELNS1_3repE0EEES8_NS0_14default_configES9_NS1_37merge_sort_block_sort_config_selectorIcNS0_10empty_typeEEENS1_38merge_sort_block_merge_config_selectorIcSB_EEEEvv,"axG",@progbits,_ZN7rocprim17ROCPRIM_400000_NS6detail44device_merge_sort_compile_time_verifier_archINS1_11comp_targetILNS1_3genE9ELNS1_11target_archE1100ELNS1_3gpuE3ELNS1_3repE0EEES8_NS0_14default_configES9_NS1_37merge_sort_block_sort_config_selectorIcNS0_10empty_typeEEENS1_38merge_sort_block_merge_config_selectorIcSB_EEEEvv,comdat
.Lfunc_end2697:
	.size	_ZN7rocprim17ROCPRIM_400000_NS6detail44device_merge_sort_compile_time_verifier_archINS1_11comp_targetILNS1_3genE9ELNS1_11target_archE1100ELNS1_3gpuE3ELNS1_3repE0EEES8_NS0_14default_configES9_NS1_37merge_sort_block_sort_config_selectorIcNS0_10empty_typeEEENS1_38merge_sort_block_merge_config_selectorIcSB_EEEEvv, .Lfunc_end2697-_ZN7rocprim17ROCPRIM_400000_NS6detail44device_merge_sort_compile_time_verifier_archINS1_11comp_targetILNS1_3genE9ELNS1_11target_archE1100ELNS1_3gpuE3ELNS1_3repE0EEES8_NS0_14default_configES9_NS1_37merge_sort_block_sort_config_selectorIcNS0_10empty_typeEEENS1_38merge_sort_block_merge_config_selectorIcSB_EEEEvv
                                        ; -- End function
	.section	.AMDGPU.csdata,"",@progbits
; Kernel info:
; codeLenInByte = 4
; NumSgprs: 4
; NumVgprs: 0
; NumAgprs: 0
; TotalNumVgprs: 0
; ScratchSize: 0
; MemoryBound: 0
; FloatMode: 240
; IeeeMode: 1
; LDSByteSize: 0 bytes/workgroup (compile time only)
; SGPRBlocks: 0
; VGPRBlocks: 0
; NumSGPRsForWavesPerEU: 4
; NumVGPRsForWavesPerEU: 1
; AccumOffset: 4
; Occupancy: 8
; WaveLimiterHint : 0
; COMPUTE_PGM_RSRC2:SCRATCH_EN: 0
; COMPUTE_PGM_RSRC2:USER_SGPR: 4
; COMPUTE_PGM_RSRC2:TRAP_HANDLER: 0
; COMPUTE_PGM_RSRC2:TGID_X_EN: 1
; COMPUTE_PGM_RSRC2:TGID_Y_EN: 0
; COMPUTE_PGM_RSRC2:TGID_Z_EN: 0
; COMPUTE_PGM_RSRC2:TIDIG_COMP_CNT: 0
; COMPUTE_PGM_RSRC3_GFX90A:ACCUM_OFFSET: 0
; COMPUTE_PGM_RSRC3_GFX90A:TG_SPLIT: 0
	.section	.text._ZN7rocprim17ROCPRIM_400000_NS6detail44device_merge_sort_compile_time_verifier_archINS1_11comp_targetILNS1_3genE8ELNS1_11target_archE1030ELNS1_3gpuE2ELNS1_3repE0EEES8_NS0_14default_configES9_NS1_37merge_sort_block_sort_config_selectorIcNS0_10empty_typeEEENS1_38merge_sort_block_merge_config_selectorIcSB_EEEEvv,"axG",@progbits,_ZN7rocprim17ROCPRIM_400000_NS6detail44device_merge_sort_compile_time_verifier_archINS1_11comp_targetILNS1_3genE8ELNS1_11target_archE1030ELNS1_3gpuE2ELNS1_3repE0EEES8_NS0_14default_configES9_NS1_37merge_sort_block_sort_config_selectorIcNS0_10empty_typeEEENS1_38merge_sort_block_merge_config_selectorIcSB_EEEEvv,comdat
	.protected	_ZN7rocprim17ROCPRIM_400000_NS6detail44device_merge_sort_compile_time_verifier_archINS1_11comp_targetILNS1_3genE8ELNS1_11target_archE1030ELNS1_3gpuE2ELNS1_3repE0EEES8_NS0_14default_configES9_NS1_37merge_sort_block_sort_config_selectorIcNS0_10empty_typeEEENS1_38merge_sort_block_merge_config_selectorIcSB_EEEEvv ; -- Begin function _ZN7rocprim17ROCPRIM_400000_NS6detail44device_merge_sort_compile_time_verifier_archINS1_11comp_targetILNS1_3genE8ELNS1_11target_archE1030ELNS1_3gpuE2ELNS1_3repE0EEES8_NS0_14default_configES9_NS1_37merge_sort_block_sort_config_selectorIcNS0_10empty_typeEEENS1_38merge_sort_block_merge_config_selectorIcSB_EEEEvv
	.globl	_ZN7rocprim17ROCPRIM_400000_NS6detail44device_merge_sort_compile_time_verifier_archINS1_11comp_targetILNS1_3genE8ELNS1_11target_archE1030ELNS1_3gpuE2ELNS1_3repE0EEES8_NS0_14default_configES9_NS1_37merge_sort_block_sort_config_selectorIcNS0_10empty_typeEEENS1_38merge_sort_block_merge_config_selectorIcSB_EEEEvv
	.p2align	8
	.type	_ZN7rocprim17ROCPRIM_400000_NS6detail44device_merge_sort_compile_time_verifier_archINS1_11comp_targetILNS1_3genE8ELNS1_11target_archE1030ELNS1_3gpuE2ELNS1_3repE0EEES8_NS0_14default_configES9_NS1_37merge_sort_block_sort_config_selectorIcNS0_10empty_typeEEENS1_38merge_sort_block_merge_config_selectorIcSB_EEEEvv,@function
_ZN7rocprim17ROCPRIM_400000_NS6detail44device_merge_sort_compile_time_verifier_archINS1_11comp_targetILNS1_3genE8ELNS1_11target_archE1030ELNS1_3gpuE2ELNS1_3repE0EEES8_NS0_14default_configES9_NS1_37merge_sort_block_sort_config_selectorIcNS0_10empty_typeEEENS1_38merge_sort_block_merge_config_selectorIcSB_EEEEvv: ; @_ZN7rocprim17ROCPRIM_400000_NS6detail44device_merge_sort_compile_time_verifier_archINS1_11comp_targetILNS1_3genE8ELNS1_11target_archE1030ELNS1_3gpuE2ELNS1_3repE0EEES8_NS0_14default_configES9_NS1_37merge_sort_block_sort_config_selectorIcNS0_10empty_typeEEENS1_38merge_sort_block_merge_config_selectorIcSB_EEEEvv
; %bb.0:
	s_endpgm
	.section	.rodata,"a",@progbits
	.p2align	6, 0x0
	.amdhsa_kernel _ZN7rocprim17ROCPRIM_400000_NS6detail44device_merge_sort_compile_time_verifier_archINS1_11comp_targetILNS1_3genE8ELNS1_11target_archE1030ELNS1_3gpuE2ELNS1_3repE0EEES8_NS0_14default_configES9_NS1_37merge_sort_block_sort_config_selectorIcNS0_10empty_typeEEENS1_38merge_sort_block_merge_config_selectorIcSB_EEEEvv
		.amdhsa_group_segment_fixed_size 0
		.amdhsa_private_segment_fixed_size 0
		.amdhsa_kernarg_size 0
		.amdhsa_user_sgpr_count 4
		.amdhsa_user_sgpr_private_segment_buffer 1
		.amdhsa_user_sgpr_dispatch_ptr 0
		.amdhsa_user_sgpr_queue_ptr 0
		.amdhsa_user_sgpr_kernarg_segment_ptr 0
		.amdhsa_user_sgpr_dispatch_id 0
		.amdhsa_user_sgpr_flat_scratch_init 0
		.amdhsa_user_sgpr_kernarg_preload_length 0
		.amdhsa_user_sgpr_kernarg_preload_offset 0
		.amdhsa_user_sgpr_private_segment_size 0
		.amdhsa_uses_dynamic_stack 0
		.amdhsa_system_sgpr_private_segment_wavefront_offset 0
		.amdhsa_system_sgpr_workgroup_id_x 1
		.amdhsa_system_sgpr_workgroup_id_y 0
		.amdhsa_system_sgpr_workgroup_id_z 0
		.amdhsa_system_sgpr_workgroup_info 0
		.amdhsa_system_vgpr_workitem_id 0
		.amdhsa_next_free_vgpr 1
		.amdhsa_next_free_sgpr 0
		.amdhsa_accum_offset 4
		.amdhsa_reserve_vcc 0
		.amdhsa_reserve_flat_scratch 0
		.amdhsa_float_round_mode_32 0
		.amdhsa_float_round_mode_16_64 0
		.amdhsa_float_denorm_mode_32 3
		.amdhsa_float_denorm_mode_16_64 3
		.amdhsa_dx10_clamp 1
		.amdhsa_ieee_mode 1
		.amdhsa_fp16_overflow 0
		.amdhsa_tg_split 0
		.amdhsa_exception_fp_ieee_invalid_op 0
		.amdhsa_exception_fp_denorm_src 0
		.amdhsa_exception_fp_ieee_div_zero 0
		.amdhsa_exception_fp_ieee_overflow 0
		.amdhsa_exception_fp_ieee_underflow 0
		.amdhsa_exception_fp_ieee_inexact 0
		.amdhsa_exception_int_div_zero 0
	.end_amdhsa_kernel
	.section	.text._ZN7rocprim17ROCPRIM_400000_NS6detail44device_merge_sort_compile_time_verifier_archINS1_11comp_targetILNS1_3genE8ELNS1_11target_archE1030ELNS1_3gpuE2ELNS1_3repE0EEES8_NS0_14default_configES9_NS1_37merge_sort_block_sort_config_selectorIcNS0_10empty_typeEEENS1_38merge_sort_block_merge_config_selectorIcSB_EEEEvv,"axG",@progbits,_ZN7rocprim17ROCPRIM_400000_NS6detail44device_merge_sort_compile_time_verifier_archINS1_11comp_targetILNS1_3genE8ELNS1_11target_archE1030ELNS1_3gpuE2ELNS1_3repE0EEES8_NS0_14default_configES9_NS1_37merge_sort_block_sort_config_selectorIcNS0_10empty_typeEEENS1_38merge_sort_block_merge_config_selectorIcSB_EEEEvv,comdat
.Lfunc_end2698:
	.size	_ZN7rocprim17ROCPRIM_400000_NS6detail44device_merge_sort_compile_time_verifier_archINS1_11comp_targetILNS1_3genE8ELNS1_11target_archE1030ELNS1_3gpuE2ELNS1_3repE0EEES8_NS0_14default_configES9_NS1_37merge_sort_block_sort_config_selectorIcNS0_10empty_typeEEENS1_38merge_sort_block_merge_config_selectorIcSB_EEEEvv, .Lfunc_end2698-_ZN7rocprim17ROCPRIM_400000_NS6detail44device_merge_sort_compile_time_verifier_archINS1_11comp_targetILNS1_3genE8ELNS1_11target_archE1030ELNS1_3gpuE2ELNS1_3repE0EEES8_NS0_14default_configES9_NS1_37merge_sort_block_sort_config_selectorIcNS0_10empty_typeEEENS1_38merge_sort_block_merge_config_selectorIcSB_EEEEvv
                                        ; -- End function
	.section	.AMDGPU.csdata,"",@progbits
; Kernel info:
; codeLenInByte = 4
; NumSgprs: 4
; NumVgprs: 0
; NumAgprs: 0
; TotalNumVgprs: 0
; ScratchSize: 0
; MemoryBound: 0
; FloatMode: 240
; IeeeMode: 1
; LDSByteSize: 0 bytes/workgroup (compile time only)
; SGPRBlocks: 0
; VGPRBlocks: 0
; NumSGPRsForWavesPerEU: 4
; NumVGPRsForWavesPerEU: 1
; AccumOffset: 4
; Occupancy: 8
; WaveLimiterHint : 0
; COMPUTE_PGM_RSRC2:SCRATCH_EN: 0
; COMPUTE_PGM_RSRC2:USER_SGPR: 4
; COMPUTE_PGM_RSRC2:TRAP_HANDLER: 0
; COMPUTE_PGM_RSRC2:TGID_X_EN: 1
; COMPUTE_PGM_RSRC2:TGID_Y_EN: 0
; COMPUTE_PGM_RSRC2:TGID_Z_EN: 0
; COMPUTE_PGM_RSRC2:TIDIG_COMP_CNT: 0
; COMPUTE_PGM_RSRC3_GFX90A:ACCUM_OFFSET: 0
; COMPUTE_PGM_RSRC3_GFX90A:TG_SPLIT: 0
	.section	.text._ZN7rocprim17ROCPRIM_400000_NS6detail17trampoline_kernelINS0_14default_configENS1_37merge_sort_block_sort_config_selectorIcNS0_10empty_typeEEEZNS1_21merge_sort_block_sortIS3_N6thrust23THRUST_200600_302600_NS6detail15normal_iteratorINS9_10device_ptrIcEEEESE_PS5_SF_14custom_greaterIcEEE10hipError_tT0_T1_T2_T3_mRjT4_P12ihipStream_tbNS1_7vsmem_tEEUlT_E_NS1_11comp_targetILNS1_3genE0ELNS1_11target_archE4294967295ELNS1_3gpuE0ELNS1_3repE0EEENS1_30default_config_static_selectorELNS0_4arch9wavefront6targetE1EEEvSK_,"axG",@progbits,_ZN7rocprim17ROCPRIM_400000_NS6detail17trampoline_kernelINS0_14default_configENS1_37merge_sort_block_sort_config_selectorIcNS0_10empty_typeEEEZNS1_21merge_sort_block_sortIS3_N6thrust23THRUST_200600_302600_NS6detail15normal_iteratorINS9_10device_ptrIcEEEESE_PS5_SF_14custom_greaterIcEEE10hipError_tT0_T1_T2_T3_mRjT4_P12ihipStream_tbNS1_7vsmem_tEEUlT_E_NS1_11comp_targetILNS1_3genE0ELNS1_11target_archE4294967295ELNS1_3gpuE0ELNS1_3repE0EEENS1_30default_config_static_selectorELNS0_4arch9wavefront6targetE1EEEvSK_,comdat
	.protected	_ZN7rocprim17ROCPRIM_400000_NS6detail17trampoline_kernelINS0_14default_configENS1_37merge_sort_block_sort_config_selectorIcNS0_10empty_typeEEEZNS1_21merge_sort_block_sortIS3_N6thrust23THRUST_200600_302600_NS6detail15normal_iteratorINS9_10device_ptrIcEEEESE_PS5_SF_14custom_greaterIcEEE10hipError_tT0_T1_T2_T3_mRjT4_P12ihipStream_tbNS1_7vsmem_tEEUlT_E_NS1_11comp_targetILNS1_3genE0ELNS1_11target_archE4294967295ELNS1_3gpuE0ELNS1_3repE0EEENS1_30default_config_static_selectorELNS0_4arch9wavefront6targetE1EEEvSK_ ; -- Begin function _ZN7rocprim17ROCPRIM_400000_NS6detail17trampoline_kernelINS0_14default_configENS1_37merge_sort_block_sort_config_selectorIcNS0_10empty_typeEEEZNS1_21merge_sort_block_sortIS3_N6thrust23THRUST_200600_302600_NS6detail15normal_iteratorINS9_10device_ptrIcEEEESE_PS5_SF_14custom_greaterIcEEE10hipError_tT0_T1_T2_T3_mRjT4_P12ihipStream_tbNS1_7vsmem_tEEUlT_E_NS1_11comp_targetILNS1_3genE0ELNS1_11target_archE4294967295ELNS1_3gpuE0ELNS1_3repE0EEENS1_30default_config_static_selectorELNS0_4arch9wavefront6targetE1EEEvSK_
	.globl	_ZN7rocprim17ROCPRIM_400000_NS6detail17trampoline_kernelINS0_14default_configENS1_37merge_sort_block_sort_config_selectorIcNS0_10empty_typeEEEZNS1_21merge_sort_block_sortIS3_N6thrust23THRUST_200600_302600_NS6detail15normal_iteratorINS9_10device_ptrIcEEEESE_PS5_SF_14custom_greaterIcEEE10hipError_tT0_T1_T2_T3_mRjT4_P12ihipStream_tbNS1_7vsmem_tEEUlT_E_NS1_11comp_targetILNS1_3genE0ELNS1_11target_archE4294967295ELNS1_3gpuE0ELNS1_3repE0EEENS1_30default_config_static_selectorELNS0_4arch9wavefront6targetE1EEEvSK_
	.p2align	8
	.type	_ZN7rocprim17ROCPRIM_400000_NS6detail17trampoline_kernelINS0_14default_configENS1_37merge_sort_block_sort_config_selectorIcNS0_10empty_typeEEEZNS1_21merge_sort_block_sortIS3_N6thrust23THRUST_200600_302600_NS6detail15normal_iteratorINS9_10device_ptrIcEEEESE_PS5_SF_14custom_greaterIcEEE10hipError_tT0_T1_T2_T3_mRjT4_P12ihipStream_tbNS1_7vsmem_tEEUlT_E_NS1_11comp_targetILNS1_3genE0ELNS1_11target_archE4294967295ELNS1_3gpuE0ELNS1_3repE0EEENS1_30default_config_static_selectorELNS0_4arch9wavefront6targetE1EEEvSK_,@function
_ZN7rocprim17ROCPRIM_400000_NS6detail17trampoline_kernelINS0_14default_configENS1_37merge_sort_block_sort_config_selectorIcNS0_10empty_typeEEEZNS1_21merge_sort_block_sortIS3_N6thrust23THRUST_200600_302600_NS6detail15normal_iteratorINS9_10device_ptrIcEEEESE_PS5_SF_14custom_greaterIcEEE10hipError_tT0_T1_T2_T3_mRjT4_P12ihipStream_tbNS1_7vsmem_tEEUlT_E_NS1_11comp_targetILNS1_3genE0ELNS1_11target_archE4294967295ELNS1_3gpuE0ELNS1_3repE0EEENS1_30default_config_static_selectorELNS0_4arch9wavefront6targetE1EEEvSK_: ; @_ZN7rocprim17ROCPRIM_400000_NS6detail17trampoline_kernelINS0_14default_configENS1_37merge_sort_block_sort_config_selectorIcNS0_10empty_typeEEEZNS1_21merge_sort_block_sortIS3_N6thrust23THRUST_200600_302600_NS6detail15normal_iteratorINS9_10device_ptrIcEEEESE_PS5_SF_14custom_greaterIcEEE10hipError_tT0_T1_T2_T3_mRjT4_P12ihipStream_tbNS1_7vsmem_tEEUlT_E_NS1_11comp_targetILNS1_3genE0ELNS1_11target_archE4294967295ELNS1_3gpuE0ELNS1_3repE0EEENS1_30default_config_static_selectorELNS0_4arch9wavefront6targetE1EEEvSK_
; %bb.0:
	.section	.rodata,"a",@progbits
	.p2align	6, 0x0
	.amdhsa_kernel _ZN7rocprim17ROCPRIM_400000_NS6detail17trampoline_kernelINS0_14default_configENS1_37merge_sort_block_sort_config_selectorIcNS0_10empty_typeEEEZNS1_21merge_sort_block_sortIS3_N6thrust23THRUST_200600_302600_NS6detail15normal_iteratorINS9_10device_ptrIcEEEESE_PS5_SF_14custom_greaterIcEEE10hipError_tT0_T1_T2_T3_mRjT4_P12ihipStream_tbNS1_7vsmem_tEEUlT_E_NS1_11comp_targetILNS1_3genE0ELNS1_11target_archE4294967295ELNS1_3gpuE0ELNS1_3repE0EEENS1_30default_config_static_selectorELNS0_4arch9wavefront6targetE1EEEvSK_
		.amdhsa_group_segment_fixed_size 0
		.amdhsa_private_segment_fixed_size 0
		.amdhsa_kernarg_size 64
		.amdhsa_user_sgpr_count 6
		.amdhsa_user_sgpr_private_segment_buffer 1
		.amdhsa_user_sgpr_dispatch_ptr 0
		.amdhsa_user_sgpr_queue_ptr 0
		.amdhsa_user_sgpr_kernarg_segment_ptr 1
		.amdhsa_user_sgpr_dispatch_id 0
		.amdhsa_user_sgpr_flat_scratch_init 0
		.amdhsa_user_sgpr_kernarg_preload_length 0
		.amdhsa_user_sgpr_kernarg_preload_offset 0
		.amdhsa_user_sgpr_private_segment_size 0
		.amdhsa_uses_dynamic_stack 0
		.amdhsa_system_sgpr_private_segment_wavefront_offset 0
		.amdhsa_system_sgpr_workgroup_id_x 1
		.amdhsa_system_sgpr_workgroup_id_y 0
		.amdhsa_system_sgpr_workgroup_id_z 0
		.amdhsa_system_sgpr_workgroup_info 0
		.amdhsa_system_vgpr_workitem_id 0
		.amdhsa_next_free_vgpr 1
		.amdhsa_next_free_sgpr 0
		.amdhsa_accum_offset 4
		.amdhsa_reserve_vcc 0
		.amdhsa_reserve_flat_scratch 0
		.amdhsa_float_round_mode_32 0
		.amdhsa_float_round_mode_16_64 0
		.amdhsa_float_denorm_mode_32 3
		.amdhsa_float_denorm_mode_16_64 3
		.amdhsa_dx10_clamp 1
		.amdhsa_ieee_mode 1
		.amdhsa_fp16_overflow 0
		.amdhsa_tg_split 0
		.amdhsa_exception_fp_ieee_invalid_op 0
		.amdhsa_exception_fp_denorm_src 0
		.amdhsa_exception_fp_ieee_div_zero 0
		.amdhsa_exception_fp_ieee_overflow 0
		.amdhsa_exception_fp_ieee_underflow 0
		.amdhsa_exception_fp_ieee_inexact 0
		.amdhsa_exception_int_div_zero 0
	.end_amdhsa_kernel
	.section	.text._ZN7rocprim17ROCPRIM_400000_NS6detail17trampoline_kernelINS0_14default_configENS1_37merge_sort_block_sort_config_selectorIcNS0_10empty_typeEEEZNS1_21merge_sort_block_sortIS3_N6thrust23THRUST_200600_302600_NS6detail15normal_iteratorINS9_10device_ptrIcEEEESE_PS5_SF_14custom_greaterIcEEE10hipError_tT0_T1_T2_T3_mRjT4_P12ihipStream_tbNS1_7vsmem_tEEUlT_E_NS1_11comp_targetILNS1_3genE0ELNS1_11target_archE4294967295ELNS1_3gpuE0ELNS1_3repE0EEENS1_30default_config_static_selectorELNS0_4arch9wavefront6targetE1EEEvSK_,"axG",@progbits,_ZN7rocprim17ROCPRIM_400000_NS6detail17trampoline_kernelINS0_14default_configENS1_37merge_sort_block_sort_config_selectorIcNS0_10empty_typeEEEZNS1_21merge_sort_block_sortIS3_N6thrust23THRUST_200600_302600_NS6detail15normal_iteratorINS9_10device_ptrIcEEEESE_PS5_SF_14custom_greaterIcEEE10hipError_tT0_T1_T2_T3_mRjT4_P12ihipStream_tbNS1_7vsmem_tEEUlT_E_NS1_11comp_targetILNS1_3genE0ELNS1_11target_archE4294967295ELNS1_3gpuE0ELNS1_3repE0EEENS1_30default_config_static_selectorELNS0_4arch9wavefront6targetE1EEEvSK_,comdat
.Lfunc_end2699:
	.size	_ZN7rocprim17ROCPRIM_400000_NS6detail17trampoline_kernelINS0_14default_configENS1_37merge_sort_block_sort_config_selectorIcNS0_10empty_typeEEEZNS1_21merge_sort_block_sortIS3_N6thrust23THRUST_200600_302600_NS6detail15normal_iteratorINS9_10device_ptrIcEEEESE_PS5_SF_14custom_greaterIcEEE10hipError_tT0_T1_T2_T3_mRjT4_P12ihipStream_tbNS1_7vsmem_tEEUlT_E_NS1_11comp_targetILNS1_3genE0ELNS1_11target_archE4294967295ELNS1_3gpuE0ELNS1_3repE0EEENS1_30default_config_static_selectorELNS0_4arch9wavefront6targetE1EEEvSK_, .Lfunc_end2699-_ZN7rocprim17ROCPRIM_400000_NS6detail17trampoline_kernelINS0_14default_configENS1_37merge_sort_block_sort_config_selectorIcNS0_10empty_typeEEEZNS1_21merge_sort_block_sortIS3_N6thrust23THRUST_200600_302600_NS6detail15normal_iteratorINS9_10device_ptrIcEEEESE_PS5_SF_14custom_greaterIcEEE10hipError_tT0_T1_T2_T3_mRjT4_P12ihipStream_tbNS1_7vsmem_tEEUlT_E_NS1_11comp_targetILNS1_3genE0ELNS1_11target_archE4294967295ELNS1_3gpuE0ELNS1_3repE0EEENS1_30default_config_static_selectorELNS0_4arch9wavefront6targetE1EEEvSK_
                                        ; -- End function
	.section	.AMDGPU.csdata,"",@progbits
; Kernel info:
; codeLenInByte = 0
; NumSgprs: 4
; NumVgprs: 0
; NumAgprs: 0
; TotalNumVgprs: 0
; ScratchSize: 0
; MemoryBound: 0
; FloatMode: 240
; IeeeMode: 1
; LDSByteSize: 0 bytes/workgroup (compile time only)
; SGPRBlocks: 0
; VGPRBlocks: 0
; NumSGPRsForWavesPerEU: 4
; NumVGPRsForWavesPerEU: 1
; AccumOffset: 4
; Occupancy: 8
; WaveLimiterHint : 0
; COMPUTE_PGM_RSRC2:SCRATCH_EN: 0
; COMPUTE_PGM_RSRC2:USER_SGPR: 6
; COMPUTE_PGM_RSRC2:TRAP_HANDLER: 0
; COMPUTE_PGM_RSRC2:TGID_X_EN: 1
; COMPUTE_PGM_RSRC2:TGID_Y_EN: 0
; COMPUTE_PGM_RSRC2:TGID_Z_EN: 0
; COMPUTE_PGM_RSRC2:TIDIG_COMP_CNT: 0
; COMPUTE_PGM_RSRC3_GFX90A:ACCUM_OFFSET: 0
; COMPUTE_PGM_RSRC3_GFX90A:TG_SPLIT: 0
	.section	.text._ZN7rocprim17ROCPRIM_400000_NS6detail17trampoline_kernelINS0_14default_configENS1_37merge_sort_block_sort_config_selectorIcNS0_10empty_typeEEEZNS1_21merge_sort_block_sortIS3_N6thrust23THRUST_200600_302600_NS6detail15normal_iteratorINS9_10device_ptrIcEEEESE_PS5_SF_14custom_greaterIcEEE10hipError_tT0_T1_T2_T3_mRjT4_P12ihipStream_tbNS1_7vsmem_tEEUlT_E_NS1_11comp_targetILNS1_3genE5ELNS1_11target_archE942ELNS1_3gpuE9ELNS1_3repE0EEENS1_30default_config_static_selectorELNS0_4arch9wavefront6targetE1EEEvSK_,"axG",@progbits,_ZN7rocprim17ROCPRIM_400000_NS6detail17trampoline_kernelINS0_14default_configENS1_37merge_sort_block_sort_config_selectorIcNS0_10empty_typeEEEZNS1_21merge_sort_block_sortIS3_N6thrust23THRUST_200600_302600_NS6detail15normal_iteratorINS9_10device_ptrIcEEEESE_PS5_SF_14custom_greaterIcEEE10hipError_tT0_T1_T2_T3_mRjT4_P12ihipStream_tbNS1_7vsmem_tEEUlT_E_NS1_11comp_targetILNS1_3genE5ELNS1_11target_archE942ELNS1_3gpuE9ELNS1_3repE0EEENS1_30default_config_static_selectorELNS0_4arch9wavefront6targetE1EEEvSK_,comdat
	.protected	_ZN7rocprim17ROCPRIM_400000_NS6detail17trampoline_kernelINS0_14default_configENS1_37merge_sort_block_sort_config_selectorIcNS0_10empty_typeEEEZNS1_21merge_sort_block_sortIS3_N6thrust23THRUST_200600_302600_NS6detail15normal_iteratorINS9_10device_ptrIcEEEESE_PS5_SF_14custom_greaterIcEEE10hipError_tT0_T1_T2_T3_mRjT4_P12ihipStream_tbNS1_7vsmem_tEEUlT_E_NS1_11comp_targetILNS1_3genE5ELNS1_11target_archE942ELNS1_3gpuE9ELNS1_3repE0EEENS1_30default_config_static_selectorELNS0_4arch9wavefront6targetE1EEEvSK_ ; -- Begin function _ZN7rocprim17ROCPRIM_400000_NS6detail17trampoline_kernelINS0_14default_configENS1_37merge_sort_block_sort_config_selectorIcNS0_10empty_typeEEEZNS1_21merge_sort_block_sortIS3_N6thrust23THRUST_200600_302600_NS6detail15normal_iteratorINS9_10device_ptrIcEEEESE_PS5_SF_14custom_greaterIcEEE10hipError_tT0_T1_T2_T3_mRjT4_P12ihipStream_tbNS1_7vsmem_tEEUlT_E_NS1_11comp_targetILNS1_3genE5ELNS1_11target_archE942ELNS1_3gpuE9ELNS1_3repE0EEENS1_30default_config_static_selectorELNS0_4arch9wavefront6targetE1EEEvSK_
	.globl	_ZN7rocprim17ROCPRIM_400000_NS6detail17trampoline_kernelINS0_14default_configENS1_37merge_sort_block_sort_config_selectorIcNS0_10empty_typeEEEZNS1_21merge_sort_block_sortIS3_N6thrust23THRUST_200600_302600_NS6detail15normal_iteratorINS9_10device_ptrIcEEEESE_PS5_SF_14custom_greaterIcEEE10hipError_tT0_T1_T2_T3_mRjT4_P12ihipStream_tbNS1_7vsmem_tEEUlT_E_NS1_11comp_targetILNS1_3genE5ELNS1_11target_archE942ELNS1_3gpuE9ELNS1_3repE0EEENS1_30default_config_static_selectorELNS0_4arch9wavefront6targetE1EEEvSK_
	.p2align	8
	.type	_ZN7rocprim17ROCPRIM_400000_NS6detail17trampoline_kernelINS0_14default_configENS1_37merge_sort_block_sort_config_selectorIcNS0_10empty_typeEEEZNS1_21merge_sort_block_sortIS3_N6thrust23THRUST_200600_302600_NS6detail15normal_iteratorINS9_10device_ptrIcEEEESE_PS5_SF_14custom_greaterIcEEE10hipError_tT0_T1_T2_T3_mRjT4_P12ihipStream_tbNS1_7vsmem_tEEUlT_E_NS1_11comp_targetILNS1_3genE5ELNS1_11target_archE942ELNS1_3gpuE9ELNS1_3repE0EEENS1_30default_config_static_selectorELNS0_4arch9wavefront6targetE1EEEvSK_,@function
_ZN7rocprim17ROCPRIM_400000_NS6detail17trampoline_kernelINS0_14default_configENS1_37merge_sort_block_sort_config_selectorIcNS0_10empty_typeEEEZNS1_21merge_sort_block_sortIS3_N6thrust23THRUST_200600_302600_NS6detail15normal_iteratorINS9_10device_ptrIcEEEESE_PS5_SF_14custom_greaterIcEEE10hipError_tT0_T1_T2_T3_mRjT4_P12ihipStream_tbNS1_7vsmem_tEEUlT_E_NS1_11comp_targetILNS1_3genE5ELNS1_11target_archE942ELNS1_3gpuE9ELNS1_3repE0EEENS1_30default_config_static_selectorELNS0_4arch9wavefront6targetE1EEEvSK_: ; @_ZN7rocprim17ROCPRIM_400000_NS6detail17trampoline_kernelINS0_14default_configENS1_37merge_sort_block_sort_config_selectorIcNS0_10empty_typeEEEZNS1_21merge_sort_block_sortIS3_N6thrust23THRUST_200600_302600_NS6detail15normal_iteratorINS9_10device_ptrIcEEEESE_PS5_SF_14custom_greaterIcEEE10hipError_tT0_T1_T2_T3_mRjT4_P12ihipStream_tbNS1_7vsmem_tEEUlT_E_NS1_11comp_targetILNS1_3genE5ELNS1_11target_archE942ELNS1_3gpuE9ELNS1_3repE0EEENS1_30default_config_static_selectorELNS0_4arch9wavefront6targetE1EEEvSK_
; %bb.0:
	.section	.rodata,"a",@progbits
	.p2align	6, 0x0
	.amdhsa_kernel _ZN7rocprim17ROCPRIM_400000_NS6detail17trampoline_kernelINS0_14default_configENS1_37merge_sort_block_sort_config_selectorIcNS0_10empty_typeEEEZNS1_21merge_sort_block_sortIS3_N6thrust23THRUST_200600_302600_NS6detail15normal_iteratorINS9_10device_ptrIcEEEESE_PS5_SF_14custom_greaterIcEEE10hipError_tT0_T1_T2_T3_mRjT4_P12ihipStream_tbNS1_7vsmem_tEEUlT_E_NS1_11comp_targetILNS1_3genE5ELNS1_11target_archE942ELNS1_3gpuE9ELNS1_3repE0EEENS1_30default_config_static_selectorELNS0_4arch9wavefront6targetE1EEEvSK_
		.amdhsa_group_segment_fixed_size 0
		.amdhsa_private_segment_fixed_size 0
		.amdhsa_kernarg_size 64
		.amdhsa_user_sgpr_count 6
		.amdhsa_user_sgpr_private_segment_buffer 1
		.amdhsa_user_sgpr_dispatch_ptr 0
		.amdhsa_user_sgpr_queue_ptr 0
		.amdhsa_user_sgpr_kernarg_segment_ptr 1
		.amdhsa_user_sgpr_dispatch_id 0
		.amdhsa_user_sgpr_flat_scratch_init 0
		.amdhsa_user_sgpr_kernarg_preload_length 0
		.amdhsa_user_sgpr_kernarg_preload_offset 0
		.amdhsa_user_sgpr_private_segment_size 0
		.amdhsa_uses_dynamic_stack 0
		.amdhsa_system_sgpr_private_segment_wavefront_offset 0
		.amdhsa_system_sgpr_workgroup_id_x 1
		.amdhsa_system_sgpr_workgroup_id_y 0
		.amdhsa_system_sgpr_workgroup_id_z 0
		.amdhsa_system_sgpr_workgroup_info 0
		.amdhsa_system_vgpr_workitem_id 0
		.amdhsa_next_free_vgpr 1
		.amdhsa_next_free_sgpr 0
		.amdhsa_accum_offset 4
		.amdhsa_reserve_vcc 0
		.amdhsa_reserve_flat_scratch 0
		.amdhsa_float_round_mode_32 0
		.amdhsa_float_round_mode_16_64 0
		.amdhsa_float_denorm_mode_32 3
		.amdhsa_float_denorm_mode_16_64 3
		.amdhsa_dx10_clamp 1
		.amdhsa_ieee_mode 1
		.amdhsa_fp16_overflow 0
		.amdhsa_tg_split 0
		.amdhsa_exception_fp_ieee_invalid_op 0
		.amdhsa_exception_fp_denorm_src 0
		.amdhsa_exception_fp_ieee_div_zero 0
		.amdhsa_exception_fp_ieee_overflow 0
		.amdhsa_exception_fp_ieee_underflow 0
		.amdhsa_exception_fp_ieee_inexact 0
		.amdhsa_exception_int_div_zero 0
	.end_amdhsa_kernel
	.section	.text._ZN7rocprim17ROCPRIM_400000_NS6detail17trampoline_kernelINS0_14default_configENS1_37merge_sort_block_sort_config_selectorIcNS0_10empty_typeEEEZNS1_21merge_sort_block_sortIS3_N6thrust23THRUST_200600_302600_NS6detail15normal_iteratorINS9_10device_ptrIcEEEESE_PS5_SF_14custom_greaterIcEEE10hipError_tT0_T1_T2_T3_mRjT4_P12ihipStream_tbNS1_7vsmem_tEEUlT_E_NS1_11comp_targetILNS1_3genE5ELNS1_11target_archE942ELNS1_3gpuE9ELNS1_3repE0EEENS1_30default_config_static_selectorELNS0_4arch9wavefront6targetE1EEEvSK_,"axG",@progbits,_ZN7rocprim17ROCPRIM_400000_NS6detail17trampoline_kernelINS0_14default_configENS1_37merge_sort_block_sort_config_selectorIcNS0_10empty_typeEEEZNS1_21merge_sort_block_sortIS3_N6thrust23THRUST_200600_302600_NS6detail15normal_iteratorINS9_10device_ptrIcEEEESE_PS5_SF_14custom_greaterIcEEE10hipError_tT0_T1_T2_T3_mRjT4_P12ihipStream_tbNS1_7vsmem_tEEUlT_E_NS1_11comp_targetILNS1_3genE5ELNS1_11target_archE942ELNS1_3gpuE9ELNS1_3repE0EEENS1_30default_config_static_selectorELNS0_4arch9wavefront6targetE1EEEvSK_,comdat
.Lfunc_end2700:
	.size	_ZN7rocprim17ROCPRIM_400000_NS6detail17trampoline_kernelINS0_14default_configENS1_37merge_sort_block_sort_config_selectorIcNS0_10empty_typeEEEZNS1_21merge_sort_block_sortIS3_N6thrust23THRUST_200600_302600_NS6detail15normal_iteratorINS9_10device_ptrIcEEEESE_PS5_SF_14custom_greaterIcEEE10hipError_tT0_T1_T2_T3_mRjT4_P12ihipStream_tbNS1_7vsmem_tEEUlT_E_NS1_11comp_targetILNS1_3genE5ELNS1_11target_archE942ELNS1_3gpuE9ELNS1_3repE0EEENS1_30default_config_static_selectorELNS0_4arch9wavefront6targetE1EEEvSK_, .Lfunc_end2700-_ZN7rocprim17ROCPRIM_400000_NS6detail17trampoline_kernelINS0_14default_configENS1_37merge_sort_block_sort_config_selectorIcNS0_10empty_typeEEEZNS1_21merge_sort_block_sortIS3_N6thrust23THRUST_200600_302600_NS6detail15normal_iteratorINS9_10device_ptrIcEEEESE_PS5_SF_14custom_greaterIcEEE10hipError_tT0_T1_T2_T3_mRjT4_P12ihipStream_tbNS1_7vsmem_tEEUlT_E_NS1_11comp_targetILNS1_3genE5ELNS1_11target_archE942ELNS1_3gpuE9ELNS1_3repE0EEENS1_30default_config_static_selectorELNS0_4arch9wavefront6targetE1EEEvSK_
                                        ; -- End function
	.section	.AMDGPU.csdata,"",@progbits
; Kernel info:
; codeLenInByte = 0
; NumSgprs: 4
; NumVgprs: 0
; NumAgprs: 0
; TotalNumVgprs: 0
; ScratchSize: 0
; MemoryBound: 0
; FloatMode: 240
; IeeeMode: 1
; LDSByteSize: 0 bytes/workgroup (compile time only)
; SGPRBlocks: 0
; VGPRBlocks: 0
; NumSGPRsForWavesPerEU: 4
; NumVGPRsForWavesPerEU: 1
; AccumOffset: 4
; Occupancy: 8
; WaveLimiterHint : 0
; COMPUTE_PGM_RSRC2:SCRATCH_EN: 0
; COMPUTE_PGM_RSRC2:USER_SGPR: 6
; COMPUTE_PGM_RSRC2:TRAP_HANDLER: 0
; COMPUTE_PGM_RSRC2:TGID_X_EN: 1
; COMPUTE_PGM_RSRC2:TGID_Y_EN: 0
; COMPUTE_PGM_RSRC2:TGID_Z_EN: 0
; COMPUTE_PGM_RSRC2:TIDIG_COMP_CNT: 0
; COMPUTE_PGM_RSRC3_GFX90A:ACCUM_OFFSET: 0
; COMPUTE_PGM_RSRC3_GFX90A:TG_SPLIT: 0
	.text
	.p2align	2                               ; -- Begin function _ZN7rocprim17ROCPRIM_400000_NS6detail15block_sort_implIcNS0_10empty_typeELj256ELj32ELNS0_4arch9wavefront6targetE1EvE4sortIN6thrust23THRUST_200600_302600_NS6detail15normal_iteratorINSA_10device_ptrIcEEEESF_PS3_SG_14custom_greaterIcEEEvjbT_T0_T1_T2_T3_RNS7_12storage_typeE
	.type	_ZN7rocprim17ROCPRIM_400000_NS6detail15block_sort_implIcNS0_10empty_typeELj256ELj32ELNS0_4arch9wavefront6targetE1EvE4sortIN6thrust23THRUST_200600_302600_NS6detail15normal_iteratorINSA_10device_ptrIcEEEESF_PS3_SG_14custom_greaterIcEEEvjbT_T0_T1_T2_T3_RNS7_12storage_typeE,@function
_ZN7rocprim17ROCPRIM_400000_NS6detail15block_sort_implIcNS0_10empty_typeELj256ELj32ELNS0_4arch9wavefront6targetE1EvE4sortIN6thrust23THRUST_200600_302600_NS6detail15normal_iteratorINSA_10device_ptrIcEEEESF_PS3_SG_14custom_greaterIcEEEvjbT_T0_T1_T2_T3_RNS7_12storage_typeE: ; @_ZN7rocprim17ROCPRIM_400000_NS6detail15block_sort_implIcNS0_10empty_typeELj256ELj32ELNS0_4arch9wavefront6targetE1EvE4sortIN6thrust23THRUST_200600_302600_NS6detail15normal_iteratorINSA_10device_ptrIcEEEESF_PS3_SG_14custom_greaterIcEEEvjbT_T0_T1_T2_T3_RNS7_12storage_typeE
; %bb.0:
	s_waitcnt vmcnt(0) expcnt(0) lgkmcnt(0)
	s_or_saveexec_b64 s[4:5], -1
	buffer_store_dword v40, off, s[0:3], s32 ; 4-byte Folded Spill
	buffer_store_dword v41, off, s[0:3], s32 offset:4 ; 4-byte Folded Spill
	buffer_store_dword v42, off, s[0:3], s32 offset:8 ; 4-byte Folded Spill
	s_mov_b64 exec, s[4:5]
	v_writelane_b32 v40, s34, 0
	v_writelane_b32 v40, s35, 1
	;; [unrolled: 1-line block ×68, first 2 shown]
	v_and_b32_e32 v1, 1, v1
	v_cmp_eq_u32_e32 vcc, 1, v1
	v_and_b32_e32 v6, 0x3ff, v31
	s_xor_b64 s[4:5], vcc, -1
	s_mov_b64 s[36:37], 0
	v_bfe_u32 v81, v31, 10, 10
	v_bfe_u32 v65, v31, 20, 10
	v_lshrrev_b32_e32 v1, 5, v6
	v_lshlrev_b32_e32 v7, 5, v6
                                        ; implicit-def: $vgpr10
	s_and_saveexec_b64 s[6:7], s[4:5]
	s_xor_b64 s[58:59], exec, s[6:7]
                                        ; implicit-def: $vgpr8_vgpr9
	s_cbranch_execnz .LBB2701_5
; %bb.1:
	s_andn2_saveexec_b64 s[38:39], s[58:59]
	s_cbranch_execnz .LBB2701_61
.LBB2701_2:
	s_or_b64 exec, exec, s[38:39]
	s_and_saveexec_b64 s[4:5], s[36:37]
	s_cbranch_execz .LBB2701_4
.LBB2701_3:
	v_add_co_u32_e32 v0, vcc, v4, v6
	v_addc_co_u32_e32 v1, vcc, v5, v9, vcc
	v_add_co_u32_e32 v0, vcc, 0x1000, v0
	v_addc_co_u32_e32 v1, vcc, 0, v1, vcc
	s_waitcnt lgkmcnt(0)
	flat_store_byte v[0:1], v10 offset:3840
.LBB2701_4:
	s_or_b64 exec, exec, s[4:5]
	v_readlane_b32 s30, v41, 2
	v_readlane_b32 s31, v41, 3
	;; [unrolled: 1-line block ×68, first 2 shown]
	s_or_saveexec_b64 s[4:5], -1
	buffer_load_dword v40, off, s[0:3], s32 ; 4-byte Folded Reload
	buffer_load_dword v41, off, s[0:3], s32 offset:4 ; 4-byte Folded Reload
	buffer_load_dword v42, off, s[0:3], s32 offset:8 ; 4-byte Folded Reload
	s_mov_b64 exec, s[4:5]
	s_waitcnt vmcnt(0) lgkmcnt(0)
	s_setpc_b64 s[30:31]
.LBB2701_5:
	v_add_co_u32_e32 v2, vcc, v2, v6
	v_addc_co_u32_e32 v3, vcc, 0, v3, vcc
	flat_load_ubyte v9, v[2:3]
	flat_load_ubyte v10, v[2:3] offset:256
	flat_load_ubyte v11, v[2:3] offset:512
	;; [unrolled: 1-line block ×15, first 2 shown]
	s_movk_i32 s4, 0x1000
	v_add_co_u32_e32 v0, vcc, s4, v2
	v_and_b32_e32 v8, 28, v1
	v_addc_co_u32_e32 v1, vcc, 0, v3, vcc
	flat_load_ubyte v33, v[0:1]
	flat_load_ubyte v34, v[0:1] offset:256
	flat_load_ubyte v35, v[0:1] offset:512
	;; [unrolled: 1-line block ×14, first 2 shown]
	s_nop 0
	flat_load_ubyte v0, v[0:1] offset:3840
	v_add_u32_e32 v14, 0x100, v6
	v_add_u32_e32 v15, 0x200, v6
	;; [unrolled: 1-line block ×3, first 2 shown]
	v_lshrrev_b32_e32 v2, 5, v14
	v_lshrrev_b32_e32 v3, 5, v15
	;; [unrolled: 1-line block ×3, first 2 shown]
	v_and_b32_e32 v1, 60, v2
	v_or_b32_e32 v17, 0x400, v6
	v_add_u32_e32 v18, 0x500, v6
	v_add_u32_e32 v19, 0x600, v6
	;; [unrolled: 1-line block ×3, first 2 shown]
	v_and_b32_e32 v2, 60, v3
	v_and_b32_e32 v3, 60, v14
	v_add_u32_e32 v14, v1, v6
	v_add_u32_e32 v1, 0x900, v6
	v_or_b32_e32 v29, 0x800, v6
	v_lshrrev_b32_e32 v15, 5, v17
	v_lshrrev_b32_e32 v16, 5, v18
	;; [unrolled: 1-line block ×5, first 2 shown]
	v_add_u32_e32 v8, v8, v6
	v_lshrrev_b32_e32 v19, 5, v29
	v_and_b32_e32 v20, 60, v15
	v_and_b32_e32 v29, 0x7c, v16
	;; [unrolled: 1-line block ×6, first 2 shown]
	v_add_u32_e32 v15, v2, v6
	v_add_u32_e32 v16, v3, v6
	;; [unrolled: 1-line block ×6, first 2 shown]
	s_waitcnt vmcnt(0) lgkmcnt(0)
	ds_write_b8 v8, v9
	ds_write_b8 v14, v10 offset:256
	ds_write_b8 v15, v11 offset:512
	;; [unrolled: 1-line block ×7, first 2 shown]
	v_add_u32_e32 v22, v1, v6
	v_add_u32_e32 v1, 0xa00, v6
	v_lshrrev_b32_e32 v1, 5, v1
	v_and_b32_e32 v1, 0x7c, v1
	v_add_u32_e32 v23, v1, v6
	v_add_u32_e32 v1, 0xb00, v6
	v_lshrrev_b32_e32 v1, 5, v1
	v_add_u32_e32 v21, v67, v6
	v_and_b32_e32 v1, 0x7c, v1
	ds_write_b8 v21, v24 offset:2048
	v_add_u32_e32 v24, v1, v6
	v_or_b32_e32 v1, 0xc00, v6
	v_lshrrev_b32_e32 v1, 5, v1
	v_and_b32_e32 v1, 0x7c, v1
	ds_write_b8 v22, v25 offset:2304
	v_add_u32_e32 v25, v1, v6
	v_add_u32_e32 v1, 0xd00, v6
	v_lshrrev_b32_e32 v1, 5, v1
	v_and_b32_e32 v1, 0xfc, v1
	ds_write_b8 v23, v26 offset:2560
	v_add_u32_e32 v26, v1, v6
	v_add_u32_e32 v1, 0xe00, v6
	;; [unrolled: 5-line block ×3, first 2 shown]
	v_lshrrev_b32_e32 v1, 5, v1
	v_and_b32_e32 v1, 0xfc, v1
	ds_write_b8 v25, v28 offset:3072
	v_add_u32_e32 v28, v1, v6
	v_or_b32_e32 v1, 0x1000, v6
	v_lshrrev_b32_e32 v1, 5, v1
	v_and_b32_e32 v1, 0x9c, v1
	v_add_u32_e32 v29, v1, v6
	v_add_u32_e32 v1, 0x1100, v6
	v_lshrrev_b32_e32 v1, 5, v1
	v_and_b32_e32 v1, 0xbc, v1
	ds_write_b8 v26, v30 offset:3328
	v_add_u32_e32 v30, v1, v6
	v_add_u32_e32 v1, 0x1200, v6
	v_lshrrev_b32_e32 v1, 5, v1
	v_and_b32_e32 v1, 0xbc, v1
	ds_write_b8 v27, v31 offset:3584
	v_add_u32_e32 v31, v1, v6
	v_add_u32_e32 v1, 0x1300, v6
	v_lshrrev_b32_e32 v1, 5, v1
	v_and_b32_e32 v1, 0xbc, v1
	ds_write_b8 v28, v32 offset:3840
	v_add_u32_e32 v32, v1, v6
	v_or_b32_e32 v1, 0x1400, v6
	v_lshrrev_b32_e32 v1, 5, v1
	v_and_b32_e32 v1, 0xbc, v1
	ds_write_b8 v29, v33 offset:4096
	v_add_u32_e32 v33, v1, v6
	v_add_u32_e32 v1, 0x1500, v6
	v_lshrrev_b32_e32 v1, 5, v1
	v_and_b32_e32 v1, 0xfc, v1
	ds_write_b8 v30, v34 offset:4352
	v_add_u32_e32 v34, v1, v6
	v_add_u32_e32 v1, 0x1600, v6
	v_lshrrev_b32_e32 v1, 5, v1
	v_and_b32_e32 v1, 0xfc, v1
	ds_write_b8 v31, v35 offset:4608
	v_add_u32_e32 v35, v1, v6
	v_add_u32_e32 v1, 0x1700, v6
	v_lshrrev_b32_e32 v1, 5, v1
	v_and_b32_e32 v1, 0xfc, v1
	ds_write_b8 v32, v36 offset:4864
	v_add_u32_e32 v36, v1, v6
	v_or_b32_e32 v1, 0x1800, v6
	v_lshrrev_b32_e32 v1, 5, v1
	v_and_b32_e32 v1, 0xdc, v1
	ds_write_b8 v33, v37 offset:5120
	;; [unrolled: 20-line block ×3, first 2 shown]
	v_add_u32_e32 v49, v1, v6
	v_add_u32_e32 v1, 0x1d00, v6
	v_lshrrev_b32_e32 v1, 5, v1
	v_and_b32_e32 v1, 0x1fc, v1
	ds_write_b8 v38, v50 offset:6400
	v_add_u32_e32 v50, v1, v6
	v_add_u32_e32 v1, 0x1e00, v6
	v_lshrrev_b32_e32 v1, 5, v1
	v_and_b32_e32 v1, 0x1fc, v1
	ds_write_b8 v39, v51 offset:6656
	;; [unrolled: 5-line block ×3, first 2 shown]
	v_add_u32_e32 v52, v1, v6
	ds_write_b8 v50, v54 offset:7424
	ds_write_b8 v51, v55 offset:7680
	;; [unrolled: 1-line block ×3, first 2 shown]
	v_and_b32_e32 v0, 0x3fc, v6
	ds_write_b8 v49, v53 offset:7168
	v_add_u32_e32 v53, v0, v7
	s_waitcnt lgkmcnt(0)
	s_barrier
	ds_read2_b32 v[0:1], v53 offset1:1
	ds_read2_b32 v[2:3], v53 offset0:2 offset1:3
	ds_read2_b32 v[10:11], v53 offset0:4 offset1:5
	;; [unrolled: 1-line block ×3, first 2 shown]
	s_waitcnt lgkmcnt(0)
	s_barrier
	s_load_dwordx2 s[4:5], s[8:9], 0x0
	v_mov_b32_e32 v9, 0
	v_lshrrev_b32_e32 v54, 8, v0
	v_lshrrev_b32_e32 v55, 16, v0
	;; [unrolled: 1-line block ×3, first 2 shown]
	s_waitcnt lgkmcnt(0)
	s_cmp_lt_u32 s12, s4
	s_cselect_b32 s6, 12, 18
	s_cmp_lt_u32 s13, s5
	s_cselect_b32 s4, 14, 20
	s_add_u32 s4, s8, s4
	s_addc_u32 s5, s9, 0
	s_add_u32 s6, s8, s6
	s_addc_u32 s7, s9, 0
	global_load_ushort v82, v9, s[4:5]
	global_load_ushort v84, v9, s[6:7]
	s_movk_i32 s6, 0x2000
	v_lshrrev_b32_e32 v66, 8, v1
	v_lshrrev_b32_e32 v67, 16, v1
	;; [unrolled: 1-line block ×21, first 2 shown]
	s_waitcnt vmcnt(1)
	v_mad_u32_u24 v65, v65, v82, v81
	s_waitcnt vmcnt(0)
	v_mul_lo_u32 v65, v65, v84
	v_add_lshl_u32 v65, v65, v6, 5
	v_cmp_gt_u32_e32 vcc, s6, v65
	s_and_saveexec_b64 s[4:5], vcc
	s_cbranch_execz .LBB2701_7
; %bb.6:
	v_max_i16_sdwa v81, sext(v0), sext(v54) dst_sel:DWORD dst_unused:UNUSED_PAD src0_sel:BYTE_0 src1_sel:BYTE_0
	v_min_i16_sdwa v0, sext(v0), sext(v54) dst_sel:DWORD dst_unused:UNUSED_PAD src0_sel:BYTE_0 src1_sel:BYTE_0
	v_max_i16_sdwa v54, sext(v55), sext(v64) dst_sel:DWORD dst_unused:UNUSED_PAD src0_sel:BYTE_0 src1_sel:BYTE_0
	v_min_i16_sdwa v55, sext(v55), sext(v64) dst_sel:DWORD dst_unused:UNUSED_PAD src0_sel:BYTE_0 src1_sel:BYTE_0
	;; [unrolled: 2-line block ×9, first 2 shown]
	v_min_i16_sdwa v85, sext(v87), sext(v96) dst_sel:DWORD dst_unused:UNUSED_PAD src0_sel:BYTE_0 src1_sel:BYTE_0
	v_max_i16_sdwa v84, sext(v87), sext(v96) dst_sel:DWORD dst_unused:UNUSED_PAD src0_sel:BYTE_0 src1_sel:BYTE_0
	v_max_i16_sdwa v86, sext(v11), sext(v97) dst_sel:DWORD dst_unused:UNUSED_PAD src0_sel:BYTE_0 src1_sel:BYTE_0
	v_min_i16_sdwa v11, sext(v11), sext(v97) dst_sel:DWORD dst_unused:UNUSED_PAD src0_sel:BYTE_0 src1_sel:BYTE_0
	v_max_i16_sdwa v87, sext(v98), sext(v99) dst_sel:DWORD dst_unused:UNUSED_PAD src0_sel:BYTE_0 src1_sel:BYTE_0
	v_min_i16_sdwa v96, sext(v98), sext(v99) dst_sel:DWORD dst_unused:UNUSED_PAD src0_sel:BYTE_0 src1_sel:BYTE_0
	;; [unrolled: 2-line block ×3, first 2 shown]
	v_min_i16_sdwa v98, sext(v101), sext(v102) dst_sel:DWORD dst_unused:UNUSED_PAD src0_sel:BYTE_0 src1_sel:BYTE_0
	v_max_i16_sdwa v99, sext(v101), sext(v102) dst_sel:DWORD dst_unused:UNUSED_PAD src0_sel:BYTE_0 src1_sel:BYTE_0
	v_min_i16_sdwa v100, sext(v13), sext(v103) dst_sel:DWORD dst_unused:UNUSED_PAD src0_sel:BYTE_0 src1_sel:BYTE_0
	v_max_i16_sdwa v13, sext(v13), sext(v103) dst_sel:DWORD dst_unused:UNUSED_PAD src0_sel:BYTE_0 src1_sel:BYTE_0
	;; [unrolled: 2-line block ×3, first 2 shown]
	v_max_i16_e32 v103, v81, v55
	v_min_i16_e32 v81, v81, v55
	v_max_i16_e32 v112, v54, v1
	v_min_i16_e32 v1, v54, v1
	;; [unrolled: 2-line block ×9, first 2 shown]
	v_cmp_lt_i16_e32 vcc, v55, v0
	v_max_i16_e32 v85, v84, v11
	v_min_i16_e32 v11, v84, v11
	v_max_i16_e32 v84, v86, v96
	v_min_i16_e32 v86, v86, v96
	;; [unrolled: 2-line block ×3, first 2 shown]
	v_min_i16_e32 v87, v97, v98
	v_max_i16_e32 v97, v97, v98
	v_min_i16_e32 v98, v99, v100
	v_max_i16_e32 v99, v99, v100
	;; [unrolled: 2-line block ×3, first 2 shown]
	v_cndmask_b32_e32 v55, v81, v0, vcc
	v_cndmask_b32_e32 v0, v0, v81, vcc
	v_max_i16_e32 v81, v103, v1
	v_min_i16_e32 v1, v103, v1
	v_max_i16_e32 v103, v112, v64
	v_min_i16_e32 v64, v112, v64
	;; [unrolled: 2-line block ×8, first 2 shown]
	v_cmp_gt_i16_e32 vcc, v13, v102
	v_max_i16_e32 v83, v80, v11
	v_min_i16_e32 v11, v80, v11
	v_max_i16_e32 v80, v85, v86
	v_min_i16_e32 v85, v85, v86
	;; [unrolled: 2-line block ×4, first 2 shown]
	v_min_i16_e32 v96, v97, v98
	v_max_i16_e32 v97, v97, v98
	v_min_i16_e32 v98, v99, v100
	v_max_i16_e32 v99, v99, v100
	v_cndmask_b32_e32 v13, v101, v102, vcc
	v_cndmask_b32_e32 v100, v102, v101, vcc
	v_max_i16_e32 v101, v55, v1
	v_min_i16_e32 v1, v55, v1
	v_max_i16_e32 v55, v81, v64
	v_min_i16_e32 v64, v81, v64
	v_max_i16_e32 v81, v103, v2
	v_min_i16_e32 v2, v103, v2
	v_max_i16_e32 v102, v112, v67
	v_min_i16_e32 v67, v112, v67
	v_max_i16_e32 v103, v54, v3
	v_min_i16_e32 v3, v54, v3
	v_max_i16_e32 v54, v68, v70
	v_min_i16_e32 v68, v68, v70
	v_max_i16_e32 v70, v66, v10
	v_min_i16_e32 v10, v66, v10
	v_max_i16_e32 v66, v71, v82
	v_min_i16_e32 v71, v71, v82
	v_max_i16_e32 v82, v69, v11
	v_min_i16_e32 v11, v69, v11
	v_max_i16_e32 v69, v83, v85
	v_min_i16_e32 v83, v83, v85
	v_max_i16_e32 v85, v80, v12
	v_min_i16_e32 v12, v80, v12
	v_max_i16_e32 v80, v86, v87
	v_min_i16_e32 v86, v86, v87
	v_min_i16_e32 v87, v84, v96
	v_max_i16_e32 v84, v84, v96
	v_min_i16_e32 v96, v97, v98
	v_max_i16_e32 v97, v97, v98
	;; [unrolled: 2-line block ×3, first 2 shown]
	v_max_i16_e32 v99, v0, v1
	v_max_i16_e32 v113, v101, v64
	v_min_i16_e32 v64, v101, v64
	v_max_i16_e32 v101, v55, v2
	v_min_i16_e32 v2, v55, v2
	;; [unrolled: 2-line block ×7, first 2 shown]
	v_min_i16_e32 v112, v0, v1
	v_max_i16_e32 v71, v66, v11
	v_min_i16_e32 v11, v66, v11
	v_max_i16_e32 v66, v82, v83
	;; [unrolled: 2-line block ×5, first 2 shown]
	v_min_i16_e32 v80, v80, v87
	v_min_i16_e32 v87, v84, v96
	v_max_i16_e32 v84, v84, v96
	v_min_i16_e32 v96, v97, v98
	v_max_i16_e32 v97, v97, v98
	;; [unrolled: 2-line block ×10, first 2 shown]
	v_max_i16_e32 v103, v54, v11
	v_min_i16_e32 v11, v54, v11
	v_max_i16_e32 v54, v71, v82
	v_min_i16_e32 v71, v71, v82
	;; [unrolled: 2-line block ×5, first 2 shown]
	v_min_i16_e32 v80, v86, v87
	v_max_i16_e32 v86, v86, v87
	v_min_i16_e32 v87, v84, v96
	v_max_i16_e32 v84, v84, v96
	;; [unrolled: 2-line block ×3, first 2 shown]
	v_med3_i16 v0, v0, v1, v64
	v_min_i16_e32 v1, v112, v99
	v_max_i16_e32 v64, v115, v2
	v_min_i16_e32 v2, v115, v2
	v_max_i16_e32 v99, v116, v67
	;; [unrolled: 2-line block ×12, first 2 shown]
	v_min_i16_e32 v80, v85, v80
	v_min_i16_e32 v85, v86, v87
	v_max_i16_e32 v86, v86, v87
	v_min_i16_e32 v87, v84, v96
	v_max_i16_e32 v84, v84, v96
	v_med3_i16 v13, v13, v100, v97
	v_max_i16_e32 v96, v98, v114
	v_max_i16_e32 v97, v0, v2
	v_min_i16_e32 v0, v0, v2
	v_max_i16_e32 v98, v64, v67
	v_min_i16_e32 v64, v64, v67
	v_max_i16_e32 v67, v99, v3
	v_min_i16_e32 v3, v99, v3
	v_max_i16_e32 v99, v112, v68
	v_min_i16_e32 v68, v112, v68
	v_max_i16_e32 v100, v113, v10
	v_min_i16_e32 v10, v113, v10
	v_max_i16_e32 v112, v101, v70
	v_min_i16_e32 v70, v101, v70
	v_cmp_lt_i16_e32 vcc, v2, v1
	v_max_i16_e32 v101, v55, v11
	v_min_i16_e32 v11, v55, v11
	v_max_i16_e32 v55, v81, v71
	v_min_i16_e32 v71, v81, v71
	;; [unrolled: 2-line block ×6, first 2 shown]
	v_min_i16_e32 v83, v69, v85
	v_max_i16_e32 v69, v69, v85
	v_min_i16_e32 v85, v86, v87
	v_max_i16_e32 v86, v86, v87
	;; [unrolled: 2-line block ×3, first 2 shown]
	v_cndmask_b32_e32 v2, v0, v1, vcc
	v_cndmask_b32_e32 v0, v1, v0, vcc
	v_max_i16_e32 v1, v97, v64
	v_min_i16_e32 v64, v97, v64
	v_max_i16_e32 v97, v98, v3
	v_min_i16_e32 v3, v98, v3
	;; [unrolled: 2-line block ×5, first 2 shown]
	v_cmp_gt_i16_e32 vcc, v84, v96
	v_max_i16_e32 v100, v112, v11
	v_min_i16_e32 v11, v112, v11
	v_max_i16_e32 v112, v101, v71
	v_min_i16_e32 v71, v101, v71
	;; [unrolled: 2-line block ×7, first 2 shown]
	v_min_i16_e32 v83, v69, v85
	v_max_i16_e32 v69, v69, v85
	v_min_i16_e32 v85, v86, v87
	v_max_i16_e32 v86, v86, v87
	v_cndmask_b32_e32 v84, v13, v96, vcc
	v_cndmask_b32_e32 v13, v96, v13, vcc
	v_max_i16_e32 v87, v2, v64
	v_min_i16_e32 v2, v2, v64
	v_max_i16_e32 v64, v1, v3
	v_min_i16_e32 v1, v1, v3
	;; [unrolled: 2-line block ×12, first 2 shown]
	v_min_i16_e32 v102, v103, v83
	v_max_i16_e32 v83, v103, v83
	v_min_i16_e32 v103, v69, v85
	v_max_i16_e32 v69, v69, v85
	;; [unrolled: 2-line block ×3, first 2 shown]
	v_max_i16_e32 v86, v0, v2
	v_min_i16_e32 v0, v0, v2
	v_max_i16_e32 v2, v87, v1
	v_min_i16_e32 v1, v87, v1
	v_max_i16_e32 v87, v64, v67
	v_min_i16_e32 v64, v64, v67
	v_max_i16_e32 v67, v3, v10
	v_min_i16_e32 v3, v3, v10
	v_max_i16_e32 v10, v96, v68
	v_min_i16_e32 v68, v96, v68
	v_max_i16_e32 v96, v97, v11
	v_min_i16_e32 v11, v97, v11
	v_max_i16_e32 v97, v70, v71
	v_min_i16_e32 v70, v70, v71
	v_max_i16_e32 v71, v98, v12
	v_min_i16_e32 v12, v98, v12
	v_max_i16_e32 v98, v99, v81
	v_min_i16_e32 v81, v99, v81
	v_max_i16_e32 v99, v100, v54
	v_min_i16_e32 v54, v100, v54
	v_max_i16_e32 v100, v101, v80
	v_min_i16_e32 v80, v101, v80
	v_max_i16_e32 v101, v55, v66
	v_min_i16_e32 v55, v55, v66
	v_max_i16_e32 v66, v82, v102
	v_min_i16_e32 v82, v82, v102
	v_min_i16_e32 v102, v83, v103
	v_max_i16_e32 v83, v83, v103
	v_min_i16_e32 v103, v69, v85
	v_max_i16_e32 v69, v69, v85
	;; [unrolled: 2-line block ×3, first 2 shown]
	v_max_i16_e32 v84, v86, v1
	v_min_i16_e32 v86, v86, v1
	v_max_i16_e32 v112, v2, v64
	v_min_i16_e32 v2, v2, v64
	;; [unrolled: 2-line block ×4, first 2 shown]
	v_cmp_lt_i16_e32 vcc, v1, v0
	v_max_i16_e32 v68, v10, v11
	v_min_i16_e32 v10, v10, v11
	v_max_i16_e32 v11, v96, v70
	v_min_i16_e32 v70, v96, v70
	;; [unrolled: 2-line block ×8, first 2 shown]
	v_min_i16_e32 v101, v66, v102
	v_max_i16_e32 v66, v66, v102
	v_min_i16_e32 v102, v83, v103
	v_max_i16_e32 v83, v83, v103
	;; [unrolled: 2-line block ×3, first 2 shown]
	v_cndmask_b32_e32 v1, v86, v0, vcc
	v_cndmask_b32_e32 v0, v0, v86, vcc
	v_max_i16_e32 v86, v84, v2
	v_min_i16_e32 v2, v84, v2
	v_max_i16_e32 v84, v112, v3
	v_min_i16_e32 v3, v112, v3
	;; [unrolled: 2-line block ×3, first 2 shown]
	v_cmp_gt_i16_e32 vcc, v69, v13
	v_max_i16_e32 v67, v87, v10
	v_min_i16_e32 v10, v87, v10
	v_max_i16_e32 v87, v68, v70
	v_min_i16_e32 v68, v68, v70
	v_max_i16_e32 v70, v11, v12
	v_min_i16_e32 v11, v11, v12
	v_max_i16_e32 v12, v96, v71
	v_min_i16_e32 v71, v96, v71
	v_max_i16_e32 v96, v97, v54
	v_min_i16_e32 v54, v97, v54
	v_max_i16_e32 v97, v81, v80
	v_min_i16_e32 v80, v81, v80
	v_max_i16_e32 v81, v98, v55
	v_min_i16_e32 v55, v98, v55
	v_max_i16_e32 v98, v99, v82
	v_min_i16_e32 v82, v99, v82
	v_max_i16_e32 v99, v100, v101
	v_min_i16_e32 v100, v100, v101
	v_min_i16_e32 v101, v66, v102
	v_max_i16_e32 v66, v66, v102
	v_min_i16_e32 v102, v83, v103
	v_max_i16_e32 v83, v83, v103
	v_cndmask_b32_e32 v69, v85, v13, vcc
	v_cndmask_b32_e32 v13, v13, v85, vcc
	v_max_i16_e32 v85, v1, v2
	v_min_i16_e32 v1, v1, v2
	v_max_i16_e32 v2, v86, v3
	v_min_i16_e32 v3, v86, v3
	;; [unrolled: 2-line block ×12, first 2 shown]
	v_min_i16_e32 v100, v99, v101
	v_max_i16_e32 v99, v99, v101
	v_min_i16_e32 v101, v66, v102
	v_max_i16_e32 v66, v66, v102
	;; [unrolled: 2-line block ×3, first 2 shown]
	v_max_i16_e32 v83, v0, v1
	v_min_i16_e32 v0, v0, v1
	v_max_i16_e32 v1, v85, v3
	v_min_i16_e32 v3, v85, v3
	;; [unrolled: 2-line block ×13, first 2 shown]
	v_min_i16_e32 v100, v99, v101
	v_max_i16_e32 v99, v99, v101
	v_min_i16_e32 v101, v66, v102
	v_max_i16_e32 v66, v66, v102
	;; [unrolled: 2-line block ×3, first 2 shown]
	v_max_i16_e32 v69, v83, v3
	v_min_i16_e32 v83, v83, v3
	v_max_i16_e32 v112, v1, v2
	v_min_i16_e32 v1, v1, v2
	v_cmp_lt_i16_e32 vcc, v3, v0
	v_max_i16_e32 v2, v85, v10
	v_min_i16_e32 v10, v85, v10
	v_max_i16_e32 v85, v64, v67
	v_min_i16_e32 v64, v64, v67
	v_max_i16_e32 v67, v86, v11
	v_min_i16_e32 v11, v86, v11
	v_max_i16_e32 v86, v84, v68
	v_min_i16_e32 v68, v84, v68
	v_max_i16_e32 v84, v103, v12
	v_min_i16_e32 v12, v103, v12
	v_max_i16_e32 v103, v70, v71
	v_min_i16_e32 v70, v70, v71
	v_max_i16_e32 v71, v87, v54
	v_min_i16_e32 v54, v87, v54
	v_max_i16_e32 v87, v80, v81
	v_min_i16_e32 v80, v80, v81
	v_max_i16_e32 v81, v55, v97
	v_min_i16_e32 v55, v55, v97
	v_max_i16_e32 v97, v96, v82
	v_min_i16_e32 v82, v96, v82
	v_min_i16_e32 v96, v98, v100
	v_max_i16_e32 v98, v98, v100
	v_min_i16_e32 v100, v99, v101
	v_max_i16_e32 v99, v99, v101
	;; [unrolled: 2-line block ×3, first 2 shown]
	v_cndmask_b32_e32 v3, v83, v0, vcc
	v_cndmask_b32_e32 v0, v0, v83, vcc
	v_max_i16_e32 v83, v69, v1
	v_min_i16_e32 v1, v69, v1
	v_cmp_gt_i16_e32 vcc, v66, v13
	v_max_i16_e32 v69, v112, v10
	v_min_i16_e32 v10, v112, v10
	v_max_i16_e32 v112, v2, v64
	v_min_i16_e32 v2, v2, v64
	;; [unrolled: 2-line block ×11, first 2 shown]
	v_min_i16_e32 v97, v98, v100
	v_max_i16_e32 v98, v98, v100
	v_min_i16_e32 v100, v99, v101
	v_max_i16_e32 v99, v99, v101
	v_cndmask_b32_e32 v66, v102, v13, vcc
	v_max_i16_e32 v101, v3, v1
	v_min_i16_e32 v1, v3, v1
	v_cndmask_b32_e32 v13, v13, v102, vcc
	v_max_i16_e32 v3, v83, v10
	v_min_i16_e32 v10, v83, v10
	v_max_i16_e32 v102, v64, v67
	v_min_i16_e32 v64, v64, v67
	;; [unrolled: 2-line block ×9, first 2 shown]
	v_min_i16_e32 v96, v82, v97
	v_max_i16_e32 v82, v82, v97
	v_min_i16_e32 v97, v98, v100
	v_max_i16_e32 v98, v98, v100
	;; [unrolled: 2-line block ×3, first 2 shown]
	v_cmp_gt_i16_e32 vcc, v0, v1
	v_max_i16_e32 v83, v69, v2
	v_min_i16_e32 v2, v69, v2
	v_max_i16_e32 v69, v112, v11
	v_min_i16_e32 v11, v112, v11
	v_cndmask_b32_e32 v99, v1, v0, vcc
	v_min_i16_e32 v112, v0, v1
	v_max_i16_e32 v0, v0, v1
	v_max_i16_e32 v1, v101, v10
	v_min_i16_e32 v10, v101, v10
	v_cmp_gt_i16_e32 vcc, v66, v13
	v_max_i16_e32 v101, v3, v2
	v_min_i16_e32 v2, v3, v2
	v_max_i16_e32 v3, v83, v11
	v_min_i16_e32 v11, v83, v11
	;; [unrolled: 2-line block ×11, first 2 shown]
	v_min_i16_e32 v96, v82, v97
	v_max_i16_e32 v82, v82, v97
	v_min_i16_e32 v97, v98, v100
	v_max_i16_e32 v98, v98, v100
	v_cndmask_b32_e32 v100, v66, v13, vcc
	v_max_i16_e32 v113, v66, v13
	v_min_i16_e32 v13, v66, v13
	v_cmp_gt_i16_e32 vcc, v0, v10
	v_cndmask_b32_e32 v99, v99, v10, vcc
	v_cmp_gt_i16_e32 vcc, v98, v13
	v_max_i16_e32 v66, v0, v10
	v_max_i16_e32 v114, v1, v2
	v_min_i16_e32 v1, v1, v2
	v_max_i16_e32 v2, v101, v11
	v_min_i16_e32 v11, v101, v11
	;; [unrolled: 2-line block ×3, first 2 shown]
	v_cndmask_b32_e32 v100, v100, v98, vcc
	v_cmp_lt_i16_e32 vcc, v10, v112
	v_max_i16_e32 v64, v83, v12
	v_min_i16_e32 v12, v83, v12
	v_max_i16_e32 v83, v69, v67
	v_min_i16_e32 v67, v69, v67
	;; [unrolled: 2-line block ×8, first 2 shown]
	v_min_i16_e32 v84, v103, v96
	v_max_i16_e32 v96, v103, v96
	v_min_i16_e32 v103, v82, v97
	v_max_i16_e32 v82, v82, v97
	v_min_i16_e32 v97, v98, v13
	v_cndmask_b32_e32 v99, v99, v112, vcc
	v_min3_i16 v0, v112, v0, v10
	v_max_i16_e32 v10, v66, v1
	v_min_i16_e32 v1, v66, v1
	v_max_i16_e32 v66, v114, v11
	v_min_i16_e32 v11, v114, v11
	;; [unrolled: 2-line block ×3, first 2 shown]
	v_cmp_gt_i16_e32 vcc, v98, v113
	v_max_i16_e32 v3, v101, v12
	v_min_i16_e32 v12, v101, v12
	v_max_i16_e32 v101, v64, v67
	v_min_i16_e32 v64, v64, v67
	;; [unrolled: 2-line block ×9, first 2 shown]
	v_min_i16_e32 v87, v96, v103
	v_max_i16_e32 v96, v96, v103
	v_min_i16_e32 v103, v82, v97
	v_max_i16_e32 v82, v82, v97
	v_cndmask_b32_e32 v97, v100, v113, vcc
	v_max3_i16 v13, v98, v13, v113
	v_max_i16_e32 v98, v99, v1
	v_min_i16_e32 v1, v99, v1
	v_max_i16_e32 v99, v10, v11
	v_min_i16_e32 v10, v10, v11
	;; [unrolled: 2-line block ×12, first 2 shown]
	v_min_i16_e32 v86, v81, v87
	v_max_i16_e32 v81, v81, v87
	v_min_i16_e32 v87, v96, v103
	v_max_i16_e32 v96, v96, v103
	;; [unrolled: 2-line block ×3, first 2 shown]
	v_max_i16_e32 v97, v0, v1
	v_min_i16_e32 v112, v0, v1
	v_max_i16_e32 v113, v98, v10
	v_min_i16_e32 v10, v98, v10
	;; [unrolled: 2-line block ×13, first 2 shown]
	v_min_i16_e32 v86, v81, v87
	v_max_i16_e32 v81, v81, v87
	v_min_i16_e32 v87, v96, v103
	v_max_i16_e32 v96, v96, v103
	;; [unrolled: 2-line block ×3, first 2 shown]
	v_max_i16_e32 v115, v97, v10
	v_min_i16_e32 v97, v97, v10
	v_max_i16_e32 v116, v113, v2
	v_min_i16_e32 v2, v113, v2
	v_cmp_lt_i16_e32 vcc, v10, v112
	v_max_i16_e32 v113, v98, v11
	v_min_i16_e32 v11, v98, v11
	v_max_i16_e32 v98, v99, v3
	v_min_i16_e32 v3, v99, v3
	;; [unrolled: 2-line block ×10, first 2 shown]
	v_min_i16_e32 v80, v102, v86
	v_max_i16_e32 v86, v102, v86
	v_min_i16_e32 v102, v81, v87
	v_max_i16_e32 v81, v81, v87
	;; [unrolled: 2-line block ×3, first 2 shown]
	v_cndmask_b32_e32 v117, v97, v112, vcc
	v_med3_i16 v0, v0, v1, v10
	v_max_i16_e32 v1, v115, v2
	v_min_i16_e32 v2, v115, v2
	v_cmp_gt_i16_e32 vcc, v96, v114
	v_min_i16_e32 v97, v112, v97
	v_max_i16_e32 v112, v113, v3
	v_min_i16_e32 v3, v113, v3
	v_max_i16_e32 v113, v98, v12
	;; [unrolled: 2-line block ×10, first 2 shown]
	v_min_i16_e32 v80, v85, v80
	v_min_i16_e32 v85, v86, v102
	v_max_i16_e32 v86, v86, v102
	v_min_i16_e32 v102, v81, v87
	v_max_i16_e32 v81, v81, v87
	v_cndmask_b32_e32 v87, v103, v114, vcc
	v_med3_i16 v13, v82, v13, v96
	v_cmp_gt_i16_e32 vcc, v0, v2
	v_max_i16_e32 v10, v116, v11
	v_min_i16_e32 v11, v116, v11
	v_cndmask_b32_e32 v96, v117, v2, vcc
	v_cmp_gt_i16_e32 vcc, v81, v13
	v_max_i16_e32 v103, v103, v114
	v_max_i16_e32 v82, v0, v2
	v_min_i16_e32 v0, v0, v2
	v_max_i16_e32 v114, v1, v11
	v_min_i16_e32 v1, v1, v11
	v_cndmask_b32_e32 v87, v87, v81, vcc
	v_cmp_lt_i16_e32 vcc, v2, v97
	v_max_i16_e32 v11, v10, v3
	v_min_i16_e32 v3, v10, v3
	v_max_i16_e32 v10, v112, v12
	v_min_i16_e32 v12, v112, v12
	;; [unrolled: 2-line block ×10, first 2 shown]
	v_min_i16_e32 v101, v71, v85
	v_max_i16_e32 v71, v71, v85
	v_min_i16_e32 v85, v86, v102
	v_max_i16_e32 v86, v86, v102
	;; [unrolled: 2-line block ×3, first 2 shown]
	v_cndmask_b32_e32 v2, v96, v97, vcc
	v_cndmask_b32_e32 v96, v97, v0, vcc
	;; [unrolled: 1-line block ×3, first 2 shown]
	v_max_i16_e32 v97, v82, v1
	v_min_i16_e32 v1, v82, v1
	v_cmp_gt_i16_e32 vcc, v81, v103
	v_max_i16_e32 v82, v114, v3
	v_min_i16_e32 v3, v114, v3
	v_max_i16_e32 v114, v11, v12
	v_min_i16_e32 v11, v11, v12
	;; [unrolled: 2-line block ×11, first 2 shown]
	v_min_i16_e32 v101, v71, v85
	v_max_i16_e32 v71, v71, v85
	v_min_i16_e32 v85, v86, v102
	v_max_i16_e32 v86, v86, v102
	v_cndmask_b32_e32 v81, v87, v103, vcc
	v_cndmask_b32_e32 v87, v103, v13, vcc
	;; [unrolled: 1-line block ×3, first 2 shown]
	v_cmp_gt_i16_e32 vcc, v0, v1
	v_max_i16_e32 v102, v0, v1
	v_cndmask_b32_e32 v0, v2, v1, vcc
	v_cmp_gt_i16_e32 vcc, v86, v13
	v_max_i16_e32 v1, v97, v3
	v_min_i16_e32 v2, v97, v3
	v_max_i16_e32 v3, v82, v11
	v_min_i16_e32 v11, v82, v11
	;; [unrolled: 2-line block ×11, first 2 shown]
	v_min_i16_e32 v70, v100, v101
	v_max_i16_e32 v100, v100, v101
	v_min_i16_e32 v101, v71, v85
	v_max_i16_e32 v71, v71, v85
	v_min_i16_e32 v85, v86, v13
	v_cndmask_b32_e32 v13, v81, v86, vcc
	v_max_i16_e32 v81, v96, v0
	v_max_i16_e32 v113, v102, v2
	v_min_i16_e32 v2, v102, v2
	v_max_i16_e32 v102, v1, v11
	v_min_i16_e32 v1, v1, v11
	v_max_i16_e32 v11, v3, v10
	v_min_i16_e32 v3, v3, v10
	v_max_i16_e32 v10, v82, v12
	v_min_i16_e32 v12, v82, v12
	v_max_i16_e32 v82, v97, v64
	v_min_i16_e32 v64, v97, v64
	v_max_i16_e32 v97, v54, v55
	v_min_i16_e32 v54, v54, v55
	v_max_i16_e32 v55, v66, v67
	v_min_i16_e32 v66, v66, v67
	v_max_i16_e32 v67, v103, v83
	v_min_i16_e32 v83, v103, v83
	v_max_i16_e32 v103, v112, v68
	v_min_i16_e32 v68, v112, v68
	v_max_i16_e32 v112, v98, v80
	v_min_i16_e32 v80, v98, v80
	v_max_i16_e32 v98, v99, v69
	v_min_i16_e32 v69, v99, v69
	v_max_i16_e32 v99, v84, v70
	v_min_i16_e32 v70, v84, v70
	v_min_i16_e32 v84, v100, v101
	v_max_i16_e32 v100, v100, v101
	v_min_i16_e32 v101, v71, v85
	v_max_i16_e32 v71, v71, v85
	v_min_i16_e32 v85, v13, v87
	v_min_i16_e32 v86, v96, v0
	v_max_i16_e32 v115, v81, v2
	v_min_i16_e32 v81, v81, v2
	v_max_i16_e32 v116, v113, v1
	;; [unrolled: 2-line block ×12, first 2 shown]
	v_min_i16_e32 v70, v98, v70
	v_min_i16_e32 v98, v99, v84
	v_max_i16_e32 v84, v99, v84
	v_min_i16_e32 v99, v100, v101
	v_max_i16_e32 v100, v100, v101
	;; [unrolled: 2-line block ×3, first 2 shown]
	v_max_i16_e32 v85, v71, v85
	v_med3_i16 v2, v96, v0, v2
	v_min_i16_e32 v0, v86, v81
	v_max_i16_e32 v81, v115, v1
	v_min_i16_e32 v1, v115, v1
	v_max_i16_e32 v86, v116, v3
	;; [unrolled: 2-line block ×12, first 2 shown]
	v_min_i16_e32 v112, v112, v98
	v_min_i16_e32 v134, v84, v99
	v_max_i16_e32 v84, v84, v99
	v_min_i16_e32 v135, v100, v101
	v_max_i16_e32 v144, v100, v101
	v_med3_i16 v145, v13, v87, v71
	v_max_i16_e32 v113, v85, v114
	v_max_i16_e32 v55, v2, v1
	v_min_i16_e32 v54, v2, v1
	v_max_i16_e32 v1, v81, v3
	v_min_i16_e32 v64, v81, v3
	;; [unrolled: 2-line block ×12, first 2 shown]
	v_min_i16_e32 v100, v133, v134
	v_max_i16_e32 v101, v133, v134
	v_min_i16_e32 v102, v84, v135
	v_max_i16_e32 v13, v84, v135
	v_min_i16_e32 v103, v144, v145
	v_max_i16_e32 v112, v144, v145
.LBB2701_7:
	s_or_b64 exec, exec, s[4:5]
	v_lshlrev_b16_e32 v114, 8, v80
	v_lshlrev_b16_e32 v115, 8, v85
	v_or_b32_sdwa v114, v3, v114 dst_sel:DWORD dst_unused:UNUSED_PAD src0_sel:BYTE_0 src1_sel:DWORD
	v_or_b32_sdwa v115, v83, v115 dst_sel:WORD_1 dst_unused:UNUSED_PAD src0_sel:BYTE_0 src1_sel:DWORD
	v_or_b32_sdwa v117, v114, v115 dst_sel:DWORD dst_unused:UNUSED_PAD src0_sel:WORD_0 src1_sel:DWORD
	v_lshlrev_b16_e32 v114, 8, v69
	v_lshlrev_b16_e32 v115, 8, v71
	v_or_b32_sdwa v114, v2, v114 dst_sel:DWORD dst_unused:UNUSED_PAD src0_sel:BYTE_0 src1_sel:DWORD
	v_or_b32_sdwa v115, v70, v115 dst_sel:WORD_1 dst_unused:UNUSED_PAD src0_sel:BYTE_0 src1_sel:DWORD
	v_or_b32_sdwa v116, v114, v115 dst_sel:DWORD dst_unused:UNUSED_PAD src0_sel:WORD_0 src1_sel:DWORD
	v_lshlrev_b16_e32 v114, 8, v66
	v_lshlrev_b16_e32 v115, 8, v68
	v_mbcnt_lo_u32_b32 v81, -1, 0
	v_or_b32_sdwa v114, v1, v114 dst_sel:DWORD dst_unused:UNUSED_PAD src0_sel:BYTE_0 src1_sel:DWORD
	v_or_b32_sdwa v115, v67, v115 dst_sel:WORD_1 dst_unused:UNUSED_PAD src0_sel:BYTE_0 src1_sel:DWORD
	v_mbcnt_hi_u32_b32 v82, -1, v81
	v_or_b32_sdwa v115, v114, v115 dst_sel:DWORD dst_unused:UNUSED_PAD src0_sel:WORD_0 src1_sel:DWORD
	v_lshlrev_b16_e32 v114, 8, v54
	v_lshlrev_b16_e32 v118, 8, v64
	v_and_b32_e32 v65, 0xfffff800, v65
	v_lshlrev_b32_e32 v82, 5, v82
	v_or_b32_sdwa v114, v0, v114 dst_sel:DWORD dst_unused:UNUSED_PAD src0_sel:BYTE_0 src1_sel:DWORD
	v_or_b32_sdwa v118, v55, v118 dst_sel:WORD_1 dst_unused:UNUSED_PAD src0_sel:BYTE_0 src1_sel:DWORD
	v_add_u32_e32 v84, v65, v82
	v_or_b32_sdwa v114, v114, v118 dst_sel:DWORD dst_unused:UNUSED_PAD src0_sel:WORD_0 src1_sel:DWORD
	ds_write_b128 v84, v[114:117]
	v_lshlrev_b16_e32 v114, 8, v103
	v_lshlrev_b16_e32 v115, 8, v113
	v_or_b32_sdwa v114, v13, v114 dst_sel:DWORD dst_unused:UNUSED_PAD src0_sel:BYTE_0 src1_sel:DWORD
	v_or_b32_sdwa v115, v112, v115 dst_sel:WORD_1 dst_unused:UNUSED_PAD src0_sel:BYTE_0 src1_sel:DWORD
	v_or_b32_sdwa v117, v114, v115 dst_sel:DWORD dst_unused:UNUSED_PAD src0_sel:WORD_0 src1_sel:DWORD
	v_lshlrev_b16_e32 v114, 8, v100
	v_lshlrev_b16_e32 v115, 8, v102
	v_or_b32_sdwa v114, v12, v114 dst_sel:DWORD dst_unused:UNUSED_PAD src0_sel:BYTE_0 src1_sel:DWORD
	v_or_b32_sdwa v115, v101, v115 dst_sel:WORD_1 dst_unused:UNUSED_PAD src0_sel:BYTE_0 src1_sel:DWORD
	v_or_b32_sdwa v116, v114, v115 dst_sel:DWORD dst_unused:UNUSED_PAD src0_sel:WORD_0 src1_sel:DWORD
	;; [unrolled: 5-line block ×4, first 2 shown]
	v_sub_u32_e64 v81, s6, v65 clamp
	ds_write_b128 v84, v[114:117] offset:16
	v_or_b32_e32 v114, 32, v82
	v_min_u32_e32 v114, v81, v114
	v_add_u32_e32 v115, 32, v114
	v_and_b32_e32 v116, 0xfc0, v82
	v_min_u32_e32 v115, v81, v115
	v_and_b32_e32 v117, 32, v82
	v_min_u32_e32 v117, v81, v117
	v_sub_u32_e32 v119, v114, v116
	v_sub_u32_e32 v118, v115, v114
	v_sub_u32_e64 v118, v117, v118 clamp
	v_min_u32_e32 v119, v117, v119
	v_cmp_lt_u32_e32 vcc, v118, v119
	; wave barrier
	s_and_saveexec_b64 s[4:5], vcc
	s_cbranch_execz .LBB2701_11
; %bb.8:
	v_add_u32_e32 v128, v65, v116
	v_add3_u32 v129, v65, v114, v117
	s_mov_b64 s[6:7], 0
.LBB2701_9:                             ; =>This Inner Loop Header: Depth=1
	v_add_u32_e32 v130, v119, v118
	v_lshrrev_b32_e32 v130, 1, v130
	v_add_u32_e32 v131, v128, v130
	v_xad_u32 v132, v130, -1, v129
	ds_read_i8 v131, v131
	ds_read_i8 v132, v132
	v_add_u32_e32 v133, 1, v130
	s_waitcnt lgkmcnt(0)
	v_cmp_gt_i16_e32 vcc, v131, v132
	v_cndmask_b32_e32 v119, v119, v130, vcc
	v_cndmask_b32_e32 v118, v133, v118, vcc
	v_cmp_ge_u32_e32 vcc, v118, v119
	s_or_b64 s[6:7], vcc, s[6:7]
	s_andn2_b64 exec, exec, s[6:7]
	s_cbranch_execnz .LBB2701_9
; %bb.10:
	s_or_b64 exec, exec, s[6:7]
.LBB2701_11:
	s_or_b64 exec, exec, s[4:5]
	v_add_u32_e32 v117, v114, v117
	v_add_u32_e32 v116, v118, v116
	v_sub_u32_e32 v117, v117, v118
	v_cmp_le_u32_e32 vcc, v116, v114
	v_cmp_le_u32_e64 s[4:5], v117, v115
	s_or_b64 s[4:5], vcc, s[4:5]
	s_and_saveexec_b64 s[10:11], s[4:5]
	s_cbranch_execz .LBB2701_17
; %bb.12:
	v_cmp_lt_u32_e32 vcc, v116, v114
                                        ; implicit-def: $vgpr1
	s_and_saveexec_b64 s[4:5], vcc
	s_cbranch_execz .LBB2701_14
; %bb.13:
	v_add_u32_e32 v0, v65, v116
	ds_read_u8 v1, v0
.LBB2701_14:
	s_or_b64 exec, exec, s[4:5]
	v_cmp_ge_u32_e64 s[4:5], v117, v115
	v_cmp_lt_u32_e64 s[6:7], v117, v115
                                        ; implicit-def: $vgpr2
	s_and_saveexec_b64 s[14:15], s[6:7]
	s_cbranch_execz .LBB2701_16
; %bb.15:
	v_add_u32_e32 v0, v65, v117
	ds_read_u8 v2, v0
.LBB2701_16:
	s_or_b64 exec, exec, s[14:15]
	s_waitcnt lgkmcnt(0)
	v_cmp_le_i16_sdwa s[6:7], sext(v1), sext(v2) src0_sel:BYTE_0 src1_sel:BYTE_0
	s_and_b64 s[6:7], vcc, s[6:7]
	s_or_b64 vcc, s[4:5], s[6:7]
	v_cndmask_b32_e32 v3, v117, v116, vcc
	v_cndmask_b32_e32 v10, v115, v114, vcc
	v_add_u32_e32 v3, 1, v3
	v_add_u32_e32 v10, -1, v10
	v_min_u32_e32 v10, v3, v10
	v_add_u32_e32 v10, v65, v10
	ds_read_u8 v10, v10
	v_cndmask_b32_e32 v0, v2, v1, vcc
	s_waitcnt lgkmcnt(0)
	v_cndmask_b32_e32 v2, v10, v2, vcc
	v_cndmask_b32_e32 v1, v1, v10, vcc
	v_cndmask_b32_e32 v10, v3, v117, vcc
	v_cndmask_b32_e32 v3, v116, v3, vcc
	v_cmp_lt_u32_e64 s[4:5], v3, v114
	v_cmp_le_i16_sdwa s[6:7], sext(v1), sext(v2) src0_sel:BYTE_0 src1_sel:BYTE_0
	v_cmp_ge_u32_e32 vcc, v10, v115
	s_and_b64 s[4:5], s[4:5], s[6:7]
	s_or_b64 vcc, vcc, s[4:5]
	v_cndmask_b32_e32 v11, v10, v3, vcc
	v_cndmask_b32_e32 v12, v115, v114, vcc
	v_add_u32_e32 v11, 1, v11
	v_add_u32_e32 v12, -1, v12
	v_min_u32_e32 v12, v11, v12
	v_add_u32_e32 v12, v65, v12
	ds_read_u8 v12, v12
	v_cndmask_b32_e32 v54, v2, v1, vcc
	v_cndmask_b32_e32 v3, v3, v11, vcc
	v_cndmask_b32_e32 v10, v11, v10, vcc
	v_cmp_lt_u32_e64 s[4:5], v3, v114
	s_waitcnt lgkmcnt(0)
	v_cndmask_b32_e32 v2, v12, v2, vcc
	v_cndmask_b32_e32 v1, v1, v12, vcc
	v_cmp_le_i16_sdwa s[6:7], sext(v1), sext(v2) src0_sel:BYTE_0 src1_sel:BYTE_0
	v_cmp_ge_u32_e32 vcc, v10, v115
	s_and_b64 s[4:5], s[4:5], s[6:7]
	s_or_b64 vcc, vcc, s[4:5]
	v_cndmask_b32_e32 v11, v10, v3, vcc
	v_cndmask_b32_e32 v12, v115, v114, vcc
	v_add_u32_e32 v11, 1, v11
	v_add_u32_e32 v12, -1, v12
	v_min_u32_e32 v12, v11, v12
	v_add_u32_e32 v12, v65, v12
	ds_read_u8 v12, v12
	v_cndmask_b32_e32 v55, v2, v1, vcc
	v_cndmask_b32_e32 v3, v3, v11, vcc
	v_cndmask_b32_e32 v10, v11, v10, vcc
	v_cmp_lt_u32_e64 s[4:5], v3, v114
	s_waitcnt lgkmcnt(0)
	v_cndmask_b32_e32 v2, v12, v2, vcc
	v_cndmask_b32_e32 v1, v1, v12, vcc
	;; [unrolled: 18-line block ×14, first 2 shown]
	v_cmp_le_i16_sdwa s[6:7], sext(v12), sext(v87) src0_sel:BYTE_0 src1_sel:BYTE_0
	v_cmp_ge_u32_e32 vcc, v10, v115
	s_and_b64 s[4:5], s[4:5], s[6:7]
	s_or_b64 vcc, vcc, s[4:5]
	v_cndmask_b32_e32 v13, v10, v11, vcc
	v_cndmask_b32_e32 v86, v115, v114, vcc
	v_add_u32_e32 v13, 1, v13
	v_add_u32_e32 v86, -1, v86
	v_min_u32_e32 v86, v13, v86
	v_add_u32_e32 v86, v65, v86
	ds_read_u8 v86, v86
	v_cndmask_b32_e32 v85, v87, v12, vcc
	v_cndmask_b32_e32 v11, v11, v13, vcc
	v_cmp_lt_u32_e64 s[4:5], v11, v114
	s_waitcnt lgkmcnt(0)
	v_cndmask_b32_e32 v87, v86, v87, vcc
	v_cndmask_b32_e32 v12, v12, v86, vcc
	;; [unrolled: 1-line block ×3, first 2 shown]
	v_cmp_le_i16_sdwa s[6:7], sext(v12), sext(v87) src0_sel:BYTE_0 src1_sel:BYTE_0
	v_cmp_ge_u32_e32 vcc, v86, v115
	s_and_b64 s[4:5], s[4:5], s[6:7]
	s_or_b64 vcc, vcc, s[4:5]
	v_cndmask_b32_e32 v13, v86, v11, vcc
	v_cndmask_b32_e32 v96, v115, v114, vcc
	v_add_u32_e32 v13, 1, v13
	v_add_u32_e32 v96, -1, v96
	v_min_u32_e32 v96, v13, v96
	v_add_u32_e32 v96, v65, v96
	ds_read_u8 v96, v96
	v_cndmask_b32_e32 v10, v87, v12, vcc
	v_cndmask_b32_e32 v11, v11, v13, vcc
	v_cmp_lt_u32_e64 s[4:5], v11, v114
	s_waitcnt lgkmcnt(0)
	v_cndmask_b32_e32 v87, v96, v87, vcc
	v_cndmask_b32_e32 v12, v12, v96, vcc
	v_cndmask_b32_e32 v96, v13, v86, vcc
	v_cmp_le_i16_sdwa s[6:7], sext(v12), sext(v87) src0_sel:BYTE_0 src1_sel:BYTE_0
	v_cmp_ge_u32_e32 vcc, v96, v115
	s_and_b64 s[4:5], s[4:5], s[6:7]
	s_or_b64 vcc, vcc, s[4:5]
	v_cndmask_b32_e32 v13, v96, v11, vcc
	v_cndmask_b32_e32 v97, v115, v114, vcc
	v_add_u32_e32 v13, 1, v13
	v_add_u32_e32 v97, -1, v97
	v_min_u32_e32 v97, v13, v97
	v_add_u32_e32 v97, v65, v97
	ds_read_u8 v97, v97
	v_cndmask_b32_e32 v86, v87, v12, vcc
	v_cndmask_b32_e32 v11, v11, v13, vcc
	v_cndmask_b32_e32 v96, v13, v96, vcc
	v_cmp_lt_u32_e64 s[4:5], v11, v114
	s_waitcnt lgkmcnt(0)
	v_cndmask_b32_e32 v98, v97, v87, vcc
	v_cndmask_b32_e32 v12, v12, v97, vcc
	v_cmp_le_i16_sdwa s[6:7], sext(v12), sext(v98) src0_sel:BYTE_0 src1_sel:BYTE_0
	v_cmp_ge_u32_e32 vcc, v96, v115
	s_and_b64 s[4:5], s[4:5], s[6:7]
	s_or_b64 vcc, vcc, s[4:5]
	v_cndmask_b32_e32 v13, v96, v11, vcc
	v_cndmask_b32_e32 v97, v115, v114, vcc
	v_add_u32_e32 v13, 1, v13
	v_add_u32_e32 v97, -1, v97
	v_min_u32_e32 v97, v13, v97
	v_add_u32_e32 v97, v65, v97
	ds_read_u8 v97, v97
	v_cndmask_b32_e32 v87, v98, v12, vcc
	v_cndmask_b32_e32 v11, v11, v13, vcc
	v_cmp_lt_u32_e64 s[4:5], v11, v114
	s_waitcnt lgkmcnt(0)
	v_cndmask_b32_e32 v98, v97, v98, vcc
	v_cndmask_b32_e32 v12, v12, v97, vcc
	v_cndmask_b32_e32 v97, v13, v96, vcc
	v_cmp_le_i16_sdwa s[6:7], sext(v12), sext(v98) src0_sel:BYTE_0 src1_sel:BYTE_0
	v_cmp_ge_u32_e32 vcc, v97, v115
	s_and_b64 s[4:5], s[4:5], s[6:7]
	s_or_b64 vcc, vcc, s[4:5]
	v_cndmask_b32_e32 v13, v97, v11, vcc
	v_cndmask_b32_e32 v99, v115, v114, vcc
	v_add_u32_e32 v13, 1, v13
	v_add_u32_e32 v99, -1, v99
	v_min_u32_e32 v99, v13, v99
	v_add_u32_e32 v99, v65, v99
	ds_read_u8 v99, v99
	v_cndmask_b32_e32 v96, v98, v12, vcc
	v_cndmask_b32_e32 v97, v13, v97, vcc
	v_cndmask_b32_e32 v13, v11, v13, vcc
	v_cmp_lt_u32_e64 s[4:5], v13, v114
	s_waitcnt lgkmcnt(0)
	v_cndmask_b32_e32 v98, v99, v98, vcc
	v_cndmask_b32_e32 v12, v12, v99, vcc
	;; [unrolled: 36-line block ×3, first 2 shown]
	v_cmp_le_i16_sdwa s[6:7], sext(v12), sext(v102) src0_sel:BYTE_0 src1_sel:BYTE_0
	v_cmp_ge_u32_e32 vcc, v100, v115
	s_and_b64 s[4:5], s[4:5], s[6:7]
	s_or_b64 vcc, vcc, s[4:5]
	v_cndmask_b32_e32 v99, v100, v13, vcc
	v_cndmask_b32_e32 v101, v115, v114, vcc
	v_add_u32_e32 v99, 1, v99
	v_add_u32_e32 v101, -1, v101
	v_min_u32_e32 v101, v99, v101
	v_add_u32_e32 v101, v65, v101
	ds_read_u8 v101, v101
	v_cndmask_b32_e32 v98, v102, v12, vcc
	v_cndmask_b32_e32 v13, v13, v99, vcc
	;; [unrolled: 1-line block ×3, first 2 shown]
	v_cmp_lt_u32_e64 s[4:5], v13, v114
	s_waitcnt lgkmcnt(0)
	v_cndmask_b32_e32 v102, v101, v102, vcc
	v_cndmask_b32_e32 v12, v12, v101, vcc
	v_cmp_le_i16_sdwa s[6:7], sext(v12), sext(v102) src0_sel:BYTE_0 src1_sel:BYTE_0
	v_cmp_ge_u32_e32 vcc, v100, v115
	s_and_b64 s[4:5], s[4:5], s[6:7]
	s_or_b64 vcc, vcc, s[4:5]
	v_cndmask_b32_e32 v101, v100, v13, vcc
	v_cndmask_b32_e32 v103, v115, v114, vcc
	v_add_u32_e32 v101, 1, v101
	v_add_u32_e32 v103, -1, v103
	v_min_u32_e32 v103, v101, v103
	v_add_u32_e32 v103, v65, v103
	ds_read_u8 v103, v103
	v_cndmask_b32_e32 v99, v102, v12, vcc
	v_cndmask_b32_e32 v13, v13, v101, vcc
	;; [unrolled: 1-line block ×3, first 2 shown]
	v_cmp_lt_u32_e64 s[4:5], v13, v114
	s_waitcnt lgkmcnt(0)
	v_cndmask_b32_e32 v102, v103, v102, vcc
	v_cndmask_b32_e32 v103, v12, v103, vcc
	v_cmp_le_i16_sdwa s[6:7], sext(v103), sext(v102) src0_sel:BYTE_0 src1_sel:BYTE_0
	v_cmp_ge_u32_e32 vcc, v100, v115
	s_and_b64 s[4:5], s[4:5], s[6:7]
	s_or_b64 vcc, vcc, s[4:5]
	v_cndmask_b32_e32 v101, v100, v13, vcc
	v_cndmask_b32_e32 v112, v115, v114, vcc
	v_add_u32_e32 v101, 1, v101
	v_add_u32_e32 v112, -1, v112
	v_min_u32_e32 v112, v101, v112
	v_add_u32_e32 v112, v65, v112
	ds_read_u8 v112, v112
	v_cndmask_b32_e32 v12, v102, v103, vcc
	v_cndmask_b32_e32 v13, v13, v101, vcc
	v_cmp_lt_u32_e64 s[4:5], v13, v114
	s_waitcnt lgkmcnt(0)
	v_cndmask_b32_e32 v102, v112, v102, vcc
	v_cndmask_b32_e32 v103, v103, v112, vcc
	;; [unrolled: 1-line block ×3, first 2 shown]
	v_cmp_le_i16_sdwa s[6:7], sext(v103), sext(v102) src0_sel:BYTE_0 src1_sel:BYTE_0
	v_cmp_ge_u32_e32 vcc, v112, v115
	s_and_b64 s[4:5], s[4:5], s[6:7]
	s_or_b64 vcc, vcc, s[4:5]
	v_cndmask_b32_e32 v101, v112, v13, vcc
	v_cndmask_b32_e32 v113, v115, v114, vcc
	v_add_u32_e32 v101, 1, v101
	v_add_u32_e32 v113, -1, v113
	v_min_u32_e32 v113, v101, v113
	v_add_u32_e32 v113, v65, v113
	ds_read_u8 v113, v113
	v_cndmask_b32_e32 v100, v102, v103, vcc
	v_cndmask_b32_e32 v13, v13, v101, vcc
	v_cndmask_b32_e32 v112, v101, v112, vcc
	v_cmp_lt_u32_e64 s[4:5], v13, v114
	s_waitcnt lgkmcnt(0)
	v_cndmask_b32_e32 v102, v113, v102, vcc
	v_cndmask_b32_e32 v103, v103, v113, vcc
	v_cmp_le_i16_sdwa s[6:7], sext(v103), sext(v102) src0_sel:BYTE_0 src1_sel:BYTE_0
	v_cmp_ge_u32_e32 vcc, v112, v115
	s_and_b64 s[4:5], s[4:5], s[6:7]
	s_or_b64 vcc, vcc, s[4:5]
	v_cndmask_b32_e32 v113, v112, v13, vcc
	v_cndmask_b32_e32 v116, v115, v114, vcc
	v_add_u32_e32 v113, 1, v113
	v_add_u32_e32 v116, -1, v116
	v_min_u32_e32 v116, v113, v116
	v_add_u32_e32 v116, v65, v116
	ds_read_u8 v116, v116
	v_cndmask_b32_e32 v101, v102, v103, vcc
	v_cndmask_b32_e32 v13, v13, v113, vcc
	v_cndmask_b32_e32 v112, v113, v112, vcc
	v_cmp_lt_u32_e64 s[4:5], v13, v114
	s_waitcnt lgkmcnt(0)
	v_cndmask_b32_e32 v117, v116, v102, vcc
	v_cndmask_b32_e32 v103, v103, v116, vcc
	;; [unrolled: 18-line block ×4, first 2 shown]
	v_cmp_le_i16_sdwa s[6:7], sext(v118), sext(v117) src0_sel:BYTE_0 src1_sel:BYTE_0
	v_cmp_ge_u32_e32 vcc, v112, v115
	s_and_b64 s[4:5], s[4:5], s[6:7]
	s_or_b64 vcc, vcc, s[4:5]
	v_cndmask_b32_e32 v116, v112, v113, vcc
	v_cndmask_b32_e32 v119, v115, v114, vcc
	v_add_u32_e32 v116, 1, v116
	v_add_u32_e32 v119, -1, v119
	v_min_u32_e32 v119, v116, v119
	v_add_u32_e32 v119, v65, v119
	ds_read_u8 v119, v119
	v_cndmask_b32_e32 v103, v117, v118, vcc
	v_cndmask_b32_e32 v113, v113, v116, vcc
	v_cmp_lt_u32_e64 s[4:5], v113, v114
	s_waitcnt lgkmcnt(0)
	v_cndmask_b32_e32 v117, v119, v117, vcc
	v_cndmask_b32_e32 v118, v118, v119, vcc
	;; [unrolled: 1-line block ×3, first 2 shown]
	v_cmp_le_i16_sdwa s[6:7], sext(v118), sext(v117) src0_sel:BYTE_0 src1_sel:BYTE_0
	v_cmp_ge_u32_e32 vcc, v119, v115
	s_and_b64 s[4:5], s[4:5], s[6:7]
	s_or_b64 vcc, vcc, s[4:5]
	v_cndmask_b32_e32 v116, v119, v113, vcc
	v_cndmask_b32_e32 v128, v115, v114, vcc
	v_add_u32_e32 v116, 1, v116
	v_add_u32_e32 v128, -1, v128
	v_min_u32_e32 v128, v116, v128
	v_add_u32_e32 v128, v65, v128
	ds_read_u8 v128, v128
	v_cndmask_b32_e32 v119, v116, v119, vcc
	v_cndmask_b32_e32 v112, v117, v118, vcc
	v_cmp_lt_u32_e64 s[4:5], v119, v115
	v_cndmask_b32_e32 v113, v113, v116, vcc
	s_waitcnt lgkmcnt(0)
	v_cndmask_b32_e32 v118, v118, v128, vcc
	v_cndmask_b32_e32 v115, v128, v117, vcc
	v_cmp_lt_u32_e32 vcc, v113, v114
	v_min_i16_sdwa v113, sext(v118), sext(v115) dst_sel:DWORD dst_unused:UNUSED_PAD src0_sel:BYTE_0 src1_sel:BYTE_0
	v_cndmask_b32_e32 v113, v115, v113, vcc
	v_cndmask_b32_e64 v113, v118, v113, s[4:5]
.LBB2701_17:
	s_or_b64 exec, exec, s[10:11]
	v_lshlrev_b16_e32 v114, 8, v80
	v_lshlrev_b16_e32 v115, 8, v85
	v_or_b32_sdwa v114, v3, v114 dst_sel:DWORD dst_unused:UNUSED_PAD src0_sel:BYTE_0 src1_sel:DWORD
	v_or_b32_sdwa v115, v83, v115 dst_sel:WORD_1 dst_unused:UNUSED_PAD src0_sel:BYTE_0 src1_sel:DWORD
	v_or_b32_sdwa v117, v114, v115 dst_sel:DWORD dst_unused:UNUSED_PAD src0_sel:WORD_0 src1_sel:DWORD
	v_lshlrev_b16_e32 v114, 8, v69
	v_lshlrev_b16_e32 v115, 8, v71
	v_or_b32_sdwa v114, v2, v114 dst_sel:DWORD dst_unused:UNUSED_PAD src0_sel:BYTE_0 src1_sel:DWORD
	v_or_b32_sdwa v115, v70, v115 dst_sel:WORD_1 dst_unused:UNUSED_PAD src0_sel:BYTE_0 src1_sel:DWORD
	v_or_b32_sdwa v116, v114, v115 dst_sel:DWORD dst_unused:UNUSED_PAD src0_sel:WORD_0 src1_sel:DWORD
	;; [unrolled: 5-line block ×4, first 2 shown]
	; wave barrier
	ds_write_b128 v84, v[114:117]
	v_lshlrev_b16_e32 v114, 8, v103
	v_lshlrev_b16_e32 v115, 8, v113
	v_or_b32_sdwa v114, v13, v114 dst_sel:DWORD dst_unused:UNUSED_PAD src0_sel:BYTE_0 src1_sel:DWORD
	v_or_b32_sdwa v115, v112, v115 dst_sel:WORD_1 dst_unused:UNUSED_PAD src0_sel:BYTE_0 src1_sel:DWORD
	v_or_b32_sdwa v117, v114, v115 dst_sel:DWORD dst_unused:UNUSED_PAD src0_sel:WORD_0 src1_sel:DWORD
	v_lshlrev_b16_e32 v114, 8, v100
	v_lshlrev_b16_e32 v115, 8, v102
	v_or_b32_sdwa v114, v12, v114 dst_sel:DWORD dst_unused:UNUSED_PAD src0_sel:BYTE_0 src1_sel:DWORD
	v_or_b32_sdwa v115, v101, v115 dst_sel:WORD_1 dst_unused:UNUSED_PAD src0_sel:BYTE_0 src1_sel:DWORD
	v_or_b32_sdwa v116, v114, v115 dst_sel:DWORD dst_unused:UNUSED_PAD src0_sel:WORD_0 src1_sel:DWORD
	;; [unrolled: 5-line block ×4, first 2 shown]
	ds_write_b128 v84, v[114:117] offset:16
	v_and_b32_e32 v116, 0xf80, v82
	v_or_b32_e32 v114, 64, v116
	v_min_u32_e32 v114, v81, v114
	v_add_u32_e32 v115, 64, v114
	v_min_u32_e32 v115, v81, v115
	v_and_b32_e32 v117, 0x60, v82
	v_min_u32_e32 v117, v81, v117
	v_sub_u32_e32 v119, v114, v116
	v_sub_u32_e32 v118, v115, v114
	v_sub_u32_e64 v118, v117, v118 clamp
	v_min_u32_e32 v119, v117, v119
	v_cmp_lt_u32_e32 vcc, v118, v119
	; wave barrier
	s_and_saveexec_b64 s[4:5], vcc
	s_cbranch_execz .LBB2701_21
; %bb.18:
	v_add_u32_e32 v128, v65, v116
	v_add3_u32 v129, v65, v114, v117
	s_mov_b64 s[6:7], 0
.LBB2701_19:                            ; =>This Inner Loop Header: Depth=1
	v_add_u32_e32 v130, v119, v118
	v_lshrrev_b32_e32 v130, 1, v130
	v_add_u32_e32 v131, v128, v130
	v_xad_u32 v132, v130, -1, v129
	ds_read_i8 v131, v131
	ds_read_i8 v132, v132
	v_add_u32_e32 v133, 1, v130
	s_waitcnt lgkmcnt(0)
	v_cmp_gt_i16_e32 vcc, v131, v132
	v_cndmask_b32_e32 v119, v119, v130, vcc
	v_cndmask_b32_e32 v118, v133, v118, vcc
	v_cmp_ge_u32_e32 vcc, v118, v119
	s_or_b64 s[6:7], vcc, s[6:7]
	s_andn2_b64 exec, exec, s[6:7]
	s_cbranch_execnz .LBB2701_19
; %bb.20:
	s_or_b64 exec, exec, s[6:7]
.LBB2701_21:
	s_or_b64 exec, exec, s[4:5]
	v_add_u32_e32 v117, v114, v117
	v_add_u32_e32 v116, v118, v116
	v_sub_u32_e32 v117, v117, v118
	v_cmp_le_u32_e32 vcc, v116, v114
	v_cmp_le_u32_e64 s[4:5], v117, v115
	s_or_b64 s[4:5], vcc, s[4:5]
	s_and_saveexec_b64 s[10:11], s[4:5]
	s_cbranch_execz .LBB2701_27
; %bb.22:
	v_cmp_lt_u32_e32 vcc, v116, v114
                                        ; implicit-def: $vgpr1
	s_and_saveexec_b64 s[4:5], vcc
	s_cbranch_execz .LBB2701_24
; %bb.23:
	v_add_u32_e32 v0, v65, v116
	ds_read_u8 v1, v0
.LBB2701_24:
	s_or_b64 exec, exec, s[4:5]
	v_cmp_ge_u32_e64 s[4:5], v117, v115
	v_cmp_lt_u32_e64 s[6:7], v117, v115
                                        ; implicit-def: $vgpr2
	s_and_saveexec_b64 s[14:15], s[6:7]
	s_cbranch_execz .LBB2701_26
; %bb.25:
	v_add_u32_e32 v0, v65, v117
	ds_read_u8 v2, v0
.LBB2701_26:
	s_or_b64 exec, exec, s[14:15]
	s_waitcnt lgkmcnt(0)
	v_cmp_le_i16_sdwa s[6:7], sext(v1), sext(v2) src0_sel:BYTE_0 src1_sel:BYTE_0
	s_and_b64 s[6:7], vcc, s[6:7]
	s_or_b64 vcc, s[4:5], s[6:7]
	v_cndmask_b32_e32 v3, v117, v116, vcc
	v_cndmask_b32_e32 v10, v115, v114, vcc
	v_add_u32_e32 v3, 1, v3
	v_add_u32_e32 v10, -1, v10
	v_min_u32_e32 v10, v3, v10
	v_add_u32_e32 v10, v65, v10
	ds_read_u8 v10, v10
	v_cndmask_b32_e32 v0, v2, v1, vcc
	s_waitcnt lgkmcnt(0)
	v_cndmask_b32_e32 v2, v10, v2, vcc
	v_cndmask_b32_e32 v1, v1, v10, vcc
	;; [unrolled: 1-line block ×4, first 2 shown]
	v_cmp_lt_u32_e64 s[4:5], v3, v114
	v_cmp_le_i16_sdwa s[6:7], sext(v1), sext(v2) src0_sel:BYTE_0 src1_sel:BYTE_0
	v_cmp_ge_u32_e32 vcc, v10, v115
	s_and_b64 s[4:5], s[4:5], s[6:7]
	s_or_b64 vcc, vcc, s[4:5]
	v_cndmask_b32_e32 v11, v10, v3, vcc
	v_cndmask_b32_e32 v12, v115, v114, vcc
	v_add_u32_e32 v11, 1, v11
	v_add_u32_e32 v12, -1, v12
	v_min_u32_e32 v12, v11, v12
	v_add_u32_e32 v12, v65, v12
	ds_read_u8 v12, v12
	v_cndmask_b32_e32 v54, v2, v1, vcc
	v_cndmask_b32_e32 v3, v3, v11, vcc
	v_cndmask_b32_e32 v10, v11, v10, vcc
	v_cmp_lt_u32_e64 s[4:5], v3, v114
	s_waitcnt lgkmcnt(0)
	v_cndmask_b32_e32 v2, v12, v2, vcc
	v_cndmask_b32_e32 v1, v1, v12, vcc
	v_cmp_le_i16_sdwa s[6:7], sext(v1), sext(v2) src0_sel:BYTE_0 src1_sel:BYTE_0
	v_cmp_ge_u32_e32 vcc, v10, v115
	s_and_b64 s[4:5], s[4:5], s[6:7]
	s_or_b64 vcc, vcc, s[4:5]
	v_cndmask_b32_e32 v11, v10, v3, vcc
	v_cndmask_b32_e32 v12, v115, v114, vcc
	v_add_u32_e32 v11, 1, v11
	v_add_u32_e32 v12, -1, v12
	v_min_u32_e32 v12, v11, v12
	v_add_u32_e32 v12, v65, v12
	ds_read_u8 v12, v12
	v_cndmask_b32_e32 v55, v2, v1, vcc
	v_cndmask_b32_e32 v3, v3, v11, vcc
	v_cndmask_b32_e32 v10, v11, v10, vcc
	v_cmp_lt_u32_e64 s[4:5], v3, v114
	s_waitcnt lgkmcnt(0)
	v_cndmask_b32_e32 v2, v12, v2, vcc
	v_cndmask_b32_e32 v1, v1, v12, vcc
	v_cmp_le_i16_sdwa s[6:7], sext(v1), sext(v2) src0_sel:BYTE_0 src1_sel:BYTE_0
	v_cmp_ge_u32_e32 vcc, v10, v115
	s_and_b64 s[4:5], s[4:5], s[6:7]
	s_or_b64 vcc, vcc, s[4:5]
	v_cndmask_b32_e32 v11, v10, v3, vcc
	v_cndmask_b32_e32 v12, v115, v114, vcc
	v_add_u32_e32 v11, 1, v11
	v_add_u32_e32 v12, -1, v12
	v_min_u32_e32 v12, v11, v12
	v_add_u32_e32 v12, v65, v12
	ds_read_u8 v12, v12
	v_cndmask_b32_e32 v64, v2, v1, vcc
	v_cndmask_b32_e32 v3, v3, v11, vcc
	v_cndmask_b32_e32 v10, v11, v10, vcc
	v_cmp_lt_u32_e64 s[4:5], v3, v114
	s_waitcnt lgkmcnt(0)
	v_cndmask_b32_e32 v2, v12, v2, vcc
	v_cndmask_b32_e32 v12, v1, v12, vcc
	v_cmp_le_i16_sdwa s[6:7], sext(v12), sext(v2) src0_sel:BYTE_0 src1_sel:BYTE_0
	v_cmp_ge_u32_e32 vcc, v10, v115
	s_and_b64 s[4:5], s[4:5], s[6:7]
	s_or_b64 vcc, vcc, s[4:5]
	v_cndmask_b32_e32 v11, v10, v3, vcc
	v_cndmask_b32_e32 v13, v115, v114, vcc
	v_add_u32_e32 v11, 1, v11
	v_add_u32_e32 v13, -1, v13
	v_min_u32_e32 v13, v11, v13
	v_add_u32_e32 v13, v65, v13
	ds_read_u8 v13, v13
	v_cndmask_b32_e32 v1, v2, v12, vcc
	v_cndmask_b32_e32 v3, v3, v11, vcc
	v_cndmask_b32_e32 v10, v11, v10, vcc
	v_cmp_lt_u32_e64 s[4:5], v3, v114
	s_waitcnt lgkmcnt(0)
	v_cndmask_b32_e32 v2, v13, v2, vcc
	v_cndmask_b32_e32 v12, v12, v13, vcc
	v_cmp_le_i16_sdwa s[6:7], sext(v12), sext(v2) src0_sel:BYTE_0 src1_sel:BYTE_0
	v_cmp_ge_u32_e32 vcc, v10, v115
	s_and_b64 s[4:5], s[4:5], s[6:7]
	s_or_b64 vcc, vcc, s[4:5]
	v_cndmask_b32_e32 v11, v10, v3, vcc
	v_cndmask_b32_e32 v13, v115, v114, vcc
	v_add_u32_e32 v11, 1, v11
	v_add_u32_e32 v13, -1, v13
	v_min_u32_e32 v13, v11, v13
	v_add_u32_e32 v13, v65, v13
	ds_read_u8 v13, v13
	v_cndmask_b32_e32 v66, v2, v12, vcc
	v_cndmask_b32_e32 v3, v3, v11, vcc
	v_cndmask_b32_e32 v10, v11, v10, vcc
	v_cmp_lt_u32_e64 s[4:5], v3, v114
	s_waitcnt lgkmcnt(0)
	v_cndmask_b32_e32 v2, v13, v2, vcc
	v_cndmask_b32_e32 v12, v12, v13, vcc
	v_cmp_le_i16_sdwa s[6:7], sext(v12), sext(v2) src0_sel:BYTE_0 src1_sel:BYTE_0
	v_cmp_ge_u32_e32 vcc, v10, v115
	s_and_b64 s[4:5], s[4:5], s[6:7]
	s_or_b64 vcc, vcc, s[4:5]
	v_cndmask_b32_e32 v11, v10, v3, vcc
	v_cndmask_b32_e32 v13, v115, v114, vcc
	v_add_u32_e32 v11, 1, v11
	v_add_u32_e32 v13, -1, v13
	v_min_u32_e32 v13, v11, v13
	v_add_u32_e32 v13, v65, v13
	ds_read_u8 v13, v13
	v_cndmask_b32_e32 v67, v2, v12, vcc
	v_cndmask_b32_e32 v3, v3, v11, vcc
	v_cndmask_b32_e32 v10, v11, v10, vcc
	v_cmp_lt_u32_e64 s[4:5], v3, v114
	s_waitcnt lgkmcnt(0)
	v_cndmask_b32_e32 v2, v13, v2, vcc
	v_cndmask_b32_e32 v12, v12, v13, vcc
	v_cmp_le_i16_sdwa s[6:7], sext(v12), sext(v2) src0_sel:BYTE_0 src1_sel:BYTE_0
	v_cmp_ge_u32_e32 vcc, v10, v115
	s_and_b64 s[4:5], s[4:5], s[6:7]
	s_or_b64 vcc, vcc, s[4:5]
	v_cndmask_b32_e32 v11, v10, v3, vcc
	v_cndmask_b32_e32 v13, v115, v114, vcc
	v_add_u32_e32 v11, 1, v11
	v_add_u32_e32 v13, -1, v13
	v_min_u32_e32 v13, v11, v13
	v_add_u32_e32 v13, v65, v13
	ds_read_u8 v13, v13
	v_cndmask_b32_e32 v68, v2, v12, vcc
	v_cndmask_b32_e32 v3, v3, v11, vcc
	v_cndmask_b32_e32 v10, v11, v10, vcc
	v_cmp_lt_u32_e64 s[4:5], v3, v114
	s_waitcnt lgkmcnt(0)
	v_cndmask_b32_e32 v69, v13, v2, vcc
	v_cndmask_b32_e32 v12, v12, v13, vcc
	v_cmp_le_i16_sdwa s[6:7], sext(v12), sext(v69) src0_sel:BYTE_0 src1_sel:BYTE_0
	v_cmp_ge_u32_e32 vcc, v10, v115
	s_and_b64 s[4:5], s[4:5], s[6:7]
	s_or_b64 vcc, vcc, s[4:5]
	v_cndmask_b32_e32 v11, v10, v3, vcc
	v_cndmask_b32_e32 v13, v115, v114, vcc
	v_add_u32_e32 v11, 1, v11
	v_add_u32_e32 v13, -1, v13
	v_min_u32_e32 v13, v11, v13
	v_add_u32_e32 v13, v65, v13
	ds_read_u8 v13, v13
	v_cndmask_b32_e32 v2, v69, v12, vcc
	v_cndmask_b32_e32 v3, v3, v11, vcc
	v_cndmask_b32_e32 v10, v11, v10, vcc
	v_cmp_lt_u32_e64 s[4:5], v3, v114
	s_waitcnt lgkmcnt(0)
	v_cndmask_b32_e32 v70, v13, v69, vcc
	v_cndmask_b32_e32 v12, v12, v13, vcc
	v_cmp_le_i16_sdwa s[6:7], sext(v12), sext(v70) src0_sel:BYTE_0 src1_sel:BYTE_0
	v_cmp_ge_u32_e32 vcc, v10, v115
	s_and_b64 s[4:5], s[4:5], s[6:7]
	s_or_b64 vcc, vcc, s[4:5]
	v_cndmask_b32_e32 v11, v10, v3, vcc
	v_cndmask_b32_e32 v13, v115, v114, vcc
	v_add_u32_e32 v11, 1, v11
	v_add_u32_e32 v13, -1, v13
	v_min_u32_e32 v13, v11, v13
	v_add_u32_e32 v13, v65, v13
	ds_read_u8 v13, v13
	v_cndmask_b32_e32 v69, v70, v12, vcc
	v_cndmask_b32_e32 v3, v3, v11, vcc
	v_cndmask_b32_e32 v10, v11, v10, vcc
	v_cmp_lt_u32_e64 s[4:5], v3, v114
	s_waitcnt lgkmcnt(0)
	v_cndmask_b32_e32 v71, v13, v70, vcc
	v_cndmask_b32_e32 v12, v12, v13, vcc
	v_cmp_le_i16_sdwa s[6:7], sext(v12), sext(v71) src0_sel:BYTE_0 src1_sel:BYTE_0
	v_cmp_ge_u32_e32 vcc, v10, v115
	s_and_b64 s[4:5], s[4:5], s[6:7]
	s_or_b64 vcc, vcc, s[4:5]
	v_cndmask_b32_e32 v11, v10, v3, vcc
	v_cndmask_b32_e32 v13, v115, v114, vcc
	v_add_u32_e32 v11, 1, v11
	v_add_u32_e32 v13, -1, v13
	v_min_u32_e32 v13, v11, v13
	v_add_u32_e32 v13, v65, v13
	ds_read_u8 v13, v13
	v_cndmask_b32_e32 v70, v71, v12, vcc
	v_cndmask_b32_e32 v3, v3, v11, vcc
	v_cndmask_b32_e32 v10, v11, v10, vcc
	v_cmp_lt_u32_e64 s[4:5], v3, v114
	s_waitcnt lgkmcnt(0)
	v_cndmask_b32_e32 v80, v13, v71, vcc
	v_cndmask_b32_e32 v12, v12, v13, vcc
	v_cmp_le_i16_sdwa s[6:7], sext(v12), sext(v80) src0_sel:BYTE_0 src1_sel:BYTE_0
	v_cmp_ge_u32_e32 vcc, v10, v115
	s_and_b64 s[4:5], s[4:5], s[6:7]
	s_or_b64 vcc, vcc, s[4:5]
	v_cndmask_b32_e32 v11, v10, v3, vcc
	v_cndmask_b32_e32 v13, v115, v114, vcc
	v_add_u32_e32 v11, 1, v11
	v_add_u32_e32 v13, -1, v13
	v_min_u32_e32 v13, v11, v13
	v_add_u32_e32 v13, v65, v13
	ds_read_u8 v13, v13
	v_cndmask_b32_e32 v71, v80, v12, vcc
	v_cndmask_b32_e32 v10, v11, v10, vcc
	v_cndmask_b32_e32 v11, v3, v11, vcc
	v_cmp_lt_u32_e64 s[4:5], v11, v114
	s_waitcnt lgkmcnt(0)
	v_cndmask_b32_e32 v80, v13, v80, vcc
	v_cndmask_b32_e32 v12, v12, v13, vcc
	v_cmp_le_i16_sdwa s[6:7], sext(v12), sext(v80) src0_sel:BYTE_0 src1_sel:BYTE_0
	v_cmp_ge_u32_e32 vcc, v10, v115
	s_and_b64 s[4:5], s[4:5], s[6:7]
	s_or_b64 vcc, vcc, s[4:5]
	v_cndmask_b32_e32 v13, v10, v11, vcc
	v_cndmask_b32_e32 v83, v115, v114, vcc
	v_add_u32_e32 v13, 1, v13
	v_add_u32_e32 v83, -1, v83
	v_min_u32_e32 v83, v13, v83
	v_add_u32_e32 v83, v65, v83
	ds_read_u8 v83, v83
	v_cndmask_b32_e32 v3, v80, v12, vcc
	v_cndmask_b32_e32 v11, v11, v13, vcc
	v_cndmask_b32_e32 v10, v13, v10, vcc
	v_cmp_lt_u32_e64 s[4:5], v11, v114
	s_waitcnt lgkmcnt(0)
	v_cndmask_b32_e32 v85, v83, v80, vcc
	v_cndmask_b32_e32 v12, v12, v83, vcc
	v_cmp_le_i16_sdwa s[6:7], sext(v12), sext(v85) src0_sel:BYTE_0 src1_sel:BYTE_0
	v_cmp_ge_u32_e32 vcc, v10, v115
	s_and_b64 s[4:5], s[4:5], s[6:7]
	s_or_b64 vcc, vcc, s[4:5]
	v_cndmask_b32_e32 v13, v10, v11, vcc
	v_cndmask_b32_e32 v83, v115, v114, vcc
	v_add_u32_e32 v13, 1, v13
	v_add_u32_e32 v83, -1, v83
	v_min_u32_e32 v83, v13, v83
	v_add_u32_e32 v83, v65, v83
	ds_read_u8 v83, v83
	v_cndmask_b32_e32 v80, v85, v12, vcc
	v_cndmask_b32_e32 v11, v11, v13, vcc
	v_cndmask_b32_e32 v10, v13, v10, vcc
	v_cmp_lt_u32_e64 s[4:5], v11, v114
	s_waitcnt lgkmcnt(0)
	v_cndmask_b32_e32 v85, v83, v85, vcc
	v_cndmask_b32_e32 v12, v12, v83, vcc
	v_cmp_le_i16_sdwa s[6:7], sext(v12), sext(v85) src0_sel:BYTE_0 src1_sel:BYTE_0
	v_cmp_ge_u32_e32 vcc, v10, v115
	s_and_b64 s[4:5], s[4:5], s[6:7]
	s_or_b64 vcc, vcc, s[4:5]
	v_cndmask_b32_e32 v13, v10, v11, vcc
	v_cndmask_b32_e32 v86, v115, v114, vcc
	v_add_u32_e32 v13, 1, v13
	v_add_u32_e32 v86, -1, v86
	v_min_u32_e32 v86, v13, v86
	v_add_u32_e32 v86, v65, v86
	ds_read_u8 v86, v86
	v_cndmask_b32_e32 v83, v85, v12, vcc
	v_cndmask_b32_e32 v11, v11, v13, vcc
	v_cndmask_b32_e32 v10, v13, v10, vcc
	v_cmp_lt_u32_e64 s[4:5], v11, v114
	s_waitcnt lgkmcnt(0)
	v_cndmask_b32_e32 v87, v86, v85, vcc
	v_cndmask_b32_e32 v12, v12, v86, vcc
	v_cmp_le_i16_sdwa s[6:7], sext(v12), sext(v87) src0_sel:BYTE_0 src1_sel:BYTE_0
	v_cmp_ge_u32_e32 vcc, v10, v115
	s_and_b64 s[4:5], s[4:5], s[6:7]
	s_or_b64 vcc, vcc, s[4:5]
	v_cndmask_b32_e32 v13, v10, v11, vcc
	v_cndmask_b32_e32 v86, v115, v114, vcc
	v_add_u32_e32 v13, 1, v13
	v_add_u32_e32 v86, -1, v86
	v_min_u32_e32 v86, v13, v86
	v_add_u32_e32 v86, v65, v86
	ds_read_u8 v86, v86
	v_cndmask_b32_e32 v85, v87, v12, vcc
	v_cndmask_b32_e32 v11, v11, v13, vcc
	v_cmp_lt_u32_e64 s[4:5], v11, v114
	s_waitcnt lgkmcnt(0)
	v_cndmask_b32_e32 v87, v86, v87, vcc
	v_cndmask_b32_e32 v12, v12, v86, vcc
	;; [unrolled: 1-line block ×3, first 2 shown]
	v_cmp_le_i16_sdwa s[6:7], sext(v12), sext(v87) src0_sel:BYTE_0 src1_sel:BYTE_0
	v_cmp_ge_u32_e32 vcc, v86, v115
	s_and_b64 s[4:5], s[4:5], s[6:7]
	s_or_b64 vcc, vcc, s[4:5]
	v_cndmask_b32_e32 v13, v86, v11, vcc
	v_cndmask_b32_e32 v96, v115, v114, vcc
	v_add_u32_e32 v13, 1, v13
	v_add_u32_e32 v96, -1, v96
	v_min_u32_e32 v96, v13, v96
	v_add_u32_e32 v96, v65, v96
	ds_read_u8 v96, v96
	v_cndmask_b32_e32 v10, v87, v12, vcc
	v_cndmask_b32_e32 v11, v11, v13, vcc
	v_cmp_lt_u32_e64 s[4:5], v11, v114
	s_waitcnt lgkmcnt(0)
	v_cndmask_b32_e32 v87, v96, v87, vcc
	v_cndmask_b32_e32 v12, v12, v96, vcc
	v_cndmask_b32_e32 v96, v13, v86, vcc
	v_cmp_le_i16_sdwa s[6:7], sext(v12), sext(v87) src0_sel:BYTE_0 src1_sel:BYTE_0
	v_cmp_ge_u32_e32 vcc, v96, v115
	s_and_b64 s[4:5], s[4:5], s[6:7]
	s_or_b64 vcc, vcc, s[4:5]
	v_cndmask_b32_e32 v13, v96, v11, vcc
	v_cndmask_b32_e32 v97, v115, v114, vcc
	v_add_u32_e32 v13, 1, v13
	v_add_u32_e32 v97, -1, v97
	v_min_u32_e32 v97, v13, v97
	v_add_u32_e32 v97, v65, v97
	ds_read_u8 v97, v97
	v_cndmask_b32_e32 v86, v87, v12, vcc
	v_cndmask_b32_e32 v11, v11, v13, vcc
	v_cndmask_b32_e32 v96, v13, v96, vcc
	v_cmp_lt_u32_e64 s[4:5], v11, v114
	s_waitcnt lgkmcnt(0)
	v_cndmask_b32_e32 v98, v97, v87, vcc
	v_cndmask_b32_e32 v12, v12, v97, vcc
	v_cmp_le_i16_sdwa s[6:7], sext(v12), sext(v98) src0_sel:BYTE_0 src1_sel:BYTE_0
	v_cmp_ge_u32_e32 vcc, v96, v115
	s_and_b64 s[4:5], s[4:5], s[6:7]
	s_or_b64 vcc, vcc, s[4:5]
	v_cndmask_b32_e32 v13, v96, v11, vcc
	v_cndmask_b32_e32 v97, v115, v114, vcc
	v_add_u32_e32 v13, 1, v13
	v_add_u32_e32 v97, -1, v97
	v_min_u32_e32 v97, v13, v97
	v_add_u32_e32 v97, v65, v97
	ds_read_u8 v97, v97
	v_cndmask_b32_e32 v87, v98, v12, vcc
	v_cndmask_b32_e32 v11, v11, v13, vcc
	v_cmp_lt_u32_e64 s[4:5], v11, v114
	s_waitcnt lgkmcnt(0)
	v_cndmask_b32_e32 v98, v97, v98, vcc
	v_cndmask_b32_e32 v12, v12, v97, vcc
	v_cndmask_b32_e32 v97, v13, v96, vcc
	v_cmp_le_i16_sdwa s[6:7], sext(v12), sext(v98) src0_sel:BYTE_0 src1_sel:BYTE_0
	v_cmp_ge_u32_e32 vcc, v97, v115
	s_and_b64 s[4:5], s[4:5], s[6:7]
	s_or_b64 vcc, vcc, s[4:5]
	v_cndmask_b32_e32 v13, v97, v11, vcc
	v_cndmask_b32_e32 v99, v115, v114, vcc
	v_add_u32_e32 v13, 1, v13
	v_add_u32_e32 v99, -1, v99
	v_min_u32_e32 v99, v13, v99
	v_add_u32_e32 v99, v65, v99
	ds_read_u8 v99, v99
	v_cndmask_b32_e32 v96, v98, v12, vcc
	v_cndmask_b32_e32 v97, v13, v97, vcc
	v_cndmask_b32_e32 v13, v11, v13, vcc
	v_cmp_lt_u32_e64 s[4:5], v13, v114
	s_waitcnt lgkmcnt(0)
	v_cndmask_b32_e32 v98, v99, v98, vcc
	v_cndmask_b32_e32 v12, v12, v99, vcc
	;; [unrolled: 36-line block ×3, first 2 shown]
	v_cmp_le_i16_sdwa s[6:7], sext(v12), sext(v102) src0_sel:BYTE_0 src1_sel:BYTE_0
	v_cmp_ge_u32_e32 vcc, v100, v115
	s_and_b64 s[4:5], s[4:5], s[6:7]
	s_or_b64 vcc, vcc, s[4:5]
	v_cndmask_b32_e32 v99, v100, v13, vcc
	v_cndmask_b32_e32 v101, v115, v114, vcc
	v_add_u32_e32 v99, 1, v99
	v_add_u32_e32 v101, -1, v101
	v_min_u32_e32 v101, v99, v101
	v_add_u32_e32 v101, v65, v101
	ds_read_u8 v101, v101
	v_cndmask_b32_e32 v98, v102, v12, vcc
	v_cndmask_b32_e32 v13, v13, v99, vcc
	;; [unrolled: 1-line block ×3, first 2 shown]
	v_cmp_lt_u32_e64 s[4:5], v13, v114
	s_waitcnt lgkmcnt(0)
	v_cndmask_b32_e32 v102, v101, v102, vcc
	v_cndmask_b32_e32 v12, v12, v101, vcc
	v_cmp_le_i16_sdwa s[6:7], sext(v12), sext(v102) src0_sel:BYTE_0 src1_sel:BYTE_0
	v_cmp_ge_u32_e32 vcc, v100, v115
	s_and_b64 s[4:5], s[4:5], s[6:7]
	s_or_b64 vcc, vcc, s[4:5]
	v_cndmask_b32_e32 v101, v100, v13, vcc
	v_cndmask_b32_e32 v103, v115, v114, vcc
	v_add_u32_e32 v101, 1, v101
	v_add_u32_e32 v103, -1, v103
	v_min_u32_e32 v103, v101, v103
	v_add_u32_e32 v103, v65, v103
	ds_read_u8 v103, v103
	v_cndmask_b32_e32 v99, v102, v12, vcc
	v_cndmask_b32_e32 v13, v13, v101, vcc
	;; [unrolled: 1-line block ×3, first 2 shown]
	v_cmp_lt_u32_e64 s[4:5], v13, v114
	s_waitcnt lgkmcnt(0)
	v_cndmask_b32_e32 v102, v103, v102, vcc
	v_cndmask_b32_e32 v103, v12, v103, vcc
	v_cmp_le_i16_sdwa s[6:7], sext(v103), sext(v102) src0_sel:BYTE_0 src1_sel:BYTE_0
	v_cmp_ge_u32_e32 vcc, v100, v115
	s_and_b64 s[4:5], s[4:5], s[6:7]
	s_or_b64 vcc, vcc, s[4:5]
	v_cndmask_b32_e32 v101, v100, v13, vcc
	v_cndmask_b32_e32 v112, v115, v114, vcc
	v_add_u32_e32 v101, 1, v101
	v_add_u32_e32 v112, -1, v112
	v_min_u32_e32 v112, v101, v112
	v_add_u32_e32 v112, v65, v112
	ds_read_u8 v112, v112
	v_cndmask_b32_e32 v12, v102, v103, vcc
	v_cndmask_b32_e32 v13, v13, v101, vcc
	v_cmp_lt_u32_e64 s[4:5], v13, v114
	s_waitcnt lgkmcnt(0)
	v_cndmask_b32_e32 v102, v112, v102, vcc
	v_cndmask_b32_e32 v103, v103, v112, vcc
	;; [unrolled: 1-line block ×3, first 2 shown]
	v_cmp_le_i16_sdwa s[6:7], sext(v103), sext(v102) src0_sel:BYTE_0 src1_sel:BYTE_0
	v_cmp_ge_u32_e32 vcc, v112, v115
	s_and_b64 s[4:5], s[4:5], s[6:7]
	s_or_b64 vcc, vcc, s[4:5]
	v_cndmask_b32_e32 v101, v112, v13, vcc
	v_cndmask_b32_e32 v113, v115, v114, vcc
	v_add_u32_e32 v101, 1, v101
	v_add_u32_e32 v113, -1, v113
	v_min_u32_e32 v113, v101, v113
	v_add_u32_e32 v113, v65, v113
	ds_read_u8 v113, v113
	v_cndmask_b32_e32 v100, v102, v103, vcc
	v_cndmask_b32_e32 v13, v13, v101, vcc
	v_cndmask_b32_e32 v112, v101, v112, vcc
	v_cmp_lt_u32_e64 s[4:5], v13, v114
	s_waitcnt lgkmcnt(0)
	v_cndmask_b32_e32 v102, v113, v102, vcc
	v_cndmask_b32_e32 v103, v103, v113, vcc
	v_cmp_le_i16_sdwa s[6:7], sext(v103), sext(v102) src0_sel:BYTE_0 src1_sel:BYTE_0
	v_cmp_ge_u32_e32 vcc, v112, v115
	s_and_b64 s[4:5], s[4:5], s[6:7]
	s_or_b64 vcc, vcc, s[4:5]
	v_cndmask_b32_e32 v113, v112, v13, vcc
	v_cndmask_b32_e32 v116, v115, v114, vcc
	v_add_u32_e32 v113, 1, v113
	v_add_u32_e32 v116, -1, v116
	v_min_u32_e32 v116, v113, v116
	v_add_u32_e32 v116, v65, v116
	ds_read_u8 v116, v116
	v_cndmask_b32_e32 v101, v102, v103, vcc
	v_cndmask_b32_e32 v13, v13, v113, vcc
	v_cndmask_b32_e32 v112, v113, v112, vcc
	v_cmp_lt_u32_e64 s[4:5], v13, v114
	s_waitcnt lgkmcnt(0)
	v_cndmask_b32_e32 v117, v116, v102, vcc
	v_cndmask_b32_e32 v103, v103, v116, vcc
	;; [unrolled: 18-line block ×4, first 2 shown]
	v_cmp_le_i16_sdwa s[6:7], sext(v118), sext(v117) src0_sel:BYTE_0 src1_sel:BYTE_0
	v_cmp_ge_u32_e32 vcc, v112, v115
	s_and_b64 s[4:5], s[4:5], s[6:7]
	s_or_b64 vcc, vcc, s[4:5]
	v_cndmask_b32_e32 v116, v112, v113, vcc
	v_cndmask_b32_e32 v119, v115, v114, vcc
	v_add_u32_e32 v116, 1, v116
	v_add_u32_e32 v119, -1, v119
	v_min_u32_e32 v119, v116, v119
	v_add_u32_e32 v119, v65, v119
	ds_read_u8 v119, v119
	v_cndmask_b32_e32 v103, v117, v118, vcc
	v_cndmask_b32_e32 v113, v113, v116, vcc
	v_cmp_lt_u32_e64 s[4:5], v113, v114
	s_waitcnt lgkmcnt(0)
	v_cndmask_b32_e32 v117, v119, v117, vcc
	v_cndmask_b32_e32 v118, v118, v119, vcc
	;; [unrolled: 1-line block ×3, first 2 shown]
	v_cmp_le_i16_sdwa s[6:7], sext(v118), sext(v117) src0_sel:BYTE_0 src1_sel:BYTE_0
	v_cmp_ge_u32_e32 vcc, v119, v115
	s_and_b64 s[4:5], s[4:5], s[6:7]
	s_or_b64 vcc, vcc, s[4:5]
	v_cndmask_b32_e32 v116, v119, v113, vcc
	v_cndmask_b32_e32 v128, v115, v114, vcc
	v_add_u32_e32 v116, 1, v116
	v_add_u32_e32 v128, -1, v128
	v_min_u32_e32 v128, v116, v128
	v_add_u32_e32 v128, v65, v128
	ds_read_u8 v128, v128
	v_cndmask_b32_e32 v119, v116, v119, vcc
	v_cndmask_b32_e32 v112, v117, v118, vcc
	v_cmp_lt_u32_e64 s[4:5], v119, v115
	v_cndmask_b32_e32 v113, v113, v116, vcc
	s_waitcnt lgkmcnt(0)
	v_cndmask_b32_e32 v118, v118, v128, vcc
	v_cndmask_b32_e32 v115, v128, v117, vcc
	v_cmp_lt_u32_e32 vcc, v113, v114
	v_min_i16_sdwa v113, sext(v118), sext(v115) dst_sel:DWORD dst_unused:UNUSED_PAD src0_sel:BYTE_0 src1_sel:BYTE_0
	v_cndmask_b32_e32 v113, v115, v113, vcc
	v_cndmask_b32_e64 v113, v118, v113, s[4:5]
.LBB2701_27:
	s_or_b64 exec, exec, s[10:11]
	v_lshlrev_b16_e32 v114, 8, v80
	v_lshlrev_b16_e32 v115, 8, v85
	v_or_b32_sdwa v114, v3, v114 dst_sel:DWORD dst_unused:UNUSED_PAD src0_sel:BYTE_0 src1_sel:DWORD
	v_or_b32_sdwa v115, v83, v115 dst_sel:WORD_1 dst_unused:UNUSED_PAD src0_sel:BYTE_0 src1_sel:DWORD
	v_or_b32_sdwa v117, v114, v115 dst_sel:DWORD dst_unused:UNUSED_PAD src0_sel:WORD_0 src1_sel:DWORD
	v_lshlrev_b16_e32 v114, 8, v69
	v_lshlrev_b16_e32 v115, 8, v71
	v_or_b32_sdwa v114, v2, v114 dst_sel:DWORD dst_unused:UNUSED_PAD src0_sel:BYTE_0 src1_sel:DWORD
	v_or_b32_sdwa v115, v70, v115 dst_sel:WORD_1 dst_unused:UNUSED_PAD src0_sel:BYTE_0 src1_sel:DWORD
	v_or_b32_sdwa v116, v114, v115 dst_sel:DWORD dst_unused:UNUSED_PAD src0_sel:WORD_0 src1_sel:DWORD
	v_lshlrev_b16_e32 v114, 8, v66
	v_lshlrev_b16_e32 v115, 8, v68
	v_or_b32_sdwa v114, v1, v114 dst_sel:DWORD dst_unused:UNUSED_PAD src0_sel:BYTE_0 src1_sel:DWORD
	v_or_b32_sdwa v115, v67, v115 dst_sel:WORD_1 dst_unused:UNUSED_PAD src0_sel:BYTE_0 src1_sel:DWORD
	v_or_b32_sdwa v115, v114, v115 dst_sel:DWORD dst_unused:UNUSED_PAD src0_sel:WORD_0 src1_sel:DWORD
	v_lshlrev_b16_e32 v114, 8, v54
	v_lshlrev_b16_e32 v118, 8, v64
	v_or_b32_sdwa v114, v0, v114 dst_sel:DWORD dst_unused:UNUSED_PAD src0_sel:BYTE_0 src1_sel:DWORD
	v_or_b32_sdwa v118, v55, v118 dst_sel:WORD_1 dst_unused:UNUSED_PAD src0_sel:BYTE_0 src1_sel:DWORD
	v_or_b32_sdwa v114, v114, v118 dst_sel:DWORD dst_unused:UNUSED_PAD src0_sel:WORD_0 src1_sel:DWORD
	; wave barrier
	ds_write_b128 v84, v[114:117]
	v_lshlrev_b16_e32 v114, 8, v103
	v_lshlrev_b16_e32 v115, 8, v113
	v_or_b32_sdwa v114, v13, v114 dst_sel:DWORD dst_unused:UNUSED_PAD src0_sel:BYTE_0 src1_sel:DWORD
	v_or_b32_sdwa v115, v112, v115 dst_sel:WORD_1 dst_unused:UNUSED_PAD src0_sel:BYTE_0 src1_sel:DWORD
	v_or_b32_sdwa v117, v114, v115 dst_sel:DWORD dst_unused:UNUSED_PAD src0_sel:WORD_0 src1_sel:DWORD
	v_lshlrev_b16_e32 v114, 8, v100
	v_lshlrev_b16_e32 v115, 8, v102
	v_or_b32_sdwa v114, v12, v114 dst_sel:DWORD dst_unused:UNUSED_PAD src0_sel:BYTE_0 src1_sel:DWORD
	v_or_b32_sdwa v115, v101, v115 dst_sel:WORD_1 dst_unused:UNUSED_PAD src0_sel:BYTE_0 src1_sel:DWORD
	v_or_b32_sdwa v116, v114, v115 dst_sel:DWORD dst_unused:UNUSED_PAD src0_sel:WORD_0 src1_sel:DWORD
	;; [unrolled: 5-line block ×4, first 2 shown]
	ds_write_b128 v84, v[114:117] offset:16
	v_and_b32_e32 v116, 0xf00, v82
	v_or_b32_e32 v114, 0x80, v116
	v_min_u32_e32 v114, v81, v114
	v_add_u32_e32 v115, 0x80, v114
	v_min_u32_e32 v115, v81, v115
	v_and_b32_e32 v117, 0xe0, v82
	v_min_u32_e32 v117, v81, v117
	v_sub_u32_e32 v119, v114, v116
	v_sub_u32_e32 v118, v115, v114
	v_sub_u32_e64 v118, v117, v118 clamp
	v_min_u32_e32 v119, v117, v119
	v_cmp_lt_u32_e32 vcc, v118, v119
	; wave barrier
	s_and_saveexec_b64 s[4:5], vcc
	s_cbranch_execz .LBB2701_31
; %bb.28:
	v_add_u32_e32 v128, v65, v116
	v_add3_u32 v129, v65, v114, v117
	s_mov_b64 s[6:7], 0
.LBB2701_29:                            ; =>This Inner Loop Header: Depth=1
	v_add_u32_e32 v130, v119, v118
	v_lshrrev_b32_e32 v130, 1, v130
	v_add_u32_e32 v131, v128, v130
	v_xad_u32 v132, v130, -1, v129
	ds_read_i8 v131, v131
	ds_read_i8 v132, v132
	v_add_u32_e32 v133, 1, v130
	s_waitcnt lgkmcnt(0)
	v_cmp_gt_i16_e32 vcc, v131, v132
	v_cndmask_b32_e32 v119, v119, v130, vcc
	v_cndmask_b32_e32 v118, v133, v118, vcc
	v_cmp_ge_u32_e32 vcc, v118, v119
	s_or_b64 s[6:7], vcc, s[6:7]
	s_andn2_b64 exec, exec, s[6:7]
	s_cbranch_execnz .LBB2701_29
; %bb.30:
	s_or_b64 exec, exec, s[6:7]
.LBB2701_31:
	s_or_b64 exec, exec, s[4:5]
	v_add_u32_e32 v117, v114, v117
	v_add_u32_e32 v116, v118, v116
	v_sub_u32_e32 v117, v117, v118
	v_cmp_le_u32_e32 vcc, v116, v114
	v_cmp_le_u32_e64 s[4:5], v117, v115
	s_or_b64 s[4:5], vcc, s[4:5]
	s_and_saveexec_b64 s[10:11], s[4:5]
	s_cbranch_execz .LBB2701_37
; %bb.32:
	v_cmp_lt_u32_e32 vcc, v116, v114
                                        ; implicit-def: $vgpr1
	s_and_saveexec_b64 s[4:5], vcc
	s_cbranch_execz .LBB2701_34
; %bb.33:
	v_add_u32_e32 v0, v65, v116
	ds_read_u8 v1, v0
.LBB2701_34:
	s_or_b64 exec, exec, s[4:5]
	v_cmp_ge_u32_e64 s[4:5], v117, v115
	v_cmp_lt_u32_e64 s[6:7], v117, v115
                                        ; implicit-def: $vgpr2
	s_and_saveexec_b64 s[14:15], s[6:7]
	s_cbranch_execz .LBB2701_36
; %bb.35:
	v_add_u32_e32 v0, v65, v117
	ds_read_u8 v2, v0
.LBB2701_36:
	s_or_b64 exec, exec, s[14:15]
	s_waitcnt lgkmcnt(0)
	v_cmp_le_i16_sdwa s[6:7], sext(v1), sext(v2) src0_sel:BYTE_0 src1_sel:BYTE_0
	s_and_b64 s[6:7], vcc, s[6:7]
	s_or_b64 vcc, s[4:5], s[6:7]
	v_cndmask_b32_e32 v3, v117, v116, vcc
	v_cndmask_b32_e32 v10, v115, v114, vcc
	v_add_u32_e32 v3, 1, v3
	v_add_u32_e32 v10, -1, v10
	v_min_u32_e32 v10, v3, v10
	v_add_u32_e32 v10, v65, v10
	ds_read_u8 v10, v10
	v_cndmask_b32_e32 v0, v2, v1, vcc
	s_waitcnt lgkmcnt(0)
	v_cndmask_b32_e32 v2, v10, v2, vcc
	v_cndmask_b32_e32 v1, v1, v10, vcc
	;; [unrolled: 1-line block ×4, first 2 shown]
	v_cmp_lt_u32_e64 s[4:5], v3, v114
	v_cmp_le_i16_sdwa s[6:7], sext(v1), sext(v2) src0_sel:BYTE_0 src1_sel:BYTE_0
	v_cmp_ge_u32_e32 vcc, v10, v115
	s_and_b64 s[4:5], s[4:5], s[6:7]
	s_or_b64 vcc, vcc, s[4:5]
	v_cndmask_b32_e32 v11, v10, v3, vcc
	v_cndmask_b32_e32 v12, v115, v114, vcc
	v_add_u32_e32 v11, 1, v11
	v_add_u32_e32 v12, -1, v12
	v_min_u32_e32 v12, v11, v12
	v_add_u32_e32 v12, v65, v12
	ds_read_u8 v12, v12
	v_cndmask_b32_e32 v54, v2, v1, vcc
	v_cndmask_b32_e32 v3, v3, v11, vcc
	v_cndmask_b32_e32 v10, v11, v10, vcc
	v_cmp_lt_u32_e64 s[4:5], v3, v114
	s_waitcnt lgkmcnt(0)
	v_cndmask_b32_e32 v2, v12, v2, vcc
	v_cndmask_b32_e32 v1, v1, v12, vcc
	v_cmp_le_i16_sdwa s[6:7], sext(v1), sext(v2) src0_sel:BYTE_0 src1_sel:BYTE_0
	v_cmp_ge_u32_e32 vcc, v10, v115
	s_and_b64 s[4:5], s[4:5], s[6:7]
	s_or_b64 vcc, vcc, s[4:5]
	v_cndmask_b32_e32 v11, v10, v3, vcc
	v_cndmask_b32_e32 v12, v115, v114, vcc
	v_add_u32_e32 v11, 1, v11
	v_add_u32_e32 v12, -1, v12
	v_min_u32_e32 v12, v11, v12
	v_add_u32_e32 v12, v65, v12
	ds_read_u8 v12, v12
	v_cndmask_b32_e32 v55, v2, v1, vcc
	v_cndmask_b32_e32 v3, v3, v11, vcc
	v_cndmask_b32_e32 v10, v11, v10, vcc
	v_cmp_lt_u32_e64 s[4:5], v3, v114
	s_waitcnt lgkmcnt(0)
	v_cndmask_b32_e32 v2, v12, v2, vcc
	v_cndmask_b32_e32 v1, v1, v12, vcc
	;; [unrolled: 18-line block ×14, first 2 shown]
	v_cmp_le_i16_sdwa s[6:7], sext(v12), sext(v87) src0_sel:BYTE_0 src1_sel:BYTE_0
	v_cmp_ge_u32_e32 vcc, v10, v115
	s_and_b64 s[4:5], s[4:5], s[6:7]
	s_or_b64 vcc, vcc, s[4:5]
	v_cndmask_b32_e32 v13, v10, v11, vcc
	v_cndmask_b32_e32 v86, v115, v114, vcc
	v_add_u32_e32 v13, 1, v13
	v_add_u32_e32 v86, -1, v86
	v_min_u32_e32 v86, v13, v86
	v_add_u32_e32 v86, v65, v86
	ds_read_u8 v86, v86
	v_cndmask_b32_e32 v85, v87, v12, vcc
	v_cndmask_b32_e32 v11, v11, v13, vcc
	v_cmp_lt_u32_e64 s[4:5], v11, v114
	s_waitcnt lgkmcnt(0)
	v_cndmask_b32_e32 v87, v86, v87, vcc
	v_cndmask_b32_e32 v12, v12, v86, vcc
	;; [unrolled: 1-line block ×3, first 2 shown]
	v_cmp_le_i16_sdwa s[6:7], sext(v12), sext(v87) src0_sel:BYTE_0 src1_sel:BYTE_0
	v_cmp_ge_u32_e32 vcc, v86, v115
	s_and_b64 s[4:5], s[4:5], s[6:7]
	s_or_b64 vcc, vcc, s[4:5]
	v_cndmask_b32_e32 v13, v86, v11, vcc
	v_cndmask_b32_e32 v96, v115, v114, vcc
	v_add_u32_e32 v13, 1, v13
	v_add_u32_e32 v96, -1, v96
	v_min_u32_e32 v96, v13, v96
	v_add_u32_e32 v96, v65, v96
	ds_read_u8 v96, v96
	v_cndmask_b32_e32 v10, v87, v12, vcc
	v_cndmask_b32_e32 v11, v11, v13, vcc
	v_cmp_lt_u32_e64 s[4:5], v11, v114
	s_waitcnt lgkmcnt(0)
	v_cndmask_b32_e32 v87, v96, v87, vcc
	v_cndmask_b32_e32 v12, v12, v96, vcc
	v_cndmask_b32_e32 v96, v13, v86, vcc
	v_cmp_le_i16_sdwa s[6:7], sext(v12), sext(v87) src0_sel:BYTE_0 src1_sel:BYTE_0
	v_cmp_ge_u32_e32 vcc, v96, v115
	s_and_b64 s[4:5], s[4:5], s[6:7]
	s_or_b64 vcc, vcc, s[4:5]
	v_cndmask_b32_e32 v13, v96, v11, vcc
	v_cndmask_b32_e32 v97, v115, v114, vcc
	v_add_u32_e32 v13, 1, v13
	v_add_u32_e32 v97, -1, v97
	v_min_u32_e32 v97, v13, v97
	v_add_u32_e32 v97, v65, v97
	ds_read_u8 v97, v97
	v_cndmask_b32_e32 v86, v87, v12, vcc
	v_cndmask_b32_e32 v11, v11, v13, vcc
	v_cndmask_b32_e32 v96, v13, v96, vcc
	v_cmp_lt_u32_e64 s[4:5], v11, v114
	s_waitcnt lgkmcnt(0)
	v_cndmask_b32_e32 v98, v97, v87, vcc
	v_cndmask_b32_e32 v12, v12, v97, vcc
	v_cmp_le_i16_sdwa s[6:7], sext(v12), sext(v98) src0_sel:BYTE_0 src1_sel:BYTE_0
	v_cmp_ge_u32_e32 vcc, v96, v115
	s_and_b64 s[4:5], s[4:5], s[6:7]
	s_or_b64 vcc, vcc, s[4:5]
	v_cndmask_b32_e32 v13, v96, v11, vcc
	v_cndmask_b32_e32 v97, v115, v114, vcc
	v_add_u32_e32 v13, 1, v13
	v_add_u32_e32 v97, -1, v97
	v_min_u32_e32 v97, v13, v97
	v_add_u32_e32 v97, v65, v97
	ds_read_u8 v97, v97
	v_cndmask_b32_e32 v87, v98, v12, vcc
	v_cndmask_b32_e32 v11, v11, v13, vcc
	v_cmp_lt_u32_e64 s[4:5], v11, v114
	s_waitcnt lgkmcnt(0)
	v_cndmask_b32_e32 v98, v97, v98, vcc
	v_cndmask_b32_e32 v12, v12, v97, vcc
	v_cndmask_b32_e32 v97, v13, v96, vcc
	v_cmp_le_i16_sdwa s[6:7], sext(v12), sext(v98) src0_sel:BYTE_0 src1_sel:BYTE_0
	v_cmp_ge_u32_e32 vcc, v97, v115
	s_and_b64 s[4:5], s[4:5], s[6:7]
	s_or_b64 vcc, vcc, s[4:5]
	v_cndmask_b32_e32 v13, v97, v11, vcc
	v_cndmask_b32_e32 v99, v115, v114, vcc
	v_add_u32_e32 v13, 1, v13
	v_add_u32_e32 v99, -1, v99
	v_min_u32_e32 v99, v13, v99
	v_add_u32_e32 v99, v65, v99
	ds_read_u8 v99, v99
	v_cndmask_b32_e32 v96, v98, v12, vcc
	v_cndmask_b32_e32 v97, v13, v97, vcc
	v_cndmask_b32_e32 v13, v11, v13, vcc
	v_cmp_lt_u32_e64 s[4:5], v13, v114
	s_waitcnt lgkmcnt(0)
	v_cndmask_b32_e32 v98, v99, v98, vcc
	v_cndmask_b32_e32 v12, v12, v99, vcc
	;; [unrolled: 36-line block ×3, first 2 shown]
	v_cmp_le_i16_sdwa s[6:7], sext(v12), sext(v102) src0_sel:BYTE_0 src1_sel:BYTE_0
	v_cmp_ge_u32_e32 vcc, v100, v115
	s_and_b64 s[4:5], s[4:5], s[6:7]
	s_or_b64 vcc, vcc, s[4:5]
	v_cndmask_b32_e32 v99, v100, v13, vcc
	v_cndmask_b32_e32 v101, v115, v114, vcc
	v_add_u32_e32 v99, 1, v99
	v_add_u32_e32 v101, -1, v101
	v_min_u32_e32 v101, v99, v101
	v_add_u32_e32 v101, v65, v101
	ds_read_u8 v101, v101
	v_cndmask_b32_e32 v98, v102, v12, vcc
	v_cndmask_b32_e32 v13, v13, v99, vcc
	;; [unrolled: 1-line block ×3, first 2 shown]
	v_cmp_lt_u32_e64 s[4:5], v13, v114
	s_waitcnt lgkmcnt(0)
	v_cndmask_b32_e32 v102, v101, v102, vcc
	v_cndmask_b32_e32 v12, v12, v101, vcc
	v_cmp_le_i16_sdwa s[6:7], sext(v12), sext(v102) src0_sel:BYTE_0 src1_sel:BYTE_0
	v_cmp_ge_u32_e32 vcc, v100, v115
	s_and_b64 s[4:5], s[4:5], s[6:7]
	s_or_b64 vcc, vcc, s[4:5]
	v_cndmask_b32_e32 v101, v100, v13, vcc
	v_cndmask_b32_e32 v103, v115, v114, vcc
	v_add_u32_e32 v101, 1, v101
	v_add_u32_e32 v103, -1, v103
	v_min_u32_e32 v103, v101, v103
	v_add_u32_e32 v103, v65, v103
	ds_read_u8 v103, v103
	v_cndmask_b32_e32 v99, v102, v12, vcc
	v_cndmask_b32_e32 v13, v13, v101, vcc
	;; [unrolled: 1-line block ×3, first 2 shown]
	v_cmp_lt_u32_e64 s[4:5], v13, v114
	s_waitcnt lgkmcnt(0)
	v_cndmask_b32_e32 v102, v103, v102, vcc
	v_cndmask_b32_e32 v103, v12, v103, vcc
	v_cmp_le_i16_sdwa s[6:7], sext(v103), sext(v102) src0_sel:BYTE_0 src1_sel:BYTE_0
	v_cmp_ge_u32_e32 vcc, v100, v115
	s_and_b64 s[4:5], s[4:5], s[6:7]
	s_or_b64 vcc, vcc, s[4:5]
	v_cndmask_b32_e32 v101, v100, v13, vcc
	v_cndmask_b32_e32 v112, v115, v114, vcc
	v_add_u32_e32 v101, 1, v101
	v_add_u32_e32 v112, -1, v112
	v_min_u32_e32 v112, v101, v112
	v_add_u32_e32 v112, v65, v112
	ds_read_u8 v112, v112
	v_cndmask_b32_e32 v12, v102, v103, vcc
	v_cndmask_b32_e32 v13, v13, v101, vcc
	v_cmp_lt_u32_e64 s[4:5], v13, v114
	s_waitcnt lgkmcnt(0)
	v_cndmask_b32_e32 v102, v112, v102, vcc
	v_cndmask_b32_e32 v103, v103, v112, vcc
	;; [unrolled: 1-line block ×3, first 2 shown]
	v_cmp_le_i16_sdwa s[6:7], sext(v103), sext(v102) src0_sel:BYTE_0 src1_sel:BYTE_0
	v_cmp_ge_u32_e32 vcc, v112, v115
	s_and_b64 s[4:5], s[4:5], s[6:7]
	s_or_b64 vcc, vcc, s[4:5]
	v_cndmask_b32_e32 v101, v112, v13, vcc
	v_cndmask_b32_e32 v113, v115, v114, vcc
	v_add_u32_e32 v101, 1, v101
	v_add_u32_e32 v113, -1, v113
	v_min_u32_e32 v113, v101, v113
	v_add_u32_e32 v113, v65, v113
	ds_read_u8 v113, v113
	v_cndmask_b32_e32 v100, v102, v103, vcc
	v_cndmask_b32_e32 v13, v13, v101, vcc
	v_cndmask_b32_e32 v112, v101, v112, vcc
	v_cmp_lt_u32_e64 s[4:5], v13, v114
	s_waitcnt lgkmcnt(0)
	v_cndmask_b32_e32 v102, v113, v102, vcc
	v_cndmask_b32_e32 v103, v103, v113, vcc
	v_cmp_le_i16_sdwa s[6:7], sext(v103), sext(v102) src0_sel:BYTE_0 src1_sel:BYTE_0
	v_cmp_ge_u32_e32 vcc, v112, v115
	s_and_b64 s[4:5], s[4:5], s[6:7]
	s_or_b64 vcc, vcc, s[4:5]
	v_cndmask_b32_e32 v113, v112, v13, vcc
	v_cndmask_b32_e32 v116, v115, v114, vcc
	v_add_u32_e32 v113, 1, v113
	v_add_u32_e32 v116, -1, v116
	v_min_u32_e32 v116, v113, v116
	v_add_u32_e32 v116, v65, v116
	ds_read_u8 v116, v116
	v_cndmask_b32_e32 v101, v102, v103, vcc
	v_cndmask_b32_e32 v13, v13, v113, vcc
	v_cndmask_b32_e32 v112, v113, v112, vcc
	v_cmp_lt_u32_e64 s[4:5], v13, v114
	s_waitcnt lgkmcnt(0)
	v_cndmask_b32_e32 v117, v116, v102, vcc
	v_cndmask_b32_e32 v103, v103, v116, vcc
	;; [unrolled: 18-line block ×4, first 2 shown]
	v_cmp_le_i16_sdwa s[6:7], sext(v118), sext(v117) src0_sel:BYTE_0 src1_sel:BYTE_0
	v_cmp_ge_u32_e32 vcc, v112, v115
	s_and_b64 s[4:5], s[4:5], s[6:7]
	s_or_b64 vcc, vcc, s[4:5]
	v_cndmask_b32_e32 v116, v112, v113, vcc
	v_cndmask_b32_e32 v119, v115, v114, vcc
	v_add_u32_e32 v116, 1, v116
	v_add_u32_e32 v119, -1, v119
	v_min_u32_e32 v119, v116, v119
	v_add_u32_e32 v119, v65, v119
	ds_read_u8 v119, v119
	v_cndmask_b32_e32 v103, v117, v118, vcc
	v_cndmask_b32_e32 v113, v113, v116, vcc
	v_cmp_lt_u32_e64 s[4:5], v113, v114
	s_waitcnt lgkmcnt(0)
	v_cndmask_b32_e32 v117, v119, v117, vcc
	v_cndmask_b32_e32 v118, v118, v119, vcc
	;; [unrolled: 1-line block ×3, first 2 shown]
	v_cmp_le_i16_sdwa s[6:7], sext(v118), sext(v117) src0_sel:BYTE_0 src1_sel:BYTE_0
	v_cmp_ge_u32_e32 vcc, v119, v115
	s_and_b64 s[4:5], s[4:5], s[6:7]
	s_or_b64 vcc, vcc, s[4:5]
	v_cndmask_b32_e32 v116, v119, v113, vcc
	v_cndmask_b32_e32 v128, v115, v114, vcc
	v_add_u32_e32 v116, 1, v116
	v_add_u32_e32 v128, -1, v128
	v_min_u32_e32 v128, v116, v128
	v_add_u32_e32 v128, v65, v128
	ds_read_u8 v128, v128
	v_cndmask_b32_e32 v119, v116, v119, vcc
	v_cndmask_b32_e32 v112, v117, v118, vcc
	v_cmp_lt_u32_e64 s[4:5], v119, v115
	v_cndmask_b32_e32 v113, v113, v116, vcc
	s_waitcnt lgkmcnt(0)
	v_cndmask_b32_e32 v118, v118, v128, vcc
	v_cndmask_b32_e32 v115, v128, v117, vcc
	v_cmp_lt_u32_e32 vcc, v113, v114
	v_min_i16_sdwa v113, sext(v118), sext(v115) dst_sel:DWORD dst_unused:UNUSED_PAD src0_sel:BYTE_0 src1_sel:BYTE_0
	v_cndmask_b32_e32 v113, v115, v113, vcc
	v_cndmask_b32_e64 v113, v118, v113, s[4:5]
.LBB2701_37:
	s_or_b64 exec, exec, s[10:11]
	v_lshlrev_b16_e32 v114, 8, v80
	v_lshlrev_b16_e32 v115, 8, v85
	v_or_b32_sdwa v114, v3, v114 dst_sel:DWORD dst_unused:UNUSED_PAD src0_sel:BYTE_0 src1_sel:DWORD
	v_or_b32_sdwa v115, v83, v115 dst_sel:WORD_1 dst_unused:UNUSED_PAD src0_sel:BYTE_0 src1_sel:DWORD
	v_or_b32_sdwa v117, v114, v115 dst_sel:DWORD dst_unused:UNUSED_PAD src0_sel:WORD_0 src1_sel:DWORD
	v_lshlrev_b16_e32 v114, 8, v69
	v_lshlrev_b16_e32 v115, 8, v71
	v_or_b32_sdwa v114, v2, v114 dst_sel:DWORD dst_unused:UNUSED_PAD src0_sel:BYTE_0 src1_sel:DWORD
	v_or_b32_sdwa v115, v70, v115 dst_sel:WORD_1 dst_unused:UNUSED_PAD src0_sel:BYTE_0 src1_sel:DWORD
	v_or_b32_sdwa v116, v114, v115 dst_sel:DWORD dst_unused:UNUSED_PAD src0_sel:WORD_0 src1_sel:DWORD
	;; [unrolled: 5-line block ×4, first 2 shown]
	; wave barrier
	ds_write_b128 v84, v[114:117]
	v_lshlrev_b16_e32 v114, 8, v103
	v_lshlrev_b16_e32 v115, 8, v113
	v_or_b32_sdwa v114, v13, v114 dst_sel:DWORD dst_unused:UNUSED_PAD src0_sel:BYTE_0 src1_sel:DWORD
	v_or_b32_sdwa v115, v112, v115 dst_sel:WORD_1 dst_unused:UNUSED_PAD src0_sel:BYTE_0 src1_sel:DWORD
	v_or_b32_sdwa v117, v114, v115 dst_sel:DWORD dst_unused:UNUSED_PAD src0_sel:WORD_0 src1_sel:DWORD
	v_lshlrev_b16_e32 v114, 8, v100
	v_lshlrev_b16_e32 v115, 8, v102
	v_or_b32_sdwa v114, v12, v114 dst_sel:DWORD dst_unused:UNUSED_PAD src0_sel:BYTE_0 src1_sel:DWORD
	v_or_b32_sdwa v115, v101, v115 dst_sel:WORD_1 dst_unused:UNUSED_PAD src0_sel:BYTE_0 src1_sel:DWORD
	v_or_b32_sdwa v116, v114, v115 dst_sel:DWORD dst_unused:UNUSED_PAD src0_sel:WORD_0 src1_sel:DWORD
	;; [unrolled: 5-line block ×4, first 2 shown]
	ds_write_b128 v84, v[114:117] offset:16
	v_and_b32_e32 v115, 0xe00, v82
	v_or_b32_e32 v84, 0x100, v115
	v_min_u32_e32 v84, v81, v84
	v_add_u32_e32 v114, 0x100, v84
	v_min_u32_e32 v114, v81, v114
	v_and_b32_e32 v82, 0x1e0, v82
	v_min_u32_e32 v82, v81, v82
	v_sub_u32_e32 v81, v84, v115
	v_sub_u32_e32 v116, v114, v84
	v_sub_u32_e64 v116, v82, v116 clamp
	v_min_u32_e32 v81, v82, v81
	v_cmp_lt_u32_e32 vcc, v116, v81
	; wave barrier
	s_and_saveexec_b64 s[4:5], vcc
	s_cbranch_execz .LBB2701_41
; %bb.38:
	v_add_u32_e32 v117, v65, v115
	v_add3_u32 v118, v65, v84, v82
	s_mov_b64 s[6:7], 0
.LBB2701_39:                            ; =>This Inner Loop Header: Depth=1
	v_add_u32_e32 v119, v81, v116
	v_lshrrev_b32_e32 v119, 1, v119
	v_add_u32_e32 v128, v117, v119
	v_xad_u32 v129, v119, -1, v118
	ds_read_i8 v128, v128
	ds_read_i8 v129, v129
	v_add_u32_e32 v130, 1, v119
	s_waitcnt lgkmcnt(0)
	v_cmp_gt_i16_e32 vcc, v128, v129
	v_cndmask_b32_e32 v81, v81, v119, vcc
	v_cndmask_b32_e32 v116, v130, v116, vcc
	v_cmp_ge_u32_e32 vcc, v116, v81
	s_or_b64 s[6:7], vcc, s[6:7]
	s_andn2_b64 exec, exec, s[6:7]
	s_cbranch_execnz .LBB2701_39
; %bb.40:
	s_or_b64 exec, exec, s[6:7]
.LBB2701_41:
	s_or_b64 exec, exec, s[4:5]
	v_add_u32_e32 v82, v84, v82
	v_add_u32_e32 v81, v116, v115
	v_sub_u32_e32 v82, v82, v116
	v_cmp_le_u32_e32 vcc, v81, v84
	v_cmp_le_u32_e64 s[4:5], v82, v114
	s_or_b64 s[4:5], vcc, s[4:5]
	s_and_saveexec_b64 s[60:61], s[4:5]
	s_cbranch_execz .LBB2701_47
; %bb.42:
	v_cmp_lt_u32_e32 vcc, v81, v84
                                        ; implicit-def: $vgpr0
	s_and_saveexec_b64 s[4:5], vcc
	s_cbranch_execz .LBB2701_44
; %bb.43:
	v_add_u32_e32 v0, v65, v81
	ds_read_u8 v0, v0
.LBB2701_44:
	s_or_b64 exec, exec, s[4:5]
	v_cmp_ge_u32_e64 s[4:5], v82, v114
	v_cmp_lt_u32_e64 s[6:7], v82, v114
                                        ; implicit-def: $vgpr1
	s_and_saveexec_b64 s[10:11], s[6:7]
	s_cbranch_execz .LBB2701_46
; %bb.45:
	v_add_u32_e32 v1, v65, v82
	ds_read_u8 v1, v1
.LBB2701_46:
	s_or_b64 exec, exec, s[10:11]
	s_waitcnt lgkmcnt(0)
	v_cmp_le_i16_sdwa s[6:7], sext(v0), sext(v1) src0_sel:BYTE_0 src1_sel:BYTE_0
	s_and_b64 s[6:7], vcc, s[6:7]
	s_or_b64 vcc, s[4:5], s[6:7]
	v_cndmask_b32_e32 v2, v82, v81, vcc
	v_cndmask_b32_e32 v3, v114, v84, vcc
	v_add_u32_e32 v2, 1, v2
	v_add_u32_e32 v3, -1, v3
	v_min_u32_e32 v3, v2, v3
	v_add_u32_e32 v3, v65, v3
	ds_read_u8 v3, v3
	v_cndmask_b32_e32 v10, v2, v82, vcc
	v_cndmask_b32_e32 v2, v81, v2, vcc
	v_cmp_lt_u32_e64 s[6:7], v2, v84
	v_cmp_ge_u32_e64 s[4:5], v10, v114
	s_waitcnt lgkmcnt(0)
	v_cndmask_b32_e32 v11, v3, v1, vcc
	v_cndmask_b32_e32 v3, v0, v3, vcc
	v_cmp_le_i16_sdwa s[10:11], sext(v3), sext(v11) src0_sel:BYTE_0 src1_sel:BYTE_0
	s_and_b64 s[6:7], s[6:7], s[10:11]
	s_or_b64 s[4:5], s[4:5], s[6:7]
	v_cndmask_b32_e64 v12, v10, v2, s[4:5]
	v_cndmask_b32_e64 v13, v114, v84, s[4:5]
	v_add_u32_e32 v12, 1, v12
	v_add_u32_e32 v13, -1, v13
	v_min_u32_e32 v13, v12, v13
	v_add_u32_e32 v13, v65, v13
	ds_read_u8 v13, v13
	v_cndmask_b32_e64 v2, v2, v12, s[4:5]
	v_cndmask_b32_e64 v10, v12, v10, s[4:5]
	v_cmp_lt_u32_e64 s[10:11], v2, v84
	v_cmp_ge_u32_e64 s[6:7], v10, v114
	s_waitcnt lgkmcnt(0)
	v_cndmask_b32_e64 v55, v13, v11, s[4:5]
	v_cndmask_b32_e64 v13, v3, v13, s[4:5]
	v_cmp_le_i16_sdwa s[14:15], sext(v13), sext(v55) src0_sel:BYTE_0 src1_sel:BYTE_0
	s_and_b64 s[10:11], s[10:11], s[14:15]
	s_or_b64 s[10:11], s[6:7], s[10:11]
	v_cndmask_b32_e64 v12, v10, v2, s[10:11]
	v_cndmask_b32_e64 v54, v114, v84, s[10:11]
	v_add_u32_e32 v12, 1, v12
	v_add_u32_e32 v54, -1, v54
	v_min_u32_e32 v54, v12, v54
	v_add_u32_e32 v54, v65, v54
	ds_read_u8 v54, v54
	v_cndmask_b32_e64 v2, v2, v12, s[10:11]
	v_cndmask_b32_e64 v10, v12, v10, s[10:11]
	v_cmp_lt_u32_e64 s[14:15], v2, v84
	v_cmp_ge_u32_e64 s[6:7], v10, v114
	s_waitcnt lgkmcnt(0)
	v_cndmask_b32_e64 v64, v54, v55, s[10:11]
	v_cndmask_b32_e64 v66, v13, v54, s[10:11]
	;; [unrolled: 17-line block ×22, first 2 shown]
	v_cmp_le_i16_sdwa s[62:63], sext(v148), sext(v147) src0_sel:BYTE_0 src1_sel:BYTE_0
	s_and_b64 s[56:57], s[56:57], s[62:63]
	s_or_b64 s[50:51], s[50:51], s[56:57]
	v_cndmask_b32_e64 v12, v10, v2, s[50:51]
	v_cndmask_b32_e64 v54, v114, v84, s[50:51]
	v_add_u32_e32 v12, 1, v12
	v_add_u32_e32 v54, -1, v54
	v_min_u32_e32 v54, v12, v54
	v_add_u32_e32 v54, v65, v54
	ds_read_u8 v149, v54
	v_cndmask_b32_e64 v55, v55, v13, s[10:11]
	v_cndmask_b32_e64 v2, v2, v12, s[50:51]
	;; [unrolled: 1-line block ×4, first 2 shown]
	s_waitcnt lgkmcnt(0)
	v_cndmask_b32_e64 v13, v149, v147, s[50:51]
	v_cndmask_b32_e64 v149, v148, v149, s[50:51]
	v_cmp_lt_u32_e64 s[4:5], v2, v84
	v_cmp_le_i16_sdwa s[10:11], sext(v149), sext(v13) src0_sel:BYTE_0 src1_sel:BYTE_0
	v_cndmask_b32_e32 v0, v1, v0, vcc
	v_cmp_ge_u32_e32 vcc, v3, v114
	s_and_b64 s[4:5], s[4:5], s[10:11]
	s_or_b64 vcc, vcc, s[4:5]
	v_cndmask_b32_e32 v1, v3, v2, vcc
	v_cndmask_b32_e32 v10, v114, v84, vcc
	v_add_u32_e32 v11, 1, v1
	v_add_u32_e32 v1, -1, v10
	v_min_u32_e32 v1, v11, v1
	v_add_u32_e32 v1, v65, v1
	ds_read_u8 v10, v1
	v_cndmask_b32_e64 v64, v64, v66, s[6:7]
	v_cndmask_b32_e32 v3, v11, v3, vcc
	v_cmp_ge_u32_e64 s[4:5], v3, v114
	v_cndmask_b32_e64 v1, v67, v68, s[54:55]
	s_waitcnt lgkmcnt(0)
	v_cndmask_b32_e32 v150, v10, v13, vcc
	v_cndmask_b32_e32 v151, v149, v10, vcc
	;; [unrolled: 1-line block ×3, first 2 shown]
	v_cmp_lt_u32_e64 s[6:7], v10, v84
	v_cmp_le_i16_sdwa s[10:11], sext(v151), sext(v150) src0_sel:BYTE_0 src1_sel:BYTE_0
	s_and_b64 s[6:7], s[6:7], s[10:11]
	s_or_b64 s[4:5], s[4:5], s[6:7]
	v_cndmask_b32_e64 v2, v3, v10, s[4:5]
	v_cndmask_b32_e64 v11, v114, v84, s[4:5]
	v_add_u32_e32 v12, 1, v2
	v_add_u32_e32 v2, -1, v11
	v_min_u32_e32 v2, v12, v2
	v_add_u32_e32 v2, v65, v2
	ds_read_u8 v11, v2
	v_cndmask_b32_e64 v68, v81, v82, s[16:17]
	v_cndmask_b32_e64 v10, v10, v12, s[4:5]
	v_cndmask_b32_e64 v66, v69, v70, s[14:15]
	v_cmp_lt_u32_e64 s[10:11], v10, v84
	s_waitcnt lgkmcnt(0)
	v_cndmask_b32_e64 v81, v11, v150, s[4:5]
	v_cndmask_b32_e64 v82, v151, v11, s[4:5]
	v_cndmask_b32_e64 v11, v12, v3, s[4:5]
	v_cmp_le_i16_sdwa s[14:15], sext(v82), sext(v81) src0_sel:BYTE_0 src1_sel:BYTE_0
	v_cmp_ge_u32_e64 s[6:7], v11, v114
	s_and_b64 s[10:11], s[10:11], s[14:15]
	s_or_b64 s[6:7], s[6:7], s[10:11]
	v_cndmask_b32_e64 v3, v11, v10, s[6:7]
	v_cndmask_b32_e64 v12, v114, v84, s[6:7]
	;; [unrolled: 1-line block ×3, first 2 shown]
	v_add_u32_e32 v85, 1, v3
	v_add_u32_e32 v3, -1, v12
	v_min_u32_e32 v3, v85, v3
	v_add_u32_e32 v3, v65, v3
	ds_read_u8 v12, v3
	v_cndmask_b32_e64 v67, v71, v80, s[18:19]
	v_cndmask_b32_e64 v80, v102, v103, s[30:31]
	;; [unrolled: 1-line block ×3, first 2 shown]
	v_cmp_ge_u32_e64 s[10:11], v11, v114
	s_waitcnt lgkmcnt(0)
	v_cndmask_b32_e64 v102, v12, v81, s[6:7]
	v_cndmask_b32_e64 v103, v82, v12, s[6:7]
	;; [unrolled: 1-line block ×3, first 2 shown]
	v_cmp_lt_u32_e64 s[14:15], v12, v84
	v_cmp_le_i16_sdwa s[16:17], sext(v103), sext(v102) src0_sel:BYTE_0 src1_sel:BYTE_0
	s_and_b64 s[14:15], s[14:15], s[16:17]
	s_or_b64 s[10:11], s[10:11], s[14:15]
	v_cndmask_b32_e64 v10, v11, v12, s[10:11]
	v_cndmask_b32_e64 v85, v114, v84, s[10:11]
	;; [unrolled: 1-line block ×3, first 2 shown]
	v_add_u32_e32 v96, 1, v10
	v_add_u32_e32 v10, -1, v85
	v_min_u32_e32 v10, v96, v10
	v_add_u32_e32 v10, v65, v10
	ds_read_u8 v97, v10
	v_cndmask_b32_e64 v83, v112, v113, s[36:37]
	v_cndmask_b32_e64 v12, v12, v96, s[10:11]
	;; [unrolled: 1-line block ×4, first 2 shown]
	s_waitcnt lgkmcnt(0)
	v_cndmask_b32_e64 v112, v97, v102, s[10:11]
	v_cndmask_b32_e64 v113, v103, v97, s[10:11]
	v_cmp_lt_u32_e64 s[16:17], v12, v84
	v_cmp_le_i16_sdwa s[18:19], sext(v113), sext(v112) src0_sel:BYTE_0 src1_sel:BYTE_0
	v_cmp_ge_u32_e64 s[14:15], v99, v114
	s_and_b64 s[16:17], s[16:17], s[18:19]
	s_or_b64 s[14:15], s[14:15], s[16:17]
	v_cndmask_b32_e64 v11, v99, v12, s[14:15]
	v_cndmask_b32_e64 v96, v114, v84, s[14:15]
	;; [unrolled: 1-line block ×3, first 2 shown]
	v_add_u32_e32 v100, 1, v11
	v_add_u32_e32 v11, -1, v96
	v_min_u32_e32 v11, v100, v11
	v_add_u32_e32 v11, v65, v11
	ds_read_u8 v101, v11
	v_cndmask_b32_e64 v85, v115, v116, s[34:35]
	v_cndmask_b32_e64 v10, v117, v118, s[38:39]
	;; [unrolled: 1-line block ×4, first 2 shown]
	s_waitcnt lgkmcnt(0)
	v_cndmask_b32_e64 v115, v101, v112, s[14:15]
	v_cndmask_b32_e64 v116, v113, v101, s[14:15]
	v_cmp_lt_u32_e64 s[18:19], v118, v84
	v_cmp_le_i16_sdwa s[20:21], sext(v116), sext(v115) src0_sel:BYTE_0 src1_sel:BYTE_0
	v_cmp_ge_u32_e64 s[16:17], v117, v114
	s_and_b64 s[18:19], s[18:19], s[20:21]
	s_or_b64 s[16:17], s[16:17], s[18:19]
	v_cndmask_b32_e64 v12, v117, v118, s[16:17]
	v_cndmask_b32_e64 v99, v114, v84, s[16:17]
	;; [unrolled: 1-line block ×4, first 2 shown]
	v_add_u32_e32 v119, 1, v12
	v_add_u32_e32 v12, -1, v99
	v_min_u32_e32 v12, v119, v12
	v_add_u32_e32 v12, v65, v12
	ds_read_u8 v128, v12
	v_cndmask_b32_e64 v101, v81, v82, s[6:7]
	v_cndmask_b32_e64 v118, v118, v119, s[16:17]
	;; [unrolled: 1-line block ×4, first 2 shown]
	s_waitcnt lgkmcnt(0)
	v_cndmask_b32_e64 v81, v128, v115, s[16:17]
	v_cndmask_b32_e64 v82, v116, v128, s[16:17]
	v_cmp_lt_u32_e64 s[4:5], v118, v84
	v_cmp_le_i16_sdwa s[6:7], sext(v82), sext(v81) src0_sel:BYTE_0 src1_sel:BYTE_0
	v_cndmask_b32_e32 v12, v13, v149, vcc
	v_cmp_ge_u32_e32 vcc, v117, v114
	s_and_b64 s[4:5], s[4:5], s[6:7]
	s_or_b64 vcc, vcc, s[4:5]
	v_cndmask_b32_e32 v13, v117, v118, vcc
	v_cndmask_b32_e32 v119, v114, v84, vcc
	v_add_u32_e32 v128, 1, v13
	v_add_u32_e32 v13, -1, v119
	v_min_u32_e32 v13, v128, v13
	v_add_u32_e32 v13, v65, v13
	ds_read_u8 v65, v13
	v_cndmask_b32_e64 v13, v112, v113, s[14:15]
	v_cndmask_b32_e32 v112, v81, v82, vcc
	v_cndmask_b32_e64 v102, v102, v103, s[10:11]
	v_cndmask_b32_e64 v103, v115, v116, s[16:17]
	s_waitcnt lgkmcnt(0)
	v_cndmask_b32_e32 v82, v82, v65, vcc
	v_cndmask_b32_e32 v65, v65, v81, vcc
	;; [unrolled: 1-line block ×4, first 2 shown]
	v_min_i16_sdwa v115, sext(v82), sext(v65) dst_sel:DWORD dst_unused:UNUSED_PAD src0_sel:BYTE_0 src1_sel:BYTE_0
	v_cmp_lt_u32_e32 vcc, v81, v84
	v_cndmask_b32_e32 v65, v65, v115, vcc
	v_cmp_lt_u32_e32 vcc, v113, v114
	v_cndmask_b32_e64 v87, v129, v130, s[44:45]
	v_cndmask_b32_e64 v96, v131, v132, s[42:43]
	;; [unrolled: 1-line block ×6, first 2 shown]
	v_cndmask_b32_e32 v113, v82, v65, vcc
.LBB2701_47:
	s_or_b64 exec, exec, s[60:61]
	s_movk_i32 s62, 0x200
	; wave barrier
	s_waitcnt lgkmcnt(0)
	s_barrier
.LBB2701_48:                            ; =>This Loop Header: Depth=1
                                        ;     Child Loop BB2701_50 Depth 2
	v_lshlrev_b16_e32 v65, 8, v80
	v_lshlrev_b16_e32 v81, 8, v85
	v_or_b32_sdwa v65, v3, v65 dst_sel:DWORD dst_unused:UNUSED_PAD src0_sel:BYTE_0 src1_sel:DWORD
	v_or_b32_sdwa v81, v83, v81 dst_sel:WORD_1 dst_unused:UNUSED_PAD src0_sel:BYTE_0 src1_sel:DWORD
	v_or_b32_sdwa v117, v65, v81 dst_sel:DWORD dst_unused:UNUSED_PAD src0_sel:WORD_0 src1_sel:DWORD
	v_lshlrev_b16_e32 v65, 8, v69
	v_lshlrev_b16_e32 v81, 8, v71
	v_or_b32_sdwa v65, v2, v65 dst_sel:DWORD dst_unused:UNUSED_PAD src0_sel:BYTE_0 src1_sel:DWORD
	v_or_b32_sdwa v81, v70, v81 dst_sel:WORD_1 dst_unused:UNUSED_PAD src0_sel:BYTE_0 src1_sel:DWORD
	v_or_b32_sdwa v116, v65, v81 dst_sel:DWORD dst_unused:UNUSED_PAD src0_sel:WORD_0 src1_sel:DWORD
	v_lshlrev_b16_e32 v65, 8, v66
	v_lshlrev_b16_e32 v81, 8, v68
	v_or_b32_sdwa v65, v1, v65 dst_sel:DWORD dst_unused:UNUSED_PAD src0_sel:BYTE_0 src1_sel:DWORD
	v_or_b32_sdwa v81, v67, v81 dst_sel:WORD_1 dst_unused:UNUSED_PAD src0_sel:BYTE_0 src1_sel:DWORD
	v_or_b32_sdwa v115, v65, v81 dst_sel:DWORD dst_unused:UNUSED_PAD src0_sel:WORD_0 src1_sel:DWORD
	v_lshlrev_b16_e32 v65, 8, v54
	v_lshlrev_b16_e32 v81, 8, v64
	v_or_b32_sdwa v65, v0, v65 dst_sel:DWORD dst_unused:UNUSED_PAD src0_sel:BYTE_0 src1_sel:DWORD
	v_or_b32_sdwa v81, v55, v81 dst_sel:WORD_1 dst_unused:UNUSED_PAD src0_sel:BYTE_0 src1_sel:DWORD
	v_or_b32_sdwa v114, v65, v81 dst_sel:DWORD dst_unused:UNUSED_PAD src0_sel:WORD_0 src1_sel:DWORD
	v_lshlrev_b16_e32 v65, 8, v103
	v_lshlrev_b16_e32 v81, 8, v113
	v_or_b32_sdwa v65, v13, v65 dst_sel:DWORD dst_unused:UNUSED_PAD src0_sel:BYTE_0 src1_sel:DWORD
	v_or_b32_sdwa v81, v112, v81 dst_sel:WORD_1 dst_unused:UNUSED_PAD src0_sel:BYTE_0 src1_sel:DWORD
	ds_write_b128 v7, v[114:117]
	v_or_b32_sdwa v117, v65, v81 dst_sel:DWORD dst_unused:UNUSED_PAD src0_sel:WORD_0 src1_sel:DWORD
	v_lshlrev_b16_e32 v65, 8, v100
	v_lshlrev_b16_e32 v81, 8, v102
	v_or_b32_sdwa v65, v12, v65 dst_sel:DWORD dst_unused:UNUSED_PAD src0_sel:BYTE_0 src1_sel:DWORD
	v_or_b32_sdwa v81, v101, v81 dst_sel:WORD_1 dst_unused:UNUSED_PAD src0_sel:BYTE_0 src1_sel:DWORD
	v_or_b32_sdwa v116, v65, v81 dst_sel:DWORD dst_unused:UNUSED_PAD src0_sel:WORD_0 src1_sel:DWORD
	v_lshlrev_b16_e32 v65, 8, v97
	v_lshlrev_b16_e32 v81, 8, v99
	v_or_b32_sdwa v65, v11, v65 dst_sel:DWORD dst_unused:UNUSED_PAD src0_sel:BYTE_0 src1_sel:DWORD
	v_or_b32_sdwa v81, v98, v81 dst_sel:WORD_1 dst_unused:UNUSED_PAD src0_sel:BYTE_0 src1_sel:DWORD
	s_lshl_b32 s63, s62, 1
	v_or_b32_sdwa v115, v65, v81 dst_sel:DWORD dst_unused:UNUSED_PAD src0_sel:WORD_0 src1_sel:DWORD
	v_lshlrev_b16_e32 v65, 8, v86
	v_lshlrev_b16_e32 v81, 8, v96
	s_sub_i32 s5, 0, s63
	v_or_b32_sdwa v65, v10, v65 dst_sel:DWORD dst_unused:UNUSED_PAD src0_sel:BYTE_0 src1_sel:DWORD
	v_or_b32_sdwa v81, v87, v81 dst_sel:WORD_1 dst_unused:UNUSED_PAD src0_sel:BYTE_0 src1_sel:DWORD
	v_and_b32_e32 v82, s5, v7
	v_or_b32_sdwa v114, v65, v81 dst_sel:DWORD dst_unused:UNUSED_PAD src0_sel:WORD_0 src1_sel:DWORD
	v_add_u32_e32 v65, s62, v82
	v_min_u32_e32 v65, 0x2000, v65
	s_add_i32 s4, s63, -1
	v_add_u32_e32 v81, s62, v65
	v_min_u32_e32 v81, 0x2000, v81
	v_and_b32_e32 v84, s4, v7
	ds_write_b128 v7, v[114:117] offset:16
	v_min_u32_e32 v84, 0x2000, v84
	v_sub_u32_e32 v115, v65, v82
	v_sub_u32_e32 v114, v81, v65
	v_sub_u32_e64 v114, v84, v114 clamp
	v_min_u32_e32 v115, v84, v115
	v_cmp_lt_u32_e32 vcc, v114, v115
	s_waitcnt lgkmcnt(0)
	s_barrier
	s_and_saveexec_b64 s[4:5], vcc
	s_cbranch_execz .LBB2701_52
; %bb.49:                               ;   in Loop: Header=BB2701_48 Depth=1
	v_add_u32_e32 v116, v65, v84
	s_mov_b64 s[6:7], 0
.LBB2701_50:                            ;   Parent Loop BB2701_48 Depth=1
                                        ; =>  This Inner Loop Header: Depth=2
	v_add_u32_e32 v117, v115, v114
	v_lshrrev_b32_e32 v117, 1, v117
	v_add_u32_e32 v118, v82, v117
	v_xad_u32 v119, v117, -1, v116
	ds_read_i8 v118, v118
	ds_read_i8 v119, v119
	v_add_u32_e32 v128, 1, v117
	s_waitcnt lgkmcnt(0)
	v_cmp_gt_i16_e32 vcc, v118, v119
	v_cndmask_b32_e32 v115, v115, v117, vcc
	v_cndmask_b32_e32 v114, v128, v114, vcc
	v_cmp_ge_u32_e32 vcc, v114, v115
	s_or_b64 s[6:7], vcc, s[6:7]
	s_andn2_b64 exec, exec, s[6:7]
	s_cbranch_execnz .LBB2701_50
; %bb.51:                               ;   in Loop: Header=BB2701_48 Depth=1
	s_or_b64 exec, exec, s[6:7]
.LBB2701_52:                            ;   in Loop: Header=BB2701_48 Depth=1
	s_or_b64 exec, exec, s[4:5]
	v_sub_u32_e32 v84, v84, v114
	v_add_u32_e32 v82, v114, v82
	v_add_u32_e32 v84, v84, v65
	v_cmp_le_u32_e32 vcc, v82, v65
	v_cmp_le_u32_e64 s[4:5], v84, v81
	s_or_b64 s[4:5], vcc, s[4:5]
	s_and_saveexec_b64 s[60:61], s[4:5]
	s_cbranch_execz .LBB2701_58
; %bb.53:                               ;   in Loop: Header=BB2701_48 Depth=1
	v_cmp_lt_u32_e32 vcc, v82, v65
                                        ; implicit-def: $vgpr0
	s_and_saveexec_b64 s[4:5], vcc
	s_cbranch_execz .LBB2701_55
; %bb.54:                               ;   in Loop: Header=BB2701_48 Depth=1
	ds_read_u8 v0, v82
.LBB2701_55:                            ;   in Loop: Header=BB2701_48 Depth=1
	s_or_b64 exec, exec, s[4:5]
	v_cmp_ge_u32_e64 s[4:5], v84, v81
	v_cmp_lt_u32_e64 s[6:7], v84, v81
                                        ; implicit-def: $vgpr1
	s_and_saveexec_b64 s[10:11], s[6:7]
	s_cbranch_execz .LBB2701_57
; %bb.56:                               ;   in Loop: Header=BB2701_48 Depth=1
	ds_read_u8 v1, v84
.LBB2701_57:                            ;   in Loop: Header=BB2701_48 Depth=1
	s_or_b64 exec, exec, s[10:11]
	s_waitcnt lgkmcnt(0)
	v_cmp_le_i16_sdwa s[6:7], sext(v0), sext(v1) src0_sel:BYTE_0 src1_sel:BYTE_0
	s_and_b64 s[6:7], vcc, s[6:7]
	s_or_b64 vcc, s[4:5], s[6:7]
	v_cndmask_b32_e32 v2, v84, v82, vcc
	v_cndmask_b32_e32 v3, v81, v65, vcc
	v_add_u32_e32 v2, 1, v2
	v_add_u32_e32 v3, -1, v3
	v_min_u32_e32 v3, v2, v3
	ds_read_u8 v3, v3
	v_cndmask_b32_e32 v10, v2, v84, vcc
	v_cndmask_b32_e32 v2, v82, v2, vcc
	v_cmp_lt_u32_e64 s[6:7], v2, v65
	v_cmp_ge_u32_e64 s[4:5], v10, v81
	s_waitcnt lgkmcnt(0)
	v_cndmask_b32_e32 v11, v3, v1, vcc
	v_cndmask_b32_e32 v3, v0, v3, vcc
	v_cmp_le_i16_sdwa s[10:11], sext(v3), sext(v11) src0_sel:BYTE_0 src1_sel:BYTE_0
	s_and_b64 s[6:7], s[6:7], s[10:11]
	s_or_b64 s[4:5], s[4:5], s[6:7]
	v_cndmask_b32_e64 v12, v10, v2, s[4:5]
	v_cndmask_b32_e64 v13, v81, v65, s[4:5]
	v_add_u32_e32 v12, 1, v12
	v_add_u32_e32 v13, -1, v13
	v_min_u32_e32 v13, v12, v13
	ds_read_u8 v13, v13
	v_cndmask_b32_e64 v2, v2, v12, s[4:5]
	v_cndmask_b32_e64 v10, v12, v10, s[4:5]
	v_cmp_lt_u32_e64 s[10:11], v2, v65
	v_cmp_ge_u32_e64 s[6:7], v10, v81
	s_waitcnt lgkmcnt(0)
	v_cndmask_b32_e64 v55, v13, v11, s[4:5]
	v_cndmask_b32_e64 v13, v3, v13, s[4:5]
	v_cmp_le_i16_sdwa s[14:15], sext(v13), sext(v55) src0_sel:BYTE_0 src1_sel:BYTE_0
	s_and_b64 s[10:11], s[10:11], s[14:15]
	s_or_b64 s[10:11], s[6:7], s[10:11]
	v_cndmask_b32_e64 v12, v10, v2, s[10:11]
	v_cndmask_b32_e64 v54, v81, v65, s[10:11]
	v_add_u32_e32 v12, 1, v12
	v_add_u32_e32 v54, -1, v54
	v_min_u32_e32 v54, v12, v54
	ds_read_u8 v54, v54
	v_cndmask_b32_e64 v2, v2, v12, s[10:11]
	v_cndmask_b32_e64 v10, v12, v10, s[10:11]
	v_cmp_lt_u32_e64 s[14:15], v2, v65
	v_cmp_ge_u32_e64 s[6:7], v10, v81
	s_waitcnt lgkmcnt(0)
	v_cndmask_b32_e64 v64, v54, v55, s[10:11]
	v_cndmask_b32_e64 v66, v13, v54, s[10:11]
	v_cmp_le_i16_sdwa s[16:17], sext(v66), sext(v64) src0_sel:BYTE_0 src1_sel:BYTE_0
	s_and_b64 s[14:15], s[14:15], s[16:17]
	s_or_b64 s[6:7], s[6:7], s[14:15]
	v_cndmask_b32_e64 v12, v10, v2, s[6:7]
	v_cndmask_b32_e64 v54, v81, v65, s[6:7]
	v_add_u32_e32 v12, 1, v12
	v_add_u32_e32 v54, -1, v54
	v_min_u32_e32 v54, v12, v54
	ds_read_u8 v54, v54
	v_cndmask_b32_e64 v2, v2, v12, s[6:7]
	v_cndmask_b32_e64 v10, v12, v10, s[6:7]
	v_cmp_lt_u32_e64 s[16:17], v2, v65
	v_cmp_ge_u32_e64 s[14:15], v10, v81
	s_waitcnt lgkmcnt(0)
	v_cndmask_b32_e64 v67, v54, v64, s[6:7]
	v_cndmask_b32_e64 v68, v66, v54, s[6:7]
	v_cmp_le_i16_sdwa s[18:19], sext(v68), sext(v67) src0_sel:BYTE_0 src1_sel:BYTE_0
	s_and_b64 s[16:17], s[16:17], s[18:19]
	s_or_b64 s[54:55], s[14:15], s[16:17]
	v_cndmask_b32_e64 v12, v10, v2, s[54:55]
	v_cndmask_b32_e64 v54, v81, v65, s[54:55]
	v_add_u32_e32 v12, 1, v12
	v_add_u32_e32 v54, -1, v54
	v_min_u32_e32 v54, v12, v54
	ds_read_u8 v54, v54
	v_cndmask_b32_e64 v2, v2, v12, s[54:55]
	v_cndmask_b32_e64 v10, v12, v10, s[54:55]
	v_cmp_lt_u32_e64 s[16:17], v2, v65
	v_cmp_ge_u32_e64 s[14:15], v10, v81
	s_waitcnt lgkmcnt(0)
	v_cndmask_b32_e64 v69, v54, v67, s[54:55]
	v_cndmask_b32_e64 v70, v68, v54, s[54:55]
	v_cmp_le_i16_sdwa s[18:19], sext(v70), sext(v69) src0_sel:BYTE_0 src1_sel:BYTE_0
	s_and_b64 s[16:17], s[16:17], s[18:19]
	s_or_b64 s[14:15], s[14:15], s[16:17]
	v_cndmask_b32_e64 v12, v10, v2, s[14:15]
	v_cndmask_b32_e64 v54, v81, v65, s[14:15]
	v_add_u32_e32 v12, 1, v12
	v_add_u32_e32 v54, -1, v54
	v_min_u32_e32 v54, v12, v54
	ds_read_u8 v54, v54
	v_cndmask_b32_e64 v2, v2, v12, s[14:15]
	v_cndmask_b32_e64 v10, v12, v10, s[14:15]
	v_cmp_lt_u32_e64 s[18:19], v2, v65
	v_cmp_ge_u32_e64 s[16:17], v10, v81
	s_waitcnt lgkmcnt(0)
	v_cndmask_b32_e64 v71, v54, v69, s[14:15]
	v_cndmask_b32_e64 v80, v70, v54, s[14:15]
	v_cmp_le_i16_sdwa s[20:21], sext(v80), sext(v71) src0_sel:BYTE_0 src1_sel:BYTE_0
	s_and_b64 s[18:19], s[18:19], s[20:21]
	s_or_b64 s[18:19], s[16:17], s[18:19]
	v_cndmask_b32_e64 v12, v10, v2, s[18:19]
	v_cndmask_b32_e64 v54, v81, v65, s[18:19]
	v_add_u32_e32 v12, 1, v12
	v_add_u32_e32 v54, -1, v54
	v_min_u32_e32 v54, v12, v54
	ds_read_u8 v54, v54
	v_cndmask_b32_e64 v2, v2, v12, s[18:19]
	v_cndmask_b32_e64 v10, v12, v10, s[18:19]
	v_cmp_lt_u32_e64 s[20:21], v2, v65
	v_cmp_ge_u32_e64 s[16:17], v10, v81
	s_waitcnt lgkmcnt(0)
	v_cndmask_b32_e64 v82, v54, v71, s[18:19]
	v_cndmask_b32_e64 v83, v80, v54, s[18:19]
	v_cmp_le_i16_sdwa s[22:23], sext(v83), sext(v82) src0_sel:BYTE_0 src1_sel:BYTE_0
	s_and_b64 s[20:21], s[20:21], s[22:23]
	s_or_b64 s[16:17], s[16:17], s[20:21]
	v_cndmask_b32_e64 v12, v10, v2, s[16:17]
	v_cndmask_b32_e64 v54, v81, v65, s[16:17]
	v_add_u32_e32 v12, 1, v12
	v_add_u32_e32 v54, -1, v54
	v_min_u32_e32 v54, v12, v54
	ds_read_u8 v54, v54
	v_cndmask_b32_e64 v2, v2, v12, s[16:17]
	v_cndmask_b32_e64 v10, v12, v10, s[16:17]
	v_cmp_lt_u32_e64 s[22:23], v2, v65
	v_cmp_ge_u32_e64 s[20:21], v10, v81
	s_waitcnt lgkmcnt(0)
	v_cndmask_b32_e64 v84, v54, v82, s[16:17]
	v_cndmask_b32_e64 v85, v83, v54, s[16:17]
	v_cmp_le_i16_sdwa s[24:25], sext(v85), sext(v84) src0_sel:BYTE_0 src1_sel:BYTE_0
	s_and_b64 s[22:23], s[22:23], s[24:25]
	s_or_b64 s[20:21], s[20:21], s[22:23]
	v_cndmask_b32_e64 v12, v10, v2, s[20:21]
	v_cndmask_b32_e64 v54, v81, v65, s[20:21]
	v_add_u32_e32 v12, 1, v12
	v_add_u32_e32 v54, -1, v54
	v_min_u32_e32 v54, v12, v54
	ds_read_u8 v54, v54
	v_cndmask_b32_e64 v2, v2, v12, s[20:21]
	v_cndmask_b32_e64 v10, v12, v10, s[20:21]
	v_cmp_lt_u32_e64 s[24:25], v2, v65
	v_cmp_ge_u32_e64 s[22:23], v10, v81
	s_waitcnt lgkmcnt(0)
	v_cndmask_b32_e64 v86, v54, v84, s[20:21]
	v_cndmask_b32_e64 v87, v85, v54, s[20:21]
	v_cmp_le_i16_sdwa s[26:27], sext(v87), sext(v86) src0_sel:BYTE_0 src1_sel:BYTE_0
	s_and_b64 s[24:25], s[24:25], s[26:27]
	s_or_b64 s[22:23], s[22:23], s[24:25]
	v_cndmask_b32_e64 v12, v10, v2, s[22:23]
	v_cndmask_b32_e64 v54, v81, v65, s[22:23]
	v_add_u32_e32 v12, 1, v12
	v_add_u32_e32 v54, -1, v54
	v_min_u32_e32 v54, v12, v54
	ds_read_u8 v54, v54
	v_cndmask_b32_e64 v2, v2, v12, s[22:23]
	v_cndmask_b32_e64 v10, v12, v10, s[22:23]
	v_cmp_lt_u32_e64 s[26:27], v2, v65
	v_cmp_ge_u32_e64 s[24:25], v10, v81
	s_waitcnt lgkmcnt(0)
	v_cndmask_b32_e64 v96, v54, v86, s[22:23]
	v_cndmask_b32_e64 v97, v87, v54, s[22:23]
	v_cmp_le_i16_sdwa s[28:29], sext(v97), sext(v96) src0_sel:BYTE_0 src1_sel:BYTE_0
	s_and_b64 s[26:27], s[26:27], s[28:29]
	s_or_b64 s[26:27], s[24:25], s[26:27]
	v_cndmask_b32_e64 v12, v10, v2, s[26:27]
	v_cndmask_b32_e64 v54, v81, v65, s[26:27]
	v_add_u32_e32 v12, 1, v12
	v_add_u32_e32 v54, -1, v54
	v_min_u32_e32 v54, v12, v54
	ds_read_u8 v54, v54
	v_cndmask_b32_e64 v2, v2, v12, s[26:27]
	v_cndmask_b32_e64 v10, v12, v10, s[26:27]
	v_cmp_lt_u32_e64 s[28:29], v2, v65
	v_cmp_ge_u32_e64 s[24:25], v10, v81
	s_waitcnt lgkmcnt(0)
	v_cndmask_b32_e64 v98, v54, v96, s[26:27]
	v_cndmask_b32_e64 v99, v97, v54, s[26:27]
	v_cmp_le_i16_sdwa s[30:31], sext(v99), sext(v98) src0_sel:BYTE_0 src1_sel:BYTE_0
	s_and_b64 s[28:29], s[28:29], s[30:31]
	s_or_b64 s[24:25], s[24:25], s[28:29]
	v_cndmask_b32_e64 v12, v10, v2, s[24:25]
	v_cndmask_b32_e64 v54, v81, v65, s[24:25]
	v_add_u32_e32 v12, 1, v12
	v_add_u32_e32 v54, -1, v54
	v_min_u32_e32 v54, v12, v54
	ds_read_u8 v54, v54
	v_cndmask_b32_e64 v2, v2, v12, s[24:25]
	v_cndmask_b32_e64 v10, v12, v10, s[24:25]
	v_cmp_lt_u32_e64 s[30:31], v2, v65
	v_cmp_ge_u32_e64 s[28:29], v10, v81
	s_waitcnt lgkmcnt(0)
	v_cndmask_b32_e64 v100, v54, v98, s[24:25]
	v_cndmask_b32_e64 v101, v99, v54, s[24:25]
	v_cmp_le_i16_sdwa s[34:35], sext(v101), sext(v100) src0_sel:BYTE_0 src1_sel:BYTE_0
	s_and_b64 s[30:31], s[30:31], s[34:35]
	s_or_b64 s[28:29], s[28:29], s[30:31]
	v_cndmask_b32_e64 v12, v10, v2, s[28:29]
	v_cndmask_b32_e64 v54, v81, v65, s[28:29]
	v_add_u32_e32 v12, 1, v12
	v_add_u32_e32 v54, -1, v54
	v_min_u32_e32 v54, v12, v54
	ds_read_u8 v54, v54
	v_cndmask_b32_e64 v2, v2, v12, s[28:29]
	v_cndmask_b32_e64 v10, v12, v10, s[28:29]
	v_cmp_lt_u32_e64 s[34:35], v2, v65
	v_cmp_ge_u32_e64 s[30:31], v10, v81
	s_waitcnt lgkmcnt(0)
	v_cndmask_b32_e64 v102, v54, v100, s[28:29]
	v_cndmask_b32_e64 v103, v101, v54, s[28:29]
	v_cmp_le_i16_sdwa s[36:37], sext(v103), sext(v102) src0_sel:BYTE_0 src1_sel:BYTE_0
	s_and_b64 s[34:35], s[34:35], s[36:37]
	s_or_b64 s[30:31], s[30:31], s[34:35]
	v_cndmask_b32_e64 v12, v10, v2, s[30:31]
	v_cndmask_b32_e64 v54, v81, v65, s[30:31]
	v_add_u32_e32 v12, 1, v12
	v_add_u32_e32 v54, -1, v54
	v_min_u32_e32 v54, v12, v54
	ds_read_u8 v54, v54
	v_cndmask_b32_e64 v2, v2, v12, s[30:31]
	v_cndmask_b32_e64 v10, v12, v10, s[30:31]
	v_cmp_lt_u32_e64 s[36:37], v2, v65
	v_cmp_ge_u32_e64 s[34:35], v10, v81
	s_waitcnt lgkmcnt(0)
	v_cndmask_b32_e64 v112, v54, v102, s[30:31]
	v_cndmask_b32_e64 v113, v103, v54, s[30:31]
	v_cmp_le_i16_sdwa s[38:39], sext(v113), sext(v112) src0_sel:BYTE_0 src1_sel:BYTE_0
	s_and_b64 s[36:37], s[36:37], s[38:39]
	s_or_b64 s[36:37], s[34:35], s[36:37]
	v_cndmask_b32_e64 v12, v10, v2, s[36:37]
	v_cndmask_b32_e64 v54, v81, v65, s[36:37]
	v_add_u32_e32 v12, 1, v12
	v_add_u32_e32 v54, -1, v54
	v_min_u32_e32 v54, v12, v54
	ds_read_u8 v54, v54
	v_cndmask_b32_e64 v2, v2, v12, s[36:37]
	v_cndmask_b32_e64 v10, v12, v10, s[36:37]
	v_cmp_lt_u32_e64 s[38:39], v2, v65
	v_cmp_ge_u32_e64 s[34:35], v10, v81
	s_waitcnt lgkmcnt(0)
	v_cndmask_b32_e64 v114, v54, v112, s[36:37]
	v_cndmask_b32_e64 v115, v113, v54, s[36:37]
	v_cmp_le_i16_sdwa s[40:41], sext(v115), sext(v114) src0_sel:BYTE_0 src1_sel:BYTE_0
	s_and_b64 s[38:39], s[38:39], s[40:41]
	s_or_b64 s[34:35], s[34:35], s[38:39]
	v_cndmask_b32_e64 v12, v10, v2, s[34:35]
	v_cndmask_b32_e64 v54, v81, v65, s[34:35]
	v_add_u32_e32 v12, 1, v12
	v_add_u32_e32 v54, -1, v54
	v_min_u32_e32 v54, v12, v54
	ds_read_u8 v54, v54
	v_cndmask_b32_e64 v2, v2, v12, s[34:35]
	v_cndmask_b32_e64 v10, v12, v10, s[34:35]
	v_cmp_lt_u32_e64 s[40:41], v2, v65
	v_cmp_ge_u32_e64 s[38:39], v10, v81
	s_waitcnt lgkmcnt(0)
	v_cndmask_b32_e64 v116, v54, v114, s[34:35]
	v_cndmask_b32_e64 v117, v115, v54, s[34:35]
	v_cmp_le_i16_sdwa s[42:43], sext(v117), sext(v116) src0_sel:BYTE_0 src1_sel:BYTE_0
	s_and_b64 s[40:41], s[40:41], s[42:43]
	s_or_b64 s[38:39], s[38:39], s[40:41]
	v_cndmask_b32_e64 v12, v10, v2, s[38:39]
	v_cndmask_b32_e64 v54, v81, v65, s[38:39]
	v_add_u32_e32 v12, 1, v12
	v_add_u32_e32 v54, -1, v54
	v_min_u32_e32 v54, v12, v54
	ds_read_u8 v54, v54
	v_cndmask_b32_e64 v2, v2, v12, s[38:39]
	v_cndmask_b32_e64 v10, v12, v10, s[38:39]
	v_cmp_lt_u32_e64 s[42:43], v2, v65
	v_cmp_ge_u32_e64 s[40:41], v10, v81
	s_waitcnt lgkmcnt(0)
	v_cndmask_b32_e64 v118, v54, v116, s[38:39]
	v_cndmask_b32_e64 v119, v117, v54, s[38:39]
	v_cmp_le_i16_sdwa s[44:45], sext(v119), sext(v118) src0_sel:BYTE_0 src1_sel:BYTE_0
	s_and_b64 s[42:43], s[42:43], s[44:45]
	s_or_b64 s[40:41], s[40:41], s[42:43]
	v_cndmask_b32_e64 v12, v10, v2, s[40:41]
	v_cndmask_b32_e64 v54, v81, v65, s[40:41]
	v_add_u32_e32 v12, 1, v12
	v_add_u32_e32 v54, -1, v54
	v_min_u32_e32 v54, v12, v54
	ds_read_u8 v54, v54
	v_cndmask_b32_e64 v2, v2, v12, s[40:41]
	v_cndmask_b32_e64 v10, v12, v10, s[40:41]
	v_cmp_lt_u32_e64 s[44:45], v2, v65
	v_cmp_ge_u32_e64 s[42:43], v10, v81
	s_waitcnt lgkmcnt(0)
	v_cndmask_b32_e64 v128, v54, v118, s[40:41]
	v_cndmask_b32_e64 v129, v119, v54, s[40:41]
	v_cmp_le_i16_sdwa s[46:47], sext(v129), sext(v128) src0_sel:BYTE_0 src1_sel:BYTE_0
	s_and_b64 s[44:45], s[44:45], s[46:47]
	s_or_b64 s[44:45], s[42:43], s[44:45]
	v_cndmask_b32_e64 v12, v10, v2, s[44:45]
	v_cndmask_b32_e64 v54, v81, v65, s[44:45]
	v_add_u32_e32 v12, 1, v12
	v_add_u32_e32 v54, -1, v54
	v_min_u32_e32 v54, v12, v54
	ds_read_u8 v54, v54
	v_cndmask_b32_e64 v2, v2, v12, s[44:45]
	v_cndmask_b32_e64 v10, v12, v10, s[44:45]
	v_cmp_lt_u32_e64 s[46:47], v2, v65
	v_cmp_ge_u32_e64 s[42:43], v10, v81
	s_waitcnt lgkmcnt(0)
	v_cndmask_b32_e64 v130, v54, v128, s[44:45]
	v_cndmask_b32_e64 v131, v129, v54, s[44:45]
	v_cmp_le_i16_sdwa s[48:49], sext(v131), sext(v130) src0_sel:BYTE_0 src1_sel:BYTE_0
	s_and_b64 s[46:47], s[46:47], s[48:49]
	s_or_b64 s[42:43], s[42:43], s[46:47]
	v_cndmask_b32_e64 v12, v10, v2, s[42:43]
	v_cndmask_b32_e64 v54, v81, v65, s[42:43]
	v_add_u32_e32 v12, 1, v12
	v_add_u32_e32 v54, -1, v54
	v_min_u32_e32 v54, v12, v54
	ds_read_u8 v54, v54
	v_cndmask_b32_e64 v2, v2, v12, s[42:43]
	v_cndmask_b32_e64 v10, v12, v10, s[42:43]
	v_cmp_lt_u32_e64 s[48:49], v2, v65
	v_cmp_ge_u32_e64 s[46:47], v10, v81
	s_waitcnt lgkmcnt(0)
	v_cndmask_b32_e64 v132, v54, v130, s[42:43]
	v_cndmask_b32_e64 v133, v131, v54, s[42:43]
	v_cmp_le_i16_sdwa s[50:51], sext(v133), sext(v132) src0_sel:BYTE_0 src1_sel:BYTE_0
	s_and_b64 s[48:49], s[48:49], s[50:51]
	s_or_b64 s[46:47], s[46:47], s[48:49]
	v_cndmask_b32_e64 v12, v10, v2, s[46:47]
	v_cndmask_b32_e64 v54, v81, v65, s[46:47]
	v_add_u32_e32 v12, 1, v12
	v_add_u32_e32 v54, -1, v54
	v_min_u32_e32 v54, v12, v54
	ds_read_u8 v54, v54
	v_cndmask_b32_e64 v2, v2, v12, s[46:47]
	v_cndmask_b32_e64 v10, v12, v10, s[46:47]
	v_cmp_lt_u32_e64 s[50:51], v2, v65
	v_cmp_ge_u32_e64 s[48:49], v10, v81
	s_waitcnt lgkmcnt(0)
	v_cndmask_b32_e64 v134, v54, v132, s[46:47]
	v_cndmask_b32_e64 v135, v133, v54, s[46:47]
	v_cmp_le_i16_sdwa s[52:53], sext(v135), sext(v134) src0_sel:BYTE_0 src1_sel:BYTE_0
	s_and_b64 s[50:51], s[50:51], s[52:53]
	s_or_b64 s[48:49], s[48:49], s[50:51]
	v_cndmask_b32_e64 v12, v10, v2, s[48:49]
	v_cndmask_b32_e64 v54, v81, v65, s[48:49]
	v_add_u32_e32 v12, 1, v12
	v_add_u32_e32 v54, -1, v54
	v_min_u32_e32 v54, v12, v54
	ds_read_u8 v54, v54
	v_cndmask_b32_e64 v2, v2, v12, s[48:49]
	v_cndmask_b32_e64 v10, v12, v10, s[48:49]
	v_cmp_lt_u32_e64 s[52:53], v2, v65
	v_cmp_ge_u32_e64 s[50:51], v10, v81
	s_waitcnt lgkmcnt(0)
	v_cndmask_b32_e64 v144, v54, v134, s[48:49]
	v_cndmask_b32_e64 v145, v135, v54, s[48:49]
	v_cmp_le_i16_sdwa s[56:57], sext(v145), sext(v144) src0_sel:BYTE_0 src1_sel:BYTE_0
	s_and_b64 s[52:53], s[52:53], s[56:57]
	s_or_b64 s[52:53], s[50:51], s[52:53]
	v_cndmask_b32_e64 v12, v10, v2, s[52:53]
	v_cndmask_b32_e64 v54, v81, v65, s[52:53]
	v_add_u32_e32 v12, 1, v12
	v_add_u32_e32 v54, -1, v54
	v_min_u32_e32 v54, v12, v54
	ds_read_u8 v54, v54
	v_cndmask_b32_e64 v2, v2, v12, s[52:53]
	v_cndmask_b32_e64 v10, v12, v10, s[52:53]
	v_cmp_lt_u32_e64 s[56:57], v2, v65
	v_cmp_ge_u32_e64 s[50:51], v10, v81
	s_waitcnt lgkmcnt(0)
	v_cndmask_b32_e64 v146, v54, v144, s[52:53]
	v_cndmask_b32_e64 v147, v145, v54, s[52:53]
	v_cmp_le_i16_sdwa s[64:65], sext(v147), sext(v146) src0_sel:BYTE_0 src1_sel:BYTE_0
	s_and_b64 s[56:57], s[56:57], s[64:65]
	s_or_b64 s[50:51], s[50:51], s[56:57]
	v_cndmask_b32_e64 v12, v10, v2, s[50:51]
	v_cndmask_b32_e64 v54, v81, v65, s[50:51]
	v_add_u32_e32 v12, 1, v12
	v_add_u32_e32 v54, -1, v54
	v_min_u32_e32 v54, v12, v54
	ds_read_u8 v148, v54
	v_cndmask_b32_e64 v55, v55, v13, s[10:11]
	v_cndmask_b32_e64 v2, v2, v12, s[50:51]
	;; [unrolled: 1-line block ×4, first 2 shown]
	s_waitcnt lgkmcnt(0)
	v_cndmask_b32_e64 v13, v148, v146, s[50:51]
	v_cndmask_b32_e64 v148, v147, v148, s[50:51]
	v_cmp_lt_u32_e64 s[4:5], v2, v65
	v_cmp_le_i16_sdwa s[10:11], sext(v148), sext(v13) src0_sel:BYTE_0 src1_sel:BYTE_0
	v_cndmask_b32_e32 v0, v1, v0, vcc
	v_cmp_ge_u32_e32 vcc, v3, v81
	s_and_b64 s[4:5], s[4:5], s[10:11]
	s_or_b64 vcc, vcc, s[4:5]
	v_cndmask_b32_e32 v1, v3, v2, vcc
	v_cndmask_b32_e32 v10, v81, v65, vcc
	v_add_u32_e32 v11, 1, v1
	v_add_u32_e32 v1, -1, v10
	v_min_u32_e32 v1, v11, v1
	ds_read_u8 v10, v1
	v_cndmask_b32_e64 v64, v64, v66, s[6:7]
	v_cndmask_b32_e32 v3, v11, v3, vcc
	v_cmp_ge_u32_e64 s[4:5], v3, v81
	v_cndmask_b32_e64 v1, v67, v68, s[54:55]
	s_waitcnt lgkmcnt(0)
	v_cndmask_b32_e32 v149, v10, v13, vcc
	v_cndmask_b32_e32 v150, v148, v10, vcc
	;; [unrolled: 1-line block ×3, first 2 shown]
	v_cmp_lt_u32_e64 s[6:7], v10, v65
	v_cmp_le_i16_sdwa s[10:11], sext(v150), sext(v149) src0_sel:BYTE_0 src1_sel:BYTE_0
	s_and_b64 s[6:7], s[6:7], s[10:11]
	s_or_b64 s[4:5], s[4:5], s[6:7]
	v_cndmask_b32_e64 v2, v3, v10, s[4:5]
	v_cndmask_b32_e64 v11, v81, v65, s[4:5]
	v_add_u32_e32 v12, 1, v2
	v_add_u32_e32 v2, -1, v11
	v_min_u32_e32 v2, v12, v2
	ds_read_u8 v11, v2
	v_cndmask_b32_e64 v68, v82, v83, s[16:17]
	v_cndmask_b32_e64 v2, v84, v85, s[20:21]
	;; [unrolled: 1-line block ×4, first 2 shown]
	s_waitcnt lgkmcnt(0)
	v_cndmask_b32_e64 v82, v11, v149, s[4:5]
	v_cndmask_b32_e64 v84, v150, v11, s[4:5]
	;; [unrolled: 1-line block ×3, first 2 shown]
	v_cmp_lt_u32_e64 s[10:11], v10, v65
	v_cmp_le_i16_sdwa s[14:15], sext(v84), sext(v82) src0_sel:BYTE_0 src1_sel:BYTE_0
	v_cmp_ge_u32_e64 s[6:7], v11, v81
	s_and_b64 s[10:11], s[10:11], s[14:15]
	s_or_b64 s[6:7], s[6:7], s[10:11]
	v_cndmask_b32_e64 v3, v11, v10, s[6:7]
	v_cndmask_b32_e64 v12, v81, v65, s[6:7]
	v_add_u32_e32 v85, 1, v3
	v_add_u32_e32 v3, -1, v12
	v_min_u32_e32 v3, v85, v3
	ds_read_u8 v12, v3
	v_cndmask_b32_e64 v67, v71, v80, s[18:19]
	v_cndmask_b32_e64 v80, v102, v103, s[30:31]
	v_cndmask_b32_e64 v11, v85, v11, s[6:7]
	v_cmp_ge_u32_e64 s[10:11], v11, v81
	s_waitcnt lgkmcnt(0)
	v_cndmask_b32_e64 v102, v12, v82, s[6:7]
	v_cndmask_b32_e64 v103, v84, v12, s[6:7]
	;; [unrolled: 1-line block ×3, first 2 shown]
	v_cmp_lt_u32_e64 s[14:15], v12, v65
	v_cmp_le_i16_sdwa s[16:17], sext(v103), sext(v102) src0_sel:BYTE_0 src1_sel:BYTE_0
	s_and_b64 s[14:15], s[14:15], s[16:17]
	s_or_b64 s[10:11], s[10:11], s[14:15]
	v_cndmask_b32_e64 v10, v11, v12, s[10:11]
	v_cndmask_b32_e64 v85, v81, v65, s[10:11]
	;; [unrolled: 1-line block ×3, first 2 shown]
	v_add_u32_e32 v96, 1, v10
	v_add_u32_e32 v10, -1, v85
	v_min_u32_e32 v10, v96, v10
	ds_read_u8 v97, v10
	v_cndmask_b32_e64 v83, v112, v113, s[36:37]
	v_cndmask_b32_e64 v12, v12, v96, s[10:11]
	;; [unrolled: 1-line block ×4, first 2 shown]
	s_waitcnt lgkmcnt(0)
	v_cndmask_b32_e64 v112, v97, v102, s[10:11]
	v_cndmask_b32_e64 v113, v103, v97, s[10:11]
	v_cmp_lt_u32_e64 s[16:17], v12, v65
	v_cmp_le_i16_sdwa s[18:19], sext(v113), sext(v112) src0_sel:BYTE_0 src1_sel:BYTE_0
	v_cmp_ge_u32_e64 s[14:15], v99, v81
	s_and_b64 s[16:17], s[16:17], s[18:19]
	s_or_b64 s[14:15], s[14:15], s[16:17]
	v_cndmask_b32_e64 v11, v99, v12, s[14:15]
	v_cndmask_b32_e64 v96, v81, v65, s[14:15]
	;; [unrolled: 1-line block ×3, first 2 shown]
	v_add_u32_e32 v100, 1, v11
	v_add_u32_e32 v11, -1, v96
	v_min_u32_e32 v11, v100, v11
	ds_read_u8 v101, v11
	v_cndmask_b32_e64 v85, v114, v115, s[34:35]
	v_cndmask_b32_e64 v10, v116, v117, s[38:39]
	v_cndmask_b32_e64 v117, v12, v100, s[14:15]
	v_cndmask_b32_e64 v116, v100, v99, s[14:15]
	s_waitcnt lgkmcnt(0)
	v_cndmask_b32_e64 v114, v101, v112, s[14:15]
	v_cndmask_b32_e64 v115, v113, v101, s[14:15]
	v_cmp_lt_u32_e64 s[18:19], v117, v65
	v_cmp_le_i16_sdwa s[20:21], sext(v115), sext(v114) src0_sel:BYTE_0 src1_sel:BYTE_0
	v_cmp_ge_u32_e64 s[16:17], v116, v81
	s_and_b64 s[18:19], s[18:19], s[20:21]
	s_or_b64 s[16:17], s[16:17], s[18:19]
	v_cndmask_b32_e64 v12, v116, v117, s[16:17]
	v_cndmask_b32_e64 v99, v81, v65, s[16:17]
	;; [unrolled: 1-line block ×4, first 2 shown]
	v_add_u32_e32 v118, 1, v12
	v_add_u32_e32 v12, -1, v99
	v_min_u32_e32 v12, v118, v12
	ds_read_u8 v119, v12
	v_cndmask_b32_e64 v101, v82, v84, s[6:7]
	v_cndmask_b32_e64 v117, v117, v118, s[16:17]
	;; [unrolled: 1-line block ×4, first 2 shown]
	s_waitcnt lgkmcnt(0)
	v_cndmask_b32_e64 v82, v119, v114, s[16:17]
	v_cndmask_b32_e64 v84, v115, v119, s[16:17]
	v_cmp_lt_u32_e64 s[4:5], v117, v65
	v_cmp_le_i16_sdwa s[6:7], sext(v84), sext(v82) src0_sel:BYTE_0 src1_sel:BYTE_0
	v_cndmask_b32_e32 v12, v13, v148, vcc
	v_cmp_ge_u32_e32 vcc, v116, v81
	s_and_b64 s[4:5], s[4:5], s[6:7]
	s_or_b64 vcc, vcc, s[4:5]
	v_cndmask_b32_e32 v13, v116, v117, vcc
	v_cndmask_b32_e32 v118, v81, v65, vcc
	v_add_u32_e32 v119, 1, v13
	v_add_u32_e32 v13, -1, v118
	v_min_u32_e32 v13, v119, v13
	ds_read_u8 v118, v13
	v_cndmask_b32_e64 v102, v102, v103, s[10:11]
	v_cndmask_b32_e64 v13, v112, v113, s[14:15]
	;; [unrolled: 1-line block ×3, first 2 shown]
	v_cndmask_b32_e32 v112, v82, v84, vcc
	s_waitcnt lgkmcnt(0)
	v_cndmask_b32_e32 v84, v84, v118, vcc
	v_cndmask_b32_e32 v82, v118, v82, vcc
	;; [unrolled: 1-line block ×4, first 2 shown]
	v_min_i16_sdwa v115, sext(v84), sext(v82) dst_sel:DWORD dst_unused:UNUSED_PAD src0_sel:BYTE_0 src1_sel:BYTE_0
	v_cmp_lt_u32_e32 vcc, v114, v65
	v_cndmask_b32_e32 v65, v82, v115, vcc
	v_cmp_lt_u32_e32 vcc, v113, v81
	v_cndmask_b32_e64 v87, v128, v129, s[44:45]
	v_cndmask_b32_e64 v96, v130, v131, s[42:43]
	;; [unrolled: 1-line block ×6, first 2 shown]
	v_cndmask_b32_e32 v113, v84, v65, vcc
.LBB2701_58:                            ;   in Loop: Header=BB2701_48 Depth=1
	s_or_b64 exec, exec, s[60:61]
	s_cmpk_lt_u32 s62, 0x1000
	s_barrier
	s_cbranch_scc0 .LBB2701_60
; %bb.59:                               ;   in Loop: Header=BB2701_48 Depth=1
	s_mov_b32 s62, s63
	s_branch .LBB2701_48
.LBB2701_60:
	v_lshlrev_b16_e32 v7, 8, v66
	v_or_b32_sdwa v1, v1, v7 dst_sel:DWORD dst_unused:UNUSED_PAD src0_sel:BYTE_0 src1_sel:DWORD
	v_lshlrev_b16_e32 v7, 8, v68
	v_or_b32_sdwa v7, v67, v7 dst_sel:WORD_1 dst_unused:UNUSED_PAD src0_sel:BYTE_0 src1_sel:DWORD
	v_or_b32_sdwa v1, v1, v7 dst_sel:DWORD dst_unused:UNUSED_PAD src0_sel:WORD_0 src1_sel:DWORD
	v_lshlrev_b16_e32 v7, 8, v54
	v_or_b32_sdwa v0, v0, v7 dst_sel:DWORD dst_unused:UNUSED_PAD src0_sel:BYTE_0 src1_sel:DWORD
	v_lshlrev_b16_e32 v7, 8, v64
	v_or_b32_sdwa v7, v55, v7 dst_sel:WORD_1 dst_unused:UNUSED_PAD src0_sel:BYTE_0 src1_sel:DWORD
	v_or_b32_sdwa v0, v0, v7 dst_sel:DWORD dst_unused:UNUSED_PAD src0_sel:WORD_0 src1_sel:DWORD
	s_barrier
	ds_write2_b32 v53, v0, v1 offset1:1
	v_lshlrev_b16_e32 v0, 8, v80
	v_lshlrev_b16_e32 v1, 8, v85
	v_or_b32_sdwa v0, v3, v0 dst_sel:DWORD dst_unused:UNUSED_PAD src0_sel:BYTE_0 src1_sel:DWORD
	v_or_b32_sdwa v1, v83, v1 dst_sel:WORD_1 dst_unused:UNUSED_PAD src0_sel:BYTE_0 src1_sel:DWORD
	v_or_b32_sdwa v0, v0, v1 dst_sel:DWORD dst_unused:UNUSED_PAD src0_sel:WORD_0 src1_sel:DWORD
	v_lshlrev_b16_e32 v1, 8, v69
	v_or_b32_sdwa v1, v2, v1 dst_sel:DWORD dst_unused:UNUSED_PAD src0_sel:BYTE_0 src1_sel:DWORD
	v_lshlrev_b16_e32 v2, 8, v71
	v_or_b32_sdwa v2, v70, v2 dst_sel:WORD_1 dst_unused:UNUSED_PAD src0_sel:BYTE_0 src1_sel:DWORD
	v_or_b32_sdwa v1, v1, v2 dst_sel:DWORD dst_unused:UNUSED_PAD src0_sel:WORD_0 src1_sel:DWORD
	ds_write2_b32 v53, v1, v0 offset0:2 offset1:3
	v_lshlrev_b16_e32 v0, 8, v97
	v_lshlrev_b16_e32 v1, 8, v99
	v_or_b32_sdwa v0, v11, v0 dst_sel:DWORD dst_unused:UNUSED_PAD src0_sel:BYTE_0 src1_sel:DWORD
	v_or_b32_sdwa v1, v98, v1 dst_sel:WORD_1 dst_unused:UNUSED_PAD src0_sel:BYTE_0 src1_sel:DWORD
	v_or_b32_sdwa v0, v0, v1 dst_sel:DWORD dst_unused:UNUSED_PAD src0_sel:WORD_0 src1_sel:DWORD
	v_lshlrev_b16_e32 v1, 8, v86
	v_lshlrev_b16_e32 v2, 8, v96
	v_or_b32_sdwa v1, v10, v1 dst_sel:DWORD dst_unused:UNUSED_PAD src0_sel:BYTE_0 src1_sel:DWORD
	v_or_b32_sdwa v2, v87, v2 dst_sel:WORD_1 dst_unused:UNUSED_PAD src0_sel:BYTE_0 src1_sel:DWORD
	v_or_b32_sdwa v1, v1, v2 dst_sel:DWORD dst_unused:UNUSED_PAD src0_sel:WORD_0 src1_sel:DWORD
	ds_write2_b32 v53, v1, v0 offset0:4 offset1:5
	v_lshlrev_b16_e32 v0, 8, v103
	v_lshlrev_b16_e32 v1, 8, v113
	v_or_b32_sdwa v0, v13, v0 dst_sel:DWORD dst_unused:UNUSED_PAD src0_sel:BYTE_0 src1_sel:DWORD
	v_or_b32_sdwa v1, v112, v1 dst_sel:WORD_1 dst_unused:UNUSED_PAD src0_sel:BYTE_0 src1_sel:DWORD
	v_or_b32_sdwa v0, v0, v1 dst_sel:DWORD dst_unused:UNUSED_PAD src0_sel:WORD_0 src1_sel:DWORD
	v_lshlrev_b16_e32 v1, 8, v100
	v_lshlrev_b16_e32 v2, 8, v102
	v_or_b32_sdwa v1, v12, v1 dst_sel:DWORD dst_unused:UNUSED_PAD src0_sel:BYTE_0 src1_sel:DWORD
	v_or_b32_sdwa v2, v101, v2 dst_sel:WORD_1 dst_unused:UNUSED_PAD src0_sel:BYTE_0 src1_sel:DWORD
	v_or_b32_sdwa v1, v1, v2 dst_sel:DWORD dst_unused:UNUSED_PAD src0_sel:WORD_0 src1_sel:DWORD
	ds_write2_b32 v53, v1, v0 offset0:6 offset1:7
	s_waitcnt lgkmcnt(0)
	s_barrier
	ds_read_u8 v2, v8
	ds_read_u8 v3, v14 offset:256
	ds_read_u8 v7, v15 offset:512
	;; [unrolled: 1-line block ×31, first 2 shown]
	v_add_co_u32_e32 v0, vcc, v4, v6
	v_addc_co_u32_e32 v1, vcc, 0, v5, vcc
	s_movk_i32 s4, 0x1000
	s_waitcnt lgkmcnt(14)
	flat_store_byte v[0:1], v2
	flat_store_byte v[0:1], v3 offset:256
	flat_store_byte v[0:1], v7 offset:512
	;; [unrolled: 1-line block ×15, first 2 shown]
	v_add_co_u32_e32 v0, vcc, s4, v0
	s_mov_b64 s[36:37], exec
	v_addc_co_u32_e32 v1, vcc, 0, v1, vcc
	flat_store_byte v[0:1], v23
	flat_store_byte v[0:1], v24 offset:256
	s_waitcnt lgkmcnt(0)
	flat_store_byte v[0:1], v25 offset:512
	flat_store_byte v[0:1], v26 offset:768
	;; [unrolled: 1-line block ×13, first 2 shown]
                                        ; implicit-def: $vgpr0
                                        ; implicit-def: $vgpr7
                                        ; implicit-def: $vgpr1
                                        ; implicit-def: $vgpr65
                                        ; implicit-def: $vgpr81
                                        ; implicit-def: $vgpr2
                                        ; implicit-def: $vgpr3
	s_andn2_saveexec_b64 s[38:39], s[58:59]
	s_cbranch_execz .LBB2701_2
.LBB2701_61:
	v_cmp_lt_u32_e64 s[6:7], v6, v0
                                        ; implicit-def: $vgpr8
	s_mov_b64 s[4:5], exec
                                        ; implicit-def: $vgpr42 : SGPR spill to VGPR lane
	v_writelane_b32 v42, s6, 0
	v_writelane_b32 v42, s7, 1
	s_and_b64 s[6:7], s[4:5], s[6:7]
	s_mov_b64 exec, s[6:7]
	s_cbranch_execz .LBB2701_63
; %bb.62:
	v_add_co_u32_e32 v8, vcc, v2, v6
	v_addc_co_u32_e32 v9, vcc, 0, v3, vcc
	flat_load_ubyte v8, v[8:9]
.LBB2701_63:
	s_or_b64 exec, exec, s[4:5]
	v_add_u32_e32 v9, 0x100, v6
	v_cmp_lt_u32_e64 s[6:7], v9, v0
                                        ; implicit-def: $vgpr10
	s_mov_b64 s[4:5], exec
	v_writelane_b32 v42, s6, 2
	v_writelane_b32 v42, s7, 3
	s_and_b64 s[6:7], s[4:5], s[6:7]
	s_mov_b64 exec, s[6:7]
	s_cbranch_execz .LBB2701_65
; %bb.64:
	v_add_co_u32_e32 v10, vcc, v2, v6
	v_addc_co_u32_e32 v11, vcc, 0, v3, vcc
	flat_load_ubyte v10, v[10:11] offset:256
.LBB2701_65:
	s_or_b64 exec, exec, s[4:5]
	v_add_u32_e32 v11, 0x200, v6
	v_cmp_lt_u32_e64 s[6:7], v11, v0
                                        ; implicit-def: $vgpr12
	s_mov_b64 s[4:5], exec
	v_writelane_b32 v42, s6, 4
	v_writelane_b32 v42, s7, 5
	s_and_b64 s[6:7], s[4:5], s[6:7]
	s_mov_b64 exec, s[6:7]
	s_cbranch_execz .LBB2701_67
; %bb.66:
	v_add_co_u32_e32 v12, vcc, v2, v6
	v_addc_co_u32_e32 v13, vcc, 0, v3, vcc
	flat_load_ubyte v12, v[12:13] offset:512
.LBB2701_67:
	s_or_b64 exec, exec, s[4:5]
	v_add_u32_e32 v13, 0x300, v6
	v_cmp_lt_u32_e64 s[6:7], v13, v0
                                        ; implicit-def: $vgpr14
	s_mov_b64 s[4:5], exec
	v_writelane_b32 v42, s6, 6
	v_writelane_b32 v42, s7, 7
	s_and_b64 s[6:7], s[4:5], s[6:7]
	s_mov_b64 exec, s[6:7]
	s_cbranch_execz .LBB2701_69
; %bb.68:
	v_add_co_u32_e32 v14, vcc, v2, v6
	v_addc_co_u32_e32 v15, vcc, 0, v3, vcc
	flat_load_ubyte v14, v[14:15] offset:768
.LBB2701_69:
	s_or_b64 exec, exec, s[4:5]
	v_or_b32_e32 v15, 0x400, v6
	v_cmp_lt_u32_e64 s[6:7], v15, v0
                                        ; implicit-def: $vgpr16
	s_mov_b64 s[4:5], exec
	v_writelane_b32 v42, s6, 8
	v_writelane_b32 v42, s7, 9
	s_and_b64 s[6:7], s[4:5], s[6:7]
	s_mov_b64 exec, s[6:7]
	s_cbranch_execz .LBB2701_71
; %bb.70:
	v_add_co_u32_e32 v16, vcc, v2, v6
	v_addc_co_u32_e32 v17, vcc, 0, v3, vcc
	flat_load_ubyte v16, v[16:17] offset:1024
.LBB2701_71:
	s_or_b64 exec, exec, s[4:5]
	v_add_u32_e32 v17, 0x500, v6
	v_cmp_lt_u32_e64 s[6:7], v17, v0
                                        ; implicit-def: $vgpr18
	s_mov_b64 s[4:5], exec
	v_writelane_b32 v42, s6, 10
	v_writelane_b32 v42, s7, 11
	s_and_b64 s[6:7], s[4:5], s[6:7]
	s_mov_b64 exec, s[6:7]
	s_cbranch_execz .LBB2701_73
; %bb.72:
	v_add_co_u32_e32 v18, vcc, v2, v6
	v_addc_co_u32_e32 v19, vcc, 0, v3, vcc
	flat_load_ubyte v18, v[18:19] offset:1280
.LBB2701_73:
	s_or_b64 exec, exec, s[4:5]
	v_add_u32_e32 v19, 0x600, v6
	v_cmp_lt_u32_e64 s[6:7], v19, v0
                                        ; implicit-def: $vgpr20
	s_mov_b64 s[4:5], exec
	v_writelane_b32 v42, s6, 12
	v_writelane_b32 v42, s7, 13
	s_and_b64 s[6:7], s[4:5], s[6:7]
	s_mov_b64 exec, s[6:7]
	s_cbranch_execz .LBB2701_75
; %bb.74:
	v_add_co_u32_e32 v20, vcc, v2, v6
	v_addc_co_u32_e32 v21, vcc, 0, v3, vcc
	flat_load_ubyte v20, v[20:21] offset:1536
.LBB2701_75:
	s_or_b64 exec, exec, s[4:5]
	v_add_u32_e32 v21, 0x700, v6
	v_cmp_lt_u32_e64 s[6:7], v21, v0
                                        ; implicit-def: $vgpr22
	s_mov_b64 s[4:5], exec
	v_writelane_b32 v42, s6, 14
	v_writelane_b32 v42, s7, 15
	s_and_b64 s[6:7], s[4:5], s[6:7]
	s_mov_b64 exec, s[6:7]
	s_cbranch_execz .LBB2701_77
; %bb.76:
	v_add_co_u32_e32 v22, vcc, v2, v6
	v_addc_co_u32_e32 v23, vcc, 0, v3, vcc
	flat_load_ubyte v22, v[22:23] offset:1792
.LBB2701_77:
	s_or_b64 exec, exec, s[4:5]
	v_or_b32_e32 v23, 0x800, v6
	v_cmp_lt_u32_e64 s[6:7], v23, v0
                                        ; implicit-def: $vgpr24
	s_mov_b64 s[4:5], exec
	v_writelane_b32 v42, s6, 16
	v_writelane_b32 v42, s7, 17
	s_and_b64 s[6:7], s[4:5], s[6:7]
	s_mov_b64 exec, s[6:7]
	s_cbranch_execz .LBB2701_79
; %bb.78:
	v_add_co_u32_e32 v24, vcc, v2, v6
	v_addc_co_u32_e32 v25, vcc, 0, v3, vcc
	flat_load_ubyte v24, v[24:25] offset:2048
.LBB2701_79:
	s_or_b64 exec, exec, s[4:5]
	v_add_u32_e32 v25, 0x900, v6
	v_cmp_lt_u32_e64 s[6:7], v25, v0
                                        ; implicit-def: $vgpr26
	s_mov_b64 s[4:5], exec
	v_writelane_b32 v42, s6, 18
	v_writelane_b32 v42, s7, 19
	s_and_b64 s[6:7], s[4:5], s[6:7]
	s_mov_b64 exec, s[6:7]
	s_cbranch_execz .LBB2701_81
; %bb.80:
	v_add_co_u32_e32 v26, vcc, v2, v6
	v_addc_co_u32_e32 v27, vcc, 0, v3, vcc
	flat_load_ubyte v26, v[26:27] offset:2304
.LBB2701_81:
	s_or_b64 exec, exec, s[4:5]
	v_add_u32_e32 v27, 0xa00, v6
	v_cmp_lt_u32_e64 s[6:7], v27, v0
                                        ; implicit-def: $vgpr28
	s_mov_b64 s[4:5], exec
	v_writelane_b32 v42, s6, 20
	v_writelane_b32 v42, s7, 21
	s_and_b64 s[6:7], s[4:5], s[6:7]
	s_mov_b64 exec, s[6:7]
	s_cbranch_execz .LBB2701_83
; %bb.82:
	v_add_co_u32_e32 v28, vcc, v2, v6
	v_addc_co_u32_e32 v29, vcc, 0, v3, vcc
	flat_load_ubyte v28, v[28:29] offset:2560
.LBB2701_83:
	s_or_b64 exec, exec, s[4:5]
	v_add_u32_e32 v29, 0xb00, v6
	v_cmp_lt_u32_e64 s[6:7], v29, v0
                                        ; implicit-def: $vgpr30
	s_mov_b64 s[4:5], exec
	v_writelane_b32 v42, s6, 22
	v_writelane_b32 v42, s7, 23
	s_and_b64 s[6:7], s[4:5], s[6:7]
	s_mov_b64 exec, s[6:7]
	s_cbranch_execz .LBB2701_85
; %bb.84:
	v_add_co_u32_e32 v30, vcc, v2, v6
	v_addc_co_u32_e32 v31, vcc, 0, v3, vcc
	flat_load_ubyte v30, v[30:31] offset:2816
.LBB2701_85:
	s_or_b64 exec, exec, s[4:5]
	v_or_b32_e32 v31, 0xc00, v6
	v_cmp_lt_u32_e64 s[6:7], v31, v0
                                        ; implicit-def: $vgpr32
	s_mov_b64 s[4:5], exec
	v_writelane_b32 v42, s6, 24
	v_writelane_b32 v42, s7, 25
	s_and_b64 s[6:7], s[4:5], s[6:7]
	s_mov_b64 exec, s[6:7]
	s_cbranch_execz .LBB2701_87
; %bb.86:
	v_add_co_u32_e32 v32, vcc, v2, v6
	v_addc_co_u32_e32 v33, vcc, 0, v3, vcc
	flat_load_ubyte v32, v[32:33] offset:3072
.LBB2701_87:
	s_or_b64 exec, exec, s[4:5]
	v_add_u32_e32 v33, 0xd00, v6
	v_cmp_lt_u32_e64 s[6:7], v33, v0
                                        ; implicit-def: $vgpr34
	s_mov_b64 s[4:5], exec
	v_writelane_b32 v42, s6, 26
	v_writelane_b32 v42, s7, 27
	s_and_b64 s[6:7], s[4:5], s[6:7]
	s_mov_b64 exec, s[6:7]
	s_cbranch_execz .LBB2701_89
; %bb.88:
	v_add_co_u32_e32 v34, vcc, v2, v6
	v_addc_co_u32_e32 v35, vcc, 0, v3, vcc
	flat_load_ubyte v34, v[34:35] offset:3328
.LBB2701_89:
	s_or_b64 exec, exec, s[4:5]
	v_add_u32_e32 v35, 0xe00, v6
	v_cmp_lt_u32_e64 s[6:7], v35, v0
                                        ; implicit-def: $vgpr36
	s_mov_b64 s[4:5], exec
	v_writelane_b32 v42, s6, 28
	v_writelane_b32 v42, s7, 29
	s_and_b64 s[6:7], s[4:5], s[6:7]
	s_mov_b64 exec, s[6:7]
	s_cbranch_execz .LBB2701_91
; %bb.90:
	v_add_co_u32_e32 v36, vcc, v2, v6
	v_addc_co_u32_e32 v37, vcc, 0, v3, vcc
	flat_load_ubyte v36, v[36:37] offset:3584
.LBB2701_91:
	s_or_b64 exec, exec, s[4:5]
	v_add_u32_e32 v37, 0xf00, v6
	v_cmp_lt_u32_e64 s[6:7], v37, v0
                                        ; implicit-def: $vgpr38
	s_mov_b64 s[4:5], exec
	v_writelane_b32 v42, s6, 30
	v_writelane_b32 v42, s7, 31
	s_and_b64 s[6:7], s[4:5], s[6:7]
	s_mov_b64 exec, s[6:7]
	s_cbranch_execz .LBB2701_93
; %bb.92:
	v_add_co_u32_e32 v38, vcc, v2, v6
	v_addc_co_u32_e32 v39, vcc, 0, v3, vcc
	flat_load_ubyte v38, v[38:39] offset:3840
.LBB2701_93:
	s_or_b64 exec, exec, s[4:5]
	v_or_b32_e32 v39, 0x1000, v6
	v_cmp_lt_u32_e64 s[6:7], v39, v0
                                        ; implicit-def: $vgpr48
	s_mov_b64 s[4:5], exec
	v_writelane_b32 v42, s6, 32
	v_writelane_b32 v42, s7, 33
	s_and_b64 s[6:7], s[4:5], s[6:7]
	s_mov_b64 exec, s[6:7]
	s_cbranch_execz .LBB2701_95
; %bb.94:
	v_add_co_u32_e32 v48, vcc, v2, v39
	v_addc_co_u32_e32 v49, vcc, 0, v3, vcc
	flat_load_ubyte v48, v[48:49]
.LBB2701_95:
	s_or_b64 exec, exec, s[4:5]
	v_add_u32_e32 v49, 0x1100, v6
	v_cmp_lt_u32_e64 s[6:7], v49, v0
                                        ; implicit-def: $vgpr50
	s_mov_b64 s[4:5], exec
	v_writelane_b32 v42, s6, 34
	v_writelane_b32 v42, s7, 35
	s_and_b64 s[6:7], s[4:5], s[6:7]
	s_mov_b64 exec, s[6:7]
	s_cbranch_execz .LBB2701_97
; %bb.96:
	v_add_co_u32_e32 v50, vcc, v2, v49
	v_addc_co_u32_e32 v51, vcc, 0, v3, vcc
	flat_load_ubyte v50, v[50:51]
.LBB2701_97:
	s_or_b64 exec, exec, s[4:5]
	v_add_u32_e32 v51, 0x1200, v6
	v_cmp_lt_u32_e64 s[6:7], v51, v0
                                        ; implicit-def: $vgpr52
	s_mov_b64 s[4:5], exec
	v_writelane_b32 v42, s6, 36
	v_writelane_b32 v42, s7, 37
	s_and_b64 s[6:7], s[4:5], s[6:7]
	s_mov_b64 exec, s[6:7]
	s_cbranch_execz .LBB2701_99
; %bb.98:
	v_add_co_u32_e32 v52, vcc, v2, v51
	v_addc_co_u32_e32 v53, vcc, 0, v3, vcc
	flat_load_ubyte v52, v[52:53]
.LBB2701_99:
	s_or_b64 exec, exec, s[4:5]
	v_add_u32_e32 v53, 0x1300, v6
	v_cmp_lt_u32_e64 s[42:43], v53, v0
                                        ; implicit-def: $vgpr54
	s_and_saveexec_b64 s[4:5], s[42:43]
	s_cbranch_execz .LBB2701_101
; %bb.100:
	v_add_co_u32_e32 v54, vcc, v2, v53
	v_addc_co_u32_e32 v55, vcc, 0, v3, vcc
	flat_load_ubyte v54, v[54:55]
.LBB2701_101:
	s_or_b64 exec, exec, s[4:5]
	v_or_b32_e32 v55, 0x1400, v6
	v_cmp_lt_u32_e64 s[44:45], v55, v0
                                        ; implicit-def: $vgpr64
	s_and_saveexec_b64 s[4:5], s[44:45]
	s_cbranch_execz .LBB2701_103
; %bb.102:
	v_add_co_u32_e32 v66, vcc, v2, v55
	v_addc_co_u32_e32 v67, vcc, 0, v3, vcc
	flat_load_ubyte v64, v[66:67]
.LBB2701_103:
	s_or_b64 exec, exec, s[4:5]
	v_add_u32_e32 v66, 0x1500, v6
	v_cmp_lt_u32_e64 s[46:47], v66, v0
                                        ; implicit-def: $vgpr67
	s_and_saveexec_b64 s[4:5], s[46:47]
	s_cbranch_execz .LBB2701_105
; %bb.104:
	v_add_co_u32_e32 v68, vcc, v2, v66
	v_addc_co_u32_e32 v69, vcc, 0, v3, vcc
	flat_load_ubyte v67, v[68:69]
.LBB2701_105:
	s_or_b64 exec, exec, s[4:5]
	v_add_u32_e32 v68, 0x1600, v6
	v_cmp_lt_u32_e64 s[48:49], v68, v0
                                        ; implicit-def: $vgpr69
	s_and_saveexec_b64 s[4:5], s[48:49]
	s_cbranch_execz .LBB2701_107
; %bb.106:
	v_add_co_u32_e32 v70, vcc, v2, v68
	v_addc_co_u32_e32 v71, vcc, 0, v3, vcc
	flat_load_ubyte v69, v[70:71]
.LBB2701_107:
	s_or_b64 exec, exec, s[4:5]
	v_add_u32_e32 v70, 0x1700, v6
	v_cmp_lt_u32_e64 s[50:51], v70, v0
                                        ; implicit-def: $vgpr71
	s_and_saveexec_b64 s[4:5], s[50:51]
	s_cbranch_execz .LBB2701_109
; %bb.108:
	v_add_co_u32_e32 v82, vcc, v2, v70
	v_addc_co_u32_e32 v83, vcc, 0, v3, vcc
	flat_load_ubyte v71, v[82:83]
.LBB2701_109:
	s_or_b64 exec, exec, s[4:5]
	v_or_b32_e32 v80, 0x1800, v6
	v_cmp_lt_u32_e64 s[52:53], v80, v0
                                        ; implicit-def: $vgpr82
	s_and_saveexec_b64 s[4:5], s[52:53]
	s_cbranch_execz .LBB2701_111
; %bb.110:
	v_add_co_u32_e32 v82, vcc, v2, v80
	v_addc_co_u32_e32 v83, vcc, 0, v3, vcc
	flat_load_ubyte v82, v[82:83]
.LBB2701_111:
	s_or_b64 exec, exec, s[4:5]
	v_add_u32_e32 v83, 0x1900, v6
	v_cmp_lt_u32_e64 s[54:55], v83, v0
                                        ; implicit-def: $vgpr84
	s_and_saveexec_b64 s[4:5], s[54:55]
	s_cbranch_execz .LBB2701_113
; %bb.112:
	v_add_co_u32_e32 v84, vcc, v2, v83
	v_addc_co_u32_e32 v85, vcc, 0, v3, vcc
	flat_load_ubyte v84, v[84:85]
.LBB2701_113:
	s_or_b64 exec, exec, s[4:5]
	v_add_u32_e32 v85, 0x1a00, v6
	v_cmp_lt_u32_e64 s[56:57], v85, v0
                                        ; implicit-def: $vgpr86
	s_and_saveexec_b64 s[4:5], s[56:57]
	s_cbranch_execz .LBB2701_115
; %bb.114:
	v_add_co_u32_e32 v86, vcc, v2, v85
	v_addc_co_u32_e32 v87, vcc, 0, v3, vcc
	flat_load_ubyte v86, v[86:87]
.LBB2701_115:
	s_or_b64 exec, exec, s[4:5]
	v_add_u32_e32 v87, 0x1b00, v6
	v_cmp_lt_u32_e64 s[58:59], v87, v0
                                        ; implicit-def: $vgpr96
	s_and_saveexec_b64 s[4:5], s[58:59]
	s_cbranch_execz .LBB2701_117
; %bb.116:
	v_add_co_u32_e32 v96, vcc, v2, v87
	v_addc_co_u32_e32 v97, vcc, 0, v3, vcc
	flat_load_ubyte v96, v[96:97]
.LBB2701_117:
	s_or_b64 exec, exec, s[4:5]
	v_or_b32_e32 v97, 0x1c00, v6
	v_cmp_lt_u32_e64 s[60:61], v97, v0
                                        ; implicit-def: $vgpr98
	s_and_saveexec_b64 s[4:5], s[60:61]
	s_cbranch_execz .LBB2701_119
; %bb.118:
	v_add_co_u32_e32 v98, vcc, v2, v97
	v_addc_co_u32_e32 v99, vcc, 0, v3, vcc
	flat_load_ubyte v98, v[98:99]
.LBB2701_119:
	s_or_b64 exec, exec, s[4:5]
	v_add_u32_e32 v99, 0x1d00, v6
	v_cmp_lt_u32_e64 s[62:63], v99, v0
                                        ; implicit-def: $vgpr100
	s_and_saveexec_b64 s[4:5], s[62:63]
	s_cbranch_execz .LBB2701_121
; %bb.120:
	v_add_co_u32_e32 v100, vcc, v2, v99
	v_addc_co_u32_e32 v101, vcc, 0, v3, vcc
	flat_load_ubyte v100, v[100:101]
.LBB2701_121:
	s_or_b64 exec, exec, s[4:5]
	v_add_u32_e32 v101, 0x1e00, v6
	v_cmp_lt_u32_e64 s[64:65], v101, v0
                                        ; implicit-def: $vgpr102
	s_and_saveexec_b64 s[4:5], s[64:65]
	s_cbranch_execz .LBB2701_123
; %bb.122:
	v_add_co_u32_e32 v102, vcc, v2, v101
	v_addc_co_u32_e32 v103, vcc, 0, v3, vcc
	flat_load_ubyte v102, v[102:103]
.LBB2701_123:
	s_or_b64 exec, exec, s[4:5]
	v_add_u32_e32 v103, 0x1f00, v6
	v_cmp_lt_u32_e64 s[66:67], v103, v0
                                        ; implicit-def: $vgpr112
	s_and_saveexec_b64 s[4:5], s[66:67]
	s_cbranch_execz .LBB2701_125
; %bb.124:
	v_add_co_u32_e32 v2, vcc, v2, v103
	v_addc_co_u32_e32 v3, vcc, 0, v3, vcc
	flat_load_ubyte v112, v[2:3]
.LBB2701_125:
	s_or_b64 exec, exec, s[4:5]
	v_and_b32_e32 v1, 28, v1
	v_add_u32_e32 v2, v1, v6
	v_lshrrev_b32_e32 v1, 5, v9
	v_and_b32_e32 v1, 60, v1
	v_add_u32_e32 v1, v1, v6
	s_waitcnt vmcnt(0) lgkmcnt(0)
	ds_write_b8 v2, v8
	ds_write_b8 v1, v10 offset:256
	v_lshrrev_b32_e32 v3, 5, v11
	v_lshrrev_b32_e32 v8, 5, v13
	v_lshrrev_b32_e32 v9, 5, v15
	v_lshrrev_b32_e32 v10, 5, v17
	v_and_b32_e32 v3, 60, v3
	v_and_b32_e32 v8, 60, v8
	;; [unrolled: 1-line block ×4, first 2 shown]
	v_add_u32_e32 v3, v3, v6
	v_add_u32_e32 v8, v8, v6
	;; [unrolled: 1-line block ×4, first 2 shown]
	ds_write_b8 v3, v12 offset:512
	ds_write_b8 v8, v14 offset:768
	;; [unrolled: 1-line block ×4, first 2 shown]
	v_lshrrev_b32_e32 v11, 5, v19
	v_lshrrev_b32_e32 v12, 5, v21
	;; [unrolled: 1-line block ×9, first 2 shown]
	v_and_b32_e32 v11, 0x7c, v11
	v_and_b32_e32 v12, 0x7c, v12
	;; [unrolled: 1-line block ×9, first 2 shown]
	v_add_u32_e32 v11, v11, v6
	v_add_u32_e32 v12, v12, v6
	;; [unrolled: 1-line block ×9, first 2 shown]
	ds_write_b8 v11, v20 offset:1536
	ds_write_b8 v12, v22 offset:1792
	;; [unrolled: 1-line block ×9, first 2 shown]
	v_lshrrev_b32_e32 v20, 5, v37
	v_lshrrev_b32_e32 v21, 5, v39
	;; [unrolled: 1-line block ×17, first 2 shown]
	v_and_b32_e32 v20, 0xfc, v20
	v_and_b32_e32 v21, 0x9c, v21
	;; [unrolled: 1-line block ×18, first 2 shown]
	v_add_u32_e32 v20, v20, v6
	v_add_u32_e32 v21, v21, v6
	;; [unrolled: 1-line block ×18, first 2 shown]
	ds_write_b8 v20, v38 offset:3840
	ds_write_b8 v21, v48 offset:4096
	;; [unrolled: 1-line block ×17, first 2 shown]
	s_waitcnt lgkmcnt(0)
	s_barrier
	ds_read2_b32 v[38:39], v37 offset1:1
	ds_read2_b32 v[48:49], v37 offset0:2 offset1:3
	ds_read2_b32 v[50:51], v37 offset0:4 offset1:5
	;; [unrolled: 1-line block ×3, first 2 shown]
	s_waitcnt lgkmcnt(0)
	s_barrier
	s_load_dwordx2 s[4:5], s[8:9], 0x0
	v_mov_b32_e32 v52, 0
	v_lshrrev_b32_e32 v80, 16, v38
	v_lshrrev_b64 v[66:67], 24, v[38:39]
	v_lshrrev_b32_e32 v64, 8, v38
	s_waitcnt lgkmcnt(0)
	s_cmp_lt_u32 s12, s4
	s_cselect_b32 s6, 12, 18
	s_cmp_lt_u32 s13, s5
	s_cselect_b32 s4, 14, 20
	s_add_u32 s4, s8, s4
	s_addc_u32 s5, s9, 0
	s_add_u32 s6, s8, s6
	global_load_ushort v53, v52, s[4:5]
	s_addc_u32 s7, s9, 0
	global_load_ushort v52, v52, s[6:7]
	v_cmp_gt_i16_sdwa s[6:7], sext(v80), sext(v66) src0_sel:BYTE_0 src1_sel:BYTE_0
	v_lshrrev_b32_e32 v67, 8, v39
	v_cmp_gt_i16_sdwa s[4:5], sext(v38), sext(v64) src0_sel:BYTE_0 src1_sel:BYTE_0
	v_lshrrev_b32_e32 v84, 16, v39
	v_lshrrev_b32_e32 v85, 24, v39
	;; [unrolled: 1-line block ×4, first 2 shown]
	v_lshrrev_b64 v[68:69], 24, v[48:49]
	v_lshrrev_b32_e32 v69, 8, v49
	v_lshrrev_b32_e32 v96, 16, v49
	;; [unrolled: 1-line block ×3, first 2 shown]
	v_cmp_gt_i16_sdwa s[8:9], sext(v49), sext(v69) src0_sel:BYTE_0 src1_sel:BYTE_0
	v_lshrrev_b32_e32 v98, 8, v50
	v_lshrrev_b32_e32 v99, 16, v50
	v_lshrrev_b64 v[70:71], 24, v[50:51]
	v_lshrrev_b32_e32 v71, 8, v51
	v_lshrrev_b32_e32 v100, 16, v51
	;; [unrolled: 1-line block ×5, first 2 shown]
	v_lshrrev_b64 v[82:83], 24, v[54:55]
	v_lshrrev_b32_e32 v83, 8, v55
	v_lshrrev_b32_e32 v112, 16, v55
	s_waitcnt vmcnt(1)
	v_mad_u32_u24 v53, v65, v53, v81
	v_lshrrev_b32_e32 v65, 24, v55
	s_waitcnt vmcnt(0)
	v_mul_lo_u32 v52, v53, v52
	v_add_lshl_u32 v52, v52, v6, 5
	v_sub_u32_e64 v53, v0, v52 clamp
	v_cmp_lt_u32_e64 s[14:15], 3, v53
	v_cmp_lt_u32_e64 s[12:13], 1, v53
	s_and_b64 vcc, s[14:15], s[6:7]
	v_cndmask_b32_e32 v81, v66, v80, vcc
	v_cndmask_b32_e32 v66, v80, v66, vcc
	s_and_b64 vcc, s[12:13], s[4:5]
	v_cmp_lt_u32_e64 s[16:17], 5, v53
	v_cmp_gt_i16_sdwa s[4:5], sext(v39), sext(v67) src0_sel:BYTE_0 src1_sel:BYTE_0
	v_cndmask_b32_e32 v80, v64, v38, vcc
	v_cndmask_b32_e32 v38, v38, v64, vcc
	s_and_b64 vcc, s[16:17], s[4:5]
	v_cmp_lt_u32_e64 s[18:19], 7, v53
	v_cmp_gt_i16_sdwa s[4:5], sext(v84), sext(v85) src0_sel:BYTE_0 src1_sel:BYTE_0
	;; [unrolled: 5-line block ×4, first 2 shown]
	v_cndmask_b32_e32 v85, v86, v48, vcc
	v_cndmask_b32_e32 v48, v48, v86, vcc
	s_and_b64 vcc, s[4:5], s[6:7]
	v_cmp_lt_u32_e64 s[6:7], 13, v53
	v_cndmask_b32_e32 v86, v68, v87, vcc
	v_cndmask_b32_e32 v68, v87, v68, vcc
	s_and_b64 vcc, s[6:7], s[8:9]
	v_cmp_lt_u32_e64 s[68:69], 15, v53
	v_cmp_gt_i16_sdwa s[8:9], sext(v96), sext(v97) src0_sel:BYTE_0 src1_sel:BYTE_0
	v_cndmask_b32_e32 v87, v69, v49, vcc
	v_cndmask_b32_e32 v49, v49, v69, vcc
	s_and_b64 vcc, s[68:69], s[8:9]
	v_cmp_lt_u32_e64 s[10:11], 17, v53
	v_cmp_gt_i16_sdwa s[8:9], sext(v50), sext(v98) src0_sel:BYTE_0 src1_sel:BYTE_0
	;; [unrolled: 5-line block ×13, first 2 shown]
	s_and_b64 s[20:21], s[34:35], s[20:21]
	v_cndmask_b32_e32 v81, v84, v64, vcc
	v_cndmask_b32_e32 v64, v64, v84, vcc
	v_cndmask_b32_e64 v84, v48, v67, s[20:21]
	v_cndmask_b32_e64 v48, v67, v48, s[20:21]
	v_cmp_lt_u32_e64 s[20:21], 10, v53
	v_cmp_gt_i16_sdwa s[22:23], sext(v85), sext(v68) src0_sel:BYTE_0 src1_sel:BYTE_0
	s_and_b64 s[22:23], s[20:21], s[22:23]
	v_cndmask_b32_e64 v67, v68, v85, s[22:23]
	v_cndmask_b32_e64 v68, v85, v68, s[22:23]
	v_cmp_lt_u32_e64 s[22:23], 12, v53
	v_cmp_gt_i16_sdwa s[24:25], sext(v86), sext(v49) src0_sel:BYTE_0 src1_sel:BYTE_0
	s_and_b64 s[24:25], s[22:23], s[24:25]
	v_cndmask_b32_e64 v85, v49, v86, s[24:25]
	v_cndmask_b32_e64 v49, v86, v49, s[24:25]
	v_cmp_lt_u32_e64 s[24:25], 14, v53
	v_cmp_gt_i16_sdwa vcc, sext(v87), sext(v96) src0_sel:BYTE_0 src1_sel:BYTE_0
	s_and_b64 s[82:83], s[24:25], vcc
	v_cmp_lt_u32_e64 s[96:97], 16, v53
	v_cmp_gt_i16_sdwa vcc, sext(v69), sext(v50) src0_sel:BYTE_0 src1_sel:BYTE_0
	v_cndmask_b32_e64 v86, v96, v87, s[82:83]
	v_cndmask_b32_e64 v87, v87, v96, s[82:83]
	s_and_b64 s[82:83], s[96:97], vcc
	v_cndmask_b32_e64 v96, v50, v69, s[82:83]
	v_cndmask_b32_e64 v50, v69, v50, s[82:83]
	v_cmp_lt_u32_e64 s[82:83], 18, v53
	v_cmp_gt_i16_sdwa vcc, sext(v97), sext(v70) src0_sel:BYTE_0 src1_sel:BYTE_0
	s_and_b64 s[84:85], s[82:83], vcc
	v_cmp_lt_u32_e64 s[86:87], 20, v53
	v_cmp_gt_i16_sdwa vcc, sext(v98), sext(v51) src0_sel:BYTE_0 src1_sel:BYTE_0
	v_cndmask_b32_e64 v69, v70, v97, s[84:85]
	v_cndmask_b32_e64 v70, v97, v70, s[84:85]
	s_and_b64 s[84:85], s[86:87], vcc
	v_cmp_lt_u32_e64 s[90:91], 22, v53
	v_cmp_gt_i16_sdwa vcc, sext(v99), sext(v100) src0_sel:BYTE_0 src1_sel:BYTE_0
	v_cndmask_b32_e64 v97, v51, v98, s[84:85]
	v_cndmask_b32_e64 v51, v98, v51, s[84:85]
	;; [unrolled: 5-line block ×5, first 2 shown]
	s_and_b64 s[84:85], s[88:89], vcc
	v_cndmask_b32_e64 v102, v82, v103, s[84:85]
	v_cndmask_b32_e64 v82, v103, v82, s[84:85]
	v_cmp_lt_u32_e64 s[84:85], 30, v53
	v_cmp_gt_i16_sdwa vcc, sext(v55), sext(v83) src0_sel:BYTE_0 src1_sel:BYTE_0
	s_and_b64 vcc, s[84:85], vcc
	v_cndmask_b32_e32 v53, v55, v83, vcc
	v_cndmask_b32_e32 v55, v83, v55, vcc
	v_cmp_gt_i16_sdwa vcc, sext(v38), sext(v66) src0_sel:BYTE_0 src1_sel:BYTE_0
	s_and_b64 vcc, s[12:13], vcc
	v_cndmask_b32_e32 v83, v66, v38, vcc
	v_cndmask_b32_e32 v38, v38, v66, vcc
	;; [unrolled: 4-line block ×428, first 2 shown]
	v_cmp_gt_i16_sdwa vcc, sext(v38), sext(v53) src0_sel:BYTE_0 src1_sel:BYTE_0
	s_and_b64 vcc, s[12:13], vcc
	v_cmp_gt_i16_sdwa s[12:13], sext(v55), sext(v39) src0_sel:BYTE_0 src1_sel:BYTE_0
	v_cndmask_b32_e32 v69, v53, v38, vcc
	v_cndmask_b32_e32 v38, v38, v53, vcc
	s_and_b64 vcc, s[14:15], s[12:13]
	v_cmp_gt_i16_sdwa s[12:13], sext(v67), sext(v64) src0_sel:BYTE_0 src1_sel:BYTE_0
	v_cndmask_b32_e32 v53, v39, v55, vcc
	v_cndmask_b32_e32 v39, v55, v39, vcc
	s_and_b64 vcc, s[16:17], s[12:13]
	;; [unrolled: 4-line block ×16, first 2 shown]
	v_cmp_gt_i16_sdwa s[4:5], sext(v83), sext(v98) src0_sel:BYTE_0 src1_sel:BYTE_0
	s_and_b64 s[4:5], s[86:87], s[4:5]
	v_cndmask_b32_e64 v101, v98, v83, s[4:5]
	v_cndmask_b32_e64 v83, v83, v98, s[4:5]
	v_cmp_gt_i16_sdwa s[4:5], sext(v84), sext(v99) src0_sel:BYTE_0 src1_sel:BYTE_0
	s_and_b64 s[4:5], s[90:91], s[4:5]
	v_cndmask_b32_e32 v80, v70, v116, vcc
	v_cndmask_b32_e64 v98, v99, v84, s[4:5]
	v_cndmask_b32_e64 v84, v84, v99, s[4:5]
	v_cmp_gt_i16_sdwa s[4:5], sext(v85), sext(v100) src0_sel:BYTE_0 src1_sel:BYTE_0
	v_cndmask_b32_e32 v81, v116, v70, vcc
	v_lshlrev_b16_e32 v70, 8, v68
	v_lshlrev_b16_e32 v71, 8, v80
	s_and_b64 s[4:5], s[92:93], s[4:5]
	v_or_b32_sdwa v70, v67, v70 dst_sel:DWORD dst_unused:UNUSED_PAD src0_sel:BYTE_0 src1_sel:DWORD
	v_or_b32_sdwa v71, v69, v71 dst_sel:WORD_1 dst_unused:UNUSED_PAD src0_sel:BYTE_0 src1_sel:DWORD
	v_cndmask_b32_e64 v99, v100, v85, s[4:5]
	v_cndmask_b32_e64 v85, v85, v100, s[4:5]
	v_cmp_gt_i16_sdwa s[4:5], sext(v86), sext(v96) src0_sel:BYTE_0 src1_sel:BYTE_0
	v_or_b32_sdwa v117, v70, v71 dst_sel:DWORD dst_unused:UNUSED_PAD src0_sel:WORD_0 src1_sel:DWORD
	v_lshlrev_b16_e32 v70, 8, v64
	v_lshlrev_b16_e32 v71, 8, v66
	s_and_b64 s[4:5], s[94:95], s[4:5]
	v_or_b32_sdwa v70, v55, v70 dst_sel:DWORD dst_unused:UNUSED_PAD src0_sel:BYTE_0 src1_sel:DWORD
	v_or_b32_sdwa v71, v65, v71 dst_sel:WORD_1 dst_unused:UNUSED_PAD src0_sel:BYTE_0 src1_sel:DWORD
	v_cndmask_b32_e64 v100, v86, v96, s[4:5]
	v_cndmask_b32_e64 v86, v96, v86, s[4:5]
	v_cmp_gt_i16_sdwa s[4:5], sext(v87), sext(v97) src0_sel:BYTE_0 src1_sel:BYTE_0
	v_cmp_gt_i16_sdwa s[10:11], sext(v101), sext(v84) src0_sel:BYTE_0 src1_sel:BYTE_0
	v_or_b32_sdwa v116, v70, v71 dst_sel:DWORD dst_unused:UNUSED_PAD src0_sel:WORD_0 src1_sel:DWORD
	v_lshlrev_b16_e32 v70, 8, v51
	v_lshlrev_b16_e32 v71, 8, v54
	s_and_b64 s[4:5], s[88:89], s[4:5]
	s_and_b64 s[10:11], s[72:73], s[10:11]
	v_or_b32_sdwa v70, v50, v70 dst_sel:DWORD dst_unused:UNUSED_PAD src0_sel:BYTE_0 src1_sel:DWORD
	v_or_b32_sdwa v71, v53, v71 dst_sel:WORD_1 dst_unused:UNUSED_PAD src0_sel:BYTE_0 src1_sel:DWORD
	v_cndmask_b32_e64 v96, v87, v97, s[4:5]
	v_cndmask_b32_e64 v118, v97, v87, s[4:5]
	v_cndmask_b32_e64 v87, v84, v101, s[10:11]
	v_cndmask_b32_e64 v128, v101, v84, s[10:11]
	v_cmp_gt_i16_sdwa s[10:11], sext(v98), sext(v85) src0_sel:BYTE_0 src1_sel:BYTE_0
	v_or_b32_sdwa v115, v70, v71 dst_sel:DWORD dst_unused:UNUSED_PAD src0_sel:WORD_0 src1_sel:DWORD
	v_lshlrev_b16_e32 v70, 8, v49
	v_lshlrev_b16_e32 v71, 8, v39
	s_and_b64 s[10:11], s[74:75], s[10:11]
	v_or_b32_sdwa v70, v48, v70 dst_sel:WORD_1 dst_unused:UNUSED_PAD src0_sel:BYTE_0 src1_sel:DWORD
	v_or_b32_sdwa v71, v38, v71 dst_sel:DWORD dst_unused:UNUSED_PAD src0_sel:BYTE_0 src1_sel:DWORD
	v_cndmask_b32_e64 v84, v85, v98, s[10:11]
	v_cndmask_b32_e64 v85, v98, v85, s[10:11]
	v_cmp_gt_i16_sdwa s[10:11], sext(v99), sext(v100) src0_sel:BYTE_0 src1_sel:BYTE_0
	v_or_b32_sdwa v114, v71, v70 dst_sel:DWORD dst_unused:UNUSED_PAD src0_sel:WORD_0 src1_sel:DWORD
	v_mbcnt_lo_u32_b32 v70, -1, 0
	s_and_b64 s[10:11], s[76:77], s[10:11]
	v_mbcnt_hi_u32_b32 v70, -1, v70
	v_cndmask_b32_e64 v101, v100, v99, s[10:11]
	v_cndmask_b32_e64 v97, v99, v100, s[10:11]
	v_cmp_gt_i16_sdwa s[10:11], sext(v86), sext(v96) src0_sel:BYTE_0 src1_sel:BYTE_0
	v_cmp_gt_i16_sdwa s[40:41], sext(v102), sext(v82) src0_sel:BYTE_0 src1_sel:BYTE_0
	v_and_b32_e32 v52, 0xfffff800, v52
	v_lshlrev_b32_e32 v70, 5, v70
	s_and_b64 s[10:11], s[80:81], s[10:11]
	v_add_u32_e32 v71, v52, v70
	s_and_b64 vcc, s[8:9], s[40:41]
	v_cndmask_b32_e64 v100, v86, v96, s[10:11]
	v_cndmask_b32_e64 v129, v96, v86, s[10:11]
	v_cmp_gt_i16_sdwa s[10:11], sext(v87), sext(v85) src0_sel:BYTE_0 src1_sel:BYTE_0
	ds_write_b128 v71, v[114:117]
	v_cndmask_b32_e32 v117, v102, v82, vcc
	s_and_b64 s[10:11], s[90:91], s[10:11]
	v_cmp_gt_i16_sdwa s[4:5], sext(v103), sext(v117) src0_sel:BYTE_0 src1_sel:BYTE_0
	v_cndmask_b32_e64 v96, v85, v87, s[10:11]
	v_cndmask_b32_e64 v87, v87, v85, s[10:11]
	v_cmp_gt_i16_sdwa s[10:11], sext(v84), sext(v97) src0_sel:BYTE_0 src1_sel:BYTE_0
	s_and_b64 s[4:5], s[84:85], s[4:5]
	s_and_b64 s[10:11], s[92:93], s[10:11]
	v_cndmask_b32_e64 v119, v103, v117, s[4:5]
	v_cndmask_b32_e64 v98, v97, v84, s[10:11]
	;; [unrolled: 1-line block ×3, first 2 shown]
	v_cmp_gt_i16_sdwa s[10:11], sext(v101), sext(v100) src0_sel:BYTE_0 src1_sel:BYTE_0
	v_cmp_gt_i16_sdwa s[12:13], sext(v118), sext(v119) src0_sel:BYTE_0 src1_sel:BYTE_0
	s_and_b64 s[10:11], s[94:95], s[10:11]
	v_cndmask_b32_e64 v99, v101, v100, s[10:11]
	v_cndmask_b32_e64 v100, v100, v101, s[10:11]
	s_and_b64 s[10:11], s[70:71], s[12:13]
	v_cndmask_b32_e64 v130, v118, v119, s[10:11]
	v_cmp_gt_i16_sdwa s[6:7], sext(v112), sext(v83) src0_sel:BYTE_0 src1_sel:BYTE_0
	v_cmp_gt_i16_sdwa s[12:13], sext(v129), sext(v130) src0_sel:BYTE_0 src1_sel:BYTE_0
	s_and_b64 s[6:7], s[78:79], s[6:7]
	s_and_b64 s[12:13], s[88:89], s[12:13]
	v_cndmask_b32_e64 v114, v83, v112, s[6:7]
	v_cndmask_b32_e64 v101, v129, v130, s[12:13]
	v_cndmask_b32_e64 v83, v112, v83, s[6:7]
	v_cmp_gt_i16_sdwa s[14:15], sext(v114), sext(v128) src0_sel:BYTE_0 src1_sel:BYTE_0
	v_lshlrev_b16_e32 v84, 8, v99
	v_lshlrev_b16_e32 v85, 8, v101
	v_cmp_gt_i16_sdwa s[6:7], sext(v113), sext(v83) src0_sel:BYTE_0 src1_sel:BYTE_0
	v_or_b32_sdwa v84, v98, v84 dst_sel:DWORD dst_unused:UNUSED_PAD src0_sel:BYTE_0 src1_sel:DWORD
	v_or_b32_sdwa v85, v100, v85 dst_sel:WORD_1 dst_unused:UNUSED_PAD src0_sel:BYTE_0 src1_sel:DWORD
	s_and_b64 s[14:15], s[86:87], s[14:15]
	v_lshlrev_b16_e32 v116, 8, v97
	s_and_b64 s[6:7], s[82:83], s[6:7]
	v_or_b32_sdwa v131, v96, v116 dst_sel:WORD_1 dst_unused:UNUSED_PAD src0_sel:BYTE_0 src1_sel:DWORD
	v_or_b32_sdwa v116, v84, v85 dst_sel:DWORD dst_unused:UNUSED_PAD src0_sel:WORD_0 src1_sel:DWORD
	v_cndmask_b32_e64 v84, v83, v113, s[6:7]
	v_cndmask_b32_e64 v83, v113, v83, s[6:7]
	;; [unrolled: 1-line block ×3, first 2 shown]
	v_cndmask_b32_e32 v82, v82, v102, vcc
	v_cndmask_b32_e64 v102, v117, v103, s[4:5]
	v_lshlrev_b16_e32 v112, 8, v83
	v_lshlrev_b16_e32 v113, 8, v85
	v_cmp_gt_i16_sdwa s[4:5], sext(v102), sext(v82) src0_sel:BYTE_0 src1_sel:BYTE_0
	v_or_b32_sdwa v112, v81, v112 dst_sel:DWORD dst_unused:UNUSED_PAD src0_sel:BYTE_0 src1_sel:DWORD
	v_or_b32_sdwa v113, v84, v113 dst_sel:WORD_1 dst_unused:UNUSED_PAD src0_sel:BYTE_0 src1_sel:DWORD
	s_and_b64 vcc, s[8:9], s[4:5]
	v_cndmask_b32_e64 v86, v128, v114, s[14:15]
	v_or_b32_sdwa v114, v112, v113 dst_sel:DWORD dst_unused:UNUSED_PAD src0_sel:WORD_0 src1_sel:DWORD
	v_cndmask_b32_e64 v112, v119, v118, s[10:11]
	v_cndmask_b32_e32 v117, v102, v82, vcc
	v_cmp_gt_i16_sdwa s[4:5], sext(v112), sext(v117) src0_sel:BYTE_0 src1_sel:BYTE_0
	v_cndmask_b32_e32 v113, v82, v102, vcc
	s_and_b64 vcc, s[84:85], s[4:5]
	v_cndmask_b32_e32 v103, v112, v117, vcc
	v_lshlrev_b16_e32 v115, 8, v87
	v_cndmask_b32_e64 v102, v130, v129, s[12:13]
	v_cndmask_b32_e32 v112, v117, v112, vcc
	v_lshlrev_b16_e32 v82, 8, v103
	v_lshlrev_b16_e32 v117, 8, v113
	v_or_b32_sdwa v115, v86, v115 dst_sel:DWORD dst_unused:UNUSED_PAD src0_sel:BYTE_0 src1_sel:DWORD
	v_or_b32_sdwa v82, v102, v82 dst_sel:DWORD dst_unused:UNUSED_PAD src0_sel:BYTE_0 src1_sel:DWORD
	v_or_b32_sdwa v117, v112, v117 dst_sel:WORD_1 dst_unused:UNUSED_PAD src0_sel:BYTE_0 src1_sel:DWORD
	v_or_b32_sdwa v115, v115, v131 dst_sel:DWORD dst_unused:UNUSED_PAD src0_sel:WORD_0 src1_sel:DWORD
	v_or_b32_sdwa v117, v82, v117 dst_sel:DWORD dst_unused:UNUSED_PAD src0_sel:WORD_0 src1_sel:DWORD
	ds_write_b128 v71, v[114:117] offset:16
	v_sub_u32_e64 v82, v0, v52 clamp
	v_or_b32_e32 v114, 32, v70
	v_min_u32_e32 v114, v82, v114
	v_add_u32_e32 v115, 32, v114
	v_min_u32_e32 v115, v82, v115
	v_and_b32_e32 v116, 32, v70
	v_min_u32_e32 v117, v82, v116
	v_sub_u32_e32 v116, v115, v114
	v_sub_u32_e64 v118, v117, v116 clamp
	v_and_b32_e32 v116, 0xfc0, v70
	v_sub_u32_e32 v119, v114, v116
	v_min_u32_e32 v119, v117, v119
	v_cmp_lt_u32_e32 vcc, v118, v119
	; wave barrier
	s_and_saveexec_b64 s[4:5], vcc
	s_cbranch_execz .LBB2701_129
; %bb.126:
	v_add_u32_e32 v128, v52, v116
	v_add3_u32 v129, v52, v114, v117
	s_mov_b64 s[6:7], 0
.LBB2701_127:                           ; =>This Inner Loop Header: Depth=1
	v_add_u32_e32 v130, v119, v118
	v_lshrrev_b32_e32 v130, 1, v130
	v_add_u32_e32 v131, v128, v130
	v_xad_u32 v132, v130, -1, v129
	ds_read_i8 v131, v131
	ds_read_i8 v132, v132
	v_add_u32_e32 v133, 1, v130
	s_waitcnt lgkmcnt(0)
	v_cmp_gt_i16_e32 vcc, v131, v132
	v_cndmask_b32_e32 v119, v119, v130, vcc
	v_cndmask_b32_e32 v118, v133, v118, vcc
	v_cmp_ge_u32_e32 vcc, v118, v119
	s_or_b64 s[6:7], vcc, s[6:7]
	s_andn2_b64 exec, exec, s[6:7]
	s_cbranch_execnz .LBB2701_127
; %bb.128:
	s_or_b64 exec, exec, s[6:7]
.LBB2701_129:
	s_or_b64 exec, exec, s[4:5]
	v_add_u32_e32 v117, v114, v117
	v_add_u32_e32 v116, v118, v116
	v_sub_u32_e32 v117, v117, v118
	v_cmp_le_u32_e32 vcc, v116, v114
	v_cmp_le_u32_e64 s[4:5], v117, v115
	s_or_b64 s[4:5], vcc, s[4:5]
	s_and_saveexec_b64 s[8:9], s[4:5]
	s_cbranch_execz .LBB2701_135
; %bb.130:
	v_cmp_lt_u32_e32 vcc, v116, v114
                                        ; implicit-def: $vgpr39
	s_and_saveexec_b64 s[4:5], vcc
	s_cbranch_execz .LBB2701_132
; %bb.131:
	v_add_u32_e32 v38, v52, v116
	ds_read_u8 v39, v38
.LBB2701_132:
	s_or_b64 exec, exec, s[4:5]
	v_cmp_ge_u32_e64 s[4:5], v117, v115
	v_cmp_lt_u32_e64 s[6:7], v117, v115
                                        ; implicit-def: $vgpr48
	s_and_saveexec_b64 s[10:11], s[6:7]
	s_cbranch_execz .LBB2701_134
; %bb.133:
	v_add_u32_e32 v38, v52, v117
	ds_read_u8 v48, v38
.LBB2701_134:
	s_or_b64 exec, exec, s[10:11]
	s_waitcnt lgkmcnt(0)
	v_cmp_le_i16_sdwa s[6:7], sext(v39), sext(v48) src0_sel:BYTE_0 src1_sel:BYTE_0
	s_and_b64 s[6:7], vcc, s[6:7]
	s_or_b64 vcc, s[4:5], s[6:7]
	v_cndmask_b32_e32 v49, v117, v116, vcc
	v_cndmask_b32_e32 v50, v115, v114, vcc
	v_add_u32_e32 v49, 1, v49
	v_add_u32_e32 v50, -1, v50
	v_min_u32_e32 v50, v49, v50
	v_add_u32_e32 v50, v52, v50
	ds_read_u8 v50, v50
	v_cndmask_b32_e32 v38, v48, v39, vcc
	v_cndmask_b32_e32 v51, v49, v117, vcc
	v_cndmask_b32_e32 v49, v116, v49, vcc
	v_cmp_lt_u32_e64 s[4:5], v49, v114
	s_waitcnt lgkmcnt(0)
	v_cndmask_b32_e32 v48, v50, v48, vcc
	v_cndmask_b32_e32 v50, v39, v50, vcc
	v_cmp_le_i16_sdwa s[6:7], sext(v50), sext(v48) src0_sel:BYTE_0 src1_sel:BYTE_0
	v_cmp_ge_u32_e32 vcc, v51, v115
	s_and_b64 s[4:5], s[4:5], s[6:7]
	s_or_b64 vcc, vcc, s[4:5]
	v_cndmask_b32_e32 v53, v51, v49, vcc
	v_cndmask_b32_e32 v54, v115, v114, vcc
	v_add_u32_e32 v53, 1, v53
	v_add_u32_e32 v54, -1, v54
	v_min_u32_e32 v54, v53, v54
	v_add_u32_e32 v54, v52, v54
	ds_read_u8 v54, v54
	v_cndmask_b32_e32 v39, v48, v50, vcc
	v_cndmask_b32_e32 v49, v49, v53, vcc
	v_cndmask_b32_e32 v51, v53, v51, vcc
	v_cmp_lt_u32_e64 s[4:5], v49, v114
	s_waitcnt lgkmcnt(0)
	v_cndmask_b32_e32 v55, v54, v48, vcc
	v_cndmask_b32_e32 v50, v50, v54, vcc
	v_cmp_le_i16_sdwa s[6:7], sext(v50), sext(v55) src0_sel:BYTE_0 src1_sel:BYTE_0
	v_cmp_ge_u32_e32 vcc, v51, v115
	s_and_b64 s[4:5], s[4:5], s[6:7]
	s_or_b64 vcc, vcc, s[4:5]
	;; [unrolled: 18-line block ×4, first 2 shown]
	v_cndmask_b32_e32 v54, v51, v53, vcc
	v_cndmask_b32_e32 v65, v115, v114, vcc
	v_add_u32_e32 v54, 1, v54
	v_add_u32_e32 v65, -1, v65
	v_min_u32_e32 v65, v54, v65
	v_add_u32_e32 v65, v52, v65
	ds_read_u8 v65, v65
	v_cndmask_b32_e32 v50, v55, v64, vcc
	v_cndmask_b32_e32 v53, v53, v54, vcc
	v_cmp_lt_u32_e64 s[4:5], v53, v114
	s_waitcnt lgkmcnt(0)
	v_cndmask_b32_e32 v55, v65, v55, vcc
	v_cndmask_b32_e32 v64, v64, v65, vcc
	;; [unrolled: 1-line block ×3, first 2 shown]
	v_cmp_le_i16_sdwa s[6:7], sext(v64), sext(v55) src0_sel:BYTE_0 src1_sel:BYTE_0
	v_cmp_ge_u32_e32 vcc, v65, v115
	s_and_b64 s[4:5], s[4:5], s[6:7]
	s_or_b64 vcc, vcc, s[4:5]
	v_cndmask_b32_e32 v54, v65, v53, vcc
	v_cndmask_b32_e32 v66, v115, v114, vcc
	v_add_u32_e32 v54, 1, v54
	v_add_u32_e32 v66, -1, v66
	v_min_u32_e32 v66, v54, v66
	v_add_u32_e32 v66, v52, v66
	ds_read_u8 v66, v66
	v_cndmask_b32_e32 v51, v55, v64, vcc
	v_cndmask_b32_e32 v65, v54, v65, vcc
	v_cndmask_b32_e32 v54, v53, v54, vcc
	v_cmp_lt_u32_e64 s[4:5], v54, v114
	s_waitcnt lgkmcnt(0)
	v_cndmask_b32_e32 v55, v66, v55, vcc
	v_cndmask_b32_e32 v64, v64, v66, vcc
	v_cmp_le_i16_sdwa s[6:7], sext(v64), sext(v55) src0_sel:BYTE_0 src1_sel:BYTE_0
	v_cmp_ge_u32_e32 vcc, v65, v115
	s_and_b64 s[4:5], s[4:5], s[6:7]
	s_or_b64 vcc, vcc, s[4:5]
	v_cndmask_b32_e32 v66, v65, v54, vcc
	v_cndmask_b32_e32 v67, v115, v114, vcc
	v_add_u32_e32 v66, 1, v66
	v_add_u32_e32 v67, -1, v67
	v_min_u32_e32 v67, v66, v67
	v_add_u32_e32 v67, v52, v67
	ds_read_u8 v67, v67
	v_cndmask_b32_e32 v53, v55, v64, vcc
	v_cndmask_b32_e32 v65, v66, v65, vcc
	v_cndmask_b32_e32 v66, v54, v66, vcc
	v_cmp_lt_u32_e64 s[4:5], v66, v114
	s_waitcnt lgkmcnt(0)
	v_cndmask_b32_e32 v55, v67, v55, vcc
	v_cndmask_b32_e32 v64, v64, v67, vcc
	;; [unrolled: 18-line block ×4, first 2 shown]
	v_cmp_le_i16_sdwa s[6:7], sext(v68), sext(v69) src0_sel:BYTE_0 src1_sel:BYTE_0
	v_cmp_ge_u32_e32 vcc, v65, v115
	s_and_b64 s[4:5], s[4:5], s[6:7]
	s_or_b64 vcc, vcc, s[4:5]
	v_cndmask_b32_e32 v67, v65, v66, vcc
	v_cndmask_b32_e32 v80, v115, v114, vcc
	v_add_u32_e32 v67, 1, v67
	v_add_u32_e32 v80, -1, v80
	v_min_u32_e32 v80, v67, v80
	v_add_u32_e32 v80, v52, v80
	ds_read_u8 v80, v80
	v_cndmask_b32_e32 v64, v69, v68, vcc
	v_cndmask_b32_e32 v66, v66, v67, vcc
	v_cmp_lt_u32_e64 s[4:5], v66, v114
	s_waitcnt lgkmcnt(0)
	v_cndmask_b32_e32 v69, v80, v69, vcc
	v_cndmask_b32_e32 v68, v68, v80, vcc
	;; [unrolled: 1-line block ×3, first 2 shown]
	v_cmp_le_i16_sdwa s[6:7], sext(v68), sext(v69) src0_sel:BYTE_0 src1_sel:BYTE_0
	v_cmp_ge_u32_e32 vcc, v80, v115
	s_and_b64 s[4:5], s[4:5], s[6:7]
	s_or_b64 vcc, vcc, s[4:5]
	v_cndmask_b32_e32 v67, v80, v66, vcc
	v_cndmask_b32_e32 v81, v115, v114, vcc
	v_add_u32_e32 v67, 1, v67
	v_add_u32_e32 v81, -1, v81
	v_min_u32_e32 v81, v67, v81
	v_add_u32_e32 v81, v52, v81
	ds_read_u8 v81, v81
	v_cndmask_b32_e32 v65, v69, v68, vcc
	v_cndmask_b32_e32 v80, v67, v80, vcc
	v_cndmask_b32_e32 v67, v66, v67, vcc
	v_cmp_lt_u32_e64 s[4:5], v67, v114
	s_waitcnt lgkmcnt(0)
	v_cndmask_b32_e32 v69, v81, v69, vcc
	v_cndmask_b32_e32 v68, v68, v81, vcc
	v_cmp_le_i16_sdwa s[6:7], sext(v68), sext(v69) src0_sel:BYTE_0 src1_sel:BYTE_0
	v_cmp_ge_u32_e32 vcc, v80, v115
	s_and_b64 s[4:5], s[4:5], s[6:7]
	s_or_b64 vcc, vcc, s[4:5]
	v_cndmask_b32_e32 v81, v80, v67, vcc
	v_cndmask_b32_e32 v83, v115, v114, vcc
	v_add_u32_e32 v81, 1, v81
	v_add_u32_e32 v83, -1, v83
	v_min_u32_e32 v83, v81, v83
	v_add_u32_e32 v83, v52, v83
	ds_read_u8 v83, v83
	v_cndmask_b32_e32 v66, v69, v68, vcc
	v_cndmask_b32_e32 v80, v81, v80, vcc
	v_cndmask_b32_e32 v81, v67, v81, vcc
	v_cmp_lt_u32_e64 s[4:5], v81, v114
	s_waitcnt lgkmcnt(0)
	v_cndmask_b32_e32 v69, v83, v69, vcc
	v_cndmask_b32_e32 v68, v68, v83, vcc
	;; [unrolled: 18-line block ×4, first 2 shown]
	v_cmp_le_i16_sdwa s[6:7], sext(v84), sext(v86) src0_sel:BYTE_0 src1_sel:BYTE_0
	v_cmp_ge_u32_e32 vcc, v80, v115
	s_and_b64 s[4:5], s[4:5], s[6:7]
	s_or_b64 vcc, vcc, s[4:5]
	v_cndmask_b32_e32 v83, v80, v81, vcc
	v_cndmask_b32_e32 v85, v115, v114, vcc
	v_add_u32_e32 v83, 1, v83
	v_add_u32_e32 v85, -1, v85
	v_min_u32_e32 v85, v83, v85
	v_add_u32_e32 v85, v52, v85
	ds_read_u8 v85, v85
	v_cndmask_b32_e32 v69, v86, v84, vcc
	v_cndmask_b32_e32 v81, v81, v83, vcc
	v_cmp_lt_u32_e64 s[4:5], v81, v114
	s_waitcnt lgkmcnt(0)
	v_cndmask_b32_e32 v86, v85, v86, vcc
	v_cndmask_b32_e32 v84, v84, v85, vcc
	;; [unrolled: 1-line block ×3, first 2 shown]
	v_cmp_le_i16_sdwa s[6:7], sext(v84), sext(v86) src0_sel:BYTE_0 src1_sel:BYTE_0
	v_cmp_ge_u32_e32 vcc, v85, v115
	s_and_b64 s[4:5], s[4:5], s[6:7]
	s_or_b64 vcc, vcc, s[4:5]
	v_cndmask_b32_e32 v83, v85, v81, vcc
	v_cndmask_b32_e32 v87, v115, v114, vcc
	v_add_u32_e32 v83, 1, v83
	v_add_u32_e32 v87, -1, v87
	v_min_u32_e32 v87, v83, v87
	v_add_u32_e32 v87, v52, v87
	ds_read_u8 v87, v87
	v_cndmask_b32_e32 v80, v86, v84, vcc
	v_cndmask_b32_e32 v85, v83, v85, vcc
	v_cndmask_b32_e32 v83, v81, v83, vcc
	v_cmp_lt_u32_e64 s[4:5], v83, v114
	s_waitcnt lgkmcnt(0)
	v_cndmask_b32_e32 v86, v87, v86, vcc
	v_cndmask_b32_e32 v84, v84, v87, vcc
	v_cmp_le_i16_sdwa s[6:7], sext(v84), sext(v86) src0_sel:BYTE_0 src1_sel:BYTE_0
	v_cmp_ge_u32_e32 vcc, v85, v115
	s_and_b64 s[4:5], s[4:5], s[6:7]
	s_or_b64 vcc, vcc, s[4:5]
	v_cndmask_b32_e32 v87, v85, v83, vcc
	v_cndmask_b32_e32 v96, v115, v114, vcc
	v_add_u32_e32 v87, 1, v87
	v_add_u32_e32 v96, -1, v96
	v_min_u32_e32 v96, v87, v96
	v_add_u32_e32 v96, v52, v96
	ds_read_u8 v96, v96
	v_cndmask_b32_e32 v81, v86, v84, vcc
	v_cndmask_b32_e32 v85, v87, v85, vcc
	v_cndmask_b32_e32 v87, v83, v87, vcc
	v_cmp_lt_u32_e64 s[4:5], v87, v114
	s_waitcnt lgkmcnt(0)
	v_cndmask_b32_e32 v86, v96, v86, vcc
	v_cndmask_b32_e32 v84, v84, v96, vcc
	;; [unrolled: 18-line block ×3, first 2 shown]
	v_cmp_le_i16_sdwa s[6:7], sext(v97), sext(v86) src0_sel:BYTE_0 src1_sel:BYTE_0
	v_cmp_ge_u32_e32 vcc, v85, v115
	s_and_b64 s[4:5], s[4:5], s[6:7]
	s_or_b64 vcc, vcc, s[4:5]
	v_cndmask_b32_e32 v96, v85, v87, vcc
	v_cndmask_b32_e32 v98, v115, v114, vcc
	v_add_u32_e32 v96, 1, v96
	v_add_u32_e32 v98, -1, v98
	v_min_u32_e32 v98, v96, v98
	v_add_u32_e32 v98, v52, v98
	ds_read_u8 v98, v98
	v_cndmask_b32_e32 v84, v86, v97, vcc
	v_cndmask_b32_e32 v87, v87, v96, vcc
	v_cmp_lt_u32_e64 s[4:5], v87, v114
	s_waitcnt lgkmcnt(0)
	v_cndmask_b32_e32 v86, v98, v86, vcc
	v_cndmask_b32_e32 v97, v97, v98, vcc
	;; [unrolled: 1-line block ×3, first 2 shown]
	v_cmp_le_i16_sdwa s[6:7], sext(v97), sext(v86) src0_sel:BYTE_0 src1_sel:BYTE_0
	v_cmp_ge_u32_e32 vcc, v98, v115
	s_and_b64 s[4:5], s[4:5], s[6:7]
	s_or_b64 vcc, vcc, s[4:5]
	v_cndmask_b32_e32 v96, v98, v87, vcc
	v_cndmask_b32_e32 v99, v115, v114, vcc
	v_add_u32_e32 v96, 1, v96
	v_add_u32_e32 v99, -1, v99
	v_min_u32_e32 v99, v96, v99
	v_add_u32_e32 v99, v52, v99
	ds_read_u8 v99, v99
	v_cndmask_b32_e32 v85, v86, v97, vcc
	v_cndmask_b32_e32 v87, v87, v96, vcc
	v_cndmask_b32_e32 v98, v96, v98, vcc
	v_cmp_lt_u32_e64 s[4:5], v87, v114
	s_waitcnt lgkmcnt(0)
	v_cndmask_b32_e32 v100, v99, v86, vcc
	v_cndmask_b32_e32 v97, v97, v99, vcc
	v_cmp_le_i16_sdwa s[6:7], sext(v97), sext(v100) src0_sel:BYTE_0 src1_sel:BYTE_0
	v_cmp_ge_u32_e32 vcc, v98, v115
	s_and_b64 s[4:5], s[4:5], s[6:7]
	s_or_b64 vcc, vcc, s[4:5]
	v_cndmask_b32_e32 v96, v98, v87, vcc
	v_cndmask_b32_e32 v99, v115, v114, vcc
	v_add_u32_e32 v96, 1, v96
	v_add_u32_e32 v99, -1, v99
	v_min_u32_e32 v99, v96, v99
	v_add_u32_e32 v99, v52, v99
	ds_read_u8 v99, v99
	v_cndmask_b32_e32 v86, v100, v97, vcc
	v_cndmask_b32_e32 v98, v96, v98, vcc
	v_cndmask_b32_e32 v96, v87, v96, vcc
	v_cmp_lt_u32_e64 s[4:5], v96, v114
	s_waitcnt lgkmcnt(0)
	v_cndmask_b32_e32 v100, v99, v100, vcc
	v_cndmask_b32_e32 v97, v97, v99, vcc
	;; [unrolled: 18-line block ×4, first 2 shown]
	v_cmp_le_i16_sdwa s[6:7], sext(v102), sext(v100) src0_sel:BYTE_0 src1_sel:BYTE_0
	v_cmp_ge_u32_e32 vcc, v98, v115
	s_and_b64 s[4:5], s[4:5], s[6:7]
	s_or_b64 vcc, vcc, s[4:5]
	v_cndmask_b32_e32 v101, v98, v99, vcc
	v_cndmask_b32_e32 v103, v115, v114, vcc
	v_add_u32_e32 v101, 1, v101
	v_add_u32_e32 v103, -1, v103
	v_min_u32_e32 v103, v101, v103
	v_add_u32_e32 v103, v52, v103
	ds_read_u8 v103, v103
	v_cndmask_b32_e32 v97, v100, v102, vcc
	v_cndmask_b32_e32 v99, v99, v101, vcc
	v_cmp_lt_u32_e64 s[4:5], v99, v114
	s_waitcnt lgkmcnt(0)
	v_cndmask_b32_e32 v100, v103, v100, vcc
	v_cndmask_b32_e32 v102, v102, v103, vcc
	;; [unrolled: 1-line block ×3, first 2 shown]
	v_cmp_le_i16_sdwa s[6:7], sext(v102), sext(v100) src0_sel:BYTE_0 src1_sel:BYTE_0
	v_cmp_ge_u32_e32 vcc, v103, v115
	s_and_b64 s[4:5], s[4:5], s[6:7]
	s_or_b64 vcc, vcc, s[4:5]
	v_cndmask_b32_e32 v101, v103, v99, vcc
	v_cndmask_b32_e32 v112, v115, v114, vcc
	v_add_u32_e32 v101, 1, v101
	v_add_u32_e32 v112, -1, v112
	v_min_u32_e32 v112, v101, v112
	v_add_u32_e32 v112, v52, v112
	ds_read_u8 v112, v112
	v_cndmask_b32_e32 v98, v100, v102, vcc
	v_cndmask_b32_e32 v103, v101, v103, vcc
	v_cndmask_b32_e32 v101, v99, v101, vcc
	v_cmp_lt_u32_e64 s[4:5], v101, v114
	s_waitcnt lgkmcnt(0)
	v_cndmask_b32_e32 v100, v112, v100, vcc
	v_cndmask_b32_e32 v102, v102, v112, vcc
	v_cmp_le_i16_sdwa s[6:7], sext(v102), sext(v100) src0_sel:BYTE_0 src1_sel:BYTE_0
	v_cmp_ge_u32_e32 vcc, v103, v115
	s_and_b64 s[4:5], s[4:5], s[6:7]
	s_or_b64 vcc, vcc, s[4:5]
	v_cndmask_b32_e32 v112, v103, v101, vcc
	v_cndmask_b32_e32 v113, v115, v114, vcc
	v_add_u32_e32 v112, 1, v112
	v_add_u32_e32 v113, -1, v113
	v_min_u32_e32 v113, v112, v113
	v_add_u32_e32 v113, v52, v113
	ds_read_u8 v113, v113
	v_cndmask_b32_e32 v99, v100, v102, vcc
	v_cndmask_b32_e32 v101, v101, v112, vcc
	v_cndmask_b32_e32 v103, v112, v103, vcc
	v_cmp_lt_u32_e64 s[4:5], v101, v114
	s_waitcnt lgkmcnt(0)
	v_cndmask_b32_e32 v116, v113, v100, vcc
	v_cndmask_b32_e32 v102, v102, v113, vcc
	;; [unrolled: 18-line block ×4, first 2 shown]
	v_cmp_le_i16_sdwa s[6:7], sext(v117), sext(v116) src0_sel:BYTE_0 src1_sel:BYTE_0
	v_cmp_ge_u32_e32 vcc, v103, v115
	s_and_b64 s[4:5], s[4:5], s[6:7]
	s_or_b64 vcc, vcc, s[4:5]
	v_cndmask_b32_e32 v113, v103, v112, vcc
	v_cndmask_b32_e32 v118, v115, v114, vcc
	v_add_u32_e32 v113, 1, v113
	v_add_u32_e32 v118, -1, v118
	v_min_u32_e32 v118, v113, v118
	v_add_u32_e32 v118, v52, v118
	ds_read_u8 v118, v118
	v_cndmask_b32_e32 v102, v116, v117, vcc
	v_cndmask_b32_e32 v112, v112, v113, vcc
	v_cmp_lt_u32_e64 s[4:5], v112, v114
	s_waitcnt lgkmcnt(0)
	v_cndmask_b32_e32 v116, v118, v116, vcc
	v_cndmask_b32_e32 v117, v117, v118, vcc
	;; [unrolled: 1-line block ×3, first 2 shown]
	v_cmp_le_i16_sdwa s[6:7], sext(v117), sext(v116) src0_sel:BYTE_0 src1_sel:BYTE_0
	v_cmp_ge_u32_e32 vcc, v118, v115
	s_and_b64 s[4:5], s[4:5], s[6:7]
	s_or_b64 vcc, vcc, s[4:5]
	v_cndmask_b32_e32 v113, v118, v112, vcc
	v_cndmask_b32_e32 v119, v115, v114, vcc
	v_add_u32_e32 v113, 1, v113
	v_add_u32_e32 v119, -1, v119
	v_min_u32_e32 v119, v113, v119
	v_add_u32_e32 v119, v52, v119
	ds_read_u8 v119, v119
	v_cndmask_b32_e32 v103, v116, v117, vcc
	v_cndmask_b32_e32 v118, v113, v118, vcc
	;; [unrolled: 1-line block ×3, first 2 shown]
	v_cmp_lt_u32_e64 s[4:5], v113, v114
	s_waitcnt lgkmcnt(0)
	v_cndmask_b32_e32 v116, v119, v116, vcc
	v_cndmask_b32_e32 v117, v117, v119, vcc
	v_cmp_le_i16_sdwa s[6:7], sext(v117), sext(v116) src0_sel:BYTE_0 src1_sel:BYTE_0
	v_cmp_ge_u32_e32 vcc, v118, v115
	s_and_b64 s[4:5], s[4:5], s[6:7]
	s_or_b64 vcc, vcc, s[4:5]
	v_cndmask_b32_e32 v119, v118, v113, vcc
	v_cndmask_b32_e32 v128, v115, v114, vcc
	v_add_u32_e32 v119, 1, v119
	v_add_u32_e32 v128, -1, v128
	v_min_u32_e32 v128, v119, v128
	v_add_u32_e32 v128, v52, v128
	ds_read_u8 v128, v128
	v_cndmask_b32_e32 v118, v119, v118, vcc
	v_cndmask_b32_e32 v112, v116, v117, vcc
	v_cmp_lt_u32_e64 s[4:5], v118, v115
	v_cndmask_b32_e32 v113, v113, v119, vcc
	s_waitcnt lgkmcnt(0)
	v_cndmask_b32_e32 v117, v117, v128, vcc
	v_cndmask_b32_e32 v115, v128, v116, vcc
	v_cmp_lt_u32_e32 vcc, v113, v114
	v_min_i16_sdwa v113, sext(v117), sext(v115) dst_sel:DWORD dst_unused:UNUSED_PAD src0_sel:BYTE_0 src1_sel:BYTE_0
	v_cndmask_b32_e32 v113, v115, v113, vcc
	v_cndmask_b32_e64 v113, v117, v113, s[4:5]
.LBB2701_135:
	s_or_b64 exec, exec, s[8:9]
	v_lshlrev_b16_e32 v114, 8, v68
	v_lshlrev_b16_e32 v115, 8, v80
	v_or_b32_sdwa v114, v67, v114 dst_sel:DWORD dst_unused:UNUSED_PAD src0_sel:BYTE_0 src1_sel:DWORD
	v_or_b32_sdwa v115, v69, v115 dst_sel:WORD_1 dst_unused:UNUSED_PAD src0_sel:BYTE_0 src1_sel:DWORD
	v_or_b32_sdwa v117, v114, v115 dst_sel:DWORD dst_unused:UNUSED_PAD src0_sel:WORD_0 src1_sel:DWORD
	v_lshlrev_b16_e32 v114, 8, v64
	v_lshlrev_b16_e32 v115, 8, v66
	v_or_b32_sdwa v114, v55, v114 dst_sel:DWORD dst_unused:UNUSED_PAD src0_sel:BYTE_0 src1_sel:DWORD
	v_or_b32_sdwa v115, v65, v115 dst_sel:WORD_1 dst_unused:UNUSED_PAD src0_sel:BYTE_0 src1_sel:DWORD
	v_or_b32_sdwa v116, v114, v115 dst_sel:DWORD dst_unused:UNUSED_PAD src0_sel:WORD_0 src1_sel:DWORD
	;; [unrolled: 5-line block ×4, first 2 shown]
	; wave barrier
	ds_write_b128 v71, v[114:117]
	v_lshlrev_b16_e32 v114, 8, v103
	v_lshlrev_b16_e32 v115, 8, v113
	v_or_b32_sdwa v114, v102, v114 dst_sel:DWORD dst_unused:UNUSED_PAD src0_sel:BYTE_0 src1_sel:DWORD
	v_or_b32_sdwa v115, v112, v115 dst_sel:WORD_1 dst_unused:UNUSED_PAD src0_sel:BYTE_0 src1_sel:DWORD
	v_or_b32_sdwa v117, v114, v115 dst_sel:DWORD dst_unused:UNUSED_PAD src0_sel:WORD_0 src1_sel:DWORD
	v_lshlrev_b16_e32 v114, 8, v99
	v_lshlrev_b16_e32 v115, 8, v101
	v_or_b32_sdwa v114, v98, v114 dst_sel:DWORD dst_unused:UNUSED_PAD src0_sel:BYTE_0 src1_sel:DWORD
	v_or_b32_sdwa v115, v100, v115 dst_sel:WORD_1 dst_unused:UNUSED_PAD src0_sel:BYTE_0 src1_sel:DWORD
	v_or_b32_sdwa v116, v114, v115 dst_sel:DWORD dst_unused:UNUSED_PAD src0_sel:WORD_0 src1_sel:DWORD
	;; [unrolled: 5-line block ×4, first 2 shown]
	ds_write_b128 v71, v[114:117] offset:16
	v_and_b32_e32 v116, 0xf80, v70
	v_or_b32_e32 v114, 64, v116
	v_min_u32_e32 v114, v82, v114
	v_add_u32_e32 v115, 64, v114
	v_min_u32_e32 v115, v82, v115
	v_and_b32_e32 v117, 0x60, v70
	v_min_u32_e32 v117, v82, v117
	v_sub_u32_e32 v119, v114, v116
	v_sub_u32_e32 v118, v115, v114
	v_sub_u32_e64 v118, v117, v118 clamp
	v_min_u32_e32 v119, v117, v119
	v_cmp_lt_u32_e32 vcc, v118, v119
	; wave barrier
	s_and_saveexec_b64 s[4:5], vcc
	s_cbranch_execz .LBB2701_139
; %bb.136:
	v_add_u32_e32 v128, v52, v116
	v_add3_u32 v129, v52, v114, v117
	s_mov_b64 s[6:7], 0
.LBB2701_137:                           ; =>This Inner Loop Header: Depth=1
	v_add_u32_e32 v130, v119, v118
	v_lshrrev_b32_e32 v130, 1, v130
	v_add_u32_e32 v131, v128, v130
	v_xad_u32 v132, v130, -1, v129
	ds_read_i8 v131, v131
	ds_read_i8 v132, v132
	v_add_u32_e32 v133, 1, v130
	s_waitcnt lgkmcnt(0)
	v_cmp_gt_i16_e32 vcc, v131, v132
	v_cndmask_b32_e32 v119, v119, v130, vcc
	v_cndmask_b32_e32 v118, v133, v118, vcc
	v_cmp_ge_u32_e32 vcc, v118, v119
	s_or_b64 s[6:7], vcc, s[6:7]
	s_andn2_b64 exec, exec, s[6:7]
	s_cbranch_execnz .LBB2701_137
; %bb.138:
	s_or_b64 exec, exec, s[6:7]
.LBB2701_139:
	s_or_b64 exec, exec, s[4:5]
	v_add_u32_e32 v117, v114, v117
	v_add_u32_e32 v116, v118, v116
	v_sub_u32_e32 v117, v117, v118
	v_cmp_le_u32_e32 vcc, v116, v114
	v_cmp_le_u32_e64 s[4:5], v117, v115
	s_or_b64 s[4:5], vcc, s[4:5]
	s_and_saveexec_b64 s[8:9], s[4:5]
	s_cbranch_execz .LBB2701_145
; %bb.140:
	v_cmp_lt_u32_e32 vcc, v116, v114
                                        ; implicit-def: $vgpr39
	s_and_saveexec_b64 s[4:5], vcc
	s_cbranch_execz .LBB2701_142
; %bb.141:
	v_add_u32_e32 v38, v52, v116
	ds_read_u8 v39, v38
.LBB2701_142:
	s_or_b64 exec, exec, s[4:5]
	v_cmp_ge_u32_e64 s[4:5], v117, v115
	v_cmp_lt_u32_e64 s[6:7], v117, v115
                                        ; implicit-def: $vgpr48
	s_and_saveexec_b64 s[10:11], s[6:7]
	s_cbranch_execz .LBB2701_144
; %bb.143:
	v_add_u32_e32 v38, v52, v117
	ds_read_u8 v48, v38
.LBB2701_144:
	s_or_b64 exec, exec, s[10:11]
	s_waitcnt lgkmcnt(0)
	v_cmp_le_i16_sdwa s[6:7], sext(v39), sext(v48) src0_sel:BYTE_0 src1_sel:BYTE_0
	s_and_b64 s[6:7], vcc, s[6:7]
	s_or_b64 vcc, s[4:5], s[6:7]
	v_cndmask_b32_e32 v49, v117, v116, vcc
	v_cndmask_b32_e32 v50, v115, v114, vcc
	v_add_u32_e32 v49, 1, v49
	v_add_u32_e32 v50, -1, v50
	v_min_u32_e32 v50, v49, v50
	v_add_u32_e32 v50, v52, v50
	ds_read_u8 v50, v50
	v_cndmask_b32_e32 v38, v48, v39, vcc
	v_cndmask_b32_e32 v51, v49, v117, vcc
	v_cndmask_b32_e32 v49, v116, v49, vcc
	v_cmp_lt_u32_e64 s[4:5], v49, v114
	s_waitcnt lgkmcnt(0)
	v_cndmask_b32_e32 v48, v50, v48, vcc
	v_cndmask_b32_e32 v50, v39, v50, vcc
	v_cmp_le_i16_sdwa s[6:7], sext(v50), sext(v48) src0_sel:BYTE_0 src1_sel:BYTE_0
	v_cmp_ge_u32_e32 vcc, v51, v115
	s_and_b64 s[4:5], s[4:5], s[6:7]
	s_or_b64 vcc, vcc, s[4:5]
	v_cndmask_b32_e32 v53, v51, v49, vcc
	v_cndmask_b32_e32 v54, v115, v114, vcc
	v_add_u32_e32 v53, 1, v53
	v_add_u32_e32 v54, -1, v54
	v_min_u32_e32 v54, v53, v54
	v_add_u32_e32 v54, v52, v54
	ds_read_u8 v54, v54
	v_cndmask_b32_e32 v39, v48, v50, vcc
	v_cndmask_b32_e32 v49, v49, v53, vcc
	v_cndmask_b32_e32 v51, v53, v51, vcc
	v_cmp_lt_u32_e64 s[4:5], v49, v114
	s_waitcnt lgkmcnt(0)
	v_cndmask_b32_e32 v55, v54, v48, vcc
	v_cndmask_b32_e32 v50, v50, v54, vcc
	v_cmp_le_i16_sdwa s[6:7], sext(v50), sext(v55) src0_sel:BYTE_0 src1_sel:BYTE_0
	v_cmp_ge_u32_e32 vcc, v51, v115
	s_and_b64 s[4:5], s[4:5], s[6:7]
	s_or_b64 vcc, vcc, s[4:5]
	;; [unrolled: 18-line block ×4, first 2 shown]
	v_cndmask_b32_e32 v54, v51, v53, vcc
	v_cndmask_b32_e32 v65, v115, v114, vcc
	v_add_u32_e32 v54, 1, v54
	v_add_u32_e32 v65, -1, v65
	v_min_u32_e32 v65, v54, v65
	v_add_u32_e32 v65, v52, v65
	ds_read_u8 v65, v65
	v_cndmask_b32_e32 v50, v55, v64, vcc
	v_cndmask_b32_e32 v53, v53, v54, vcc
	v_cmp_lt_u32_e64 s[4:5], v53, v114
	s_waitcnt lgkmcnt(0)
	v_cndmask_b32_e32 v55, v65, v55, vcc
	v_cndmask_b32_e32 v64, v64, v65, vcc
	;; [unrolled: 1-line block ×3, first 2 shown]
	v_cmp_le_i16_sdwa s[6:7], sext(v64), sext(v55) src0_sel:BYTE_0 src1_sel:BYTE_0
	v_cmp_ge_u32_e32 vcc, v65, v115
	s_and_b64 s[4:5], s[4:5], s[6:7]
	s_or_b64 vcc, vcc, s[4:5]
	v_cndmask_b32_e32 v54, v65, v53, vcc
	v_cndmask_b32_e32 v66, v115, v114, vcc
	v_add_u32_e32 v54, 1, v54
	v_add_u32_e32 v66, -1, v66
	v_min_u32_e32 v66, v54, v66
	v_add_u32_e32 v66, v52, v66
	ds_read_u8 v66, v66
	v_cndmask_b32_e32 v51, v55, v64, vcc
	v_cndmask_b32_e32 v65, v54, v65, vcc
	v_cndmask_b32_e32 v54, v53, v54, vcc
	v_cmp_lt_u32_e64 s[4:5], v54, v114
	s_waitcnt lgkmcnt(0)
	v_cndmask_b32_e32 v55, v66, v55, vcc
	v_cndmask_b32_e32 v64, v64, v66, vcc
	v_cmp_le_i16_sdwa s[6:7], sext(v64), sext(v55) src0_sel:BYTE_0 src1_sel:BYTE_0
	v_cmp_ge_u32_e32 vcc, v65, v115
	s_and_b64 s[4:5], s[4:5], s[6:7]
	s_or_b64 vcc, vcc, s[4:5]
	v_cndmask_b32_e32 v66, v65, v54, vcc
	v_cndmask_b32_e32 v67, v115, v114, vcc
	v_add_u32_e32 v66, 1, v66
	v_add_u32_e32 v67, -1, v67
	v_min_u32_e32 v67, v66, v67
	v_add_u32_e32 v67, v52, v67
	ds_read_u8 v67, v67
	v_cndmask_b32_e32 v53, v55, v64, vcc
	v_cndmask_b32_e32 v65, v66, v65, vcc
	v_cndmask_b32_e32 v66, v54, v66, vcc
	v_cmp_lt_u32_e64 s[4:5], v66, v114
	s_waitcnt lgkmcnt(0)
	v_cndmask_b32_e32 v55, v67, v55, vcc
	v_cndmask_b32_e32 v64, v64, v67, vcc
	;; [unrolled: 18-line block ×4, first 2 shown]
	v_cmp_le_i16_sdwa s[6:7], sext(v68), sext(v69) src0_sel:BYTE_0 src1_sel:BYTE_0
	v_cmp_ge_u32_e32 vcc, v65, v115
	s_and_b64 s[4:5], s[4:5], s[6:7]
	s_or_b64 vcc, vcc, s[4:5]
	v_cndmask_b32_e32 v67, v65, v66, vcc
	v_cndmask_b32_e32 v80, v115, v114, vcc
	v_add_u32_e32 v67, 1, v67
	v_add_u32_e32 v80, -1, v80
	v_min_u32_e32 v80, v67, v80
	v_add_u32_e32 v80, v52, v80
	ds_read_u8 v80, v80
	v_cndmask_b32_e32 v64, v69, v68, vcc
	v_cndmask_b32_e32 v66, v66, v67, vcc
	v_cmp_lt_u32_e64 s[4:5], v66, v114
	s_waitcnt lgkmcnt(0)
	v_cndmask_b32_e32 v69, v80, v69, vcc
	v_cndmask_b32_e32 v68, v68, v80, vcc
	;; [unrolled: 1-line block ×3, first 2 shown]
	v_cmp_le_i16_sdwa s[6:7], sext(v68), sext(v69) src0_sel:BYTE_0 src1_sel:BYTE_0
	v_cmp_ge_u32_e32 vcc, v80, v115
	s_and_b64 s[4:5], s[4:5], s[6:7]
	s_or_b64 vcc, vcc, s[4:5]
	v_cndmask_b32_e32 v67, v80, v66, vcc
	v_cndmask_b32_e32 v81, v115, v114, vcc
	v_add_u32_e32 v67, 1, v67
	v_add_u32_e32 v81, -1, v81
	v_min_u32_e32 v81, v67, v81
	v_add_u32_e32 v81, v52, v81
	ds_read_u8 v81, v81
	v_cndmask_b32_e32 v65, v69, v68, vcc
	v_cndmask_b32_e32 v80, v67, v80, vcc
	v_cndmask_b32_e32 v67, v66, v67, vcc
	v_cmp_lt_u32_e64 s[4:5], v67, v114
	s_waitcnt lgkmcnt(0)
	v_cndmask_b32_e32 v69, v81, v69, vcc
	v_cndmask_b32_e32 v68, v68, v81, vcc
	v_cmp_le_i16_sdwa s[6:7], sext(v68), sext(v69) src0_sel:BYTE_0 src1_sel:BYTE_0
	v_cmp_ge_u32_e32 vcc, v80, v115
	s_and_b64 s[4:5], s[4:5], s[6:7]
	s_or_b64 vcc, vcc, s[4:5]
	v_cndmask_b32_e32 v81, v80, v67, vcc
	v_cndmask_b32_e32 v83, v115, v114, vcc
	v_add_u32_e32 v81, 1, v81
	v_add_u32_e32 v83, -1, v83
	v_min_u32_e32 v83, v81, v83
	v_add_u32_e32 v83, v52, v83
	ds_read_u8 v83, v83
	v_cndmask_b32_e32 v66, v69, v68, vcc
	v_cndmask_b32_e32 v80, v81, v80, vcc
	v_cndmask_b32_e32 v81, v67, v81, vcc
	v_cmp_lt_u32_e64 s[4:5], v81, v114
	s_waitcnt lgkmcnt(0)
	v_cndmask_b32_e32 v69, v83, v69, vcc
	v_cndmask_b32_e32 v68, v68, v83, vcc
	;; [unrolled: 18-line block ×4, first 2 shown]
	v_cmp_le_i16_sdwa s[6:7], sext(v84), sext(v86) src0_sel:BYTE_0 src1_sel:BYTE_0
	v_cmp_ge_u32_e32 vcc, v80, v115
	s_and_b64 s[4:5], s[4:5], s[6:7]
	s_or_b64 vcc, vcc, s[4:5]
	v_cndmask_b32_e32 v83, v80, v81, vcc
	v_cndmask_b32_e32 v85, v115, v114, vcc
	v_add_u32_e32 v83, 1, v83
	v_add_u32_e32 v85, -1, v85
	v_min_u32_e32 v85, v83, v85
	v_add_u32_e32 v85, v52, v85
	ds_read_u8 v85, v85
	v_cndmask_b32_e32 v69, v86, v84, vcc
	v_cndmask_b32_e32 v81, v81, v83, vcc
	v_cmp_lt_u32_e64 s[4:5], v81, v114
	s_waitcnt lgkmcnt(0)
	v_cndmask_b32_e32 v86, v85, v86, vcc
	v_cndmask_b32_e32 v84, v84, v85, vcc
	;; [unrolled: 1-line block ×3, first 2 shown]
	v_cmp_le_i16_sdwa s[6:7], sext(v84), sext(v86) src0_sel:BYTE_0 src1_sel:BYTE_0
	v_cmp_ge_u32_e32 vcc, v85, v115
	s_and_b64 s[4:5], s[4:5], s[6:7]
	s_or_b64 vcc, vcc, s[4:5]
	v_cndmask_b32_e32 v83, v85, v81, vcc
	v_cndmask_b32_e32 v87, v115, v114, vcc
	v_add_u32_e32 v83, 1, v83
	v_add_u32_e32 v87, -1, v87
	v_min_u32_e32 v87, v83, v87
	v_add_u32_e32 v87, v52, v87
	ds_read_u8 v87, v87
	v_cndmask_b32_e32 v80, v86, v84, vcc
	v_cndmask_b32_e32 v85, v83, v85, vcc
	v_cndmask_b32_e32 v83, v81, v83, vcc
	v_cmp_lt_u32_e64 s[4:5], v83, v114
	s_waitcnt lgkmcnt(0)
	v_cndmask_b32_e32 v86, v87, v86, vcc
	v_cndmask_b32_e32 v84, v84, v87, vcc
	v_cmp_le_i16_sdwa s[6:7], sext(v84), sext(v86) src0_sel:BYTE_0 src1_sel:BYTE_0
	v_cmp_ge_u32_e32 vcc, v85, v115
	s_and_b64 s[4:5], s[4:5], s[6:7]
	s_or_b64 vcc, vcc, s[4:5]
	v_cndmask_b32_e32 v87, v85, v83, vcc
	v_cndmask_b32_e32 v96, v115, v114, vcc
	v_add_u32_e32 v87, 1, v87
	v_add_u32_e32 v96, -1, v96
	v_min_u32_e32 v96, v87, v96
	v_add_u32_e32 v96, v52, v96
	ds_read_u8 v96, v96
	v_cndmask_b32_e32 v81, v86, v84, vcc
	v_cndmask_b32_e32 v85, v87, v85, vcc
	v_cndmask_b32_e32 v87, v83, v87, vcc
	v_cmp_lt_u32_e64 s[4:5], v87, v114
	s_waitcnt lgkmcnt(0)
	v_cndmask_b32_e32 v86, v96, v86, vcc
	v_cndmask_b32_e32 v84, v84, v96, vcc
	;; [unrolled: 18-line block ×3, first 2 shown]
	v_cmp_le_i16_sdwa s[6:7], sext(v97), sext(v86) src0_sel:BYTE_0 src1_sel:BYTE_0
	v_cmp_ge_u32_e32 vcc, v85, v115
	s_and_b64 s[4:5], s[4:5], s[6:7]
	s_or_b64 vcc, vcc, s[4:5]
	v_cndmask_b32_e32 v96, v85, v87, vcc
	v_cndmask_b32_e32 v98, v115, v114, vcc
	v_add_u32_e32 v96, 1, v96
	v_add_u32_e32 v98, -1, v98
	v_min_u32_e32 v98, v96, v98
	v_add_u32_e32 v98, v52, v98
	ds_read_u8 v98, v98
	v_cndmask_b32_e32 v84, v86, v97, vcc
	v_cndmask_b32_e32 v87, v87, v96, vcc
	v_cmp_lt_u32_e64 s[4:5], v87, v114
	s_waitcnt lgkmcnt(0)
	v_cndmask_b32_e32 v86, v98, v86, vcc
	v_cndmask_b32_e32 v97, v97, v98, vcc
	;; [unrolled: 1-line block ×3, first 2 shown]
	v_cmp_le_i16_sdwa s[6:7], sext(v97), sext(v86) src0_sel:BYTE_0 src1_sel:BYTE_0
	v_cmp_ge_u32_e32 vcc, v98, v115
	s_and_b64 s[4:5], s[4:5], s[6:7]
	s_or_b64 vcc, vcc, s[4:5]
	v_cndmask_b32_e32 v96, v98, v87, vcc
	v_cndmask_b32_e32 v99, v115, v114, vcc
	v_add_u32_e32 v96, 1, v96
	v_add_u32_e32 v99, -1, v99
	v_min_u32_e32 v99, v96, v99
	v_add_u32_e32 v99, v52, v99
	ds_read_u8 v99, v99
	v_cndmask_b32_e32 v85, v86, v97, vcc
	v_cndmask_b32_e32 v87, v87, v96, vcc
	v_cndmask_b32_e32 v98, v96, v98, vcc
	v_cmp_lt_u32_e64 s[4:5], v87, v114
	s_waitcnt lgkmcnt(0)
	v_cndmask_b32_e32 v100, v99, v86, vcc
	v_cndmask_b32_e32 v97, v97, v99, vcc
	v_cmp_le_i16_sdwa s[6:7], sext(v97), sext(v100) src0_sel:BYTE_0 src1_sel:BYTE_0
	v_cmp_ge_u32_e32 vcc, v98, v115
	s_and_b64 s[4:5], s[4:5], s[6:7]
	s_or_b64 vcc, vcc, s[4:5]
	v_cndmask_b32_e32 v96, v98, v87, vcc
	v_cndmask_b32_e32 v99, v115, v114, vcc
	v_add_u32_e32 v96, 1, v96
	v_add_u32_e32 v99, -1, v99
	v_min_u32_e32 v99, v96, v99
	v_add_u32_e32 v99, v52, v99
	ds_read_u8 v99, v99
	v_cndmask_b32_e32 v86, v100, v97, vcc
	v_cndmask_b32_e32 v98, v96, v98, vcc
	v_cndmask_b32_e32 v96, v87, v96, vcc
	v_cmp_lt_u32_e64 s[4:5], v96, v114
	s_waitcnt lgkmcnt(0)
	v_cndmask_b32_e32 v100, v99, v100, vcc
	v_cndmask_b32_e32 v97, v97, v99, vcc
	v_cmp_le_i16_sdwa s[6:7], sext(v97), sext(v100) src0_sel:BYTE_0 src1_sel:BYTE_0
	v_cmp_ge_u32_e32 vcc, v98, v115
	s_and_b64 s[4:5], s[4:5], s[6:7]
	s_or_b64 vcc, vcc, s[4:5]
	v_cndmask_b32_e32 v99, v98, v96, vcc
	v_cndmask_b32_e32 v101, v115, v114, vcc
	v_add_u32_e32 v99, 1, v99
	v_add_u32_e32 v101, -1, v101
	v_min_u32_e32 v101, v99, v101
	v_add_u32_e32 v101, v52, v101
	ds_read_u8 v101, v101
	v_cndmask_b32_e32 v87, v100, v97, vcc
	v_cndmask_b32_e32 v98, v99, v98, vcc
	v_cndmask_b32_e32 v99, v96, v99, vcc
	v_cmp_lt_u32_e64 s[4:5], v99, v114
	s_waitcnt lgkmcnt(0)
	v_cndmask_b32_e32 v100, v101, v100, vcc
	v_cndmask_b32_e32 v97, v97, v101, vcc
	v_cmp_le_i16_sdwa s[6:7], sext(v97), sext(v100) src0_sel:BYTE_0 src1_sel:BYTE_0
	v_cmp_ge_u32_e32 vcc, v98, v115
	s_and_b64 s[4:5], s[4:5], s[6:7]
	s_or_b64 vcc, vcc, s[4:5]
	v_cndmask_b32_e32 v101, v98, v99, vcc
	v_cndmask_b32_e32 v102, v115, v114, vcc
	v_add_u32_e32 v101, 1, v101
	v_add_u32_e32 v102, -1, v102
	v_min_u32_e32 v102, v101, v102
	v_add_u32_e32 v102, v52, v102
	ds_read_u8 v102, v102
	v_cndmask_b32_e32 v96, v100, v97, vcc
	v_cndmask_b32_e32 v99, v99, v101, vcc
	v_cndmask_b32_e32 v98, v101, v98, vcc
	v_cmp_lt_u32_e64 s[4:5], v99, v114
	s_waitcnt lgkmcnt(0)
	v_cndmask_b32_e32 v100, v102, v100, vcc
	v_cndmask_b32_e32 v102, v97, v102, vcc
	v_cmp_le_i16_sdwa s[6:7], sext(v102), sext(v100) src0_sel:BYTE_0 src1_sel:BYTE_0
	v_cmp_ge_u32_e32 vcc, v98, v115
	s_and_b64 s[4:5], s[4:5], s[6:7]
	s_or_b64 vcc, vcc, s[4:5]
	v_cndmask_b32_e32 v101, v98, v99, vcc
	v_cndmask_b32_e32 v103, v115, v114, vcc
	v_add_u32_e32 v101, 1, v101
	v_add_u32_e32 v103, -1, v103
	v_min_u32_e32 v103, v101, v103
	v_add_u32_e32 v103, v52, v103
	ds_read_u8 v103, v103
	v_cndmask_b32_e32 v97, v100, v102, vcc
	v_cndmask_b32_e32 v99, v99, v101, vcc
	v_cmp_lt_u32_e64 s[4:5], v99, v114
	s_waitcnt lgkmcnt(0)
	v_cndmask_b32_e32 v100, v103, v100, vcc
	v_cndmask_b32_e32 v102, v102, v103, vcc
	;; [unrolled: 1-line block ×3, first 2 shown]
	v_cmp_le_i16_sdwa s[6:7], sext(v102), sext(v100) src0_sel:BYTE_0 src1_sel:BYTE_0
	v_cmp_ge_u32_e32 vcc, v103, v115
	s_and_b64 s[4:5], s[4:5], s[6:7]
	s_or_b64 vcc, vcc, s[4:5]
	v_cndmask_b32_e32 v101, v103, v99, vcc
	v_cndmask_b32_e32 v112, v115, v114, vcc
	v_add_u32_e32 v101, 1, v101
	v_add_u32_e32 v112, -1, v112
	v_min_u32_e32 v112, v101, v112
	v_add_u32_e32 v112, v52, v112
	ds_read_u8 v112, v112
	v_cndmask_b32_e32 v98, v100, v102, vcc
	v_cndmask_b32_e32 v103, v101, v103, vcc
	v_cndmask_b32_e32 v101, v99, v101, vcc
	v_cmp_lt_u32_e64 s[4:5], v101, v114
	s_waitcnt lgkmcnt(0)
	v_cndmask_b32_e32 v100, v112, v100, vcc
	v_cndmask_b32_e32 v102, v102, v112, vcc
	v_cmp_le_i16_sdwa s[6:7], sext(v102), sext(v100) src0_sel:BYTE_0 src1_sel:BYTE_0
	v_cmp_ge_u32_e32 vcc, v103, v115
	s_and_b64 s[4:5], s[4:5], s[6:7]
	s_or_b64 vcc, vcc, s[4:5]
	v_cndmask_b32_e32 v112, v103, v101, vcc
	v_cndmask_b32_e32 v113, v115, v114, vcc
	v_add_u32_e32 v112, 1, v112
	v_add_u32_e32 v113, -1, v113
	v_min_u32_e32 v113, v112, v113
	v_add_u32_e32 v113, v52, v113
	ds_read_u8 v113, v113
	v_cndmask_b32_e32 v99, v100, v102, vcc
	v_cndmask_b32_e32 v101, v101, v112, vcc
	v_cndmask_b32_e32 v103, v112, v103, vcc
	v_cmp_lt_u32_e64 s[4:5], v101, v114
	s_waitcnt lgkmcnt(0)
	v_cndmask_b32_e32 v116, v113, v100, vcc
	v_cndmask_b32_e32 v102, v102, v113, vcc
	;; [unrolled: 18-line block ×4, first 2 shown]
	v_cmp_le_i16_sdwa s[6:7], sext(v117), sext(v116) src0_sel:BYTE_0 src1_sel:BYTE_0
	v_cmp_ge_u32_e32 vcc, v103, v115
	s_and_b64 s[4:5], s[4:5], s[6:7]
	s_or_b64 vcc, vcc, s[4:5]
	v_cndmask_b32_e32 v113, v103, v112, vcc
	v_cndmask_b32_e32 v118, v115, v114, vcc
	v_add_u32_e32 v113, 1, v113
	v_add_u32_e32 v118, -1, v118
	v_min_u32_e32 v118, v113, v118
	v_add_u32_e32 v118, v52, v118
	ds_read_u8 v118, v118
	v_cndmask_b32_e32 v102, v116, v117, vcc
	v_cndmask_b32_e32 v112, v112, v113, vcc
	v_cmp_lt_u32_e64 s[4:5], v112, v114
	s_waitcnt lgkmcnt(0)
	v_cndmask_b32_e32 v116, v118, v116, vcc
	v_cndmask_b32_e32 v117, v117, v118, vcc
	;; [unrolled: 1-line block ×3, first 2 shown]
	v_cmp_le_i16_sdwa s[6:7], sext(v117), sext(v116) src0_sel:BYTE_0 src1_sel:BYTE_0
	v_cmp_ge_u32_e32 vcc, v118, v115
	s_and_b64 s[4:5], s[4:5], s[6:7]
	s_or_b64 vcc, vcc, s[4:5]
	v_cndmask_b32_e32 v113, v118, v112, vcc
	v_cndmask_b32_e32 v119, v115, v114, vcc
	v_add_u32_e32 v113, 1, v113
	v_add_u32_e32 v119, -1, v119
	v_min_u32_e32 v119, v113, v119
	v_add_u32_e32 v119, v52, v119
	ds_read_u8 v119, v119
	v_cndmask_b32_e32 v103, v116, v117, vcc
	v_cndmask_b32_e32 v118, v113, v118, vcc
	;; [unrolled: 1-line block ×3, first 2 shown]
	v_cmp_lt_u32_e64 s[4:5], v113, v114
	s_waitcnt lgkmcnt(0)
	v_cndmask_b32_e32 v116, v119, v116, vcc
	v_cndmask_b32_e32 v117, v117, v119, vcc
	v_cmp_le_i16_sdwa s[6:7], sext(v117), sext(v116) src0_sel:BYTE_0 src1_sel:BYTE_0
	v_cmp_ge_u32_e32 vcc, v118, v115
	s_and_b64 s[4:5], s[4:5], s[6:7]
	s_or_b64 vcc, vcc, s[4:5]
	v_cndmask_b32_e32 v119, v118, v113, vcc
	v_cndmask_b32_e32 v128, v115, v114, vcc
	v_add_u32_e32 v119, 1, v119
	v_add_u32_e32 v128, -1, v128
	v_min_u32_e32 v128, v119, v128
	v_add_u32_e32 v128, v52, v128
	ds_read_u8 v128, v128
	v_cndmask_b32_e32 v118, v119, v118, vcc
	v_cndmask_b32_e32 v112, v116, v117, vcc
	v_cmp_lt_u32_e64 s[4:5], v118, v115
	v_cndmask_b32_e32 v113, v113, v119, vcc
	s_waitcnt lgkmcnt(0)
	v_cndmask_b32_e32 v117, v117, v128, vcc
	v_cndmask_b32_e32 v115, v128, v116, vcc
	v_cmp_lt_u32_e32 vcc, v113, v114
	v_min_i16_sdwa v113, sext(v117), sext(v115) dst_sel:DWORD dst_unused:UNUSED_PAD src0_sel:BYTE_0 src1_sel:BYTE_0
	v_cndmask_b32_e32 v113, v115, v113, vcc
	v_cndmask_b32_e64 v113, v117, v113, s[4:5]
.LBB2701_145:
	s_or_b64 exec, exec, s[8:9]
	v_lshlrev_b16_e32 v114, 8, v68
	v_lshlrev_b16_e32 v115, 8, v80
	v_or_b32_sdwa v114, v67, v114 dst_sel:DWORD dst_unused:UNUSED_PAD src0_sel:BYTE_0 src1_sel:DWORD
	v_or_b32_sdwa v115, v69, v115 dst_sel:WORD_1 dst_unused:UNUSED_PAD src0_sel:BYTE_0 src1_sel:DWORD
	v_or_b32_sdwa v117, v114, v115 dst_sel:DWORD dst_unused:UNUSED_PAD src0_sel:WORD_0 src1_sel:DWORD
	v_lshlrev_b16_e32 v114, 8, v64
	v_lshlrev_b16_e32 v115, 8, v66
	v_or_b32_sdwa v114, v55, v114 dst_sel:DWORD dst_unused:UNUSED_PAD src0_sel:BYTE_0 src1_sel:DWORD
	v_or_b32_sdwa v115, v65, v115 dst_sel:WORD_1 dst_unused:UNUSED_PAD src0_sel:BYTE_0 src1_sel:DWORD
	v_or_b32_sdwa v116, v114, v115 dst_sel:DWORD dst_unused:UNUSED_PAD src0_sel:WORD_0 src1_sel:DWORD
	;; [unrolled: 5-line block ×4, first 2 shown]
	; wave barrier
	ds_write_b128 v71, v[114:117]
	v_lshlrev_b16_e32 v114, 8, v103
	v_lshlrev_b16_e32 v115, 8, v113
	v_or_b32_sdwa v114, v102, v114 dst_sel:DWORD dst_unused:UNUSED_PAD src0_sel:BYTE_0 src1_sel:DWORD
	v_or_b32_sdwa v115, v112, v115 dst_sel:WORD_1 dst_unused:UNUSED_PAD src0_sel:BYTE_0 src1_sel:DWORD
	v_or_b32_sdwa v117, v114, v115 dst_sel:DWORD dst_unused:UNUSED_PAD src0_sel:WORD_0 src1_sel:DWORD
	v_lshlrev_b16_e32 v114, 8, v99
	v_lshlrev_b16_e32 v115, 8, v101
	v_or_b32_sdwa v114, v98, v114 dst_sel:DWORD dst_unused:UNUSED_PAD src0_sel:BYTE_0 src1_sel:DWORD
	v_or_b32_sdwa v115, v100, v115 dst_sel:WORD_1 dst_unused:UNUSED_PAD src0_sel:BYTE_0 src1_sel:DWORD
	v_or_b32_sdwa v116, v114, v115 dst_sel:DWORD dst_unused:UNUSED_PAD src0_sel:WORD_0 src1_sel:DWORD
	;; [unrolled: 5-line block ×4, first 2 shown]
	ds_write_b128 v71, v[114:117] offset:16
	v_and_b32_e32 v116, 0xf00, v70
	v_or_b32_e32 v114, 0x80, v116
	v_min_u32_e32 v114, v82, v114
	v_add_u32_e32 v115, 0x80, v114
	v_min_u32_e32 v115, v82, v115
	v_and_b32_e32 v117, 0xe0, v70
	v_min_u32_e32 v117, v82, v117
	v_sub_u32_e32 v119, v114, v116
	v_sub_u32_e32 v118, v115, v114
	v_sub_u32_e64 v118, v117, v118 clamp
	v_min_u32_e32 v119, v117, v119
	v_cmp_lt_u32_e32 vcc, v118, v119
	; wave barrier
	s_and_saveexec_b64 s[4:5], vcc
	s_cbranch_execz .LBB2701_149
; %bb.146:
	v_add_u32_e32 v128, v52, v116
	v_add3_u32 v129, v52, v114, v117
	s_mov_b64 s[6:7], 0
.LBB2701_147:                           ; =>This Inner Loop Header: Depth=1
	v_add_u32_e32 v130, v119, v118
	v_lshrrev_b32_e32 v130, 1, v130
	v_add_u32_e32 v131, v128, v130
	v_xad_u32 v132, v130, -1, v129
	ds_read_i8 v131, v131
	ds_read_i8 v132, v132
	v_add_u32_e32 v133, 1, v130
	s_waitcnt lgkmcnt(0)
	v_cmp_gt_i16_e32 vcc, v131, v132
	v_cndmask_b32_e32 v119, v119, v130, vcc
	v_cndmask_b32_e32 v118, v133, v118, vcc
	v_cmp_ge_u32_e32 vcc, v118, v119
	s_or_b64 s[6:7], vcc, s[6:7]
	s_andn2_b64 exec, exec, s[6:7]
	s_cbranch_execnz .LBB2701_147
; %bb.148:
	s_or_b64 exec, exec, s[6:7]
.LBB2701_149:
	s_or_b64 exec, exec, s[4:5]
	v_add_u32_e32 v117, v114, v117
	v_add_u32_e32 v116, v118, v116
	v_sub_u32_e32 v117, v117, v118
	v_cmp_le_u32_e32 vcc, v116, v114
	v_cmp_le_u32_e64 s[4:5], v117, v115
	s_or_b64 s[4:5], vcc, s[4:5]
	s_and_saveexec_b64 s[8:9], s[4:5]
	s_cbranch_execz .LBB2701_155
; %bb.150:
	v_cmp_lt_u32_e32 vcc, v116, v114
                                        ; implicit-def: $vgpr39
	s_and_saveexec_b64 s[4:5], vcc
	s_cbranch_execz .LBB2701_152
; %bb.151:
	v_add_u32_e32 v38, v52, v116
	ds_read_u8 v39, v38
.LBB2701_152:
	s_or_b64 exec, exec, s[4:5]
	v_cmp_ge_u32_e64 s[4:5], v117, v115
	v_cmp_lt_u32_e64 s[6:7], v117, v115
                                        ; implicit-def: $vgpr48
	s_and_saveexec_b64 s[10:11], s[6:7]
	s_cbranch_execz .LBB2701_154
; %bb.153:
	v_add_u32_e32 v38, v52, v117
	ds_read_u8 v48, v38
.LBB2701_154:
	s_or_b64 exec, exec, s[10:11]
	s_waitcnt lgkmcnt(0)
	v_cmp_le_i16_sdwa s[6:7], sext(v39), sext(v48) src0_sel:BYTE_0 src1_sel:BYTE_0
	s_and_b64 s[6:7], vcc, s[6:7]
	s_or_b64 vcc, s[4:5], s[6:7]
	v_cndmask_b32_e32 v49, v117, v116, vcc
	v_cndmask_b32_e32 v50, v115, v114, vcc
	v_add_u32_e32 v49, 1, v49
	v_add_u32_e32 v50, -1, v50
	v_min_u32_e32 v50, v49, v50
	v_add_u32_e32 v50, v52, v50
	ds_read_u8 v50, v50
	v_cndmask_b32_e32 v38, v48, v39, vcc
	v_cndmask_b32_e32 v51, v49, v117, vcc
	v_cndmask_b32_e32 v49, v116, v49, vcc
	v_cmp_lt_u32_e64 s[4:5], v49, v114
	s_waitcnt lgkmcnt(0)
	v_cndmask_b32_e32 v48, v50, v48, vcc
	v_cndmask_b32_e32 v50, v39, v50, vcc
	v_cmp_le_i16_sdwa s[6:7], sext(v50), sext(v48) src0_sel:BYTE_0 src1_sel:BYTE_0
	v_cmp_ge_u32_e32 vcc, v51, v115
	s_and_b64 s[4:5], s[4:5], s[6:7]
	s_or_b64 vcc, vcc, s[4:5]
	v_cndmask_b32_e32 v53, v51, v49, vcc
	v_cndmask_b32_e32 v54, v115, v114, vcc
	v_add_u32_e32 v53, 1, v53
	v_add_u32_e32 v54, -1, v54
	v_min_u32_e32 v54, v53, v54
	v_add_u32_e32 v54, v52, v54
	ds_read_u8 v54, v54
	v_cndmask_b32_e32 v39, v48, v50, vcc
	v_cndmask_b32_e32 v49, v49, v53, vcc
	v_cndmask_b32_e32 v51, v53, v51, vcc
	v_cmp_lt_u32_e64 s[4:5], v49, v114
	s_waitcnt lgkmcnt(0)
	v_cndmask_b32_e32 v55, v54, v48, vcc
	v_cndmask_b32_e32 v50, v50, v54, vcc
	v_cmp_le_i16_sdwa s[6:7], sext(v50), sext(v55) src0_sel:BYTE_0 src1_sel:BYTE_0
	v_cmp_ge_u32_e32 vcc, v51, v115
	s_and_b64 s[4:5], s[4:5], s[6:7]
	s_or_b64 vcc, vcc, s[4:5]
	v_cndmask_b32_e32 v53, v51, v49, vcc
	v_cndmask_b32_e32 v54, v115, v114, vcc
	v_add_u32_e32 v53, 1, v53
	v_add_u32_e32 v54, -1, v54
	v_min_u32_e32 v54, v53, v54
	v_add_u32_e32 v54, v52, v54
	ds_read_u8 v54, v54
	v_cndmask_b32_e32 v48, v55, v50, vcc
	v_cndmask_b32_e32 v51, v53, v51, vcc
	v_cndmask_b32_e32 v53, v49, v53, vcc
	v_cmp_lt_u32_e64 s[4:5], v53, v114
	s_waitcnt lgkmcnt(0)
	v_cndmask_b32_e32 v55, v54, v55, vcc
	v_cndmask_b32_e32 v50, v50, v54, vcc
	v_cmp_le_i16_sdwa s[6:7], sext(v50), sext(v55) src0_sel:BYTE_0 src1_sel:BYTE_0
	v_cmp_ge_u32_e32 vcc, v51, v115
	s_and_b64 s[4:5], s[4:5], s[6:7]
	s_or_b64 vcc, vcc, s[4:5]
	v_cndmask_b32_e32 v54, v51, v53, vcc
	v_cndmask_b32_e32 v64, v115, v114, vcc
	v_add_u32_e32 v54, 1, v54
	v_add_u32_e32 v64, -1, v64
	v_min_u32_e32 v64, v54, v64
	v_add_u32_e32 v64, v52, v64
	ds_read_u8 v64, v64
	v_cndmask_b32_e32 v49, v55, v50, vcc
	v_cndmask_b32_e32 v53, v53, v54, vcc
	v_cndmask_b32_e32 v51, v54, v51, vcc
	v_cmp_lt_u32_e64 s[4:5], v53, v114
	s_waitcnt lgkmcnt(0)
	v_cndmask_b32_e32 v55, v64, v55, vcc
	v_cndmask_b32_e32 v64, v50, v64, vcc
	v_cmp_le_i16_sdwa s[6:7], sext(v64), sext(v55) src0_sel:BYTE_0 src1_sel:BYTE_0
	v_cmp_ge_u32_e32 vcc, v51, v115
	s_and_b64 s[4:5], s[4:5], s[6:7]
	s_or_b64 vcc, vcc, s[4:5]
	v_cndmask_b32_e32 v54, v51, v53, vcc
	v_cndmask_b32_e32 v65, v115, v114, vcc
	v_add_u32_e32 v54, 1, v54
	v_add_u32_e32 v65, -1, v65
	v_min_u32_e32 v65, v54, v65
	v_add_u32_e32 v65, v52, v65
	ds_read_u8 v65, v65
	v_cndmask_b32_e32 v50, v55, v64, vcc
	v_cndmask_b32_e32 v53, v53, v54, vcc
	v_cmp_lt_u32_e64 s[4:5], v53, v114
	s_waitcnt lgkmcnt(0)
	v_cndmask_b32_e32 v55, v65, v55, vcc
	v_cndmask_b32_e32 v64, v64, v65, vcc
	;; [unrolled: 1-line block ×3, first 2 shown]
	v_cmp_le_i16_sdwa s[6:7], sext(v64), sext(v55) src0_sel:BYTE_0 src1_sel:BYTE_0
	v_cmp_ge_u32_e32 vcc, v65, v115
	s_and_b64 s[4:5], s[4:5], s[6:7]
	s_or_b64 vcc, vcc, s[4:5]
	v_cndmask_b32_e32 v54, v65, v53, vcc
	v_cndmask_b32_e32 v66, v115, v114, vcc
	v_add_u32_e32 v54, 1, v54
	v_add_u32_e32 v66, -1, v66
	v_min_u32_e32 v66, v54, v66
	v_add_u32_e32 v66, v52, v66
	ds_read_u8 v66, v66
	v_cndmask_b32_e32 v51, v55, v64, vcc
	v_cndmask_b32_e32 v65, v54, v65, vcc
	v_cndmask_b32_e32 v54, v53, v54, vcc
	v_cmp_lt_u32_e64 s[4:5], v54, v114
	s_waitcnt lgkmcnt(0)
	v_cndmask_b32_e32 v55, v66, v55, vcc
	v_cndmask_b32_e32 v64, v64, v66, vcc
	v_cmp_le_i16_sdwa s[6:7], sext(v64), sext(v55) src0_sel:BYTE_0 src1_sel:BYTE_0
	v_cmp_ge_u32_e32 vcc, v65, v115
	s_and_b64 s[4:5], s[4:5], s[6:7]
	s_or_b64 vcc, vcc, s[4:5]
	v_cndmask_b32_e32 v66, v65, v54, vcc
	v_cndmask_b32_e32 v67, v115, v114, vcc
	v_add_u32_e32 v66, 1, v66
	v_add_u32_e32 v67, -1, v67
	v_min_u32_e32 v67, v66, v67
	v_add_u32_e32 v67, v52, v67
	ds_read_u8 v67, v67
	v_cndmask_b32_e32 v53, v55, v64, vcc
	v_cndmask_b32_e32 v65, v66, v65, vcc
	v_cndmask_b32_e32 v66, v54, v66, vcc
	v_cmp_lt_u32_e64 s[4:5], v66, v114
	s_waitcnt lgkmcnt(0)
	v_cndmask_b32_e32 v55, v67, v55, vcc
	v_cndmask_b32_e32 v64, v64, v67, vcc
	v_cmp_le_i16_sdwa s[6:7], sext(v64), sext(v55) src0_sel:BYTE_0 src1_sel:BYTE_0
	v_cmp_ge_u32_e32 vcc, v65, v115
	s_and_b64 s[4:5], s[4:5], s[6:7]
	s_or_b64 vcc, vcc, s[4:5]
	v_cndmask_b32_e32 v67, v65, v66, vcc
	v_cndmask_b32_e32 v68, v115, v114, vcc
	v_add_u32_e32 v67, 1, v67
	v_add_u32_e32 v68, -1, v68
	v_min_u32_e32 v68, v67, v68
	v_add_u32_e32 v68, v52, v68
	ds_read_u8 v68, v68
	v_cndmask_b32_e32 v54, v55, v64, vcc
	v_cndmask_b32_e32 v66, v66, v67, vcc
	v_cndmask_b32_e32 v65, v67, v65, vcc
	v_cmp_lt_u32_e64 s[4:5], v66, v114
	s_waitcnt lgkmcnt(0)
	v_cndmask_b32_e32 v69, v68, v55, vcc
	v_cndmask_b32_e32 v64, v64, v68, vcc
	v_cmp_le_i16_sdwa s[6:7], sext(v64), sext(v69) src0_sel:BYTE_0 src1_sel:BYTE_0
	v_cmp_ge_u32_e32 vcc, v65, v115
	s_and_b64 s[4:5], s[4:5], s[6:7]
	s_or_b64 vcc, vcc, s[4:5]
	v_cndmask_b32_e32 v67, v65, v66, vcc
	v_cndmask_b32_e32 v68, v115, v114, vcc
	v_add_u32_e32 v67, 1, v67
	v_add_u32_e32 v68, -1, v68
	v_min_u32_e32 v68, v67, v68
	v_add_u32_e32 v68, v52, v68
	ds_read_u8 v68, v68
	v_cndmask_b32_e32 v55, v69, v64, vcc
	v_cndmask_b32_e32 v66, v66, v67, vcc
	v_cndmask_b32_e32 v65, v67, v65, vcc
	v_cmp_lt_u32_e64 s[4:5], v66, v114
	s_waitcnt lgkmcnt(0)
	v_cndmask_b32_e32 v69, v68, v69, vcc
	v_cndmask_b32_e32 v68, v64, v68, vcc
	v_cmp_le_i16_sdwa s[6:7], sext(v68), sext(v69) src0_sel:BYTE_0 src1_sel:BYTE_0
	v_cmp_ge_u32_e32 vcc, v65, v115
	s_and_b64 s[4:5], s[4:5], s[6:7]
	s_or_b64 vcc, vcc, s[4:5]
	v_cndmask_b32_e32 v67, v65, v66, vcc
	v_cndmask_b32_e32 v80, v115, v114, vcc
	v_add_u32_e32 v67, 1, v67
	v_add_u32_e32 v80, -1, v80
	v_min_u32_e32 v80, v67, v80
	v_add_u32_e32 v80, v52, v80
	ds_read_u8 v80, v80
	v_cndmask_b32_e32 v64, v69, v68, vcc
	v_cndmask_b32_e32 v66, v66, v67, vcc
	v_cmp_lt_u32_e64 s[4:5], v66, v114
	s_waitcnt lgkmcnt(0)
	v_cndmask_b32_e32 v69, v80, v69, vcc
	v_cndmask_b32_e32 v68, v68, v80, vcc
	;; [unrolled: 1-line block ×3, first 2 shown]
	v_cmp_le_i16_sdwa s[6:7], sext(v68), sext(v69) src0_sel:BYTE_0 src1_sel:BYTE_0
	v_cmp_ge_u32_e32 vcc, v80, v115
	s_and_b64 s[4:5], s[4:5], s[6:7]
	s_or_b64 vcc, vcc, s[4:5]
	v_cndmask_b32_e32 v67, v80, v66, vcc
	v_cndmask_b32_e32 v81, v115, v114, vcc
	v_add_u32_e32 v67, 1, v67
	v_add_u32_e32 v81, -1, v81
	v_min_u32_e32 v81, v67, v81
	v_add_u32_e32 v81, v52, v81
	ds_read_u8 v81, v81
	v_cndmask_b32_e32 v65, v69, v68, vcc
	v_cndmask_b32_e32 v80, v67, v80, vcc
	v_cndmask_b32_e32 v67, v66, v67, vcc
	v_cmp_lt_u32_e64 s[4:5], v67, v114
	s_waitcnt lgkmcnt(0)
	v_cndmask_b32_e32 v69, v81, v69, vcc
	v_cndmask_b32_e32 v68, v68, v81, vcc
	v_cmp_le_i16_sdwa s[6:7], sext(v68), sext(v69) src0_sel:BYTE_0 src1_sel:BYTE_0
	v_cmp_ge_u32_e32 vcc, v80, v115
	s_and_b64 s[4:5], s[4:5], s[6:7]
	s_or_b64 vcc, vcc, s[4:5]
	v_cndmask_b32_e32 v81, v80, v67, vcc
	v_cndmask_b32_e32 v83, v115, v114, vcc
	v_add_u32_e32 v81, 1, v81
	v_add_u32_e32 v83, -1, v83
	v_min_u32_e32 v83, v81, v83
	v_add_u32_e32 v83, v52, v83
	ds_read_u8 v83, v83
	v_cndmask_b32_e32 v66, v69, v68, vcc
	v_cndmask_b32_e32 v80, v81, v80, vcc
	v_cndmask_b32_e32 v81, v67, v81, vcc
	v_cmp_lt_u32_e64 s[4:5], v81, v114
	s_waitcnt lgkmcnt(0)
	v_cndmask_b32_e32 v69, v83, v69, vcc
	v_cndmask_b32_e32 v68, v68, v83, vcc
	;; [unrolled: 18-line block ×4, first 2 shown]
	v_cmp_le_i16_sdwa s[6:7], sext(v84), sext(v86) src0_sel:BYTE_0 src1_sel:BYTE_0
	v_cmp_ge_u32_e32 vcc, v80, v115
	s_and_b64 s[4:5], s[4:5], s[6:7]
	s_or_b64 vcc, vcc, s[4:5]
	v_cndmask_b32_e32 v83, v80, v81, vcc
	v_cndmask_b32_e32 v85, v115, v114, vcc
	v_add_u32_e32 v83, 1, v83
	v_add_u32_e32 v85, -1, v85
	v_min_u32_e32 v85, v83, v85
	v_add_u32_e32 v85, v52, v85
	ds_read_u8 v85, v85
	v_cndmask_b32_e32 v69, v86, v84, vcc
	v_cndmask_b32_e32 v81, v81, v83, vcc
	v_cmp_lt_u32_e64 s[4:5], v81, v114
	s_waitcnt lgkmcnt(0)
	v_cndmask_b32_e32 v86, v85, v86, vcc
	v_cndmask_b32_e32 v84, v84, v85, vcc
	;; [unrolled: 1-line block ×3, first 2 shown]
	v_cmp_le_i16_sdwa s[6:7], sext(v84), sext(v86) src0_sel:BYTE_0 src1_sel:BYTE_0
	v_cmp_ge_u32_e32 vcc, v85, v115
	s_and_b64 s[4:5], s[4:5], s[6:7]
	s_or_b64 vcc, vcc, s[4:5]
	v_cndmask_b32_e32 v83, v85, v81, vcc
	v_cndmask_b32_e32 v87, v115, v114, vcc
	v_add_u32_e32 v83, 1, v83
	v_add_u32_e32 v87, -1, v87
	v_min_u32_e32 v87, v83, v87
	v_add_u32_e32 v87, v52, v87
	ds_read_u8 v87, v87
	v_cndmask_b32_e32 v80, v86, v84, vcc
	v_cndmask_b32_e32 v85, v83, v85, vcc
	v_cndmask_b32_e32 v83, v81, v83, vcc
	v_cmp_lt_u32_e64 s[4:5], v83, v114
	s_waitcnt lgkmcnt(0)
	v_cndmask_b32_e32 v86, v87, v86, vcc
	v_cndmask_b32_e32 v84, v84, v87, vcc
	v_cmp_le_i16_sdwa s[6:7], sext(v84), sext(v86) src0_sel:BYTE_0 src1_sel:BYTE_0
	v_cmp_ge_u32_e32 vcc, v85, v115
	s_and_b64 s[4:5], s[4:5], s[6:7]
	s_or_b64 vcc, vcc, s[4:5]
	v_cndmask_b32_e32 v87, v85, v83, vcc
	v_cndmask_b32_e32 v96, v115, v114, vcc
	v_add_u32_e32 v87, 1, v87
	v_add_u32_e32 v96, -1, v96
	v_min_u32_e32 v96, v87, v96
	v_add_u32_e32 v96, v52, v96
	ds_read_u8 v96, v96
	v_cndmask_b32_e32 v81, v86, v84, vcc
	v_cndmask_b32_e32 v85, v87, v85, vcc
	v_cndmask_b32_e32 v87, v83, v87, vcc
	v_cmp_lt_u32_e64 s[4:5], v87, v114
	s_waitcnt lgkmcnt(0)
	v_cndmask_b32_e32 v86, v96, v86, vcc
	v_cndmask_b32_e32 v84, v84, v96, vcc
	;; [unrolled: 18-line block ×3, first 2 shown]
	v_cmp_le_i16_sdwa s[6:7], sext(v97), sext(v86) src0_sel:BYTE_0 src1_sel:BYTE_0
	v_cmp_ge_u32_e32 vcc, v85, v115
	s_and_b64 s[4:5], s[4:5], s[6:7]
	s_or_b64 vcc, vcc, s[4:5]
	v_cndmask_b32_e32 v96, v85, v87, vcc
	v_cndmask_b32_e32 v98, v115, v114, vcc
	v_add_u32_e32 v96, 1, v96
	v_add_u32_e32 v98, -1, v98
	v_min_u32_e32 v98, v96, v98
	v_add_u32_e32 v98, v52, v98
	ds_read_u8 v98, v98
	v_cndmask_b32_e32 v84, v86, v97, vcc
	v_cndmask_b32_e32 v87, v87, v96, vcc
	v_cmp_lt_u32_e64 s[4:5], v87, v114
	s_waitcnt lgkmcnt(0)
	v_cndmask_b32_e32 v86, v98, v86, vcc
	v_cndmask_b32_e32 v97, v97, v98, vcc
	;; [unrolled: 1-line block ×3, first 2 shown]
	v_cmp_le_i16_sdwa s[6:7], sext(v97), sext(v86) src0_sel:BYTE_0 src1_sel:BYTE_0
	v_cmp_ge_u32_e32 vcc, v98, v115
	s_and_b64 s[4:5], s[4:5], s[6:7]
	s_or_b64 vcc, vcc, s[4:5]
	v_cndmask_b32_e32 v96, v98, v87, vcc
	v_cndmask_b32_e32 v99, v115, v114, vcc
	v_add_u32_e32 v96, 1, v96
	v_add_u32_e32 v99, -1, v99
	v_min_u32_e32 v99, v96, v99
	v_add_u32_e32 v99, v52, v99
	ds_read_u8 v99, v99
	v_cndmask_b32_e32 v85, v86, v97, vcc
	v_cndmask_b32_e32 v87, v87, v96, vcc
	v_cndmask_b32_e32 v98, v96, v98, vcc
	v_cmp_lt_u32_e64 s[4:5], v87, v114
	s_waitcnt lgkmcnt(0)
	v_cndmask_b32_e32 v100, v99, v86, vcc
	v_cndmask_b32_e32 v97, v97, v99, vcc
	v_cmp_le_i16_sdwa s[6:7], sext(v97), sext(v100) src0_sel:BYTE_0 src1_sel:BYTE_0
	v_cmp_ge_u32_e32 vcc, v98, v115
	s_and_b64 s[4:5], s[4:5], s[6:7]
	s_or_b64 vcc, vcc, s[4:5]
	v_cndmask_b32_e32 v96, v98, v87, vcc
	v_cndmask_b32_e32 v99, v115, v114, vcc
	v_add_u32_e32 v96, 1, v96
	v_add_u32_e32 v99, -1, v99
	v_min_u32_e32 v99, v96, v99
	v_add_u32_e32 v99, v52, v99
	ds_read_u8 v99, v99
	v_cndmask_b32_e32 v86, v100, v97, vcc
	v_cndmask_b32_e32 v98, v96, v98, vcc
	v_cndmask_b32_e32 v96, v87, v96, vcc
	v_cmp_lt_u32_e64 s[4:5], v96, v114
	s_waitcnt lgkmcnt(0)
	v_cndmask_b32_e32 v100, v99, v100, vcc
	v_cndmask_b32_e32 v97, v97, v99, vcc
	;; [unrolled: 18-line block ×4, first 2 shown]
	v_cmp_le_i16_sdwa s[6:7], sext(v102), sext(v100) src0_sel:BYTE_0 src1_sel:BYTE_0
	v_cmp_ge_u32_e32 vcc, v98, v115
	s_and_b64 s[4:5], s[4:5], s[6:7]
	s_or_b64 vcc, vcc, s[4:5]
	v_cndmask_b32_e32 v101, v98, v99, vcc
	v_cndmask_b32_e32 v103, v115, v114, vcc
	v_add_u32_e32 v101, 1, v101
	v_add_u32_e32 v103, -1, v103
	v_min_u32_e32 v103, v101, v103
	v_add_u32_e32 v103, v52, v103
	ds_read_u8 v103, v103
	v_cndmask_b32_e32 v97, v100, v102, vcc
	v_cndmask_b32_e32 v99, v99, v101, vcc
	v_cmp_lt_u32_e64 s[4:5], v99, v114
	s_waitcnt lgkmcnt(0)
	v_cndmask_b32_e32 v100, v103, v100, vcc
	v_cndmask_b32_e32 v102, v102, v103, vcc
	;; [unrolled: 1-line block ×3, first 2 shown]
	v_cmp_le_i16_sdwa s[6:7], sext(v102), sext(v100) src0_sel:BYTE_0 src1_sel:BYTE_0
	v_cmp_ge_u32_e32 vcc, v103, v115
	s_and_b64 s[4:5], s[4:5], s[6:7]
	s_or_b64 vcc, vcc, s[4:5]
	v_cndmask_b32_e32 v101, v103, v99, vcc
	v_cndmask_b32_e32 v112, v115, v114, vcc
	v_add_u32_e32 v101, 1, v101
	v_add_u32_e32 v112, -1, v112
	v_min_u32_e32 v112, v101, v112
	v_add_u32_e32 v112, v52, v112
	ds_read_u8 v112, v112
	v_cndmask_b32_e32 v98, v100, v102, vcc
	v_cndmask_b32_e32 v103, v101, v103, vcc
	v_cndmask_b32_e32 v101, v99, v101, vcc
	v_cmp_lt_u32_e64 s[4:5], v101, v114
	s_waitcnt lgkmcnt(0)
	v_cndmask_b32_e32 v100, v112, v100, vcc
	v_cndmask_b32_e32 v102, v102, v112, vcc
	v_cmp_le_i16_sdwa s[6:7], sext(v102), sext(v100) src0_sel:BYTE_0 src1_sel:BYTE_0
	v_cmp_ge_u32_e32 vcc, v103, v115
	s_and_b64 s[4:5], s[4:5], s[6:7]
	s_or_b64 vcc, vcc, s[4:5]
	v_cndmask_b32_e32 v112, v103, v101, vcc
	v_cndmask_b32_e32 v113, v115, v114, vcc
	v_add_u32_e32 v112, 1, v112
	v_add_u32_e32 v113, -1, v113
	v_min_u32_e32 v113, v112, v113
	v_add_u32_e32 v113, v52, v113
	ds_read_u8 v113, v113
	v_cndmask_b32_e32 v99, v100, v102, vcc
	v_cndmask_b32_e32 v101, v101, v112, vcc
	v_cndmask_b32_e32 v103, v112, v103, vcc
	v_cmp_lt_u32_e64 s[4:5], v101, v114
	s_waitcnt lgkmcnt(0)
	v_cndmask_b32_e32 v116, v113, v100, vcc
	v_cndmask_b32_e32 v102, v102, v113, vcc
	;; [unrolled: 18-line block ×4, first 2 shown]
	v_cmp_le_i16_sdwa s[6:7], sext(v117), sext(v116) src0_sel:BYTE_0 src1_sel:BYTE_0
	v_cmp_ge_u32_e32 vcc, v103, v115
	s_and_b64 s[4:5], s[4:5], s[6:7]
	s_or_b64 vcc, vcc, s[4:5]
	v_cndmask_b32_e32 v113, v103, v112, vcc
	v_cndmask_b32_e32 v118, v115, v114, vcc
	v_add_u32_e32 v113, 1, v113
	v_add_u32_e32 v118, -1, v118
	v_min_u32_e32 v118, v113, v118
	v_add_u32_e32 v118, v52, v118
	ds_read_u8 v118, v118
	v_cndmask_b32_e32 v102, v116, v117, vcc
	v_cndmask_b32_e32 v112, v112, v113, vcc
	v_cmp_lt_u32_e64 s[4:5], v112, v114
	s_waitcnt lgkmcnt(0)
	v_cndmask_b32_e32 v116, v118, v116, vcc
	v_cndmask_b32_e32 v117, v117, v118, vcc
	;; [unrolled: 1-line block ×3, first 2 shown]
	v_cmp_le_i16_sdwa s[6:7], sext(v117), sext(v116) src0_sel:BYTE_0 src1_sel:BYTE_0
	v_cmp_ge_u32_e32 vcc, v118, v115
	s_and_b64 s[4:5], s[4:5], s[6:7]
	s_or_b64 vcc, vcc, s[4:5]
	v_cndmask_b32_e32 v113, v118, v112, vcc
	v_cndmask_b32_e32 v119, v115, v114, vcc
	v_add_u32_e32 v113, 1, v113
	v_add_u32_e32 v119, -1, v119
	v_min_u32_e32 v119, v113, v119
	v_add_u32_e32 v119, v52, v119
	ds_read_u8 v119, v119
	v_cndmask_b32_e32 v103, v116, v117, vcc
	v_cndmask_b32_e32 v118, v113, v118, vcc
	;; [unrolled: 1-line block ×3, first 2 shown]
	v_cmp_lt_u32_e64 s[4:5], v113, v114
	s_waitcnt lgkmcnt(0)
	v_cndmask_b32_e32 v116, v119, v116, vcc
	v_cndmask_b32_e32 v117, v117, v119, vcc
	v_cmp_le_i16_sdwa s[6:7], sext(v117), sext(v116) src0_sel:BYTE_0 src1_sel:BYTE_0
	v_cmp_ge_u32_e32 vcc, v118, v115
	s_and_b64 s[4:5], s[4:5], s[6:7]
	s_or_b64 vcc, vcc, s[4:5]
	v_cndmask_b32_e32 v119, v118, v113, vcc
	v_cndmask_b32_e32 v128, v115, v114, vcc
	v_add_u32_e32 v119, 1, v119
	v_add_u32_e32 v128, -1, v128
	v_min_u32_e32 v128, v119, v128
	v_add_u32_e32 v128, v52, v128
	ds_read_u8 v128, v128
	v_cndmask_b32_e32 v118, v119, v118, vcc
	v_cndmask_b32_e32 v112, v116, v117, vcc
	v_cmp_lt_u32_e64 s[4:5], v118, v115
	v_cndmask_b32_e32 v113, v113, v119, vcc
	s_waitcnt lgkmcnt(0)
	v_cndmask_b32_e32 v117, v117, v128, vcc
	v_cndmask_b32_e32 v115, v128, v116, vcc
	v_cmp_lt_u32_e32 vcc, v113, v114
	v_min_i16_sdwa v113, sext(v117), sext(v115) dst_sel:DWORD dst_unused:UNUSED_PAD src0_sel:BYTE_0 src1_sel:BYTE_0
	v_cndmask_b32_e32 v113, v115, v113, vcc
	v_cndmask_b32_e64 v113, v117, v113, s[4:5]
.LBB2701_155:
	s_or_b64 exec, exec, s[8:9]
	v_lshlrev_b16_e32 v114, 8, v68
	v_lshlrev_b16_e32 v115, 8, v80
	v_or_b32_sdwa v114, v67, v114 dst_sel:DWORD dst_unused:UNUSED_PAD src0_sel:BYTE_0 src1_sel:DWORD
	v_or_b32_sdwa v115, v69, v115 dst_sel:WORD_1 dst_unused:UNUSED_PAD src0_sel:BYTE_0 src1_sel:DWORD
	v_or_b32_sdwa v117, v114, v115 dst_sel:DWORD dst_unused:UNUSED_PAD src0_sel:WORD_0 src1_sel:DWORD
	v_lshlrev_b16_e32 v114, 8, v64
	v_lshlrev_b16_e32 v115, 8, v66
	v_or_b32_sdwa v114, v55, v114 dst_sel:DWORD dst_unused:UNUSED_PAD src0_sel:BYTE_0 src1_sel:DWORD
	v_or_b32_sdwa v115, v65, v115 dst_sel:WORD_1 dst_unused:UNUSED_PAD src0_sel:BYTE_0 src1_sel:DWORD
	v_or_b32_sdwa v116, v114, v115 dst_sel:DWORD dst_unused:UNUSED_PAD src0_sel:WORD_0 src1_sel:DWORD
	;; [unrolled: 5-line block ×4, first 2 shown]
	; wave barrier
	ds_write_b128 v71, v[114:117]
	v_lshlrev_b16_e32 v114, 8, v103
	v_lshlrev_b16_e32 v115, 8, v113
	v_or_b32_sdwa v114, v102, v114 dst_sel:DWORD dst_unused:UNUSED_PAD src0_sel:BYTE_0 src1_sel:DWORD
	v_or_b32_sdwa v115, v112, v115 dst_sel:WORD_1 dst_unused:UNUSED_PAD src0_sel:BYTE_0 src1_sel:DWORD
	v_or_b32_sdwa v117, v114, v115 dst_sel:DWORD dst_unused:UNUSED_PAD src0_sel:WORD_0 src1_sel:DWORD
	v_lshlrev_b16_e32 v114, 8, v99
	v_lshlrev_b16_e32 v115, 8, v101
	v_or_b32_sdwa v114, v98, v114 dst_sel:DWORD dst_unused:UNUSED_PAD src0_sel:BYTE_0 src1_sel:DWORD
	v_or_b32_sdwa v115, v100, v115 dst_sel:WORD_1 dst_unused:UNUSED_PAD src0_sel:BYTE_0 src1_sel:DWORD
	v_or_b32_sdwa v116, v114, v115 dst_sel:DWORD dst_unused:UNUSED_PAD src0_sel:WORD_0 src1_sel:DWORD
	;; [unrolled: 5-line block ×4, first 2 shown]
	ds_write_b128 v71, v[114:117] offset:16
	v_and_b32_e32 v115, 0xe00, v70
	v_or_b32_e32 v71, 0x100, v115
	v_min_u32_e32 v71, v82, v71
	v_add_u32_e32 v114, 0x100, v71
	v_min_u32_e32 v114, v82, v114
	v_and_b32_e32 v70, 0x1e0, v70
	v_min_u32_e32 v82, v82, v70
	v_sub_u32_e32 v70, v71, v115
	v_sub_u32_e32 v116, v114, v71
	v_sub_u32_e64 v116, v82, v116 clamp
	v_min_u32_e32 v70, v82, v70
	v_cmp_lt_u32_e32 vcc, v116, v70
	; wave barrier
	s_and_saveexec_b64 s[4:5], vcc
	s_cbranch_execz .LBB2701_159
; %bb.156:
	v_add_u32_e32 v117, v52, v115
	v_add3_u32 v118, v52, v71, v82
	s_mov_b64 s[6:7], 0
.LBB2701_157:                           ; =>This Inner Loop Header: Depth=1
	v_add_u32_e32 v119, v70, v116
	v_lshrrev_b32_e32 v119, 1, v119
	v_add_u32_e32 v128, v117, v119
	v_xad_u32 v129, v119, -1, v118
	ds_read_i8 v128, v128
	ds_read_i8 v129, v129
	v_add_u32_e32 v130, 1, v119
	s_waitcnt lgkmcnt(0)
	v_cmp_gt_i16_e32 vcc, v128, v129
	v_cndmask_b32_e32 v70, v70, v119, vcc
	v_cndmask_b32_e32 v116, v130, v116, vcc
	v_cmp_ge_u32_e32 vcc, v116, v70
	s_or_b64 s[6:7], vcc, s[6:7]
	s_andn2_b64 exec, exec, s[6:7]
	s_cbranch_execnz .LBB2701_157
; %bb.158:
	s_or_b64 exec, exec, s[6:7]
.LBB2701_159:
	s_or_b64 exec, exec, s[4:5]
	v_add_u32_e32 v82, v71, v82
	v_add_u32_e32 v70, v116, v115
	v_sub_u32_e32 v82, v82, v116
	v_cmp_le_u32_e32 vcc, v70, v71
	v_cmp_le_u32_e64 s[4:5], v82, v114
	s_or_b64 s[4:5], vcc, s[4:5]
	s_and_saveexec_b64 s[86:87], s[4:5]
	s_cbranch_execz .LBB2701_165
; %bb.160:
	v_cmp_lt_u32_e32 vcc, v70, v71
                                        ; implicit-def: $vgpr38
	s_and_saveexec_b64 s[4:5], vcc
	s_cbranch_execz .LBB2701_162
; %bb.161:
	v_add_u32_e32 v38, v52, v70
	ds_read_u8 v38, v38
.LBB2701_162:
	s_or_b64 exec, exec, s[4:5]
	v_cmp_ge_u32_e64 s[4:5], v82, v114
	v_cmp_lt_u32_e64 s[6:7], v82, v114
                                        ; implicit-def: $vgpr39
	s_and_saveexec_b64 s[8:9], s[6:7]
	s_cbranch_execz .LBB2701_164
; %bb.163:
	v_add_u32_e32 v39, v52, v82
	ds_read_u8 v39, v39
.LBB2701_164:
	s_or_b64 exec, exec, s[8:9]
	s_waitcnt lgkmcnt(0)
	v_cmp_le_i16_sdwa s[6:7], sext(v38), sext(v39) src0_sel:BYTE_0 src1_sel:BYTE_0
	s_and_b64 s[6:7], vcc, s[6:7]
	s_or_b64 vcc, s[4:5], s[6:7]
	v_cndmask_b32_e32 v48, v82, v70, vcc
	v_cndmask_b32_e32 v49, v114, v71, vcc
	v_add_u32_e32 v48, 1, v48
	v_add_u32_e32 v49, -1, v49
	v_min_u32_e32 v49, v48, v49
	v_add_u32_e32 v49, v52, v49
	ds_read_u8 v49, v49
	v_cndmask_b32_e32 v50, v48, v82, vcc
	v_cndmask_b32_e32 v48, v70, v48, vcc
	v_cmp_lt_u32_e64 s[6:7], v48, v71
	v_cmp_ge_u32_e64 s[4:5], v50, v114
	s_waitcnt lgkmcnt(0)
	v_cndmask_b32_e32 v51, v49, v39, vcc
	v_cndmask_b32_e32 v49, v38, v49, vcc
	v_cmp_le_i16_sdwa s[8:9], sext(v49), sext(v51) src0_sel:BYTE_0 src1_sel:BYTE_0
	s_and_b64 s[6:7], s[6:7], s[8:9]
	s_or_b64 s[4:5], s[4:5], s[6:7]
	v_cndmask_b32_e64 v53, v50, v48, s[4:5]
	v_cndmask_b32_e64 v54, v114, v71, s[4:5]
	v_add_u32_e32 v53, 1, v53
	v_add_u32_e32 v54, -1, v54
	v_min_u32_e32 v54, v53, v54
	v_add_u32_e32 v54, v52, v54
	ds_read_u8 v54, v54
	v_cndmask_b32_e64 v48, v48, v53, s[4:5]
	v_cndmask_b32_e64 v50, v53, v50, s[4:5]
	v_cmp_lt_u32_e64 s[8:9], v48, v71
	v_cmp_ge_u32_e64 s[6:7], v50, v114
	s_waitcnt lgkmcnt(0)
	v_cndmask_b32_e64 v55, v54, v51, s[4:5]
	v_cndmask_b32_e64 v54, v49, v54, s[4:5]
	v_cmp_le_i16_sdwa s[10:11], sext(v54), sext(v55) src0_sel:BYTE_0 src1_sel:BYTE_0
	s_and_b64 s[8:9], s[8:9], s[10:11]
	s_or_b64 s[8:9], s[6:7], s[8:9]
	v_cndmask_b32_e64 v53, v50, v48, s[8:9]
	v_cndmask_b32_e64 v64, v114, v71, s[8:9]
	v_add_u32_e32 v53, 1, v53
	v_add_u32_e32 v64, -1, v64
	v_min_u32_e32 v64, v53, v64
	v_add_u32_e32 v64, v52, v64
	ds_read_u8 v64, v64
	v_cndmask_b32_e64 v48, v48, v53, s[8:9]
	v_cndmask_b32_e64 v50, v53, v50, s[8:9]
	v_cmp_lt_u32_e64 s[10:11], v48, v71
	v_cmp_ge_u32_e64 s[6:7], v50, v114
	s_waitcnt lgkmcnt(0)
	v_cndmask_b32_e64 v65, v64, v55, s[8:9]
	v_cndmask_b32_e64 v64, v54, v64, s[8:9]
	;; [unrolled: 17-line block ×22, first 2 shown]
	v_cmp_le_i16_sdwa s[40:41], sext(v146), sext(v147) src0_sel:BYTE_0 src1_sel:BYTE_0
	s_and_b64 s[40:41], s[82:83], s[40:41]
	s_or_b64 s[82:83], s[34:35], s[40:41]
	v_cndmask_b32_e64 v48, v50, v53, s[82:83]
	v_cndmask_b32_e64 v148, v114, v71, s[82:83]
	v_add_u32_e32 v149, 1, v48
	v_add_u32_e32 v48, -1, v148
	v_min_u32_e32 v48, v149, v48
	v_add_u32_e32 v48, v52, v48
	ds_read_u8 v148, v48
	v_cndmask_b32_e64 v48, v55, v54, s[8:9]
	v_cndmask_b32_e64 v55, v53, v149, s[82:83]
	v_cndmask_b32_e32 v38, v39, v38, vcc
	v_cndmask_b32_e64 v39, v51, v49, s[4:5]
	s_waitcnt lgkmcnt(0)
	v_cndmask_b32_e64 v150, v148, v147, s[82:83]
	v_cndmask_b32_e64 v148, v146, v148, s[82:83]
	;; [unrolled: 1-line block ×3, first 2 shown]
	v_cmp_lt_u32_e64 s[4:5], v55, v71
	v_cmp_le_i16_sdwa s[8:9], sext(v148), sext(v150) src0_sel:BYTE_0 src1_sel:BYTE_0
	v_cmp_ge_u32_e32 vcc, v54, v114
	s_and_b64 s[4:5], s[4:5], s[8:9]
	s_or_b64 vcc, vcc, s[4:5]
	v_cndmask_b32_e32 v49, v54, v55, vcc
	v_cndmask_b32_e32 v50, v114, v71, vcc
	v_add_u32_e32 v149, 1, v49
	v_add_u32_e32 v49, -1, v50
	v_min_u32_e32 v49, v149, v49
	v_add_u32_e32 v49, v52, v49
	ds_read_u8 v151, v49
	v_cndmask_b32_e64 v50, v67, v66, s[10:11]
	v_cndmask_b32_e64 v53, v80, v70, s[16:17]
	v_cndmask_b32_e32 v67, v55, v149, vcc
	v_cndmask_b32_e64 v49, v65, v64, s[6:7]
	s_waitcnt lgkmcnt(0)
	v_cndmask_b32_e32 v70, v151, v150, vcc
	v_cndmask_b32_e32 v151, v148, v151, vcc
	;; [unrolled: 1-line block ×3, first 2 shown]
	v_cmp_lt_u32_e64 s[6:7], v67, v71
	v_cmp_le_i16_sdwa s[8:9], sext(v151), sext(v70) src0_sel:BYTE_0 src1_sel:BYTE_0
	v_cmp_ge_u32_e64 s[4:5], v66, v114
	s_and_b64 s[6:7], s[6:7], s[8:9]
	s_or_b64 s[4:5], s[4:5], s[6:7]
	v_cndmask_b32_e64 v54, v66, v67, s[4:5]
	v_cndmask_b32_e64 v55, v114, v71, s[4:5]
	;; [unrolled: 1-line block ×3, first 2 shown]
	v_add_u32_e32 v68, 1, v54
	v_add_u32_e32 v54, -1, v55
	v_min_u32_e32 v54, v68, v54
	v_add_u32_e32 v54, v52, v54
	ds_read_u8 v69, v54
	v_cndmask_b32_e64 v54, v82, v81, s[14:15]
	v_cndmask_b32_e64 v81, v67, v68, s[4:5]
	v_cndmask_b32_e64 v80, v68, v66, s[4:5]
	v_cmp_lt_u32_e64 s[8:9], v81, v71
	s_waitcnt lgkmcnt(0)
	v_cndmask_b32_e64 v82, v69, v70, s[4:5]
	v_cndmask_b32_e64 v149, v151, v69, s[4:5]
	v_cmp_le_i16_sdwa s[10:11], sext(v149), sext(v82) src0_sel:BYTE_0 src1_sel:BYTE_0
	v_cmp_ge_u32_e64 s[6:7], v80, v114
	s_and_b64 s[8:9], s[8:9], s[10:11]
	s_or_b64 s[6:7], s[6:7], s[8:9]
	v_cndmask_b32_e64 v66, v80, v81, s[6:7]
	v_cndmask_b32_e64 v67, v114, v71, s[6:7]
	v_cndmask_b32_e64 v55, v84, v83, s[18:19]
	v_add_u32_e32 v83, 1, v66
	v_add_u32_e32 v66, -1, v67
	v_min_u32_e32 v66, v83, v66
	v_add_u32_e32 v66, v52, v66
	ds_read_u8 v84, v66
	v_cndmask_b32_e64 v64, v86, v85, s[20:21]
	v_cndmask_b32_e64 v68, v102, v101, s[28:29]
	v_cndmask_b32_e64 v86, v81, v83, s[6:7]
	v_cndmask_b32_e64 v85, v83, v80, s[6:7]
	s_waitcnt lgkmcnt(0)
	v_cndmask_b32_e64 v101, v84, v82, s[6:7]
	v_cndmask_b32_e64 v102, v149, v84, s[6:7]
	v_cmp_lt_u32_e64 s[10:11], v86, v71
	v_cmp_le_i16_sdwa s[12:13], sext(v102), sext(v101) src0_sel:BYTE_0 src1_sel:BYTE_0
	v_cmp_ge_u32_e64 s[8:9], v85, v114
	s_and_b64 s[10:11], s[10:11], s[12:13]
	s_or_b64 s[8:9], s[8:9], s[10:11]
	v_cndmask_b32_e64 v80, v85, v86, s[8:9]
	v_cndmask_b32_e64 v81, v114, v71, s[8:9]
	v_cndmask_b32_e64 v65, v96, v87, s[24:25]
	v_add_u32_e32 v87, 1, v80
	v_add_u32_e32 v80, -1, v81
	v_min_u32_e32 v80, v87, v80
	v_add_u32_e32 v80, v52, v80
	ds_read_u8 v96, v80
	v_cndmask_b32_e64 v66, v98, v97, s[22:23]
	v_cndmask_b32_e64 v69, v112, v103, s[68:69]
	v_cndmask_b32_e64 v98, v86, v87, s[8:9]
	v_cndmask_b32_e64 v97, v87, v85, s[8:9]
	s_waitcnt lgkmcnt(0)
	v_cndmask_b32_e64 v103, v96, v101, s[8:9]
	v_cndmask_b32_e64 v112, v102, v96, s[8:9]
	v_cmp_lt_u32_e64 s[12:13], v98, v71
	;; [unrolled: 20-line block ×4, first 2 shown]
	v_cmp_le_i16_sdwa s[6:7], sext(v82), sext(v70) src0_sel:BYTE_0 src1_sel:BYTE_0
	v_cndmask_b32_e32 v98, v150, v148, vcc
	v_cmp_ge_u32_e32 vcc, v116, v114
	s_and_b64 s[4:5], s[4:5], s[6:7]
	s_or_b64 vcc, vcc, s[4:5]
	v_cndmask_b32_e32 v118, v116, v117, vcc
	v_cndmask_b32_e32 v119, v114, v71, vcc
	v_add_u32_e32 v118, 1, v118
	v_add_u32_e32 v119, -1, v119
	v_min_u32_e32 v119, v118, v119
	v_add_u32_e32 v52, v52, v119
	ds_read_u8 v52, v52
	v_cndmask_b32_e64 v101, v101, v102, s[8:9]
	v_cndmask_b32_e64 v102, v103, v112, s[10:11]
	v_cndmask_b32_e32 v112, v70, v82, vcc
	v_cndmask_b32_e64 v103, v113, v115, s[12:13]
	s_waitcnt lgkmcnt(0)
	v_cndmask_b32_e32 v82, v82, v52, vcc
	v_cndmask_b32_e32 v52, v52, v70, vcc
	;; [unrolled: 1-line block ×4, first 2 shown]
	v_min_i16_sdwa v115, sext(v82), sext(v52) dst_sel:DWORD dst_unused:UNUSED_PAD src0_sel:BYTE_0 src1_sel:BYTE_0
	v_cmp_lt_u32_e32 vcc, v70, v71
	v_cndmask_b32_e32 v52, v52, v115, vcc
	v_cmp_lt_u32_e32 vcc, v113, v114
	v_cndmask_b32_e64 v84, v129, v128, s[76:77]
	v_cndmask_b32_e64 v85, v131, v130, s[74:75]
	;; [unrolled: 1-line block ×6, first 2 shown]
	v_cndmask_b32_e32 v113, v82, v52, vcc
.LBB2701_165:
	s_or_b64 exec, exec, s[86:87]
	s_movk_i32 s40, 0x200
	v_cmp_lt_u32_e32 vcc, s40, v0
	; wave barrier
	s_waitcnt lgkmcnt(0)
	s_barrier
	s_and_saveexec_b64 s[86:87], vcc
	s_cbranch_execz .LBB2701_179
; %bb.166:
	s_mov_b64 s[88:89], 0
	s_branch .LBB2701_169
.LBB2701_167:                           ;   in Loop: Header=BB2701_169 Depth=1
	s_or_b64 exec, exec, s[8:9]
	s_waitcnt lgkmcnt(0)
	v_cmp_le_i16_sdwa s[6:7], sext(v38), sext(v39) src0_sel:BYTE_0 src1_sel:BYTE_0
	s_and_b64 s[6:7], vcc, s[6:7]
	s_or_b64 vcc, s[4:5], s[6:7]
	v_cndmask_b32_e32 v48, v82, v71, vcc
	v_cndmask_b32_e32 v49, v70, v52, vcc
	v_add_u32_e32 v48, 1, v48
	v_add_u32_e32 v49, -1, v49
	v_min_u32_e32 v49, v48, v49
	ds_read_u8 v49, v49
	v_cndmask_b32_e32 v50, v48, v82, vcc
	v_cndmask_b32_e32 v48, v71, v48, vcc
	v_cmp_lt_u32_e64 s[6:7], v48, v52
	v_cmp_ge_u32_e64 s[4:5], v50, v70
	s_waitcnt lgkmcnt(0)
	v_cndmask_b32_e32 v51, v49, v39, vcc
	v_cndmask_b32_e32 v49, v38, v49, vcc
	v_cmp_le_i16_sdwa s[8:9], sext(v49), sext(v51) src0_sel:BYTE_0 src1_sel:BYTE_0
	s_and_b64 s[6:7], s[6:7], s[8:9]
	s_or_b64 s[4:5], s[4:5], s[6:7]
	v_cndmask_b32_e64 v53, v50, v48, s[4:5]
	v_cndmask_b32_e64 v54, v70, v52, s[4:5]
	v_add_u32_e32 v53, 1, v53
	v_add_u32_e32 v54, -1, v54
	v_min_u32_e32 v54, v53, v54
	ds_read_u8 v54, v54
	v_cndmask_b32_e64 v48, v48, v53, s[4:5]
	v_cndmask_b32_e64 v50, v53, v50, s[4:5]
	v_cmp_lt_u32_e64 s[8:9], v48, v52
	v_cmp_ge_u32_e64 s[6:7], v50, v70
	s_waitcnt lgkmcnt(0)
	v_cndmask_b32_e64 v55, v54, v51, s[4:5]
	v_cndmask_b32_e64 v54, v49, v54, s[4:5]
	v_cmp_le_i16_sdwa s[10:11], sext(v54), sext(v55) src0_sel:BYTE_0 src1_sel:BYTE_0
	s_and_b64 s[8:9], s[8:9], s[10:11]
	s_or_b64 s[8:9], s[6:7], s[8:9]
	v_cndmask_b32_e64 v53, v50, v48, s[8:9]
	v_cndmask_b32_e64 v64, v70, v52, s[8:9]
	v_add_u32_e32 v53, 1, v53
	v_add_u32_e32 v64, -1, v64
	v_min_u32_e32 v64, v53, v64
	ds_read_u8 v64, v64
	v_cndmask_b32_e64 v48, v48, v53, s[8:9]
	v_cndmask_b32_e64 v50, v53, v50, s[8:9]
	v_cmp_lt_u32_e64 s[10:11], v48, v52
	v_cmp_ge_u32_e64 s[6:7], v50, v70
	s_waitcnt lgkmcnt(0)
	v_cndmask_b32_e64 v65, v64, v55, s[8:9]
	v_cndmask_b32_e64 v64, v54, v64, s[8:9]
	;; [unrolled: 16-line block ×22, first 2 shown]
	v_cmp_le_i16_sdwa s[92:93], sext(v145), sext(v146) src0_sel:BYTE_0 src1_sel:BYTE_0
	s_and_b64 s[82:83], s[82:83], s[92:93]
	s_or_b64 s[82:83], s[34:35], s[82:83]
	v_cndmask_b32_e64 v48, v50, v53, s[82:83]
	v_cndmask_b32_e64 v147, v70, v52, s[82:83]
	v_add_u32_e32 v148, 1, v48
	v_add_u32_e32 v48, -1, v147
	v_min_u32_e32 v48, v148, v48
	ds_read_u8 v147, v48
	v_cndmask_b32_e64 v48, v55, v54, s[8:9]
	v_cndmask_b32_e64 v55, v53, v148, s[82:83]
	v_cndmask_b32_e32 v38, v39, v38, vcc
	v_cndmask_b32_e64 v39, v51, v49, s[4:5]
	s_waitcnt lgkmcnt(0)
	v_cndmask_b32_e64 v149, v147, v146, s[82:83]
	v_cndmask_b32_e64 v147, v145, v147, s[82:83]
	;; [unrolled: 1-line block ×3, first 2 shown]
	v_cmp_lt_u32_e64 s[4:5], v55, v52
	v_cmp_le_i16_sdwa s[8:9], sext(v147), sext(v149) src0_sel:BYTE_0 src1_sel:BYTE_0
	v_cmp_ge_u32_e32 vcc, v54, v70
	s_and_b64 s[4:5], s[4:5], s[8:9]
	s_or_b64 vcc, vcc, s[4:5]
	v_cndmask_b32_e32 v49, v54, v55, vcc
	v_cndmask_b32_e32 v50, v70, v52, vcc
	v_add_u32_e32 v148, 1, v49
	v_add_u32_e32 v49, -1, v50
	v_min_u32_e32 v49, v148, v49
	ds_read_u8 v150, v49
	v_cndmask_b32_e64 v50, v67, v66, s[10:11]
	v_cndmask_b32_e64 v53, v80, v71, s[16:17]
	v_cndmask_b32_e32 v67, v55, v148, vcc
	v_cndmask_b32_e64 v49, v65, v64, s[6:7]
	s_waitcnt lgkmcnt(0)
	v_cndmask_b32_e32 v71, v150, v149, vcc
	v_cndmask_b32_e32 v150, v147, v150, vcc
	;; [unrolled: 1-line block ×3, first 2 shown]
	v_cmp_lt_u32_e64 s[6:7], v67, v52
	v_cmp_le_i16_sdwa s[8:9], sext(v150), sext(v71) src0_sel:BYTE_0 src1_sel:BYTE_0
	v_cmp_ge_u32_e64 s[4:5], v66, v70
	s_and_b64 s[6:7], s[6:7], s[8:9]
	s_or_b64 s[4:5], s[4:5], s[6:7]
	v_cndmask_b32_e64 v54, v66, v67, s[4:5]
	v_cndmask_b32_e64 v55, v70, v52, s[4:5]
	v_cndmask_b32_e64 v51, v69, v68, s[12:13]
	v_add_u32_e32 v68, 1, v54
	v_add_u32_e32 v54, -1, v55
	v_min_u32_e32 v54, v68, v54
	ds_read_u8 v69, v54
	v_cndmask_b32_e64 v54, v82, v81, s[14:15]
	v_cndmask_b32_e64 v81, v67, v68, s[4:5]
	;; [unrolled: 1-line block ×3, first 2 shown]
	v_cmp_lt_u32_e64 s[8:9], v81, v52
	s_waitcnt lgkmcnt(0)
	v_cndmask_b32_e64 v82, v69, v71, s[4:5]
	v_cndmask_b32_e64 v148, v150, v69, s[4:5]
	v_cmp_le_i16_sdwa s[10:11], sext(v148), sext(v82) src0_sel:BYTE_0 src1_sel:BYTE_0
	v_cmp_ge_u32_e64 s[6:7], v80, v70
	s_and_b64 s[8:9], s[8:9], s[10:11]
	s_or_b64 s[6:7], s[6:7], s[8:9]
	v_cndmask_b32_e64 v66, v80, v81, s[6:7]
	v_cndmask_b32_e64 v67, v70, v52, s[6:7]
	v_cndmask_b32_e64 v55, v84, v83, s[18:19]
	v_add_u32_e32 v83, 1, v66
	v_add_u32_e32 v66, -1, v67
	v_min_u32_e32 v66, v83, v66
	ds_read_u8 v84, v66
	v_cndmask_b32_e64 v64, v86, v85, s[20:21]
	v_cndmask_b32_e64 v68, v102, v101, s[28:29]
	v_cndmask_b32_e64 v86, v81, v83, s[6:7]
	v_cndmask_b32_e64 v85, v83, v80, s[6:7]
	s_waitcnt lgkmcnt(0)
	v_cndmask_b32_e64 v101, v84, v82, s[6:7]
	v_cndmask_b32_e64 v102, v148, v84, s[6:7]
	v_cmp_lt_u32_e64 s[10:11], v86, v52
	v_cmp_le_i16_sdwa s[12:13], sext(v102), sext(v101) src0_sel:BYTE_0 src1_sel:BYTE_0
	v_cmp_ge_u32_e64 s[8:9], v85, v70
	s_and_b64 s[10:11], s[10:11], s[12:13]
	s_or_b64 s[8:9], s[8:9], s[10:11]
	v_cndmask_b32_e64 v80, v85, v86, s[8:9]
	v_cndmask_b32_e64 v81, v70, v52, s[8:9]
	v_cndmask_b32_e64 v65, v96, v87, s[24:25]
	v_add_u32_e32 v87, 1, v80
	v_add_u32_e32 v80, -1, v81
	v_min_u32_e32 v80, v87, v80
	ds_read_u8 v96, v80
	v_cndmask_b32_e64 v66, v98, v97, s[22:23]
	v_cndmask_b32_e64 v69, v112, v103, s[68:69]
	v_cndmask_b32_e64 v98, v86, v87, s[8:9]
	v_cndmask_b32_e64 v97, v87, v85, s[8:9]
	s_waitcnt lgkmcnt(0)
	v_cndmask_b32_e64 v103, v96, v101, s[8:9]
	v_cndmask_b32_e64 v112, v102, v96, s[8:9]
	v_cmp_lt_u32_e64 s[12:13], v98, v52
	;; [unrolled: 19-line block ×4, first 2 shown]
	v_cmp_le_i16_sdwa s[6:7], sext(v82), sext(v71) src0_sel:BYTE_0 src1_sel:BYTE_0
	v_cndmask_b32_e32 v98, v149, v147, vcc
	v_cmp_ge_u32_e32 vcc, v115, v70
	s_and_b64 s[4:5], s[4:5], s[6:7]
	s_or_b64 vcc, vcc, s[4:5]
	v_cndmask_b32_e32 v117, v115, v116, vcc
	v_cndmask_b32_e32 v118, v70, v52, vcc
	v_add_u32_e32 v117, 1, v117
	v_add_u32_e32 v118, -1, v118
	v_min_u32_e32 v118, v117, v118
	ds_read_u8 v118, v118
	v_cndmask_b32_e64 v101, v101, v102, s[8:9]
	v_cndmask_b32_e64 v102, v103, v112, s[10:11]
	;; [unrolled: 1-line block ×3, first 2 shown]
	v_cndmask_b32_e32 v112, v71, v82, vcc
	s_waitcnt lgkmcnt(0)
	v_cndmask_b32_e32 v82, v82, v118, vcc
	v_cndmask_b32_e32 v71, v118, v71, vcc
	;; [unrolled: 1-line block ×4, first 2 shown]
	v_min_i16_sdwa v115, sext(v82), sext(v71) dst_sel:DWORD dst_unused:UNUSED_PAD src0_sel:BYTE_0 src1_sel:BYTE_0
	v_cmp_lt_u32_e32 vcc, v114, v52
	v_cndmask_b32_e32 v52, v71, v115, vcc
	v_cmp_lt_u32_e32 vcc, v113, v70
	v_cndmask_b32_e64 v84, v128, v119, s[76:77]
	v_cndmask_b32_e64 v85, v130, v129, s[74:75]
	;; [unrolled: 1-line block ×6, first 2 shown]
	v_cndmask_b32_e32 v113, v82, v52, vcc
.LBB2701_168:                           ;   in Loop: Header=BB2701_169 Depth=1
	s_or_b64 exec, exec, s[90:91]
	v_cmp_ge_u32_e32 vcc, s40, v0
	s_or_b64 s[88:89], vcc, s[88:89]
	s_barrier
	s_andn2_b64 exec, exec, s[88:89]
	s_cbranch_execz .LBB2701_178
.LBB2701_169:                           ; =>This Loop Header: Depth=1
                                        ;     Child Loop BB2701_171 Depth 2
	v_lshlrev_b16_e32 v52, 8, v68
	v_lshlrev_b16_e32 v70, 8, v80
	v_or_b32_sdwa v52, v67, v52 dst_sel:DWORD dst_unused:UNUSED_PAD src0_sel:BYTE_0 src1_sel:DWORD
	v_or_b32_sdwa v70, v69, v70 dst_sel:WORD_1 dst_unused:UNUSED_PAD src0_sel:BYTE_0 src1_sel:DWORD
	v_or_b32_sdwa v117, v52, v70 dst_sel:DWORD dst_unused:UNUSED_PAD src0_sel:WORD_0 src1_sel:DWORD
	v_lshlrev_b16_e32 v52, 8, v64
	v_lshlrev_b16_e32 v70, 8, v66
	v_or_b32_sdwa v52, v55, v52 dst_sel:DWORD dst_unused:UNUSED_PAD src0_sel:BYTE_0 src1_sel:DWORD
	v_or_b32_sdwa v70, v65, v70 dst_sel:WORD_1 dst_unused:UNUSED_PAD src0_sel:BYTE_0 src1_sel:DWORD
	v_or_b32_sdwa v116, v52, v70 dst_sel:DWORD dst_unused:UNUSED_PAD src0_sel:WORD_0 src1_sel:DWORD
	v_lshlrev_b16_e32 v52, 8, v51
	v_lshlrev_b16_e32 v70, 8, v54
	v_or_b32_sdwa v52, v50, v52 dst_sel:DWORD dst_unused:UNUSED_PAD src0_sel:BYTE_0 src1_sel:DWORD
	v_or_b32_sdwa v70, v53, v70 dst_sel:WORD_1 dst_unused:UNUSED_PAD src0_sel:BYTE_0 src1_sel:DWORD
	v_or_b32_sdwa v115, v52, v70 dst_sel:DWORD dst_unused:UNUSED_PAD src0_sel:WORD_0 src1_sel:DWORD
	v_lshlrev_b16_e32 v52, 8, v39
	v_lshlrev_b16_e32 v70, 8, v49
	v_or_b32_sdwa v52, v38, v52 dst_sel:DWORD dst_unused:UNUSED_PAD src0_sel:BYTE_0 src1_sel:DWORD
	v_or_b32_sdwa v70, v48, v70 dst_sel:WORD_1 dst_unused:UNUSED_PAD src0_sel:BYTE_0 src1_sel:DWORD
	v_or_b32_sdwa v114, v52, v70 dst_sel:DWORD dst_unused:UNUSED_PAD src0_sel:WORD_0 src1_sel:DWORD
	v_lshlrev_b16_e32 v52, 8, v103
	v_lshlrev_b16_e32 v70, 8, v113
	v_or_b32_sdwa v52, v102, v52 dst_sel:DWORD dst_unused:UNUSED_PAD src0_sel:BYTE_0 src1_sel:DWORD
	v_or_b32_sdwa v70, v112, v70 dst_sel:WORD_1 dst_unused:UNUSED_PAD src0_sel:BYTE_0 src1_sel:DWORD
	ds_write_b128 v7, v[114:117]
	v_or_b32_sdwa v117, v52, v70 dst_sel:DWORD dst_unused:UNUSED_PAD src0_sel:WORD_0 src1_sel:DWORD
	v_lshlrev_b16_e32 v52, 8, v99
	v_lshlrev_b16_e32 v70, 8, v101
	v_or_b32_sdwa v52, v98, v52 dst_sel:DWORD dst_unused:UNUSED_PAD src0_sel:BYTE_0 src1_sel:DWORD
	v_or_b32_sdwa v70, v100, v70 dst_sel:WORD_1 dst_unused:UNUSED_PAD src0_sel:BYTE_0 src1_sel:DWORD
	v_or_b32_sdwa v116, v52, v70 dst_sel:DWORD dst_unused:UNUSED_PAD src0_sel:WORD_0 src1_sel:DWORD
	v_lshlrev_b16_e32 v52, 8, v87
	v_lshlrev_b16_e32 v70, 8, v97
	v_or_b32_sdwa v52, v86, v52 dst_sel:DWORD dst_unused:UNUSED_PAD src0_sel:BYTE_0 src1_sel:DWORD
	v_or_b32_sdwa v70, v96, v70 dst_sel:WORD_1 dst_unused:UNUSED_PAD src0_sel:BYTE_0 src1_sel:DWORD
	s_mov_b32 s4, s40
	s_lshl_b32 s40, s40, 1
	v_or_b32_sdwa v115, v52, v70 dst_sel:DWORD dst_unused:UNUSED_PAD src0_sel:WORD_0 src1_sel:DWORD
	v_lshlrev_b16_e32 v52, 8, v83
	v_lshlrev_b16_e32 v70, 8, v85
	s_sub_i32 s6, 0, s40
	v_or_b32_sdwa v52, v81, v52 dst_sel:DWORD dst_unused:UNUSED_PAD src0_sel:BYTE_0 src1_sel:DWORD
	v_or_b32_sdwa v70, v84, v70 dst_sel:WORD_1 dst_unused:UNUSED_PAD src0_sel:BYTE_0 src1_sel:DWORD
	v_and_b32_e32 v71, s6, v7
	v_or_b32_sdwa v114, v52, v70 dst_sel:DWORD dst_unused:UNUSED_PAD src0_sel:WORD_0 src1_sel:DWORD
	v_add_u32_e32 v52, s4, v71
	v_min_u32_e32 v52, v52, v0
	s_add_i32 s5, s40, -1
	v_add_u32_e32 v70, s4, v52
	v_min_u32_e32 v70, v70, v0
	v_and_b32_e32 v82, s5, v7
	ds_write_b128 v7, v[114:117] offset:16
	v_min_u32_e32 v82, v82, v0
	v_sub_u32_e32 v115, v52, v71
	v_sub_u32_e32 v114, v70, v52
	v_sub_u32_e64 v114, v82, v114 clamp
	v_min_u32_e32 v115, v82, v115
	v_cmp_lt_u32_e32 vcc, v114, v115
	s_waitcnt lgkmcnt(0)
	s_barrier
	s_and_saveexec_b64 s[4:5], vcc
	s_cbranch_execz .LBB2701_173
; %bb.170:                              ;   in Loop: Header=BB2701_169 Depth=1
	v_add_u32_e32 v116, v52, v82
	s_mov_b64 s[6:7], 0
.LBB2701_171:                           ;   Parent Loop BB2701_169 Depth=1
                                        ; =>  This Inner Loop Header: Depth=2
	v_add_u32_e32 v117, v115, v114
	v_lshrrev_b32_e32 v117, 1, v117
	v_add_u32_e32 v118, v71, v117
	v_xad_u32 v119, v117, -1, v116
	ds_read_i8 v118, v118
	ds_read_i8 v119, v119
	v_add_u32_e32 v128, 1, v117
	s_waitcnt lgkmcnt(0)
	v_cmp_gt_i16_e32 vcc, v118, v119
	v_cndmask_b32_e32 v115, v115, v117, vcc
	v_cndmask_b32_e32 v114, v128, v114, vcc
	v_cmp_ge_u32_e32 vcc, v114, v115
	s_or_b64 s[6:7], vcc, s[6:7]
	s_andn2_b64 exec, exec, s[6:7]
	s_cbranch_execnz .LBB2701_171
; %bb.172:                              ;   in Loop: Header=BB2701_169 Depth=1
	s_or_b64 exec, exec, s[6:7]
.LBB2701_173:                           ;   in Loop: Header=BB2701_169 Depth=1
	s_or_b64 exec, exec, s[4:5]
	v_sub_u32_e32 v82, v82, v114
	v_add_u32_e32 v71, v114, v71
	v_add_u32_e32 v82, v82, v52
	v_cmp_le_u32_e32 vcc, v71, v52
	v_cmp_le_u32_e64 s[4:5], v82, v70
	s_or_b64 s[4:5], vcc, s[4:5]
	s_and_saveexec_b64 s[90:91], s[4:5]
	s_cbranch_execz .LBB2701_168
; %bb.174:                              ;   in Loop: Header=BB2701_169 Depth=1
	v_cmp_lt_u32_e32 vcc, v71, v52
                                        ; implicit-def: $vgpr38
	s_and_saveexec_b64 s[4:5], vcc
	s_cbranch_execz .LBB2701_176
; %bb.175:                              ;   in Loop: Header=BB2701_169 Depth=1
	ds_read_u8 v38, v71
.LBB2701_176:                           ;   in Loop: Header=BB2701_169 Depth=1
	s_or_b64 exec, exec, s[4:5]
	v_cmp_ge_u32_e64 s[4:5], v82, v70
	v_cmp_lt_u32_e64 s[6:7], v82, v70
                                        ; implicit-def: $vgpr39
	s_and_saveexec_b64 s[8:9], s[6:7]
	s_cbranch_execz .LBB2701_167
; %bb.177:                              ;   in Loop: Header=BB2701_169 Depth=1
	ds_read_u8 v39, v82
	s_branch .LBB2701_167
.LBB2701_178:
	s_or_b64 exec, exec, s[88:89]
.LBB2701_179:
	s_or_b64 exec, exec, s[86:87]
	v_lshlrev_b16_e32 v0, 8, v51
	v_lshlrev_b16_e32 v7, 8, v54
	v_or_b32_sdwa v0, v50, v0 dst_sel:DWORD dst_unused:UNUSED_PAD src0_sel:BYTE_0 src1_sel:DWORD
	v_or_b32_sdwa v7, v53, v7 dst_sel:WORD_1 dst_unused:UNUSED_PAD src0_sel:BYTE_0 src1_sel:DWORD
	v_or_b32_sdwa v0, v0, v7 dst_sel:DWORD dst_unused:UNUSED_PAD src0_sel:WORD_0 src1_sel:DWORD
	v_lshlrev_b16_e32 v7, 8, v39
	v_or_b32_sdwa v7, v38, v7 dst_sel:DWORD dst_unused:UNUSED_PAD src0_sel:BYTE_0 src1_sel:DWORD
	v_lshlrev_b16_e32 v38, 8, v49
	v_or_b32_sdwa v38, v48, v38 dst_sel:WORD_1 dst_unused:UNUSED_PAD src0_sel:BYTE_0 src1_sel:DWORD
	v_or_b32_sdwa v7, v7, v38 dst_sel:DWORD dst_unused:UNUSED_PAD src0_sel:WORD_0 src1_sel:DWORD
	s_barrier
	ds_write2_b32 v37, v7, v0 offset1:1
	v_lshlrev_b16_e32 v0, 8, v68
	v_lshlrev_b16_e32 v7, 8, v80
	v_or_b32_sdwa v0, v67, v0 dst_sel:DWORD dst_unused:UNUSED_PAD src0_sel:BYTE_0 src1_sel:DWORD
	v_or_b32_sdwa v7, v69, v7 dst_sel:WORD_1 dst_unused:UNUSED_PAD src0_sel:BYTE_0 src1_sel:DWORD
	v_or_b32_sdwa v0, v0, v7 dst_sel:DWORD dst_unused:UNUSED_PAD src0_sel:WORD_0 src1_sel:DWORD
	v_lshlrev_b16_e32 v7, 8, v64
	v_lshlrev_b16_e32 v38, 8, v66
	v_or_b32_sdwa v7, v55, v7 dst_sel:DWORD dst_unused:UNUSED_PAD src0_sel:BYTE_0 src1_sel:DWORD
	v_or_b32_sdwa v38, v65, v38 dst_sel:WORD_1 dst_unused:UNUSED_PAD src0_sel:BYTE_0 src1_sel:DWORD
	v_or_b32_sdwa v7, v7, v38 dst_sel:DWORD dst_unused:UNUSED_PAD src0_sel:WORD_0 src1_sel:DWORD
	ds_write2_b32 v37, v7, v0 offset0:2 offset1:3
	v_lshlrev_b16_e32 v0, 8, v87
	v_lshlrev_b16_e32 v7, 8, v97
	v_or_b32_sdwa v0, v86, v0 dst_sel:DWORD dst_unused:UNUSED_PAD src0_sel:BYTE_0 src1_sel:DWORD
	v_or_b32_sdwa v7, v96, v7 dst_sel:WORD_1 dst_unused:UNUSED_PAD src0_sel:BYTE_0 src1_sel:DWORD
	v_or_b32_sdwa v0, v0, v7 dst_sel:DWORD dst_unused:UNUSED_PAD src0_sel:WORD_0 src1_sel:DWORD
	v_lshlrev_b16_e32 v7, 8, v83
	v_lshlrev_b16_e32 v38, 8, v85
	v_or_b32_sdwa v7, v81, v7 dst_sel:DWORD dst_unused:UNUSED_PAD src0_sel:BYTE_0 src1_sel:DWORD
	v_or_b32_sdwa v38, v84, v38 dst_sel:WORD_1 dst_unused:UNUSED_PAD src0_sel:BYTE_0 src1_sel:DWORD
	v_or_b32_sdwa v7, v7, v38 dst_sel:DWORD dst_unused:UNUSED_PAD src0_sel:WORD_0 src1_sel:DWORD
	ds_write2_b32 v37, v7, v0 offset0:4 offset1:5
	;; [unrolled: 11-line block ×3, first 2 shown]
	s_waitcnt lgkmcnt(0)
	s_barrier
	ds_read_u8 v68, v1 offset:256
	ds_read_u8 v67, v3 offset:512
	;; [unrolled: 1-line block ×31, first 2 shown]
	v_add_co_u32_e32 v0, vcc, v4, v6
	v_mov_b32_e32 v9, 0
	v_addc_co_u32_e32 v1, vcc, 0, v5, vcc
	s_mov_b64 s[4:5], exec
	v_readlane_b32 s6, v42, 0
	v_readlane_b32 s7, v42, 1
	s_and_b64 s[6:7], s[4:5], s[6:7]
	s_mov_b64 exec, s[6:7]
	s_cbranch_execz .LBB2701_181
; %bb.180:
	ds_read_u8 v2, v2
	s_waitcnt lgkmcnt(0)
	flat_store_byte v[0:1], v2
.LBB2701_181:
	s_or_b64 exec, exec, s[4:5]
	s_mov_b64 s[4:5], exec
	v_readlane_b32 s6, v42, 2
	v_readlane_b32 s7, v42, 3
	s_and_b64 s[6:7], s[4:5], s[6:7]
	s_mov_b64 exec, s[6:7]
	s_cbranch_execz .LBB2701_183
; %bb.182:
	s_waitcnt lgkmcnt(0)
	flat_store_byte v[0:1], v68 offset:256
.LBB2701_183:
	s_or_b64 exec, exec, s[4:5]
	s_mov_b64 s[4:5], exec
	v_readlane_b32 s6, v42, 4
	v_readlane_b32 s7, v42, 5
	s_and_b64 s[6:7], s[4:5], s[6:7]
	s_mov_b64 exec, s[6:7]
	s_cbranch_execz .LBB2701_185
; %bb.184:
	s_waitcnt lgkmcnt(0)
	flat_store_byte v[0:1], v67 offset:512
.LBB2701_185:
	;; [unrolled: 11-line block ×15, first 2 shown]
	s_or_b64 exec, exec, s[4:5]
	s_mov_b64 s[4:5], exec
	v_readlane_b32 s6, v42, 32
	v_readlane_b32 s7, v42, 33
	s_and_b64 s[6:7], s[4:5], s[6:7]
	s_mov_b64 exec, s[6:7]
	s_cbranch_execz .LBB2701_213
; %bb.212:
	v_add_co_u32_e32 v22, vcc, 0x1000, v0
	v_addc_co_u32_e32 v23, vcc, 0, v1, vcc
	s_waitcnt lgkmcnt(0)
	flat_store_byte v[22:23], v37
.LBB2701_213:
	s_or_b64 exec, exec, s[4:5]
	s_mov_b64 s[4:5], exec
	v_readlane_b32 s6, v42, 34
	v_readlane_b32 s7, v42, 35
	s_and_b64 s[6:7], s[4:5], s[6:7]
	s_mov_b64 exec, s[6:7]
	s_cbranch_execz .LBB2701_215
; %bb.214:
	v_add_co_u32_e32 v22, vcc, 0x1000, v0
	v_addc_co_u32_e32 v23, vcc, 0, v1, vcc
	s_waitcnt lgkmcnt(0)
	flat_store_byte v[22:23], v21 offset:256
.LBB2701_215:
	s_or_b64 exec, exec, s[4:5]
	s_mov_b64 s[4:5], exec
	v_readlane_b32 s6, v42, 36
	v_readlane_b32 s7, v42, 37
	s_and_b64 s[6:7], s[4:5], s[6:7]
	s_mov_b64 exec, s[6:7]
	s_cbranch_execnz .LBB2701_230
; %bb.216:
	s_or_b64 exec, exec, s[4:5]
	s_and_saveexec_b64 s[4:5], s[42:43]
	s_cbranch_execnz .LBB2701_231
.LBB2701_217:
	s_or_b64 exec, exec, s[4:5]
	s_and_saveexec_b64 s[4:5], s[44:45]
	s_cbranch_execnz .LBB2701_232
.LBB2701_218:
	s_or_b64 exec, exec, s[4:5]
	s_and_saveexec_b64 s[4:5], s[46:47]
	s_cbranch_execnz .LBB2701_233
.LBB2701_219:
	s_or_b64 exec, exec, s[4:5]
	s_and_saveexec_b64 s[4:5], s[48:49]
	s_cbranch_execnz .LBB2701_234
.LBB2701_220:
	s_or_b64 exec, exec, s[4:5]
	s_and_saveexec_b64 s[4:5], s[50:51]
	s_cbranch_execnz .LBB2701_235
.LBB2701_221:
	s_or_b64 exec, exec, s[4:5]
	s_and_saveexec_b64 s[4:5], s[52:53]
	s_cbranch_execnz .LBB2701_236
.LBB2701_222:
	s_or_b64 exec, exec, s[4:5]
	s_and_saveexec_b64 s[4:5], s[54:55]
	s_cbranch_execnz .LBB2701_237
.LBB2701_223:
	s_or_b64 exec, exec, s[4:5]
	s_and_saveexec_b64 s[4:5], s[56:57]
	s_cbranch_execnz .LBB2701_238
.LBB2701_224:
	s_or_b64 exec, exec, s[4:5]
	s_and_saveexec_b64 s[4:5], s[58:59]
	s_cbranch_execnz .LBB2701_239
.LBB2701_225:
	s_or_b64 exec, exec, s[4:5]
	s_and_saveexec_b64 s[4:5], s[60:61]
	s_cbranch_execnz .LBB2701_240
.LBB2701_226:
	s_or_b64 exec, exec, s[4:5]
	s_and_saveexec_b64 s[4:5], s[62:63]
	s_cbranch_execnz .LBB2701_241
.LBB2701_227:
	s_or_b64 exec, exec, s[4:5]
	s_and_saveexec_b64 s[4:5], s[64:65]
	s_cbranch_execz .LBB2701_229
.LBB2701_228:
	v_add_co_u32_e32 v0, vcc, 0x1000, v0
	v_addc_co_u32_e32 v1, vcc, 0, v1, vcc
	s_waitcnt lgkmcnt(0)
	flat_store_byte v[0:1], v3 offset:3584
.LBB2701_229:
	s_or_b64 exec, exec, s[4:5]
	s_andn2_b64 s[4:5], s[36:37], exec
	s_and_b64 s[6:7], s[66:67], exec
	s_or_b64 s[36:37], s[4:5], s[6:7]
	s_or_b64 exec, exec, s[38:39]
	s_and_saveexec_b64 s[4:5], s[36:37]
	s_cbranch_execnz .LBB2701_3
	s_branch .LBB2701_4
.LBB2701_230:
	v_add_co_u32_e32 v22, vcc, 0x1000, v0
	v_addc_co_u32_e32 v23, vcc, 0, v1, vcc
	s_waitcnt lgkmcnt(0)
	flat_store_byte v[22:23], v20 offset:512
	s_or_b64 exec, exec, s[4:5]
	s_and_saveexec_b64 s[4:5], s[42:43]
	s_cbranch_execz .LBB2701_217
.LBB2701_231:
	s_waitcnt lgkmcnt(0)
	v_add_co_u32_e32 v20, vcc, 0x1000, v0
	v_addc_co_u32_e32 v21, vcc, 0, v1, vcc
	flat_store_byte v[20:21], v19 offset:768
	s_or_b64 exec, exec, s[4:5]
	s_and_saveexec_b64 s[4:5], s[44:45]
	s_cbranch_execz .LBB2701_218
.LBB2701_232:
	s_waitcnt lgkmcnt(0)
	v_add_co_u32_e32 v20, vcc, 0x1000, v0
	v_addc_co_u32_e32 v21, vcc, 0, v1, vcc
	flat_store_byte v[20:21], v18 offset:1024
	s_or_b64 exec, exec, s[4:5]
	s_and_saveexec_b64 s[4:5], s[46:47]
	s_cbranch_execz .LBB2701_219
.LBB2701_233:
	s_waitcnt lgkmcnt(0)
	v_add_co_u32_e32 v18, vcc, 0x1000, v0
	v_addc_co_u32_e32 v19, vcc, 0, v1, vcc
	flat_store_byte v[18:19], v17 offset:1280
	s_or_b64 exec, exec, s[4:5]
	s_and_saveexec_b64 s[4:5], s[48:49]
	s_cbranch_execz .LBB2701_220
.LBB2701_234:
	s_waitcnt lgkmcnt(0)
	v_add_co_u32_e32 v18, vcc, 0x1000, v0
	v_addc_co_u32_e32 v19, vcc, 0, v1, vcc
	flat_store_byte v[18:19], v16 offset:1536
	s_or_b64 exec, exec, s[4:5]
	s_and_saveexec_b64 s[4:5], s[50:51]
	s_cbranch_execz .LBB2701_221
.LBB2701_235:
	s_waitcnt lgkmcnt(0)
	v_add_co_u32_e32 v16, vcc, 0x1000, v0
	v_addc_co_u32_e32 v17, vcc, 0, v1, vcc
	flat_store_byte v[16:17], v15 offset:1792
	s_or_b64 exec, exec, s[4:5]
	s_and_saveexec_b64 s[4:5], s[52:53]
	s_cbranch_execz .LBB2701_222
.LBB2701_236:
	s_waitcnt lgkmcnt(0)
	v_add_co_u32_e32 v16, vcc, 0x1000, v0
	v_addc_co_u32_e32 v17, vcc, 0, v1, vcc
	flat_store_byte v[16:17], v14 offset:2048
	s_or_b64 exec, exec, s[4:5]
	s_and_saveexec_b64 s[4:5], s[54:55]
	s_cbranch_execz .LBB2701_223
.LBB2701_237:
	s_waitcnt lgkmcnt(0)
	v_add_co_u32_e32 v14, vcc, 0x1000, v0
	v_addc_co_u32_e32 v15, vcc, 0, v1, vcc
	flat_store_byte v[14:15], v13 offset:2304
	s_or_b64 exec, exec, s[4:5]
	s_and_saveexec_b64 s[4:5], s[56:57]
	s_cbranch_execz .LBB2701_224
.LBB2701_238:
	s_waitcnt lgkmcnt(0)
	v_add_co_u32_e32 v14, vcc, 0x1000, v0
	v_addc_co_u32_e32 v15, vcc, 0, v1, vcc
	flat_store_byte v[14:15], v12 offset:2560
	s_or_b64 exec, exec, s[4:5]
	s_and_saveexec_b64 s[4:5], s[58:59]
	s_cbranch_execz .LBB2701_225
.LBB2701_239:
	s_waitcnt lgkmcnt(0)
	v_add_co_u32_e32 v12, vcc, 0x1000, v0
	v_addc_co_u32_e32 v13, vcc, 0, v1, vcc
	flat_store_byte v[12:13], v11 offset:2816
	s_or_b64 exec, exec, s[4:5]
	s_and_saveexec_b64 s[4:5], s[60:61]
	s_cbranch_execz .LBB2701_226
.LBB2701_240:
	s_waitcnt lgkmcnt(0)
	v_add_co_u32_e32 v12, vcc, 0x1000, v0
	v_addc_co_u32_e32 v13, vcc, 0, v1, vcc
	flat_store_byte v[12:13], v8 offset:3072
	s_or_b64 exec, exec, s[4:5]
	s_and_saveexec_b64 s[4:5], s[62:63]
	s_cbranch_execz .LBB2701_227
.LBB2701_241:
	s_waitcnt lgkmcnt(0)
	v_add_co_u32_e32 v12, vcc, 0x1000, v0
	v_addc_co_u32_e32 v13, vcc, 0, v1, vcc
	flat_store_byte v[12:13], v7 offset:3328
	s_or_b64 exec, exec, s[4:5]
	s_and_saveexec_b64 s[4:5], s[64:65]
	s_cbranch_execnz .LBB2701_228
	s_branch .LBB2701_229
.Lfunc_end2701:
	.size	_ZN7rocprim17ROCPRIM_400000_NS6detail15block_sort_implIcNS0_10empty_typeELj256ELj32ELNS0_4arch9wavefront6targetE1EvE4sortIN6thrust23THRUST_200600_302600_NS6detail15normal_iteratorINSA_10device_ptrIcEEEESF_PS3_SG_14custom_greaterIcEEEvjbT_T0_T1_T2_T3_RNS7_12storage_typeE, .Lfunc_end2701-_ZN7rocprim17ROCPRIM_400000_NS6detail15block_sort_implIcNS0_10empty_typeELj256ELj32ELNS0_4arch9wavefront6targetE1EvE4sortIN6thrust23THRUST_200600_302600_NS6detail15normal_iteratorINSA_10device_ptrIcEEEESF_PS3_SG_14custom_greaterIcEEEvjbT_T0_T1_T2_T3_RNS7_12storage_typeE
                                        ; -- End function
	.section	.AMDGPU.csdata,"",@progbits
; Function info:
; codeLenInByte = 58556
; NumSgprs: 104
; NumVgprs: 152
; NumAgprs: 0
; TotalNumVgprs: 152
; ScratchSize: 16
; MemoryBound: 0
	.section	.text._ZN7rocprim17ROCPRIM_400000_NS6detail17trampoline_kernelINS0_14default_configENS1_37merge_sort_block_sort_config_selectorIcNS0_10empty_typeEEEZNS1_21merge_sort_block_sortIS3_N6thrust23THRUST_200600_302600_NS6detail15normal_iteratorINS9_10device_ptrIcEEEESE_PS5_SF_14custom_greaterIcEEE10hipError_tT0_T1_T2_T3_mRjT4_P12ihipStream_tbNS1_7vsmem_tEEUlT_E_NS1_11comp_targetILNS1_3genE4ELNS1_11target_archE910ELNS1_3gpuE8ELNS1_3repE0EEENS1_30default_config_static_selectorELNS0_4arch9wavefront6targetE1EEEvSK_,"axG",@progbits,_ZN7rocprim17ROCPRIM_400000_NS6detail17trampoline_kernelINS0_14default_configENS1_37merge_sort_block_sort_config_selectorIcNS0_10empty_typeEEEZNS1_21merge_sort_block_sortIS3_N6thrust23THRUST_200600_302600_NS6detail15normal_iteratorINS9_10device_ptrIcEEEESE_PS5_SF_14custom_greaterIcEEE10hipError_tT0_T1_T2_T3_mRjT4_P12ihipStream_tbNS1_7vsmem_tEEUlT_E_NS1_11comp_targetILNS1_3genE4ELNS1_11target_archE910ELNS1_3gpuE8ELNS1_3repE0EEENS1_30default_config_static_selectorELNS0_4arch9wavefront6targetE1EEEvSK_,comdat
	.protected	_ZN7rocprim17ROCPRIM_400000_NS6detail17trampoline_kernelINS0_14default_configENS1_37merge_sort_block_sort_config_selectorIcNS0_10empty_typeEEEZNS1_21merge_sort_block_sortIS3_N6thrust23THRUST_200600_302600_NS6detail15normal_iteratorINS9_10device_ptrIcEEEESE_PS5_SF_14custom_greaterIcEEE10hipError_tT0_T1_T2_T3_mRjT4_P12ihipStream_tbNS1_7vsmem_tEEUlT_E_NS1_11comp_targetILNS1_3genE4ELNS1_11target_archE910ELNS1_3gpuE8ELNS1_3repE0EEENS1_30default_config_static_selectorELNS0_4arch9wavefront6targetE1EEEvSK_ ; -- Begin function _ZN7rocprim17ROCPRIM_400000_NS6detail17trampoline_kernelINS0_14default_configENS1_37merge_sort_block_sort_config_selectorIcNS0_10empty_typeEEEZNS1_21merge_sort_block_sortIS3_N6thrust23THRUST_200600_302600_NS6detail15normal_iteratorINS9_10device_ptrIcEEEESE_PS5_SF_14custom_greaterIcEEE10hipError_tT0_T1_T2_T3_mRjT4_P12ihipStream_tbNS1_7vsmem_tEEUlT_E_NS1_11comp_targetILNS1_3genE4ELNS1_11target_archE910ELNS1_3gpuE8ELNS1_3repE0EEENS1_30default_config_static_selectorELNS0_4arch9wavefront6targetE1EEEvSK_
	.globl	_ZN7rocprim17ROCPRIM_400000_NS6detail17trampoline_kernelINS0_14default_configENS1_37merge_sort_block_sort_config_selectorIcNS0_10empty_typeEEEZNS1_21merge_sort_block_sortIS3_N6thrust23THRUST_200600_302600_NS6detail15normal_iteratorINS9_10device_ptrIcEEEESE_PS5_SF_14custom_greaterIcEEE10hipError_tT0_T1_T2_T3_mRjT4_P12ihipStream_tbNS1_7vsmem_tEEUlT_E_NS1_11comp_targetILNS1_3genE4ELNS1_11target_archE910ELNS1_3gpuE8ELNS1_3repE0EEENS1_30default_config_static_selectorELNS0_4arch9wavefront6targetE1EEEvSK_
	.p2align	8
	.type	_ZN7rocprim17ROCPRIM_400000_NS6detail17trampoline_kernelINS0_14default_configENS1_37merge_sort_block_sort_config_selectorIcNS0_10empty_typeEEEZNS1_21merge_sort_block_sortIS3_N6thrust23THRUST_200600_302600_NS6detail15normal_iteratorINS9_10device_ptrIcEEEESE_PS5_SF_14custom_greaterIcEEE10hipError_tT0_T1_T2_T3_mRjT4_P12ihipStream_tbNS1_7vsmem_tEEUlT_E_NS1_11comp_targetILNS1_3genE4ELNS1_11target_archE910ELNS1_3gpuE8ELNS1_3repE0EEENS1_30default_config_static_selectorELNS0_4arch9wavefront6targetE1EEEvSK_,@function
_ZN7rocprim17ROCPRIM_400000_NS6detail17trampoline_kernelINS0_14default_configENS1_37merge_sort_block_sort_config_selectorIcNS0_10empty_typeEEEZNS1_21merge_sort_block_sortIS3_N6thrust23THRUST_200600_302600_NS6detail15normal_iteratorINS9_10device_ptrIcEEEESE_PS5_SF_14custom_greaterIcEEE10hipError_tT0_T1_T2_T3_mRjT4_P12ihipStream_tbNS1_7vsmem_tEEUlT_E_NS1_11comp_targetILNS1_3genE4ELNS1_11target_archE910ELNS1_3gpuE8ELNS1_3repE0EEENS1_30default_config_static_selectorELNS0_4arch9wavefront6targetE1EEEvSK_: ; @_ZN7rocprim17ROCPRIM_400000_NS6detail17trampoline_kernelINS0_14default_configENS1_37merge_sort_block_sort_config_selectorIcNS0_10empty_typeEEEZNS1_21merge_sort_block_sortIS3_N6thrust23THRUST_200600_302600_NS6detail15normal_iteratorINS9_10device_ptrIcEEEESE_PS5_SF_14custom_greaterIcEEE10hipError_tT0_T1_T2_T3_mRjT4_P12ihipStream_tbNS1_7vsmem_tEEUlT_E_NS1_11comp_targetILNS1_3genE4ELNS1_11target_archE910ELNS1_3gpuE8ELNS1_3repE0EEENS1_30default_config_static_selectorELNS0_4arch9wavefront6targetE1EEEvSK_
; %bb.0:
	s_add_u32 flat_scratch_lo, s6, s11
	s_addc_u32 flat_scratch_hi, s7, 0
	s_mov_b32 s12, s8
	s_load_dwordx2 s[6:7], s[4:5], 0x40
	s_load_dword s8, s[4:5], 0x0
	s_add_u32 s0, s0, s11
	s_addc_u32 s1, s1, 0
	s_mov_b32 s32, 0
	s_waitcnt lgkmcnt(0)
	s_mul_i32 s7, s7, s10
	s_add_i32 s7, s7, s9
	s_mul_i32 s6, s7, s6
	s_add_i32 s6, s6, s12
	s_cmp_ge_u32 s6, s8
	s_cbranch_scc1 .LBB2702_2
; %bb.1:
	s_mov_b32 s13, s9
	s_load_dwordx4 s[8:11], s[4:5], 0x18
	s_load_dwordx2 s[14:15], s[4:5], 0x8
	s_mov_b32 s7, 0
	s_lshl_b64 s[16:17], s[6:7], 13
	v_mov_b32_e32 v31, v0
	s_waitcnt lgkmcnt(0)
	s_add_u32 s10, s10, s16
	s_addc_u32 s11, s11, s17
	s_add_u32 s18, s8, s16
	s_addc_u32 s17, s9, s17
	s_lshr_b64 s[8:9], s[14:15], 13
	s_cmp_eq_u64 s[8:9], s[6:7]
	s_cselect_b64 s[6:7], -1, 0
	s_sub_i32 s14, s14, s16
	s_add_u32 s8, s4, 64
	v_cndmask_b32_e64 v1, 0, 1, s[6:7]
	s_addc_u32 s9, s5, 0
	v_mov_b32_e32 v0, s14
	v_mov_b32_e32 v2, s18
	;; [unrolled: 1-line block ×5, first 2 shown]
	s_getpc_b64 s[4:5]
	s_add_u32 s4, s4, _ZN7rocprim17ROCPRIM_400000_NS6detail15block_sort_implIcNS0_10empty_typeELj256ELj32ELNS0_4arch9wavefront6targetE1EvE4sortIN6thrust23THRUST_200600_302600_NS6detail15normal_iteratorINSA_10device_ptrIcEEEESF_PS3_SG_14custom_greaterIcEEEvjbT_T0_T1_T2_T3_RNS7_12storage_typeE@rel32@lo+4
	s_addc_u32 s5, s5, _ZN7rocprim17ROCPRIM_400000_NS6detail15block_sort_implIcNS0_10empty_typeELj256ELj32ELNS0_4arch9wavefront6targetE1EvE4sortIN6thrust23THRUST_200600_302600_NS6detail15normal_iteratorINSA_10device_ptrIcEEEESF_PS3_SG_14custom_greaterIcEEEvjbT_T0_T1_T2_T3_RNS7_12storage_typeE@rel32@hi+12
	s_swappc_b64 s[30:31], s[4:5]
.LBB2702_2:
	s_endpgm
	.section	.rodata,"a",@progbits
	.p2align	6, 0x0
	.amdhsa_kernel _ZN7rocprim17ROCPRIM_400000_NS6detail17trampoline_kernelINS0_14default_configENS1_37merge_sort_block_sort_config_selectorIcNS0_10empty_typeEEEZNS1_21merge_sort_block_sortIS3_N6thrust23THRUST_200600_302600_NS6detail15normal_iteratorINS9_10device_ptrIcEEEESE_PS5_SF_14custom_greaterIcEEE10hipError_tT0_T1_T2_T3_mRjT4_P12ihipStream_tbNS1_7vsmem_tEEUlT_E_NS1_11comp_targetILNS1_3genE4ELNS1_11target_archE910ELNS1_3gpuE8ELNS1_3repE0EEENS1_30default_config_static_selectorELNS0_4arch9wavefront6targetE1EEEvSK_
		.amdhsa_group_segment_fixed_size 8448
		.amdhsa_private_segment_fixed_size 16
		.amdhsa_kernarg_size 320
		.amdhsa_user_sgpr_count 8
		.amdhsa_user_sgpr_private_segment_buffer 1
		.amdhsa_user_sgpr_dispatch_ptr 0
		.amdhsa_user_sgpr_queue_ptr 0
		.amdhsa_user_sgpr_kernarg_segment_ptr 1
		.amdhsa_user_sgpr_dispatch_id 0
		.amdhsa_user_sgpr_flat_scratch_init 1
		.amdhsa_user_sgpr_kernarg_preload_length 0
		.amdhsa_user_sgpr_kernarg_preload_offset 0
		.amdhsa_user_sgpr_private_segment_size 0
		.amdhsa_uses_dynamic_stack 0
		.amdhsa_system_sgpr_private_segment_wavefront_offset 1
		.amdhsa_system_sgpr_workgroup_id_x 1
		.amdhsa_system_sgpr_workgroup_id_y 1
		.amdhsa_system_sgpr_workgroup_id_z 1
		.amdhsa_system_sgpr_workgroup_info 0
		.amdhsa_system_vgpr_workitem_id 2
		.amdhsa_next_free_vgpr 152
		.amdhsa_next_free_sgpr 100
		.amdhsa_accum_offset 152
		.amdhsa_reserve_vcc 1
		.amdhsa_reserve_flat_scratch 1
		.amdhsa_float_round_mode_32 0
		.amdhsa_float_round_mode_16_64 0
		.amdhsa_float_denorm_mode_32 3
		.amdhsa_float_denorm_mode_16_64 3
		.amdhsa_dx10_clamp 1
		.amdhsa_ieee_mode 1
		.amdhsa_fp16_overflow 0
		.amdhsa_tg_split 0
		.amdhsa_exception_fp_ieee_invalid_op 0
		.amdhsa_exception_fp_denorm_src 0
		.amdhsa_exception_fp_ieee_div_zero 0
		.amdhsa_exception_fp_ieee_overflow 0
		.amdhsa_exception_fp_ieee_underflow 0
		.amdhsa_exception_fp_ieee_inexact 0
		.amdhsa_exception_int_div_zero 0
	.end_amdhsa_kernel
	.section	.text._ZN7rocprim17ROCPRIM_400000_NS6detail17trampoline_kernelINS0_14default_configENS1_37merge_sort_block_sort_config_selectorIcNS0_10empty_typeEEEZNS1_21merge_sort_block_sortIS3_N6thrust23THRUST_200600_302600_NS6detail15normal_iteratorINS9_10device_ptrIcEEEESE_PS5_SF_14custom_greaterIcEEE10hipError_tT0_T1_T2_T3_mRjT4_P12ihipStream_tbNS1_7vsmem_tEEUlT_E_NS1_11comp_targetILNS1_3genE4ELNS1_11target_archE910ELNS1_3gpuE8ELNS1_3repE0EEENS1_30default_config_static_selectorELNS0_4arch9wavefront6targetE1EEEvSK_,"axG",@progbits,_ZN7rocprim17ROCPRIM_400000_NS6detail17trampoline_kernelINS0_14default_configENS1_37merge_sort_block_sort_config_selectorIcNS0_10empty_typeEEEZNS1_21merge_sort_block_sortIS3_N6thrust23THRUST_200600_302600_NS6detail15normal_iteratorINS9_10device_ptrIcEEEESE_PS5_SF_14custom_greaterIcEEE10hipError_tT0_T1_T2_T3_mRjT4_P12ihipStream_tbNS1_7vsmem_tEEUlT_E_NS1_11comp_targetILNS1_3genE4ELNS1_11target_archE910ELNS1_3gpuE8ELNS1_3repE0EEENS1_30default_config_static_selectorELNS0_4arch9wavefront6targetE1EEEvSK_,comdat
.Lfunc_end2702:
	.size	_ZN7rocprim17ROCPRIM_400000_NS6detail17trampoline_kernelINS0_14default_configENS1_37merge_sort_block_sort_config_selectorIcNS0_10empty_typeEEEZNS1_21merge_sort_block_sortIS3_N6thrust23THRUST_200600_302600_NS6detail15normal_iteratorINS9_10device_ptrIcEEEESE_PS5_SF_14custom_greaterIcEEE10hipError_tT0_T1_T2_T3_mRjT4_P12ihipStream_tbNS1_7vsmem_tEEUlT_E_NS1_11comp_targetILNS1_3genE4ELNS1_11target_archE910ELNS1_3gpuE8ELNS1_3repE0EEENS1_30default_config_static_selectorELNS0_4arch9wavefront6targetE1EEEvSK_, .Lfunc_end2702-_ZN7rocprim17ROCPRIM_400000_NS6detail17trampoline_kernelINS0_14default_configENS1_37merge_sort_block_sort_config_selectorIcNS0_10empty_typeEEEZNS1_21merge_sort_block_sortIS3_N6thrust23THRUST_200600_302600_NS6detail15normal_iteratorINS9_10device_ptrIcEEEESE_PS5_SF_14custom_greaterIcEEE10hipError_tT0_T1_T2_T3_mRjT4_P12ihipStream_tbNS1_7vsmem_tEEUlT_E_NS1_11comp_targetILNS1_3genE4ELNS1_11target_archE910ELNS1_3gpuE8ELNS1_3repE0EEENS1_30default_config_static_selectorELNS0_4arch9wavefront6targetE1EEEvSK_
                                        ; -- End function
	.section	.AMDGPU.csdata,"",@progbits
; Kernel info:
; codeLenInByte = 200
; NumSgprs: 106
; NumVgprs: 152
; NumAgprs: 0
; TotalNumVgprs: 152
; ScratchSize: 16
; MemoryBound: 0
; FloatMode: 240
; IeeeMode: 1
; LDSByteSize: 8448 bytes/workgroup (compile time only)
; SGPRBlocks: 13
; VGPRBlocks: 18
; NumSGPRsForWavesPerEU: 106
; NumVGPRsForWavesPerEU: 152
; AccumOffset: 152
; Occupancy: 3
; WaveLimiterHint : 1
; COMPUTE_PGM_RSRC2:SCRATCH_EN: 1
; COMPUTE_PGM_RSRC2:USER_SGPR: 8
; COMPUTE_PGM_RSRC2:TRAP_HANDLER: 0
; COMPUTE_PGM_RSRC2:TGID_X_EN: 1
; COMPUTE_PGM_RSRC2:TGID_Y_EN: 1
; COMPUTE_PGM_RSRC2:TGID_Z_EN: 1
; COMPUTE_PGM_RSRC2:TIDIG_COMP_CNT: 2
; COMPUTE_PGM_RSRC3_GFX90A:ACCUM_OFFSET: 37
; COMPUTE_PGM_RSRC3_GFX90A:TG_SPLIT: 0
	.section	.text._ZN7rocprim17ROCPRIM_400000_NS6detail17trampoline_kernelINS0_14default_configENS1_37merge_sort_block_sort_config_selectorIcNS0_10empty_typeEEEZNS1_21merge_sort_block_sortIS3_N6thrust23THRUST_200600_302600_NS6detail15normal_iteratorINS9_10device_ptrIcEEEESE_PS5_SF_14custom_greaterIcEEE10hipError_tT0_T1_T2_T3_mRjT4_P12ihipStream_tbNS1_7vsmem_tEEUlT_E_NS1_11comp_targetILNS1_3genE3ELNS1_11target_archE908ELNS1_3gpuE7ELNS1_3repE0EEENS1_30default_config_static_selectorELNS0_4arch9wavefront6targetE1EEEvSK_,"axG",@progbits,_ZN7rocprim17ROCPRIM_400000_NS6detail17trampoline_kernelINS0_14default_configENS1_37merge_sort_block_sort_config_selectorIcNS0_10empty_typeEEEZNS1_21merge_sort_block_sortIS3_N6thrust23THRUST_200600_302600_NS6detail15normal_iteratorINS9_10device_ptrIcEEEESE_PS5_SF_14custom_greaterIcEEE10hipError_tT0_T1_T2_T3_mRjT4_P12ihipStream_tbNS1_7vsmem_tEEUlT_E_NS1_11comp_targetILNS1_3genE3ELNS1_11target_archE908ELNS1_3gpuE7ELNS1_3repE0EEENS1_30default_config_static_selectorELNS0_4arch9wavefront6targetE1EEEvSK_,comdat
	.protected	_ZN7rocprim17ROCPRIM_400000_NS6detail17trampoline_kernelINS0_14default_configENS1_37merge_sort_block_sort_config_selectorIcNS0_10empty_typeEEEZNS1_21merge_sort_block_sortIS3_N6thrust23THRUST_200600_302600_NS6detail15normal_iteratorINS9_10device_ptrIcEEEESE_PS5_SF_14custom_greaterIcEEE10hipError_tT0_T1_T2_T3_mRjT4_P12ihipStream_tbNS1_7vsmem_tEEUlT_E_NS1_11comp_targetILNS1_3genE3ELNS1_11target_archE908ELNS1_3gpuE7ELNS1_3repE0EEENS1_30default_config_static_selectorELNS0_4arch9wavefront6targetE1EEEvSK_ ; -- Begin function _ZN7rocprim17ROCPRIM_400000_NS6detail17trampoline_kernelINS0_14default_configENS1_37merge_sort_block_sort_config_selectorIcNS0_10empty_typeEEEZNS1_21merge_sort_block_sortIS3_N6thrust23THRUST_200600_302600_NS6detail15normal_iteratorINS9_10device_ptrIcEEEESE_PS5_SF_14custom_greaterIcEEE10hipError_tT0_T1_T2_T3_mRjT4_P12ihipStream_tbNS1_7vsmem_tEEUlT_E_NS1_11comp_targetILNS1_3genE3ELNS1_11target_archE908ELNS1_3gpuE7ELNS1_3repE0EEENS1_30default_config_static_selectorELNS0_4arch9wavefront6targetE1EEEvSK_
	.globl	_ZN7rocprim17ROCPRIM_400000_NS6detail17trampoline_kernelINS0_14default_configENS1_37merge_sort_block_sort_config_selectorIcNS0_10empty_typeEEEZNS1_21merge_sort_block_sortIS3_N6thrust23THRUST_200600_302600_NS6detail15normal_iteratorINS9_10device_ptrIcEEEESE_PS5_SF_14custom_greaterIcEEE10hipError_tT0_T1_T2_T3_mRjT4_P12ihipStream_tbNS1_7vsmem_tEEUlT_E_NS1_11comp_targetILNS1_3genE3ELNS1_11target_archE908ELNS1_3gpuE7ELNS1_3repE0EEENS1_30default_config_static_selectorELNS0_4arch9wavefront6targetE1EEEvSK_
	.p2align	8
	.type	_ZN7rocprim17ROCPRIM_400000_NS6detail17trampoline_kernelINS0_14default_configENS1_37merge_sort_block_sort_config_selectorIcNS0_10empty_typeEEEZNS1_21merge_sort_block_sortIS3_N6thrust23THRUST_200600_302600_NS6detail15normal_iteratorINS9_10device_ptrIcEEEESE_PS5_SF_14custom_greaterIcEEE10hipError_tT0_T1_T2_T3_mRjT4_P12ihipStream_tbNS1_7vsmem_tEEUlT_E_NS1_11comp_targetILNS1_3genE3ELNS1_11target_archE908ELNS1_3gpuE7ELNS1_3repE0EEENS1_30default_config_static_selectorELNS0_4arch9wavefront6targetE1EEEvSK_,@function
_ZN7rocprim17ROCPRIM_400000_NS6detail17trampoline_kernelINS0_14default_configENS1_37merge_sort_block_sort_config_selectorIcNS0_10empty_typeEEEZNS1_21merge_sort_block_sortIS3_N6thrust23THRUST_200600_302600_NS6detail15normal_iteratorINS9_10device_ptrIcEEEESE_PS5_SF_14custom_greaterIcEEE10hipError_tT0_T1_T2_T3_mRjT4_P12ihipStream_tbNS1_7vsmem_tEEUlT_E_NS1_11comp_targetILNS1_3genE3ELNS1_11target_archE908ELNS1_3gpuE7ELNS1_3repE0EEENS1_30default_config_static_selectorELNS0_4arch9wavefront6targetE1EEEvSK_: ; @_ZN7rocprim17ROCPRIM_400000_NS6detail17trampoline_kernelINS0_14default_configENS1_37merge_sort_block_sort_config_selectorIcNS0_10empty_typeEEEZNS1_21merge_sort_block_sortIS3_N6thrust23THRUST_200600_302600_NS6detail15normal_iteratorINS9_10device_ptrIcEEEESE_PS5_SF_14custom_greaterIcEEE10hipError_tT0_T1_T2_T3_mRjT4_P12ihipStream_tbNS1_7vsmem_tEEUlT_E_NS1_11comp_targetILNS1_3genE3ELNS1_11target_archE908ELNS1_3gpuE7ELNS1_3repE0EEENS1_30default_config_static_selectorELNS0_4arch9wavefront6targetE1EEEvSK_
; %bb.0:
	.section	.rodata,"a",@progbits
	.p2align	6, 0x0
	.amdhsa_kernel _ZN7rocprim17ROCPRIM_400000_NS6detail17trampoline_kernelINS0_14default_configENS1_37merge_sort_block_sort_config_selectorIcNS0_10empty_typeEEEZNS1_21merge_sort_block_sortIS3_N6thrust23THRUST_200600_302600_NS6detail15normal_iteratorINS9_10device_ptrIcEEEESE_PS5_SF_14custom_greaterIcEEE10hipError_tT0_T1_T2_T3_mRjT4_P12ihipStream_tbNS1_7vsmem_tEEUlT_E_NS1_11comp_targetILNS1_3genE3ELNS1_11target_archE908ELNS1_3gpuE7ELNS1_3repE0EEENS1_30default_config_static_selectorELNS0_4arch9wavefront6targetE1EEEvSK_
		.amdhsa_group_segment_fixed_size 0
		.amdhsa_private_segment_fixed_size 0
		.amdhsa_kernarg_size 64
		.amdhsa_user_sgpr_count 6
		.amdhsa_user_sgpr_private_segment_buffer 1
		.amdhsa_user_sgpr_dispatch_ptr 0
		.amdhsa_user_sgpr_queue_ptr 0
		.amdhsa_user_sgpr_kernarg_segment_ptr 1
		.amdhsa_user_sgpr_dispatch_id 0
		.amdhsa_user_sgpr_flat_scratch_init 0
		.amdhsa_user_sgpr_kernarg_preload_length 0
		.amdhsa_user_sgpr_kernarg_preload_offset 0
		.amdhsa_user_sgpr_private_segment_size 0
		.amdhsa_uses_dynamic_stack 0
		.amdhsa_system_sgpr_private_segment_wavefront_offset 0
		.amdhsa_system_sgpr_workgroup_id_x 1
		.amdhsa_system_sgpr_workgroup_id_y 0
		.amdhsa_system_sgpr_workgroup_id_z 0
		.amdhsa_system_sgpr_workgroup_info 0
		.amdhsa_system_vgpr_workitem_id 0
		.amdhsa_next_free_vgpr 1
		.amdhsa_next_free_sgpr 0
		.amdhsa_accum_offset 4
		.amdhsa_reserve_vcc 0
		.amdhsa_reserve_flat_scratch 0
		.amdhsa_float_round_mode_32 0
		.amdhsa_float_round_mode_16_64 0
		.amdhsa_float_denorm_mode_32 3
		.amdhsa_float_denorm_mode_16_64 3
		.amdhsa_dx10_clamp 1
		.amdhsa_ieee_mode 1
		.amdhsa_fp16_overflow 0
		.amdhsa_tg_split 0
		.amdhsa_exception_fp_ieee_invalid_op 0
		.amdhsa_exception_fp_denorm_src 0
		.amdhsa_exception_fp_ieee_div_zero 0
		.amdhsa_exception_fp_ieee_overflow 0
		.amdhsa_exception_fp_ieee_underflow 0
		.amdhsa_exception_fp_ieee_inexact 0
		.amdhsa_exception_int_div_zero 0
	.end_amdhsa_kernel
	.section	.text._ZN7rocprim17ROCPRIM_400000_NS6detail17trampoline_kernelINS0_14default_configENS1_37merge_sort_block_sort_config_selectorIcNS0_10empty_typeEEEZNS1_21merge_sort_block_sortIS3_N6thrust23THRUST_200600_302600_NS6detail15normal_iteratorINS9_10device_ptrIcEEEESE_PS5_SF_14custom_greaterIcEEE10hipError_tT0_T1_T2_T3_mRjT4_P12ihipStream_tbNS1_7vsmem_tEEUlT_E_NS1_11comp_targetILNS1_3genE3ELNS1_11target_archE908ELNS1_3gpuE7ELNS1_3repE0EEENS1_30default_config_static_selectorELNS0_4arch9wavefront6targetE1EEEvSK_,"axG",@progbits,_ZN7rocprim17ROCPRIM_400000_NS6detail17trampoline_kernelINS0_14default_configENS1_37merge_sort_block_sort_config_selectorIcNS0_10empty_typeEEEZNS1_21merge_sort_block_sortIS3_N6thrust23THRUST_200600_302600_NS6detail15normal_iteratorINS9_10device_ptrIcEEEESE_PS5_SF_14custom_greaterIcEEE10hipError_tT0_T1_T2_T3_mRjT4_P12ihipStream_tbNS1_7vsmem_tEEUlT_E_NS1_11comp_targetILNS1_3genE3ELNS1_11target_archE908ELNS1_3gpuE7ELNS1_3repE0EEENS1_30default_config_static_selectorELNS0_4arch9wavefront6targetE1EEEvSK_,comdat
.Lfunc_end2703:
	.size	_ZN7rocprim17ROCPRIM_400000_NS6detail17trampoline_kernelINS0_14default_configENS1_37merge_sort_block_sort_config_selectorIcNS0_10empty_typeEEEZNS1_21merge_sort_block_sortIS3_N6thrust23THRUST_200600_302600_NS6detail15normal_iteratorINS9_10device_ptrIcEEEESE_PS5_SF_14custom_greaterIcEEE10hipError_tT0_T1_T2_T3_mRjT4_P12ihipStream_tbNS1_7vsmem_tEEUlT_E_NS1_11comp_targetILNS1_3genE3ELNS1_11target_archE908ELNS1_3gpuE7ELNS1_3repE0EEENS1_30default_config_static_selectorELNS0_4arch9wavefront6targetE1EEEvSK_, .Lfunc_end2703-_ZN7rocprim17ROCPRIM_400000_NS6detail17trampoline_kernelINS0_14default_configENS1_37merge_sort_block_sort_config_selectorIcNS0_10empty_typeEEEZNS1_21merge_sort_block_sortIS3_N6thrust23THRUST_200600_302600_NS6detail15normal_iteratorINS9_10device_ptrIcEEEESE_PS5_SF_14custom_greaterIcEEE10hipError_tT0_T1_T2_T3_mRjT4_P12ihipStream_tbNS1_7vsmem_tEEUlT_E_NS1_11comp_targetILNS1_3genE3ELNS1_11target_archE908ELNS1_3gpuE7ELNS1_3repE0EEENS1_30default_config_static_selectorELNS0_4arch9wavefront6targetE1EEEvSK_
                                        ; -- End function
	.section	.AMDGPU.csdata,"",@progbits
; Kernel info:
; codeLenInByte = 0
; NumSgprs: 4
; NumVgprs: 0
; NumAgprs: 0
; TotalNumVgprs: 0
; ScratchSize: 0
; MemoryBound: 0
; FloatMode: 240
; IeeeMode: 1
; LDSByteSize: 0 bytes/workgroup (compile time only)
; SGPRBlocks: 0
; VGPRBlocks: 0
; NumSGPRsForWavesPerEU: 4
; NumVGPRsForWavesPerEU: 1
; AccumOffset: 4
; Occupancy: 8
; WaveLimiterHint : 0
; COMPUTE_PGM_RSRC2:SCRATCH_EN: 0
; COMPUTE_PGM_RSRC2:USER_SGPR: 6
; COMPUTE_PGM_RSRC2:TRAP_HANDLER: 0
; COMPUTE_PGM_RSRC2:TGID_X_EN: 1
; COMPUTE_PGM_RSRC2:TGID_Y_EN: 0
; COMPUTE_PGM_RSRC2:TGID_Z_EN: 0
; COMPUTE_PGM_RSRC2:TIDIG_COMP_CNT: 0
; COMPUTE_PGM_RSRC3_GFX90A:ACCUM_OFFSET: 0
; COMPUTE_PGM_RSRC3_GFX90A:TG_SPLIT: 0
	.section	.text._ZN7rocprim17ROCPRIM_400000_NS6detail17trampoline_kernelINS0_14default_configENS1_37merge_sort_block_sort_config_selectorIcNS0_10empty_typeEEEZNS1_21merge_sort_block_sortIS3_N6thrust23THRUST_200600_302600_NS6detail15normal_iteratorINS9_10device_ptrIcEEEESE_PS5_SF_14custom_greaterIcEEE10hipError_tT0_T1_T2_T3_mRjT4_P12ihipStream_tbNS1_7vsmem_tEEUlT_E_NS1_11comp_targetILNS1_3genE2ELNS1_11target_archE906ELNS1_3gpuE6ELNS1_3repE0EEENS1_30default_config_static_selectorELNS0_4arch9wavefront6targetE1EEEvSK_,"axG",@progbits,_ZN7rocprim17ROCPRIM_400000_NS6detail17trampoline_kernelINS0_14default_configENS1_37merge_sort_block_sort_config_selectorIcNS0_10empty_typeEEEZNS1_21merge_sort_block_sortIS3_N6thrust23THRUST_200600_302600_NS6detail15normal_iteratorINS9_10device_ptrIcEEEESE_PS5_SF_14custom_greaterIcEEE10hipError_tT0_T1_T2_T3_mRjT4_P12ihipStream_tbNS1_7vsmem_tEEUlT_E_NS1_11comp_targetILNS1_3genE2ELNS1_11target_archE906ELNS1_3gpuE6ELNS1_3repE0EEENS1_30default_config_static_selectorELNS0_4arch9wavefront6targetE1EEEvSK_,comdat
	.protected	_ZN7rocprim17ROCPRIM_400000_NS6detail17trampoline_kernelINS0_14default_configENS1_37merge_sort_block_sort_config_selectorIcNS0_10empty_typeEEEZNS1_21merge_sort_block_sortIS3_N6thrust23THRUST_200600_302600_NS6detail15normal_iteratorINS9_10device_ptrIcEEEESE_PS5_SF_14custom_greaterIcEEE10hipError_tT0_T1_T2_T3_mRjT4_P12ihipStream_tbNS1_7vsmem_tEEUlT_E_NS1_11comp_targetILNS1_3genE2ELNS1_11target_archE906ELNS1_3gpuE6ELNS1_3repE0EEENS1_30default_config_static_selectorELNS0_4arch9wavefront6targetE1EEEvSK_ ; -- Begin function _ZN7rocprim17ROCPRIM_400000_NS6detail17trampoline_kernelINS0_14default_configENS1_37merge_sort_block_sort_config_selectorIcNS0_10empty_typeEEEZNS1_21merge_sort_block_sortIS3_N6thrust23THRUST_200600_302600_NS6detail15normal_iteratorINS9_10device_ptrIcEEEESE_PS5_SF_14custom_greaterIcEEE10hipError_tT0_T1_T2_T3_mRjT4_P12ihipStream_tbNS1_7vsmem_tEEUlT_E_NS1_11comp_targetILNS1_3genE2ELNS1_11target_archE906ELNS1_3gpuE6ELNS1_3repE0EEENS1_30default_config_static_selectorELNS0_4arch9wavefront6targetE1EEEvSK_
	.globl	_ZN7rocprim17ROCPRIM_400000_NS6detail17trampoline_kernelINS0_14default_configENS1_37merge_sort_block_sort_config_selectorIcNS0_10empty_typeEEEZNS1_21merge_sort_block_sortIS3_N6thrust23THRUST_200600_302600_NS6detail15normal_iteratorINS9_10device_ptrIcEEEESE_PS5_SF_14custom_greaterIcEEE10hipError_tT0_T1_T2_T3_mRjT4_P12ihipStream_tbNS1_7vsmem_tEEUlT_E_NS1_11comp_targetILNS1_3genE2ELNS1_11target_archE906ELNS1_3gpuE6ELNS1_3repE0EEENS1_30default_config_static_selectorELNS0_4arch9wavefront6targetE1EEEvSK_
	.p2align	8
	.type	_ZN7rocprim17ROCPRIM_400000_NS6detail17trampoline_kernelINS0_14default_configENS1_37merge_sort_block_sort_config_selectorIcNS0_10empty_typeEEEZNS1_21merge_sort_block_sortIS3_N6thrust23THRUST_200600_302600_NS6detail15normal_iteratorINS9_10device_ptrIcEEEESE_PS5_SF_14custom_greaterIcEEE10hipError_tT0_T1_T2_T3_mRjT4_P12ihipStream_tbNS1_7vsmem_tEEUlT_E_NS1_11comp_targetILNS1_3genE2ELNS1_11target_archE906ELNS1_3gpuE6ELNS1_3repE0EEENS1_30default_config_static_selectorELNS0_4arch9wavefront6targetE1EEEvSK_,@function
_ZN7rocprim17ROCPRIM_400000_NS6detail17trampoline_kernelINS0_14default_configENS1_37merge_sort_block_sort_config_selectorIcNS0_10empty_typeEEEZNS1_21merge_sort_block_sortIS3_N6thrust23THRUST_200600_302600_NS6detail15normal_iteratorINS9_10device_ptrIcEEEESE_PS5_SF_14custom_greaterIcEEE10hipError_tT0_T1_T2_T3_mRjT4_P12ihipStream_tbNS1_7vsmem_tEEUlT_E_NS1_11comp_targetILNS1_3genE2ELNS1_11target_archE906ELNS1_3gpuE6ELNS1_3repE0EEENS1_30default_config_static_selectorELNS0_4arch9wavefront6targetE1EEEvSK_: ; @_ZN7rocprim17ROCPRIM_400000_NS6detail17trampoline_kernelINS0_14default_configENS1_37merge_sort_block_sort_config_selectorIcNS0_10empty_typeEEEZNS1_21merge_sort_block_sortIS3_N6thrust23THRUST_200600_302600_NS6detail15normal_iteratorINS9_10device_ptrIcEEEESE_PS5_SF_14custom_greaterIcEEE10hipError_tT0_T1_T2_T3_mRjT4_P12ihipStream_tbNS1_7vsmem_tEEUlT_E_NS1_11comp_targetILNS1_3genE2ELNS1_11target_archE906ELNS1_3gpuE6ELNS1_3repE0EEENS1_30default_config_static_selectorELNS0_4arch9wavefront6targetE1EEEvSK_
; %bb.0:
	.section	.rodata,"a",@progbits
	.p2align	6, 0x0
	.amdhsa_kernel _ZN7rocprim17ROCPRIM_400000_NS6detail17trampoline_kernelINS0_14default_configENS1_37merge_sort_block_sort_config_selectorIcNS0_10empty_typeEEEZNS1_21merge_sort_block_sortIS3_N6thrust23THRUST_200600_302600_NS6detail15normal_iteratorINS9_10device_ptrIcEEEESE_PS5_SF_14custom_greaterIcEEE10hipError_tT0_T1_T2_T3_mRjT4_P12ihipStream_tbNS1_7vsmem_tEEUlT_E_NS1_11comp_targetILNS1_3genE2ELNS1_11target_archE906ELNS1_3gpuE6ELNS1_3repE0EEENS1_30default_config_static_selectorELNS0_4arch9wavefront6targetE1EEEvSK_
		.amdhsa_group_segment_fixed_size 0
		.amdhsa_private_segment_fixed_size 0
		.amdhsa_kernarg_size 64
		.amdhsa_user_sgpr_count 6
		.amdhsa_user_sgpr_private_segment_buffer 1
		.amdhsa_user_sgpr_dispatch_ptr 0
		.amdhsa_user_sgpr_queue_ptr 0
		.amdhsa_user_sgpr_kernarg_segment_ptr 1
		.amdhsa_user_sgpr_dispatch_id 0
		.amdhsa_user_sgpr_flat_scratch_init 0
		.amdhsa_user_sgpr_kernarg_preload_length 0
		.amdhsa_user_sgpr_kernarg_preload_offset 0
		.amdhsa_user_sgpr_private_segment_size 0
		.amdhsa_uses_dynamic_stack 0
		.amdhsa_system_sgpr_private_segment_wavefront_offset 0
		.amdhsa_system_sgpr_workgroup_id_x 1
		.amdhsa_system_sgpr_workgroup_id_y 0
		.amdhsa_system_sgpr_workgroup_id_z 0
		.amdhsa_system_sgpr_workgroup_info 0
		.amdhsa_system_vgpr_workitem_id 0
		.amdhsa_next_free_vgpr 1
		.amdhsa_next_free_sgpr 0
		.amdhsa_accum_offset 4
		.amdhsa_reserve_vcc 0
		.amdhsa_reserve_flat_scratch 0
		.amdhsa_float_round_mode_32 0
		.amdhsa_float_round_mode_16_64 0
		.amdhsa_float_denorm_mode_32 3
		.amdhsa_float_denorm_mode_16_64 3
		.amdhsa_dx10_clamp 1
		.amdhsa_ieee_mode 1
		.amdhsa_fp16_overflow 0
		.amdhsa_tg_split 0
		.amdhsa_exception_fp_ieee_invalid_op 0
		.amdhsa_exception_fp_denorm_src 0
		.amdhsa_exception_fp_ieee_div_zero 0
		.amdhsa_exception_fp_ieee_overflow 0
		.amdhsa_exception_fp_ieee_underflow 0
		.amdhsa_exception_fp_ieee_inexact 0
		.amdhsa_exception_int_div_zero 0
	.end_amdhsa_kernel
	.section	.text._ZN7rocprim17ROCPRIM_400000_NS6detail17trampoline_kernelINS0_14default_configENS1_37merge_sort_block_sort_config_selectorIcNS0_10empty_typeEEEZNS1_21merge_sort_block_sortIS3_N6thrust23THRUST_200600_302600_NS6detail15normal_iteratorINS9_10device_ptrIcEEEESE_PS5_SF_14custom_greaterIcEEE10hipError_tT0_T1_T2_T3_mRjT4_P12ihipStream_tbNS1_7vsmem_tEEUlT_E_NS1_11comp_targetILNS1_3genE2ELNS1_11target_archE906ELNS1_3gpuE6ELNS1_3repE0EEENS1_30default_config_static_selectorELNS0_4arch9wavefront6targetE1EEEvSK_,"axG",@progbits,_ZN7rocprim17ROCPRIM_400000_NS6detail17trampoline_kernelINS0_14default_configENS1_37merge_sort_block_sort_config_selectorIcNS0_10empty_typeEEEZNS1_21merge_sort_block_sortIS3_N6thrust23THRUST_200600_302600_NS6detail15normal_iteratorINS9_10device_ptrIcEEEESE_PS5_SF_14custom_greaterIcEEE10hipError_tT0_T1_T2_T3_mRjT4_P12ihipStream_tbNS1_7vsmem_tEEUlT_E_NS1_11comp_targetILNS1_3genE2ELNS1_11target_archE906ELNS1_3gpuE6ELNS1_3repE0EEENS1_30default_config_static_selectorELNS0_4arch9wavefront6targetE1EEEvSK_,comdat
.Lfunc_end2704:
	.size	_ZN7rocprim17ROCPRIM_400000_NS6detail17trampoline_kernelINS0_14default_configENS1_37merge_sort_block_sort_config_selectorIcNS0_10empty_typeEEEZNS1_21merge_sort_block_sortIS3_N6thrust23THRUST_200600_302600_NS6detail15normal_iteratorINS9_10device_ptrIcEEEESE_PS5_SF_14custom_greaterIcEEE10hipError_tT0_T1_T2_T3_mRjT4_P12ihipStream_tbNS1_7vsmem_tEEUlT_E_NS1_11comp_targetILNS1_3genE2ELNS1_11target_archE906ELNS1_3gpuE6ELNS1_3repE0EEENS1_30default_config_static_selectorELNS0_4arch9wavefront6targetE1EEEvSK_, .Lfunc_end2704-_ZN7rocprim17ROCPRIM_400000_NS6detail17trampoline_kernelINS0_14default_configENS1_37merge_sort_block_sort_config_selectorIcNS0_10empty_typeEEEZNS1_21merge_sort_block_sortIS3_N6thrust23THRUST_200600_302600_NS6detail15normal_iteratorINS9_10device_ptrIcEEEESE_PS5_SF_14custom_greaterIcEEE10hipError_tT0_T1_T2_T3_mRjT4_P12ihipStream_tbNS1_7vsmem_tEEUlT_E_NS1_11comp_targetILNS1_3genE2ELNS1_11target_archE906ELNS1_3gpuE6ELNS1_3repE0EEENS1_30default_config_static_selectorELNS0_4arch9wavefront6targetE1EEEvSK_
                                        ; -- End function
	.section	.AMDGPU.csdata,"",@progbits
; Kernel info:
; codeLenInByte = 0
; NumSgprs: 4
; NumVgprs: 0
; NumAgprs: 0
; TotalNumVgprs: 0
; ScratchSize: 0
; MemoryBound: 0
; FloatMode: 240
; IeeeMode: 1
; LDSByteSize: 0 bytes/workgroup (compile time only)
; SGPRBlocks: 0
; VGPRBlocks: 0
; NumSGPRsForWavesPerEU: 4
; NumVGPRsForWavesPerEU: 1
; AccumOffset: 4
; Occupancy: 8
; WaveLimiterHint : 0
; COMPUTE_PGM_RSRC2:SCRATCH_EN: 0
; COMPUTE_PGM_RSRC2:USER_SGPR: 6
; COMPUTE_PGM_RSRC2:TRAP_HANDLER: 0
; COMPUTE_PGM_RSRC2:TGID_X_EN: 1
; COMPUTE_PGM_RSRC2:TGID_Y_EN: 0
; COMPUTE_PGM_RSRC2:TGID_Z_EN: 0
; COMPUTE_PGM_RSRC2:TIDIG_COMP_CNT: 0
; COMPUTE_PGM_RSRC3_GFX90A:ACCUM_OFFSET: 0
; COMPUTE_PGM_RSRC3_GFX90A:TG_SPLIT: 0
	.section	.text._ZN7rocprim17ROCPRIM_400000_NS6detail17trampoline_kernelINS0_14default_configENS1_37merge_sort_block_sort_config_selectorIcNS0_10empty_typeEEEZNS1_21merge_sort_block_sortIS3_N6thrust23THRUST_200600_302600_NS6detail15normal_iteratorINS9_10device_ptrIcEEEESE_PS5_SF_14custom_greaterIcEEE10hipError_tT0_T1_T2_T3_mRjT4_P12ihipStream_tbNS1_7vsmem_tEEUlT_E_NS1_11comp_targetILNS1_3genE10ELNS1_11target_archE1201ELNS1_3gpuE5ELNS1_3repE0EEENS1_30default_config_static_selectorELNS0_4arch9wavefront6targetE1EEEvSK_,"axG",@progbits,_ZN7rocprim17ROCPRIM_400000_NS6detail17trampoline_kernelINS0_14default_configENS1_37merge_sort_block_sort_config_selectorIcNS0_10empty_typeEEEZNS1_21merge_sort_block_sortIS3_N6thrust23THRUST_200600_302600_NS6detail15normal_iteratorINS9_10device_ptrIcEEEESE_PS5_SF_14custom_greaterIcEEE10hipError_tT0_T1_T2_T3_mRjT4_P12ihipStream_tbNS1_7vsmem_tEEUlT_E_NS1_11comp_targetILNS1_3genE10ELNS1_11target_archE1201ELNS1_3gpuE5ELNS1_3repE0EEENS1_30default_config_static_selectorELNS0_4arch9wavefront6targetE1EEEvSK_,comdat
	.protected	_ZN7rocprim17ROCPRIM_400000_NS6detail17trampoline_kernelINS0_14default_configENS1_37merge_sort_block_sort_config_selectorIcNS0_10empty_typeEEEZNS1_21merge_sort_block_sortIS3_N6thrust23THRUST_200600_302600_NS6detail15normal_iteratorINS9_10device_ptrIcEEEESE_PS5_SF_14custom_greaterIcEEE10hipError_tT0_T1_T2_T3_mRjT4_P12ihipStream_tbNS1_7vsmem_tEEUlT_E_NS1_11comp_targetILNS1_3genE10ELNS1_11target_archE1201ELNS1_3gpuE5ELNS1_3repE0EEENS1_30default_config_static_selectorELNS0_4arch9wavefront6targetE1EEEvSK_ ; -- Begin function _ZN7rocprim17ROCPRIM_400000_NS6detail17trampoline_kernelINS0_14default_configENS1_37merge_sort_block_sort_config_selectorIcNS0_10empty_typeEEEZNS1_21merge_sort_block_sortIS3_N6thrust23THRUST_200600_302600_NS6detail15normal_iteratorINS9_10device_ptrIcEEEESE_PS5_SF_14custom_greaterIcEEE10hipError_tT0_T1_T2_T3_mRjT4_P12ihipStream_tbNS1_7vsmem_tEEUlT_E_NS1_11comp_targetILNS1_3genE10ELNS1_11target_archE1201ELNS1_3gpuE5ELNS1_3repE0EEENS1_30default_config_static_selectorELNS0_4arch9wavefront6targetE1EEEvSK_
	.globl	_ZN7rocprim17ROCPRIM_400000_NS6detail17trampoline_kernelINS0_14default_configENS1_37merge_sort_block_sort_config_selectorIcNS0_10empty_typeEEEZNS1_21merge_sort_block_sortIS3_N6thrust23THRUST_200600_302600_NS6detail15normal_iteratorINS9_10device_ptrIcEEEESE_PS5_SF_14custom_greaterIcEEE10hipError_tT0_T1_T2_T3_mRjT4_P12ihipStream_tbNS1_7vsmem_tEEUlT_E_NS1_11comp_targetILNS1_3genE10ELNS1_11target_archE1201ELNS1_3gpuE5ELNS1_3repE0EEENS1_30default_config_static_selectorELNS0_4arch9wavefront6targetE1EEEvSK_
	.p2align	8
	.type	_ZN7rocprim17ROCPRIM_400000_NS6detail17trampoline_kernelINS0_14default_configENS1_37merge_sort_block_sort_config_selectorIcNS0_10empty_typeEEEZNS1_21merge_sort_block_sortIS3_N6thrust23THRUST_200600_302600_NS6detail15normal_iteratorINS9_10device_ptrIcEEEESE_PS5_SF_14custom_greaterIcEEE10hipError_tT0_T1_T2_T3_mRjT4_P12ihipStream_tbNS1_7vsmem_tEEUlT_E_NS1_11comp_targetILNS1_3genE10ELNS1_11target_archE1201ELNS1_3gpuE5ELNS1_3repE0EEENS1_30default_config_static_selectorELNS0_4arch9wavefront6targetE1EEEvSK_,@function
_ZN7rocprim17ROCPRIM_400000_NS6detail17trampoline_kernelINS0_14default_configENS1_37merge_sort_block_sort_config_selectorIcNS0_10empty_typeEEEZNS1_21merge_sort_block_sortIS3_N6thrust23THRUST_200600_302600_NS6detail15normal_iteratorINS9_10device_ptrIcEEEESE_PS5_SF_14custom_greaterIcEEE10hipError_tT0_T1_T2_T3_mRjT4_P12ihipStream_tbNS1_7vsmem_tEEUlT_E_NS1_11comp_targetILNS1_3genE10ELNS1_11target_archE1201ELNS1_3gpuE5ELNS1_3repE0EEENS1_30default_config_static_selectorELNS0_4arch9wavefront6targetE1EEEvSK_: ; @_ZN7rocprim17ROCPRIM_400000_NS6detail17trampoline_kernelINS0_14default_configENS1_37merge_sort_block_sort_config_selectorIcNS0_10empty_typeEEEZNS1_21merge_sort_block_sortIS3_N6thrust23THRUST_200600_302600_NS6detail15normal_iteratorINS9_10device_ptrIcEEEESE_PS5_SF_14custom_greaterIcEEE10hipError_tT0_T1_T2_T3_mRjT4_P12ihipStream_tbNS1_7vsmem_tEEUlT_E_NS1_11comp_targetILNS1_3genE10ELNS1_11target_archE1201ELNS1_3gpuE5ELNS1_3repE0EEENS1_30default_config_static_selectorELNS0_4arch9wavefront6targetE1EEEvSK_
; %bb.0:
	.section	.rodata,"a",@progbits
	.p2align	6, 0x0
	.amdhsa_kernel _ZN7rocprim17ROCPRIM_400000_NS6detail17trampoline_kernelINS0_14default_configENS1_37merge_sort_block_sort_config_selectorIcNS0_10empty_typeEEEZNS1_21merge_sort_block_sortIS3_N6thrust23THRUST_200600_302600_NS6detail15normal_iteratorINS9_10device_ptrIcEEEESE_PS5_SF_14custom_greaterIcEEE10hipError_tT0_T1_T2_T3_mRjT4_P12ihipStream_tbNS1_7vsmem_tEEUlT_E_NS1_11comp_targetILNS1_3genE10ELNS1_11target_archE1201ELNS1_3gpuE5ELNS1_3repE0EEENS1_30default_config_static_selectorELNS0_4arch9wavefront6targetE1EEEvSK_
		.amdhsa_group_segment_fixed_size 0
		.amdhsa_private_segment_fixed_size 0
		.amdhsa_kernarg_size 64
		.amdhsa_user_sgpr_count 6
		.amdhsa_user_sgpr_private_segment_buffer 1
		.amdhsa_user_sgpr_dispatch_ptr 0
		.amdhsa_user_sgpr_queue_ptr 0
		.amdhsa_user_sgpr_kernarg_segment_ptr 1
		.amdhsa_user_sgpr_dispatch_id 0
		.amdhsa_user_sgpr_flat_scratch_init 0
		.amdhsa_user_sgpr_kernarg_preload_length 0
		.amdhsa_user_sgpr_kernarg_preload_offset 0
		.amdhsa_user_sgpr_private_segment_size 0
		.amdhsa_uses_dynamic_stack 0
		.amdhsa_system_sgpr_private_segment_wavefront_offset 0
		.amdhsa_system_sgpr_workgroup_id_x 1
		.amdhsa_system_sgpr_workgroup_id_y 0
		.amdhsa_system_sgpr_workgroup_id_z 0
		.amdhsa_system_sgpr_workgroup_info 0
		.amdhsa_system_vgpr_workitem_id 0
		.amdhsa_next_free_vgpr 1
		.amdhsa_next_free_sgpr 0
		.amdhsa_accum_offset 4
		.amdhsa_reserve_vcc 0
		.amdhsa_reserve_flat_scratch 0
		.amdhsa_float_round_mode_32 0
		.amdhsa_float_round_mode_16_64 0
		.amdhsa_float_denorm_mode_32 3
		.amdhsa_float_denorm_mode_16_64 3
		.amdhsa_dx10_clamp 1
		.amdhsa_ieee_mode 1
		.amdhsa_fp16_overflow 0
		.amdhsa_tg_split 0
		.amdhsa_exception_fp_ieee_invalid_op 0
		.amdhsa_exception_fp_denorm_src 0
		.amdhsa_exception_fp_ieee_div_zero 0
		.amdhsa_exception_fp_ieee_overflow 0
		.amdhsa_exception_fp_ieee_underflow 0
		.amdhsa_exception_fp_ieee_inexact 0
		.amdhsa_exception_int_div_zero 0
	.end_amdhsa_kernel
	.section	.text._ZN7rocprim17ROCPRIM_400000_NS6detail17trampoline_kernelINS0_14default_configENS1_37merge_sort_block_sort_config_selectorIcNS0_10empty_typeEEEZNS1_21merge_sort_block_sortIS3_N6thrust23THRUST_200600_302600_NS6detail15normal_iteratorINS9_10device_ptrIcEEEESE_PS5_SF_14custom_greaterIcEEE10hipError_tT0_T1_T2_T3_mRjT4_P12ihipStream_tbNS1_7vsmem_tEEUlT_E_NS1_11comp_targetILNS1_3genE10ELNS1_11target_archE1201ELNS1_3gpuE5ELNS1_3repE0EEENS1_30default_config_static_selectorELNS0_4arch9wavefront6targetE1EEEvSK_,"axG",@progbits,_ZN7rocprim17ROCPRIM_400000_NS6detail17trampoline_kernelINS0_14default_configENS1_37merge_sort_block_sort_config_selectorIcNS0_10empty_typeEEEZNS1_21merge_sort_block_sortIS3_N6thrust23THRUST_200600_302600_NS6detail15normal_iteratorINS9_10device_ptrIcEEEESE_PS5_SF_14custom_greaterIcEEE10hipError_tT0_T1_T2_T3_mRjT4_P12ihipStream_tbNS1_7vsmem_tEEUlT_E_NS1_11comp_targetILNS1_3genE10ELNS1_11target_archE1201ELNS1_3gpuE5ELNS1_3repE0EEENS1_30default_config_static_selectorELNS0_4arch9wavefront6targetE1EEEvSK_,comdat
.Lfunc_end2705:
	.size	_ZN7rocprim17ROCPRIM_400000_NS6detail17trampoline_kernelINS0_14default_configENS1_37merge_sort_block_sort_config_selectorIcNS0_10empty_typeEEEZNS1_21merge_sort_block_sortIS3_N6thrust23THRUST_200600_302600_NS6detail15normal_iteratorINS9_10device_ptrIcEEEESE_PS5_SF_14custom_greaterIcEEE10hipError_tT0_T1_T2_T3_mRjT4_P12ihipStream_tbNS1_7vsmem_tEEUlT_E_NS1_11comp_targetILNS1_3genE10ELNS1_11target_archE1201ELNS1_3gpuE5ELNS1_3repE0EEENS1_30default_config_static_selectorELNS0_4arch9wavefront6targetE1EEEvSK_, .Lfunc_end2705-_ZN7rocprim17ROCPRIM_400000_NS6detail17trampoline_kernelINS0_14default_configENS1_37merge_sort_block_sort_config_selectorIcNS0_10empty_typeEEEZNS1_21merge_sort_block_sortIS3_N6thrust23THRUST_200600_302600_NS6detail15normal_iteratorINS9_10device_ptrIcEEEESE_PS5_SF_14custom_greaterIcEEE10hipError_tT0_T1_T2_T3_mRjT4_P12ihipStream_tbNS1_7vsmem_tEEUlT_E_NS1_11comp_targetILNS1_3genE10ELNS1_11target_archE1201ELNS1_3gpuE5ELNS1_3repE0EEENS1_30default_config_static_selectorELNS0_4arch9wavefront6targetE1EEEvSK_
                                        ; -- End function
	.section	.AMDGPU.csdata,"",@progbits
; Kernel info:
; codeLenInByte = 0
; NumSgprs: 4
; NumVgprs: 0
; NumAgprs: 0
; TotalNumVgprs: 0
; ScratchSize: 0
; MemoryBound: 0
; FloatMode: 240
; IeeeMode: 1
; LDSByteSize: 0 bytes/workgroup (compile time only)
; SGPRBlocks: 0
; VGPRBlocks: 0
; NumSGPRsForWavesPerEU: 4
; NumVGPRsForWavesPerEU: 1
; AccumOffset: 4
; Occupancy: 8
; WaveLimiterHint : 0
; COMPUTE_PGM_RSRC2:SCRATCH_EN: 0
; COMPUTE_PGM_RSRC2:USER_SGPR: 6
; COMPUTE_PGM_RSRC2:TRAP_HANDLER: 0
; COMPUTE_PGM_RSRC2:TGID_X_EN: 1
; COMPUTE_PGM_RSRC2:TGID_Y_EN: 0
; COMPUTE_PGM_RSRC2:TGID_Z_EN: 0
; COMPUTE_PGM_RSRC2:TIDIG_COMP_CNT: 0
; COMPUTE_PGM_RSRC3_GFX90A:ACCUM_OFFSET: 0
; COMPUTE_PGM_RSRC3_GFX90A:TG_SPLIT: 0
	.section	.text._ZN7rocprim17ROCPRIM_400000_NS6detail17trampoline_kernelINS0_14default_configENS1_37merge_sort_block_sort_config_selectorIcNS0_10empty_typeEEEZNS1_21merge_sort_block_sortIS3_N6thrust23THRUST_200600_302600_NS6detail15normal_iteratorINS9_10device_ptrIcEEEESE_PS5_SF_14custom_greaterIcEEE10hipError_tT0_T1_T2_T3_mRjT4_P12ihipStream_tbNS1_7vsmem_tEEUlT_E_NS1_11comp_targetILNS1_3genE10ELNS1_11target_archE1200ELNS1_3gpuE4ELNS1_3repE0EEENS1_30default_config_static_selectorELNS0_4arch9wavefront6targetE1EEEvSK_,"axG",@progbits,_ZN7rocprim17ROCPRIM_400000_NS6detail17trampoline_kernelINS0_14default_configENS1_37merge_sort_block_sort_config_selectorIcNS0_10empty_typeEEEZNS1_21merge_sort_block_sortIS3_N6thrust23THRUST_200600_302600_NS6detail15normal_iteratorINS9_10device_ptrIcEEEESE_PS5_SF_14custom_greaterIcEEE10hipError_tT0_T1_T2_T3_mRjT4_P12ihipStream_tbNS1_7vsmem_tEEUlT_E_NS1_11comp_targetILNS1_3genE10ELNS1_11target_archE1200ELNS1_3gpuE4ELNS1_3repE0EEENS1_30default_config_static_selectorELNS0_4arch9wavefront6targetE1EEEvSK_,comdat
	.protected	_ZN7rocprim17ROCPRIM_400000_NS6detail17trampoline_kernelINS0_14default_configENS1_37merge_sort_block_sort_config_selectorIcNS0_10empty_typeEEEZNS1_21merge_sort_block_sortIS3_N6thrust23THRUST_200600_302600_NS6detail15normal_iteratorINS9_10device_ptrIcEEEESE_PS5_SF_14custom_greaterIcEEE10hipError_tT0_T1_T2_T3_mRjT4_P12ihipStream_tbNS1_7vsmem_tEEUlT_E_NS1_11comp_targetILNS1_3genE10ELNS1_11target_archE1200ELNS1_3gpuE4ELNS1_3repE0EEENS1_30default_config_static_selectorELNS0_4arch9wavefront6targetE1EEEvSK_ ; -- Begin function _ZN7rocprim17ROCPRIM_400000_NS6detail17trampoline_kernelINS0_14default_configENS1_37merge_sort_block_sort_config_selectorIcNS0_10empty_typeEEEZNS1_21merge_sort_block_sortIS3_N6thrust23THRUST_200600_302600_NS6detail15normal_iteratorINS9_10device_ptrIcEEEESE_PS5_SF_14custom_greaterIcEEE10hipError_tT0_T1_T2_T3_mRjT4_P12ihipStream_tbNS1_7vsmem_tEEUlT_E_NS1_11comp_targetILNS1_3genE10ELNS1_11target_archE1200ELNS1_3gpuE4ELNS1_3repE0EEENS1_30default_config_static_selectorELNS0_4arch9wavefront6targetE1EEEvSK_
	.globl	_ZN7rocprim17ROCPRIM_400000_NS6detail17trampoline_kernelINS0_14default_configENS1_37merge_sort_block_sort_config_selectorIcNS0_10empty_typeEEEZNS1_21merge_sort_block_sortIS3_N6thrust23THRUST_200600_302600_NS6detail15normal_iteratorINS9_10device_ptrIcEEEESE_PS5_SF_14custom_greaterIcEEE10hipError_tT0_T1_T2_T3_mRjT4_P12ihipStream_tbNS1_7vsmem_tEEUlT_E_NS1_11comp_targetILNS1_3genE10ELNS1_11target_archE1200ELNS1_3gpuE4ELNS1_3repE0EEENS1_30default_config_static_selectorELNS0_4arch9wavefront6targetE1EEEvSK_
	.p2align	8
	.type	_ZN7rocprim17ROCPRIM_400000_NS6detail17trampoline_kernelINS0_14default_configENS1_37merge_sort_block_sort_config_selectorIcNS0_10empty_typeEEEZNS1_21merge_sort_block_sortIS3_N6thrust23THRUST_200600_302600_NS6detail15normal_iteratorINS9_10device_ptrIcEEEESE_PS5_SF_14custom_greaterIcEEE10hipError_tT0_T1_T2_T3_mRjT4_P12ihipStream_tbNS1_7vsmem_tEEUlT_E_NS1_11comp_targetILNS1_3genE10ELNS1_11target_archE1200ELNS1_3gpuE4ELNS1_3repE0EEENS1_30default_config_static_selectorELNS0_4arch9wavefront6targetE1EEEvSK_,@function
_ZN7rocprim17ROCPRIM_400000_NS6detail17trampoline_kernelINS0_14default_configENS1_37merge_sort_block_sort_config_selectorIcNS0_10empty_typeEEEZNS1_21merge_sort_block_sortIS3_N6thrust23THRUST_200600_302600_NS6detail15normal_iteratorINS9_10device_ptrIcEEEESE_PS5_SF_14custom_greaterIcEEE10hipError_tT0_T1_T2_T3_mRjT4_P12ihipStream_tbNS1_7vsmem_tEEUlT_E_NS1_11comp_targetILNS1_3genE10ELNS1_11target_archE1200ELNS1_3gpuE4ELNS1_3repE0EEENS1_30default_config_static_selectorELNS0_4arch9wavefront6targetE1EEEvSK_: ; @_ZN7rocprim17ROCPRIM_400000_NS6detail17trampoline_kernelINS0_14default_configENS1_37merge_sort_block_sort_config_selectorIcNS0_10empty_typeEEEZNS1_21merge_sort_block_sortIS3_N6thrust23THRUST_200600_302600_NS6detail15normal_iteratorINS9_10device_ptrIcEEEESE_PS5_SF_14custom_greaterIcEEE10hipError_tT0_T1_T2_T3_mRjT4_P12ihipStream_tbNS1_7vsmem_tEEUlT_E_NS1_11comp_targetILNS1_3genE10ELNS1_11target_archE1200ELNS1_3gpuE4ELNS1_3repE0EEENS1_30default_config_static_selectorELNS0_4arch9wavefront6targetE1EEEvSK_
; %bb.0:
	.section	.rodata,"a",@progbits
	.p2align	6, 0x0
	.amdhsa_kernel _ZN7rocprim17ROCPRIM_400000_NS6detail17trampoline_kernelINS0_14default_configENS1_37merge_sort_block_sort_config_selectorIcNS0_10empty_typeEEEZNS1_21merge_sort_block_sortIS3_N6thrust23THRUST_200600_302600_NS6detail15normal_iteratorINS9_10device_ptrIcEEEESE_PS5_SF_14custom_greaterIcEEE10hipError_tT0_T1_T2_T3_mRjT4_P12ihipStream_tbNS1_7vsmem_tEEUlT_E_NS1_11comp_targetILNS1_3genE10ELNS1_11target_archE1200ELNS1_3gpuE4ELNS1_3repE0EEENS1_30default_config_static_selectorELNS0_4arch9wavefront6targetE1EEEvSK_
		.amdhsa_group_segment_fixed_size 0
		.amdhsa_private_segment_fixed_size 0
		.amdhsa_kernarg_size 64
		.amdhsa_user_sgpr_count 6
		.amdhsa_user_sgpr_private_segment_buffer 1
		.amdhsa_user_sgpr_dispatch_ptr 0
		.amdhsa_user_sgpr_queue_ptr 0
		.amdhsa_user_sgpr_kernarg_segment_ptr 1
		.amdhsa_user_sgpr_dispatch_id 0
		.amdhsa_user_sgpr_flat_scratch_init 0
		.amdhsa_user_sgpr_kernarg_preload_length 0
		.amdhsa_user_sgpr_kernarg_preload_offset 0
		.amdhsa_user_sgpr_private_segment_size 0
		.amdhsa_uses_dynamic_stack 0
		.amdhsa_system_sgpr_private_segment_wavefront_offset 0
		.amdhsa_system_sgpr_workgroup_id_x 1
		.amdhsa_system_sgpr_workgroup_id_y 0
		.amdhsa_system_sgpr_workgroup_id_z 0
		.amdhsa_system_sgpr_workgroup_info 0
		.amdhsa_system_vgpr_workitem_id 0
		.amdhsa_next_free_vgpr 1
		.amdhsa_next_free_sgpr 0
		.amdhsa_accum_offset 4
		.amdhsa_reserve_vcc 0
		.amdhsa_reserve_flat_scratch 0
		.amdhsa_float_round_mode_32 0
		.amdhsa_float_round_mode_16_64 0
		.amdhsa_float_denorm_mode_32 3
		.amdhsa_float_denorm_mode_16_64 3
		.amdhsa_dx10_clamp 1
		.amdhsa_ieee_mode 1
		.amdhsa_fp16_overflow 0
		.amdhsa_tg_split 0
		.amdhsa_exception_fp_ieee_invalid_op 0
		.amdhsa_exception_fp_denorm_src 0
		.amdhsa_exception_fp_ieee_div_zero 0
		.amdhsa_exception_fp_ieee_overflow 0
		.amdhsa_exception_fp_ieee_underflow 0
		.amdhsa_exception_fp_ieee_inexact 0
		.amdhsa_exception_int_div_zero 0
	.end_amdhsa_kernel
	.section	.text._ZN7rocprim17ROCPRIM_400000_NS6detail17trampoline_kernelINS0_14default_configENS1_37merge_sort_block_sort_config_selectorIcNS0_10empty_typeEEEZNS1_21merge_sort_block_sortIS3_N6thrust23THRUST_200600_302600_NS6detail15normal_iteratorINS9_10device_ptrIcEEEESE_PS5_SF_14custom_greaterIcEEE10hipError_tT0_T1_T2_T3_mRjT4_P12ihipStream_tbNS1_7vsmem_tEEUlT_E_NS1_11comp_targetILNS1_3genE10ELNS1_11target_archE1200ELNS1_3gpuE4ELNS1_3repE0EEENS1_30default_config_static_selectorELNS0_4arch9wavefront6targetE1EEEvSK_,"axG",@progbits,_ZN7rocprim17ROCPRIM_400000_NS6detail17trampoline_kernelINS0_14default_configENS1_37merge_sort_block_sort_config_selectorIcNS0_10empty_typeEEEZNS1_21merge_sort_block_sortIS3_N6thrust23THRUST_200600_302600_NS6detail15normal_iteratorINS9_10device_ptrIcEEEESE_PS5_SF_14custom_greaterIcEEE10hipError_tT0_T1_T2_T3_mRjT4_P12ihipStream_tbNS1_7vsmem_tEEUlT_E_NS1_11comp_targetILNS1_3genE10ELNS1_11target_archE1200ELNS1_3gpuE4ELNS1_3repE0EEENS1_30default_config_static_selectorELNS0_4arch9wavefront6targetE1EEEvSK_,comdat
.Lfunc_end2706:
	.size	_ZN7rocprim17ROCPRIM_400000_NS6detail17trampoline_kernelINS0_14default_configENS1_37merge_sort_block_sort_config_selectorIcNS0_10empty_typeEEEZNS1_21merge_sort_block_sortIS3_N6thrust23THRUST_200600_302600_NS6detail15normal_iteratorINS9_10device_ptrIcEEEESE_PS5_SF_14custom_greaterIcEEE10hipError_tT0_T1_T2_T3_mRjT4_P12ihipStream_tbNS1_7vsmem_tEEUlT_E_NS1_11comp_targetILNS1_3genE10ELNS1_11target_archE1200ELNS1_3gpuE4ELNS1_3repE0EEENS1_30default_config_static_selectorELNS0_4arch9wavefront6targetE1EEEvSK_, .Lfunc_end2706-_ZN7rocprim17ROCPRIM_400000_NS6detail17trampoline_kernelINS0_14default_configENS1_37merge_sort_block_sort_config_selectorIcNS0_10empty_typeEEEZNS1_21merge_sort_block_sortIS3_N6thrust23THRUST_200600_302600_NS6detail15normal_iteratorINS9_10device_ptrIcEEEESE_PS5_SF_14custom_greaterIcEEE10hipError_tT0_T1_T2_T3_mRjT4_P12ihipStream_tbNS1_7vsmem_tEEUlT_E_NS1_11comp_targetILNS1_3genE10ELNS1_11target_archE1200ELNS1_3gpuE4ELNS1_3repE0EEENS1_30default_config_static_selectorELNS0_4arch9wavefront6targetE1EEEvSK_
                                        ; -- End function
	.section	.AMDGPU.csdata,"",@progbits
; Kernel info:
; codeLenInByte = 0
; NumSgprs: 4
; NumVgprs: 0
; NumAgprs: 0
; TotalNumVgprs: 0
; ScratchSize: 0
; MemoryBound: 0
; FloatMode: 240
; IeeeMode: 1
; LDSByteSize: 0 bytes/workgroup (compile time only)
; SGPRBlocks: 0
; VGPRBlocks: 0
; NumSGPRsForWavesPerEU: 4
; NumVGPRsForWavesPerEU: 1
; AccumOffset: 4
; Occupancy: 8
; WaveLimiterHint : 0
; COMPUTE_PGM_RSRC2:SCRATCH_EN: 0
; COMPUTE_PGM_RSRC2:USER_SGPR: 6
; COMPUTE_PGM_RSRC2:TRAP_HANDLER: 0
; COMPUTE_PGM_RSRC2:TGID_X_EN: 1
; COMPUTE_PGM_RSRC2:TGID_Y_EN: 0
; COMPUTE_PGM_RSRC2:TGID_Z_EN: 0
; COMPUTE_PGM_RSRC2:TIDIG_COMP_CNT: 0
; COMPUTE_PGM_RSRC3_GFX90A:ACCUM_OFFSET: 0
; COMPUTE_PGM_RSRC3_GFX90A:TG_SPLIT: 0
	.section	.text._ZN7rocprim17ROCPRIM_400000_NS6detail17trampoline_kernelINS0_14default_configENS1_37merge_sort_block_sort_config_selectorIcNS0_10empty_typeEEEZNS1_21merge_sort_block_sortIS3_N6thrust23THRUST_200600_302600_NS6detail15normal_iteratorINS9_10device_ptrIcEEEESE_PS5_SF_14custom_greaterIcEEE10hipError_tT0_T1_T2_T3_mRjT4_P12ihipStream_tbNS1_7vsmem_tEEUlT_E_NS1_11comp_targetILNS1_3genE9ELNS1_11target_archE1100ELNS1_3gpuE3ELNS1_3repE0EEENS1_30default_config_static_selectorELNS0_4arch9wavefront6targetE1EEEvSK_,"axG",@progbits,_ZN7rocprim17ROCPRIM_400000_NS6detail17trampoline_kernelINS0_14default_configENS1_37merge_sort_block_sort_config_selectorIcNS0_10empty_typeEEEZNS1_21merge_sort_block_sortIS3_N6thrust23THRUST_200600_302600_NS6detail15normal_iteratorINS9_10device_ptrIcEEEESE_PS5_SF_14custom_greaterIcEEE10hipError_tT0_T1_T2_T3_mRjT4_P12ihipStream_tbNS1_7vsmem_tEEUlT_E_NS1_11comp_targetILNS1_3genE9ELNS1_11target_archE1100ELNS1_3gpuE3ELNS1_3repE0EEENS1_30default_config_static_selectorELNS0_4arch9wavefront6targetE1EEEvSK_,comdat
	.protected	_ZN7rocprim17ROCPRIM_400000_NS6detail17trampoline_kernelINS0_14default_configENS1_37merge_sort_block_sort_config_selectorIcNS0_10empty_typeEEEZNS1_21merge_sort_block_sortIS3_N6thrust23THRUST_200600_302600_NS6detail15normal_iteratorINS9_10device_ptrIcEEEESE_PS5_SF_14custom_greaterIcEEE10hipError_tT0_T1_T2_T3_mRjT4_P12ihipStream_tbNS1_7vsmem_tEEUlT_E_NS1_11comp_targetILNS1_3genE9ELNS1_11target_archE1100ELNS1_3gpuE3ELNS1_3repE0EEENS1_30default_config_static_selectorELNS0_4arch9wavefront6targetE1EEEvSK_ ; -- Begin function _ZN7rocprim17ROCPRIM_400000_NS6detail17trampoline_kernelINS0_14default_configENS1_37merge_sort_block_sort_config_selectorIcNS0_10empty_typeEEEZNS1_21merge_sort_block_sortIS3_N6thrust23THRUST_200600_302600_NS6detail15normal_iteratorINS9_10device_ptrIcEEEESE_PS5_SF_14custom_greaterIcEEE10hipError_tT0_T1_T2_T3_mRjT4_P12ihipStream_tbNS1_7vsmem_tEEUlT_E_NS1_11comp_targetILNS1_3genE9ELNS1_11target_archE1100ELNS1_3gpuE3ELNS1_3repE0EEENS1_30default_config_static_selectorELNS0_4arch9wavefront6targetE1EEEvSK_
	.globl	_ZN7rocprim17ROCPRIM_400000_NS6detail17trampoline_kernelINS0_14default_configENS1_37merge_sort_block_sort_config_selectorIcNS0_10empty_typeEEEZNS1_21merge_sort_block_sortIS3_N6thrust23THRUST_200600_302600_NS6detail15normal_iteratorINS9_10device_ptrIcEEEESE_PS5_SF_14custom_greaterIcEEE10hipError_tT0_T1_T2_T3_mRjT4_P12ihipStream_tbNS1_7vsmem_tEEUlT_E_NS1_11comp_targetILNS1_3genE9ELNS1_11target_archE1100ELNS1_3gpuE3ELNS1_3repE0EEENS1_30default_config_static_selectorELNS0_4arch9wavefront6targetE1EEEvSK_
	.p2align	8
	.type	_ZN7rocprim17ROCPRIM_400000_NS6detail17trampoline_kernelINS0_14default_configENS1_37merge_sort_block_sort_config_selectorIcNS0_10empty_typeEEEZNS1_21merge_sort_block_sortIS3_N6thrust23THRUST_200600_302600_NS6detail15normal_iteratorINS9_10device_ptrIcEEEESE_PS5_SF_14custom_greaterIcEEE10hipError_tT0_T1_T2_T3_mRjT4_P12ihipStream_tbNS1_7vsmem_tEEUlT_E_NS1_11comp_targetILNS1_3genE9ELNS1_11target_archE1100ELNS1_3gpuE3ELNS1_3repE0EEENS1_30default_config_static_selectorELNS0_4arch9wavefront6targetE1EEEvSK_,@function
_ZN7rocprim17ROCPRIM_400000_NS6detail17trampoline_kernelINS0_14default_configENS1_37merge_sort_block_sort_config_selectorIcNS0_10empty_typeEEEZNS1_21merge_sort_block_sortIS3_N6thrust23THRUST_200600_302600_NS6detail15normal_iteratorINS9_10device_ptrIcEEEESE_PS5_SF_14custom_greaterIcEEE10hipError_tT0_T1_T2_T3_mRjT4_P12ihipStream_tbNS1_7vsmem_tEEUlT_E_NS1_11comp_targetILNS1_3genE9ELNS1_11target_archE1100ELNS1_3gpuE3ELNS1_3repE0EEENS1_30default_config_static_selectorELNS0_4arch9wavefront6targetE1EEEvSK_: ; @_ZN7rocprim17ROCPRIM_400000_NS6detail17trampoline_kernelINS0_14default_configENS1_37merge_sort_block_sort_config_selectorIcNS0_10empty_typeEEEZNS1_21merge_sort_block_sortIS3_N6thrust23THRUST_200600_302600_NS6detail15normal_iteratorINS9_10device_ptrIcEEEESE_PS5_SF_14custom_greaterIcEEE10hipError_tT0_T1_T2_T3_mRjT4_P12ihipStream_tbNS1_7vsmem_tEEUlT_E_NS1_11comp_targetILNS1_3genE9ELNS1_11target_archE1100ELNS1_3gpuE3ELNS1_3repE0EEENS1_30default_config_static_selectorELNS0_4arch9wavefront6targetE1EEEvSK_
; %bb.0:
	.section	.rodata,"a",@progbits
	.p2align	6, 0x0
	.amdhsa_kernel _ZN7rocprim17ROCPRIM_400000_NS6detail17trampoline_kernelINS0_14default_configENS1_37merge_sort_block_sort_config_selectorIcNS0_10empty_typeEEEZNS1_21merge_sort_block_sortIS3_N6thrust23THRUST_200600_302600_NS6detail15normal_iteratorINS9_10device_ptrIcEEEESE_PS5_SF_14custom_greaterIcEEE10hipError_tT0_T1_T2_T3_mRjT4_P12ihipStream_tbNS1_7vsmem_tEEUlT_E_NS1_11comp_targetILNS1_3genE9ELNS1_11target_archE1100ELNS1_3gpuE3ELNS1_3repE0EEENS1_30default_config_static_selectorELNS0_4arch9wavefront6targetE1EEEvSK_
		.amdhsa_group_segment_fixed_size 0
		.amdhsa_private_segment_fixed_size 0
		.amdhsa_kernarg_size 64
		.amdhsa_user_sgpr_count 6
		.amdhsa_user_sgpr_private_segment_buffer 1
		.amdhsa_user_sgpr_dispatch_ptr 0
		.amdhsa_user_sgpr_queue_ptr 0
		.amdhsa_user_sgpr_kernarg_segment_ptr 1
		.amdhsa_user_sgpr_dispatch_id 0
		.amdhsa_user_sgpr_flat_scratch_init 0
		.amdhsa_user_sgpr_kernarg_preload_length 0
		.amdhsa_user_sgpr_kernarg_preload_offset 0
		.amdhsa_user_sgpr_private_segment_size 0
		.amdhsa_uses_dynamic_stack 0
		.amdhsa_system_sgpr_private_segment_wavefront_offset 0
		.amdhsa_system_sgpr_workgroup_id_x 1
		.amdhsa_system_sgpr_workgroup_id_y 0
		.amdhsa_system_sgpr_workgroup_id_z 0
		.amdhsa_system_sgpr_workgroup_info 0
		.amdhsa_system_vgpr_workitem_id 0
		.amdhsa_next_free_vgpr 1
		.amdhsa_next_free_sgpr 0
		.amdhsa_accum_offset 4
		.amdhsa_reserve_vcc 0
		.amdhsa_reserve_flat_scratch 0
		.amdhsa_float_round_mode_32 0
		.amdhsa_float_round_mode_16_64 0
		.amdhsa_float_denorm_mode_32 3
		.amdhsa_float_denorm_mode_16_64 3
		.amdhsa_dx10_clamp 1
		.amdhsa_ieee_mode 1
		.amdhsa_fp16_overflow 0
		.amdhsa_tg_split 0
		.amdhsa_exception_fp_ieee_invalid_op 0
		.amdhsa_exception_fp_denorm_src 0
		.amdhsa_exception_fp_ieee_div_zero 0
		.amdhsa_exception_fp_ieee_overflow 0
		.amdhsa_exception_fp_ieee_underflow 0
		.amdhsa_exception_fp_ieee_inexact 0
		.amdhsa_exception_int_div_zero 0
	.end_amdhsa_kernel
	.section	.text._ZN7rocprim17ROCPRIM_400000_NS6detail17trampoline_kernelINS0_14default_configENS1_37merge_sort_block_sort_config_selectorIcNS0_10empty_typeEEEZNS1_21merge_sort_block_sortIS3_N6thrust23THRUST_200600_302600_NS6detail15normal_iteratorINS9_10device_ptrIcEEEESE_PS5_SF_14custom_greaterIcEEE10hipError_tT0_T1_T2_T3_mRjT4_P12ihipStream_tbNS1_7vsmem_tEEUlT_E_NS1_11comp_targetILNS1_3genE9ELNS1_11target_archE1100ELNS1_3gpuE3ELNS1_3repE0EEENS1_30default_config_static_selectorELNS0_4arch9wavefront6targetE1EEEvSK_,"axG",@progbits,_ZN7rocprim17ROCPRIM_400000_NS6detail17trampoline_kernelINS0_14default_configENS1_37merge_sort_block_sort_config_selectorIcNS0_10empty_typeEEEZNS1_21merge_sort_block_sortIS3_N6thrust23THRUST_200600_302600_NS6detail15normal_iteratorINS9_10device_ptrIcEEEESE_PS5_SF_14custom_greaterIcEEE10hipError_tT0_T1_T2_T3_mRjT4_P12ihipStream_tbNS1_7vsmem_tEEUlT_E_NS1_11comp_targetILNS1_3genE9ELNS1_11target_archE1100ELNS1_3gpuE3ELNS1_3repE0EEENS1_30default_config_static_selectorELNS0_4arch9wavefront6targetE1EEEvSK_,comdat
.Lfunc_end2707:
	.size	_ZN7rocprim17ROCPRIM_400000_NS6detail17trampoline_kernelINS0_14default_configENS1_37merge_sort_block_sort_config_selectorIcNS0_10empty_typeEEEZNS1_21merge_sort_block_sortIS3_N6thrust23THRUST_200600_302600_NS6detail15normal_iteratorINS9_10device_ptrIcEEEESE_PS5_SF_14custom_greaterIcEEE10hipError_tT0_T1_T2_T3_mRjT4_P12ihipStream_tbNS1_7vsmem_tEEUlT_E_NS1_11comp_targetILNS1_3genE9ELNS1_11target_archE1100ELNS1_3gpuE3ELNS1_3repE0EEENS1_30default_config_static_selectorELNS0_4arch9wavefront6targetE1EEEvSK_, .Lfunc_end2707-_ZN7rocprim17ROCPRIM_400000_NS6detail17trampoline_kernelINS0_14default_configENS1_37merge_sort_block_sort_config_selectorIcNS0_10empty_typeEEEZNS1_21merge_sort_block_sortIS3_N6thrust23THRUST_200600_302600_NS6detail15normal_iteratorINS9_10device_ptrIcEEEESE_PS5_SF_14custom_greaterIcEEE10hipError_tT0_T1_T2_T3_mRjT4_P12ihipStream_tbNS1_7vsmem_tEEUlT_E_NS1_11comp_targetILNS1_3genE9ELNS1_11target_archE1100ELNS1_3gpuE3ELNS1_3repE0EEENS1_30default_config_static_selectorELNS0_4arch9wavefront6targetE1EEEvSK_
                                        ; -- End function
	.section	.AMDGPU.csdata,"",@progbits
; Kernel info:
; codeLenInByte = 0
; NumSgprs: 4
; NumVgprs: 0
; NumAgprs: 0
; TotalNumVgprs: 0
; ScratchSize: 0
; MemoryBound: 0
; FloatMode: 240
; IeeeMode: 1
; LDSByteSize: 0 bytes/workgroup (compile time only)
; SGPRBlocks: 0
; VGPRBlocks: 0
; NumSGPRsForWavesPerEU: 4
; NumVGPRsForWavesPerEU: 1
; AccumOffset: 4
; Occupancy: 8
; WaveLimiterHint : 0
; COMPUTE_PGM_RSRC2:SCRATCH_EN: 0
; COMPUTE_PGM_RSRC2:USER_SGPR: 6
; COMPUTE_PGM_RSRC2:TRAP_HANDLER: 0
; COMPUTE_PGM_RSRC2:TGID_X_EN: 1
; COMPUTE_PGM_RSRC2:TGID_Y_EN: 0
; COMPUTE_PGM_RSRC2:TGID_Z_EN: 0
; COMPUTE_PGM_RSRC2:TIDIG_COMP_CNT: 0
; COMPUTE_PGM_RSRC3_GFX90A:ACCUM_OFFSET: 0
; COMPUTE_PGM_RSRC3_GFX90A:TG_SPLIT: 0
	.section	.text._ZN7rocprim17ROCPRIM_400000_NS6detail17trampoline_kernelINS0_14default_configENS1_37merge_sort_block_sort_config_selectorIcNS0_10empty_typeEEEZNS1_21merge_sort_block_sortIS3_N6thrust23THRUST_200600_302600_NS6detail15normal_iteratorINS9_10device_ptrIcEEEESE_PS5_SF_14custom_greaterIcEEE10hipError_tT0_T1_T2_T3_mRjT4_P12ihipStream_tbNS1_7vsmem_tEEUlT_E_NS1_11comp_targetILNS1_3genE8ELNS1_11target_archE1030ELNS1_3gpuE2ELNS1_3repE0EEENS1_30default_config_static_selectorELNS0_4arch9wavefront6targetE1EEEvSK_,"axG",@progbits,_ZN7rocprim17ROCPRIM_400000_NS6detail17trampoline_kernelINS0_14default_configENS1_37merge_sort_block_sort_config_selectorIcNS0_10empty_typeEEEZNS1_21merge_sort_block_sortIS3_N6thrust23THRUST_200600_302600_NS6detail15normal_iteratorINS9_10device_ptrIcEEEESE_PS5_SF_14custom_greaterIcEEE10hipError_tT0_T1_T2_T3_mRjT4_P12ihipStream_tbNS1_7vsmem_tEEUlT_E_NS1_11comp_targetILNS1_3genE8ELNS1_11target_archE1030ELNS1_3gpuE2ELNS1_3repE0EEENS1_30default_config_static_selectorELNS0_4arch9wavefront6targetE1EEEvSK_,comdat
	.protected	_ZN7rocprim17ROCPRIM_400000_NS6detail17trampoline_kernelINS0_14default_configENS1_37merge_sort_block_sort_config_selectorIcNS0_10empty_typeEEEZNS1_21merge_sort_block_sortIS3_N6thrust23THRUST_200600_302600_NS6detail15normal_iteratorINS9_10device_ptrIcEEEESE_PS5_SF_14custom_greaterIcEEE10hipError_tT0_T1_T2_T3_mRjT4_P12ihipStream_tbNS1_7vsmem_tEEUlT_E_NS1_11comp_targetILNS1_3genE8ELNS1_11target_archE1030ELNS1_3gpuE2ELNS1_3repE0EEENS1_30default_config_static_selectorELNS0_4arch9wavefront6targetE1EEEvSK_ ; -- Begin function _ZN7rocprim17ROCPRIM_400000_NS6detail17trampoline_kernelINS0_14default_configENS1_37merge_sort_block_sort_config_selectorIcNS0_10empty_typeEEEZNS1_21merge_sort_block_sortIS3_N6thrust23THRUST_200600_302600_NS6detail15normal_iteratorINS9_10device_ptrIcEEEESE_PS5_SF_14custom_greaterIcEEE10hipError_tT0_T1_T2_T3_mRjT4_P12ihipStream_tbNS1_7vsmem_tEEUlT_E_NS1_11comp_targetILNS1_3genE8ELNS1_11target_archE1030ELNS1_3gpuE2ELNS1_3repE0EEENS1_30default_config_static_selectorELNS0_4arch9wavefront6targetE1EEEvSK_
	.globl	_ZN7rocprim17ROCPRIM_400000_NS6detail17trampoline_kernelINS0_14default_configENS1_37merge_sort_block_sort_config_selectorIcNS0_10empty_typeEEEZNS1_21merge_sort_block_sortIS3_N6thrust23THRUST_200600_302600_NS6detail15normal_iteratorINS9_10device_ptrIcEEEESE_PS5_SF_14custom_greaterIcEEE10hipError_tT0_T1_T2_T3_mRjT4_P12ihipStream_tbNS1_7vsmem_tEEUlT_E_NS1_11comp_targetILNS1_3genE8ELNS1_11target_archE1030ELNS1_3gpuE2ELNS1_3repE0EEENS1_30default_config_static_selectorELNS0_4arch9wavefront6targetE1EEEvSK_
	.p2align	8
	.type	_ZN7rocprim17ROCPRIM_400000_NS6detail17trampoline_kernelINS0_14default_configENS1_37merge_sort_block_sort_config_selectorIcNS0_10empty_typeEEEZNS1_21merge_sort_block_sortIS3_N6thrust23THRUST_200600_302600_NS6detail15normal_iteratorINS9_10device_ptrIcEEEESE_PS5_SF_14custom_greaterIcEEE10hipError_tT0_T1_T2_T3_mRjT4_P12ihipStream_tbNS1_7vsmem_tEEUlT_E_NS1_11comp_targetILNS1_3genE8ELNS1_11target_archE1030ELNS1_3gpuE2ELNS1_3repE0EEENS1_30default_config_static_selectorELNS0_4arch9wavefront6targetE1EEEvSK_,@function
_ZN7rocprim17ROCPRIM_400000_NS6detail17trampoline_kernelINS0_14default_configENS1_37merge_sort_block_sort_config_selectorIcNS0_10empty_typeEEEZNS1_21merge_sort_block_sortIS3_N6thrust23THRUST_200600_302600_NS6detail15normal_iteratorINS9_10device_ptrIcEEEESE_PS5_SF_14custom_greaterIcEEE10hipError_tT0_T1_T2_T3_mRjT4_P12ihipStream_tbNS1_7vsmem_tEEUlT_E_NS1_11comp_targetILNS1_3genE8ELNS1_11target_archE1030ELNS1_3gpuE2ELNS1_3repE0EEENS1_30default_config_static_selectorELNS0_4arch9wavefront6targetE1EEEvSK_: ; @_ZN7rocprim17ROCPRIM_400000_NS6detail17trampoline_kernelINS0_14default_configENS1_37merge_sort_block_sort_config_selectorIcNS0_10empty_typeEEEZNS1_21merge_sort_block_sortIS3_N6thrust23THRUST_200600_302600_NS6detail15normal_iteratorINS9_10device_ptrIcEEEESE_PS5_SF_14custom_greaterIcEEE10hipError_tT0_T1_T2_T3_mRjT4_P12ihipStream_tbNS1_7vsmem_tEEUlT_E_NS1_11comp_targetILNS1_3genE8ELNS1_11target_archE1030ELNS1_3gpuE2ELNS1_3repE0EEENS1_30default_config_static_selectorELNS0_4arch9wavefront6targetE1EEEvSK_
; %bb.0:
	.section	.rodata,"a",@progbits
	.p2align	6, 0x0
	.amdhsa_kernel _ZN7rocprim17ROCPRIM_400000_NS6detail17trampoline_kernelINS0_14default_configENS1_37merge_sort_block_sort_config_selectorIcNS0_10empty_typeEEEZNS1_21merge_sort_block_sortIS3_N6thrust23THRUST_200600_302600_NS6detail15normal_iteratorINS9_10device_ptrIcEEEESE_PS5_SF_14custom_greaterIcEEE10hipError_tT0_T1_T2_T3_mRjT4_P12ihipStream_tbNS1_7vsmem_tEEUlT_E_NS1_11comp_targetILNS1_3genE8ELNS1_11target_archE1030ELNS1_3gpuE2ELNS1_3repE0EEENS1_30default_config_static_selectorELNS0_4arch9wavefront6targetE1EEEvSK_
		.amdhsa_group_segment_fixed_size 0
		.amdhsa_private_segment_fixed_size 0
		.amdhsa_kernarg_size 64
		.amdhsa_user_sgpr_count 6
		.amdhsa_user_sgpr_private_segment_buffer 1
		.amdhsa_user_sgpr_dispatch_ptr 0
		.amdhsa_user_sgpr_queue_ptr 0
		.amdhsa_user_sgpr_kernarg_segment_ptr 1
		.amdhsa_user_sgpr_dispatch_id 0
		.amdhsa_user_sgpr_flat_scratch_init 0
		.amdhsa_user_sgpr_kernarg_preload_length 0
		.amdhsa_user_sgpr_kernarg_preload_offset 0
		.amdhsa_user_sgpr_private_segment_size 0
		.amdhsa_uses_dynamic_stack 0
		.amdhsa_system_sgpr_private_segment_wavefront_offset 0
		.amdhsa_system_sgpr_workgroup_id_x 1
		.amdhsa_system_sgpr_workgroup_id_y 0
		.amdhsa_system_sgpr_workgroup_id_z 0
		.amdhsa_system_sgpr_workgroup_info 0
		.amdhsa_system_vgpr_workitem_id 0
		.amdhsa_next_free_vgpr 1
		.amdhsa_next_free_sgpr 0
		.amdhsa_accum_offset 4
		.amdhsa_reserve_vcc 0
		.amdhsa_reserve_flat_scratch 0
		.amdhsa_float_round_mode_32 0
		.amdhsa_float_round_mode_16_64 0
		.amdhsa_float_denorm_mode_32 3
		.amdhsa_float_denorm_mode_16_64 3
		.amdhsa_dx10_clamp 1
		.amdhsa_ieee_mode 1
		.amdhsa_fp16_overflow 0
		.amdhsa_tg_split 0
		.amdhsa_exception_fp_ieee_invalid_op 0
		.amdhsa_exception_fp_denorm_src 0
		.amdhsa_exception_fp_ieee_div_zero 0
		.amdhsa_exception_fp_ieee_overflow 0
		.amdhsa_exception_fp_ieee_underflow 0
		.amdhsa_exception_fp_ieee_inexact 0
		.amdhsa_exception_int_div_zero 0
	.end_amdhsa_kernel
	.section	.text._ZN7rocprim17ROCPRIM_400000_NS6detail17trampoline_kernelINS0_14default_configENS1_37merge_sort_block_sort_config_selectorIcNS0_10empty_typeEEEZNS1_21merge_sort_block_sortIS3_N6thrust23THRUST_200600_302600_NS6detail15normal_iteratorINS9_10device_ptrIcEEEESE_PS5_SF_14custom_greaterIcEEE10hipError_tT0_T1_T2_T3_mRjT4_P12ihipStream_tbNS1_7vsmem_tEEUlT_E_NS1_11comp_targetILNS1_3genE8ELNS1_11target_archE1030ELNS1_3gpuE2ELNS1_3repE0EEENS1_30default_config_static_selectorELNS0_4arch9wavefront6targetE1EEEvSK_,"axG",@progbits,_ZN7rocprim17ROCPRIM_400000_NS6detail17trampoline_kernelINS0_14default_configENS1_37merge_sort_block_sort_config_selectorIcNS0_10empty_typeEEEZNS1_21merge_sort_block_sortIS3_N6thrust23THRUST_200600_302600_NS6detail15normal_iteratorINS9_10device_ptrIcEEEESE_PS5_SF_14custom_greaterIcEEE10hipError_tT0_T1_T2_T3_mRjT4_P12ihipStream_tbNS1_7vsmem_tEEUlT_E_NS1_11comp_targetILNS1_3genE8ELNS1_11target_archE1030ELNS1_3gpuE2ELNS1_3repE0EEENS1_30default_config_static_selectorELNS0_4arch9wavefront6targetE1EEEvSK_,comdat
.Lfunc_end2708:
	.size	_ZN7rocprim17ROCPRIM_400000_NS6detail17trampoline_kernelINS0_14default_configENS1_37merge_sort_block_sort_config_selectorIcNS0_10empty_typeEEEZNS1_21merge_sort_block_sortIS3_N6thrust23THRUST_200600_302600_NS6detail15normal_iteratorINS9_10device_ptrIcEEEESE_PS5_SF_14custom_greaterIcEEE10hipError_tT0_T1_T2_T3_mRjT4_P12ihipStream_tbNS1_7vsmem_tEEUlT_E_NS1_11comp_targetILNS1_3genE8ELNS1_11target_archE1030ELNS1_3gpuE2ELNS1_3repE0EEENS1_30default_config_static_selectorELNS0_4arch9wavefront6targetE1EEEvSK_, .Lfunc_end2708-_ZN7rocprim17ROCPRIM_400000_NS6detail17trampoline_kernelINS0_14default_configENS1_37merge_sort_block_sort_config_selectorIcNS0_10empty_typeEEEZNS1_21merge_sort_block_sortIS3_N6thrust23THRUST_200600_302600_NS6detail15normal_iteratorINS9_10device_ptrIcEEEESE_PS5_SF_14custom_greaterIcEEE10hipError_tT0_T1_T2_T3_mRjT4_P12ihipStream_tbNS1_7vsmem_tEEUlT_E_NS1_11comp_targetILNS1_3genE8ELNS1_11target_archE1030ELNS1_3gpuE2ELNS1_3repE0EEENS1_30default_config_static_selectorELNS0_4arch9wavefront6targetE1EEEvSK_
                                        ; -- End function
	.section	.AMDGPU.csdata,"",@progbits
; Kernel info:
; codeLenInByte = 0
; NumSgprs: 4
; NumVgprs: 0
; NumAgprs: 0
; TotalNumVgprs: 0
; ScratchSize: 0
; MemoryBound: 0
; FloatMode: 240
; IeeeMode: 1
; LDSByteSize: 0 bytes/workgroup (compile time only)
; SGPRBlocks: 0
; VGPRBlocks: 0
; NumSGPRsForWavesPerEU: 4
; NumVGPRsForWavesPerEU: 1
; AccumOffset: 4
; Occupancy: 8
; WaveLimiterHint : 0
; COMPUTE_PGM_RSRC2:SCRATCH_EN: 0
; COMPUTE_PGM_RSRC2:USER_SGPR: 6
; COMPUTE_PGM_RSRC2:TRAP_HANDLER: 0
; COMPUTE_PGM_RSRC2:TGID_X_EN: 1
; COMPUTE_PGM_RSRC2:TGID_Y_EN: 0
; COMPUTE_PGM_RSRC2:TGID_Z_EN: 0
; COMPUTE_PGM_RSRC2:TIDIG_COMP_CNT: 0
; COMPUTE_PGM_RSRC3_GFX90A:ACCUM_OFFSET: 0
; COMPUTE_PGM_RSRC3_GFX90A:TG_SPLIT: 0
	.section	.text._ZN7rocprim17ROCPRIM_400000_NS6detail17trampoline_kernelINS0_14default_configENS1_38merge_sort_block_merge_config_selectorIcNS0_10empty_typeEEEZZNS1_27merge_sort_block_merge_implIS3_N6thrust23THRUST_200600_302600_NS6detail15normal_iteratorINS9_10device_ptrIcEEEEPS5_m14custom_greaterIcEEE10hipError_tT0_T1_T2_jT3_P12ihipStream_tbPNSt15iterator_traitsISJ_E10value_typeEPNSP_ISK_E10value_typeEPSL_NS1_7vsmem_tEENKUlT_SJ_SK_SL_E_clIPcSE_SF_SF_EESI_SY_SJ_SK_SL_EUlSY_E_NS1_11comp_targetILNS1_3genE0ELNS1_11target_archE4294967295ELNS1_3gpuE0ELNS1_3repE0EEENS1_48merge_mergepath_partition_config_static_selectorELNS0_4arch9wavefront6targetE1EEEvSK_,"axG",@progbits,_ZN7rocprim17ROCPRIM_400000_NS6detail17trampoline_kernelINS0_14default_configENS1_38merge_sort_block_merge_config_selectorIcNS0_10empty_typeEEEZZNS1_27merge_sort_block_merge_implIS3_N6thrust23THRUST_200600_302600_NS6detail15normal_iteratorINS9_10device_ptrIcEEEEPS5_m14custom_greaterIcEEE10hipError_tT0_T1_T2_jT3_P12ihipStream_tbPNSt15iterator_traitsISJ_E10value_typeEPNSP_ISK_E10value_typeEPSL_NS1_7vsmem_tEENKUlT_SJ_SK_SL_E_clIPcSE_SF_SF_EESI_SY_SJ_SK_SL_EUlSY_E_NS1_11comp_targetILNS1_3genE0ELNS1_11target_archE4294967295ELNS1_3gpuE0ELNS1_3repE0EEENS1_48merge_mergepath_partition_config_static_selectorELNS0_4arch9wavefront6targetE1EEEvSK_,comdat
	.protected	_ZN7rocprim17ROCPRIM_400000_NS6detail17trampoline_kernelINS0_14default_configENS1_38merge_sort_block_merge_config_selectorIcNS0_10empty_typeEEEZZNS1_27merge_sort_block_merge_implIS3_N6thrust23THRUST_200600_302600_NS6detail15normal_iteratorINS9_10device_ptrIcEEEEPS5_m14custom_greaterIcEEE10hipError_tT0_T1_T2_jT3_P12ihipStream_tbPNSt15iterator_traitsISJ_E10value_typeEPNSP_ISK_E10value_typeEPSL_NS1_7vsmem_tEENKUlT_SJ_SK_SL_E_clIPcSE_SF_SF_EESI_SY_SJ_SK_SL_EUlSY_E_NS1_11comp_targetILNS1_3genE0ELNS1_11target_archE4294967295ELNS1_3gpuE0ELNS1_3repE0EEENS1_48merge_mergepath_partition_config_static_selectorELNS0_4arch9wavefront6targetE1EEEvSK_ ; -- Begin function _ZN7rocprim17ROCPRIM_400000_NS6detail17trampoline_kernelINS0_14default_configENS1_38merge_sort_block_merge_config_selectorIcNS0_10empty_typeEEEZZNS1_27merge_sort_block_merge_implIS3_N6thrust23THRUST_200600_302600_NS6detail15normal_iteratorINS9_10device_ptrIcEEEEPS5_m14custom_greaterIcEEE10hipError_tT0_T1_T2_jT3_P12ihipStream_tbPNSt15iterator_traitsISJ_E10value_typeEPNSP_ISK_E10value_typeEPSL_NS1_7vsmem_tEENKUlT_SJ_SK_SL_E_clIPcSE_SF_SF_EESI_SY_SJ_SK_SL_EUlSY_E_NS1_11comp_targetILNS1_3genE0ELNS1_11target_archE4294967295ELNS1_3gpuE0ELNS1_3repE0EEENS1_48merge_mergepath_partition_config_static_selectorELNS0_4arch9wavefront6targetE1EEEvSK_
	.globl	_ZN7rocprim17ROCPRIM_400000_NS6detail17trampoline_kernelINS0_14default_configENS1_38merge_sort_block_merge_config_selectorIcNS0_10empty_typeEEEZZNS1_27merge_sort_block_merge_implIS3_N6thrust23THRUST_200600_302600_NS6detail15normal_iteratorINS9_10device_ptrIcEEEEPS5_m14custom_greaterIcEEE10hipError_tT0_T1_T2_jT3_P12ihipStream_tbPNSt15iterator_traitsISJ_E10value_typeEPNSP_ISK_E10value_typeEPSL_NS1_7vsmem_tEENKUlT_SJ_SK_SL_E_clIPcSE_SF_SF_EESI_SY_SJ_SK_SL_EUlSY_E_NS1_11comp_targetILNS1_3genE0ELNS1_11target_archE4294967295ELNS1_3gpuE0ELNS1_3repE0EEENS1_48merge_mergepath_partition_config_static_selectorELNS0_4arch9wavefront6targetE1EEEvSK_
	.p2align	8
	.type	_ZN7rocprim17ROCPRIM_400000_NS6detail17trampoline_kernelINS0_14default_configENS1_38merge_sort_block_merge_config_selectorIcNS0_10empty_typeEEEZZNS1_27merge_sort_block_merge_implIS3_N6thrust23THRUST_200600_302600_NS6detail15normal_iteratorINS9_10device_ptrIcEEEEPS5_m14custom_greaterIcEEE10hipError_tT0_T1_T2_jT3_P12ihipStream_tbPNSt15iterator_traitsISJ_E10value_typeEPNSP_ISK_E10value_typeEPSL_NS1_7vsmem_tEENKUlT_SJ_SK_SL_E_clIPcSE_SF_SF_EESI_SY_SJ_SK_SL_EUlSY_E_NS1_11comp_targetILNS1_3genE0ELNS1_11target_archE4294967295ELNS1_3gpuE0ELNS1_3repE0EEENS1_48merge_mergepath_partition_config_static_selectorELNS0_4arch9wavefront6targetE1EEEvSK_,@function
_ZN7rocprim17ROCPRIM_400000_NS6detail17trampoline_kernelINS0_14default_configENS1_38merge_sort_block_merge_config_selectorIcNS0_10empty_typeEEEZZNS1_27merge_sort_block_merge_implIS3_N6thrust23THRUST_200600_302600_NS6detail15normal_iteratorINS9_10device_ptrIcEEEEPS5_m14custom_greaterIcEEE10hipError_tT0_T1_T2_jT3_P12ihipStream_tbPNSt15iterator_traitsISJ_E10value_typeEPNSP_ISK_E10value_typeEPSL_NS1_7vsmem_tEENKUlT_SJ_SK_SL_E_clIPcSE_SF_SF_EESI_SY_SJ_SK_SL_EUlSY_E_NS1_11comp_targetILNS1_3genE0ELNS1_11target_archE4294967295ELNS1_3gpuE0ELNS1_3repE0EEENS1_48merge_mergepath_partition_config_static_selectorELNS0_4arch9wavefront6targetE1EEEvSK_: ; @_ZN7rocprim17ROCPRIM_400000_NS6detail17trampoline_kernelINS0_14default_configENS1_38merge_sort_block_merge_config_selectorIcNS0_10empty_typeEEEZZNS1_27merge_sort_block_merge_implIS3_N6thrust23THRUST_200600_302600_NS6detail15normal_iteratorINS9_10device_ptrIcEEEEPS5_m14custom_greaterIcEEE10hipError_tT0_T1_T2_jT3_P12ihipStream_tbPNSt15iterator_traitsISJ_E10value_typeEPNSP_ISK_E10value_typeEPSL_NS1_7vsmem_tEENKUlT_SJ_SK_SL_E_clIPcSE_SF_SF_EESI_SY_SJ_SK_SL_EUlSY_E_NS1_11comp_targetILNS1_3genE0ELNS1_11target_archE4294967295ELNS1_3gpuE0ELNS1_3repE0EEENS1_48merge_mergepath_partition_config_static_selectorELNS0_4arch9wavefront6targetE1EEEvSK_
; %bb.0:
	.section	.rodata,"a",@progbits
	.p2align	6, 0x0
	.amdhsa_kernel _ZN7rocprim17ROCPRIM_400000_NS6detail17trampoline_kernelINS0_14default_configENS1_38merge_sort_block_merge_config_selectorIcNS0_10empty_typeEEEZZNS1_27merge_sort_block_merge_implIS3_N6thrust23THRUST_200600_302600_NS6detail15normal_iteratorINS9_10device_ptrIcEEEEPS5_m14custom_greaterIcEEE10hipError_tT0_T1_T2_jT3_P12ihipStream_tbPNSt15iterator_traitsISJ_E10value_typeEPNSP_ISK_E10value_typeEPSL_NS1_7vsmem_tEENKUlT_SJ_SK_SL_E_clIPcSE_SF_SF_EESI_SY_SJ_SK_SL_EUlSY_E_NS1_11comp_targetILNS1_3genE0ELNS1_11target_archE4294967295ELNS1_3gpuE0ELNS1_3repE0EEENS1_48merge_mergepath_partition_config_static_selectorELNS0_4arch9wavefront6targetE1EEEvSK_
		.amdhsa_group_segment_fixed_size 0
		.amdhsa_private_segment_fixed_size 0
		.amdhsa_kernarg_size 48
		.amdhsa_user_sgpr_count 6
		.amdhsa_user_sgpr_private_segment_buffer 1
		.amdhsa_user_sgpr_dispatch_ptr 0
		.amdhsa_user_sgpr_queue_ptr 0
		.amdhsa_user_sgpr_kernarg_segment_ptr 1
		.amdhsa_user_sgpr_dispatch_id 0
		.amdhsa_user_sgpr_flat_scratch_init 0
		.amdhsa_user_sgpr_kernarg_preload_length 0
		.amdhsa_user_sgpr_kernarg_preload_offset 0
		.amdhsa_user_sgpr_private_segment_size 0
		.amdhsa_uses_dynamic_stack 0
		.amdhsa_system_sgpr_private_segment_wavefront_offset 0
		.amdhsa_system_sgpr_workgroup_id_x 1
		.amdhsa_system_sgpr_workgroup_id_y 0
		.amdhsa_system_sgpr_workgroup_id_z 0
		.amdhsa_system_sgpr_workgroup_info 0
		.amdhsa_system_vgpr_workitem_id 0
		.amdhsa_next_free_vgpr 1
		.amdhsa_next_free_sgpr 0
		.amdhsa_accum_offset 4
		.amdhsa_reserve_vcc 0
		.amdhsa_reserve_flat_scratch 0
		.amdhsa_float_round_mode_32 0
		.amdhsa_float_round_mode_16_64 0
		.amdhsa_float_denorm_mode_32 3
		.amdhsa_float_denorm_mode_16_64 3
		.amdhsa_dx10_clamp 1
		.amdhsa_ieee_mode 1
		.amdhsa_fp16_overflow 0
		.amdhsa_tg_split 0
		.amdhsa_exception_fp_ieee_invalid_op 0
		.amdhsa_exception_fp_denorm_src 0
		.amdhsa_exception_fp_ieee_div_zero 0
		.amdhsa_exception_fp_ieee_overflow 0
		.amdhsa_exception_fp_ieee_underflow 0
		.amdhsa_exception_fp_ieee_inexact 0
		.amdhsa_exception_int_div_zero 0
	.end_amdhsa_kernel
	.section	.text._ZN7rocprim17ROCPRIM_400000_NS6detail17trampoline_kernelINS0_14default_configENS1_38merge_sort_block_merge_config_selectorIcNS0_10empty_typeEEEZZNS1_27merge_sort_block_merge_implIS3_N6thrust23THRUST_200600_302600_NS6detail15normal_iteratorINS9_10device_ptrIcEEEEPS5_m14custom_greaterIcEEE10hipError_tT0_T1_T2_jT3_P12ihipStream_tbPNSt15iterator_traitsISJ_E10value_typeEPNSP_ISK_E10value_typeEPSL_NS1_7vsmem_tEENKUlT_SJ_SK_SL_E_clIPcSE_SF_SF_EESI_SY_SJ_SK_SL_EUlSY_E_NS1_11comp_targetILNS1_3genE0ELNS1_11target_archE4294967295ELNS1_3gpuE0ELNS1_3repE0EEENS1_48merge_mergepath_partition_config_static_selectorELNS0_4arch9wavefront6targetE1EEEvSK_,"axG",@progbits,_ZN7rocprim17ROCPRIM_400000_NS6detail17trampoline_kernelINS0_14default_configENS1_38merge_sort_block_merge_config_selectorIcNS0_10empty_typeEEEZZNS1_27merge_sort_block_merge_implIS3_N6thrust23THRUST_200600_302600_NS6detail15normal_iteratorINS9_10device_ptrIcEEEEPS5_m14custom_greaterIcEEE10hipError_tT0_T1_T2_jT3_P12ihipStream_tbPNSt15iterator_traitsISJ_E10value_typeEPNSP_ISK_E10value_typeEPSL_NS1_7vsmem_tEENKUlT_SJ_SK_SL_E_clIPcSE_SF_SF_EESI_SY_SJ_SK_SL_EUlSY_E_NS1_11comp_targetILNS1_3genE0ELNS1_11target_archE4294967295ELNS1_3gpuE0ELNS1_3repE0EEENS1_48merge_mergepath_partition_config_static_selectorELNS0_4arch9wavefront6targetE1EEEvSK_,comdat
.Lfunc_end2709:
	.size	_ZN7rocprim17ROCPRIM_400000_NS6detail17trampoline_kernelINS0_14default_configENS1_38merge_sort_block_merge_config_selectorIcNS0_10empty_typeEEEZZNS1_27merge_sort_block_merge_implIS3_N6thrust23THRUST_200600_302600_NS6detail15normal_iteratorINS9_10device_ptrIcEEEEPS5_m14custom_greaterIcEEE10hipError_tT0_T1_T2_jT3_P12ihipStream_tbPNSt15iterator_traitsISJ_E10value_typeEPNSP_ISK_E10value_typeEPSL_NS1_7vsmem_tEENKUlT_SJ_SK_SL_E_clIPcSE_SF_SF_EESI_SY_SJ_SK_SL_EUlSY_E_NS1_11comp_targetILNS1_3genE0ELNS1_11target_archE4294967295ELNS1_3gpuE0ELNS1_3repE0EEENS1_48merge_mergepath_partition_config_static_selectorELNS0_4arch9wavefront6targetE1EEEvSK_, .Lfunc_end2709-_ZN7rocprim17ROCPRIM_400000_NS6detail17trampoline_kernelINS0_14default_configENS1_38merge_sort_block_merge_config_selectorIcNS0_10empty_typeEEEZZNS1_27merge_sort_block_merge_implIS3_N6thrust23THRUST_200600_302600_NS6detail15normal_iteratorINS9_10device_ptrIcEEEEPS5_m14custom_greaterIcEEE10hipError_tT0_T1_T2_jT3_P12ihipStream_tbPNSt15iterator_traitsISJ_E10value_typeEPNSP_ISK_E10value_typeEPSL_NS1_7vsmem_tEENKUlT_SJ_SK_SL_E_clIPcSE_SF_SF_EESI_SY_SJ_SK_SL_EUlSY_E_NS1_11comp_targetILNS1_3genE0ELNS1_11target_archE4294967295ELNS1_3gpuE0ELNS1_3repE0EEENS1_48merge_mergepath_partition_config_static_selectorELNS0_4arch9wavefront6targetE1EEEvSK_
                                        ; -- End function
	.section	.AMDGPU.csdata,"",@progbits
; Kernel info:
; codeLenInByte = 0
; NumSgprs: 4
; NumVgprs: 0
; NumAgprs: 0
; TotalNumVgprs: 0
; ScratchSize: 0
; MemoryBound: 0
; FloatMode: 240
; IeeeMode: 1
; LDSByteSize: 0 bytes/workgroup (compile time only)
; SGPRBlocks: 0
; VGPRBlocks: 0
; NumSGPRsForWavesPerEU: 4
; NumVGPRsForWavesPerEU: 1
; AccumOffset: 4
; Occupancy: 8
; WaveLimiterHint : 0
; COMPUTE_PGM_RSRC2:SCRATCH_EN: 0
; COMPUTE_PGM_RSRC2:USER_SGPR: 6
; COMPUTE_PGM_RSRC2:TRAP_HANDLER: 0
; COMPUTE_PGM_RSRC2:TGID_X_EN: 1
; COMPUTE_PGM_RSRC2:TGID_Y_EN: 0
; COMPUTE_PGM_RSRC2:TGID_Z_EN: 0
; COMPUTE_PGM_RSRC2:TIDIG_COMP_CNT: 0
; COMPUTE_PGM_RSRC3_GFX90A:ACCUM_OFFSET: 0
; COMPUTE_PGM_RSRC3_GFX90A:TG_SPLIT: 0
	.section	.text._ZN7rocprim17ROCPRIM_400000_NS6detail17trampoline_kernelINS0_14default_configENS1_38merge_sort_block_merge_config_selectorIcNS0_10empty_typeEEEZZNS1_27merge_sort_block_merge_implIS3_N6thrust23THRUST_200600_302600_NS6detail15normal_iteratorINS9_10device_ptrIcEEEEPS5_m14custom_greaterIcEEE10hipError_tT0_T1_T2_jT3_P12ihipStream_tbPNSt15iterator_traitsISJ_E10value_typeEPNSP_ISK_E10value_typeEPSL_NS1_7vsmem_tEENKUlT_SJ_SK_SL_E_clIPcSE_SF_SF_EESI_SY_SJ_SK_SL_EUlSY_E_NS1_11comp_targetILNS1_3genE10ELNS1_11target_archE1201ELNS1_3gpuE5ELNS1_3repE0EEENS1_48merge_mergepath_partition_config_static_selectorELNS0_4arch9wavefront6targetE1EEEvSK_,"axG",@progbits,_ZN7rocprim17ROCPRIM_400000_NS6detail17trampoline_kernelINS0_14default_configENS1_38merge_sort_block_merge_config_selectorIcNS0_10empty_typeEEEZZNS1_27merge_sort_block_merge_implIS3_N6thrust23THRUST_200600_302600_NS6detail15normal_iteratorINS9_10device_ptrIcEEEEPS5_m14custom_greaterIcEEE10hipError_tT0_T1_T2_jT3_P12ihipStream_tbPNSt15iterator_traitsISJ_E10value_typeEPNSP_ISK_E10value_typeEPSL_NS1_7vsmem_tEENKUlT_SJ_SK_SL_E_clIPcSE_SF_SF_EESI_SY_SJ_SK_SL_EUlSY_E_NS1_11comp_targetILNS1_3genE10ELNS1_11target_archE1201ELNS1_3gpuE5ELNS1_3repE0EEENS1_48merge_mergepath_partition_config_static_selectorELNS0_4arch9wavefront6targetE1EEEvSK_,comdat
	.protected	_ZN7rocprim17ROCPRIM_400000_NS6detail17trampoline_kernelINS0_14default_configENS1_38merge_sort_block_merge_config_selectorIcNS0_10empty_typeEEEZZNS1_27merge_sort_block_merge_implIS3_N6thrust23THRUST_200600_302600_NS6detail15normal_iteratorINS9_10device_ptrIcEEEEPS5_m14custom_greaterIcEEE10hipError_tT0_T1_T2_jT3_P12ihipStream_tbPNSt15iterator_traitsISJ_E10value_typeEPNSP_ISK_E10value_typeEPSL_NS1_7vsmem_tEENKUlT_SJ_SK_SL_E_clIPcSE_SF_SF_EESI_SY_SJ_SK_SL_EUlSY_E_NS1_11comp_targetILNS1_3genE10ELNS1_11target_archE1201ELNS1_3gpuE5ELNS1_3repE0EEENS1_48merge_mergepath_partition_config_static_selectorELNS0_4arch9wavefront6targetE1EEEvSK_ ; -- Begin function _ZN7rocprim17ROCPRIM_400000_NS6detail17trampoline_kernelINS0_14default_configENS1_38merge_sort_block_merge_config_selectorIcNS0_10empty_typeEEEZZNS1_27merge_sort_block_merge_implIS3_N6thrust23THRUST_200600_302600_NS6detail15normal_iteratorINS9_10device_ptrIcEEEEPS5_m14custom_greaterIcEEE10hipError_tT0_T1_T2_jT3_P12ihipStream_tbPNSt15iterator_traitsISJ_E10value_typeEPNSP_ISK_E10value_typeEPSL_NS1_7vsmem_tEENKUlT_SJ_SK_SL_E_clIPcSE_SF_SF_EESI_SY_SJ_SK_SL_EUlSY_E_NS1_11comp_targetILNS1_3genE10ELNS1_11target_archE1201ELNS1_3gpuE5ELNS1_3repE0EEENS1_48merge_mergepath_partition_config_static_selectorELNS0_4arch9wavefront6targetE1EEEvSK_
	.globl	_ZN7rocprim17ROCPRIM_400000_NS6detail17trampoline_kernelINS0_14default_configENS1_38merge_sort_block_merge_config_selectorIcNS0_10empty_typeEEEZZNS1_27merge_sort_block_merge_implIS3_N6thrust23THRUST_200600_302600_NS6detail15normal_iteratorINS9_10device_ptrIcEEEEPS5_m14custom_greaterIcEEE10hipError_tT0_T1_T2_jT3_P12ihipStream_tbPNSt15iterator_traitsISJ_E10value_typeEPNSP_ISK_E10value_typeEPSL_NS1_7vsmem_tEENKUlT_SJ_SK_SL_E_clIPcSE_SF_SF_EESI_SY_SJ_SK_SL_EUlSY_E_NS1_11comp_targetILNS1_3genE10ELNS1_11target_archE1201ELNS1_3gpuE5ELNS1_3repE0EEENS1_48merge_mergepath_partition_config_static_selectorELNS0_4arch9wavefront6targetE1EEEvSK_
	.p2align	8
	.type	_ZN7rocprim17ROCPRIM_400000_NS6detail17trampoline_kernelINS0_14default_configENS1_38merge_sort_block_merge_config_selectorIcNS0_10empty_typeEEEZZNS1_27merge_sort_block_merge_implIS3_N6thrust23THRUST_200600_302600_NS6detail15normal_iteratorINS9_10device_ptrIcEEEEPS5_m14custom_greaterIcEEE10hipError_tT0_T1_T2_jT3_P12ihipStream_tbPNSt15iterator_traitsISJ_E10value_typeEPNSP_ISK_E10value_typeEPSL_NS1_7vsmem_tEENKUlT_SJ_SK_SL_E_clIPcSE_SF_SF_EESI_SY_SJ_SK_SL_EUlSY_E_NS1_11comp_targetILNS1_3genE10ELNS1_11target_archE1201ELNS1_3gpuE5ELNS1_3repE0EEENS1_48merge_mergepath_partition_config_static_selectorELNS0_4arch9wavefront6targetE1EEEvSK_,@function
_ZN7rocprim17ROCPRIM_400000_NS6detail17trampoline_kernelINS0_14default_configENS1_38merge_sort_block_merge_config_selectorIcNS0_10empty_typeEEEZZNS1_27merge_sort_block_merge_implIS3_N6thrust23THRUST_200600_302600_NS6detail15normal_iteratorINS9_10device_ptrIcEEEEPS5_m14custom_greaterIcEEE10hipError_tT0_T1_T2_jT3_P12ihipStream_tbPNSt15iterator_traitsISJ_E10value_typeEPNSP_ISK_E10value_typeEPSL_NS1_7vsmem_tEENKUlT_SJ_SK_SL_E_clIPcSE_SF_SF_EESI_SY_SJ_SK_SL_EUlSY_E_NS1_11comp_targetILNS1_3genE10ELNS1_11target_archE1201ELNS1_3gpuE5ELNS1_3repE0EEENS1_48merge_mergepath_partition_config_static_selectorELNS0_4arch9wavefront6targetE1EEEvSK_: ; @_ZN7rocprim17ROCPRIM_400000_NS6detail17trampoline_kernelINS0_14default_configENS1_38merge_sort_block_merge_config_selectorIcNS0_10empty_typeEEEZZNS1_27merge_sort_block_merge_implIS3_N6thrust23THRUST_200600_302600_NS6detail15normal_iteratorINS9_10device_ptrIcEEEEPS5_m14custom_greaterIcEEE10hipError_tT0_T1_T2_jT3_P12ihipStream_tbPNSt15iterator_traitsISJ_E10value_typeEPNSP_ISK_E10value_typeEPSL_NS1_7vsmem_tEENKUlT_SJ_SK_SL_E_clIPcSE_SF_SF_EESI_SY_SJ_SK_SL_EUlSY_E_NS1_11comp_targetILNS1_3genE10ELNS1_11target_archE1201ELNS1_3gpuE5ELNS1_3repE0EEENS1_48merge_mergepath_partition_config_static_selectorELNS0_4arch9wavefront6targetE1EEEvSK_
; %bb.0:
	.section	.rodata,"a",@progbits
	.p2align	6, 0x0
	.amdhsa_kernel _ZN7rocprim17ROCPRIM_400000_NS6detail17trampoline_kernelINS0_14default_configENS1_38merge_sort_block_merge_config_selectorIcNS0_10empty_typeEEEZZNS1_27merge_sort_block_merge_implIS3_N6thrust23THRUST_200600_302600_NS6detail15normal_iteratorINS9_10device_ptrIcEEEEPS5_m14custom_greaterIcEEE10hipError_tT0_T1_T2_jT3_P12ihipStream_tbPNSt15iterator_traitsISJ_E10value_typeEPNSP_ISK_E10value_typeEPSL_NS1_7vsmem_tEENKUlT_SJ_SK_SL_E_clIPcSE_SF_SF_EESI_SY_SJ_SK_SL_EUlSY_E_NS1_11comp_targetILNS1_3genE10ELNS1_11target_archE1201ELNS1_3gpuE5ELNS1_3repE0EEENS1_48merge_mergepath_partition_config_static_selectorELNS0_4arch9wavefront6targetE1EEEvSK_
		.amdhsa_group_segment_fixed_size 0
		.amdhsa_private_segment_fixed_size 0
		.amdhsa_kernarg_size 48
		.amdhsa_user_sgpr_count 6
		.amdhsa_user_sgpr_private_segment_buffer 1
		.amdhsa_user_sgpr_dispatch_ptr 0
		.amdhsa_user_sgpr_queue_ptr 0
		.amdhsa_user_sgpr_kernarg_segment_ptr 1
		.amdhsa_user_sgpr_dispatch_id 0
		.amdhsa_user_sgpr_flat_scratch_init 0
		.amdhsa_user_sgpr_kernarg_preload_length 0
		.amdhsa_user_sgpr_kernarg_preload_offset 0
		.amdhsa_user_sgpr_private_segment_size 0
		.amdhsa_uses_dynamic_stack 0
		.amdhsa_system_sgpr_private_segment_wavefront_offset 0
		.amdhsa_system_sgpr_workgroup_id_x 1
		.amdhsa_system_sgpr_workgroup_id_y 0
		.amdhsa_system_sgpr_workgroup_id_z 0
		.amdhsa_system_sgpr_workgroup_info 0
		.amdhsa_system_vgpr_workitem_id 0
		.amdhsa_next_free_vgpr 1
		.amdhsa_next_free_sgpr 0
		.amdhsa_accum_offset 4
		.amdhsa_reserve_vcc 0
		.amdhsa_reserve_flat_scratch 0
		.amdhsa_float_round_mode_32 0
		.amdhsa_float_round_mode_16_64 0
		.amdhsa_float_denorm_mode_32 3
		.amdhsa_float_denorm_mode_16_64 3
		.amdhsa_dx10_clamp 1
		.amdhsa_ieee_mode 1
		.amdhsa_fp16_overflow 0
		.amdhsa_tg_split 0
		.amdhsa_exception_fp_ieee_invalid_op 0
		.amdhsa_exception_fp_denorm_src 0
		.amdhsa_exception_fp_ieee_div_zero 0
		.amdhsa_exception_fp_ieee_overflow 0
		.amdhsa_exception_fp_ieee_underflow 0
		.amdhsa_exception_fp_ieee_inexact 0
		.amdhsa_exception_int_div_zero 0
	.end_amdhsa_kernel
	.section	.text._ZN7rocprim17ROCPRIM_400000_NS6detail17trampoline_kernelINS0_14default_configENS1_38merge_sort_block_merge_config_selectorIcNS0_10empty_typeEEEZZNS1_27merge_sort_block_merge_implIS3_N6thrust23THRUST_200600_302600_NS6detail15normal_iteratorINS9_10device_ptrIcEEEEPS5_m14custom_greaterIcEEE10hipError_tT0_T1_T2_jT3_P12ihipStream_tbPNSt15iterator_traitsISJ_E10value_typeEPNSP_ISK_E10value_typeEPSL_NS1_7vsmem_tEENKUlT_SJ_SK_SL_E_clIPcSE_SF_SF_EESI_SY_SJ_SK_SL_EUlSY_E_NS1_11comp_targetILNS1_3genE10ELNS1_11target_archE1201ELNS1_3gpuE5ELNS1_3repE0EEENS1_48merge_mergepath_partition_config_static_selectorELNS0_4arch9wavefront6targetE1EEEvSK_,"axG",@progbits,_ZN7rocprim17ROCPRIM_400000_NS6detail17trampoline_kernelINS0_14default_configENS1_38merge_sort_block_merge_config_selectorIcNS0_10empty_typeEEEZZNS1_27merge_sort_block_merge_implIS3_N6thrust23THRUST_200600_302600_NS6detail15normal_iteratorINS9_10device_ptrIcEEEEPS5_m14custom_greaterIcEEE10hipError_tT0_T1_T2_jT3_P12ihipStream_tbPNSt15iterator_traitsISJ_E10value_typeEPNSP_ISK_E10value_typeEPSL_NS1_7vsmem_tEENKUlT_SJ_SK_SL_E_clIPcSE_SF_SF_EESI_SY_SJ_SK_SL_EUlSY_E_NS1_11comp_targetILNS1_3genE10ELNS1_11target_archE1201ELNS1_3gpuE5ELNS1_3repE0EEENS1_48merge_mergepath_partition_config_static_selectorELNS0_4arch9wavefront6targetE1EEEvSK_,comdat
.Lfunc_end2710:
	.size	_ZN7rocprim17ROCPRIM_400000_NS6detail17trampoline_kernelINS0_14default_configENS1_38merge_sort_block_merge_config_selectorIcNS0_10empty_typeEEEZZNS1_27merge_sort_block_merge_implIS3_N6thrust23THRUST_200600_302600_NS6detail15normal_iteratorINS9_10device_ptrIcEEEEPS5_m14custom_greaterIcEEE10hipError_tT0_T1_T2_jT3_P12ihipStream_tbPNSt15iterator_traitsISJ_E10value_typeEPNSP_ISK_E10value_typeEPSL_NS1_7vsmem_tEENKUlT_SJ_SK_SL_E_clIPcSE_SF_SF_EESI_SY_SJ_SK_SL_EUlSY_E_NS1_11comp_targetILNS1_3genE10ELNS1_11target_archE1201ELNS1_3gpuE5ELNS1_3repE0EEENS1_48merge_mergepath_partition_config_static_selectorELNS0_4arch9wavefront6targetE1EEEvSK_, .Lfunc_end2710-_ZN7rocprim17ROCPRIM_400000_NS6detail17trampoline_kernelINS0_14default_configENS1_38merge_sort_block_merge_config_selectorIcNS0_10empty_typeEEEZZNS1_27merge_sort_block_merge_implIS3_N6thrust23THRUST_200600_302600_NS6detail15normal_iteratorINS9_10device_ptrIcEEEEPS5_m14custom_greaterIcEEE10hipError_tT0_T1_T2_jT3_P12ihipStream_tbPNSt15iterator_traitsISJ_E10value_typeEPNSP_ISK_E10value_typeEPSL_NS1_7vsmem_tEENKUlT_SJ_SK_SL_E_clIPcSE_SF_SF_EESI_SY_SJ_SK_SL_EUlSY_E_NS1_11comp_targetILNS1_3genE10ELNS1_11target_archE1201ELNS1_3gpuE5ELNS1_3repE0EEENS1_48merge_mergepath_partition_config_static_selectorELNS0_4arch9wavefront6targetE1EEEvSK_
                                        ; -- End function
	.section	.AMDGPU.csdata,"",@progbits
; Kernel info:
; codeLenInByte = 0
; NumSgprs: 4
; NumVgprs: 0
; NumAgprs: 0
; TotalNumVgprs: 0
; ScratchSize: 0
; MemoryBound: 0
; FloatMode: 240
; IeeeMode: 1
; LDSByteSize: 0 bytes/workgroup (compile time only)
; SGPRBlocks: 0
; VGPRBlocks: 0
; NumSGPRsForWavesPerEU: 4
; NumVGPRsForWavesPerEU: 1
; AccumOffset: 4
; Occupancy: 8
; WaveLimiterHint : 0
; COMPUTE_PGM_RSRC2:SCRATCH_EN: 0
; COMPUTE_PGM_RSRC2:USER_SGPR: 6
; COMPUTE_PGM_RSRC2:TRAP_HANDLER: 0
; COMPUTE_PGM_RSRC2:TGID_X_EN: 1
; COMPUTE_PGM_RSRC2:TGID_Y_EN: 0
; COMPUTE_PGM_RSRC2:TGID_Z_EN: 0
; COMPUTE_PGM_RSRC2:TIDIG_COMP_CNT: 0
; COMPUTE_PGM_RSRC3_GFX90A:ACCUM_OFFSET: 0
; COMPUTE_PGM_RSRC3_GFX90A:TG_SPLIT: 0
	.section	.text._ZN7rocprim17ROCPRIM_400000_NS6detail17trampoline_kernelINS0_14default_configENS1_38merge_sort_block_merge_config_selectorIcNS0_10empty_typeEEEZZNS1_27merge_sort_block_merge_implIS3_N6thrust23THRUST_200600_302600_NS6detail15normal_iteratorINS9_10device_ptrIcEEEEPS5_m14custom_greaterIcEEE10hipError_tT0_T1_T2_jT3_P12ihipStream_tbPNSt15iterator_traitsISJ_E10value_typeEPNSP_ISK_E10value_typeEPSL_NS1_7vsmem_tEENKUlT_SJ_SK_SL_E_clIPcSE_SF_SF_EESI_SY_SJ_SK_SL_EUlSY_E_NS1_11comp_targetILNS1_3genE5ELNS1_11target_archE942ELNS1_3gpuE9ELNS1_3repE0EEENS1_48merge_mergepath_partition_config_static_selectorELNS0_4arch9wavefront6targetE1EEEvSK_,"axG",@progbits,_ZN7rocprim17ROCPRIM_400000_NS6detail17trampoline_kernelINS0_14default_configENS1_38merge_sort_block_merge_config_selectorIcNS0_10empty_typeEEEZZNS1_27merge_sort_block_merge_implIS3_N6thrust23THRUST_200600_302600_NS6detail15normal_iteratorINS9_10device_ptrIcEEEEPS5_m14custom_greaterIcEEE10hipError_tT0_T1_T2_jT3_P12ihipStream_tbPNSt15iterator_traitsISJ_E10value_typeEPNSP_ISK_E10value_typeEPSL_NS1_7vsmem_tEENKUlT_SJ_SK_SL_E_clIPcSE_SF_SF_EESI_SY_SJ_SK_SL_EUlSY_E_NS1_11comp_targetILNS1_3genE5ELNS1_11target_archE942ELNS1_3gpuE9ELNS1_3repE0EEENS1_48merge_mergepath_partition_config_static_selectorELNS0_4arch9wavefront6targetE1EEEvSK_,comdat
	.protected	_ZN7rocprim17ROCPRIM_400000_NS6detail17trampoline_kernelINS0_14default_configENS1_38merge_sort_block_merge_config_selectorIcNS0_10empty_typeEEEZZNS1_27merge_sort_block_merge_implIS3_N6thrust23THRUST_200600_302600_NS6detail15normal_iteratorINS9_10device_ptrIcEEEEPS5_m14custom_greaterIcEEE10hipError_tT0_T1_T2_jT3_P12ihipStream_tbPNSt15iterator_traitsISJ_E10value_typeEPNSP_ISK_E10value_typeEPSL_NS1_7vsmem_tEENKUlT_SJ_SK_SL_E_clIPcSE_SF_SF_EESI_SY_SJ_SK_SL_EUlSY_E_NS1_11comp_targetILNS1_3genE5ELNS1_11target_archE942ELNS1_3gpuE9ELNS1_3repE0EEENS1_48merge_mergepath_partition_config_static_selectorELNS0_4arch9wavefront6targetE1EEEvSK_ ; -- Begin function _ZN7rocprim17ROCPRIM_400000_NS6detail17trampoline_kernelINS0_14default_configENS1_38merge_sort_block_merge_config_selectorIcNS0_10empty_typeEEEZZNS1_27merge_sort_block_merge_implIS3_N6thrust23THRUST_200600_302600_NS6detail15normal_iteratorINS9_10device_ptrIcEEEEPS5_m14custom_greaterIcEEE10hipError_tT0_T1_T2_jT3_P12ihipStream_tbPNSt15iterator_traitsISJ_E10value_typeEPNSP_ISK_E10value_typeEPSL_NS1_7vsmem_tEENKUlT_SJ_SK_SL_E_clIPcSE_SF_SF_EESI_SY_SJ_SK_SL_EUlSY_E_NS1_11comp_targetILNS1_3genE5ELNS1_11target_archE942ELNS1_3gpuE9ELNS1_3repE0EEENS1_48merge_mergepath_partition_config_static_selectorELNS0_4arch9wavefront6targetE1EEEvSK_
	.globl	_ZN7rocprim17ROCPRIM_400000_NS6detail17trampoline_kernelINS0_14default_configENS1_38merge_sort_block_merge_config_selectorIcNS0_10empty_typeEEEZZNS1_27merge_sort_block_merge_implIS3_N6thrust23THRUST_200600_302600_NS6detail15normal_iteratorINS9_10device_ptrIcEEEEPS5_m14custom_greaterIcEEE10hipError_tT0_T1_T2_jT3_P12ihipStream_tbPNSt15iterator_traitsISJ_E10value_typeEPNSP_ISK_E10value_typeEPSL_NS1_7vsmem_tEENKUlT_SJ_SK_SL_E_clIPcSE_SF_SF_EESI_SY_SJ_SK_SL_EUlSY_E_NS1_11comp_targetILNS1_3genE5ELNS1_11target_archE942ELNS1_3gpuE9ELNS1_3repE0EEENS1_48merge_mergepath_partition_config_static_selectorELNS0_4arch9wavefront6targetE1EEEvSK_
	.p2align	8
	.type	_ZN7rocprim17ROCPRIM_400000_NS6detail17trampoline_kernelINS0_14default_configENS1_38merge_sort_block_merge_config_selectorIcNS0_10empty_typeEEEZZNS1_27merge_sort_block_merge_implIS3_N6thrust23THRUST_200600_302600_NS6detail15normal_iteratorINS9_10device_ptrIcEEEEPS5_m14custom_greaterIcEEE10hipError_tT0_T1_T2_jT3_P12ihipStream_tbPNSt15iterator_traitsISJ_E10value_typeEPNSP_ISK_E10value_typeEPSL_NS1_7vsmem_tEENKUlT_SJ_SK_SL_E_clIPcSE_SF_SF_EESI_SY_SJ_SK_SL_EUlSY_E_NS1_11comp_targetILNS1_3genE5ELNS1_11target_archE942ELNS1_3gpuE9ELNS1_3repE0EEENS1_48merge_mergepath_partition_config_static_selectorELNS0_4arch9wavefront6targetE1EEEvSK_,@function
_ZN7rocprim17ROCPRIM_400000_NS6detail17trampoline_kernelINS0_14default_configENS1_38merge_sort_block_merge_config_selectorIcNS0_10empty_typeEEEZZNS1_27merge_sort_block_merge_implIS3_N6thrust23THRUST_200600_302600_NS6detail15normal_iteratorINS9_10device_ptrIcEEEEPS5_m14custom_greaterIcEEE10hipError_tT0_T1_T2_jT3_P12ihipStream_tbPNSt15iterator_traitsISJ_E10value_typeEPNSP_ISK_E10value_typeEPSL_NS1_7vsmem_tEENKUlT_SJ_SK_SL_E_clIPcSE_SF_SF_EESI_SY_SJ_SK_SL_EUlSY_E_NS1_11comp_targetILNS1_3genE5ELNS1_11target_archE942ELNS1_3gpuE9ELNS1_3repE0EEENS1_48merge_mergepath_partition_config_static_selectorELNS0_4arch9wavefront6targetE1EEEvSK_: ; @_ZN7rocprim17ROCPRIM_400000_NS6detail17trampoline_kernelINS0_14default_configENS1_38merge_sort_block_merge_config_selectorIcNS0_10empty_typeEEEZZNS1_27merge_sort_block_merge_implIS3_N6thrust23THRUST_200600_302600_NS6detail15normal_iteratorINS9_10device_ptrIcEEEEPS5_m14custom_greaterIcEEE10hipError_tT0_T1_T2_jT3_P12ihipStream_tbPNSt15iterator_traitsISJ_E10value_typeEPNSP_ISK_E10value_typeEPSL_NS1_7vsmem_tEENKUlT_SJ_SK_SL_E_clIPcSE_SF_SF_EESI_SY_SJ_SK_SL_EUlSY_E_NS1_11comp_targetILNS1_3genE5ELNS1_11target_archE942ELNS1_3gpuE9ELNS1_3repE0EEENS1_48merge_mergepath_partition_config_static_selectorELNS0_4arch9wavefront6targetE1EEEvSK_
; %bb.0:
	.section	.rodata,"a",@progbits
	.p2align	6, 0x0
	.amdhsa_kernel _ZN7rocprim17ROCPRIM_400000_NS6detail17trampoline_kernelINS0_14default_configENS1_38merge_sort_block_merge_config_selectorIcNS0_10empty_typeEEEZZNS1_27merge_sort_block_merge_implIS3_N6thrust23THRUST_200600_302600_NS6detail15normal_iteratorINS9_10device_ptrIcEEEEPS5_m14custom_greaterIcEEE10hipError_tT0_T1_T2_jT3_P12ihipStream_tbPNSt15iterator_traitsISJ_E10value_typeEPNSP_ISK_E10value_typeEPSL_NS1_7vsmem_tEENKUlT_SJ_SK_SL_E_clIPcSE_SF_SF_EESI_SY_SJ_SK_SL_EUlSY_E_NS1_11comp_targetILNS1_3genE5ELNS1_11target_archE942ELNS1_3gpuE9ELNS1_3repE0EEENS1_48merge_mergepath_partition_config_static_selectorELNS0_4arch9wavefront6targetE1EEEvSK_
		.amdhsa_group_segment_fixed_size 0
		.amdhsa_private_segment_fixed_size 0
		.amdhsa_kernarg_size 48
		.amdhsa_user_sgpr_count 6
		.amdhsa_user_sgpr_private_segment_buffer 1
		.amdhsa_user_sgpr_dispatch_ptr 0
		.amdhsa_user_sgpr_queue_ptr 0
		.amdhsa_user_sgpr_kernarg_segment_ptr 1
		.amdhsa_user_sgpr_dispatch_id 0
		.amdhsa_user_sgpr_flat_scratch_init 0
		.amdhsa_user_sgpr_kernarg_preload_length 0
		.amdhsa_user_sgpr_kernarg_preload_offset 0
		.amdhsa_user_sgpr_private_segment_size 0
		.amdhsa_uses_dynamic_stack 0
		.amdhsa_system_sgpr_private_segment_wavefront_offset 0
		.amdhsa_system_sgpr_workgroup_id_x 1
		.amdhsa_system_sgpr_workgroup_id_y 0
		.amdhsa_system_sgpr_workgroup_id_z 0
		.amdhsa_system_sgpr_workgroup_info 0
		.amdhsa_system_vgpr_workitem_id 0
		.amdhsa_next_free_vgpr 1
		.amdhsa_next_free_sgpr 0
		.amdhsa_accum_offset 4
		.amdhsa_reserve_vcc 0
		.amdhsa_reserve_flat_scratch 0
		.amdhsa_float_round_mode_32 0
		.amdhsa_float_round_mode_16_64 0
		.amdhsa_float_denorm_mode_32 3
		.amdhsa_float_denorm_mode_16_64 3
		.amdhsa_dx10_clamp 1
		.amdhsa_ieee_mode 1
		.amdhsa_fp16_overflow 0
		.amdhsa_tg_split 0
		.amdhsa_exception_fp_ieee_invalid_op 0
		.amdhsa_exception_fp_denorm_src 0
		.amdhsa_exception_fp_ieee_div_zero 0
		.amdhsa_exception_fp_ieee_overflow 0
		.amdhsa_exception_fp_ieee_underflow 0
		.amdhsa_exception_fp_ieee_inexact 0
		.amdhsa_exception_int_div_zero 0
	.end_amdhsa_kernel
	.section	.text._ZN7rocprim17ROCPRIM_400000_NS6detail17trampoline_kernelINS0_14default_configENS1_38merge_sort_block_merge_config_selectorIcNS0_10empty_typeEEEZZNS1_27merge_sort_block_merge_implIS3_N6thrust23THRUST_200600_302600_NS6detail15normal_iteratorINS9_10device_ptrIcEEEEPS5_m14custom_greaterIcEEE10hipError_tT0_T1_T2_jT3_P12ihipStream_tbPNSt15iterator_traitsISJ_E10value_typeEPNSP_ISK_E10value_typeEPSL_NS1_7vsmem_tEENKUlT_SJ_SK_SL_E_clIPcSE_SF_SF_EESI_SY_SJ_SK_SL_EUlSY_E_NS1_11comp_targetILNS1_3genE5ELNS1_11target_archE942ELNS1_3gpuE9ELNS1_3repE0EEENS1_48merge_mergepath_partition_config_static_selectorELNS0_4arch9wavefront6targetE1EEEvSK_,"axG",@progbits,_ZN7rocprim17ROCPRIM_400000_NS6detail17trampoline_kernelINS0_14default_configENS1_38merge_sort_block_merge_config_selectorIcNS0_10empty_typeEEEZZNS1_27merge_sort_block_merge_implIS3_N6thrust23THRUST_200600_302600_NS6detail15normal_iteratorINS9_10device_ptrIcEEEEPS5_m14custom_greaterIcEEE10hipError_tT0_T1_T2_jT3_P12ihipStream_tbPNSt15iterator_traitsISJ_E10value_typeEPNSP_ISK_E10value_typeEPSL_NS1_7vsmem_tEENKUlT_SJ_SK_SL_E_clIPcSE_SF_SF_EESI_SY_SJ_SK_SL_EUlSY_E_NS1_11comp_targetILNS1_3genE5ELNS1_11target_archE942ELNS1_3gpuE9ELNS1_3repE0EEENS1_48merge_mergepath_partition_config_static_selectorELNS0_4arch9wavefront6targetE1EEEvSK_,comdat
.Lfunc_end2711:
	.size	_ZN7rocprim17ROCPRIM_400000_NS6detail17trampoline_kernelINS0_14default_configENS1_38merge_sort_block_merge_config_selectorIcNS0_10empty_typeEEEZZNS1_27merge_sort_block_merge_implIS3_N6thrust23THRUST_200600_302600_NS6detail15normal_iteratorINS9_10device_ptrIcEEEEPS5_m14custom_greaterIcEEE10hipError_tT0_T1_T2_jT3_P12ihipStream_tbPNSt15iterator_traitsISJ_E10value_typeEPNSP_ISK_E10value_typeEPSL_NS1_7vsmem_tEENKUlT_SJ_SK_SL_E_clIPcSE_SF_SF_EESI_SY_SJ_SK_SL_EUlSY_E_NS1_11comp_targetILNS1_3genE5ELNS1_11target_archE942ELNS1_3gpuE9ELNS1_3repE0EEENS1_48merge_mergepath_partition_config_static_selectorELNS0_4arch9wavefront6targetE1EEEvSK_, .Lfunc_end2711-_ZN7rocprim17ROCPRIM_400000_NS6detail17trampoline_kernelINS0_14default_configENS1_38merge_sort_block_merge_config_selectorIcNS0_10empty_typeEEEZZNS1_27merge_sort_block_merge_implIS3_N6thrust23THRUST_200600_302600_NS6detail15normal_iteratorINS9_10device_ptrIcEEEEPS5_m14custom_greaterIcEEE10hipError_tT0_T1_T2_jT3_P12ihipStream_tbPNSt15iterator_traitsISJ_E10value_typeEPNSP_ISK_E10value_typeEPSL_NS1_7vsmem_tEENKUlT_SJ_SK_SL_E_clIPcSE_SF_SF_EESI_SY_SJ_SK_SL_EUlSY_E_NS1_11comp_targetILNS1_3genE5ELNS1_11target_archE942ELNS1_3gpuE9ELNS1_3repE0EEENS1_48merge_mergepath_partition_config_static_selectorELNS0_4arch9wavefront6targetE1EEEvSK_
                                        ; -- End function
	.section	.AMDGPU.csdata,"",@progbits
; Kernel info:
; codeLenInByte = 0
; NumSgprs: 4
; NumVgprs: 0
; NumAgprs: 0
; TotalNumVgprs: 0
; ScratchSize: 0
; MemoryBound: 0
; FloatMode: 240
; IeeeMode: 1
; LDSByteSize: 0 bytes/workgroup (compile time only)
; SGPRBlocks: 0
; VGPRBlocks: 0
; NumSGPRsForWavesPerEU: 4
; NumVGPRsForWavesPerEU: 1
; AccumOffset: 4
; Occupancy: 8
; WaveLimiterHint : 0
; COMPUTE_PGM_RSRC2:SCRATCH_EN: 0
; COMPUTE_PGM_RSRC2:USER_SGPR: 6
; COMPUTE_PGM_RSRC2:TRAP_HANDLER: 0
; COMPUTE_PGM_RSRC2:TGID_X_EN: 1
; COMPUTE_PGM_RSRC2:TGID_Y_EN: 0
; COMPUTE_PGM_RSRC2:TGID_Z_EN: 0
; COMPUTE_PGM_RSRC2:TIDIG_COMP_CNT: 0
; COMPUTE_PGM_RSRC3_GFX90A:ACCUM_OFFSET: 0
; COMPUTE_PGM_RSRC3_GFX90A:TG_SPLIT: 0
	.section	.text._ZN7rocprim17ROCPRIM_400000_NS6detail17trampoline_kernelINS0_14default_configENS1_38merge_sort_block_merge_config_selectorIcNS0_10empty_typeEEEZZNS1_27merge_sort_block_merge_implIS3_N6thrust23THRUST_200600_302600_NS6detail15normal_iteratorINS9_10device_ptrIcEEEEPS5_m14custom_greaterIcEEE10hipError_tT0_T1_T2_jT3_P12ihipStream_tbPNSt15iterator_traitsISJ_E10value_typeEPNSP_ISK_E10value_typeEPSL_NS1_7vsmem_tEENKUlT_SJ_SK_SL_E_clIPcSE_SF_SF_EESI_SY_SJ_SK_SL_EUlSY_E_NS1_11comp_targetILNS1_3genE4ELNS1_11target_archE910ELNS1_3gpuE8ELNS1_3repE0EEENS1_48merge_mergepath_partition_config_static_selectorELNS0_4arch9wavefront6targetE1EEEvSK_,"axG",@progbits,_ZN7rocprim17ROCPRIM_400000_NS6detail17trampoline_kernelINS0_14default_configENS1_38merge_sort_block_merge_config_selectorIcNS0_10empty_typeEEEZZNS1_27merge_sort_block_merge_implIS3_N6thrust23THRUST_200600_302600_NS6detail15normal_iteratorINS9_10device_ptrIcEEEEPS5_m14custom_greaterIcEEE10hipError_tT0_T1_T2_jT3_P12ihipStream_tbPNSt15iterator_traitsISJ_E10value_typeEPNSP_ISK_E10value_typeEPSL_NS1_7vsmem_tEENKUlT_SJ_SK_SL_E_clIPcSE_SF_SF_EESI_SY_SJ_SK_SL_EUlSY_E_NS1_11comp_targetILNS1_3genE4ELNS1_11target_archE910ELNS1_3gpuE8ELNS1_3repE0EEENS1_48merge_mergepath_partition_config_static_selectorELNS0_4arch9wavefront6targetE1EEEvSK_,comdat
	.protected	_ZN7rocprim17ROCPRIM_400000_NS6detail17trampoline_kernelINS0_14default_configENS1_38merge_sort_block_merge_config_selectorIcNS0_10empty_typeEEEZZNS1_27merge_sort_block_merge_implIS3_N6thrust23THRUST_200600_302600_NS6detail15normal_iteratorINS9_10device_ptrIcEEEEPS5_m14custom_greaterIcEEE10hipError_tT0_T1_T2_jT3_P12ihipStream_tbPNSt15iterator_traitsISJ_E10value_typeEPNSP_ISK_E10value_typeEPSL_NS1_7vsmem_tEENKUlT_SJ_SK_SL_E_clIPcSE_SF_SF_EESI_SY_SJ_SK_SL_EUlSY_E_NS1_11comp_targetILNS1_3genE4ELNS1_11target_archE910ELNS1_3gpuE8ELNS1_3repE0EEENS1_48merge_mergepath_partition_config_static_selectorELNS0_4arch9wavefront6targetE1EEEvSK_ ; -- Begin function _ZN7rocprim17ROCPRIM_400000_NS6detail17trampoline_kernelINS0_14default_configENS1_38merge_sort_block_merge_config_selectorIcNS0_10empty_typeEEEZZNS1_27merge_sort_block_merge_implIS3_N6thrust23THRUST_200600_302600_NS6detail15normal_iteratorINS9_10device_ptrIcEEEEPS5_m14custom_greaterIcEEE10hipError_tT0_T1_T2_jT3_P12ihipStream_tbPNSt15iterator_traitsISJ_E10value_typeEPNSP_ISK_E10value_typeEPSL_NS1_7vsmem_tEENKUlT_SJ_SK_SL_E_clIPcSE_SF_SF_EESI_SY_SJ_SK_SL_EUlSY_E_NS1_11comp_targetILNS1_3genE4ELNS1_11target_archE910ELNS1_3gpuE8ELNS1_3repE0EEENS1_48merge_mergepath_partition_config_static_selectorELNS0_4arch9wavefront6targetE1EEEvSK_
	.globl	_ZN7rocprim17ROCPRIM_400000_NS6detail17trampoline_kernelINS0_14default_configENS1_38merge_sort_block_merge_config_selectorIcNS0_10empty_typeEEEZZNS1_27merge_sort_block_merge_implIS3_N6thrust23THRUST_200600_302600_NS6detail15normal_iteratorINS9_10device_ptrIcEEEEPS5_m14custom_greaterIcEEE10hipError_tT0_T1_T2_jT3_P12ihipStream_tbPNSt15iterator_traitsISJ_E10value_typeEPNSP_ISK_E10value_typeEPSL_NS1_7vsmem_tEENKUlT_SJ_SK_SL_E_clIPcSE_SF_SF_EESI_SY_SJ_SK_SL_EUlSY_E_NS1_11comp_targetILNS1_3genE4ELNS1_11target_archE910ELNS1_3gpuE8ELNS1_3repE0EEENS1_48merge_mergepath_partition_config_static_selectorELNS0_4arch9wavefront6targetE1EEEvSK_
	.p2align	8
	.type	_ZN7rocprim17ROCPRIM_400000_NS6detail17trampoline_kernelINS0_14default_configENS1_38merge_sort_block_merge_config_selectorIcNS0_10empty_typeEEEZZNS1_27merge_sort_block_merge_implIS3_N6thrust23THRUST_200600_302600_NS6detail15normal_iteratorINS9_10device_ptrIcEEEEPS5_m14custom_greaterIcEEE10hipError_tT0_T1_T2_jT3_P12ihipStream_tbPNSt15iterator_traitsISJ_E10value_typeEPNSP_ISK_E10value_typeEPSL_NS1_7vsmem_tEENKUlT_SJ_SK_SL_E_clIPcSE_SF_SF_EESI_SY_SJ_SK_SL_EUlSY_E_NS1_11comp_targetILNS1_3genE4ELNS1_11target_archE910ELNS1_3gpuE8ELNS1_3repE0EEENS1_48merge_mergepath_partition_config_static_selectorELNS0_4arch9wavefront6targetE1EEEvSK_,@function
_ZN7rocprim17ROCPRIM_400000_NS6detail17trampoline_kernelINS0_14default_configENS1_38merge_sort_block_merge_config_selectorIcNS0_10empty_typeEEEZZNS1_27merge_sort_block_merge_implIS3_N6thrust23THRUST_200600_302600_NS6detail15normal_iteratorINS9_10device_ptrIcEEEEPS5_m14custom_greaterIcEEE10hipError_tT0_T1_T2_jT3_P12ihipStream_tbPNSt15iterator_traitsISJ_E10value_typeEPNSP_ISK_E10value_typeEPSL_NS1_7vsmem_tEENKUlT_SJ_SK_SL_E_clIPcSE_SF_SF_EESI_SY_SJ_SK_SL_EUlSY_E_NS1_11comp_targetILNS1_3genE4ELNS1_11target_archE910ELNS1_3gpuE8ELNS1_3repE0EEENS1_48merge_mergepath_partition_config_static_selectorELNS0_4arch9wavefront6targetE1EEEvSK_: ; @_ZN7rocprim17ROCPRIM_400000_NS6detail17trampoline_kernelINS0_14default_configENS1_38merge_sort_block_merge_config_selectorIcNS0_10empty_typeEEEZZNS1_27merge_sort_block_merge_implIS3_N6thrust23THRUST_200600_302600_NS6detail15normal_iteratorINS9_10device_ptrIcEEEEPS5_m14custom_greaterIcEEE10hipError_tT0_T1_T2_jT3_P12ihipStream_tbPNSt15iterator_traitsISJ_E10value_typeEPNSP_ISK_E10value_typeEPSL_NS1_7vsmem_tEENKUlT_SJ_SK_SL_E_clIPcSE_SF_SF_EESI_SY_SJ_SK_SL_EUlSY_E_NS1_11comp_targetILNS1_3genE4ELNS1_11target_archE910ELNS1_3gpuE8ELNS1_3repE0EEENS1_48merge_mergepath_partition_config_static_selectorELNS0_4arch9wavefront6targetE1EEEvSK_
; %bb.0:
	s_load_dword s0, s[4:5], 0x0
	v_lshl_or_b32 v0, s6, 7, v0
	s_waitcnt lgkmcnt(0)
	v_cmp_gt_u32_e32 vcc, s0, v0
	s_and_saveexec_b64 s[0:1], vcc
	s_cbranch_execz .LBB2712_6
; %bb.1:
	s_load_dwordx4 s[0:3], s[4:5], 0x8
	s_load_dwordx2 s[6:7], s[4:5], 0x28
	v_mov_b32_e32 v5, 0
	s_waitcnt lgkmcnt(0)
	v_mov_b32_e32 v1, s0
	v_alignbit_b32 v1, s1, v1, 9
	v_and_b32_e32 v1, -2, v1
	v_add_u32_e32 v2, -1, v1
	v_sub_u32_e32 v1, 0, v1
	v_and_b32_e32 v4, v0, v1
	v_lshlrev_b64 v[8:9], 10, v[4:5]
	v_mov_b32_e32 v4, s3
	v_cmp_lt_u64_e32 vcc, s[2:3], v[8:9]
	v_mov_b32_e32 v7, s2
	v_and_b32_e32 v6, v2, v0
	v_cndmask_b32_e32 v1, v9, v4, vcc
	v_cndmask_b32_e32 v2, v8, v7, vcc
	v_mov_b32_e32 v3, s1
	v_add_co_u32_e32 v8, vcc, s0, v8
	v_addc_co_u32_e32 v9, vcc, v9, v3, vcc
	v_cmp_lt_u64_e32 vcc, s[2:3], v[8:9]
	v_cndmask_b32_e32 v8, v8, v7, vcc
	v_cndmask_b32_e32 v3, v9, v4, vcc
	v_mov_b32_e32 v9, s1
	v_add_co_u32_e32 v10, vcc, s0, v8
	v_addc_co_u32_e32 v11, vcc, v3, v9, vcc
	v_cmp_lt_u64_e32 vcc, s[2:3], v[10:11]
	v_cndmask_b32_e32 v12, v10, v7, vcc
	v_cndmask_b32_e32 v9, v11, v4, vcc
	v_sub_co_u32_e32 v10, vcc, v12, v2
	v_mov_b32_e32 v7, v5
	v_subb_co_u32_e32 v11, vcc, v9, v1, vcc
	v_lshlrev_b64 v[4:5], 10, v[6:7]
	v_cmp_lt_u64_e32 vcc, v[10:11], v[4:5]
	v_cndmask_b32_e32 v11, v5, v11, vcc
	v_cndmask_b32_e32 v10, v4, v10, vcc
	v_sub_co_u32_e32 v6, vcc, v8, v2
	v_subb_co_u32_e32 v7, vcc, v3, v1, vcc
	v_sub_co_u32_e32 v4, vcc, v8, v12
	v_subb_co_u32_e32 v5, vcc, v3, v9, vcc
	v_add_co_u32_e32 v4, vcc, v10, v4
	v_addc_co_u32_e32 v5, vcc, v11, v5, vcc
	v_cmp_gt_u64_e32 vcc, v[4:5], v[10:11]
	v_cndmask_b32_e64 v5, v5, 0, vcc
	v_cndmask_b32_e64 v4, v4, 0, vcc
	v_cmp_lt_u64_e32 vcc, v[10:11], v[6:7]
	v_cndmask_b32_e32 v7, v7, v11, vcc
	v_cndmask_b32_e32 v6, v6, v10, vcc
	v_cmp_lt_u64_e32 vcc, v[4:5], v[6:7]
	s_and_saveexec_b64 s[0:1], vcc
	s_cbranch_execz .LBB2712_5
; %bb.2:
	s_load_dwordx2 s[2:3], s[4:5], 0x18
	s_waitcnt lgkmcnt(0)
	v_mov_b32_e32 v13, s3
	v_add_co_u32_e32 v9, vcc, s2, v2
	v_addc_co_u32_e32 v12, vcc, v13, v1, vcc
	v_add_co_u32_e32 v8, vcc, s2, v8
	v_addc_co_u32_e32 v13, vcc, v13, v3, vcc
	;; [unrolled: 2-line block ×3, first 2 shown]
	s_mov_b64 s[2:3], 0
.LBB2712_3:                             ; =>This Inner Loop Header: Depth=1
	v_add_co_u32_e32 v10, vcc, v6, v4
	v_addc_co_u32_e32 v11, vcc, v7, v5, vcc
	v_lshrrev_b64 v[10:11], 1, v[10:11]
	v_add_co_u32_e32 v14, vcc, v9, v10
	v_not_b32_e32 v16, v10
	v_addc_co_u32_e32 v15, vcc, v12, v11, vcc
	v_not_b32_e32 v13, v11
	v_add_co_u32_e32 v16, vcc, v3, v16
	v_addc_co_u32_e32 v17, vcc, v8, v13, vcc
	global_load_sbyte v13, v[14:15], off
	global_load_sbyte v18, v[16:17], off
	v_add_co_u32_e32 v14, vcc, 1, v10
	v_addc_co_u32_e32 v15, vcc, 0, v11, vcc
	s_waitcnt vmcnt(0)
	v_cmp_gt_i16_e32 vcc, v13, v18
	v_cndmask_b32_e32 v7, v7, v11, vcc
	v_cndmask_b32_e32 v6, v6, v10, vcc
	;; [unrolled: 1-line block ×4, first 2 shown]
	v_cmp_ge_u64_e32 vcc, v[4:5], v[6:7]
	s_or_b64 s[2:3], vcc, s[2:3]
	s_andn2_b64 exec, exec, s[2:3]
	s_cbranch_execnz .LBB2712_3
; %bb.4:
	s_or_b64 exec, exec, s[2:3]
.LBB2712_5:
	s_or_b64 exec, exec, s[0:1]
	v_add_co_u32_e32 v2, vcc, v4, v2
	v_addc_co_u32_e32 v3, vcc, v5, v1, vcc
	v_mov_b32_e32 v1, 0
	v_lshlrev_b64 v[0:1], 3, v[0:1]
	v_mov_b32_e32 v4, s7
	v_add_co_u32_e32 v0, vcc, s6, v0
	v_addc_co_u32_e32 v1, vcc, v4, v1, vcc
	global_store_dwordx2 v[0:1], v[2:3], off
.LBB2712_6:
	s_endpgm
	.section	.rodata,"a",@progbits
	.p2align	6, 0x0
	.amdhsa_kernel _ZN7rocprim17ROCPRIM_400000_NS6detail17trampoline_kernelINS0_14default_configENS1_38merge_sort_block_merge_config_selectorIcNS0_10empty_typeEEEZZNS1_27merge_sort_block_merge_implIS3_N6thrust23THRUST_200600_302600_NS6detail15normal_iteratorINS9_10device_ptrIcEEEEPS5_m14custom_greaterIcEEE10hipError_tT0_T1_T2_jT3_P12ihipStream_tbPNSt15iterator_traitsISJ_E10value_typeEPNSP_ISK_E10value_typeEPSL_NS1_7vsmem_tEENKUlT_SJ_SK_SL_E_clIPcSE_SF_SF_EESI_SY_SJ_SK_SL_EUlSY_E_NS1_11comp_targetILNS1_3genE4ELNS1_11target_archE910ELNS1_3gpuE8ELNS1_3repE0EEENS1_48merge_mergepath_partition_config_static_selectorELNS0_4arch9wavefront6targetE1EEEvSK_
		.amdhsa_group_segment_fixed_size 0
		.amdhsa_private_segment_fixed_size 0
		.amdhsa_kernarg_size 48
		.amdhsa_user_sgpr_count 6
		.amdhsa_user_sgpr_private_segment_buffer 1
		.amdhsa_user_sgpr_dispatch_ptr 0
		.amdhsa_user_sgpr_queue_ptr 0
		.amdhsa_user_sgpr_kernarg_segment_ptr 1
		.amdhsa_user_sgpr_dispatch_id 0
		.amdhsa_user_sgpr_flat_scratch_init 0
		.amdhsa_user_sgpr_kernarg_preload_length 0
		.amdhsa_user_sgpr_kernarg_preload_offset 0
		.amdhsa_user_sgpr_private_segment_size 0
		.amdhsa_uses_dynamic_stack 0
		.amdhsa_system_sgpr_private_segment_wavefront_offset 0
		.amdhsa_system_sgpr_workgroup_id_x 1
		.amdhsa_system_sgpr_workgroup_id_y 0
		.amdhsa_system_sgpr_workgroup_id_z 0
		.amdhsa_system_sgpr_workgroup_info 0
		.amdhsa_system_vgpr_workitem_id 0
		.amdhsa_next_free_vgpr 19
		.amdhsa_next_free_sgpr 8
		.amdhsa_accum_offset 20
		.amdhsa_reserve_vcc 1
		.amdhsa_reserve_flat_scratch 0
		.amdhsa_float_round_mode_32 0
		.amdhsa_float_round_mode_16_64 0
		.amdhsa_float_denorm_mode_32 3
		.amdhsa_float_denorm_mode_16_64 3
		.amdhsa_dx10_clamp 1
		.amdhsa_ieee_mode 1
		.amdhsa_fp16_overflow 0
		.amdhsa_tg_split 0
		.amdhsa_exception_fp_ieee_invalid_op 0
		.amdhsa_exception_fp_denorm_src 0
		.amdhsa_exception_fp_ieee_div_zero 0
		.amdhsa_exception_fp_ieee_overflow 0
		.amdhsa_exception_fp_ieee_underflow 0
		.amdhsa_exception_fp_ieee_inexact 0
		.amdhsa_exception_int_div_zero 0
	.end_amdhsa_kernel
	.section	.text._ZN7rocprim17ROCPRIM_400000_NS6detail17trampoline_kernelINS0_14default_configENS1_38merge_sort_block_merge_config_selectorIcNS0_10empty_typeEEEZZNS1_27merge_sort_block_merge_implIS3_N6thrust23THRUST_200600_302600_NS6detail15normal_iteratorINS9_10device_ptrIcEEEEPS5_m14custom_greaterIcEEE10hipError_tT0_T1_T2_jT3_P12ihipStream_tbPNSt15iterator_traitsISJ_E10value_typeEPNSP_ISK_E10value_typeEPSL_NS1_7vsmem_tEENKUlT_SJ_SK_SL_E_clIPcSE_SF_SF_EESI_SY_SJ_SK_SL_EUlSY_E_NS1_11comp_targetILNS1_3genE4ELNS1_11target_archE910ELNS1_3gpuE8ELNS1_3repE0EEENS1_48merge_mergepath_partition_config_static_selectorELNS0_4arch9wavefront6targetE1EEEvSK_,"axG",@progbits,_ZN7rocprim17ROCPRIM_400000_NS6detail17trampoline_kernelINS0_14default_configENS1_38merge_sort_block_merge_config_selectorIcNS0_10empty_typeEEEZZNS1_27merge_sort_block_merge_implIS3_N6thrust23THRUST_200600_302600_NS6detail15normal_iteratorINS9_10device_ptrIcEEEEPS5_m14custom_greaterIcEEE10hipError_tT0_T1_T2_jT3_P12ihipStream_tbPNSt15iterator_traitsISJ_E10value_typeEPNSP_ISK_E10value_typeEPSL_NS1_7vsmem_tEENKUlT_SJ_SK_SL_E_clIPcSE_SF_SF_EESI_SY_SJ_SK_SL_EUlSY_E_NS1_11comp_targetILNS1_3genE4ELNS1_11target_archE910ELNS1_3gpuE8ELNS1_3repE0EEENS1_48merge_mergepath_partition_config_static_selectorELNS0_4arch9wavefront6targetE1EEEvSK_,comdat
.Lfunc_end2712:
	.size	_ZN7rocprim17ROCPRIM_400000_NS6detail17trampoline_kernelINS0_14default_configENS1_38merge_sort_block_merge_config_selectorIcNS0_10empty_typeEEEZZNS1_27merge_sort_block_merge_implIS3_N6thrust23THRUST_200600_302600_NS6detail15normal_iteratorINS9_10device_ptrIcEEEEPS5_m14custom_greaterIcEEE10hipError_tT0_T1_T2_jT3_P12ihipStream_tbPNSt15iterator_traitsISJ_E10value_typeEPNSP_ISK_E10value_typeEPSL_NS1_7vsmem_tEENKUlT_SJ_SK_SL_E_clIPcSE_SF_SF_EESI_SY_SJ_SK_SL_EUlSY_E_NS1_11comp_targetILNS1_3genE4ELNS1_11target_archE910ELNS1_3gpuE8ELNS1_3repE0EEENS1_48merge_mergepath_partition_config_static_selectorELNS0_4arch9wavefront6targetE1EEEvSK_, .Lfunc_end2712-_ZN7rocprim17ROCPRIM_400000_NS6detail17trampoline_kernelINS0_14default_configENS1_38merge_sort_block_merge_config_selectorIcNS0_10empty_typeEEEZZNS1_27merge_sort_block_merge_implIS3_N6thrust23THRUST_200600_302600_NS6detail15normal_iteratorINS9_10device_ptrIcEEEEPS5_m14custom_greaterIcEEE10hipError_tT0_T1_T2_jT3_P12ihipStream_tbPNSt15iterator_traitsISJ_E10value_typeEPNSP_ISK_E10value_typeEPSL_NS1_7vsmem_tEENKUlT_SJ_SK_SL_E_clIPcSE_SF_SF_EESI_SY_SJ_SK_SL_EUlSY_E_NS1_11comp_targetILNS1_3genE4ELNS1_11target_archE910ELNS1_3gpuE8ELNS1_3repE0EEENS1_48merge_mergepath_partition_config_static_selectorELNS0_4arch9wavefront6targetE1EEEvSK_
                                        ; -- End function
	.section	.AMDGPU.csdata,"",@progbits
; Kernel info:
; codeLenInByte = 464
; NumSgprs: 12
; NumVgprs: 19
; NumAgprs: 0
; TotalNumVgprs: 19
; ScratchSize: 0
; MemoryBound: 0
; FloatMode: 240
; IeeeMode: 1
; LDSByteSize: 0 bytes/workgroup (compile time only)
; SGPRBlocks: 1
; VGPRBlocks: 2
; NumSGPRsForWavesPerEU: 12
; NumVGPRsForWavesPerEU: 19
; AccumOffset: 20
; Occupancy: 8
; WaveLimiterHint : 0
; COMPUTE_PGM_RSRC2:SCRATCH_EN: 0
; COMPUTE_PGM_RSRC2:USER_SGPR: 6
; COMPUTE_PGM_RSRC2:TRAP_HANDLER: 0
; COMPUTE_PGM_RSRC2:TGID_X_EN: 1
; COMPUTE_PGM_RSRC2:TGID_Y_EN: 0
; COMPUTE_PGM_RSRC2:TGID_Z_EN: 0
; COMPUTE_PGM_RSRC2:TIDIG_COMP_CNT: 0
; COMPUTE_PGM_RSRC3_GFX90A:ACCUM_OFFSET: 4
; COMPUTE_PGM_RSRC3_GFX90A:TG_SPLIT: 0
	.section	.text._ZN7rocprim17ROCPRIM_400000_NS6detail17trampoline_kernelINS0_14default_configENS1_38merge_sort_block_merge_config_selectorIcNS0_10empty_typeEEEZZNS1_27merge_sort_block_merge_implIS3_N6thrust23THRUST_200600_302600_NS6detail15normal_iteratorINS9_10device_ptrIcEEEEPS5_m14custom_greaterIcEEE10hipError_tT0_T1_T2_jT3_P12ihipStream_tbPNSt15iterator_traitsISJ_E10value_typeEPNSP_ISK_E10value_typeEPSL_NS1_7vsmem_tEENKUlT_SJ_SK_SL_E_clIPcSE_SF_SF_EESI_SY_SJ_SK_SL_EUlSY_E_NS1_11comp_targetILNS1_3genE3ELNS1_11target_archE908ELNS1_3gpuE7ELNS1_3repE0EEENS1_48merge_mergepath_partition_config_static_selectorELNS0_4arch9wavefront6targetE1EEEvSK_,"axG",@progbits,_ZN7rocprim17ROCPRIM_400000_NS6detail17trampoline_kernelINS0_14default_configENS1_38merge_sort_block_merge_config_selectorIcNS0_10empty_typeEEEZZNS1_27merge_sort_block_merge_implIS3_N6thrust23THRUST_200600_302600_NS6detail15normal_iteratorINS9_10device_ptrIcEEEEPS5_m14custom_greaterIcEEE10hipError_tT0_T1_T2_jT3_P12ihipStream_tbPNSt15iterator_traitsISJ_E10value_typeEPNSP_ISK_E10value_typeEPSL_NS1_7vsmem_tEENKUlT_SJ_SK_SL_E_clIPcSE_SF_SF_EESI_SY_SJ_SK_SL_EUlSY_E_NS1_11comp_targetILNS1_3genE3ELNS1_11target_archE908ELNS1_3gpuE7ELNS1_3repE0EEENS1_48merge_mergepath_partition_config_static_selectorELNS0_4arch9wavefront6targetE1EEEvSK_,comdat
	.protected	_ZN7rocprim17ROCPRIM_400000_NS6detail17trampoline_kernelINS0_14default_configENS1_38merge_sort_block_merge_config_selectorIcNS0_10empty_typeEEEZZNS1_27merge_sort_block_merge_implIS3_N6thrust23THRUST_200600_302600_NS6detail15normal_iteratorINS9_10device_ptrIcEEEEPS5_m14custom_greaterIcEEE10hipError_tT0_T1_T2_jT3_P12ihipStream_tbPNSt15iterator_traitsISJ_E10value_typeEPNSP_ISK_E10value_typeEPSL_NS1_7vsmem_tEENKUlT_SJ_SK_SL_E_clIPcSE_SF_SF_EESI_SY_SJ_SK_SL_EUlSY_E_NS1_11comp_targetILNS1_3genE3ELNS1_11target_archE908ELNS1_3gpuE7ELNS1_3repE0EEENS1_48merge_mergepath_partition_config_static_selectorELNS0_4arch9wavefront6targetE1EEEvSK_ ; -- Begin function _ZN7rocprim17ROCPRIM_400000_NS6detail17trampoline_kernelINS0_14default_configENS1_38merge_sort_block_merge_config_selectorIcNS0_10empty_typeEEEZZNS1_27merge_sort_block_merge_implIS3_N6thrust23THRUST_200600_302600_NS6detail15normal_iteratorINS9_10device_ptrIcEEEEPS5_m14custom_greaterIcEEE10hipError_tT0_T1_T2_jT3_P12ihipStream_tbPNSt15iterator_traitsISJ_E10value_typeEPNSP_ISK_E10value_typeEPSL_NS1_7vsmem_tEENKUlT_SJ_SK_SL_E_clIPcSE_SF_SF_EESI_SY_SJ_SK_SL_EUlSY_E_NS1_11comp_targetILNS1_3genE3ELNS1_11target_archE908ELNS1_3gpuE7ELNS1_3repE0EEENS1_48merge_mergepath_partition_config_static_selectorELNS0_4arch9wavefront6targetE1EEEvSK_
	.globl	_ZN7rocprim17ROCPRIM_400000_NS6detail17trampoline_kernelINS0_14default_configENS1_38merge_sort_block_merge_config_selectorIcNS0_10empty_typeEEEZZNS1_27merge_sort_block_merge_implIS3_N6thrust23THRUST_200600_302600_NS6detail15normal_iteratorINS9_10device_ptrIcEEEEPS5_m14custom_greaterIcEEE10hipError_tT0_T1_T2_jT3_P12ihipStream_tbPNSt15iterator_traitsISJ_E10value_typeEPNSP_ISK_E10value_typeEPSL_NS1_7vsmem_tEENKUlT_SJ_SK_SL_E_clIPcSE_SF_SF_EESI_SY_SJ_SK_SL_EUlSY_E_NS1_11comp_targetILNS1_3genE3ELNS1_11target_archE908ELNS1_3gpuE7ELNS1_3repE0EEENS1_48merge_mergepath_partition_config_static_selectorELNS0_4arch9wavefront6targetE1EEEvSK_
	.p2align	8
	.type	_ZN7rocprim17ROCPRIM_400000_NS6detail17trampoline_kernelINS0_14default_configENS1_38merge_sort_block_merge_config_selectorIcNS0_10empty_typeEEEZZNS1_27merge_sort_block_merge_implIS3_N6thrust23THRUST_200600_302600_NS6detail15normal_iteratorINS9_10device_ptrIcEEEEPS5_m14custom_greaterIcEEE10hipError_tT0_T1_T2_jT3_P12ihipStream_tbPNSt15iterator_traitsISJ_E10value_typeEPNSP_ISK_E10value_typeEPSL_NS1_7vsmem_tEENKUlT_SJ_SK_SL_E_clIPcSE_SF_SF_EESI_SY_SJ_SK_SL_EUlSY_E_NS1_11comp_targetILNS1_3genE3ELNS1_11target_archE908ELNS1_3gpuE7ELNS1_3repE0EEENS1_48merge_mergepath_partition_config_static_selectorELNS0_4arch9wavefront6targetE1EEEvSK_,@function
_ZN7rocprim17ROCPRIM_400000_NS6detail17trampoline_kernelINS0_14default_configENS1_38merge_sort_block_merge_config_selectorIcNS0_10empty_typeEEEZZNS1_27merge_sort_block_merge_implIS3_N6thrust23THRUST_200600_302600_NS6detail15normal_iteratorINS9_10device_ptrIcEEEEPS5_m14custom_greaterIcEEE10hipError_tT0_T1_T2_jT3_P12ihipStream_tbPNSt15iterator_traitsISJ_E10value_typeEPNSP_ISK_E10value_typeEPSL_NS1_7vsmem_tEENKUlT_SJ_SK_SL_E_clIPcSE_SF_SF_EESI_SY_SJ_SK_SL_EUlSY_E_NS1_11comp_targetILNS1_3genE3ELNS1_11target_archE908ELNS1_3gpuE7ELNS1_3repE0EEENS1_48merge_mergepath_partition_config_static_selectorELNS0_4arch9wavefront6targetE1EEEvSK_: ; @_ZN7rocprim17ROCPRIM_400000_NS6detail17trampoline_kernelINS0_14default_configENS1_38merge_sort_block_merge_config_selectorIcNS0_10empty_typeEEEZZNS1_27merge_sort_block_merge_implIS3_N6thrust23THRUST_200600_302600_NS6detail15normal_iteratorINS9_10device_ptrIcEEEEPS5_m14custom_greaterIcEEE10hipError_tT0_T1_T2_jT3_P12ihipStream_tbPNSt15iterator_traitsISJ_E10value_typeEPNSP_ISK_E10value_typeEPSL_NS1_7vsmem_tEENKUlT_SJ_SK_SL_E_clIPcSE_SF_SF_EESI_SY_SJ_SK_SL_EUlSY_E_NS1_11comp_targetILNS1_3genE3ELNS1_11target_archE908ELNS1_3gpuE7ELNS1_3repE0EEENS1_48merge_mergepath_partition_config_static_selectorELNS0_4arch9wavefront6targetE1EEEvSK_
; %bb.0:
	.section	.rodata,"a",@progbits
	.p2align	6, 0x0
	.amdhsa_kernel _ZN7rocprim17ROCPRIM_400000_NS6detail17trampoline_kernelINS0_14default_configENS1_38merge_sort_block_merge_config_selectorIcNS0_10empty_typeEEEZZNS1_27merge_sort_block_merge_implIS3_N6thrust23THRUST_200600_302600_NS6detail15normal_iteratorINS9_10device_ptrIcEEEEPS5_m14custom_greaterIcEEE10hipError_tT0_T1_T2_jT3_P12ihipStream_tbPNSt15iterator_traitsISJ_E10value_typeEPNSP_ISK_E10value_typeEPSL_NS1_7vsmem_tEENKUlT_SJ_SK_SL_E_clIPcSE_SF_SF_EESI_SY_SJ_SK_SL_EUlSY_E_NS1_11comp_targetILNS1_3genE3ELNS1_11target_archE908ELNS1_3gpuE7ELNS1_3repE0EEENS1_48merge_mergepath_partition_config_static_selectorELNS0_4arch9wavefront6targetE1EEEvSK_
		.amdhsa_group_segment_fixed_size 0
		.amdhsa_private_segment_fixed_size 0
		.amdhsa_kernarg_size 48
		.amdhsa_user_sgpr_count 6
		.amdhsa_user_sgpr_private_segment_buffer 1
		.amdhsa_user_sgpr_dispatch_ptr 0
		.amdhsa_user_sgpr_queue_ptr 0
		.amdhsa_user_sgpr_kernarg_segment_ptr 1
		.amdhsa_user_sgpr_dispatch_id 0
		.amdhsa_user_sgpr_flat_scratch_init 0
		.amdhsa_user_sgpr_kernarg_preload_length 0
		.amdhsa_user_sgpr_kernarg_preload_offset 0
		.amdhsa_user_sgpr_private_segment_size 0
		.amdhsa_uses_dynamic_stack 0
		.amdhsa_system_sgpr_private_segment_wavefront_offset 0
		.amdhsa_system_sgpr_workgroup_id_x 1
		.amdhsa_system_sgpr_workgroup_id_y 0
		.amdhsa_system_sgpr_workgroup_id_z 0
		.amdhsa_system_sgpr_workgroup_info 0
		.amdhsa_system_vgpr_workitem_id 0
		.amdhsa_next_free_vgpr 1
		.amdhsa_next_free_sgpr 0
		.amdhsa_accum_offset 4
		.amdhsa_reserve_vcc 0
		.amdhsa_reserve_flat_scratch 0
		.amdhsa_float_round_mode_32 0
		.amdhsa_float_round_mode_16_64 0
		.amdhsa_float_denorm_mode_32 3
		.amdhsa_float_denorm_mode_16_64 3
		.amdhsa_dx10_clamp 1
		.amdhsa_ieee_mode 1
		.amdhsa_fp16_overflow 0
		.amdhsa_tg_split 0
		.amdhsa_exception_fp_ieee_invalid_op 0
		.amdhsa_exception_fp_denorm_src 0
		.amdhsa_exception_fp_ieee_div_zero 0
		.amdhsa_exception_fp_ieee_overflow 0
		.amdhsa_exception_fp_ieee_underflow 0
		.amdhsa_exception_fp_ieee_inexact 0
		.amdhsa_exception_int_div_zero 0
	.end_amdhsa_kernel
	.section	.text._ZN7rocprim17ROCPRIM_400000_NS6detail17trampoline_kernelINS0_14default_configENS1_38merge_sort_block_merge_config_selectorIcNS0_10empty_typeEEEZZNS1_27merge_sort_block_merge_implIS3_N6thrust23THRUST_200600_302600_NS6detail15normal_iteratorINS9_10device_ptrIcEEEEPS5_m14custom_greaterIcEEE10hipError_tT0_T1_T2_jT3_P12ihipStream_tbPNSt15iterator_traitsISJ_E10value_typeEPNSP_ISK_E10value_typeEPSL_NS1_7vsmem_tEENKUlT_SJ_SK_SL_E_clIPcSE_SF_SF_EESI_SY_SJ_SK_SL_EUlSY_E_NS1_11comp_targetILNS1_3genE3ELNS1_11target_archE908ELNS1_3gpuE7ELNS1_3repE0EEENS1_48merge_mergepath_partition_config_static_selectorELNS0_4arch9wavefront6targetE1EEEvSK_,"axG",@progbits,_ZN7rocprim17ROCPRIM_400000_NS6detail17trampoline_kernelINS0_14default_configENS1_38merge_sort_block_merge_config_selectorIcNS0_10empty_typeEEEZZNS1_27merge_sort_block_merge_implIS3_N6thrust23THRUST_200600_302600_NS6detail15normal_iteratorINS9_10device_ptrIcEEEEPS5_m14custom_greaterIcEEE10hipError_tT0_T1_T2_jT3_P12ihipStream_tbPNSt15iterator_traitsISJ_E10value_typeEPNSP_ISK_E10value_typeEPSL_NS1_7vsmem_tEENKUlT_SJ_SK_SL_E_clIPcSE_SF_SF_EESI_SY_SJ_SK_SL_EUlSY_E_NS1_11comp_targetILNS1_3genE3ELNS1_11target_archE908ELNS1_3gpuE7ELNS1_3repE0EEENS1_48merge_mergepath_partition_config_static_selectorELNS0_4arch9wavefront6targetE1EEEvSK_,comdat
.Lfunc_end2713:
	.size	_ZN7rocprim17ROCPRIM_400000_NS6detail17trampoline_kernelINS0_14default_configENS1_38merge_sort_block_merge_config_selectorIcNS0_10empty_typeEEEZZNS1_27merge_sort_block_merge_implIS3_N6thrust23THRUST_200600_302600_NS6detail15normal_iteratorINS9_10device_ptrIcEEEEPS5_m14custom_greaterIcEEE10hipError_tT0_T1_T2_jT3_P12ihipStream_tbPNSt15iterator_traitsISJ_E10value_typeEPNSP_ISK_E10value_typeEPSL_NS1_7vsmem_tEENKUlT_SJ_SK_SL_E_clIPcSE_SF_SF_EESI_SY_SJ_SK_SL_EUlSY_E_NS1_11comp_targetILNS1_3genE3ELNS1_11target_archE908ELNS1_3gpuE7ELNS1_3repE0EEENS1_48merge_mergepath_partition_config_static_selectorELNS0_4arch9wavefront6targetE1EEEvSK_, .Lfunc_end2713-_ZN7rocprim17ROCPRIM_400000_NS6detail17trampoline_kernelINS0_14default_configENS1_38merge_sort_block_merge_config_selectorIcNS0_10empty_typeEEEZZNS1_27merge_sort_block_merge_implIS3_N6thrust23THRUST_200600_302600_NS6detail15normal_iteratorINS9_10device_ptrIcEEEEPS5_m14custom_greaterIcEEE10hipError_tT0_T1_T2_jT3_P12ihipStream_tbPNSt15iterator_traitsISJ_E10value_typeEPNSP_ISK_E10value_typeEPSL_NS1_7vsmem_tEENKUlT_SJ_SK_SL_E_clIPcSE_SF_SF_EESI_SY_SJ_SK_SL_EUlSY_E_NS1_11comp_targetILNS1_3genE3ELNS1_11target_archE908ELNS1_3gpuE7ELNS1_3repE0EEENS1_48merge_mergepath_partition_config_static_selectorELNS0_4arch9wavefront6targetE1EEEvSK_
                                        ; -- End function
	.section	.AMDGPU.csdata,"",@progbits
; Kernel info:
; codeLenInByte = 0
; NumSgprs: 4
; NumVgprs: 0
; NumAgprs: 0
; TotalNumVgprs: 0
; ScratchSize: 0
; MemoryBound: 0
; FloatMode: 240
; IeeeMode: 1
; LDSByteSize: 0 bytes/workgroup (compile time only)
; SGPRBlocks: 0
; VGPRBlocks: 0
; NumSGPRsForWavesPerEU: 4
; NumVGPRsForWavesPerEU: 1
; AccumOffset: 4
; Occupancy: 8
; WaveLimiterHint : 0
; COMPUTE_PGM_RSRC2:SCRATCH_EN: 0
; COMPUTE_PGM_RSRC2:USER_SGPR: 6
; COMPUTE_PGM_RSRC2:TRAP_HANDLER: 0
; COMPUTE_PGM_RSRC2:TGID_X_EN: 1
; COMPUTE_PGM_RSRC2:TGID_Y_EN: 0
; COMPUTE_PGM_RSRC2:TGID_Z_EN: 0
; COMPUTE_PGM_RSRC2:TIDIG_COMP_CNT: 0
; COMPUTE_PGM_RSRC3_GFX90A:ACCUM_OFFSET: 0
; COMPUTE_PGM_RSRC3_GFX90A:TG_SPLIT: 0
	.section	.text._ZN7rocprim17ROCPRIM_400000_NS6detail17trampoline_kernelINS0_14default_configENS1_38merge_sort_block_merge_config_selectorIcNS0_10empty_typeEEEZZNS1_27merge_sort_block_merge_implIS3_N6thrust23THRUST_200600_302600_NS6detail15normal_iteratorINS9_10device_ptrIcEEEEPS5_m14custom_greaterIcEEE10hipError_tT0_T1_T2_jT3_P12ihipStream_tbPNSt15iterator_traitsISJ_E10value_typeEPNSP_ISK_E10value_typeEPSL_NS1_7vsmem_tEENKUlT_SJ_SK_SL_E_clIPcSE_SF_SF_EESI_SY_SJ_SK_SL_EUlSY_E_NS1_11comp_targetILNS1_3genE2ELNS1_11target_archE906ELNS1_3gpuE6ELNS1_3repE0EEENS1_48merge_mergepath_partition_config_static_selectorELNS0_4arch9wavefront6targetE1EEEvSK_,"axG",@progbits,_ZN7rocprim17ROCPRIM_400000_NS6detail17trampoline_kernelINS0_14default_configENS1_38merge_sort_block_merge_config_selectorIcNS0_10empty_typeEEEZZNS1_27merge_sort_block_merge_implIS3_N6thrust23THRUST_200600_302600_NS6detail15normal_iteratorINS9_10device_ptrIcEEEEPS5_m14custom_greaterIcEEE10hipError_tT0_T1_T2_jT3_P12ihipStream_tbPNSt15iterator_traitsISJ_E10value_typeEPNSP_ISK_E10value_typeEPSL_NS1_7vsmem_tEENKUlT_SJ_SK_SL_E_clIPcSE_SF_SF_EESI_SY_SJ_SK_SL_EUlSY_E_NS1_11comp_targetILNS1_3genE2ELNS1_11target_archE906ELNS1_3gpuE6ELNS1_3repE0EEENS1_48merge_mergepath_partition_config_static_selectorELNS0_4arch9wavefront6targetE1EEEvSK_,comdat
	.protected	_ZN7rocprim17ROCPRIM_400000_NS6detail17trampoline_kernelINS0_14default_configENS1_38merge_sort_block_merge_config_selectorIcNS0_10empty_typeEEEZZNS1_27merge_sort_block_merge_implIS3_N6thrust23THRUST_200600_302600_NS6detail15normal_iteratorINS9_10device_ptrIcEEEEPS5_m14custom_greaterIcEEE10hipError_tT0_T1_T2_jT3_P12ihipStream_tbPNSt15iterator_traitsISJ_E10value_typeEPNSP_ISK_E10value_typeEPSL_NS1_7vsmem_tEENKUlT_SJ_SK_SL_E_clIPcSE_SF_SF_EESI_SY_SJ_SK_SL_EUlSY_E_NS1_11comp_targetILNS1_3genE2ELNS1_11target_archE906ELNS1_3gpuE6ELNS1_3repE0EEENS1_48merge_mergepath_partition_config_static_selectorELNS0_4arch9wavefront6targetE1EEEvSK_ ; -- Begin function _ZN7rocprim17ROCPRIM_400000_NS6detail17trampoline_kernelINS0_14default_configENS1_38merge_sort_block_merge_config_selectorIcNS0_10empty_typeEEEZZNS1_27merge_sort_block_merge_implIS3_N6thrust23THRUST_200600_302600_NS6detail15normal_iteratorINS9_10device_ptrIcEEEEPS5_m14custom_greaterIcEEE10hipError_tT0_T1_T2_jT3_P12ihipStream_tbPNSt15iterator_traitsISJ_E10value_typeEPNSP_ISK_E10value_typeEPSL_NS1_7vsmem_tEENKUlT_SJ_SK_SL_E_clIPcSE_SF_SF_EESI_SY_SJ_SK_SL_EUlSY_E_NS1_11comp_targetILNS1_3genE2ELNS1_11target_archE906ELNS1_3gpuE6ELNS1_3repE0EEENS1_48merge_mergepath_partition_config_static_selectorELNS0_4arch9wavefront6targetE1EEEvSK_
	.globl	_ZN7rocprim17ROCPRIM_400000_NS6detail17trampoline_kernelINS0_14default_configENS1_38merge_sort_block_merge_config_selectorIcNS0_10empty_typeEEEZZNS1_27merge_sort_block_merge_implIS3_N6thrust23THRUST_200600_302600_NS6detail15normal_iteratorINS9_10device_ptrIcEEEEPS5_m14custom_greaterIcEEE10hipError_tT0_T1_T2_jT3_P12ihipStream_tbPNSt15iterator_traitsISJ_E10value_typeEPNSP_ISK_E10value_typeEPSL_NS1_7vsmem_tEENKUlT_SJ_SK_SL_E_clIPcSE_SF_SF_EESI_SY_SJ_SK_SL_EUlSY_E_NS1_11comp_targetILNS1_3genE2ELNS1_11target_archE906ELNS1_3gpuE6ELNS1_3repE0EEENS1_48merge_mergepath_partition_config_static_selectorELNS0_4arch9wavefront6targetE1EEEvSK_
	.p2align	8
	.type	_ZN7rocprim17ROCPRIM_400000_NS6detail17trampoline_kernelINS0_14default_configENS1_38merge_sort_block_merge_config_selectorIcNS0_10empty_typeEEEZZNS1_27merge_sort_block_merge_implIS3_N6thrust23THRUST_200600_302600_NS6detail15normal_iteratorINS9_10device_ptrIcEEEEPS5_m14custom_greaterIcEEE10hipError_tT0_T1_T2_jT3_P12ihipStream_tbPNSt15iterator_traitsISJ_E10value_typeEPNSP_ISK_E10value_typeEPSL_NS1_7vsmem_tEENKUlT_SJ_SK_SL_E_clIPcSE_SF_SF_EESI_SY_SJ_SK_SL_EUlSY_E_NS1_11comp_targetILNS1_3genE2ELNS1_11target_archE906ELNS1_3gpuE6ELNS1_3repE0EEENS1_48merge_mergepath_partition_config_static_selectorELNS0_4arch9wavefront6targetE1EEEvSK_,@function
_ZN7rocprim17ROCPRIM_400000_NS6detail17trampoline_kernelINS0_14default_configENS1_38merge_sort_block_merge_config_selectorIcNS0_10empty_typeEEEZZNS1_27merge_sort_block_merge_implIS3_N6thrust23THRUST_200600_302600_NS6detail15normal_iteratorINS9_10device_ptrIcEEEEPS5_m14custom_greaterIcEEE10hipError_tT0_T1_T2_jT3_P12ihipStream_tbPNSt15iterator_traitsISJ_E10value_typeEPNSP_ISK_E10value_typeEPSL_NS1_7vsmem_tEENKUlT_SJ_SK_SL_E_clIPcSE_SF_SF_EESI_SY_SJ_SK_SL_EUlSY_E_NS1_11comp_targetILNS1_3genE2ELNS1_11target_archE906ELNS1_3gpuE6ELNS1_3repE0EEENS1_48merge_mergepath_partition_config_static_selectorELNS0_4arch9wavefront6targetE1EEEvSK_: ; @_ZN7rocprim17ROCPRIM_400000_NS6detail17trampoline_kernelINS0_14default_configENS1_38merge_sort_block_merge_config_selectorIcNS0_10empty_typeEEEZZNS1_27merge_sort_block_merge_implIS3_N6thrust23THRUST_200600_302600_NS6detail15normal_iteratorINS9_10device_ptrIcEEEEPS5_m14custom_greaterIcEEE10hipError_tT0_T1_T2_jT3_P12ihipStream_tbPNSt15iterator_traitsISJ_E10value_typeEPNSP_ISK_E10value_typeEPSL_NS1_7vsmem_tEENKUlT_SJ_SK_SL_E_clIPcSE_SF_SF_EESI_SY_SJ_SK_SL_EUlSY_E_NS1_11comp_targetILNS1_3genE2ELNS1_11target_archE906ELNS1_3gpuE6ELNS1_3repE0EEENS1_48merge_mergepath_partition_config_static_selectorELNS0_4arch9wavefront6targetE1EEEvSK_
; %bb.0:
	.section	.rodata,"a",@progbits
	.p2align	6, 0x0
	.amdhsa_kernel _ZN7rocprim17ROCPRIM_400000_NS6detail17trampoline_kernelINS0_14default_configENS1_38merge_sort_block_merge_config_selectorIcNS0_10empty_typeEEEZZNS1_27merge_sort_block_merge_implIS3_N6thrust23THRUST_200600_302600_NS6detail15normal_iteratorINS9_10device_ptrIcEEEEPS5_m14custom_greaterIcEEE10hipError_tT0_T1_T2_jT3_P12ihipStream_tbPNSt15iterator_traitsISJ_E10value_typeEPNSP_ISK_E10value_typeEPSL_NS1_7vsmem_tEENKUlT_SJ_SK_SL_E_clIPcSE_SF_SF_EESI_SY_SJ_SK_SL_EUlSY_E_NS1_11comp_targetILNS1_3genE2ELNS1_11target_archE906ELNS1_3gpuE6ELNS1_3repE0EEENS1_48merge_mergepath_partition_config_static_selectorELNS0_4arch9wavefront6targetE1EEEvSK_
		.amdhsa_group_segment_fixed_size 0
		.amdhsa_private_segment_fixed_size 0
		.amdhsa_kernarg_size 48
		.amdhsa_user_sgpr_count 6
		.amdhsa_user_sgpr_private_segment_buffer 1
		.amdhsa_user_sgpr_dispatch_ptr 0
		.amdhsa_user_sgpr_queue_ptr 0
		.amdhsa_user_sgpr_kernarg_segment_ptr 1
		.amdhsa_user_sgpr_dispatch_id 0
		.amdhsa_user_sgpr_flat_scratch_init 0
		.amdhsa_user_sgpr_kernarg_preload_length 0
		.amdhsa_user_sgpr_kernarg_preload_offset 0
		.amdhsa_user_sgpr_private_segment_size 0
		.amdhsa_uses_dynamic_stack 0
		.amdhsa_system_sgpr_private_segment_wavefront_offset 0
		.amdhsa_system_sgpr_workgroup_id_x 1
		.amdhsa_system_sgpr_workgroup_id_y 0
		.amdhsa_system_sgpr_workgroup_id_z 0
		.amdhsa_system_sgpr_workgroup_info 0
		.amdhsa_system_vgpr_workitem_id 0
		.amdhsa_next_free_vgpr 1
		.amdhsa_next_free_sgpr 0
		.amdhsa_accum_offset 4
		.amdhsa_reserve_vcc 0
		.amdhsa_reserve_flat_scratch 0
		.amdhsa_float_round_mode_32 0
		.amdhsa_float_round_mode_16_64 0
		.amdhsa_float_denorm_mode_32 3
		.amdhsa_float_denorm_mode_16_64 3
		.amdhsa_dx10_clamp 1
		.amdhsa_ieee_mode 1
		.amdhsa_fp16_overflow 0
		.amdhsa_tg_split 0
		.amdhsa_exception_fp_ieee_invalid_op 0
		.amdhsa_exception_fp_denorm_src 0
		.amdhsa_exception_fp_ieee_div_zero 0
		.amdhsa_exception_fp_ieee_overflow 0
		.amdhsa_exception_fp_ieee_underflow 0
		.amdhsa_exception_fp_ieee_inexact 0
		.amdhsa_exception_int_div_zero 0
	.end_amdhsa_kernel
	.section	.text._ZN7rocprim17ROCPRIM_400000_NS6detail17trampoline_kernelINS0_14default_configENS1_38merge_sort_block_merge_config_selectorIcNS0_10empty_typeEEEZZNS1_27merge_sort_block_merge_implIS3_N6thrust23THRUST_200600_302600_NS6detail15normal_iteratorINS9_10device_ptrIcEEEEPS5_m14custom_greaterIcEEE10hipError_tT0_T1_T2_jT3_P12ihipStream_tbPNSt15iterator_traitsISJ_E10value_typeEPNSP_ISK_E10value_typeEPSL_NS1_7vsmem_tEENKUlT_SJ_SK_SL_E_clIPcSE_SF_SF_EESI_SY_SJ_SK_SL_EUlSY_E_NS1_11comp_targetILNS1_3genE2ELNS1_11target_archE906ELNS1_3gpuE6ELNS1_3repE0EEENS1_48merge_mergepath_partition_config_static_selectorELNS0_4arch9wavefront6targetE1EEEvSK_,"axG",@progbits,_ZN7rocprim17ROCPRIM_400000_NS6detail17trampoline_kernelINS0_14default_configENS1_38merge_sort_block_merge_config_selectorIcNS0_10empty_typeEEEZZNS1_27merge_sort_block_merge_implIS3_N6thrust23THRUST_200600_302600_NS6detail15normal_iteratorINS9_10device_ptrIcEEEEPS5_m14custom_greaterIcEEE10hipError_tT0_T1_T2_jT3_P12ihipStream_tbPNSt15iterator_traitsISJ_E10value_typeEPNSP_ISK_E10value_typeEPSL_NS1_7vsmem_tEENKUlT_SJ_SK_SL_E_clIPcSE_SF_SF_EESI_SY_SJ_SK_SL_EUlSY_E_NS1_11comp_targetILNS1_3genE2ELNS1_11target_archE906ELNS1_3gpuE6ELNS1_3repE0EEENS1_48merge_mergepath_partition_config_static_selectorELNS0_4arch9wavefront6targetE1EEEvSK_,comdat
.Lfunc_end2714:
	.size	_ZN7rocprim17ROCPRIM_400000_NS6detail17trampoline_kernelINS0_14default_configENS1_38merge_sort_block_merge_config_selectorIcNS0_10empty_typeEEEZZNS1_27merge_sort_block_merge_implIS3_N6thrust23THRUST_200600_302600_NS6detail15normal_iteratorINS9_10device_ptrIcEEEEPS5_m14custom_greaterIcEEE10hipError_tT0_T1_T2_jT3_P12ihipStream_tbPNSt15iterator_traitsISJ_E10value_typeEPNSP_ISK_E10value_typeEPSL_NS1_7vsmem_tEENKUlT_SJ_SK_SL_E_clIPcSE_SF_SF_EESI_SY_SJ_SK_SL_EUlSY_E_NS1_11comp_targetILNS1_3genE2ELNS1_11target_archE906ELNS1_3gpuE6ELNS1_3repE0EEENS1_48merge_mergepath_partition_config_static_selectorELNS0_4arch9wavefront6targetE1EEEvSK_, .Lfunc_end2714-_ZN7rocprim17ROCPRIM_400000_NS6detail17trampoline_kernelINS0_14default_configENS1_38merge_sort_block_merge_config_selectorIcNS0_10empty_typeEEEZZNS1_27merge_sort_block_merge_implIS3_N6thrust23THRUST_200600_302600_NS6detail15normal_iteratorINS9_10device_ptrIcEEEEPS5_m14custom_greaterIcEEE10hipError_tT0_T1_T2_jT3_P12ihipStream_tbPNSt15iterator_traitsISJ_E10value_typeEPNSP_ISK_E10value_typeEPSL_NS1_7vsmem_tEENKUlT_SJ_SK_SL_E_clIPcSE_SF_SF_EESI_SY_SJ_SK_SL_EUlSY_E_NS1_11comp_targetILNS1_3genE2ELNS1_11target_archE906ELNS1_3gpuE6ELNS1_3repE0EEENS1_48merge_mergepath_partition_config_static_selectorELNS0_4arch9wavefront6targetE1EEEvSK_
                                        ; -- End function
	.section	.AMDGPU.csdata,"",@progbits
; Kernel info:
; codeLenInByte = 0
; NumSgprs: 4
; NumVgprs: 0
; NumAgprs: 0
; TotalNumVgprs: 0
; ScratchSize: 0
; MemoryBound: 0
; FloatMode: 240
; IeeeMode: 1
; LDSByteSize: 0 bytes/workgroup (compile time only)
; SGPRBlocks: 0
; VGPRBlocks: 0
; NumSGPRsForWavesPerEU: 4
; NumVGPRsForWavesPerEU: 1
; AccumOffset: 4
; Occupancy: 8
; WaveLimiterHint : 0
; COMPUTE_PGM_RSRC2:SCRATCH_EN: 0
; COMPUTE_PGM_RSRC2:USER_SGPR: 6
; COMPUTE_PGM_RSRC2:TRAP_HANDLER: 0
; COMPUTE_PGM_RSRC2:TGID_X_EN: 1
; COMPUTE_PGM_RSRC2:TGID_Y_EN: 0
; COMPUTE_PGM_RSRC2:TGID_Z_EN: 0
; COMPUTE_PGM_RSRC2:TIDIG_COMP_CNT: 0
; COMPUTE_PGM_RSRC3_GFX90A:ACCUM_OFFSET: 0
; COMPUTE_PGM_RSRC3_GFX90A:TG_SPLIT: 0
	.section	.text._ZN7rocprim17ROCPRIM_400000_NS6detail17trampoline_kernelINS0_14default_configENS1_38merge_sort_block_merge_config_selectorIcNS0_10empty_typeEEEZZNS1_27merge_sort_block_merge_implIS3_N6thrust23THRUST_200600_302600_NS6detail15normal_iteratorINS9_10device_ptrIcEEEEPS5_m14custom_greaterIcEEE10hipError_tT0_T1_T2_jT3_P12ihipStream_tbPNSt15iterator_traitsISJ_E10value_typeEPNSP_ISK_E10value_typeEPSL_NS1_7vsmem_tEENKUlT_SJ_SK_SL_E_clIPcSE_SF_SF_EESI_SY_SJ_SK_SL_EUlSY_E_NS1_11comp_targetILNS1_3genE9ELNS1_11target_archE1100ELNS1_3gpuE3ELNS1_3repE0EEENS1_48merge_mergepath_partition_config_static_selectorELNS0_4arch9wavefront6targetE1EEEvSK_,"axG",@progbits,_ZN7rocprim17ROCPRIM_400000_NS6detail17trampoline_kernelINS0_14default_configENS1_38merge_sort_block_merge_config_selectorIcNS0_10empty_typeEEEZZNS1_27merge_sort_block_merge_implIS3_N6thrust23THRUST_200600_302600_NS6detail15normal_iteratorINS9_10device_ptrIcEEEEPS5_m14custom_greaterIcEEE10hipError_tT0_T1_T2_jT3_P12ihipStream_tbPNSt15iterator_traitsISJ_E10value_typeEPNSP_ISK_E10value_typeEPSL_NS1_7vsmem_tEENKUlT_SJ_SK_SL_E_clIPcSE_SF_SF_EESI_SY_SJ_SK_SL_EUlSY_E_NS1_11comp_targetILNS1_3genE9ELNS1_11target_archE1100ELNS1_3gpuE3ELNS1_3repE0EEENS1_48merge_mergepath_partition_config_static_selectorELNS0_4arch9wavefront6targetE1EEEvSK_,comdat
	.protected	_ZN7rocprim17ROCPRIM_400000_NS6detail17trampoline_kernelINS0_14default_configENS1_38merge_sort_block_merge_config_selectorIcNS0_10empty_typeEEEZZNS1_27merge_sort_block_merge_implIS3_N6thrust23THRUST_200600_302600_NS6detail15normal_iteratorINS9_10device_ptrIcEEEEPS5_m14custom_greaterIcEEE10hipError_tT0_T1_T2_jT3_P12ihipStream_tbPNSt15iterator_traitsISJ_E10value_typeEPNSP_ISK_E10value_typeEPSL_NS1_7vsmem_tEENKUlT_SJ_SK_SL_E_clIPcSE_SF_SF_EESI_SY_SJ_SK_SL_EUlSY_E_NS1_11comp_targetILNS1_3genE9ELNS1_11target_archE1100ELNS1_3gpuE3ELNS1_3repE0EEENS1_48merge_mergepath_partition_config_static_selectorELNS0_4arch9wavefront6targetE1EEEvSK_ ; -- Begin function _ZN7rocprim17ROCPRIM_400000_NS6detail17trampoline_kernelINS0_14default_configENS1_38merge_sort_block_merge_config_selectorIcNS0_10empty_typeEEEZZNS1_27merge_sort_block_merge_implIS3_N6thrust23THRUST_200600_302600_NS6detail15normal_iteratorINS9_10device_ptrIcEEEEPS5_m14custom_greaterIcEEE10hipError_tT0_T1_T2_jT3_P12ihipStream_tbPNSt15iterator_traitsISJ_E10value_typeEPNSP_ISK_E10value_typeEPSL_NS1_7vsmem_tEENKUlT_SJ_SK_SL_E_clIPcSE_SF_SF_EESI_SY_SJ_SK_SL_EUlSY_E_NS1_11comp_targetILNS1_3genE9ELNS1_11target_archE1100ELNS1_3gpuE3ELNS1_3repE0EEENS1_48merge_mergepath_partition_config_static_selectorELNS0_4arch9wavefront6targetE1EEEvSK_
	.globl	_ZN7rocprim17ROCPRIM_400000_NS6detail17trampoline_kernelINS0_14default_configENS1_38merge_sort_block_merge_config_selectorIcNS0_10empty_typeEEEZZNS1_27merge_sort_block_merge_implIS3_N6thrust23THRUST_200600_302600_NS6detail15normal_iteratorINS9_10device_ptrIcEEEEPS5_m14custom_greaterIcEEE10hipError_tT0_T1_T2_jT3_P12ihipStream_tbPNSt15iterator_traitsISJ_E10value_typeEPNSP_ISK_E10value_typeEPSL_NS1_7vsmem_tEENKUlT_SJ_SK_SL_E_clIPcSE_SF_SF_EESI_SY_SJ_SK_SL_EUlSY_E_NS1_11comp_targetILNS1_3genE9ELNS1_11target_archE1100ELNS1_3gpuE3ELNS1_3repE0EEENS1_48merge_mergepath_partition_config_static_selectorELNS0_4arch9wavefront6targetE1EEEvSK_
	.p2align	8
	.type	_ZN7rocprim17ROCPRIM_400000_NS6detail17trampoline_kernelINS0_14default_configENS1_38merge_sort_block_merge_config_selectorIcNS0_10empty_typeEEEZZNS1_27merge_sort_block_merge_implIS3_N6thrust23THRUST_200600_302600_NS6detail15normal_iteratorINS9_10device_ptrIcEEEEPS5_m14custom_greaterIcEEE10hipError_tT0_T1_T2_jT3_P12ihipStream_tbPNSt15iterator_traitsISJ_E10value_typeEPNSP_ISK_E10value_typeEPSL_NS1_7vsmem_tEENKUlT_SJ_SK_SL_E_clIPcSE_SF_SF_EESI_SY_SJ_SK_SL_EUlSY_E_NS1_11comp_targetILNS1_3genE9ELNS1_11target_archE1100ELNS1_3gpuE3ELNS1_3repE0EEENS1_48merge_mergepath_partition_config_static_selectorELNS0_4arch9wavefront6targetE1EEEvSK_,@function
_ZN7rocprim17ROCPRIM_400000_NS6detail17trampoline_kernelINS0_14default_configENS1_38merge_sort_block_merge_config_selectorIcNS0_10empty_typeEEEZZNS1_27merge_sort_block_merge_implIS3_N6thrust23THRUST_200600_302600_NS6detail15normal_iteratorINS9_10device_ptrIcEEEEPS5_m14custom_greaterIcEEE10hipError_tT0_T1_T2_jT3_P12ihipStream_tbPNSt15iterator_traitsISJ_E10value_typeEPNSP_ISK_E10value_typeEPSL_NS1_7vsmem_tEENKUlT_SJ_SK_SL_E_clIPcSE_SF_SF_EESI_SY_SJ_SK_SL_EUlSY_E_NS1_11comp_targetILNS1_3genE9ELNS1_11target_archE1100ELNS1_3gpuE3ELNS1_3repE0EEENS1_48merge_mergepath_partition_config_static_selectorELNS0_4arch9wavefront6targetE1EEEvSK_: ; @_ZN7rocprim17ROCPRIM_400000_NS6detail17trampoline_kernelINS0_14default_configENS1_38merge_sort_block_merge_config_selectorIcNS0_10empty_typeEEEZZNS1_27merge_sort_block_merge_implIS3_N6thrust23THRUST_200600_302600_NS6detail15normal_iteratorINS9_10device_ptrIcEEEEPS5_m14custom_greaterIcEEE10hipError_tT0_T1_T2_jT3_P12ihipStream_tbPNSt15iterator_traitsISJ_E10value_typeEPNSP_ISK_E10value_typeEPSL_NS1_7vsmem_tEENKUlT_SJ_SK_SL_E_clIPcSE_SF_SF_EESI_SY_SJ_SK_SL_EUlSY_E_NS1_11comp_targetILNS1_3genE9ELNS1_11target_archE1100ELNS1_3gpuE3ELNS1_3repE0EEENS1_48merge_mergepath_partition_config_static_selectorELNS0_4arch9wavefront6targetE1EEEvSK_
; %bb.0:
	.section	.rodata,"a",@progbits
	.p2align	6, 0x0
	.amdhsa_kernel _ZN7rocprim17ROCPRIM_400000_NS6detail17trampoline_kernelINS0_14default_configENS1_38merge_sort_block_merge_config_selectorIcNS0_10empty_typeEEEZZNS1_27merge_sort_block_merge_implIS3_N6thrust23THRUST_200600_302600_NS6detail15normal_iteratorINS9_10device_ptrIcEEEEPS5_m14custom_greaterIcEEE10hipError_tT0_T1_T2_jT3_P12ihipStream_tbPNSt15iterator_traitsISJ_E10value_typeEPNSP_ISK_E10value_typeEPSL_NS1_7vsmem_tEENKUlT_SJ_SK_SL_E_clIPcSE_SF_SF_EESI_SY_SJ_SK_SL_EUlSY_E_NS1_11comp_targetILNS1_3genE9ELNS1_11target_archE1100ELNS1_3gpuE3ELNS1_3repE0EEENS1_48merge_mergepath_partition_config_static_selectorELNS0_4arch9wavefront6targetE1EEEvSK_
		.amdhsa_group_segment_fixed_size 0
		.amdhsa_private_segment_fixed_size 0
		.amdhsa_kernarg_size 48
		.amdhsa_user_sgpr_count 6
		.amdhsa_user_sgpr_private_segment_buffer 1
		.amdhsa_user_sgpr_dispatch_ptr 0
		.amdhsa_user_sgpr_queue_ptr 0
		.amdhsa_user_sgpr_kernarg_segment_ptr 1
		.amdhsa_user_sgpr_dispatch_id 0
		.amdhsa_user_sgpr_flat_scratch_init 0
		.amdhsa_user_sgpr_kernarg_preload_length 0
		.amdhsa_user_sgpr_kernarg_preload_offset 0
		.amdhsa_user_sgpr_private_segment_size 0
		.amdhsa_uses_dynamic_stack 0
		.amdhsa_system_sgpr_private_segment_wavefront_offset 0
		.amdhsa_system_sgpr_workgroup_id_x 1
		.amdhsa_system_sgpr_workgroup_id_y 0
		.amdhsa_system_sgpr_workgroup_id_z 0
		.amdhsa_system_sgpr_workgroup_info 0
		.amdhsa_system_vgpr_workitem_id 0
		.amdhsa_next_free_vgpr 1
		.amdhsa_next_free_sgpr 0
		.amdhsa_accum_offset 4
		.amdhsa_reserve_vcc 0
		.amdhsa_reserve_flat_scratch 0
		.amdhsa_float_round_mode_32 0
		.amdhsa_float_round_mode_16_64 0
		.amdhsa_float_denorm_mode_32 3
		.amdhsa_float_denorm_mode_16_64 3
		.amdhsa_dx10_clamp 1
		.amdhsa_ieee_mode 1
		.amdhsa_fp16_overflow 0
		.amdhsa_tg_split 0
		.amdhsa_exception_fp_ieee_invalid_op 0
		.amdhsa_exception_fp_denorm_src 0
		.amdhsa_exception_fp_ieee_div_zero 0
		.amdhsa_exception_fp_ieee_overflow 0
		.amdhsa_exception_fp_ieee_underflow 0
		.amdhsa_exception_fp_ieee_inexact 0
		.amdhsa_exception_int_div_zero 0
	.end_amdhsa_kernel
	.section	.text._ZN7rocprim17ROCPRIM_400000_NS6detail17trampoline_kernelINS0_14default_configENS1_38merge_sort_block_merge_config_selectorIcNS0_10empty_typeEEEZZNS1_27merge_sort_block_merge_implIS3_N6thrust23THRUST_200600_302600_NS6detail15normal_iteratorINS9_10device_ptrIcEEEEPS5_m14custom_greaterIcEEE10hipError_tT0_T1_T2_jT3_P12ihipStream_tbPNSt15iterator_traitsISJ_E10value_typeEPNSP_ISK_E10value_typeEPSL_NS1_7vsmem_tEENKUlT_SJ_SK_SL_E_clIPcSE_SF_SF_EESI_SY_SJ_SK_SL_EUlSY_E_NS1_11comp_targetILNS1_3genE9ELNS1_11target_archE1100ELNS1_3gpuE3ELNS1_3repE0EEENS1_48merge_mergepath_partition_config_static_selectorELNS0_4arch9wavefront6targetE1EEEvSK_,"axG",@progbits,_ZN7rocprim17ROCPRIM_400000_NS6detail17trampoline_kernelINS0_14default_configENS1_38merge_sort_block_merge_config_selectorIcNS0_10empty_typeEEEZZNS1_27merge_sort_block_merge_implIS3_N6thrust23THRUST_200600_302600_NS6detail15normal_iteratorINS9_10device_ptrIcEEEEPS5_m14custom_greaterIcEEE10hipError_tT0_T1_T2_jT3_P12ihipStream_tbPNSt15iterator_traitsISJ_E10value_typeEPNSP_ISK_E10value_typeEPSL_NS1_7vsmem_tEENKUlT_SJ_SK_SL_E_clIPcSE_SF_SF_EESI_SY_SJ_SK_SL_EUlSY_E_NS1_11comp_targetILNS1_3genE9ELNS1_11target_archE1100ELNS1_3gpuE3ELNS1_3repE0EEENS1_48merge_mergepath_partition_config_static_selectorELNS0_4arch9wavefront6targetE1EEEvSK_,comdat
.Lfunc_end2715:
	.size	_ZN7rocprim17ROCPRIM_400000_NS6detail17trampoline_kernelINS0_14default_configENS1_38merge_sort_block_merge_config_selectorIcNS0_10empty_typeEEEZZNS1_27merge_sort_block_merge_implIS3_N6thrust23THRUST_200600_302600_NS6detail15normal_iteratorINS9_10device_ptrIcEEEEPS5_m14custom_greaterIcEEE10hipError_tT0_T1_T2_jT3_P12ihipStream_tbPNSt15iterator_traitsISJ_E10value_typeEPNSP_ISK_E10value_typeEPSL_NS1_7vsmem_tEENKUlT_SJ_SK_SL_E_clIPcSE_SF_SF_EESI_SY_SJ_SK_SL_EUlSY_E_NS1_11comp_targetILNS1_3genE9ELNS1_11target_archE1100ELNS1_3gpuE3ELNS1_3repE0EEENS1_48merge_mergepath_partition_config_static_selectorELNS0_4arch9wavefront6targetE1EEEvSK_, .Lfunc_end2715-_ZN7rocprim17ROCPRIM_400000_NS6detail17trampoline_kernelINS0_14default_configENS1_38merge_sort_block_merge_config_selectorIcNS0_10empty_typeEEEZZNS1_27merge_sort_block_merge_implIS3_N6thrust23THRUST_200600_302600_NS6detail15normal_iteratorINS9_10device_ptrIcEEEEPS5_m14custom_greaterIcEEE10hipError_tT0_T1_T2_jT3_P12ihipStream_tbPNSt15iterator_traitsISJ_E10value_typeEPNSP_ISK_E10value_typeEPSL_NS1_7vsmem_tEENKUlT_SJ_SK_SL_E_clIPcSE_SF_SF_EESI_SY_SJ_SK_SL_EUlSY_E_NS1_11comp_targetILNS1_3genE9ELNS1_11target_archE1100ELNS1_3gpuE3ELNS1_3repE0EEENS1_48merge_mergepath_partition_config_static_selectorELNS0_4arch9wavefront6targetE1EEEvSK_
                                        ; -- End function
	.section	.AMDGPU.csdata,"",@progbits
; Kernel info:
; codeLenInByte = 0
; NumSgprs: 4
; NumVgprs: 0
; NumAgprs: 0
; TotalNumVgprs: 0
; ScratchSize: 0
; MemoryBound: 0
; FloatMode: 240
; IeeeMode: 1
; LDSByteSize: 0 bytes/workgroup (compile time only)
; SGPRBlocks: 0
; VGPRBlocks: 0
; NumSGPRsForWavesPerEU: 4
; NumVGPRsForWavesPerEU: 1
; AccumOffset: 4
; Occupancy: 8
; WaveLimiterHint : 0
; COMPUTE_PGM_RSRC2:SCRATCH_EN: 0
; COMPUTE_PGM_RSRC2:USER_SGPR: 6
; COMPUTE_PGM_RSRC2:TRAP_HANDLER: 0
; COMPUTE_PGM_RSRC2:TGID_X_EN: 1
; COMPUTE_PGM_RSRC2:TGID_Y_EN: 0
; COMPUTE_PGM_RSRC2:TGID_Z_EN: 0
; COMPUTE_PGM_RSRC2:TIDIG_COMP_CNT: 0
; COMPUTE_PGM_RSRC3_GFX90A:ACCUM_OFFSET: 0
; COMPUTE_PGM_RSRC3_GFX90A:TG_SPLIT: 0
	.section	.text._ZN7rocprim17ROCPRIM_400000_NS6detail17trampoline_kernelINS0_14default_configENS1_38merge_sort_block_merge_config_selectorIcNS0_10empty_typeEEEZZNS1_27merge_sort_block_merge_implIS3_N6thrust23THRUST_200600_302600_NS6detail15normal_iteratorINS9_10device_ptrIcEEEEPS5_m14custom_greaterIcEEE10hipError_tT0_T1_T2_jT3_P12ihipStream_tbPNSt15iterator_traitsISJ_E10value_typeEPNSP_ISK_E10value_typeEPSL_NS1_7vsmem_tEENKUlT_SJ_SK_SL_E_clIPcSE_SF_SF_EESI_SY_SJ_SK_SL_EUlSY_E_NS1_11comp_targetILNS1_3genE8ELNS1_11target_archE1030ELNS1_3gpuE2ELNS1_3repE0EEENS1_48merge_mergepath_partition_config_static_selectorELNS0_4arch9wavefront6targetE1EEEvSK_,"axG",@progbits,_ZN7rocprim17ROCPRIM_400000_NS6detail17trampoline_kernelINS0_14default_configENS1_38merge_sort_block_merge_config_selectorIcNS0_10empty_typeEEEZZNS1_27merge_sort_block_merge_implIS3_N6thrust23THRUST_200600_302600_NS6detail15normal_iteratorINS9_10device_ptrIcEEEEPS5_m14custom_greaterIcEEE10hipError_tT0_T1_T2_jT3_P12ihipStream_tbPNSt15iterator_traitsISJ_E10value_typeEPNSP_ISK_E10value_typeEPSL_NS1_7vsmem_tEENKUlT_SJ_SK_SL_E_clIPcSE_SF_SF_EESI_SY_SJ_SK_SL_EUlSY_E_NS1_11comp_targetILNS1_3genE8ELNS1_11target_archE1030ELNS1_3gpuE2ELNS1_3repE0EEENS1_48merge_mergepath_partition_config_static_selectorELNS0_4arch9wavefront6targetE1EEEvSK_,comdat
	.protected	_ZN7rocprim17ROCPRIM_400000_NS6detail17trampoline_kernelINS0_14default_configENS1_38merge_sort_block_merge_config_selectorIcNS0_10empty_typeEEEZZNS1_27merge_sort_block_merge_implIS3_N6thrust23THRUST_200600_302600_NS6detail15normal_iteratorINS9_10device_ptrIcEEEEPS5_m14custom_greaterIcEEE10hipError_tT0_T1_T2_jT3_P12ihipStream_tbPNSt15iterator_traitsISJ_E10value_typeEPNSP_ISK_E10value_typeEPSL_NS1_7vsmem_tEENKUlT_SJ_SK_SL_E_clIPcSE_SF_SF_EESI_SY_SJ_SK_SL_EUlSY_E_NS1_11comp_targetILNS1_3genE8ELNS1_11target_archE1030ELNS1_3gpuE2ELNS1_3repE0EEENS1_48merge_mergepath_partition_config_static_selectorELNS0_4arch9wavefront6targetE1EEEvSK_ ; -- Begin function _ZN7rocprim17ROCPRIM_400000_NS6detail17trampoline_kernelINS0_14default_configENS1_38merge_sort_block_merge_config_selectorIcNS0_10empty_typeEEEZZNS1_27merge_sort_block_merge_implIS3_N6thrust23THRUST_200600_302600_NS6detail15normal_iteratorINS9_10device_ptrIcEEEEPS5_m14custom_greaterIcEEE10hipError_tT0_T1_T2_jT3_P12ihipStream_tbPNSt15iterator_traitsISJ_E10value_typeEPNSP_ISK_E10value_typeEPSL_NS1_7vsmem_tEENKUlT_SJ_SK_SL_E_clIPcSE_SF_SF_EESI_SY_SJ_SK_SL_EUlSY_E_NS1_11comp_targetILNS1_3genE8ELNS1_11target_archE1030ELNS1_3gpuE2ELNS1_3repE0EEENS1_48merge_mergepath_partition_config_static_selectorELNS0_4arch9wavefront6targetE1EEEvSK_
	.globl	_ZN7rocprim17ROCPRIM_400000_NS6detail17trampoline_kernelINS0_14default_configENS1_38merge_sort_block_merge_config_selectorIcNS0_10empty_typeEEEZZNS1_27merge_sort_block_merge_implIS3_N6thrust23THRUST_200600_302600_NS6detail15normal_iteratorINS9_10device_ptrIcEEEEPS5_m14custom_greaterIcEEE10hipError_tT0_T1_T2_jT3_P12ihipStream_tbPNSt15iterator_traitsISJ_E10value_typeEPNSP_ISK_E10value_typeEPSL_NS1_7vsmem_tEENKUlT_SJ_SK_SL_E_clIPcSE_SF_SF_EESI_SY_SJ_SK_SL_EUlSY_E_NS1_11comp_targetILNS1_3genE8ELNS1_11target_archE1030ELNS1_3gpuE2ELNS1_3repE0EEENS1_48merge_mergepath_partition_config_static_selectorELNS0_4arch9wavefront6targetE1EEEvSK_
	.p2align	8
	.type	_ZN7rocprim17ROCPRIM_400000_NS6detail17trampoline_kernelINS0_14default_configENS1_38merge_sort_block_merge_config_selectorIcNS0_10empty_typeEEEZZNS1_27merge_sort_block_merge_implIS3_N6thrust23THRUST_200600_302600_NS6detail15normal_iteratorINS9_10device_ptrIcEEEEPS5_m14custom_greaterIcEEE10hipError_tT0_T1_T2_jT3_P12ihipStream_tbPNSt15iterator_traitsISJ_E10value_typeEPNSP_ISK_E10value_typeEPSL_NS1_7vsmem_tEENKUlT_SJ_SK_SL_E_clIPcSE_SF_SF_EESI_SY_SJ_SK_SL_EUlSY_E_NS1_11comp_targetILNS1_3genE8ELNS1_11target_archE1030ELNS1_3gpuE2ELNS1_3repE0EEENS1_48merge_mergepath_partition_config_static_selectorELNS0_4arch9wavefront6targetE1EEEvSK_,@function
_ZN7rocprim17ROCPRIM_400000_NS6detail17trampoline_kernelINS0_14default_configENS1_38merge_sort_block_merge_config_selectorIcNS0_10empty_typeEEEZZNS1_27merge_sort_block_merge_implIS3_N6thrust23THRUST_200600_302600_NS6detail15normal_iteratorINS9_10device_ptrIcEEEEPS5_m14custom_greaterIcEEE10hipError_tT0_T1_T2_jT3_P12ihipStream_tbPNSt15iterator_traitsISJ_E10value_typeEPNSP_ISK_E10value_typeEPSL_NS1_7vsmem_tEENKUlT_SJ_SK_SL_E_clIPcSE_SF_SF_EESI_SY_SJ_SK_SL_EUlSY_E_NS1_11comp_targetILNS1_3genE8ELNS1_11target_archE1030ELNS1_3gpuE2ELNS1_3repE0EEENS1_48merge_mergepath_partition_config_static_selectorELNS0_4arch9wavefront6targetE1EEEvSK_: ; @_ZN7rocprim17ROCPRIM_400000_NS6detail17trampoline_kernelINS0_14default_configENS1_38merge_sort_block_merge_config_selectorIcNS0_10empty_typeEEEZZNS1_27merge_sort_block_merge_implIS3_N6thrust23THRUST_200600_302600_NS6detail15normal_iteratorINS9_10device_ptrIcEEEEPS5_m14custom_greaterIcEEE10hipError_tT0_T1_T2_jT3_P12ihipStream_tbPNSt15iterator_traitsISJ_E10value_typeEPNSP_ISK_E10value_typeEPSL_NS1_7vsmem_tEENKUlT_SJ_SK_SL_E_clIPcSE_SF_SF_EESI_SY_SJ_SK_SL_EUlSY_E_NS1_11comp_targetILNS1_3genE8ELNS1_11target_archE1030ELNS1_3gpuE2ELNS1_3repE0EEENS1_48merge_mergepath_partition_config_static_selectorELNS0_4arch9wavefront6targetE1EEEvSK_
; %bb.0:
	.section	.rodata,"a",@progbits
	.p2align	6, 0x0
	.amdhsa_kernel _ZN7rocprim17ROCPRIM_400000_NS6detail17trampoline_kernelINS0_14default_configENS1_38merge_sort_block_merge_config_selectorIcNS0_10empty_typeEEEZZNS1_27merge_sort_block_merge_implIS3_N6thrust23THRUST_200600_302600_NS6detail15normal_iteratorINS9_10device_ptrIcEEEEPS5_m14custom_greaterIcEEE10hipError_tT0_T1_T2_jT3_P12ihipStream_tbPNSt15iterator_traitsISJ_E10value_typeEPNSP_ISK_E10value_typeEPSL_NS1_7vsmem_tEENKUlT_SJ_SK_SL_E_clIPcSE_SF_SF_EESI_SY_SJ_SK_SL_EUlSY_E_NS1_11comp_targetILNS1_3genE8ELNS1_11target_archE1030ELNS1_3gpuE2ELNS1_3repE0EEENS1_48merge_mergepath_partition_config_static_selectorELNS0_4arch9wavefront6targetE1EEEvSK_
		.amdhsa_group_segment_fixed_size 0
		.amdhsa_private_segment_fixed_size 0
		.amdhsa_kernarg_size 48
		.amdhsa_user_sgpr_count 6
		.amdhsa_user_sgpr_private_segment_buffer 1
		.amdhsa_user_sgpr_dispatch_ptr 0
		.amdhsa_user_sgpr_queue_ptr 0
		.amdhsa_user_sgpr_kernarg_segment_ptr 1
		.amdhsa_user_sgpr_dispatch_id 0
		.amdhsa_user_sgpr_flat_scratch_init 0
		.amdhsa_user_sgpr_kernarg_preload_length 0
		.amdhsa_user_sgpr_kernarg_preload_offset 0
		.amdhsa_user_sgpr_private_segment_size 0
		.amdhsa_uses_dynamic_stack 0
		.amdhsa_system_sgpr_private_segment_wavefront_offset 0
		.amdhsa_system_sgpr_workgroup_id_x 1
		.amdhsa_system_sgpr_workgroup_id_y 0
		.amdhsa_system_sgpr_workgroup_id_z 0
		.amdhsa_system_sgpr_workgroup_info 0
		.amdhsa_system_vgpr_workitem_id 0
		.amdhsa_next_free_vgpr 1
		.amdhsa_next_free_sgpr 0
		.amdhsa_accum_offset 4
		.amdhsa_reserve_vcc 0
		.amdhsa_reserve_flat_scratch 0
		.amdhsa_float_round_mode_32 0
		.amdhsa_float_round_mode_16_64 0
		.amdhsa_float_denorm_mode_32 3
		.amdhsa_float_denorm_mode_16_64 3
		.amdhsa_dx10_clamp 1
		.amdhsa_ieee_mode 1
		.amdhsa_fp16_overflow 0
		.amdhsa_tg_split 0
		.amdhsa_exception_fp_ieee_invalid_op 0
		.amdhsa_exception_fp_denorm_src 0
		.amdhsa_exception_fp_ieee_div_zero 0
		.amdhsa_exception_fp_ieee_overflow 0
		.amdhsa_exception_fp_ieee_underflow 0
		.amdhsa_exception_fp_ieee_inexact 0
		.amdhsa_exception_int_div_zero 0
	.end_amdhsa_kernel
	.section	.text._ZN7rocprim17ROCPRIM_400000_NS6detail17trampoline_kernelINS0_14default_configENS1_38merge_sort_block_merge_config_selectorIcNS0_10empty_typeEEEZZNS1_27merge_sort_block_merge_implIS3_N6thrust23THRUST_200600_302600_NS6detail15normal_iteratorINS9_10device_ptrIcEEEEPS5_m14custom_greaterIcEEE10hipError_tT0_T1_T2_jT3_P12ihipStream_tbPNSt15iterator_traitsISJ_E10value_typeEPNSP_ISK_E10value_typeEPSL_NS1_7vsmem_tEENKUlT_SJ_SK_SL_E_clIPcSE_SF_SF_EESI_SY_SJ_SK_SL_EUlSY_E_NS1_11comp_targetILNS1_3genE8ELNS1_11target_archE1030ELNS1_3gpuE2ELNS1_3repE0EEENS1_48merge_mergepath_partition_config_static_selectorELNS0_4arch9wavefront6targetE1EEEvSK_,"axG",@progbits,_ZN7rocprim17ROCPRIM_400000_NS6detail17trampoline_kernelINS0_14default_configENS1_38merge_sort_block_merge_config_selectorIcNS0_10empty_typeEEEZZNS1_27merge_sort_block_merge_implIS3_N6thrust23THRUST_200600_302600_NS6detail15normal_iteratorINS9_10device_ptrIcEEEEPS5_m14custom_greaterIcEEE10hipError_tT0_T1_T2_jT3_P12ihipStream_tbPNSt15iterator_traitsISJ_E10value_typeEPNSP_ISK_E10value_typeEPSL_NS1_7vsmem_tEENKUlT_SJ_SK_SL_E_clIPcSE_SF_SF_EESI_SY_SJ_SK_SL_EUlSY_E_NS1_11comp_targetILNS1_3genE8ELNS1_11target_archE1030ELNS1_3gpuE2ELNS1_3repE0EEENS1_48merge_mergepath_partition_config_static_selectorELNS0_4arch9wavefront6targetE1EEEvSK_,comdat
.Lfunc_end2716:
	.size	_ZN7rocprim17ROCPRIM_400000_NS6detail17trampoline_kernelINS0_14default_configENS1_38merge_sort_block_merge_config_selectorIcNS0_10empty_typeEEEZZNS1_27merge_sort_block_merge_implIS3_N6thrust23THRUST_200600_302600_NS6detail15normal_iteratorINS9_10device_ptrIcEEEEPS5_m14custom_greaterIcEEE10hipError_tT0_T1_T2_jT3_P12ihipStream_tbPNSt15iterator_traitsISJ_E10value_typeEPNSP_ISK_E10value_typeEPSL_NS1_7vsmem_tEENKUlT_SJ_SK_SL_E_clIPcSE_SF_SF_EESI_SY_SJ_SK_SL_EUlSY_E_NS1_11comp_targetILNS1_3genE8ELNS1_11target_archE1030ELNS1_3gpuE2ELNS1_3repE0EEENS1_48merge_mergepath_partition_config_static_selectorELNS0_4arch9wavefront6targetE1EEEvSK_, .Lfunc_end2716-_ZN7rocprim17ROCPRIM_400000_NS6detail17trampoline_kernelINS0_14default_configENS1_38merge_sort_block_merge_config_selectorIcNS0_10empty_typeEEEZZNS1_27merge_sort_block_merge_implIS3_N6thrust23THRUST_200600_302600_NS6detail15normal_iteratorINS9_10device_ptrIcEEEEPS5_m14custom_greaterIcEEE10hipError_tT0_T1_T2_jT3_P12ihipStream_tbPNSt15iterator_traitsISJ_E10value_typeEPNSP_ISK_E10value_typeEPSL_NS1_7vsmem_tEENKUlT_SJ_SK_SL_E_clIPcSE_SF_SF_EESI_SY_SJ_SK_SL_EUlSY_E_NS1_11comp_targetILNS1_3genE8ELNS1_11target_archE1030ELNS1_3gpuE2ELNS1_3repE0EEENS1_48merge_mergepath_partition_config_static_selectorELNS0_4arch9wavefront6targetE1EEEvSK_
                                        ; -- End function
	.section	.AMDGPU.csdata,"",@progbits
; Kernel info:
; codeLenInByte = 0
; NumSgprs: 4
; NumVgprs: 0
; NumAgprs: 0
; TotalNumVgprs: 0
; ScratchSize: 0
; MemoryBound: 0
; FloatMode: 240
; IeeeMode: 1
; LDSByteSize: 0 bytes/workgroup (compile time only)
; SGPRBlocks: 0
; VGPRBlocks: 0
; NumSGPRsForWavesPerEU: 4
; NumVGPRsForWavesPerEU: 1
; AccumOffset: 4
; Occupancy: 8
; WaveLimiterHint : 0
; COMPUTE_PGM_RSRC2:SCRATCH_EN: 0
; COMPUTE_PGM_RSRC2:USER_SGPR: 6
; COMPUTE_PGM_RSRC2:TRAP_HANDLER: 0
; COMPUTE_PGM_RSRC2:TGID_X_EN: 1
; COMPUTE_PGM_RSRC2:TGID_Y_EN: 0
; COMPUTE_PGM_RSRC2:TGID_Z_EN: 0
; COMPUTE_PGM_RSRC2:TIDIG_COMP_CNT: 0
; COMPUTE_PGM_RSRC3_GFX90A:ACCUM_OFFSET: 0
; COMPUTE_PGM_RSRC3_GFX90A:TG_SPLIT: 0
	.section	.text._ZN7rocprim17ROCPRIM_400000_NS6detail17trampoline_kernelINS0_14default_configENS1_38merge_sort_block_merge_config_selectorIcNS0_10empty_typeEEEZZNS1_27merge_sort_block_merge_implIS3_N6thrust23THRUST_200600_302600_NS6detail15normal_iteratorINS9_10device_ptrIcEEEEPS5_m14custom_greaterIcEEE10hipError_tT0_T1_T2_jT3_P12ihipStream_tbPNSt15iterator_traitsISJ_E10value_typeEPNSP_ISK_E10value_typeEPSL_NS1_7vsmem_tEENKUlT_SJ_SK_SL_E_clIPcSE_SF_SF_EESI_SY_SJ_SK_SL_EUlSY_E0_NS1_11comp_targetILNS1_3genE0ELNS1_11target_archE4294967295ELNS1_3gpuE0ELNS1_3repE0EEENS1_38merge_mergepath_config_static_selectorELNS0_4arch9wavefront6targetE1EEEvSK_,"axG",@progbits,_ZN7rocprim17ROCPRIM_400000_NS6detail17trampoline_kernelINS0_14default_configENS1_38merge_sort_block_merge_config_selectorIcNS0_10empty_typeEEEZZNS1_27merge_sort_block_merge_implIS3_N6thrust23THRUST_200600_302600_NS6detail15normal_iteratorINS9_10device_ptrIcEEEEPS5_m14custom_greaterIcEEE10hipError_tT0_T1_T2_jT3_P12ihipStream_tbPNSt15iterator_traitsISJ_E10value_typeEPNSP_ISK_E10value_typeEPSL_NS1_7vsmem_tEENKUlT_SJ_SK_SL_E_clIPcSE_SF_SF_EESI_SY_SJ_SK_SL_EUlSY_E0_NS1_11comp_targetILNS1_3genE0ELNS1_11target_archE4294967295ELNS1_3gpuE0ELNS1_3repE0EEENS1_38merge_mergepath_config_static_selectorELNS0_4arch9wavefront6targetE1EEEvSK_,comdat
	.protected	_ZN7rocprim17ROCPRIM_400000_NS6detail17trampoline_kernelINS0_14default_configENS1_38merge_sort_block_merge_config_selectorIcNS0_10empty_typeEEEZZNS1_27merge_sort_block_merge_implIS3_N6thrust23THRUST_200600_302600_NS6detail15normal_iteratorINS9_10device_ptrIcEEEEPS5_m14custom_greaterIcEEE10hipError_tT0_T1_T2_jT3_P12ihipStream_tbPNSt15iterator_traitsISJ_E10value_typeEPNSP_ISK_E10value_typeEPSL_NS1_7vsmem_tEENKUlT_SJ_SK_SL_E_clIPcSE_SF_SF_EESI_SY_SJ_SK_SL_EUlSY_E0_NS1_11comp_targetILNS1_3genE0ELNS1_11target_archE4294967295ELNS1_3gpuE0ELNS1_3repE0EEENS1_38merge_mergepath_config_static_selectorELNS0_4arch9wavefront6targetE1EEEvSK_ ; -- Begin function _ZN7rocprim17ROCPRIM_400000_NS6detail17trampoline_kernelINS0_14default_configENS1_38merge_sort_block_merge_config_selectorIcNS0_10empty_typeEEEZZNS1_27merge_sort_block_merge_implIS3_N6thrust23THRUST_200600_302600_NS6detail15normal_iteratorINS9_10device_ptrIcEEEEPS5_m14custom_greaterIcEEE10hipError_tT0_T1_T2_jT3_P12ihipStream_tbPNSt15iterator_traitsISJ_E10value_typeEPNSP_ISK_E10value_typeEPSL_NS1_7vsmem_tEENKUlT_SJ_SK_SL_E_clIPcSE_SF_SF_EESI_SY_SJ_SK_SL_EUlSY_E0_NS1_11comp_targetILNS1_3genE0ELNS1_11target_archE4294967295ELNS1_3gpuE0ELNS1_3repE0EEENS1_38merge_mergepath_config_static_selectorELNS0_4arch9wavefront6targetE1EEEvSK_
	.globl	_ZN7rocprim17ROCPRIM_400000_NS6detail17trampoline_kernelINS0_14default_configENS1_38merge_sort_block_merge_config_selectorIcNS0_10empty_typeEEEZZNS1_27merge_sort_block_merge_implIS3_N6thrust23THRUST_200600_302600_NS6detail15normal_iteratorINS9_10device_ptrIcEEEEPS5_m14custom_greaterIcEEE10hipError_tT0_T1_T2_jT3_P12ihipStream_tbPNSt15iterator_traitsISJ_E10value_typeEPNSP_ISK_E10value_typeEPSL_NS1_7vsmem_tEENKUlT_SJ_SK_SL_E_clIPcSE_SF_SF_EESI_SY_SJ_SK_SL_EUlSY_E0_NS1_11comp_targetILNS1_3genE0ELNS1_11target_archE4294967295ELNS1_3gpuE0ELNS1_3repE0EEENS1_38merge_mergepath_config_static_selectorELNS0_4arch9wavefront6targetE1EEEvSK_
	.p2align	8
	.type	_ZN7rocprim17ROCPRIM_400000_NS6detail17trampoline_kernelINS0_14default_configENS1_38merge_sort_block_merge_config_selectorIcNS0_10empty_typeEEEZZNS1_27merge_sort_block_merge_implIS3_N6thrust23THRUST_200600_302600_NS6detail15normal_iteratorINS9_10device_ptrIcEEEEPS5_m14custom_greaterIcEEE10hipError_tT0_T1_T2_jT3_P12ihipStream_tbPNSt15iterator_traitsISJ_E10value_typeEPNSP_ISK_E10value_typeEPSL_NS1_7vsmem_tEENKUlT_SJ_SK_SL_E_clIPcSE_SF_SF_EESI_SY_SJ_SK_SL_EUlSY_E0_NS1_11comp_targetILNS1_3genE0ELNS1_11target_archE4294967295ELNS1_3gpuE0ELNS1_3repE0EEENS1_38merge_mergepath_config_static_selectorELNS0_4arch9wavefront6targetE1EEEvSK_,@function
_ZN7rocprim17ROCPRIM_400000_NS6detail17trampoline_kernelINS0_14default_configENS1_38merge_sort_block_merge_config_selectorIcNS0_10empty_typeEEEZZNS1_27merge_sort_block_merge_implIS3_N6thrust23THRUST_200600_302600_NS6detail15normal_iteratorINS9_10device_ptrIcEEEEPS5_m14custom_greaterIcEEE10hipError_tT0_T1_T2_jT3_P12ihipStream_tbPNSt15iterator_traitsISJ_E10value_typeEPNSP_ISK_E10value_typeEPSL_NS1_7vsmem_tEENKUlT_SJ_SK_SL_E_clIPcSE_SF_SF_EESI_SY_SJ_SK_SL_EUlSY_E0_NS1_11comp_targetILNS1_3genE0ELNS1_11target_archE4294967295ELNS1_3gpuE0ELNS1_3repE0EEENS1_38merge_mergepath_config_static_selectorELNS0_4arch9wavefront6targetE1EEEvSK_: ; @_ZN7rocprim17ROCPRIM_400000_NS6detail17trampoline_kernelINS0_14default_configENS1_38merge_sort_block_merge_config_selectorIcNS0_10empty_typeEEEZZNS1_27merge_sort_block_merge_implIS3_N6thrust23THRUST_200600_302600_NS6detail15normal_iteratorINS9_10device_ptrIcEEEEPS5_m14custom_greaterIcEEE10hipError_tT0_T1_T2_jT3_P12ihipStream_tbPNSt15iterator_traitsISJ_E10value_typeEPNSP_ISK_E10value_typeEPSL_NS1_7vsmem_tEENKUlT_SJ_SK_SL_E_clIPcSE_SF_SF_EESI_SY_SJ_SK_SL_EUlSY_E0_NS1_11comp_targetILNS1_3genE0ELNS1_11target_archE4294967295ELNS1_3gpuE0ELNS1_3repE0EEENS1_38merge_mergepath_config_static_selectorELNS0_4arch9wavefront6targetE1EEEvSK_
; %bb.0:
	.section	.rodata,"a",@progbits
	.p2align	6, 0x0
	.amdhsa_kernel _ZN7rocprim17ROCPRIM_400000_NS6detail17trampoline_kernelINS0_14default_configENS1_38merge_sort_block_merge_config_selectorIcNS0_10empty_typeEEEZZNS1_27merge_sort_block_merge_implIS3_N6thrust23THRUST_200600_302600_NS6detail15normal_iteratorINS9_10device_ptrIcEEEEPS5_m14custom_greaterIcEEE10hipError_tT0_T1_T2_jT3_P12ihipStream_tbPNSt15iterator_traitsISJ_E10value_typeEPNSP_ISK_E10value_typeEPSL_NS1_7vsmem_tEENKUlT_SJ_SK_SL_E_clIPcSE_SF_SF_EESI_SY_SJ_SK_SL_EUlSY_E0_NS1_11comp_targetILNS1_3genE0ELNS1_11target_archE4294967295ELNS1_3gpuE0ELNS1_3repE0EEENS1_38merge_mergepath_config_static_selectorELNS0_4arch9wavefront6targetE1EEEvSK_
		.amdhsa_group_segment_fixed_size 0
		.amdhsa_private_segment_fixed_size 0
		.amdhsa_kernarg_size 72
		.amdhsa_user_sgpr_count 6
		.amdhsa_user_sgpr_private_segment_buffer 1
		.amdhsa_user_sgpr_dispatch_ptr 0
		.amdhsa_user_sgpr_queue_ptr 0
		.amdhsa_user_sgpr_kernarg_segment_ptr 1
		.amdhsa_user_sgpr_dispatch_id 0
		.amdhsa_user_sgpr_flat_scratch_init 0
		.amdhsa_user_sgpr_kernarg_preload_length 0
		.amdhsa_user_sgpr_kernarg_preload_offset 0
		.amdhsa_user_sgpr_private_segment_size 0
		.amdhsa_uses_dynamic_stack 0
		.amdhsa_system_sgpr_private_segment_wavefront_offset 0
		.amdhsa_system_sgpr_workgroup_id_x 1
		.amdhsa_system_sgpr_workgroup_id_y 0
		.amdhsa_system_sgpr_workgroup_id_z 0
		.amdhsa_system_sgpr_workgroup_info 0
		.amdhsa_system_vgpr_workitem_id 0
		.amdhsa_next_free_vgpr 1
		.amdhsa_next_free_sgpr 0
		.amdhsa_accum_offset 4
		.amdhsa_reserve_vcc 0
		.amdhsa_reserve_flat_scratch 0
		.amdhsa_float_round_mode_32 0
		.amdhsa_float_round_mode_16_64 0
		.amdhsa_float_denorm_mode_32 3
		.amdhsa_float_denorm_mode_16_64 3
		.amdhsa_dx10_clamp 1
		.amdhsa_ieee_mode 1
		.amdhsa_fp16_overflow 0
		.amdhsa_tg_split 0
		.amdhsa_exception_fp_ieee_invalid_op 0
		.amdhsa_exception_fp_denorm_src 0
		.amdhsa_exception_fp_ieee_div_zero 0
		.amdhsa_exception_fp_ieee_overflow 0
		.amdhsa_exception_fp_ieee_underflow 0
		.amdhsa_exception_fp_ieee_inexact 0
		.amdhsa_exception_int_div_zero 0
	.end_amdhsa_kernel
	.section	.text._ZN7rocprim17ROCPRIM_400000_NS6detail17trampoline_kernelINS0_14default_configENS1_38merge_sort_block_merge_config_selectorIcNS0_10empty_typeEEEZZNS1_27merge_sort_block_merge_implIS3_N6thrust23THRUST_200600_302600_NS6detail15normal_iteratorINS9_10device_ptrIcEEEEPS5_m14custom_greaterIcEEE10hipError_tT0_T1_T2_jT3_P12ihipStream_tbPNSt15iterator_traitsISJ_E10value_typeEPNSP_ISK_E10value_typeEPSL_NS1_7vsmem_tEENKUlT_SJ_SK_SL_E_clIPcSE_SF_SF_EESI_SY_SJ_SK_SL_EUlSY_E0_NS1_11comp_targetILNS1_3genE0ELNS1_11target_archE4294967295ELNS1_3gpuE0ELNS1_3repE0EEENS1_38merge_mergepath_config_static_selectorELNS0_4arch9wavefront6targetE1EEEvSK_,"axG",@progbits,_ZN7rocprim17ROCPRIM_400000_NS6detail17trampoline_kernelINS0_14default_configENS1_38merge_sort_block_merge_config_selectorIcNS0_10empty_typeEEEZZNS1_27merge_sort_block_merge_implIS3_N6thrust23THRUST_200600_302600_NS6detail15normal_iteratorINS9_10device_ptrIcEEEEPS5_m14custom_greaterIcEEE10hipError_tT0_T1_T2_jT3_P12ihipStream_tbPNSt15iterator_traitsISJ_E10value_typeEPNSP_ISK_E10value_typeEPSL_NS1_7vsmem_tEENKUlT_SJ_SK_SL_E_clIPcSE_SF_SF_EESI_SY_SJ_SK_SL_EUlSY_E0_NS1_11comp_targetILNS1_3genE0ELNS1_11target_archE4294967295ELNS1_3gpuE0ELNS1_3repE0EEENS1_38merge_mergepath_config_static_selectorELNS0_4arch9wavefront6targetE1EEEvSK_,comdat
.Lfunc_end2717:
	.size	_ZN7rocprim17ROCPRIM_400000_NS6detail17trampoline_kernelINS0_14default_configENS1_38merge_sort_block_merge_config_selectorIcNS0_10empty_typeEEEZZNS1_27merge_sort_block_merge_implIS3_N6thrust23THRUST_200600_302600_NS6detail15normal_iteratorINS9_10device_ptrIcEEEEPS5_m14custom_greaterIcEEE10hipError_tT0_T1_T2_jT3_P12ihipStream_tbPNSt15iterator_traitsISJ_E10value_typeEPNSP_ISK_E10value_typeEPSL_NS1_7vsmem_tEENKUlT_SJ_SK_SL_E_clIPcSE_SF_SF_EESI_SY_SJ_SK_SL_EUlSY_E0_NS1_11comp_targetILNS1_3genE0ELNS1_11target_archE4294967295ELNS1_3gpuE0ELNS1_3repE0EEENS1_38merge_mergepath_config_static_selectorELNS0_4arch9wavefront6targetE1EEEvSK_, .Lfunc_end2717-_ZN7rocprim17ROCPRIM_400000_NS6detail17trampoline_kernelINS0_14default_configENS1_38merge_sort_block_merge_config_selectorIcNS0_10empty_typeEEEZZNS1_27merge_sort_block_merge_implIS3_N6thrust23THRUST_200600_302600_NS6detail15normal_iteratorINS9_10device_ptrIcEEEEPS5_m14custom_greaterIcEEE10hipError_tT0_T1_T2_jT3_P12ihipStream_tbPNSt15iterator_traitsISJ_E10value_typeEPNSP_ISK_E10value_typeEPSL_NS1_7vsmem_tEENKUlT_SJ_SK_SL_E_clIPcSE_SF_SF_EESI_SY_SJ_SK_SL_EUlSY_E0_NS1_11comp_targetILNS1_3genE0ELNS1_11target_archE4294967295ELNS1_3gpuE0ELNS1_3repE0EEENS1_38merge_mergepath_config_static_selectorELNS0_4arch9wavefront6targetE1EEEvSK_
                                        ; -- End function
	.section	.AMDGPU.csdata,"",@progbits
; Kernel info:
; codeLenInByte = 0
; NumSgprs: 4
; NumVgprs: 0
; NumAgprs: 0
; TotalNumVgprs: 0
; ScratchSize: 0
; MemoryBound: 0
; FloatMode: 240
; IeeeMode: 1
; LDSByteSize: 0 bytes/workgroup (compile time only)
; SGPRBlocks: 0
; VGPRBlocks: 0
; NumSGPRsForWavesPerEU: 4
; NumVGPRsForWavesPerEU: 1
; AccumOffset: 4
; Occupancy: 8
; WaveLimiterHint : 0
; COMPUTE_PGM_RSRC2:SCRATCH_EN: 0
; COMPUTE_PGM_RSRC2:USER_SGPR: 6
; COMPUTE_PGM_RSRC2:TRAP_HANDLER: 0
; COMPUTE_PGM_RSRC2:TGID_X_EN: 1
; COMPUTE_PGM_RSRC2:TGID_Y_EN: 0
; COMPUTE_PGM_RSRC2:TGID_Z_EN: 0
; COMPUTE_PGM_RSRC2:TIDIG_COMP_CNT: 0
; COMPUTE_PGM_RSRC3_GFX90A:ACCUM_OFFSET: 0
; COMPUTE_PGM_RSRC3_GFX90A:TG_SPLIT: 0
	.section	.text._ZN7rocprim17ROCPRIM_400000_NS6detail17trampoline_kernelINS0_14default_configENS1_38merge_sort_block_merge_config_selectorIcNS0_10empty_typeEEEZZNS1_27merge_sort_block_merge_implIS3_N6thrust23THRUST_200600_302600_NS6detail15normal_iteratorINS9_10device_ptrIcEEEEPS5_m14custom_greaterIcEEE10hipError_tT0_T1_T2_jT3_P12ihipStream_tbPNSt15iterator_traitsISJ_E10value_typeEPNSP_ISK_E10value_typeEPSL_NS1_7vsmem_tEENKUlT_SJ_SK_SL_E_clIPcSE_SF_SF_EESI_SY_SJ_SK_SL_EUlSY_E0_NS1_11comp_targetILNS1_3genE10ELNS1_11target_archE1201ELNS1_3gpuE5ELNS1_3repE0EEENS1_38merge_mergepath_config_static_selectorELNS0_4arch9wavefront6targetE1EEEvSK_,"axG",@progbits,_ZN7rocprim17ROCPRIM_400000_NS6detail17trampoline_kernelINS0_14default_configENS1_38merge_sort_block_merge_config_selectorIcNS0_10empty_typeEEEZZNS1_27merge_sort_block_merge_implIS3_N6thrust23THRUST_200600_302600_NS6detail15normal_iteratorINS9_10device_ptrIcEEEEPS5_m14custom_greaterIcEEE10hipError_tT0_T1_T2_jT3_P12ihipStream_tbPNSt15iterator_traitsISJ_E10value_typeEPNSP_ISK_E10value_typeEPSL_NS1_7vsmem_tEENKUlT_SJ_SK_SL_E_clIPcSE_SF_SF_EESI_SY_SJ_SK_SL_EUlSY_E0_NS1_11comp_targetILNS1_3genE10ELNS1_11target_archE1201ELNS1_3gpuE5ELNS1_3repE0EEENS1_38merge_mergepath_config_static_selectorELNS0_4arch9wavefront6targetE1EEEvSK_,comdat
	.protected	_ZN7rocprim17ROCPRIM_400000_NS6detail17trampoline_kernelINS0_14default_configENS1_38merge_sort_block_merge_config_selectorIcNS0_10empty_typeEEEZZNS1_27merge_sort_block_merge_implIS3_N6thrust23THRUST_200600_302600_NS6detail15normal_iteratorINS9_10device_ptrIcEEEEPS5_m14custom_greaterIcEEE10hipError_tT0_T1_T2_jT3_P12ihipStream_tbPNSt15iterator_traitsISJ_E10value_typeEPNSP_ISK_E10value_typeEPSL_NS1_7vsmem_tEENKUlT_SJ_SK_SL_E_clIPcSE_SF_SF_EESI_SY_SJ_SK_SL_EUlSY_E0_NS1_11comp_targetILNS1_3genE10ELNS1_11target_archE1201ELNS1_3gpuE5ELNS1_3repE0EEENS1_38merge_mergepath_config_static_selectorELNS0_4arch9wavefront6targetE1EEEvSK_ ; -- Begin function _ZN7rocprim17ROCPRIM_400000_NS6detail17trampoline_kernelINS0_14default_configENS1_38merge_sort_block_merge_config_selectorIcNS0_10empty_typeEEEZZNS1_27merge_sort_block_merge_implIS3_N6thrust23THRUST_200600_302600_NS6detail15normal_iteratorINS9_10device_ptrIcEEEEPS5_m14custom_greaterIcEEE10hipError_tT0_T1_T2_jT3_P12ihipStream_tbPNSt15iterator_traitsISJ_E10value_typeEPNSP_ISK_E10value_typeEPSL_NS1_7vsmem_tEENKUlT_SJ_SK_SL_E_clIPcSE_SF_SF_EESI_SY_SJ_SK_SL_EUlSY_E0_NS1_11comp_targetILNS1_3genE10ELNS1_11target_archE1201ELNS1_3gpuE5ELNS1_3repE0EEENS1_38merge_mergepath_config_static_selectorELNS0_4arch9wavefront6targetE1EEEvSK_
	.globl	_ZN7rocprim17ROCPRIM_400000_NS6detail17trampoline_kernelINS0_14default_configENS1_38merge_sort_block_merge_config_selectorIcNS0_10empty_typeEEEZZNS1_27merge_sort_block_merge_implIS3_N6thrust23THRUST_200600_302600_NS6detail15normal_iteratorINS9_10device_ptrIcEEEEPS5_m14custom_greaterIcEEE10hipError_tT0_T1_T2_jT3_P12ihipStream_tbPNSt15iterator_traitsISJ_E10value_typeEPNSP_ISK_E10value_typeEPSL_NS1_7vsmem_tEENKUlT_SJ_SK_SL_E_clIPcSE_SF_SF_EESI_SY_SJ_SK_SL_EUlSY_E0_NS1_11comp_targetILNS1_3genE10ELNS1_11target_archE1201ELNS1_3gpuE5ELNS1_3repE0EEENS1_38merge_mergepath_config_static_selectorELNS0_4arch9wavefront6targetE1EEEvSK_
	.p2align	8
	.type	_ZN7rocprim17ROCPRIM_400000_NS6detail17trampoline_kernelINS0_14default_configENS1_38merge_sort_block_merge_config_selectorIcNS0_10empty_typeEEEZZNS1_27merge_sort_block_merge_implIS3_N6thrust23THRUST_200600_302600_NS6detail15normal_iteratorINS9_10device_ptrIcEEEEPS5_m14custom_greaterIcEEE10hipError_tT0_T1_T2_jT3_P12ihipStream_tbPNSt15iterator_traitsISJ_E10value_typeEPNSP_ISK_E10value_typeEPSL_NS1_7vsmem_tEENKUlT_SJ_SK_SL_E_clIPcSE_SF_SF_EESI_SY_SJ_SK_SL_EUlSY_E0_NS1_11comp_targetILNS1_3genE10ELNS1_11target_archE1201ELNS1_3gpuE5ELNS1_3repE0EEENS1_38merge_mergepath_config_static_selectorELNS0_4arch9wavefront6targetE1EEEvSK_,@function
_ZN7rocprim17ROCPRIM_400000_NS6detail17trampoline_kernelINS0_14default_configENS1_38merge_sort_block_merge_config_selectorIcNS0_10empty_typeEEEZZNS1_27merge_sort_block_merge_implIS3_N6thrust23THRUST_200600_302600_NS6detail15normal_iteratorINS9_10device_ptrIcEEEEPS5_m14custom_greaterIcEEE10hipError_tT0_T1_T2_jT3_P12ihipStream_tbPNSt15iterator_traitsISJ_E10value_typeEPNSP_ISK_E10value_typeEPSL_NS1_7vsmem_tEENKUlT_SJ_SK_SL_E_clIPcSE_SF_SF_EESI_SY_SJ_SK_SL_EUlSY_E0_NS1_11comp_targetILNS1_3genE10ELNS1_11target_archE1201ELNS1_3gpuE5ELNS1_3repE0EEENS1_38merge_mergepath_config_static_selectorELNS0_4arch9wavefront6targetE1EEEvSK_: ; @_ZN7rocprim17ROCPRIM_400000_NS6detail17trampoline_kernelINS0_14default_configENS1_38merge_sort_block_merge_config_selectorIcNS0_10empty_typeEEEZZNS1_27merge_sort_block_merge_implIS3_N6thrust23THRUST_200600_302600_NS6detail15normal_iteratorINS9_10device_ptrIcEEEEPS5_m14custom_greaterIcEEE10hipError_tT0_T1_T2_jT3_P12ihipStream_tbPNSt15iterator_traitsISJ_E10value_typeEPNSP_ISK_E10value_typeEPSL_NS1_7vsmem_tEENKUlT_SJ_SK_SL_E_clIPcSE_SF_SF_EESI_SY_SJ_SK_SL_EUlSY_E0_NS1_11comp_targetILNS1_3genE10ELNS1_11target_archE1201ELNS1_3gpuE5ELNS1_3repE0EEENS1_38merge_mergepath_config_static_selectorELNS0_4arch9wavefront6targetE1EEEvSK_
; %bb.0:
	.section	.rodata,"a",@progbits
	.p2align	6, 0x0
	.amdhsa_kernel _ZN7rocprim17ROCPRIM_400000_NS6detail17trampoline_kernelINS0_14default_configENS1_38merge_sort_block_merge_config_selectorIcNS0_10empty_typeEEEZZNS1_27merge_sort_block_merge_implIS3_N6thrust23THRUST_200600_302600_NS6detail15normal_iteratorINS9_10device_ptrIcEEEEPS5_m14custom_greaterIcEEE10hipError_tT0_T1_T2_jT3_P12ihipStream_tbPNSt15iterator_traitsISJ_E10value_typeEPNSP_ISK_E10value_typeEPSL_NS1_7vsmem_tEENKUlT_SJ_SK_SL_E_clIPcSE_SF_SF_EESI_SY_SJ_SK_SL_EUlSY_E0_NS1_11comp_targetILNS1_3genE10ELNS1_11target_archE1201ELNS1_3gpuE5ELNS1_3repE0EEENS1_38merge_mergepath_config_static_selectorELNS0_4arch9wavefront6targetE1EEEvSK_
		.amdhsa_group_segment_fixed_size 0
		.amdhsa_private_segment_fixed_size 0
		.amdhsa_kernarg_size 72
		.amdhsa_user_sgpr_count 6
		.amdhsa_user_sgpr_private_segment_buffer 1
		.amdhsa_user_sgpr_dispatch_ptr 0
		.amdhsa_user_sgpr_queue_ptr 0
		.amdhsa_user_sgpr_kernarg_segment_ptr 1
		.amdhsa_user_sgpr_dispatch_id 0
		.amdhsa_user_sgpr_flat_scratch_init 0
		.amdhsa_user_sgpr_kernarg_preload_length 0
		.amdhsa_user_sgpr_kernarg_preload_offset 0
		.amdhsa_user_sgpr_private_segment_size 0
		.amdhsa_uses_dynamic_stack 0
		.amdhsa_system_sgpr_private_segment_wavefront_offset 0
		.amdhsa_system_sgpr_workgroup_id_x 1
		.amdhsa_system_sgpr_workgroup_id_y 0
		.amdhsa_system_sgpr_workgroup_id_z 0
		.amdhsa_system_sgpr_workgroup_info 0
		.amdhsa_system_vgpr_workitem_id 0
		.amdhsa_next_free_vgpr 1
		.amdhsa_next_free_sgpr 0
		.amdhsa_accum_offset 4
		.amdhsa_reserve_vcc 0
		.amdhsa_reserve_flat_scratch 0
		.amdhsa_float_round_mode_32 0
		.amdhsa_float_round_mode_16_64 0
		.amdhsa_float_denorm_mode_32 3
		.amdhsa_float_denorm_mode_16_64 3
		.amdhsa_dx10_clamp 1
		.amdhsa_ieee_mode 1
		.amdhsa_fp16_overflow 0
		.amdhsa_tg_split 0
		.amdhsa_exception_fp_ieee_invalid_op 0
		.amdhsa_exception_fp_denorm_src 0
		.amdhsa_exception_fp_ieee_div_zero 0
		.amdhsa_exception_fp_ieee_overflow 0
		.amdhsa_exception_fp_ieee_underflow 0
		.amdhsa_exception_fp_ieee_inexact 0
		.amdhsa_exception_int_div_zero 0
	.end_amdhsa_kernel
	.section	.text._ZN7rocprim17ROCPRIM_400000_NS6detail17trampoline_kernelINS0_14default_configENS1_38merge_sort_block_merge_config_selectorIcNS0_10empty_typeEEEZZNS1_27merge_sort_block_merge_implIS3_N6thrust23THRUST_200600_302600_NS6detail15normal_iteratorINS9_10device_ptrIcEEEEPS5_m14custom_greaterIcEEE10hipError_tT0_T1_T2_jT3_P12ihipStream_tbPNSt15iterator_traitsISJ_E10value_typeEPNSP_ISK_E10value_typeEPSL_NS1_7vsmem_tEENKUlT_SJ_SK_SL_E_clIPcSE_SF_SF_EESI_SY_SJ_SK_SL_EUlSY_E0_NS1_11comp_targetILNS1_3genE10ELNS1_11target_archE1201ELNS1_3gpuE5ELNS1_3repE0EEENS1_38merge_mergepath_config_static_selectorELNS0_4arch9wavefront6targetE1EEEvSK_,"axG",@progbits,_ZN7rocprim17ROCPRIM_400000_NS6detail17trampoline_kernelINS0_14default_configENS1_38merge_sort_block_merge_config_selectorIcNS0_10empty_typeEEEZZNS1_27merge_sort_block_merge_implIS3_N6thrust23THRUST_200600_302600_NS6detail15normal_iteratorINS9_10device_ptrIcEEEEPS5_m14custom_greaterIcEEE10hipError_tT0_T1_T2_jT3_P12ihipStream_tbPNSt15iterator_traitsISJ_E10value_typeEPNSP_ISK_E10value_typeEPSL_NS1_7vsmem_tEENKUlT_SJ_SK_SL_E_clIPcSE_SF_SF_EESI_SY_SJ_SK_SL_EUlSY_E0_NS1_11comp_targetILNS1_3genE10ELNS1_11target_archE1201ELNS1_3gpuE5ELNS1_3repE0EEENS1_38merge_mergepath_config_static_selectorELNS0_4arch9wavefront6targetE1EEEvSK_,comdat
.Lfunc_end2718:
	.size	_ZN7rocprim17ROCPRIM_400000_NS6detail17trampoline_kernelINS0_14default_configENS1_38merge_sort_block_merge_config_selectorIcNS0_10empty_typeEEEZZNS1_27merge_sort_block_merge_implIS3_N6thrust23THRUST_200600_302600_NS6detail15normal_iteratorINS9_10device_ptrIcEEEEPS5_m14custom_greaterIcEEE10hipError_tT0_T1_T2_jT3_P12ihipStream_tbPNSt15iterator_traitsISJ_E10value_typeEPNSP_ISK_E10value_typeEPSL_NS1_7vsmem_tEENKUlT_SJ_SK_SL_E_clIPcSE_SF_SF_EESI_SY_SJ_SK_SL_EUlSY_E0_NS1_11comp_targetILNS1_3genE10ELNS1_11target_archE1201ELNS1_3gpuE5ELNS1_3repE0EEENS1_38merge_mergepath_config_static_selectorELNS0_4arch9wavefront6targetE1EEEvSK_, .Lfunc_end2718-_ZN7rocprim17ROCPRIM_400000_NS6detail17trampoline_kernelINS0_14default_configENS1_38merge_sort_block_merge_config_selectorIcNS0_10empty_typeEEEZZNS1_27merge_sort_block_merge_implIS3_N6thrust23THRUST_200600_302600_NS6detail15normal_iteratorINS9_10device_ptrIcEEEEPS5_m14custom_greaterIcEEE10hipError_tT0_T1_T2_jT3_P12ihipStream_tbPNSt15iterator_traitsISJ_E10value_typeEPNSP_ISK_E10value_typeEPSL_NS1_7vsmem_tEENKUlT_SJ_SK_SL_E_clIPcSE_SF_SF_EESI_SY_SJ_SK_SL_EUlSY_E0_NS1_11comp_targetILNS1_3genE10ELNS1_11target_archE1201ELNS1_3gpuE5ELNS1_3repE0EEENS1_38merge_mergepath_config_static_selectorELNS0_4arch9wavefront6targetE1EEEvSK_
                                        ; -- End function
	.section	.AMDGPU.csdata,"",@progbits
; Kernel info:
; codeLenInByte = 0
; NumSgprs: 4
; NumVgprs: 0
; NumAgprs: 0
; TotalNumVgprs: 0
; ScratchSize: 0
; MemoryBound: 0
; FloatMode: 240
; IeeeMode: 1
; LDSByteSize: 0 bytes/workgroup (compile time only)
; SGPRBlocks: 0
; VGPRBlocks: 0
; NumSGPRsForWavesPerEU: 4
; NumVGPRsForWavesPerEU: 1
; AccumOffset: 4
; Occupancy: 8
; WaveLimiterHint : 0
; COMPUTE_PGM_RSRC2:SCRATCH_EN: 0
; COMPUTE_PGM_RSRC2:USER_SGPR: 6
; COMPUTE_PGM_RSRC2:TRAP_HANDLER: 0
; COMPUTE_PGM_RSRC2:TGID_X_EN: 1
; COMPUTE_PGM_RSRC2:TGID_Y_EN: 0
; COMPUTE_PGM_RSRC2:TGID_Z_EN: 0
; COMPUTE_PGM_RSRC2:TIDIG_COMP_CNT: 0
; COMPUTE_PGM_RSRC3_GFX90A:ACCUM_OFFSET: 0
; COMPUTE_PGM_RSRC3_GFX90A:TG_SPLIT: 0
	.section	.text._ZN7rocprim17ROCPRIM_400000_NS6detail17trampoline_kernelINS0_14default_configENS1_38merge_sort_block_merge_config_selectorIcNS0_10empty_typeEEEZZNS1_27merge_sort_block_merge_implIS3_N6thrust23THRUST_200600_302600_NS6detail15normal_iteratorINS9_10device_ptrIcEEEEPS5_m14custom_greaterIcEEE10hipError_tT0_T1_T2_jT3_P12ihipStream_tbPNSt15iterator_traitsISJ_E10value_typeEPNSP_ISK_E10value_typeEPSL_NS1_7vsmem_tEENKUlT_SJ_SK_SL_E_clIPcSE_SF_SF_EESI_SY_SJ_SK_SL_EUlSY_E0_NS1_11comp_targetILNS1_3genE5ELNS1_11target_archE942ELNS1_3gpuE9ELNS1_3repE0EEENS1_38merge_mergepath_config_static_selectorELNS0_4arch9wavefront6targetE1EEEvSK_,"axG",@progbits,_ZN7rocprim17ROCPRIM_400000_NS6detail17trampoline_kernelINS0_14default_configENS1_38merge_sort_block_merge_config_selectorIcNS0_10empty_typeEEEZZNS1_27merge_sort_block_merge_implIS3_N6thrust23THRUST_200600_302600_NS6detail15normal_iteratorINS9_10device_ptrIcEEEEPS5_m14custom_greaterIcEEE10hipError_tT0_T1_T2_jT3_P12ihipStream_tbPNSt15iterator_traitsISJ_E10value_typeEPNSP_ISK_E10value_typeEPSL_NS1_7vsmem_tEENKUlT_SJ_SK_SL_E_clIPcSE_SF_SF_EESI_SY_SJ_SK_SL_EUlSY_E0_NS1_11comp_targetILNS1_3genE5ELNS1_11target_archE942ELNS1_3gpuE9ELNS1_3repE0EEENS1_38merge_mergepath_config_static_selectorELNS0_4arch9wavefront6targetE1EEEvSK_,comdat
	.protected	_ZN7rocprim17ROCPRIM_400000_NS6detail17trampoline_kernelINS0_14default_configENS1_38merge_sort_block_merge_config_selectorIcNS0_10empty_typeEEEZZNS1_27merge_sort_block_merge_implIS3_N6thrust23THRUST_200600_302600_NS6detail15normal_iteratorINS9_10device_ptrIcEEEEPS5_m14custom_greaterIcEEE10hipError_tT0_T1_T2_jT3_P12ihipStream_tbPNSt15iterator_traitsISJ_E10value_typeEPNSP_ISK_E10value_typeEPSL_NS1_7vsmem_tEENKUlT_SJ_SK_SL_E_clIPcSE_SF_SF_EESI_SY_SJ_SK_SL_EUlSY_E0_NS1_11comp_targetILNS1_3genE5ELNS1_11target_archE942ELNS1_3gpuE9ELNS1_3repE0EEENS1_38merge_mergepath_config_static_selectorELNS0_4arch9wavefront6targetE1EEEvSK_ ; -- Begin function _ZN7rocprim17ROCPRIM_400000_NS6detail17trampoline_kernelINS0_14default_configENS1_38merge_sort_block_merge_config_selectorIcNS0_10empty_typeEEEZZNS1_27merge_sort_block_merge_implIS3_N6thrust23THRUST_200600_302600_NS6detail15normal_iteratorINS9_10device_ptrIcEEEEPS5_m14custom_greaterIcEEE10hipError_tT0_T1_T2_jT3_P12ihipStream_tbPNSt15iterator_traitsISJ_E10value_typeEPNSP_ISK_E10value_typeEPSL_NS1_7vsmem_tEENKUlT_SJ_SK_SL_E_clIPcSE_SF_SF_EESI_SY_SJ_SK_SL_EUlSY_E0_NS1_11comp_targetILNS1_3genE5ELNS1_11target_archE942ELNS1_3gpuE9ELNS1_3repE0EEENS1_38merge_mergepath_config_static_selectorELNS0_4arch9wavefront6targetE1EEEvSK_
	.globl	_ZN7rocprim17ROCPRIM_400000_NS6detail17trampoline_kernelINS0_14default_configENS1_38merge_sort_block_merge_config_selectorIcNS0_10empty_typeEEEZZNS1_27merge_sort_block_merge_implIS3_N6thrust23THRUST_200600_302600_NS6detail15normal_iteratorINS9_10device_ptrIcEEEEPS5_m14custom_greaterIcEEE10hipError_tT0_T1_T2_jT3_P12ihipStream_tbPNSt15iterator_traitsISJ_E10value_typeEPNSP_ISK_E10value_typeEPSL_NS1_7vsmem_tEENKUlT_SJ_SK_SL_E_clIPcSE_SF_SF_EESI_SY_SJ_SK_SL_EUlSY_E0_NS1_11comp_targetILNS1_3genE5ELNS1_11target_archE942ELNS1_3gpuE9ELNS1_3repE0EEENS1_38merge_mergepath_config_static_selectorELNS0_4arch9wavefront6targetE1EEEvSK_
	.p2align	8
	.type	_ZN7rocprim17ROCPRIM_400000_NS6detail17trampoline_kernelINS0_14default_configENS1_38merge_sort_block_merge_config_selectorIcNS0_10empty_typeEEEZZNS1_27merge_sort_block_merge_implIS3_N6thrust23THRUST_200600_302600_NS6detail15normal_iteratorINS9_10device_ptrIcEEEEPS5_m14custom_greaterIcEEE10hipError_tT0_T1_T2_jT3_P12ihipStream_tbPNSt15iterator_traitsISJ_E10value_typeEPNSP_ISK_E10value_typeEPSL_NS1_7vsmem_tEENKUlT_SJ_SK_SL_E_clIPcSE_SF_SF_EESI_SY_SJ_SK_SL_EUlSY_E0_NS1_11comp_targetILNS1_3genE5ELNS1_11target_archE942ELNS1_3gpuE9ELNS1_3repE0EEENS1_38merge_mergepath_config_static_selectorELNS0_4arch9wavefront6targetE1EEEvSK_,@function
_ZN7rocprim17ROCPRIM_400000_NS6detail17trampoline_kernelINS0_14default_configENS1_38merge_sort_block_merge_config_selectorIcNS0_10empty_typeEEEZZNS1_27merge_sort_block_merge_implIS3_N6thrust23THRUST_200600_302600_NS6detail15normal_iteratorINS9_10device_ptrIcEEEEPS5_m14custom_greaterIcEEE10hipError_tT0_T1_T2_jT3_P12ihipStream_tbPNSt15iterator_traitsISJ_E10value_typeEPNSP_ISK_E10value_typeEPSL_NS1_7vsmem_tEENKUlT_SJ_SK_SL_E_clIPcSE_SF_SF_EESI_SY_SJ_SK_SL_EUlSY_E0_NS1_11comp_targetILNS1_3genE5ELNS1_11target_archE942ELNS1_3gpuE9ELNS1_3repE0EEENS1_38merge_mergepath_config_static_selectorELNS0_4arch9wavefront6targetE1EEEvSK_: ; @_ZN7rocprim17ROCPRIM_400000_NS6detail17trampoline_kernelINS0_14default_configENS1_38merge_sort_block_merge_config_selectorIcNS0_10empty_typeEEEZZNS1_27merge_sort_block_merge_implIS3_N6thrust23THRUST_200600_302600_NS6detail15normal_iteratorINS9_10device_ptrIcEEEEPS5_m14custom_greaterIcEEE10hipError_tT0_T1_T2_jT3_P12ihipStream_tbPNSt15iterator_traitsISJ_E10value_typeEPNSP_ISK_E10value_typeEPSL_NS1_7vsmem_tEENKUlT_SJ_SK_SL_E_clIPcSE_SF_SF_EESI_SY_SJ_SK_SL_EUlSY_E0_NS1_11comp_targetILNS1_3genE5ELNS1_11target_archE942ELNS1_3gpuE9ELNS1_3repE0EEENS1_38merge_mergepath_config_static_selectorELNS0_4arch9wavefront6targetE1EEEvSK_
; %bb.0:
	.section	.rodata,"a",@progbits
	.p2align	6, 0x0
	.amdhsa_kernel _ZN7rocprim17ROCPRIM_400000_NS6detail17trampoline_kernelINS0_14default_configENS1_38merge_sort_block_merge_config_selectorIcNS0_10empty_typeEEEZZNS1_27merge_sort_block_merge_implIS3_N6thrust23THRUST_200600_302600_NS6detail15normal_iteratorINS9_10device_ptrIcEEEEPS5_m14custom_greaterIcEEE10hipError_tT0_T1_T2_jT3_P12ihipStream_tbPNSt15iterator_traitsISJ_E10value_typeEPNSP_ISK_E10value_typeEPSL_NS1_7vsmem_tEENKUlT_SJ_SK_SL_E_clIPcSE_SF_SF_EESI_SY_SJ_SK_SL_EUlSY_E0_NS1_11comp_targetILNS1_3genE5ELNS1_11target_archE942ELNS1_3gpuE9ELNS1_3repE0EEENS1_38merge_mergepath_config_static_selectorELNS0_4arch9wavefront6targetE1EEEvSK_
		.amdhsa_group_segment_fixed_size 0
		.amdhsa_private_segment_fixed_size 0
		.amdhsa_kernarg_size 72
		.amdhsa_user_sgpr_count 6
		.amdhsa_user_sgpr_private_segment_buffer 1
		.amdhsa_user_sgpr_dispatch_ptr 0
		.amdhsa_user_sgpr_queue_ptr 0
		.amdhsa_user_sgpr_kernarg_segment_ptr 1
		.amdhsa_user_sgpr_dispatch_id 0
		.amdhsa_user_sgpr_flat_scratch_init 0
		.amdhsa_user_sgpr_kernarg_preload_length 0
		.amdhsa_user_sgpr_kernarg_preload_offset 0
		.amdhsa_user_sgpr_private_segment_size 0
		.amdhsa_uses_dynamic_stack 0
		.amdhsa_system_sgpr_private_segment_wavefront_offset 0
		.amdhsa_system_sgpr_workgroup_id_x 1
		.amdhsa_system_sgpr_workgroup_id_y 0
		.amdhsa_system_sgpr_workgroup_id_z 0
		.amdhsa_system_sgpr_workgroup_info 0
		.amdhsa_system_vgpr_workitem_id 0
		.amdhsa_next_free_vgpr 1
		.amdhsa_next_free_sgpr 0
		.amdhsa_accum_offset 4
		.amdhsa_reserve_vcc 0
		.amdhsa_reserve_flat_scratch 0
		.amdhsa_float_round_mode_32 0
		.amdhsa_float_round_mode_16_64 0
		.amdhsa_float_denorm_mode_32 3
		.amdhsa_float_denorm_mode_16_64 3
		.amdhsa_dx10_clamp 1
		.amdhsa_ieee_mode 1
		.amdhsa_fp16_overflow 0
		.amdhsa_tg_split 0
		.amdhsa_exception_fp_ieee_invalid_op 0
		.amdhsa_exception_fp_denorm_src 0
		.amdhsa_exception_fp_ieee_div_zero 0
		.amdhsa_exception_fp_ieee_overflow 0
		.amdhsa_exception_fp_ieee_underflow 0
		.amdhsa_exception_fp_ieee_inexact 0
		.amdhsa_exception_int_div_zero 0
	.end_amdhsa_kernel
	.section	.text._ZN7rocprim17ROCPRIM_400000_NS6detail17trampoline_kernelINS0_14default_configENS1_38merge_sort_block_merge_config_selectorIcNS0_10empty_typeEEEZZNS1_27merge_sort_block_merge_implIS3_N6thrust23THRUST_200600_302600_NS6detail15normal_iteratorINS9_10device_ptrIcEEEEPS5_m14custom_greaterIcEEE10hipError_tT0_T1_T2_jT3_P12ihipStream_tbPNSt15iterator_traitsISJ_E10value_typeEPNSP_ISK_E10value_typeEPSL_NS1_7vsmem_tEENKUlT_SJ_SK_SL_E_clIPcSE_SF_SF_EESI_SY_SJ_SK_SL_EUlSY_E0_NS1_11comp_targetILNS1_3genE5ELNS1_11target_archE942ELNS1_3gpuE9ELNS1_3repE0EEENS1_38merge_mergepath_config_static_selectorELNS0_4arch9wavefront6targetE1EEEvSK_,"axG",@progbits,_ZN7rocprim17ROCPRIM_400000_NS6detail17trampoline_kernelINS0_14default_configENS1_38merge_sort_block_merge_config_selectorIcNS0_10empty_typeEEEZZNS1_27merge_sort_block_merge_implIS3_N6thrust23THRUST_200600_302600_NS6detail15normal_iteratorINS9_10device_ptrIcEEEEPS5_m14custom_greaterIcEEE10hipError_tT0_T1_T2_jT3_P12ihipStream_tbPNSt15iterator_traitsISJ_E10value_typeEPNSP_ISK_E10value_typeEPSL_NS1_7vsmem_tEENKUlT_SJ_SK_SL_E_clIPcSE_SF_SF_EESI_SY_SJ_SK_SL_EUlSY_E0_NS1_11comp_targetILNS1_3genE5ELNS1_11target_archE942ELNS1_3gpuE9ELNS1_3repE0EEENS1_38merge_mergepath_config_static_selectorELNS0_4arch9wavefront6targetE1EEEvSK_,comdat
.Lfunc_end2719:
	.size	_ZN7rocprim17ROCPRIM_400000_NS6detail17trampoline_kernelINS0_14default_configENS1_38merge_sort_block_merge_config_selectorIcNS0_10empty_typeEEEZZNS1_27merge_sort_block_merge_implIS3_N6thrust23THRUST_200600_302600_NS6detail15normal_iteratorINS9_10device_ptrIcEEEEPS5_m14custom_greaterIcEEE10hipError_tT0_T1_T2_jT3_P12ihipStream_tbPNSt15iterator_traitsISJ_E10value_typeEPNSP_ISK_E10value_typeEPSL_NS1_7vsmem_tEENKUlT_SJ_SK_SL_E_clIPcSE_SF_SF_EESI_SY_SJ_SK_SL_EUlSY_E0_NS1_11comp_targetILNS1_3genE5ELNS1_11target_archE942ELNS1_3gpuE9ELNS1_3repE0EEENS1_38merge_mergepath_config_static_selectorELNS0_4arch9wavefront6targetE1EEEvSK_, .Lfunc_end2719-_ZN7rocprim17ROCPRIM_400000_NS6detail17trampoline_kernelINS0_14default_configENS1_38merge_sort_block_merge_config_selectorIcNS0_10empty_typeEEEZZNS1_27merge_sort_block_merge_implIS3_N6thrust23THRUST_200600_302600_NS6detail15normal_iteratorINS9_10device_ptrIcEEEEPS5_m14custom_greaterIcEEE10hipError_tT0_T1_T2_jT3_P12ihipStream_tbPNSt15iterator_traitsISJ_E10value_typeEPNSP_ISK_E10value_typeEPSL_NS1_7vsmem_tEENKUlT_SJ_SK_SL_E_clIPcSE_SF_SF_EESI_SY_SJ_SK_SL_EUlSY_E0_NS1_11comp_targetILNS1_3genE5ELNS1_11target_archE942ELNS1_3gpuE9ELNS1_3repE0EEENS1_38merge_mergepath_config_static_selectorELNS0_4arch9wavefront6targetE1EEEvSK_
                                        ; -- End function
	.section	.AMDGPU.csdata,"",@progbits
; Kernel info:
; codeLenInByte = 0
; NumSgprs: 4
; NumVgprs: 0
; NumAgprs: 0
; TotalNumVgprs: 0
; ScratchSize: 0
; MemoryBound: 0
; FloatMode: 240
; IeeeMode: 1
; LDSByteSize: 0 bytes/workgroup (compile time only)
; SGPRBlocks: 0
; VGPRBlocks: 0
; NumSGPRsForWavesPerEU: 4
; NumVGPRsForWavesPerEU: 1
; AccumOffset: 4
; Occupancy: 8
; WaveLimiterHint : 0
; COMPUTE_PGM_RSRC2:SCRATCH_EN: 0
; COMPUTE_PGM_RSRC2:USER_SGPR: 6
; COMPUTE_PGM_RSRC2:TRAP_HANDLER: 0
; COMPUTE_PGM_RSRC2:TGID_X_EN: 1
; COMPUTE_PGM_RSRC2:TGID_Y_EN: 0
; COMPUTE_PGM_RSRC2:TGID_Z_EN: 0
; COMPUTE_PGM_RSRC2:TIDIG_COMP_CNT: 0
; COMPUTE_PGM_RSRC3_GFX90A:ACCUM_OFFSET: 0
; COMPUTE_PGM_RSRC3_GFX90A:TG_SPLIT: 0
	.section	.text._ZN7rocprim17ROCPRIM_400000_NS6detail17trampoline_kernelINS0_14default_configENS1_38merge_sort_block_merge_config_selectorIcNS0_10empty_typeEEEZZNS1_27merge_sort_block_merge_implIS3_N6thrust23THRUST_200600_302600_NS6detail15normal_iteratorINS9_10device_ptrIcEEEEPS5_m14custom_greaterIcEEE10hipError_tT0_T1_T2_jT3_P12ihipStream_tbPNSt15iterator_traitsISJ_E10value_typeEPNSP_ISK_E10value_typeEPSL_NS1_7vsmem_tEENKUlT_SJ_SK_SL_E_clIPcSE_SF_SF_EESI_SY_SJ_SK_SL_EUlSY_E0_NS1_11comp_targetILNS1_3genE4ELNS1_11target_archE910ELNS1_3gpuE8ELNS1_3repE0EEENS1_38merge_mergepath_config_static_selectorELNS0_4arch9wavefront6targetE1EEEvSK_,"axG",@progbits,_ZN7rocprim17ROCPRIM_400000_NS6detail17trampoline_kernelINS0_14default_configENS1_38merge_sort_block_merge_config_selectorIcNS0_10empty_typeEEEZZNS1_27merge_sort_block_merge_implIS3_N6thrust23THRUST_200600_302600_NS6detail15normal_iteratorINS9_10device_ptrIcEEEEPS5_m14custom_greaterIcEEE10hipError_tT0_T1_T2_jT3_P12ihipStream_tbPNSt15iterator_traitsISJ_E10value_typeEPNSP_ISK_E10value_typeEPSL_NS1_7vsmem_tEENKUlT_SJ_SK_SL_E_clIPcSE_SF_SF_EESI_SY_SJ_SK_SL_EUlSY_E0_NS1_11comp_targetILNS1_3genE4ELNS1_11target_archE910ELNS1_3gpuE8ELNS1_3repE0EEENS1_38merge_mergepath_config_static_selectorELNS0_4arch9wavefront6targetE1EEEvSK_,comdat
	.protected	_ZN7rocprim17ROCPRIM_400000_NS6detail17trampoline_kernelINS0_14default_configENS1_38merge_sort_block_merge_config_selectorIcNS0_10empty_typeEEEZZNS1_27merge_sort_block_merge_implIS3_N6thrust23THRUST_200600_302600_NS6detail15normal_iteratorINS9_10device_ptrIcEEEEPS5_m14custom_greaterIcEEE10hipError_tT0_T1_T2_jT3_P12ihipStream_tbPNSt15iterator_traitsISJ_E10value_typeEPNSP_ISK_E10value_typeEPSL_NS1_7vsmem_tEENKUlT_SJ_SK_SL_E_clIPcSE_SF_SF_EESI_SY_SJ_SK_SL_EUlSY_E0_NS1_11comp_targetILNS1_3genE4ELNS1_11target_archE910ELNS1_3gpuE8ELNS1_3repE0EEENS1_38merge_mergepath_config_static_selectorELNS0_4arch9wavefront6targetE1EEEvSK_ ; -- Begin function _ZN7rocprim17ROCPRIM_400000_NS6detail17trampoline_kernelINS0_14default_configENS1_38merge_sort_block_merge_config_selectorIcNS0_10empty_typeEEEZZNS1_27merge_sort_block_merge_implIS3_N6thrust23THRUST_200600_302600_NS6detail15normal_iteratorINS9_10device_ptrIcEEEEPS5_m14custom_greaterIcEEE10hipError_tT0_T1_T2_jT3_P12ihipStream_tbPNSt15iterator_traitsISJ_E10value_typeEPNSP_ISK_E10value_typeEPSL_NS1_7vsmem_tEENKUlT_SJ_SK_SL_E_clIPcSE_SF_SF_EESI_SY_SJ_SK_SL_EUlSY_E0_NS1_11comp_targetILNS1_3genE4ELNS1_11target_archE910ELNS1_3gpuE8ELNS1_3repE0EEENS1_38merge_mergepath_config_static_selectorELNS0_4arch9wavefront6targetE1EEEvSK_
	.globl	_ZN7rocprim17ROCPRIM_400000_NS6detail17trampoline_kernelINS0_14default_configENS1_38merge_sort_block_merge_config_selectorIcNS0_10empty_typeEEEZZNS1_27merge_sort_block_merge_implIS3_N6thrust23THRUST_200600_302600_NS6detail15normal_iteratorINS9_10device_ptrIcEEEEPS5_m14custom_greaterIcEEE10hipError_tT0_T1_T2_jT3_P12ihipStream_tbPNSt15iterator_traitsISJ_E10value_typeEPNSP_ISK_E10value_typeEPSL_NS1_7vsmem_tEENKUlT_SJ_SK_SL_E_clIPcSE_SF_SF_EESI_SY_SJ_SK_SL_EUlSY_E0_NS1_11comp_targetILNS1_3genE4ELNS1_11target_archE910ELNS1_3gpuE8ELNS1_3repE0EEENS1_38merge_mergepath_config_static_selectorELNS0_4arch9wavefront6targetE1EEEvSK_
	.p2align	8
	.type	_ZN7rocprim17ROCPRIM_400000_NS6detail17trampoline_kernelINS0_14default_configENS1_38merge_sort_block_merge_config_selectorIcNS0_10empty_typeEEEZZNS1_27merge_sort_block_merge_implIS3_N6thrust23THRUST_200600_302600_NS6detail15normal_iteratorINS9_10device_ptrIcEEEEPS5_m14custom_greaterIcEEE10hipError_tT0_T1_T2_jT3_P12ihipStream_tbPNSt15iterator_traitsISJ_E10value_typeEPNSP_ISK_E10value_typeEPSL_NS1_7vsmem_tEENKUlT_SJ_SK_SL_E_clIPcSE_SF_SF_EESI_SY_SJ_SK_SL_EUlSY_E0_NS1_11comp_targetILNS1_3genE4ELNS1_11target_archE910ELNS1_3gpuE8ELNS1_3repE0EEENS1_38merge_mergepath_config_static_selectorELNS0_4arch9wavefront6targetE1EEEvSK_,@function
_ZN7rocprim17ROCPRIM_400000_NS6detail17trampoline_kernelINS0_14default_configENS1_38merge_sort_block_merge_config_selectorIcNS0_10empty_typeEEEZZNS1_27merge_sort_block_merge_implIS3_N6thrust23THRUST_200600_302600_NS6detail15normal_iteratorINS9_10device_ptrIcEEEEPS5_m14custom_greaterIcEEE10hipError_tT0_T1_T2_jT3_P12ihipStream_tbPNSt15iterator_traitsISJ_E10value_typeEPNSP_ISK_E10value_typeEPSL_NS1_7vsmem_tEENKUlT_SJ_SK_SL_E_clIPcSE_SF_SF_EESI_SY_SJ_SK_SL_EUlSY_E0_NS1_11comp_targetILNS1_3genE4ELNS1_11target_archE910ELNS1_3gpuE8ELNS1_3repE0EEENS1_38merge_mergepath_config_static_selectorELNS0_4arch9wavefront6targetE1EEEvSK_: ; @_ZN7rocprim17ROCPRIM_400000_NS6detail17trampoline_kernelINS0_14default_configENS1_38merge_sort_block_merge_config_selectorIcNS0_10empty_typeEEEZZNS1_27merge_sort_block_merge_implIS3_N6thrust23THRUST_200600_302600_NS6detail15normal_iteratorINS9_10device_ptrIcEEEEPS5_m14custom_greaterIcEEE10hipError_tT0_T1_T2_jT3_P12ihipStream_tbPNSt15iterator_traitsISJ_E10value_typeEPNSP_ISK_E10value_typeEPSL_NS1_7vsmem_tEENKUlT_SJ_SK_SL_E_clIPcSE_SF_SF_EESI_SY_SJ_SK_SL_EUlSY_E0_NS1_11comp_targetILNS1_3genE4ELNS1_11target_archE910ELNS1_3gpuE8ELNS1_3repE0EEENS1_38merge_mergepath_config_static_selectorELNS0_4arch9wavefront6targetE1EEEvSK_
; %bb.0:
	s_load_dwordx2 s[22:23], s[4:5], 0x48
	s_load_dword s0, s[4:5], 0x38
	s_add_u32 s10, s4, 0x48
	s_addc_u32 s11, s5, 0
	s_waitcnt lgkmcnt(0)
	s_mul_i32 s1, s23, s8
	s_add_i32 s1, s1, s7
	s_mul_i32 s1, s1, s22
	s_add_i32 s8, s1, s6
	s_cmp_ge_u32 s8, s0
	s_cbranch_scc1 .LBB2720_53
; %bb.1:
	s_load_dwordx2 s[0:1], s[4:5], 0x40
	s_load_dwordx4 s[16:19], s[4:5], 0x8
	s_load_dwordx4 s[12:15], s[4:5], 0x28
	s_mov_b32 s9, 0
	s_lshl_b64 s[2:3], s[8:9], 3
	s_waitcnt lgkmcnt(0)
	s_add_u32 s0, s0, s2
	s_addc_u32 s1, s1, s3
	v_mov_b32_e32 v1, s14
	v_alignbit_b32 v1, s15, v1, 9
	v_readfirstlane_b32 s4, v1
	s_and_b32 s4, s4, -2
	s_sub_i32 s30, 0, s4
	s_and_b32 s24, s8, s30
	s_mov_b32 s25, s9
	s_lshl_b64 s[4:5], s[24:25], 10
	s_lshl_b64 s[20:21], s[8:9], 10
	s_sub_u32 s7, s20, s4
	s_load_dwordx4 s[0:3], s[0:1], 0x0
	s_subb_u32 s23, s21, s5
	s_lshl_b64 s[24:25], s[24:25], 11
	s_add_u32 s24, s24, s14
	s_addc_u32 s25, s25, s15
	s_add_u32 s7, s24, s7
	s_addc_u32 s23, s25, s23
	s_waitcnt lgkmcnt(0)
	s_sub_u32 s26, s7, s2
	s_subb_u32 s3, s23, s3
	s_add_u32 s26, s26, 0x400
	s_addc_u32 s27, s3, 0
	v_pk_mov_b32 v[2:3], s[26:27], s[26:27] op_sel:[0,1]
	v_cmp_lt_u64_e32 vcc, s[12:13], v[2:3]
	s_and_b64 s[28:29], vcc, exec
	s_cselect_b32 s3, s12, s26
	s_or_b32 s26, s8, s30
	s_cmp_lg_u32 s26, -1
	s_cbranch_scc1 .LBB2720_3
; %bb.2:
	s_sub_u32 s4, s24, s4
	s_subb_u32 s5, s25, s5
	v_pk_mov_b32 v[2:3], s[4:5], s[4:5] op_sel:[0,1]
	v_cmp_lt_u64_e32 vcc, s[12:13], v[2:3]
	s_and_b64 s[2:3], vcc, exec
	s_cselect_b32 s2, s12, s4
	s_add_u32 s4, s4, s14
	s_addc_u32 s5, s5, s15
	v_pk_mov_b32 v[2:3], s[4:5], s[4:5] op_sel:[0,1]
	v_cmp_lt_u64_e32 vcc, s[12:13], v[2:3]
	s_and_b64 s[14:15], vcc, exec
	s_cselect_b32 s3, s12, s4
.LBB2720_3:
	s_lshr_b64 s[24:25], s[12:13], 10
	s_cmp_lg_u64 s[24:25], s[8:9]
	s_cselect_b64 s[14:15], -1, 0
	s_sub_u32 s4, s7, s0
	s_subb_u32 s5, s23, s1
	v_pk_mov_b32 v[2:3], s[4:5], s[4:5] op_sel:[0,1]
	v_cmp_lt_u64_e32 vcc, s[12:13], v[2:3]
	s_and_b64 s[26:27], vcc, exec
	s_cselect_b32 s4, s12, s4
	s_cselect_b32 s23, s13, s5
	s_sub_i32 s13, s2, s0
	s_sub_i32 s2, s3, s4
	s_add_u32 s5, s16, s0
	s_addc_u32 s7, s17, s1
	s_add_u32 s3, s16, s4
	s_addc_u32 s4, s17, s23
	s_cmp_lt_u32 s6, s22
	v_mov_b32_e32 v1, 0
	s_cselect_b32 s0, 12, 18
	global_load_dword v2, v1, s[10:11] offset:14
	s_add_u32 s0, s10, s0
	s_addc_u32 s1, s11, 0
	global_load_ushort v1, v1, s[0:1]
	s_cmp_eq_u64 s[24:25], s[8:9]
	s_waitcnt vmcnt(1)
	v_lshrrev_b32_e32 v3, 16, v2
	v_and_b32_e32 v2, 0xffff, v2
	v_mul_lo_u32 v2, v2, v3
	s_waitcnt vmcnt(0)
	v_mul_lo_u32 v4, v2, v1
	v_add_u32_e32 v10, v4, v0
	v_add_u32_e32 v8, v10, v4
	s_cbranch_scc1 .LBB2720_5
; %bb.4:
	v_mov_b32_e32 v1, s7
	v_add_co_u32_e32 v2, vcc, s5, v0
	v_addc_co_u32_e32 v1, vcc, 0, v1, vcc
	v_subrev_u32_e32 v3, s13, v0
	v_mov_b32_e32 v5, s4
	v_add_co_u32_e32 v3, vcc, s3, v3
	v_addc_co_u32_e32 v5, vcc, 0, v5, vcc
	v_cmp_gt_u32_e32 vcc, s13, v0
	v_cndmask_b32_e32 v13, v5, v1, vcc
	v_cndmask_b32_e32 v12, v3, v2, vcc
	v_mov_b32_e32 v1, s7
	v_add_co_u32_e32 v2, vcc, s5, v10
	v_addc_co_u32_e32 v1, vcc, 0, v1, vcc
	v_subrev_u32_e32 v3, s13, v10
	v_mov_b32_e32 v5, s4
	v_add_co_u32_e32 v3, vcc, s3, v3
	v_addc_co_u32_e32 v5, vcc, 0, v5, vcc
	v_cmp_gt_u32_e32 vcc, s13, v10
	v_cndmask_b32_e32 v15, v5, v1, vcc
	v_cndmask_b32_e32 v14, v3, v2, vcc
	v_mov_b32_e32 v1, s7
	v_add_co_u32_e32 v2, vcc, s5, v8
	v_addc_co_u32_e32 v1, vcc, 0, v1, vcc
	v_subrev_u32_e32 v3, s13, v8
	v_mov_b32_e32 v5, s4
	v_add_co_u32_e32 v3, vcc, s3, v3
	v_addc_co_u32_e32 v5, vcc, 0, v5, vcc
	v_cmp_gt_u32_e32 vcc, s13, v8
	v_cndmask_b32_e32 v17, v5, v1, vcc
	v_add_u32_e32 v1, v8, v4
	v_cndmask_b32_e32 v16, v3, v2, vcc
	v_mov_b32_e32 v2, s7
	v_add_co_u32_e32 v3, vcc, s5, v1
	v_addc_co_u32_e32 v2, vcc, 0, v2, vcc
	v_subrev_u32_e32 v5, s13, v1
	v_mov_b32_e32 v6, s4
	v_add_co_u32_e32 v5, vcc, s3, v5
	v_addc_co_u32_e32 v6, vcc, 0, v6, vcc
	v_cmp_gt_u32_e32 vcc, s13, v1
	v_add_u32_e32 v1, v1, v4
	v_cndmask_b32_e32 v19, v6, v2, vcc
	v_cndmask_b32_e32 v18, v5, v3, vcc
	v_mov_b32_e32 v2, s7
	v_add_co_u32_e32 v3, vcc, s5, v1
	v_addc_co_u32_e32 v2, vcc, 0, v2, vcc
	v_subrev_u32_e32 v5, s13, v1
	v_mov_b32_e32 v6, s4
	v_add_co_u32_e32 v5, vcc, s3, v5
	v_addc_co_u32_e32 v6, vcc, 0, v6, vcc
	v_cmp_gt_u32_e32 vcc, s13, v1
	v_add_u32_e32 v1, v1, v4
	v_cndmask_b32_e32 v21, v6, v2, vcc
	;; [unrolled: 11-line block ×4, first 2 shown]
	v_cndmask_b32_e32 v24, v5, v3, vcc
	v_mov_b32_e32 v2, s7
	v_add_co_u32_e32 v3, vcc, s5, v1
	v_addc_co_u32_e32 v2, vcc, 0, v2, vcc
	v_subrev_u32_e32 v5, s13, v1
	v_mov_b32_e32 v6, s4
	v_add_co_u32_e32 v5, vcc, s3, v5
	v_addc_co_u32_e32 v6, vcc, 0, v6, vcc
	v_cmp_gt_u32_e32 vcc, s13, v1
	v_cndmask_b32_e32 v27, v6, v2, vcc
	v_cndmask_b32_e32 v26, v5, v3, vcc
	global_load_ubyte v1, v[12:13], off
	global_load_ubyte v2, v[14:15], off
	;; [unrolled: 1-line block ×8, first 2 shown]
	s_add_i32 s22, s13, s2
	s_cbranch_execz .LBB2720_6
	s_branch .LBB2720_23
.LBB2720_5:
                                        ; implicit-def: $vgpr1
                                        ; implicit-def: $vgpr2
                                        ; implicit-def: $vgpr3
                                        ; implicit-def: $vgpr5
                                        ; implicit-def: $vgpr6
                                        ; implicit-def: $vgpr7
                                        ; implicit-def: $vgpr9
                                        ; implicit-def: $vgpr11
                                        ; implicit-def: $sgpr22
.LBB2720_6:
	s_add_i32 s22, s13, s2
	v_cmp_gt_u32_e32 vcc, s22, v0
                                        ; implicit-def: $vgpr1
	s_and_saveexec_b64 s[0:1], vcc
	s_cbranch_execz .LBB2720_8
; %bb.7:
	s_waitcnt vmcnt(7)
	v_mov_b32_e32 v1, s7
	s_waitcnt vmcnt(6)
	v_add_co_u32_e32 v2, vcc, s5, v0
	v_addc_co_u32_e32 v1, vcc, 0, v1, vcc
	s_waitcnt vmcnt(5)
	v_subrev_u32_e32 v3, s13, v0
	s_waitcnt vmcnt(4)
	v_mov_b32_e32 v5, s4
	s_waitcnt vmcnt(3)
	v_add_co_u32_e32 v6, vcc, s3, v3
	v_addc_co_u32_e32 v3, vcc, 0, v5, vcc
	v_cmp_gt_u32_e32 vcc, s13, v0
	v_cndmask_b32_e32 v3, v3, v1, vcc
	v_cndmask_b32_e32 v2, v6, v2, vcc
	global_load_ubyte v1, v[2:3], off
.LBB2720_8:
	s_or_b64 exec, exec, s[0:1]
	v_cmp_gt_u32_e32 vcc, s22, v10
                                        ; implicit-def: $vgpr2
	s_and_saveexec_b64 s[0:1], vcc
	s_cbranch_execz .LBB2720_10
; %bb.9:
	s_waitcnt vmcnt(6)
	v_mov_b32_e32 v2, s7
	s_waitcnt vmcnt(4)
	v_add_co_u32_e32 v5, vcc, s5, v10
	v_addc_co_u32_e32 v2, vcc, 0, v2, vcc
	v_subrev_u32_e32 v3, s13, v10
	s_waitcnt vmcnt(3)
	v_mov_b32_e32 v6, s4
	s_waitcnt vmcnt(2)
	v_add_co_u32_e32 v7, vcc, s3, v3
	v_addc_co_u32_e32 v3, vcc, 0, v6, vcc
	v_cmp_gt_u32_e32 vcc, s13, v10
	v_cndmask_b32_e32 v3, v3, v2, vcc
	v_cndmask_b32_e32 v2, v7, v5, vcc
	global_load_ubyte v2, v[2:3], off
.LBB2720_10:
	s_or_b64 exec, exec, s[0:1]
	v_cmp_gt_u32_e32 vcc, s22, v8
                                        ; implicit-def: $vgpr3
	s_and_saveexec_b64 s[0:1], vcc
	s_cbranch_execz .LBB2720_12
; %bb.11:
	s_waitcnt vmcnt(5)
	v_mov_b32_e32 v3, s7
	s_waitcnt vmcnt(4)
	v_add_co_u32_e32 v5, vcc, s5, v8
	v_addc_co_u32_e32 v3, vcc, 0, v3, vcc
	s_waitcnt vmcnt(3)
	v_subrev_u32_e32 v6, s13, v8
	s_waitcnt vmcnt(2)
	v_mov_b32_e32 v7, s4
	v_add_co_u32_e32 v6, vcc, s3, v6
	v_addc_co_u32_e32 v7, vcc, 0, v7, vcc
	v_cmp_gt_u32_e32 vcc, s13, v8
	v_cndmask_b32_e32 v7, v7, v3, vcc
	v_cndmask_b32_e32 v6, v6, v5, vcc
	global_load_ubyte v3, v[6:7], off
.LBB2720_12:
	s_or_b64 exec, exec, s[0:1]
	s_waitcnt vmcnt(3)
	v_add_u32_e32 v6, v8, v4
	v_cmp_gt_u32_e32 vcc, s22, v6
                                        ; implicit-def: $vgpr5
	s_and_saveexec_b64 s[0:1], vcc
	s_cbranch_execz .LBB2720_14
; %bb.13:
	v_mov_b32_e32 v5, s7
	s_waitcnt vmcnt(2)
	v_add_co_u32_e32 v7, vcc, s5, v6
	v_addc_co_u32_e32 v5, vcc, 0, v5, vcc
	v_subrev_u32_e32 v8, s13, v6
	s_waitcnt vmcnt(1)
	v_mov_b32_e32 v9, s4
	v_add_co_u32_e32 v8, vcc, s3, v8
	v_addc_co_u32_e32 v9, vcc, 0, v9, vcc
	v_cmp_gt_u32_e32 vcc, s13, v6
	v_cndmask_b32_e32 v9, v9, v5, vcc
	v_cndmask_b32_e32 v8, v8, v7, vcc
	global_load_ubyte v5, v[8:9], off
.LBB2720_14:
	s_or_b64 exec, exec, s[0:1]
	s_waitcnt vmcnt(2)
	v_add_u32_e32 v7, v6, v4
	v_cmp_gt_u32_e32 vcc, s22, v7
                                        ; implicit-def: $vgpr6
	s_and_saveexec_b64 s[0:1], vcc
	s_cbranch_execz .LBB2720_16
; %bb.15:
	v_mov_b32_e32 v6, s7
	v_add_co_u32_e32 v8, vcc, s5, v7
	v_addc_co_u32_e32 v6, vcc, 0, v6, vcc
	s_waitcnt vmcnt(1)
	v_subrev_u32_e32 v9, s13, v7
	v_mov_b32_e32 v10, s4
	s_waitcnt vmcnt(0)
	v_add_co_u32_e32 v11, vcc, s3, v9
	v_addc_co_u32_e32 v9, vcc, 0, v10, vcc
	v_cmp_gt_u32_e32 vcc, s13, v7
	v_cndmask_b32_e32 v9, v9, v6, vcc
	v_cndmask_b32_e32 v8, v11, v8, vcc
	global_load_ubyte v6, v[8:9], off
.LBB2720_16:
	s_or_b64 exec, exec, s[0:1]
	v_add_u32_e32 v8, v7, v4
	v_cmp_gt_u32_e32 vcc, s22, v8
                                        ; implicit-def: $vgpr7
	s_and_saveexec_b64 s[0:1], vcc
	s_cbranch_execz .LBB2720_18
; %bb.17:
	v_mov_b32_e32 v7, s7
	s_waitcnt vmcnt(1)
	v_add_co_u32_e32 v9, vcc, s5, v8
	v_addc_co_u32_e32 v7, vcc, 0, v7, vcc
	v_subrev_u32_e32 v10, s13, v8
	s_waitcnt vmcnt(0)
	v_mov_b32_e32 v11, s4
	v_add_co_u32_e32 v10, vcc, s3, v10
	v_addc_co_u32_e32 v11, vcc, 0, v11, vcc
	v_cmp_gt_u32_e32 vcc, s13, v8
	v_cndmask_b32_e32 v11, v11, v7, vcc
	v_cndmask_b32_e32 v10, v10, v9, vcc
	global_load_ubyte v7, v[10:11], off
.LBB2720_18:
	s_or_b64 exec, exec, s[0:1]
	v_add_u32_e32 v8, v8, v4
	v_cmp_gt_u32_e32 vcc, s22, v8
                                        ; implicit-def: $vgpr9
	s_and_saveexec_b64 s[0:1], vcc
	s_cbranch_execz .LBB2720_20
; %bb.19:
	s_waitcnt vmcnt(1)
	v_mov_b32_e32 v9, s7
	v_add_co_u32_e32 v10, vcc, s5, v8
	v_addc_co_u32_e32 v9, vcc, 0, v9, vcc
	s_waitcnt vmcnt(0)
	v_subrev_u32_e32 v11, s13, v8
	v_mov_b32_e32 v12, s4
	v_add_co_u32_e32 v13, vcc, s3, v11
	v_addc_co_u32_e32 v11, vcc, 0, v12, vcc
	v_cmp_gt_u32_e32 vcc, s13, v8
	v_cndmask_b32_e32 v11, v11, v9, vcc
	v_cndmask_b32_e32 v10, v13, v10, vcc
	global_load_ubyte v9, v[10:11], off
.LBB2720_20:
	s_or_b64 exec, exec, s[0:1]
	v_add_u32_e32 v4, v8, v4
	v_cmp_gt_u32_e32 vcc, s22, v4
                                        ; implicit-def: $vgpr11
	s_and_saveexec_b64 s[0:1], vcc
	s_cbranch_execz .LBB2720_22
; %bb.21:
	v_mov_b32_e32 v8, s7
	v_add_co_u32_e32 v10, vcc, s5, v4
	v_addc_co_u32_e32 v8, vcc, 0, v8, vcc
	s_waitcnt vmcnt(0)
	v_subrev_u32_e32 v11, s13, v4
	v_mov_b32_e32 v12, s4
	v_add_co_u32_e32 v13, vcc, s3, v11
	v_addc_co_u32_e32 v11, vcc, 0, v12, vcc
	v_cmp_gt_u32_e32 vcc, s13, v4
	v_cndmask_b32_e32 v11, v11, v8, vcc
	v_cndmask_b32_e32 v10, v13, v10, vcc
	global_load_ubyte v11, v[10:11], off
.LBB2720_22:
	s_or_b64 exec, exec, s[0:1]
.LBB2720_23:
	v_lshlrev_b32_e32 v4, 3, v0
	v_min_u32_e32 v10, s22, v4
	v_sub_u32_e64 v8, v10, s2 clamp
	v_min_u32_e32 v12, s13, v10
	v_cmp_lt_u32_e32 vcc, v8, v12
	s_waitcnt vmcnt(0)
	ds_write_b8 v0, v1
	ds_write_b8 v0, v2 offset:128
	ds_write_b8 v0, v3 offset:256
	;; [unrolled: 1-line block ×7, first 2 shown]
	s_waitcnt lgkmcnt(0)
	s_barrier
	s_and_saveexec_b64 s[0:1], vcc
	s_cbranch_execz .LBB2720_27
; %bb.24:
	v_add_u32_e32 v13, s13, v10
	s_mov_b64 s[2:3], 0
.LBB2720_25:                            ; =>This Inner Loop Header: Depth=1
	v_add_u32_e32 v14, v12, v8
	v_lshrrev_b32_e32 v14, 1, v14
	v_xad_u32 v15, v14, -1, v13
	ds_read_i8 v16, v14
	ds_read_i8 v15, v15
	v_add_u32_e32 v17, 1, v14
	s_waitcnt lgkmcnt(0)
	v_cmp_gt_i16_e32 vcc, v16, v15
	v_cndmask_b32_e32 v12, v12, v14, vcc
	v_cndmask_b32_e32 v8, v17, v8, vcc
	v_cmp_ge_u32_e32 vcc, v8, v12
	s_or_b64 s[2:3], vcc, s[2:3]
	s_andn2_b64 exec, exec, s[2:3]
	s_cbranch_execnz .LBB2720_25
; %bb.26:
	s_or_b64 exec, exec, s[2:3]
.LBB2720_27:
	s_or_b64 exec, exec, s[0:1]
	v_sub_u32_e32 v10, v10, v8
	v_add_u32_e32 v10, s13, v10
	v_cmp_ge_u32_e32 vcc, s13, v8
	v_cmp_ge_u32_e64 s[0:1], s22, v10
	s_or_b64 s[0:1], vcc, s[0:1]
	s_and_saveexec_b64 s[16:17], s[0:1]
	s_cbranch_execz .LBB2720_33
; %bb.28:
	v_cmp_gt_u32_e32 vcc, s13, v8
                                        ; implicit-def: $vgpr1
	s_and_saveexec_b64 s[0:1], vcc
	s_cbranch_execz .LBB2720_30
; %bb.29:
	ds_read_u8 v1, v8
.LBB2720_30:
	s_or_b64 exec, exec, s[0:1]
	v_cmp_le_u32_e64 s[0:1], s22, v10
	v_cmp_gt_u32_e64 s[2:3], s22, v10
                                        ; implicit-def: $vgpr2
	s_and_saveexec_b64 s[4:5], s[2:3]
	s_cbranch_execz .LBB2720_32
; %bb.31:
	ds_read_u8 v2, v10
.LBB2720_32:
	s_or_b64 exec, exec, s[4:5]
	s_waitcnt lgkmcnt(0)
	v_cmp_le_i16_sdwa s[2:3], sext(v1), sext(v2) src0_sel:BYTE_0 src1_sel:BYTE_0
	s_and_b64 s[2:3], vcc, s[2:3]
	s_or_b64 vcc, s[0:1], s[2:3]
	v_mov_b32_e32 v5, s22
	v_mov_b32_e32 v6, s13
	v_cndmask_b32_e32 v3, v10, v8, vcc
	v_cndmask_b32_e32 v7, v5, v6, vcc
	v_add_u32_e32 v3, 1, v3
	v_add_u32_e32 v7, -1, v7
	v_min_u32_e32 v7, v3, v7
	ds_read_u8 v7, v7
	v_cndmask_b32_e32 v10, v3, v10, vcc
	v_cndmask_b32_e32 v3, v8, v3, vcc
	v_cmp_gt_u32_e64 s[2:3], s13, v3
	v_cmp_le_u32_e64 s[0:1], s22, v10
	s_waitcnt lgkmcnt(0)
	v_cndmask_b32_e32 v9, v7, v2, vcc
	v_cndmask_b32_e32 v7, v1, v7, vcc
	v_cmp_le_i16_sdwa s[4:5], sext(v7), sext(v9) src0_sel:BYTE_0 src1_sel:BYTE_0
	s_and_b64 s[2:3], s[2:3], s[4:5]
	s_or_b64 s[0:1], s[0:1], s[2:3]
	v_cndmask_b32_e64 v8, v10, v3, s[0:1]
	v_cndmask_b32_e64 v11, v5, v6, s[0:1]
	v_add_u32_e32 v8, 1, v8
	v_add_u32_e32 v11, -1, v11
	v_min_u32_e32 v11, v8, v11
	ds_read_u8 v11, v11
	v_cndmask_b32_e64 v3, v3, v8, s[0:1]
	v_cndmask_b32_e64 v10, v8, v10, s[0:1]
	v_cmp_gt_u32_e64 s[4:5], s13, v3
	v_cmp_le_u32_e64 s[2:3], s22, v10
	s_waitcnt lgkmcnt(0)
	v_cndmask_b32_e64 v12, v11, v9, s[0:1]
	v_cndmask_b32_e64 v11, v7, v11, s[0:1]
	v_cmp_le_i16_sdwa s[6:7], sext(v11), sext(v12) src0_sel:BYTE_0 src1_sel:BYTE_0
	s_and_b64 s[4:5], s[4:5], s[6:7]
	s_or_b64 s[2:3], s[2:3], s[4:5]
	v_cndmask_b32_e64 v8, v10, v3, s[2:3]
	v_cndmask_b32_e64 v13, v5, v6, s[2:3]
	v_add_u32_e32 v8, 1, v8
	v_add_u32_e32 v13, -1, v13
	v_min_u32_e32 v13, v8, v13
	ds_read_u8 v13, v13
	v_cndmask_b32_e64 v3, v3, v8, s[2:3]
	v_cndmask_b32_e64 v10, v8, v10, s[2:3]
	v_cmp_gt_u32_e64 s[6:7], s13, v3
	v_cmp_le_u32_e64 s[4:5], s22, v10
	s_waitcnt lgkmcnt(0)
	v_cndmask_b32_e64 v14, v13, v12, s[2:3]
	v_cndmask_b32_e64 v13, v11, v13, s[2:3]
	;; [unrolled: 16-line block ×4, first 2 shown]
	v_cmp_le_i16_sdwa s[24:25], sext(v17), sext(v18) src0_sel:BYTE_0 src1_sel:BYTE_0
	s_and_b64 s[10:11], s[10:11], s[24:25]
	s_or_b64 s[8:9], s[8:9], s[10:11]
	v_cndmask_b32_e64 v3, v10, v8, s[8:9]
	v_cndmask_b32_e64 v19, v5, v6, s[8:9]
	v_add_u32_e32 v20, 1, v3
	v_add_u32_e32 v3, -1, v19
	v_min_u32_e32 v3, v20, v3
	ds_read_u8 v19, v3
	v_cndmask_b32_e64 v3, v12, v11, s[2:3]
	v_cndmask_b32_e64 v8, v8, v20, s[8:9]
	v_cndmask_b32_e32 v1, v2, v1, vcc
	v_cndmask_b32_e64 v2, v9, v7, s[0:1]
	s_waitcnt lgkmcnt(0)
	v_cndmask_b32_e64 v11, v19, v18, s[8:9]
	v_cndmask_b32_e64 v12, v17, v19, s[8:9]
	;; [unrolled: 1-line block ×3, first 2 shown]
	v_cmp_gt_u32_e64 s[0:1], s13, v8
	v_cmp_le_i16_sdwa s[2:3], sext(v12), sext(v11) src0_sel:BYTE_0 src1_sel:BYTE_0
	v_cmp_le_u32_e32 vcc, s22, v10
	s_and_b64 s[0:1], s[0:1], s[2:3]
	s_or_b64 vcc, vcc, s[0:1]
	v_cndmask_b32_e32 v7, v10, v8, vcc
	v_cndmask_b32_e32 v5, v5, v6, vcc
	v_add_u32_e32 v19, 1, v7
	v_add_u32_e32 v5, -1, v5
	v_min_u32_e32 v5, v19, v5
	ds_read_u8 v20, v5
	v_cndmask_b32_e32 v9, v11, v12, vcc
	v_cndmask_b32_e32 v8, v8, v19, vcc
	;; [unrolled: 1-line block ×3, first 2 shown]
	v_cmp_gt_u32_e64 s[0:1], s13, v8
	s_waitcnt lgkmcnt(0)
	v_cndmask_b32_e32 v11, v20, v11, vcc
	v_cndmask_b32_e32 v12, v12, v20, vcc
	v_cmp_le_i16_sdwa s[2:3], sext(v12), sext(v11) src0_sel:BYTE_0 src1_sel:BYTE_0
	v_cmp_le_u32_e32 vcc, s22, v10
	s_and_b64 s[0:1], s[0:1], s[2:3]
	s_or_b64 vcc, vcc, s[0:1]
	v_cndmask_b32_e64 v5, v14, v13, s[4:5]
	v_cndmask_b32_e64 v6, v16, v15, s[6:7]
	;; [unrolled: 1-line block ×3, first 2 shown]
	v_cndmask_b32_e32 v11, v11, v12, vcc
.LBB2720_33:
	s_or_b64 exec, exec, s[16:17]
	v_lshlrev_b16_e32 v7, 8, v7
	v_lshlrev_b16_e32 v2, 8, v2
	v_lshrrev_b32_e32 v8, 2, v0
	v_or_b32_sdwa v6, v6, v7 dst_sel:DWORD dst_unused:UNUSED_PAD src0_sel:BYTE_0 src1_sel:DWORD
	v_lshlrev_b16_e32 v7, 8, v11
	v_or_b32_sdwa v1, v1, v2 dst_sel:DWORD dst_unused:UNUSED_PAD src0_sel:BYTE_0 src1_sel:DWORD
	v_lshlrev_b16_e32 v2, 8, v5
	s_add_u32 s0, s18, s20
	v_and_b32_e32 v8, 28, v8
	v_or_b32_sdwa v7, v9, v7 dst_sel:WORD_1 dst_unused:UNUSED_PAD src0_sel:BYTE_0 src1_sel:DWORD
	v_or_b32_sdwa v2, v3, v2 dst_sel:WORD_1 dst_unused:UNUSED_PAD src0_sel:BYTE_0 src1_sel:DWORD
	s_addc_u32 s1, s19, s21
	v_add_u32_e32 v4, v8, v4
	v_or_b32_sdwa v6, v6, v7 dst_sel:DWORD dst_unused:UNUSED_PAD src0_sel:WORD_0 src1_sel:DWORD
	v_or_b32_sdwa v1, v1, v2 dst_sel:DWORD dst_unused:UNUSED_PAD src0_sel:WORD_0 src1_sel:DWORD
	s_barrier
	s_barrier
	ds_write2_b32 v4, v1, v6 offset1:1
	v_mov_b32_e32 v1, s1
	v_add_co_u32_e32 v2, vcc, s0, v0
	v_addc_co_u32_e32 v3, vcc, 0, v1, vcc
	s_and_b64 vcc, exec, s[14:15]
	v_add_u32_e32 v1, 4, v0
	v_add_u32_e32 v4, 8, v0
	v_add_u32_e32 v5, 12, v0
	v_add_u32_e32 v6, 16, v0
	v_add_u32_e32 v7, 20, v0
	v_add_u32_e32 v8, 24, v0
	v_add_u32_e32 v9, 28, v0
	s_waitcnt lgkmcnt(0)
	s_cbranch_vccz .LBB2720_35
; %bb.34:
	s_barrier
	ds_read_u8 v10, v0
	ds_read_u8 v11, v1 offset:128
	ds_read_u8 v12, v4 offset:256
	;; [unrolled: 1-line block ×7, first 2 shown]
	s_waitcnt lgkmcnt(7)
	global_store_byte v[2:3], v10, off
	s_waitcnt lgkmcnt(6)
	global_store_byte v[2:3], v11, off offset:128
	s_waitcnt lgkmcnt(5)
	global_store_byte v[2:3], v12, off offset:256
	;; [unrolled: 2-line block ×6, first 2 shown]
	v_lshlrev_b16_e32 v10, 8, v15
	s_waitcnt lgkmcnt(0)
	v_lshlrev_b16_e32 v11, 8, v17
	v_or_b32_e32 v10, v14, v10
	v_or_b32_sdwa v11, v16, v11 dst_sel:WORD_1 dst_unused:UNUSED_PAD src0_sel:DWORD src1_sel:DWORD
	v_or_b32_sdwa v10, v10, v11 dst_sel:DWORD dst_unused:UNUSED_PAD src0_sel:WORD_0 src1_sel:DWORD
	s_mov_b64 s[0:1], -1
	s_cbranch_execz .LBB2720_36
	s_branch .LBB2720_51
.LBB2720_35:
	s_mov_b64 s[0:1], 0
                                        ; implicit-def: $vgpr10
.LBB2720_36:
	s_barrier
	ds_read_u8 v13, v0
	ds_read_u8 v12, v1 offset:128
	ds_read_u8 v11, v4 offset:256
	;; [unrolled: 1-line block ×7, first 2 shown]
	s_sub_i32 s2, s12, s20
	v_or_b32_e32 v7, 0x80, v0
	v_cmp_gt_u32_e32 vcc, s2, v0
	s_and_saveexec_b64 s[0:1], vcc
	s_cbranch_execz .LBB2720_38
; %bb.37:
	s_waitcnt lgkmcnt(7)
	global_store_byte v[2:3], v13, off
.LBB2720_38:
	s_or_b64 exec, exec, s[0:1]
	v_or_b32_e32 v8, 0x100, v0
	v_cmp_gt_u32_e32 vcc, s2, v7
	s_and_saveexec_b64 s[0:1], vcc
	s_cbranch_execz .LBB2720_40
; %bb.39:
	s_waitcnt lgkmcnt(6)
	global_store_byte v[2:3], v12, off offset:128
.LBB2720_40:
	s_or_b64 exec, exec, s[0:1]
	v_or_b32_e32 v7, 0x180, v0
	v_cmp_gt_u32_e32 vcc, s2, v8
	s_and_saveexec_b64 s[0:1], vcc
	s_cbranch_execz .LBB2720_42
; %bb.41:
	s_waitcnt lgkmcnt(5)
	global_store_byte v[2:3], v11, off offset:256
.LBB2720_42:
	;; [unrolled: 9-line block ×6, first 2 shown]
	s_or_b64 exec, exec, s[0:1]
	v_cmp_gt_u32_e64 s[0:1], s2, v0
	s_waitcnt lgkmcnt(2)
	v_lshlrev_b16_e32 v0, 8, v5
	v_or_b32_sdwa v0, v1, v0 dst_sel:DWORD dst_unused:UNUSED_PAD src0_sel:BYTE_0 src1_sel:DWORD
	s_waitcnt lgkmcnt(0)
	v_lshlrev_b16_e32 v1, 8, v6
	v_or_b32_sdwa v1, v4, v1 dst_sel:WORD_1 dst_unused:UNUSED_PAD src0_sel:BYTE_0 src1_sel:DWORD
	v_or_b32_sdwa v10, v0, v1 dst_sel:DWORD dst_unused:UNUSED_PAD src0_sel:WORD_0 src1_sel:DWORD
.LBB2720_51:
	s_and_saveexec_b64 s[2:3], s[0:1]
	s_cbranch_execz .LBB2720_53
; %bb.52:
	v_lshrrev_b32_e32 v0, 24, v10
	global_store_byte v[2:3], v0, off offset:896
.LBB2720_53:
	s_endpgm
	.section	.rodata,"a",@progbits
	.p2align	6, 0x0
	.amdhsa_kernel _ZN7rocprim17ROCPRIM_400000_NS6detail17trampoline_kernelINS0_14default_configENS1_38merge_sort_block_merge_config_selectorIcNS0_10empty_typeEEEZZNS1_27merge_sort_block_merge_implIS3_N6thrust23THRUST_200600_302600_NS6detail15normal_iteratorINS9_10device_ptrIcEEEEPS5_m14custom_greaterIcEEE10hipError_tT0_T1_T2_jT3_P12ihipStream_tbPNSt15iterator_traitsISJ_E10value_typeEPNSP_ISK_E10value_typeEPSL_NS1_7vsmem_tEENKUlT_SJ_SK_SL_E_clIPcSE_SF_SF_EESI_SY_SJ_SK_SL_EUlSY_E0_NS1_11comp_targetILNS1_3genE4ELNS1_11target_archE910ELNS1_3gpuE8ELNS1_3repE0EEENS1_38merge_mergepath_config_static_selectorELNS0_4arch9wavefront6targetE1EEEvSK_
		.amdhsa_group_segment_fixed_size 1056
		.amdhsa_private_segment_fixed_size 0
		.amdhsa_kernarg_size 328
		.amdhsa_user_sgpr_count 6
		.amdhsa_user_sgpr_private_segment_buffer 1
		.amdhsa_user_sgpr_dispatch_ptr 0
		.amdhsa_user_sgpr_queue_ptr 0
		.amdhsa_user_sgpr_kernarg_segment_ptr 1
		.amdhsa_user_sgpr_dispatch_id 0
		.amdhsa_user_sgpr_flat_scratch_init 0
		.amdhsa_user_sgpr_kernarg_preload_length 0
		.amdhsa_user_sgpr_kernarg_preload_offset 0
		.amdhsa_user_sgpr_private_segment_size 0
		.amdhsa_uses_dynamic_stack 0
		.amdhsa_system_sgpr_private_segment_wavefront_offset 0
		.amdhsa_system_sgpr_workgroup_id_x 1
		.amdhsa_system_sgpr_workgroup_id_y 1
		.amdhsa_system_sgpr_workgroup_id_z 1
		.amdhsa_system_sgpr_workgroup_info 0
		.amdhsa_system_vgpr_workitem_id 0
		.amdhsa_next_free_vgpr 28
		.amdhsa_next_free_sgpr 31
		.amdhsa_accum_offset 28
		.amdhsa_reserve_vcc 1
		.amdhsa_reserve_flat_scratch 0
		.amdhsa_float_round_mode_32 0
		.amdhsa_float_round_mode_16_64 0
		.amdhsa_float_denorm_mode_32 3
		.amdhsa_float_denorm_mode_16_64 3
		.amdhsa_dx10_clamp 1
		.amdhsa_ieee_mode 1
		.amdhsa_fp16_overflow 0
		.amdhsa_tg_split 0
		.amdhsa_exception_fp_ieee_invalid_op 0
		.amdhsa_exception_fp_denorm_src 0
		.amdhsa_exception_fp_ieee_div_zero 0
		.amdhsa_exception_fp_ieee_overflow 0
		.amdhsa_exception_fp_ieee_underflow 0
		.amdhsa_exception_fp_ieee_inexact 0
		.amdhsa_exception_int_div_zero 0
	.end_amdhsa_kernel
	.section	.text._ZN7rocprim17ROCPRIM_400000_NS6detail17trampoline_kernelINS0_14default_configENS1_38merge_sort_block_merge_config_selectorIcNS0_10empty_typeEEEZZNS1_27merge_sort_block_merge_implIS3_N6thrust23THRUST_200600_302600_NS6detail15normal_iteratorINS9_10device_ptrIcEEEEPS5_m14custom_greaterIcEEE10hipError_tT0_T1_T2_jT3_P12ihipStream_tbPNSt15iterator_traitsISJ_E10value_typeEPNSP_ISK_E10value_typeEPSL_NS1_7vsmem_tEENKUlT_SJ_SK_SL_E_clIPcSE_SF_SF_EESI_SY_SJ_SK_SL_EUlSY_E0_NS1_11comp_targetILNS1_3genE4ELNS1_11target_archE910ELNS1_3gpuE8ELNS1_3repE0EEENS1_38merge_mergepath_config_static_selectorELNS0_4arch9wavefront6targetE1EEEvSK_,"axG",@progbits,_ZN7rocprim17ROCPRIM_400000_NS6detail17trampoline_kernelINS0_14default_configENS1_38merge_sort_block_merge_config_selectorIcNS0_10empty_typeEEEZZNS1_27merge_sort_block_merge_implIS3_N6thrust23THRUST_200600_302600_NS6detail15normal_iteratorINS9_10device_ptrIcEEEEPS5_m14custom_greaterIcEEE10hipError_tT0_T1_T2_jT3_P12ihipStream_tbPNSt15iterator_traitsISJ_E10value_typeEPNSP_ISK_E10value_typeEPSL_NS1_7vsmem_tEENKUlT_SJ_SK_SL_E_clIPcSE_SF_SF_EESI_SY_SJ_SK_SL_EUlSY_E0_NS1_11comp_targetILNS1_3genE4ELNS1_11target_archE910ELNS1_3gpuE8ELNS1_3repE0EEENS1_38merge_mergepath_config_static_selectorELNS0_4arch9wavefront6targetE1EEEvSK_,comdat
.Lfunc_end2720:
	.size	_ZN7rocprim17ROCPRIM_400000_NS6detail17trampoline_kernelINS0_14default_configENS1_38merge_sort_block_merge_config_selectorIcNS0_10empty_typeEEEZZNS1_27merge_sort_block_merge_implIS3_N6thrust23THRUST_200600_302600_NS6detail15normal_iteratorINS9_10device_ptrIcEEEEPS5_m14custom_greaterIcEEE10hipError_tT0_T1_T2_jT3_P12ihipStream_tbPNSt15iterator_traitsISJ_E10value_typeEPNSP_ISK_E10value_typeEPSL_NS1_7vsmem_tEENKUlT_SJ_SK_SL_E_clIPcSE_SF_SF_EESI_SY_SJ_SK_SL_EUlSY_E0_NS1_11comp_targetILNS1_3genE4ELNS1_11target_archE910ELNS1_3gpuE8ELNS1_3repE0EEENS1_38merge_mergepath_config_static_selectorELNS0_4arch9wavefront6targetE1EEEvSK_, .Lfunc_end2720-_ZN7rocprim17ROCPRIM_400000_NS6detail17trampoline_kernelINS0_14default_configENS1_38merge_sort_block_merge_config_selectorIcNS0_10empty_typeEEEZZNS1_27merge_sort_block_merge_implIS3_N6thrust23THRUST_200600_302600_NS6detail15normal_iteratorINS9_10device_ptrIcEEEEPS5_m14custom_greaterIcEEE10hipError_tT0_T1_T2_jT3_P12ihipStream_tbPNSt15iterator_traitsISJ_E10value_typeEPNSP_ISK_E10value_typeEPSL_NS1_7vsmem_tEENKUlT_SJ_SK_SL_E_clIPcSE_SF_SF_EESI_SY_SJ_SK_SL_EUlSY_E0_NS1_11comp_targetILNS1_3genE4ELNS1_11target_archE910ELNS1_3gpuE8ELNS1_3repE0EEENS1_38merge_mergepath_config_static_selectorELNS0_4arch9wavefront6targetE1EEEvSK_
                                        ; -- End function
	.section	.AMDGPU.csdata,"",@progbits
; Kernel info:
; codeLenInByte = 3280
; NumSgprs: 35
; NumVgprs: 28
; NumAgprs: 0
; TotalNumVgprs: 28
; ScratchSize: 0
; MemoryBound: 0
; FloatMode: 240
; IeeeMode: 1
; LDSByteSize: 1056 bytes/workgroup (compile time only)
; SGPRBlocks: 4
; VGPRBlocks: 3
; NumSGPRsForWavesPerEU: 35
; NumVGPRsForWavesPerEU: 28
; AccumOffset: 28
; Occupancy: 8
; WaveLimiterHint : 1
; COMPUTE_PGM_RSRC2:SCRATCH_EN: 0
; COMPUTE_PGM_RSRC2:USER_SGPR: 6
; COMPUTE_PGM_RSRC2:TRAP_HANDLER: 0
; COMPUTE_PGM_RSRC2:TGID_X_EN: 1
; COMPUTE_PGM_RSRC2:TGID_Y_EN: 1
; COMPUTE_PGM_RSRC2:TGID_Z_EN: 1
; COMPUTE_PGM_RSRC2:TIDIG_COMP_CNT: 0
; COMPUTE_PGM_RSRC3_GFX90A:ACCUM_OFFSET: 6
; COMPUTE_PGM_RSRC3_GFX90A:TG_SPLIT: 0
	.section	.text._ZN7rocprim17ROCPRIM_400000_NS6detail17trampoline_kernelINS0_14default_configENS1_38merge_sort_block_merge_config_selectorIcNS0_10empty_typeEEEZZNS1_27merge_sort_block_merge_implIS3_N6thrust23THRUST_200600_302600_NS6detail15normal_iteratorINS9_10device_ptrIcEEEEPS5_m14custom_greaterIcEEE10hipError_tT0_T1_T2_jT3_P12ihipStream_tbPNSt15iterator_traitsISJ_E10value_typeEPNSP_ISK_E10value_typeEPSL_NS1_7vsmem_tEENKUlT_SJ_SK_SL_E_clIPcSE_SF_SF_EESI_SY_SJ_SK_SL_EUlSY_E0_NS1_11comp_targetILNS1_3genE3ELNS1_11target_archE908ELNS1_3gpuE7ELNS1_3repE0EEENS1_38merge_mergepath_config_static_selectorELNS0_4arch9wavefront6targetE1EEEvSK_,"axG",@progbits,_ZN7rocprim17ROCPRIM_400000_NS6detail17trampoline_kernelINS0_14default_configENS1_38merge_sort_block_merge_config_selectorIcNS0_10empty_typeEEEZZNS1_27merge_sort_block_merge_implIS3_N6thrust23THRUST_200600_302600_NS6detail15normal_iteratorINS9_10device_ptrIcEEEEPS5_m14custom_greaterIcEEE10hipError_tT0_T1_T2_jT3_P12ihipStream_tbPNSt15iterator_traitsISJ_E10value_typeEPNSP_ISK_E10value_typeEPSL_NS1_7vsmem_tEENKUlT_SJ_SK_SL_E_clIPcSE_SF_SF_EESI_SY_SJ_SK_SL_EUlSY_E0_NS1_11comp_targetILNS1_3genE3ELNS1_11target_archE908ELNS1_3gpuE7ELNS1_3repE0EEENS1_38merge_mergepath_config_static_selectorELNS0_4arch9wavefront6targetE1EEEvSK_,comdat
	.protected	_ZN7rocprim17ROCPRIM_400000_NS6detail17trampoline_kernelINS0_14default_configENS1_38merge_sort_block_merge_config_selectorIcNS0_10empty_typeEEEZZNS1_27merge_sort_block_merge_implIS3_N6thrust23THRUST_200600_302600_NS6detail15normal_iteratorINS9_10device_ptrIcEEEEPS5_m14custom_greaterIcEEE10hipError_tT0_T1_T2_jT3_P12ihipStream_tbPNSt15iterator_traitsISJ_E10value_typeEPNSP_ISK_E10value_typeEPSL_NS1_7vsmem_tEENKUlT_SJ_SK_SL_E_clIPcSE_SF_SF_EESI_SY_SJ_SK_SL_EUlSY_E0_NS1_11comp_targetILNS1_3genE3ELNS1_11target_archE908ELNS1_3gpuE7ELNS1_3repE0EEENS1_38merge_mergepath_config_static_selectorELNS0_4arch9wavefront6targetE1EEEvSK_ ; -- Begin function _ZN7rocprim17ROCPRIM_400000_NS6detail17trampoline_kernelINS0_14default_configENS1_38merge_sort_block_merge_config_selectorIcNS0_10empty_typeEEEZZNS1_27merge_sort_block_merge_implIS3_N6thrust23THRUST_200600_302600_NS6detail15normal_iteratorINS9_10device_ptrIcEEEEPS5_m14custom_greaterIcEEE10hipError_tT0_T1_T2_jT3_P12ihipStream_tbPNSt15iterator_traitsISJ_E10value_typeEPNSP_ISK_E10value_typeEPSL_NS1_7vsmem_tEENKUlT_SJ_SK_SL_E_clIPcSE_SF_SF_EESI_SY_SJ_SK_SL_EUlSY_E0_NS1_11comp_targetILNS1_3genE3ELNS1_11target_archE908ELNS1_3gpuE7ELNS1_3repE0EEENS1_38merge_mergepath_config_static_selectorELNS0_4arch9wavefront6targetE1EEEvSK_
	.globl	_ZN7rocprim17ROCPRIM_400000_NS6detail17trampoline_kernelINS0_14default_configENS1_38merge_sort_block_merge_config_selectorIcNS0_10empty_typeEEEZZNS1_27merge_sort_block_merge_implIS3_N6thrust23THRUST_200600_302600_NS6detail15normal_iteratorINS9_10device_ptrIcEEEEPS5_m14custom_greaterIcEEE10hipError_tT0_T1_T2_jT3_P12ihipStream_tbPNSt15iterator_traitsISJ_E10value_typeEPNSP_ISK_E10value_typeEPSL_NS1_7vsmem_tEENKUlT_SJ_SK_SL_E_clIPcSE_SF_SF_EESI_SY_SJ_SK_SL_EUlSY_E0_NS1_11comp_targetILNS1_3genE3ELNS1_11target_archE908ELNS1_3gpuE7ELNS1_3repE0EEENS1_38merge_mergepath_config_static_selectorELNS0_4arch9wavefront6targetE1EEEvSK_
	.p2align	8
	.type	_ZN7rocprim17ROCPRIM_400000_NS6detail17trampoline_kernelINS0_14default_configENS1_38merge_sort_block_merge_config_selectorIcNS0_10empty_typeEEEZZNS1_27merge_sort_block_merge_implIS3_N6thrust23THRUST_200600_302600_NS6detail15normal_iteratorINS9_10device_ptrIcEEEEPS5_m14custom_greaterIcEEE10hipError_tT0_T1_T2_jT3_P12ihipStream_tbPNSt15iterator_traitsISJ_E10value_typeEPNSP_ISK_E10value_typeEPSL_NS1_7vsmem_tEENKUlT_SJ_SK_SL_E_clIPcSE_SF_SF_EESI_SY_SJ_SK_SL_EUlSY_E0_NS1_11comp_targetILNS1_3genE3ELNS1_11target_archE908ELNS1_3gpuE7ELNS1_3repE0EEENS1_38merge_mergepath_config_static_selectorELNS0_4arch9wavefront6targetE1EEEvSK_,@function
_ZN7rocprim17ROCPRIM_400000_NS6detail17trampoline_kernelINS0_14default_configENS1_38merge_sort_block_merge_config_selectorIcNS0_10empty_typeEEEZZNS1_27merge_sort_block_merge_implIS3_N6thrust23THRUST_200600_302600_NS6detail15normal_iteratorINS9_10device_ptrIcEEEEPS5_m14custom_greaterIcEEE10hipError_tT0_T1_T2_jT3_P12ihipStream_tbPNSt15iterator_traitsISJ_E10value_typeEPNSP_ISK_E10value_typeEPSL_NS1_7vsmem_tEENKUlT_SJ_SK_SL_E_clIPcSE_SF_SF_EESI_SY_SJ_SK_SL_EUlSY_E0_NS1_11comp_targetILNS1_3genE3ELNS1_11target_archE908ELNS1_3gpuE7ELNS1_3repE0EEENS1_38merge_mergepath_config_static_selectorELNS0_4arch9wavefront6targetE1EEEvSK_: ; @_ZN7rocprim17ROCPRIM_400000_NS6detail17trampoline_kernelINS0_14default_configENS1_38merge_sort_block_merge_config_selectorIcNS0_10empty_typeEEEZZNS1_27merge_sort_block_merge_implIS3_N6thrust23THRUST_200600_302600_NS6detail15normal_iteratorINS9_10device_ptrIcEEEEPS5_m14custom_greaterIcEEE10hipError_tT0_T1_T2_jT3_P12ihipStream_tbPNSt15iterator_traitsISJ_E10value_typeEPNSP_ISK_E10value_typeEPSL_NS1_7vsmem_tEENKUlT_SJ_SK_SL_E_clIPcSE_SF_SF_EESI_SY_SJ_SK_SL_EUlSY_E0_NS1_11comp_targetILNS1_3genE3ELNS1_11target_archE908ELNS1_3gpuE7ELNS1_3repE0EEENS1_38merge_mergepath_config_static_selectorELNS0_4arch9wavefront6targetE1EEEvSK_
; %bb.0:
	.section	.rodata,"a",@progbits
	.p2align	6, 0x0
	.amdhsa_kernel _ZN7rocprim17ROCPRIM_400000_NS6detail17trampoline_kernelINS0_14default_configENS1_38merge_sort_block_merge_config_selectorIcNS0_10empty_typeEEEZZNS1_27merge_sort_block_merge_implIS3_N6thrust23THRUST_200600_302600_NS6detail15normal_iteratorINS9_10device_ptrIcEEEEPS5_m14custom_greaterIcEEE10hipError_tT0_T1_T2_jT3_P12ihipStream_tbPNSt15iterator_traitsISJ_E10value_typeEPNSP_ISK_E10value_typeEPSL_NS1_7vsmem_tEENKUlT_SJ_SK_SL_E_clIPcSE_SF_SF_EESI_SY_SJ_SK_SL_EUlSY_E0_NS1_11comp_targetILNS1_3genE3ELNS1_11target_archE908ELNS1_3gpuE7ELNS1_3repE0EEENS1_38merge_mergepath_config_static_selectorELNS0_4arch9wavefront6targetE1EEEvSK_
		.amdhsa_group_segment_fixed_size 0
		.amdhsa_private_segment_fixed_size 0
		.amdhsa_kernarg_size 72
		.amdhsa_user_sgpr_count 6
		.amdhsa_user_sgpr_private_segment_buffer 1
		.amdhsa_user_sgpr_dispatch_ptr 0
		.amdhsa_user_sgpr_queue_ptr 0
		.amdhsa_user_sgpr_kernarg_segment_ptr 1
		.amdhsa_user_sgpr_dispatch_id 0
		.amdhsa_user_sgpr_flat_scratch_init 0
		.amdhsa_user_sgpr_kernarg_preload_length 0
		.amdhsa_user_sgpr_kernarg_preload_offset 0
		.amdhsa_user_sgpr_private_segment_size 0
		.amdhsa_uses_dynamic_stack 0
		.amdhsa_system_sgpr_private_segment_wavefront_offset 0
		.amdhsa_system_sgpr_workgroup_id_x 1
		.amdhsa_system_sgpr_workgroup_id_y 0
		.amdhsa_system_sgpr_workgroup_id_z 0
		.amdhsa_system_sgpr_workgroup_info 0
		.amdhsa_system_vgpr_workitem_id 0
		.amdhsa_next_free_vgpr 1
		.amdhsa_next_free_sgpr 0
		.amdhsa_accum_offset 4
		.amdhsa_reserve_vcc 0
		.amdhsa_reserve_flat_scratch 0
		.amdhsa_float_round_mode_32 0
		.amdhsa_float_round_mode_16_64 0
		.amdhsa_float_denorm_mode_32 3
		.amdhsa_float_denorm_mode_16_64 3
		.amdhsa_dx10_clamp 1
		.amdhsa_ieee_mode 1
		.amdhsa_fp16_overflow 0
		.amdhsa_tg_split 0
		.amdhsa_exception_fp_ieee_invalid_op 0
		.amdhsa_exception_fp_denorm_src 0
		.amdhsa_exception_fp_ieee_div_zero 0
		.amdhsa_exception_fp_ieee_overflow 0
		.amdhsa_exception_fp_ieee_underflow 0
		.amdhsa_exception_fp_ieee_inexact 0
		.amdhsa_exception_int_div_zero 0
	.end_amdhsa_kernel
	.section	.text._ZN7rocprim17ROCPRIM_400000_NS6detail17trampoline_kernelINS0_14default_configENS1_38merge_sort_block_merge_config_selectorIcNS0_10empty_typeEEEZZNS1_27merge_sort_block_merge_implIS3_N6thrust23THRUST_200600_302600_NS6detail15normal_iteratorINS9_10device_ptrIcEEEEPS5_m14custom_greaterIcEEE10hipError_tT0_T1_T2_jT3_P12ihipStream_tbPNSt15iterator_traitsISJ_E10value_typeEPNSP_ISK_E10value_typeEPSL_NS1_7vsmem_tEENKUlT_SJ_SK_SL_E_clIPcSE_SF_SF_EESI_SY_SJ_SK_SL_EUlSY_E0_NS1_11comp_targetILNS1_3genE3ELNS1_11target_archE908ELNS1_3gpuE7ELNS1_3repE0EEENS1_38merge_mergepath_config_static_selectorELNS0_4arch9wavefront6targetE1EEEvSK_,"axG",@progbits,_ZN7rocprim17ROCPRIM_400000_NS6detail17trampoline_kernelINS0_14default_configENS1_38merge_sort_block_merge_config_selectorIcNS0_10empty_typeEEEZZNS1_27merge_sort_block_merge_implIS3_N6thrust23THRUST_200600_302600_NS6detail15normal_iteratorINS9_10device_ptrIcEEEEPS5_m14custom_greaterIcEEE10hipError_tT0_T1_T2_jT3_P12ihipStream_tbPNSt15iterator_traitsISJ_E10value_typeEPNSP_ISK_E10value_typeEPSL_NS1_7vsmem_tEENKUlT_SJ_SK_SL_E_clIPcSE_SF_SF_EESI_SY_SJ_SK_SL_EUlSY_E0_NS1_11comp_targetILNS1_3genE3ELNS1_11target_archE908ELNS1_3gpuE7ELNS1_3repE0EEENS1_38merge_mergepath_config_static_selectorELNS0_4arch9wavefront6targetE1EEEvSK_,comdat
.Lfunc_end2721:
	.size	_ZN7rocprim17ROCPRIM_400000_NS6detail17trampoline_kernelINS0_14default_configENS1_38merge_sort_block_merge_config_selectorIcNS0_10empty_typeEEEZZNS1_27merge_sort_block_merge_implIS3_N6thrust23THRUST_200600_302600_NS6detail15normal_iteratorINS9_10device_ptrIcEEEEPS5_m14custom_greaterIcEEE10hipError_tT0_T1_T2_jT3_P12ihipStream_tbPNSt15iterator_traitsISJ_E10value_typeEPNSP_ISK_E10value_typeEPSL_NS1_7vsmem_tEENKUlT_SJ_SK_SL_E_clIPcSE_SF_SF_EESI_SY_SJ_SK_SL_EUlSY_E0_NS1_11comp_targetILNS1_3genE3ELNS1_11target_archE908ELNS1_3gpuE7ELNS1_3repE0EEENS1_38merge_mergepath_config_static_selectorELNS0_4arch9wavefront6targetE1EEEvSK_, .Lfunc_end2721-_ZN7rocprim17ROCPRIM_400000_NS6detail17trampoline_kernelINS0_14default_configENS1_38merge_sort_block_merge_config_selectorIcNS0_10empty_typeEEEZZNS1_27merge_sort_block_merge_implIS3_N6thrust23THRUST_200600_302600_NS6detail15normal_iteratorINS9_10device_ptrIcEEEEPS5_m14custom_greaterIcEEE10hipError_tT0_T1_T2_jT3_P12ihipStream_tbPNSt15iterator_traitsISJ_E10value_typeEPNSP_ISK_E10value_typeEPSL_NS1_7vsmem_tEENKUlT_SJ_SK_SL_E_clIPcSE_SF_SF_EESI_SY_SJ_SK_SL_EUlSY_E0_NS1_11comp_targetILNS1_3genE3ELNS1_11target_archE908ELNS1_3gpuE7ELNS1_3repE0EEENS1_38merge_mergepath_config_static_selectorELNS0_4arch9wavefront6targetE1EEEvSK_
                                        ; -- End function
	.section	.AMDGPU.csdata,"",@progbits
; Kernel info:
; codeLenInByte = 0
; NumSgprs: 4
; NumVgprs: 0
; NumAgprs: 0
; TotalNumVgprs: 0
; ScratchSize: 0
; MemoryBound: 0
; FloatMode: 240
; IeeeMode: 1
; LDSByteSize: 0 bytes/workgroup (compile time only)
; SGPRBlocks: 0
; VGPRBlocks: 0
; NumSGPRsForWavesPerEU: 4
; NumVGPRsForWavesPerEU: 1
; AccumOffset: 4
; Occupancy: 8
; WaveLimiterHint : 0
; COMPUTE_PGM_RSRC2:SCRATCH_EN: 0
; COMPUTE_PGM_RSRC2:USER_SGPR: 6
; COMPUTE_PGM_RSRC2:TRAP_HANDLER: 0
; COMPUTE_PGM_RSRC2:TGID_X_EN: 1
; COMPUTE_PGM_RSRC2:TGID_Y_EN: 0
; COMPUTE_PGM_RSRC2:TGID_Z_EN: 0
; COMPUTE_PGM_RSRC2:TIDIG_COMP_CNT: 0
; COMPUTE_PGM_RSRC3_GFX90A:ACCUM_OFFSET: 0
; COMPUTE_PGM_RSRC3_GFX90A:TG_SPLIT: 0
	.section	.text._ZN7rocprim17ROCPRIM_400000_NS6detail17trampoline_kernelINS0_14default_configENS1_38merge_sort_block_merge_config_selectorIcNS0_10empty_typeEEEZZNS1_27merge_sort_block_merge_implIS3_N6thrust23THRUST_200600_302600_NS6detail15normal_iteratorINS9_10device_ptrIcEEEEPS5_m14custom_greaterIcEEE10hipError_tT0_T1_T2_jT3_P12ihipStream_tbPNSt15iterator_traitsISJ_E10value_typeEPNSP_ISK_E10value_typeEPSL_NS1_7vsmem_tEENKUlT_SJ_SK_SL_E_clIPcSE_SF_SF_EESI_SY_SJ_SK_SL_EUlSY_E0_NS1_11comp_targetILNS1_3genE2ELNS1_11target_archE906ELNS1_3gpuE6ELNS1_3repE0EEENS1_38merge_mergepath_config_static_selectorELNS0_4arch9wavefront6targetE1EEEvSK_,"axG",@progbits,_ZN7rocprim17ROCPRIM_400000_NS6detail17trampoline_kernelINS0_14default_configENS1_38merge_sort_block_merge_config_selectorIcNS0_10empty_typeEEEZZNS1_27merge_sort_block_merge_implIS3_N6thrust23THRUST_200600_302600_NS6detail15normal_iteratorINS9_10device_ptrIcEEEEPS5_m14custom_greaterIcEEE10hipError_tT0_T1_T2_jT3_P12ihipStream_tbPNSt15iterator_traitsISJ_E10value_typeEPNSP_ISK_E10value_typeEPSL_NS1_7vsmem_tEENKUlT_SJ_SK_SL_E_clIPcSE_SF_SF_EESI_SY_SJ_SK_SL_EUlSY_E0_NS1_11comp_targetILNS1_3genE2ELNS1_11target_archE906ELNS1_3gpuE6ELNS1_3repE0EEENS1_38merge_mergepath_config_static_selectorELNS0_4arch9wavefront6targetE1EEEvSK_,comdat
	.protected	_ZN7rocprim17ROCPRIM_400000_NS6detail17trampoline_kernelINS0_14default_configENS1_38merge_sort_block_merge_config_selectorIcNS0_10empty_typeEEEZZNS1_27merge_sort_block_merge_implIS3_N6thrust23THRUST_200600_302600_NS6detail15normal_iteratorINS9_10device_ptrIcEEEEPS5_m14custom_greaterIcEEE10hipError_tT0_T1_T2_jT3_P12ihipStream_tbPNSt15iterator_traitsISJ_E10value_typeEPNSP_ISK_E10value_typeEPSL_NS1_7vsmem_tEENKUlT_SJ_SK_SL_E_clIPcSE_SF_SF_EESI_SY_SJ_SK_SL_EUlSY_E0_NS1_11comp_targetILNS1_3genE2ELNS1_11target_archE906ELNS1_3gpuE6ELNS1_3repE0EEENS1_38merge_mergepath_config_static_selectorELNS0_4arch9wavefront6targetE1EEEvSK_ ; -- Begin function _ZN7rocprim17ROCPRIM_400000_NS6detail17trampoline_kernelINS0_14default_configENS1_38merge_sort_block_merge_config_selectorIcNS0_10empty_typeEEEZZNS1_27merge_sort_block_merge_implIS3_N6thrust23THRUST_200600_302600_NS6detail15normal_iteratorINS9_10device_ptrIcEEEEPS5_m14custom_greaterIcEEE10hipError_tT0_T1_T2_jT3_P12ihipStream_tbPNSt15iterator_traitsISJ_E10value_typeEPNSP_ISK_E10value_typeEPSL_NS1_7vsmem_tEENKUlT_SJ_SK_SL_E_clIPcSE_SF_SF_EESI_SY_SJ_SK_SL_EUlSY_E0_NS1_11comp_targetILNS1_3genE2ELNS1_11target_archE906ELNS1_3gpuE6ELNS1_3repE0EEENS1_38merge_mergepath_config_static_selectorELNS0_4arch9wavefront6targetE1EEEvSK_
	.globl	_ZN7rocprim17ROCPRIM_400000_NS6detail17trampoline_kernelINS0_14default_configENS1_38merge_sort_block_merge_config_selectorIcNS0_10empty_typeEEEZZNS1_27merge_sort_block_merge_implIS3_N6thrust23THRUST_200600_302600_NS6detail15normal_iteratorINS9_10device_ptrIcEEEEPS5_m14custom_greaterIcEEE10hipError_tT0_T1_T2_jT3_P12ihipStream_tbPNSt15iterator_traitsISJ_E10value_typeEPNSP_ISK_E10value_typeEPSL_NS1_7vsmem_tEENKUlT_SJ_SK_SL_E_clIPcSE_SF_SF_EESI_SY_SJ_SK_SL_EUlSY_E0_NS1_11comp_targetILNS1_3genE2ELNS1_11target_archE906ELNS1_3gpuE6ELNS1_3repE0EEENS1_38merge_mergepath_config_static_selectorELNS0_4arch9wavefront6targetE1EEEvSK_
	.p2align	8
	.type	_ZN7rocprim17ROCPRIM_400000_NS6detail17trampoline_kernelINS0_14default_configENS1_38merge_sort_block_merge_config_selectorIcNS0_10empty_typeEEEZZNS1_27merge_sort_block_merge_implIS3_N6thrust23THRUST_200600_302600_NS6detail15normal_iteratorINS9_10device_ptrIcEEEEPS5_m14custom_greaterIcEEE10hipError_tT0_T1_T2_jT3_P12ihipStream_tbPNSt15iterator_traitsISJ_E10value_typeEPNSP_ISK_E10value_typeEPSL_NS1_7vsmem_tEENKUlT_SJ_SK_SL_E_clIPcSE_SF_SF_EESI_SY_SJ_SK_SL_EUlSY_E0_NS1_11comp_targetILNS1_3genE2ELNS1_11target_archE906ELNS1_3gpuE6ELNS1_3repE0EEENS1_38merge_mergepath_config_static_selectorELNS0_4arch9wavefront6targetE1EEEvSK_,@function
_ZN7rocprim17ROCPRIM_400000_NS6detail17trampoline_kernelINS0_14default_configENS1_38merge_sort_block_merge_config_selectorIcNS0_10empty_typeEEEZZNS1_27merge_sort_block_merge_implIS3_N6thrust23THRUST_200600_302600_NS6detail15normal_iteratorINS9_10device_ptrIcEEEEPS5_m14custom_greaterIcEEE10hipError_tT0_T1_T2_jT3_P12ihipStream_tbPNSt15iterator_traitsISJ_E10value_typeEPNSP_ISK_E10value_typeEPSL_NS1_7vsmem_tEENKUlT_SJ_SK_SL_E_clIPcSE_SF_SF_EESI_SY_SJ_SK_SL_EUlSY_E0_NS1_11comp_targetILNS1_3genE2ELNS1_11target_archE906ELNS1_3gpuE6ELNS1_3repE0EEENS1_38merge_mergepath_config_static_selectorELNS0_4arch9wavefront6targetE1EEEvSK_: ; @_ZN7rocprim17ROCPRIM_400000_NS6detail17trampoline_kernelINS0_14default_configENS1_38merge_sort_block_merge_config_selectorIcNS0_10empty_typeEEEZZNS1_27merge_sort_block_merge_implIS3_N6thrust23THRUST_200600_302600_NS6detail15normal_iteratorINS9_10device_ptrIcEEEEPS5_m14custom_greaterIcEEE10hipError_tT0_T1_T2_jT3_P12ihipStream_tbPNSt15iterator_traitsISJ_E10value_typeEPNSP_ISK_E10value_typeEPSL_NS1_7vsmem_tEENKUlT_SJ_SK_SL_E_clIPcSE_SF_SF_EESI_SY_SJ_SK_SL_EUlSY_E0_NS1_11comp_targetILNS1_3genE2ELNS1_11target_archE906ELNS1_3gpuE6ELNS1_3repE0EEENS1_38merge_mergepath_config_static_selectorELNS0_4arch9wavefront6targetE1EEEvSK_
; %bb.0:
	.section	.rodata,"a",@progbits
	.p2align	6, 0x0
	.amdhsa_kernel _ZN7rocprim17ROCPRIM_400000_NS6detail17trampoline_kernelINS0_14default_configENS1_38merge_sort_block_merge_config_selectorIcNS0_10empty_typeEEEZZNS1_27merge_sort_block_merge_implIS3_N6thrust23THRUST_200600_302600_NS6detail15normal_iteratorINS9_10device_ptrIcEEEEPS5_m14custom_greaterIcEEE10hipError_tT0_T1_T2_jT3_P12ihipStream_tbPNSt15iterator_traitsISJ_E10value_typeEPNSP_ISK_E10value_typeEPSL_NS1_7vsmem_tEENKUlT_SJ_SK_SL_E_clIPcSE_SF_SF_EESI_SY_SJ_SK_SL_EUlSY_E0_NS1_11comp_targetILNS1_3genE2ELNS1_11target_archE906ELNS1_3gpuE6ELNS1_3repE0EEENS1_38merge_mergepath_config_static_selectorELNS0_4arch9wavefront6targetE1EEEvSK_
		.amdhsa_group_segment_fixed_size 0
		.amdhsa_private_segment_fixed_size 0
		.amdhsa_kernarg_size 72
		.amdhsa_user_sgpr_count 6
		.amdhsa_user_sgpr_private_segment_buffer 1
		.amdhsa_user_sgpr_dispatch_ptr 0
		.amdhsa_user_sgpr_queue_ptr 0
		.amdhsa_user_sgpr_kernarg_segment_ptr 1
		.amdhsa_user_sgpr_dispatch_id 0
		.amdhsa_user_sgpr_flat_scratch_init 0
		.amdhsa_user_sgpr_kernarg_preload_length 0
		.amdhsa_user_sgpr_kernarg_preload_offset 0
		.amdhsa_user_sgpr_private_segment_size 0
		.amdhsa_uses_dynamic_stack 0
		.amdhsa_system_sgpr_private_segment_wavefront_offset 0
		.amdhsa_system_sgpr_workgroup_id_x 1
		.amdhsa_system_sgpr_workgroup_id_y 0
		.amdhsa_system_sgpr_workgroup_id_z 0
		.amdhsa_system_sgpr_workgroup_info 0
		.amdhsa_system_vgpr_workitem_id 0
		.amdhsa_next_free_vgpr 1
		.amdhsa_next_free_sgpr 0
		.amdhsa_accum_offset 4
		.amdhsa_reserve_vcc 0
		.amdhsa_reserve_flat_scratch 0
		.amdhsa_float_round_mode_32 0
		.amdhsa_float_round_mode_16_64 0
		.amdhsa_float_denorm_mode_32 3
		.amdhsa_float_denorm_mode_16_64 3
		.amdhsa_dx10_clamp 1
		.amdhsa_ieee_mode 1
		.amdhsa_fp16_overflow 0
		.amdhsa_tg_split 0
		.amdhsa_exception_fp_ieee_invalid_op 0
		.amdhsa_exception_fp_denorm_src 0
		.amdhsa_exception_fp_ieee_div_zero 0
		.amdhsa_exception_fp_ieee_overflow 0
		.amdhsa_exception_fp_ieee_underflow 0
		.amdhsa_exception_fp_ieee_inexact 0
		.amdhsa_exception_int_div_zero 0
	.end_amdhsa_kernel
	.section	.text._ZN7rocprim17ROCPRIM_400000_NS6detail17trampoline_kernelINS0_14default_configENS1_38merge_sort_block_merge_config_selectorIcNS0_10empty_typeEEEZZNS1_27merge_sort_block_merge_implIS3_N6thrust23THRUST_200600_302600_NS6detail15normal_iteratorINS9_10device_ptrIcEEEEPS5_m14custom_greaterIcEEE10hipError_tT0_T1_T2_jT3_P12ihipStream_tbPNSt15iterator_traitsISJ_E10value_typeEPNSP_ISK_E10value_typeEPSL_NS1_7vsmem_tEENKUlT_SJ_SK_SL_E_clIPcSE_SF_SF_EESI_SY_SJ_SK_SL_EUlSY_E0_NS1_11comp_targetILNS1_3genE2ELNS1_11target_archE906ELNS1_3gpuE6ELNS1_3repE0EEENS1_38merge_mergepath_config_static_selectorELNS0_4arch9wavefront6targetE1EEEvSK_,"axG",@progbits,_ZN7rocprim17ROCPRIM_400000_NS6detail17trampoline_kernelINS0_14default_configENS1_38merge_sort_block_merge_config_selectorIcNS0_10empty_typeEEEZZNS1_27merge_sort_block_merge_implIS3_N6thrust23THRUST_200600_302600_NS6detail15normal_iteratorINS9_10device_ptrIcEEEEPS5_m14custom_greaterIcEEE10hipError_tT0_T1_T2_jT3_P12ihipStream_tbPNSt15iterator_traitsISJ_E10value_typeEPNSP_ISK_E10value_typeEPSL_NS1_7vsmem_tEENKUlT_SJ_SK_SL_E_clIPcSE_SF_SF_EESI_SY_SJ_SK_SL_EUlSY_E0_NS1_11comp_targetILNS1_3genE2ELNS1_11target_archE906ELNS1_3gpuE6ELNS1_3repE0EEENS1_38merge_mergepath_config_static_selectorELNS0_4arch9wavefront6targetE1EEEvSK_,comdat
.Lfunc_end2722:
	.size	_ZN7rocprim17ROCPRIM_400000_NS6detail17trampoline_kernelINS0_14default_configENS1_38merge_sort_block_merge_config_selectorIcNS0_10empty_typeEEEZZNS1_27merge_sort_block_merge_implIS3_N6thrust23THRUST_200600_302600_NS6detail15normal_iteratorINS9_10device_ptrIcEEEEPS5_m14custom_greaterIcEEE10hipError_tT0_T1_T2_jT3_P12ihipStream_tbPNSt15iterator_traitsISJ_E10value_typeEPNSP_ISK_E10value_typeEPSL_NS1_7vsmem_tEENKUlT_SJ_SK_SL_E_clIPcSE_SF_SF_EESI_SY_SJ_SK_SL_EUlSY_E0_NS1_11comp_targetILNS1_3genE2ELNS1_11target_archE906ELNS1_3gpuE6ELNS1_3repE0EEENS1_38merge_mergepath_config_static_selectorELNS0_4arch9wavefront6targetE1EEEvSK_, .Lfunc_end2722-_ZN7rocprim17ROCPRIM_400000_NS6detail17trampoline_kernelINS0_14default_configENS1_38merge_sort_block_merge_config_selectorIcNS0_10empty_typeEEEZZNS1_27merge_sort_block_merge_implIS3_N6thrust23THRUST_200600_302600_NS6detail15normal_iteratorINS9_10device_ptrIcEEEEPS5_m14custom_greaterIcEEE10hipError_tT0_T1_T2_jT3_P12ihipStream_tbPNSt15iterator_traitsISJ_E10value_typeEPNSP_ISK_E10value_typeEPSL_NS1_7vsmem_tEENKUlT_SJ_SK_SL_E_clIPcSE_SF_SF_EESI_SY_SJ_SK_SL_EUlSY_E0_NS1_11comp_targetILNS1_3genE2ELNS1_11target_archE906ELNS1_3gpuE6ELNS1_3repE0EEENS1_38merge_mergepath_config_static_selectorELNS0_4arch9wavefront6targetE1EEEvSK_
                                        ; -- End function
	.section	.AMDGPU.csdata,"",@progbits
; Kernel info:
; codeLenInByte = 0
; NumSgprs: 4
; NumVgprs: 0
; NumAgprs: 0
; TotalNumVgprs: 0
; ScratchSize: 0
; MemoryBound: 0
; FloatMode: 240
; IeeeMode: 1
; LDSByteSize: 0 bytes/workgroup (compile time only)
; SGPRBlocks: 0
; VGPRBlocks: 0
; NumSGPRsForWavesPerEU: 4
; NumVGPRsForWavesPerEU: 1
; AccumOffset: 4
; Occupancy: 8
; WaveLimiterHint : 0
; COMPUTE_PGM_RSRC2:SCRATCH_EN: 0
; COMPUTE_PGM_RSRC2:USER_SGPR: 6
; COMPUTE_PGM_RSRC2:TRAP_HANDLER: 0
; COMPUTE_PGM_RSRC2:TGID_X_EN: 1
; COMPUTE_PGM_RSRC2:TGID_Y_EN: 0
; COMPUTE_PGM_RSRC2:TGID_Z_EN: 0
; COMPUTE_PGM_RSRC2:TIDIG_COMP_CNT: 0
; COMPUTE_PGM_RSRC3_GFX90A:ACCUM_OFFSET: 0
; COMPUTE_PGM_RSRC3_GFX90A:TG_SPLIT: 0
	.section	.text._ZN7rocprim17ROCPRIM_400000_NS6detail17trampoline_kernelINS0_14default_configENS1_38merge_sort_block_merge_config_selectorIcNS0_10empty_typeEEEZZNS1_27merge_sort_block_merge_implIS3_N6thrust23THRUST_200600_302600_NS6detail15normal_iteratorINS9_10device_ptrIcEEEEPS5_m14custom_greaterIcEEE10hipError_tT0_T1_T2_jT3_P12ihipStream_tbPNSt15iterator_traitsISJ_E10value_typeEPNSP_ISK_E10value_typeEPSL_NS1_7vsmem_tEENKUlT_SJ_SK_SL_E_clIPcSE_SF_SF_EESI_SY_SJ_SK_SL_EUlSY_E0_NS1_11comp_targetILNS1_3genE9ELNS1_11target_archE1100ELNS1_3gpuE3ELNS1_3repE0EEENS1_38merge_mergepath_config_static_selectorELNS0_4arch9wavefront6targetE1EEEvSK_,"axG",@progbits,_ZN7rocprim17ROCPRIM_400000_NS6detail17trampoline_kernelINS0_14default_configENS1_38merge_sort_block_merge_config_selectorIcNS0_10empty_typeEEEZZNS1_27merge_sort_block_merge_implIS3_N6thrust23THRUST_200600_302600_NS6detail15normal_iteratorINS9_10device_ptrIcEEEEPS5_m14custom_greaterIcEEE10hipError_tT0_T1_T2_jT3_P12ihipStream_tbPNSt15iterator_traitsISJ_E10value_typeEPNSP_ISK_E10value_typeEPSL_NS1_7vsmem_tEENKUlT_SJ_SK_SL_E_clIPcSE_SF_SF_EESI_SY_SJ_SK_SL_EUlSY_E0_NS1_11comp_targetILNS1_3genE9ELNS1_11target_archE1100ELNS1_3gpuE3ELNS1_3repE0EEENS1_38merge_mergepath_config_static_selectorELNS0_4arch9wavefront6targetE1EEEvSK_,comdat
	.protected	_ZN7rocprim17ROCPRIM_400000_NS6detail17trampoline_kernelINS0_14default_configENS1_38merge_sort_block_merge_config_selectorIcNS0_10empty_typeEEEZZNS1_27merge_sort_block_merge_implIS3_N6thrust23THRUST_200600_302600_NS6detail15normal_iteratorINS9_10device_ptrIcEEEEPS5_m14custom_greaterIcEEE10hipError_tT0_T1_T2_jT3_P12ihipStream_tbPNSt15iterator_traitsISJ_E10value_typeEPNSP_ISK_E10value_typeEPSL_NS1_7vsmem_tEENKUlT_SJ_SK_SL_E_clIPcSE_SF_SF_EESI_SY_SJ_SK_SL_EUlSY_E0_NS1_11comp_targetILNS1_3genE9ELNS1_11target_archE1100ELNS1_3gpuE3ELNS1_3repE0EEENS1_38merge_mergepath_config_static_selectorELNS0_4arch9wavefront6targetE1EEEvSK_ ; -- Begin function _ZN7rocprim17ROCPRIM_400000_NS6detail17trampoline_kernelINS0_14default_configENS1_38merge_sort_block_merge_config_selectorIcNS0_10empty_typeEEEZZNS1_27merge_sort_block_merge_implIS3_N6thrust23THRUST_200600_302600_NS6detail15normal_iteratorINS9_10device_ptrIcEEEEPS5_m14custom_greaterIcEEE10hipError_tT0_T1_T2_jT3_P12ihipStream_tbPNSt15iterator_traitsISJ_E10value_typeEPNSP_ISK_E10value_typeEPSL_NS1_7vsmem_tEENKUlT_SJ_SK_SL_E_clIPcSE_SF_SF_EESI_SY_SJ_SK_SL_EUlSY_E0_NS1_11comp_targetILNS1_3genE9ELNS1_11target_archE1100ELNS1_3gpuE3ELNS1_3repE0EEENS1_38merge_mergepath_config_static_selectorELNS0_4arch9wavefront6targetE1EEEvSK_
	.globl	_ZN7rocprim17ROCPRIM_400000_NS6detail17trampoline_kernelINS0_14default_configENS1_38merge_sort_block_merge_config_selectorIcNS0_10empty_typeEEEZZNS1_27merge_sort_block_merge_implIS3_N6thrust23THRUST_200600_302600_NS6detail15normal_iteratorINS9_10device_ptrIcEEEEPS5_m14custom_greaterIcEEE10hipError_tT0_T1_T2_jT3_P12ihipStream_tbPNSt15iterator_traitsISJ_E10value_typeEPNSP_ISK_E10value_typeEPSL_NS1_7vsmem_tEENKUlT_SJ_SK_SL_E_clIPcSE_SF_SF_EESI_SY_SJ_SK_SL_EUlSY_E0_NS1_11comp_targetILNS1_3genE9ELNS1_11target_archE1100ELNS1_3gpuE3ELNS1_3repE0EEENS1_38merge_mergepath_config_static_selectorELNS0_4arch9wavefront6targetE1EEEvSK_
	.p2align	8
	.type	_ZN7rocprim17ROCPRIM_400000_NS6detail17trampoline_kernelINS0_14default_configENS1_38merge_sort_block_merge_config_selectorIcNS0_10empty_typeEEEZZNS1_27merge_sort_block_merge_implIS3_N6thrust23THRUST_200600_302600_NS6detail15normal_iteratorINS9_10device_ptrIcEEEEPS5_m14custom_greaterIcEEE10hipError_tT0_T1_T2_jT3_P12ihipStream_tbPNSt15iterator_traitsISJ_E10value_typeEPNSP_ISK_E10value_typeEPSL_NS1_7vsmem_tEENKUlT_SJ_SK_SL_E_clIPcSE_SF_SF_EESI_SY_SJ_SK_SL_EUlSY_E0_NS1_11comp_targetILNS1_3genE9ELNS1_11target_archE1100ELNS1_3gpuE3ELNS1_3repE0EEENS1_38merge_mergepath_config_static_selectorELNS0_4arch9wavefront6targetE1EEEvSK_,@function
_ZN7rocprim17ROCPRIM_400000_NS6detail17trampoline_kernelINS0_14default_configENS1_38merge_sort_block_merge_config_selectorIcNS0_10empty_typeEEEZZNS1_27merge_sort_block_merge_implIS3_N6thrust23THRUST_200600_302600_NS6detail15normal_iteratorINS9_10device_ptrIcEEEEPS5_m14custom_greaterIcEEE10hipError_tT0_T1_T2_jT3_P12ihipStream_tbPNSt15iterator_traitsISJ_E10value_typeEPNSP_ISK_E10value_typeEPSL_NS1_7vsmem_tEENKUlT_SJ_SK_SL_E_clIPcSE_SF_SF_EESI_SY_SJ_SK_SL_EUlSY_E0_NS1_11comp_targetILNS1_3genE9ELNS1_11target_archE1100ELNS1_3gpuE3ELNS1_3repE0EEENS1_38merge_mergepath_config_static_selectorELNS0_4arch9wavefront6targetE1EEEvSK_: ; @_ZN7rocprim17ROCPRIM_400000_NS6detail17trampoline_kernelINS0_14default_configENS1_38merge_sort_block_merge_config_selectorIcNS0_10empty_typeEEEZZNS1_27merge_sort_block_merge_implIS3_N6thrust23THRUST_200600_302600_NS6detail15normal_iteratorINS9_10device_ptrIcEEEEPS5_m14custom_greaterIcEEE10hipError_tT0_T1_T2_jT3_P12ihipStream_tbPNSt15iterator_traitsISJ_E10value_typeEPNSP_ISK_E10value_typeEPSL_NS1_7vsmem_tEENKUlT_SJ_SK_SL_E_clIPcSE_SF_SF_EESI_SY_SJ_SK_SL_EUlSY_E0_NS1_11comp_targetILNS1_3genE9ELNS1_11target_archE1100ELNS1_3gpuE3ELNS1_3repE0EEENS1_38merge_mergepath_config_static_selectorELNS0_4arch9wavefront6targetE1EEEvSK_
; %bb.0:
	.section	.rodata,"a",@progbits
	.p2align	6, 0x0
	.amdhsa_kernel _ZN7rocprim17ROCPRIM_400000_NS6detail17trampoline_kernelINS0_14default_configENS1_38merge_sort_block_merge_config_selectorIcNS0_10empty_typeEEEZZNS1_27merge_sort_block_merge_implIS3_N6thrust23THRUST_200600_302600_NS6detail15normal_iteratorINS9_10device_ptrIcEEEEPS5_m14custom_greaterIcEEE10hipError_tT0_T1_T2_jT3_P12ihipStream_tbPNSt15iterator_traitsISJ_E10value_typeEPNSP_ISK_E10value_typeEPSL_NS1_7vsmem_tEENKUlT_SJ_SK_SL_E_clIPcSE_SF_SF_EESI_SY_SJ_SK_SL_EUlSY_E0_NS1_11comp_targetILNS1_3genE9ELNS1_11target_archE1100ELNS1_3gpuE3ELNS1_3repE0EEENS1_38merge_mergepath_config_static_selectorELNS0_4arch9wavefront6targetE1EEEvSK_
		.amdhsa_group_segment_fixed_size 0
		.amdhsa_private_segment_fixed_size 0
		.amdhsa_kernarg_size 72
		.amdhsa_user_sgpr_count 6
		.amdhsa_user_sgpr_private_segment_buffer 1
		.amdhsa_user_sgpr_dispatch_ptr 0
		.amdhsa_user_sgpr_queue_ptr 0
		.amdhsa_user_sgpr_kernarg_segment_ptr 1
		.amdhsa_user_sgpr_dispatch_id 0
		.amdhsa_user_sgpr_flat_scratch_init 0
		.amdhsa_user_sgpr_kernarg_preload_length 0
		.amdhsa_user_sgpr_kernarg_preload_offset 0
		.amdhsa_user_sgpr_private_segment_size 0
		.amdhsa_uses_dynamic_stack 0
		.amdhsa_system_sgpr_private_segment_wavefront_offset 0
		.amdhsa_system_sgpr_workgroup_id_x 1
		.amdhsa_system_sgpr_workgroup_id_y 0
		.amdhsa_system_sgpr_workgroup_id_z 0
		.amdhsa_system_sgpr_workgroup_info 0
		.amdhsa_system_vgpr_workitem_id 0
		.amdhsa_next_free_vgpr 1
		.amdhsa_next_free_sgpr 0
		.amdhsa_accum_offset 4
		.amdhsa_reserve_vcc 0
		.amdhsa_reserve_flat_scratch 0
		.amdhsa_float_round_mode_32 0
		.amdhsa_float_round_mode_16_64 0
		.amdhsa_float_denorm_mode_32 3
		.amdhsa_float_denorm_mode_16_64 3
		.amdhsa_dx10_clamp 1
		.amdhsa_ieee_mode 1
		.amdhsa_fp16_overflow 0
		.amdhsa_tg_split 0
		.amdhsa_exception_fp_ieee_invalid_op 0
		.amdhsa_exception_fp_denorm_src 0
		.amdhsa_exception_fp_ieee_div_zero 0
		.amdhsa_exception_fp_ieee_overflow 0
		.amdhsa_exception_fp_ieee_underflow 0
		.amdhsa_exception_fp_ieee_inexact 0
		.amdhsa_exception_int_div_zero 0
	.end_amdhsa_kernel
	.section	.text._ZN7rocprim17ROCPRIM_400000_NS6detail17trampoline_kernelINS0_14default_configENS1_38merge_sort_block_merge_config_selectorIcNS0_10empty_typeEEEZZNS1_27merge_sort_block_merge_implIS3_N6thrust23THRUST_200600_302600_NS6detail15normal_iteratorINS9_10device_ptrIcEEEEPS5_m14custom_greaterIcEEE10hipError_tT0_T1_T2_jT3_P12ihipStream_tbPNSt15iterator_traitsISJ_E10value_typeEPNSP_ISK_E10value_typeEPSL_NS1_7vsmem_tEENKUlT_SJ_SK_SL_E_clIPcSE_SF_SF_EESI_SY_SJ_SK_SL_EUlSY_E0_NS1_11comp_targetILNS1_3genE9ELNS1_11target_archE1100ELNS1_3gpuE3ELNS1_3repE0EEENS1_38merge_mergepath_config_static_selectorELNS0_4arch9wavefront6targetE1EEEvSK_,"axG",@progbits,_ZN7rocprim17ROCPRIM_400000_NS6detail17trampoline_kernelINS0_14default_configENS1_38merge_sort_block_merge_config_selectorIcNS0_10empty_typeEEEZZNS1_27merge_sort_block_merge_implIS3_N6thrust23THRUST_200600_302600_NS6detail15normal_iteratorINS9_10device_ptrIcEEEEPS5_m14custom_greaterIcEEE10hipError_tT0_T1_T2_jT3_P12ihipStream_tbPNSt15iterator_traitsISJ_E10value_typeEPNSP_ISK_E10value_typeEPSL_NS1_7vsmem_tEENKUlT_SJ_SK_SL_E_clIPcSE_SF_SF_EESI_SY_SJ_SK_SL_EUlSY_E0_NS1_11comp_targetILNS1_3genE9ELNS1_11target_archE1100ELNS1_3gpuE3ELNS1_3repE0EEENS1_38merge_mergepath_config_static_selectorELNS0_4arch9wavefront6targetE1EEEvSK_,comdat
.Lfunc_end2723:
	.size	_ZN7rocprim17ROCPRIM_400000_NS6detail17trampoline_kernelINS0_14default_configENS1_38merge_sort_block_merge_config_selectorIcNS0_10empty_typeEEEZZNS1_27merge_sort_block_merge_implIS3_N6thrust23THRUST_200600_302600_NS6detail15normal_iteratorINS9_10device_ptrIcEEEEPS5_m14custom_greaterIcEEE10hipError_tT0_T1_T2_jT3_P12ihipStream_tbPNSt15iterator_traitsISJ_E10value_typeEPNSP_ISK_E10value_typeEPSL_NS1_7vsmem_tEENKUlT_SJ_SK_SL_E_clIPcSE_SF_SF_EESI_SY_SJ_SK_SL_EUlSY_E0_NS1_11comp_targetILNS1_3genE9ELNS1_11target_archE1100ELNS1_3gpuE3ELNS1_3repE0EEENS1_38merge_mergepath_config_static_selectorELNS0_4arch9wavefront6targetE1EEEvSK_, .Lfunc_end2723-_ZN7rocprim17ROCPRIM_400000_NS6detail17trampoline_kernelINS0_14default_configENS1_38merge_sort_block_merge_config_selectorIcNS0_10empty_typeEEEZZNS1_27merge_sort_block_merge_implIS3_N6thrust23THRUST_200600_302600_NS6detail15normal_iteratorINS9_10device_ptrIcEEEEPS5_m14custom_greaterIcEEE10hipError_tT0_T1_T2_jT3_P12ihipStream_tbPNSt15iterator_traitsISJ_E10value_typeEPNSP_ISK_E10value_typeEPSL_NS1_7vsmem_tEENKUlT_SJ_SK_SL_E_clIPcSE_SF_SF_EESI_SY_SJ_SK_SL_EUlSY_E0_NS1_11comp_targetILNS1_3genE9ELNS1_11target_archE1100ELNS1_3gpuE3ELNS1_3repE0EEENS1_38merge_mergepath_config_static_selectorELNS0_4arch9wavefront6targetE1EEEvSK_
                                        ; -- End function
	.section	.AMDGPU.csdata,"",@progbits
; Kernel info:
; codeLenInByte = 0
; NumSgprs: 4
; NumVgprs: 0
; NumAgprs: 0
; TotalNumVgprs: 0
; ScratchSize: 0
; MemoryBound: 0
; FloatMode: 240
; IeeeMode: 1
; LDSByteSize: 0 bytes/workgroup (compile time only)
; SGPRBlocks: 0
; VGPRBlocks: 0
; NumSGPRsForWavesPerEU: 4
; NumVGPRsForWavesPerEU: 1
; AccumOffset: 4
; Occupancy: 8
; WaveLimiterHint : 0
; COMPUTE_PGM_RSRC2:SCRATCH_EN: 0
; COMPUTE_PGM_RSRC2:USER_SGPR: 6
; COMPUTE_PGM_RSRC2:TRAP_HANDLER: 0
; COMPUTE_PGM_RSRC2:TGID_X_EN: 1
; COMPUTE_PGM_RSRC2:TGID_Y_EN: 0
; COMPUTE_PGM_RSRC2:TGID_Z_EN: 0
; COMPUTE_PGM_RSRC2:TIDIG_COMP_CNT: 0
; COMPUTE_PGM_RSRC3_GFX90A:ACCUM_OFFSET: 0
; COMPUTE_PGM_RSRC3_GFX90A:TG_SPLIT: 0
	.section	.text._ZN7rocprim17ROCPRIM_400000_NS6detail17trampoline_kernelINS0_14default_configENS1_38merge_sort_block_merge_config_selectorIcNS0_10empty_typeEEEZZNS1_27merge_sort_block_merge_implIS3_N6thrust23THRUST_200600_302600_NS6detail15normal_iteratorINS9_10device_ptrIcEEEEPS5_m14custom_greaterIcEEE10hipError_tT0_T1_T2_jT3_P12ihipStream_tbPNSt15iterator_traitsISJ_E10value_typeEPNSP_ISK_E10value_typeEPSL_NS1_7vsmem_tEENKUlT_SJ_SK_SL_E_clIPcSE_SF_SF_EESI_SY_SJ_SK_SL_EUlSY_E0_NS1_11comp_targetILNS1_3genE8ELNS1_11target_archE1030ELNS1_3gpuE2ELNS1_3repE0EEENS1_38merge_mergepath_config_static_selectorELNS0_4arch9wavefront6targetE1EEEvSK_,"axG",@progbits,_ZN7rocprim17ROCPRIM_400000_NS6detail17trampoline_kernelINS0_14default_configENS1_38merge_sort_block_merge_config_selectorIcNS0_10empty_typeEEEZZNS1_27merge_sort_block_merge_implIS3_N6thrust23THRUST_200600_302600_NS6detail15normal_iteratorINS9_10device_ptrIcEEEEPS5_m14custom_greaterIcEEE10hipError_tT0_T1_T2_jT3_P12ihipStream_tbPNSt15iterator_traitsISJ_E10value_typeEPNSP_ISK_E10value_typeEPSL_NS1_7vsmem_tEENKUlT_SJ_SK_SL_E_clIPcSE_SF_SF_EESI_SY_SJ_SK_SL_EUlSY_E0_NS1_11comp_targetILNS1_3genE8ELNS1_11target_archE1030ELNS1_3gpuE2ELNS1_3repE0EEENS1_38merge_mergepath_config_static_selectorELNS0_4arch9wavefront6targetE1EEEvSK_,comdat
	.protected	_ZN7rocprim17ROCPRIM_400000_NS6detail17trampoline_kernelINS0_14default_configENS1_38merge_sort_block_merge_config_selectorIcNS0_10empty_typeEEEZZNS1_27merge_sort_block_merge_implIS3_N6thrust23THRUST_200600_302600_NS6detail15normal_iteratorINS9_10device_ptrIcEEEEPS5_m14custom_greaterIcEEE10hipError_tT0_T1_T2_jT3_P12ihipStream_tbPNSt15iterator_traitsISJ_E10value_typeEPNSP_ISK_E10value_typeEPSL_NS1_7vsmem_tEENKUlT_SJ_SK_SL_E_clIPcSE_SF_SF_EESI_SY_SJ_SK_SL_EUlSY_E0_NS1_11comp_targetILNS1_3genE8ELNS1_11target_archE1030ELNS1_3gpuE2ELNS1_3repE0EEENS1_38merge_mergepath_config_static_selectorELNS0_4arch9wavefront6targetE1EEEvSK_ ; -- Begin function _ZN7rocprim17ROCPRIM_400000_NS6detail17trampoline_kernelINS0_14default_configENS1_38merge_sort_block_merge_config_selectorIcNS0_10empty_typeEEEZZNS1_27merge_sort_block_merge_implIS3_N6thrust23THRUST_200600_302600_NS6detail15normal_iteratorINS9_10device_ptrIcEEEEPS5_m14custom_greaterIcEEE10hipError_tT0_T1_T2_jT3_P12ihipStream_tbPNSt15iterator_traitsISJ_E10value_typeEPNSP_ISK_E10value_typeEPSL_NS1_7vsmem_tEENKUlT_SJ_SK_SL_E_clIPcSE_SF_SF_EESI_SY_SJ_SK_SL_EUlSY_E0_NS1_11comp_targetILNS1_3genE8ELNS1_11target_archE1030ELNS1_3gpuE2ELNS1_3repE0EEENS1_38merge_mergepath_config_static_selectorELNS0_4arch9wavefront6targetE1EEEvSK_
	.globl	_ZN7rocprim17ROCPRIM_400000_NS6detail17trampoline_kernelINS0_14default_configENS1_38merge_sort_block_merge_config_selectorIcNS0_10empty_typeEEEZZNS1_27merge_sort_block_merge_implIS3_N6thrust23THRUST_200600_302600_NS6detail15normal_iteratorINS9_10device_ptrIcEEEEPS5_m14custom_greaterIcEEE10hipError_tT0_T1_T2_jT3_P12ihipStream_tbPNSt15iterator_traitsISJ_E10value_typeEPNSP_ISK_E10value_typeEPSL_NS1_7vsmem_tEENKUlT_SJ_SK_SL_E_clIPcSE_SF_SF_EESI_SY_SJ_SK_SL_EUlSY_E0_NS1_11comp_targetILNS1_3genE8ELNS1_11target_archE1030ELNS1_3gpuE2ELNS1_3repE0EEENS1_38merge_mergepath_config_static_selectorELNS0_4arch9wavefront6targetE1EEEvSK_
	.p2align	8
	.type	_ZN7rocprim17ROCPRIM_400000_NS6detail17trampoline_kernelINS0_14default_configENS1_38merge_sort_block_merge_config_selectorIcNS0_10empty_typeEEEZZNS1_27merge_sort_block_merge_implIS3_N6thrust23THRUST_200600_302600_NS6detail15normal_iteratorINS9_10device_ptrIcEEEEPS5_m14custom_greaterIcEEE10hipError_tT0_T1_T2_jT3_P12ihipStream_tbPNSt15iterator_traitsISJ_E10value_typeEPNSP_ISK_E10value_typeEPSL_NS1_7vsmem_tEENKUlT_SJ_SK_SL_E_clIPcSE_SF_SF_EESI_SY_SJ_SK_SL_EUlSY_E0_NS1_11comp_targetILNS1_3genE8ELNS1_11target_archE1030ELNS1_3gpuE2ELNS1_3repE0EEENS1_38merge_mergepath_config_static_selectorELNS0_4arch9wavefront6targetE1EEEvSK_,@function
_ZN7rocprim17ROCPRIM_400000_NS6detail17trampoline_kernelINS0_14default_configENS1_38merge_sort_block_merge_config_selectorIcNS0_10empty_typeEEEZZNS1_27merge_sort_block_merge_implIS3_N6thrust23THRUST_200600_302600_NS6detail15normal_iteratorINS9_10device_ptrIcEEEEPS5_m14custom_greaterIcEEE10hipError_tT0_T1_T2_jT3_P12ihipStream_tbPNSt15iterator_traitsISJ_E10value_typeEPNSP_ISK_E10value_typeEPSL_NS1_7vsmem_tEENKUlT_SJ_SK_SL_E_clIPcSE_SF_SF_EESI_SY_SJ_SK_SL_EUlSY_E0_NS1_11comp_targetILNS1_3genE8ELNS1_11target_archE1030ELNS1_3gpuE2ELNS1_3repE0EEENS1_38merge_mergepath_config_static_selectorELNS0_4arch9wavefront6targetE1EEEvSK_: ; @_ZN7rocprim17ROCPRIM_400000_NS6detail17trampoline_kernelINS0_14default_configENS1_38merge_sort_block_merge_config_selectorIcNS0_10empty_typeEEEZZNS1_27merge_sort_block_merge_implIS3_N6thrust23THRUST_200600_302600_NS6detail15normal_iteratorINS9_10device_ptrIcEEEEPS5_m14custom_greaterIcEEE10hipError_tT0_T1_T2_jT3_P12ihipStream_tbPNSt15iterator_traitsISJ_E10value_typeEPNSP_ISK_E10value_typeEPSL_NS1_7vsmem_tEENKUlT_SJ_SK_SL_E_clIPcSE_SF_SF_EESI_SY_SJ_SK_SL_EUlSY_E0_NS1_11comp_targetILNS1_3genE8ELNS1_11target_archE1030ELNS1_3gpuE2ELNS1_3repE0EEENS1_38merge_mergepath_config_static_selectorELNS0_4arch9wavefront6targetE1EEEvSK_
; %bb.0:
	.section	.rodata,"a",@progbits
	.p2align	6, 0x0
	.amdhsa_kernel _ZN7rocprim17ROCPRIM_400000_NS6detail17trampoline_kernelINS0_14default_configENS1_38merge_sort_block_merge_config_selectorIcNS0_10empty_typeEEEZZNS1_27merge_sort_block_merge_implIS3_N6thrust23THRUST_200600_302600_NS6detail15normal_iteratorINS9_10device_ptrIcEEEEPS5_m14custom_greaterIcEEE10hipError_tT0_T1_T2_jT3_P12ihipStream_tbPNSt15iterator_traitsISJ_E10value_typeEPNSP_ISK_E10value_typeEPSL_NS1_7vsmem_tEENKUlT_SJ_SK_SL_E_clIPcSE_SF_SF_EESI_SY_SJ_SK_SL_EUlSY_E0_NS1_11comp_targetILNS1_3genE8ELNS1_11target_archE1030ELNS1_3gpuE2ELNS1_3repE0EEENS1_38merge_mergepath_config_static_selectorELNS0_4arch9wavefront6targetE1EEEvSK_
		.amdhsa_group_segment_fixed_size 0
		.amdhsa_private_segment_fixed_size 0
		.amdhsa_kernarg_size 72
		.amdhsa_user_sgpr_count 6
		.amdhsa_user_sgpr_private_segment_buffer 1
		.amdhsa_user_sgpr_dispatch_ptr 0
		.amdhsa_user_sgpr_queue_ptr 0
		.amdhsa_user_sgpr_kernarg_segment_ptr 1
		.amdhsa_user_sgpr_dispatch_id 0
		.amdhsa_user_sgpr_flat_scratch_init 0
		.amdhsa_user_sgpr_kernarg_preload_length 0
		.amdhsa_user_sgpr_kernarg_preload_offset 0
		.amdhsa_user_sgpr_private_segment_size 0
		.amdhsa_uses_dynamic_stack 0
		.amdhsa_system_sgpr_private_segment_wavefront_offset 0
		.amdhsa_system_sgpr_workgroup_id_x 1
		.amdhsa_system_sgpr_workgroup_id_y 0
		.amdhsa_system_sgpr_workgroup_id_z 0
		.amdhsa_system_sgpr_workgroup_info 0
		.amdhsa_system_vgpr_workitem_id 0
		.amdhsa_next_free_vgpr 1
		.amdhsa_next_free_sgpr 0
		.amdhsa_accum_offset 4
		.amdhsa_reserve_vcc 0
		.amdhsa_reserve_flat_scratch 0
		.amdhsa_float_round_mode_32 0
		.amdhsa_float_round_mode_16_64 0
		.amdhsa_float_denorm_mode_32 3
		.amdhsa_float_denorm_mode_16_64 3
		.amdhsa_dx10_clamp 1
		.amdhsa_ieee_mode 1
		.amdhsa_fp16_overflow 0
		.amdhsa_tg_split 0
		.amdhsa_exception_fp_ieee_invalid_op 0
		.amdhsa_exception_fp_denorm_src 0
		.amdhsa_exception_fp_ieee_div_zero 0
		.amdhsa_exception_fp_ieee_overflow 0
		.amdhsa_exception_fp_ieee_underflow 0
		.amdhsa_exception_fp_ieee_inexact 0
		.amdhsa_exception_int_div_zero 0
	.end_amdhsa_kernel
	.section	.text._ZN7rocprim17ROCPRIM_400000_NS6detail17trampoline_kernelINS0_14default_configENS1_38merge_sort_block_merge_config_selectorIcNS0_10empty_typeEEEZZNS1_27merge_sort_block_merge_implIS3_N6thrust23THRUST_200600_302600_NS6detail15normal_iteratorINS9_10device_ptrIcEEEEPS5_m14custom_greaterIcEEE10hipError_tT0_T1_T2_jT3_P12ihipStream_tbPNSt15iterator_traitsISJ_E10value_typeEPNSP_ISK_E10value_typeEPSL_NS1_7vsmem_tEENKUlT_SJ_SK_SL_E_clIPcSE_SF_SF_EESI_SY_SJ_SK_SL_EUlSY_E0_NS1_11comp_targetILNS1_3genE8ELNS1_11target_archE1030ELNS1_3gpuE2ELNS1_3repE0EEENS1_38merge_mergepath_config_static_selectorELNS0_4arch9wavefront6targetE1EEEvSK_,"axG",@progbits,_ZN7rocprim17ROCPRIM_400000_NS6detail17trampoline_kernelINS0_14default_configENS1_38merge_sort_block_merge_config_selectorIcNS0_10empty_typeEEEZZNS1_27merge_sort_block_merge_implIS3_N6thrust23THRUST_200600_302600_NS6detail15normal_iteratorINS9_10device_ptrIcEEEEPS5_m14custom_greaterIcEEE10hipError_tT0_T1_T2_jT3_P12ihipStream_tbPNSt15iterator_traitsISJ_E10value_typeEPNSP_ISK_E10value_typeEPSL_NS1_7vsmem_tEENKUlT_SJ_SK_SL_E_clIPcSE_SF_SF_EESI_SY_SJ_SK_SL_EUlSY_E0_NS1_11comp_targetILNS1_3genE8ELNS1_11target_archE1030ELNS1_3gpuE2ELNS1_3repE0EEENS1_38merge_mergepath_config_static_selectorELNS0_4arch9wavefront6targetE1EEEvSK_,comdat
.Lfunc_end2724:
	.size	_ZN7rocprim17ROCPRIM_400000_NS6detail17trampoline_kernelINS0_14default_configENS1_38merge_sort_block_merge_config_selectorIcNS0_10empty_typeEEEZZNS1_27merge_sort_block_merge_implIS3_N6thrust23THRUST_200600_302600_NS6detail15normal_iteratorINS9_10device_ptrIcEEEEPS5_m14custom_greaterIcEEE10hipError_tT0_T1_T2_jT3_P12ihipStream_tbPNSt15iterator_traitsISJ_E10value_typeEPNSP_ISK_E10value_typeEPSL_NS1_7vsmem_tEENKUlT_SJ_SK_SL_E_clIPcSE_SF_SF_EESI_SY_SJ_SK_SL_EUlSY_E0_NS1_11comp_targetILNS1_3genE8ELNS1_11target_archE1030ELNS1_3gpuE2ELNS1_3repE0EEENS1_38merge_mergepath_config_static_selectorELNS0_4arch9wavefront6targetE1EEEvSK_, .Lfunc_end2724-_ZN7rocprim17ROCPRIM_400000_NS6detail17trampoline_kernelINS0_14default_configENS1_38merge_sort_block_merge_config_selectorIcNS0_10empty_typeEEEZZNS1_27merge_sort_block_merge_implIS3_N6thrust23THRUST_200600_302600_NS6detail15normal_iteratorINS9_10device_ptrIcEEEEPS5_m14custom_greaterIcEEE10hipError_tT0_T1_T2_jT3_P12ihipStream_tbPNSt15iterator_traitsISJ_E10value_typeEPNSP_ISK_E10value_typeEPSL_NS1_7vsmem_tEENKUlT_SJ_SK_SL_E_clIPcSE_SF_SF_EESI_SY_SJ_SK_SL_EUlSY_E0_NS1_11comp_targetILNS1_3genE8ELNS1_11target_archE1030ELNS1_3gpuE2ELNS1_3repE0EEENS1_38merge_mergepath_config_static_selectorELNS0_4arch9wavefront6targetE1EEEvSK_
                                        ; -- End function
	.section	.AMDGPU.csdata,"",@progbits
; Kernel info:
; codeLenInByte = 0
; NumSgprs: 4
; NumVgprs: 0
; NumAgprs: 0
; TotalNumVgprs: 0
; ScratchSize: 0
; MemoryBound: 0
; FloatMode: 240
; IeeeMode: 1
; LDSByteSize: 0 bytes/workgroup (compile time only)
; SGPRBlocks: 0
; VGPRBlocks: 0
; NumSGPRsForWavesPerEU: 4
; NumVGPRsForWavesPerEU: 1
; AccumOffset: 4
; Occupancy: 8
; WaveLimiterHint : 0
; COMPUTE_PGM_RSRC2:SCRATCH_EN: 0
; COMPUTE_PGM_RSRC2:USER_SGPR: 6
; COMPUTE_PGM_RSRC2:TRAP_HANDLER: 0
; COMPUTE_PGM_RSRC2:TGID_X_EN: 1
; COMPUTE_PGM_RSRC2:TGID_Y_EN: 0
; COMPUTE_PGM_RSRC2:TGID_Z_EN: 0
; COMPUTE_PGM_RSRC2:TIDIG_COMP_CNT: 0
; COMPUTE_PGM_RSRC3_GFX90A:ACCUM_OFFSET: 0
; COMPUTE_PGM_RSRC3_GFX90A:TG_SPLIT: 0
	.section	.text._ZN7rocprim17ROCPRIM_400000_NS6detail17trampoline_kernelINS0_14default_configENS1_38merge_sort_block_merge_config_selectorIcNS0_10empty_typeEEEZZNS1_27merge_sort_block_merge_implIS3_N6thrust23THRUST_200600_302600_NS6detail15normal_iteratorINS9_10device_ptrIcEEEEPS5_m14custom_greaterIcEEE10hipError_tT0_T1_T2_jT3_P12ihipStream_tbPNSt15iterator_traitsISJ_E10value_typeEPNSP_ISK_E10value_typeEPSL_NS1_7vsmem_tEENKUlT_SJ_SK_SL_E_clIPcSE_SF_SF_EESI_SY_SJ_SK_SL_EUlSY_E1_NS1_11comp_targetILNS1_3genE0ELNS1_11target_archE4294967295ELNS1_3gpuE0ELNS1_3repE0EEENS1_36merge_oddeven_config_static_selectorELNS0_4arch9wavefront6targetE1EEEvSK_,"axG",@progbits,_ZN7rocprim17ROCPRIM_400000_NS6detail17trampoline_kernelINS0_14default_configENS1_38merge_sort_block_merge_config_selectorIcNS0_10empty_typeEEEZZNS1_27merge_sort_block_merge_implIS3_N6thrust23THRUST_200600_302600_NS6detail15normal_iteratorINS9_10device_ptrIcEEEEPS5_m14custom_greaterIcEEE10hipError_tT0_T1_T2_jT3_P12ihipStream_tbPNSt15iterator_traitsISJ_E10value_typeEPNSP_ISK_E10value_typeEPSL_NS1_7vsmem_tEENKUlT_SJ_SK_SL_E_clIPcSE_SF_SF_EESI_SY_SJ_SK_SL_EUlSY_E1_NS1_11comp_targetILNS1_3genE0ELNS1_11target_archE4294967295ELNS1_3gpuE0ELNS1_3repE0EEENS1_36merge_oddeven_config_static_selectorELNS0_4arch9wavefront6targetE1EEEvSK_,comdat
	.protected	_ZN7rocprim17ROCPRIM_400000_NS6detail17trampoline_kernelINS0_14default_configENS1_38merge_sort_block_merge_config_selectorIcNS0_10empty_typeEEEZZNS1_27merge_sort_block_merge_implIS3_N6thrust23THRUST_200600_302600_NS6detail15normal_iteratorINS9_10device_ptrIcEEEEPS5_m14custom_greaterIcEEE10hipError_tT0_T1_T2_jT3_P12ihipStream_tbPNSt15iterator_traitsISJ_E10value_typeEPNSP_ISK_E10value_typeEPSL_NS1_7vsmem_tEENKUlT_SJ_SK_SL_E_clIPcSE_SF_SF_EESI_SY_SJ_SK_SL_EUlSY_E1_NS1_11comp_targetILNS1_3genE0ELNS1_11target_archE4294967295ELNS1_3gpuE0ELNS1_3repE0EEENS1_36merge_oddeven_config_static_selectorELNS0_4arch9wavefront6targetE1EEEvSK_ ; -- Begin function _ZN7rocprim17ROCPRIM_400000_NS6detail17trampoline_kernelINS0_14default_configENS1_38merge_sort_block_merge_config_selectorIcNS0_10empty_typeEEEZZNS1_27merge_sort_block_merge_implIS3_N6thrust23THRUST_200600_302600_NS6detail15normal_iteratorINS9_10device_ptrIcEEEEPS5_m14custom_greaterIcEEE10hipError_tT0_T1_T2_jT3_P12ihipStream_tbPNSt15iterator_traitsISJ_E10value_typeEPNSP_ISK_E10value_typeEPSL_NS1_7vsmem_tEENKUlT_SJ_SK_SL_E_clIPcSE_SF_SF_EESI_SY_SJ_SK_SL_EUlSY_E1_NS1_11comp_targetILNS1_3genE0ELNS1_11target_archE4294967295ELNS1_3gpuE0ELNS1_3repE0EEENS1_36merge_oddeven_config_static_selectorELNS0_4arch9wavefront6targetE1EEEvSK_
	.globl	_ZN7rocprim17ROCPRIM_400000_NS6detail17trampoline_kernelINS0_14default_configENS1_38merge_sort_block_merge_config_selectorIcNS0_10empty_typeEEEZZNS1_27merge_sort_block_merge_implIS3_N6thrust23THRUST_200600_302600_NS6detail15normal_iteratorINS9_10device_ptrIcEEEEPS5_m14custom_greaterIcEEE10hipError_tT0_T1_T2_jT3_P12ihipStream_tbPNSt15iterator_traitsISJ_E10value_typeEPNSP_ISK_E10value_typeEPSL_NS1_7vsmem_tEENKUlT_SJ_SK_SL_E_clIPcSE_SF_SF_EESI_SY_SJ_SK_SL_EUlSY_E1_NS1_11comp_targetILNS1_3genE0ELNS1_11target_archE4294967295ELNS1_3gpuE0ELNS1_3repE0EEENS1_36merge_oddeven_config_static_selectorELNS0_4arch9wavefront6targetE1EEEvSK_
	.p2align	8
	.type	_ZN7rocprim17ROCPRIM_400000_NS6detail17trampoline_kernelINS0_14default_configENS1_38merge_sort_block_merge_config_selectorIcNS0_10empty_typeEEEZZNS1_27merge_sort_block_merge_implIS3_N6thrust23THRUST_200600_302600_NS6detail15normal_iteratorINS9_10device_ptrIcEEEEPS5_m14custom_greaterIcEEE10hipError_tT0_T1_T2_jT3_P12ihipStream_tbPNSt15iterator_traitsISJ_E10value_typeEPNSP_ISK_E10value_typeEPSL_NS1_7vsmem_tEENKUlT_SJ_SK_SL_E_clIPcSE_SF_SF_EESI_SY_SJ_SK_SL_EUlSY_E1_NS1_11comp_targetILNS1_3genE0ELNS1_11target_archE4294967295ELNS1_3gpuE0ELNS1_3repE0EEENS1_36merge_oddeven_config_static_selectorELNS0_4arch9wavefront6targetE1EEEvSK_,@function
_ZN7rocprim17ROCPRIM_400000_NS6detail17trampoline_kernelINS0_14default_configENS1_38merge_sort_block_merge_config_selectorIcNS0_10empty_typeEEEZZNS1_27merge_sort_block_merge_implIS3_N6thrust23THRUST_200600_302600_NS6detail15normal_iteratorINS9_10device_ptrIcEEEEPS5_m14custom_greaterIcEEE10hipError_tT0_T1_T2_jT3_P12ihipStream_tbPNSt15iterator_traitsISJ_E10value_typeEPNSP_ISK_E10value_typeEPSL_NS1_7vsmem_tEENKUlT_SJ_SK_SL_E_clIPcSE_SF_SF_EESI_SY_SJ_SK_SL_EUlSY_E1_NS1_11comp_targetILNS1_3genE0ELNS1_11target_archE4294967295ELNS1_3gpuE0ELNS1_3repE0EEENS1_36merge_oddeven_config_static_selectorELNS0_4arch9wavefront6targetE1EEEvSK_: ; @_ZN7rocprim17ROCPRIM_400000_NS6detail17trampoline_kernelINS0_14default_configENS1_38merge_sort_block_merge_config_selectorIcNS0_10empty_typeEEEZZNS1_27merge_sort_block_merge_implIS3_N6thrust23THRUST_200600_302600_NS6detail15normal_iteratorINS9_10device_ptrIcEEEEPS5_m14custom_greaterIcEEE10hipError_tT0_T1_T2_jT3_P12ihipStream_tbPNSt15iterator_traitsISJ_E10value_typeEPNSP_ISK_E10value_typeEPSL_NS1_7vsmem_tEENKUlT_SJ_SK_SL_E_clIPcSE_SF_SF_EESI_SY_SJ_SK_SL_EUlSY_E1_NS1_11comp_targetILNS1_3genE0ELNS1_11target_archE4294967295ELNS1_3gpuE0ELNS1_3repE0EEENS1_36merge_oddeven_config_static_selectorELNS0_4arch9wavefront6targetE1EEEvSK_
; %bb.0:
	.section	.rodata,"a",@progbits
	.p2align	6, 0x0
	.amdhsa_kernel _ZN7rocprim17ROCPRIM_400000_NS6detail17trampoline_kernelINS0_14default_configENS1_38merge_sort_block_merge_config_selectorIcNS0_10empty_typeEEEZZNS1_27merge_sort_block_merge_implIS3_N6thrust23THRUST_200600_302600_NS6detail15normal_iteratorINS9_10device_ptrIcEEEEPS5_m14custom_greaterIcEEE10hipError_tT0_T1_T2_jT3_P12ihipStream_tbPNSt15iterator_traitsISJ_E10value_typeEPNSP_ISK_E10value_typeEPSL_NS1_7vsmem_tEENKUlT_SJ_SK_SL_E_clIPcSE_SF_SF_EESI_SY_SJ_SK_SL_EUlSY_E1_NS1_11comp_targetILNS1_3genE0ELNS1_11target_archE4294967295ELNS1_3gpuE0ELNS1_3repE0EEENS1_36merge_oddeven_config_static_selectorELNS0_4arch9wavefront6targetE1EEEvSK_
		.amdhsa_group_segment_fixed_size 0
		.amdhsa_private_segment_fixed_size 0
		.amdhsa_kernarg_size 56
		.amdhsa_user_sgpr_count 6
		.amdhsa_user_sgpr_private_segment_buffer 1
		.amdhsa_user_sgpr_dispatch_ptr 0
		.amdhsa_user_sgpr_queue_ptr 0
		.amdhsa_user_sgpr_kernarg_segment_ptr 1
		.amdhsa_user_sgpr_dispatch_id 0
		.amdhsa_user_sgpr_flat_scratch_init 0
		.amdhsa_user_sgpr_kernarg_preload_length 0
		.amdhsa_user_sgpr_kernarg_preload_offset 0
		.amdhsa_user_sgpr_private_segment_size 0
		.amdhsa_uses_dynamic_stack 0
		.amdhsa_system_sgpr_private_segment_wavefront_offset 0
		.amdhsa_system_sgpr_workgroup_id_x 1
		.amdhsa_system_sgpr_workgroup_id_y 0
		.amdhsa_system_sgpr_workgroup_id_z 0
		.amdhsa_system_sgpr_workgroup_info 0
		.amdhsa_system_vgpr_workitem_id 0
		.amdhsa_next_free_vgpr 1
		.amdhsa_next_free_sgpr 0
		.amdhsa_accum_offset 4
		.amdhsa_reserve_vcc 0
		.amdhsa_reserve_flat_scratch 0
		.amdhsa_float_round_mode_32 0
		.amdhsa_float_round_mode_16_64 0
		.amdhsa_float_denorm_mode_32 3
		.amdhsa_float_denorm_mode_16_64 3
		.amdhsa_dx10_clamp 1
		.amdhsa_ieee_mode 1
		.amdhsa_fp16_overflow 0
		.amdhsa_tg_split 0
		.amdhsa_exception_fp_ieee_invalid_op 0
		.amdhsa_exception_fp_denorm_src 0
		.amdhsa_exception_fp_ieee_div_zero 0
		.amdhsa_exception_fp_ieee_overflow 0
		.amdhsa_exception_fp_ieee_underflow 0
		.amdhsa_exception_fp_ieee_inexact 0
		.amdhsa_exception_int_div_zero 0
	.end_amdhsa_kernel
	.section	.text._ZN7rocprim17ROCPRIM_400000_NS6detail17trampoline_kernelINS0_14default_configENS1_38merge_sort_block_merge_config_selectorIcNS0_10empty_typeEEEZZNS1_27merge_sort_block_merge_implIS3_N6thrust23THRUST_200600_302600_NS6detail15normal_iteratorINS9_10device_ptrIcEEEEPS5_m14custom_greaterIcEEE10hipError_tT0_T1_T2_jT3_P12ihipStream_tbPNSt15iterator_traitsISJ_E10value_typeEPNSP_ISK_E10value_typeEPSL_NS1_7vsmem_tEENKUlT_SJ_SK_SL_E_clIPcSE_SF_SF_EESI_SY_SJ_SK_SL_EUlSY_E1_NS1_11comp_targetILNS1_3genE0ELNS1_11target_archE4294967295ELNS1_3gpuE0ELNS1_3repE0EEENS1_36merge_oddeven_config_static_selectorELNS0_4arch9wavefront6targetE1EEEvSK_,"axG",@progbits,_ZN7rocprim17ROCPRIM_400000_NS6detail17trampoline_kernelINS0_14default_configENS1_38merge_sort_block_merge_config_selectorIcNS0_10empty_typeEEEZZNS1_27merge_sort_block_merge_implIS3_N6thrust23THRUST_200600_302600_NS6detail15normal_iteratorINS9_10device_ptrIcEEEEPS5_m14custom_greaterIcEEE10hipError_tT0_T1_T2_jT3_P12ihipStream_tbPNSt15iterator_traitsISJ_E10value_typeEPNSP_ISK_E10value_typeEPSL_NS1_7vsmem_tEENKUlT_SJ_SK_SL_E_clIPcSE_SF_SF_EESI_SY_SJ_SK_SL_EUlSY_E1_NS1_11comp_targetILNS1_3genE0ELNS1_11target_archE4294967295ELNS1_3gpuE0ELNS1_3repE0EEENS1_36merge_oddeven_config_static_selectorELNS0_4arch9wavefront6targetE1EEEvSK_,comdat
.Lfunc_end2725:
	.size	_ZN7rocprim17ROCPRIM_400000_NS6detail17trampoline_kernelINS0_14default_configENS1_38merge_sort_block_merge_config_selectorIcNS0_10empty_typeEEEZZNS1_27merge_sort_block_merge_implIS3_N6thrust23THRUST_200600_302600_NS6detail15normal_iteratorINS9_10device_ptrIcEEEEPS5_m14custom_greaterIcEEE10hipError_tT0_T1_T2_jT3_P12ihipStream_tbPNSt15iterator_traitsISJ_E10value_typeEPNSP_ISK_E10value_typeEPSL_NS1_7vsmem_tEENKUlT_SJ_SK_SL_E_clIPcSE_SF_SF_EESI_SY_SJ_SK_SL_EUlSY_E1_NS1_11comp_targetILNS1_3genE0ELNS1_11target_archE4294967295ELNS1_3gpuE0ELNS1_3repE0EEENS1_36merge_oddeven_config_static_selectorELNS0_4arch9wavefront6targetE1EEEvSK_, .Lfunc_end2725-_ZN7rocprim17ROCPRIM_400000_NS6detail17trampoline_kernelINS0_14default_configENS1_38merge_sort_block_merge_config_selectorIcNS0_10empty_typeEEEZZNS1_27merge_sort_block_merge_implIS3_N6thrust23THRUST_200600_302600_NS6detail15normal_iteratorINS9_10device_ptrIcEEEEPS5_m14custom_greaterIcEEE10hipError_tT0_T1_T2_jT3_P12ihipStream_tbPNSt15iterator_traitsISJ_E10value_typeEPNSP_ISK_E10value_typeEPSL_NS1_7vsmem_tEENKUlT_SJ_SK_SL_E_clIPcSE_SF_SF_EESI_SY_SJ_SK_SL_EUlSY_E1_NS1_11comp_targetILNS1_3genE0ELNS1_11target_archE4294967295ELNS1_3gpuE0ELNS1_3repE0EEENS1_36merge_oddeven_config_static_selectorELNS0_4arch9wavefront6targetE1EEEvSK_
                                        ; -- End function
	.section	.AMDGPU.csdata,"",@progbits
; Kernel info:
; codeLenInByte = 0
; NumSgprs: 4
; NumVgprs: 0
; NumAgprs: 0
; TotalNumVgprs: 0
; ScratchSize: 0
; MemoryBound: 0
; FloatMode: 240
; IeeeMode: 1
; LDSByteSize: 0 bytes/workgroup (compile time only)
; SGPRBlocks: 0
; VGPRBlocks: 0
; NumSGPRsForWavesPerEU: 4
; NumVGPRsForWavesPerEU: 1
; AccumOffset: 4
; Occupancy: 8
; WaveLimiterHint : 0
; COMPUTE_PGM_RSRC2:SCRATCH_EN: 0
; COMPUTE_PGM_RSRC2:USER_SGPR: 6
; COMPUTE_PGM_RSRC2:TRAP_HANDLER: 0
; COMPUTE_PGM_RSRC2:TGID_X_EN: 1
; COMPUTE_PGM_RSRC2:TGID_Y_EN: 0
; COMPUTE_PGM_RSRC2:TGID_Z_EN: 0
; COMPUTE_PGM_RSRC2:TIDIG_COMP_CNT: 0
; COMPUTE_PGM_RSRC3_GFX90A:ACCUM_OFFSET: 0
; COMPUTE_PGM_RSRC3_GFX90A:TG_SPLIT: 0
	.section	.text._ZN7rocprim17ROCPRIM_400000_NS6detail17trampoline_kernelINS0_14default_configENS1_38merge_sort_block_merge_config_selectorIcNS0_10empty_typeEEEZZNS1_27merge_sort_block_merge_implIS3_N6thrust23THRUST_200600_302600_NS6detail15normal_iteratorINS9_10device_ptrIcEEEEPS5_m14custom_greaterIcEEE10hipError_tT0_T1_T2_jT3_P12ihipStream_tbPNSt15iterator_traitsISJ_E10value_typeEPNSP_ISK_E10value_typeEPSL_NS1_7vsmem_tEENKUlT_SJ_SK_SL_E_clIPcSE_SF_SF_EESI_SY_SJ_SK_SL_EUlSY_E1_NS1_11comp_targetILNS1_3genE10ELNS1_11target_archE1201ELNS1_3gpuE5ELNS1_3repE0EEENS1_36merge_oddeven_config_static_selectorELNS0_4arch9wavefront6targetE1EEEvSK_,"axG",@progbits,_ZN7rocprim17ROCPRIM_400000_NS6detail17trampoline_kernelINS0_14default_configENS1_38merge_sort_block_merge_config_selectorIcNS0_10empty_typeEEEZZNS1_27merge_sort_block_merge_implIS3_N6thrust23THRUST_200600_302600_NS6detail15normal_iteratorINS9_10device_ptrIcEEEEPS5_m14custom_greaterIcEEE10hipError_tT0_T1_T2_jT3_P12ihipStream_tbPNSt15iterator_traitsISJ_E10value_typeEPNSP_ISK_E10value_typeEPSL_NS1_7vsmem_tEENKUlT_SJ_SK_SL_E_clIPcSE_SF_SF_EESI_SY_SJ_SK_SL_EUlSY_E1_NS1_11comp_targetILNS1_3genE10ELNS1_11target_archE1201ELNS1_3gpuE5ELNS1_3repE0EEENS1_36merge_oddeven_config_static_selectorELNS0_4arch9wavefront6targetE1EEEvSK_,comdat
	.protected	_ZN7rocprim17ROCPRIM_400000_NS6detail17trampoline_kernelINS0_14default_configENS1_38merge_sort_block_merge_config_selectorIcNS0_10empty_typeEEEZZNS1_27merge_sort_block_merge_implIS3_N6thrust23THRUST_200600_302600_NS6detail15normal_iteratorINS9_10device_ptrIcEEEEPS5_m14custom_greaterIcEEE10hipError_tT0_T1_T2_jT3_P12ihipStream_tbPNSt15iterator_traitsISJ_E10value_typeEPNSP_ISK_E10value_typeEPSL_NS1_7vsmem_tEENKUlT_SJ_SK_SL_E_clIPcSE_SF_SF_EESI_SY_SJ_SK_SL_EUlSY_E1_NS1_11comp_targetILNS1_3genE10ELNS1_11target_archE1201ELNS1_3gpuE5ELNS1_3repE0EEENS1_36merge_oddeven_config_static_selectorELNS0_4arch9wavefront6targetE1EEEvSK_ ; -- Begin function _ZN7rocprim17ROCPRIM_400000_NS6detail17trampoline_kernelINS0_14default_configENS1_38merge_sort_block_merge_config_selectorIcNS0_10empty_typeEEEZZNS1_27merge_sort_block_merge_implIS3_N6thrust23THRUST_200600_302600_NS6detail15normal_iteratorINS9_10device_ptrIcEEEEPS5_m14custom_greaterIcEEE10hipError_tT0_T1_T2_jT3_P12ihipStream_tbPNSt15iterator_traitsISJ_E10value_typeEPNSP_ISK_E10value_typeEPSL_NS1_7vsmem_tEENKUlT_SJ_SK_SL_E_clIPcSE_SF_SF_EESI_SY_SJ_SK_SL_EUlSY_E1_NS1_11comp_targetILNS1_3genE10ELNS1_11target_archE1201ELNS1_3gpuE5ELNS1_3repE0EEENS1_36merge_oddeven_config_static_selectorELNS0_4arch9wavefront6targetE1EEEvSK_
	.globl	_ZN7rocprim17ROCPRIM_400000_NS6detail17trampoline_kernelINS0_14default_configENS1_38merge_sort_block_merge_config_selectorIcNS0_10empty_typeEEEZZNS1_27merge_sort_block_merge_implIS3_N6thrust23THRUST_200600_302600_NS6detail15normal_iteratorINS9_10device_ptrIcEEEEPS5_m14custom_greaterIcEEE10hipError_tT0_T1_T2_jT3_P12ihipStream_tbPNSt15iterator_traitsISJ_E10value_typeEPNSP_ISK_E10value_typeEPSL_NS1_7vsmem_tEENKUlT_SJ_SK_SL_E_clIPcSE_SF_SF_EESI_SY_SJ_SK_SL_EUlSY_E1_NS1_11comp_targetILNS1_3genE10ELNS1_11target_archE1201ELNS1_3gpuE5ELNS1_3repE0EEENS1_36merge_oddeven_config_static_selectorELNS0_4arch9wavefront6targetE1EEEvSK_
	.p2align	8
	.type	_ZN7rocprim17ROCPRIM_400000_NS6detail17trampoline_kernelINS0_14default_configENS1_38merge_sort_block_merge_config_selectorIcNS0_10empty_typeEEEZZNS1_27merge_sort_block_merge_implIS3_N6thrust23THRUST_200600_302600_NS6detail15normal_iteratorINS9_10device_ptrIcEEEEPS5_m14custom_greaterIcEEE10hipError_tT0_T1_T2_jT3_P12ihipStream_tbPNSt15iterator_traitsISJ_E10value_typeEPNSP_ISK_E10value_typeEPSL_NS1_7vsmem_tEENKUlT_SJ_SK_SL_E_clIPcSE_SF_SF_EESI_SY_SJ_SK_SL_EUlSY_E1_NS1_11comp_targetILNS1_3genE10ELNS1_11target_archE1201ELNS1_3gpuE5ELNS1_3repE0EEENS1_36merge_oddeven_config_static_selectorELNS0_4arch9wavefront6targetE1EEEvSK_,@function
_ZN7rocprim17ROCPRIM_400000_NS6detail17trampoline_kernelINS0_14default_configENS1_38merge_sort_block_merge_config_selectorIcNS0_10empty_typeEEEZZNS1_27merge_sort_block_merge_implIS3_N6thrust23THRUST_200600_302600_NS6detail15normal_iteratorINS9_10device_ptrIcEEEEPS5_m14custom_greaterIcEEE10hipError_tT0_T1_T2_jT3_P12ihipStream_tbPNSt15iterator_traitsISJ_E10value_typeEPNSP_ISK_E10value_typeEPSL_NS1_7vsmem_tEENKUlT_SJ_SK_SL_E_clIPcSE_SF_SF_EESI_SY_SJ_SK_SL_EUlSY_E1_NS1_11comp_targetILNS1_3genE10ELNS1_11target_archE1201ELNS1_3gpuE5ELNS1_3repE0EEENS1_36merge_oddeven_config_static_selectorELNS0_4arch9wavefront6targetE1EEEvSK_: ; @_ZN7rocprim17ROCPRIM_400000_NS6detail17trampoline_kernelINS0_14default_configENS1_38merge_sort_block_merge_config_selectorIcNS0_10empty_typeEEEZZNS1_27merge_sort_block_merge_implIS3_N6thrust23THRUST_200600_302600_NS6detail15normal_iteratorINS9_10device_ptrIcEEEEPS5_m14custom_greaterIcEEE10hipError_tT0_T1_T2_jT3_P12ihipStream_tbPNSt15iterator_traitsISJ_E10value_typeEPNSP_ISK_E10value_typeEPSL_NS1_7vsmem_tEENKUlT_SJ_SK_SL_E_clIPcSE_SF_SF_EESI_SY_SJ_SK_SL_EUlSY_E1_NS1_11comp_targetILNS1_3genE10ELNS1_11target_archE1201ELNS1_3gpuE5ELNS1_3repE0EEENS1_36merge_oddeven_config_static_selectorELNS0_4arch9wavefront6targetE1EEEvSK_
; %bb.0:
	.section	.rodata,"a",@progbits
	.p2align	6, 0x0
	.amdhsa_kernel _ZN7rocprim17ROCPRIM_400000_NS6detail17trampoline_kernelINS0_14default_configENS1_38merge_sort_block_merge_config_selectorIcNS0_10empty_typeEEEZZNS1_27merge_sort_block_merge_implIS3_N6thrust23THRUST_200600_302600_NS6detail15normal_iteratorINS9_10device_ptrIcEEEEPS5_m14custom_greaterIcEEE10hipError_tT0_T1_T2_jT3_P12ihipStream_tbPNSt15iterator_traitsISJ_E10value_typeEPNSP_ISK_E10value_typeEPSL_NS1_7vsmem_tEENKUlT_SJ_SK_SL_E_clIPcSE_SF_SF_EESI_SY_SJ_SK_SL_EUlSY_E1_NS1_11comp_targetILNS1_3genE10ELNS1_11target_archE1201ELNS1_3gpuE5ELNS1_3repE0EEENS1_36merge_oddeven_config_static_selectorELNS0_4arch9wavefront6targetE1EEEvSK_
		.amdhsa_group_segment_fixed_size 0
		.amdhsa_private_segment_fixed_size 0
		.amdhsa_kernarg_size 56
		.amdhsa_user_sgpr_count 6
		.amdhsa_user_sgpr_private_segment_buffer 1
		.amdhsa_user_sgpr_dispatch_ptr 0
		.amdhsa_user_sgpr_queue_ptr 0
		.amdhsa_user_sgpr_kernarg_segment_ptr 1
		.amdhsa_user_sgpr_dispatch_id 0
		.amdhsa_user_sgpr_flat_scratch_init 0
		.amdhsa_user_sgpr_kernarg_preload_length 0
		.amdhsa_user_sgpr_kernarg_preload_offset 0
		.amdhsa_user_sgpr_private_segment_size 0
		.amdhsa_uses_dynamic_stack 0
		.amdhsa_system_sgpr_private_segment_wavefront_offset 0
		.amdhsa_system_sgpr_workgroup_id_x 1
		.amdhsa_system_sgpr_workgroup_id_y 0
		.amdhsa_system_sgpr_workgroup_id_z 0
		.amdhsa_system_sgpr_workgroup_info 0
		.amdhsa_system_vgpr_workitem_id 0
		.amdhsa_next_free_vgpr 1
		.amdhsa_next_free_sgpr 0
		.amdhsa_accum_offset 4
		.amdhsa_reserve_vcc 0
		.amdhsa_reserve_flat_scratch 0
		.amdhsa_float_round_mode_32 0
		.amdhsa_float_round_mode_16_64 0
		.amdhsa_float_denorm_mode_32 3
		.amdhsa_float_denorm_mode_16_64 3
		.amdhsa_dx10_clamp 1
		.amdhsa_ieee_mode 1
		.amdhsa_fp16_overflow 0
		.amdhsa_tg_split 0
		.amdhsa_exception_fp_ieee_invalid_op 0
		.amdhsa_exception_fp_denorm_src 0
		.amdhsa_exception_fp_ieee_div_zero 0
		.amdhsa_exception_fp_ieee_overflow 0
		.amdhsa_exception_fp_ieee_underflow 0
		.amdhsa_exception_fp_ieee_inexact 0
		.amdhsa_exception_int_div_zero 0
	.end_amdhsa_kernel
	.section	.text._ZN7rocprim17ROCPRIM_400000_NS6detail17trampoline_kernelINS0_14default_configENS1_38merge_sort_block_merge_config_selectorIcNS0_10empty_typeEEEZZNS1_27merge_sort_block_merge_implIS3_N6thrust23THRUST_200600_302600_NS6detail15normal_iteratorINS9_10device_ptrIcEEEEPS5_m14custom_greaterIcEEE10hipError_tT0_T1_T2_jT3_P12ihipStream_tbPNSt15iterator_traitsISJ_E10value_typeEPNSP_ISK_E10value_typeEPSL_NS1_7vsmem_tEENKUlT_SJ_SK_SL_E_clIPcSE_SF_SF_EESI_SY_SJ_SK_SL_EUlSY_E1_NS1_11comp_targetILNS1_3genE10ELNS1_11target_archE1201ELNS1_3gpuE5ELNS1_3repE0EEENS1_36merge_oddeven_config_static_selectorELNS0_4arch9wavefront6targetE1EEEvSK_,"axG",@progbits,_ZN7rocprim17ROCPRIM_400000_NS6detail17trampoline_kernelINS0_14default_configENS1_38merge_sort_block_merge_config_selectorIcNS0_10empty_typeEEEZZNS1_27merge_sort_block_merge_implIS3_N6thrust23THRUST_200600_302600_NS6detail15normal_iteratorINS9_10device_ptrIcEEEEPS5_m14custom_greaterIcEEE10hipError_tT0_T1_T2_jT3_P12ihipStream_tbPNSt15iterator_traitsISJ_E10value_typeEPNSP_ISK_E10value_typeEPSL_NS1_7vsmem_tEENKUlT_SJ_SK_SL_E_clIPcSE_SF_SF_EESI_SY_SJ_SK_SL_EUlSY_E1_NS1_11comp_targetILNS1_3genE10ELNS1_11target_archE1201ELNS1_3gpuE5ELNS1_3repE0EEENS1_36merge_oddeven_config_static_selectorELNS0_4arch9wavefront6targetE1EEEvSK_,comdat
.Lfunc_end2726:
	.size	_ZN7rocprim17ROCPRIM_400000_NS6detail17trampoline_kernelINS0_14default_configENS1_38merge_sort_block_merge_config_selectorIcNS0_10empty_typeEEEZZNS1_27merge_sort_block_merge_implIS3_N6thrust23THRUST_200600_302600_NS6detail15normal_iteratorINS9_10device_ptrIcEEEEPS5_m14custom_greaterIcEEE10hipError_tT0_T1_T2_jT3_P12ihipStream_tbPNSt15iterator_traitsISJ_E10value_typeEPNSP_ISK_E10value_typeEPSL_NS1_7vsmem_tEENKUlT_SJ_SK_SL_E_clIPcSE_SF_SF_EESI_SY_SJ_SK_SL_EUlSY_E1_NS1_11comp_targetILNS1_3genE10ELNS1_11target_archE1201ELNS1_3gpuE5ELNS1_3repE0EEENS1_36merge_oddeven_config_static_selectorELNS0_4arch9wavefront6targetE1EEEvSK_, .Lfunc_end2726-_ZN7rocprim17ROCPRIM_400000_NS6detail17trampoline_kernelINS0_14default_configENS1_38merge_sort_block_merge_config_selectorIcNS0_10empty_typeEEEZZNS1_27merge_sort_block_merge_implIS3_N6thrust23THRUST_200600_302600_NS6detail15normal_iteratorINS9_10device_ptrIcEEEEPS5_m14custom_greaterIcEEE10hipError_tT0_T1_T2_jT3_P12ihipStream_tbPNSt15iterator_traitsISJ_E10value_typeEPNSP_ISK_E10value_typeEPSL_NS1_7vsmem_tEENKUlT_SJ_SK_SL_E_clIPcSE_SF_SF_EESI_SY_SJ_SK_SL_EUlSY_E1_NS1_11comp_targetILNS1_3genE10ELNS1_11target_archE1201ELNS1_3gpuE5ELNS1_3repE0EEENS1_36merge_oddeven_config_static_selectorELNS0_4arch9wavefront6targetE1EEEvSK_
                                        ; -- End function
	.section	.AMDGPU.csdata,"",@progbits
; Kernel info:
; codeLenInByte = 0
; NumSgprs: 4
; NumVgprs: 0
; NumAgprs: 0
; TotalNumVgprs: 0
; ScratchSize: 0
; MemoryBound: 0
; FloatMode: 240
; IeeeMode: 1
; LDSByteSize: 0 bytes/workgroup (compile time only)
; SGPRBlocks: 0
; VGPRBlocks: 0
; NumSGPRsForWavesPerEU: 4
; NumVGPRsForWavesPerEU: 1
; AccumOffset: 4
; Occupancy: 8
; WaveLimiterHint : 0
; COMPUTE_PGM_RSRC2:SCRATCH_EN: 0
; COMPUTE_PGM_RSRC2:USER_SGPR: 6
; COMPUTE_PGM_RSRC2:TRAP_HANDLER: 0
; COMPUTE_PGM_RSRC2:TGID_X_EN: 1
; COMPUTE_PGM_RSRC2:TGID_Y_EN: 0
; COMPUTE_PGM_RSRC2:TGID_Z_EN: 0
; COMPUTE_PGM_RSRC2:TIDIG_COMP_CNT: 0
; COMPUTE_PGM_RSRC3_GFX90A:ACCUM_OFFSET: 0
; COMPUTE_PGM_RSRC3_GFX90A:TG_SPLIT: 0
	.section	.text._ZN7rocprim17ROCPRIM_400000_NS6detail17trampoline_kernelINS0_14default_configENS1_38merge_sort_block_merge_config_selectorIcNS0_10empty_typeEEEZZNS1_27merge_sort_block_merge_implIS3_N6thrust23THRUST_200600_302600_NS6detail15normal_iteratorINS9_10device_ptrIcEEEEPS5_m14custom_greaterIcEEE10hipError_tT0_T1_T2_jT3_P12ihipStream_tbPNSt15iterator_traitsISJ_E10value_typeEPNSP_ISK_E10value_typeEPSL_NS1_7vsmem_tEENKUlT_SJ_SK_SL_E_clIPcSE_SF_SF_EESI_SY_SJ_SK_SL_EUlSY_E1_NS1_11comp_targetILNS1_3genE5ELNS1_11target_archE942ELNS1_3gpuE9ELNS1_3repE0EEENS1_36merge_oddeven_config_static_selectorELNS0_4arch9wavefront6targetE1EEEvSK_,"axG",@progbits,_ZN7rocprim17ROCPRIM_400000_NS6detail17trampoline_kernelINS0_14default_configENS1_38merge_sort_block_merge_config_selectorIcNS0_10empty_typeEEEZZNS1_27merge_sort_block_merge_implIS3_N6thrust23THRUST_200600_302600_NS6detail15normal_iteratorINS9_10device_ptrIcEEEEPS5_m14custom_greaterIcEEE10hipError_tT0_T1_T2_jT3_P12ihipStream_tbPNSt15iterator_traitsISJ_E10value_typeEPNSP_ISK_E10value_typeEPSL_NS1_7vsmem_tEENKUlT_SJ_SK_SL_E_clIPcSE_SF_SF_EESI_SY_SJ_SK_SL_EUlSY_E1_NS1_11comp_targetILNS1_3genE5ELNS1_11target_archE942ELNS1_3gpuE9ELNS1_3repE0EEENS1_36merge_oddeven_config_static_selectorELNS0_4arch9wavefront6targetE1EEEvSK_,comdat
	.protected	_ZN7rocprim17ROCPRIM_400000_NS6detail17trampoline_kernelINS0_14default_configENS1_38merge_sort_block_merge_config_selectorIcNS0_10empty_typeEEEZZNS1_27merge_sort_block_merge_implIS3_N6thrust23THRUST_200600_302600_NS6detail15normal_iteratorINS9_10device_ptrIcEEEEPS5_m14custom_greaterIcEEE10hipError_tT0_T1_T2_jT3_P12ihipStream_tbPNSt15iterator_traitsISJ_E10value_typeEPNSP_ISK_E10value_typeEPSL_NS1_7vsmem_tEENKUlT_SJ_SK_SL_E_clIPcSE_SF_SF_EESI_SY_SJ_SK_SL_EUlSY_E1_NS1_11comp_targetILNS1_3genE5ELNS1_11target_archE942ELNS1_3gpuE9ELNS1_3repE0EEENS1_36merge_oddeven_config_static_selectorELNS0_4arch9wavefront6targetE1EEEvSK_ ; -- Begin function _ZN7rocprim17ROCPRIM_400000_NS6detail17trampoline_kernelINS0_14default_configENS1_38merge_sort_block_merge_config_selectorIcNS0_10empty_typeEEEZZNS1_27merge_sort_block_merge_implIS3_N6thrust23THRUST_200600_302600_NS6detail15normal_iteratorINS9_10device_ptrIcEEEEPS5_m14custom_greaterIcEEE10hipError_tT0_T1_T2_jT3_P12ihipStream_tbPNSt15iterator_traitsISJ_E10value_typeEPNSP_ISK_E10value_typeEPSL_NS1_7vsmem_tEENKUlT_SJ_SK_SL_E_clIPcSE_SF_SF_EESI_SY_SJ_SK_SL_EUlSY_E1_NS1_11comp_targetILNS1_3genE5ELNS1_11target_archE942ELNS1_3gpuE9ELNS1_3repE0EEENS1_36merge_oddeven_config_static_selectorELNS0_4arch9wavefront6targetE1EEEvSK_
	.globl	_ZN7rocprim17ROCPRIM_400000_NS6detail17trampoline_kernelINS0_14default_configENS1_38merge_sort_block_merge_config_selectorIcNS0_10empty_typeEEEZZNS1_27merge_sort_block_merge_implIS3_N6thrust23THRUST_200600_302600_NS6detail15normal_iteratorINS9_10device_ptrIcEEEEPS5_m14custom_greaterIcEEE10hipError_tT0_T1_T2_jT3_P12ihipStream_tbPNSt15iterator_traitsISJ_E10value_typeEPNSP_ISK_E10value_typeEPSL_NS1_7vsmem_tEENKUlT_SJ_SK_SL_E_clIPcSE_SF_SF_EESI_SY_SJ_SK_SL_EUlSY_E1_NS1_11comp_targetILNS1_3genE5ELNS1_11target_archE942ELNS1_3gpuE9ELNS1_3repE0EEENS1_36merge_oddeven_config_static_selectorELNS0_4arch9wavefront6targetE1EEEvSK_
	.p2align	8
	.type	_ZN7rocprim17ROCPRIM_400000_NS6detail17trampoline_kernelINS0_14default_configENS1_38merge_sort_block_merge_config_selectorIcNS0_10empty_typeEEEZZNS1_27merge_sort_block_merge_implIS3_N6thrust23THRUST_200600_302600_NS6detail15normal_iteratorINS9_10device_ptrIcEEEEPS5_m14custom_greaterIcEEE10hipError_tT0_T1_T2_jT3_P12ihipStream_tbPNSt15iterator_traitsISJ_E10value_typeEPNSP_ISK_E10value_typeEPSL_NS1_7vsmem_tEENKUlT_SJ_SK_SL_E_clIPcSE_SF_SF_EESI_SY_SJ_SK_SL_EUlSY_E1_NS1_11comp_targetILNS1_3genE5ELNS1_11target_archE942ELNS1_3gpuE9ELNS1_3repE0EEENS1_36merge_oddeven_config_static_selectorELNS0_4arch9wavefront6targetE1EEEvSK_,@function
_ZN7rocprim17ROCPRIM_400000_NS6detail17trampoline_kernelINS0_14default_configENS1_38merge_sort_block_merge_config_selectorIcNS0_10empty_typeEEEZZNS1_27merge_sort_block_merge_implIS3_N6thrust23THRUST_200600_302600_NS6detail15normal_iteratorINS9_10device_ptrIcEEEEPS5_m14custom_greaterIcEEE10hipError_tT0_T1_T2_jT3_P12ihipStream_tbPNSt15iterator_traitsISJ_E10value_typeEPNSP_ISK_E10value_typeEPSL_NS1_7vsmem_tEENKUlT_SJ_SK_SL_E_clIPcSE_SF_SF_EESI_SY_SJ_SK_SL_EUlSY_E1_NS1_11comp_targetILNS1_3genE5ELNS1_11target_archE942ELNS1_3gpuE9ELNS1_3repE0EEENS1_36merge_oddeven_config_static_selectorELNS0_4arch9wavefront6targetE1EEEvSK_: ; @_ZN7rocprim17ROCPRIM_400000_NS6detail17trampoline_kernelINS0_14default_configENS1_38merge_sort_block_merge_config_selectorIcNS0_10empty_typeEEEZZNS1_27merge_sort_block_merge_implIS3_N6thrust23THRUST_200600_302600_NS6detail15normal_iteratorINS9_10device_ptrIcEEEEPS5_m14custom_greaterIcEEE10hipError_tT0_T1_T2_jT3_P12ihipStream_tbPNSt15iterator_traitsISJ_E10value_typeEPNSP_ISK_E10value_typeEPSL_NS1_7vsmem_tEENKUlT_SJ_SK_SL_E_clIPcSE_SF_SF_EESI_SY_SJ_SK_SL_EUlSY_E1_NS1_11comp_targetILNS1_3genE5ELNS1_11target_archE942ELNS1_3gpuE9ELNS1_3repE0EEENS1_36merge_oddeven_config_static_selectorELNS0_4arch9wavefront6targetE1EEEvSK_
; %bb.0:
	.section	.rodata,"a",@progbits
	.p2align	6, 0x0
	.amdhsa_kernel _ZN7rocprim17ROCPRIM_400000_NS6detail17trampoline_kernelINS0_14default_configENS1_38merge_sort_block_merge_config_selectorIcNS0_10empty_typeEEEZZNS1_27merge_sort_block_merge_implIS3_N6thrust23THRUST_200600_302600_NS6detail15normal_iteratorINS9_10device_ptrIcEEEEPS5_m14custom_greaterIcEEE10hipError_tT0_T1_T2_jT3_P12ihipStream_tbPNSt15iterator_traitsISJ_E10value_typeEPNSP_ISK_E10value_typeEPSL_NS1_7vsmem_tEENKUlT_SJ_SK_SL_E_clIPcSE_SF_SF_EESI_SY_SJ_SK_SL_EUlSY_E1_NS1_11comp_targetILNS1_3genE5ELNS1_11target_archE942ELNS1_3gpuE9ELNS1_3repE0EEENS1_36merge_oddeven_config_static_selectorELNS0_4arch9wavefront6targetE1EEEvSK_
		.amdhsa_group_segment_fixed_size 0
		.amdhsa_private_segment_fixed_size 0
		.amdhsa_kernarg_size 56
		.amdhsa_user_sgpr_count 6
		.amdhsa_user_sgpr_private_segment_buffer 1
		.amdhsa_user_sgpr_dispatch_ptr 0
		.amdhsa_user_sgpr_queue_ptr 0
		.amdhsa_user_sgpr_kernarg_segment_ptr 1
		.amdhsa_user_sgpr_dispatch_id 0
		.amdhsa_user_sgpr_flat_scratch_init 0
		.amdhsa_user_sgpr_kernarg_preload_length 0
		.amdhsa_user_sgpr_kernarg_preload_offset 0
		.amdhsa_user_sgpr_private_segment_size 0
		.amdhsa_uses_dynamic_stack 0
		.amdhsa_system_sgpr_private_segment_wavefront_offset 0
		.amdhsa_system_sgpr_workgroup_id_x 1
		.amdhsa_system_sgpr_workgroup_id_y 0
		.amdhsa_system_sgpr_workgroup_id_z 0
		.amdhsa_system_sgpr_workgroup_info 0
		.amdhsa_system_vgpr_workitem_id 0
		.amdhsa_next_free_vgpr 1
		.amdhsa_next_free_sgpr 0
		.amdhsa_accum_offset 4
		.amdhsa_reserve_vcc 0
		.amdhsa_reserve_flat_scratch 0
		.amdhsa_float_round_mode_32 0
		.amdhsa_float_round_mode_16_64 0
		.amdhsa_float_denorm_mode_32 3
		.amdhsa_float_denorm_mode_16_64 3
		.amdhsa_dx10_clamp 1
		.amdhsa_ieee_mode 1
		.amdhsa_fp16_overflow 0
		.amdhsa_tg_split 0
		.amdhsa_exception_fp_ieee_invalid_op 0
		.amdhsa_exception_fp_denorm_src 0
		.amdhsa_exception_fp_ieee_div_zero 0
		.amdhsa_exception_fp_ieee_overflow 0
		.amdhsa_exception_fp_ieee_underflow 0
		.amdhsa_exception_fp_ieee_inexact 0
		.amdhsa_exception_int_div_zero 0
	.end_amdhsa_kernel
	.section	.text._ZN7rocprim17ROCPRIM_400000_NS6detail17trampoline_kernelINS0_14default_configENS1_38merge_sort_block_merge_config_selectorIcNS0_10empty_typeEEEZZNS1_27merge_sort_block_merge_implIS3_N6thrust23THRUST_200600_302600_NS6detail15normal_iteratorINS9_10device_ptrIcEEEEPS5_m14custom_greaterIcEEE10hipError_tT0_T1_T2_jT3_P12ihipStream_tbPNSt15iterator_traitsISJ_E10value_typeEPNSP_ISK_E10value_typeEPSL_NS1_7vsmem_tEENKUlT_SJ_SK_SL_E_clIPcSE_SF_SF_EESI_SY_SJ_SK_SL_EUlSY_E1_NS1_11comp_targetILNS1_3genE5ELNS1_11target_archE942ELNS1_3gpuE9ELNS1_3repE0EEENS1_36merge_oddeven_config_static_selectorELNS0_4arch9wavefront6targetE1EEEvSK_,"axG",@progbits,_ZN7rocprim17ROCPRIM_400000_NS6detail17trampoline_kernelINS0_14default_configENS1_38merge_sort_block_merge_config_selectorIcNS0_10empty_typeEEEZZNS1_27merge_sort_block_merge_implIS3_N6thrust23THRUST_200600_302600_NS6detail15normal_iteratorINS9_10device_ptrIcEEEEPS5_m14custom_greaterIcEEE10hipError_tT0_T1_T2_jT3_P12ihipStream_tbPNSt15iterator_traitsISJ_E10value_typeEPNSP_ISK_E10value_typeEPSL_NS1_7vsmem_tEENKUlT_SJ_SK_SL_E_clIPcSE_SF_SF_EESI_SY_SJ_SK_SL_EUlSY_E1_NS1_11comp_targetILNS1_3genE5ELNS1_11target_archE942ELNS1_3gpuE9ELNS1_3repE0EEENS1_36merge_oddeven_config_static_selectorELNS0_4arch9wavefront6targetE1EEEvSK_,comdat
.Lfunc_end2727:
	.size	_ZN7rocprim17ROCPRIM_400000_NS6detail17trampoline_kernelINS0_14default_configENS1_38merge_sort_block_merge_config_selectorIcNS0_10empty_typeEEEZZNS1_27merge_sort_block_merge_implIS3_N6thrust23THRUST_200600_302600_NS6detail15normal_iteratorINS9_10device_ptrIcEEEEPS5_m14custom_greaterIcEEE10hipError_tT0_T1_T2_jT3_P12ihipStream_tbPNSt15iterator_traitsISJ_E10value_typeEPNSP_ISK_E10value_typeEPSL_NS1_7vsmem_tEENKUlT_SJ_SK_SL_E_clIPcSE_SF_SF_EESI_SY_SJ_SK_SL_EUlSY_E1_NS1_11comp_targetILNS1_3genE5ELNS1_11target_archE942ELNS1_3gpuE9ELNS1_3repE0EEENS1_36merge_oddeven_config_static_selectorELNS0_4arch9wavefront6targetE1EEEvSK_, .Lfunc_end2727-_ZN7rocprim17ROCPRIM_400000_NS6detail17trampoline_kernelINS0_14default_configENS1_38merge_sort_block_merge_config_selectorIcNS0_10empty_typeEEEZZNS1_27merge_sort_block_merge_implIS3_N6thrust23THRUST_200600_302600_NS6detail15normal_iteratorINS9_10device_ptrIcEEEEPS5_m14custom_greaterIcEEE10hipError_tT0_T1_T2_jT3_P12ihipStream_tbPNSt15iterator_traitsISJ_E10value_typeEPNSP_ISK_E10value_typeEPSL_NS1_7vsmem_tEENKUlT_SJ_SK_SL_E_clIPcSE_SF_SF_EESI_SY_SJ_SK_SL_EUlSY_E1_NS1_11comp_targetILNS1_3genE5ELNS1_11target_archE942ELNS1_3gpuE9ELNS1_3repE0EEENS1_36merge_oddeven_config_static_selectorELNS0_4arch9wavefront6targetE1EEEvSK_
                                        ; -- End function
	.section	.AMDGPU.csdata,"",@progbits
; Kernel info:
; codeLenInByte = 0
; NumSgprs: 4
; NumVgprs: 0
; NumAgprs: 0
; TotalNumVgprs: 0
; ScratchSize: 0
; MemoryBound: 0
; FloatMode: 240
; IeeeMode: 1
; LDSByteSize: 0 bytes/workgroup (compile time only)
; SGPRBlocks: 0
; VGPRBlocks: 0
; NumSGPRsForWavesPerEU: 4
; NumVGPRsForWavesPerEU: 1
; AccumOffset: 4
; Occupancy: 8
; WaveLimiterHint : 0
; COMPUTE_PGM_RSRC2:SCRATCH_EN: 0
; COMPUTE_PGM_RSRC2:USER_SGPR: 6
; COMPUTE_PGM_RSRC2:TRAP_HANDLER: 0
; COMPUTE_PGM_RSRC2:TGID_X_EN: 1
; COMPUTE_PGM_RSRC2:TGID_Y_EN: 0
; COMPUTE_PGM_RSRC2:TGID_Z_EN: 0
; COMPUTE_PGM_RSRC2:TIDIG_COMP_CNT: 0
; COMPUTE_PGM_RSRC3_GFX90A:ACCUM_OFFSET: 0
; COMPUTE_PGM_RSRC3_GFX90A:TG_SPLIT: 0
	.section	.text._ZN7rocprim17ROCPRIM_400000_NS6detail17trampoline_kernelINS0_14default_configENS1_38merge_sort_block_merge_config_selectorIcNS0_10empty_typeEEEZZNS1_27merge_sort_block_merge_implIS3_N6thrust23THRUST_200600_302600_NS6detail15normal_iteratorINS9_10device_ptrIcEEEEPS5_m14custom_greaterIcEEE10hipError_tT0_T1_T2_jT3_P12ihipStream_tbPNSt15iterator_traitsISJ_E10value_typeEPNSP_ISK_E10value_typeEPSL_NS1_7vsmem_tEENKUlT_SJ_SK_SL_E_clIPcSE_SF_SF_EESI_SY_SJ_SK_SL_EUlSY_E1_NS1_11comp_targetILNS1_3genE4ELNS1_11target_archE910ELNS1_3gpuE8ELNS1_3repE0EEENS1_36merge_oddeven_config_static_selectorELNS0_4arch9wavefront6targetE1EEEvSK_,"axG",@progbits,_ZN7rocprim17ROCPRIM_400000_NS6detail17trampoline_kernelINS0_14default_configENS1_38merge_sort_block_merge_config_selectorIcNS0_10empty_typeEEEZZNS1_27merge_sort_block_merge_implIS3_N6thrust23THRUST_200600_302600_NS6detail15normal_iteratorINS9_10device_ptrIcEEEEPS5_m14custom_greaterIcEEE10hipError_tT0_T1_T2_jT3_P12ihipStream_tbPNSt15iterator_traitsISJ_E10value_typeEPNSP_ISK_E10value_typeEPSL_NS1_7vsmem_tEENKUlT_SJ_SK_SL_E_clIPcSE_SF_SF_EESI_SY_SJ_SK_SL_EUlSY_E1_NS1_11comp_targetILNS1_3genE4ELNS1_11target_archE910ELNS1_3gpuE8ELNS1_3repE0EEENS1_36merge_oddeven_config_static_selectorELNS0_4arch9wavefront6targetE1EEEvSK_,comdat
	.protected	_ZN7rocprim17ROCPRIM_400000_NS6detail17trampoline_kernelINS0_14default_configENS1_38merge_sort_block_merge_config_selectorIcNS0_10empty_typeEEEZZNS1_27merge_sort_block_merge_implIS3_N6thrust23THRUST_200600_302600_NS6detail15normal_iteratorINS9_10device_ptrIcEEEEPS5_m14custom_greaterIcEEE10hipError_tT0_T1_T2_jT3_P12ihipStream_tbPNSt15iterator_traitsISJ_E10value_typeEPNSP_ISK_E10value_typeEPSL_NS1_7vsmem_tEENKUlT_SJ_SK_SL_E_clIPcSE_SF_SF_EESI_SY_SJ_SK_SL_EUlSY_E1_NS1_11comp_targetILNS1_3genE4ELNS1_11target_archE910ELNS1_3gpuE8ELNS1_3repE0EEENS1_36merge_oddeven_config_static_selectorELNS0_4arch9wavefront6targetE1EEEvSK_ ; -- Begin function _ZN7rocprim17ROCPRIM_400000_NS6detail17trampoline_kernelINS0_14default_configENS1_38merge_sort_block_merge_config_selectorIcNS0_10empty_typeEEEZZNS1_27merge_sort_block_merge_implIS3_N6thrust23THRUST_200600_302600_NS6detail15normal_iteratorINS9_10device_ptrIcEEEEPS5_m14custom_greaterIcEEE10hipError_tT0_T1_T2_jT3_P12ihipStream_tbPNSt15iterator_traitsISJ_E10value_typeEPNSP_ISK_E10value_typeEPSL_NS1_7vsmem_tEENKUlT_SJ_SK_SL_E_clIPcSE_SF_SF_EESI_SY_SJ_SK_SL_EUlSY_E1_NS1_11comp_targetILNS1_3genE4ELNS1_11target_archE910ELNS1_3gpuE8ELNS1_3repE0EEENS1_36merge_oddeven_config_static_selectorELNS0_4arch9wavefront6targetE1EEEvSK_
	.globl	_ZN7rocprim17ROCPRIM_400000_NS6detail17trampoline_kernelINS0_14default_configENS1_38merge_sort_block_merge_config_selectorIcNS0_10empty_typeEEEZZNS1_27merge_sort_block_merge_implIS3_N6thrust23THRUST_200600_302600_NS6detail15normal_iteratorINS9_10device_ptrIcEEEEPS5_m14custom_greaterIcEEE10hipError_tT0_T1_T2_jT3_P12ihipStream_tbPNSt15iterator_traitsISJ_E10value_typeEPNSP_ISK_E10value_typeEPSL_NS1_7vsmem_tEENKUlT_SJ_SK_SL_E_clIPcSE_SF_SF_EESI_SY_SJ_SK_SL_EUlSY_E1_NS1_11comp_targetILNS1_3genE4ELNS1_11target_archE910ELNS1_3gpuE8ELNS1_3repE0EEENS1_36merge_oddeven_config_static_selectorELNS0_4arch9wavefront6targetE1EEEvSK_
	.p2align	8
	.type	_ZN7rocprim17ROCPRIM_400000_NS6detail17trampoline_kernelINS0_14default_configENS1_38merge_sort_block_merge_config_selectorIcNS0_10empty_typeEEEZZNS1_27merge_sort_block_merge_implIS3_N6thrust23THRUST_200600_302600_NS6detail15normal_iteratorINS9_10device_ptrIcEEEEPS5_m14custom_greaterIcEEE10hipError_tT0_T1_T2_jT3_P12ihipStream_tbPNSt15iterator_traitsISJ_E10value_typeEPNSP_ISK_E10value_typeEPSL_NS1_7vsmem_tEENKUlT_SJ_SK_SL_E_clIPcSE_SF_SF_EESI_SY_SJ_SK_SL_EUlSY_E1_NS1_11comp_targetILNS1_3genE4ELNS1_11target_archE910ELNS1_3gpuE8ELNS1_3repE0EEENS1_36merge_oddeven_config_static_selectorELNS0_4arch9wavefront6targetE1EEEvSK_,@function
_ZN7rocprim17ROCPRIM_400000_NS6detail17trampoline_kernelINS0_14default_configENS1_38merge_sort_block_merge_config_selectorIcNS0_10empty_typeEEEZZNS1_27merge_sort_block_merge_implIS3_N6thrust23THRUST_200600_302600_NS6detail15normal_iteratorINS9_10device_ptrIcEEEEPS5_m14custom_greaterIcEEE10hipError_tT0_T1_T2_jT3_P12ihipStream_tbPNSt15iterator_traitsISJ_E10value_typeEPNSP_ISK_E10value_typeEPSL_NS1_7vsmem_tEENKUlT_SJ_SK_SL_E_clIPcSE_SF_SF_EESI_SY_SJ_SK_SL_EUlSY_E1_NS1_11comp_targetILNS1_3genE4ELNS1_11target_archE910ELNS1_3gpuE8ELNS1_3repE0EEENS1_36merge_oddeven_config_static_selectorELNS0_4arch9wavefront6targetE1EEEvSK_: ; @_ZN7rocprim17ROCPRIM_400000_NS6detail17trampoline_kernelINS0_14default_configENS1_38merge_sort_block_merge_config_selectorIcNS0_10empty_typeEEEZZNS1_27merge_sort_block_merge_implIS3_N6thrust23THRUST_200600_302600_NS6detail15normal_iteratorINS9_10device_ptrIcEEEEPS5_m14custom_greaterIcEEE10hipError_tT0_T1_T2_jT3_P12ihipStream_tbPNSt15iterator_traitsISJ_E10value_typeEPNSP_ISK_E10value_typeEPSL_NS1_7vsmem_tEENKUlT_SJ_SK_SL_E_clIPcSE_SF_SF_EESI_SY_SJ_SK_SL_EUlSY_E1_NS1_11comp_targetILNS1_3genE4ELNS1_11target_archE910ELNS1_3gpuE8ELNS1_3repE0EEENS1_36merge_oddeven_config_static_selectorELNS0_4arch9wavefront6targetE1EEEvSK_
; %bb.0:
	s_load_dword s17, s[4:5], 0x20
	s_waitcnt lgkmcnt(0)
	s_lshr_b32 s0, s17, 8
	s_cmp_lg_u32 s6, s0
	s_cselect_b64 s[14:15], -1, 0
	s_cmp_eq_u32 s6, s0
	s_cselect_b64 s[12:13], -1, 0
	s_lshl_b32 s7, s6, 8
	s_sub_i32 s0, s17, s7
	v_cmp_gt_u32_e64 s[2:3], s0, v0
	s_or_b64 s[0:1], s[14:15], s[2:3]
	s_and_saveexec_b64 s[8:9], s[0:1]
	s_cbranch_execz .LBB2728_20
; %bb.1:
	s_load_dwordx4 s[8:11], s[4:5], 0x0
	s_load_dword s18, s[4:5], 0x28
	v_add_u32_e32 v2, s7, v0
	s_waitcnt lgkmcnt(0)
	s_add_u32 s0, s8, s7
	s_addc_u32 s1, s9, 0
	global_load_sbyte v1, v0, s[0:1]
	s_lshr_b32 s0, s18, 8
	s_sub_i32 s1, 0, s0
	s_and_b32 s1, s6, s1
	s_and_b32 s0, s1, s0
	s_lshl_b32 s19, s1, 8
	s_sub_i32 s6, 0, s18
	s_cmp_eq_u32 s0, 0
	s_cselect_b64 s[0:1], -1, 0
	s_and_b64 s[4:5], s[0:1], exec
	s_cselect_b32 s16, s18, s6
	s_add_i32 s16, s16, s19
	s_cmp_lt_u32 s16, s17
	s_cbranch_scc1 .LBB2728_3
; %bb.2:
	v_cmp_gt_u32_e32 vcc, s17, v2
	s_or_b64 s[4:5], vcc, s[14:15]
	s_and_b64 s[4:5], s[4:5], exec
	s_cbranch_execz .LBB2728_4
	s_branch .LBB2728_18
.LBB2728_3:
	s_mov_b64 s[4:5], 0
.LBB2728_4:
	s_min_u32 s14, s16, s17
	s_add_i32 s6, s14, s18
	s_min_u32 s15, s6, s17
	s_min_u32 s6, s19, s14
	s_add_i32 s19, s19, s14
	v_subrev_u32_e32 v0, s19, v2
	v_add_u32_e32 v0, s6, v0
	s_and_b64 vcc, exec, s[12:13]
	s_cbranch_vccz .LBB2728_12
; %bb.5:
                                        ; implicit-def: $vgpr2
	s_and_saveexec_b64 s[6:7], s[2:3]
	s_cbranch_execz .LBB2728_11
; %bb.6:
	s_cmp_ge_u32 s16, s15
	v_mov_b32_e32 v2, s14
	s_cbranch_scc1 .LBB2728_10
; %bb.7:
	s_mov_b64 s[2:3], 0
	v_mov_b32_e32 v3, s15
	v_mov_b32_e32 v2, s14
.LBB2728_8:                             ; =>This Inner Loop Header: Depth=1
	v_add_u32_e32 v4, v2, v3
	v_lshrrev_b32_e32 v4, 1, v4
	global_load_sbyte v5, v4, s[8:9]
	v_add_u32_e32 v6, 1, v4
	s_waitcnt vmcnt(0)
	v_cmp_gt_i16_e32 vcc, v1, v5
	v_cndmask_b32_e64 v7, 0, 1, vcc
	v_cmp_le_i16_e32 vcc, v5, v1
	v_cndmask_b32_e64 v5, 0, 1, vcc
	v_cndmask_b32_e64 v5, v5, v7, s[0:1]
	v_and_b32_e32 v5, 1, v5
	v_cmp_eq_u32_e32 vcc, 1, v5
	v_cndmask_b32_e32 v3, v4, v3, vcc
	v_cndmask_b32_e32 v2, v2, v6, vcc
	v_cmp_ge_u32_e32 vcc, v2, v3
	s_or_b64 s[2:3], vcc, s[2:3]
	s_andn2_b64 exec, exec, s[2:3]
	s_cbranch_execnz .LBB2728_8
; %bb.9:
	s_or_b64 exec, exec, s[2:3]
.LBB2728_10:
	v_add_u32_e32 v2, v2, v0
	s_or_b64 s[4:5], s[4:5], exec
.LBB2728_11:
	s_or_b64 exec, exec, s[6:7]
	s_branch .LBB2728_18
.LBB2728_12:
                                        ; implicit-def: $vgpr2
	s_cbranch_execz .LBB2728_18
; %bb.13:
	s_cmp_ge_u32 s16, s15
	v_mov_b32_e32 v2, s14
	s_cbranch_scc1 .LBB2728_17
; %bb.14:
	s_mov_b64 s[2:3], 0
	v_mov_b32_e32 v3, s15
	v_mov_b32_e32 v2, s14
.LBB2728_15:                            ; =>This Inner Loop Header: Depth=1
	v_add_u32_e32 v4, v2, v3
	v_lshrrev_b32_e32 v4, 1, v4
	global_load_sbyte v5, v4, s[8:9]
	v_add_u32_e32 v6, 1, v4
	s_waitcnt vmcnt(0)
	v_cmp_gt_i16_e32 vcc, v1, v5
	v_cndmask_b32_e64 v7, 0, 1, vcc
	v_cmp_le_i16_e32 vcc, v5, v1
	v_cndmask_b32_e64 v5, 0, 1, vcc
	v_cndmask_b32_e64 v5, v5, v7, s[0:1]
	v_and_b32_e32 v5, 1, v5
	v_cmp_eq_u32_e32 vcc, 1, v5
	v_cndmask_b32_e32 v3, v4, v3, vcc
	v_cndmask_b32_e32 v2, v2, v6, vcc
	v_cmp_ge_u32_e32 vcc, v2, v3
	s_or_b64 s[2:3], vcc, s[2:3]
	s_andn2_b64 exec, exec, s[2:3]
	s_cbranch_execnz .LBB2728_15
; %bb.16:
	s_or_b64 exec, exec, s[2:3]
.LBB2728_17:
	v_add_u32_e32 v2, v2, v0
	s_mov_b64 s[4:5], -1
.LBB2728_18:
	s_and_b64 exec, exec, s[4:5]
	s_cbranch_execz .LBB2728_20
; %bb.19:
	s_waitcnt vmcnt(0)
	global_store_byte v2, v1, s[10:11]
.LBB2728_20:
	s_endpgm
	.section	.rodata,"a",@progbits
	.p2align	6, 0x0
	.amdhsa_kernel _ZN7rocprim17ROCPRIM_400000_NS6detail17trampoline_kernelINS0_14default_configENS1_38merge_sort_block_merge_config_selectorIcNS0_10empty_typeEEEZZNS1_27merge_sort_block_merge_implIS3_N6thrust23THRUST_200600_302600_NS6detail15normal_iteratorINS9_10device_ptrIcEEEEPS5_m14custom_greaterIcEEE10hipError_tT0_T1_T2_jT3_P12ihipStream_tbPNSt15iterator_traitsISJ_E10value_typeEPNSP_ISK_E10value_typeEPSL_NS1_7vsmem_tEENKUlT_SJ_SK_SL_E_clIPcSE_SF_SF_EESI_SY_SJ_SK_SL_EUlSY_E1_NS1_11comp_targetILNS1_3genE4ELNS1_11target_archE910ELNS1_3gpuE8ELNS1_3repE0EEENS1_36merge_oddeven_config_static_selectorELNS0_4arch9wavefront6targetE1EEEvSK_
		.amdhsa_group_segment_fixed_size 0
		.amdhsa_private_segment_fixed_size 0
		.amdhsa_kernarg_size 56
		.amdhsa_user_sgpr_count 6
		.amdhsa_user_sgpr_private_segment_buffer 1
		.amdhsa_user_sgpr_dispatch_ptr 0
		.amdhsa_user_sgpr_queue_ptr 0
		.amdhsa_user_sgpr_kernarg_segment_ptr 1
		.amdhsa_user_sgpr_dispatch_id 0
		.amdhsa_user_sgpr_flat_scratch_init 0
		.amdhsa_user_sgpr_kernarg_preload_length 0
		.amdhsa_user_sgpr_kernarg_preload_offset 0
		.amdhsa_user_sgpr_private_segment_size 0
		.amdhsa_uses_dynamic_stack 0
		.amdhsa_system_sgpr_private_segment_wavefront_offset 0
		.amdhsa_system_sgpr_workgroup_id_x 1
		.amdhsa_system_sgpr_workgroup_id_y 0
		.amdhsa_system_sgpr_workgroup_id_z 0
		.amdhsa_system_sgpr_workgroup_info 0
		.amdhsa_system_vgpr_workitem_id 0
		.amdhsa_next_free_vgpr 8
		.amdhsa_next_free_sgpr 20
		.amdhsa_accum_offset 8
		.amdhsa_reserve_vcc 1
		.amdhsa_reserve_flat_scratch 0
		.amdhsa_float_round_mode_32 0
		.amdhsa_float_round_mode_16_64 0
		.amdhsa_float_denorm_mode_32 3
		.amdhsa_float_denorm_mode_16_64 3
		.amdhsa_dx10_clamp 1
		.amdhsa_ieee_mode 1
		.amdhsa_fp16_overflow 0
		.amdhsa_tg_split 0
		.amdhsa_exception_fp_ieee_invalid_op 0
		.amdhsa_exception_fp_denorm_src 0
		.amdhsa_exception_fp_ieee_div_zero 0
		.amdhsa_exception_fp_ieee_overflow 0
		.amdhsa_exception_fp_ieee_underflow 0
		.amdhsa_exception_fp_ieee_inexact 0
		.amdhsa_exception_int_div_zero 0
	.end_amdhsa_kernel
	.section	.text._ZN7rocprim17ROCPRIM_400000_NS6detail17trampoline_kernelINS0_14default_configENS1_38merge_sort_block_merge_config_selectorIcNS0_10empty_typeEEEZZNS1_27merge_sort_block_merge_implIS3_N6thrust23THRUST_200600_302600_NS6detail15normal_iteratorINS9_10device_ptrIcEEEEPS5_m14custom_greaterIcEEE10hipError_tT0_T1_T2_jT3_P12ihipStream_tbPNSt15iterator_traitsISJ_E10value_typeEPNSP_ISK_E10value_typeEPSL_NS1_7vsmem_tEENKUlT_SJ_SK_SL_E_clIPcSE_SF_SF_EESI_SY_SJ_SK_SL_EUlSY_E1_NS1_11comp_targetILNS1_3genE4ELNS1_11target_archE910ELNS1_3gpuE8ELNS1_3repE0EEENS1_36merge_oddeven_config_static_selectorELNS0_4arch9wavefront6targetE1EEEvSK_,"axG",@progbits,_ZN7rocprim17ROCPRIM_400000_NS6detail17trampoline_kernelINS0_14default_configENS1_38merge_sort_block_merge_config_selectorIcNS0_10empty_typeEEEZZNS1_27merge_sort_block_merge_implIS3_N6thrust23THRUST_200600_302600_NS6detail15normal_iteratorINS9_10device_ptrIcEEEEPS5_m14custom_greaterIcEEE10hipError_tT0_T1_T2_jT3_P12ihipStream_tbPNSt15iterator_traitsISJ_E10value_typeEPNSP_ISK_E10value_typeEPSL_NS1_7vsmem_tEENKUlT_SJ_SK_SL_E_clIPcSE_SF_SF_EESI_SY_SJ_SK_SL_EUlSY_E1_NS1_11comp_targetILNS1_3genE4ELNS1_11target_archE910ELNS1_3gpuE8ELNS1_3repE0EEENS1_36merge_oddeven_config_static_selectorELNS0_4arch9wavefront6targetE1EEEvSK_,comdat
.Lfunc_end2728:
	.size	_ZN7rocprim17ROCPRIM_400000_NS6detail17trampoline_kernelINS0_14default_configENS1_38merge_sort_block_merge_config_selectorIcNS0_10empty_typeEEEZZNS1_27merge_sort_block_merge_implIS3_N6thrust23THRUST_200600_302600_NS6detail15normal_iteratorINS9_10device_ptrIcEEEEPS5_m14custom_greaterIcEEE10hipError_tT0_T1_T2_jT3_P12ihipStream_tbPNSt15iterator_traitsISJ_E10value_typeEPNSP_ISK_E10value_typeEPSL_NS1_7vsmem_tEENKUlT_SJ_SK_SL_E_clIPcSE_SF_SF_EESI_SY_SJ_SK_SL_EUlSY_E1_NS1_11comp_targetILNS1_3genE4ELNS1_11target_archE910ELNS1_3gpuE8ELNS1_3repE0EEENS1_36merge_oddeven_config_static_selectorELNS0_4arch9wavefront6targetE1EEEvSK_, .Lfunc_end2728-_ZN7rocprim17ROCPRIM_400000_NS6detail17trampoline_kernelINS0_14default_configENS1_38merge_sort_block_merge_config_selectorIcNS0_10empty_typeEEEZZNS1_27merge_sort_block_merge_implIS3_N6thrust23THRUST_200600_302600_NS6detail15normal_iteratorINS9_10device_ptrIcEEEEPS5_m14custom_greaterIcEEE10hipError_tT0_T1_T2_jT3_P12ihipStream_tbPNSt15iterator_traitsISJ_E10value_typeEPNSP_ISK_E10value_typeEPSL_NS1_7vsmem_tEENKUlT_SJ_SK_SL_E_clIPcSE_SF_SF_EESI_SY_SJ_SK_SL_EUlSY_E1_NS1_11comp_targetILNS1_3genE4ELNS1_11target_archE910ELNS1_3gpuE8ELNS1_3repE0EEENS1_36merge_oddeven_config_static_selectorELNS0_4arch9wavefront6targetE1EEEvSK_
                                        ; -- End function
	.section	.AMDGPU.csdata,"",@progbits
; Kernel info:
; codeLenInByte = 504
; NumSgprs: 24
; NumVgprs: 8
; NumAgprs: 0
; TotalNumVgprs: 8
; ScratchSize: 0
; MemoryBound: 0
; FloatMode: 240
; IeeeMode: 1
; LDSByteSize: 0 bytes/workgroup (compile time only)
; SGPRBlocks: 2
; VGPRBlocks: 0
; NumSGPRsForWavesPerEU: 24
; NumVGPRsForWavesPerEU: 8
; AccumOffset: 8
; Occupancy: 8
; WaveLimiterHint : 0
; COMPUTE_PGM_RSRC2:SCRATCH_EN: 0
; COMPUTE_PGM_RSRC2:USER_SGPR: 6
; COMPUTE_PGM_RSRC2:TRAP_HANDLER: 0
; COMPUTE_PGM_RSRC2:TGID_X_EN: 1
; COMPUTE_PGM_RSRC2:TGID_Y_EN: 0
; COMPUTE_PGM_RSRC2:TGID_Z_EN: 0
; COMPUTE_PGM_RSRC2:TIDIG_COMP_CNT: 0
; COMPUTE_PGM_RSRC3_GFX90A:ACCUM_OFFSET: 1
; COMPUTE_PGM_RSRC3_GFX90A:TG_SPLIT: 0
	.section	.text._ZN7rocprim17ROCPRIM_400000_NS6detail17trampoline_kernelINS0_14default_configENS1_38merge_sort_block_merge_config_selectorIcNS0_10empty_typeEEEZZNS1_27merge_sort_block_merge_implIS3_N6thrust23THRUST_200600_302600_NS6detail15normal_iteratorINS9_10device_ptrIcEEEEPS5_m14custom_greaterIcEEE10hipError_tT0_T1_T2_jT3_P12ihipStream_tbPNSt15iterator_traitsISJ_E10value_typeEPNSP_ISK_E10value_typeEPSL_NS1_7vsmem_tEENKUlT_SJ_SK_SL_E_clIPcSE_SF_SF_EESI_SY_SJ_SK_SL_EUlSY_E1_NS1_11comp_targetILNS1_3genE3ELNS1_11target_archE908ELNS1_3gpuE7ELNS1_3repE0EEENS1_36merge_oddeven_config_static_selectorELNS0_4arch9wavefront6targetE1EEEvSK_,"axG",@progbits,_ZN7rocprim17ROCPRIM_400000_NS6detail17trampoline_kernelINS0_14default_configENS1_38merge_sort_block_merge_config_selectorIcNS0_10empty_typeEEEZZNS1_27merge_sort_block_merge_implIS3_N6thrust23THRUST_200600_302600_NS6detail15normal_iteratorINS9_10device_ptrIcEEEEPS5_m14custom_greaterIcEEE10hipError_tT0_T1_T2_jT3_P12ihipStream_tbPNSt15iterator_traitsISJ_E10value_typeEPNSP_ISK_E10value_typeEPSL_NS1_7vsmem_tEENKUlT_SJ_SK_SL_E_clIPcSE_SF_SF_EESI_SY_SJ_SK_SL_EUlSY_E1_NS1_11comp_targetILNS1_3genE3ELNS1_11target_archE908ELNS1_3gpuE7ELNS1_3repE0EEENS1_36merge_oddeven_config_static_selectorELNS0_4arch9wavefront6targetE1EEEvSK_,comdat
	.protected	_ZN7rocprim17ROCPRIM_400000_NS6detail17trampoline_kernelINS0_14default_configENS1_38merge_sort_block_merge_config_selectorIcNS0_10empty_typeEEEZZNS1_27merge_sort_block_merge_implIS3_N6thrust23THRUST_200600_302600_NS6detail15normal_iteratorINS9_10device_ptrIcEEEEPS5_m14custom_greaterIcEEE10hipError_tT0_T1_T2_jT3_P12ihipStream_tbPNSt15iterator_traitsISJ_E10value_typeEPNSP_ISK_E10value_typeEPSL_NS1_7vsmem_tEENKUlT_SJ_SK_SL_E_clIPcSE_SF_SF_EESI_SY_SJ_SK_SL_EUlSY_E1_NS1_11comp_targetILNS1_3genE3ELNS1_11target_archE908ELNS1_3gpuE7ELNS1_3repE0EEENS1_36merge_oddeven_config_static_selectorELNS0_4arch9wavefront6targetE1EEEvSK_ ; -- Begin function _ZN7rocprim17ROCPRIM_400000_NS6detail17trampoline_kernelINS0_14default_configENS1_38merge_sort_block_merge_config_selectorIcNS0_10empty_typeEEEZZNS1_27merge_sort_block_merge_implIS3_N6thrust23THRUST_200600_302600_NS6detail15normal_iteratorINS9_10device_ptrIcEEEEPS5_m14custom_greaterIcEEE10hipError_tT0_T1_T2_jT3_P12ihipStream_tbPNSt15iterator_traitsISJ_E10value_typeEPNSP_ISK_E10value_typeEPSL_NS1_7vsmem_tEENKUlT_SJ_SK_SL_E_clIPcSE_SF_SF_EESI_SY_SJ_SK_SL_EUlSY_E1_NS1_11comp_targetILNS1_3genE3ELNS1_11target_archE908ELNS1_3gpuE7ELNS1_3repE0EEENS1_36merge_oddeven_config_static_selectorELNS0_4arch9wavefront6targetE1EEEvSK_
	.globl	_ZN7rocprim17ROCPRIM_400000_NS6detail17trampoline_kernelINS0_14default_configENS1_38merge_sort_block_merge_config_selectorIcNS0_10empty_typeEEEZZNS1_27merge_sort_block_merge_implIS3_N6thrust23THRUST_200600_302600_NS6detail15normal_iteratorINS9_10device_ptrIcEEEEPS5_m14custom_greaterIcEEE10hipError_tT0_T1_T2_jT3_P12ihipStream_tbPNSt15iterator_traitsISJ_E10value_typeEPNSP_ISK_E10value_typeEPSL_NS1_7vsmem_tEENKUlT_SJ_SK_SL_E_clIPcSE_SF_SF_EESI_SY_SJ_SK_SL_EUlSY_E1_NS1_11comp_targetILNS1_3genE3ELNS1_11target_archE908ELNS1_3gpuE7ELNS1_3repE0EEENS1_36merge_oddeven_config_static_selectorELNS0_4arch9wavefront6targetE1EEEvSK_
	.p2align	8
	.type	_ZN7rocprim17ROCPRIM_400000_NS6detail17trampoline_kernelINS0_14default_configENS1_38merge_sort_block_merge_config_selectorIcNS0_10empty_typeEEEZZNS1_27merge_sort_block_merge_implIS3_N6thrust23THRUST_200600_302600_NS6detail15normal_iteratorINS9_10device_ptrIcEEEEPS5_m14custom_greaterIcEEE10hipError_tT0_T1_T2_jT3_P12ihipStream_tbPNSt15iterator_traitsISJ_E10value_typeEPNSP_ISK_E10value_typeEPSL_NS1_7vsmem_tEENKUlT_SJ_SK_SL_E_clIPcSE_SF_SF_EESI_SY_SJ_SK_SL_EUlSY_E1_NS1_11comp_targetILNS1_3genE3ELNS1_11target_archE908ELNS1_3gpuE7ELNS1_3repE0EEENS1_36merge_oddeven_config_static_selectorELNS0_4arch9wavefront6targetE1EEEvSK_,@function
_ZN7rocprim17ROCPRIM_400000_NS6detail17trampoline_kernelINS0_14default_configENS1_38merge_sort_block_merge_config_selectorIcNS0_10empty_typeEEEZZNS1_27merge_sort_block_merge_implIS3_N6thrust23THRUST_200600_302600_NS6detail15normal_iteratorINS9_10device_ptrIcEEEEPS5_m14custom_greaterIcEEE10hipError_tT0_T1_T2_jT3_P12ihipStream_tbPNSt15iterator_traitsISJ_E10value_typeEPNSP_ISK_E10value_typeEPSL_NS1_7vsmem_tEENKUlT_SJ_SK_SL_E_clIPcSE_SF_SF_EESI_SY_SJ_SK_SL_EUlSY_E1_NS1_11comp_targetILNS1_3genE3ELNS1_11target_archE908ELNS1_3gpuE7ELNS1_3repE0EEENS1_36merge_oddeven_config_static_selectorELNS0_4arch9wavefront6targetE1EEEvSK_: ; @_ZN7rocprim17ROCPRIM_400000_NS6detail17trampoline_kernelINS0_14default_configENS1_38merge_sort_block_merge_config_selectorIcNS0_10empty_typeEEEZZNS1_27merge_sort_block_merge_implIS3_N6thrust23THRUST_200600_302600_NS6detail15normal_iteratorINS9_10device_ptrIcEEEEPS5_m14custom_greaterIcEEE10hipError_tT0_T1_T2_jT3_P12ihipStream_tbPNSt15iterator_traitsISJ_E10value_typeEPNSP_ISK_E10value_typeEPSL_NS1_7vsmem_tEENKUlT_SJ_SK_SL_E_clIPcSE_SF_SF_EESI_SY_SJ_SK_SL_EUlSY_E1_NS1_11comp_targetILNS1_3genE3ELNS1_11target_archE908ELNS1_3gpuE7ELNS1_3repE0EEENS1_36merge_oddeven_config_static_selectorELNS0_4arch9wavefront6targetE1EEEvSK_
; %bb.0:
	.section	.rodata,"a",@progbits
	.p2align	6, 0x0
	.amdhsa_kernel _ZN7rocprim17ROCPRIM_400000_NS6detail17trampoline_kernelINS0_14default_configENS1_38merge_sort_block_merge_config_selectorIcNS0_10empty_typeEEEZZNS1_27merge_sort_block_merge_implIS3_N6thrust23THRUST_200600_302600_NS6detail15normal_iteratorINS9_10device_ptrIcEEEEPS5_m14custom_greaterIcEEE10hipError_tT0_T1_T2_jT3_P12ihipStream_tbPNSt15iterator_traitsISJ_E10value_typeEPNSP_ISK_E10value_typeEPSL_NS1_7vsmem_tEENKUlT_SJ_SK_SL_E_clIPcSE_SF_SF_EESI_SY_SJ_SK_SL_EUlSY_E1_NS1_11comp_targetILNS1_3genE3ELNS1_11target_archE908ELNS1_3gpuE7ELNS1_3repE0EEENS1_36merge_oddeven_config_static_selectorELNS0_4arch9wavefront6targetE1EEEvSK_
		.amdhsa_group_segment_fixed_size 0
		.amdhsa_private_segment_fixed_size 0
		.amdhsa_kernarg_size 56
		.amdhsa_user_sgpr_count 6
		.amdhsa_user_sgpr_private_segment_buffer 1
		.amdhsa_user_sgpr_dispatch_ptr 0
		.amdhsa_user_sgpr_queue_ptr 0
		.amdhsa_user_sgpr_kernarg_segment_ptr 1
		.amdhsa_user_sgpr_dispatch_id 0
		.amdhsa_user_sgpr_flat_scratch_init 0
		.amdhsa_user_sgpr_kernarg_preload_length 0
		.amdhsa_user_sgpr_kernarg_preload_offset 0
		.amdhsa_user_sgpr_private_segment_size 0
		.amdhsa_uses_dynamic_stack 0
		.amdhsa_system_sgpr_private_segment_wavefront_offset 0
		.amdhsa_system_sgpr_workgroup_id_x 1
		.amdhsa_system_sgpr_workgroup_id_y 0
		.amdhsa_system_sgpr_workgroup_id_z 0
		.amdhsa_system_sgpr_workgroup_info 0
		.amdhsa_system_vgpr_workitem_id 0
		.amdhsa_next_free_vgpr 1
		.amdhsa_next_free_sgpr 0
		.amdhsa_accum_offset 4
		.amdhsa_reserve_vcc 0
		.amdhsa_reserve_flat_scratch 0
		.amdhsa_float_round_mode_32 0
		.amdhsa_float_round_mode_16_64 0
		.amdhsa_float_denorm_mode_32 3
		.amdhsa_float_denorm_mode_16_64 3
		.amdhsa_dx10_clamp 1
		.amdhsa_ieee_mode 1
		.amdhsa_fp16_overflow 0
		.amdhsa_tg_split 0
		.amdhsa_exception_fp_ieee_invalid_op 0
		.amdhsa_exception_fp_denorm_src 0
		.amdhsa_exception_fp_ieee_div_zero 0
		.amdhsa_exception_fp_ieee_overflow 0
		.amdhsa_exception_fp_ieee_underflow 0
		.amdhsa_exception_fp_ieee_inexact 0
		.amdhsa_exception_int_div_zero 0
	.end_amdhsa_kernel
	.section	.text._ZN7rocprim17ROCPRIM_400000_NS6detail17trampoline_kernelINS0_14default_configENS1_38merge_sort_block_merge_config_selectorIcNS0_10empty_typeEEEZZNS1_27merge_sort_block_merge_implIS3_N6thrust23THRUST_200600_302600_NS6detail15normal_iteratorINS9_10device_ptrIcEEEEPS5_m14custom_greaterIcEEE10hipError_tT0_T1_T2_jT3_P12ihipStream_tbPNSt15iterator_traitsISJ_E10value_typeEPNSP_ISK_E10value_typeEPSL_NS1_7vsmem_tEENKUlT_SJ_SK_SL_E_clIPcSE_SF_SF_EESI_SY_SJ_SK_SL_EUlSY_E1_NS1_11comp_targetILNS1_3genE3ELNS1_11target_archE908ELNS1_3gpuE7ELNS1_3repE0EEENS1_36merge_oddeven_config_static_selectorELNS0_4arch9wavefront6targetE1EEEvSK_,"axG",@progbits,_ZN7rocprim17ROCPRIM_400000_NS6detail17trampoline_kernelINS0_14default_configENS1_38merge_sort_block_merge_config_selectorIcNS0_10empty_typeEEEZZNS1_27merge_sort_block_merge_implIS3_N6thrust23THRUST_200600_302600_NS6detail15normal_iteratorINS9_10device_ptrIcEEEEPS5_m14custom_greaterIcEEE10hipError_tT0_T1_T2_jT3_P12ihipStream_tbPNSt15iterator_traitsISJ_E10value_typeEPNSP_ISK_E10value_typeEPSL_NS1_7vsmem_tEENKUlT_SJ_SK_SL_E_clIPcSE_SF_SF_EESI_SY_SJ_SK_SL_EUlSY_E1_NS1_11comp_targetILNS1_3genE3ELNS1_11target_archE908ELNS1_3gpuE7ELNS1_3repE0EEENS1_36merge_oddeven_config_static_selectorELNS0_4arch9wavefront6targetE1EEEvSK_,comdat
.Lfunc_end2729:
	.size	_ZN7rocprim17ROCPRIM_400000_NS6detail17trampoline_kernelINS0_14default_configENS1_38merge_sort_block_merge_config_selectorIcNS0_10empty_typeEEEZZNS1_27merge_sort_block_merge_implIS3_N6thrust23THRUST_200600_302600_NS6detail15normal_iteratorINS9_10device_ptrIcEEEEPS5_m14custom_greaterIcEEE10hipError_tT0_T1_T2_jT3_P12ihipStream_tbPNSt15iterator_traitsISJ_E10value_typeEPNSP_ISK_E10value_typeEPSL_NS1_7vsmem_tEENKUlT_SJ_SK_SL_E_clIPcSE_SF_SF_EESI_SY_SJ_SK_SL_EUlSY_E1_NS1_11comp_targetILNS1_3genE3ELNS1_11target_archE908ELNS1_3gpuE7ELNS1_3repE0EEENS1_36merge_oddeven_config_static_selectorELNS0_4arch9wavefront6targetE1EEEvSK_, .Lfunc_end2729-_ZN7rocprim17ROCPRIM_400000_NS6detail17trampoline_kernelINS0_14default_configENS1_38merge_sort_block_merge_config_selectorIcNS0_10empty_typeEEEZZNS1_27merge_sort_block_merge_implIS3_N6thrust23THRUST_200600_302600_NS6detail15normal_iteratorINS9_10device_ptrIcEEEEPS5_m14custom_greaterIcEEE10hipError_tT0_T1_T2_jT3_P12ihipStream_tbPNSt15iterator_traitsISJ_E10value_typeEPNSP_ISK_E10value_typeEPSL_NS1_7vsmem_tEENKUlT_SJ_SK_SL_E_clIPcSE_SF_SF_EESI_SY_SJ_SK_SL_EUlSY_E1_NS1_11comp_targetILNS1_3genE3ELNS1_11target_archE908ELNS1_3gpuE7ELNS1_3repE0EEENS1_36merge_oddeven_config_static_selectorELNS0_4arch9wavefront6targetE1EEEvSK_
                                        ; -- End function
	.section	.AMDGPU.csdata,"",@progbits
; Kernel info:
; codeLenInByte = 0
; NumSgprs: 4
; NumVgprs: 0
; NumAgprs: 0
; TotalNumVgprs: 0
; ScratchSize: 0
; MemoryBound: 0
; FloatMode: 240
; IeeeMode: 1
; LDSByteSize: 0 bytes/workgroup (compile time only)
; SGPRBlocks: 0
; VGPRBlocks: 0
; NumSGPRsForWavesPerEU: 4
; NumVGPRsForWavesPerEU: 1
; AccumOffset: 4
; Occupancy: 8
; WaveLimiterHint : 0
; COMPUTE_PGM_RSRC2:SCRATCH_EN: 0
; COMPUTE_PGM_RSRC2:USER_SGPR: 6
; COMPUTE_PGM_RSRC2:TRAP_HANDLER: 0
; COMPUTE_PGM_RSRC2:TGID_X_EN: 1
; COMPUTE_PGM_RSRC2:TGID_Y_EN: 0
; COMPUTE_PGM_RSRC2:TGID_Z_EN: 0
; COMPUTE_PGM_RSRC2:TIDIG_COMP_CNT: 0
; COMPUTE_PGM_RSRC3_GFX90A:ACCUM_OFFSET: 0
; COMPUTE_PGM_RSRC3_GFX90A:TG_SPLIT: 0
	.section	.text._ZN7rocprim17ROCPRIM_400000_NS6detail17trampoline_kernelINS0_14default_configENS1_38merge_sort_block_merge_config_selectorIcNS0_10empty_typeEEEZZNS1_27merge_sort_block_merge_implIS3_N6thrust23THRUST_200600_302600_NS6detail15normal_iteratorINS9_10device_ptrIcEEEEPS5_m14custom_greaterIcEEE10hipError_tT0_T1_T2_jT3_P12ihipStream_tbPNSt15iterator_traitsISJ_E10value_typeEPNSP_ISK_E10value_typeEPSL_NS1_7vsmem_tEENKUlT_SJ_SK_SL_E_clIPcSE_SF_SF_EESI_SY_SJ_SK_SL_EUlSY_E1_NS1_11comp_targetILNS1_3genE2ELNS1_11target_archE906ELNS1_3gpuE6ELNS1_3repE0EEENS1_36merge_oddeven_config_static_selectorELNS0_4arch9wavefront6targetE1EEEvSK_,"axG",@progbits,_ZN7rocprim17ROCPRIM_400000_NS6detail17trampoline_kernelINS0_14default_configENS1_38merge_sort_block_merge_config_selectorIcNS0_10empty_typeEEEZZNS1_27merge_sort_block_merge_implIS3_N6thrust23THRUST_200600_302600_NS6detail15normal_iteratorINS9_10device_ptrIcEEEEPS5_m14custom_greaterIcEEE10hipError_tT0_T1_T2_jT3_P12ihipStream_tbPNSt15iterator_traitsISJ_E10value_typeEPNSP_ISK_E10value_typeEPSL_NS1_7vsmem_tEENKUlT_SJ_SK_SL_E_clIPcSE_SF_SF_EESI_SY_SJ_SK_SL_EUlSY_E1_NS1_11comp_targetILNS1_3genE2ELNS1_11target_archE906ELNS1_3gpuE6ELNS1_3repE0EEENS1_36merge_oddeven_config_static_selectorELNS0_4arch9wavefront6targetE1EEEvSK_,comdat
	.protected	_ZN7rocprim17ROCPRIM_400000_NS6detail17trampoline_kernelINS0_14default_configENS1_38merge_sort_block_merge_config_selectorIcNS0_10empty_typeEEEZZNS1_27merge_sort_block_merge_implIS3_N6thrust23THRUST_200600_302600_NS6detail15normal_iteratorINS9_10device_ptrIcEEEEPS5_m14custom_greaterIcEEE10hipError_tT0_T1_T2_jT3_P12ihipStream_tbPNSt15iterator_traitsISJ_E10value_typeEPNSP_ISK_E10value_typeEPSL_NS1_7vsmem_tEENKUlT_SJ_SK_SL_E_clIPcSE_SF_SF_EESI_SY_SJ_SK_SL_EUlSY_E1_NS1_11comp_targetILNS1_3genE2ELNS1_11target_archE906ELNS1_3gpuE6ELNS1_3repE0EEENS1_36merge_oddeven_config_static_selectorELNS0_4arch9wavefront6targetE1EEEvSK_ ; -- Begin function _ZN7rocprim17ROCPRIM_400000_NS6detail17trampoline_kernelINS0_14default_configENS1_38merge_sort_block_merge_config_selectorIcNS0_10empty_typeEEEZZNS1_27merge_sort_block_merge_implIS3_N6thrust23THRUST_200600_302600_NS6detail15normal_iteratorINS9_10device_ptrIcEEEEPS5_m14custom_greaterIcEEE10hipError_tT0_T1_T2_jT3_P12ihipStream_tbPNSt15iterator_traitsISJ_E10value_typeEPNSP_ISK_E10value_typeEPSL_NS1_7vsmem_tEENKUlT_SJ_SK_SL_E_clIPcSE_SF_SF_EESI_SY_SJ_SK_SL_EUlSY_E1_NS1_11comp_targetILNS1_3genE2ELNS1_11target_archE906ELNS1_3gpuE6ELNS1_3repE0EEENS1_36merge_oddeven_config_static_selectorELNS0_4arch9wavefront6targetE1EEEvSK_
	.globl	_ZN7rocprim17ROCPRIM_400000_NS6detail17trampoline_kernelINS0_14default_configENS1_38merge_sort_block_merge_config_selectorIcNS0_10empty_typeEEEZZNS1_27merge_sort_block_merge_implIS3_N6thrust23THRUST_200600_302600_NS6detail15normal_iteratorINS9_10device_ptrIcEEEEPS5_m14custom_greaterIcEEE10hipError_tT0_T1_T2_jT3_P12ihipStream_tbPNSt15iterator_traitsISJ_E10value_typeEPNSP_ISK_E10value_typeEPSL_NS1_7vsmem_tEENKUlT_SJ_SK_SL_E_clIPcSE_SF_SF_EESI_SY_SJ_SK_SL_EUlSY_E1_NS1_11comp_targetILNS1_3genE2ELNS1_11target_archE906ELNS1_3gpuE6ELNS1_3repE0EEENS1_36merge_oddeven_config_static_selectorELNS0_4arch9wavefront6targetE1EEEvSK_
	.p2align	8
	.type	_ZN7rocprim17ROCPRIM_400000_NS6detail17trampoline_kernelINS0_14default_configENS1_38merge_sort_block_merge_config_selectorIcNS0_10empty_typeEEEZZNS1_27merge_sort_block_merge_implIS3_N6thrust23THRUST_200600_302600_NS6detail15normal_iteratorINS9_10device_ptrIcEEEEPS5_m14custom_greaterIcEEE10hipError_tT0_T1_T2_jT3_P12ihipStream_tbPNSt15iterator_traitsISJ_E10value_typeEPNSP_ISK_E10value_typeEPSL_NS1_7vsmem_tEENKUlT_SJ_SK_SL_E_clIPcSE_SF_SF_EESI_SY_SJ_SK_SL_EUlSY_E1_NS1_11comp_targetILNS1_3genE2ELNS1_11target_archE906ELNS1_3gpuE6ELNS1_3repE0EEENS1_36merge_oddeven_config_static_selectorELNS0_4arch9wavefront6targetE1EEEvSK_,@function
_ZN7rocprim17ROCPRIM_400000_NS6detail17trampoline_kernelINS0_14default_configENS1_38merge_sort_block_merge_config_selectorIcNS0_10empty_typeEEEZZNS1_27merge_sort_block_merge_implIS3_N6thrust23THRUST_200600_302600_NS6detail15normal_iteratorINS9_10device_ptrIcEEEEPS5_m14custom_greaterIcEEE10hipError_tT0_T1_T2_jT3_P12ihipStream_tbPNSt15iterator_traitsISJ_E10value_typeEPNSP_ISK_E10value_typeEPSL_NS1_7vsmem_tEENKUlT_SJ_SK_SL_E_clIPcSE_SF_SF_EESI_SY_SJ_SK_SL_EUlSY_E1_NS1_11comp_targetILNS1_3genE2ELNS1_11target_archE906ELNS1_3gpuE6ELNS1_3repE0EEENS1_36merge_oddeven_config_static_selectorELNS0_4arch9wavefront6targetE1EEEvSK_: ; @_ZN7rocprim17ROCPRIM_400000_NS6detail17trampoline_kernelINS0_14default_configENS1_38merge_sort_block_merge_config_selectorIcNS0_10empty_typeEEEZZNS1_27merge_sort_block_merge_implIS3_N6thrust23THRUST_200600_302600_NS6detail15normal_iteratorINS9_10device_ptrIcEEEEPS5_m14custom_greaterIcEEE10hipError_tT0_T1_T2_jT3_P12ihipStream_tbPNSt15iterator_traitsISJ_E10value_typeEPNSP_ISK_E10value_typeEPSL_NS1_7vsmem_tEENKUlT_SJ_SK_SL_E_clIPcSE_SF_SF_EESI_SY_SJ_SK_SL_EUlSY_E1_NS1_11comp_targetILNS1_3genE2ELNS1_11target_archE906ELNS1_3gpuE6ELNS1_3repE0EEENS1_36merge_oddeven_config_static_selectorELNS0_4arch9wavefront6targetE1EEEvSK_
; %bb.0:
	.section	.rodata,"a",@progbits
	.p2align	6, 0x0
	.amdhsa_kernel _ZN7rocprim17ROCPRIM_400000_NS6detail17trampoline_kernelINS0_14default_configENS1_38merge_sort_block_merge_config_selectorIcNS0_10empty_typeEEEZZNS1_27merge_sort_block_merge_implIS3_N6thrust23THRUST_200600_302600_NS6detail15normal_iteratorINS9_10device_ptrIcEEEEPS5_m14custom_greaterIcEEE10hipError_tT0_T1_T2_jT3_P12ihipStream_tbPNSt15iterator_traitsISJ_E10value_typeEPNSP_ISK_E10value_typeEPSL_NS1_7vsmem_tEENKUlT_SJ_SK_SL_E_clIPcSE_SF_SF_EESI_SY_SJ_SK_SL_EUlSY_E1_NS1_11comp_targetILNS1_3genE2ELNS1_11target_archE906ELNS1_3gpuE6ELNS1_3repE0EEENS1_36merge_oddeven_config_static_selectorELNS0_4arch9wavefront6targetE1EEEvSK_
		.amdhsa_group_segment_fixed_size 0
		.amdhsa_private_segment_fixed_size 0
		.amdhsa_kernarg_size 56
		.amdhsa_user_sgpr_count 6
		.amdhsa_user_sgpr_private_segment_buffer 1
		.amdhsa_user_sgpr_dispatch_ptr 0
		.amdhsa_user_sgpr_queue_ptr 0
		.amdhsa_user_sgpr_kernarg_segment_ptr 1
		.amdhsa_user_sgpr_dispatch_id 0
		.amdhsa_user_sgpr_flat_scratch_init 0
		.amdhsa_user_sgpr_kernarg_preload_length 0
		.amdhsa_user_sgpr_kernarg_preload_offset 0
		.amdhsa_user_sgpr_private_segment_size 0
		.amdhsa_uses_dynamic_stack 0
		.amdhsa_system_sgpr_private_segment_wavefront_offset 0
		.amdhsa_system_sgpr_workgroup_id_x 1
		.amdhsa_system_sgpr_workgroup_id_y 0
		.amdhsa_system_sgpr_workgroup_id_z 0
		.amdhsa_system_sgpr_workgroup_info 0
		.amdhsa_system_vgpr_workitem_id 0
		.amdhsa_next_free_vgpr 1
		.amdhsa_next_free_sgpr 0
		.amdhsa_accum_offset 4
		.amdhsa_reserve_vcc 0
		.amdhsa_reserve_flat_scratch 0
		.amdhsa_float_round_mode_32 0
		.amdhsa_float_round_mode_16_64 0
		.amdhsa_float_denorm_mode_32 3
		.amdhsa_float_denorm_mode_16_64 3
		.amdhsa_dx10_clamp 1
		.amdhsa_ieee_mode 1
		.amdhsa_fp16_overflow 0
		.amdhsa_tg_split 0
		.amdhsa_exception_fp_ieee_invalid_op 0
		.amdhsa_exception_fp_denorm_src 0
		.amdhsa_exception_fp_ieee_div_zero 0
		.amdhsa_exception_fp_ieee_overflow 0
		.amdhsa_exception_fp_ieee_underflow 0
		.amdhsa_exception_fp_ieee_inexact 0
		.amdhsa_exception_int_div_zero 0
	.end_amdhsa_kernel
	.section	.text._ZN7rocprim17ROCPRIM_400000_NS6detail17trampoline_kernelINS0_14default_configENS1_38merge_sort_block_merge_config_selectorIcNS0_10empty_typeEEEZZNS1_27merge_sort_block_merge_implIS3_N6thrust23THRUST_200600_302600_NS6detail15normal_iteratorINS9_10device_ptrIcEEEEPS5_m14custom_greaterIcEEE10hipError_tT0_T1_T2_jT3_P12ihipStream_tbPNSt15iterator_traitsISJ_E10value_typeEPNSP_ISK_E10value_typeEPSL_NS1_7vsmem_tEENKUlT_SJ_SK_SL_E_clIPcSE_SF_SF_EESI_SY_SJ_SK_SL_EUlSY_E1_NS1_11comp_targetILNS1_3genE2ELNS1_11target_archE906ELNS1_3gpuE6ELNS1_3repE0EEENS1_36merge_oddeven_config_static_selectorELNS0_4arch9wavefront6targetE1EEEvSK_,"axG",@progbits,_ZN7rocprim17ROCPRIM_400000_NS6detail17trampoline_kernelINS0_14default_configENS1_38merge_sort_block_merge_config_selectorIcNS0_10empty_typeEEEZZNS1_27merge_sort_block_merge_implIS3_N6thrust23THRUST_200600_302600_NS6detail15normal_iteratorINS9_10device_ptrIcEEEEPS5_m14custom_greaterIcEEE10hipError_tT0_T1_T2_jT3_P12ihipStream_tbPNSt15iterator_traitsISJ_E10value_typeEPNSP_ISK_E10value_typeEPSL_NS1_7vsmem_tEENKUlT_SJ_SK_SL_E_clIPcSE_SF_SF_EESI_SY_SJ_SK_SL_EUlSY_E1_NS1_11comp_targetILNS1_3genE2ELNS1_11target_archE906ELNS1_3gpuE6ELNS1_3repE0EEENS1_36merge_oddeven_config_static_selectorELNS0_4arch9wavefront6targetE1EEEvSK_,comdat
.Lfunc_end2730:
	.size	_ZN7rocprim17ROCPRIM_400000_NS6detail17trampoline_kernelINS0_14default_configENS1_38merge_sort_block_merge_config_selectorIcNS0_10empty_typeEEEZZNS1_27merge_sort_block_merge_implIS3_N6thrust23THRUST_200600_302600_NS6detail15normal_iteratorINS9_10device_ptrIcEEEEPS5_m14custom_greaterIcEEE10hipError_tT0_T1_T2_jT3_P12ihipStream_tbPNSt15iterator_traitsISJ_E10value_typeEPNSP_ISK_E10value_typeEPSL_NS1_7vsmem_tEENKUlT_SJ_SK_SL_E_clIPcSE_SF_SF_EESI_SY_SJ_SK_SL_EUlSY_E1_NS1_11comp_targetILNS1_3genE2ELNS1_11target_archE906ELNS1_3gpuE6ELNS1_3repE0EEENS1_36merge_oddeven_config_static_selectorELNS0_4arch9wavefront6targetE1EEEvSK_, .Lfunc_end2730-_ZN7rocprim17ROCPRIM_400000_NS6detail17trampoline_kernelINS0_14default_configENS1_38merge_sort_block_merge_config_selectorIcNS0_10empty_typeEEEZZNS1_27merge_sort_block_merge_implIS3_N6thrust23THRUST_200600_302600_NS6detail15normal_iteratorINS9_10device_ptrIcEEEEPS5_m14custom_greaterIcEEE10hipError_tT0_T1_T2_jT3_P12ihipStream_tbPNSt15iterator_traitsISJ_E10value_typeEPNSP_ISK_E10value_typeEPSL_NS1_7vsmem_tEENKUlT_SJ_SK_SL_E_clIPcSE_SF_SF_EESI_SY_SJ_SK_SL_EUlSY_E1_NS1_11comp_targetILNS1_3genE2ELNS1_11target_archE906ELNS1_3gpuE6ELNS1_3repE0EEENS1_36merge_oddeven_config_static_selectorELNS0_4arch9wavefront6targetE1EEEvSK_
                                        ; -- End function
	.section	.AMDGPU.csdata,"",@progbits
; Kernel info:
; codeLenInByte = 0
; NumSgprs: 4
; NumVgprs: 0
; NumAgprs: 0
; TotalNumVgprs: 0
; ScratchSize: 0
; MemoryBound: 0
; FloatMode: 240
; IeeeMode: 1
; LDSByteSize: 0 bytes/workgroup (compile time only)
; SGPRBlocks: 0
; VGPRBlocks: 0
; NumSGPRsForWavesPerEU: 4
; NumVGPRsForWavesPerEU: 1
; AccumOffset: 4
; Occupancy: 8
; WaveLimiterHint : 0
; COMPUTE_PGM_RSRC2:SCRATCH_EN: 0
; COMPUTE_PGM_RSRC2:USER_SGPR: 6
; COMPUTE_PGM_RSRC2:TRAP_HANDLER: 0
; COMPUTE_PGM_RSRC2:TGID_X_EN: 1
; COMPUTE_PGM_RSRC2:TGID_Y_EN: 0
; COMPUTE_PGM_RSRC2:TGID_Z_EN: 0
; COMPUTE_PGM_RSRC2:TIDIG_COMP_CNT: 0
; COMPUTE_PGM_RSRC3_GFX90A:ACCUM_OFFSET: 0
; COMPUTE_PGM_RSRC3_GFX90A:TG_SPLIT: 0
	.section	.text._ZN7rocprim17ROCPRIM_400000_NS6detail17trampoline_kernelINS0_14default_configENS1_38merge_sort_block_merge_config_selectorIcNS0_10empty_typeEEEZZNS1_27merge_sort_block_merge_implIS3_N6thrust23THRUST_200600_302600_NS6detail15normal_iteratorINS9_10device_ptrIcEEEEPS5_m14custom_greaterIcEEE10hipError_tT0_T1_T2_jT3_P12ihipStream_tbPNSt15iterator_traitsISJ_E10value_typeEPNSP_ISK_E10value_typeEPSL_NS1_7vsmem_tEENKUlT_SJ_SK_SL_E_clIPcSE_SF_SF_EESI_SY_SJ_SK_SL_EUlSY_E1_NS1_11comp_targetILNS1_3genE9ELNS1_11target_archE1100ELNS1_3gpuE3ELNS1_3repE0EEENS1_36merge_oddeven_config_static_selectorELNS0_4arch9wavefront6targetE1EEEvSK_,"axG",@progbits,_ZN7rocprim17ROCPRIM_400000_NS6detail17trampoline_kernelINS0_14default_configENS1_38merge_sort_block_merge_config_selectorIcNS0_10empty_typeEEEZZNS1_27merge_sort_block_merge_implIS3_N6thrust23THRUST_200600_302600_NS6detail15normal_iteratorINS9_10device_ptrIcEEEEPS5_m14custom_greaterIcEEE10hipError_tT0_T1_T2_jT3_P12ihipStream_tbPNSt15iterator_traitsISJ_E10value_typeEPNSP_ISK_E10value_typeEPSL_NS1_7vsmem_tEENKUlT_SJ_SK_SL_E_clIPcSE_SF_SF_EESI_SY_SJ_SK_SL_EUlSY_E1_NS1_11comp_targetILNS1_3genE9ELNS1_11target_archE1100ELNS1_3gpuE3ELNS1_3repE0EEENS1_36merge_oddeven_config_static_selectorELNS0_4arch9wavefront6targetE1EEEvSK_,comdat
	.protected	_ZN7rocprim17ROCPRIM_400000_NS6detail17trampoline_kernelINS0_14default_configENS1_38merge_sort_block_merge_config_selectorIcNS0_10empty_typeEEEZZNS1_27merge_sort_block_merge_implIS3_N6thrust23THRUST_200600_302600_NS6detail15normal_iteratorINS9_10device_ptrIcEEEEPS5_m14custom_greaterIcEEE10hipError_tT0_T1_T2_jT3_P12ihipStream_tbPNSt15iterator_traitsISJ_E10value_typeEPNSP_ISK_E10value_typeEPSL_NS1_7vsmem_tEENKUlT_SJ_SK_SL_E_clIPcSE_SF_SF_EESI_SY_SJ_SK_SL_EUlSY_E1_NS1_11comp_targetILNS1_3genE9ELNS1_11target_archE1100ELNS1_3gpuE3ELNS1_3repE0EEENS1_36merge_oddeven_config_static_selectorELNS0_4arch9wavefront6targetE1EEEvSK_ ; -- Begin function _ZN7rocprim17ROCPRIM_400000_NS6detail17trampoline_kernelINS0_14default_configENS1_38merge_sort_block_merge_config_selectorIcNS0_10empty_typeEEEZZNS1_27merge_sort_block_merge_implIS3_N6thrust23THRUST_200600_302600_NS6detail15normal_iteratorINS9_10device_ptrIcEEEEPS5_m14custom_greaterIcEEE10hipError_tT0_T1_T2_jT3_P12ihipStream_tbPNSt15iterator_traitsISJ_E10value_typeEPNSP_ISK_E10value_typeEPSL_NS1_7vsmem_tEENKUlT_SJ_SK_SL_E_clIPcSE_SF_SF_EESI_SY_SJ_SK_SL_EUlSY_E1_NS1_11comp_targetILNS1_3genE9ELNS1_11target_archE1100ELNS1_3gpuE3ELNS1_3repE0EEENS1_36merge_oddeven_config_static_selectorELNS0_4arch9wavefront6targetE1EEEvSK_
	.globl	_ZN7rocprim17ROCPRIM_400000_NS6detail17trampoline_kernelINS0_14default_configENS1_38merge_sort_block_merge_config_selectorIcNS0_10empty_typeEEEZZNS1_27merge_sort_block_merge_implIS3_N6thrust23THRUST_200600_302600_NS6detail15normal_iteratorINS9_10device_ptrIcEEEEPS5_m14custom_greaterIcEEE10hipError_tT0_T1_T2_jT3_P12ihipStream_tbPNSt15iterator_traitsISJ_E10value_typeEPNSP_ISK_E10value_typeEPSL_NS1_7vsmem_tEENKUlT_SJ_SK_SL_E_clIPcSE_SF_SF_EESI_SY_SJ_SK_SL_EUlSY_E1_NS1_11comp_targetILNS1_3genE9ELNS1_11target_archE1100ELNS1_3gpuE3ELNS1_3repE0EEENS1_36merge_oddeven_config_static_selectorELNS0_4arch9wavefront6targetE1EEEvSK_
	.p2align	8
	.type	_ZN7rocprim17ROCPRIM_400000_NS6detail17trampoline_kernelINS0_14default_configENS1_38merge_sort_block_merge_config_selectorIcNS0_10empty_typeEEEZZNS1_27merge_sort_block_merge_implIS3_N6thrust23THRUST_200600_302600_NS6detail15normal_iteratorINS9_10device_ptrIcEEEEPS5_m14custom_greaterIcEEE10hipError_tT0_T1_T2_jT3_P12ihipStream_tbPNSt15iterator_traitsISJ_E10value_typeEPNSP_ISK_E10value_typeEPSL_NS1_7vsmem_tEENKUlT_SJ_SK_SL_E_clIPcSE_SF_SF_EESI_SY_SJ_SK_SL_EUlSY_E1_NS1_11comp_targetILNS1_3genE9ELNS1_11target_archE1100ELNS1_3gpuE3ELNS1_3repE0EEENS1_36merge_oddeven_config_static_selectorELNS0_4arch9wavefront6targetE1EEEvSK_,@function
_ZN7rocprim17ROCPRIM_400000_NS6detail17trampoline_kernelINS0_14default_configENS1_38merge_sort_block_merge_config_selectorIcNS0_10empty_typeEEEZZNS1_27merge_sort_block_merge_implIS3_N6thrust23THRUST_200600_302600_NS6detail15normal_iteratorINS9_10device_ptrIcEEEEPS5_m14custom_greaterIcEEE10hipError_tT0_T1_T2_jT3_P12ihipStream_tbPNSt15iterator_traitsISJ_E10value_typeEPNSP_ISK_E10value_typeEPSL_NS1_7vsmem_tEENKUlT_SJ_SK_SL_E_clIPcSE_SF_SF_EESI_SY_SJ_SK_SL_EUlSY_E1_NS1_11comp_targetILNS1_3genE9ELNS1_11target_archE1100ELNS1_3gpuE3ELNS1_3repE0EEENS1_36merge_oddeven_config_static_selectorELNS0_4arch9wavefront6targetE1EEEvSK_: ; @_ZN7rocprim17ROCPRIM_400000_NS6detail17trampoline_kernelINS0_14default_configENS1_38merge_sort_block_merge_config_selectorIcNS0_10empty_typeEEEZZNS1_27merge_sort_block_merge_implIS3_N6thrust23THRUST_200600_302600_NS6detail15normal_iteratorINS9_10device_ptrIcEEEEPS5_m14custom_greaterIcEEE10hipError_tT0_T1_T2_jT3_P12ihipStream_tbPNSt15iterator_traitsISJ_E10value_typeEPNSP_ISK_E10value_typeEPSL_NS1_7vsmem_tEENKUlT_SJ_SK_SL_E_clIPcSE_SF_SF_EESI_SY_SJ_SK_SL_EUlSY_E1_NS1_11comp_targetILNS1_3genE9ELNS1_11target_archE1100ELNS1_3gpuE3ELNS1_3repE0EEENS1_36merge_oddeven_config_static_selectorELNS0_4arch9wavefront6targetE1EEEvSK_
; %bb.0:
	.section	.rodata,"a",@progbits
	.p2align	6, 0x0
	.amdhsa_kernel _ZN7rocprim17ROCPRIM_400000_NS6detail17trampoline_kernelINS0_14default_configENS1_38merge_sort_block_merge_config_selectorIcNS0_10empty_typeEEEZZNS1_27merge_sort_block_merge_implIS3_N6thrust23THRUST_200600_302600_NS6detail15normal_iteratorINS9_10device_ptrIcEEEEPS5_m14custom_greaterIcEEE10hipError_tT0_T1_T2_jT3_P12ihipStream_tbPNSt15iterator_traitsISJ_E10value_typeEPNSP_ISK_E10value_typeEPSL_NS1_7vsmem_tEENKUlT_SJ_SK_SL_E_clIPcSE_SF_SF_EESI_SY_SJ_SK_SL_EUlSY_E1_NS1_11comp_targetILNS1_3genE9ELNS1_11target_archE1100ELNS1_3gpuE3ELNS1_3repE0EEENS1_36merge_oddeven_config_static_selectorELNS0_4arch9wavefront6targetE1EEEvSK_
		.amdhsa_group_segment_fixed_size 0
		.amdhsa_private_segment_fixed_size 0
		.amdhsa_kernarg_size 56
		.amdhsa_user_sgpr_count 6
		.amdhsa_user_sgpr_private_segment_buffer 1
		.amdhsa_user_sgpr_dispatch_ptr 0
		.amdhsa_user_sgpr_queue_ptr 0
		.amdhsa_user_sgpr_kernarg_segment_ptr 1
		.amdhsa_user_sgpr_dispatch_id 0
		.amdhsa_user_sgpr_flat_scratch_init 0
		.amdhsa_user_sgpr_kernarg_preload_length 0
		.amdhsa_user_sgpr_kernarg_preload_offset 0
		.amdhsa_user_sgpr_private_segment_size 0
		.amdhsa_uses_dynamic_stack 0
		.amdhsa_system_sgpr_private_segment_wavefront_offset 0
		.amdhsa_system_sgpr_workgroup_id_x 1
		.amdhsa_system_sgpr_workgroup_id_y 0
		.amdhsa_system_sgpr_workgroup_id_z 0
		.amdhsa_system_sgpr_workgroup_info 0
		.amdhsa_system_vgpr_workitem_id 0
		.amdhsa_next_free_vgpr 1
		.amdhsa_next_free_sgpr 0
		.amdhsa_accum_offset 4
		.amdhsa_reserve_vcc 0
		.amdhsa_reserve_flat_scratch 0
		.amdhsa_float_round_mode_32 0
		.amdhsa_float_round_mode_16_64 0
		.amdhsa_float_denorm_mode_32 3
		.amdhsa_float_denorm_mode_16_64 3
		.amdhsa_dx10_clamp 1
		.amdhsa_ieee_mode 1
		.amdhsa_fp16_overflow 0
		.amdhsa_tg_split 0
		.amdhsa_exception_fp_ieee_invalid_op 0
		.amdhsa_exception_fp_denorm_src 0
		.amdhsa_exception_fp_ieee_div_zero 0
		.amdhsa_exception_fp_ieee_overflow 0
		.amdhsa_exception_fp_ieee_underflow 0
		.amdhsa_exception_fp_ieee_inexact 0
		.amdhsa_exception_int_div_zero 0
	.end_amdhsa_kernel
	.section	.text._ZN7rocprim17ROCPRIM_400000_NS6detail17trampoline_kernelINS0_14default_configENS1_38merge_sort_block_merge_config_selectorIcNS0_10empty_typeEEEZZNS1_27merge_sort_block_merge_implIS3_N6thrust23THRUST_200600_302600_NS6detail15normal_iteratorINS9_10device_ptrIcEEEEPS5_m14custom_greaterIcEEE10hipError_tT0_T1_T2_jT3_P12ihipStream_tbPNSt15iterator_traitsISJ_E10value_typeEPNSP_ISK_E10value_typeEPSL_NS1_7vsmem_tEENKUlT_SJ_SK_SL_E_clIPcSE_SF_SF_EESI_SY_SJ_SK_SL_EUlSY_E1_NS1_11comp_targetILNS1_3genE9ELNS1_11target_archE1100ELNS1_3gpuE3ELNS1_3repE0EEENS1_36merge_oddeven_config_static_selectorELNS0_4arch9wavefront6targetE1EEEvSK_,"axG",@progbits,_ZN7rocprim17ROCPRIM_400000_NS6detail17trampoline_kernelINS0_14default_configENS1_38merge_sort_block_merge_config_selectorIcNS0_10empty_typeEEEZZNS1_27merge_sort_block_merge_implIS3_N6thrust23THRUST_200600_302600_NS6detail15normal_iteratorINS9_10device_ptrIcEEEEPS5_m14custom_greaterIcEEE10hipError_tT0_T1_T2_jT3_P12ihipStream_tbPNSt15iterator_traitsISJ_E10value_typeEPNSP_ISK_E10value_typeEPSL_NS1_7vsmem_tEENKUlT_SJ_SK_SL_E_clIPcSE_SF_SF_EESI_SY_SJ_SK_SL_EUlSY_E1_NS1_11comp_targetILNS1_3genE9ELNS1_11target_archE1100ELNS1_3gpuE3ELNS1_3repE0EEENS1_36merge_oddeven_config_static_selectorELNS0_4arch9wavefront6targetE1EEEvSK_,comdat
.Lfunc_end2731:
	.size	_ZN7rocprim17ROCPRIM_400000_NS6detail17trampoline_kernelINS0_14default_configENS1_38merge_sort_block_merge_config_selectorIcNS0_10empty_typeEEEZZNS1_27merge_sort_block_merge_implIS3_N6thrust23THRUST_200600_302600_NS6detail15normal_iteratorINS9_10device_ptrIcEEEEPS5_m14custom_greaterIcEEE10hipError_tT0_T1_T2_jT3_P12ihipStream_tbPNSt15iterator_traitsISJ_E10value_typeEPNSP_ISK_E10value_typeEPSL_NS1_7vsmem_tEENKUlT_SJ_SK_SL_E_clIPcSE_SF_SF_EESI_SY_SJ_SK_SL_EUlSY_E1_NS1_11comp_targetILNS1_3genE9ELNS1_11target_archE1100ELNS1_3gpuE3ELNS1_3repE0EEENS1_36merge_oddeven_config_static_selectorELNS0_4arch9wavefront6targetE1EEEvSK_, .Lfunc_end2731-_ZN7rocprim17ROCPRIM_400000_NS6detail17trampoline_kernelINS0_14default_configENS1_38merge_sort_block_merge_config_selectorIcNS0_10empty_typeEEEZZNS1_27merge_sort_block_merge_implIS3_N6thrust23THRUST_200600_302600_NS6detail15normal_iteratorINS9_10device_ptrIcEEEEPS5_m14custom_greaterIcEEE10hipError_tT0_T1_T2_jT3_P12ihipStream_tbPNSt15iterator_traitsISJ_E10value_typeEPNSP_ISK_E10value_typeEPSL_NS1_7vsmem_tEENKUlT_SJ_SK_SL_E_clIPcSE_SF_SF_EESI_SY_SJ_SK_SL_EUlSY_E1_NS1_11comp_targetILNS1_3genE9ELNS1_11target_archE1100ELNS1_3gpuE3ELNS1_3repE0EEENS1_36merge_oddeven_config_static_selectorELNS0_4arch9wavefront6targetE1EEEvSK_
                                        ; -- End function
	.section	.AMDGPU.csdata,"",@progbits
; Kernel info:
; codeLenInByte = 0
; NumSgprs: 4
; NumVgprs: 0
; NumAgprs: 0
; TotalNumVgprs: 0
; ScratchSize: 0
; MemoryBound: 0
; FloatMode: 240
; IeeeMode: 1
; LDSByteSize: 0 bytes/workgroup (compile time only)
; SGPRBlocks: 0
; VGPRBlocks: 0
; NumSGPRsForWavesPerEU: 4
; NumVGPRsForWavesPerEU: 1
; AccumOffset: 4
; Occupancy: 8
; WaveLimiterHint : 0
; COMPUTE_PGM_RSRC2:SCRATCH_EN: 0
; COMPUTE_PGM_RSRC2:USER_SGPR: 6
; COMPUTE_PGM_RSRC2:TRAP_HANDLER: 0
; COMPUTE_PGM_RSRC2:TGID_X_EN: 1
; COMPUTE_PGM_RSRC2:TGID_Y_EN: 0
; COMPUTE_PGM_RSRC2:TGID_Z_EN: 0
; COMPUTE_PGM_RSRC2:TIDIG_COMP_CNT: 0
; COMPUTE_PGM_RSRC3_GFX90A:ACCUM_OFFSET: 0
; COMPUTE_PGM_RSRC3_GFX90A:TG_SPLIT: 0
	.section	.text._ZN7rocprim17ROCPRIM_400000_NS6detail17trampoline_kernelINS0_14default_configENS1_38merge_sort_block_merge_config_selectorIcNS0_10empty_typeEEEZZNS1_27merge_sort_block_merge_implIS3_N6thrust23THRUST_200600_302600_NS6detail15normal_iteratorINS9_10device_ptrIcEEEEPS5_m14custom_greaterIcEEE10hipError_tT0_T1_T2_jT3_P12ihipStream_tbPNSt15iterator_traitsISJ_E10value_typeEPNSP_ISK_E10value_typeEPSL_NS1_7vsmem_tEENKUlT_SJ_SK_SL_E_clIPcSE_SF_SF_EESI_SY_SJ_SK_SL_EUlSY_E1_NS1_11comp_targetILNS1_3genE8ELNS1_11target_archE1030ELNS1_3gpuE2ELNS1_3repE0EEENS1_36merge_oddeven_config_static_selectorELNS0_4arch9wavefront6targetE1EEEvSK_,"axG",@progbits,_ZN7rocprim17ROCPRIM_400000_NS6detail17trampoline_kernelINS0_14default_configENS1_38merge_sort_block_merge_config_selectorIcNS0_10empty_typeEEEZZNS1_27merge_sort_block_merge_implIS3_N6thrust23THRUST_200600_302600_NS6detail15normal_iteratorINS9_10device_ptrIcEEEEPS5_m14custom_greaterIcEEE10hipError_tT0_T1_T2_jT3_P12ihipStream_tbPNSt15iterator_traitsISJ_E10value_typeEPNSP_ISK_E10value_typeEPSL_NS1_7vsmem_tEENKUlT_SJ_SK_SL_E_clIPcSE_SF_SF_EESI_SY_SJ_SK_SL_EUlSY_E1_NS1_11comp_targetILNS1_3genE8ELNS1_11target_archE1030ELNS1_3gpuE2ELNS1_3repE0EEENS1_36merge_oddeven_config_static_selectorELNS0_4arch9wavefront6targetE1EEEvSK_,comdat
	.protected	_ZN7rocprim17ROCPRIM_400000_NS6detail17trampoline_kernelINS0_14default_configENS1_38merge_sort_block_merge_config_selectorIcNS0_10empty_typeEEEZZNS1_27merge_sort_block_merge_implIS3_N6thrust23THRUST_200600_302600_NS6detail15normal_iteratorINS9_10device_ptrIcEEEEPS5_m14custom_greaterIcEEE10hipError_tT0_T1_T2_jT3_P12ihipStream_tbPNSt15iterator_traitsISJ_E10value_typeEPNSP_ISK_E10value_typeEPSL_NS1_7vsmem_tEENKUlT_SJ_SK_SL_E_clIPcSE_SF_SF_EESI_SY_SJ_SK_SL_EUlSY_E1_NS1_11comp_targetILNS1_3genE8ELNS1_11target_archE1030ELNS1_3gpuE2ELNS1_3repE0EEENS1_36merge_oddeven_config_static_selectorELNS0_4arch9wavefront6targetE1EEEvSK_ ; -- Begin function _ZN7rocprim17ROCPRIM_400000_NS6detail17trampoline_kernelINS0_14default_configENS1_38merge_sort_block_merge_config_selectorIcNS0_10empty_typeEEEZZNS1_27merge_sort_block_merge_implIS3_N6thrust23THRUST_200600_302600_NS6detail15normal_iteratorINS9_10device_ptrIcEEEEPS5_m14custom_greaterIcEEE10hipError_tT0_T1_T2_jT3_P12ihipStream_tbPNSt15iterator_traitsISJ_E10value_typeEPNSP_ISK_E10value_typeEPSL_NS1_7vsmem_tEENKUlT_SJ_SK_SL_E_clIPcSE_SF_SF_EESI_SY_SJ_SK_SL_EUlSY_E1_NS1_11comp_targetILNS1_3genE8ELNS1_11target_archE1030ELNS1_3gpuE2ELNS1_3repE0EEENS1_36merge_oddeven_config_static_selectorELNS0_4arch9wavefront6targetE1EEEvSK_
	.globl	_ZN7rocprim17ROCPRIM_400000_NS6detail17trampoline_kernelINS0_14default_configENS1_38merge_sort_block_merge_config_selectorIcNS0_10empty_typeEEEZZNS1_27merge_sort_block_merge_implIS3_N6thrust23THRUST_200600_302600_NS6detail15normal_iteratorINS9_10device_ptrIcEEEEPS5_m14custom_greaterIcEEE10hipError_tT0_T1_T2_jT3_P12ihipStream_tbPNSt15iterator_traitsISJ_E10value_typeEPNSP_ISK_E10value_typeEPSL_NS1_7vsmem_tEENKUlT_SJ_SK_SL_E_clIPcSE_SF_SF_EESI_SY_SJ_SK_SL_EUlSY_E1_NS1_11comp_targetILNS1_3genE8ELNS1_11target_archE1030ELNS1_3gpuE2ELNS1_3repE0EEENS1_36merge_oddeven_config_static_selectorELNS0_4arch9wavefront6targetE1EEEvSK_
	.p2align	8
	.type	_ZN7rocprim17ROCPRIM_400000_NS6detail17trampoline_kernelINS0_14default_configENS1_38merge_sort_block_merge_config_selectorIcNS0_10empty_typeEEEZZNS1_27merge_sort_block_merge_implIS3_N6thrust23THRUST_200600_302600_NS6detail15normal_iteratorINS9_10device_ptrIcEEEEPS5_m14custom_greaterIcEEE10hipError_tT0_T1_T2_jT3_P12ihipStream_tbPNSt15iterator_traitsISJ_E10value_typeEPNSP_ISK_E10value_typeEPSL_NS1_7vsmem_tEENKUlT_SJ_SK_SL_E_clIPcSE_SF_SF_EESI_SY_SJ_SK_SL_EUlSY_E1_NS1_11comp_targetILNS1_3genE8ELNS1_11target_archE1030ELNS1_3gpuE2ELNS1_3repE0EEENS1_36merge_oddeven_config_static_selectorELNS0_4arch9wavefront6targetE1EEEvSK_,@function
_ZN7rocprim17ROCPRIM_400000_NS6detail17trampoline_kernelINS0_14default_configENS1_38merge_sort_block_merge_config_selectorIcNS0_10empty_typeEEEZZNS1_27merge_sort_block_merge_implIS3_N6thrust23THRUST_200600_302600_NS6detail15normal_iteratorINS9_10device_ptrIcEEEEPS5_m14custom_greaterIcEEE10hipError_tT0_T1_T2_jT3_P12ihipStream_tbPNSt15iterator_traitsISJ_E10value_typeEPNSP_ISK_E10value_typeEPSL_NS1_7vsmem_tEENKUlT_SJ_SK_SL_E_clIPcSE_SF_SF_EESI_SY_SJ_SK_SL_EUlSY_E1_NS1_11comp_targetILNS1_3genE8ELNS1_11target_archE1030ELNS1_3gpuE2ELNS1_3repE0EEENS1_36merge_oddeven_config_static_selectorELNS0_4arch9wavefront6targetE1EEEvSK_: ; @_ZN7rocprim17ROCPRIM_400000_NS6detail17trampoline_kernelINS0_14default_configENS1_38merge_sort_block_merge_config_selectorIcNS0_10empty_typeEEEZZNS1_27merge_sort_block_merge_implIS3_N6thrust23THRUST_200600_302600_NS6detail15normal_iteratorINS9_10device_ptrIcEEEEPS5_m14custom_greaterIcEEE10hipError_tT0_T1_T2_jT3_P12ihipStream_tbPNSt15iterator_traitsISJ_E10value_typeEPNSP_ISK_E10value_typeEPSL_NS1_7vsmem_tEENKUlT_SJ_SK_SL_E_clIPcSE_SF_SF_EESI_SY_SJ_SK_SL_EUlSY_E1_NS1_11comp_targetILNS1_3genE8ELNS1_11target_archE1030ELNS1_3gpuE2ELNS1_3repE0EEENS1_36merge_oddeven_config_static_selectorELNS0_4arch9wavefront6targetE1EEEvSK_
; %bb.0:
	.section	.rodata,"a",@progbits
	.p2align	6, 0x0
	.amdhsa_kernel _ZN7rocprim17ROCPRIM_400000_NS6detail17trampoline_kernelINS0_14default_configENS1_38merge_sort_block_merge_config_selectorIcNS0_10empty_typeEEEZZNS1_27merge_sort_block_merge_implIS3_N6thrust23THRUST_200600_302600_NS6detail15normal_iteratorINS9_10device_ptrIcEEEEPS5_m14custom_greaterIcEEE10hipError_tT0_T1_T2_jT3_P12ihipStream_tbPNSt15iterator_traitsISJ_E10value_typeEPNSP_ISK_E10value_typeEPSL_NS1_7vsmem_tEENKUlT_SJ_SK_SL_E_clIPcSE_SF_SF_EESI_SY_SJ_SK_SL_EUlSY_E1_NS1_11comp_targetILNS1_3genE8ELNS1_11target_archE1030ELNS1_3gpuE2ELNS1_3repE0EEENS1_36merge_oddeven_config_static_selectorELNS0_4arch9wavefront6targetE1EEEvSK_
		.amdhsa_group_segment_fixed_size 0
		.amdhsa_private_segment_fixed_size 0
		.amdhsa_kernarg_size 56
		.amdhsa_user_sgpr_count 6
		.amdhsa_user_sgpr_private_segment_buffer 1
		.amdhsa_user_sgpr_dispatch_ptr 0
		.amdhsa_user_sgpr_queue_ptr 0
		.amdhsa_user_sgpr_kernarg_segment_ptr 1
		.amdhsa_user_sgpr_dispatch_id 0
		.amdhsa_user_sgpr_flat_scratch_init 0
		.amdhsa_user_sgpr_kernarg_preload_length 0
		.amdhsa_user_sgpr_kernarg_preload_offset 0
		.amdhsa_user_sgpr_private_segment_size 0
		.amdhsa_uses_dynamic_stack 0
		.amdhsa_system_sgpr_private_segment_wavefront_offset 0
		.amdhsa_system_sgpr_workgroup_id_x 1
		.amdhsa_system_sgpr_workgroup_id_y 0
		.amdhsa_system_sgpr_workgroup_id_z 0
		.amdhsa_system_sgpr_workgroup_info 0
		.amdhsa_system_vgpr_workitem_id 0
		.amdhsa_next_free_vgpr 1
		.amdhsa_next_free_sgpr 0
		.amdhsa_accum_offset 4
		.amdhsa_reserve_vcc 0
		.amdhsa_reserve_flat_scratch 0
		.amdhsa_float_round_mode_32 0
		.amdhsa_float_round_mode_16_64 0
		.amdhsa_float_denorm_mode_32 3
		.amdhsa_float_denorm_mode_16_64 3
		.amdhsa_dx10_clamp 1
		.amdhsa_ieee_mode 1
		.amdhsa_fp16_overflow 0
		.amdhsa_tg_split 0
		.amdhsa_exception_fp_ieee_invalid_op 0
		.amdhsa_exception_fp_denorm_src 0
		.amdhsa_exception_fp_ieee_div_zero 0
		.amdhsa_exception_fp_ieee_overflow 0
		.amdhsa_exception_fp_ieee_underflow 0
		.amdhsa_exception_fp_ieee_inexact 0
		.amdhsa_exception_int_div_zero 0
	.end_amdhsa_kernel
	.section	.text._ZN7rocprim17ROCPRIM_400000_NS6detail17trampoline_kernelINS0_14default_configENS1_38merge_sort_block_merge_config_selectorIcNS0_10empty_typeEEEZZNS1_27merge_sort_block_merge_implIS3_N6thrust23THRUST_200600_302600_NS6detail15normal_iteratorINS9_10device_ptrIcEEEEPS5_m14custom_greaterIcEEE10hipError_tT0_T1_T2_jT3_P12ihipStream_tbPNSt15iterator_traitsISJ_E10value_typeEPNSP_ISK_E10value_typeEPSL_NS1_7vsmem_tEENKUlT_SJ_SK_SL_E_clIPcSE_SF_SF_EESI_SY_SJ_SK_SL_EUlSY_E1_NS1_11comp_targetILNS1_3genE8ELNS1_11target_archE1030ELNS1_3gpuE2ELNS1_3repE0EEENS1_36merge_oddeven_config_static_selectorELNS0_4arch9wavefront6targetE1EEEvSK_,"axG",@progbits,_ZN7rocprim17ROCPRIM_400000_NS6detail17trampoline_kernelINS0_14default_configENS1_38merge_sort_block_merge_config_selectorIcNS0_10empty_typeEEEZZNS1_27merge_sort_block_merge_implIS3_N6thrust23THRUST_200600_302600_NS6detail15normal_iteratorINS9_10device_ptrIcEEEEPS5_m14custom_greaterIcEEE10hipError_tT0_T1_T2_jT3_P12ihipStream_tbPNSt15iterator_traitsISJ_E10value_typeEPNSP_ISK_E10value_typeEPSL_NS1_7vsmem_tEENKUlT_SJ_SK_SL_E_clIPcSE_SF_SF_EESI_SY_SJ_SK_SL_EUlSY_E1_NS1_11comp_targetILNS1_3genE8ELNS1_11target_archE1030ELNS1_3gpuE2ELNS1_3repE0EEENS1_36merge_oddeven_config_static_selectorELNS0_4arch9wavefront6targetE1EEEvSK_,comdat
.Lfunc_end2732:
	.size	_ZN7rocprim17ROCPRIM_400000_NS6detail17trampoline_kernelINS0_14default_configENS1_38merge_sort_block_merge_config_selectorIcNS0_10empty_typeEEEZZNS1_27merge_sort_block_merge_implIS3_N6thrust23THRUST_200600_302600_NS6detail15normal_iteratorINS9_10device_ptrIcEEEEPS5_m14custom_greaterIcEEE10hipError_tT0_T1_T2_jT3_P12ihipStream_tbPNSt15iterator_traitsISJ_E10value_typeEPNSP_ISK_E10value_typeEPSL_NS1_7vsmem_tEENKUlT_SJ_SK_SL_E_clIPcSE_SF_SF_EESI_SY_SJ_SK_SL_EUlSY_E1_NS1_11comp_targetILNS1_3genE8ELNS1_11target_archE1030ELNS1_3gpuE2ELNS1_3repE0EEENS1_36merge_oddeven_config_static_selectorELNS0_4arch9wavefront6targetE1EEEvSK_, .Lfunc_end2732-_ZN7rocprim17ROCPRIM_400000_NS6detail17trampoline_kernelINS0_14default_configENS1_38merge_sort_block_merge_config_selectorIcNS0_10empty_typeEEEZZNS1_27merge_sort_block_merge_implIS3_N6thrust23THRUST_200600_302600_NS6detail15normal_iteratorINS9_10device_ptrIcEEEEPS5_m14custom_greaterIcEEE10hipError_tT0_T1_T2_jT3_P12ihipStream_tbPNSt15iterator_traitsISJ_E10value_typeEPNSP_ISK_E10value_typeEPSL_NS1_7vsmem_tEENKUlT_SJ_SK_SL_E_clIPcSE_SF_SF_EESI_SY_SJ_SK_SL_EUlSY_E1_NS1_11comp_targetILNS1_3genE8ELNS1_11target_archE1030ELNS1_3gpuE2ELNS1_3repE0EEENS1_36merge_oddeven_config_static_selectorELNS0_4arch9wavefront6targetE1EEEvSK_
                                        ; -- End function
	.section	.AMDGPU.csdata,"",@progbits
; Kernel info:
; codeLenInByte = 0
; NumSgprs: 4
; NumVgprs: 0
; NumAgprs: 0
; TotalNumVgprs: 0
; ScratchSize: 0
; MemoryBound: 0
; FloatMode: 240
; IeeeMode: 1
; LDSByteSize: 0 bytes/workgroup (compile time only)
; SGPRBlocks: 0
; VGPRBlocks: 0
; NumSGPRsForWavesPerEU: 4
; NumVGPRsForWavesPerEU: 1
; AccumOffset: 4
; Occupancy: 8
; WaveLimiterHint : 0
; COMPUTE_PGM_RSRC2:SCRATCH_EN: 0
; COMPUTE_PGM_RSRC2:USER_SGPR: 6
; COMPUTE_PGM_RSRC2:TRAP_HANDLER: 0
; COMPUTE_PGM_RSRC2:TGID_X_EN: 1
; COMPUTE_PGM_RSRC2:TGID_Y_EN: 0
; COMPUTE_PGM_RSRC2:TGID_Z_EN: 0
; COMPUTE_PGM_RSRC2:TIDIG_COMP_CNT: 0
; COMPUTE_PGM_RSRC3_GFX90A:ACCUM_OFFSET: 0
; COMPUTE_PGM_RSRC3_GFX90A:TG_SPLIT: 0
	.section	.text._ZN7rocprim17ROCPRIM_400000_NS6detail17trampoline_kernelINS0_14default_configENS1_38merge_sort_block_merge_config_selectorIcNS0_10empty_typeEEEZZNS1_27merge_sort_block_merge_implIS3_N6thrust23THRUST_200600_302600_NS6detail15normal_iteratorINS9_10device_ptrIcEEEEPS5_m14custom_greaterIcEEE10hipError_tT0_T1_T2_jT3_P12ihipStream_tbPNSt15iterator_traitsISJ_E10value_typeEPNSP_ISK_E10value_typeEPSL_NS1_7vsmem_tEENKUlT_SJ_SK_SL_E_clISE_PcSF_SF_EESI_SY_SJ_SK_SL_EUlSY_E_NS1_11comp_targetILNS1_3genE0ELNS1_11target_archE4294967295ELNS1_3gpuE0ELNS1_3repE0EEENS1_48merge_mergepath_partition_config_static_selectorELNS0_4arch9wavefront6targetE1EEEvSK_,"axG",@progbits,_ZN7rocprim17ROCPRIM_400000_NS6detail17trampoline_kernelINS0_14default_configENS1_38merge_sort_block_merge_config_selectorIcNS0_10empty_typeEEEZZNS1_27merge_sort_block_merge_implIS3_N6thrust23THRUST_200600_302600_NS6detail15normal_iteratorINS9_10device_ptrIcEEEEPS5_m14custom_greaterIcEEE10hipError_tT0_T1_T2_jT3_P12ihipStream_tbPNSt15iterator_traitsISJ_E10value_typeEPNSP_ISK_E10value_typeEPSL_NS1_7vsmem_tEENKUlT_SJ_SK_SL_E_clISE_PcSF_SF_EESI_SY_SJ_SK_SL_EUlSY_E_NS1_11comp_targetILNS1_3genE0ELNS1_11target_archE4294967295ELNS1_3gpuE0ELNS1_3repE0EEENS1_48merge_mergepath_partition_config_static_selectorELNS0_4arch9wavefront6targetE1EEEvSK_,comdat
	.protected	_ZN7rocprim17ROCPRIM_400000_NS6detail17trampoline_kernelINS0_14default_configENS1_38merge_sort_block_merge_config_selectorIcNS0_10empty_typeEEEZZNS1_27merge_sort_block_merge_implIS3_N6thrust23THRUST_200600_302600_NS6detail15normal_iteratorINS9_10device_ptrIcEEEEPS5_m14custom_greaterIcEEE10hipError_tT0_T1_T2_jT3_P12ihipStream_tbPNSt15iterator_traitsISJ_E10value_typeEPNSP_ISK_E10value_typeEPSL_NS1_7vsmem_tEENKUlT_SJ_SK_SL_E_clISE_PcSF_SF_EESI_SY_SJ_SK_SL_EUlSY_E_NS1_11comp_targetILNS1_3genE0ELNS1_11target_archE4294967295ELNS1_3gpuE0ELNS1_3repE0EEENS1_48merge_mergepath_partition_config_static_selectorELNS0_4arch9wavefront6targetE1EEEvSK_ ; -- Begin function _ZN7rocprim17ROCPRIM_400000_NS6detail17trampoline_kernelINS0_14default_configENS1_38merge_sort_block_merge_config_selectorIcNS0_10empty_typeEEEZZNS1_27merge_sort_block_merge_implIS3_N6thrust23THRUST_200600_302600_NS6detail15normal_iteratorINS9_10device_ptrIcEEEEPS5_m14custom_greaterIcEEE10hipError_tT0_T1_T2_jT3_P12ihipStream_tbPNSt15iterator_traitsISJ_E10value_typeEPNSP_ISK_E10value_typeEPSL_NS1_7vsmem_tEENKUlT_SJ_SK_SL_E_clISE_PcSF_SF_EESI_SY_SJ_SK_SL_EUlSY_E_NS1_11comp_targetILNS1_3genE0ELNS1_11target_archE4294967295ELNS1_3gpuE0ELNS1_3repE0EEENS1_48merge_mergepath_partition_config_static_selectorELNS0_4arch9wavefront6targetE1EEEvSK_
	.globl	_ZN7rocprim17ROCPRIM_400000_NS6detail17trampoline_kernelINS0_14default_configENS1_38merge_sort_block_merge_config_selectorIcNS0_10empty_typeEEEZZNS1_27merge_sort_block_merge_implIS3_N6thrust23THRUST_200600_302600_NS6detail15normal_iteratorINS9_10device_ptrIcEEEEPS5_m14custom_greaterIcEEE10hipError_tT0_T1_T2_jT3_P12ihipStream_tbPNSt15iterator_traitsISJ_E10value_typeEPNSP_ISK_E10value_typeEPSL_NS1_7vsmem_tEENKUlT_SJ_SK_SL_E_clISE_PcSF_SF_EESI_SY_SJ_SK_SL_EUlSY_E_NS1_11comp_targetILNS1_3genE0ELNS1_11target_archE4294967295ELNS1_3gpuE0ELNS1_3repE0EEENS1_48merge_mergepath_partition_config_static_selectorELNS0_4arch9wavefront6targetE1EEEvSK_
	.p2align	8
	.type	_ZN7rocprim17ROCPRIM_400000_NS6detail17trampoline_kernelINS0_14default_configENS1_38merge_sort_block_merge_config_selectorIcNS0_10empty_typeEEEZZNS1_27merge_sort_block_merge_implIS3_N6thrust23THRUST_200600_302600_NS6detail15normal_iteratorINS9_10device_ptrIcEEEEPS5_m14custom_greaterIcEEE10hipError_tT0_T1_T2_jT3_P12ihipStream_tbPNSt15iterator_traitsISJ_E10value_typeEPNSP_ISK_E10value_typeEPSL_NS1_7vsmem_tEENKUlT_SJ_SK_SL_E_clISE_PcSF_SF_EESI_SY_SJ_SK_SL_EUlSY_E_NS1_11comp_targetILNS1_3genE0ELNS1_11target_archE4294967295ELNS1_3gpuE0ELNS1_3repE0EEENS1_48merge_mergepath_partition_config_static_selectorELNS0_4arch9wavefront6targetE1EEEvSK_,@function
_ZN7rocprim17ROCPRIM_400000_NS6detail17trampoline_kernelINS0_14default_configENS1_38merge_sort_block_merge_config_selectorIcNS0_10empty_typeEEEZZNS1_27merge_sort_block_merge_implIS3_N6thrust23THRUST_200600_302600_NS6detail15normal_iteratorINS9_10device_ptrIcEEEEPS5_m14custom_greaterIcEEE10hipError_tT0_T1_T2_jT3_P12ihipStream_tbPNSt15iterator_traitsISJ_E10value_typeEPNSP_ISK_E10value_typeEPSL_NS1_7vsmem_tEENKUlT_SJ_SK_SL_E_clISE_PcSF_SF_EESI_SY_SJ_SK_SL_EUlSY_E_NS1_11comp_targetILNS1_3genE0ELNS1_11target_archE4294967295ELNS1_3gpuE0ELNS1_3repE0EEENS1_48merge_mergepath_partition_config_static_selectorELNS0_4arch9wavefront6targetE1EEEvSK_: ; @_ZN7rocprim17ROCPRIM_400000_NS6detail17trampoline_kernelINS0_14default_configENS1_38merge_sort_block_merge_config_selectorIcNS0_10empty_typeEEEZZNS1_27merge_sort_block_merge_implIS3_N6thrust23THRUST_200600_302600_NS6detail15normal_iteratorINS9_10device_ptrIcEEEEPS5_m14custom_greaterIcEEE10hipError_tT0_T1_T2_jT3_P12ihipStream_tbPNSt15iterator_traitsISJ_E10value_typeEPNSP_ISK_E10value_typeEPSL_NS1_7vsmem_tEENKUlT_SJ_SK_SL_E_clISE_PcSF_SF_EESI_SY_SJ_SK_SL_EUlSY_E_NS1_11comp_targetILNS1_3genE0ELNS1_11target_archE4294967295ELNS1_3gpuE0ELNS1_3repE0EEENS1_48merge_mergepath_partition_config_static_selectorELNS0_4arch9wavefront6targetE1EEEvSK_
; %bb.0:
	.section	.rodata,"a",@progbits
	.p2align	6, 0x0
	.amdhsa_kernel _ZN7rocprim17ROCPRIM_400000_NS6detail17trampoline_kernelINS0_14default_configENS1_38merge_sort_block_merge_config_selectorIcNS0_10empty_typeEEEZZNS1_27merge_sort_block_merge_implIS3_N6thrust23THRUST_200600_302600_NS6detail15normal_iteratorINS9_10device_ptrIcEEEEPS5_m14custom_greaterIcEEE10hipError_tT0_T1_T2_jT3_P12ihipStream_tbPNSt15iterator_traitsISJ_E10value_typeEPNSP_ISK_E10value_typeEPSL_NS1_7vsmem_tEENKUlT_SJ_SK_SL_E_clISE_PcSF_SF_EESI_SY_SJ_SK_SL_EUlSY_E_NS1_11comp_targetILNS1_3genE0ELNS1_11target_archE4294967295ELNS1_3gpuE0ELNS1_3repE0EEENS1_48merge_mergepath_partition_config_static_selectorELNS0_4arch9wavefront6targetE1EEEvSK_
		.amdhsa_group_segment_fixed_size 0
		.amdhsa_private_segment_fixed_size 0
		.amdhsa_kernarg_size 48
		.amdhsa_user_sgpr_count 6
		.amdhsa_user_sgpr_private_segment_buffer 1
		.amdhsa_user_sgpr_dispatch_ptr 0
		.amdhsa_user_sgpr_queue_ptr 0
		.amdhsa_user_sgpr_kernarg_segment_ptr 1
		.amdhsa_user_sgpr_dispatch_id 0
		.amdhsa_user_sgpr_flat_scratch_init 0
		.amdhsa_user_sgpr_kernarg_preload_length 0
		.amdhsa_user_sgpr_kernarg_preload_offset 0
		.amdhsa_user_sgpr_private_segment_size 0
		.amdhsa_uses_dynamic_stack 0
		.amdhsa_system_sgpr_private_segment_wavefront_offset 0
		.amdhsa_system_sgpr_workgroup_id_x 1
		.amdhsa_system_sgpr_workgroup_id_y 0
		.amdhsa_system_sgpr_workgroup_id_z 0
		.amdhsa_system_sgpr_workgroup_info 0
		.amdhsa_system_vgpr_workitem_id 0
		.amdhsa_next_free_vgpr 1
		.amdhsa_next_free_sgpr 0
		.amdhsa_accum_offset 4
		.amdhsa_reserve_vcc 0
		.amdhsa_reserve_flat_scratch 0
		.amdhsa_float_round_mode_32 0
		.amdhsa_float_round_mode_16_64 0
		.amdhsa_float_denorm_mode_32 3
		.amdhsa_float_denorm_mode_16_64 3
		.amdhsa_dx10_clamp 1
		.amdhsa_ieee_mode 1
		.amdhsa_fp16_overflow 0
		.amdhsa_tg_split 0
		.amdhsa_exception_fp_ieee_invalid_op 0
		.amdhsa_exception_fp_denorm_src 0
		.amdhsa_exception_fp_ieee_div_zero 0
		.amdhsa_exception_fp_ieee_overflow 0
		.amdhsa_exception_fp_ieee_underflow 0
		.amdhsa_exception_fp_ieee_inexact 0
		.amdhsa_exception_int_div_zero 0
	.end_amdhsa_kernel
	.section	.text._ZN7rocprim17ROCPRIM_400000_NS6detail17trampoline_kernelINS0_14default_configENS1_38merge_sort_block_merge_config_selectorIcNS0_10empty_typeEEEZZNS1_27merge_sort_block_merge_implIS3_N6thrust23THRUST_200600_302600_NS6detail15normal_iteratorINS9_10device_ptrIcEEEEPS5_m14custom_greaterIcEEE10hipError_tT0_T1_T2_jT3_P12ihipStream_tbPNSt15iterator_traitsISJ_E10value_typeEPNSP_ISK_E10value_typeEPSL_NS1_7vsmem_tEENKUlT_SJ_SK_SL_E_clISE_PcSF_SF_EESI_SY_SJ_SK_SL_EUlSY_E_NS1_11comp_targetILNS1_3genE0ELNS1_11target_archE4294967295ELNS1_3gpuE0ELNS1_3repE0EEENS1_48merge_mergepath_partition_config_static_selectorELNS0_4arch9wavefront6targetE1EEEvSK_,"axG",@progbits,_ZN7rocprim17ROCPRIM_400000_NS6detail17trampoline_kernelINS0_14default_configENS1_38merge_sort_block_merge_config_selectorIcNS0_10empty_typeEEEZZNS1_27merge_sort_block_merge_implIS3_N6thrust23THRUST_200600_302600_NS6detail15normal_iteratorINS9_10device_ptrIcEEEEPS5_m14custom_greaterIcEEE10hipError_tT0_T1_T2_jT3_P12ihipStream_tbPNSt15iterator_traitsISJ_E10value_typeEPNSP_ISK_E10value_typeEPSL_NS1_7vsmem_tEENKUlT_SJ_SK_SL_E_clISE_PcSF_SF_EESI_SY_SJ_SK_SL_EUlSY_E_NS1_11comp_targetILNS1_3genE0ELNS1_11target_archE4294967295ELNS1_3gpuE0ELNS1_3repE0EEENS1_48merge_mergepath_partition_config_static_selectorELNS0_4arch9wavefront6targetE1EEEvSK_,comdat
.Lfunc_end2733:
	.size	_ZN7rocprim17ROCPRIM_400000_NS6detail17trampoline_kernelINS0_14default_configENS1_38merge_sort_block_merge_config_selectorIcNS0_10empty_typeEEEZZNS1_27merge_sort_block_merge_implIS3_N6thrust23THRUST_200600_302600_NS6detail15normal_iteratorINS9_10device_ptrIcEEEEPS5_m14custom_greaterIcEEE10hipError_tT0_T1_T2_jT3_P12ihipStream_tbPNSt15iterator_traitsISJ_E10value_typeEPNSP_ISK_E10value_typeEPSL_NS1_7vsmem_tEENKUlT_SJ_SK_SL_E_clISE_PcSF_SF_EESI_SY_SJ_SK_SL_EUlSY_E_NS1_11comp_targetILNS1_3genE0ELNS1_11target_archE4294967295ELNS1_3gpuE0ELNS1_3repE0EEENS1_48merge_mergepath_partition_config_static_selectorELNS0_4arch9wavefront6targetE1EEEvSK_, .Lfunc_end2733-_ZN7rocprim17ROCPRIM_400000_NS6detail17trampoline_kernelINS0_14default_configENS1_38merge_sort_block_merge_config_selectorIcNS0_10empty_typeEEEZZNS1_27merge_sort_block_merge_implIS3_N6thrust23THRUST_200600_302600_NS6detail15normal_iteratorINS9_10device_ptrIcEEEEPS5_m14custom_greaterIcEEE10hipError_tT0_T1_T2_jT3_P12ihipStream_tbPNSt15iterator_traitsISJ_E10value_typeEPNSP_ISK_E10value_typeEPSL_NS1_7vsmem_tEENKUlT_SJ_SK_SL_E_clISE_PcSF_SF_EESI_SY_SJ_SK_SL_EUlSY_E_NS1_11comp_targetILNS1_3genE0ELNS1_11target_archE4294967295ELNS1_3gpuE0ELNS1_3repE0EEENS1_48merge_mergepath_partition_config_static_selectorELNS0_4arch9wavefront6targetE1EEEvSK_
                                        ; -- End function
	.section	.AMDGPU.csdata,"",@progbits
; Kernel info:
; codeLenInByte = 0
; NumSgprs: 4
; NumVgprs: 0
; NumAgprs: 0
; TotalNumVgprs: 0
; ScratchSize: 0
; MemoryBound: 0
; FloatMode: 240
; IeeeMode: 1
; LDSByteSize: 0 bytes/workgroup (compile time only)
; SGPRBlocks: 0
; VGPRBlocks: 0
; NumSGPRsForWavesPerEU: 4
; NumVGPRsForWavesPerEU: 1
; AccumOffset: 4
; Occupancy: 8
; WaveLimiterHint : 0
; COMPUTE_PGM_RSRC2:SCRATCH_EN: 0
; COMPUTE_PGM_RSRC2:USER_SGPR: 6
; COMPUTE_PGM_RSRC2:TRAP_HANDLER: 0
; COMPUTE_PGM_RSRC2:TGID_X_EN: 1
; COMPUTE_PGM_RSRC2:TGID_Y_EN: 0
; COMPUTE_PGM_RSRC2:TGID_Z_EN: 0
; COMPUTE_PGM_RSRC2:TIDIG_COMP_CNT: 0
; COMPUTE_PGM_RSRC3_GFX90A:ACCUM_OFFSET: 0
; COMPUTE_PGM_RSRC3_GFX90A:TG_SPLIT: 0
	.section	.text._ZN7rocprim17ROCPRIM_400000_NS6detail17trampoline_kernelINS0_14default_configENS1_38merge_sort_block_merge_config_selectorIcNS0_10empty_typeEEEZZNS1_27merge_sort_block_merge_implIS3_N6thrust23THRUST_200600_302600_NS6detail15normal_iteratorINS9_10device_ptrIcEEEEPS5_m14custom_greaterIcEEE10hipError_tT0_T1_T2_jT3_P12ihipStream_tbPNSt15iterator_traitsISJ_E10value_typeEPNSP_ISK_E10value_typeEPSL_NS1_7vsmem_tEENKUlT_SJ_SK_SL_E_clISE_PcSF_SF_EESI_SY_SJ_SK_SL_EUlSY_E_NS1_11comp_targetILNS1_3genE10ELNS1_11target_archE1201ELNS1_3gpuE5ELNS1_3repE0EEENS1_48merge_mergepath_partition_config_static_selectorELNS0_4arch9wavefront6targetE1EEEvSK_,"axG",@progbits,_ZN7rocprim17ROCPRIM_400000_NS6detail17trampoline_kernelINS0_14default_configENS1_38merge_sort_block_merge_config_selectorIcNS0_10empty_typeEEEZZNS1_27merge_sort_block_merge_implIS3_N6thrust23THRUST_200600_302600_NS6detail15normal_iteratorINS9_10device_ptrIcEEEEPS5_m14custom_greaterIcEEE10hipError_tT0_T1_T2_jT3_P12ihipStream_tbPNSt15iterator_traitsISJ_E10value_typeEPNSP_ISK_E10value_typeEPSL_NS1_7vsmem_tEENKUlT_SJ_SK_SL_E_clISE_PcSF_SF_EESI_SY_SJ_SK_SL_EUlSY_E_NS1_11comp_targetILNS1_3genE10ELNS1_11target_archE1201ELNS1_3gpuE5ELNS1_3repE0EEENS1_48merge_mergepath_partition_config_static_selectorELNS0_4arch9wavefront6targetE1EEEvSK_,comdat
	.protected	_ZN7rocprim17ROCPRIM_400000_NS6detail17trampoline_kernelINS0_14default_configENS1_38merge_sort_block_merge_config_selectorIcNS0_10empty_typeEEEZZNS1_27merge_sort_block_merge_implIS3_N6thrust23THRUST_200600_302600_NS6detail15normal_iteratorINS9_10device_ptrIcEEEEPS5_m14custom_greaterIcEEE10hipError_tT0_T1_T2_jT3_P12ihipStream_tbPNSt15iterator_traitsISJ_E10value_typeEPNSP_ISK_E10value_typeEPSL_NS1_7vsmem_tEENKUlT_SJ_SK_SL_E_clISE_PcSF_SF_EESI_SY_SJ_SK_SL_EUlSY_E_NS1_11comp_targetILNS1_3genE10ELNS1_11target_archE1201ELNS1_3gpuE5ELNS1_3repE0EEENS1_48merge_mergepath_partition_config_static_selectorELNS0_4arch9wavefront6targetE1EEEvSK_ ; -- Begin function _ZN7rocprim17ROCPRIM_400000_NS6detail17trampoline_kernelINS0_14default_configENS1_38merge_sort_block_merge_config_selectorIcNS0_10empty_typeEEEZZNS1_27merge_sort_block_merge_implIS3_N6thrust23THRUST_200600_302600_NS6detail15normal_iteratorINS9_10device_ptrIcEEEEPS5_m14custom_greaterIcEEE10hipError_tT0_T1_T2_jT3_P12ihipStream_tbPNSt15iterator_traitsISJ_E10value_typeEPNSP_ISK_E10value_typeEPSL_NS1_7vsmem_tEENKUlT_SJ_SK_SL_E_clISE_PcSF_SF_EESI_SY_SJ_SK_SL_EUlSY_E_NS1_11comp_targetILNS1_3genE10ELNS1_11target_archE1201ELNS1_3gpuE5ELNS1_3repE0EEENS1_48merge_mergepath_partition_config_static_selectorELNS0_4arch9wavefront6targetE1EEEvSK_
	.globl	_ZN7rocprim17ROCPRIM_400000_NS6detail17trampoline_kernelINS0_14default_configENS1_38merge_sort_block_merge_config_selectorIcNS0_10empty_typeEEEZZNS1_27merge_sort_block_merge_implIS3_N6thrust23THRUST_200600_302600_NS6detail15normal_iteratorINS9_10device_ptrIcEEEEPS5_m14custom_greaterIcEEE10hipError_tT0_T1_T2_jT3_P12ihipStream_tbPNSt15iterator_traitsISJ_E10value_typeEPNSP_ISK_E10value_typeEPSL_NS1_7vsmem_tEENKUlT_SJ_SK_SL_E_clISE_PcSF_SF_EESI_SY_SJ_SK_SL_EUlSY_E_NS1_11comp_targetILNS1_3genE10ELNS1_11target_archE1201ELNS1_3gpuE5ELNS1_3repE0EEENS1_48merge_mergepath_partition_config_static_selectorELNS0_4arch9wavefront6targetE1EEEvSK_
	.p2align	8
	.type	_ZN7rocprim17ROCPRIM_400000_NS6detail17trampoline_kernelINS0_14default_configENS1_38merge_sort_block_merge_config_selectorIcNS0_10empty_typeEEEZZNS1_27merge_sort_block_merge_implIS3_N6thrust23THRUST_200600_302600_NS6detail15normal_iteratorINS9_10device_ptrIcEEEEPS5_m14custom_greaterIcEEE10hipError_tT0_T1_T2_jT3_P12ihipStream_tbPNSt15iterator_traitsISJ_E10value_typeEPNSP_ISK_E10value_typeEPSL_NS1_7vsmem_tEENKUlT_SJ_SK_SL_E_clISE_PcSF_SF_EESI_SY_SJ_SK_SL_EUlSY_E_NS1_11comp_targetILNS1_3genE10ELNS1_11target_archE1201ELNS1_3gpuE5ELNS1_3repE0EEENS1_48merge_mergepath_partition_config_static_selectorELNS0_4arch9wavefront6targetE1EEEvSK_,@function
_ZN7rocprim17ROCPRIM_400000_NS6detail17trampoline_kernelINS0_14default_configENS1_38merge_sort_block_merge_config_selectorIcNS0_10empty_typeEEEZZNS1_27merge_sort_block_merge_implIS3_N6thrust23THRUST_200600_302600_NS6detail15normal_iteratorINS9_10device_ptrIcEEEEPS5_m14custom_greaterIcEEE10hipError_tT0_T1_T2_jT3_P12ihipStream_tbPNSt15iterator_traitsISJ_E10value_typeEPNSP_ISK_E10value_typeEPSL_NS1_7vsmem_tEENKUlT_SJ_SK_SL_E_clISE_PcSF_SF_EESI_SY_SJ_SK_SL_EUlSY_E_NS1_11comp_targetILNS1_3genE10ELNS1_11target_archE1201ELNS1_3gpuE5ELNS1_3repE0EEENS1_48merge_mergepath_partition_config_static_selectorELNS0_4arch9wavefront6targetE1EEEvSK_: ; @_ZN7rocprim17ROCPRIM_400000_NS6detail17trampoline_kernelINS0_14default_configENS1_38merge_sort_block_merge_config_selectorIcNS0_10empty_typeEEEZZNS1_27merge_sort_block_merge_implIS3_N6thrust23THRUST_200600_302600_NS6detail15normal_iteratorINS9_10device_ptrIcEEEEPS5_m14custom_greaterIcEEE10hipError_tT0_T1_T2_jT3_P12ihipStream_tbPNSt15iterator_traitsISJ_E10value_typeEPNSP_ISK_E10value_typeEPSL_NS1_7vsmem_tEENKUlT_SJ_SK_SL_E_clISE_PcSF_SF_EESI_SY_SJ_SK_SL_EUlSY_E_NS1_11comp_targetILNS1_3genE10ELNS1_11target_archE1201ELNS1_3gpuE5ELNS1_3repE0EEENS1_48merge_mergepath_partition_config_static_selectorELNS0_4arch9wavefront6targetE1EEEvSK_
; %bb.0:
	.section	.rodata,"a",@progbits
	.p2align	6, 0x0
	.amdhsa_kernel _ZN7rocprim17ROCPRIM_400000_NS6detail17trampoline_kernelINS0_14default_configENS1_38merge_sort_block_merge_config_selectorIcNS0_10empty_typeEEEZZNS1_27merge_sort_block_merge_implIS3_N6thrust23THRUST_200600_302600_NS6detail15normal_iteratorINS9_10device_ptrIcEEEEPS5_m14custom_greaterIcEEE10hipError_tT0_T1_T2_jT3_P12ihipStream_tbPNSt15iterator_traitsISJ_E10value_typeEPNSP_ISK_E10value_typeEPSL_NS1_7vsmem_tEENKUlT_SJ_SK_SL_E_clISE_PcSF_SF_EESI_SY_SJ_SK_SL_EUlSY_E_NS1_11comp_targetILNS1_3genE10ELNS1_11target_archE1201ELNS1_3gpuE5ELNS1_3repE0EEENS1_48merge_mergepath_partition_config_static_selectorELNS0_4arch9wavefront6targetE1EEEvSK_
		.amdhsa_group_segment_fixed_size 0
		.amdhsa_private_segment_fixed_size 0
		.amdhsa_kernarg_size 48
		.amdhsa_user_sgpr_count 6
		.amdhsa_user_sgpr_private_segment_buffer 1
		.amdhsa_user_sgpr_dispatch_ptr 0
		.amdhsa_user_sgpr_queue_ptr 0
		.amdhsa_user_sgpr_kernarg_segment_ptr 1
		.amdhsa_user_sgpr_dispatch_id 0
		.amdhsa_user_sgpr_flat_scratch_init 0
		.amdhsa_user_sgpr_kernarg_preload_length 0
		.amdhsa_user_sgpr_kernarg_preload_offset 0
		.amdhsa_user_sgpr_private_segment_size 0
		.amdhsa_uses_dynamic_stack 0
		.amdhsa_system_sgpr_private_segment_wavefront_offset 0
		.amdhsa_system_sgpr_workgroup_id_x 1
		.amdhsa_system_sgpr_workgroup_id_y 0
		.amdhsa_system_sgpr_workgroup_id_z 0
		.amdhsa_system_sgpr_workgroup_info 0
		.amdhsa_system_vgpr_workitem_id 0
		.amdhsa_next_free_vgpr 1
		.amdhsa_next_free_sgpr 0
		.amdhsa_accum_offset 4
		.amdhsa_reserve_vcc 0
		.amdhsa_reserve_flat_scratch 0
		.amdhsa_float_round_mode_32 0
		.amdhsa_float_round_mode_16_64 0
		.amdhsa_float_denorm_mode_32 3
		.amdhsa_float_denorm_mode_16_64 3
		.amdhsa_dx10_clamp 1
		.amdhsa_ieee_mode 1
		.amdhsa_fp16_overflow 0
		.amdhsa_tg_split 0
		.amdhsa_exception_fp_ieee_invalid_op 0
		.amdhsa_exception_fp_denorm_src 0
		.amdhsa_exception_fp_ieee_div_zero 0
		.amdhsa_exception_fp_ieee_overflow 0
		.amdhsa_exception_fp_ieee_underflow 0
		.amdhsa_exception_fp_ieee_inexact 0
		.amdhsa_exception_int_div_zero 0
	.end_amdhsa_kernel
	.section	.text._ZN7rocprim17ROCPRIM_400000_NS6detail17trampoline_kernelINS0_14default_configENS1_38merge_sort_block_merge_config_selectorIcNS0_10empty_typeEEEZZNS1_27merge_sort_block_merge_implIS3_N6thrust23THRUST_200600_302600_NS6detail15normal_iteratorINS9_10device_ptrIcEEEEPS5_m14custom_greaterIcEEE10hipError_tT0_T1_T2_jT3_P12ihipStream_tbPNSt15iterator_traitsISJ_E10value_typeEPNSP_ISK_E10value_typeEPSL_NS1_7vsmem_tEENKUlT_SJ_SK_SL_E_clISE_PcSF_SF_EESI_SY_SJ_SK_SL_EUlSY_E_NS1_11comp_targetILNS1_3genE10ELNS1_11target_archE1201ELNS1_3gpuE5ELNS1_3repE0EEENS1_48merge_mergepath_partition_config_static_selectorELNS0_4arch9wavefront6targetE1EEEvSK_,"axG",@progbits,_ZN7rocprim17ROCPRIM_400000_NS6detail17trampoline_kernelINS0_14default_configENS1_38merge_sort_block_merge_config_selectorIcNS0_10empty_typeEEEZZNS1_27merge_sort_block_merge_implIS3_N6thrust23THRUST_200600_302600_NS6detail15normal_iteratorINS9_10device_ptrIcEEEEPS5_m14custom_greaterIcEEE10hipError_tT0_T1_T2_jT3_P12ihipStream_tbPNSt15iterator_traitsISJ_E10value_typeEPNSP_ISK_E10value_typeEPSL_NS1_7vsmem_tEENKUlT_SJ_SK_SL_E_clISE_PcSF_SF_EESI_SY_SJ_SK_SL_EUlSY_E_NS1_11comp_targetILNS1_3genE10ELNS1_11target_archE1201ELNS1_3gpuE5ELNS1_3repE0EEENS1_48merge_mergepath_partition_config_static_selectorELNS0_4arch9wavefront6targetE1EEEvSK_,comdat
.Lfunc_end2734:
	.size	_ZN7rocprim17ROCPRIM_400000_NS6detail17trampoline_kernelINS0_14default_configENS1_38merge_sort_block_merge_config_selectorIcNS0_10empty_typeEEEZZNS1_27merge_sort_block_merge_implIS3_N6thrust23THRUST_200600_302600_NS6detail15normal_iteratorINS9_10device_ptrIcEEEEPS5_m14custom_greaterIcEEE10hipError_tT0_T1_T2_jT3_P12ihipStream_tbPNSt15iterator_traitsISJ_E10value_typeEPNSP_ISK_E10value_typeEPSL_NS1_7vsmem_tEENKUlT_SJ_SK_SL_E_clISE_PcSF_SF_EESI_SY_SJ_SK_SL_EUlSY_E_NS1_11comp_targetILNS1_3genE10ELNS1_11target_archE1201ELNS1_3gpuE5ELNS1_3repE0EEENS1_48merge_mergepath_partition_config_static_selectorELNS0_4arch9wavefront6targetE1EEEvSK_, .Lfunc_end2734-_ZN7rocprim17ROCPRIM_400000_NS6detail17trampoline_kernelINS0_14default_configENS1_38merge_sort_block_merge_config_selectorIcNS0_10empty_typeEEEZZNS1_27merge_sort_block_merge_implIS3_N6thrust23THRUST_200600_302600_NS6detail15normal_iteratorINS9_10device_ptrIcEEEEPS5_m14custom_greaterIcEEE10hipError_tT0_T1_T2_jT3_P12ihipStream_tbPNSt15iterator_traitsISJ_E10value_typeEPNSP_ISK_E10value_typeEPSL_NS1_7vsmem_tEENKUlT_SJ_SK_SL_E_clISE_PcSF_SF_EESI_SY_SJ_SK_SL_EUlSY_E_NS1_11comp_targetILNS1_3genE10ELNS1_11target_archE1201ELNS1_3gpuE5ELNS1_3repE0EEENS1_48merge_mergepath_partition_config_static_selectorELNS0_4arch9wavefront6targetE1EEEvSK_
                                        ; -- End function
	.section	.AMDGPU.csdata,"",@progbits
; Kernel info:
; codeLenInByte = 0
; NumSgprs: 4
; NumVgprs: 0
; NumAgprs: 0
; TotalNumVgprs: 0
; ScratchSize: 0
; MemoryBound: 0
; FloatMode: 240
; IeeeMode: 1
; LDSByteSize: 0 bytes/workgroup (compile time only)
; SGPRBlocks: 0
; VGPRBlocks: 0
; NumSGPRsForWavesPerEU: 4
; NumVGPRsForWavesPerEU: 1
; AccumOffset: 4
; Occupancy: 8
; WaveLimiterHint : 0
; COMPUTE_PGM_RSRC2:SCRATCH_EN: 0
; COMPUTE_PGM_RSRC2:USER_SGPR: 6
; COMPUTE_PGM_RSRC2:TRAP_HANDLER: 0
; COMPUTE_PGM_RSRC2:TGID_X_EN: 1
; COMPUTE_PGM_RSRC2:TGID_Y_EN: 0
; COMPUTE_PGM_RSRC2:TGID_Z_EN: 0
; COMPUTE_PGM_RSRC2:TIDIG_COMP_CNT: 0
; COMPUTE_PGM_RSRC3_GFX90A:ACCUM_OFFSET: 0
; COMPUTE_PGM_RSRC3_GFX90A:TG_SPLIT: 0
	.section	.text._ZN7rocprim17ROCPRIM_400000_NS6detail17trampoline_kernelINS0_14default_configENS1_38merge_sort_block_merge_config_selectorIcNS0_10empty_typeEEEZZNS1_27merge_sort_block_merge_implIS3_N6thrust23THRUST_200600_302600_NS6detail15normal_iteratorINS9_10device_ptrIcEEEEPS5_m14custom_greaterIcEEE10hipError_tT0_T1_T2_jT3_P12ihipStream_tbPNSt15iterator_traitsISJ_E10value_typeEPNSP_ISK_E10value_typeEPSL_NS1_7vsmem_tEENKUlT_SJ_SK_SL_E_clISE_PcSF_SF_EESI_SY_SJ_SK_SL_EUlSY_E_NS1_11comp_targetILNS1_3genE5ELNS1_11target_archE942ELNS1_3gpuE9ELNS1_3repE0EEENS1_48merge_mergepath_partition_config_static_selectorELNS0_4arch9wavefront6targetE1EEEvSK_,"axG",@progbits,_ZN7rocprim17ROCPRIM_400000_NS6detail17trampoline_kernelINS0_14default_configENS1_38merge_sort_block_merge_config_selectorIcNS0_10empty_typeEEEZZNS1_27merge_sort_block_merge_implIS3_N6thrust23THRUST_200600_302600_NS6detail15normal_iteratorINS9_10device_ptrIcEEEEPS5_m14custom_greaterIcEEE10hipError_tT0_T1_T2_jT3_P12ihipStream_tbPNSt15iterator_traitsISJ_E10value_typeEPNSP_ISK_E10value_typeEPSL_NS1_7vsmem_tEENKUlT_SJ_SK_SL_E_clISE_PcSF_SF_EESI_SY_SJ_SK_SL_EUlSY_E_NS1_11comp_targetILNS1_3genE5ELNS1_11target_archE942ELNS1_3gpuE9ELNS1_3repE0EEENS1_48merge_mergepath_partition_config_static_selectorELNS0_4arch9wavefront6targetE1EEEvSK_,comdat
	.protected	_ZN7rocprim17ROCPRIM_400000_NS6detail17trampoline_kernelINS0_14default_configENS1_38merge_sort_block_merge_config_selectorIcNS0_10empty_typeEEEZZNS1_27merge_sort_block_merge_implIS3_N6thrust23THRUST_200600_302600_NS6detail15normal_iteratorINS9_10device_ptrIcEEEEPS5_m14custom_greaterIcEEE10hipError_tT0_T1_T2_jT3_P12ihipStream_tbPNSt15iterator_traitsISJ_E10value_typeEPNSP_ISK_E10value_typeEPSL_NS1_7vsmem_tEENKUlT_SJ_SK_SL_E_clISE_PcSF_SF_EESI_SY_SJ_SK_SL_EUlSY_E_NS1_11comp_targetILNS1_3genE5ELNS1_11target_archE942ELNS1_3gpuE9ELNS1_3repE0EEENS1_48merge_mergepath_partition_config_static_selectorELNS0_4arch9wavefront6targetE1EEEvSK_ ; -- Begin function _ZN7rocprim17ROCPRIM_400000_NS6detail17trampoline_kernelINS0_14default_configENS1_38merge_sort_block_merge_config_selectorIcNS0_10empty_typeEEEZZNS1_27merge_sort_block_merge_implIS3_N6thrust23THRUST_200600_302600_NS6detail15normal_iteratorINS9_10device_ptrIcEEEEPS5_m14custom_greaterIcEEE10hipError_tT0_T1_T2_jT3_P12ihipStream_tbPNSt15iterator_traitsISJ_E10value_typeEPNSP_ISK_E10value_typeEPSL_NS1_7vsmem_tEENKUlT_SJ_SK_SL_E_clISE_PcSF_SF_EESI_SY_SJ_SK_SL_EUlSY_E_NS1_11comp_targetILNS1_3genE5ELNS1_11target_archE942ELNS1_3gpuE9ELNS1_3repE0EEENS1_48merge_mergepath_partition_config_static_selectorELNS0_4arch9wavefront6targetE1EEEvSK_
	.globl	_ZN7rocprim17ROCPRIM_400000_NS6detail17trampoline_kernelINS0_14default_configENS1_38merge_sort_block_merge_config_selectorIcNS0_10empty_typeEEEZZNS1_27merge_sort_block_merge_implIS3_N6thrust23THRUST_200600_302600_NS6detail15normal_iteratorINS9_10device_ptrIcEEEEPS5_m14custom_greaterIcEEE10hipError_tT0_T1_T2_jT3_P12ihipStream_tbPNSt15iterator_traitsISJ_E10value_typeEPNSP_ISK_E10value_typeEPSL_NS1_7vsmem_tEENKUlT_SJ_SK_SL_E_clISE_PcSF_SF_EESI_SY_SJ_SK_SL_EUlSY_E_NS1_11comp_targetILNS1_3genE5ELNS1_11target_archE942ELNS1_3gpuE9ELNS1_3repE0EEENS1_48merge_mergepath_partition_config_static_selectorELNS0_4arch9wavefront6targetE1EEEvSK_
	.p2align	8
	.type	_ZN7rocprim17ROCPRIM_400000_NS6detail17trampoline_kernelINS0_14default_configENS1_38merge_sort_block_merge_config_selectorIcNS0_10empty_typeEEEZZNS1_27merge_sort_block_merge_implIS3_N6thrust23THRUST_200600_302600_NS6detail15normal_iteratorINS9_10device_ptrIcEEEEPS5_m14custom_greaterIcEEE10hipError_tT0_T1_T2_jT3_P12ihipStream_tbPNSt15iterator_traitsISJ_E10value_typeEPNSP_ISK_E10value_typeEPSL_NS1_7vsmem_tEENKUlT_SJ_SK_SL_E_clISE_PcSF_SF_EESI_SY_SJ_SK_SL_EUlSY_E_NS1_11comp_targetILNS1_3genE5ELNS1_11target_archE942ELNS1_3gpuE9ELNS1_3repE0EEENS1_48merge_mergepath_partition_config_static_selectorELNS0_4arch9wavefront6targetE1EEEvSK_,@function
_ZN7rocprim17ROCPRIM_400000_NS6detail17trampoline_kernelINS0_14default_configENS1_38merge_sort_block_merge_config_selectorIcNS0_10empty_typeEEEZZNS1_27merge_sort_block_merge_implIS3_N6thrust23THRUST_200600_302600_NS6detail15normal_iteratorINS9_10device_ptrIcEEEEPS5_m14custom_greaterIcEEE10hipError_tT0_T1_T2_jT3_P12ihipStream_tbPNSt15iterator_traitsISJ_E10value_typeEPNSP_ISK_E10value_typeEPSL_NS1_7vsmem_tEENKUlT_SJ_SK_SL_E_clISE_PcSF_SF_EESI_SY_SJ_SK_SL_EUlSY_E_NS1_11comp_targetILNS1_3genE5ELNS1_11target_archE942ELNS1_3gpuE9ELNS1_3repE0EEENS1_48merge_mergepath_partition_config_static_selectorELNS0_4arch9wavefront6targetE1EEEvSK_: ; @_ZN7rocprim17ROCPRIM_400000_NS6detail17trampoline_kernelINS0_14default_configENS1_38merge_sort_block_merge_config_selectorIcNS0_10empty_typeEEEZZNS1_27merge_sort_block_merge_implIS3_N6thrust23THRUST_200600_302600_NS6detail15normal_iteratorINS9_10device_ptrIcEEEEPS5_m14custom_greaterIcEEE10hipError_tT0_T1_T2_jT3_P12ihipStream_tbPNSt15iterator_traitsISJ_E10value_typeEPNSP_ISK_E10value_typeEPSL_NS1_7vsmem_tEENKUlT_SJ_SK_SL_E_clISE_PcSF_SF_EESI_SY_SJ_SK_SL_EUlSY_E_NS1_11comp_targetILNS1_3genE5ELNS1_11target_archE942ELNS1_3gpuE9ELNS1_3repE0EEENS1_48merge_mergepath_partition_config_static_selectorELNS0_4arch9wavefront6targetE1EEEvSK_
; %bb.0:
	.section	.rodata,"a",@progbits
	.p2align	6, 0x0
	.amdhsa_kernel _ZN7rocprim17ROCPRIM_400000_NS6detail17trampoline_kernelINS0_14default_configENS1_38merge_sort_block_merge_config_selectorIcNS0_10empty_typeEEEZZNS1_27merge_sort_block_merge_implIS3_N6thrust23THRUST_200600_302600_NS6detail15normal_iteratorINS9_10device_ptrIcEEEEPS5_m14custom_greaterIcEEE10hipError_tT0_T1_T2_jT3_P12ihipStream_tbPNSt15iterator_traitsISJ_E10value_typeEPNSP_ISK_E10value_typeEPSL_NS1_7vsmem_tEENKUlT_SJ_SK_SL_E_clISE_PcSF_SF_EESI_SY_SJ_SK_SL_EUlSY_E_NS1_11comp_targetILNS1_3genE5ELNS1_11target_archE942ELNS1_3gpuE9ELNS1_3repE0EEENS1_48merge_mergepath_partition_config_static_selectorELNS0_4arch9wavefront6targetE1EEEvSK_
		.amdhsa_group_segment_fixed_size 0
		.amdhsa_private_segment_fixed_size 0
		.amdhsa_kernarg_size 48
		.amdhsa_user_sgpr_count 6
		.amdhsa_user_sgpr_private_segment_buffer 1
		.amdhsa_user_sgpr_dispatch_ptr 0
		.amdhsa_user_sgpr_queue_ptr 0
		.amdhsa_user_sgpr_kernarg_segment_ptr 1
		.amdhsa_user_sgpr_dispatch_id 0
		.amdhsa_user_sgpr_flat_scratch_init 0
		.amdhsa_user_sgpr_kernarg_preload_length 0
		.amdhsa_user_sgpr_kernarg_preload_offset 0
		.amdhsa_user_sgpr_private_segment_size 0
		.amdhsa_uses_dynamic_stack 0
		.amdhsa_system_sgpr_private_segment_wavefront_offset 0
		.amdhsa_system_sgpr_workgroup_id_x 1
		.amdhsa_system_sgpr_workgroup_id_y 0
		.amdhsa_system_sgpr_workgroup_id_z 0
		.amdhsa_system_sgpr_workgroup_info 0
		.amdhsa_system_vgpr_workitem_id 0
		.amdhsa_next_free_vgpr 1
		.amdhsa_next_free_sgpr 0
		.amdhsa_accum_offset 4
		.amdhsa_reserve_vcc 0
		.amdhsa_reserve_flat_scratch 0
		.amdhsa_float_round_mode_32 0
		.amdhsa_float_round_mode_16_64 0
		.amdhsa_float_denorm_mode_32 3
		.amdhsa_float_denorm_mode_16_64 3
		.amdhsa_dx10_clamp 1
		.amdhsa_ieee_mode 1
		.amdhsa_fp16_overflow 0
		.amdhsa_tg_split 0
		.amdhsa_exception_fp_ieee_invalid_op 0
		.amdhsa_exception_fp_denorm_src 0
		.amdhsa_exception_fp_ieee_div_zero 0
		.amdhsa_exception_fp_ieee_overflow 0
		.amdhsa_exception_fp_ieee_underflow 0
		.amdhsa_exception_fp_ieee_inexact 0
		.amdhsa_exception_int_div_zero 0
	.end_amdhsa_kernel
	.section	.text._ZN7rocprim17ROCPRIM_400000_NS6detail17trampoline_kernelINS0_14default_configENS1_38merge_sort_block_merge_config_selectorIcNS0_10empty_typeEEEZZNS1_27merge_sort_block_merge_implIS3_N6thrust23THRUST_200600_302600_NS6detail15normal_iteratorINS9_10device_ptrIcEEEEPS5_m14custom_greaterIcEEE10hipError_tT0_T1_T2_jT3_P12ihipStream_tbPNSt15iterator_traitsISJ_E10value_typeEPNSP_ISK_E10value_typeEPSL_NS1_7vsmem_tEENKUlT_SJ_SK_SL_E_clISE_PcSF_SF_EESI_SY_SJ_SK_SL_EUlSY_E_NS1_11comp_targetILNS1_3genE5ELNS1_11target_archE942ELNS1_3gpuE9ELNS1_3repE0EEENS1_48merge_mergepath_partition_config_static_selectorELNS0_4arch9wavefront6targetE1EEEvSK_,"axG",@progbits,_ZN7rocprim17ROCPRIM_400000_NS6detail17trampoline_kernelINS0_14default_configENS1_38merge_sort_block_merge_config_selectorIcNS0_10empty_typeEEEZZNS1_27merge_sort_block_merge_implIS3_N6thrust23THRUST_200600_302600_NS6detail15normal_iteratorINS9_10device_ptrIcEEEEPS5_m14custom_greaterIcEEE10hipError_tT0_T1_T2_jT3_P12ihipStream_tbPNSt15iterator_traitsISJ_E10value_typeEPNSP_ISK_E10value_typeEPSL_NS1_7vsmem_tEENKUlT_SJ_SK_SL_E_clISE_PcSF_SF_EESI_SY_SJ_SK_SL_EUlSY_E_NS1_11comp_targetILNS1_3genE5ELNS1_11target_archE942ELNS1_3gpuE9ELNS1_3repE0EEENS1_48merge_mergepath_partition_config_static_selectorELNS0_4arch9wavefront6targetE1EEEvSK_,comdat
.Lfunc_end2735:
	.size	_ZN7rocprim17ROCPRIM_400000_NS6detail17trampoline_kernelINS0_14default_configENS1_38merge_sort_block_merge_config_selectorIcNS0_10empty_typeEEEZZNS1_27merge_sort_block_merge_implIS3_N6thrust23THRUST_200600_302600_NS6detail15normal_iteratorINS9_10device_ptrIcEEEEPS5_m14custom_greaterIcEEE10hipError_tT0_T1_T2_jT3_P12ihipStream_tbPNSt15iterator_traitsISJ_E10value_typeEPNSP_ISK_E10value_typeEPSL_NS1_7vsmem_tEENKUlT_SJ_SK_SL_E_clISE_PcSF_SF_EESI_SY_SJ_SK_SL_EUlSY_E_NS1_11comp_targetILNS1_3genE5ELNS1_11target_archE942ELNS1_3gpuE9ELNS1_3repE0EEENS1_48merge_mergepath_partition_config_static_selectorELNS0_4arch9wavefront6targetE1EEEvSK_, .Lfunc_end2735-_ZN7rocprim17ROCPRIM_400000_NS6detail17trampoline_kernelINS0_14default_configENS1_38merge_sort_block_merge_config_selectorIcNS0_10empty_typeEEEZZNS1_27merge_sort_block_merge_implIS3_N6thrust23THRUST_200600_302600_NS6detail15normal_iteratorINS9_10device_ptrIcEEEEPS5_m14custom_greaterIcEEE10hipError_tT0_T1_T2_jT3_P12ihipStream_tbPNSt15iterator_traitsISJ_E10value_typeEPNSP_ISK_E10value_typeEPSL_NS1_7vsmem_tEENKUlT_SJ_SK_SL_E_clISE_PcSF_SF_EESI_SY_SJ_SK_SL_EUlSY_E_NS1_11comp_targetILNS1_3genE5ELNS1_11target_archE942ELNS1_3gpuE9ELNS1_3repE0EEENS1_48merge_mergepath_partition_config_static_selectorELNS0_4arch9wavefront6targetE1EEEvSK_
                                        ; -- End function
	.section	.AMDGPU.csdata,"",@progbits
; Kernel info:
; codeLenInByte = 0
; NumSgprs: 4
; NumVgprs: 0
; NumAgprs: 0
; TotalNumVgprs: 0
; ScratchSize: 0
; MemoryBound: 0
; FloatMode: 240
; IeeeMode: 1
; LDSByteSize: 0 bytes/workgroup (compile time only)
; SGPRBlocks: 0
; VGPRBlocks: 0
; NumSGPRsForWavesPerEU: 4
; NumVGPRsForWavesPerEU: 1
; AccumOffset: 4
; Occupancy: 8
; WaveLimiterHint : 0
; COMPUTE_PGM_RSRC2:SCRATCH_EN: 0
; COMPUTE_PGM_RSRC2:USER_SGPR: 6
; COMPUTE_PGM_RSRC2:TRAP_HANDLER: 0
; COMPUTE_PGM_RSRC2:TGID_X_EN: 1
; COMPUTE_PGM_RSRC2:TGID_Y_EN: 0
; COMPUTE_PGM_RSRC2:TGID_Z_EN: 0
; COMPUTE_PGM_RSRC2:TIDIG_COMP_CNT: 0
; COMPUTE_PGM_RSRC3_GFX90A:ACCUM_OFFSET: 0
; COMPUTE_PGM_RSRC3_GFX90A:TG_SPLIT: 0
	.section	.text._ZN7rocprim17ROCPRIM_400000_NS6detail17trampoline_kernelINS0_14default_configENS1_38merge_sort_block_merge_config_selectorIcNS0_10empty_typeEEEZZNS1_27merge_sort_block_merge_implIS3_N6thrust23THRUST_200600_302600_NS6detail15normal_iteratorINS9_10device_ptrIcEEEEPS5_m14custom_greaterIcEEE10hipError_tT0_T1_T2_jT3_P12ihipStream_tbPNSt15iterator_traitsISJ_E10value_typeEPNSP_ISK_E10value_typeEPSL_NS1_7vsmem_tEENKUlT_SJ_SK_SL_E_clISE_PcSF_SF_EESI_SY_SJ_SK_SL_EUlSY_E_NS1_11comp_targetILNS1_3genE4ELNS1_11target_archE910ELNS1_3gpuE8ELNS1_3repE0EEENS1_48merge_mergepath_partition_config_static_selectorELNS0_4arch9wavefront6targetE1EEEvSK_,"axG",@progbits,_ZN7rocprim17ROCPRIM_400000_NS6detail17trampoline_kernelINS0_14default_configENS1_38merge_sort_block_merge_config_selectorIcNS0_10empty_typeEEEZZNS1_27merge_sort_block_merge_implIS3_N6thrust23THRUST_200600_302600_NS6detail15normal_iteratorINS9_10device_ptrIcEEEEPS5_m14custom_greaterIcEEE10hipError_tT0_T1_T2_jT3_P12ihipStream_tbPNSt15iterator_traitsISJ_E10value_typeEPNSP_ISK_E10value_typeEPSL_NS1_7vsmem_tEENKUlT_SJ_SK_SL_E_clISE_PcSF_SF_EESI_SY_SJ_SK_SL_EUlSY_E_NS1_11comp_targetILNS1_3genE4ELNS1_11target_archE910ELNS1_3gpuE8ELNS1_3repE0EEENS1_48merge_mergepath_partition_config_static_selectorELNS0_4arch9wavefront6targetE1EEEvSK_,comdat
	.protected	_ZN7rocprim17ROCPRIM_400000_NS6detail17trampoline_kernelINS0_14default_configENS1_38merge_sort_block_merge_config_selectorIcNS0_10empty_typeEEEZZNS1_27merge_sort_block_merge_implIS3_N6thrust23THRUST_200600_302600_NS6detail15normal_iteratorINS9_10device_ptrIcEEEEPS5_m14custom_greaterIcEEE10hipError_tT0_T1_T2_jT3_P12ihipStream_tbPNSt15iterator_traitsISJ_E10value_typeEPNSP_ISK_E10value_typeEPSL_NS1_7vsmem_tEENKUlT_SJ_SK_SL_E_clISE_PcSF_SF_EESI_SY_SJ_SK_SL_EUlSY_E_NS1_11comp_targetILNS1_3genE4ELNS1_11target_archE910ELNS1_3gpuE8ELNS1_3repE0EEENS1_48merge_mergepath_partition_config_static_selectorELNS0_4arch9wavefront6targetE1EEEvSK_ ; -- Begin function _ZN7rocprim17ROCPRIM_400000_NS6detail17trampoline_kernelINS0_14default_configENS1_38merge_sort_block_merge_config_selectorIcNS0_10empty_typeEEEZZNS1_27merge_sort_block_merge_implIS3_N6thrust23THRUST_200600_302600_NS6detail15normal_iteratorINS9_10device_ptrIcEEEEPS5_m14custom_greaterIcEEE10hipError_tT0_T1_T2_jT3_P12ihipStream_tbPNSt15iterator_traitsISJ_E10value_typeEPNSP_ISK_E10value_typeEPSL_NS1_7vsmem_tEENKUlT_SJ_SK_SL_E_clISE_PcSF_SF_EESI_SY_SJ_SK_SL_EUlSY_E_NS1_11comp_targetILNS1_3genE4ELNS1_11target_archE910ELNS1_3gpuE8ELNS1_3repE0EEENS1_48merge_mergepath_partition_config_static_selectorELNS0_4arch9wavefront6targetE1EEEvSK_
	.globl	_ZN7rocprim17ROCPRIM_400000_NS6detail17trampoline_kernelINS0_14default_configENS1_38merge_sort_block_merge_config_selectorIcNS0_10empty_typeEEEZZNS1_27merge_sort_block_merge_implIS3_N6thrust23THRUST_200600_302600_NS6detail15normal_iteratorINS9_10device_ptrIcEEEEPS5_m14custom_greaterIcEEE10hipError_tT0_T1_T2_jT3_P12ihipStream_tbPNSt15iterator_traitsISJ_E10value_typeEPNSP_ISK_E10value_typeEPSL_NS1_7vsmem_tEENKUlT_SJ_SK_SL_E_clISE_PcSF_SF_EESI_SY_SJ_SK_SL_EUlSY_E_NS1_11comp_targetILNS1_3genE4ELNS1_11target_archE910ELNS1_3gpuE8ELNS1_3repE0EEENS1_48merge_mergepath_partition_config_static_selectorELNS0_4arch9wavefront6targetE1EEEvSK_
	.p2align	8
	.type	_ZN7rocprim17ROCPRIM_400000_NS6detail17trampoline_kernelINS0_14default_configENS1_38merge_sort_block_merge_config_selectorIcNS0_10empty_typeEEEZZNS1_27merge_sort_block_merge_implIS3_N6thrust23THRUST_200600_302600_NS6detail15normal_iteratorINS9_10device_ptrIcEEEEPS5_m14custom_greaterIcEEE10hipError_tT0_T1_T2_jT3_P12ihipStream_tbPNSt15iterator_traitsISJ_E10value_typeEPNSP_ISK_E10value_typeEPSL_NS1_7vsmem_tEENKUlT_SJ_SK_SL_E_clISE_PcSF_SF_EESI_SY_SJ_SK_SL_EUlSY_E_NS1_11comp_targetILNS1_3genE4ELNS1_11target_archE910ELNS1_3gpuE8ELNS1_3repE0EEENS1_48merge_mergepath_partition_config_static_selectorELNS0_4arch9wavefront6targetE1EEEvSK_,@function
_ZN7rocprim17ROCPRIM_400000_NS6detail17trampoline_kernelINS0_14default_configENS1_38merge_sort_block_merge_config_selectorIcNS0_10empty_typeEEEZZNS1_27merge_sort_block_merge_implIS3_N6thrust23THRUST_200600_302600_NS6detail15normal_iteratorINS9_10device_ptrIcEEEEPS5_m14custom_greaterIcEEE10hipError_tT0_T1_T2_jT3_P12ihipStream_tbPNSt15iterator_traitsISJ_E10value_typeEPNSP_ISK_E10value_typeEPSL_NS1_7vsmem_tEENKUlT_SJ_SK_SL_E_clISE_PcSF_SF_EESI_SY_SJ_SK_SL_EUlSY_E_NS1_11comp_targetILNS1_3genE4ELNS1_11target_archE910ELNS1_3gpuE8ELNS1_3repE0EEENS1_48merge_mergepath_partition_config_static_selectorELNS0_4arch9wavefront6targetE1EEEvSK_: ; @_ZN7rocprim17ROCPRIM_400000_NS6detail17trampoline_kernelINS0_14default_configENS1_38merge_sort_block_merge_config_selectorIcNS0_10empty_typeEEEZZNS1_27merge_sort_block_merge_implIS3_N6thrust23THRUST_200600_302600_NS6detail15normal_iteratorINS9_10device_ptrIcEEEEPS5_m14custom_greaterIcEEE10hipError_tT0_T1_T2_jT3_P12ihipStream_tbPNSt15iterator_traitsISJ_E10value_typeEPNSP_ISK_E10value_typeEPSL_NS1_7vsmem_tEENKUlT_SJ_SK_SL_E_clISE_PcSF_SF_EESI_SY_SJ_SK_SL_EUlSY_E_NS1_11comp_targetILNS1_3genE4ELNS1_11target_archE910ELNS1_3gpuE8ELNS1_3repE0EEENS1_48merge_mergepath_partition_config_static_selectorELNS0_4arch9wavefront6targetE1EEEvSK_
; %bb.0:
	s_load_dword s0, s[4:5], 0x0
	v_lshl_or_b32 v0, s6, 7, v0
	s_waitcnt lgkmcnt(0)
	v_cmp_gt_u32_e32 vcc, s0, v0
	s_and_saveexec_b64 s[0:1], vcc
	s_cbranch_execz .LBB2736_6
; %bb.1:
	s_load_dwordx4 s[0:3], s[4:5], 0x8
	s_load_dwordx2 s[6:7], s[4:5], 0x28
	v_mov_b32_e32 v5, 0
	s_waitcnt lgkmcnt(0)
	v_mov_b32_e32 v1, s0
	v_alignbit_b32 v1, s1, v1, 9
	v_and_b32_e32 v1, -2, v1
	v_add_u32_e32 v2, -1, v1
	v_sub_u32_e32 v1, 0, v1
	v_and_b32_e32 v4, v0, v1
	v_lshlrev_b64 v[8:9], 10, v[4:5]
	v_mov_b32_e32 v4, s3
	v_cmp_lt_u64_e32 vcc, s[2:3], v[8:9]
	v_mov_b32_e32 v7, s2
	v_and_b32_e32 v6, v2, v0
	v_cndmask_b32_e32 v1, v9, v4, vcc
	v_cndmask_b32_e32 v2, v8, v7, vcc
	v_mov_b32_e32 v3, s1
	v_add_co_u32_e32 v8, vcc, s0, v8
	v_addc_co_u32_e32 v9, vcc, v9, v3, vcc
	v_cmp_lt_u64_e32 vcc, s[2:3], v[8:9]
	v_cndmask_b32_e32 v8, v8, v7, vcc
	v_cndmask_b32_e32 v3, v9, v4, vcc
	v_mov_b32_e32 v9, s1
	v_add_co_u32_e32 v10, vcc, s0, v8
	v_addc_co_u32_e32 v11, vcc, v3, v9, vcc
	v_cmp_lt_u64_e32 vcc, s[2:3], v[10:11]
	v_cndmask_b32_e32 v12, v10, v7, vcc
	v_cndmask_b32_e32 v9, v11, v4, vcc
	v_sub_co_u32_e32 v10, vcc, v12, v2
	v_mov_b32_e32 v7, v5
	v_subb_co_u32_e32 v11, vcc, v9, v1, vcc
	v_lshlrev_b64 v[4:5], 10, v[6:7]
	v_cmp_lt_u64_e32 vcc, v[10:11], v[4:5]
	v_cndmask_b32_e32 v11, v5, v11, vcc
	v_cndmask_b32_e32 v10, v4, v10, vcc
	v_sub_co_u32_e32 v6, vcc, v8, v2
	v_subb_co_u32_e32 v7, vcc, v3, v1, vcc
	v_sub_co_u32_e32 v4, vcc, v8, v12
	v_subb_co_u32_e32 v5, vcc, v3, v9, vcc
	v_add_co_u32_e32 v4, vcc, v10, v4
	v_addc_co_u32_e32 v5, vcc, v11, v5, vcc
	v_cmp_gt_u64_e32 vcc, v[4:5], v[10:11]
	v_cndmask_b32_e64 v5, v5, 0, vcc
	v_cndmask_b32_e64 v4, v4, 0, vcc
	v_cmp_lt_u64_e32 vcc, v[10:11], v[6:7]
	v_cndmask_b32_e32 v7, v7, v11, vcc
	v_cndmask_b32_e32 v6, v6, v10, vcc
	v_cmp_lt_u64_e32 vcc, v[4:5], v[6:7]
	s_and_saveexec_b64 s[0:1], vcc
	s_cbranch_execz .LBB2736_5
; %bb.2:
	s_load_dwordx2 s[2:3], s[4:5], 0x18
	s_waitcnt lgkmcnt(0)
	v_mov_b32_e32 v13, s3
	v_add_co_u32_e32 v9, vcc, s2, v2
	v_addc_co_u32_e32 v12, vcc, v13, v1, vcc
	v_add_co_u32_e32 v8, vcc, s2, v8
	v_addc_co_u32_e32 v13, vcc, v13, v3, vcc
	;; [unrolled: 2-line block ×3, first 2 shown]
	s_mov_b64 s[2:3], 0
.LBB2736_3:                             ; =>This Inner Loop Header: Depth=1
	v_add_co_u32_e32 v10, vcc, v6, v4
	v_addc_co_u32_e32 v11, vcc, v7, v5, vcc
	v_lshrrev_b64 v[10:11], 1, v[10:11]
	v_add_co_u32_e32 v14, vcc, v9, v10
	v_not_b32_e32 v16, v10
	v_addc_co_u32_e32 v15, vcc, v12, v11, vcc
	v_not_b32_e32 v13, v11
	v_add_co_u32_e32 v16, vcc, v3, v16
	v_addc_co_u32_e32 v17, vcc, v8, v13, vcc
	flat_load_sbyte v13, v[14:15]
	flat_load_sbyte v18, v[16:17]
	v_add_co_u32_e32 v14, vcc, 1, v10
	v_addc_co_u32_e32 v15, vcc, 0, v11, vcc
	s_waitcnt vmcnt(0) lgkmcnt(0)
	v_cmp_gt_i16_e32 vcc, v13, v18
	v_cndmask_b32_e32 v7, v7, v11, vcc
	v_cndmask_b32_e32 v6, v6, v10, vcc
	;; [unrolled: 1-line block ×4, first 2 shown]
	v_cmp_ge_u64_e32 vcc, v[4:5], v[6:7]
	s_or_b64 s[2:3], vcc, s[2:3]
	s_andn2_b64 exec, exec, s[2:3]
	s_cbranch_execnz .LBB2736_3
; %bb.4:
	s_or_b64 exec, exec, s[2:3]
.LBB2736_5:
	s_or_b64 exec, exec, s[0:1]
	v_add_co_u32_e32 v2, vcc, v4, v2
	v_addc_co_u32_e32 v3, vcc, v5, v1, vcc
	v_mov_b32_e32 v1, 0
	v_lshlrev_b64 v[0:1], 3, v[0:1]
	v_mov_b32_e32 v4, s7
	v_add_co_u32_e32 v0, vcc, s6, v0
	v_addc_co_u32_e32 v1, vcc, v4, v1, vcc
	global_store_dwordx2 v[0:1], v[2:3], off
.LBB2736_6:
	s_endpgm
	.section	.rodata,"a",@progbits
	.p2align	6, 0x0
	.amdhsa_kernel _ZN7rocprim17ROCPRIM_400000_NS6detail17trampoline_kernelINS0_14default_configENS1_38merge_sort_block_merge_config_selectorIcNS0_10empty_typeEEEZZNS1_27merge_sort_block_merge_implIS3_N6thrust23THRUST_200600_302600_NS6detail15normal_iteratorINS9_10device_ptrIcEEEEPS5_m14custom_greaterIcEEE10hipError_tT0_T1_T2_jT3_P12ihipStream_tbPNSt15iterator_traitsISJ_E10value_typeEPNSP_ISK_E10value_typeEPSL_NS1_7vsmem_tEENKUlT_SJ_SK_SL_E_clISE_PcSF_SF_EESI_SY_SJ_SK_SL_EUlSY_E_NS1_11comp_targetILNS1_3genE4ELNS1_11target_archE910ELNS1_3gpuE8ELNS1_3repE0EEENS1_48merge_mergepath_partition_config_static_selectorELNS0_4arch9wavefront6targetE1EEEvSK_
		.amdhsa_group_segment_fixed_size 0
		.amdhsa_private_segment_fixed_size 0
		.amdhsa_kernarg_size 48
		.amdhsa_user_sgpr_count 6
		.amdhsa_user_sgpr_private_segment_buffer 1
		.amdhsa_user_sgpr_dispatch_ptr 0
		.amdhsa_user_sgpr_queue_ptr 0
		.amdhsa_user_sgpr_kernarg_segment_ptr 1
		.amdhsa_user_sgpr_dispatch_id 0
		.amdhsa_user_sgpr_flat_scratch_init 0
		.amdhsa_user_sgpr_kernarg_preload_length 0
		.amdhsa_user_sgpr_kernarg_preload_offset 0
		.amdhsa_user_sgpr_private_segment_size 0
		.amdhsa_uses_dynamic_stack 0
		.amdhsa_system_sgpr_private_segment_wavefront_offset 0
		.amdhsa_system_sgpr_workgroup_id_x 1
		.amdhsa_system_sgpr_workgroup_id_y 0
		.amdhsa_system_sgpr_workgroup_id_z 0
		.amdhsa_system_sgpr_workgroup_info 0
		.amdhsa_system_vgpr_workitem_id 0
		.amdhsa_next_free_vgpr 19
		.amdhsa_next_free_sgpr 8
		.amdhsa_accum_offset 20
		.amdhsa_reserve_vcc 1
		.amdhsa_reserve_flat_scratch 0
		.amdhsa_float_round_mode_32 0
		.amdhsa_float_round_mode_16_64 0
		.amdhsa_float_denorm_mode_32 3
		.amdhsa_float_denorm_mode_16_64 3
		.amdhsa_dx10_clamp 1
		.amdhsa_ieee_mode 1
		.amdhsa_fp16_overflow 0
		.amdhsa_tg_split 0
		.amdhsa_exception_fp_ieee_invalid_op 0
		.amdhsa_exception_fp_denorm_src 0
		.amdhsa_exception_fp_ieee_div_zero 0
		.amdhsa_exception_fp_ieee_overflow 0
		.amdhsa_exception_fp_ieee_underflow 0
		.amdhsa_exception_fp_ieee_inexact 0
		.amdhsa_exception_int_div_zero 0
	.end_amdhsa_kernel
	.section	.text._ZN7rocprim17ROCPRIM_400000_NS6detail17trampoline_kernelINS0_14default_configENS1_38merge_sort_block_merge_config_selectorIcNS0_10empty_typeEEEZZNS1_27merge_sort_block_merge_implIS3_N6thrust23THRUST_200600_302600_NS6detail15normal_iteratorINS9_10device_ptrIcEEEEPS5_m14custom_greaterIcEEE10hipError_tT0_T1_T2_jT3_P12ihipStream_tbPNSt15iterator_traitsISJ_E10value_typeEPNSP_ISK_E10value_typeEPSL_NS1_7vsmem_tEENKUlT_SJ_SK_SL_E_clISE_PcSF_SF_EESI_SY_SJ_SK_SL_EUlSY_E_NS1_11comp_targetILNS1_3genE4ELNS1_11target_archE910ELNS1_3gpuE8ELNS1_3repE0EEENS1_48merge_mergepath_partition_config_static_selectorELNS0_4arch9wavefront6targetE1EEEvSK_,"axG",@progbits,_ZN7rocprim17ROCPRIM_400000_NS6detail17trampoline_kernelINS0_14default_configENS1_38merge_sort_block_merge_config_selectorIcNS0_10empty_typeEEEZZNS1_27merge_sort_block_merge_implIS3_N6thrust23THRUST_200600_302600_NS6detail15normal_iteratorINS9_10device_ptrIcEEEEPS5_m14custom_greaterIcEEE10hipError_tT0_T1_T2_jT3_P12ihipStream_tbPNSt15iterator_traitsISJ_E10value_typeEPNSP_ISK_E10value_typeEPSL_NS1_7vsmem_tEENKUlT_SJ_SK_SL_E_clISE_PcSF_SF_EESI_SY_SJ_SK_SL_EUlSY_E_NS1_11comp_targetILNS1_3genE4ELNS1_11target_archE910ELNS1_3gpuE8ELNS1_3repE0EEENS1_48merge_mergepath_partition_config_static_selectorELNS0_4arch9wavefront6targetE1EEEvSK_,comdat
.Lfunc_end2736:
	.size	_ZN7rocprim17ROCPRIM_400000_NS6detail17trampoline_kernelINS0_14default_configENS1_38merge_sort_block_merge_config_selectorIcNS0_10empty_typeEEEZZNS1_27merge_sort_block_merge_implIS3_N6thrust23THRUST_200600_302600_NS6detail15normal_iteratorINS9_10device_ptrIcEEEEPS5_m14custom_greaterIcEEE10hipError_tT0_T1_T2_jT3_P12ihipStream_tbPNSt15iterator_traitsISJ_E10value_typeEPNSP_ISK_E10value_typeEPSL_NS1_7vsmem_tEENKUlT_SJ_SK_SL_E_clISE_PcSF_SF_EESI_SY_SJ_SK_SL_EUlSY_E_NS1_11comp_targetILNS1_3genE4ELNS1_11target_archE910ELNS1_3gpuE8ELNS1_3repE0EEENS1_48merge_mergepath_partition_config_static_selectorELNS0_4arch9wavefront6targetE1EEEvSK_, .Lfunc_end2736-_ZN7rocprim17ROCPRIM_400000_NS6detail17trampoline_kernelINS0_14default_configENS1_38merge_sort_block_merge_config_selectorIcNS0_10empty_typeEEEZZNS1_27merge_sort_block_merge_implIS3_N6thrust23THRUST_200600_302600_NS6detail15normal_iteratorINS9_10device_ptrIcEEEEPS5_m14custom_greaterIcEEE10hipError_tT0_T1_T2_jT3_P12ihipStream_tbPNSt15iterator_traitsISJ_E10value_typeEPNSP_ISK_E10value_typeEPSL_NS1_7vsmem_tEENKUlT_SJ_SK_SL_E_clISE_PcSF_SF_EESI_SY_SJ_SK_SL_EUlSY_E_NS1_11comp_targetILNS1_3genE4ELNS1_11target_archE910ELNS1_3gpuE8ELNS1_3repE0EEENS1_48merge_mergepath_partition_config_static_selectorELNS0_4arch9wavefront6targetE1EEEvSK_
                                        ; -- End function
	.section	.AMDGPU.csdata,"",@progbits
; Kernel info:
; codeLenInByte = 464
; NumSgprs: 12
; NumVgprs: 19
; NumAgprs: 0
; TotalNumVgprs: 19
; ScratchSize: 0
; MemoryBound: 0
; FloatMode: 240
; IeeeMode: 1
; LDSByteSize: 0 bytes/workgroup (compile time only)
; SGPRBlocks: 1
; VGPRBlocks: 2
; NumSGPRsForWavesPerEU: 12
; NumVGPRsForWavesPerEU: 19
; AccumOffset: 20
; Occupancy: 8
; WaveLimiterHint : 0
; COMPUTE_PGM_RSRC2:SCRATCH_EN: 0
; COMPUTE_PGM_RSRC2:USER_SGPR: 6
; COMPUTE_PGM_RSRC2:TRAP_HANDLER: 0
; COMPUTE_PGM_RSRC2:TGID_X_EN: 1
; COMPUTE_PGM_RSRC2:TGID_Y_EN: 0
; COMPUTE_PGM_RSRC2:TGID_Z_EN: 0
; COMPUTE_PGM_RSRC2:TIDIG_COMP_CNT: 0
; COMPUTE_PGM_RSRC3_GFX90A:ACCUM_OFFSET: 4
; COMPUTE_PGM_RSRC3_GFX90A:TG_SPLIT: 0
	.section	.text._ZN7rocprim17ROCPRIM_400000_NS6detail17trampoline_kernelINS0_14default_configENS1_38merge_sort_block_merge_config_selectorIcNS0_10empty_typeEEEZZNS1_27merge_sort_block_merge_implIS3_N6thrust23THRUST_200600_302600_NS6detail15normal_iteratorINS9_10device_ptrIcEEEEPS5_m14custom_greaterIcEEE10hipError_tT0_T1_T2_jT3_P12ihipStream_tbPNSt15iterator_traitsISJ_E10value_typeEPNSP_ISK_E10value_typeEPSL_NS1_7vsmem_tEENKUlT_SJ_SK_SL_E_clISE_PcSF_SF_EESI_SY_SJ_SK_SL_EUlSY_E_NS1_11comp_targetILNS1_3genE3ELNS1_11target_archE908ELNS1_3gpuE7ELNS1_3repE0EEENS1_48merge_mergepath_partition_config_static_selectorELNS0_4arch9wavefront6targetE1EEEvSK_,"axG",@progbits,_ZN7rocprim17ROCPRIM_400000_NS6detail17trampoline_kernelINS0_14default_configENS1_38merge_sort_block_merge_config_selectorIcNS0_10empty_typeEEEZZNS1_27merge_sort_block_merge_implIS3_N6thrust23THRUST_200600_302600_NS6detail15normal_iteratorINS9_10device_ptrIcEEEEPS5_m14custom_greaterIcEEE10hipError_tT0_T1_T2_jT3_P12ihipStream_tbPNSt15iterator_traitsISJ_E10value_typeEPNSP_ISK_E10value_typeEPSL_NS1_7vsmem_tEENKUlT_SJ_SK_SL_E_clISE_PcSF_SF_EESI_SY_SJ_SK_SL_EUlSY_E_NS1_11comp_targetILNS1_3genE3ELNS1_11target_archE908ELNS1_3gpuE7ELNS1_3repE0EEENS1_48merge_mergepath_partition_config_static_selectorELNS0_4arch9wavefront6targetE1EEEvSK_,comdat
	.protected	_ZN7rocprim17ROCPRIM_400000_NS6detail17trampoline_kernelINS0_14default_configENS1_38merge_sort_block_merge_config_selectorIcNS0_10empty_typeEEEZZNS1_27merge_sort_block_merge_implIS3_N6thrust23THRUST_200600_302600_NS6detail15normal_iteratorINS9_10device_ptrIcEEEEPS5_m14custom_greaterIcEEE10hipError_tT0_T1_T2_jT3_P12ihipStream_tbPNSt15iterator_traitsISJ_E10value_typeEPNSP_ISK_E10value_typeEPSL_NS1_7vsmem_tEENKUlT_SJ_SK_SL_E_clISE_PcSF_SF_EESI_SY_SJ_SK_SL_EUlSY_E_NS1_11comp_targetILNS1_3genE3ELNS1_11target_archE908ELNS1_3gpuE7ELNS1_3repE0EEENS1_48merge_mergepath_partition_config_static_selectorELNS0_4arch9wavefront6targetE1EEEvSK_ ; -- Begin function _ZN7rocprim17ROCPRIM_400000_NS6detail17trampoline_kernelINS0_14default_configENS1_38merge_sort_block_merge_config_selectorIcNS0_10empty_typeEEEZZNS1_27merge_sort_block_merge_implIS3_N6thrust23THRUST_200600_302600_NS6detail15normal_iteratorINS9_10device_ptrIcEEEEPS5_m14custom_greaterIcEEE10hipError_tT0_T1_T2_jT3_P12ihipStream_tbPNSt15iterator_traitsISJ_E10value_typeEPNSP_ISK_E10value_typeEPSL_NS1_7vsmem_tEENKUlT_SJ_SK_SL_E_clISE_PcSF_SF_EESI_SY_SJ_SK_SL_EUlSY_E_NS1_11comp_targetILNS1_3genE3ELNS1_11target_archE908ELNS1_3gpuE7ELNS1_3repE0EEENS1_48merge_mergepath_partition_config_static_selectorELNS0_4arch9wavefront6targetE1EEEvSK_
	.globl	_ZN7rocprim17ROCPRIM_400000_NS6detail17trampoline_kernelINS0_14default_configENS1_38merge_sort_block_merge_config_selectorIcNS0_10empty_typeEEEZZNS1_27merge_sort_block_merge_implIS3_N6thrust23THRUST_200600_302600_NS6detail15normal_iteratorINS9_10device_ptrIcEEEEPS5_m14custom_greaterIcEEE10hipError_tT0_T1_T2_jT3_P12ihipStream_tbPNSt15iterator_traitsISJ_E10value_typeEPNSP_ISK_E10value_typeEPSL_NS1_7vsmem_tEENKUlT_SJ_SK_SL_E_clISE_PcSF_SF_EESI_SY_SJ_SK_SL_EUlSY_E_NS1_11comp_targetILNS1_3genE3ELNS1_11target_archE908ELNS1_3gpuE7ELNS1_3repE0EEENS1_48merge_mergepath_partition_config_static_selectorELNS0_4arch9wavefront6targetE1EEEvSK_
	.p2align	8
	.type	_ZN7rocprim17ROCPRIM_400000_NS6detail17trampoline_kernelINS0_14default_configENS1_38merge_sort_block_merge_config_selectorIcNS0_10empty_typeEEEZZNS1_27merge_sort_block_merge_implIS3_N6thrust23THRUST_200600_302600_NS6detail15normal_iteratorINS9_10device_ptrIcEEEEPS5_m14custom_greaterIcEEE10hipError_tT0_T1_T2_jT3_P12ihipStream_tbPNSt15iterator_traitsISJ_E10value_typeEPNSP_ISK_E10value_typeEPSL_NS1_7vsmem_tEENKUlT_SJ_SK_SL_E_clISE_PcSF_SF_EESI_SY_SJ_SK_SL_EUlSY_E_NS1_11comp_targetILNS1_3genE3ELNS1_11target_archE908ELNS1_3gpuE7ELNS1_3repE0EEENS1_48merge_mergepath_partition_config_static_selectorELNS0_4arch9wavefront6targetE1EEEvSK_,@function
_ZN7rocprim17ROCPRIM_400000_NS6detail17trampoline_kernelINS0_14default_configENS1_38merge_sort_block_merge_config_selectorIcNS0_10empty_typeEEEZZNS1_27merge_sort_block_merge_implIS3_N6thrust23THRUST_200600_302600_NS6detail15normal_iteratorINS9_10device_ptrIcEEEEPS5_m14custom_greaterIcEEE10hipError_tT0_T1_T2_jT3_P12ihipStream_tbPNSt15iterator_traitsISJ_E10value_typeEPNSP_ISK_E10value_typeEPSL_NS1_7vsmem_tEENKUlT_SJ_SK_SL_E_clISE_PcSF_SF_EESI_SY_SJ_SK_SL_EUlSY_E_NS1_11comp_targetILNS1_3genE3ELNS1_11target_archE908ELNS1_3gpuE7ELNS1_3repE0EEENS1_48merge_mergepath_partition_config_static_selectorELNS0_4arch9wavefront6targetE1EEEvSK_: ; @_ZN7rocprim17ROCPRIM_400000_NS6detail17trampoline_kernelINS0_14default_configENS1_38merge_sort_block_merge_config_selectorIcNS0_10empty_typeEEEZZNS1_27merge_sort_block_merge_implIS3_N6thrust23THRUST_200600_302600_NS6detail15normal_iteratorINS9_10device_ptrIcEEEEPS5_m14custom_greaterIcEEE10hipError_tT0_T1_T2_jT3_P12ihipStream_tbPNSt15iterator_traitsISJ_E10value_typeEPNSP_ISK_E10value_typeEPSL_NS1_7vsmem_tEENKUlT_SJ_SK_SL_E_clISE_PcSF_SF_EESI_SY_SJ_SK_SL_EUlSY_E_NS1_11comp_targetILNS1_3genE3ELNS1_11target_archE908ELNS1_3gpuE7ELNS1_3repE0EEENS1_48merge_mergepath_partition_config_static_selectorELNS0_4arch9wavefront6targetE1EEEvSK_
; %bb.0:
	.section	.rodata,"a",@progbits
	.p2align	6, 0x0
	.amdhsa_kernel _ZN7rocprim17ROCPRIM_400000_NS6detail17trampoline_kernelINS0_14default_configENS1_38merge_sort_block_merge_config_selectorIcNS0_10empty_typeEEEZZNS1_27merge_sort_block_merge_implIS3_N6thrust23THRUST_200600_302600_NS6detail15normal_iteratorINS9_10device_ptrIcEEEEPS5_m14custom_greaterIcEEE10hipError_tT0_T1_T2_jT3_P12ihipStream_tbPNSt15iterator_traitsISJ_E10value_typeEPNSP_ISK_E10value_typeEPSL_NS1_7vsmem_tEENKUlT_SJ_SK_SL_E_clISE_PcSF_SF_EESI_SY_SJ_SK_SL_EUlSY_E_NS1_11comp_targetILNS1_3genE3ELNS1_11target_archE908ELNS1_3gpuE7ELNS1_3repE0EEENS1_48merge_mergepath_partition_config_static_selectorELNS0_4arch9wavefront6targetE1EEEvSK_
		.amdhsa_group_segment_fixed_size 0
		.amdhsa_private_segment_fixed_size 0
		.amdhsa_kernarg_size 48
		.amdhsa_user_sgpr_count 6
		.amdhsa_user_sgpr_private_segment_buffer 1
		.amdhsa_user_sgpr_dispatch_ptr 0
		.amdhsa_user_sgpr_queue_ptr 0
		.amdhsa_user_sgpr_kernarg_segment_ptr 1
		.amdhsa_user_sgpr_dispatch_id 0
		.amdhsa_user_sgpr_flat_scratch_init 0
		.amdhsa_user_sgpr_kernarg_preload_length 0
		.amdhsa_user_sgpr_kernarg_preload_offset 0
		.amdhsa_user_sgpr_private_segment_size 0
		.amdhsa_uses_dynamic_stack 0
		.amdhsa_system_sgpr_private_segment_wavefront_offset 0
		.amdhsa_system_sgpr_workgroup_id_x 1
		.amdhsa_system_sgpr_workgroup_id_y 0
		.amdhsa_system_sgpr_workgroup_id_z 0
		.amdhsa_system_sgpr_workgroup_info 0
		.amdhsa_system_vgpr_workitem_id 0
		.amdhsa_next_free_vgpr 1
		.amdhsa_next_free_sgpr 0
		.amdhsa_accum_offset 4
		.amdhsa_reserve_vcc 0
		.amdhsa_reserve_flat_scratch 0
		.amdhsa_float_round_mode_32 0
		.amdhsa_float_round_mode_16_64 0
		.amdhsa_float_denorm_mode_32 3
		.amdhsa_float_denorm_mode_16_64 3
		.amdhsa_dx10_clamp 1
		.amdhsa_ieee_mode 1
		.amdhsa_fp16_overflow 0
		.amdhsa_tg_split 0
		.amdhsa_exception_fp_ieee_invalid_op 0
		.amdhsa_exception_fp_denorm_src 0
		.amdhsa_exception_fp_ieee_div_zero 0
		.amdhsa_exception_fp_ieee_overflow 0
		.amdhsa_exception_fp_ieee_underflow 0
		.amdhsa_exception_fp_ieee_inexact 0
		.amdhsa_exception_int_div_zero 0
	.end_amdhsa_kernel
	.section	.text._ZN7rocprim17ROCPRIM_400000_NS6detail17trampoline_kernelINS0_14default_configENS1_38merge_sort_block_merge_config_selectorIcNS0_10empty_typeEEEZZNS1_27merge_sort_block_merge_implIS3_N6thrust23THRUST_200600_302600_NS6detail15normal_iteratorINS9_10device_ptrIcEEEEPS5_m14custom_greaterIcEEE10hipError_tT0_T1_T2_jT3_P12ihipStream_tbPNSt15iterator_traitsISJ_E10value_typeEPNSP_ISK_E10value_typeEPSL_NS1_7vsmem_tEENKUlT_SJ_SK_SL_E_clISE_PcSF_SF_EESI_SY_SJ_SK_SL_EUlSY_E_NS1_11comp_targetILNS1_3genE3ELNS1_11target_archE908ELNS1_3gpuE7ELNS1_3repE0EEENS1_48merge_mergepath_partition_config_static_selectorELNS0_4arch9wavefront6targetE1EEEvSK_,"axG",@progbits,_ZN7rocprim17ROCPRIM_400000_NS6detail17trampoline_kernelINS0_14default_configENS1_38merge_sort_block_merge_config_selectorIcNS0_10empty_typeEEEZZNS1_27merge_sort_block_merge_implIS3_N6thrust23THRUST_200600_302600_NS6detail15normal_iteratorINS9_10device_ptrIcEEEEPS5_m14custom_greaterIcEEE10hipError_tT0_T1_T2_jT3_P12ihipStream_tbPNSt15iterator_traitsISJ_E10value_typeEPNSP_ISK_E10value_typeEPSL_NS1_7vsmem_tEENKUlT_SJ_SK_SL_E_clISE_PcSF_SF_EESI_SY_SJ_SK_SL_EUlSY_E_NS1_11comp_targetILNS1_3genE3ELNS1_11target_archE908ELNS1_3gpuE7ELNS1_3repE0EEENS1_48merge_mergepath_partition_config_static_selectorELNS0_4arch9wavefront6targetE1EEEvSK_,comdat
.Lfunc_end2737:
	.size	_ZN7rocprim17ROCPRIM_400000_NS6detail17trampoline_kernelINS0_14default_configENS1_38merge_sort_block_merge_config_selectorIcNS0_10empty_typeEEEZZNS1_27merge_sort_block_merge_implIS3_N6thrust23THRUST_200600_302600_NS6detail15normal_iteratorINS9_10device_ptrIcEEEEPS5_m14custom_greaterIcEEE10hipError_tT0_T1_T2_jT3_P12ihipStream_tbPNSt15iterator_traitsISJ_E10value_typeEPNSP_ISK_E10value_typeEPSL_NS1_7vsmem_tEENKUlT_SJ_SK_SL_E_clISE_PcSF_SF_EESI_SY_SJ_SK_SL_EUlSY_E_NS1_11comp_targetILNS1_3genE3ELNS1_11target_archE908ELNS1_3gpuE7ELNS1_3repE0EEENS1_48merge_mergepath_partition_config_static_selectorELNS0_4arch9wavefront6targetE1EEEvSK_, .Lfunc_end2737-_ZN7rocprim17ROCPRIM_400000_NS6detail17trampoline_kernelINS0_14default_configENS1_38merge_sort_block_merge_config_selectorIcNS0_10empty_typeEEEZZNS1_27merge_sort_block_merge_implIS3_N6thrust23THRUST_200600_302600_NS6detail15normal_iteratorINS9_10device_ptrIcEEEEPS5_m14custom_greaterIcEEE10hipError_tT0_T1_T2_jT3_P12ihipStream_tbPNSt15iterator_traitsISJ_E10value_typeEPNSP_ISK_E10value_typeEPSL_NS1_7vsmem_tEENKUlT_SJ_SK_SL_E_clISE_PcSF_SF_EESI_SY_SJ_SK_SL_EUlSY_E_NS1_11comp_targetILNS1_3genE3ELNS1_11target_archE908ELNS1_3gpuE7ELNS1_3repE0EEENS1_48merge_mergepath_partition_config_static_selectorELNS0_4arch9wavefront6targetE1EEEvSK_
                                        ; -- End function
	.section	.AMDGPU.csdata,"",@progbits
; Kernel info:
; codeLenInByte = 0
; NumSgprs: 4
; NumVgprs: 0
; NumAgprs: 0
; TotalNumVgprs: 0
; ScratchSize: 0
; MemoryBound: 0
; FloatMode: 240
; IeeeMode: 1
; LDSByteSize: 0 bytes/workgroup (compile time only)
; SGPRBlocks: 0
; VGPRBlocks: 0
; NumSGPRsForWavesPerEU: 4
; NumVGPRsForWavesPerEU: 1
; AccumOffset: 4
; Occupancy: 8
; WaveLimiterHint : 0
; COMPUTE_PGM_RSRC2:SCRATCH_EN: 0
; COMPUTE_PGM_RSRC2:USER_SGPR: 6
; COMPUTE_PGM_RSRC2:TRAP_HANDLER: 0
; COMPUTE_PGM_RSRC2:TGID_X_EN: 1
; COMPUTE_PGM_RSRC2:TGID_Y_EN: 0
; COMPUTE_PGM_RSRC2:TGID_Z_EN: 0
; COMPUTE_PGM_RSRC2:TIDIG_COMP_CNT: 0
; COMPUTE_PGM_RSRC3_GFX90A:ACCUM_OFFSET: 0
; COMPUTE_PGM_RSRC3_GFX90A:TG_SPLIT: 0
	.section	.text._ZN7rocprim17ROCPRIM_400000_NS6detail17trampoline_kernelINS0_14default_configENS1_38merge_sort_block_merge_config_selectorIcNS0_10empty_typeEEEZZNS1_27merge_sort_block_merge_implIS3_N6thrust23THRUST_200600_302600_NS6detail15normal_iteratorINS9_10device_ptrIcEEEEPS5_m14custom_greaterIcEEE10hipError_tT0_T1_T2_jT3_P12ihipStream_tbPNSt15iterator_traitsISJ_E10value_typeEPNSP_ISK_E10value_typeEPSL_NS1_7vsmem_tEENKUlT_SJ_SK_SL_E_clISE_PcSF_SF_EESI_SY_SJ_SK_SL_EUlSY_E_NS1_11comp_targetILNS1_3genE2ELNS1_11target_archE906ELNS1_3gpuE6ELNS1_3repE0EEENS1_48merge_mergepath_partition_config_static_selectorELNS0_4arch9wavefront6targetE1EEEvSK_,"axG",@progbits,_ZN7rocprim17ROCPRIM_400000_NS6detail17trampoline_kernelINS0_14default_configENS1_38merge_sort_block_merge_config_selectorIcNS0_10empty_typeEEEZZNS1_27merge_sort_block_merge_implIS3_N6thrust23THRUST_200600_302600_NS6detail15normal_iteratorINS9_10device_ptrIcEEEEPS5_m14custom_greaterIcEEE10hipError_tT0_T1_T2_jT3_P12ihipStream_tbPNSt15iterator_traitsISJ_E10value_typeEPNSP_ISK_E10value_typeEPSL_NS1_7vsmem_tEENKUlT_SJ_SK_SL_E_clISE_PcSF_SF_EESI_SY_SJ_SK_SL_EUlSY_E_NS1_11comp_targetILNS1_3genE2ELNS1_11target_archE906ELNS1_3gpuE6ELNS1_3repE0EEENS1_48merge_mergepath_partition_config_static_selectorELNS0_4arch9wavefront6targetE1EEEvSK_,comdat
	.protected	_ZN7rocprim17ROCPRIM_400000_NS6detail17trampoline_kernelINS0_14default_configENS1_38merge_sort_block_merge_config_selectorIcNS0_10empty_typeEEEZZNS1_27merge_sort_block_merge_implIS3_N6thrust23THRUST_200600_302600_NS6detail15normal_iteratorINS9_10device_ptrIcEEEEPS5_m14custom_greaterIcEEE10hipError_tT0_T1_T2_jT3_P12ihipStream_tbPNSt15iterator_traitsISJ_E10value_typeEPNSP_ISK_E10value_typeEPSL_NS1_7vsmem_tEENKUlT_SJ_SK_SL_E_clISE_PcSF_SF_EESI_SY_SJ_SK_SL_EUlSY_E_NS1_11comp_targetILNS1_3genE2ELNS1_11target_archE906ELNS1_3gpuE6ELNS1_3repE0EEENS1_48merge_mergepath_partition_config_static_selectorELNS0_4arch9wavefront6targetE1EEEvSK_ ; -- Begin function _ZN7rocprim17ROCPRIM_400000_NS6detail17trampoline_kernelINS0_14default_configENS1_38merge_sort_block_merge_config_selectorIcNS0_10empty_typeEEEZZNS1_27merge_sort_block_merge_implIS3_N6thrust23THRUST_200600_302600_NS6detail15normal_iteratorINS9_10device_ptrIcEEEEPS5_m14custom_greaterIcEEE10hipError_tT0_T1_T2_jT3_P12ihipStream_tbPNSt15iterator_traitsISJ_E10value_typeEPNSP_ISK_E10value_typeEPSL_NS1_7vsmem_tEENKUlT_SJ_SK_SL_E_clISE_PcSF_SF_EESI_SY_SJ_SK_SL_EUlSY_E_NS1_11comp_targetILNS1_3genE2ELNS1_11target_archE906ELNS1_3gpuE6ELNS1_3repE0EEENS1_48merge_mergepath_partition_config_static_selectorELNS0_4arch9wavefront6targetE1EEEvSK_
	.globl	_ZN7rocprim17ROCPRIM_400000_NS6detail17trampoline_kernelINS0_14default_configENS1_38merge_sort_block_merge_config_selectorIcNS0_10empty_typeEEEZZNS1_27merge_sort_block_merge_implIS3_N6thrust23THRUST_200600_302600_NS6detail15normal_iteratorINS9_10device_ptrIcEEEEPS5_m14custom_greaterIcEEE10hipError_tT0_T1_T2_jT3_P12ihipStream_tbPNSt15iterator_traitsISJ_E10value_typeEPNSP_ISK_E10value_typeEPSL_NS1_7vsmem_tEENKUlT_SJ_SK_SL_E_clISE_PcSF_SF_EESI_SY_SJ_SK_SL_EUlSY_E_NS1_11comp_targetILNS1_3genE2ELNS1_11target_archE906ELNS1_3gpuE6ELNS1_3repE0EEENS1_48merge_mergepath_partition_config_static_selectorELNS0_4arch9wavefront6targetE1EEEvSK_
	.p2align	8
	.type	_ZN7rocprim17ROCPRIM_400000_NS6detail17trampoline_kernelINS0_14default_configENS1_38merge_sort_block_merge_config_selectorIcNS0_10empty_typeEEEZZNS1_27merge_sort_block_merge_implIS3_N6thrust23THRUST_200600_302600_NS6detail15normal_iteratorINS9_10device_ptrIcEEEEPS5_m14custom_greaterIcEEE10hipError_tT0_T1_T2_jT3_P12ihipStream_tbPNSt15iterator_traitsISJ_E10value_typeEPNSP_ISK_E10value_typeEPSL_NS1_7vsmem_tEENKUlT_SJ_SK_SL_E_clISE_PcSF_SF_EESI_SY_SJ_SK_SL_EUlSY_E_NS1_11comp_targetILNS1_3genE2ELNS1_11target_archE906ELNS1_3gpuE6ELNS1_3repE0EEENS1_48merge_mergepath_partition_config_static_selectorELNS0_4arch9wavefront6targetE1EEEvSK_,@function
_ZN7rocprim17ROCPRIM_400000_NS6detail17trampoline_kernelINS0_14default_configENS1_38merge_sort_block_merge_config_selectorIcNS0_10empty_typeEEEZZNS1_27merge_sort_block_merge_implIS3_N6thrust23THRUST_200600_302600_NS6detail15normal_iteratorINS9_10device_ptrIcEEEEPS5_m14custom_greaterIcEEE10hipError_tT0_T1_T2_jT3_P12ihipStream_tbPNSt15iterator_traitsISJ_E10value_typeEPNSP_ISK_E10value_typeEPSL_NS1_7vsmem_tEENKUlT_SJ_SK_SL_E_clISE_PcSF_SF_EESI_SY_SJ_SK_SL_EUlSY_E_NS1_11comp_targetILNS1_3genE2ELNS1_11target_archE906ELNS1_3gpuE6ELNS1_3repE0EEENS1_48merge_mergepath_partition_config_static_selectorELNS0_4arch9wavefront6targetE1EEEvSK_: ; @_ZN7rocprim17ROCPRIM_400000_NS6detail17trampoline_kernelINS0_14default_configENS1_38merge_sort_block_merge_config_selectorIcNS0_10empty_typeEEEZZNS1_27merge_sort_block_merge_implIS3_N6thrust23THRUST_200600_302600_NS6detail15normal_iteratorINS9_10device_ptrIcEEEEPS5_m14custom_greaterIcEEE10hipError_tT0_T1_T2_jT3_P12ihipStream_tbPNSt15iterator_traitsISJ_E10value_typeEPNSP_ISK_E10value_typeEPSL_NS1_7vsmem_tEENKUlT_SJ_SK_SL_E_clISE_PcSF_SF_EESI_SY_SJ_SK_SL_EUlSY_E_NS1_11comp_targetILNS1_3genE2ELNS1_11target_archE906ELNS1_3gpuE6ELNS1_3repE0EEENS1_48merge_mergepath_partition_config_static_selectorELNS0_4arch9wavefront6targetE1EEEvSK_
; %bb.0:
	.section	.rodata,"a",@progbits
	.p2align	6, 0x0
	.amdhsa_kernel _ZN7rocprim17ROCPRIM_400000_NS6detail17trampoline_kernelINS0_14default_configENS1_38merge_sort_block_merge_config_selectorIcNS0_10empty_typeEEEZZNS1_27merge_sort_block_merge_implIS3_N6thrust23THRUST_200600_302600_NS6detail15normal_iteratorINS9_10device_ptrIcEEEEPS5_m14custom_greaterIcEEE10hipError_tT0_T1_T2_jT3_P12ihipStream_tbPNSt15iterator_traitsISJ_E10value_typeEPNSP_ISK_E10value_typeEPSL_NS1_7vsmem_tEENKUlT_SJ_SK_SL_E_clISE_PcSF_SF_EESI_SY_SJ_SK_SL_EUlSY_E_NS1_11comp_targetILNS1_3genE2ELNS1_11target_archE906ELNS1_3gpuE6ELNS1_3repE0EEENS1_48merge_mergepath_partition_config_static_selectorELNS0_4arch9wavefront6targetE1EEEvSK_
		.amdhsa_group_segment_fixed_size 0
		.amdhsa_private_segment_fixed_size 0
		.amdhsa_kernarg_size 48
		.amdhsa_user_sgpr_count 6
		.amdhsa_user_sgpr_private_segment_buffer 1
		.amdhsa_user_sgpr_dispatch_ptr 0
		.amdhsa_user_sgpr_queue_ptr 0
		.amdhsa_user_sgpr_kernarg_segment_ptr 1
		.amdhsa_user_sgpr_dispatch_id 0
		.amdhsa_user_sgpr_flat_scratch_init 0
		.amdhsa_user_sgpr_kernarg_preload_length 0
		.amdhsa_user_sgpr_kernarg_preload_offset 0
		.amdhsa_user_sgpr_private_segment_size 0
		.amdhsa_uses_dynamic_stack 0
		.amdhsa_system_sgpr_private_segment_wavefront_offset 0
		.amdhsa_system_sgpr_workgroup_id_x 1
		.amdhsa_system_sgpr_workgroup_id_y 0
		.amdhsa_system_sgpr_workgroup_id_z 0
		.amdhsa_system_sgpr_workgroup_info 0
		.amdhsa_system_vgpr_workitem_id 0
		.amdhsa_next_free_vgpr 1
		.amdhsa_next_free_sgpr 0
		.amdhsa_accum_offset 4
		.amdhsa_reserve_vcc 0
		.amdhsa_reserve_flat_scratch 0
		.amdhsa_float_round_mode_32 0
		.amdhsa_float_round_mode_16_64 0
		.amdhsa_float_denorm_mode_32 3
		.amdhsa_float_denorm_mode_16_64 3
		.amdhsa_dx10_clamp 1
		.amdhsa_ieee_mode 1
		.amdhsa_fp16_overflow 0
		.amdhsa_tg_split 0
		.amdhsa_exception_fp_ieee_invalid_op 0
		.amdhsa_exception_fp_denorm_src 0
		.amdhsa_exception_fp_ieee_div_zero 0
		.amdhsa_exception_fp_ieee_overflow 0
		.amdhsa_exception_fp_ieee_underflow 0
		.amdhsa_exception_fp_ieee_inexact 0
		.amdhsa_exception_int_div_zero 0
	.end_amdhsa_kernel
	.section	.text._ZN7rocprim17ROCPRIM_400000_NS6detail17trampoline_kernelINS0_14default_configENS1_38merge_sort_block_merge_config_selectorIcNS0_10empty_typeEEEZZNS1_27merge_sort_block_merge_implIS3_N6thrust23THRUST_200600_302600_NS6detail15normal_iteratorINS9_10device_ptrIcEEEEPS5_m14custom_greaterIcEEE10hipError_tT0_T1_T2_jT3_P12ihipStream_tbPNSt15iterator_traitsISJ_E10value_typeEPNSP_ISK_E10value_typeEPSL_NS1_7vsmem_tEENKUlT_SJ_SK_SL_E_clISE_PcSF_SF_EESI_SY_SJ_SK_SL_EUlSY_E_NS1_11comp_targetILNS1_3genE2ELNS1_11target_archE906ELNS1_3gpuE6ELNS1_3repE0EEENS1_48merge_mergepath_partition_config_static_selectorELNS0_4arch9wavefront6targetE1EEEvSK_,"axG",@progbits,_ZN7rocprim17ROCPRIM_400000_NS6detail17trampoline_kernelINS0_14default_configENS1_38merge_sort_block_merge_config_selectorIcNS0_10empty_typeEEEZZNS1_27merge_sort_block_merge_implIS3_N6thrust23THRUST_200600_302600_NS6detail15normal_iteratorINS9_10device_ptrIcEEEEPS5_m14custom_greaterIcEEE10hipError_tT0_T1_T2_jT3_P12ihipStream_tbPNSt15iterator_traitsISJ_E10value_typeEPNSP_ISK_E10value_typeEPSL_NS1_7vsmem_tEENKUlT_SJ_SK_SL_E_clISE_PcSF_SF_EESI_SY_SJ_SK_SL_EUlSY_E_NS1_11comp_targetILNS1_3genE2ELNS1_11target_archE906ELNS1_3gpuE6ELNS1_3repE0EEENS1_48merge_mergepath_partition_config_static_selectorELNS0_4arch9wavefront6targetE1EEEvSK_,comdat
.Lfunc_end2738:
	.size	_ZN7rocprim17ROCPRIM_400000_NS6detail17trampoline_kernelINS0_14default_configENS1_38merge_sort_block_merge_config_selectorIcNS0_10empty_typeEEEZZNS1_27merge_sort_block_merge_implIS3_N6thrust23THRUST_200600_302600_NS6detail15normal_iteratorINS9_10device_ptrIcEEEEPS5_m14custom_greaterIcEEE10hipError_tT0_T1_T2_jT3_P12ihipStream_tbPNSt15iterator_traitsISJ_E10value_typeEPNSP_ISK_E10value_typeEPSL_NS1_7vsmem_tEENKUlT_SJ_SK_SL_E_clISE_PcSF_SF_EESI_SY_SJ_SK_SL_EUlSY_E_NS1_11comp_targetILNS1_3genE2ELNS1_11target_archE906ELNS1_3gpuE6ELNS1_3repE0EEENS1_48merge_mergepath_partition_config_static_selectorELNS0_4arch9wavefront6targetE1EEEvSK_, .Lfunc_end2738-_ZN7rocprim17ROCPRIM_400000_NS6detail17trampoline_kernelINS0_14default_configENS1_38merge_sort_block_merge_config_selectorIcNS0_10empty_typeEEEZZNS1_27merge_sort_block_merge_implIS3_N6thrust23THRUST_200600_302600_NS6detail15normal_iteratorINS9_10device_ptrIcEEEEPS5_m14custom_greaterIcEEE10hipError_tT0_T1_T2_jT3_P12ihipStream_tbPNSt15iterator_traitsISJ_E10value_typeEPNSP_ISK_E10value_typeEPSL_NS1_7vsmem_tEENKUlT_SJ_SK_SL_E_clISE_PcSF_SF_EESI_SY_SJ_SK_SL_EUlSY_E_NS1_11comp_targetILNS1_3genE2ELNS1_11target_archE906ELNS1_3gpuE6ELNS1_3repE0EEENS1_48merge_mergepath_partition_config_static_selectorELNS0_4arch9wavefront6targetE1EEEvSK_
                                        ; -- End function
	.section	.AMDGPU.csdata,"",@progbits
; Kernel info:
; codeLenInByte = 0
; NumSgprs: 4
; NumVgprs: 0
; NumAgprs: 0
; TotalNumVgprs: 0
; ScratchSize: 0
; MemoryBound: 0
; FloatMode: 240
; IeeeMode: 1
; LDSByteSize: 0 bytes/workgroup (compile time only)
; SGPRBlocks: 0
; VGPRBlocks: 0
; NumSGPRsForWavesPerEU: 4
; NumVGPRsForWavesPerEU: 1
; AccumOffset: 4
; Occupancy: 8
; WaveLimiterHint : 0
; COMPUTE_PGM_RSRC2:SCRATCH_EN: 0
; COMPUTE_PGM_RSRC2:USER_SGPR: 6
; COMPUTE_PGM_RSRC2:TRAP_HANDLER: 0
; COMPUTE_PGM_RSRC2:TGID_X_EN: 1
; COMPUTE_PGM_RSRC2:TGID_Y_EN: 0
; COMPUTE_PGM_RSRC2:TGID_Z_EN: 0
; COMPUTE_PGM_RSRC2:TIDIG_COMP_CNT: 0
; COMPUTE_PGM_RSRC3_GFX90A:ACCUM_OFFSET: 0
; COMPUTE_PGM_RSRC3_GFX90A:TG_SPLIT: 0
	.section	.text._ZN7rocprim17ROCPRIM_400000_NS6detail17trampoline_kernelINS0_14default_configENS1_38merge_sort_block_merge_config_selectorIcNS0_10empty_typeEEEZZNS1_27merge_sort_block_merge_implIS3_N6thrust23THRUST_200600_302600_NS6detail15normal_iteratorINS9_10device_ptrIcEEEEPS5_m14custom_greaterIcEEE10hipError_tT0_T1_T2_jT3_P12ihipStream_tbPNSt15iterator_traitsISJ_E10value_typeEPNSP_ISK_E10value_typeEPSL_NS1_7vsmem_tEENKUlT_SJ_SK_SL_E_clISE_PcSF_SF_EESI_SY_SJ_SK_SL_EUlSY_E_NS1_11comp_targetILNS1_3genE9ELNS1_11target_archE1100ELNS1_3gpuE3ELNS1_3repE0EEENS1_48merge_mergepath_partition_config_static_selectorELNS0_4arch9wavefront6targetE1EEEvSK_,"axG",@progbits,_ZN7rocprim17ROCPRIM_400000_NS6detail17trampoline_kernelINS0_14default_configENS1_38merge_sort_block_merge_config_selectorIcNS0_10empty_typeEEEZZNS1_27merge_sort_block_merge_implIS3_N6thrust23THRUST_200600_302600_NS6detail15normal_iteratorINS9_10device_ptrIcEEEEPS5_m14custom_greaterIcEEE10hipError_tT0_T1_T2_jT3_P12ihipStream_tbPNSt15iterator_traitsISJ_E10value_typeEPNSP_ISK_E10value_typeEPSL_NS1_7vsmem_tEENKUlT_SJ_SK_SL_E_clISE_PcSF_SF_EESI_SY_SJ_SK_SL_EUlSY_E_NS1_11comp_targetILNS1_3genE9ELNS1_11target_archE1100ELNS1_3gpuE3ELNS1_3repE0EEENS1_48merge_mergepath_partition_config_static_selectorELNS0_4arch9wavefront6targetE1EEEvSK_,comdat
	.protected	_ZN7rocprim17ROCPRIM_400000_NS6detail17trampoline_kernelINS0_14default_configENS1_38merge_sort_block_merge_config_selectorIcNS0_10empty_typeEEEZZNS1_27merge_sort_block_merge_implIS3_N6thrust23THRUST_200600_302600_NS6detail15normal_iteratorINS9_10device_ptrIcEEEEPS5_m14custom_greaterIcEEE10hipError_tT0_T1_T2_jT3_P12ihipStream_tbPNSt15iterator_traitsISJ_E10value_typeEPNSP_ISK_E10value_typeEPSL_NS1_7vsmem_tEENKUlT_SJ_SK_SL_E_clISE_PcSF_SF_EESI_SY_SJ_SK_SL_EUlSY_E_NS1_11comp_targetILNS1_3genE9ELNS1_11target_archE1100ELNS1_3gpuE3ELNS1_3repE0EEENS1_48merge_mergepath_partition_config_static_selectorELNS0_4arch9wavefront6targetE1EEEvSK_ ; -- Begin function _ZN7rocprim17ROCPRIM_400000_NS6detail17trampoline_kernelINS0_14default_configENS1_38merge_sort_block_merge_config_selectorIcNS0_10empty_typeEEEZZNS1_27merge_sort_block_merge_implIS3_N6thrust23THRUST_200600_302600_NS6detail15normal_iteratorINS9_10device_ptrIcEEEEPS5_m14custom_greaterIcEEE10hipError_tT0_T1_T2_jT3_P12ihipStream_tbPNSt15iterator_traitsISJ_E10value_typeEPNSP_ISK_E10value_typeEPSL_NS1_7vsmem_tEENKUlT_SJ_SK_SL_E_clISE_PcSF_SF_EESI_SY_SJ_SK_SL_EUlSY_E_NS1_11comp_targetILNS1_3genE9ELNS1_11target_archE1100ELNS1_3gpuE3ELNS1_3repE0EEENS1_48merge_mergepath_partition_config_static_selectorELNS0_4arch9wavefront6targetE1EEEvSK_
	.globl	_ZN7rocprim17ROCPRIM_400000_NS6detail17trampoline_kernelINS0_14default_configENS1_38merge_sort_block_merge_config_selectorIcNS0_10empty_typeEEEZZNS1_27merge_sort_block_merge_implIS3_N6thrust23THRUST_200600_302600_NS6detail15normal_iteratorINS9_10device_ptrIcEEEEPS5_m14custom_greaterIcEEE10hipError_tT0_T1_T2_jT3_P12ihipStream_tbPNSt15iterator_traitsISJ_E10value_typeEPNSP_ISK_E10value_typeEPSL_NS1_7vsmem_tEENKUlT_SJ_SK_SL_E_clISE_PcSF_SF_EESI_SY_SJ_SK_SL_EUlSY_E_NS1_11comp_targetILNS1_3genE9ELNS1_11target_archE1100ELNS1_3gpuE3ELNS1_3repE0EEENS1_48merge_mergepath_partition_config_static_selectorELNS0_4arch9wavefront6targetE1EEEvSK_
	.p2align	8
	.type	_ZN7rocprim17ROCPRIM_400000_NS6detail17trampoline_kernelINS0_14default_configENS1_38merge_sort_block_merge_config_selectorIcNS0_10empty_typeEEEZZNS1_27merge_sort_block_merge_implIS3_N6thrust23THRUST_200600_302600_NS6detail15normal_iteratorINS9_10device_ptrIcEEEEPS5_m14custom_greaterIcEEE10hipError_tT0_T1_T2_jT3_P12ihipStream_tbPNSt15iterator_traitsISJ_E10value_typeEPNSP_ISK_E10value_typeEPSL_NS1_7vsmem_tEENKUlT_SJ_SK_SL_E_clISE_PcSF_SF_EESI_SY_SJ_SK_SL_EUlSY_E_NS1_11comp_targetILNS1_3genE9ELNS1_11target_archE1100ELNS1_3gpuE3ELNS1_3repE0EEENS1_48merge_mergepath_partition_config_static_selectorELNS0_4arch9wavefront6targetE1EEEvSK_,@function
_ZN7rocprim17ROCPRIM_400000_NS6detail17trampoline_kernelINS0_14default_configENS1_38merge_sort_block_merge_config_selectorIcNS0_10empty_typeEEEZZNS1_27merge_sort_block_merge_implIS3_N6thrust23THRUST_200600_302600_NS6detail15normal_iteratorINS9_10device_ptrIcEEEEPS5_m14custom_greaterIcEEE10hipError_tT0_T1_T2_jT3_P12ihipStream_tbPNSt15iterator_traitsISJ_E10value_typeEPNSP_ISK_E10value_typeEPSL_NS1_7vsmem_tEENKUlT_SJ_SK_SL_E_clISE_PcSF_SF_EESI_SY_SJ_SK_SL_EUlSY_E_NS1_11comp_targetILNS1_3genE9ELNS1_11target_archE1100ELNS1_3gpuE3ELNS1_3repE0EEENS1_48merge_mergepath_partition_config_static_selectorELNS0_4arch9wavefront6targetE1EEEvSK_: ; @_ZN7rocprim17ROCPRIM_400000_NS6detail17trampoline_kernelINS0_14default_configENS1_38merge_sort_block_merge_config_selectorIcNS0_10empty_typeEEEZZNS1_27merge_sort_block_merge_implIS3_N6thrust23THRUST_200600_302600_NS6detail15normal_iteratorINS9_10device_ptrIcEEEEPS5_m14custom_greaterIcEEE10hipError_tT0_T1_T2_jT3_P12ihipStream_tbPNSt15iterator_traitsISJ_E10value_typeEPNSP_ISK_E10value_typeEPSL_NS1_7vsmem_tEENKUlT_SJ_SK_SL_E_clISE_PcSF_SF_EESI_SY_SJ_SK_SL_EUlSY_E_NS1_11comp_targetILNS1_3genE9ELNS1_11target_archE1100ELNS1_3gpuE3ELNS1_3repE0EEENS1_48merge_mergepath_partition_config_static_selectorELNS0_4arch9wavefront6targetE1EEEvSK_
; %bb.0:
	.section	.rodata,"a",@progbits
	.p2align	6, 0x0
	.amdhsa_kernel _ZN7rocprim17ROCPRIM_400000_NS6detail17trampoline_kernelINS0_14default_configENS1_38merge_sort_block_merge_config_selectorIcNS0_10empty_typeEEEZZNS1_27merge_sort_block_merge_implIS3_N6thrust23THRUST_200600_302600_NS6detail15normal_iteratorINS9_10device_ptrIcEEEEPS5_m14custom_greaterIcEEE10hipError_tT0_T1_T2_jT3_P12ihipStream_tbPNSt15iterator_traitsISJ_E10value_typeEPNSP_ISK_E10value_typeEPSL_NS1_7vsmem_tEENKUlT_SJ_SK_SL_E_clISE_PcSF_SF_EESI_SY_SJ_SK_SL_EUlSY_E_NS1_11comp_targetILNS1_3genE9ELNS1_11target_archE1100ELNS1_3gpuE3ELNS1_3repE0EEENS1_48merge_mergepath_partition_config_static_selectorELNS0_4arch9wavefront6targetE1EEEvSK_
		.amdhsa_group_segment_fixed_size 0
		.amdhsa_private_segment_fixed_size 0
		.amdhsa_kernarg_size 48
		.amdhsa_user_sgpr_count 6
		.amdhsa_user_sgpr_private_segment_buffer 1
		.amdhsa_user_sgpr_dispatch_ptr 0
		.amdhsa_user_sgpr_queue_ptr 0
		.amdhsa_user_sgpr_kernarg_segment_ptr 1
		.amdhsa_user_sgpr_dispatch_id 0
		.amdhsa_user_sgpr_flat_scratch_init 0
		.amdhsa_user_sgpr_kernarg_preload_length 0
		.amdhsa_user_sgpr_kernarg_preload_offset 0
		.amdhsa_user_sgpr_private_segment_size 0
		.amdhsa_uses_dynamic_stack 0
		.amdhsa_system_sgpr_private_segment_wavefront_offset 0
		.amdhsa_system_sgpr_workgroup_id_x 1
		.amdhsa_system_sgpr_workgroup_id_y 0
		.amdhsa_system_sgpr_workgroup_id_z 0
		.amdhsa_system_sgpr_workgroup_info 0
		.amdhsa_system_vgpr_workitem_id 0
		.amdhsa_next_free_vgpr 1
		.amdhsa_next_free_sgpr 0
		.amdhsa_accum_offset 4
		.amdhsa_reserve_vcc 0
		.amdhsa_reserve_flat_scratch 0
		.amdhsa_float_round_mode_32 0
		.amdhsa_float_round_mode_16_64 0
		.amdhsa_float_denorm_mode_32 3
		.amdhsa_float_denorm_mode_16_64 3
		.amdhsa_dx10_clamp 1
		.amdhsa_ieee_mode 1
		.amdhsa_fp16_overflow 0
		.amdhsa_tg_split 0
		.amdhsa_exception_fp_ieee_invalid_op 0
		.amdhsa_exception_fp_denorm_src 0
		.amdhsa_exception_fp_ieee_div_zero 0
		.amdhsa_exception_fp_ieee_overflow 0
		.amdhsa_exception_fp_ieee_underflow 0
		.amdhsa_exception_fp_ieee_inexact 0
		.amdhsa_exception_int_div_zero 0
	.end_amdhsa_kernel
	.section	.text._ZN7rocprim17ROCPRIM_400000_NS6detail17trampoline_kernelINS0_14default_configENS1_38merge_sort_block_merge_config_selectorIcNS0_10empty_typeEEEZZNS1_27merge_sort_block_merge_implIS3_N6thrust23THRUST_200600_302600_NS6detail15normal_iteratorINS9_10device_ptrIcEEEEPS5_m14custom_greaterIcEEE10hipError_tT0_T1_T2_jT3_P12ihipStream_tbPNSt15iterator_traitsISJ_E10value_typeEPNSP_ISK_E10value_typeEPSL_NS1_7vsmem_tEENKUlT_SJ_SK_SL_E_clISE_PcSF_SF_EESI_SY_SJ_SK_SL_EUlSY_E_NS1_11comp_targetILNS1_3genE9ELNS1_11target_archE1100ELNS1_3gpuE3ELNS1_3repE0EEENS1_48merge_mergepath_partition_config_static_selectorELNS0_4arch9wavefront6targetE1EEEvSK_,"axG",@progbits,_ZN7rocprim17ROCPRIM_400000_NS6detail17trampoline_kernelINS0_14default_configENS1_38merge_sort_block_merge_config_selectorIcNS0_10empty_typeEEEZZNS1_27merge_sort_block_merge_implIS3_N6thrust23THRUST_200600_302600_NS6detail15normal_iteratorINS9_10device_ptrIcEEEEPS5_m14custom_greaterIcEEE10hipError_tT0_T1_T2_jT3_P12ihipStream_tbPNSt15iterator_traitsISJ_E10value_typeEPNSP_ISK_E10value_typeEPSL_NS1_7vsmem_tEENKUlT_SJ_SK_SL_E_clISE_PcSF_SF_EESI_SY_SJ_SK_SL_EUlSY_E_NS1_11comp_targetILNS1_3genE9ELNS1_11target_archE1100ELNS1_3gpuE3ELNS1_3repE0EEENS1_48merge_mergepath_partition_config_static_selectorELNS0_4arch9wavefront6targetE1EEEvSK_,comdat
.Lfunc_end2739:
	.size	_ZN7rocprim17ROCPRIM_400000_NS6detail17trampoline_kernelINS0_14default_configENS1_38merge_sort_block_merge_config_selectorIcNS0_10empty_typeEEEZZNS1_27merge_sort_block_merge_implIS3_N6thrust23THRUST_200600_302600_NS6detail15normal_iteratorINS9_10device_ptrIcEEEEPS5_m14custom_greaterIcEEE10hipError_tT0_T1_T2_jT3_P12ihipStream_tbPNSt15iterator_traitsISJ_E10value_typeEPNSP_ISK_E10value_typeEPSL_NS1_7vsmem_tEENKUlT_SJ_SK_SL_E_clISE_PcSF_SF_EESI_SY_SJ_SK_SL_EUlSY_E_NS1_11comp_targetILNS1_3genE9ELNS1_11target_archE1100ELNS1_3gpuE3ELNS1_3repE0EEENS1_48merge_mergepath_partition_config_static_selectorELNS0_4arch9wavefront6targetE1EEEvSK_, .Lfunc_end2739-_ZN7rocprim17ROCPRIM_400000_NS6detail17trampoline_kernelINS0_14default_configENS1_38merge_sort_block_merge_config_selectorIcNS0_10empty_typeEEEZZNS1_27merge_sort_block_merge_implIS3_N6thrust23THRUST_200600_302600_NS6detail15normal_iteratorINS9_10device_ptrIcEEEEPS5_m14custom_greaterIcEEE10hipError_tT0_T1_T2_jT3_P12ihipStream_tbPNSt15iterator_traitsISJ_E10value_typeEPNSP_ISK_E10value_typeEPSL_NS1_7vsmem_tEENKUlT_SJ_SK_SL_E_clISE_PcSF_SF_EESI_SY_SJ_SK_SL_EUlSY_E_NS1_11comp_targetILNS1_3genE9ELNS1_11target_archE1100ELNS1_3gpuE3ELNS1_3repE0EEENS1_48merge_mergepath_partition_config_static_selectorELNS0_4arch9wavefront6targetE1EEEvSK_
                                        ; -- End function
	.section	.AMDGPU.csdata,"",@progbits
; Kernel info:
; codeLenInByte = 0
; NumSgprs: 4
; NumVgprs: 0
; NumAgprs: 0
; TotalNumVgprs: 0
; ScratchSize: 0
; MemoryBound: 0
; FloatMode: 240
; IeeeMode: 1
; LDSByteSize: 0 bytes/workgroup (compile time only)
; SGPRBlocks: 0
; VGPRBlocks: 0
; NumSGPRsForWavesPerEU: 4
; NumVGPRsForWavesPerEU: 1
; AccumOffset: 4
; Occupancy: 8
; WaveLimiterHint : 0
; COMPUTE_PGM_RSRC2:SCRATCH_EN: 0
; COMPUTE_PGM_RSRC2:USER_SGPR: 6
; COMPUTE_PGM_RSRC2:TRAP_HANDLER: 0
; COMPUTE_PGM_RSRC2:TGID_X_EN: 1
; COMPUTE_PGM_RSRC2:TGID_Y_EN: 0
; COMPUTE_PGM_RSRC2:TGID_Z_EN: 0
; COMPUTE_PGM_RSRC2:TIDIG_COMP_CNT: 0
; COMPUTE_PGM_RSRC3_GFX90A:ACCUM_OFFSET: 0
; COMPUTE_PGM_RSRC3_GFX90A:TG_SPLIT: 0
	.section	.text._ZN7rocprim17ROCPRIM_400000_NS6detail17trampoline_kernelINS0_14default_configENS1_38merge_sort_block_merge_config_selectorIcNS0_10empty_typeEEEZZNS1_27merge_sort_block_merge_implIS3_N6thrust23THRUST_200600_302600_NS6detail15normal_iteratorINS9_10device_ptrIcEEEEPS5_m14custom_greaterIcEEE10hipError_tT0_T1_T2_jT3_P12ihipStream_tbPNSt15iterator_traitsISJ_E10value_typeEPNSP_ISK_E10value_typeEPSL_NS1_7vsmem_tEENKUlT_SJ_SK_SL_E_clISE_PcSF_SF_EESI_SY_SJ_SK_SL_EUlSY_E_NS1_11comp_targetILNS1_3genE8ELNS1_11target_archE1030ELNS1_3gpuE2ELNS1_3repE0EEENS1_48merge_mergepath_partition_config_static_selectorELNS0_4arch9wavefront6targetE1EEEvSK_,"axG",@progbits,_ZN7rocprim17ROCPRIM_400000_NS6detail17trampoline_kernelINS0_14default_configENS1_38merge_sort_block_merge_config_selectorIcNS0_10empty_typeEEEZZNS1_27merge_sort_block_merge_implIS3_N6thrust23THRUST_200600_302600_NS6detail15normal_iteratorINS9_10device_ptrIcEEEEPS5_m14custom_greaterIcEEE10hipError_tT0_T1_T2_jT3_P12ihipStream_tbPNSt15iterator_traitsISJ_E10value_typeEPNSP_ISK_E10value_typeEPSL_NS1_7vsmem_tEENKUlT_SJ_SK_SL_E_clISE_PcSF_SF_EESI_SY_SJ_SK_SL_EUlSY_E_NS1_11comp_targetILNS1_3genE8ELNS1_11target_archE1030ELNS1_3gpuE2ELNS1_3repE0EEENS1_48merge_mergepath_partition_config_static_selectorELNS0_4arch9wavefront6targetE1EEEvSK_,comdat
	.protected	_ZN7rocprim17ROCPRIM_400000_NS6detail17trampoline_kernelINS0_14default_configENS1_38merge_sort_block_merge_config_selectorIcNS0_10empty_typeEEEZZNS1_27merge_sort_block_merge_implIS3_N6thrust23THRUST_200600_302600_NS6detail15normal_iteratorINS9_10device_ptrIcEEEEPS5_m14custom_greaterIcEEE10hipError_tT0_T1_T2_jT3_P12ihipStream_tbPNSt15iterator_traitsISJ_E10value_typeEPNSP_ISK_E10value_typeEPSL_NS1_7vsmem_tEENKUlT_SJ_SK_SL_E_clISE_PcSF_SF_EESI_SY_SJ_SK_SL_EUlSY_E_NS1_11comp_targetILNS1_3genE8ELNS1_11target_archE1030ELNS1_3gpuE2ELNS1_3repE0EEENS1_48merge_mergepath_partition_config_static_selectorELNS0_4arch9wavefront6targetE1EEEvSK_ ; -- Begin function _ZN7rocprim17ROCPRIM_400000_NS6detail17trampoline_kernelINS0_14default_configENS1_38merge_sort_block_merge_config_selectorIcNS0_10empty_typeEEEZZNS1_27merge_sort_block_merge_implIS3_N6thrust23THRUST_200600_302600_NS6detail15normal_iteratorINS9_10device_ptrIcEEEEPS5_m14custom_greaterIcEEE10hipError_tT0_T1_T2_jT3_P12ihipStream_tbPNSt15iterator_traitsISJ_E10value_typeEPNSP_ISK_E10value_typeEPSL_NS1_7vsmem_tEENKUlT_SJ_SK_SL_E_clISE_PcSF_SF_EESI_SY_SJ_SK_SL_EUlSY_E_NS1_11comp_targetILNS1_3genE8ELNS1_11target_archE1030ELNS1_3gpuE2ELNS1_3repE0EEENS1_48merge_mergepath_partition_config_static_selectorELNS0_4arch9wavefront6targetE1EEEvSK_
	.globl	_ZN7rocprim17ROCPRIM_400000_NS6detail17trampoline_kernelINS0_14default_configENS1_38merge_sort_block_merge_config_selectorIcNS0_10empty_typeEEEZZNS1_27merge_sort_block_merge_implIS3_N6thrust23THRUST_200600_302600_NS6detail15normal_iteratorINS9_10device_ptrIcEEEEPS5_m14custom_greaterIcEEE10hipError_tT0_T1_T2_jT3_P12ihipStream_tbPNSt15iterator_traitsISJ_E10value_typeEPNSP_ISK_E10value_typeEPSL_NS1_7vsmem_tEENKUlT_SJ_SK_SL_E_clISE_PcSF_SF_EESI_SY_SJ_SK_SL_EUlSY_E_NS1_11comp_targetILNS1_3genE8ELNS1_11target_archE1030ELNS1_3gpuE2ELNS1_3repE0EEENS1_48merge_mergepath_partition_config_static_selectorELNS0_4arch9wavefront6targetE1EEEvSK_
	.p2align	8
	.type	_ZN7rocprim17ROCPRIM_400000_NS6detail17trampoline_kernelINS0_14default_configENS1_38merge_sort_block_merge_config_selectorIcNS0_10empty_typeEEEZZNS1_27merge_sort_block_merge_implIS3_N6thrust23THRUST_200600_302600_NS6detail15normal_iteratorINS9_10device_ptrIcEEEEPS5_m14custom_greaterIcEEE10hipError_tT0_T1_T2_jT3_P12ihipStream_tbPNSt15iterator_traitsISJ_E10value_typeEPNSP_ISK_E10value_typeEPSL_NS1_7vsmem_tEENKUlT_SJ_SK_SL_E_clISE_PcSF_SF_EESI_SY_SJ_SK_SL_EUlSY_E_NS1_11comp_targetILNS1_3genE8ELNS1_11target_archE1030ELNS1_3gpuE2ELNS1_3repE0EEENS1_48merge_mergepath_partition_config_static_selectorELNS0_4arch9wavefront6targetE1EEEvSK_,@function
_ZN7rocprim17ROCPRIM_400000_NS6detail17trampoline_kernelINS0_14default_configENS1_38merge_sort_block_merge_config_selectorIcNS0_10empty_typeEEEZZNS1_27merge_sort_block_merge_implIS3_N6thrust23THRUST_200600_302600_NS6detail15normal_iteratorINS9_10device_ptrIcEEEEPS5_m14custom_greaterIcEEE10hipError_tT0_T1_T2_jT3_P12ihipStream_tbPNSt15iterator_traitsISJ_E10value_typeEPNSP_ISK_E10value_typeEPSL_NS1_7vsmem_tEENKUlT_SJ_SK_SL_E_clISE_PcSF_SF_EESI_SY_SJ_SK_SL_EUlSY_E_NS1_11comp_targetILNS1_3genE8ELNS1_11target_archE1030ELNS1_3gpuE2ELNS1_3repE0EEENS1_48merge_mergepath_partition_config_static_selectorELNS0_4arch9wavefront6targetE1EEEvSK_: ; @_ZN7rocprim17ROCPRIM_400000_NS6detail17trampoline_kernelINS0_14default_configENS1_38merge_sort_block_merge_config_selectorIcNS0_10empty_typeEEEZZNS1_27merge_sort_block_merge_implIS3_N6thrust23THRUST_200600_302600_NS6detail15normal_iteratorINS9_10device_ptrIcEEEEPS5_m14custom_greaterIcEEE10hipError_tT0_T1_T2_jT3_P12ihipStream_tbPNSt15iterator_traitsISJ_E10value_typeEPNSP_ISK_E10value_typeEPSL_NS1_7vsmem_tEENKUlT_SJ_SK_SL_E_clISE_PcSF_SF_EESI_SY_SJ_SK_SL_EUlSY_E_NS1_11comp_targetILNS1_3genE8ELNS1_11target_archE1030ELNS1_3gpuE2ELNS1_3repE0EEENS1_48merge_mergepath_partition_config_static_selectorELNS0_4arch9wavefront6targetE1EEEvSK_
; %bb.0:
	.section	.rodata,"a",@progbits
	.p2align	6, 0x0
	.amdhsa_kernel _ZN7rocprim17ROCPRIM_400000_NS6detail17trampoline_kernelINS0_14default_configENS1_38merge_sort_block_merge_config_selectorIcNS0_10empty_typeEEEZZNS1_27merge_sort_block_merge_implIS3_N6thrust23THRUST_200600_302600_NS6detail15normal_iteratorINS9_10device_ptrIcEEEEPS5_m14custom_greaterIcEEE10hipError_tT0_T1_T2_jT3_P12ihipStream_tbPNSt15iterator_traitsISJ_E10value_typeEPNSP_ISK_E10value_typeEPSL_NS1_7vsmem_tEENKUlT_SJ_SK_SL_E_clISE_PcSF_SF_EESI_SY_SJ_SK_SL_EUlSY_E_NS1_11comp_targetILNS1_3genE8ELNS1_11target_archE1030ELNS1_3gpuE2ELNS1_3repE0EEENS1_48merge_mergepath_partition_config_static_selectorELNS0_4arch9wavefront6targetE1EEEvSK_
		.amdhsa_group_segment_fixed_size 0
		.amdhsa_private_segment_fixed_size 0
		.amdhsa_kernarg_size 48
		.amdhsa_user_sgpr_count 6
		.amdhsa_user_sgpr_private_segment_buffer 1
		.amdhsa_user_sgpr_dispatch_ptr 0
		.amdhsa_user_sgpr_queue_ptr 0
		.amdhsa_user_sgpr_kernarg_segment_ptr 1
		.amdhsa_user_sgpr_dispatch_id 0
		.amdhsa_user_sgpr_flat_scratch_init 0
		.amdhsa_user_sgpr_kernarg_preload_length 0
		.amdhsa_user_sgpr_kernarg_preload_offset 0
		.amdhsa_user_sgpr_private_segment_size 0
		.amdhsa_uses_dynamic_stack 0
		.amdhsa_system_sgpr_private_segment_wavefront_offset 0
		.amdhsa_system_sgpr_workgroup_id_x 1
		.amdhsa_system_sgpr_workgroup_id_y 0
		.amdhsa_system_sgpr_workgroup_id_z 0
		.amdhsa_system_sgpr_workgroup_info 0
		.amdhsa_system_vgpr_workitem_id 0
		.amdhsa_next_free_vgpr 1
		.amdhsa_next_free_sgpr 0
		.amdhsa_accum_offset 4
		.amdhsa_reserve_vcc 0
		.amdhsa_reserve_flat_scratch 0
		.amdhsa_float_round_mode_32 0
		.amdhsa_float_round_mode_16_64 0
		.amdhsa_float_denorm_mode_32 3
		.amdhsa_float_denorm_mode_16_64 3
		.amdhsa_dx10_clamp 1
		.amdhsa_ieee_mode 1
		.amdhsa_fp16_overflow 0
		.amdhsa_tg_split 0
		.amdhsa_exception_fp_ieee_invalid_op 0
		.amdhsa_exception_fp_denorm_src 0
		.amdhsa_exception_fp_ieee_div_zero 0
		.amdhsa_exception_fp_ieee_overflow 0
		.amdhsa_exception_fp_ieee_underflow 0
		.amdhsa_exception_fp_ieee_inexact 0
		.amdhsa_exception_int_div_zero 0
	.end_amdhsa_kernel
	.section	.text._ZN7rocprim17ROCPRIM_400000_NS6detail17trampoline_kernelINS0_14default_configENS1_38merge_sort_block_merge_config_selectorIcNS0_10empty_typeEEEZZNS1_27merge_sort_block_merge_implIS3_N6thrust23THRUST_200600_302600_NS6detail15normal_iteratorINS9_10device_ptrIcEEEEPS5_m14custom_greaterIcEEE10hipError_tT0_T1_T2_jT3_P12ihipStream_tbPNSt15iterator_traitsISJ_E10value_typeEPNSP_ISK_E10value_typeEPSL_NS1_7vsmem_tEENKUlT_SJ_SK_SL_E_clISE_PcSF_SF_EESI_SY_SJ_SK_SL_EUlSY_E_NS1_11comp_targetILNS1_3genE8ELNS1_11target_archE1030ELNS1_3gpuE2ELNS1_3repE0EEENS1_48merge_mergepath_partition_config_static_selectorELNS0_4arch9wavefront6targetE1EEEvSK_,"axG",@progbits,_ZN7rocprim17ROCPRIM_400000_NS6detail17trampoline_kernelINS0_14default_configENS1_38merge_sort_block_merge_config_selectorIcNS0_10empty_typeEEEZZNS1_27merge_sort_block_merge_implIS3_N6thrust23THRUST_200600_302600_NS6detail15normal_iteratorINS9_10device_ptrIcEEEEPS5_m14custom_greaterIcEEE10hipError_tT0_T1_T2_jT3_P12ihipStream_tbPNSt15iterator_traitsISJ_E10value_typeEPNSP_ISK_E10value_typeEPSL_NS1_7vsmem_tEENKUlT_SJ_SK_SL_E_clISE_PcSF_SF_EESI_SY_SJ_SK_SL_EUlSY_E_NS1_11comp_targetILNS1_3genE8ELNS1_11target_archE1030ELNS1_3gpuE2ELNS1_3repE0EEENS1_48merge_mergepath_partition_config_static_selectorELNS0_4arch9wavefront6targetE1EEEvSK_,comdat
.Lfunc_end2740:
	.size	_ZN7rocprim17ROCPRIM_400000_NS6detail17trampoline_kernelINS0_14default_configENS1_38merge_sort_block_merge_config_selectorIcNS0_10empty_typeEEEZZNS1_27merge_sort_block_merge_implIS3_N6thrust23THRUST_200600_302600_NS6detail15normal_iteratorINS9_10device_ptrIcEEEEPS5_m14custom_greaterIcEEE10hipError_tT0_T1_T2_jT3_P12ihipStream_tbPNSt15iterator_traitsISJ_E10value_typeEPNSP_ISK_E10value_typeEPSL_NS1_7vsmem_tEENKUlT_SJ_SK_SL_E_clISE_PcSF_SF_EESI_SY_SJ_SK_SL_EUlSY_E_NS1_11comp_targetILNS1_3genE8ELNS1_11target_archE1030ELNS1_3gpuE2ELNS1_3repE0EEENS1_48merge_mergepath_partition_config_static_selectorELNS0_4arch9wavefront6targetE1EEEvSK_, .Lfunc_end2740-_ZN7rocprim17ROCPRIM_400000_NS6detail17trampoline_kernelINS0_14default_configENS1_38merge_sort_block_merge_config_selectorIcNS0_10empty_typeEEEZZNS1_27merge_sort_block_merge_implIS3_N6thrust23THRUST_200600_302600_NS6detail15normal_iteratorINS9_10device_ptrIcEEEEPS5_m14custom_greaterIcEEE10hipError_tT0_T1_T2_jT3_P12ihipStream_tbPNSt15iterator_traitsISJ_E10value_typeEPNSP_ISK_E10value_typeEPSL_NS1_7vsmem_tEENKUlT_SJ_SK_SL_E_clISE_PcSF_SF_EESI_SY_SJ_SK_SL_EUlSY_E_NS1_11comp_targetILNS1_3genE8ELNS1_11target_archE1030ELNS1_3gpuE2ELNS1_3repE0EEENS1_48merge_mergepath_partition_config_static_selectorELNS0_4arch9wavefront6targetE1EEEvSK_
                                        ; -- End function
	.section	.AMDGPU.csdata,"",@progbits
; Kernel info:
; codeLenInByte = 0
; NumSgprs: 4
; NumVgprs: 0
; NumAgprs: 0
; TotalNumVgprs: 0
; ScratchSize: 0
; MemoryBound: 0
; FloatMode: 240
; IeeeMode: 1
; LDSByteSize: 0 bytes/workgroup (compile time only)
; SGPRBlocks: 0
; VGPRBlocks: 0
; NumSGPRsForWavesPerEU: 4
; NumVGPRsForWavesPerEU: 1
; AccumOffset: 4
; Occupancy: 8
; WaveLimiterHint : 0
; COMPUTE_PGM_RSRC2:SCRATCH_EN: 0
; COMPUTE_PGM_RSRC2:USER_SGPR: 6
; COMPUTE_PGM_RSRC2:TRAP_HANDLER: 0
; COMPUTE_PGM_RSRC2:TGID_X_EN: 1
; COMPUTE_PGM_RSRC2:TGID_Y_EN: 0
; COMPUTE_PGM_RSRC2:TGID_Z_EN: 0
; COMPUTE_PGM_RSRC2:TIDIG_COMP_CNT: 0
; COMPUTE_PGM_RSRC3_GFX90A:ACCUM_OFFSET: 0
; COMPUTE_PGM_RSRC3_GFX90A:TG_SPLIT: 0
	.section	.text._ZN7rocprim17ROCPRIM_400000_NS6detail17trampoline_kernelINS0_14default_configENS1_38merge_sort_block_merge_config_selectorIcNS0_10empty_typeEEEZZNS1_27merge_sort_block_merge_implIS3_N6thrust23THRUST_200600_302600_NS6detail15normal_iteratorINS9_10device_ptrIcEEEEPS5_m14custom_greaterIcEEE10hipError_tT0_T1_T2_jT3_P12ihipStream_tbPNSt15iterator_traitsISJ_E10value_typeEPNSP_ISK_E10value_typeEPSL_NS1_7vsmem_tEENKUlT_SJ_SK_SL_E_clISE_PcSF_SF_EESI_SY_SJ_SK_SL_EUlSY_E0_NS1_11comp_targetILNS1_3genE0ELNS1_11target_archE4294967295ELNS1_3gpuE0ELNS1_3repE0EEENS1_38merge_mergepath_config_static_selectorELNS0_4arch9wavefront6targetE1EEEvSK_,"axG",@progbits,_ZN7rocprim17ROCPRIM_400000_NS6detail17trampoline_kernelINS0_14default_configENS1_38merge_sort_block_merge_config_selectorIcNS0_10empty_typeEEEZZNS1_27merge_sort_block_merge_implIS3_N6thrust23THRUST_200600_302600_NS6detail15normal_iteratorINS9_10device_ptrIcEEEEPS5_m14custom_greaterIcEEE10hipError_tT0_T1_T2_jT3_P12ihipStream_tbPNSt15iterator_traitsISJ_E10value_typeEPNSP_ISK_E10value_typeEPSL_NS1_7vsmem_tEENKUlT_SJ_SK_SL_E_clISE_PcSF_SF_EESI_SY_SJ_SK_SL_EUlSY_E0_NS1_11comp_targetILNS1_3genE0ELNS1_11target_archE4294967295ELNS1_3gpuE0ELNS1_3repE0EEENS1_38merge_mergepath_config_static_selectorELNS0_4arch9wavefront6targetE1EEEvSK_,comdat
	.protected	_ZN7rocprim17ROCPRIM_400000_NS6detail17trampoline_kernelINS0_14default_configENS1_38merge_sort_block_merge_config_selectorIcNS0_10empty_typeEEEZZNS1_27merge_sort_block_merge_implIS3_N6thrust23THRUST_200600_302600_NS6detail15normal_iteratorINS9_10device_ptrIcEEEEPS5_m14custom_greaterIcEEE10hipError_tT0_T1_T2_jT3_P12ihipStream_tbPNSt15iterator_traitsISJ_E10value_typeEPNSP_ISK_E10value_typeEPSL_NS1_7vsmem_tEENKUlT_SJ_SK_SL_E_clISE_PcSF_SF_EESI_SY_SJ_SK_SL_EUlSY_E0_NS1_11comp_targetILNS1_3genE0ELNS1_11target_archE4294967295ELNS1_3gpuE0ELNS1_3repE0EEENS1_38merge_mergepath_config_static_selectorELNS0_4arch9wavefront6targetE1EEEvSK_ ; -- Begin function _ZN7rocprim17ROCPRIM_400000_NS6detail17trampoline_kernelINS0_14default_configENS1_38merge_sort_block_merge_config_selectorIcNS0_10empty_typeEEEZZNS1_27merge_sort_block_merge_implIS3_N6thrust23THRUST_200600_302600_NS6detail15normal_iteratorINS9_10device_ptrIcEEEEPS5_m14custom_greaterIcEEE10hipError_tT0_T1_T2_jT3_P12ihipStream_tbPNSt15iterator_traitsISJ_E10value_typeEPNSP_ISK_E10value_typeEPSL_NS1_7vsmem_tEENKUlT_SJ_SK_SL_E_clISE_PcSF_SF_EESI_SY_SJ_SK_SL_EUlSY_E0_NS1_11comp_targetILNS1_3genE0ELNS1_11target_archE4294967295ELNS1_3gpuE0ELNS1_3repE0EEENS1_38merge_mergepath_config_static_selectorELNS0_4arch9wavefront6targetE1EEEvSK_
	.globl	_ZN7rocprim17ROCPRIM_400000_NS6detail17trampoline_kernelINS0_14default_configENS1_38merge_sort_block_merge_config_selectorIcNS0_10empty_typeEEEZZNS1_27merge_sort_block_merge_implIS3_N6thrust23THRUST_200600_302600_NS6detail15normal_iteratorINS9_10device_ptrIcEEEEPS5_m14custom_greaterIcEEE10hipError_tT0_T1_T2_jT3_P12ihipStream_tbPNSt15iterator_traitsISJ_E10value_typeEPNSP_ISK_E10value_typeEPSL_NS1_7vsmem_tEENKUlT_SJ_SK_SL_E_clISE_PcSF_SF_EESI_SY_SJ_SK_SL_EUlSY_E0_NS1_11comp_targetILNS1_3genE0ELNS1_11target_archE4294967295ELNS1_3gpuE0ELNS1_3repE0EEENS1_38merge_mergepath_config_static_selectorELNS0_4arch9wavefront6targetE1EEEvSK_
	.p2align	8
	.type	_ZN7rocprim17ROCPRIM_400000_NS6detail17trampoline_kernelINS0_14default_configENS1_38merge_sort_block_merge_config_selectorIcNS0_10empty_typeEEEZZNS1_27merge_sort_block_merge_implIS3_N6thrust23THRUST_200600_302600_NS6detail15normal_iteratorINS9_10device_ptrIcEEEEPS5_m14custom_greaterIcEEE10hipError_tT0_T1_T2_jT3_P12ihipStream_tbPNSt15iterator_traitsISJ_E10value_typeEPNSP_ISK_E10value_typeEPSL_NS1_7vsmem_tEENKUlT_SJ_SK_SL_E_clISE_PcSF_SF_EESI_SY_SJ_SK_SL_EUlSY_E0_NS1_11comp_targetILNS1_3genE0ELNS1_11target_archE4294967295ELNS1_3gpuE0ELNS1_3repE0EEENS1_38merge_mergepath_config_static_selectorELNS0_4arch9wavefront6targetE1EEEvSK_,@function
_ZN7rocprim17ROCPRIM_400000_NS6detail17trampoline_kernelINS0_14default_configENS1_38merge_sort_block_merge_config_selectorIcNS0_10empty_typeEEEZZNS1_27merge_sort_block_merge_implIS3_N6thrust23THRUST_200600_302600_NS6detail15normal_iteratorINS9_10device_ptrIcEEEEPS5_m14custom_greaterIcEEE10hipError_tT0_T1_T2_jT3_P12ihipStream_tbPNSt15iterator_traitsISJ_E10value_typeEPNSP_ISK_E10value_typeEPSL_NS1_7vsmem_tEENKUlT_SJ_SK_SL_E_clISE_PcSF_SF_EESI_SY_SJ_SK_SL_EUlSY_E0_NS1_11comp_targetILNS1_3genE0ELNS1_11target_archE4294967295ELNS1_3gpuE0ELNS1_3repE0EEENS1_38merge_mergepath_config_static_selectorELNS0_4arch9wavefront6targetE1EEEvSK_: ; @_ZN7rocprim17ROCPRIM_400000_NS6detail17trampoline_kernelINS0_14default_configENS1_38merge_sort_block_merge_config_selectorIcNS0_10empty_typeEEEZZNS1_27merge_sort_block_merge_implIS3_N6thrust23THRUST_200600_302600_NS6detail15normal_iteratorINS9_10device_ptrIcEEEEPS5_m14custom_greaterIcEEE10hipError_tT0_T1_T2_jT3_P12ihipStream_tbPNSt15iterator_traitsISJ_E10value_typeEPNSP_ISK_E10value_typeEPSL_NS1_7vsmem_tEENKUlT_SJ_SK_SL_E_clISE_PcSF_SF_EESI_SY_SJ_SK_SL_EUlSY_E0_NS1_11comp_targetILNS1_3genE0ELNS1_11target_archE4294967295ELNS1_3gpuE0ELNS1_3repE0EEENS1_38merge_mergepath_config_static_selectorELNS0_4arch9wavefront6targetE1EEEvSK_
; %bb.0:
	.section	.rodata,"a",@progbits
	.p2align	6, 0x0
	.amdhsa_kernel _ZN7rocprim17ROCPRIM_400000_NS6detail17trampoline_kernelINS0_14default_configENS1_38merge_sort_block_merge_config_selectorIcNS0_10empty_typeEEEZZNS1_27merge_sort_block_merge_implIS3_N6thrust23THRUST_200600_302600_NS6detail15normal_iteratorINS9_10device_ptrIcEEEEPS5_m14custom_greaterIcEEE10hipError_tT0_T1_T2_jT3_P12ihipStream_tbPNSt15iterator_traitsISJ_E10value_typeEPNSP_ISK_E10value_typeEPSL_NS1_7vsmem_tEENKUlT_SJ_SK_SL_E_clISE_PcSF_SF_EESI_SY_SJ_SK_SL_EUlSY_E0_NS1_11comp_targetILNS1_3genE0ELNS1_11target_archE4294967295ELNS1_3gpuE0ELNS1_3repE0EEENS1_38merge_mergepath_config_static_selectorELNS0_4arch9wavefront6targetE1EEEvSK_
		.amdhsa_group_segment_fixed_size 0
		.amdhsa_private_segment_fixed_size 0
		.amdhsa_kernarg_size 72
		.amdhsa_user_sgpr_count 6
		.amdhsa_user_sgpr_private_segment_buffer 1
		.amdhsa_user_sgpr_dispatch_ptr 0
		.amdhsa_user_sgpr_queue_ptr 0
		.amdhsa_user_sgpr_kernarg_segment_ptr 1
		.amdhsa_user_sgpr_dispatch_id 0
		.amdhsa_user_sgpr_flat_scratch_init 0
		.amdhsa_user_sgpr_kernarg_preload_length 0
		.amdhsa_user_sgpr_kernarg_preload_offset 0
		.amdhsa_user_sgpr_private_segment_size 0
		.amdhsa_uses_dynamic_stack 0
		.amdhsa_system_sgpr_private_segment_wavefront_offset 0
		.amdhsa_system_sgpr_workgroup_id_x 1
		.amdhsa_system_sgpr_workgroup_id_y 0
		.amdhsa_system_sgpr_workgroup_id_z 0
		.amdhsa_system_sgpr_workgroup_info 0
		.amdhsa_system_vgpr_workitem_id 0
		.amdhsa_next_free_vgpr 1
		.amdhsa_next_free_sgpr 0
		.amdhsa_accum_offset 4
		.amdhsa_reserve_vcc 0
		.amdhsa_reserve_flat_scratch 0
		.amdhsa_float_round_mode_32 0
		.amdhsa_float_round_mode_16_64 0
		.amdhsa_float_denorm_mode_32 3
		.amdhsa_float_denorm_mode_16_64 3
		.amdhsa_dx10_clamp 1
		.amdhsa_ieee_mode 1
		.amdhsa_fp16_overflow 0
		.amdhsa_tg_split 0
		.amdhsa_exception_fp_ieee_invalid_op 0
		.amdhsa_exception_fp_denorm_src 0
		.amdhsa_exception_fp_ieee_div_zero 0
		.amdhsa_exception_fp_ieee_overflow 0
		.amdhsa_exception_fp_ieee_underflow 0
		.amdhsa_exception_fp_ieee_inexact 0
		.amdhsa_exception_int_div_zero 0
	.end_amdhsa_kernel
	.section	.text._ZN7rocprim17ROCPRIM_400000_NS6detail17trampoline_kernelINS0_14default_configENS1_38merge_sort_block_merge_config_selectorIcNS0_10empty_typeEEEZZNS1_27merge_sort_block_merge_implIS3_N6thrust23THRUST_200600_302600_NS6detail15normal_iteratorINS9_10device_ptrIcEEEEPS5_m14custom_greaterIcEEE10hipError_tT0_T1_T2_jT3_P12ihipStream_tbPNSt15iterator_traitsISJ_E10value_typeEPNSP_ISK_E10value_typeEPSL_NS1_7vsmem_tEENKUlT_SJ_SK_SL_E_clISE_PcSF_SF_EESI_SY_SJ_SK_SL_EUlSY_E0_NS1_11comp_targetILNS1_3genE0ELNS1_11target_archE4294967295ELNS1_3gpuE0ELNS1_3repE0EEENS1_38merge_mergepath_config_static_selectorELNS0_4arch9wavefront6targetE1EEEvSK_,"axG",@progbits,_ZN7rocprim17ROCPRIM_400000_NS6detail17trampoline_kernelINS0_14default_configENS1_38merge_sort_block_merge_config_selectorIcNS0_10empty_typeEEEZZNS1_27merge_sort_block_merge_implIS3_N6thrust23THRUST_200600_302600_NS6detail15normal_iteratorINS9_10device_ptrIcEEEEPS5_m14custom_greaterIcEEE10hipError_tT0_T1_T2_jT3_P12ihipStream_tbPNSt15iterator_traitsISJ_E10value_typeEPNSP_ISK_E10value_typeEPSL_NS1_7vsmem_tEENKUlT_SJ_SK_SL_E_clISE_PcSF_SF_EESI_SY_SJ_SK_SL_EUlSY_E0_NS1_11comp_targetILNS1_3genE0ELNS1_11target_archE4294967295ELNS1_3gpuE0ELNS1_3repE0EEENS1_38merge_mergepath_config_static_selectorELNS0_4arch9wavefront6targetE1EEEvSK_,comdat
.Lfunc_end2741:
	.size	_ZN7rocprim17ROCPRIM_400000_NS6detail17trampoline_kernelINS0_14default_configENS1_38merge_sort_block_merge_config_selectorIcNS0_10empty_typeEEEZZNS1_27merge_sort_block_merge_implIS3_N6thrust23THRUST_200600_302600_NS6detail15normal_iteratorINS9_10device_ptrIcEEEEPS5_m14custom_greaterIcEEE10hipError_tT0_T1_T2_jT3_P12ihipStream_tbPNSt15iterator_traitsISJ_E10value_typeEPNSP_ISK_E10value_typeEPSL_NS1_7vsmem_tEENKUlT_SJ_SK_SL_E_clISE_PcSF_SF_EESI_SY_SJ_SK_SL_EUlSY_E0_NS1_11comp_targetILNS1_3genE0ELNS1_11target_archE4294967295ELNS1_3gpuE0ELNS1_3repE0EEENS1_38merge_mergepath_config_static_selectorELNS0_4arch9wavefront6targetE1EEEvSK_, .Lfunc_end2741-_ZN7rocprim17ROCPRIM_400000_NS6detail17trampoline_kernelINS0_14default_configENS1_38merge_sort_block_merge_config_selectorIcNS0_10empty_typeEEEZZNS1_27merge_sort_block_merge_implIS3_N6thrust23THRUST_200600_302600_NS6detail15normal_iteratorINS9_10device_ptrIcEEEEPS5_m14custom_greaterIcEEE10hipError_tT0_T1_T2_jT3_P12ihipStream_tbPNSt15iterator_traitsISJ_E10value_typeEPNSP_ISK_E10value_typeEPSL_NS1_7vsmem_tEENKUlT_SJ_SK_SL_E_clISE_PcSF_SF_EESI_SY_SJ_SK_SL_EUlSY_E0_NS1_11comp_targetILNS1_3genE0ELNS1_11target_archE4294967295ELNS1_3gpuE0ELNS1_3repE0EEENS1_38merge_mergepath_config_static_selectorELNS0_4arch9wavefront6targetE1EEEvSK_
                                        ; -- End function
	.section	.AMDGPU.csdata,"",@progbits
; Kernel info:
; codeLenInByte = 0
; NumSgprs: 4
; NumVgprs: 0
; NumAgprs: 0
; TotalNumVgprs: 0
; ScratchSize: 0
; MemoryBound: 0
; FloatMode: 240
; IeeeMode: 1
; LDSByteSize: 0 bytes/workgroup (compile time only)
; SGPRBlocks: 0
; VGPRBlocks: 0
; NumSGPRsForWavesPerEU: 4
; NumVGPRsForWavesPerEU: 1
; AccumOffset: 4
; Occupancy: 8
; WaveLimiterHint : 0
; COMPUTE_PGM_RSRC2:SCRATCH_EN: 0
; COMPUTE_PGM_RSRC2:USER_SGPR: 6
; COMPUTE_PGM_RSRC2:TRAP_HANDLER: 0
; COMPUTE_PGM_RSRC2:TGID_X_EN: 1
; COMPUTE_PGM_RSRC2:TGID_Y_EN: 0
; COMPUTE_PGM_RSRC2:TGID_Z_EN: 0
; COMPUTE_PGM_RSRC2:TIDIG_COMP_CNT: 0
; COMPUTE_PGM_RSRC3_GFX90A:ACCUM_OFFSET: 0
; COMPUTE_PGM_RSRC3_GFX90A:TG_SPLIT: 0
	.section	.text._ZN7rocprim17ROCPRIM_400000_NS6detail17trampoline_kernelINS0_14default_configENS1_38merge_sort_block_merge_config_selectorIcNS0_10empty_typeEEEZZNS1_27merge_sort_block_merge_implIS3_N6thrust23THRUST_200600_302600_NS6detail15normal_iteratorINS9_10device_ptrIcEEEEPS5_m14custom_greaterIcEEE10hipError_tT0_T1_T2_jT3_P12ihipStream_tbPNSt15iterator_traitsISJ_E10value_typeEPNSP_ISK_E10value_typeEPSL_NS1_7vsmem_tEENKUlT_SJ_SK_SL_E_clISE_PcSF_SF_EESI_SY_SJ_SK_SL_EUlSY_E0_NS1_11comp_targetILNS1_3genE10ELNS1_11target_archE1201ELNS1_3gpuE5ELNS1_3repE0EEENS1_38merge_mergepath_config_static_selectorELNS0_4arch9wavefront6targetE1EEEvSK_,"axG",@progbits,_ZN7rocprim17ROCPRIM_400000_NS6detail17trampoline_kernelINS0_14default_configENS1_38merge_sort_block_merge_config_selectorIcNS0_10empty_typeEEEZZNS1_27merge_sort_block_merge_implIS3_N6thrust23THRUST_200600_302600_NS6detail15normal_iteratorINS9_10device_ptrIcEEEEPS5_m14custom_greaterIcEEE10hipError_tT0_T1_T2_jT3_P12ihipStream_tbPNSt15iterator_traitsISJ_E10value_typeEPNSP_ISK_E10value_typeEPSL_NS1_7vsmem_tEENKUlT_SJ_SK_SL_E_clISE_PcSF_SF_EESI_SY_SJ_SK_SL_EUlSY_E0_NS1_11comp_targetILNS1_3genE10ELNS1_11target_archE1201ELNS1_3gpuE5ELNS1_3repE0EEENS1_38merge_mergepath_config_static_selectorELNS0_4arch9wavefront6targetE1EEEvSK_,comdat
	.protected	_ZN7rocprim17ROCPRIM_400000_NS6detail17trampoline_kernelINS0_14default_configENS1_38merge_sort_block_merge_config_selectorIcNS0_10empty_typeEEEZZNS1_27merge_sort_block_merge_implIS3_N6thrust23THRUST_200600_302600_NS6detail15normal_iteratorINS9_10device_ptrIcEEEEPS5_m14custom_greaterIcEEE10hipError_tT0_T1_T2_jT3_P12ihipStream_tbPNSt15iterator_traitsISJ_E10value_typeEPNSP_ISK_E10value_typeEPSL_NS1_7vsmem_tEENKUlT_SJ_SK_SL_E_clISE_PcSF_SF_EESI_SY_SJ_SK_SL_EUlSY_E0_NS1_11comp_targetILNS1_3genE10ELNS1_11target_archE1201ELNS1_3gpuE5ELNS1_3repE0EEENS1_38merge_mergepath_config_static_selectorELNS0_4arch9wavefront6targetE1EEEvSK_ ; -- Begin function _ZN7rocprim17ROCPRIM_400000_NS6detail17trampoline_kernelINS0_14default_configENS1_38merge_sort_block_merge_config_selectorIcNS0_10empty_typeEEEZZNS1_27merge_sort_block_merge_implIS3_N6thrust23THRUST_200600_302600_NS6detail15normal_iteratorINS9_10device_ptrIcEEEEPS5_m14custom_greaterIcEEE10hipError_tT0_T1_T2_jT3_P12ihipStream_tbPNSt15iterator_traitsISJ_E10value_typeEPNSP_ISK_E10value_typeEPSL_NS1_7vsmem_tEENKUlT_SJ_SK_SL_E_clISE_PcSF_SF_EESI_SY_SJ_SK_SL_EUlSY_E0_NS1_11comp_targetILNS1_3genE10ELNS1_11target_archE1201ELNS1_3gpuE5ELNS1_3repE0EEENS1_38merge_mergepath_config_static_selectorELNS0_4arch9wavefront6targetE1EEEvSK_
	.globl	_ZN7rocprim17ROCPRIM_400000_NS6detail17trampoline_kernelINS0_14default_configENS1_38merge_sort_block_merge_config_selectorIcNS0_10empty_typeEEEZZNS1_27merge_sort_block_merge_implIS3_N6thrust23THRUST_200600_302600_NS6detail15normal_iteratorINS9_10device_ptrIcEEEEPS5_m14custom_greaterIcEEE10hipError_tT0_T1_T2_jT3_P12ihipStream_tbPNSt15iterator_traitsISJ_E10value_typeEPNSP_ISK_E10value_typeEPSL_NS1_7vsmem_tEENKUlT_SJ_SK_SL_E_clISE_PcSF_SF_EESI_SY_SJ_SK_SL_EUlSY_E0_NS1_11comp_targetILNS1_3genE10ELNS1_11target_archE1201ELNS1_3gpuE5ELNS1_3repE0EEENS1_38merge_mergepath_config_static_selectorELNS0_4arch9wavefront6targetE1EEEvSK_
	.p2align	8
	.type	_ZN7rocprim17ROCPRIM_400000_NS6detail17trampoline_kernelINS0_14default_configENS1_38merge_sort_block_merge_config_selectorIcNS0_10empty_typeEEEZZNS1_27merge_sort_block_merge_implIS3_N6thrust23THRUST_200600_302600_NS6detail15normal_iteratorINS9_10device_ptrIcEEEEPS5_m14custom_greaterIcEEE10hipError_tT0_T1_T2_jT3_P12ihipStream_tbPNSt15iterator_traitsISJ_E10value_typeEPNSP_ISK_E10value_typeEPSL_NS1_7vsmem_tEENKUlT_SJ_SK_SL_E_clISE_PcSF_SF_EESI_SY_SJ_SK_SL_EUlSY_E0_NS1_11comp_targetILNS1_3genE10ELNS1_11target_archE1201ELNS1_3gpuE5ELNS1_3repE0EEENS1_38merge_mergepath_config_static_selectorELNS0_4arch9wavefront6targetE1EEEvSK_,@function
_ZN7rocprim17ROCPRIM_400000_NS6detail17trampoline_kernelINS0_14default_configENS1_38merge_sort_block_merge_config_selectorIcNS0_10empty_typeEEEZZNS1_27merge_sort_block_merge_implIS3_N6thrust23THRUST_200600_302600_NS6detail15normal_iteratorINS9_10device_ptrIcEEEEPS5_m14custom_greaterIcEEE10hipError_tT0_T1_T2_jT3_P12ihipStream_tbPNSt15iterator_traitsISJ_E10value_typeEPNSP_ISK_E10value_typeEPSL_NS1_7vsmem_tEENKUlT_SJ_SK_SL_E_clISE_PcSF_SF_EESI_SY_SJ_SK_SL_EUlSY_E0_NS1_11comp_targetILNS1_3genE10ELNS1_11target_archE1201ELNS1_3gpuE5ELNS1_3repE0EEENS1_38merge_mergepath_config_static_selectorELNS0_4arch9wavefront6targetE1EEEvSK_: ; @_ZN7rocprim17ROCPRIM_400000_NS6detail17trampoline_kernelINS0_14default_configENS1_38merge_sort_block_merge_config_selectorIcNS0_10empty_typeEEEZZNS1_27merge_sort_block_merge_implIS3_N6thrust23THRUST_200600_302600_NS6detail15normal_iteratorINS9_10device_ptrIcEEEEPS5_m14custom_greaterIcEEE10hipError_tT0_T1_T2_jT3_P12ihipStream_tbPNSt15iterator_traitsISJ_E10value_typeEPNSP_ISK_E10value_typeEPSL_NS1_7vsmem_tEENKUlT_SJ_SK_SL_E_clISE_PcSF_SF_EESI_SY_SJ_SK_SL_EUlSY_E0_NS1_11comp_targetILNS1_3genE10ELNS1_11target_archE1201ELNS1_3gpuE5ELNS1_3repE0EEENS1_38merge_mergepath_config_static_selectorELNS0_4arch9wavefront6targetE1EEEvSK_
; %bb.0:
	.section	.rodata,"a",@progbits
	.p2align	6, 0x0
	.amdhsa_kernel _ZN7rocprim17ROCPRIM_400000_NS6detail17trampoline_kernelINS0_14default_configENS1_38merge_sort_block_merge_config_selectorIcNS0_10empty_typeEEEZZNS1_27merge_sort_block_merge_implIS3_N6thrust23THRUST_200600_302600_NS6detail15normal_iteratorINS9_10device_ptrIcEEEEPS5_m14custom_greaterIcEEE10hipError_tT0_T1_T2_jT3_P12ihipStream_tbPNSt15iterator_traitsISJ_E10value_typeEPNSP_ISK_E10value_typeEPSL_NS1_7vsmem_tEENKUlT_SJ_SK_SL_E_clISE_PcSF_SF_EESI_SY_SJ_SK_SL_EUlSY_E0_NS1_11comp_targetILNS1_3genE10ELNS1_11target_archE1201ELNS1_3gpuE5ELNS1_3repE0EEENS1_38merge_mergepath_config_static_selectorELNS0_4arch9wavefront6targetE1EEEvSK_
		.amdhsa_group_segment_fixed_size 0
		.amdhsa_private_segment_fixed_size 0
		.amdhsa_kernarg_size 72
		.amdhsa_user_sgpr_count 6
		.amdhsa_user_sgpr_private_segment_buffer 1
		.amdhsa_user_sgpr_dispatch_ptr 0
		.amdhsa_user_sgpr_queue_ptr 0
		.amdhsa_user_sgpr_kernarg_segment_ptr 1
		.amdhsa_user_sgpr_dispatch_id 0
		.amdhsa_user_sgpr_flat_scratch_init 0
		.amdhsa_user_sgpr_kernarg_preload_length 0
		.amdhsa_user_sgpr_kernarg_preload_offset 0
		.amdhsa_user_sgpr_private_segment_size 0
		.amdhsa_uses_dynamic_stack 0
		.amdhsa_system_sgpr_private_segment_wavefront_offset 0
		.amdhsa_system_sgpr_workgroup_id_x 1
		.amdhsa_system_sgpr_workgroup_id_y 0
		.amdhsa_system_sgpr_workgroup_id_z 0
		.amdhsa_system_sgpr_workgroup_info 0
		.amdhsa_system_vgpr_workitem_id 0
		.amdhsa_next_free_vgpr 1
		.amdhsa_next_free_sgpr 0
		.amdhsa_accum_offset 4
		.amdhsa_reserve_vcc 0
		.amdhsa_reserve_flat_scratch 0
		.amdhsa_float_round_mode_32 0
		.amdhsa_float_round_mode_16_64 0
		.amdhsa_float_denorm_mode_32 3
		.amdhsa_float_denorm_mode_16_64 3
		.amdhsa_dx10_clamp 1
		.amdhsa_ieee_mode 1
		.amdhsa_fp16_overflow 0
		.amdhsa_tg_split 0
		.amdhsa_exception_fp_ieee_invalid_op 0
		.amdhsa_exception_fp_denorm_src 0
		.amdhsa_exception_fp_ieee_div_zero 0
		.amdhsa_exception_fp_ieee_overflow 0
		.amdhsa_exception_fp_ieee_underflow 0
		.amdhsa_exception_fp_ieee_inexact 0
		.amdhsa_exception_int_div_zero 0
	.end_amdhsa_kernel
	.section	.text._ZN7rocprim17ROCPRIM_400000_NS6detail17trampoline_kernelINS0_14default_configENS1_38merge_sort_block_merge_config_selectorIcNS0_10empty_typeEEEZZNS1_27merge_sort_block_merge_implIS3_N6thrust23THRUST_200600_302600_NS6detail15normal_iteratorINS9_10device_ptrIcEEEEPS5_m14custom_greaterIcEEE10hipError_tT0_T1_T2_jT3_P12ihipStream_tbPNSt15iterator_traitsISJ_E10value_typeEPNSP_ISK_E10value_typeEPSL_NS1_7vsmem_tEENKUlT_SJ_SK_SL_E_clISE_PcSF_SF_EESI_SY_SJ_SK_SL_EUlSY_E0_NS1_11comp_targetILNS1_3genE10ELNS1_11target_archE1201ELNS1_3gpuE5ELNS1_3repE0EEENS1_38merge_mergepath_config_static_selectorELNS0_4arch9wavefront6targetE1EEEvSK_,"axG",@progbits,_ZN7rocprim17ROCPRIM_400000_NS6detail17trampoline_kernelINS0_14default_configENS1_38merge_sort_block_merge_config_selectorIcNS0_10empty_typeEEEZZNS1_27merge_sort_block_merge_implIS3_N6thrust23THRUST_200600_302600_NS6detail15normal_iteratorINS9_10device_ptrIcEEEEPS5_m14custom_greaterIcEEE10hipError_tT0_T1_T2_jT3_P12ihipStream_tbPNSt15iterator_traitsISJ_E10value_typeEPNSP_ISK_E10value_typeEPSL_NS1_7vsmem_tEENKUlT_SJ_SK_SL_E_clISE_PcSF_SF_EESI_SY_SJ_SK_SL_EUlSY_E0_NS1_11comp_targetILNS1_3genE10ELNS1_11target_archE1201ELNS1_3gpuE5ELNS1_3repE0EEENS1_38merge_mergepath_config_static_selectorELNS0_4arch9wavefront6targetE1EEEvSK_,comdat
.Lfunc_end2742:
	.size	_ZN7rocprim17ROCPRIM_400000_NS6detail17trampoline_kernelINS0_14default_configENS1_38merge_sort_block_merge_config_selectorIcNS0_10empty_typeEEEZZNS1_27merge_sort_block_merge_implIS3_N6thrust23THRUST_200600_302600_NS6detail15normal_iteratorINS9_10device_ptrIcEEEEPS5_m14custom_greaterIcEEE10hipError_tT0_T1_T2_jT3_P12ihipStream_tbPNSt15iterator_traitsISJ_E10value_typeEPNSP_ISK_E10value_typeEPSL_NS1_7vsmem_tEENKUlT_SJ_SK_SL_E_clISE_PcSF_SF_EESI_SY_SJ_SK_SL_EUlSY_E0_NS1_11comp_targetILNS1_3genE10ELNS1_11target_archE1201ELNS1_3gpuE5ELNS1_3repE0EEENS1_38merge_mergepath_config_static_selectorELNS0_4arch9wavefront6targetE1EEEvSK_, .Lfunc_end2742-_ZN7rocprim17ROCPRIM_400000_NS6detail17trampoline_kernelINS0_14default_configENS1_38merge_sort_block_merge_config_selectorIcNS0_10empty_typeEEEZZNS1_27merge_sort_block_merge_implIS3_N6thrust23THRUST_200600_302600_NS6detail15normal_iteratorINS9_10device_ptrIcEEEEPS5_m14custom_greaterIcEEE10hipError_tT0_T1_T2_jT3_P12ihipStream_tbPNSt15iterator_traitsISJ_E10value_typeEPNSP_ISK_E10value_typeEPSL_NS1_7vsmem_tEENKUlT_SJ_SK_SL_E_clISE_PcSF_SF_EESI_SY_SJ_SK_SL_EUlSY_E0_NS1_11comp_targetILNS1_3genE10ELNS1_11target_archE1201ELNS1_3gpuE5ELNS1_3repE0EEENS1_38merge_mergepath_config_static_selectorELNS0_4arch9wavefront6targetE1EEEvSK_
                                        ; -- End function
	.section	.AMDGPU.csdata,"",@progbits
; Kernel info:
; codeLenInByte = 0
; NumSgprs: 4
; NumVgprs: 0
; NumAgprs: 0
; TotalNumVgprs: 0
; ScratchSize: 0
; MemoryBound: 0
; FloatMode: 240
; IeeeMode: 1
; LDSByteSize: 0 bytes/workgroup (compile time only)
; SGPRBlocks: 0
; VGPRBlocks: 0
; NumSGPRsForWavesPerEU: 4
; NumVGPRsForWavesPerEU: 1
; AccumOffset: 4
; Occupancy: 8
; WaveLimiterHint : 0
; COMPUTE_PGM_RSRC2:SCRATCH_EN: 0
; COMPUTE_PGM_RSRC2:USER_SGPR: 6
; COMPUTE_PGM_RSRC2:TRAP_HANDLER: 0
; COMPUTE_PGM_RSRC2:TGID_X_EN: 1
; COMPUTE_PGM_RSRC2:TGID_Y_EN: 0
; COMPUTE_PGM_RSRC2:TGID_Z_EN: 0
; COMPUTE_PGM_RSRC2:TIDIG_COMP_CNT: 0
; COMPUTE_PGM_RSRC3_GFX90A:ACCUM_OFFSET: 0
; COMPUTE_PGM_RSRC3_GFX90A:TG_SPLIT: 0
	.section	.text._ZN7rocprim17ROCPRIM_400000_NS6detail17trampoline_kernelINS0_14default_configENS1_38merge_sort_block_merge_config_selectorIcNS0_10empty_typeEEEZZNS1_27merge_sort_block_merge_implIS3_N6thrust23THRUST_200600_302600_NS6detail15normal_iteratorINS9_10device_ptrIcEEEEPS5_m14custom_greaterIcEEE10hipError_tT0_T1_T2_jT3_P12ihipStream_tbPNSt15iterator_traitsISJ_E10value_typeEPNSP_ISK_E10value_typeEPSL_NS1_7vsmem_tEENKUlT_SJ_SK_SL_E_clISE_PcSF_SF_EESI_SY_SJ_SK_SL_EUlSY_E0_NS1_11comp_targetILNS1_3genE5ELNS1_11target_archE942ELNS1_3gpuE9ELNS1_3repE0EEENS1_38merge_mergepath_config_static_selectorELNS0_4arch9wavefront6targetE1EEEvSK_,"axG",@progbits,_ZN7rocprim17ROCPRIM_400000_NS6detail17trampoline_kernelINS0_14default_configENS1_38merge_sort_block_merge_config_selectorIcNS0_10empty_typeEEEZZNS1_27merge_sort_block_merge_implIS3_N6thrust23THRUST_200600_302600_NS6detail15normal_iteratorINS9_10device_ptrIcEEEEPS5_m14custom_greaterIcEEE10hipError_tT0_T1_T2_jT3_P12ihipStream_tbPNSt15iterator_traitsISJ_E10value_typeEPNSP_ISK_E10value_typeEPSL_NS1_7vsmem_tEENKUlT_SJ_SK_SL_E_clISE_PcSF_SF_EESI_SY_SJ_SK_SL_EUlSY_E0_NS1_11comp_targetILNS1_3genE5ELNS1_11target_archE942ELNS1_3gpuE9ELNS1_3repE0EEENS1_38merge_mergepath_config_static_selectorELNS0_4arch9wavefront6targetE1EEEvSK_,comdat
	.protected	_ZN7rocprim17ROCPRIM_400000_NS6detail17trampoline_kernelINS0_14default_configENS1_38merge_sort_block_merge_config_selectorIcNS0_10empty_typeEEEZZNS1_27merge_sort_block_merge_implIS3_N6thrust23THRUST_200600_302600_NS6detail15normal_iteratorINS9_10device_ptrIcEEEEPS5_m14custom_greaterIcEEE10hipError_tT0_T1_T2_jT3_P12ihipStream_tbPNSt15iterator_traitsISJ_E10value_typeEPNSP_ISK_E10value_typeEPSL_NS1_7vsmem_tEENKUlT_SJ_SK_SL_E_clISE_PcSF_SF_EESI_SY_SJ_SK_SL_EUlSY_E0_NS1_11comp_targetILNS1_3genE5ELNS1_11target_archE942ELNS1_3gpuE9ELNS1_3repE0EEENS1_38merge_mergepath_config_static_selectorELNS0_4arch9wavefront6targetE1EEEvSK_ ; -- Begin function _ZN7rocprim17ROCPRIM_400000_NS6detail17trampoline_kernelINS0_14default_configENS1_38merge_sort_block_merge_config_selectorIcNS0_10empty_typeEEEZZNS1_27merge_sort_block_merge_implIS3_N6thrust23THRUST_200600_302600_NS6detail15normal_iteratorINS9_10device_ptrIcEEEEPS5_m14custom_greaterIcEEE10hipError_tT0_T1_T2_jT3_P12ihipStream_tbPNSt15iterator_traitsISJ_E10value_typeEPNSP_ISK_E10value_typeEPSL_NS1_7vsmem_tEENKUlT_SJ_SK_SL_E_clISE_PcSF_SF_EESI_SY_SJ_SK_SL_EUlSY_E0_NS1_11comp_targetILNS1_3genE5ELNS1_11target_archE942ELNS1_3gpuE9ELNS1_3repE0EEENS1_38merge_mergepath_config_static_selectorELNS0_4arch9wavefront6targetE1EEEvSK_
	.globl	_ZN7rocprim17ROCPRIM_400000_NS6detail17trampoline_kernelINS0_14default_configENS1_38merge_sort_block_merge_config_selectorIcNS0_10empty_typeEEEZZNS1_27merge_sort_block_merge_implIS3_N6thrust23THRUST_200600_302600_NS6detail15normal_iteratorINS9_10device_ptrIcEEEEPS5_m14custom_greaterIcEEE10hipError_tT0_T1_T2_jT3_P12ihipStream_tbPNSt15iterator_traitsISJ_E10value_typeEPNSP_ISK_E10value_typeEPSL_NS1_7vsmem_tEENKUlT_SJ_SK_SL_E_clISE_PcSF_SF_EESI_SY_SJ_SK_SL_EUlSY_E0_NS1_11comp_targetILNS1_3genE5ELNS1_11target_archE942ELNS1_3gpuE9ELNS1_3repE0EEENS1_38merge_mergepath_config_static_selectorELNS0_4arch9wavefront6targetE1EEEvSK_
	.p2align	8
	.type	_ZN7rocprim17ROCPRIM_400000_NS6detail17trampoline_kernelINS0_14default_configENS1_38merge_sort_block_merge_config_selectorIcNS0_10empty_typeEEEZZNS1_27merge_sort_block_merge_implIS3_N6thrust23THRUST_200600_302600_NS6detail15normal_iteratorINS9_10device_ptrIcEEEEPS5_m14custom_greaterIcEEE10hipError_tT0_T1_T2_jT3_P12ihipStream_tbPNSt15iterator_traitsISJ_E10value_typeEPNSP_ISK_E10value_typeEPSL_NS1_7vsmem_tEENKUlT_SJ_SK_SL_E_clISE_PcSF_SF_EESI_SY_SJ_SK_SL_EUlSY_E0_NS1_11comp_targetILNS1_3genE5ELNS1_11target_archE942ELNS1_3gpuE9ELNS1_3repE0EEENS1_38merge_mergepath_config_static_selectorELNS0_4arch9wavefront6targetE1EEEvSK_,@function
_ZN7rocprim17ROCPRIM_400000_NS6detail17trampoline_kernelINS0_14default_configENS1_38merge_sort_block_merge_config_selectorIcNS0_10empty_typeEEEZZNS1_27merge_sort_block_merge_implIS3_N6thrust23THRUST_200600_302600_NS6detail15normal_iteratorINS9_10device_ptrIcEEEEPS5_m14custom_greaterIcEEE10hipError_tT0_T1_T2_jT3_P12ihipStream_tbPNSt15iterator_traitsISJ_E10value_typeEPNSP_ISK_E10value_typeEPSL_NS1_7vsmem_tEENKUlT_SJ_SK_SL_E_clISE_PcSF_SF_EESI_SY_SJ_SK_SL_EUlSY_E0_NS1_11comp_targetILNS1_3genE5ELNS1_11target_archE942ELNS1_3gpuE9ELNS1_3repE0EEENS1_38merge_mergepath_config_static_selectorELNS0_4arch9wavefront6targetE1EEEvSK_: ; @_ZN7rocprim17ROCPRIM_400000_NS6detail17trampoline_kernelINS0_14default_configENS1_38merge_sort_block_merge_config_selectorIcNS0_10empty_typeEEEZZNS1_27merge_sort_block_merge_implIS3_N6thrust23THRUST_200600_302600_NS6detail15normal_iteratorINS9_10device_ptrIcEEEEPS5_m14custom_greaterIcEEE10hipError_tT0_T1_T2_jT3_P12ihipStream_tbPNSt15iterator_traitsISJ_E10value_typeEPNSP_ISK_E10value_typeEPSL_NS1_7vsmem_tEENKUlT_SJ_SK_SL_E_clISE_PcSF_SF_EESI_SY_SJ_SK_SL_EUlSY_E0_NS1_11comp_targetILNS1_3genE5ELNS1_11target_archE942ELNS1_3gpuE9ELNS1_3repE0EEENS1_38merge_mergepath_config_static_selectorELNS0_4arch9wavefront6targetE1EEEvSK_
; %bb.0:
	.section	.rodata,"a",@progbits
	.p2align	6, 0x0
	.amdhsa_kernel _ZN7rocprim17ROCPRIM_400000_NS6detail17trampoline_kernelINS0_14default_configENS1_38merge_sort_block_merge_config_selectorIcNS0_10empty_typeEEEZZNS1_27merge_sort_block_merge_implIS3_N6thrust23THRUST_200600_302600_NS6detail15normal_iteratorINS9_10device_ptrIcEEEEPS5_m14custom_greaterIcEEE10hipError_tT0_T1_T2_jT3_P12ihipStream_tbPNSt15iterator_traitsISJ_E10value_typeEPNSP_ISK_E10value_typeEPSL_NS1_7vsmem_tEENKUlT_SJ_SK_SL_E_clISE_PcSF_SF_EESI_SY_SJ_SK_SL_EUlSY_E0_NS1_11comp_targetILNS1_3genE5ELNS1_11target_archE942ELNS1_3gpuE9ELNS1_3repE0EEENS1_38merge_mergepath_config_static_selectorELNS0_4arch9wavefront6targetE1EEEvSK_
		.amdhsa_group_segment_fixed_size 0
		.amdhsa_private_segment_fixed_size 0
		.amdhsa_kernarg_size 72
		.amdhsa_user_sgpr_count 6
		.amdhsa_user_sgpr_private_segment_buffer 1
		.amdhsa_user_sgpr_dispatch_ptr 0
		.amdhsa_user_sgpr_queue_ptr 0
		.amdhsa_user_sgpr_kernarg_segment_ptr 1
		.amdhsa_user_sgpr_dispatch_id 0
		.amdhsa_user_sgpr_flat_scratch_init 0
		.amdhsa_user_sgpr_kernarg_preload_length 0
		.amdhsa_user_sgpr_kernarg_preload_offset 0
		.amdhsa_user_sgpr_private_segment_size 0
		.amdhsa_uses_dynamic_stack 0
		.amdhsa_system_sgpr_private_segment_wavefront_offset 0
		.amdhsa_system_sgpr_workgroup_id_x 1
		.amdhsa_system_sgpr_workgroup_id_y 0
		.amdhsa_system_sgpr_workgroup_id_z 0
		.amdhsa_system_sgpr_workgroup_info 0
		.amdhsa_system_vgpr_workitem_id 0
		.amdhsa_next_free_vgpr 1
		.amdhsa_next_free_sgpr 0
		.amdhsa_accum_offset 4
		.amdhsa_reserve_vcc 0
		.amdhsa_reserve_flat_scratch 0
		.amdhsa_float_round_mode_32 0
		.amdhsa_float_round_mode_16_64 0
		.amdhsa_float_denorm_mode_32 3
		.amdhsa_float_denorm_mode_16_64 3
		.amdhsa_dx10_clamp 1
		.amdhsa_ieee_mode 1
		.amdhsa_fp16_overflow 0
		.amdhsa_tg_split 0
		.amdhsa_exception_fp_ieee_invalid_op 0
		.amdhsa_exception_fp_denorm_src 0
		.amdhsa_exception_fp_ieee_div_zero 0
		.amdhsa_exception_fp_ieee_overflow 0
		.amdhsa_exception_fp_ieee_underflow 0
		.amdhsa_exception_fp_ieee_inexact 0
		.amdhsa_exception_int_div_zero 0
	.end_amdhsa_kernel
	.section	.text._ZN7rocprim17ROCPRIM_400000_NS6detail17trampoline_kernelINS0_14default_configENS1_38merge_sort_block_merge_config_selectorIcNS0_10empty_typeEEEZZNS1_27merge_sort_block_merge_implIS3_N6thrust23THRUST_200600_302600_NS6detail15normal_iteratorINS9_10device_ptrIcEEEEPS5_m14custom_greaterIcEEE10hipError_tT0_T1_T2_jT3_P12ihipStream_tbPNSt15iterator_traitsISJ_E10value_typeEPNSP_ISK_E10value_typeEPSL_NS1_7vsmem_tEENKUlT_SJ_SK_SL_E_clISE_PcSF_SF_EESI_SY_SJ_SK_SL_EUlSY_E0_NS1_11comp_targetILNS1_3genE5ELNS1_11target_archE942ELNS1_3gpuE9ELNS1_3repE0EEENS1_38merge_mergepath_config_static_selectorELNS0_4arch9wavefront6targetE1EEEvSK_,"axG",@progbits,_ZN7rocprim17ROCPRIM_400000_NS6detail17trampoline_kernelINS0_14default_configENS1_38merge_sort_block_merge_config_selectorIcNS0_10empty_typeEEEZZNS1_27merge_sort_block_merge_implIS3_N6thrust23THRUST_200600_302600_NS6detail15normal_iteratorINS9_10device_ptrIcEEEEPS5_m14custom_greaterIcEEE10hipError_tT0_T1_T2_jT3_P12ihipStream_tbPNSt15iterator_traitsISJ_E10value_typeEPNSP_ISK_E10value_typeEPSL_NS1_7vsmem_tEENKUlT_SJ_SK_SL_E_clISE_PcSF_SF_EESI_SY_SJ_SK_SL_EUlSY_E0_NS1_11comp_targetILNS1_3genE5ELNS1_11target_archE942ELNS1_3gpuE9ELNS1_3repE0EEENS1_38merge_mergepath_config_static_selectorELNS0_4arch9wavefront6targetE1EEEvSK_,comdat
.Lfunc_end2743:
	.size	_ZN7rocprim17ROCPRIM_400000_NS6detail17trampoline_kernelINS0_14default_configENS1_38merge_sort_block_merge_config_selectorIcNS0_10empty_typeEEEZZNS1_27merge_sort_block_merge_implIS3_N6thrust23THRUST_200600_302600_NS6detail15normal_iteratorINS9_10device_ptrIcEEEEPS5_m14custom_greaterIcEEE10hipError_tT0_T1_T2_jT3_P12ihipStream_tbPNSt15iterator_traitsISJ_E10value_typeEPNSP_ISK_E10value_typeEPSL_NS1_7vsmem_tEENKUlT_SJ_SK_SL_E_clISE_PcSF_SF_EESI_SY_SJ_SK_SL_EUlSY_E0_NS1_11comp_targetILNS1_3genE5ELNS1_11target_archE942ELNS1_3gpuE9ELNS1_3repE0EEENS1_38merge_mergepath_config_static_selectorELNS0_4arch9wavefront6targetE1EEEvSK_, .Lfunc_end2743-_ZN7rocprim17ROCPRIM_400000_NS6detail17trampoline_kernelINS0_14default_configENS1_38merge_sort_block_merge_config_selectorIcNS0_10empty_typeEEEZZNS1_27merge_sort_block_merge_implIS3_N6thrust23THRUST_200600_302600_NS6detail15normal_iteratorINS9_10device_ptrIcEEEEPS5_m14custom_greaterIcEEE10hipError_tT0_T1_T2_jT3_P12ihipStream_tbPNSt15iterator_traitsISJ_E10value_typeEPNSP_ISK_E10value_typeEPSL_NS1_7vsmem_tEENKUlT_SJ_SK_SL_E_clISE_PcSF_SF_EESI_SY_SJ_SK_SL_EUlSY_E0_NS1_11comp_targetILNS1_3genE5ELNS1_11target_archE942ELNS1_3gpuE9ELNS1_3repE0EEENS1_38merge_mergepath_config_static_selectorELNS0_4arch9wavefront6targetE1EEEvSK_
                                        ; -- End function
	.section	.AMDGPU.csdata,"",@progbits
; Kernel info:
; codeLenInByte = 0
; NumSgprs: 4
; NumVgprs: 0
; NumAgprs: 0
; TotalNumVgprs: 0
; ScratchSize: 0
; MemoryBound: 0
; FloatMode: 240
; IeeeMode: 1
; LDSByteSize: 0 bytes/workgroup (compile time only)
; SGPRBlocks: 0
; VGPRBlocks: 0
; NumSGPRsForWavesPerEU: 4
; NumVGPRsForWavesPerEU: 1
; AccumOffset: 4
; Occupancy: 8
; WaveLimiterHint : 0
; COMPUTE_PGM_RSRC2:SCRATCH_EN: 0
; COMPUTE_PGM_RSRC2:USER_SGPR: 6
; COMPUTE_PGM_RSRC2:TRAP_HANDLER: 0
; COMPUTE_PGM_RSRC2:TGID_X_EN: 1
; COMPUTE_PGM_RSRC2:TGID_Y_EN: 0
; COMPUTE_PGM_RSRC2:TGID_Z_EN: 0
; COMPUTE_PGM_RSRC2:TIDIG_COMP_CNT: 0
; COMPUTE_PGM_RSRC3_GFX90A:ACCUM_OFFSET: 0
; COMPUTE_PGM_RSRC3_GFX90A:TG_SPLIT: 0
	.section	.text._ZN7rocprim17ROCPRIM_400000_NS6detail17trampoline_kernelINS0_14default_configENS1_38merge_sort_block_merge_config_selectorIcNS0_10empty_typeEEEZZNS1_27merge_sort_block_merge_implIS3_N6thrust23THRUST_200600_302600_NS6detail15normal_iteratorINS9_10device_ptrIcEEEEPS5_m14custom_greaterIcEEE10hipError_tT0_T1_T2_jT3_P12ihipStream_tbPNSt15iterator_traitsISJ_E10value_typeEPNSP_ISK_E10value_typeEPSL_NS1_7vsmem_tEENKUlT_SJ_SK_SL_E_clISE_PcSF_SF_EESI_SY_SJ_SK_SL_EUlSY_E0_NS1_11comp_targetILNS1_3genE4ELNS1_11target_archE910ELNS1_3gpuE8ELNS1_3repE0EEENS1_38merge_mergepath_config_static_selectorELNS0_4arch9wavefront6targetE1EEEvSK_,"axG",@progbits,_ZN7rocprim17ROCPRIM_400000_NS6detail17trampoline_kernelINS0_14default_configENS1_38merge_sort_block_merge_config_selectorIcNS0_10empty_typeEEEZZNS1_27merge_sort_block_merge_implIS3_N6thrust23THRUST_200600_302600_NS6detail15normal_iteratorINS9_10device_ptrIcEEEEPS5_m14custom_greaterIcEEE10hipError_tT0_T1_T2_jT3_P12ihipStream_tbPNSt15iterator_traitsISJ_E10value_typeEPNSP_ISK_E10value_typeEPSL_NS1_7vsmem_tEENKUlT_SJ_SK_SL_E_clISE_PcSF_SF_EESI_SY_SJ_SK_SL_EUlSY_E0_NS1_11comp_targetILNS1_3genE4ELNS1_11target_archE910ELNS1_3gpuE8ELNS1_3repE0EEENS1_38merge_mergepath_config_static_selectorELNS0_4arch9wavefront6targetE1EEEvSK_,comdat
	.protected	_ZN7rocprim17ROCPRIM_400000_NS6detail17trampoline_kernelINS0_14default_configENS1_38merge_sort_block_merge_config_selectorIcNS0_10empty_typeEEEZZNS1_27merge_sort_block_merge_implIS3_N6thrust23THRUST_200600_302600_NS6detail15normal_iteratorINS9_10device_ptrIcEEEEPS5_m14custom_greaterIcEEE10hipError_tT0_T1_T2_jT3_P12ihipStream_tbPNSt15iterator_traitsISJ_E10value_typeEPNSP_ISK_E10value_typeEPSL_NS1_7vsmem_tEENKUlT_SJ_SK_SL_E_clISE_PcSF_SF_EESI_SY_SJ_SK_SL_EUlSY_E0_NS1_11comp_targetILNS1_3genE4ELNS1_11target_archE910ELNS1_3gpuE8ELNS1_3repE0EEENS1_38merge_mergepath_config_static_selectorELNS0_4arch9wavefront6targetE1EEEvSK_ ; -- Begin function _ZN7rocprim17ROCPRIM_400000_NS6detail17trampoline_kernelINS0_14default_configENS1_38merge_sort_block_merge_config_selectorIcNS0_10empty_typeEEEZZNS1_27merge_sort_block_merge_implIS3_N6thrust23THRUST_200600_302600_NS6detail15normal_iteratorINS9_10device_ptrIcEEEEPS5_m14custom_greaterIcEEE10hipError_tT0_T1_T2_jT3_P12ihipStream_tbPNSt15iterator_traitsISJ_E10value_typeEPNSP_ISK_E10value_typeEPSL_NS1_7vsmem_tEENKUlT_SJ_SK_SL_E_clISE_PcSF_SF_EESI_SY_SJ_SK_SL_EUlSY_E0_NS1_11comp_targetILNS1_3genE4ELNS1_11target_archE910ELNS1_3gpuE8ELNS1_3repE0EEENS1_38merge_mergepath_config_static_selectorELNS0_4arch9wavefront6targetE1EEEvSK_
	.globl	_ZN7rocprim17ROCPRIM_400000_NS6detail17trampoline_kernelINS0_14default_configENS1_38merge_sort_block_merge_config_selectorIcNS0_10empty_typeEEEZZNS1_27merge_sort_block_merge_implIS3_N6thrust23THRUST_200600_302600_NS6detail15normal_iteratorINS9_10device_ptrIcEEEEPS5_m14custom_greaterIcEEE10hipError_tT0_T1_T2_jT3_P12ihipStream_tbPNSt15iterator_traitsISJ_E10value_typeEPNSP_ISK_E10value_typeEPSL_NS1_7vsmem_tEENKUlT_SJ_SK_SL_E_clISE_PcSF_SF_EESI_SY_SJ_SK_SL_EUlSY_E0_NS1_11comp_targetILNS1_3genE4ELNS1_11target_archE910ELNS1_3gpuE8ELNS1_3repE0EEENS1_38merge_mergepath_config_static_selectorELNS0_4arch9wavefront6targetE1EEEvSK_
	.p2align	8
	.type	_ZN7rocprim17ROCPRIM_400000_NS6detail17trampoline_kernelINS0_14default_configENS1_38merge_sort_block_merge_config_selectorIcNS0_10empty_typeEEEZZNS1_27merge_sort_block_merge_implIS3_N6thrust23THRUST_200600_302600_NS6detail15normal_iteratorINS9_10device_ptrIcEEEEPS5_m14custom_greaterIcEEE10hipError_tT0_T1_T2_jT3_P12ihipStream_tbPNSt15iterator_traitsISJ_E10value_typeEPNSP_ISK_E10value_typeEPSL_NS1_7vsmem_tEENKUlT_SJ_SK_SL_E_clISE_PcSF_SF_EESI_SY_SJ_SK_SL_EUlSY_E0_NS1_11comp_targetILNS1_3genE4ELNS1_11target_archE910ELNS1_3gpuE8ELNS1_3repE0EEENS1_38merge_mergepath_config_static_selectorELNS0_4arch9wavefront6targetE1EEEvSK_,@function
_ZN7rocprim17ROCPRIM_400000_NS6detail17trampoline_kernelINS0_14default_configENS1_38merge_sort_block_merge_config_selectorIcNS0_10empty_typeEEEZZNS1_27merge_sort_block_merge_implIS3_N6thrust23THRUST_200600_302600_NS6detail15normal_iteratorINS9_10device_ptrIcEEEEPS5_m14custom_greaterIcEEE10hipError_tT0_T1_T2_jT3_P12ihipStream_tbPNSt15iterator_traitsISJ_E10value_typeEPNSP_ISK_E10value_typeEPSL_NS1_7vsmem_tEENKUlT_SJ_SK_SL_E_clISE_PcSF_SF_EESI_SY_SJ_SK_SL_EUlSY_E0_NS1_11comp_targetILNS1_3genE4ELNS1_11target_archE910ELNS1_3gpuE8ELNS1_3repE0EEENS1_38merge_mergepath_config_static_selectorELNS0_4arch9wavefront6targetE1EEEvSK_: ; @_ZN7rocprim17ROCPRIM_400000_NS6detail17trampoline_kernelINS0_14default_configENS1_38merge_sort_block_merge_config_selectorIcNS0_10empty_typeEEEZZNS1_27merge_sort_block_merge_implIS3_N6thrust23THRUST_200600_302600_NS6detail15normal_iteratorINS9_10device_ptrIcEEEEPS5_m14custom_greaterIcEEE10hipError_tT0_T1_T2_jT3_P12ihipStream_tbPNSt15iterator_traitsISJ_E10value_typeEPNSP_ISK_E10value_typeEPSL_NS1_7vsmem_tEENKUlT_SJ_SK_SL_E_clISE_PcSF_SF_EESI_SY_SJ_SK_SL_EUlSY_E0_NS1_11comp_targetILNS1_3genE4ELNS1_11target_archE910ELNS1_3gpuE8ELNS1_3repE0EEENS1_38merge_mergepath_config_static_selectorELNS0_4arch9wavefront6targetE1EEEvSK_
; %bb.0:
	s_load_dwordx2 s[22:23], s[4:5], 0x48
	s_load_dword s0, s[4:5], 0x38
	s_add_u32 s10, s4, 0x48
	s_addc_u32 s11, s5, 0
	s_waitcnt lgkmcnt(0)
	s_mul_i32 s1, s23, s8
	s_add_i32 s1, s1, s7
	s_mul_i32 s1, s1, s22
	s_add_i32 s8, s1, s6
	s_cmp_ge_u32 s8, s0
	s_cbranch_scc1 .LBB2744_53
; %bb.1:
	s_load_dwordx2 s[0:1], s[4:5], 0x40
	s_load_dwordx4 s[16:19], s[4:5], 0x8
	s_load_dwordx4 s[12:15], s[4:5], 0x28
	s_mov_b32 s9, 0
	s_lshl_b64 s[2:3], s[8:9], 3
	s_waitcnt lgkmcnt(0)
	s_add_u32 s0, s0, s2
	s_addc_u32 s1, s1, s3
	v_mov_b32_e32 v1, s14
	v_alignbit_b32 v1, s15, v1, 9
	v_readfirstlane_b32 s4, v1
	s_and_b32 s4, s4, -2
	s_sub_i32 s30, 0, s4
	s_and_b32 s24, s8, s30
	s_mov_b32 s25, s9
	s_lshl_b64 s[4:5], s[24:25], 10
	s_lshl_b64 s[20:21], s[8:9], 10
	s_sub_u32 s7, s20, s4
	s_load_dwordx4 s[0:3], s[0:1], 0x0
	s_subb_u32 s23, s21, s5
	s_lshl_b64 s[24:25], s[24:25], 11
	s_add_u32 s24, s24, s14
	s_addc_u32 s25, s25, s15
	s_add_u32 s7, s24, s7
	s_addc_u32 s23, s25, s23
	s_waitcnt lgkmcnt(0)
	s_sub_u32 s26, s7, s2
	s_subb_u32 s3, s23, s3
	s_add_u32 s26, s26, 0x400
	s_addc_u32 s27, s3, 0
	v_pk_mov_b32 v[2:3], s[26:27], s[26:27] op_sel:[0,1]
	v_cmp_lt_u64_e32 vcc, s[12:13], v[2:3]
	s_and_b64 s[28:29], vcc, exec
	s_cselect_b32 s3, s12, s26
	s_or_b32 s26, s8, s30
	s_cmp_lg_u32 s26, -1
	s_cbranch_scc1 .LBB2744_3
; %bb.2:
	s_sub_u32 s4, s24, s4
	s_subb_u32 s5, s25, s5
	v_pk_mov_b32 v[2:3], s[4:5], s[4:5] op_sel:[0,1]
	v_cmp_lt_u64_e32 vcc, s[12:13], v[2:3]
	s_and_b64 s[2:3], vcc, exec
	s_cselect_b32 s2, s12, s4
	s_add_u32 s4, s4, s14
	s_addc_u32 s5, s5, s15
	v_pk_mov_b32 v[2:3], s[4:5], s[4:5] op_sel:[0,1]
	v_cmp_lt_u64_e32 vcc, s[12:13], v[2:3]
	s_and_b64 s[14:15], vcc, exec
	s_cselect_b32 s3, s12, s4
.LBB2744_3:
	s_lshr_b64 s[24:25], s[12:13], 10
	s_cmp_lg_u64 s[24:25], s[8:9]
	s_cselect_b64 s[14:15], -1, 0
	s_sub_u32 s4, s7, s0
	s_subb_u32 s5, s23, s1
	v_pk_mov_b32 v[2:3], s[4:5], s[4:5] op_sel:[0,1]
	v_cmp_lt_u64_e32 vcc, s[12:13], v[2:3]
	s_and_b64 s[26:27], vcc, exec
	s_cselect_b32 s26, s12, s4
	s_cselect_b32 s23, s13, s5
	s_sub_i32 s13, s2, s0
	s_sub_i32 s4, s3, s26
	s_add_u32 s5, s16, s0
	s_addc_u32 s7, s17, s1
	s_add_u32 s16, s16, s26
	s_addc_u32 s17, s17, s23
	s_cmp_lt_u32 s6, s22
	v_mov_b32_e32 v1, 0
	s_cselect_b32 s0, 12, 18
	global_load_dword v2, v1, s[10:11] offset:14
	s_add_u32 s0, s10, s0
	s_addc_u32 s1, s11, 0
	global_load_ushort v1, v1, s[0:1]
	s_cmp_eq_u64 s[24:25], s[8:9]
	s_waitcnt vmcnt(1)
	v_lshrrev_b32_e32 v3, 16, v2
	v_and_b32_e32 v2, 0xffff, v2
	v_mul_lo_u32 v2, v2, v3
	s_waitcnt vmcnt(0)
	v_mul_lo_u32 v5, v2, v1
	v_add_u32_e32 v10, v5, v0
	v_add_u32_e32 v9, v10, v5
	s_cbranch_scc1 .LBB2744_5
; %bb.4:
	v_subrev_u32_e32 v1, s13, v0
	v_mov_b32_e32 v2, s17
	v_add_co_u32_e32 v1, vcc, s16, v1
	v_addc_co_u32_e32 v2, vcc, 0, v2, vcc
	v_mov_b32_e32 v3, s7
	v_add_co_u32_e32 v4, vcc, s5, v0
	v_addc_co_u32_e32 v3, vcc, 0, v3, vcc
	v_cmp_gt_u32_e32 vcc, s13, v0
	v_cndmask_b32_e32 v12, v1, v4, vcc
	v_subrev_u32_e32 v1, s13, v10
	v_cndmask_b32_e32 v13, v2, v3, vcc
	v_mov_b32_e32 v2, s17
	v_add_co_u32_e32 v1, vcc, s16, v1
	v_addc_co_u32_e32 v2, vcc, 0, v2, vcc
	v_mov_b32_e32 v3, s7
	v_add_co_u32_e32 v4, vcc, s5, v10
	v_addc_co_u32_e32 v3, vcc, 0, v3, vcc
	v_cmp_gt_u32_e32 vcc, s13, v10
	v_cndmask_b32_e32 v14, v1, v4, vcc
	v_subrev_u32_e32 v1, s13, v9
	v_cndmask_b32_e32 v15, v2, v3, vcc
	v_mov_b32_e32 v2, s17
	v_add_co_u32_e32 v1, vcc, s16, v1
	v_addc_co_u32_e32 v2, vcc, 0, v2, vcc
	v_mov_b32_e32 v3, s7
	v_add_co_u32_e32 v4, vcc, s5, v9
	v_addc_co_u32_e32 v3, vcc, 0, v3, vcc
	v_cmp_gt_u32_e32 vcc, s13, v9
	v_cndmask_b32_e32 v16, v1, v4, vcc
	v_add_u32_e32 v1, v9, v5
	v_cndmask_b32_e32 v17, v2, v3, vcc
	v_subrev_u32_e32 v2, s13, v1
	v_mov_b32_e32 v3, s17
	v_add_co_u32_e32 v2, vcc, s16, v2
	v_addc_co_u32_e32 v3, vcc, 0, v3, vcc
	v_mov_b32_e32 v4, s7
	v_add_co_u32_e32 v6, vcc, s5, v1
	v_addc_co_u32_e32 v4, vcc, 0, v4, vcc
	v_cmp_gt_u32_e32 vcc, s13, v1
	v_add_u32_e32 v1, v1, v5
	v_cndmask_b32_e32 v18, v2, v6, vcc
	v_subrev_u32_e32 v2, s13, v1
	v_cndmask_b32_e32 v19, v3, v4, vcc
	v_mov_b32_e32 v3, s17
	v_add_co_u32_e32 v2, vcc, s16, v2
	v_addc_co_u32_e32 v3, vcc, 0, v3, vcc
	v_mov_b32_e32 v4, s7
	v_add_co_u32_e32 v6, vcc, s5, v1
	v_addc_co_u32_e32 v4, vcc, 0, v4, vcc
	v_cmp_gt_u32_e32 vcc, s13, v1
	v_add_u32_e32 v1, v1, v5
	v_cndmask_b32_e32 v20, v2, v6, vcc
	v_subrev_u32_e32 v2, s13, v1
	v_cndmask_b32_e32 v21, v3, v4, vcc
	v_mov_b32_e32 v3, s17
	v_add_co_u32_e32 v2, vcc, s16, v2
	v_addc_co_u32_e32 v3, vcc, 0, v3, vcc
	v_mov_b32_e32 v4, s7
	v_add_co_u32_e32 v6, vcc, s5, v1
	v_addc_co_u32_e32 v4, vcc, 0, v4, vcc
	v_add_u32_e32 v11, v1, v5
	v_cmp_gt_u32_e32 vcc, s13, v1
	v_subrev_u32_e32 v1, s13, v11
	v_cndmask_b32_e32 v23, v3, v4, vcc
	v_cndmask_b32_e32 v22, v2, v6, vcc
	v_mov_b32_e32 v2, s17
	v_add_co_u32_e32 v1, vcc, s16, v1
	v_addc_co_u32_e32 v2, vcc, 0, v2, vcc
	v_mov_b32_e32 v3, s7
	v_add_co_u32_e32 v4, vcc, s5, v11
	v_addc_co_u32_e32 v3, vcc, 0, v3, vcc
	v_cmp_gt_u32_e32 vcc, s13, v11
	v_cndmask_b32_e32 v25, v2, v3, vcc
	v_cndmask_b32_e32 v24, v1, v4, vcc
	global_load_ubyte v1, v[12:13], off
	global_load_ubyte v2, v[14:15], off
	;; [unrolled: 1-line block ×7, first 2 shown]
	v_add_u32_e32 v11, v11, v5
	s_add_i32 s6, s13, s4
	s_mov_b64 s[0:1], -1
	s_cbranch_execz .LBB2744_6
	s_branch .LBB2744_21
.LBB2744_5:
	s_mov_b64 s[0:1], 0
                                        ; implicit-def: $vgpr11
                                        ; implicit-def: $vgpr1
                                        ; implicit-def: $vgpr2
                                        ; implicit-def: $vgpr3
                                        ; implicit-def: $vgpr4
                                        ; implicit-def: $vgpr6
                                        ; implicit-def: $vgpr7
                                        ; implicit-def: $vgpr8
                                        ; implicit-def: $sgpr6
.LBB2744_6:
	s_add_i32 s6, s13, s4
	v_cmp_gt_u32_e32 vcc, s6, v0
                                        ; implicit-def: $vgpr1
	s_and_saveexec_b64 s[0:1], vcc
	s_cbranch_execz .LBB2744_8
; %bb.7:
	s_waitcnt vmcnt(6)
	v_mov_b32_e32 v1, s7
	s_waitcnt vmcnt(5)
	v_add_co_u32_e32 v2, vcc, s5, v0
	v_addc_co_u32_e32 v1, vcc, 0, v1, vcc
	s_waitcnt vmcnt(4)
	v_subrev_u32_e32 v3, s13, v0
	s_waitcnt vmcnt(3)
	v_mov_b32_e32 v4, s17
	s_waitcnt vmcnt(2)
	v_add_co_u32_e32 v6, vcc, s16, v3
	v_addc_co_u32_e32 v3, vcc, 0, v4, vcc
	v_cmp_gt_u32_e32 vcc, s13, v0
	v_cndmask_b32_e32 v3, v3, v1, vcc
	v_cndmask_b32_e32 v2, v6, v2, vcc
	global_load_ubyte v1, v[2:3], off
.LBB2744_8:
	s_or_b64 exec, exec, s[0:1]
	v_cmp_gt_u32_e32 vcc, s6, v10
                                        ; implicit-def: $vgpr2
	s_and_saveexec_b64 s[0:1], vcc
	s_cbranch_execz .LBB2744_10
; %bb.9:
	s_waitcnt vmcnt(5)
	v_mov_b32_e32 v2, s7
	s_waitcnt vmcnt(3)
	v_add_co_u32_e32 v4, vcc, s5, v10
	v_addc_co_u32_e32 v2, vcc, 0, v2, vcc
	v_subrev_u32_e32 v3, s13, v10
	s_waitcnt vmcnt(2)
	v_mov_b32_e32 v6, s17
	s_waitcnt vmcnt(1)
	v_add_co_u32_e32 v7, vcc, s16, v3
	v_addc_co_u32_e32 v3, vcc, 0, v6, vcc
	v_cmp_gt_u32_e32 vcc, s13, v10
	v_cndmask_b32_e32 v3, v3, v2, vcc
	v_cndmask_b32_e32 v2, v7, v4, vcc
	global_load_ubyte v2, v[2:3], off
.LBB2744_10:
	s_or_b64 exec, exec, s[0:1]
	v_cmp_gt_u32_e32 vcc, s6, v9
                                        ; implicit-def: $vgpr3
	s_and_saveexec_b64 s[0:1], vcc
	s_cbranch_execz .LBB2744_12
; %bb.11:
	s_waitcnt vmcnt(4)
	v_mov_b32_e32 v3, s7
	s_waitcnt vmcnt(3)
	v_add_co_u32_e32 v4, vcc, s5, v9
	v_addc_co_u32_e32 v3, vcc, 0, v3, vcc
	s_waitcnt vmcnt(2)
	v_subrev_u32_e32 v6, s13, v9
	s_waitcnt vmcnt(1)
	v_mov_b32_e32 v7, s17
	v_add_co_u32_e32 v6, vcc, s16, v6
	v_addc_co_u32_e32 v7, vcc, 0, v7, vcc
	v_cmp_gt_u32_e32 vcc, s13, v9
	v_cndmask_b32_e32 v7, v7, v3, vcc
	v_cndmask_b32_e32 v6, v6, v4, vcc
	global_load_ubyte v3, v[6:7], off
.LBB2744_12:
	s_or_b64 exec, exec, s[0:1]
	s_waitcnt vmcnt(2)
	v_add_u32_e32 v6, v9, v5
	v_cmp_gt_u32_e32 vcc, s6, v6
                                        ; implicit-def: $vgpr4
	s_and_saveexec_b64 s[0:1], vcc
	s_cbranch_execz .LBB2744_14
; %bb.13:
	v_mov_b32_e32 v4, s7
	s_waitcnt vmcnt(1)
	v_add_co_u32_e32 v7, vcc, s5, v6
	v_addc_co_u32_e32 v4, vcc, 0, v4, vcc
	s_waitcnt vmcnt(0)
	v_subrev_u32_e32 v8, s13, v6
	v_mov_b32_e32 v9, s17
	v_add_co_u32_e32 v8, vcc, s16, v8
	v_addc_co_u32_e32 v9, vcc, 0, v9, vcc
	v_cmp_gt_u32_e32 vcc, s13, v6
	v_cndmask_b32_e32 v9, v9, v4, vcc
	v_cndmask_b32_e32 v8, v8, v7, vcc
	global_load_ubyte v4, v[8:9], off
.LBB2744_14:
	s_or_b64 exec, exec, s[0:1]
	s_waitcnt vmcnt(1)
	v_add_u32_e32 v7, v6, v5
	v_cmp_gt_u32_e32 vcc, s6, v7
                                        ; implicit-def: $vgpr6
	s_and_saveexec_b64 s[0:1], vcc
	s_cbranch_execz .LBB2744_16
; %bb.15:
	v_mov_b32_e32 v6, s7
	s_waitcnt vmcnt(0)
	v_add_co_u32_e32 v8, vcc, s5, v7
	v_addc_co_u32_e32 v6, vcc, 0, v6, vcc
	v_subrev_u32_e32 v9, s13, v7
	v_mov_b32_e32 v10, s17
	v_add_co_u32_e32 v11, vcc, s16, v9
	v_addc_co_u32_e32 v9, vcc, 0, v10, vcc
	v_cmp_gt_u32_e32 vcc, s13, v7
	v_cndmask_b32_e32 v9, v9, v6, vcc
	v_cndmask_b32_e32 v8, v11, v8, vcc
	global_load_ubyte v6, v[8:9], off
.LBB2744_16:
	s_or_b64 exec, exec, s[0:1]
	s_waitcnt vmcnt(0)
	v_add_u32_e32 v8, v7, v5
	v_cmp_gt_u32_e32 vcc, s6, v8
                                        ; implicit-def: $vgpr7
	s_and_saveexec_b64 s[0:1], vcc
	s_cbranch_execz .LBB2744_18
; %bb.17:
	v_mov_b32_e32 v7, s7
	v_add_co_u32_e32 v9, vcc, s5, v8
	v_addc_co_u32_e32 v7, vcc, 0, v7, vcc
	v_subrev_u32_e32 v10, s13, v8
	v_mov_b32_e32 v11, s17
	v_add_co_u32_e32 v10, vcc, s16, v10
	v_addc_co_u32_e32 v11, vcc, 0, v11, vcc
	v_cmp_gt_u32_e32 vcc, s13, v8
	v_cndmask_b32_e32 v11, v11, v7, vcc
	v_cndmask_b32_e32 v10, v10, v9, vcc
	global_load_ubyte v7, v[10:11], off
.LBB2744_18:
	s_or_b64 exec, exec, s[0:1]
	v_add_u32_e32 v9, v8, v5
	v_cmp_gt_u32_e32 vcc, s6, v9
                                        ; implicit-def: $vgpr8
	s_and_saveexec_b64 s[0:1], vcc
	s_cbranch_execz .LBB2744_20
; %bb.19:
	v_mov_b32_e32 v8, s7
	v_add_co_u32_e32 v10, vcc, s5, v9
	v_addc_co_u32_e32 v8, vcc, 0, v8, vcc
	v_subrev_u32_e32 v11, s13, v9
	v_mov_b32_e32 v12, s17
	v_add_co_u32_e32 v13, vcc, s16, v11
	v_addc_co_u32_e32 v11, vcc, 0, v12, vcc
	v_cmp_gt_u32_e32 vcc, s13, v9
	v_cndmask_b32_e32 v11, v11, v8, vcc
	v_cndmask_b32_e32 v10, v13, v10, vcc
	global_load_ubyte v8, v[10:11], off
.LBB2744_20:
	s_or_b64 exec, exec, s[0:1]
	v_add_u32_e32 v11, v9, v5
	v_cmp_gt_u32_e64 s[0:1], s6, v11
.LBB2744_21:
	v_mov_b32_e32 v5, s6
                                        ; implicit-def: $vgpr10
	s_and_saveexec_b64 s[2:3], s[0:1]
	s_cbranch_execz .LBB2744_23
; %bb.22:
	v_subrev_u32_e32 v5, s13, v11
	v_mov_b32_e32 v9, s17
	v_add_co_u32_e32 v5, vcc, s16, v5
	v_addc_co_u32_e32 v9, vcc, 0, v9, vcc
	v_mov_b32_e32 v10, s7
	v_add_co_u32_e32 v12, vcc, s5, v11
	v_addc_co_u32_e32 v10, vcc, 0, v10, vcc
	v_cmp_gt_u32_e32 vcc, s13, v11
	v_cndmask_b32_e32 v11, v9, v10, vcc
	v_cndmask_b32_e32 v10, v5, v12, vcc
	global_load_ubyte v10, v[10:11], off
	v_mov_b32_e32 v5, s6
.LBB2744_23:
	s_or_b64 exec, exec, s[2:3]
	v_lshlrev_b32_e32 v9, 3, v0
	v_min_u32_e32 v12, v5, v9
	v_sub_u32_e64 v11, v12, s4 clamp
	v_min_u32_e32 v13, s13, v12
	v_cmp_lt_u32_e32 vcc, v11, v13
	s_waitcnt vmcnt(6)
	ds_write_b8 v0, v1
	s_waitcnt vmcnt(5)
	ds_write_b8 v0, v2 offset:128
	s_waitcnt vmcnt(4)
	ds_write_b8 v0, v3 offset:256
	;; [unrolled: 2-line block ×5, first 2 shown]
	ds_write_b8 v0, v8 offset:768
	ds_write_b8 v0, v10 offset:896
	s_waitcnt lgkmcnt(0)
	s_barrier
	s_and_saveexec_b64 s[0:1], vcc
	s_cbranch_execz .LBB2744_27
; %bb.24:
	v_add_u32_e32 v14, s13, v12
	s_mov_b64 s[2:3], 0
.LBB2744_25:                            ; =>This Inner Loop Header: Depth=1
	v_add_u32_e32 v15, v13, v11
	v_lshrrev_b32_e32 v15, 1, v15
	v_xad_u32 v16, v15, -1, v14
	ds_read_i8 v17, v15
	ds_read_i8 v16, v16
	v_add_u32_e32 v18, 1, v15
	s_waitcnt lgkmcnt(0)
	v_cmp_gt_i16_e32 vcc, v17, v16
	v_cndmask_b32_e32 v13, v13, v15, vcc
	v_cndmask_b32_e32 v11, v18, v11, vcc
	v_cmp_ge_u32_e32 vcc, v11, v13
	s_or_b64 s[2:3], vcc, s[2:3]
	s_andn2_b64 exec, exec, s[2:3]
	s_cbranch_execnz .LBB2744_25
; %bb.26:
	s_or_b64 exec, exec, s[2:3]
.LBB2744_27:
	s_or_b64 exec, exec, s[0:1]
	v_sub_u32_e32 v12, v12, v11
	v_add_u32_e32 v12, s13, v12
	v_cmp_ge_u32_e32 vcc, s13, v11
	v_cmp_le_u32_e64 s[0:1], v12, v5
	s_or_b64 s[0:1], vcc, s[0:1]
	s_and_saveexec_b64 s[16:17], s[0:1]
	s_cbranch_execz .LBB2744_33
; %bb.28:
	v_cmp_gt_u32_e32 vcc, s13, v11
                                        ; implicit-def: $vgpr1
	s_and_saveexec_b64 s[0:1], vcc
	s_cbranch_execz .LBB2744_30
; %bb.29:
	ds_read_u8 v1, v11
.LBB2744_30:
	s_or_b64 exec, exec, s[0:1]
	v_cmp_ge_u32_e64 s[0:1], v12, v5
	v_cmp_lt_u32_e64 s[2:3], v12, v5
                                        ; implicit-def: $vgpr2
	s_and_saveexec_b64 s[4:5], s[2:3]
	s_cbranch_execz .LBB2744_32
; %bb.31:
	ds_read_u8 v2, v12
.LBB2744_32:
	s_or_b64 exec, exec, s[4:5]
	s_waitcnt lgkmcnt(0)
	v_cmp_le_i16_sdwa s[2:3], sext(v1), sext(v2) src0_sel:BYTE_0 src1_sel:BYTE_0
	s_and_b64 s[2:3], vcc, s[2:3]
	s_or_b64 vcc, s[0:1], s[2:3]
	v_mov_b32_e32 v4, s13
	v_cndmask_b32_e32 v3, v12, v11, vcc
	v_cndmask_b32_e32 v6, v5, v4, vcc
	v_add_u32_e32 v3, 1, v3
	v_add_u32_e32 v6, -1, v6
	v_min_u32_e32 v6, v3, v6
	ds_read_u8 v6, v6
	v_cndmask_b32_e32 v8, v3, v12, vcc
	v_cndmask_b32_e32 v3, v11, v3, vcc
	v_cmp_gt_u32_e64 s[2:3], s13, v3
	v_cmp_ge_u32_e64 s[0:1], v8, v5
	s_waitcnt lgkmcnt(0)
	v_cndmask_b32_e32 v7, v6, v2, vcc
	v_cndmask_b32_e32 v6, v1, v6, vcc
	v_cmp_le_i16_sdwa s[4:5], sext(v6), sext(v7) src0_sel:BYTE_0 src1_sel:BYTE_0
	s_and_b64 s[2:3], s[2:3], s[4:5]
	s_or_b64 s[0:1], s[0:1], s[2:3]
	v_cndmask_b32_e64 v10, v8, v3, s[0:1]
	v_cndmask_b32_e64 v11, v5, v4, s[0:1]
	v_add_u32_e32 v10, 1, v10
	v_add_u32_e32 v11, -1, v11
	v_min_u32_e32 v11, v10, v11
	ds_read_u8 v11, v11
	v_cndmask_b32_e64 v3, v3, v10, s[0:1]
	v_cndmask_b32_e64 v8, v10, v8, s[0:1]
	v_cmp_gt_u32_e64 s[4:5], s13, v3
	v_cmp_ge_u32_e64 s[2:3], v8, v5
	s_waitcnt lgkmcnt(0)
	v_cndmask_b32_e64 v12, v11, v7, s[0:1]
	v_cndmask_b32_e64 v11, v6, v11, s[0:1]
	v_cmp_le_i16_sdwa s[6:7], sext(v11), sext(v12) src0_sel:BYTE_0 src1_sel:BYTE_0
	s_and_b64 s[4:5], s[4:5], s[6:7]
	s_or_b64 s[2:3], s[2:3], s[4:5]
	v_cndmask_b32_e64 v10, v8, v3, s[2:3]
	v_cndmask_b32_e64 v13, v5, v4, s[2:3]
	v_add_u32_e32 v10, 1, v10
	v_add_u32_e32 v13, -1, v13
	v_min_u32_e32 v13, v10, v13
	ds_read_u8 v13, v13
	v_cndmask_b32_e64 v3, v3, v10, s[2:3]
	v_cndmask_b32_e64 v8, v10, v8, s[2:3]
	v_cmp_gt_u32_e64 s[6:7], s13, v3
	v_cmp_ge_u32_e64 s[4:5], v8, v5
	s_waitcnt lgkmcnt(0)
	v_cndmask_b32_e64 v14, v13, v12, s[2:3]
	v_cndmask_b32_e64 v13, v11, v13, s[2:3]
	;; [unrolled: 16-line block ×4, first 2 shown]
	v_cmp_le_i16_sdwa s[22:23], sext(v17), sext(v18) src0_sel:BYTE_0 src1_sel:BYTE_0
	s_and_b64 s[10:11], s[10:11], s[22:23]
	s_or_b64 s[8:9], s[8:9], s[10:11]
	v_cndmask_b32_e64 v3, v8, v10, s[8:9]
	v_cndmask_b32_e64 v19, v5, v4, s[8:9]
	v_add_u32_e32 v20, 1, v3
	v_add_u32_e32 v3, -1, v19
	v_min_u32_e32 v3, v20, v3
	ds_read_u8 v19, v3
	v_cndmask_b32_e64 v3, v12, v11, s[2:3]
	v_cndmask_b32_e64 v10, v10, v20, s[8:9]
	v_cndmask_b32_e32 v1, v2, v1, vcc
	v_cndmask_b32_e64 v2, v7, v6, s[0:1]
	s_waitcnt lgkmcnt(0)
	v_cndmask_b32_e64 v11, v19, v18, s[8:9]
	v_cndmask_b32_e64 v12, v17, v19, s[8:9]
	;; [unrolled: 1-line block ×3, first 2 shown]
	v_cmp_gt_u32_e64 s[0:1], s13, v10
	v_cmp_le_i16_sdwa s[2:3], sext(v12), sext(v11) src0_sel:BYTE_0 src1_sel:BYTE_0
	v_cmp_ge_u32_e32 vcc, v19, v5
	s_and_b64 s[0:1], s[0:1], s[2:3]
	s_or_b64 vcc, vcc, s[0:1]
	v_cndmask_b32_e32 v6, v19, v10, vcc
	v_cndmask_b32_e32 v4, v5, v4, vcc
	v_add_u32_e32 v20, 1, v6
	v_add_u32_e32 v4, -1, v4
	v_min_u32_e32 v4, v20, v4
	ds_read_u8 v21, v4
	v_cndmask_b32_e32 v8, v11, v12, vcc
	v_cndmask_b32_e32 v10, v10, v20, vcc
	v_cndmask_b32_e64 v4, v14, v13, s[4:5]
	v_cndmask_b32_e32 v13, v20, v19, vcc
	s_waitcnt lgkmcnt(0)
	v_cndmask_b32_e32 v11, v21, v11, vcc
	v_cndmask_b32_e32 v12, v12, v21, vcc
	v_cmp_gt_u32_e64 s[0:1], s13, v10
	v_cmp_le_i16_sdwa s[2:3], sext(v12), sext(v11) src0_sel:BYTE_0 src1_sel:BYTE_0
	v_cmp_ge_u32_e32 vcc, v13, v5
	s_and_b64 s[0:1], s[0:1], s[2:3]
	s_or_b64 vcc, vcc, s[0:1]
	v_cndmask_b32_e64 v6, v16, v15, s[6:7]
	v_cndmask_b32_e64 v7, v18, v17, s[8:9]
	v_cndmask_b32_e32 v10, v11, v12, vcc
.LBB2744_33:
	s_or_b64 exec, exec, s[16:17]
	v_lshlrev_b16_e32 v7, 8, v7
	v_lshlrev_b16_e32 v2, 8, v2
	v_lshrrev_b32_e32 v5, 2, v0
	v_or_b32_sdwa v6, v6, v7 dst_sel:DWORD dst_unused:UNUSED_PAD src0_sel:BYTE_0 src1_sel:DWORD
	v_lshlrev_b16_e32 v7, 8, v10
	v_or_b32_sdwa v1, v1, v2 dst_sel:DWORD dst_unused:UNUSED_PAD src0_sel:BYTE_0 src1_sel:DWORD
	v_lshlrev_b16_e32 v2, 8, v4
	s_add_u32 s0, s18, s20
	v_and_b32_e32 v5, 28, v5
	v_or_b32_sdwa v7, v8, v7 dst_sel:WORD_1 dst_unused:UNUSED_PAD src0_sel:BYTE_0 src1_sel:DWORD
	v_or_b32_sdwa v2, v3, v2 dst_sel:WORD_1 dst_unused:UNUSED_PAD src0_sel:BYTE_0 src1_sel:DWORD
	s_addc_u32 s1, s19, s21
	v_add_u32_e32 v5, v5, v9
	v_or_b32_sdwa v6, v6, v7 dst_sel:DWORD dst_unused:UNUSED_PAD src0_sel:WORD_0 src1_sel:DWORD
	v_or_b32_sdwa v1, v1, v2 dst_sel:DWORD dst_unused:UNUSED_PAD src0_sel:WORD_0 src1_sel:DWORD
	s_barrier
	s_barrier
	ds_write2_b32 v5, v1, v6 offset1:1
	v_mov_b32_e32 v1, s1
	v_add_co_u32_e32 v2, vcc, s0, v0
	v_addc_co_u32_e32 v3, vcc, 0, v1, vcc
	s_and_b64 vcc, exec, s[14:15]
	v_add_u32_e32 v4, 4, v0
	v_add_u32_e32 v5, 8, v0
	;; [unrolled: 1-line block ×7, first 2 shown]
	s_waitcnt lgkmcnt(0)
	s_cbranch_vccz .LBB2744_35
; %bb.34:
	s_barrier
	ds_read_u8 v11, v0
	ds_read_u8 v12, v4 offset:128
	ds_read_u8 v13, v5 offset:256
	;; [unrolled: 1-line block ×7, first 2 shown]
	s_waitcnt lgkmcnt(7)
	global_store_byte v[2:3], v11, off
	s_waitcnt lgkmcnt(6)
	global_store_byte v[2:3], v12, off offset:128
	s_waitcnt lgkmcnt(5)
	global_store_byte v[2:3], v13, off offset:256
	;; [unrolled: 2-line block ×6, first 2 shown]
	s_mov_b64 s[0:1], -1
	s_cbranch_execz .LBB2744_36
	s_branch .LBB2744_51
.LBB2744_35:
	s_mov_b64 s[0:1], 0
                                        ; implicit-def: $vgpr1
.LBB2744_36:
	s_barrier
	s_waitcnt lgkmcnt(0)
	ds_read_u8 v13, v4 offset:128
	ds_read_u8 v12, v5 offset:256
	;; [unrolled: 1-line block ×7, first 2 shown]
	s_sub_i32 s2, s12, s20
	v_or_b32_e32 v7, 0x80, v0
	v_cmp_gt_u32_e32 vcc, s2, v0
	s_and_saveexec_b64 s[0:1], vcc
	s_cbranch_execz .LBB2744_38
; %bb.37:
	ds_read_u8 v8, v0
	s_waitcnt lgkmcnt(0)
	global_store_byte v[2:3], v8, off
.LBB2744_38:
	s_or_b64 exec, exec, s[0:1]
	v_or_b32_e32 v8, 0x100, v0
	v_cmp_gt_u32_e32 vcc, s2, v7
	s_and_saveexec_b64 s[0:1], vcc
	s_cbranch_execz .LBB2744_40
; %bb.39:
	s_waitcnt lgkmcnt(6)
	global_store_byte v[2:3], v13, off offset:128
.LBB2744_40:
	s_or_b64 exec, exec, s[0:1]
	v_or_b32_e32 v7, 0x180, v0
	v_cmp_gt_u32_e32 vcc, s2, v8
	s_and_saveexec_b64 s[0:1], vcc
	s_cbranch_execz .LBB2744_42
; %bb.41:
	s_waitcnt lgkmcnt(5)
	global_store_byte v[2:3], v12, off offset:256
.LBB2744_42:
	;; [unrolled: 9-line block ×4, first 2 shown]
	s_or_b64 exec, exec, s[0:1]
	s_waitcnt lgkmcnt(3)
	v_or_b32_e32 v6, 0x300, v0
	v_cmp_gt_u32_e32 vcc, s2, v7
	s_and_saveexec_b64 s[0:1], vcc
	s_cbranch_execz .LBB2744_48
; %bb.47:
	s_waitcnt lgkmcnt(2)
	global_store_byte v[2:3], v5, off offset:640
.LBB2744_48:
	s_or_b64 exec, exec, s[0:1]
	v_or_b32_e32 v0, 0x380, v0
	v_cmp_gt_u32_e32 vcc, s2, v6
	s_and_saveexec_b64 s[0:1], vcc
	s_cbranch_execz .LBB2744_50
; %bb.49:
	s_waitcnt lgkmcnt(1)
	global_store_byte v[2:3], v4, off offset:768
.LBB2744_50:
	s_or_b64 exec, exec, s[0:1]
	v_cmp_gt_u32_e64 s[0:1], s2, v0
.LBB2744_51:
	s_and_saveexec_b64 s[2:3], s[0:1]
	s_cbranch_execz .LBB2744_53
; %bb.52:
	s_waitcnt lgkmcnt(0)
	global_store_byte v[2:3], v1, off offset:896
.LBB2744_53:
	s_endpgm
	.section	.rodata,"a",@progbits
	.p2align	6, 0x0
	.amdhsa_kernel _ZN7rocprim17ROCPRIM_400000_NS6detail17trampoline_kernelINS0_14default_configENS1_38merge_sort_block_merge_config_selectorIcNS0_10empty_typeEEEZZNS1_27merge_sort_block_merge_implIS3_N6thrust23THRUST_200600_302600_NS6detail15normal_iteratorINS9_10device_ptrIcEEEEPS5_m14custom_greaterIcEEE10hipError_tT0_T1_T2_jT3_P12ihipStream_tbPNSt15iterator_traitsISJ_E10value_typeEPNSP_ISK_E10value_typeEPSL_NS1_7vsmem_tEENKUlT_SJ_SK_SL_E_clISE_PcSF_SF_EESI_SY_SJ_SK_SL_EUlSY_E0_NS1_11comp_targetILNS1_3genE4ELNS1_11target_archE910ELNS1_3gpuE8ELNS1_3repE0EEENS1_38merge_mergepath_config_static_selectorELNS0_4arch9wavefront6targetE1EEEvSK_
		.amdhsa_group_segment_fixed_size 1056
		.amdhsa_private_segment_fixed_size 0
		.amdhsa_kernarg_size 328
		.amdhsa_user_sgpr_count 6
		.amdhsa_user_sgpr_private_segment_buffer 1
		.amdhsa_user_sgpr_dispatch_ptr 0
		.amdhsa_user_sgpr_queue_ptr 0
		.amdhsa_user_sgpr_kernarg_segment_ptr 1
		.amdhsa_user_sgpr_dispatch_id 0
		.amdhsa_user_sgpr_flat_scratch_init 0
		.amdhsa_user_sgpr_kernarg_preload_length 0
		.amdhsa_user_sgpr_kernarg_preload_offset 0
		.amdhsa_user_sgpr_private_segment_size 0
		.amdhsa_uses_dynamic_stack 0
		.amdhsa_system_sgpr_private_segment_wavefront_offset 0
		.amdhsa_system_sgpr_workgroup_id_x 1
		.amdhsa_system_sgpr_workgroup_id_y 1
		.amdhsa_system_sgpr_workgroup_id_z 1
		.amdhsa_system_sgpr_workgroup_info 0
		.amdhsa_system_vgpr_workitem_id 0
		.amdhsa_next_free_vgpr 26
		.amdhsa_next_free_sgpr 31
		.amdhsa_accum_offset 28
		.amdhsa_reserve_vcc 1
		.amdhsa_reserve_flat_scratch 0
		.amdhsa_float_round_mode_32 0
		.amdhsa_float_round_mode_16_64 0
		.amdhsa_float_denorm_mode_32 3
		.amdhsa_float_denorm_mode_16_64 3
		.amdhsa_dx10_clamp 1
		.amdhsa_ieee_mode 1
		.amdhsa_fp16_overflow 0
		.amdhsa_tg_split 0
		.amdhsa_exception_fp_ieee_invalid_op 0
		.amdhsa_exception_fp_denorm_src 0
		.amdhsa_exception_fp_ieee_div_zero 0
		.amdhsa_exception_fp_ieee_overflow 0
		.amdhsa_exception_fp_ieee_underflow 0
		.amdhsa_exception_fp_ieee_inexact 0
		.amdhsa_exception_int_div_zero 0
	.end_amdhsa_kernel
	.section	.text._ZN7rocprim17ROCPRIM_400000_NS6detail17trampoline_kernelINS0_14default_configENS1_38merge_sort_block_merge_config_selectorIcNS0_10empty_typeEEEZZNS1_27merge_sort_block_merge_implIS3_N6thrust23THRUST_200600_302600_NS6detail15normal_iteratorINS9_10device_ptrIcEEEEPS5_m14custom_greaterIcEEE10hipError_tT0_T1_T2_jT3_P12ihipStream_tbPNSt15iterator_traitsISJ_E10value_typeEPNSP_ISK_E10value_typeEPSL_NS1_7vsmem_tEENKUlT_SJ_SK_SL_E_clISE_PcSF_SF_EESI_SY_SJ_SK_SL_EUlSY_E0_NS1_11comp_targetILNS1_3genE4ELNS1_11target_archE910ELNS1_3gpuE8ELNS1_3repE0EEENS1_38merge_mergepath_config_static_selectorELNS0_4arch9wavefront6targetE1EEEvSK_,"axG",@progbits,_ZN7rocprim17ROCPRIM_400000_NS6detail17trampoline_kernelINS0_14default_configENS1_38merge_sort_block_merge_config_selectorIcNS0_10empty_typeEEEZZNS1_27merge_sort_block_merge_implIS3_N6thrust23THRUST_200600_302600_NS6detail15normal_iteratorINS9_10device_ptrIcEEEEPS5_m14custom_greaterIcEEE10hipError_tT0_T1_T2_jT3_P12ihipStream_tbPNSt15iterator_traitsISJ_E10value_typeEPNSP_ISK_E10value_typeEPSL_NS1_7vsmem_tEENKUlT_SJ_SK_SL_E_clISE_PcSF_SF_EESI_SY_SJ_SK_SL_EUlSY_E0_NS1_11comp_targetILNS1_3genE4ELNS1_11target_archE910ELNS1_3gpuE8ELNS1_3repE0EEENS1_38merge_mergepath_config_static_selectorELNS0_4arch9wavefront6targetE1EEEvSK_,comdat
.Lfunc_end2744:
	.size	_ZN7rocprim17ROCPRIM_400000_NS6detail17trampoline_kernelINS0_14default_configENS1_38merge_sort_block_merge_config_selectorIcNS0_10empty_typeEEEZZNS1_27merge_sort_block_merge_implIS3_N6thrust23THRUST_200600_302600_NS6detail15normal_iteratorINS9_10device_ptrIcEEEEPS5_m14custom_greaterIcEEE10hipError_tT0_T1_T2_jT3_P12ihipStream_tbPNSt15iterator_traitsISJ_E10value_typeEPNSP_ISK_E10value_typeEPSL_NS1_7vsmem_tEENKUlT_SJ_SK_SL_E_clISE_PcSF_SF_EESI_SY_SJ_SK_SL_EUlSY_E0_NS1_11comp_targetILNS1_3genE4ELNS1_11target_archE910ELNS1_3gpuE8ELNS1_3repE0EEENS1_38merge_mergepath_config_static_selectorELNS0_4arch9wavefront6targetE1EEEvSK_, .Lfunc_end2744-_ZN7rocprim17ROCPRIM_400000_NS6detail17trampoline_kernelINS0_14default_configENS1_38merge_sort_block_merge_config_selectorIcNS0_10empty_typeEEEZZNS1_27merge_sort_block_merge_implIS3_N6thrust23THRUST_200600_302600_NS6detail15normal_iteratorINS9_10device_ptrIcEEEEPS5_m14custom_greaterIcEEE10hipError_tT0_T1_T2_jT3_P12ihipStream_tbPNSt15iterator_traitsISJ_E10value_typeEPNSP_ISK_E10value_typeEPSL_NS1_7vsmem_tEENKUlT_SJ_SK_SL_E_clISE_PcSF_SF_EESI_SY_SJ_SK_SL_EUlSY_E0_NS1_11comp_targetILNS1_3genE4ELNS1_11target_archE910ELNS1_3gpuE8ELNS1_3repE0EEENS1_38merge_mergepath_config_static_selectorELNS0_4arch9wavefront6targetE1EEEvSK_
                                        ; -- End function
	.section	.AMDGPU.csdata,"",@progbits
; Kernel info:
; codeLenInByte = 3184
; NumSgprs: 35
; NumVgprs: 26
; NumAgprs: 0
; TotalNumVgprs: 26
; ScratchSize: 0
; MemoryBound: 0
; FloatMode: 240
; IeeeMode: 1
; LDSByteSize: 1056 bytes/workgroup (compile time only)
; SGPRBlocks: 4
; VGPRBlocks: 3
; NumSGPRsForWavesPerEU: 35
; NumVGPRsForWavesPerEU: 26
; AccumOffset: 28
; Occupancy: 8
; WaveLimiterHint : 1
; COMPUTE_PGM_RSRC2:SCRATCH_EN: 0
; COMPUTE_PGM_RSRC2:USER_SGPR: 6
; COMPUTE_PGM_RSRC2:TRAP_HANDLER: 0
; COMPUTE_PGM_RSRC2:TGID_X_EN: 1
; COMPUTE_PGM_RSRC2:TGID_Y_EN: 1
; COMPUTE_PGM_RSRC2:TGID_Z_EN: 1
; COMPUTE_PGM_RSRC2:TIDIG_COMP_CNT: 0
; COMPUTE_PGM_RSRC3_GFX90A:ACCUM_OFFSET: 6
; COMPUTE_PGM_RSRC3_GFX90A:TG_SPLIT: 0
	.section	.text._ZN7rocprim17ROCPRIM_400000_NS6detail17trampoline_kernelINS0_14default_configENS1_38merge_sort_block_merge_config_selectorIcNS0_10empty_typeEEEZZNS1_27merge_sort_block_merge_implIS3_N6thrust23THRUST_200600_302600_NS6detail15normal_iteratorINS9_10device_ptrIcEEEEPS5_m14custom_greaterIcEEE10hipError_tT0_T1_T2_jT3_P12ihipStream_tbPNSt15iterator_traitsISJ_E10value_typeEPNSP_ISK_E10value_typeEPSL_NS1_7vsmem_tEENKUlT_SJ_SK_SL_E_clISE_PcSF_SF_EESI_SY_SJ_SK_SL_EUlSY_E0_NS1_11comp_targetILNS1_3genE3ELNS1_11target_archE908ELNS1_3gpuE7ELNS1_3repE0EEENS1_38merge_mergepath_config_static_selectorELNS0_4arch9wavefront6targetE1EEEvSK_,"axG",@progbits,_ZN7rocprim17ROCPRIM_400000_NS6detail17trampoline_kernelINS0_14default_configENS1_38merge_sort_block_merge_config_selectorIcNS0_10empty_typeEEEZZNS1_27merge_sort_block_merge_implIS3_N6thrust23THRUST_200600_302600_NS6detail15normal_iteratorINS9_10device_ptrIcEEEEPS5_m14custom_greaterIcEEE10hipError_tT0_T1_T2_jT3_P12ihipStream_tbPNSt15iterator_traitsISJ_E10value_typeEPNSP_ISK_E10value_typeEPSL_NS1_7vsmem_tEENKUlT_SJ_SK_SL_E_clISE_PcSF_SF_EESI_SY_SJ_SK_SL_EUlSY_E0_NS1_11comp_targetILNS1_3genE3ELNS1_11target_archE908ELNS1_3gpuE7ELNS1_3repE0EEENS1_38merge_mergepath_config_static_selectorELNS0_4arch9wavefront6targetE1EEEvSK_,comdat
	.protected	_ZN7rocprim17ROCPRIM_400000_NS6detail17trampoline_kernelINS0_14default_configENS1_38merge_sort_block_merge_config_selectorIcNS0_10empty_typeEEEZZNS1_27merge_sort_block_merge_implIS3_N6thrust23THRUST_200600_302600_NS6detail15normal_iteratorINS9_10device_ptrIcEEEEPS5_m14custom_greaterIcEEE10hipError_tT0_T1_T2_jT3_P12ihipStream_tbPNSt15iterator_traitsISJ_E10value_typeEPNSP_ISK_E10value_typeEPSL_NS1_7vsmem_tEENKUlT_SJ_SK_SL_E_clISE_PcSF_SF_EESI_SY_SJ_SK_SL_EUlSY_E0_NS1_11comp_targetILNS1_3genE3ELNS1_11target_archE908ELNS1_3gpuE7ELNS1_3repE0EEENS1_38merge_mergepath_config_static_selectorELNS0_4arch9wavefront6targetE1EEEvSK_ ; -- Begin function _ZN7rocprim17ROCPRIM_400000_NS6detail17trampoline_kernelINS0_14default_configENS1_38merge_sort_block_merge_config_selectorIcNS0_10empty_typeEEEZZNS1_27merge_sort_block_merge_implIS3_N6thrust23THRUST_200600_302600_NS6detail15normal_iteratorINS9_10device_ptrIcEEEEPS5_m14custom_greaterIcEEE10hipError_tT0_T1_T2_jT3_P12ihipStream_tbPNSt15iterator_traitsISJ_E10value_typeEPNSP_ISK_E10value_typeEPSL_NS1_7vsmem_tEENKUlT_SJ_SK_SL_E_clISE_PcSF_SF_EESI_SY_SJ_SK_SL_EUlSY_E0_NS1_11comp_targetILNS1_3genE3ELNS1_11target_archE908ELNS1_3gpuE7ELNS1_3repE0EEENS1_38merge_mergepath_config_static_selectorELNS0_4arch9wavefront6targetE1EEEvSK_
	.globl	_ZN7rocprim17ROCPRIM_400000_NS6detail17trampoline_kernelINS0_14default_configENS1_38merge_sort_block_merge_config_selectorIcNS0_10empty_typeEEEZZNS1_27merge_sort_block_merge_implIS3_N6thrust23THRUST_200600_302600_NS6detail15normal_iteratorINS9_10device_ptrIcEEEEPS5_m14custom_greaterIcEEE10hipError_tT0_T1_T2_jT3_P12ihipStream_tbPNSt15iterator_traitsISJ_E10value_typeEPNSP_ISK_E10value_typeEPSL_NS1_7vsmem_tEENKUlT_SJ_SK_SL_E_clISE_PcSF_SF_EESI_SY_SJ_SK_SL_EUlSY_E0_NS1_11comp_targetILNS1_3genE3ELNS1_11target_archE908ELNS1_3gpuE7ELNS1_3repE0EEENS1_38merge_mergepath_config_static_selectorELNS0_4arch9wavefront6targetE1EEEvSK_
	.p2align	8
	.type	_ZN7rocprim17ROCPRIM_400000_NS6detail17trampoline_kernelINS0_14default_configENS1_38merge_sort_block_merge_config_selectorIcNS0_10empty_typeEEEZZNS1_27merge_sort_block_merge_implIS3_N6thrust23THRUST_200600_302600_NS6detail15normal_iteratorINS9_10device_ptrIcEEEEPS5_m14custom_greaterIcEEE10hipError_tT0_T1_T2_jT3_P12ihipStream_tbPNSt15iterator_traitsISJ_E10value_typeEPNSP_ISK_E10value_typeEPSL_NS1_7vsmem_tEENKUlT_SJ_SK_SL_E_clISE_PcSF_SF_EESI_SY_SJ_SK_SL_EUlSY_E0_NS1_11comp_targetILNS1_3genE3ELNS1_11target_archE908ELNS1_3gpuE7ELNS1_3repE0EEENS1_38merge_mergepath_config_static_selectorELNS0_4arch9wavefront6targetE1EEEvSK_,@function
_ZN7rocprim17ROCPRIM_400000_NS6detail17trampoline_kernelINS0_14default_configENS1_38merge_sort_block_merge_config_selectorIcNS0_10empty_typeEEEZZNS1_27merge_sort_block_merge_implIS3_N6thrust23THRUST_200600_302600_NS6detail15normal_iteratorINS9_10device_ptrIcEEEEPS5_m14custom_greaterIcEEE10hipError_tT0_T1_T2_jT3_P12ihipStream_tbPNSt15iterator_traitsISJ_E10value_typeEPNSP_ISK_E10value_typeEPSL_NS1_7vsmem_tEENKUlT_SJ_SK_SL_E_clISE_PcSF_SF_EESI_SY_SJ_SK_SL_EUlSY_E0_NS1_11comp_targetILNS1_3genE3ELNS1_11target_archE908ELNS1_3gpuE7ELNS1_3repE0EEENS1_38merge_mergepath_config_static_selectorELNS0_4arch9wavefront6targetE1EEEvSK_: ; @_ZN7rocprim17ROCPRIM_400000_NS6detail17trampoline_kernelINS0_14default_configENS1_38merge_sort_block_merge_config_selectorIcNS0_10empty_typeEEEZZNS1_27merge_sort_block_merge_implIS3_N6thrust23THRUST_200600_302600_NS6detail15normal_iteratorINS9_10device_ptrIcEEEEPS5_m14custom_greaterIcEEE10hipError_tT0_T1_T2_jT3_P12ihipStream_tbPNSt15iterator_traitsISJ_E10value_typeEPNSP_ISK_E10value_typeEPSL_NS1_7vsmem_tEENKUlT_SJ_SK_SL_E_clISE_PcSF_SF_EESI_SY_SJ_SK_SL_EUlSY_E0_NS1_11comp_targetILNS1_3genE3ELNS1_11target_archE908ELNS1_3gpuE7ELNS1_3repE0EEENS1_38merge_mergepath_config_static_selectorELNS0_4arch9wavefront6targetE1EEEvSK_
; %bb.0:
	.section	.rodata,"a",@progbits
	.p2align	6, 0x0
	.amdhsa_kernel _ZN7rocprim17ROCPRIM_400000_NS6detail17trampoline_kernelINS0_14default_configENS1_38merge_sort_block_merge_config_selectorIcNS0_10empty_typeEEEZZNS1_27merge_sort_block_merge_implIS3_N6thrust23THRUST_200600_302600_NS6detail15normal_iteratorINS9_10device_ptrIcEEEEPS5_m14custom_greaterIcEEE10hipError_tT0_T1_T2_jT3_P12ihipStream_tbPNSt15iterator_traitsISJ_E10value_typeEPNSP_ISK_E10value_typeEPSL_NS1_7vsmem_tEENKUlT_SJ_SK_SL_E_clISE_PcSF_SF_EESI_SY_SJ_SK_SL_EUlSY_E0_NS1_11comp_targetILNS1_3genE3ELNS1_11target_archE908ELNS1_3gpuE7ELNS1_3repE0EEENS1_38merge_mergepath_config_static_selectorELNS0_4arch9wavefront6targetE1EEEvSK_
		.amdhsa_group_segment_fixed_size 0
		.amdhsa_private_segment_fixed_size 0
		.amdhsa_kernarg_size 72
		.amdhsa_user_sgpr_count 6
		.amdhsa_user_sgpr_private_segment_buffer 1
		.amdhsa_user_sgpr_dispatch_ptr 0
		.amdhsa_user_sgpr_queue_ptr 0
		.amdhsa_user_sgpr_kernarg_segment_ptr 1
		.amdhsa_user_sgpr_dispatch_id 0
		.amdhsa_user_sgpr_flat_scratch_init 0
		.amdhsa_user_sgpr_kernarg_preload_length 0
		.amdhsa_user_sgpr_kernarg_preload_offset 0
		.amdhsa_user_sgpr_private_segment_size 0
		.amdhsa_uses_dynamic_stack 0
		.amdhsa_system_sgpr_private_segment_wavefront_offset 0
		.amdhsa_system_sgpr_workgroup_id_x 1
		.amdhsa_system_sgpr_workgroup_id_y 0
		.amdhsa_system_sgpr_workgroup_id_z 0
		.amdhsa_system_sgpr_workgroup_info 0
		.amdhsa_system_vgpr_workitem_id 0
		.amdhsa_next_free_vgpr 1
		.amdhsa_next_free_sgpr 0
		.amdhsa_accum_offset 4
		.amdhsa_reserve_vcc 0
		.amdhsa_reserve_flat_scratch 0
		.amdhsa_float_round_mode_32 0
		.amdhsa_float_round_mode_16_64 0
		.amdhsa_float_denorm_mode_32 3
		.amdhsa_float_denorm_mode_16_64 3
		.amdhsa_dx10_clamp 1
		.amdhsa_ieee_mode 1
		.amdhsa_fp16_overflow 0
		.amdhsa_tg_split 0
		.amdhsa_exception_fp_ieee_invalid_op 0
		.amdhsa_exception_fp_denorm_src 0
		.amdhsa_exception_fp_ieee_div_zero 0
		.amdhsa_exception_fp_ieee_overflow 0
		.amdhsa_exception_fp_ieee_underflow 0
		.amdhsa_exception_fp_ieee_inexact 0
		.amdhsa_exception_int_div_zero 0
	.end_amdhsa_kernel
	.section	.text._ZN7rocprim17ROCPRIM_400000_NS6detail17trampoline_kernelINS0_14default_configENS1_38merge_sort_block_merge_config_selectorIcNS0_10empty_typeEEEZZNS1_27merge_sort_block_merge_implIS3_N6thrust23THRUST_200600_302600_NS6detail15normal_iteratorINS9_10device_ptrIcEEEEPS5_m14custom_greaterIcEEE10hipError_tT0_T1_T2_jT3_P12ihipStream_tbPNSt15iterator_traitsISJ_E10value_typeEPNSP_ISK_E10value_typeEPSL_NS1_7vsmem_tEENKUlT_SJ_SK_SL_E_clISE_PcSF_SF_EESI_SY_SJ_SK_SL_EUlSY_E0_NS1_11comp_targetILNS1_3genE3ELNS1_11target_archE908ELNS1_3gpuE7ELNS1_3repE0EEENS1_38merge_mergepath_config_static_selectorELNS0_4arch9wavefront6targetE1EEEvSK_,"axG",@progbits,_ZN7rocprim17ROCPRIM_400000_NS6detail17trampoline_kernelINS0_14default_configENS1_38merge_sort_block_merge_config_selectorIcNS0_10empty_typeEEEZZNS1_27merge_sort_block_merge_implIS3_N6thrust23THRUST_200600_302600_NS6detail15normal_iteratorINS9_10device_ptrIcEEEEPS5_m14custom_greaterIcEEE10hipError_tT0_T1_T2_jT3_P12ihipStream_tbPNSt15iterator_traitsISJ_E10value_typeEPNSP_ISK_E10value_typeEPSL_NS1_7vsmem_tEENKUlT_SJ_SK_SL_E_clISE_PcSF_SF_EESI_SY_SJ_SK_SL_EUlSY_E0_NS1_11comp_targetILNS1_3genE3ELNS1_11target_archE908ELNS1_3gpuE7ELNS1_3repE0EEENS1_38merge_mergepath_config_static_selectorELNS0_4arch9wavefront6targetE1EEEvSK_,comdat
.Lfunc_end2745:
	.size	_ZN7rocprim17ROCPRIM_400000_NS6detail17trampoline_kernelINS0_14default_configENS1_38merge_sort_block_merge_config_selectorIcNS0_10empty_typeEEEZZNS1_27merge_sort_block_merge_implIS3_N6thrust23THRUST_200600_302600_NS6detail15normal_iteratorINS9_10device_ptrIcEEEEPS5_m14custom_greaterIcEEE10hipError_tT0_T1_T2_jT3_P12ihipStream_tbPNSt15iterator_traitsISJ_E10value_typeEPNSP_ISK_E10value_typeEPSL_NS1_7vsmem_tEENKUlT_SJ_SK_SL_E_clISE_PcSF_SF_EESI_SY_SJ_SK_SL_EUlSY_E0_NS1_11comp_targetILNS1_3genE3ELNS1_11target_archE908ELNS1_3gpuE7ELNS1_3repE0EEENS1_38merge_mergepath_config_static_selectorELNS0_4arch9wavefront6targetE1EEEvSK_, .Lfunc_end2745-_ZN7rocprim17ROCPRIM_400000_NS6detail17trampoline_kernelINS0_14default_configENS1_38merge_sort_block_merge_config_selectorIcNS0_10empty_typeEEEZZNS1_27merge_sort_block_merge_implIS3_N6thrust23THRUST_200600_302600_NS6detail15normal_iteratorINS9_10device_ptrIcEEEEPS5_m14custom_greaterIcEEE10hipError_tT0_T1_T2_jT3_P12ihipStream_tbPNSt15iterator_traitsISJ_E10value_typeEPNSP_ISK_E10value_typeEPSL_NS1_7vsmem_tEENKUlT_SJ_SK_SL_E_clISE_PcSF_SF_EESI_SY_SJ_SK_SL_EUlSY_E0_NS1_11comp_targetILNS1_3genE3ELNS1_11target_archE908ELNS1_3gpuE7ELNS1_3repE0EEENS1_38merge_mergepath_config_static_selectorELNS0_4arch9wavefront6targetE1EEEvSK_
                                        ; -- End function
	.section	.AMDGPU.csdata,"",@progbits
; Kernel info:
; codeLenInByte = 0
; NumSgprs: 4
; NumVgprs: 0
; NumAgprs: 0
; TotalNumVgprs: 0
; ScratchSize: 0
; MemoryBound: 0
; FloatMode: 240
; IeeeMode: 1
; LDSByteSize: 0 bytes/workgroup (compile time only)
; SGPRBlocks: 0
; VGPRBlocks: 0
; NumSGPRsForWavesPerEU: 4
; NumVGPRsForWavesPerEU: 1
; AccumOffset: 4
; Occupancy: 8
; WaveLimiterHint : 0
; COMPUTE_PGM_RSRC2:SCRATCH_EN: 0
; COMPUTE_PGM_RSRC2:USER_SGPR: 6
; COMPUTE_PGM_RSRC2:TRAP_HANDLER: 0
; COMPUTE_PGM_RSRC2:TGID_X_EN: 1
; COMPUTE_PGM_RSRC2:TGID_Y_EN: 0
; COMPUTE_PGM_RSRC2:TGID_Z_EN: 0
; COMPUTE_PGM_RSRC2:TIDIG_COMP_CNT: 0
; COMPUTE_PGM_RSRC3_GFX90A:ACCUM_OFFSET: 0
; COMPUTE_PGM_RSRC3_GFX90A:TG_SPLIT: 0
	.section	.text._ZN7rocprim17ROCPRIM_400000_NS6detail17trampoline_kernelINS0_14default_configENS1_38merge_sort_block_merge_config_selectorIcNS0_10empty_typeEEEZZNS1_27merge_sort_block_merge_implIS3_N6thrust23THRUST_200600_302600_NS6detail15normal_iteratorINS9_10device_ptrIcEEEEPS5_m14custom_greaterIcEEE10hipError_tT0_T1_T2_jT3_P12ihipStream_tbPNSt15iterator_traitsISJ_E10value_typeEPNSP_ISK_E10value_typeEPSL_NS1_7vsmem_tEENKUlT_SJ_SK_SL_E_clISE_PcSF_SF_EESI_SY_SJ_SK_SL_EUlSY_E0_NS1_11comp_targetILNS1_3genE2ELNS1_11target_archE906ELNS1_3gpuE6ELNS1_3repE0EEENS1_38merge_mergepath_config_static_selectorELNS0_4arch9wavefront6targetE1EEEvSK_,"axG",@progbits,_ZN7rocprim17ROCPRIM_400000_NS6detail17trampoline_kernelINS0_14default_configENS1_38merge_sort_block_merge_config_selectorIcNS0_10empty_typeEEEZZNS1_27merge_sort_block_merge_implIS3_N6thrust23THRUST_200600_302600_NS6detail15normal_iteratorINS9_10device_ptrIcEEEEPS5_m14custom_greaterIcEEE10hipError_tT0_T1_T2_jT3_P12ihipStream_tbPNSt15iterator_traitsISJ_E10value_typeEPNSP_ISK_E10value_typeEPSL_NS1_7vsmem_tEENKUlT_SJ_SK_SL_E_clISE_PcSF_SF_EESI_SY_SJ_SK_SL_EUlSY_E0_NS1_11comp_targetILNS1_3genE2ELNS1_11target_archE906ELNS1_3gpuE6ELNS1_3repE0EEENS1_38merge_mergepath_config_static_selectorELNS0_4arch9wavefront6targetE1EEEvSK_,comdat
	.protected	_ZN7rocprim17ROCPRIM_400000_NS6detail17trampoline_kernelINS0_14default_configENS1_38merge_sort_block_merge_config_selectorIcNS0_10empty_typeEEEZZNS1_27merge_sort_block_merge_implIS3_N6thrust23THRUST_200600_302600_NS6detail15normal_iteratorINS9_10device_ptrIcEEEEPS5_m14custom_greaterIcEEE10hipError_tT0_T1_T2_jT3_P12ihipStream_tbPNSt15iterator_traitsISJ_E10value_typeEPNSP_ISK_E10value_typeEPSL_NS1_7vsmem_tEENKUlT_SJ_SK_SL_E_clISE_PcSF_SF_EESI_SY_SJ_SK_SL_EUlSY_E0_NS1_11comp_targetILNS1_3genE2ELNS1_11target_archE906ELNS1_3gpuE6ELNS1_3repE0EEENS1_38merge_mergepath_config_static_selectorELNS0_4arch9wavefront6targetE1EEEvSK_ ; -- Begin function _ZN7rocprim17ROCPRIM_400000_NS6detail17trampoline_kernelINS0_14default_configENS1_38merge_sort_block_merge_config_selectorIcNS0_10empty_typeEEEZZNS1_27merge_sort_block_merge_implIS3_N6thrust23THRUST_200600_302600_NS6detail15normal_iteratorINS9_10device_ptrIcEEEEPS5_m14custom_greaterIcEEE10hipError_tT0_T1_T2_jT3_P12ihipStream_tbPNSt15iterator_traitsISJ_E10value_typeEPNSP_ISK_E10value_typeEPSL_NS1_7vsmem_tEENKUlT_SJ_SK_SL_E_clISE_PcSF_SF_EESI_SY_SJ_SK_SL_EUlSY_E0_NS1_11comp_targetILNS1_3genE2ELNS1_11target_archE906ELNS1_3gpuE6ELNS1_3repE0EEENS1_38merge_mergepath_config_static_selectorELNS0_4arch9wavefront6targetE1EEEvSK_
	.globl	_ZN7rocprim17ROCPRIM_400000_NS6detail17trampoline_kernelINS0_14default_configENS1_38merge_sort_block_merge_config_selectorIcNS0_10empty_typeEEEZZNS1_27merge_sort_block_merge_implIS3_N6thrust23THRUST_200600_302600_NS6detail15normal_iteratorINS9_10device_ptrIcEEEEPS5_m14custom_greaterIcEEE10hipError_tT0_T1_T2_jT3_P12ihipStream_tbPNSt15iterator_traitsISJ_E10value_typeEPNSP_ISK_E10value_typeEPSL_NS1_7vsmem_tEENKUlT_SJ_SK_SL_E_clISE_PcSF_SF_EESI_SY_SJ_SK_SL_EUlSY_E0_NS1_11comp_targetILNS1_3genE2ELNS1_11target_archE906ELNS1_3gpuE6ELNS1_3repE0EEENS1_38merge_mergepath_config_static_selectorELNS0_4arch9wavefront6targetE1EEEvSK_
	.p2align	8
	.type	_ZN7rocprim17ROCPRIM_400000_NS6detail17trampoline_kernelINS0_14default_configENS1_38merge_sort_block_merge_config_selectorIcNS0_10empty_typeEEEZZNS1_27merge_sort_block_merge_implIS3_N6thrust23THRUST_200600_302600_NS6detail15normal_iteratorINS9_10device_ptrIcEEEEPS5_m14custom_greaterIcEEE10hipError_tT0_T1_T2_jT3_P12ihipStream_tbPNSt15iterator_traitsISJ_E10value_typeEPNSP_ISK_E10value_typeEPSL_NS1_7vsmem_tEENKUlT_SJ_SK_SL_E_clISE_PcSF_SF_EESI_SY_SJ_SK_SL_EUlSY_E0_NS1_11comp_targetILNS1_3genE2ELNS1_11target_archE906ELNS1_3gpuE6ELNS1_3repE0EEENS1_38merge_mergepath_config_static_selectorELNS0_4arch9wavefront6targetE1EEEvSK_,@function
_ZN7rocprim17ROCPRIM_400000_NS6detail17trampoline_kernelINS0_14default_configENS1_38merge_sort_block_merge_config_selectorIcNS0_10empty_typeEEEZZNS1_27merge_sort_block_merge_implIS3_N6thrust23THRUST_200600_302600_NS6detail15normal_iteratorINS9_10device_ptrIcEEEEPS5_m14custom_greaterIcEEE10hipError_tT0_T1_T2_jT3_P12ihipStream_tbPNSt15iterator_traitsISJ_E10value_typeEPNSP_ISK_E10value_typeEPSL_NS1_7vsmem_tEENKUlT_SJ_SK_SL_E_clISE_PcSF_SF_EESI_SY_SJ_SK_SL_EUlSY_E0_NS1_11comp_targetILNS1_3genE2ELNS1_11target_archE906ELNS1_3gpuE6ELNS1_3repE0EEENS1_38merge_mergepath_config_static_selectorELNS0_4arch9wavefront6targetE1EEEvSK_: ; @_ZN7rocprim17ROCPRIM_400000_NS6detail17trampoline_kernelINS0_14default_configENS1_38merge_sort_block_merge_config_selectorIcNS0_10empty_typeEEEZZNS1_27merge_sort_block_merge_implIS3_N6thrust23THRUST_200600_302600_NS6detail15normal_iteratorINS9_10device_ptrIcEEEEPS5_m14custom_greaterIcEEE10hipError_tT0_T1_T2_jT3_P12ihipStream_tbPNSt15iterator_traitsISJ_E10value_typeEPNSP_ISK_E10value_typeEPSL_NS1_7vsmem_tEENKUlT_SJ_SK_SL_E_clISE_PcSF_SF_EESI_SY_SJ_SK_SL_EUlSY_E0_NS1_11comp_targetILNS1_3genE2ELNS1_11target_archE906ELNS1_3gpuE6ELNS1_3repE0EEENS1_38merge_mergepath_config_static_selectorELNS0_4arch9wavefront6targetE1EEEvSK_
; %bb.0:
	.section	.rodata,"a",@progbits
	.p2align	6, 0x0
	.amdhsa_kernel _ZN7rocprim17ROCPRIM_400000_NS6detail17trampoline_kernelINS0_14default_configENS1_38merge_sort_block_merge_config_selectorIcNS0_10empty_typeEEEZZNS1_27merge_sort_block_merge_implIS3_N6thrust23THRUST_200600_302600_NS6detail15normal_iteratorINS9_10device_ptrIcEEEEPS5_m14custom_greaterIcEEE10hipError_tT0_T1_T2_jT3_P12ihipStream_tbPNSt15iterator_traitsISJ_E10value_typeEPNSP_ISK_E10value_typeEPSL_NS1_7vsmem_tEENKUlT_SJ_SK_SL_E_clISE_PcSF_SF_EESI_SY_SJ_SK_SL_EUlSY_E0_NS1_11comp_targetILNS1_3genE2ELNS1_11target_archE906ELNS1_3gpuE6ELNS1_3repE0EEENS1_38merge_mergepath_config_static_selectorELNS0_4arch9wavefront6targetE1EEEvSK_
		.amdhsa_group_segment_fixed_size 0
		.amdhsa_private_segment_fixed_size 0
		.amdhsa_kernarg_size 72
		.amdhsa_user_sgpr_count 6
		.amdhsa_user_sgpr_private_segment_buffer 1
		.amdhsa_user_sgpr_dispatch_ptr 0
		.amdhsa_user_sgpr_queue_ptr 0
		.amdhsa_user_sgpr_kernarg_segment_ptr 1
		.amdhsa_user_sgpr_dispatch_id 0
		.amdhsa_user_sgpr_flat_scratch_init 0
		.amdhsa_user_sgpr_kernarg_preload_length 0
		.amdhsa_user_sgpr_kernarg_preload_offset 0
		.amdhsa_user_sgpr_private_segment_size 0
		.amdhsa_uses_dynamic_stack 0
		.amdhsa_system_sgpr_private_segment_wavefront_offset 0
		.amdhsa_system_sgpr_workgroup_id_x 1
		.amdhsa_system_sgpr_workgroup_id_y 0
		.amdhsa_system_sgpr_workgroup_id_z 0
		.amdhsa_system_sgpr_workgroup_info 0
		.amdhsa_system_vgpr_workitem_id 0
		.amdhsa_next_free_vgpr 1
		.amdhsa_next_free_sgpr 0
		.amdhsa_accum_offset 4
		.amdhsa_reserve_vcc 0
		.amdhsa_reserve_flat_scratch 0
		.amdhsa_float_round_mode_32 0
		.amdhsa_float_round_mode_16_64 0
		.amdhsa_float_denorm_mode_32 3
		.amdhsa_float_denorm_mode_16_64 3
		.amdhsa_dx10_clamp 1
		.amdhsa_ieee_mode 1
		.amdhsa_fp16_overflow 0
		.amdhsa_tg_split 0
		.amdhsa_exception_fp_ieee_invalid_op 0
		.amdhsa_exception_fp_denorm_src 0
		.amdhsa_exception_fp_ieee_div_zero 0
		.amdhsa_exception_fp_ieee_overflow 0
		.amdhsa_exception_fp_ieee_underflow 0
		.amdhsa_exception_fp_ieee_inexact 0
		.amdhsa_exception_int_div_zero 0
	.end_amdhsa_kernel
	.section	.text._ZN7rocprim17ROCPRIM_400000_NS6detail17trampoline_kernelINS0_14default_configENS1_38merge_sort_block_merge_config_selectorIcNS0_10empty_typeEEEZZNS1_27merge_sort_block_merge_implIS3_N6thrust23THRUST_200600_302600_NS6detail15normal_iteratorINS9_10device_ptrIcEEEEPS5_m14custom_greaterIcEEE10hipError_tT0_T1_T2_jT3_P12ihipStream_tbPNSt15iterator_traitsISJ_E10value_typeEPNSP_ISK_E10value_typeEPSL_NS1_7vsmem_tEENKUlT_SJ_SK_SL_E_clISE_PcSF_SF_EESI_SY_SJ_SK_SL_EUlSY_E0_NS1_11comp_targetILNS1_3genE2ELNS1_11target_archE906ELNS1_3gpuE6ELNS1_3repE0EEENS1_38merge_mergepath_config_static_selectorELNS0_4arch9wavefront6targetE1EEEvSK_,"axG",@progbits,_ZN7rocprim17ROCPRIM_400000_NS6detail17trampoline_kernelINS0_14default_configENS1_38merge_sort_block_merge_config_selectorIcNS0_10empty_typeEEEZZNS1_27merge_sort_block_merge_implIS3_N6thrust23THRUST_200600_302600_NS6detail15normal_iteratorINS9_10device_ptrIcEEEEPS5_m14custom_greaterIcEEE10hipError_tT0_T1_T2_jT3_P12ihipStream_tbPNSt15iterator_traitsISJ_E10value_typeEPNSP_ISK_E10value_typeEPSL_NS1_7vsmem_tEENKUlT_SJ_SK_SL_E_clISE_PcSF_SF_EESI_SY_SJ_SK_SL_EUlSY_E0_NS1_11comp_targetILNS1_3genE2ELNS1_11target_archE906ELNS1_3gpuE6ELNS1_3repE0EEENS1_38merge_mergepath_config_static_selectorELNS0_4arch9wavefront6targetE1EEEvSK_,comdat
.Lfunc_end2746:
	.size	_ZN7rocprim17ROCPRIM_400000_NS6detail17trampoline_kernelINS0_14default_configENS1_38merge_sort_block_merge_config_selectorIcNS0_10empty_typeEEEZZNS1_27merge_sort_block_merge_implIS3_N6thrust23THRUST_200600_302600_NS6detail15normal_iteratorINS9_10device_ptrIcEEEEPS5_m14custom_greaterIcEEE10hipError_tT0_T1_T2_jT3_P12ihipStream_tbPNSt15iterator_traitsISJ_E10value_typeEPNSP_ISK_E10value_typeEPSL_NS1_7vsmem_tEENKUlT_SJ_SK_SL_E_clISE_PcSF_SF_EESI_SY_SJ_SK_SL_EUlSY_E0_NS1_11comp_targetILNS1_3genE2ELNS1_11target_archE906ELNS1_3gpuE6ELNS1_3repE0EEENS1_38merge_mergepath_config_static_selectorELNS0_4arch9wavefront6targetE1EEEvSK_, .Lfunc_end2746-_ZN7rocprim17ROCPRIM_400000_NS6detail17trampoline_kernelINS0_14default_configENS1_38merge_sort_block_merge_config_selectorIcNS0_10empty_typeEEEZZNS1_27merge_sort_block_merge_implIS3_N6thrust23THRUST_200600_302600_NS6detail15normal_iteratorINS9_10device_ptrIcEEEEPS5_m14custom_greaterIcEEE10hipError_tT0_T1_T2_jT3_P12ihipStream_tbPNSt15iterator_traitsISJ_E10value_typeEPNSP_ISK_E10value_typeEPSL_NS1_7vsmem_tEENKUlT_SJ_SK_SL_E_clISE_PcSF_SF_EESI_SY_SJ_SK_SL_EUlSY_E0_NS1_11comp_targetILNS1_3genE2ELNS1_11target_archE906ELNS1_3gpuE6ELNS1_3repE0EEENS1_38merge_mergepath_config_static_selectorELNS0_4arch9wavefront6targetE1EEEvSK_
                                        ; -- End function
	.section	.AMDGPU.csdata,"",@progbits
; Kernel info:
; codeLenInByte = 0
; NumSgprs: 4
; NumVgprs: 0
; NumAgprs: 0
; TotalNumVgprs: 0
; ScratchSize: 0
; MemoryBound: 0
; FloatMode: 240
; IeeeMode: 1
; LDSByteSize: 0 bytes/workgroup (compile time only)
; SGPRBlocks: 0
; VGPRBlocks: 0
; NumSGPRsForWavesPerEU: 4
; NumVGPRsForWavesPerEU: 1
; AccumOffset: 4
; Occupancy: 8
; WaveLimiterHint : 0
; COMPUTE_PGM_RSRC2:SCRATCH_EN: 0
; COMPUTE_PGM_RSRC2:USER_SGPR: 6
; COMPUTE_PGM_RSRC2:TRAP_HANDLER: 0
; COMPUTE_PGM_RSRC2:TGID_X_EN: 1
; COMPUTE_PGM_RSRC2:TGID_Y_EN: 0
; COMPUTE_PGM_RSRC2:TGID_Z_EN: 0
; COMPUTE_PGM_RSRC2:TIDIG_COMP_CNT: 0
; COMPUTE_PGM_RSRC3_GFX90A:ACCUM_OFFSET: 0
; COMPUTE_PGM_RSRC3_GFX90A:TG_SPLIT: 0
	.section	.text._ZN7rocprim17ROCPRIM_400000_NS6detail17trampoline_kernelINS0_14default_configENS1_38merge_sort_block_merge_config_selectorIcNS0_10empty_typeEEEZZNS1_27merge_sort_block_merge_implIS3_N6thrust23THRUST_200600_302600_NS6detail15normal_iteratorINS9_10device_ptrIcEEEEPS5_m14custom_greaterIcEEE10hipError_tT0_T1_T2_jT3_P12ihipStream_tbPNSt15iterator_traitsISJ_E10value_typeEPNSP_ISK_E10value_typeEPSL_NS1_7vsmem_tEENKUlT_SJ_SK_SL_E_clISE_PcSF_SF_EESI_SY_SJ_SK_SL_EUlSY_E0_NS1_11comp_targetILNS1_3genE9ELNS1_11target_archE1100ELNS1_3gpuE3ELNS1_3repE0EEENS1_38merge_mergepath_config_static_selectorELNS0_4arch9wavefront6targetE1EEEvSK_,"axG",@progbits,_ZN7rocprim17ROCPRIM_400000_NS6detail17trampoline_kernelINS0_14default_configENS1_38merge_sort_block_merge_config_selectorIcNS0_10empty_typeEEEZZNS1_27merge_sort_block_merge_implIS3_N6thrust23THRUST_200600_302600_NS6detail15normal_iteratorINS9_10device_ptrIcEEEEPS5_m14custom_greaterIcEEE10hipError_tT0_T1_T2_jT3_P12ihipStream_tbPNSt15iterator_traitsISJ_E10value_typeEPNSP_ISK_E10value_typeEPSL_NS1_7vsmem_tEENKUlT_SJ_SK_SL_E_clISE_PcSF_SF_EESI_SY_SJ_SK_SL_EUlSY_E0_NS1_11comp_targetILNS1_3genE9ELNS1_11target_archE1100ELNS1_3gpuE3ELNS1_3repE0EEENS1_38merge_mergepath_config_static_selectorELNS0_4arch9wavefront6targetE1EEEvSK_,comdat
	.protected	_ZN7rocprim17ROCPRIM_400000_NS6detail17trampoline_kernelINS0_14default_configENS1_38merge_sort_block_merge_config_selectorIcNS0_10empty_typeEEEZZNS1_27merge_sort_block_merge_implIS3_N6thrust23THRUST_200600_302600_NS6detail15normal_iteratorINS9_10device_ptrIcEEEEPS5_m14custom_greaterIcEEE10hipError_tT0_T1_T2_jT3_P12ihipStream_tbPNSt15iterator_traitsISJ_E10value_typeEPNSP_ISK_E10value_typeEPSL_NS1_7vsmem_tEENKUlT_SJ_SK_SL_E_clISE_PcSF_SF_EESI_SY_SJ_SK_SL_EUlSY_E0_NS1_11comp_targetILNS1_3genE9ELNS1_11target_archE1100ELNS1_3gpuE3ELNS1_3repE0EEENS1_38merge_mergepath_config_static_selectorELNS0_4arch9wavefront6targetE1EEEvSK_ ; -- Begin function _ZN7rocprim17ROCPRIM_400000_NS6detail17trampoline_kernelINS0_14default_configENS1_38merge_sort_block_merge_config_selectorIcNS0_10empty_typeEEEZZNS1_27merge_sort_block_merge_implIS3_N6thrust23THRUST_200600_302600_NS6detail15normal_iteratorINS9_10device_ptrIcEEEEPS5_m14custom_greaterIcEEE10hipError_tT0_T1_T2_jT3_P12ihipStream_tbPNSt15iterator_traitsISJ_E10value_typeEPNSP_ISK_E10value_typeEPSL_NS1_7vsmem_tEENKUlT_SJ_SK_SL_E_clISE_PcSF_SF_EESI_SY_SJ_SK_SL_EUlSY_E0_NS1_11comp_targetILNS1_3genE9ELNS1_11target_archE1100ELNS1_3gpuE3ELNS1_3repE0EEENS1_38merge_mergepath_config_static_selectorELNS0_4arch9wavefront6targetE1EEEvSK_
	.globl	_ZN7rocprim17ROCPRIM_400000_NS6detail17trampoline_kernelINS0_14default_configENS1_38merge_sort_block_merge_config_selectorIcNS0_10empty_typeEEEZZNS1_27merge_sort_block_merge_implIS3_N6thrust23THRUST_200600_302600_NS6detail15normal_iteratorINS9_10device_ptrIcEEEEPS5_m14custom_greaterIcEEE10hipError_tT0_T1_T2_jT3_P12ihipStream_tbPNSt15iterator_traitsISJ_E10value_typeEPNSP_ISK_E10value_typeEPSL_NS1_7vsmem_tEENKUlT_SJ_SK_SL_E_clISE_PcSF_SF_EESI_SY_SJ_SK_SL_EUlSY_E0_NS1_11comp_targetILNS1_3genE9ELNS1_11target_archE1100ELNS1_3gpuE3ELNS1_3repE0EEENS1_38merge_mergepath_config_static_selectorELNS0_4arch9wavefront6targetE1EEEvSK_
	.p2align	8
	.type	_ZN7rocprim17ROCPRIM_400000_NS6detail17trampoline_kernelINS0_14default_configENS1_38merge_sort_block_merge_config_selectorIcNS0_10empty_typeEEEZZNS1_27merge_sort_block_merge_implIS3_N6thrust23THRUST_200600_302600_NS6detail15normal_iteratorINS9_10device_ptrIcEEEEPS5_m14custom_greaterIcEEE10hipError_tT0_T1_T2_jT3_P12ihipStream_tbPNSt15iterator_traitsISJ_E10value_typeEPNSP_ISK_E10value_typeEPSL_NS1_7vsmem_tEENKUlT_SJ_SK_SL_E_clISE_PcSF_SF_EESI_SY_SJ_SK_SL_EUlSY_E0_NS1_11comp_targetILNS1_3genE9ELNS1_11target_archE1100ELNS1_3gpuE3ELNS1_3repE0EEENS1_38merge_mergepath_config_static_selectorELNS0_4arch9wavefront6targetE1EEEvSK_,@function
_ZN7rocprim17ROCPRIM_400000_NS6detail17trampoline_kernelINS0_14default_configENS1_38merge_sort_block_merge_config_selectorIcNS0_10empty_typeEEEZZNS1_27merge_sort_block_merge_implIS3_N6thrust23THRUST_200600_302600_NS6detail15normal_iteratorINS9_10device_ptrIcEEEEPS5_m14custom_greaterIcEEE10hipError_tT0_T1_T2_jT3_P12ihipStream_tbPNSt15iterator_traitsISJ_E10value_typeEPNSP_ISK_E10value_typeEPSL_NS1_7vsmem_tEENKUlT_SJ_SK_SL_E_clISE_PcSF_SF_EESI_SY_SJ_SK_SL_EUlSY_E0_NS1_11comp_targetILNS1_3genE9ELNS1_11target_archE1100ELNS1_3gpuE3ELNS1_3repE0EEENS1_38merge_mergepath_config_static_selectorELNS0_4arch9wavefront6targetE1EEEvSK_: ; @_ZN7rocprim17ROCPRIM_400000_NS6detail17trampoline_kernelINS0_14default_configENS1_38merge_sort_block_merge_config_selectorIcNS0_10empty_typeEEEZZNS1_27merge_sort_block_merge_implIS3_N6thrust23THRUST_200600_302600_NS6detail15normal_iteratorINS9_10device_ptrIcEEEEPS5_m14custom_greaterIcEEE10hipError_tT0_T1_T2_jT3_P12ihipStream_tbPNSt15iterator_traitsISJ_E10value_typeEPNSP_ISK_E10value_typeEPSL_NS1_7vsmem_tEENKUlT_SJ_SK_SL_E_clISE_PcSF_SF_EESI_SY_SJ_SK_SL_EUlSY_E0_NS1_11comp_targetILNS1_3genE9ELNS1_11target_archE1100ELNS1_3gpuE3ELNS1_3repE0EEENS1_38merge_mergepath_config_static_selectorELNS0_4arch9wavefront6targetE1EEEvSK_
; %bb.0:
	.section	.rodata,"a",@progbits
	.p2align	6, 0x0
	.amdhsa_kernel _ZN7rocprim17ROCPRIM_400000_NS6detail17trampoline_kernelINS0_14default_configENS1_38merge_sort_block_merge_config_selectorIcNS0_10empty_typeEEEZZNS1_27merge_sort_block_merge_implIS3_N6thrust23THRUST_200600_302600_NS6detail15normal_iteratorINS9_10device_ptrIcEEEEPS5_m14custom_greaterIcEEE10hipError_tT0_T1_T2_jT3_P12ihipStream_tbPNSt15iterator_traitsISJ_E10value_typeEPNSP_ISK_E10value_typeEPSL_NS1_7vsmem_tEENKUlT_SJ_SK_SL_E_clISE_PcSF_SF_EESI_SY_SJ_SK_SL_EUlSY_E0_NS1_11comp_targetILNS1_3genE9ELNS1_11target_archE1100ELNS1_3gpuE3ELNS1_3repE0EEENS1_38merge_mergepath_config_static_selectorELNS0_4arch9wavefront6targetE1EEEvSK_
		.amdhsa_group_segment_fixed_size 0
		.amdhsa_private_segment_fixed_size 0
		.amdhsa_kernarg_size 72
		.amdhsa_user_sgpr_count 6
		.amdhsa_user_sgpr_private_segment_buffer 1
		.amdhsa_user_sgpr_dispatch_ptr 0
		.amdhsa_user_sgpr_queue_ptr 0
		.amdhsa_user_sgpr_kernarg_segment_ptr 1
		.amdhsa_user_sgpr_dispatch_id 0
		.amdhsa_user_sgpr_flat_scratch_init 0
		.amdhsa_user_sgpr_kernarg_preload_length 0
		.amdhsa_user_sgpr_kernarg_preload_offset 0
		.amdhsa_user_sgpr_private_segment_size 0
		.amdhsa_uses_dynamic_stack 0
		.amdhsa_system_sgpr_private_segment_wavefront_offset 0
		.amdhsa_system_sgpr_workgroup_id_x 1
		.amdhsa_system_sgpr_workgroup_id_y 0
		.amdhsa_system_sgpr_workgroup_id_z 0
		.amdhsa_system_sgpr_workgroup_info 0
		.amdhsa_system_vgpr_workitem_id 0
		.amdhsa_next_free_vgpr 1
		.amdhsa_next_free_sgpr 0
		.amdhsa_accum_offset 4
		.amdhsa_reserve_vcc 0
		.amdhsa_reserve_flat_scratch 0
		.amdhsa_float_round_mode_32 0
		.amdhsa_float_round_mode_16_64 0
		.amdhsa_float_denorm_mode_32 3
		.amdhsa_float_denorm_mode_16_64 3
		.amdhsa_dx10_clamp 1
		.amdhsa_ieee_mode 1
		.amdhsa_fp16_overflow 0
		.amdhsa_tg_split 0
		.amdhsa_exception_fp_ieee_invalid_op 0
		.amdhsa_exception_fp_denorm_src 0
		.amdhsa_exception_fp_ieee_div_zero 0
		.amdhsa_exception_fp_ieee_overflow 0
		.amdhsa_exception_fp_ieee_underflow 0
		.amdhsa_exception_fp_ieee_inexact 0
		.amdhsa_exception_int_div_zero 0
	.end_amdhsa_kernel
	.section	.text._ZN7rocprim17ROCPRIM_400000_NS6detail17trampoline_kernelINS0_14default_configENS1_38merge_sort_block_merge_config_selectorIcNS0_10empty_typeEEEZZNS1_27merge_sort_block_merge_implIS3_N6thrust23THRUST_200600_302600_NS6detail15normal_iteratorINS9_10device_ptrIcEEEEPS5_m14custom_greaterIcEEE10hipError_tT0_T1_T2_jT3_P12ihipStream_tbPNSt15iterator_traitsISJ_E10value_typeEPNSP_ISK_E10value_typeEPSL_NS1_7vsmem_tEENKUlT_SJ_SK_SL_E_clISE_PcSF_SF_EESI_SY_SJ_SK_SL_EUlSY_E0_NS1_11comp_targetILNS1_3genE9ELNS1_11target_archE1100ELNS1_3gpuE3ELNS1_3repE0EEENS1_38merge_mergepath_config_static_selectorELNS0_4arch9wavefront6targetE1EEEvSK_,"axG",@progbits,_ZN7rocprim17ROCPRIM_400000_NS6detail17trampoline_kernelINS0_14default_configENS1_38merge_sort_block_merge_config_selectorIcNS0_10empty_typeEEEZZNS1_27merge_sort_block_merge_implIS3_N6thrust23THRUST_200600_302600_NS6detail15normal_iteratorINS9_10device_ptrIcEEEEPS5_m14custom_greaterIcEEE10hipError_tT0_T1_T2_jT3_P12ihipStream_tbPNSt15iterator_traitsISJ_E10value_typeEPNSP_ISK_E10value_typeEPSL_NS1_7vsmem_tEENKUlT_SJ_SK_SL_E_clISE_PcSF_SF_EESI_SY_SJ_SK_SL_EUlSY_E0_NS1_11comp_targetILNS1_3genE9ELNS1_11target_archE1100ELNS1_3gpuE3ELNS1_3repE0EEENS1_38merge_mergepath_config_static_selectorELNS0_4arch9wavefront6targetE1EEEvSK_,comdat
.Lfunc_end2747:
	.size	_ZN7rocprim17ROCPRIM_400000_NS6detail17trampoline_kernelINS0_14default_configENS1_38merge_sort_block_merge_config_selectorIcNS0_10empty_typeEEEZZNS1_27merge_sort_block_merge_implIS3_N6thrust23THRUST_200600_302600_NS6detail15normal_iteratorINS9_10device_ptrIcEEEEPS5_m14custom_greaterIcEEE10hipError_tT0_T1_T2_jT3_P12ihipStream_tbPNSt15iterator_traitsISJ_E10value_typeEPNSP_ISK_E10value_typeEPSL_NS1_7vsmem_tEENKUlT_SJ_SK_SL_E_clISE_PcSF_SF_EESI_SY_SJ_SK_SL_EUlSY_E0_NS1_11comp_targetILNS1_3genE9ELNS1_11target_archE1100ELNS1_3gpuE3ELNS1_3repE0EEENS1_38merge_mergepath_config_static_selectorELNS0_4arch9wavefront6targetE1EEEvSK_, .Lfunc_end2747-_ZN7rocprim17ROCPRIM_400000_NS6detail17trampoline_kernelINS0_14default_configENS1_38merge_sort_block_merge_config_selectorIcNS0_10empty_typeEEEZZNS1_27merge_sort_block_merge_implIS3_N6thrust23THRUST_200600_302600_NS6detail15normal_iteratorINS9_10device_ptrIcEEEEPS5_m14custom_greaterIcEEE10hipError_tT0_T1_T2_jT3_P12ihipStream_tbPNSt15iterator_traitsISJ_E10value_typeEPNSP_ISK_E10value_typeEPSL_NS1_7vsmem_tEENKUlT_SJ_SK_SL_E_clISE_PcSF_SF_EESI_SY_SJ_SK_SL_EUlSY_E0_NS1_11comp_targetILNS1_3genE9ELNS1_11target_archE1100ELNS1_3gpuE3ELNS1_3repE0EEENS1_38merge_mergepath_config_static_selectorELNS0_4arch9wavefront6targetE1EEEvSK_
                                        ; -- End function
	.section	.AMDGPU.csdata,"",@progbits
; Kernel info:
; codeLenInByte = 0
; NumSgprs: 4
; NumVgprs: 0
; NumAgprs: 0
; TotalNumVgprs: 0
; ScratchSize: 0
; MemoryBound: 0
; FloatMode: 240
; IeeeMode: 1
; LDSByteSize: 0 bytes/workgroup (compile time only)
; SGPRBlocks: 0
; VGPRBlocks: 0
; NumSGPRsForWavesPerEU: 4
; NumVGPRsForWavesPerEU: 1
; AccumOffset: 4
; Occupancy: 8
; WaveLimiterHint : 0
; COMPUTE_PGM_RSRC2:SCRATCH_EN: 0
; COMPUTE_PGM_RSRC2:USER_SGPR: 6
; COMPUTE_PGM_RSRC2:TRAP_HANDLER: 0
; COMPUTE_PGM_RSRC2:TGID_X_EN: 1
; COMPUTE_PGM_RSRC2:TGID_Y_EN: 0
; COMPUTE_PGM_RSRC2:TGID_Z_EN: 0
; COMPUTE_PGM_RSRC2:TIDIG_COMP_CNT: 0
; COMPUTE_PGM_RSRC3_GFX90A:ACCUM_OFFSET: 0
; COMPUTE_PGM_RSRC3_GFX90A:TG_SPLIT: 0
	.section	.text._ZN7rocprim17ROCPRIM_400000_NS6detail17trampoline_kernelINS0_14default_configENS1_38merge_sort_block_merge_config_selectorIcNS0_10empty_typeEEEZZNS1_27merge_sort_block_merge_implIS3_N6thrust23THRUST_200600_302600_NS6detail15normal_iteratorINS9_10device_ptrIcEEEEPS5_m14custom_greaterIcEEE10hipError_tT0_T1_T2_jT3_P12ihipStream_tbPNSt15iterator_traitsISJ_E10value_typeEPNSP_ISK_E10value_typeEPSL_NS1_7vsmem_tEENKUlT_SJ_SK_SL_E_clISE_PcSF_SF_EESI_SY_SJ_SK_SL_EUlSY_E0_NS1_11comp_targetILNS1_3genE8ELNS1_11target_archE1030ELNS1_3gpuE2ELNS1_3repE0EEENS1_38merge_mergepath_config_static_selectorELNS0_4arch9wavefront6targetE1EEEvSK_,"axG",@progbits,_ZN7rocprim17ROCPRIM_400000_NS6detail17trampoline_kernelINS0_14default_configENS1_38merge_sort_block_merge_config_selectorIcNS0_10empty_typeEEEZZNS1_27merge_sort_block_merge_implIS3_N6thrust23THRUST_200600_302600_NS6detail15normal_iteratorINS9_10device_ptrIcEEEEPS5_m14custom_greaterIcEEE10hipError_tT0_T1_T2_jT3_P12ihipStream_tbPNSt15iterator_traitsISJ_E10value_typeEPNSP_ISK_E10value_typeEPSL_NS1_7vsmem_tEENKUlT_SJ_SK_SL_E_clISE_PcSF_SF_EESI_SY_SJ_SK_SL_EUlSY_E0_NS1_11comp_targetILNS1_3genE8ELNS1_11target_archE1030ELNS1_3gpuE2ELNS1_3repE0EEENS1_38merge_mergepath_config_static_selectorELNS0_4arch9wavefront6targetE1EEEvSK_,comdat
	.protected	_ZN7rocprim17ROCPRIM_400000_NS6detail17trampoline_kernelINS0_14default_configENS1_38merge_sort_block_merge_config_selectorIcNS0_10empty_typeEEEZZNS1_27merge_sort_block_merge_implIS3_N6thrust23THRUST_200600_302600_NS6detail15normal_iteratorINS9_10device_ptrIcEEEEPS5_m14custom_greaterIcEEE10hipError_tT0_T1_T2_jT3_P12ihipStream_tbPNSt15iterator_traitsISJ_E10value_typeEPNSP_ISK_E10value_typeEPSL_NS1_7vsmem_tEENKUlT_SJ_SK_SL_E_clISE_PcSF_SF_EESI_SY_SJ_SK_SL_EUlSY_E0_NS1_11comp_targetILNS1_3genE8ELNS1_11target_archE1030ELNS1_3gpuE2ELNS1_3repE0EEENS1_38merge_mergepath_config_static_selectorELNS0_4arch9wavefront6targetE1EEEvSK_ ; -- Begin function _ZN7rocprim17ROCPRIM_400000_NS6detail17trampoline_kernelINS0_14default_configENS1_38merge_sort_block_merge_config_selectorIcNS0_10empty_typeEEEZZNS1_27merge_sort_block_merge_implIS3_N6thrust23THRUST_200600_302600_NS6detail15normal_iteratorINS9_10device_ptrIcEEEEPS5_m14custom_greaterIcEEE10hipError_tT0_T1_T2_jT3_P12ihipStream_tbPNSt15iterator_traitsISJ_E10value_typeEPNSP_ISK_E10value_typeEPSL_NS1_7vsmem_tEENKUlT_SJ_SK_SL_E_clISE_PcSF_SF_EESI_SY_SJ_SK_SL_EUlSY_E0_NS1_11comp_targetILNS1_3genE8ELNS1_11target_archE1030ELNS1_3gpuE2ELNS1_3repE0EEENS1_38merge_mergepath_config_static_selectorELNS0_4arch9wavefront6targetE1EEEvSK_
	.globl	_ZN7rocprim17ROCPRIM_400000_NS6detail17trampoline_kernelINS0_14default_configENS1_38merge_sort_block_merge_config_selectorIcNS0_10empty_typeEEEZZNS1_27merge_sort_block_merge_implIS3_N6thrust23THRUST_200600_302600_NS6detail15normal_iteratorINS9_10device_ptrIcEEEEPS5_m14custom_greaterIcEEE10hipError_tT0_T1_T2_jT3_P12ihipStream_tbPNSt15iterator_traitsISJ_E10value_typeEPNSP_ISK_E10value_typeEPSL_NS1_7vsmem_tEENKUlT_SJ_SK_SL_E_clISE_PcSF_SF_EESI_SY_SJ_SK_SL_EUlSY_E0_NS1_11comp_targetILNS1_3genE8ELNS1_11target_archE1030ELNS1_3gpuE2ELNS1_3repE0EEENS1_38merge_mergepath_config_static_selectorELNS0_4arch9wavefront6targetE1EEEvSK_
	.p2align	8
	.type	_ZN7rocprim17ROCPRIM_400000_NS6detail17trampoline_kernelINS0_14default_configENS1_38merge_sort_block_merge_config_selectorIcNS0_10empty_typeEEEZZNS1_27merge_sort_block_merge_implIS3_N6thrust23THRUST_200600_302600_NS6detail15normal_iteratorINS9_10device_ptrIcEEEEPS5_m14custom_greaterIcEEE10hipError_tT0_T1_T2_jT3_P12ihipStream_tbPNSt15iterator_traitsISJ_E10value_typeEPNSP_ISK_E10value_typeEPSL_NS1_7vsmem_tEENKUlT_SJ_SK_SL_E_clISE_PcSF_SF_EESI_SY_SJ_SK_SL_EUlSY_E0_NS1_11comp_targetILNS1_3genE8ELNS1_11target_archE1030ELNS1_3gpuE2ELNS1_3repE0EEENS1_38merge_mergepath_config_static_selectorELNS0_4arch9wavefront6targetE1EEEvSK_,@function
_ZN7rocprim17ROCPRIM_400000_NS6detail17trampoline_kernelINS0_14default_configENS1_38merge_sort_block_merge_config_selectorIcNS0_10empty_typeEEEZZNS1_27merge_sort_block_merge_implIS3_N6thrust23THRUST_200600_302600_NS6detail15normal_iteratorINS9_10device_ptrIcEEEEPS5_m14custom_greaterIcEEE10hipError_tT0_T1_T2_jT3_P12ihipStream_tbPNSt15iterator_traitsISJ_E10value_typeEPNSP_ISK_E10value_typeEPSL_NS1_7vsmem_tEENKUlT_SJ_SK_SL_E_clISE_PcSF_SF_EESI_SY_SJ_SK_SL_EUlSY_E0_NS1_11comp_targetILNS1_3genE8ELNS1_11target_archE1030ELNS1_3gpuE2ELNS1_3repE0EEENS1_38merge_mergepath_config_static_selectorELNS0_4arch9wavefront6targetE1EEEvSK_: ; @_ZN7rocprim17ROCPRIM_400000_NS6detail17trampoline_kernelINS0_14default_configENS1_38merge_sort_block_merge_config_selectorIcNS0_10empty_typeEEEZZNS1_27merge_sort_block_merge_implIS3_N6thrust23THRUST_200600_302600_NS6detail15normal_iteratorINS9_10device_ptrIcEEEEPS5_m14custom_greaterIcEEE10hipError_tT0_T1_T2_jT3_P12ihipStream_tbPNSt15iterator_traitsISJ_E10value_typeEPNSP_ISK_E10value_typeEPSL_NS1_7vsmem_tEENKUlT_SJ_SK_SL_E_clISE_PcSF_SF_EESI_SY_SJ_SK_SL_EUlSY_E0_NS1_11comp_targetILNS1_3genE8ELNS1_11target_archE1030ELNS1_3gpuE2ELNS1_3repE0EEENS1_38merge_mergepath_config_static_selectorELNS0_4arch9wavefront6targetE1EEEvSK_
; %bb.0:
	.section	.rodata,"a",@progbits
	.p2align	6, 0x0
	.amdhsa_kernel _ZN7rocprim17ROCPRIM_400000_NS6detail17trampoline_kernelINS0_14default_configENS1_38merge_sort_block_merge_config_selectorIcNS0_10empty_typeEEEZZNS1_27merge_sort_block_merge_implIS3_N6thrust23THRUST_200600_302600_NS6detail15normal_iteratorINS9_10device_ptrIcEEEEPS5_m14custom_greaterIcEEE10hipError_tT0_T1_T2_jT3_P12ihipStream_tbPNSt15iterator_traitsISJ_E10value_typeEPNSP_ISK_E10value_typeEPSL_NS1_7vsmem_tEENKUlT_SJ_SK_SL_E_clISE_PcSF_SF_EESI_SY_SJ_SK_SL_EUlSY_E0_NS1_11comp_targetILNS1_3genE8ELNS1_11target_archE1030ELNS1_3gpuE2ELNS1_3repE0EEENS1_38merge_mergepath_config_static_selectorELNS0_4arch9wavefront6targetE1EEEvSK_
		.amdhsa_group_segment_fixed_size 0
		.amdhsa_private_segment_fixed_size 0
		.amdhsa_kernarg_size 72
		.amdhsa_user_sgpr_count 6
		.amdhsa_user_sgpr_private_segment_buffer 1
		.amdhsa_user_sgpr_dispatch_ptr 0
		.amdhsa_user_sgpr_queue_ptr 0
		.amdhsa_user_sgpr_kernarg_segment_ptr 1
		.amdhsa_user_sgpr_dispatch_id 0
		.amdhsa_user_sgpr_flat_scratch_init 0
		.amdhsa_user_sgpr_kernarg_preload_length 0
		.amdhsa_user_sgpr_kernarg_preload_offset 0
		.amdhsa_user_sgpr_private_segment_size 0
		.amdhsa_uses_dynamic_stack 0
		.amdhsa_system_sgpr_private_segment_wavefront_offset 0
		.amdhsa_system_sgpr_workgroup_id_x 1
		.amdhsa_system_sgpr_workgroup_id_y 0
		.amdhsa_system_sgpr_workgroup_id_z 0
		.amdhsa_system_sgpr_workgroup_info 0
		.amdhsa_system_vgpr_workitem_id 0
		.amdhsa_next_free_vgpr 1
		.amdhsa_next_free_sgpr 0
		.amdhsa_accum_offset 4
		.amdhsa_reserve_vcc 0
		.amdhsa_reserve_flat_scratch 0
		.amdhsa_float_round_mode_32 0
		.amdhsa_float_round_mode_16_64 0
		.amdhsa_float_denorm_mode_32 3
		.amdhsa_float_denorm_mode_16_64 3
		.amdhsa_dx10_clamp 1
		.amdhsa_ieee_mode 1
		.amdhsa_fp16_overflow 0
		.amdhsa_tg_split 0
		.amdhsa_exception_fp_ieee_invalid_op 0
		.amdhsa_exception_fp_denorm_src 0
		.amdhsa_exception_fp_ieee_div_zero 0
		.amdhsa_exception_fp_ieee_overflow 0
		.amdhsa_exception_fp_ieee_underflow 0
		.amdhsa_exception_fp_ieee_inexact 0
		.amdhsa_exception_int_div_zero 0
	.end_amdhsa_kernel
	.section	.text._ZN7rocprim17ROCPRIM_400000_NS6detail17trampoline_kernelINS0_14default_configENS1_38merge_sort_block_merge_config_selectorIcNS0_10empty_typeEEEZZNS1_27merge_sort_block_merge_implIS3_N6thrust23THRUST_200600_302600_NS6detail15normal_iteratorINS9_10device_ptrIcEEEEPS5_m14custom_greaterIcEEE10hipError_tT0_T1_T2_jT3_P12ihipStream_tbPNSt15iterator_traitsISJ_E10value_typeEPNSP_ISK_E10value_typeEPSL_NS1_7vsmem_tEENKUlT_SJ_SK_SL_E_clISE_PcSF_SF_EESI_SY_SJ_SK_SL_EUlSY_E0_NS1_11comp_targetILNS1_3genE8ELNS1_11target_archE1030ELNS1_3gpuE2ELNS1_3repE0EEENS1_38merge_mergepath_config_static_selectorELNS0_4arch9wavefront6targetE1EEEvSK_,"axG",@progbits,_ZN7rocprim17ROCPRIM_400000_NS6detail17trampoline_kernelINS0_14default_configENS1_38merge_sort_block_merge_config_selectorIcNS0_10empty_typeEEEZZNS1_27merge_sort_block_merge_implIS3_N6thrust23THRUST_200600_302600_NS6detail15normal_iteratorINS9_10device_ptrIcEEEEPS5_m14custom_greaterIcEEE10hipError_tT0_T1_T2_jT3_P12ihipStream_tbPNSt15iterator_traitsISJ_E10value_typeEPNSP_ISK_E10value_typeEPSL_NS1_7vsmem_tEENKUlT_SJ_SK_SL_E_clISE_PcSF_SF_EESI_SY_SJ_SK_SL_EUlSY_E0_NS1_11comp_targetILNS1_3genE8ELNS1_11target_archE1030ELNS1_3gpuE2ELNS1_3repE0EEENS1_38merge_mergepath_config_static_selectorELNS0_4arch9wavefront6targetE1EEEvSK_,comdat
.Lfunc_end2748:
	.size	_ZN7rocprim17ROCPRIM_400000_NS6detail17trampoline_kernelINS0_14default_configENS1_38merge_sort_block_merge_config_selectorIcNS0_10empty_typeEEEZZNS1_27merge_sort_block_merge_implIS3_N6thrust23THRUST_200600_302600_NS6detail15normal_iteratorINS9_10device_ptrIcEEEEPS5_m14custom_greaterIcEEE10hipError_tT0_T1_T2_jT3_P12ihipStream_tbPNSt15iterator_traitsISJ_E10value_typeEPNSP_ISK_E10value_typeEPSL_NS1_7vsmem_tEENKUlT_SJ_SK_SL_E_clISE_PcSF_SF_EESI_SY_SJ_SK_SL_EUlSY_E0_NS1_11comp_targetILNS1_3genE8ELNS1_11target_archE1030ELNS1_3gpuE2ELNS1_3repE0EEENS1_38merge_mergepath_config_static_selectorELNS0_4arch9wavefront6targetE1EEEvSK_, .Lfunc_end2748-_ZN7rocprim17ROCPRIM_400000_NS6detail17trampoline_kernelINS0_14default_configENS1_38merge_sort_block_merge_config_selectorIcNS0_10empty_typeEEEZZNS1_27merge_sort_block_merge_implIS3_N6thrust23THRUST_200600_302600_NS6detail15normal_iteratorINS9_10device_ptrIcEEEEPS5_m14custom_greaterIcEEE10hipError_tT0_T1_T2_jT3_P12ihipStream_tbPNSt15iterator_traitsISJ_E10value_typeEPNSP_ISK_E10value_typeEPSL_NS1_7vsmem_tEENKUlT_SJ_SK_SL_E_clISE_PcSF_SF_EESI_SY_SJ_SK_SL_EUlSY_E0_NS1_11comp_targetILNS1_3genE8ELNS1_11target_archE1030ELNS1_3gpuE2ELNS1_3repE0EEENS1_38merge_mergepath_config_static_selectorELNS0_4arch9wavefront6targetE1EEEvSK_
                                        ; -- End function
	.section	.AMDGPU.csdata,"",@progbits
; Kernel info:
; codeLenInByte = 0
; NumSgprs: 4
; NumVgprs: 0
; NumAgprs: 0
; TotalNumVgprs: 0
; ScratchSize: 0
; MemoryBound: 0
; FloatMode: 240
; IeeeMode: 1
; LDSByteSize: 0 bytes/workgroup (compile time only)
; SGPRBlocks: 0
; VGPRBlocks: 0
; NumSGPRsForWavesPerEU: 4
; NumVGPRsForWavesPerEU: 1
; AccumOffset: 4
; Occupancy: 8
; WaveLimiterHint : 0
; COMPUTE_PGM_RSRC2:SCRATCH_EN: 0
; COMPUTE_PGM_RSRC2:USER_SGPR: 6
; COMPUTE_PGM_RSRC2:TRAP_HANDLER: 0
; COMPUTE_PGM_RSRC2:TGID_X_EN: 1
; COMPUTE_PGM_RSRC2:TGID_Y_EN: 0
; COMPUTE_PGM_RSRC2:TGID_Z_EN: 0
; COMPUTE_PGM_RSRC2:TIDIG_COMP_CNT: 0
; COMPUTE_PGM_RSRC3_GFX90A:ACCUM_OFFSET: 0
; COMPUTE_PGM_RSRC3_GFX90A:TG_SPLIT: 0
	.section	.text._ZN7rocprim17ROCPRIM_400000_NS6detail17trampoline_kernelINS0_14default_configENS1_38merge_sort_block_merge_config_selectorIcNS0_10empty_typeEEEZZNS1_27merge_sort_block_merge_implIS3_N6thrust23THRUST_200600_302600_NS6detail15normal_iteratorINS9_10device_ptrIcEEEEPS5_m14custom_greaterIcEEE10hipError_tT0_T1_T2_jT3_P12ihipStream_tbPNSt15iterator_traitsISJ_E10value_typeEPNSP_ISK_E10value_typeEPSL_NS1_7vsmem_tEENKUlT_SJ_SK_SL_E_clISE_PcSF_SF_EESI_SY_SJ_SK_SL_EUlSY_E1_NS1_11comp_targetILNS1_3genE0ELNS1_11target_archE4294967295ELNS1_3gpuE0ELNS1_3repE0EEENS1_36merge_oddeven_config_static_selectorELNS0_4arch9wavefront6targetE1EEEvSK_,"axG",@progbits,_ZN7rocprim17ROCPRIM_400000_NS6detail17trampoline_kernelINS0_14default_configENS1_38merge_sort_block_merge_config_selectorIcNS0_10empty_typeEEEZZNS1_27merge_sort_block_merge_implIS3_N6thrust23THRUST_200600_302600_NS6detail15normal_iteratorINS9_10device_ptrIcEEEEPS5_m14custom_greaterIcEEE10hipError_tT0_T1_T2_jT3_P12ihipStream_tbPNSt15iterator_traitsISJ_E10value_typeEPNSP_ISK_E10value_typeEPSL_NS1_7vsmem_tEENKUlT_SJ_SK_SL_E_clISE_PcSF_SF_EESI_SY_SJ_SK_SL_EUlSY_E1_NS1_11comp_targetILNS1_3genE0ELNS1_11target_archE4294967295ELNS1_3gpuE0ELNS1_3repE0EEENS1_36merge_oddeven_config_static_selectorELNS0_4arch9wavefront6targetE1EEEvSK_,comdat
	.protected	_ZN7rocprim17ROCPRIM_400000_NS6detail17trampoline_kernelINS0_14default_configENS1_38merge_sort_block_merge_config_selectorIcNS0_10empty_typeEEEZZNS1_27merge_sort_block_merge_implIS3_N6thrust23THRUST_200600_302600_NS6detail15normal_iteratorINS9_10device_ptrIcEEEEPS5_m14custom_greaterIcEEE10hipError_tT0_T1_T2_jT3_P12ihipStream_tbPNSt15iterator_traitsISJ_E10value_typeEPNSP_ISK_E10value_typeEPSL_NS1_7vsmem_tEENKUlT_SJ_SK_SL_E_clISE_PcSF_SF_EESI_SY_SJ_SK_SL_EUlSY_E1_NS1_11comp_targetILNS1_3genE0ELNS1_11target_archE4294967295ELNS1_3gpuE0ELNS1_3repE0EEENS1_36merge_oddeven_config_static_selectorELNS0_4arch9wavefront6targetE1EEEvSK_ ; -- Begin function _ZN7rocprim17ROCPRIM_400000_NS6detail17trampoline_kernelINS0_14default_configENS1_38merge_sort_block_merge_config_selectorIcNS0_10empty_typeEEEZZNS1_27merge_sort_block_merge_implIS3_N6thrust23THRUST_200600_302600_NS6detail15normal_iteratorINS9_10device_ptrIcEEEEPS5_m14custom_greaterIcEEE10hipError_tT0_T1_T2_jT3_P12ihipStream_tbPNSt15iterator_traitsISJ_E10value_typeEPNSP_ISK_E10value_typeEPSL_NS1_7vsmem_tEENKUlT_SJ_SK_SL_E_clISE_PcSF_SF_EESI_SY_SJ_SK_SL_EUlSY_E1_NS1_11comp_targetILNS1_3genE0ELNS1_11target_archE4294967295ELNS1_3gpuE0ELNS1_3repE0EEENS1_36merge_oddeven_config_static_selectorELNS0_4arch9wavefront6targetE1EEEvSK_
	.globl	_ZN7rocprim17ROCPRIM_400000_NS6detail17trampoline_kernelINS0_14default_configENS1_38merge_sort_block_merge_config_selectorIcNS0_10empty_typeEEEZZNS1_27merge_sort_block_merge_implIS3_N6thrust23THRUST_200600_302600_NS6detail15normal_iteratorINS9_10device_ptrIcEEEEPS5_m14custom_greaterIcEEE10hipError_tT0_T1_T2_jT3_P12ihipStream_tbPNSt15iterator_traitsISJ_E10value_typeEPNSP_ISK_E10value_typeEPSL_NS1_7vsmem_tEENKUlT_SJ_SK_SL_E_clISE_PcSF_SF_EESI_SY_SJ_SK_SL_EUlSY_E1_NS1_11comp_targetILNS1_3genE0ELNS1_11target_archE4294967295ELNS1_3gpuE0ELNS1_3repE0EEENS1_36merge_oddeven_config_static_selectorELNS0_4arch9wavefront6targetE1EEEvSK_
	.p2align	8
	.type	_ZN7rocprim17ROCPRIM_400000_NS6detail17trampoline_kernelINS0_14default_configENS1_38merge_sort_block_merge_config_selectorIcNS0_10empty_typeEEEZZNS1_27merge_sort_block_merge_implIS3_N6thrust23THRUST_200600_302600_NS6detail15normal_iteratorINS9_10device_ptrIcEEEEPS5_m14custom_greaterIcEEE10hipError_tT0_T1_T2_jT3_P12ihipStream_tbPNSt15iterator_traitsISJ_E10value_typeEPNSP_ISK_E10value_typeEPSL_NS1_7vsmem_tEENKUlT_SJ_SK_SL_E_clISE_PcSF_SF_EESI_SY_SJ_SK_SL_EUlSY_E1_NS1_11comp_targetILNS1_3genE0ELNS1_11target_archE4294967295ELNS1_3gpuE0ELNS1_3repE0EEENS1_36merge_oddeven_config_static_selectorELNS0_4arch9wavefront6targetE1EEEvSK_,@function
_ZN7rocprim17ROCPRIM_400000_NS6detail17trampoline_kernelINS0_14default_configENS1_38merge_sort_block_merge_config_selectorIcNS0_10empty_typeEEEZZNS1_27merge_sort_block_merge_implIS3_N6thrust23THRUST_200600_302600_NS6detail15normal_iteratorINS9_10device_ptrIcEEEEPS5_m14custom_greaterIcEEE10hipError_tT0_T1_T2_jT3_P12ihipStream_tbPNSt15iterator_traitsISJ_E10value_typeEPNSP_ISK_E10value_typeEPSL_NS1_7vsmem_tEENKUlT_SJ_SK_SL_E_clISE_PcSF_SF_EESI_SY_SJ_SK_SL_EUlSY_E1_NS1_11comp_targetILNS1_3genE0ELNS1_11target_archE4294967295ELNS1_3gpuE0ELNS1_3repE0EEENS1_36merge_oddeven_config_static_selectorELNS0_4arch9wavefront6targetE1EEEvSK_: ; @_ZN7rocprim17ROCPRIM_400000_NS6detail17trampoline_kernelINS0_14default_configENS1_38merge_sort_block_merge_config_selectorIcNS0_10empty_typeEEEZZNS1_27merge_sort_block_merge_implIS3_N6thrust23THRUST_200600_302600_NS6detail15normal_iteratorINS9_10device_ptrIcEEEEPS5_m14custom_greaterIcEEE10hipError_tT0_T1_T2_jT3_P12ihipStream_tbPNSt15iterator_traitsISJ_E10value_typeEPNSP_ISK_E10value_typeEPSL_NS1_7vsmem_tEENKUlT_SJ_SK_SL_E_clISE_PcSF_SF_EESI_SY_SJ_SK_SL_EUlSY_E1_NS1_11comp_targetILNS1_3genE0ELNS1_11target_archE4294967295ELNS1_3gpuE0ELNS1_3repE0EEENS1_36merge_oddeven_config_static_selectorELNS0_4arch9wavefront6targetE1EEEvSK_
; %bb.0:
	.section	.rodata,"a",@progbits
	.p2align	6, 0x0
	.amdhsa_kernel _ZN7rocprim17ROCPRIM_400000_NS6detail17trampoline_kernelINS0_14default_configENS1_38merge_sort_block_merge_config_selectorIcNS0_10empty_typeEEEZZNS1_27merge_sort_block_merge_implIS3_N6thrust23THRUST_200600_302600_NS6detail15normal_iteratorINS9_10device_ptrIcEEEEPS5_m14custom_greaterIcEEE10hipError_tT0_T1_T2_jT3_P12ihipStream_tbPNSt15iterator_traitsISJ_E10value_typeEPNSP_ISK_E10value_typeEPSL_NS1_7vsmem_tEENKUlT_SJ_SK_SL_E_clISE_PcSF_SF_EESI_SY_SJ_SK_SL_EUlSY_E1_NS1_11comp_targetILNS1_3genE0ELNS1_11target_archE4294967295ELNS1_3gpuE0ELNS1_3repE0EEENS1_36merge_oddeven_config_static_selectorELNS0_4arch9wavefront6targetE1EEEvSK_
		.amdhsa_group_segment_fixed_size 0
		.amdhsa_private_segment_fixed_size 0
		.amdhsa_kernarg_size 56
		.amdhsa_user_sgpr_count 6
		.amdhsa_user_sgpr_private_segment_buffer 1
		.amdhsa_user_sgpr_dispatch_ptr 0
		.amdhsa_user_sgpr_queue_ptr 0
		.amdhsa_user_sgpr_kernarg_segment_ptr 1
		.amdhsa_user_sgpr_dispatch_id 0
		.amdhsa_user_sgpr_flat_scratch_init 0
		.amdhsa_user_sgpr_kernarg_preload_length 0
		.amdhsa_user_sgpr_kernarg_preload_offset 0
		.amdhsa_user_sgpr_private_segment_size 0
		.amdhsa_uses_dynamic_stack 0
		.amdhsa_system_sgpr_private_segment_wavefront_offset 0
		.amdhsa_system_sgpr_workgroup_id_x 1
		.amdhsa_system_sgpr_workgroup_id_y 0
		.amdhsa_system_sgpr_workgroup_id_z 0
		.amdhsa_system_sgpr_workgroup_info 0
		.amdhsa_system_vgpr_workitem_id 0
		.amdhsa_next_free_vgpr 1
		.amdhsa_next_free_sgpr 0
		.amdhsa_accum_offset 4
		.amdhsa_reserve_vcc 0
		.amdhsa_reserve_flat_scratch 0
		.amdhsa_float_round_mode_32 0
		.amdhsa_float_round_mode_16_64 0
		.amdhsa_float_denorm_mode_32 3
		.amdhsa_float_denorm_mode_16_64 3
		.amdhsa_dx10_clamp 1
		.amdhsa_ieee_mode 1
		.amdhsa_fp16_overflow 0
		.amdhsa_tg_split 0
		.amdhsa_exception_fp_ieee_invalid_op 0
		.amdhsa_exception_fp_denorm_src 0
		.amdhsa_exception_fp_ieee_div_zero 0
		.amdhsa_exception_fp_ieee_overflow 0
		.amdhsa_exception_fp_ieee_underflow 0
		.amdhsa_exception_fp_ieee_inexact 0
		.amdhsa_exception_int_div_zero 0
	.end_amdhsa_kernel
	.section	.text._ZN7rocprim17ROCPRIM_400000_NS6detail17trampoline_kernelINS0_14default_configENS1_38merge_sort_block_merge_config_selectorIcNS0_10empty_typeEEEZZNS1_27merge_sort_block_merge_implIS3_N6thrust23THRUST_200600_302600_NS6detail15normal_iteratorINS9_10device_ptrIcEEEEPS5_m14custom_greaterIcEEE10hipError_tT0_T1_T2_jT3_P12ihipStream_tbPNSt15iterator_traitsISJ_E10value_typeEPNSP_ISK_E10value_typeEPSL_NS1_7vsmem_tEENKUlT_SJ_SK_SL_E_clISE_PcSF_SF_EESI_SY_SJ_SK_SL_EUlSY_E1_NS1_11comp_targetILNS1_3genE0ELNS1_11target_archE4294967295ELNS1_3gpuE0ELNS1_3repE0EEENS1_36merge_oddeven_config_static_selectorELNS0_4arch9wavefront6targetE1EEEvSK_,"axG",@progbits,_ZN7rocprim17ROCPRIM_400000_NS6detail17trampoline_kernelINS0_14default_configENS1_38merge_sort_block_merge_config_selectorIcNS0_10empty_typeEEEZZNS1_27merge_sort_block_merge_implIS3_N6thrust23THRUST_200600_302600_NS6detail15normal_iteratorINS9_10device_ptrIcEEEEPS5_m14custom_greaterIcEEE10hipError_tT0_T1_T2_jT3_P12ihipStream_tbPNSt15iterator_traitsISJ_E10value_typeEPNSP_ISK_E10value_typeEPSL_NS1_7vsmem_tEENKUlT_SJ_SK_SL_E_clISE_PcSF_SF_EESI_SY_SJ_SK_SL_EUlSY_E1_NS1_11comp_targetILNS1_3genE0ELNS1_11target_archE4294967295ELNS1_3gpuE0ELNS1_3repE0EEENS1_36merge_oddeven_config_static_selectorELNS0_4arch9wavefront6targetE1EEEvSK_,comdat
.Lfunc_end2749:
	.size	_ZN7rocprim17ROCPRIM_400000_NS6detail17trampoline_kernelINS0_14default_configENS1_38merge_sort_block_merge_config_selectorIcNS0_10empty_typeEEEZZNS1_27merge_sort_block_merge_implIS3_N6thrust23THRUST_200600_302600_NS6detail15normal_iteratorINS9_10device_ptrIcEEEEPS5_m14custom_greaterIcEEE10hipError_tT0_T1_T2_jT3_P12ihipStream_tbPNSt15iterator_traitsISJ_E10value_typeEPNSP_ISK_E10value_typeEPSL_NS1_7vsmem_tEENKUlT_SJ_SK_SL_E_clISE_PcSF_SF_EESI_SY_SJ_SK_SL_EUlSY_E1_NS1_11comp_targetILNS1_3genE0ELNS1_11target_archE4294967295ELNS1_3gpuE0ELNS1_3repE0EEENS1_36merge_oddeven_config_static_selectorELNS0_4arch9wavefront6targetE1EEEvSK_, .Lfunc_end2749-_ZN7rocprim17ROCPRIM_400000_NS6detail17trampoline_kernelINS0_14default_configENS1_38merge_sort_block_merge_config_selectorIcNS0_10empty_typeEEEZZNS1_27merge_sort_block_merge_implIS3_N6thrust23THRUST_200600_302600_NS6detail15normal_iteratorINS9_10device_ptrIcEEEEPS5_m14custom_greaterIcEEE10hipError_tT0_T1_T2_jT3_P12ihipStream_tbPNSt15iterator_traitsISJ_E10value_typeEPNSP_ISK_E10value_typeEPSL_NS1_7vsmem_tEENKUlT_SJ_SK_SL_E_clISE_PcSF_SF_EESI_SY_SJ_SK_SL_EUlSY_E1_NS1_11comp_targetILNS1_3genE0ELNS1_11target_archE4294967295ELNS1_3gpuE0ELNS1_3repE0EEENS1_36merge_oddeven_config_static_selectorELNS0_4arch9wavefront6targetE1EEEvSK_
                                        ; -- End function
	.section	.AMDGPU.csdata,"",@progbits
; Kernel info:
; codeLenInByte = 0
; NumSgprs: 4
; NumVgprs: 0
; NumAgprs: 0
; TotalNumVgprs: 0
; ScratchSize: 0
; MemoryBound: 0
; FloatMode: 240
; IeeeMode: 1
; LDSByteSize: 0 bytes/workgroup (compile time only)
; SGPRBlocks: 0
; VGPRBlocks: 0
; NumSGPRsForWavesPerEU: 4
; NumVGPRsForWavesPerEU: 1
; AccumOffset: 4
; Occupancy: 8
; WaveLimiterHint : 0
; COMPUTE_PGM_RSRC2:SCRATCH_EN: 0
; COMPUTE_PGM_RSRC2:USER_SGPR: 6
; COMPUTE_PGM_RSRC2:TRAP_HANDLER: 0
; COMPUTE_PGM_RSRC2:TGID_X_EN: 1
; COMPUTE_PGM_RSRC2:TGID_Y_EN: 0
; COMPUTE_PGM_RSRC2:TGID_Z_EN: 0
; COMPUTE_PGM_RSRC2:TIDIG_COMP_CNT: 0
; COMPUTE_PGM_RSRC3_GFX90A:ACCUM_OFFSET: 0
; COMPUTE_PGM_RSRC3_GFX90A:TG_SPLIT: 0
	.section	.text._ZN7rocprim17ROCPRIM_400000_NS6detail17trampoline_kernelINS0_14default_configENS1_38merge_sort_block_merge_config_selectorIcNS0_10empty_typeEEEZZNS1_27merge_sort_block_merge_implIS3_N6thrust23THRUST_200600_302600_NS6detail15normal_iteratorINS9_10device_ptrIcEEEEPS5_m14custom_greaterIcEEE10hipError_tT0_T1_T2_jT3_P12ihipStream_tbPNSt15iterator_traitsISJ_E10value_typeEPNSP_ISK_E10value_typeEPSL_NS1_7vsmem_tEENKUlT_SJ_SK_SL_E_clISE_PcSF_SF_EESI_SY_SJ_SK_SL_EUlSY_E1_NS1_11comp_targetILNS1_3genE10ELNS1_11target_archE1201ELNS1_3gpuE5ELNS1_3repE0EEENS1_36merge_oddeven_config_static_selectorELNS0_4arch9wavefront6targetE1EEEvSK_,"axG",@progbits,_ZN7rocprim17ROCPRIM_400000_NS6detail17trampoline_kernelINS0_14default_configENS1_38merge_sort_block_merge_config_selectorIcNS0_10empty_typeEEEZZNS1_27merge_sort_block_merge_implIS3_N6thrust23THRUST_200600_302600_NS6detail15normal_iteratorINS9_10device_ptrIcEEEEPS5_m14custom_greaterIcEEE10hipError_tT0_T1_T2_jT3_P12ihipStream_tbPNSt15iterator_traitsISJ_E10value_typeEPNSP_ISK_E10value_typeEPSL_NS1_7vsmem_tEENKUlT_SJ_SK_SL_E_clISE_PcSF_SF_EESI_SY_SJ_SK_SL_EUlSY_E1_NS1_11comp_targetILNS1_3genE10ELNS1_11target_archE1201ELNS1_3gpuE5ELNS1_3repE0EEENS1_36merge_oddeven_config_static_selectorELNS0_4arch9wavefront6targetE1EEEvSK_,comdat
	.protected	_ZN7rocprim17ROCPRIM_400000_NS6detail17trampoline_kernelINS0_14default_configENS1_38merge_sort_block_merge_config_selectorIcNS0_10empty_typeEEEZZNS1_27merge_sort_block_merge_implIS3_N6thrust23THRUST_200600_302600_NS6detail15normal_iteratorINS9_10device_ptrIcEEEEPS5_m14custom_greaterIcEEE10hipError_tT0_T1_T2_jT3_P12ihipStream_tbPNSt15iterator_traitsISJ_E10value_typeEPNSP_ISK_E10value_typeEPSL_NS1_7vsmem_tEENKUlT_SJ_SK_SL_E_clISE_PcSF_SF_EESI_SY_SJ_SK_SL_EUlSY_E1_NS1_11comp_targetILNS1_3genE10ELNS1_11target_archE1201ELNS1_3gpuE5ELNS1_3repE0EEENS1_36merge_oddeven_config_static_selectorELNS0_4arch9wavefront6targetE1EEEvSK_ ; -- Begin function _ZN7rocprim17ROCPRIM_400000_NS6detail17trampoline_kernelINS0_14default_configENS1_38merge_sort_block_merge_config_selectorIcNS0_10empty_typeEEEZZNS1_27merge_sort_block_merge_implIS3_N6thrust23THRUST_200600_302600_NS6detail15normal_iteratorINS9_10device_ptrIcEEEEPS5_m14custom_greaterIcEEE10hipError_tT0_T1_T2_jT3_P12ihipStream_tbPNSt15iterator_traitsISJ_E10value_typeEPNSP_ISK_E10value_typeEPSL_NS1_7vsmem_tEENKUlT_SJ_SK_SL_E_clISE_PcSF_SF_EESI_SY_SJ_SK_SL_EUlSY_E1_NS1_11comp_targetILNS1_3genE10ELNS1_11target_archE1201ELNS1_3gpuE5ELNS1_3repE0EEENS1_36merge_oddeven_config_static_selectorELNS0_4arch9wavefront6targetE1EEEvSK_
	.globl	_ZN7rocprim17ROCPRIM_400000_NS6detail17trampoline_kernelINS0_14default_configENS1_38merge_sort_block_merge_config_selectorIcNS0_10empty_typeEEEZZNS1_27merge_sort_block_merge_implIS3_N6thrust23THRUST_200600_302600_NS6detail15normal_iteratorINS9_10device_ptrIcEEEEPS5_m14custom_greaterIcEEE10hipError_tT0_T1_T2_jT3_P12ihipStream_tbPNSt15iterator_traitsISJ_E10value_typeEPNSP_ISK_E10value_typeEPSL_NS1_7vsmem_tEENKUlT_SJ_SK_SL_E_clISE_PcSF_SF_EESI_SY_SJ_SK_SL_EUlSY_E1_NS1_11comp_targetILNS1_3genE10ELNS1_11target_archE1201ELNS1_3gpuE5ELNS1_3repE0EEENS1_36merge_oddeven_config_static_selectorELNS0_4arch9wavefront6targetE1EEEvSK_
	.p2align	8
	.type	_ZN7rocprim17ROCPRIM_400000_NS6detail17trampoline_kernelINS0_14default_configENS1_38merge_sort_block_merge_config_selectorIcNS0_10empty_typeEEEZZNS1_27merge_sort_block_merge_implIS3_N6thrust23THRUST_200600_302600_NS6detail15normal_iteratorINS9_10device_ptrIcEEEEPS5_m14custom_greaterIcEEE10hipError_tT0_T1_T2_jT3_P12ihipStream_tbPNSt15iterator_traitsISJ_E10value_typeEPNSP_ISK_E10value_typeEPSL_NS1_7vsmem_tEENKUlT_SJ_SK_SL_E_clISE_PcSF_SF_EESI_SY_SJ_SK_SL_EUlSY_E1_NS1_11comp_targetILNS1_3genE10ELNS1_11target_archE1201ELNS1_3gpuE5ELNS1_3repE0EEENS1_36merge_oddeven_config_static_selectorELNS0_4arch9wavefront6targetE1EEEvSK_,@function
_ZN7rocprim17ROCPRIM_400000_NS6detail17trampoline_kernelINS0_14default_configENS1_38merge_sort_block_merge_config_selectorIcNS0_10empty_typeEEEZZNS1_27merge_sort_block_merge_implIS3_N6thrust23THRUST_200600_302600_NS6detail15normal_iteratorINS9_10device_ptrIcEEEEPS5_m14custom_greaterIcEEE10hipError_tT0_T1_T2_jT3_P12ihipStream_tbPNSt15iterator_traitsISJ_E10value_typeEPNSP_ISK_E10value_typeEPSL_NS1_7vsmem_tEENKUlT_SJ_SK_SL_E_clISE_PcSF_SF_EESI_SY_SJ_SK_SL_EUlSY_E1_NS1_11comp_targetILNS1_3genE10ELNS1_11target_archE1201ELNS1_3gpuE5ELNS1_3repE0EEENS1_36merge_oddeven_config_static_selectorELNS0_4arch9wavefront6targetE1EEEvSK_: ; @_ZN7rocprim17ROCPRIM_400000_NS6detail17trampoline_kernelINS0_14default_configENS1_38merge_sort_block_merge_config_selectorIcNS0_10empty_typeEEEZZNS1_27merge_sort_block_merge_implIS3_N6thrust23THRUST_200600_302600_NS6detail15normal_iteratorINS9_10device_ptrIcEEEEPS5_m14custom_greaterIcEEE10hipError_tT0_T1_T2_jT3_P12ihipStream_tbPNSt15iterator_traitsISJ_E10value_typeEPNSP_ISK_E10value_typeEPSL_NS1_7vsmem_tEENKUlT_SJ_SK_SL_E_clISE_PcSF_SF_EESI_SY_SJ_SK_SL_EUlSY_E1_NS1_11comp_targetILNS1_3genE10ELNS1_11target_archE1201ELNS1_3gpuE5ELNS1_3repE0EEENS1_36merge_oddeven_config_static_selectorELNS0_4arch9wavefront6targetE1EEEvSK_
; %bb.0:
	.section	.rodata,"a",@progbits
	.p2align	6, 0x0
	.amdhsa_kernel _ZN7rocprim17ROCPRIM_400000_NS6detail17trampoline_kernelINS0_14default_configENS1_38merge_sort_block_merge_config_selectorIcNS0_10empty_typeEEEZZNS1_27merge_sort_block_merge_implIS3_N6thrust23THRUST_200600_302600_NS6detail15normal_iteratorINS9_10device_ptrIcEEEEPS5_m14custom_greaterIcEEE10hipError_tT0_T1_T2_jT3_P12ihipStream_tbPNSt15iterator_traitsISJ_E10value_typeEPNSP_ISK_E10value_typeEPSL_NS1_7vsmem_tEENKUlT_SJ_SK_SL_E_clISE_PcSF_SF_EESI_SY_SJ_SK_SL_EUlSY_E1_NS1_11comp_targetILNS1_3genE10ELNS1_11target_archE1201ELNS1_3gpuE5ELNS1_3repE0EEENS1_36merge_oddeven_config_static_selectorELNS0_4arch9wavefront6targetE1EEEvSK_
		.amdhsa_group_segment_fixed_size 0
		.amdhsa_private_segment_fixed_size 0
		.amdhsa_kernarg_size 56
		.amdhsa_user_sgpr_count 6
		.amdhsa_user_sgpr_private_segment_buffer 1
		.amdhsa_user_sgpr_dispatch_ptr 0
		.amdhsa_user_sgpr_queue_ptr 0
		.amdhsa_user_sgpr_kernarg_segment_ptr 1
		.amdhsa_user_sgpr_dispatch_id 0
		.amdhsa_user_sgpr_flat_scratch_init 0
		.amdhsa_user_sgpr_kernarg_preload_length 0
		.amdhsa_user_sgpr_kernarg_preload_offset 0
		.amdhsa_user_sgpr_private_segment_size 0
		.amdhsa_uses_dynamic_stack 0
		.amdhsa_system_sgpr_private_segment_wavefront_offset 0
		.amdhsa_system_sgpr_workgroup_id_x 1
		.amdhsa_system_sgpr_workgroup_id_y 0
		.amdhsa_system_sgpr_workgroup_id_z 0
		.amdhsa_system_sgpr_workgroup_info 0
		.amdhsa_system_vgpr_workitem_id 0
		.amdhsa_next_free_vgpr 1
		.amdhsa_next_free_sgpr 0
		.amdhsa_accum_offset 4
		.amdhsa_reserve_vcc 0
		.amdhsa_reserve_flat_scratch 0
		.amdhsa_float_round_mode_32 0
		.amdhsa_float_round_mode_16_64 0
		.amdhsa_float_denorm_mode_32 3
		.amdhsa_float_denorm_mode_16_64 3
		.amdhsa_dx10_clamp 1
		.amdhsa_ieee_mode 1
		.amdhsa_fp16_overflow 0
		.amdhsa_tg_split 0
		.amdhsa_exception_fp_ieee_invalid_op 0
		.amdhsa_exception_fp_denorm_src 0
		.amdhsa_exception_fp_ieee_div_zero 0
		.amdhsa_exception_fp_ieee_overflow 0
		.amdhsa_exception_fp_ieee_underflow 0
		.amdhsa_exception_fp_ieee_inexact 0
		.amdhsa_exception_int_div_zero 0
	.end_amdhsa_kernel
	.section	.text._ZN7rocprim17ROCPRIM_400000_NS6detail17trampoline_kernelINS0_14default_configENS1_38merge_sort_block_merge_config_selectorIcNS0_10empty_typeEEEZZNS1_27merge_sort_block_merge_implIS3_N6thrust23THRUST_200600_302600_NS6detail15normal_iteratorINS9_10device_ptrIcEEEEPS5_m14custom_greaterIcEEE10hipError_tT0_T1_T2_jT3_P12ihipStream_tbPNSt15iterator_traitsISJ_E10value_typeEPNSP_ISK_E10value_typeEPSL_NS1_7vsmem_tEENKUlT_SJ_SK_SL_E_clISE_PcSF_SF_EESI_SY_SJ_SK_SL_EUlSY_E1_NS1_11comp_targetILNS1_3genE10ELNS1_11target_archE1201ELNS1_3gpuE5ELNS1_3repE0EEENS1_36merge_oddeven_config_static_selectorELNS0_4arch9wavefront6targetE1EEEvSK_,"axG",@progbits,_ZN7rocprim17ROCPRIM_400000_NS6detail17trampoline_kernelINS0_14default_configENS1_38merge_sort_block_merge_config_selectorIcNS0_10empty_typeEEEZZNS1_27merge_sort_block_merge_implIS3_N6thrust23THRUST_200600_302600_NS6detail15normal_iteratorINS9_10device_ptrIcEEEEPS5_m14custom_greaterIcEEE10hipError_tT0_T1_T2_jT3_P12ihipStream_tbPNSt15iterator_traitsISJ_E10value_typeEPNSP_ISK_E10value_typeEPSL_NS1_7vsmem_tEENKUlT_SJ_SK_SL_E_clISE_PcSF_SF_EESI_SY_SJ_SK_SL_EUlSY_E1_NS1_11comp_targetILNS1_3genE10ELNS1_11target_archE1201ELNS1_3gpuE5ELNS1_3repE0EEENS1_36merge_oddeven_config_static_selectorELNS0_4arch9wavefront6targetE1EEEvSK_,comdat
.Lfunc_end2750:
	.size	_ZN7rocprim17ROCPRIM_400000_NS6detail17trampoline_kernelINS0_14default_configENS1_38merge_sort_block_merge_config_selectorIcNS0_10empty_typeEEEZZNS1_27merge_sort_block_merge_implIS3_N6thrust23THRUST_200600_302600_NS6detail15normal_iteratorINS9_10device_ptrIcEEEEPS5_m14custom_greaterIcEEE10hipError_tT0_T1_T2_jT3_P12ihipStream_tbPNSt15iterator_traitsISJ_E10value_typeEPNSP_ISK_E10value_typeEPSL_NS1_7vsmem_tEENKUlT_SJ_SK_SL_E_clISE_PcSF_SF_EESI_SY_SJ_SK_SL_EUlSY_E1_NS1_11comp_targetILNS1_3genE10ELNS1_11target_archE1201ELNS1_3gpuE5ELNS1_3repE0EEENS1_36merge_oddeven_config_static_selectorELNS0_4arch9wavefront6targetE1EEEvSK_, .Lfunc_end2750-_ZN7rocprim17ROCPRIM_400000_NS6detail17trampoline_kernelINS0_14default_configENS1_38merge_sort_block_merge_config_selectorIcNS0_10empty_typeEEEZZNS1_27merge_sort_block_merge_implIS3_N6thrust23THRUST_200600_302600_NS6detail15normal_iteratorINS9_10device_ptrIcEEEEPS5_m14custom_greaterIcEEE10hipError_tT0_T1_T2_jT3_P12ihipStream_tbPNSt15iterator_traitsISJ_E10value_typeEPNSP_ISK_E10value_typeEPSL_NS1_7vsmem_tEENKUlT_SJ_SK_SL_E_clISE_PcSF_SF_EESI_SY_SJ_SK_SL_EUlSY_E1_NS1_11comp_targetILNS1_3genE10ELNS1_11target_archE1201ELNS1_3gpuE5ELNS1_3repE0EEENS1_36merge_oddeven_config_static_selectorELNS0_4arch9wavefront6targetE1EEEvSK_
                                        ; -- End function
	.section	.AMDGPU.csdata,"",@progbits
; Kernel info:
; codeLenInByte = 0
; NumSgprs: 4
; NumVgprs: 0
; NumAgprs: 0
; TotalNumVgprs: 0
; ScratchSize: 0
; MemoryBound: 0
; FloatMode: 240
; IeeeMode: 1
; LDSByteSize: 0 bytes/workgroup (compile time only)
; SGPRBlocks: 0
; VGPRBlocks: 0
; NumSGPRsForWavesPerEU: 4
; NumVGPRsForWavesPerEU: 1
; AccumOffset: 4
; Occupancy: 8
; WaveLimiterHint : 0
; COMPUTE_PGM_RSRC2:SCRATCH_EN: 0
; COMPUTE_PGM_RSRC2:USER_SGPR: 6
; COMPUTE_PGM_RSRC2:TRAP_HANDLER: 0
; COMPUTE_PGM_RSRC2:TGID_X_EN: 1
; COMPUTE_PGM_RSRC2:TGID_Y_EN: 0
; COMPUTE_PGM_RSRC2:TGID_Z_EN: 0
; COMPUTE_PGM_RSRC2:TIDIG_COMP_CNT: 0
; COMPUTE_PGM_RSRC3_GFX90A:ACCUM_OFFSET: 0
; COMPUTE_PGM_RSRC3_GFX90A:TG_SPLIT: 0
	.section	.text._ZN7rocprim17ROCPRIM_400000_NS6detail17trampoline_kernelINS0_14default_configENS1_38merge_sort_block_merge_config_selectorIcNS0_10empty_typeEEEZZNS1_27merge_sort_block_merge_implIS3_N6thrust23THRUST_200600_302600_NS6detail15normal_iteratorINS9_10device_ptrIcEEEEPS5_m14custom_greaterIcEEE10hipError_tT0_T1_T2_jT3_P12ihipStream_tbPNSt15iterator_traitsISJ_E10value_typeEPNSP_ISK_E10value_typeEPSL_NS1_7vsmem_tEENKUlT_SJ_SK_SL_E_clISE_PcSF_SF_EESI_SY_SJ_SK_SL_EUlSY_E1_NS1_11comp_targetILNS1_3genE5ELNS1_11target_archE942ELNS1_3gpuE9ELNS1_3repE0EEENS1_36merge_oddeven_config_static_selectorELNS0_4arch9wavefront6targetE1EEEvSK_,"axG",@progbits,_ZN7rocprim17ROCPRIM_400000_NS6detail17trampoline_kernelINS0_14default_configENS1_38merge_sort_block_merge_config_selectorIcNS0_10empty_typeEEEZZNS1_27merge_sort_block_merge_implIS3_N6thrust23THRUST_200600_302600_NS6detail15normal_iteratorINS9_10device_ptrIcEEEEPS5_m14custom_greaterIcEEE10hipError_tT0_T1_T2_jT3_P12ihipStream_tbPNSt15iterator_traitsISJ_E10value_typeEPNSP_ISK_E10value_typeEPSL_NS1_7vsmem_tEENKUlT_SJ_SK_SL_E_clISE_PcSF_SF_EESI_SY_SJ_SK_SL_EUlSY_E1_NS1_11comp_targetILNS1_3genE5ELNS1_11target_archE942ELNS1_3gpuE9ELNS1_3repE0EEENS1_36merge_oddeven_config_static_selectorELNS0_4arch9wavefront6targetE1EEEvSK_,comdat
	.protected	_ZN7rocprim17ROCPRIM_400000_NS6detail17trampoline_kernelINS0_14default_configENS1_38merge_sort_block_merge_config_selectorIcNS0_10empty_typeEEEZZNS1_27merge_sort_block_merge_implIS3_N6thrust23THRUST_200600_302600_NS6detail15normal_iteratorINS9_10device_ptrIcEEEEPS5_m14custom_greaterIcEEE10hipError_tT0_T1_T2_jT3_P12ihipStream_tbPNSt15iterator_traitsISJ_E10value_typeEPNSP_ISK_E10value_typeEPSL_NS1_7vsmem_tEENKUlT_SJ_SK_SL_E_clISE_PcSF_SF_EESI_SY_SJ_SK_SL_EUlSY_E1_NS1_11comp_targetILNS1_3genE5ELNS1_11target_archE942ELNS1_3gpuE9ELNS1_3repE0EEENS1_36merge_oddeven_config_static_selectorELNS0_4arch9wavefront6targetE1EEEvSK_ ; -- Begin function _ZN7rocprim17ROCPRIM_400000_NS6detail17trampoline_kernelINS0_14default_configENS1_38merge_sort_block_merge_config_selectorIcNS0_10empty_typeEEEZZNS1_27merge_sort_block_merge_implIS3_N6thrust23THRUST_200600_302600_NS6detail15normal_iteratorINS9_10device_ptrIcEEEEPS5_m14custom_greaterIcEEE10hipError_tT0_T1_T2_jT3_P12ihipStream_tbPNSt15iterator_traitsISJ_E10value_typeEPNSP_ISK_E10value_typeEPSL_NS1_7vsmem_tEENKUlT_SJ_SK_SL_E_clISE_PcSF_SF_EESI_SY_SJ_SK_SL_EUlSY_E1_NS1_11comp_targetILNS1_3genE5ELNS1_11target_archE942ELNS1_3gpuE9ELNS1_3repE0EEENS1_36merge_oddeven_config_static_selectorELNS0_4arch9wavefront6targetE1EEEvSK_
	.globl	_ZN7rocprim17ROCPRIM_400000_NS6detail17trampoline_kernelINS0_14default_configENS1_38merge_sort_block_merge_config_selectorIcNS0_10empty_typeEEEZZNS1_27merge_sort_block_merge_implIS3_N6thrust23THRUST_200600_302600_NS6detail15normal_iteratorINS9_10device_ptrIcEEEEPS5_m14custom_greaterIcEEE10hipError_tT0_T1_T2_jT3_P12ihipStream_tbPNSt15iterator_traitsISJ_E10value_typeEPNSP_ISK_E10value_typeEPSL_NS1_7vsmem_tEENKUlT_SJ_SK_SL_E_clISE_PcSF_SF_EESI_SY_SJ_SK_SL_EUlSY_E1_NS1_11comp_targetILNS1_3genE5ELNS1_11target_archE942ELNS1_3gpuE9ELNS1_3repE0EEENS1_36merge_oddeven_config_static_selectorELNS0_4arch9wavefront6targetE1EEEvSK_
	.p2align	8
	.type	_ZN7rocprim17ROCPRIM_400000_NS6detail17trampoline_kernelINS0_14default_configENS1_38merge_sort_block_merge_config_selectorIcNS0_10empty_typeEEEZZNS1_27merge_sort_block_merge_implIS3_N6thrust23THRUST_200600_302600_NS6detail15normal_iteratorINS9_10device_ptrIcEEEEPS5_m14custom_greaterIcEEE10hipError_tT0_T1_T2_jT3_P12ihipStream_tbPNSt15iterator_traitsISJ_E10value_typeEPNSP_ISK_E10value_typeEPSL_NS1_7vsmem_tEENKUlT_SJ_SK_SL_E_clISE_PcSF_SF_EESI_SY_SJ_SK_SL_EUlSY_E1_NS1_11comp_targetILNS1_3genE5ELNS1_11target_archE942ELNS1_3gpuE9ELNS1_3repE0EEENS1_36merge_oddeven_config_static_selectorELNS0_4arch9wavefront6targetE1EEEvSK_,@function
_ZN7rocprim17ROCPRIM_400000_NS6detail17trampoline_kernelINS0_14default_configENS1_38merge_sort_block_merge_config_selectorIcNS0_10empty_typeEEEZZNS1_27merge_sort_block_merge_implIS3_N6thrust23THRUST_200600_302600_NS6detail15normal_iteratorINS9_10device_ptrIcEEEEPS5_m14custom_greaterIcEEE10hipError_tT0_T1_T2_jT3_P12ihipStream_tbPNSt15iterator_traitsISJ_E10value_typeEPNSP_ISK_E10value_typeEPSL_NS1_7vsmem_tEENKUlT_SJ_SK_SL_E_clISE_PcSF_SF_EESI_SY_SJ_SK_SL_EUlSY_E1_NS1_11comp_targetILNS1_3genE5ELNS1_11target_archE942ELNS1_3gpuE9ELNS1_3repE0EEENS1_36merge_oddeven_config_static_selectorELNS0_4arch9wavefront6targetE1EEEvSK_: ; @_ZN7rocprim17ROCPRIM_400000_NS6detail17trampoline_kernelINS0_14default_configENS1_38merge_sort_block_merge_config_selectorIcNS0_10empty_typeEEEZZNS1_27merge_sort_block_merge_implIS3_N6thrust23THRUST_200600_302600_NS6detail15normal_iteratorINS9_10device_ptrIcEEEEPS5_m14custom_greaterIcEEE10hipError_tT0_T1_T2_jT3_P12ihipStream_tbPNSt15iterator_traitsISJ_E10value_typeEPNSP_ISK_E10value_typeEPSL_NS1_7vsmem_tEENKUlT_SJ_SK_SL_E_clISE_PcSF_SF_EESI_SY_SJ_SK_SL_EUlSY_E1_NS1_11comp_targetILNS1_3genE5ELNS1_11target_archE942ELNS1_3gpuE9ELNS1_3repE0EEENS1_36merge_oddeven_config_static_selectorELNS0_4arch9wavefront6targetE1EEEvSK_
; %bb.0:
	.section	.rodata,"a",@progbits
	.p2align	6, 0x0
	.amdhsa_kernel _ZN7rocprim17ROCPRIM_400000_NS6detail17trampoline_kernelINS0_14default_configENS1_38merge_sort_block_merge_config_selectorIcNS0_10empty_typeEEEZZNS1_27merge_sort_block_merge_implIS3_N6thrust23THRUST_200600_302600_NS6detail15normal_iteratorINS9_10device_ptrIcEEEEPS5_m14custom_greaterIcEEE10hipError_tT0_T1_T2_jT3_P12ihipStream_tbPNSt15iterator_traitsISJ_E10value_typeEPNSP_ISK_E10value_typeEPSL_NS1_7vsmem_tEENKUlT_SJ_SK_SL_E_clISE_PcSF_SF_EESI_SY_SJ_SK_SL_EUlSY_E1_NS1_11comp_targetILNS1_3genE5ELNS1_11target_archE942ELNS1_3gpuE9ELNS1_3repE0EEENS1_36merge_oddeven_config_static_selectorELNS0_4arch9wavefront6targetE1EEEvSK_
		.amdhsa_group_segment_fixed_size 0
		.amdhsa_private_segment_fixed_size 0
		.amdhsa_kernarg_size 56
		.amdhsa_user_sgpr_count 6
		.amdhsa_user_sgpr_private_segment_buffer 1
		.amdhsa_user_sgpr_dispatch_ptr 0
		.amdhsa_user_sgpr_queue_ptr 0
		.amdhsa_user_sgpr_kernarg_segment_ptr 1
		.amdhsa_user_sgpr_dispatch_id 0
		.amdhsa_user_sgpr_flat_scratch_init 0
		.amdhsa_user_sgpr_kernarg_preload_length 0
		.amdhsa_user_sgpr_kernarg_preload_offset 0
		.amdhsa_user_sgpr_private_segment_size 0
		.amdhsa_uses_dynamic_stack 0
		.amdhsa_system_sgpr_private_segment_wavefront_offset 0
		.amdhsa_system_sgpr_workgroup_id_x 1
		.amdhsa_system_sgpr_workgroup_id_y 0
		.amdhsa_system_sgpr_workgroup_id_z 0
		.amdhsa_system_sgpr_workgroup_info 0
		.amdhsa_system_vgpr_workitem_id 0
		.amdhsa_next_free_vgpr 1
		.amdhsa_next_free_sgpr 0
		.amdhsa_accum_offset 4
		.amdhsa_reserve_vcc 0
		.amdhsa_reserve_flat_scratch 0
		.amdhsa_float_round_mode_32 0
		.amdhsa_float_round_mode_16_64 0
		.amdhsa_float_denorm_mode_32 3
		.amdhsa_float_denorm_mode_16_64 3
		.amdhsa_dx10_clamp 1
		.amdhsa_ieee_mode 1
		.amdhsa_fp16_overflow 0
		.amdhsa_tg_split 0
		.amdhsa_exception_fp_ieee_invalid_op 0
		.amdhsa_exception_fp_denorm_src 0
		.amdhsa_exception_fp_ieee_div_zero 0
		.amdhsa_exception_fp_ieee_overflow 0
		.amdhsa_exception_fp_ieee_underflow 0
		.amdhsa_exception_fp_ieee_inexact 0
		.amdhsa_exception_int_div_zero 0
	.end_amdhsa_kernel
	.section	.text._ZN7rocprim17ROCPRIM_400000_NS6detail17trampoline_kernelINS0_14default_configENS1_38merge_sort_block_merge_config_selectorIcNS0_10empty_typeEEEZZNS1_27merge_sort_block_merge_implIS3_N6thrust23THRUST_200600_302600_NS6detail15normal_iteratorINS9_10device_ptrIcEEEEPS5_m14custom_greaterIcEEE10hipError_tT0_T1_T2_jT3_P12ihipStream_tbPNSt15iterator_traitsISJ_E10value_typeEPNSP_ISK_E10value_typeEPSL_NS1_7vsmem_tEENKUlT_SJ_SK_SL_E_clISE_PcSF_SF_EESI_SY_SJ_SK_SL_EUlSY_E1_NS1_11comp_targetILNS1_3genE5ELNS1_11target_archE942ELNS1_3gpuE9ELNS1_3repE0EEENS1_36merge_oddeven_config_static_selectorELNS0_4arch9wavefront6targetE1EEEvSK_,"axG",@progbits,_ZN7rocprim17ROCPRIM_400000_NS6detail17trampoline_kernelINS0_14default_configENS1_38merge_sort_block_merge_config_selectorIcNS0_10empty_typeEEEZZNS1_27merge_sort_block_merge_implIS3_N6thrust23THRUST_200600_302600_NS6detail15normal_iteratorINS9_10device_ptrIcEEEEPS5_m14custom_greaterIcEEE10hipError_tT0_T1_T2_jT3_P12ihipStream_tbPNSt15iterator_traitsISJ_E10value_typeEPNSP_ISK_E10value_typeEPSL_NS1_7vsmem_tEENKUlT_SJ_SK_SL_E_clISE_PcSF_SF_EESI_SY_SJ_SK_SL_EUlSY_E1_NS1_11comp_targetILNS1_3genE5ELNS1_11target_archE942ELNS1_3gpuE9ELNS1_3repE0EEENS1_36merge_oddeven_config_static_selectorELNS0_4arch9wavefront6targetE1EEEvSK_,comdat
.Lfunc_end2751:
	.size	_ZN7rocprim17ROCPRIM_400000_NS6detail17trampoline_kernelINS0_14default_configENS1_38merge_sort_block_merge_config_selectorIcNS0_10empty_typeEEEZZNS1_27merge_sort_block_merge_implIS3_N6thrust23THRUST_200600_302600_NS6detail15normal_iteratorINS9_10device_ptrIcEEEEPS5_m14custom_greaterIcEEE10hipError_tT0_T1_T2_jT3_P12ihipStream_tbPNSt15iterator_traitsISJ_E10value_typeEPNSP_ISK_E10value_typeEPSL_NS1_7vsmem_tEENKUlT_SJ_SK_SL_E_clISE_PcSF_SF_EESI_SY_SJ_SK_SL_EUlSY_E1_NS1_11comp_targetILNS1_3genE5ELNS1_11target_archE942ELNS1_3gpuE9ELNS1_3repE0EEENS1_36merge_oddeven_config_static_selectorELNS0_4arch9wavefront6targetE1EEEvSK_, .Lfunc_end2751-_ZN7rocprim17ROCPRIM_400000_NS6detail17trampoline_kernelINS0_14default_configENS1_38merge_sort_block_merge_config_selectorIcNS0_10empty_typeEEEZZNS1_27merge_sort_block_merge_implIS3_N6thrust23THRUST_200600_302600_NS6detail15normal_iteratorINS9_10device_ptrIcEEEEPS5_m14custom_greaterIcEEE10hipError_tT0_T1_T2_jT3_P12ihipStream_tbPNSt15iterator_traitsISJ_E10value_typeEPNSP_ISK_E10value_typeEPSL_NS1_7vsmem_tEENKUlT_SJ_SK_SL_E_clISE_PcSF_SF_EESI_SY_SJ_SK_SL_EUlSY_E1_NS1_11comp_targetILNS1_3genE5ELNS1_11target_archE942ELNS1_3gpuE9ELNS1_3repE0EEENS1_36merge_oddeven_config_static_selectorELNS0_4arch9wavefront6targetE1EEEvSK_
                                        ; -- End function
	.section	.AMDGPU.csdata,"",@progbits
; Kernel info:
; codeLenInByte = 0
; NumSgprs: 4
; NumVgprs: 0
; NumAgprs: 0
; TotalNumVgprs: 0
; ScratchSize: 0
; MemoryBound: 0
; FloatMode: 240
; IeeeMode: 1
; LDSByteSize: 0 bytes/workgroup (compile time only)
; SGPRBlocks: 0
; VGPRBlocks: 0
; NumSGPRsForWavesPerEU: 4
; NumVGPRsForWavesPerEU: 1
; AccumOffset: 4
; Occupancy: 8
; WaveLimiterHint : 0
; COMPUTE_PGM_RSRC2:SCRATCH_EN: 0
; COMPUTE_PGM_RSRC2:USER_SGPR: 6
; COMPUTE_PGM_RSRC2:TRAP_HANDLER: 0
; COMPUTE_PGM_RSRC2:TGID_X_EN: 1
; COMPUTE_PGM_RSRC2:TGID_Y_EN: 0
; COMPUTE_PGM_RSRC2:TGID_Z_EN: 0
; COMPUTE_PGM_RSRC2:TIDIG_COMP_CNT: 0
; COMPUTE_PGM_RSRC3_GFX90A:ACCUM_OFFSET: 0
; COMPUTE_PGM_RSRC3_GFX90A:TG_SPLIT: 0
	.section	.text._ZN7rocprim17ROCPRIM_400000_NS6detail17trampoline_kernelINS0_14default_configENS1_38merge_sort_block_merge_config_selectorIcNS0_10empty_typeEEEZZNS1_27merge_sort_block_merge_implIS3_N6thrust23THRUST_200600_302600_NS6detail15normal_iteratorINS9_10device_ptrIcEEEEPS5_m14custom_greaterIcEEE10hipError_tT0_T1_T2_jT3_P12ihipStream_tbPNSt15iterator_traitsISJ_E10value_typeEPNSP_ISK_E10value_typeEPSL_NS1_7vsmem_tEENKUlT_SJ_SK_SL_E_clISE_PcSF_SF_EESI_SY_SJ_SK_SL_EUlSY_E1_NS1_11comp_targetILNS1_3genE4ELNS1_11target_archE910ELNS1_3gpuE8ELNS1_3repE0EEENS1_36merge_oddeven_config_static_selectorELNS0_4arch9wavefront6targetE1EEEvSK_,"axG",@progbits,_ZN7rocprim17ROCPRIM_400000_NS6detail17trampoline_kernelINS0_14default_configENS1_38merge_sort_block_merge_config_selectorIcNS0_10empty_typeEEEZZNS1_27merge_sort_block_merge_implIS3_N6thrust23THRUST_200600_302600_NS6detail15normal_iteratorINS9_10device_ptrIcEEEEPS5_m14custom_greaterIcEEE10hipError_tT0_T1_T2_jT3_P12ihipStream_tbPNSt15iterator_traitsISJ_E10value_typeEPNSP_ISK_E10value_typeEPSL_NS1_7vsmem_tEENKUlT_SJ_SK_SL_E_clISE_PcSF_SF_EESI_SY_SJ_SK_SL_EUlSY_E1_NS1_11comp_targetILNS1_3genE4ELNS1_11target_archE910ELNS1_3gpuE8ELNS1_3repE0EEENS1_36merge_oddeven_config_static_selectorELNS0_4arch9wavefront6targetE1EEEvSK_,comdat
	.protected	_ZN7rocprim17ROCPRIM_400000_NS6detail17trampoline_kernelINS0_14default_configENS1_38merge_sort_block_merge_config_selectorIcNS0_10empty_typeEEEZZNS1_27merge_sort_block_merge_implIS3_N6thrust23THRUST_200600_302600_NS6detail15normal_iteratorINS9_10device_ptrIcEEEEPS5_m14custom_greaterIcEEE10hipError_tT0_T1_T2_jT3_P12ihipStream_tbPNSt15iterator_traitsISJ_E10value_typeEPNSP_ISK_E10value_typeEPSL_NS1_7vsmem_tEENKUlT_SJ_SK_SL_E_clISE_PcSF_SF_EESI_SY_SJ_SK_SL_EUlSY_E1_NS1_11comp_targetILNS1_3genE4ELNS1_11target_archE910ELNS1_3gpuE8ELNS1_3repE0EEENS1_36merge_oddeven_config_static_selectorELNS0_4arch9wavefront6targetE1EEEvSK_ ; -- Begin function _ZN7rocprim17ROCPRIM_400000_NS6detail17trampoline_kernelINS0_14default_configENS1_38merge_sort_block_merge_config_selectorIcNS0_10empty_typeEEEZZNS1_27merge_sort_block_merge_implIS3_N6thrust23THRUST_200600_302600_NS6detail15normal_iteratorINS9_10device_ptrIcEEEEPS5_m14custom_greaterIcEEE10hipError_tT0_T1_T2_jT3_P12ihipStream_tbPNSt15iterator_traitsISJ_E10value_typeEPNSP_ISK_E10value_typeEPSL_NS1_7vsmem_tEENKUlT_SJ_SK_SL_E_clISE_PcSF_SF_EESI_SY_SJ_SK_SL_EUlSY_E1_NS1_11comp_targetILNS1_3genE4ELNS1_11target_archE910ELNS1_3gpuE8ELNS1_3repE0EEENS1_36merge_oddeven_config_static_selectorELNS0_4arch9wavefront6targetE1EEEvSK_
	.globl	_ZN7rocprim17ROCPRIM_400000_NS6detail17trampoline_kernelINS0_14default_configENS1_38merge_sort_block_merge_config_selectorIcNS0_10empty_typeEEEZZNS1_27merge_sort_block_merge_implIS3_N6thrust23THRUST_200600_302600_NS6detail15normal_iteratorINS9_10device_ptrIcEEEEPS5_m14custom_greaterIcEEE10hipError_tT0_T1_T2_jT3_P12ihipStream_tbPNSt15iterator_traitsISJ_E10value_typeEPNSP_ISK_E10value_typeEPSL_NS1_7vsmem_tEENKUlT_SJ_SK_SL_E_clISE_PcSF_SF_EESI_SY_SJ_SK_SL_EUlSY_E1_NS1_11comp_targetILNS1_3genE4ELNS1_11target_archE910ELNS1_3gpuE8ELNS1_3repE0EEENS1_36merge_oddeven_config_static_selectorELNS0_4arch9wavefront6targetE1EEEvSK_
	.p2align	8
	.type	_ZN7rocprim17ROCPRIM_400000_NS6detail17trampoline_kernelINS0_14default_configENS1_38merge_sort_block_merge_config_selectorIcNS0_10empty_typeEEEZZNS1_27merge_sort_block_merge_implIS3_N6thrust23THRUST_200600_302600_NS6detail15normal_iteratorINS9_10device_ptrIcEEEEPS5_m14custom_greaterIcEEE10hipError_tT0_T1_T2_jT3_P12ihipStream_tbPNSt15iterator_traitsISJ_E10value_typeEPNSP_ISK_E10value_typeEPSL_NS1_7vsmem_tEENKUlT_SJ_SK_SL_E_clISE_PcSF_SF_EESI_SY_SJ_SK_SL_EUlSY_E1_NS1_11comp_targetILNS1_3genE4ELNS1_11target_archE910ELNS1_3gpuE8ELNS1_3repE0EEENS1_36merge_oddeven_config_static_selectorELNS0_4arch9wavefront6targetE1EEEvSK_,@function
_ZN7rocprim17ROCPRIM_400000_NS6detail17trampoline_kernelINS0_14default_configENS1_38merge_sort_block_merge_config_selectorIcNS0_10empty_typeEEEZZNS1_27merge_sort_block_merge_implIS3_N6thrust23THRUST_200600_302600_NS6detail15normal_iteratorINS9_10device_ptrIcEEEEPS5_m14custom_greaterIcEEE10hipError_tT0_T1_T2_jT3_P12ihipStream_tbPNSt15iterator_traitsISJ_E10value_typeEPNSP_ISK_E10value_typeEPSL_NS1_7vsmem_tEENKUlT_SJ_SK_SL_E_clISE_PcSF_SF_EESI_SY_SJ_SK_SL_EUlSY_E1_NS1_11comp_targetILNS1_3genE4ELNS1_11target_archE910ELNS1_3gpuE8ELNS1_3repE0EEENS1_36merge_oddeven_config_static_selectorELNS0_4arch9wavefront6targetE1EEEvSK_: ; @_ZN7rocprim17ROCPRIM_400000_NS6detail17trampoline_kernelINS0_14default_configENS1_38merge_sort_block_merge_config_selectorIcNS0_10empty_typeEEEZZNS1_27merge_sort_block_merge_implIS3_N6thrust23THRUST_200600_302600_NS6detail15normal_iteratorINS9_10device_ptrIcEEEEPS5_m14custom_greaterIcEEE10hipError_tT0_T1_T2_jT3_P12ihipStream_tbPNSt15iterator_traitsISJ_E10value_typeEPNSP_ISK_E10value_typeEPSL_NS1_7vsmem_tEENKUlT_SJ_SK_SL_E_clISE_PcSF_SF_EESI_SY_SJ_SK_SL_EUlSY_E1_NS1_11comp_targetILNS1_3genE4ELNS1_11target_archE910ELNS1_3gpuE8ELNS1_3repE0EEENS1_36merge_oddeven_config_static_selectorELNS0_4arch9wavefront6targetE1EEEvSK_
; %bb.0:
	s_load_dword s17, s[4:5], 0x20
	s_waitcnt lgkmcnt(0)
	s_lshr_b32 s0, s17, 8
	s_cmp_lg_u32 s6, s0
	s_cselect_b64 s[14:15], -1, 0
	s_cmp_eq_u32 s6, s0
	s_cselect_b64 s[12:13], -1, 0
	s_lshl_b32 s7, s6, 8
	s_sub_i32 s0, s17, s7
	v_cmp_gt_u32_e64 s[2:3], s0, v0
	s_or_b64 s[0:1], s[14:15], s[2:3]
	s_and_saveexec_b64 s[8:9], s[0:1]
	s_cbranch_execz .LBB2752_20
; %bb.1:
	s_load_dwordx4 s[8:11], s[4:5], 0x0
	s_load_dword s18, s[4:5], 0x28
	v_add_u32_e32 v2, s7, v0
	s_waitcnt lgkmcnt(0)
	s_add_u32 s0, s8, s7
	s_addc_u32 s1, s9, 0
	global_load_sbyte v1, v0, s[0:1]
	s_lshr_b32 s0, s18, 8
	s_sub_i32 s1, 0, s0
	s_and_b32 s1, s6, s1
	s_and_b32 s0, s1, s0
	s_lshl_b32 s19, s1, 8
	s_sub_i32 s6, 0, s18
	s_cmp_eq_u32 s0, 0
	s_cselect_b64 s[0:1], -1, 0
	s_and_b64 s[4:5], s[0:1], exec
	s_cselect_b32 s16, s18, s6
	s_add_i32 s16, s16, s19
	s_cmp_lt_u32 s16, s17
	s_cbranch_scc1 .LBB2752_3
; %bb.2:
	v_cmp_gt_u32_e32 vcc, s17, v2
	s_or_b64 s[4:5], vcc, s[14:15]
	s_and_b64 s[4:5], s[4:5], exec
	s_cbranch_execz .LBB2752_4
	s_branch .LBB2752_18
.LBB2752_3:
	s_mov_b64 s[4:5], 0
.LBB2752_4:
	s_min_u32 s14, s16, s17
	s_add_i32 s6, s14, s18
	s_min_u32 s15, s6, s17
	s_min_u32 s6, s19, s14
	s_add_i32 s19, s19, s14
	v_subrev_u32_e32 v0, s19, v2
	v_add_u32_e32 v0, s6, v0
	s_and_b64 vcc, exec, s[12:13]
	s_cbranch_vccz .LBB2752_12
; %bb.5:
                                        ; implicit-def: $vgpr2
	s_and_saveexec_b64 s[6:7], s[2:3]
	s_cbranch_execz .LBB2752_11
; %bb.6:
	s_cmp_ge_u32 s16, s15
	v_mov_b32_e32 v2, s14
	s_cbranch_scc1 .LBB2752_10
; %bb.7:
	s_mov_b64 s[2:3], 0
	v_mov_b32_e32 v3, s15
	v_mov_b32_e32 v2, s14
.LBB2752_8:                             ; =>This Inner Loop Header: Depth=1
	v_add_u32_e32 v4, v2, v3
	v_lshrrev_b32_e32 v4, 1, v4
	global_load_sbyte v5, v4, s[8:9]
	v_add_u32_e32 v6, 1, v4
	s_waitcnt vmcnt(0)
	v_cmp_gt_i16_e32 vcc, v1, v5
	v_cndmask_b32_e64 v7, 0, 1, vcc
	v_cmp_le_i16_e32 vcc, v5, v1
	v_cndmask_b32_e64 v5, 0, 1, vcc
	v_cndmask_b32_e64 v5, v5, v7, s[0:1]
	v_and_b32_e32 v5, 1, v5
	v_cmp_eq_u32_e32 vcc, 1, v5
	v_cndmask_b32_e32 v3, v4, v3, vcc
	v_cndmask_b32_e32 v2, v2, v6, vcc
	v_cmp_ge_u32_e32 vcc, v2, v3
	s_or_b64 s[2:3], vcc, s[2:3]
	s_andn2_b64 exec, exec, s[2:3]
	s_cbranch_execnz .LBB2752_8
; %bb.9:
	s_or_b64 exec, exec, s[2:3]
.LBB2752_10:
	v_add_u32_e32 v2, v2, v0
	s_or_b64 s[4:5], s[4:5], exec
.LBB2752_11:
	s_or_b64 exec, exec, s[6:7]
	s_branch .LBB2752_18
.LBB2752_12:
                                        ; implicit-def: $vgpr2
	s_cbranch_execz .LBB2752_18
; %bb.13:
	s_cmp_ge_u32 s16, s15
	v_mov_b32_e32 v2, s14
	s_cbranch_scc1 .LBB2752_17
; %bb.14:
	s_mov_b64 s[2:3], 0
	v_mov_b32_e32 v3, s15
	v_mov_b32_e32 v2, s14
.LBB2752_15:                            ; =>This Inner Loop Header: Depth=1
	v_add_u32_e32 v4, v2, v3
	v_lshrrev_b32_e32 v4, 1, v4
	global_load_sbyte v5, v4, s[8:9]
	v_add_u32_e32 v6, 1, v4
	s_waitcnt vmcnt(0)
	v_cmp_gt_i16_e32 vcc, v1, v5
	v_cndmask_b32_e64 v7, 0, 1, vcc
	v_cmp_le_i16_e32 vcc, v5, v1
	v_cndmask_b32_e64 v5, 0, 1, vcc
	v_cndmask_b32_e64 v5, v5, v7, s[0:1]
	v_and_b32_e32 v5, 1, v5
	v_cmp_eq_u32_e32 vcc, 1, v5
	v_cndmask_b32_e32 v3, v4, v3, vcc
	v_cndmask_b32_e32 v2, v2, v6, vcc
	v_cmp_ge_u32_e32 vcc, v2, v3
	s_or_b64 s[2:3], vcc, s[2:3]
	s_andn2_b64 exec, exec, s[2:3]
	s_cbranch_execnz .LBB2752_15
; %bb.16:
	s_or_b64 exec, exec, s[2:3]
.LBB2752_17:
	v_add_u32_e32 v2, v2, v0
	s_mov_b64 s[4:5], -1
.LBB2752_18:
	s_and_b64 exec, exec, s[4:5]
	s_cbranch_execz .LBB2752_20
; %bb.19:
	s_waitcnt vmcnt(0)
	global_store_byte v2, v1, s[10:11]
.LBB2752_20:
	s_endpgm
	.section	.rodata,"a",@progbits
	.p2align	6, 0x0
	.amdhsa_kernel _ZN7rocprim17ROCPRIM_400000_NS6detail17trampoline_kernelINS0_14default_configENS1_38merge_sort_block_merge_config_selectorIcNS0_10empty_typeEEEZZNS1_27merge_sort_block_merge_implIS3_N6thrust23THRUST_200600_302600_NS6detail15normal_iteratorINS9_10device_ptrIcEEEEPS5_m14custom_greaterIcEEE10hipError_tT0_T1_T2_jT3_P12ihipStream_tbPNSt15iterator_traitsISJ_E10value_typeEPNSP_ISK_E10value_typeEPSL_NS1_7vsmem_tEENKUlT_SJ_SK_SL_E_clISE_PcSF_SF_EESI_SY_SJ_SK_SL_EUlSY_E1_NS1_11comp_targetILNS1_3genE4ELNS1_11target_archE910ELNS1_3gpuE8ELNS1_3repE0EEENS1_36merge_oddeven_config_static_selectorELNS0_4arch9wavefront6targetE1EEEvSK_
		.amdhsa_group_segment_fixed_size 0
		.amdhsa_private_segment_fixed_size 0
		.amdhsa_kernarg_size 56
		.amdhsa_user_sgpr_count 6
		.amdhsa_user_sgpr_private_segment_buffer 1
		.amdhsa_user_sgpr_dispatch_ptr 0
		.amdhsa_user_sgpr_queue_ptr 0
		.amdhsa_user_sgpr_kernarg_segment_ptr 1
		.amdhsa_user_sgpr_dispatch_id 0
		.amdhsa_user_sgpr_flat_scratch_init 0
		.amdhsa_user_sgpr_kernarg_preload_length 0
		.amdhsa_user_sgpr_kernarg_preload_offset 0
		.amdhsa_user_sgpr_private_segment_size 0
		.amdhsa_uses_dynamic_stack 0
		.amdhsa_system_sgpr_private_segment_wavefront_offset 0
		.amdhsa_system_sgpr_workgroup_id_x 1
		.amdhsa_system_sgpr_workgroup_id_y 0
		.amdhsa_system_sgpr_workgroup_id_z 0
		.amdhsa_system_sgpr_workgroup_info 0
		.amdhsa_system_vgpr_workitem_id 0
		.amdhsa_next_free_vgpr 8
		.amdhsa_next_free_sgpr 20
		.amdhsa_accum_offset 8
		.amdhsa_reserve_vcc 1
		.amdhsa_reserve_flat_scratch 0
		.amdhsa_float_round_mode_32 0
		.amdhsa_float_round_mode_16_64 0
		.amdhsa_float_denorm_mode_32 3
		.amdhsa_float_denorm_mode_16_64 3
		.amdhsa_dx10_clamp 1
		.amdhsa_ieee_mode 1
		.amdhsa_fp16_overflow 0
		.amdhsa_tg_split 0
		.amdhsa_exception_fp_ieee_invalid_op 0
		.amdhsa_exception_fp_denorm_src 0
		.amdhsa_exception_fp_ieee_div_zero 0
		.amdhsa_exception_fp_ieee_overflow 0
		.amdhsa_exception_fp_ieee_underflow 0
		.amdhsa_exception_fp_ieee_inexact 0
		.amdhsa_exception_int_div_zero 0
	.end_amdhsa_kernel
	.section	.text._ZN7rocprim17ROCPRIM_400000_NS6detail17trampoline_kernelINS0_14default_configENS1_38merge_sort_block_merge_config_selectorIcNS0_10empty_typeEEEZZNS1_27merge_sort_block_merge_implIS3_N6thrust23THRUST_200600_302600_NS6detail15normal_iteratorINS9_10device_ptrIcEEEEPS5_m14custom_greaterIcEEE10hipError_tT0_T1_T2_jT3_P12ihipStream_tbPNSt15iterator_traitsISJ_E10value_typeEPNSP_ISK_E10value_typeEPSL_NS1_7vsmem_tEENKUlT_SJ_SK_SL_E_clISE_PcSF_SF_EESI_SY_SJ_SK_SL_EUlSY_E1_NS1_11comp_targetILNS1_3genE4ELNS1_11target_archE910ELNS1_3gpuE8ELNS1_3repE0EEENS1_36merge_oddeven_config_static_selectorELNS0_4arch9wavefront6targetE1EEEvSK_,"axG",@progbits,_ZN7rocprim17ROCPRIM_400000_NS6detail17trampoline_kernelINS0_14default_configENS1_38merge_sort_block_merge_config_selectorIcNS0_10empty_typeEEEZZNS1_27merge_sort_block_merge_implIS3_N6thrust23THRUST_200600_302600_NS6detail15normal_iteratorINS9_10device_ptrIcEEEEPS5_m14custom_greaterIcEEE10hipError_tT0_T1_T2_jT3_P12ihipStream_tbPNSt15iterator_traitsISJ_E10value_typeEPNSP_ISK_E10value_typeEPSL_NS1_7vsmem_tEENKUlT_SJ_SK_SL_E_clISE_PcSF_SF_EESI_SY_SJ_SK_SL_EUlSY_E1_NS1_11comp_targetILNS1_3genE4ELNS1_11target_archE910ELNS1_3gpuE8ELNS1_3repE0EEENS1_36merge_oddeven_config_static_selectorELNS0_4arch9wavefront6targetE1EEEvSK_,comdat
.Lfunc_end2752:
	.size	_ZN7rocprim17ROCPRIM_400000_NS6detail17trampoline_kernelINS0_14default_configENS1_38merge_sort_block_merge_config_selectorIcNS0_10empty_typeEEEZZNS1_27merge_sort_block_merge_implIS3_N6thrust23THRUST_200600_302600_NS6detail15normal_iteratorINS9_10device_ptrIcEEEEPS5_m14custom_greaterIcEEE10hipError_tT0_T1_T2_jT3_P12ihipStream_tbPNSt15iterator_traitsISJ_E10value_typeEPNSP_ISK_E10value_typeEPSL_NS1_7vsmem_tEENKUlT_SJ_SK_SL_E_clISE_PcSF_SF_EESI_SY_SJ_SK_SL_EUlSY_E1_NS1_11comp_targetILNS1_3genE4ELNS1_11target_archE910ELNS1_3gpuE8ELNS1_3repE0EEENS1_36merge_oddeven_config_static_selectorELNS0_4arch9wavefront6targetE1EEEvSK_, .Lfunc_end2752-_ZN7rocprim17ROCPRIM_400000_NS6detail17trampoline_kernelINS0_14default_configENS1_38merge_sort_block_merge_config_selectorIcNS0_10empty_typeEEEZZNS1_27merge_sort_block_merge_implIS3_N6thrust23THRUST_200600_302600_NS6detail15normal_iteratorINS9_10device_ptrIcEEEEPS5_m14custom_greaterIcEEE10hipError_tT0_T1_T2_jT3_P12ihipStream_tbPNSt15iterator_traitsISJ_E10value_typeEPNSP_ISK_E10value_typeEPSL_NS1_7vsmem_tEENKUlT_SJ_SK_SL_E_clISE_PcSF_SF_EESI_SY_SJ_SK_SL_EUlSY_E1_NS1_11comp_targetILNS1_3genE4ELNS1_11target_archE910ELNS1_3gpuE8ELNS1_3repE0EEENS1_36merge_oddeven_config_static_selectorELNS0_4arch9wavefront6targetE1EEEvSK_
                                        ; -- End function
	.section	.AMDGPU.csdata,"",@progbits
; Kernel info:
; codeLenInByte = 504
; NumSgprs: 24
; NumVgprs: 8
; NumAgprs: 0
; TotalNumVgprs: 8
; ScratchSize: 0
; MemoryBound: 0
; FloatMode: 240
; IeeeMode: 1
; LDSByteSize: 0 bytes/workgroup (compile time only)
; SGPRBlocks: 2
; VGPRBlocks: 0
; NumSGPRsForWavesPerEU: 24
; NumVGPRsForWavesPerEU: 8
; AccumOffset: 8
; Occupancy: 8
; WaveLimiterHint : 0
; COMPUTE_PGM_RSRC2:SCRATCH_EN: 0
; COMPUTE_PGM_RSRC2:USER_SGPR: 6
; COMPUTE_PGM_RSRC2:TRAP_HANDLER: 0
; COMPUTE_PGM_RSRC2:TGID_X_EN: 1
; COMPUTE_PGM_RSRC2:TGID_Y_EN: 0
; COMPUTE_PGM_RSRC2:TGID_Z_EN: 0
; COMPUTE_PGM_RSRC2:TIDIG_COMP_CNT: 0
; COMPUTE_PGM_RSRC3_GFX90A:ACCUM_OFFSET: 1
; COMPUTE_PGM_RSRC3_GFX90A:TG_SPLIT: 0
	.section	.text._ZN7rocprim17ROCPRIM_400000_NS6detail17trampoline_kernelINS0_14default_configENS1_38merge_sort_block_merge_config_selectorIcNS0_10empty_typeEEEZZNS1_27merge_sort_block_merge_implIS3_N6thrust23THRUST_200600_302600_NS6detail15normal_iteratorINS9_10device_ptrIcEEEEPS5_m14custom_greaterIcEEE10hipError_tT0_T1_T2_jT3_P12ihipStream_tbPNSt15iterator_traitsISJ_E10value_typeEPNSP_ISK_E10value_typeEPSL_NS1_7vsmem_tEENKUlT_SJ_SK_SL_E_clISE_PcSF_SF_EESI_SY_SJ_SK_SL_EUlSY_E1_NS1_11comp_targetILNS1_3genE3ELNS1_11target_archE908ELNS1_3gpuE7ELNS1_3repE0EEENS1_36merge_oddeven_config_static_selectorELNS0_4arch9wavefront6targetE1EEEvSK_,"axG",@progbits,_ZN7rocprim17ROCPRIM_400000_NS6detail17trampoline_kernelINS0_14default_configENS1_38merge_sort_block_merge_config_selectorIcNS0_10empty_typeEEEZZNS1_27merge_sort_block_merge_implIS3_N6thrust23THRUST_200600_302600_NS6detail15normal_iteratorINS9_10device_ptrIcEEEEPS5_m14custom_greaterIcEEE10hipError_tT0_T1_T2_jT3_P12ihipStream_tbPNSt15iterator_traitsISJ_E10value_typeEPNSP_ISK_E10value_typeEPSL_NS1_7vsmem_tEENKUlT_SJ_SK_SL_E_clISE_PcSF_SF_EESI_SY_SJ_SK_SL_EUlSY_E1_NS1_11comp_targetILNS1_3genE3ELNS1_11target_archE908ELNS1_3gpuE7ELNS1_3repE0EEENS1_36merge_oddeven_config_static_selectorELNS0_4arch9wavefront6targetE1EEEvSK_,comdat
	.protected	_ZN7rocprim17ROCPRIM_400000_NS6detail17trampoline_kernelINS0_14default_configENS1_38merge_sort_block_merge_config_selectorIcNS0_10empty_typeEEEZZNS1_27merge_sort_block_merge_implIS3_N6thrust23THRUST_200600_302600_NS6detail15normal_iteratorINS9_10device_ptrIcEEEEPS5_m14custom_greaterIcEEE10hipError_tT0_T1_T2_jT3_P12ihipStream_tbPNSt15iterator_traitsISJ_E10value_typeEPNSP_ISK_E10value_typeEPSL_NS1_7vsmem_tEENKUlT_SJ_SK_SL_E_clISE_PcSF_SF_EESI_SY_SJ_SK_SL_EUlSY_E1_NS1_11comp_targetILNS1_3genE3ELNS1_11target_archE908ELNS1_3gpuE7ELNS1_3repE0EEENS1_36merge_oddeven_config_static_selectorELNS0_4arch9wavefront6targetE1EEEvSK_ ; -- Begin function _ZN7rocprim17ROCPRIM_400000_NS6detail17trampoline_kernelINS0_14default_configENS1_38merge_sort_block_merge_config_selectorIcNS0_10empty_typeEEEZZNS1_27merge_sort_block_merge_implIS3_N6thrust23THRUST_200600_302600_NS6detail15normal_iteratorINS9_10device_ptrIcEEEEPS5_m14custom_greaterIcEEE10hipError_tT0_T1_T2_jT3_P12ihipStream_tbPNSt15iterator_traitsISJ_E10value_typeEPNSP_ISK_E10value_typeEPSL_NS1_7vsmem_tEENKUlT_SJ_SK_SL_E_clISE_PcSF_SF_EESI_SY_SJ_SK_SL_EUlSY_E1_NS1_11comp_targetILNS1_3genE3ELNS1_11target_archE908ELNS1_3gpuE7ELNS1_3repE0EEENS1_36merge_oddeven_config_static_selectorELNS0_4arch9wavefront6targetE1EEEvSK_
	.globl	_ZN7rocprim17ROCPRIM_400000_NS6detail17trampoline_kernelINS0_14default_configENS1_38merge_sort_block_merge_config_selectorIcNS0_10empty_typeEEEZZNS1_27merge_sort_block_merge_implIS3_N6thrust23THRUST_200600_302600_NS6detail15normal_iteratorINS9_10device_ptrIcEEEEPS5_m14custom_greaterIcEEE10hipError_tT0_T1_T2_jT3_P12ihipStream_tbPNSt15iterator_traitsISJ_E10value_typeEPNSP_ISK_E10value_typeEPSL_NS1_7vsmem_tEENKUlT_SJ_SK_SL_E_clISE_PcSF_SF_EESI_SY_SJ_SK_SL_EUlSY_E1_NS1_11comp_targetILNS1_3genE3ELNS1_11target_archE908ELNS1_3gpuE7ELNS1_3repE0EEENS1_36merge_oddeven_config_static_selectorELNS0_4arch9wavefront6targetE1EEEvSK_
	.p2align	8
	.type	_ZN7rocprim17ROCPRIM_400000_NS6detail17trampoline_kernelINS0_14default_configENS1_38merge_sort_block_merge_config_selectorIcNS0_10empty_typeEEEZZNS1_27merge_sort_block_merge_implIS3_N6thrust23THRUST_200600_302600_NS6detail15normal_iteratorINS9_10device_ptrIcEEEEPS5_m14custom_greaterIcEEE10hipError_tT0_T1_T2_jT3_P12ihipStream_tbPNSt15iterator_traitsISJ_E10value_typeEPNSP_ISK_E10value_typeEPSL_NS1_7vsmem_tEENKUlT_SJ_SK_SL_E_clISE_PcSF_SF_EESI_SY_SJ_SK_SL_EUlSY_E1_NS1_11comp_targetILNS1_3genE3ELNS1_11target_archE908ELNS1_3gpuE7ELNS1_3repE0EEENS1_36merge_oddeven_config_static_selectorELNS0_4arch9wavefront6targetE1EEEvSK_,@function
_ZN7rocprim17ROCPRIM_400000_NS6detail17trampoline_kernelINS0_14default_configENS1_38merge_sort_block_merge_config_selectorIcNS0_10empty_typeEEEZZNS1_27merge_sort_block_merge_implIS3_N6thrust23THRUST_200600_302600_NS6detail15normal_iteratorINS9_10device_ptrIcEEEEPS5_m14custom_greaterIcEEE10hipError_tT0_T1_T2_jT3_P12ihipStream_tbPNSt15iterator_traitsISJ_E10value_typeEPNSP_ISK_E10value_typeEPSL_NS1_7vsmem_tEENKUlT_SJ_SK_SL_E_clISE_PcSF_SF_EESI_SY_SJ_SK_SL_EUlSY_E1_NS1_11comp_targetILNS1_3genE3ELNS1_11target_archE908ELNS1_3gpuE7ELNS1_3repE0EEENS1_36merge_oddeven_config_static_selectorELNS0_4arch9wavefront6targetE1EEEvSK_: ; @_ZN7rocprim17ROCPRIM_400000_NS6detail17trampoline_kernelINS0_14default_configENS1_38merge_sort_block_merge_config_selectorIcNS0_10empty_typeEEEZZNS1_27merge_sort_block_merge_implIS3_N6thrust23THRUST_200600_302600_NS6detail15normal_iteratorINS9_10device_ptrIcEEEEPS5_m14custom_greaterIcEEE10hipError_tT0_T1_T2_jT3_P12ihipStream_tbPNSt15iterator_traitsISJ_E10value_typeEPNSP_ISK_E10value_typeEPSL_NS1_7vsmem_tEENKUlT_SJ_SK_SL_E_clISE_PcSF_SF_EESI_SY_SJ_SK_SL_EUlSY_E1_NS1_11comp_targetILNS1_3genE3ELNS1_11target_archE908ELNS1_3gpuE7ELNS1_3repE0EEENS1_36merge_oddeven_config_static_selectorELNS0_4arch9wavefront6targetE1EEEvSK_
; %bb.0:
	.section	.rodata,"a",@progbits
	.p2align	6, 0x0
	.amdhsa_kernel _ZN7rocprim17ROCPRIM_400000_NS6detail17trampoline_kernelINS0_14default_configENS1_38merge_sort_block_merge_config_selectorIcNS0_10empty_typeEEEZZNS1_27merge_sort_block_merge_implIS3_N6thrust23THRUST_200600_302600_NS6detail15normal_iteratorINS9_10device_ptrIcEEEEPS5_m14custom_greaterIcEEE10hipError_tT0_T1_T2_jT3_P12ihipStream_tbPNSt15iterator_traitsISJ_E10value_typeEPNSP_ISK_E10value_typeEPSL_NS1_7vsmem_tEENKUlT_SJ_SK_SL_E_clISE_PcSF_SF_EESI_SY_SJ_SK_SL_EUlSY_E1_NS1_11comp_targetILNS1_3genE3ELNS1_11target_archE908ELNS1_3gpuE7ELNS1_3repE0EEENS1_36merge_oddeven_config_static_selectorELNS0_4arch9wavefront6targetE1EEEvSK_
		.amdhsa_group_segment_fixed_size 0
		.amdhsa_private_segment_fixed_size 0
		.amdhsa_kernarg_size 56
		.amdhsa_user_sgpr_count 6
		.amdhsa_user_sgpr_private_segment_buffer 1
		.amdhsa_user_sgpr_dispatch_ptr 0
		.amdhsa_user_sgpr_queue_ptr 0
		.amdhsa_user_sgpr_kernarg_segment_ptr 1
		.amdhsa_user_sgpr_dispatch_id 0
		.amdhsa_user_sgpr_flat_scratch_init 0
		.amdhsa_user_sgpr_kernarg_preload_length 0
		.amdhsa_user_sgpr_kernarg_preload_offset 0
		.amdhsa_user_sgpr_private_segment_size 0
		.amdhsa_uses_dynamic_stack 0
		.amdhsa_system_sgpr_private_segment_wavefront_offset 0
		.amdhsa_system_sgpr_workgroup_id_x 1
		.amdhsa_system_sgpr_workgroup_id_y 0
		.amdhsa_system_sgpr_workgroup_id_z 0
		.amdhsa_system_sgpr_workgroup_info 0
		.amdhsa_system_vgpr_workitem_id 0
		.amdhsa_next_free_vgpr 1
		.amdhsa_next_free_sgpr 0
		.amdhsa_accum_offset 4
		.amdhsa_reserve_vcc 0
		.amdhsa_reserve_flat_scratch 0
		.amdhsa_float_round_mode_32 0
		.amdhsa_float_round_mode_16_64 0
		.amdhsa_float_denorm_mode_32 3
		.amdhsa_float_denorm_mode_16_64 3
		.amdhsa_dx10_clamp 1
		.amdhsa_ieee_mode 1
		.amdhsa_fp16_overflow 0
		.amdhsa_tg_split 0
		.amdhsa_exception_fp_ieee_invalid_op 0
		.amdhsa_exception_fp_denorm_src 0
		.amdhsa_exception_fp_ieee_div_zero 0
		.amdhsa_exception_fp_ieee_overflow 0
		.amdhsa_exception_fp_ieee_underflow 0
		.amdhsa_exception_fp_ieee_inexact 0
		.amdhsa_exception_int_div_zero 0
	.end_amdhsa_kernel
	.section	.text._ZN7rocprim17ROCPRIM_400000_NS6detail17trampoline_kernelINS0_14default_configENS1_38merge_sort_block_merge_config_selectorIcNS0_10empty_typeEEEZZNS1_27merge_sort_block_merge_implIS3_N6thrust23THRUST_200600_302600_NS6detail15normal_iteratorINS9_10device_ptrIcEEEEPS5_m14custom_greaterIcEEE10hipError_tT0_T1_T2_jT3_P12ihipStream_tbPNSt15iterator_traitsISJ_E10value_typeEPNSP_ISK_E10value_typeEPSL_NS1_7vsmem_tEENKUlT_SJ_SK_SL_E_clISE_PcSF_SF_EESI_SY_SJ_SK_SL_EUlSY_E1_NS1_11comp_targetILNS1_3genE3ELNS1_11target_archE908ELNS1_3gpuE7ELNS1_3repE0EEENS1_36merge_oddeven_config_static_selectorELNS0_4arch9wavefront6targetE1EEEvSK_,"axG",@progbits,_ZN7rocprim17ROCPRIM_400000_NS6detail17trampoline_kernelINS0_14default_configENS1_38merge_sort_block_merge_config_selectorIcNS0_10empty_typeEEEZZNS1_27merge_sort_block_merge_implIS3_N6thrust23THRUST_200600_302600_NS6detail15normal_iteratorINS9_10device_ptrIcEEEEPS5_m14custom_greaterIcEEE10hipError_tT0_T1_T2_jT3_P12ihipStream_tbPNSt15iterator_traitsISJ_E10value_typeEPNSP_ISK_E10value_typeEPSL_NS1_7vsmem_tEENKUlT_SJ_SK_SL_E_clISE_PcSF_SF_EESI_SY_SJ_SK_SL_EUlSY_E1_NS1_11comp_targetILNS1_3genE3ELNS1_11target_archE908ELNS1_3gpuE7ELNS1_3repE0EEENS1_36merge_oddeven_config_static_selectorELNS0_4arch9wavefront6targetE1EEEvSK_,comdat
.Lfunc_end2753:
	.size	_ZN7rocprim17ROCPRIM_400000_NS6detail17trampoline_kernelINS0_14default_configENS1_38merge_sort_block_merge_config_selectorIcNS0_10empty_typeEEEZZNS1_27merge_sort_block_merge_implIS3_N6thrust23THRUST_200600_302600_NS6detail15normal_iteratorINS9_10device_ptrIcEEEEPS5_m14custom_greaterIcEEE10hipError_tT0_T1_T2_jT3_P12ihipStream_tbPNSt15iterator_traitsISJ_E10value_typeEPNSP_ISK_E10value_typeEPSL_NS1_7vsmem_tEENKUlT_SJ_SK_SL_E_clISE_PcSF_SF_EESI_SY_SJ_SK_SL_EUlSY_E1_NS1_11comp_targetILNS1_3genE3ELNS1_11target_archE908ELNS1_3gpuE7ELNS1_3repE0EEENS1_36merge_oddeven_config_static_selectorELNS0_4arch9wavefront6targetE1EEEvSK_, .Lfunc_end2753-_ZN7rocprim17ROCPRIM_400000_NS6detail17trampoline_kernelINS0_14default_configENS1_38merge_sort_block_merge_config_selectorIcNS0_10empty_typeEEEZZNS1_27merge_sort_block_merge_implIS3_N6thrust23THRUST_200600_302600_NS6detail15normal_iteratorINS9_10device_ptrIcEEEEPS5_m14custom_greaterIcEEE10hipError_tT0_T1_T2_jT3_P12ihipStream_tbPNSt15iterator_traitsISJ_E10value_typeEPNSP_ISK_E10value_typeEPSL_NS1_7vsmem_tEENKUlT_SJ_SK_SL_E_clISE_PcSF_SF_EESI_SY_SJ_SK_SL_EUlSY_E1_NS1_11comp_targetILNS1_3genE3ELNS1_11target_archE908ELNS1_3gpuE7ELNS1_3repE0EEENS1_36merge_oddeven_config_static_selectorELNS0_4arch9wavefront6targetE1EEEvSK_
                                        ; -- End function
	.section	.AMDGPU.csdata,"",@progbits
; Kernel info:
; codeLenInByte = 0
; NumSgprs: 4
; NumVgprs: 0
; NumAgprs: 0
; TotalNumVgprs: 0
; ScratchSize: 0
; MemoryBound: 0
; FloatMode: 240
; IeeeMode: 1
; LDSByteSize: 0 bytes/workgroup (compile time only)
; SGPRBlocks: 0
; VGPRBlocks: 0
; NumSGPRsForWavesPerEU: 4
; NumVGPRsForWavesPerEU: 1
; AccumOffset: 4
; Occupancy: 8
; WaveLimiterHint : 0
; COMPUTE_PGM_RSRC2:SCRATCH_EN: 0
; COMPUTE_PGM_RSRC2:USER_SGPR: 6
; COMPUTE_PGM_RSRC2:TRAP_HANDLER: 0
; COMPUTE_PGM_RSRC2:TGID_X_EN: 1
; COMPUTE_PGM_RSRC2:TGID_Y_EN: 0
; COMPUTE_PGM_RSRC2:TGID_Z_EN: 0
; COMPUTE_PGM_RSRC2:TIDIG_COMP_CNT: 0
; COMPUTE_PGM_RSRC3_GFX90A:ACCUM_OFFSET: 0
; COMPUTE_PGM_RSRC3_GFX90A:TG_SPLIT: 0
	.section	.text._ZN7rocprim17ROCPRIM_400000_NS6detail17trampoline_kernelINS0_14default_configENS1_38merge_sort_block_merge_config_selectorIcNS0_10empty_typeEEEZZNS1_27merge_sort_block_merge_implIS3_N6thrust23THRUST_200600_302600_NS6detail15normal_iteratorINS9_10device_ptrIcEEEEPS5_m14custom_greaterIcEEE10hipError_tT0_T1_T2_jT3_P12ihipStream_tbPNSt15iterator_traitsISJ_E10value_typeEPNSP_ISK_E10value_typeEPSL_NS1_7vsmem_tEENKUlT_SJ_SK_SL_E_clISE_PcSF_SF_EESI_SY_SJ_SK_SL_EUlSY_E1_NS1_11comp_targetILNS1_3genE2ELNS1_11target_archE906ELNS1_3gpuE6ELNS1_3repE0EEENS1_36merge_oddeven_config_static_selectorELNS0_4arch9wavefront6targetE1EEEvSK_,"axG",@progbits,_ZN7rocprim17ROCPRIM_400000_NS6detail17trampoline_kernelINS0_14default_configENS1_38merge_sort_block_merge_config_selectorIcNS0_10empty_typeEEEZZNS1_27merge_sort_block_merge_implIS3_N6thrust23THRUST_200600_302600_NS6detail15normal_iteratorINS9_10device_ptrIcEEEEPS5_m14custom_greaterIcEEE10hipError_tT0_T1_T2_jT3_P12ihipStream_tbPNSt15iterator_traitsISJ_E10value_typeEPNSP_ISK_E10value_typeEPSL_NS1_7vsmem_tEENKUlT_SJ_SK_SL_E_clISE_PcSF_SF_EESI_SY_SJ_SK_SL_EUlSY_E1_NS1_11comp_targetILNS1_3genE2ELNS1_11target_archE906ELNS1_3gpuE6ELNS1_3repE0EEENS1_36merge_oddeven_config_static_selectorELNS0_4arch9wavefront6targetE1EEEvSK_,comdat
	.protected	_ZN7rocprim17ROCPRIM_400000_NS6detail17trampoline_kernelINS0_14default_configENS1_38merge_sort_block_merge_config_selectorIcNS0_10empty_typeEEEZZNS1_27merge_sort_block_merge_implIS3_N6thrust23THRUST_200600_302600_NS6detail15normal_iteratorINS9_10device_ptrIcEEEEPS5_m14custom_greaterIcEEE10hipError_tT0_T1_T2_jT3_P12ihipStream_tbPNSt15iterator_traitsISJ_E10value_typeEPNSP_ISK_E10value_typeEPSL_NS1_7vsmem_tEENKUlT_SJ_SK_SL_E_clISE_PcSF_SF_EESI_SY_SJ_SK_SL_EUlSY_E1_NS1_11comp_targetILNS1_3genE2ELNS1_11target_archE906ELNS1_3gpuE6ELNS1_3repE0EEENS1_36merge_oddeven_config_static_selectorELNS0_4arch9wavefront6targetE1EEEvSK_ ; -- Begin function _ZN7rocprim17ROCPRIM_400000_NS6detail17trampoline_kernelINS0_14default_configENS1_38merge_sort_block_merge_config_selectorIcNS0_10empty_typeEEEZZNS1_27merge_sort_block_merge_implIS3_N6thrust23THRUST_200600_302600_NS6detail15normal_iteratorINS9_10device_ptrIcEEEEPS5_m14custom_greaterIcEEE10hipError_tT0_T1_T2_jT3_P12ihipStream_tbPNSt15iterator_traitsISJ_E10value_typeEPNSP_ISK_E10value_typeEPSL_NS1_7vsmem_tEENKUlT_SJ_SK_SL_E_clISE_PcSF_SF_EESI_SY_SJ_SK_SL_EUlSY_E1_NS1_11comp_targetILNS1_3genE2ELNS1_11target_archE906ELNS1_3gpuE6ELNS1_3repE0EEENS1_36merge_oddeven_config_static_selectorELNS0_4arch9wavefront6targetE1EEEvSK_
	.globl	_ZN7rocprim17ROCPRIM_400000_NS6detail17trampoline_kernelINS0_14default_configENS1_38merge_sort_block_merge_config_selectorIcNS0_10empty_typeEEEZZNS1_27merge_sort_block_merge_implIS3_N6thrust23THRUST_200600_302600_NS6detail15normal_iteratorINS9_10device_ptrIcEEEEPS5_m14custom_greaterIcEEE10hipError_tT0_T1_T2_jT3_P12ihipStream_tbPNSt15iterator_traitsISJ_E10value_typeEPNSP_ISK_E10value_typeEPSL_NS1_7vsmem_tEENKUlT_SJ_SK_SL_E_clISE_PcSF_SF_EESI_SY_SJ_SK_SL_EUlSY_E1_NS1_11comp_targetILNS1_3genE2ELNS1_11target_archE906ELNS1_3gpuE6ELNS1_3repE0EEENS1_36merge_oddeven_config_static_selectorELNS0_4arch9wavefront6targetE1EEEvSK_
	.p2align	8
	.type	_ZN7rocprim17ROCPRIM_400000_NS6detail17trampoline_kernelINS0_14default_configENS1_38merge_sort_block_merge_config_selectorIcNS0_10empty_typeEEEZZNS1_27merge_sort_block_merge_implIS3_N6thrust23THRUST_200600_302600_NS6detail15normal_iteratorINS9_10device_ptrIcEEEEPS5_m14custom_greaterIcEEE10hipError_tT0_T1_T2_jT3_P12ihipStream_tbPNSt15iterator_traitsISJ_E10value_typeEPNSP_ISK_E10value_typeEPSL_NS1_7vsmem_tEENKUlT_SJ_SK_SL_E_clISE_PcSF_SF_EESI_SY_SJ_SK_SL_EUlSY_E1_NS1_11comp_targetILNS1_3genE2ELNS1_11target_archE906ELNS1_3gpuE6ELNS1_3repE0EEENS1_36merge_oddeven_config_static_selectorELNS0_4arch9wavefront6targetE1EEEvSK_,@function
_ZN7rocprim17ROCPRIM_400000_NS6detail17trampoline_kernelINS0_14default_configENS1_38merge_sort_block_merge_config_selectorIcNS0_10empty_typeEEEZZNS1_27merge_sort_block_merge_implIS3_N6thrust23THRUST_200600_302600_NS6detail15normal_iteratorINS9_10device_ptrIcEEEEPS5_m14custom_greaterIcEEE10hipError_tT0_T1_T2_jT3_P12ihipStream_tbPNSt15iterator_traitsISJ_E10value_typeEPNSP_ISK_E10value_typeEPSL_NS1_7vsmem_tEENKUlT_SJ_SK_SL_E_clISE_PcSF_SF_EESI_SY_SJ_SK_SL_EUlSY_E1_NS1_11comp_targetILNS1_3genE2ELNS1_11target_archE906ELNS1_3gpuE6ELNS1_3repE0EEENS1_36merge_oddeven_config_static_selectorELNS0_4arch9wavefront6targetE1EEEvSK_: ; @_ZN7rocprim17ROCPRIM_400000_NS6detail17trampoline_kernelINS0_14default_configENS1_38merge_sort_block_merge_config_selectorIcNS0_10empty_typeEEEZZNS1_27merge_sort_block_merge_implIS3_N6thrust23THRUST_200600_302600_NS6detail15normal_iteratorINS9_10device_ptrIcEEEEPS5_m14custom_greaterIcEEE10hipError_tT0_T1_T2_jT3_P12ihipStream_tbPNSt15iterator_traitsISJ_E10value_typeEPNSP_ISK_E10value_typeEPSL_NS1_7vsmem_tEENKUlT_SJ_SK_SL_E_clISE_PcSF_SF_EESI_SY_SJ_SK_SL_EUlSY_E1_NS1_11comp_targetILNS1_3genE2ELNS1_11target_archE906ELNS1_3gpuE6ELNS1_3repE0EEENS1_36merge_oddeven_config_static_selectorELNS0_4arch9wavefront6targetE1EEEvSK_
; %bb.0:
	.section	.rodata,"a",@progbits
	.p2align	6, 0x0
	.amdhsa_kernel _ZN7rocprim17ROCPRIM_400000_NS6detail17trampoline_kernelINS0_14default_configENS1_38merge_sort_block_merge_config_selectorIcNS0_10empty_typeEEEZZNS1_27merge_sort_block_merge_implIS3_N6thrust23THRUST_200600_302600_NS6detail15normal_iteratorINS9_10device_ptrIcEEEEPS5_m14custom_greaterIcEEE10hipError_tT0_T1_T2_jT3_P12ihipStream_tbPNSt15iterator_traitsISJ_E10value_typeEPNSP_ISK_E10value_typeEPSL_NS1_7vsmem_tEENKUlT_SJ_SK_SL_E_clISE_PcSF_SF_EESI_SY_SJ_SK_SL_EUlSY_E1_NS1_11comp_targetILNS1_3genE2ELNS1_11target_archE906ELNS1_3gpuE6ELNS1_3repE0EEENS1_36merge_oddeven_config_static_selectorELNS0_4arch9wavefront6targetE1EEEvSK_
		.amdhsa_group_segment_fixed_size 0
		.amdhsa_private_segment_fixed_size 0
		.amdhsa_kernarg_size 56
		.amdhsa_user_sgpr_count 6
		.amdhsa_user_sgpr_private_segment_buffer 1
		.amdhsa_user_sgpr_dispatch_ptr 0
		.amdhsa_user_sgpr_queue_ptr 0
		.amdhsa_user_sgpr_kernarg_segment_ptr 1
		.amdhsa_user_sgpr_dispatch_id 0
		.amdhsa_user_sgpr_flat_scratch_init 0
		.amdhsa_user_sgpr_kernarg_preload_length 0
		.amdhsa_user_sgpr_kernarg_preload_offset 0
		.amdhsa_user_sgpr_private_segment_size 0
		.amdhsa_uses_dynamic_stack 0
		.amdhsa_system_sgpr_private_segment_wavefront_offset 0
		.amdhsa_system_sgpr_workgroup_id_x 1
		.amdhsa_system_sgpr_workgroup_id_y 0
		.amdhsa_system_sgpr_workgroup_id_z 0
		.amdhsa_system_sgpr_workgroup_info 0
		.amdhsa_system_vgpr_workitem_id 0
		.amdhsa_next_free_vgpr 1
		.amdhsa_next_free_sgpr 0
		.amdhsa_accum_offset 4
		.amdhsa_reserve_vcc 0
		.amdhsa_reserve_flat_scratch 0
		.amdhsa_float_round_mode_32 0
		.amdhsa_float_round_mode_16_64 0
		.amdhsa_float_denorm_mode_32 3
		.amdhsa_float_denorm_mode_16_64 3
		.amdhsa_dx10_clamp 1
		.amdhsa_ieee_mode 1
		.amdhsa_fp16_overflow 0
		.amdhsa_tg_split 0
		.amdhsa_exception_fp_ieee_invalid_op 0
		.amdhsa_exception_fp_denorm_src 0
		.amdhsa_exception_fp_ieee_div_zero 0
		.amdhsa_exception_fp_ieee_overflow 0
		.amdhsa_exception_fp_ieee_underflow 0
		.amdhsa_exception_fp_ieee_inexact 0
		.amdhsa_exception_int_div_zero 0
	.end_amdhsa_kernel
	.section	.text._ZN7rocprim17ROCPRIM_400000_NS6detail17trampoline_kernelINS0_14default_configENS1_38merge_sort_block_merge_config_selectorIcNS0_10empty_typeEEEZZNS1_27merge_sort_block_merge_implIS3_N6thrust23THRUST_200600_302600_NS6detail15normal_iteratorINS9_10device_ptrIcEEEEPS5_m14custom_greaterIcEEE10hipError_tT0_T1_T2_jT3_P12ihipStream_tbPNSt15iterator_traitsISJ_E10value_typeEPNSP_ISK_E10value_typeEPSL_NS1_7vsmem_tEENKUlT_SJ_SK_SL_E_clISE_PcSF_SF_EESI_SY_SJ_SK_SL_EUlSY_E1_NS1_11comp_targetILNS1_3genE2ELNS1_11target_archE906ELNS1_3gpuE6ELNS1_3repE0EEENS1_36merge_oddeven_config_static_selectorELNS0_4arch9wavefront6targetE1EEEvSK_,"axG",@progbits,_ZN7rocprim17ROCPRIM_400000_NS6detail17trampoline_kernelINS0_14default_configENS1_38merge_sort_block_merge_config_selectorIcNS0_10empty_typeEEEZZNS1_27merge_sort_block_merge_implIS3_N6thrust23THRUST_200600_302600_NS6detail15normal_iteratorINS9_10device_ptrIcEEEEPS5_m14custom_greaterIcEEE10hipError_tT0_T1_T2_jT3_P12ihipStream_tbPNSt15iterator_traitsISJ_E10value_typeEPNSP_ISK_E10value_typeEPSL_NS1_7vsmem_tEENKUlT_SJ_SK_SL_E_clISE_PcSF_SF_EESI_SY_SJ_SK_SL_EUlSY_E1_NS1_11comp_targetILNS1_3genE2ELNS1_11target_archE906ELNS1_3gpuE6ELNS1_3repE0EEENS1_36merge_oddeven_config_static_selectorELNS0_4arch9wavefront6targetE1EEEvSK_,comdat
.Lfunc_end2754:
	.size	_ZN7rocprim17ROCPRIM_400000_NS6detail17trampoline_kernelINS0_14default_configENS1_38merge_sort_block_merge_config_selectorIcNS0_10empty_typeEEEZZNS1_27merge_sort_block_merge_implIS3_N6thrust23THRUST_200600_302600_NS6detail15normal_iteratorINS9_10device_ptrIcEEEEPS5_m14custom_greaterIcEEE10hipError_tT0_T1_T2_jT3_P12ihipStream_tbPNSt15iterator_traitsISJ_E10value_typeEPNSP_ISK_E10value_typeEPSL_NS1_7vsmem_tEENKUlT_SJ_SK_SL_E_clISE_PcSF_SF_EESI_SY_SJ_SK_SL_EUlSY_E1_NS1_11comp_targetILNS1_3genE2ELNS1_11target_archE906ELNS1_3gpuE6ELNS1_3repE0EEENS1_36merge_oddeven_config_static_selectorELNS0_4arch9wavefront6targetE1EEEvSK_, .Lfunc_end2754-_ZN7rocprim17ROCPRIM_400000_NS6detail17trampoline_kernelINS0_14default_configENS1_38merge_sort_block_merge_config_selectorIcNS0_10empty_typeEEEZZNS1_27merge_sort_block_merge_implIS3_N6thrust23THRUST_200600_302600_NS6detail15normal_iteratorINS9_10device_ptrIcEEEEPS5_m14custom_greaterIcEEE10hipError_tT0_T1_T2_jT3_P12ihipStream_tbPNSt15iterator_traitsISJ_E10value_typeEPNSP_ISK_E10value_typeEPSL_NS1_7vsmem_tEENKUlT_SJ_SK_SL_E_clISE_PcSF_SF_EESI_SY_SJ_SK_SL_EUlSY_E1_NS1_11comp_targetILNS1_3genE2ELNS1_11target_archE906ELNS1_3gpuE6ELNS1_3repE0EEENS1_36merge_oddeven_config_static_selectorELNS0_4arch9wavefront6targetE1EEEvSK_
                                        ; -- End function
	.section	.AMDGPU.csdata,"",@progbits
; Kernel info:
; codeLenInByte = 0
; NumSgprs: 4
; NumVgprs: 0
; NumAgprs: 0
; TotalNumVgprs: 0
; ScratchSize: 0
; MemoryBound: 0
; FloatMode: 240
; IeeeMode: 1
; LDSByteSize: 0 bytes/workgroup (compile time only)
; SGPRBlocks: 0
; VGPRBlocks: 0
; NumSGPRsForWavesPerEU: 4
; NumVGPRsForWavesPerEU: 1
; AccumOffset: 4
; Occupancy: 8
; WaveLimiterHint : 0
; COMPUTE_PGM_RSRC2:SCRATCH_EN: 0
; COMPUTE_PGM_RSRC2:USER_SGPR: 6
; COMPUTE_PGM_RSRC2:TRAP_HANDLER: 0
; COMPUTE_PGM_RSRC2:TGID_X_EN: 1
; COMPUTE_PGM_RSRC2:TGID_Y_EN: 0
; COMPUTE_PGM_RSRC2:TGID_Z_EN: 0
; COMPUTE_PGM_RSRC2:TIDIG_COMP_CNT: 0
; COMPUTE_PGM_RSRC3_GFX90A:ACCUM_OFFSET: 0
; COMPUTE_PGM_RSRC3_GFX90A:TG_SPLIT: 0
	.section	.text._ZN7rocprim17ROCPRIM_400000_NS6detail17trampoline_kernelINS0_14default_configENS1_38merge_sort_block_merge_config_selectorIcNS0_10empty_typeEEEZZNS1_27merge_sort_block_merge_implIS3_N6thrust23THRUST_200600_302600_NS6detail15normal_iteratorINS9_10device_ptrIcEEEEPS5_m14custom_greaterIcEEE10hipError_tT0_T1_T2_jT3_P12ihipStream_tbPNSt15iterator_traitsISJ_E10value_typeEPNSP_ISK_E10value_typeEPSL_NS1_7vsmem_tEENKUlT_SJ_SK_SL_E_clISE_PcSF_SF_EESI_SY_SJ_SK_SL_EUlSY_E1_NS1_11comp_targetILNS1_3genE9ELNS1_11target_archE1100ELNS1_3gpuE3ELNS1_3repE0EEENS1_36merge_oddeven_config_static_selectorELNS0_4arch9wavefront6targetE1EEEvSK_,"axG",@progbits,_ZN7rocprim17ROCPRIM_400000_NS6detail17trampoline_kernelINS0_14default_configENS1_38merge_sort_block_merge_config_selectorIcNS0_10empty_typeEEEZZNS1_27merge_sort_block_merge_implIS3_N6thrust23THRUST_200600_302600_NS6detail15normal_iteratorINS9_10device_ptrIcEEEEPS5_m14custom_greaterIcEEE10hipError_tT0_T1_T2_jT3_P12ihipStream_tbPNSt15iterator_traitsISJ_E10value_typeEPNSP_ISK_E10value_typeEPSL_NS1_7vsmem_tEENKUlT_SJ_SK_SL_E_clISE_PcSF_SF_EESI_SY_SJ_SK_SL_EUlSY_E1_NS1_11comp_targetILNS1_3genE9ELNS1_11target_archE1100ELNS1_3gpuE3ELNS1_3repE0EEENS1_36merge_oddeven_config_static_selectorELNS0_4arch9wavefront6targetE1EEEvSK_,comdat
	.protected	_ZN7rocprim17ROCPRIM_400000_NS6detail17trampoline_kernelINS0_14default_configENS1_38merge_sort_block_merge_config_selectorIcNS0_10empty_typeEEEZZNS1_27merge_sort_block_merge_implIS3_N6thrust23THRUST_200600_302600_NS6detail15normal_iteratorINS9_10device_ptrIcEEEEPS5_m14custom_greaterIcEEE10hipError_tT0_T1_T2_jT3_P12ihipStream_tbPNSt15iterator_traitsISJ_E10value_typeEPNSP_ISK_E10value_typeEPSL_NS1_7vsmem_tEENKUlT_SJ_SK_SL_E_clISE_PcSF_SF_EESI_SY_SJ_SK_SL_EUlSY_E1_NS1_11comp_targetILNS1_3genE9ELNS1_11target_archE1100ELNS1_3gpuE3ELNS1_3repE0EEENS1_36merge_oddeven_config_static_selectorELNS0_4arch9wavefront6targetE1EEEvSK_ ; -- Begin function _ZN7rocprim17ROCPRIM_400000_NS6detail17trampoline_kernelINS0_14default_configENS1_38merge_sort_block_merge_config_selectorIcNS0_10empty_typeEEEZZNS1_27merge_sort_block_merge_implIS3_N6thrust23THRUST_200600_302600_NS6detail15normal_iteratorINS9_10device_ptrIcEEEEPS5_m14custom_greaterIcEEE10hipError_tT0_T1_T2_jT3_P12ihipStream_tbPNSt15iterator_traitsISJ_E10value_typeEPNSP_ISK_E10value_typeEPSL_NS1_7vsmem_tEENKUlT_SJ_SK_SL_E_clISE_PcSF_SF_EESI_SY_SJ_SK_SL_EUlSY_E1_NS1_11comp_targetILNS1_3genE9ELNS1_11target_archE1100ELNS1_3gpuE3ELNS1_3repE0EEENS1_36merge_oddeven_config_static_selectorELNS0_4arch9wavefront6targetE1EEEvSK_
	.globl	_ZN7rocprim17ROCPRIM_400000_NS6detail17trampoline_kernelINS0_14default_configENS1_38merge_sort_block_merge_config_selectorIcNS0_10empty_typeEEEZZNS1_27merge_sort_block_merge_implIS3_N6thrust23THRUST_200600_302600_NS6detail15normal_iteratorINS9_10device_ptrIcEEEEPS5_m14custom_greaterIcEEE10hipError_tT0_T1_T2_jT3_P12ihipStream_tbPNSt15iterator_traitsISJ_E10value_typeEPNSP_ISK_E10value_typeEPSL_NS1_7vsmem_tEENKUlT_SJ_SK_SL_E_clISE_PcSF_SF_EESI_SY_SJ_SK_SL_EUlSY_E1_NS1_11comp_targetILNS1_3genE9ELNS1_11target_archE1100ELNS1_3gpuE3ELNS1_3repE0EEENS1_36merge_oddeven_config_static_selectorELNS0_4arch9wavefront6targetE1EEEvSK_
	.p2align	8
	.type	_ZN7rocprim17ROCPRIM_400000_NS6detail17trampoline_kernelINS0_14default_configENS1_38merge_sort_block_merge_config_selectorIcNS0_10empty_typeEEEZZNS1_27merge_sort_block_merge_implIS3_N6thrust23THRUST_200600_302600_NS6detail15normal_iteratorINS9_10device_ptrIcEEEEPS5_m14custom_greaterIcEEE10hipError_tT0_T1_T2_jT3_P12ihipStream_tbPNSt15iterator_traitsISJ_E10value_typeEPNSP_ISK_E10value_typeEPSL_NS1_7vsmem_tEENKUlT_SJ_SK_SL_E_clISE_PcSF_SF_EESI_SY_SJ_SK_SL_EUlSY_E1_NS1_11comp_targetILNS1_3genE9ELNS1_11target_archE1100ELNS1_3gpuE3ELNS1_3repE0EEENS1_36merge_oddeven_config_static_selectorELNS0_4arch9wavefront6targetE1EEEvSK_,@function
_ZN7rocprim17ROCPRIM_400000_NS6detail17trampoline_kernelINS0_14default_configENS1_38merge_sort_block_merge_config_selectorIcNS0_10empty_typeEEEZZNS1_27merge_sort_block_merge_implIS3_N6thrust23THRUST_200600_302600_NS6detail15normal_iteratorINS9_10device_ptrIcEEEEPS5_m14custom_greaterIcEEE10hipError_tT0_T1_T2_jT3_P12ihipStream_tbPNSt15iterator_traitsISJ_E10value_typeEPNSP_ISK_E10value_typeEPSL_NS1_7vsmem_tEENKUlT_SJ_SK_SL_E_clISE_PcSF_SF_EESI_SY_SJ_SK_SL_EUlSY_E1_NS1_11comp_targetILNS1_3genE9ELNS1_11target_archE1100ELNS1_3gpuE3ELNS1_3repE0EEENS1_36merge_oddeven_config_static_selectorELNS0_4arch9wavefront6targetE1EEEvSK_: ; @_ZN7rocprim17ROCPRIM_400000_NS6detail17trampoline_kernelINS0_14default_configENS1_38merge_sort_block_merge_config_selectorIcNS0_10empty_typeEEEZZNS1_27merge_sort_block_merge_implIS3_N6thrust23THRUST_200600_302600_NS6detail15normal_iteratorINS9_10device_ptrIcEEEEPS5_m14custom_greaterIcEEE10hipError_tT0_T1_T2_jT3_P12ihipStream_tbPNSt15iterator_traitsISJ_E10value_typeEPNSP_ISK_E10value_typeEPSL_NS1_7vsmem_tEENKUlT_SJ_SK_SL_E_clISE_PcSF_SF_EESI_SY_SJ_SK_SL_EUlSY_E1_NS1_11comp_targetILNS1_3genE9ELNS1_11target_archE1100ELNS1_3gpuE3ELNS1_3repE0EEENS1_36merge_oddeven_config_static_selectorELNS0_4arch9wavefront6targetE1EEEvSK_
; %bb.0:
	.section	.rodata,"a",@progbits
	.p2align	6, 0x0
	.amdhsa_kernel _ZN7rocprim17ROCPRIM_400000_NS6detail17trampoline_kernelINS0_14default_configENS1_38merge_sort_block_merge_config_selectorIcNS0_10empty_typeEEEZZNS1_27merge_sort_block_merge_implIS3_N6thrust23THRUST_200600_302600_NS6detail15normal_iteratorINS9_10device_ptrIcEEEEPS5_m14custom_greaterIcEEE10hipError_tT0_T1_T2_jT3_P12ihipStream_tbPNSt15iterator_traitsISJ_E10value_typeEPNSP_ISK_E10value_typeEPSL_NS1_7vsmem_tEENKUlT_SJ_SK_SL_E_clISE_PcSF_SF_EESI_SY_SJ_SK_SL_EUlSY_E1_NS1_11comp_targetILNS1_3genE9ELNS1_11target_archE1100ELNS1_3gpuE3ELNS1_3repE0EEENS1_36merge_oddeven_config_static_selectorELNS0_4arch9wavefront6targetE1EEEvSK_
		.amdhsa_group_segment_fixed_size 0
		.amdhsa_private_segment_fixed_size 0
		.amdhsa_kernarg_size 56
		.amdhsa_user_sgpr_count 6
		.amdhsa_user_sgpr_private_segment_buffer 1
		.amdhsa_user_sgpr_dispatch_ptr 0
		.amdhsa_user_sgpr_queue_ptr 0
		.amdhsa_user_sgpr_kernarg_segment_ptr 1
		.amdhsa_user_sgpr_dispatch_id 0
		.amdhsa_user_sgpr_flat_scratch_init 0
		.amdhsa_user_sgpr_kernarg_preload_length 0
		.amdhsa_user_sgpr_kernarg_preload_offset 0
		.amdhsa_user_sgpr_private_segment_size 0
		.amdhsa_uses_dynamic_stack 0
		.amdhsa_system_sgpr_private_segment_wavefront_offset 0
		.amdhsa_system_sgpr_workgroup_id_x 1
		.amdhsa_system_sgpr_workgroup_id_y 0
		.amdhsa_system_sgpr_workgroup_id_z 0
		.amdhsa_system_sgpr_workgroup_info 0
		.amdhsa_system_vgpr_workitem_id 0
		.amdhsa_next_free_vgpr 1
		.amdhsa_next_free_sgpr 0
		.amdhsa_accum_offset 4
		.amdhsa_reserve_vcc 0
		.amdhsa_reserve_flat_scratch 0
		.amdhsa_float_round_mode_32 0
		.amdhsa_float_round_mode_16_64 0
		.amdhsa_float_denorm_mode_32 3
		.amdhsa_float_denorm_mode_16_64 3
		.amdhsa_dx10_clamp 1
		.amdhsa_ieee_mode 1
		.amdhsa_fp16_overflow 0
		.amdhsa_tg_split 0
		.amdhsa_exception_fp_ieee_invalid_op 0
		.amdhsa_exception_fp_denorm_src 0
		.amdhsa_exception_fp_ieee_div_zero 0
		.amdhsa_exception_fp_ieee_overflow 0
		.amdhsa_exception_fp_ieee_underflow 0
		.amdhsa_exception_fp_ieee_inexact 0
		.amdhsa_exception_int_div_zero 0
	.end_amdhsa_kernel
	.section	.text._ZN7rocprim17ROCPRIM_400000_NS6detail17trampoline_kernelINS0_14default_configENS1_38merge_sort_block_merge_config_selectorIcNS0_10empty_typeEEEZZNS1_27merge_sort_block_merge_implIS3_N6thrust23THRUST_200600_302600_NS6detail15normal_iteratorINS9_10device_ptrIcEEEEPS5_m14custom_greaterIcEEE10hipError_tT0_T1_T2_jT3_P12ihipStream_tbPNSt15iterator_traitsISJ_E10value_typeEPNSP_ISK_E10value_typeEPSL_NS1_7vsmem_tEENKUlT_SJ_SK_SL_E_clISE_PcSF_SF_EESI_SY_SJ_SK_SL_EUlSY_E1_NS1_11comp_targetILNS1_3genE9ELNS1_11target_archE1100ELNS1_3gpuE3ELNS1_3repE0EEENS1_36merge_oddeven_config_static_selectorELNS0_4arch9wavefront6targetE1EEEvSK_,"axG",@progbits,_ZN7rocprim17ROCPRIM_400000_NS6detail17trampoline_kernelINS0_14default_configENS1_38merge_sort_block_merge_config_selectorIcNS0_10empty_typeEEEZZNS1_27merge_sort_block_merge_implIS3_N6thrust23THRUST_200600_302600_NS6detail15normal_iteratorINS9_10device_ptrIcEEEEPS5_m14custom_greaterIcEEE10hipError_tT0_T1_T2_jT3_P12ihipStream_tbPNSt15iterator_traitsISJ_E10value_typeEPNSP_ISK_E10value_typeEPSL_NS1_7vsmem_tEENKUlT_SJ_SK_SL_E_clISE_PcSF_SF_EESI_SY_SJ_SK_SL_EUlSY_E1_NS1_11comp_targetILNS1_3genE9ELNS1_11target_archE1100ELNS1_3gpuE3ELNS1_3repE0EEENS1_36merge_oddeven_config_static_selectorELNS0_4arch9wavefront6targetE1EEEvSK_,comdat
.Lfunc_end2755:
	.size	_ZN7rocprim17ROCPRIM_400000_NS6detail17trampoline_kernelINS0_14default_configENS1_38merge_sort_block_merge_config_selectorIcNS0_10empty_typeEEEZZNS1_27merge_sort_block_merge_implIS3_N6thrust23THRUST_200600_302600_NS6detail15normal_iteratorINS9_10device_ptrIcEEEEPS5_m14custom_greaterIcEEE10hipError_tT0_T1_T2_jT3_P12ihipStream_tbPNSt15iterator_traitsISJ_E10value_typeEPNSP_ISK_E10value_typeEPSL_NS1_7vsmem_tEENKUlT_SJ_SK_SL_E_clISE_PcSF_SF_EESI_SY_SJ_SK_SL_EUlSY_E1_NS1_11comp_targetILNS1_3genE9ELNS1_11target_archE1100ELNS1_3gpuE3ELNS1_3repE0EEENS1_36merge_oddeven_config_static_selectorELNS0_4arch9wavefront6targetE1EEEvSK_, .Lfunc_end2755-_ZN7rocprim17ROCPRIM_400000_NS6detail17trampoline_kernelINS0_14default_configENS1_38merge_sort_block_merge_config_selectorIcNS0_10empty_typeEEEZZNS1_27merge_sort_block_merge_implIS3_N6thrust23THRUST_200600_302600_NS6detail15normal_iteratorINS9_10device_ptrIcEEEEPS5_m14custom_greaterIcEEE10hipError_tT0_T1_T2_jT3_P12ihipStream_tbPNSt15iterator_traitsISJ_E10value_typeEPNSP_ISK_E10value_typeEPSL_NS1_7vsmem_tEENKUlT_SJ_SK_SL_E_clISE_PcSF_SF_EESI_SY_SJ_SK_SL_EUlSY_E1_NS1_11comp_targetILNS1_3genE9ELNS1_11target_archE1100ELNS1_3gpuE3ELNS1_3repE0EEENS1_36merge_oddeven_config_static_selectorELNS0_4arch9wavefront6targetE1EEEvSK_
                                        ; -- End function
	.section	.AMDGPU.csdata,"",@progbits
; Kernel info:
; codeLenInByte = 0
; NumSgprs: 4
; NumVgprs: 0
; NumAgprs: 0
; TotalNumVgprs: 0
; ScratchSize: 0
; MemoryBound: 0
; FloatMode: 240
; IeeeMode: 1
; LDSByteSize: 0 bytes/workgroup (compile time only)
; SGPRBlocks: 0
; VGPRBlocks: 0
; NumSGPRsForWavesPerEU: 4
; NumVGPRsForWavesPerEU: 1
; AccumOffset: 4
; Occupancy: 8
; WaveLimiterHint : 0
; COMPUTE_PGM_RSRC2:SCRATCH_EN: 0
; COMPUTE_PGM_RSRC2:USER_SGPR: 6
; COMPUTE_PGM_RSRC2:TRAP_HANDLER: 0
; COMPUTE_PGM_RSRC2:TGID_X_EN: 1
; COMPUTE_PGM_RSRC2:TGID_Y_EN: 0
; COMPUTE_PGM_RSRC2:TGID_Z_EN: 0
; COMPUTE_PGM_RSRC2:TIDIG_COMP_CNT: 0
; COMPUTE_PGM_RSRC3_GFX90A:ACCUM_OFFSET: 0
; COMPUTE_PGM_RSRC3_GFX90A:TG_SPLIT: 0
	.section	.text._ZN7rocprim17ROCPRIM_400000_NS6detail17trampoline_kernelINS0_14default_configENS1_38merge_sort_block_merge_config_selectorIcNS0_10empty_typeEEEZZNS1_27merge_sort_block_merge_implIS3_N6thrust23THRUST_200600_302600_NS6detail15normal_iteratorINS9_10device_ptrIcEEEEPS5_m14custom_greaterIcEEE10hipError_tT0_T1_T2_jT3_P12ihipStream_tbPNSt15iterator_traitsISJ_E10value_typeEPNSP_ISK_E10value_typeEPSL_NS1_7vsmem_tEENKUlT_SJ_SK_SL_E_clISE_PcSF_SF_EESI_SY_SJ_SK_SL_EUlSY_E1_NS1_11comp_targetILNS1_3genE8ELNS1_11target_archE1030ELNS1_3gpuE2ELNS1_3repE0EEENS1_36merge_oddeven_config_static_selectorELNS0_4arch9wavefront6targetE1EEEvSK_,"axG",@progbits,_ZN7rocprim17ROCPRIM_400000_NS6detail17trampoline_kernelINS0_14default_configENS1_38merge_sort_block_merge_config_selectorIcNS0_10empty_typeEEEZZNS1_27merge_sort_block_merge_implIS3_N6thrust23THRUST_200600_302600_NS6detail15normal_iteratorINS9_10device_ptrIcEEEEPS5_m14custom_greaterIcEEE10hipError_tT0_T1_T2_jT3_P12ihipStream_tbPNSt15iterator_traitsISJ_E10value_typeEPNSP_ISK_E10value_typeEPSL_NS1_7vsmem_tEENKUlT_SJ_SK_SL_E_clISE_PcSF_SF_EESI_SY_SJ_SK_SL_EUlSY_E1_NS1_11comp_targetILNS1_3genE8ELNS1_11target_archE1030ELNS1_3gpuE2ELNS1_3repE0EEENS1_36merge_oddeven_config_static_selectorELNS0_4arch9wavefront6targetE1EEEvSK_,comdat
	.protected	_ZN7rocprim17ROCPRIM_400000_NS6detail17trampoline_kernelINS0_14default_configENS1_38merge_sort_block_merge_config_selectorIcNS0_10empty_typeEEEZZNS1_27merge_sort_block_merge_implIS3_N6thrust23THRUST_200600_302600_NS6detail15normal_iteratorINS9_10device_ptrIcEEEEPS5_m14custom_greaterIcEEE10hipError_tT0_T1_T2_jT3_P12ihipStream_tbPNSt15iterator_traitsISJ_E10value_typeEPNSP_ISK_E10value_typeEPSL_NS1_7vsmem_tEENKUlT_SJ_SK_SL_E_clISE_PcSF_SF_EESI_SY_SJ_SK_SL_EUlSY_E1_NS1_11comp_targetILNS1_3genE8ELNS1_11target_archE1030ELNS1_3gpuE2ELNS1_3repE0EEENS1_36merge_oddeven_config_static_selectorELNS0_4arch9wavefront6targetE1EEEvSK_ ; -- Begin function _ZN7rocprim17ROCPRIM_400000_NS6detail17trampoline_kernelINS0_14default_configENS1_38merge_sort_block_merge_config_selectorIcNS0_10empty_typeEEEZZNS1_27merge_sort_block_merge_implIS3_N6thrust23THRUST_200600_302600_NS6detail15normal_iteratorINS9_10device_ptrIcEEEEPS5_m14custom_greaterIcEEE10hipError_tT0_T1_T2_jT3_P12ihipStream_tbPNSt15iterator_traitsISJ_E10value_typeEPNSP_ISK_E10value_typeEPSL_NS1_7vsmem_tEENKUlT_SJ_SK_SL_E_clISE_PcSF_SF_EESI_SY_SJ_SK_SL_EUlSY_E1_NS1_11comp_targetILNS1_3genE8ELNS1_11target_archE1030ELNS1_3gpuE2ELNS1_3repE0EEENS1_36merge_oddeven_config_static_selectorELNS0_4arch9wavefront6targetE1EEEvSK_
	.globl	_ZN7rocprim17ROCPRIM_400000_NS6detail17trampoline_kernelINS0_14default_configENS1_38merge_sort_block_merge_config_selectorIcNS0_10empty_typeEEEZZNS1_27merge_sort_block_merge_implIS3_N6thrust23THRUST_200600_302600_NS6detail15normal_iteratorINS9_10device_ptrIcEEEEPS5_m14custom_greaterIcEEE10hipError_tT0_T1_T2_jT3_P12ihipStream_tbPNSt15iterator_traitsISJ_E10value_typeEPNSP_ISK_E10value_typeEPSL_NS1_7vsmem_tEENKUlT_SJ_SK_SL_E_clISE_PcSF_SF_EESI_SY_SJ_SK_SL_EUlSY_E1_NS1_11comp_targetILNS1_3genE8ELNS1_11target_archE1030ELNS1_3gpuE2ELNS1_3repE0EEENS1_36merge_oddeven_config_static_selectorELNS0_4arch9wavefront6targetE1EEEvSK_
	.p2align	8
	.type	_ZN7rocprim17ROCPRIM_400000_NS6detail17trampoline_kernelINS0_14default_configENS1_38merge_sort_block_merge_config_selectorIcNS0_10empty_typeEEEZZNS1_27merge_sort_block_merge_implIS3_N6thrust23THRUST_200600_302600_NS6detail15normal_iteratorINS9_10device_ptrIcEEEEPS5_m14custom_greaterIcEEE10hipError_tT0_T1_T2_jT3_P12ihipStream_tbPNSt15iterator_traitsISJ_E10value_typeEPNSP_ISK_E10value_typeEPSL_NS1_7vsmem_tEENKUlT_SJ_SK_SL_E_clISE_PcSF_SF_EESI_SY_SJ_SK_SL_EUlSY_E1_NS1_11comp_targetILNS1_3genE8ELNS1_11target_archE1030ELNS1_3gpuE2ELNS1_3repE0EEENS1_36merge_oddeven_config_static_selectorELNS0_4arch9wavefront6targetE1EEEvSK_,@function
_ZN7rocprim17ROCPRIM_400000_NS6detail17trampoline_kernelINS0_14default_configENS1_38merge_sort_block_merge_config_selectorIcNS0_10empty_typeEEEZZNS1_27merge_sort_block_merge_implIS3_N6thrust23THRUST_200600_302600_NS6detail15normal_iteratorINS9_10device_ptrIcEEEEPS5_m14custom_greaterIcEEE10hipError_tT0_T1_T2_jT3_P12ihipStream_tbPNSt15iterator_traitsISJ_E10value_typeEPNSP_ISK_E10value_typeEPSL_NS1_7vsmem_tEENKUlT_SJ_SK_SL_E_clISE_PcSF_SF_EESI_SY_SJ_SK_SL_EUlSY_E1_NS1_11comp_targetILNS1_3genE8ELNS1_11target_archE1030ELNS1_3gpuE2ELNS1_3repE0EEENS1_36merge_oddeven_config_static_selectorELNS0_4arch9wavefront6targetE1EEEvSK_: ; @_ZN7rocprim17ROCPRIM_400000_NS6detail17trampoline_kernelINS0_14default_configENS1_38merge_sort_block_merge_config_selectorIcNS0_10empty_typeEEEZZNS1_27merge_sort_block_merge_implIS3_N6thrust23THRUST_200600_302600_NS6detail15normal_iteratorINS9_10device_ptrIcEEEEPS5_m14custom_greaterIcEEE10hipError_tT0_T1_T2_jT3_P12ihipStream_tbPNSt15iterator_traitsISJ_E10value_typeEPNSP_ISK_E10value_typeEPSL_NS1_7vsmem_tEENKUlT_SJ_SK_SL_E_clISE_PcSF_SF_EESI_SY_SJ_SK_SL_EUlSY_E1_NS1_11comp_targetILNS1_3genE8ELNS1_11target_archE1030ELNS1_3gpuE2ELNS1_3repE0EEENS1_36merge_oddeven_config_static_selectorELNS0_4arch9wavefront6targetE1EEEvSK_
; %bb.0:
	.section	.rodata,"a",@progbits
	.p2align	6, 0x0
	.amdhsa_kernel _ZN7rocprim17ROCPRIM_400000_NS6detail17trampoline_kernelINS0_14default_configENS1_38merge_sort_block_merge_config_selectorIcNS0_10empty_typeEEEZZNS1_27merge_sort_block_merge_implIS3_N6thrust23THRUST_200600_302600_NS6detail15normal_iteratorINS9_10device_ptrIcEEEEPS5_m14custom_greaterIcEEE10hipError_tT0_T1_T2_jT3_P12ihipStream_tbPNSt15iterator_traitsISJ_E10value_typeEPNSP_ISK_E10value_typeEPSL_NS1_7vsmem_tEENKUlT_SJ_SK_SL_E_clISE_PcSF_SF_EESI_SY_SJ_SK_SL_EUlSY_E1_NS1_11comp_targetILNS1_3genE8ELNS1_11target_archE1030ELNS1_3gpuE2ELNS1_3repE0EEENS1_36merge_oddeven_config_static_selectorELNS0_4arch9wavefront6targetE1EEEvSK_
		.amdhsa_group_segment_fixed_size 0
		.amdhsa_private_segment_fixed_size 0
		.amdhsa_kernarg_size 56
		.amdhsa_user_sgpr_count 6
		.amdhsa_user_sgpr_private_segment_buffer 1
		.amdhsa_user_sgpr_dispatch_ptr 0
		.amdhsa_user_sgpr_queue_ptr 0
		.amdhsa_user_sgpr_kernarg_segment_ptr 1
		.amdhsa_user_sgpr_dispatch_id 0
		.amdhsa_user_sgpr_flat_scratch_init 0
		.amdhsa_user_sgpr_kernarg_preload_length 0
		.amdhsa_user_sgpr_kernarg_preload_offset 0
		.amdhsa_user_sgpr_private_segment_size 0
		.amdhsa_uses_dynamic_stack 0
		.amdhsa_system_sgpr_private_segment_wavefront_offset 0
		.amdhsa_system_sgpr_workgroup_id_x 1
		.amdhsa_system_sgpr_workgroup_id_y 0
		.amdhsa_system_sgpr_workgroup_id_z 0
		.amdhsa_system_sgpr_workgroup_info 0
		.amdhsa_system_vgpr_workitem_id 0
		.amdhsa_next_free_vgpr 1
		.amdhsa_next_free_sgpr 0
		.amdhsa_accum_offset 4
		.amdhsa_reserve_vcc 0
		.amdhsa_reserve_flat_scratch 0
		.amdhsa_float_round_mode_32 0
		.amdhsa_float_round_mode_16_64 0
		.amdhsa_float_denorm_mode_32 3
		.amdhsa_float_denorm_mode_16_64 3
		.amdhsa_dx10_clamp 1
		.amdhsa_ieee_mode 1
		.amdhsa_fp16_overflow 0
		.amdhsa_tg_split 0
		.amdhsa_exception_fp_ieee_invalid_op 0
		.amdhsa_exception_fp_denorm_src 0
		.amdhsa_exception_fp_ieee_div_zero 0
		.amdhsa_exception_fp_ieee_overflow 0
		.amdhsa_exception_fp_ieee_underflow 0
		.amdhsa_exception_fp_ieee_inexact 0
		.amdhsa_exception_int_div_zero 0
	.end_amdhsa_kernel
	.section	.text._ZN7rocprim17ROCPRIM_400000_NS6detail17trampoline_kernelINS0_14default_configENS1_38merge_sort_block_merge_config_selectorIcNS0_10empty_typeEEEZZNS1_27merge_sort_block_merge_implIS3_N6thrust23THRUST_200600_302600_NS6detail15normal_iteratorINS9_10device_ptrIcEEEEPS5_m14custom_greaterIcEEE10hipError_tT0_T1_T2_jT3_P12ihipStream_tbPNSt15iterator_traitsISJ_E10value_typeEPNSP_ISK_E10value_typeEPSL_NS1_7vsmem_tEENKUlT_SJ_SK_SL_E_clISE_PcSF_SF_EESI_SY_SJ_SK_SL_EUlSY_E1_NS1_11comp_targetILNS1_3genE8ELNS1_11target_archE1030ELNS1_3gpuE2ELNS1_3repE0EEENS1_36merge_oddeven_config_static_selectorELNS0_4arch9wavefront6targetE1EEEvSK_,"axG",@progbits,_ZN7rocprim17ROCPRIM_400000_NS6detail17trampoline_kernelINS0_14default_configENS1_38merge_sort_block_merge_config_selectorIcNS0_10empty_typeEEEZZNS1_27merge_sort_block_merge_implIS3_N6thrust23THRUST_200600_302600_NS6detail15normal_iteratorINS9_10device_ptrIcEEEEPS5_m14custom_greaterIcEEE10hipError_tT0_T1_T2_jT3_P12ihipStream_tbPNSt15iterator_traitsISJ_E10value_typeEPNSP_ISK_E10value_typeEPSL_NS1_7vsmem_tEENKUlT_SJ_SK_SL_E_clISE_PcSF_SF_EESI_SY_SJ_SK_SL_EUlSY_E1_NS1_11comp_targetILNS1_3genE8ELNS1_11target_archE1030ELNS1_3gpuE2ELNS1_3repE0EEENS1_36merge_oddeven_config_static_selectorELNS0_4arch9wavefront6targetE1EEEvSK_,comdat
.Lfunc_end2756:
	.size	_ZN7rocprim17ROCPRIM_400000_NS6detail17trampoline_kernelINS0_14default_configENS1_38merge_sort_block_merge_config_selectorIcNS0_10empty_typeEEEZZNS1_27merge_sort_block_merge_implIS3_N6thrust23THRUST_200600_302600_NS6detail15normal_iteratorINS9_10device_ptrIcEEEEPS5_m14custom_greaterIcEEE10hipError_tT0_T1_T2_jT3_P12ihipStream_tbPNSt15iterator_traitsISJ_E10value_typeEPNSP_ISK_E10value_typeEPSL_NS1_7vsmem_tEENKUlT_SJ_SK_SL_E_clISE_PcSF_SF_EESI_SY_SJ_SK_SL_EUlSY_E1_NS1_11comp_targetILNS1_3genE8ELNS1_11target_archE1030ELNS1_3gpuE2ELNS1_3repE0EEENS1_36merge_oddeven_config_static_selectorELNS0_4arch9wavefront6targetE1EEEvSK_, .Lfunc_end2756-_ZN7rocprim17ROCPRIM_400000_NS6detail17trampoline_kernelINS0_14default_configENS1_38merge_sort_block_merge_config_selectorIcNS0_10empty_typeEEEZZNS1_27merge_sort_block_merge_implIS3_N6thrust23THRUST_200600_302600_NS6detail15normal_iteratorINS9_10device_ptrIcEEEEPS5_m14custom_greaterIcEEE10hipError_tT0_T1_T2_jT3_P12ihipStream_tbPNSt15iterator_traitsISJ_E10value_typeEPNSP_ISK_E10value_typeEPSL_NS1_7vsmem_tEENKUlT_SJ_SK_SL_E_clISE_PcSF_SF_EESI_SY_SJ_SK_SL_EUlSY_E1_NS1_11comp_targetILNS1_3genE8ELNS1_11target_archE1030ELNS1_3gpuE2ELNS1_3repE0EEENS1_36merge_oddeven_config_static_selectorELNS0_4arch9wavefront6targetE1EEEvSK_
                                        ; -- End function
	.section	.AMDGPU.csdata,"",@progbits
; Kernel info:
; codeLenInByte = 0
; NumSgprs: 4
; NumVgprs: 0
; NumAgprs: 0
; TotalNumVgprs: 0
; ScratchSize: 0
; MemoryBound: 0
; FloatMode: 240
; IeeeMode: 1
; LDSByteSize: 0 bytes/workgroup (compile time only)
; SGPRBlocks: 0
; VGPRBlocks: 0
; NumSGPRsForWavesPerEU: 4
; NumVGPRsForWavesPerEU: 1
; AccumOffset: 4
; Occupancy: 8
; WaveLimiterHint : 0
; COMPUTE_PGM_RSRC2:SCRATCH_EN: 0
; COMPUTE_PGM_RSRC2:USER_SGPR: 6
; COMPUTE_PGM_RSRC2:TRAP_HANDLER: 0
; COMPUTE_PGM_RSRC2:TGID_X_EN: 1
; COMPUTE_PGM_RSRC2:TGID_Y_EN: 0
; COMPUTE_PGM_RSRC2:TGID_Z_EN: 0
; COMPUTE_PGM_RSRC2:TIDIG_COMP_CNT: 0
; COMPUTE_PGM_RSRC3_GFX90A:ACCUM_OFFSET: 0
; COMPUTE_PGM_RSRC3_GFX90A:TG_SPLIT: 0
	.section	.text._ZN7rocprim17ROCPRIM_400000_NS6detail17trampoline_kernelINS0_14default_configENS1_25transform_config_selectorIcLb0EEEZNS1_14transform_implILb0ES3_S5_PcN6thrust23THRUST_200600_302600_NS6detail15normal_iteratorINS9_10device_ptrIcEEEENS0_8identityIcEEEE10hipError_tT2_T3_mT4_P12ihipStream_tbEUlT_E_NS1_11comp_targetILNS1_3genE0ELNS1_11target_archE4294967295ELNS1_3gpuE0ELNS1_3repE0EEENS1_30default_config_static_selectorELNS0_4arch9wavefront6targetE1EEEvT1_,"axG",@progbits,_ZN7rocprim17ROCPRIM_400000_NS6detail17trampoline_kernelINS0_14default_configENS1_25transform_config_selectorIcLb0EEEZNS1_14transform_implILb0ES3_S5_PcN6thrust23THRUST_200600_302600_NS6detail15normal_iteratorINS9_10device_ptrIcEEEENS0_8identityIcEEEE10hipError_tT2_T3_mT4_P12ihipStream_tbEUlT_E_NS1_11comp_targetILNS1_3genE0ELNS1_11target_archE4294967295ELNS1_3gpuE0ELNS1_3repE0EEENS1_30default_config_static_selectorELNS0_4arch9wavefront6targetE1EEEvT1_,comdat
	.protected	_ZN7rocprim17ROCPRIM_400000_NS6detail17trampoline_kernelINS0_14default_configENS1_25transform_config_selectorIcLb0EEEZNS1_14transform_implILb0ES3_S5_PcN6thrust23THRUST_200600_302600_NS6detail15normal_iteratorINS9_10device_ptrIcEEEENS0_8identityIcEEEE10hipError_tT2_T3_mT4_P12ihipStream_tbEUlT_E_NS1_11comp_targetILNS1_3genE0ELNS1_11target_archE4294967295ELNS1_3gpuE0ELNS1_3repE0EEENS1_30default_config_static_selectorELNS0_4arch9wavefront6targetE1EEEvT1_ ; -- Begin function _ZN7rocprim17ROCPRIM_400000_NS6detail17trampoline_kernelINS0_14default_configENS1_25transform_config_selectorIcLb0EEEZNS1_14transform_implILb0ES3_S5_PcN6thrust23THRUST_200600_302600_NS6detail15normal_iteratorINS9_10device_ptrIcEEEENS0_8identityIcEEEE10hipError_tT2_T3_mT4_P12ihipStream_tbEUlT_E_NS1_11comp_targetILNS1_3genE0ELNS1_11target_archE4294967295ELNS1_3gpuE0ELNS1_3repE0EEENS1_30default_config_static_selectorELNS0_4arch9wavefront6targetE1EEEvT1_
	.globl	_ZN7rocprim17ROCPRIM_400000_NS6detail17trampoline_kernelINS0_14default_configENS1_25transform_config_selectorIcLb0EEEZNS1_14transform_implILb0ES3_S5_PcN6thrust23THRUST_200600_302600_NS6detail15normal_iteratorINS9_10device_ptrIcEEEENS0_8identityIcEEEE10hipError_tT2_T3_mT4_P12ihipStream_tbEUlT_E_NS1_11comp_targetILNS1_3genE0ELNS1_11target_archE4294967295ELNS1_3gpuE0ELNS1_3repE0EEENS1_30default_config_static_selectorELNS0_4arch9wavefront6targetE1EEEvT1_
	.p2align	8
	.type	_ZN7rocprim17ROCPRIM_400000_NS6detail17trampoline_kernelINS0_14default_configENS1_25transform_config_selectorIcLb0EEEZNS1_14transform_implILb0ES3_S5_PcN6thrust23THRUST_200600_302600_NS6detail15normal_iteratorINS9_10device_ptrIcEEEENS0_8identityIcEEEE10hipError_tT2_T3_mT4_P12ihipStream_tbEUlT_E_NS1_11comp_targetILNS1_3genE0ELNS1_11target_archE4294967295ELNS1_3gpuE0ELNS1_3repE0EEENS1_30default_config_static_selectorELNS0_4arch9wavefront6targetE1EEEvT1_,@function
_ZN7rocprim17ROCPRIM_400000_NS6detail17trampoline_kernelINS0_14default_configENS1_25transform_config_selectorIcLb0EEEZNS1_14transform_implILb0ES3_S5_PcN6thrust23THRUST_200600_302600_NS6detail15normal_iteratorINS9_10device_ptrIcEEEENS0_8identityIcEEEE10hipError_tT2_T3_mT4_P12ihipStream_tbEUlT_E_NS1_11comp_targetILNS1_3genE0ELNS1_11target_archE4294967295ELNS1_3gpuE0ELNS1_3repE0EEENS1_30default_config_static_selectorELNS0_4arch9wavefront6targetE1EEEvT1_: ; @_ZN7rocprim17ROCPRIM_400000_NS6detail17trampoline_kernelINS0_14default_configENS1_25transform_config_selectorIcLb0EEEZNS1_14transform_implILb0ES3_S5_PcN6thrust23THRUST_200600_302600_NS6detail15normal_iteratorINS9_10device_ptrIcEEEENS0_8identityIcEEEE10hipError_tT2_T3_mT4_P12ihipStream_tbEUlT_E_NS1_11comp_targetILNS1_3genE0ELNS1_11target_archE4294967295ELNS1_3gpuE0ELNS1_3repE0EEENS1_30default_config_static_selectorELNS0_4arch9wavefront6targetE1EEEvT1_
; %bb.0:
	.section	.rodata,"a",@progbits
	.p2align	6, 0x0
	.amdhsa_kernel _ZN7rocprim17ROCPRIM_400000_NS6detail17trampoline_kernelINS0_14default_configENS1_25transform_config_selectorIcLb0EEEZNS1_14transform_implILb0ES3_S5_PcN6thrust23THRUST_200600_302600_NS6detail15normal_iteratorINS9_10device_ptrIcEEEENS0_8identityIcEEEE10hipError_tT2_T3_mT4_P12ihipStream_tbEUlT_E_NS1_11comp_targetILNS1_3genE0ELNS1_11target_archE4294967295ELNS1_3gpuE0ELNS1_3repE0EEENS1_30default_config_static_selectorELNS0_4arch9wavefront6targetE1EEEvT1_
		.amdhsa_group_segment_fixed_size 0
		.amdhsa_private_segment_fixed_size 0
		.amdhsa_kernarg_size 40
		.amdhsa_user_sgpr_count 6
		.amdhsa_user_sgpr_private_segment_buffer 1
		.amdhsa_user_sgpr_dispatch_ptr 0
		.amdhsa_user_sgpr_queue_ptr 0
		.amdhsa_user_sgpr_kernarg_segment_ptr 1
		.amdhsa_user_sgpr_dispatch_id 0
		.amdhsa_user_sgpr_flat_scratch_init 0
		.amdhsa_user_sgpr_kernarg_preload_length 0
		.amdhsa_user_sgpr_kernarg_preload_offset 0
		.amdhsa_user_sgpr_private_segment_size 0
		.amdhsa_uses_dynamic_stack 0
		.amdhsa_system_sgpr_private_segment_wavefront_offset 0
		.amdhsa_system_sgpr_workgroup_id_x 1
		.amdhsa_system_sgpr_workgroup_id_y 0
		.amdhsa_system_sgpr_workgroup_id_z 0
		.amdhsa_system_sgpr_workgroup_info 0
		.amdhsa_system_vgpr_workitem_id 0
		.amdhsa_next_free_vgpr 1
		.amdhsa_next_free_sgpr 0
		.amdhsa_accum_offset 4
		.amdhsa_reserve_vcc 0
		.amdhsa_reserve_flat_scratch 0
		.amdhsa_float_round_mode_32 0
		.amdhsa_float_round_mode_16_64 0
		.amdhsa_float_denorm_mode_32 3
		.amdhsa_float_denorm_mode_16_64 3
		.amdhsa_dx10_clamp 1
		.amdhsa_ieee_mode 1
		.amdhsa_fp16_overflow 0
		.amdhsa_tg_split 0
		.amdhsa_exception_fp_ieee_invalid_op 0
		.amdhsa_exception_fp_denorm_src 0
		.amdhsa_exception_fp_ieee_div_zero 0
		.amdhsa_exception_fp_ieee_overflow 0
		.amdhsa_exception_fp_ieee_underflow 0
		.amdhsa_exception_fp_ieee_inexact 0
		.amdhsa_exception_int_div_zero 0
	.end_amdhsa_kernel
	.section	.text._ZN7rocprim17ROCPRIM_400000_NS6detail17trampoline_kernelINS0_14default_configENS1_25transform_config_selectorIcLb0EEEZNS1_14transform_implILb0ES3_S5_PcN6thrust23THRUST_200600_302600_NS6detail15normal_iteratorINS9_10device_ptrIcEEEENS0_8identityIcEEEE10hipError_tT2_T3_mT4_P12ihipStream_tbEUlT_E_NS1_11comp_targetILNS1_3genE0ELNS1_11target_archE4294967295ELNS1_3gpuE0ELNS1_3repE0EEENS1_30default_config_static_selectorELNS0_4arch9wavefront6targetE1EEEvT1_,"axG",@progbits,_ZN7rocprim17ROCPRIM_400000_NS6detail17trampoline_kernelINS0_14default_configENS1_25transform_config_selectorIcLb0EEEZNS1_14transform_implILb0ES3_S5_PcN6thrust23THRUST_200600_302600_NS6detail15normal_iteratorINS9_10device_ptrIcEEEENS0_8identityIcEEEE10hipError_tT2_T3_mT4_P12ihipStream_tbEUlT_E_NS1_11comp_targetILNS1_3genE0ELNS1_11target_archE4294967295ELNS1_3gpuE0ELNS1_3repE0EEENS1_30default_config_static_selectorELNS0_4arch9wavefront6targetE1EEEvT1_,comdat
.Lfunc_end2757:
	.size	_ZN7rocprim17ROCPRIM_400000_NS6detail17trampoline_kernelINS0_14default_configENS1_25transform_config_selectorIcLb0EEEZNS1_14transform_implILb0ES3_S5_PcN6thrust23THRUST_200600_302600_NS6detail15normal_iteratorINS9_10device_ptrIcEEEENS0_8identityIcEEEE10hipError_tT2_T3_mT4_P12ihipStream_tbEUlT_E_NS1_11comp_targetILNS1_3genE0ELNS1_11target_archE4294967295ELNS1_3gpuE0ELNS1_3repE0EEENS1_30default_config_static_selectorELNS0_4arch9wavefront6targetE1EEEvT1_, .Lfunc_end2757-_ZN7rocprim17ROCPRIM_400000_NS6detail17trampoline_kernelINS0_14default_configENS1_25transform_config_selectorIcLb0EEEZNS1_14transform_implILb0ES3_S5_PcN6thrust23THRUST_200600_302600_NS6detail15normal_iteratorINS9_10device_ptrIcEEEENS0_8identityIcEEEE10hipError_tT2_T3_mT4_P12ihipStream_tbEUlT_E_NS1_11comp_targetILNS1_3genE0ELNS1_11target_archE4294967295ELNS1_3gpuE0ELNS1_3repE0EEENS1_30default_config_static_selectorELNS0_4arch9wavefront6targetE1EEEvT1_
                                        ; -- End function
	.section	.AMDGPU.csdata,"",@progbits
; Kernel info:
; codeLenInByte = 0
; NumSgprs: 4
; NumVgprs: 0
; NumAgprs: 0
; TotalNumVgprs: 0
; ScratchSize: 0
; MemoryBound: 0
; FloatMode: 240
; IeeeMode: 1
; LDSByteSize: 0 bytes/workgroup (compile time only)
; SGPRBlocks: 0
; VGPRBlocks: 0
; NumSGPRsForWavesPerEU: 4
; NumVGPRsForWavesPerEU: 1
; AccumOffset: 4
; Occupancy: 8
; WaveLimiterHint : 0
; COMPUTE_PGM_RSRC2:SCRATCH_EN: 0
; COMPUTE_PGM_RSRC2:USER_SGPR: 6
; COMPUTE_PGM_RSRC2:TRAP_HANDLER: 0
; COMPUTE_PGM_RSRC2:TGID_X_EN: 1
; COMPUTE_PGM_RSRC2:TGID_Y_EN: 0
; COMPUTE_PGM_RSRC2:TGID_Z_EN: 0
; COMPUTE_PGM_RSRC2:TIDIG_COMP_CNT: 0
; COMPUTE_PGM_RSRC3_GFX90A:ACCUM_OFFSET: 0
; COMPUTE_PGM_RSRC3_GFX90A:TG_SPLIT: 0
	.section	.text._ZN7rocprim17ROCPRIM_400000_NS6detail17trampoline_kernelINS0_14default_configENS1_25transform_config_selectorIcLb0EEEZNS1_14transform_implILb0ES3_S5_PcN6thrust23THRUST_200600_302600_NS6detail15normal_iteratorINS9_10device_ptrIcEEEENS0_8identityIcEEEE10hipError_tT2_T3_mT4_P12ihipStream_tbEUlT_E_NS1_11comp_targetILNS1_3genE5ELNS1_11target_archE942ELNS1_3gpuE9ELNS1_3repE0EEENS1_30default_config_static_selectorELNS0_4arch9wavefront6targetE1EEEvT1_,"axG",@progbits,_ZN7rocprim17ROCPRIM_400000_NS6detail17trampoline_kernelINS0_14default_configENS1_25transform_config_selectorIcLb0EEEZNS1_14transform_implILb0ES3_S5_PcN6thrust23THRUST_200600_302600_NS6detail15normal_iteratorINS9_10device_ptrIcEEEENS0_8identityIcEEEE10hipError_tT2_T3_mT4_P12ihipStream_tbEUlT_E_NS1_11comp_targetILNS1_3genE5ELNS1_11target_archE942ELNS1_3gpuE9ELNS1_3repE0EEENS1_30default_config_static_selectorELNS0_4arch9wavefront6targetE1EEEvT1_,comdat
	.protected	_ZN7rocprim17ROCPRIM_400000_NS6detail17trampoline_kernelINS0_14default_configENS1_25transform_config_selectorIcLb0EEEZNS1_14transform_implILb0ES3_S5_PcN6thrust23THRUST_200600_302600_NS6detail15normal_iteratorINS9_10device_ptrIcEEEENS0_8identityIcEEEE10hipError_tT2_T3_mT4_P12ihipStream_tbEUlT_E_NS1_11comp_targetILNS1_3genE5ELNS1_11target_archE942ELNS1_3gpuE9ELNS1_3repE0EEENS1_30default_config_static_selectorELNS0_4arch9wavefront6targetE1EEEvT1_ ; -- Begin function _ZN7rocprim17ROCPRIM_400000_NS6detail17trampoline_kernelINS0_14default_configENS1_25transform_config_selectorIcLb0EEEZNS1_14transform_implILb0ES3_S5_PcN6thrust23THRUST_200600_302600_NS6detail15normal_iteratorINS9_10device_ptrIcEEEENS0_8identityIcEEEE10hipError_tT2_T3_mT4_P12ihipStream_tbEUlT_E_NS1_11comp_targetILNS1_3genE5ELNS1_11target_archE942ELNS1_3gpuE9ELNS1_3repE0EEENS1_30default_config_static_selectorELNS0_4arch9wavefront6targetE1EEEvT1_
	.globl	_ZN7rocprim17ROCPRIM_400000_NS6detail17trampoline_kernelINS0_14default_configENS1_25transform_config_selectorIcLb0EEEZNS1_14transform_implILb0ES3_S5_PcN6thrust23THRUST_200600_302600_NS6detail15normal_iteratorINS9_10device_ptrIcEEEENS0_8identityIcEEEE10hipError_tT2_T3_mT4_P12ihipStream_tbEUlT_E_NS1_11comp_targetILNS1_3genE5ELNS1_11target_archE942ELNS1_3gpuE9ELNS1_3repE0EEENS1_30default_config_static_selectorELNS0_4arch9wavefront6targetE1EEEvT1_
	.p2align	8
	.type	_ZN7rocprim17ROCPRIM_400000_NS6detail17trampoline_kernelINS0_14default_configENS1_25transform_config_selectorIcLb0EEEZNS1_14transform_implILb0ES3_S5_PcN6thrust23THRUST_200600_302600_NS6detail15normal_iteratorINS9_10device_ptrIcEEEENS0_8identityIcEEEE10hipError_tT2_T3_mT4_P12ihipStream_tbEUlT_E_NS1_11comp_targetILNS1_3genE5ELNS1_11target_archE942ELNS1_3gpuE9ELNS1_3repE0EEENS1_30default_config_static_selectorELNS0_4arch9wavefront6targetE1EEEvT1_,@function
_ZN7rocprim17ROCPRIM_400000_NS6detail17trampoline_kernelINS0_14default_configENS1_25transform_config_selectorIcLb0EEEZNS1_14transform_implILb0ES3_S5_PcN6thrust23THRUST_200600_302600_NS6detail15normal_iteratorINS9_10device_ptrIcEEEENS0_8identityIcEEEE10hipError_tT2_T3_mT4_P12ihipStream_tbEUlT_E_NS1_11comp_targetILNS1_3genE5ELNS1_11target_archE942ELNS1_3gpuE9ELNS1_3repE0EEENS1_30default_config_static_selectorELNS0_4arch9wavefront6targetE1EEEvT1_: ; @_ZN7rocprim17ROCPRIM_400000_NS6detail17trampoline_kernelINS0_14default_configENS1_25transform_config_selectorIcLb0EEEZNS1_14transform_implILb0ES3_S5_PcN6thrust23THRUST_200600_302600_NS6detail15normal_iteratorINS9_10device_ptrIcEEEENS0_8identityIcEEEE10hipError_tT2_T3_mT4_P12ihipStream_tbEUlT_E_NS1_11comp_targetILNS1_3genE5ELNS1_11target_archE942ELNS1_3gpuE9ELNS1_3repE0EEENS1_30default_config_static_selectorELNS0_4arch9wavefront6targetE1EEEvT1_
; %bb.0:
	.section	.rodata,"a",@progbits
	.p2align	6, 0x0
	.amdhsa_kernel _ZN7rocprim17ROCPRIM_400000_NS6detail17trampoline_kernelINS0_14default_configENS1_25transform_config_selectorIcLb0EEEZNS1_14transform_implILb0ES3_S5_PcN6thrust23THRUST_200600_302600_NS6detail15normal_iteratorINS9_10device_ptrIcEEEENS0_8identityIcEEEE10hipError_tT2_T3_mT4_P12ihipStream_tbEUlT_E_NS1_11comp_targetILNS1_3genE5ELNS1_11target_archE942ELNS1_3gpuE9ELNS1_3repE0EEENS1_30default_config_static_selectorELNS0_4arch9wavefront6targetE1EEEvT1_
		.amdhsa_group_segment_fixed_size 0
		.amdhsa_private_segment_fixed_size 0
		.amdhsa_kernarg_size 40
		.amdhsa_user_sgpr_count 6
		.amdhsa_user_sgpr_private_segment_buffer 1
		.amdhsa_user_sgpr_dispatch_ptr 0
		.amdhsa_user_sgpr_queue_ptr 0
		.amdhsa_user_sgpr_kernarg_segment_ptr 1
		.amdhsa_user_sgpr_dispatch_id 0
		.amdhsa_user_sgpr_flat_scratch_init 0
		.amdhsa_user_sgpr_kernarg_preload_length 0
		.amdhsa_user_sgpr_kernarg_preload_offset 0
		.amdhsa_user_sgpr_private_segment_size 0
		.amdhsa_uses_dynamic_stack 0
		.amdhsa_system_sgpr_private_segment_wavefront_offset 0
		.amdhsa_system_sgpr_workgroup_id_x 1
		.amdhsa_system_sgpr_workgroup_id_y 0
		.amdhsa_system_sgpr_workgroup_id_z 0
		.amdhsa_system_sgpr_workgroup_info 0
		.amdhsa_system_vgpr_workitem_id 0
		.amdhsa_next_free_vgpr 1
		.amdhsa_next_free_sgpr 0
		.amdhsa_accum_offset 4
		.amdhsa_reserve_vcc 0
		.amdhsa_reserve_flat_scratch 0
		.amdhsa_float_round_mode_32 0
		.amdhsa_float_round_mode_16_64 0
		.amdhsa_float_denorm_mode_32 3
		.amdhsa_float_denorm_mode_16_64 3
		.amdhsa_dx10_clamp 1
		.amdhsa_ieee_mode 1
		.amdhsa_fp16_overflow 0
		.amdhsa_tg_split 0
		.amdhsa_exception_fp_ieee_invalid_op 0
		.amdhsa_exception_fp_denorm_src 0
		.amdhsa_exception_fp_ieee_div_zero 0
		.amdhsa_exception_fp_ieee_overflow 0
		.amdhsa_exception_fp_ieee_underflow 0
		.amdhsa_exception_fp_ieee_inexact 0
		.amdhsa_exception_int_div_zero 0
	.end_amdhsa_kernel
	.section	.text._ZN7rocprim17ROCPRIM_400000_NS6detail17trampoline_kernelINS0_14default_configENS1_25transform_config_selectorIcLb0EEEZNS1_14transform_implILb0ES3_S5_PcN6thrust23THRUST_200600_302600_NS6detail15normal_iteratorINS9_10device_ptrIcEEEENS0_8identityIcEEEE10hipError_tT2_T3_mT4_P12ihipStream_tbEUlT_E_NS1_11comp_targetILNS1_3genE5ELNS1_11target_archE942ELNS1_3gpuE9ELNS1_3repE0EEENS1_30default_config_static_selectorELNS0_4arch9wavefront6targetE1EEEvT1_,"axG",@progbits,_ZN7rocprim17ROCPRIM_400000_NS6detail17trampoline_kernelINS0_14default_configENS1_25transform_config_selectorIcLb0EEEZNS1_14transform_implILb0ES3_S5_PcN6thrust23THRUST_200600_302600_NS6detail15normal_iteratorINS9_10device_ptrIcEEEENS0_8identityIcEEEE10hipError_tT2_T3_mT4_P12ihipStream_tbEUlT_E_NS1_11comp_targetILNS1_3genE5ELNS1_11target_archE942ELNS1_3gpuE9ELNS1_3repE0EEENS1_30default_config_static_selectorELNS0_4arch9wavefront6targetE1EEEvT1_,comdat
.Lfunc_end2758:
	.size	_ZN7rocprim17ROCPRIM_400000_NS6detail17trampoline_kernelINS0_14default_configENS1_25transform_config_selectorIcLb0EEEZNS1_14transform_implILb0ES3_S5_PcN6thrust23THRUST_200600_302600_NS6detail15normal_iteratorINS9_10device_ptrIcEEEENS0_8identityIcEEEE10hipError_tT2_T3_mT4_P12ihipStream_tbEUlT_E_NS1_11comp_targetILNS1_3genE5ELNS1_11target_archE942ELNS1_3gpuE9ELNS1_3repE0EEENS1_30default_config_static_selectorELNS0_4arch9wavefront6targetE1EEEvT1_, .Lfunc_end2758-_ZN7rocprim17ROCPRIM_400000_NS6detail17trampoline_kernelINS0_14default_configENS1_25transform_config_selectorIcLb0EEEZNS1_14transform_implILb0ES3_S5_PcN6thrust23THRUST_200600_302600_NS6detail15normal_iteratorINS9_10device_ptrIcEEEENS0_8identityIcEEEE10hipError_tT2_T3_mT4_P12ihipStream_tbEUlT_E_NS1_11comp_targetILNS1_3genE5ELNS1_11target_archE942ELNS1_3gpuE9ELNS1_3repE0EEENS1_30default_config_static_selectorELNS0_4arch9wavefront6targetE1EEEvT1_
                                        ; -- End function
	.section	.AMDGPU.csdata,"",@progbits
; Kernel info:
; codeLenInByte = 0
; NumSgprs: 4
; NumVgprs: 0
; NumAgprs: 0
; TotalNumVgprs: 0
; ScratchSize: 0
; MemoryBound: 0
; FloatMode: 240
; IeeeMode: 1
; LDSByteSize: 0 bytes/workgroup (compile time only)
; SGPRBlocks: 0
; VGPRBlocks: 0
; NumSGPRsForWavesPerEU: 4
; NumVGPRsForWavesPerEU: 1
; AccumOffset: 4
; Occupancy: 8
; WaveLimiterHint : 0
; COMPUTE_PGM_RSRC2:SCRATCH_EN: 0
; COMPUTE_PGM_RSRC2:USER_SGPR: 6
; COMPUTE_PGM_RSRC2:TRAP_HANDLER: 0
; COMPUTE_PGM_RSRC2:TGID_X_EN: 1
; COMPUTE_PGM_RSRC2:TGID_Y_EN: 0
; COMPUTE_PGM_RSRC2:TGID_Z_EN: 0
; COMPUTE_PGM_RSRC2:TIDIG_COMP_CNT: 0
; COMPUTE_PGM_RSRC3_GFX90A:ACCUM_OFFSET: 0
; COMPUTE_PGM_RSRC3_GFX90A:TG_SPLIT: 0
	.section	.text._ZN7rocprim17ROCPRIM_400000_NS6detail17trampoline_kernelINS0_14default_configENS1_25transform_config_selectorIcLb0EEEZNS1_14transform_implILb0ES3_S5_PcN6thrust23THRUST_200600_302600_NS6detail15normal_iteratorINS9_10device_ptrIcEEEENS0_8identityIcEEEE10hipError_tT2_T3_mT4_P12ihipStream_tbEUlT_E_NS1_11comp_targetILNS1_3genE4ELNS1_11target_archE910ELNS1_3gpuE8ELNS1_3repE0EEENS1_30default_config_static_selectorELNS0_4arch9wavefront6targetE1EEEvT1_,"axG",@progbits,_ZN7rocprim17ROCPRIM_400000_NS6detail17trampoline_kernelINS0_14default_configENS1_25transform_config_selectorIcLb0EEEZNS1_14transform_implILb0ES3_S5_PcN6thrust23THRUST_200600_302600_NS6detail15normal_iteratorINS9_10device_ptrIcEEEENS0_8identityIcEEEE10hipError_tT2_T3_mT4_P12ihipStream_tbEUlT_E_NS1_11comp_targetILNS1_3genE4ELNS1_11target_archE910ELNS1_3gpuE8ELNS1_3repE0EEENS1_30default_config_static_selectorELNS0_4arch9wavefront6targetE1EEEvT1_,comdat
	.protected	_ZN7rocprim17ROCPRIM_400000_NS6detail17trampoline_kernelINS0_14default_configENS1_25transform_config_selectorIcLb0EEEZNS1_14transform_implILb0ES3_S5_PcN6thrust23THRUST_200600_302600_NS6detail15normal_iteratorINS9_10device_ptrIcEEEENS0_8identityIcEEEE10hipError_tT2_T3_mT4_P12ihipStream_tbEUlT_E_NS1_11comp_targetILNS1_3genE4ELNS1_11target_archE910ELNS1_3gpuE8ELNS1_3repE0EEENS1_30default_config_static_selectorELNS0_4arch9wavefront6targetE1EEEvT1_ ; -- Begin function _ZN7rocprim17ROCPRIM_400000_NS6detail17trampoline_kernelINS0_14default_configENS1_25transform_config_selectorIcLb0EEEZNS1_14transform_implILb0ES3_S5_PcN6thrust23THRUST_200600_302600_NS6detail15normal_iteratorINS9_10device_ptrIcEEEENS0_8identityIcEEEE10hipError_tT2_T3_mT4_P12ihipStream_tbEUlT_E_NS1_11comp_targetILNS1_3genE4ELNS1_11target_archE910ELNS1_3gpuE8ELNS1_3repE0EEENS1_30default_config_static_selectorELNS0_4arch9wavefront6targetE1EEEvT1_
	.globl	_ZN7rocprim17ROCPRIM_400000_NS6detail17trampoline_kernelINS0_14default_configENS1_25transform_config_selectorIcLb0EEEZNS1_14transform_implILb0ES3_S5_PcN6thrust23THRUST_200600_302600_NS6detail15normal_iteratorINS9_10device_ptrIcEEEENS0_8identityIcEEEE10hipError_tT2_T3_mT4_P12ihipStream_tbEUlT_E_NS1_11comp_targetILNS1_3genE4ELNS1_11target_archE910ELNS1_3gpuE8ELNS1_3repE0EEENS1_30default_config_static_selectorELNS0_4arch9wavefront6targetE1EEEvT1_
	.p2align	8
	.type	_ZN7rocprim17ROCPRIM_400000_NS6detail17trampoline_kernelINS0_14default_configENS1_25transform_config_selectorIcLb0EEEZNS1_14transform_implILb0ES3_S5_PcN6thrust23THRUST_200600_302600_NS6detail15normal_iteratorINS9_10device_ptrIcEEEENS0_8identityIcEEEE10hipError_tT2_T3_mT4_P12ihipStream_tbEUlT_E_NS1_11comp_targetILNS1_3genE4ELNS1_11target_archE910ELNS1_3gpuE8ELNS1_3repE0EEENS1_30default_config_static_selectorELNS0_4arch9wavefront6targetE1EEEvT1_,@function
_ZN7rocprim17ROCPRIM_400000_NS6detail17trampoline_kernelINS0_14default_configENS1_25transform_config_selectorIcLb0EEEZNS1_14transform_implILb0ES3_S5_PcN6thrust23THRUST_200600_302600_NS6detail15normal_iteratorINS9_10device_ptrIcEEEENS0_8identityIcEEEE10hipError_tT2_T3_mT4_P12ihipStream_tbEUlT_E_NS1_11comp_targetILNS1_3genE4ELNS1_11target_archE910ELNS1_3gpuE8ELNS1_3repE0EEENS1_30default_config_static_selectorELNS0_4arch9wavefront6targetE1EEEvT1_: ; @_ZN7rocprim17ROCPRIM_400000_NS6detail17trampoline_kernelINS0_14default_configENS1_25transform_config_selectorIcLb0EEEZNS1_14transform_implILb0ES3_S5_PcN6thrust23THRUST_200600_302600_NS6detail15normal_iteratorINS9_10device_ptrIcEEEENS0_8identityIcEEEE10hipError_tT2_T3_mT4_P12ihipStream_tbEUlT_E_NS1_11comp_targetILNS1_3genE4ELNS1_11target_archE910ELNS1_3gpuE8ELNS1_3repE0EEENS1_30default_config_static_selectorELNS0_4arch9wavefront6targetE1EEEvT1_
; %bb.0:
	s_load_dwordx8 s[8:15], s[4:5], 0x0
	s_load_dword s0, s[4:5], 0x28
	s_waitcnt lgkmcnt(0)
	s_add_u32 s1, s8, s10
	s_addc_u32 s2, s9, s11
	s_add_u32 s33, s14, s10
	s_addc_u32 s38, s15, s11
	s_lshl_b32 s39, s6, 10
	s_add_i32 s0, s0, -1
	s_add_u32 s36, s1, s39
	s_addc_u32 s37, s2, 0
	s_cmp_lg_u32 s6, s0
	s_cbranch_scc0 .LBB2759_2
; %bb.1:
	global_load_ubyte v1, v0, s[36:37]
	global_load_ubyte v5, v0, s[36:37] offset:64
	global_load_ubyte v6, v0, s[36:37] offset:128
	;; [unrolled: 1-line block ×15, first 2 shown]
	s_add_u32 s2, s33, s39
	s_addc_u32 s3, s38, 0
	v_mov_b32_e32 v3, s3
	v_add_co_u32_e32 v2, vcc, s2, v0
	v_addc_co_u32_e32 v3, vcc, 0, v3, vcc
	s_mov_b64 s[34:35], -1
	s_waitcnt vmcnt(15)
	flat_store_byte v[2:3], v1
	s_waitcnt vmcnt(0)
	flat_store_byte v[2:3], v5 offset:64
	flat_store_byte v[2:3], v6 offset:128
	;; [unrolled: 1-line block ×14, first 2 shown]
	s_cbranch_execz .LBB2759_3
	s_branch .LBB2759_70
.LBB2759_2:
	s_mov_b64 s[34:35], 0
                                        ; implicit-def: $vgpr4
                                        ; implicit-def: $vgpr2_vgpr3
.LBB2759_3:
	s_sub_i32 s30, s12, s39
	v_cmp_gt_u32_e32 vcc, s30, v0
                                        ; implicit-def: $vgpr1
	s_and_saveexec_b64 s[0:1], vcc
	s_cbranch_execz .LBB2759_5
; %bb.4:
	global_load_ubyte v1, v0, s[36:37]
.LBB2759_5:
	s_or_b64 exec, exec, s[0:1]
	v_or_b32_e32 v2, 64, v0
	v_cmp_gt_u32_e64 s[0:1], s30, v2
                                        ; implicit-def: $vgpr4
	s_and_saveexec_b64 s[2:3], s[0:1]
	s_cbranch_execz .LBB2759_7
; %bb.6:
	global_load_ubyte v4, v0, s[36:37] offset:64
.LBB2759_7:
	s_or_b64 exec, exec, s[2:3]
	v_or_b32_e32 v2, 0x80, v0
	v_cmp_gt_u32_e64 s[2:3], s30, v2
                                        ; implicit-def: $vgpr5
	s_and_saveexec_b64 s[4:5], s[2:3]
	s_cbranch_execz .LBB2759_9
; %bb.8:
	global_load_ubyte v5, v0, s[36:37] offset:128
.LBB2759_9:
	s_or_b64 exec, exec, s[4:5]
	v_or_b32_e32 v2, 0xc0, v0
	v_cmp_gt_u32_e64 s[4:5], s30, v2
                                        ; implicit-def: $vgpr6
	s_and_saveexec_b64 s[6:7], s[4:5]
	s_cbranch_execz .LBB2759_11
; %bb.10:
	global_load_ubyte v6, v0, s[36:37] offset:192
.LBB2759_11:
	s_or_b64 exec, exec, s[6:7]
	v_or_b32_e32 v2, 0x100, v0
	v_cmp_gt_u32_e64 s[6:7], s30, v2
                                        ; implicit-def: $vgpr7
	s_and_saveexec_b64 s[8:9], s[6:7]
	s_cbranch_execz .LBB2759_13
; %bb.12:
	global_load_ubyte v7, v0, s[36:37] offset:256
.LBB2759_13:
	s_or_b64 exec, exec, s[8:9]
	v_or_b32_e32 v2, 0x140, v0
	v_cmp_gt_u32_e64 s[8:9], s30, v2
                                        ; implicit-def: $vgpr8
	s_and_saveexec_b64 s[10:11], s[8:9]
	s_cbranch_execz .LBB2759_15
; %bb.14:
	global_load_ubyte v8, v0, s[36:37] offset:320
.LBB2759_15:
	s_or_b64 exec, exec, s[10:11]
	v_or_b32_e32 v2, 0x180, v0
	v_cmp_gt_u32_e64 s[10:11], s30, v2
                                        ; implicit-def: $vgpr9
	s_and_saveexec_b64 s[12:13], s[10:11]
	s_cbranch_execz .LBB2759_17
; %bb.16:
	global_load_ubyte v9, v0, s[36:37] offset:384
.LBB2759_17:
	s_or_b64 exec, exec, s[12:13]
	v_or_b32_e32 v2, 0x1c0, v0
	v_cmp_gt_u32_e64 s[12:13], s30, v2
                                        ; implicit-def: $vgpr10
	s_and_saveexec_b64 s[14:15], s[12:13]
	s_cbranch_execz .LBB2759_19
; %bb.18:
	global_load_ubyte v10, v0, s[36:37] offset:448
.LBB2759_19:
	s_or_b64 exec, exec, s[14:15]
	v_or_b32_e32 v2, 0x200, v0
	v_cmp_gt_u32_e64 s[14:15], s30, v2
                                        ; implicit-def: $vgpr11
	s_and_saveexec_b64 s[16:17], s[14:15]
	s_cbranch_execz .LBB2759_21
; %bb.20:
	global_load_ubyte v11, v0, s[36:37] offset:512
.LBB2759_21:
	s_or_b64 exec, exec, s[16:17]
	v_or_b32_e32 v2, 0x240, v0
	v_cmp_gt_u32_e64 s[16:17], s30, v2
                                        ; implicit-def: $vgpr12
	s_and_saveexec_b64 s[18:19], s[16:17]
	s_cbranch_execz .LBB2759_23
; %bb.22:
	global_load_ubyte v12, v0, s[36:37] offset:576
.LBB2759_23:
	s_or_b64 exec, exec, s[18:19]
	v_or_b32_e32 v2, 0x280, v0
	v_cmp_gt_u32_e64 s[18:19], s30, v2
                                        ; implicit-def: $vgpr13
	s_and_saveexec_b64 s[20:21], s[18:19]
	s_cbranch_execz .LBB2759_25
; %bb.24:
	global_load_ubyte v13, v0, s[36:37] offset:640
.LBB2759_25:
	s_or_b64 exec, exec, s[20:21]
	v_or_b32_e32 v2, 0x2c0, v0
	v_cmp_gt_u32_e64 s[20:21], s30, v2
                                        ; implicit-def: $vgpr14
	s_and_saveexec_b64 s[22:23], s[20:21]
	s_cbranch_execz .LBB2759_27
; %bb.26:
	global_load_ubyte v14, v0, s[36:37] offset:704
.LBB2759_27:
	s_or_b64 exec, exec, s[22:23]
	v_or_b32_e32 v2, 0x300, v0
	v_cmp_gt_u32_e64 s[22:23], s30, v2
                                        ; implicit-def: $vgpr15
	s_and_saveexec_b64 s[24:25], s[22:23]
	s_cbranch_execz .LBB2759_29
; %bb.28:
	global_load_ubyte v15, v0, s[36:37] offset:768
.LBB2759_29:
	s_or_b64 exec, exec, s[24:25]
	v_or_b32_e32 v2, 0x340, v0
	v_cmp_gt_u32_e64 s[24:25], s30, v2
                                        ; implicit-def: $vgpr16
	s_and_saveexec_b64 s[26:27], s[24:25]
	s_cbranch_execz .LBB2759_31
; %bb.30:
	global_load_ubyte v16, v0, s[36:37] offset:832
.LBB2759_31:
	s_or_b64 exec, exec, s[26:27]
	v_or_b32_e32 v2, 0x380, v0
	v_cmp_gt_u32_e64 s[26:27], s30, v2
                                        ; implicit-def: $vgpr17
	s_and_saveexec_b64 s[28:29], s[26:27]
	s_cbranch_execz .LBB2759_33
; %bb.32:
	global_load_ubyte v17, v0, s[36:37] offset:896
.LBB2759_33:
	s_or_b64 exec, exec, s[28:29]
	v_or_b32_e32 v2, 0x3c0, v0
	v_cmp_gt_u32_e64 s[28:29], s30, v2
	v_cmp_le_u32_e64 s[30:31], s30, v2
	s_and_saveexec_b64 s[40:41], s[30:31]
	s_xor_b64 s[30:31], exec, s[40:41]
                                        ; implicit-def: $vgpr2_vgpr3
; %bb.34:
	v_mov_b32_e32 v3, 0
; %bb.35:
	s_or_saveexec_b64 s[30:31], s[30:31]
                                        ; implicit-def: $vgpr2
	s_xor_b64 exec, exec, s[30:31]
	s_cbranch_execz .LBB2759_37
; %bb.36:
	global_load_ubyte v2, v0, s[36:37] offset:960
	v_mov_b32_e32 v3, 0
.LBB2759_37:
	s_or_b64 exec, exec, s[30:31]
	s_waitcnt vmcnt(0)
	v_lshlrev_b16_e32 v4, 8, v4
	v_or_b32_sdwa v1, v1, v4 dst_sel:DWORD dst_unused:UNUSED_PAD src0_sel:BYTE_0 src1_sel:DWORD
	v_lshlrev_b16_e32 v4, 8, v6
	v_or_b32_sdwa v4, v5, v4 dst_sel:WORD_1 dst_unused:UNUSED_PAD src0_sel:BYTE_0 src1_sel:DWORD
	v_or_b32_sdwa v6, v1, v4 dst_sel:DWORD dst_unused:UNUSED_PAD src0_sel:WORD_0 src1_sel:DWORD
	v_lshlrev_b16_e32 v1, 8, v8
	v_lshlrev_b16_e32 v4, 8, v10
	v_or_b32_sdwa v1, v7, v1 dst_sel:DWORD dst_unused:UNUSED_PAD src0_sel:BYTE_0 src1_sel:DWORD
	v_or_b32_sdwa v4, v9, v4 dst_sel:WORD_1 dst_unused:UNUSED_PAD src0_sel:BYTE_0 src1_sel:DWORD
	v_or_b32_sdwa v5, v1, v4 dst_sel:DWORD dst_unused:UNUSED_PAD src0_sel:WORD_0 src1_sel:DWORD
	v_lshlrev_b16_e32 v1, 8, v12
	v_lshlrev_b16_e32 v4, 8, v14
	v_or_b32_sdwa v1, v11, v1 dst_sel:DWORD dst_unused:UNUSED_PAD src0_sel:BYTE_0 src1_sel:DWORD
	v_or_b32_sdwa v4, v13, v4 dst_sel:WORD_1 dst_unused:UNUSED_PAD src0_sel:BYTE_0 src1_sel:DWORD
	v_or_b32_sdwa v4, v1, v4 dst_sel:DWORD dst_unused:UNUSED_PAD src0_sel:WORD_0 src1_sel:DWORD
	v_lshlrev_b16_e32 v1, 8, v16
	v_lshlrev_b16_e32 v2, 8, v2
	s_add_u32 s30, s33, s39
	v_or_b32_sdwa v1, v15, v1 dst_sel:DWORD dst_unused:UNUSED_PAD src0_sel:BYTE_0 src1_sel:DWORD
	v_or_b32_sdwa v2, v17, v2 dst_sel:WORD_1 dst_unused:UNUSED_PAD src0_sel:BYTE_0 src1_sel:DWORD
	s_addc_u32 s31, s38, 0
	v_or_b32_sdwa v1, v1, v2 dst_sel:DWORD dst_unused:UNUSED_PAD src0_sel:WORD_0 src1_sel:DWORD
	v_mov_b32_e32 v7, s31
	v_add_co_u32_e64 v2, s[30:31], s30, v0
	v_addc_co_u32_e64 v3, s[30:31], v7, v3, s[30:31]
	s_and_saveexec_b64 s[30:31], vcc
	s_cbranch_execz .LBB2759_39
; %bb.38:
	flat_store_byte v[2:3], v6
.LBB2759_39:
	s_or_b64 exec, exec, s[30:31]
	s_and_saveexec_b64 s[30:31], s[0:1]
	s_cbranch_execz .LBB2759_41
; %bb.40:
	v_lshrrev_b32_e32 v0, 8, v6
	flat_store_byte v[2:3], v0 offset:64
.LBB2759_41:
	s_or_b64 exec, exec, s[30:31]
	s_mov_b32 s0, 0x7060104
	v_perm_b32 v0, v6, v6, s0
	v_cndmask_b32_e64 v7, v0, v6, s[2:3]
	s_and_saveexec_b64 s[0:1], s[2:3]
	s_cbranch_execz .LBB2759_43
; %bb.42:
	flat_store_byte_d16_hi v[2:3], v7 offset:128
.LBB2759_43:
	s_or_b64 exec, exec, s[0:1]
	s_mov_b32 s0, 0x7020504
	v_perm_b32 v0, v0, v7, s0
	v_cndmask_b32_e64 v0, v0, v6, s[4:5]
	s_and_saveexec_b64 s[0:1], s[4:5]
	s_cbranch_execz .LBB2759_45
; %bb.44:
	v_lshrrev_b32_e32 v0, 24, v0
	flat_store_byte v[2:3], v0 offset:192
.LBB2759_45:
	s_or_b64 exec, exec, s[0:1]
	s_and_saveexec_b64 s[0:1], s[6:7]
	s_cbranch_execz .LBB2759_47
; %bb.46:
	flat_store_byte v[2:3], v5 offset:256
.LBB2759_47:
	s_or_b64 exec, exec, s[0:1]
	s_mov_b32 s0, 0x3020104
	v_perm_b32 v0, v5, v5, s0
	v_cndmask_b32_e64 v6, v0, v5, s[8:9]
	s_and_saveexec_b64 s[0:1], s[8:9]
	s_cbranch_execz .LBB2759_49
; %bb.48:
	v_lshrrev_b32_e32 v7, 8, v6
	flat_store_byte v[2:3], v7 offset:320
.LBB2759_49:
	s_or_b64 exec, exec, s[0:1]
	s_mov_b32 s0, 0x7060104
	v_perm_b32 v0, v0, v6, s0
	v_cndmask_b32_e64 v6, v0, v5, s[10:11]
	s_and_saveexec_b64 s[0:1], s[10:11]
	s_cbranch_execz .LBB2759_51
; %bb.50:
	flat_store_byte_d16_hi v[2:3], v6 offset:384
.LBB2759_51:
	s_or_b64 exec, exec, s[0:1]
	s_mov_b32 s0, 0x7020504
	v_perm_b32 v0, v0, v6, s0
	v_cndmask_b32_e64 v0, v0, v5, s[12:13]
	s_and_saveexec_b64 s[0:1], s[12:13]
	s_cbranch_execz .LBB2759_53
; %bb.52:
	v_lshrrev_b32_e32 v0, 24, v0
	flat_store_byte v[2:3], v0 offset:448
.LBB2759_53:
	s_or_b64 exec, exec, s[0:1]
	s_and_saveexec_b64 s[0:1], s[14:15]
	s_cbranch_execz .LBB2759_55
; %bb.54:
	flat_store_byte v[2:3], v4 offset:512
.LBB2759_55:
	s_or_b64 exec, exec, s[0:1]
	s_mov_b32 s0, 0x3020104
	v_perm_b32 v0, v4, v4, s0
	v_cndmask_b32_e64 v5, v0, v4, s[16:17]
	;; [unrolled: 35-line block ×3, first 2 shown]
	s_and_saveexec_b64 s[0:1], s[24:25]
	s_cbranch_execz .LBB2759_65
; %bb.64:
	v_lshrrev_b32_e32 v5, 8, v4
	flat_store_byte v[2:3], v5 offset:832
.LBB2759_65:
	s_or_b64 exec, exec, s[0:1]
	s_mov_b32 s0, 0x7060104
	v_perm_b32 v0, v0, v4, s0
	s_and_saveexec_b64 s[0:1], s[26:27]
	s_cbranch_execz .LBB2759_67
; %bb.66:
	v_cndmask_b32_e64 v4, v0, v1, s[26:27]
	flat_store_byte_d16_hi v[2:3], v4 offset:896
.LBB2759_67:
	s_or_b64 exec, exec, s[0:1]
                                        ; implicit-def: $vgpr4
	s_and_saveexec_b64 s[0:1], s[28:29]
; %bb.68:
	v_cndmask_b32_e64 v0, v0, v1, s[28:29]
	v_lshrrev_b32_e32 v4, 24, v0
	s_or_b64 s[34:35], s[34:35], exec
; %bb.69:
	s_or_b64 exec, exec, s[0:1]
.LBB2759_70:
	s_and_saveexec_b64 s[0:1], s[34:35]
	s_cbranch_execnz .LBB2759_72
; %bb.71:
	s_endpgm
.LBB2759_72:
	flat_store_byte v[2:3], v4 offset:960
	s_endpgm
	.section	.rodata,"a",@progbits
	.p2align	6, 0x0
	.amdhsa_kernel _ZN7rocprim17ROCPRIM_400000_NS6detail17trampoline_kernelINS0_14default_configENS1_25transform_config_selectorIcLb0EEEZNS1_14transform_implILb0ES3_S5_PcN6thrust23THRUST_200600_302600_NS6detail15normal_iteratorINS9_10device_ptrIcEEEENS0_8identityIcEEEE10hipError_tT2_T3_mT4_P12ihipStream_tbEUlT_E_NS1_11comp_targetILNS1_3genE4ELNS1_11target_archE910ELNS1_3gpuE8ELNS1_3repE0EEENS1_30default_config_static_selectorELNS0_4arch9wavefront6targetE1EEEvT1_
		.amdhsa_group_segment_fixed_size 0
		.amdhsa_private_segment_fixed_size 0
		.amdhsa_kernarg_size 296
		.amdhsa_user_sgpr_count 6
		.amdhsa_user_sgpr_private_segment_buffer 1
		.amdhsa_user_sgpr_dispatch_ptr 0
		.amdhsa_user_sgpr_queue_ptr 0
		.amdhsa_user_sgpr_kernarg_segment_ptr 1
		.amdhsa_user_sgpr_dispatch_id 0
		.amdhsa_user_sgpr_flat_scratch_init 0
		.amdhsa_user_sgpr_kernarg_preload_length 0
		.amdhsa_user_sgpr_kernarg_preload_offset 0
		.amdhsa_user_sgpr_private_segment_size 0
		.amdhsa_uses_dynamic_stack 0
		.amdhsa_system_sgpr_private_segment_wavefront_offset 0
		.amdhsa_system_sgpr_workgroup_id_x 1
		.amdhsa_system_sgpr_workgroup_id_y 0
		.amdhsa_system_sgpr_workgroup_id_z 0
		.amdhsa_system_sgpr_workgroup_info 0
		.amdhsa_system_vgpr_workitem_id 0
		.amdhsa_next_free_vgpr 19
		.amdhsa_next_free_sgpr 42
		.amdhsa_accum_offset 20
		.amdhsa_reserve_vcc 1
		.amdhsa_reserve_flat_scratch 0
		.amdhsa_float_round_mode_32 0
		.amdhsa_float_round_mode_16_64 0
		.amdhsa_float_denorm_mode_32 3
		.amdhsa_float_denorm_mode_16_64 3
		.amdhsa_dx10_clamp 1
		.amdhsa_ieee_mode 1
		.amdhsa_fp16_overflow 0
		.amdhsa_tg_split 0
		.amdhsa_exception_fp_ieee_invalid_op 0
		.amdhsa_exception_fp_denorm_src 0
		.amdhsa_exception_fp_ieee_div_zero 0
		.amdhsa_exception_fp_ieee_overflow 0
		.amdhsa_exception_fp_ieee_underflow 0
		.amdhsa_exception_fp_ieee_inexact 0
		.amdhsa_exception_int_div_zero 0
	.end_amdhsa_kernel
	.section	.text._ZN7rocprim17ROCPRIM_400000_NS6detail17trampoline_kernelINS0_14default_configENS1_25transform_config_selectorIcLb0EEEZNS1_14transform_implILb0ES3_S5_PcN6thrust23THRUST_200600_302600_NS6detail15normal_iteratorINS9_10device_ptrIcEEEENS0_8identityIcEEEE10hipError_tT2_T3_mT4_P12ihipStream_tbEUlT_E_NS1_11comp_targetILNS1_3genE4ELNS1_11target_archE910ELNS1_3gpuE8ELNS1_3repE0EEENS1_30default_config_static_selectorELNS0_4arch9wavefront6targetE1EEEvT1_,"axG",@progbits,_ZN7rocprim17ROCPRIM_400000_NS6detail17trampoline_kernelINS0_14default_configENS1_25transform_config_selectorIcLb0EEEZNS1_14transform_implILb0ES3_S5_PcN6thrust23THRUST_200600_302600_NS6detail15normal_iteratorINS9_10device_ptrIcEEEENS0_8identityIcEEEE10hipError_tT2_T3_mT4_P12ihipStream_tbEUlT_E_NS1_11comp_targetILNS1_3genE4ELNS1_11target_archE910ELNS1_3gpuE8ELNS1_3repE0EEENS1_30default_config_static_selectorELNS0_4arch9wavefront6targetE1EEEvT1_,comdat
.Lfunc_end2759:
	.size	_ZN7rocprim17ROCPRIM_400000_NS6detail17trampoline_kernelINS0_14default_configENS1_25transform_config_selectorIcLb0EEEZNS1_14transform_implILb0ES3_S5_PcN6thrust23THRUST_200600_302600_NS6detail15normal_iteratorINS9_10device_ptrIcEEEENS0_8identityIcEEEE10hipError_tT2_T3_mT4_P12ihipStream_tbEUlT_E_NS1_11comp_targetILNS1_3genE4ELNS1_11target_archE910ELNS1_3gpuE8ELNS1_3repE0EEENS1_30default_config_static_selectorELNS0_4arch9wavefront6targetE1EEEvT1_, .Lfunc_end2759-_ZN7rocprim17ROCPRIM_400000_NS6detail17trampoline_kernelINS0_14default_configENS1_25transform_config_selectorIcLb0EEEZNS1_14transform_implILb0ES3_S5_PcN6thrust23THRUST_200600_302600_NS6detail15normal_iteratorINS9_10device_ptrIcEEEENS0_8identityIcEEEE10hipError_tT2_T3_mT4_P12ihipStream_tbEUlT_E_NS1_11comp_targetILNS1_3genE4ELNS1_11target_archE910ELNS1_3gpuE8ELNS1_3repE0EEENS1_30default_config_static_selectorELNS0_4arch9wavefront6targetE1EEEvT1_
                                        ; -- End function
	.section	.AMDGPU.csdata,"",@progbits
; Kernel info:
; codeLenInByte = 1720
; NumSgprs: 46
; NumVgprs: 19
; NumAgprs: 0
; TotalNumVgprs: 19
; ScratchSize: 0
; MemoryBound: 0
; FloatMode: 240
; IeeeMode: 1
; LDSByteSize: 0 bytes/workgroup (compile time only)
; SGPRBlocks: 5
; VGPRBlocks: 2
; NumSGPRsForWavesPerEU: 46
; NumVGPRsForWavesPerEU: 19
; AccumOffset: 20
; Occupancy: 8
; WaveLimiterHint : 0
; COMPUTE_PGM_RSRC2:SCRATCH_EN: 0
; COMPUTE_PGM_RSRC2:USER_SGPR: 6
; COMPUTE_PGM_RSRC2:TRAP_HANDLER: 0
; COMPUTE_PGM_RSRC2:TGID_X_EN: 1
; COMPUTE_PGM_RSRC2:TGID_Y_EN: 0
; COMPUTE_PGM_RSRC2:TGID_Z_EN: 0
; COMPUTE_PGM_RSRC2:TIDIG_COMP_CNT: 0
; COMPUTE_PGM_RSRC3_GFX90A:ACCUM_OFFSET: 4
; COMPUTE_PGM_RSRC3_GFX90A:TG_SPLIT: 0
	.section	.text._ZN7rocprim17ROCPRIM_400000_NS6detail17trampoline_kernelINS0_14default_configENS1_25transform_config_selectorIcLb0EEEZNS1_14transform_implILb0ES3_S5_PcN6thrust23THRUST_200600_302600_NS6detail15normal_iteratorINS9_10device_ptrIcEEEENS0_8identityIcEEEE10hipError_tT2_T3_mT4_P12ihipStream_tbEUlT_E_NS1_11comp_targetILNS1_3genE3ELNS1_11target_archE908ELNS1_3gpuE7ELNS1_3repE0EEENS1_30default_config_static_selectorELNS0_4arch9wavefront6targetE1EEEvT1_,"axG",@progbits,_ZN7rocprim17ROCPRIM_400000_NS6detail17trampoline_kernelINS0_14default_configENS1_25transform_config_selectorIcLb0EEEZNS1_14transform_implILb0ES3_S5_PcN6thrust23THRUST_200600_302600_NS6detail15normal_iteratorINS9_10device_ptrIcEEEENS0_8identityIcEEEE10hipError_tT2_T3_mT4_P12ihipStream_tbEUlT_E_NS1_11comp_targetILNS1_3genE3ELNS1_11target_archE908ELNS1_3gpuE7ELNS1_3repE0EEENS1_30default_config_static_selectorELNS0_4arch9wavefront6targetE1EEEvT1_,comdat
	.protected	_ZN7rocprim17ROCPRIM_400000_NS6detail17trampoline_kernelINS0_14default_configENS1_25transform_config_selectorIcLb0EEEZNS1_14transform_implILb0ES3_S5_PcN6thrust23THRUST_200600_302600_NS6detail15normal_iteratorINS9_10device_ptrIcEEEENS0_8identityIcEEEE10hipError_tT2_T3_mT4_P12ihipStream_tbEUlT_E_NS1_11comp_targetILNS1_3genE3ELNS1_11target_archE908ELNS1_3gpuE7ELNS1_3repE0EEENS1_30default_config_static_selectorELNS0_4arch9wavefront6targetE1EEEvT1_ ; -- Begin function _ZN7rocprim17ROCPRIM_400000_NS6detail17trampoline_kernelINS0_14default_configENS1_25transform_config_selectorIcLb0EEEZNS1_14transform_implILb0ES3_S5_PcN6thrust23THRUST_200600_302600_NS6detail15normal_iteratorINS9_10device_ptrIcEEEENS0_8identityIcEEEE10hipError_tT2_T3_mT4_P12ihipStream_tbEUlT_E_NS1_11comp_targetILNS1_3genE3ELNS1_11target_archE908ELNS1_3gpuE7ELNS1_3repE0EEENS1_30default_config_static_selectorELNS0_4arch9wavefront6targetE1EEEvT1_
	.globl	_ZN7rocprim17ROCPRIM_400000_NS6detail17trampoline_kernelINS0_14default_configENS1_25transform_config_selectorIcLb0EEEZNS1_14transform_implILb0ES3_S5_PcN6thrust23THRUST_200600_302600_NS6detail15normal_iteratorINS9_10device_ptrIcEEEENS0_8identityIcEEEE10hipError_tT2_T3_mT4_P12ihipStream_tbEUlT_E_NS1_11comp_targetILNS1_3genE3ELNS1_11target_archE908ELNS1_3gpuE7ELNS1_3repE0EEENS1_30default_config_static_selectorELNS0_4arch9wavefront6targetE1EEEvT1_
	.p2align	8
	.type	_ZN7rocprim17ROCPRIM_400000_NS6detail17trampoline_kernelINS0_14default_configENS1_25transform_config_selectorIcLb0EEEZNS1_14transform_implILb0ES3_S5_PcN6thrust23THRUST_200600_302600_NS6detail15normal_iteratorINS9_10device_ptrIcEEEENS0_8identityIcEEEE10hipError_tT2_T3_mT4_P12ihipStream_tbEUlT_E_NS1_11comp_targetILNS1_3genE3ELNS1_11target_archE908ELNS1_3gpuE7ELNS1_3repE0EEENS1_30default_config_static_selectorELNS0_4arch9wavefront6targetE1EEEvT1_,@function
_ZN7rocprim17ROCPRIM_400000_NS6detail17trampoline_kernelINS0_14default_configENS1_25transform_config_selectorIcLb0EEEZNS1_14transform_implILb0ES3_S5_PcN6thrust23THRUST_200600_302600_NS6detail15normal_iteratorINS9_10device_ptrIcEEEENS0_8identityIcEEEE10hipError_tT2_T3_mT4_P12ihipStream_tbEUlT_E_NS1_11comp_targetILNS1_3genE3ELNS1_11target_archE908ELNS1_3gpuE7ELNS1_3repE0EEENS1_30default_config_static_selectorELNS0_4arch9wavefront6targetE1EEEvT1_: ; @_ZN7rocprim17ROCPRIM_400000_NS6detail17trampoline_kernelINS0_14default_configENS1_25transform_config_selectorIcLb0EEEZNS1_14transform_implILb0ES3_S5_PcN6thrust23THRUST_200600_302600_NS6detail15normal_iteratorINS9_10device_ptrIcEEEENS0_8identityIcEEEE10hipError_tT2_T3_mT4_P12ihipStream_tbEUlT_E_NS1_11comp_targetILNS1_3genE3ELNS1_11target_archE908ELNS1_3gpuE7ELNS1_3repE0EEENS1_30default_config_static_selectorELNS0_4arch9wavefront6targetE1EEEvT1_
; %bb.0:
	.section	.rodata,"a",@progbits
	.p2align	6, 0x0
	.amdhsa_kernel _ZN7rocprim17ROCPRIM_400000_NS6detail17trampoline_kernelINS0_14default_configENS1_25transform_config_selectorIcLb0EEEZNS1_14transform_implILb0ES3_S5_PcN6thrust23THRUST_200600_302600_NS6detail15normal_iteratorINS9_10device_ptrIcEEEENS0_8identityIcEEEE10hipError_tT2_T3_mT4_P12ihipStream_tbEUlT_E_NS1_11comp_targetILNS1_3genE3ELNS1_11target_archE908ELNS1_3gpuE7ELNS1_3repE0EEENS1_30default_config_static_selectorELNS0_4arch9wavefront6targetE1EEEvT1_
		.amdhsa_group_segment_fixed_size 0
		.amdhsa_private_segment_fixed_size 0
		.amdhsa_kernarg_size 40
		.amdhsa_user_sgpr_count 6
		.amdhsa_user_sgpr_private_segment_buffer 1
		.amdhsa_user_sgpr_dispatch_ptr 0
		.amdhsa_user_sgpr_queue_ptr 0
		.amdhsa_user_sgpr_kernarg_segment_ptr 1
		.amdhsa_user_sgpr_dispatch_id 0
		.amdhsa_user_sgpr_flat_scratch_init 0
		.amdhsa_user_sgpr_kernarg_preload_length 0
		.amdhsa_user_sgpr_kernarg_preload_offset 0
		.amdhsa_user_sgpr_private_segment_size 0
		.amdhsa_uses_dynamic_stack 0
		.amdhsa_system_sgpr_private_segment_wavefront_offset 0
		.amdhsa_system_sgpr_workgroup_id_x 1
		.amdhsa_system_sgpr_workgroup_id_y 0
		.amdhsa_system_sgpr_workgroup_id_z 0
		.amdhsa_system_sgpr_workgroup_info 0
		.amdhsa_system_vgpr_workitem_id 0
		.amdhsa_next_free_vgpr 1
		.amdhsa_next_free_sgpr 0
		.amdhsa_accum_offset 4
		.amdhsa_reserve_vcc 0
		.amdhsa_reserve_flat_scratch 0
		.amdhsa_float_round_mode_32 0
		.amdhsa_float_round_mode_16_64 0
		.amdhsa_float_denorm_mode_32 3
		.amdhsa_float_denorm_mode_16_64 3
		.amdhsa_dx10_clamp 1
		.amdhsa_ieee_mode 1
		.amdhsa_fp16_overflow 0
		.amdhsa_tg_split 0
		.amdhsa_exception_fp_ieee_invalid_op 0
		.amdhsa_exception_fp_denorm_src 0
		.amdhsa_exception_fp_ieee_div_zero 0
		.amdhsa_exception_fp_ieee_overflow 0
		.amdhsa_exception_fp_ieee_underflow 0
		.amdhsa_exception_fp_ieee_inexact 0
		.amdhsa_exception_int_div_zero 0
	.end_amdhsa_kernel
	.section	.text._ZN7rocprim17ROCPRIM_400000_NS6detail17trampoline_kernelINS0_14default_configENS1_25transform_config_selectorIcLb0EEEZNS1_14transform_implILb0ES3_S5_PcN6thrust23THRUST_200600_302600_NS6detail15normal_iteratorINS9_10device_ptrIcEEEENS0_8identityIcEEEE10hipError_tT2_T3_mT4_P12ihipStream_tbEUlT_E_NS1_11comp_targetILNS1_3genE3ELNS1_11target_archE908ELNS1_3gpuE7ELNS1_3repE0EEENS1_30default_config_static_selectorELNS0_4arch9wavefront6targetE1EEEvT1_,"axG",@progbits,_ZN7rocprim17ROCPRIM_400000_NS6detail17trampoline_kernelINS0_14default_configENS1_25transform_config_selectorIcLb0EEEZNS1_14transform_implILb0ES3_S5_PcN6thrust23THRUST_200600_302600_NS6detail15normal_iteratorINS9_10device_ptrIcEEEENS0_8identityIcEEEE10hipError_tT2_T3_mT4_P12ihipStream_tbEUlT_E_NS1_11comp_targetILNS1_3genE3ELNS1_11target_archE908ELNS1_3gpuE7ELNS1_3repE0EEENS1_30default_config_static_selectorELNS0_4arch9wavefront6targetE1EEEvT1_,comdat
.Lfunc_end2760:
	.size	_ZN7rocprim17ROCPRIM_400000_NS6detail17trampoline_kernelINS0_14default_configENS1_25transform_config_selectorIcLb0EEEZNS1_14transform_implILb0ES3_S5_PcN6thrust23THRUST_200600_302600_NS6detail15normal_iteratorINS9_10device_ptrIcEEEENS0_8identityIcEEEE10hipError_tT2_T3_mT4_P12ihipStream_tbEUlT_E_NS1_11comp_targetILNS1_3genE3ELNS1_11target_archE908ELNS1_3gpuE7ELNS1_3repE0EEENS1_30default_config_static_selectorELNS0_4arch9wavefront6targetE1EEEvT1_, .Lfunc_end2760-_ZN7rocprim17ROCPRIM_400000_NS6detail17trampoline_kernelINS0_14default_configENS1_25transform_config_selectorIcLb0EEEZNS1_14transform_implILb0ES3_S5_PcN6thrust23THRUST_200600_302600_NS6detail15normal_iteratorINS9_10device_ptrIcEEEENS0_8identityIcEEEE10hipError_tT2_T3_mT4_P12ihipStream_tbEUlT_E_NS1_11comp_targetILNS1_3genE3ELNS1_11target_archE908ELNS1_3gpuE7ELNS1_3repE0EEENS1_30default_config_static_selectorELNS0_4arch9wavefront6targetE1EEEvT1_
                                        ; -- End function
	.section	.AMDGPU.csdata,"",@progbits
; Kernel info:
; codeLenInByte = 0
; NumSgprs: 4
; NumVgprs: 0
; NumAgprs: 0
; TotalNumVgprs: 0
; ScratchSize: 0
; MemoryBound: 0
; FloatMode: 240
; IeeeMode: 1
; LDSByteSize: 0 bytes/workgroup (compile time only)
; SGPRBlocks: 0
; VGPRBlocks: 0
; NumSGPRsForWavesPerEU: 4
; NumVGPRsForWavesPerEU: 1
; AccumOffset: 4
; Occupancy: 8
; WaveLimiterHint : 0
; COMPUTE_PGM_RSRC2:SCRATCH_EN: 0
; COMPUTE_PGM_RSRC2:USER_SGPR: 6
; COMPUTE_PGM_RSRC2:TRAP_HANDLER: 0
; COMPUTE_PGM_RSRC2:TGID_X_EN: 1
; COMPUTE_PGM_RSRC2:TGID_Y_EN: 0
; COMPUTE_PGM_RSRC2:TGID_Z_EN: 0
; COMPUTE_PGM_RSRC2:TIDIG_COMP_CNT: 0
; COMPUTE_PGM_RSRC3_GFX90A:ACCUM_OFFSET: 0
; COMPUTE_PGM_RSRC3_GFX90A:TG_SPLIT: 0
	.section	.text._ZN7rocprim17ROCPRIM_400000_NS6detail17trampoline_kernelINS0_14default_configENS1_25transform_config_selectorIcLb0EEEZNS1_14transform_implILb0ES3_S5_PcN6thrust23THRUST_200600_302600_NS6detail15normal_iteratorINS9_10device_ptrIcEEEENS0_8identityIcEEEE10hipError_tT2_T3_mT4_P12ihipStream_tbEUlT_E_NS1_11comp_targetILNS1_3genE2ELNS1_11target_archE906ELNS1_3gpuE6ELNS1_3repE0EEENS1_30default_config_static_selectorELNS0_4arch9wavefront6targetE1EEEvT1_,"axG",@progbits,_ZN7rocprim17ROCPRIM_400000_NS6detail17trampoline_kernelINS0_14default_configENS1_25transform_config_selectorIcLb0EEEZNS1_14transform_implILb0ES3_S5_PcN6thrust23THRUST_200600_302600_NS6detail15normal_iteratorINS9_10device_ptrIcEEEENS0_8identityIcEEEE10hipError_tT2_T3_mT4_P12ihipStream_tbEUlT_E_NS1_11comp_targetILNS1_3genE2ELNS1_11target_archE906ELNS1_3gpuE6ELNS1_3repE0EEENS1_30default_config_static_selectorELNS0_4arch9wavefront6targetE1EEEvT1_,comdat
	.protected	_ZN7rocprim17ROCPRIM_400000_NS6detail17trampoline_kernelINS0_14default_configENS1_25transform_config_selectorIcLb0EEEZNS1_14transform_implILb0ES3_S5_PcN6thrust23THRUST_200600_302600_NS6detail15normal_iteratorINS9_10device_ptrIcEEEENS0_8identityIcEEEE10hipError_tT2_T3_mT4_P12ihipStream_tbEUlT_E_NS1_11comp_targetILNS1_3genE2ELNS1_11target_archE906ELNS1_3gpuE6ELNS1_3repE0EEENS1_30default_config_static_selectorELNS0_4arch9wavefront6targetE1EEEvT1_ ; -- Begin function _ZN7rocprim17ROCPRIM_400000_NS6detail17trampoline_kernelINS0_14default_configENS1_25transform_config_selectorIcLb0EEEZNS1_14transform_implILb0ES3_S5_PcN6thrust23THRUST_200600_302600_NS6detail15normal_iteratorINS9_10device_ptrIcEEEENS0_8identityIcEEEE10hipError_tT2_T3_mT4_P12ihipStream_tbEUlT_E_NS1_11comp_targetILNS1_3genE2ELNS1_11target_archE906ELNS1_3gpuE6ELNS1_3repE0EEENS1_30default_config_static_selectorELNS0_4arch9wavefront6targetE1EEEvT1_
	.globl	_ZN7rocprim17ROCPRIM_400000_NS6detail17trampoline_kernelINS0_14default_configENS1_25transform_config_selectorIcLb0EEEZNS1_14transform_implILb0ES3_S5_PcN6thrust23THRUST_200600_302600_NS6detail15normal_iteratorINS9_10device_ptrIcEEEENS0_8identityIcEEEE10hipError_tT2_T3_mT4_P12ihipStream_tbEUlT_E_NS1_11comp_targetILNS1_3genE2ELNS1_11target_archE906ELNS1_3gpuE6ELNS1_3repE0EEENS1_30default_config_static_selectorELNS0_4arch9wavefront6targetE1EEEvT1_
	.p2align	8
	.type	_ZN7rocprim17ROCPRIM_400000_NS6detail17trampoline_kernelINS0_14default_configENS1_25transform_config_selectorIcLb0EEEZNS1_14transform_implILb0ES3_S5_PcN6thrust23THRUST_200600_302600_NS6detail15normal_iteratorINS9_10device_ptrIcEEEENS0_8identityIcEEEE10hipError_tT2_T3_mT4_P12ihipStream_tbEUlT_E_NS1_11comp_targetILNS1_3genE2ELNS1_11target_archE906ELNS1_3gpuE6ELNS1_3repE0EEENS1_30default_config_static_selectorELNS0_4arch9wavefront6targetE1EEEvT1_,@function
_ZN7rocprim17ROCPRIM_400000_NS6detail17trampoline_kernelINS0_14default_configENS1_25transform_config_selectorIcLb0EEEZNS1_14transform_implILb0ES3_S5_PcN6thrust23THRUST_200600_302600_NS6detail15normal_iteratorINS9_10device_ptrIcEEEENS0_8identityIcEEEE10hipError_tT2_T3_mT4_P12ihipStream_tbEUlT_E_NS1_11comp_targetILNS1_3genE2ELNS1_11target_archE906ELNS1_3gpuE6ELNS1_3repE0EEENS1_30default_config_static_selectorELNS0_4arch9wavefront6targetE1EEEvT1_: ; @_ZN7rocprim17ROCPRIM_400000_NS6detail17trampoline_kernelINS0_14default_configENS1_25transform_config_selectorIcLb0EEEZNS1_14transform_implILb0ES3_S5_PcN6thrust23THRUST_200600_302600_NS6detail15normal_iteratorINS9_10device_ptrIcEEEENS0_8identityIcEEEE10hipError_tT2_T3_mT4_P12ihipStream_tbEUlT_E_NS1_11comp_targetILNS1_3genE2ELNS1_11target_archE906ELNS1_3gpuE6ELNS1_3repE0EEENS1_30default_config_static_selectorELNS0_4arch9wavefront6targetE1EEEvT1_
; %bb.0:
	.section	.rodata,"a",@progbits
	.p2align	6, 0x0
	.amdhsa_kernel _ZN7rocprim17ROCPRIM_400000_NS6detail17trampoline_kernelINS0_14default_configENS1_25transform_config_selectorIcLb0EEEZNS1_14transform_implILb0ES3_S5_PcN6thrust23THRUST_200600_302600_NS6detail15normal_iteratorINS9_10device_ptrIcEEEENS0_8identityIcEEEE10hipError_tT2_T3_mT4_P12ihipStream_tbEUlT_E_NS1_11comp_targetILNS1_3genE2ELNS1_11target_archE906ELNS1_3gpuE6ELNS1_3repE0EEENS1_30default_config_static_selectorELNS0_4arch9wavefront6targetE1EEEvT1_
		.amdhsa_group_segment_fixed_size 0
		.amdhsa_private_segment_fixed_size 0
		.amdhsa_kernarg_size 40
		.amdhsa_user_sgpr_count 6
		.amdhsa_user_sgpr_private_segment_buffer 1
		.amdhsa_user_sgpr_dispatch_ptr 0
		.amdhsa_user_sgpr_queue_ptr 0
		.amdhsa_user_sgpr_kernarg_segment_ptr 1
		.amdhsa_user_sgpr_dispatch_id 0
		.amdhsa_user_sgpr_flat_scratch_init 0
		.amdhsa_user_sgpr_kernarg_preload_length 0
		.amdhsa_user_sgpr_kernarg_preload_offset 0
		.amdhsa_user_sgpr_private_segment_size 0
		.amdhsa_uses_dynamic_stack 0
		.amdhsa_system_sgpr_private_segment_wavefront_offset 0
		.amdhsa_system_sgpr_workgroup_id_x 1
		.amdhsa_system_sgpr_workgroup_id_y 0
		.amdhsa_system_sgpr_workgroup_id_z 0
		.amdhsa_system_sgpr_workgroup_info 0
		.amdhsa_system_vgpr_workitem_id 0
		.amdhsa_next_free_vgpr 1
		.amdhsa_next_free_sgpr 0
		.amdhsa_accum_offset 4
		.amdhsa_reserve_vcc 0
		.amdhsa_reserve_flat_scratch 0
		.amdhsa_float_round_mode_32 0
		.amdhsa_float_round_mode_16_64 0
		.amdhsa_float_denorm_mode_32 3
		.amdhsa_float_denorm_mode_16_64 3
		.amdhsa_dx10_clamp 1
		.amdhsa_ieee_mode 1
		.amdhsa_fp16_overflow 0
		.amdhsa_tg_split 0
		.amdhsa_exception_fp_ieee_invalid_op 0
		.amdhsa_exception_fp_denorm_src 0
		.amdhsa_exception_fp_ieee_div_zero 0
		.amdhsa_exception_fp_ieee_overflow 0
		.amdhsa_exception_fp_ieee_underflow 0
		.amdhsa_exception_fp_ieee_inexact 0
		.amdhsa_exception_int_div_zero 0
	.end_amdhsa_kernel
	.section	.text._ZN7rocprim17ROCPRIM_400000_NS6detail17trampoline_kernelINS0_14default_configENS1_25transform_config_selectorIcLb0EEEZNS1_14transform_implILb0ES3_S5_PcN6thrust23THRUST_200600_302600_NS6detail15normal_iteratorINS9_10device_ptrIcEEEENS0_8identityIcEEEE10hipError_tT2_T3_mT4_P12ihipStream_tbEUlT_E_NS1_11comp_targetILNS1_3genE2ELNS1_11target_archE906ELNS1_3gpuE6ELNS1_3repE0EEENS1_30default_config_static_selectorELNS0_4arch9wavefront6targetE1EEEvT1_,"axG",@progbits,_ZN7rocprim17ROCPRIM_400000_NS6detail17trampoline_kernelINS0_14default_configENS1_25transform_config_selectorIcLb0EEEZNS1_14transform_implILb0ES3_S5_PcN6thrust23THRUST_200600_302600_NS6detail15normal_iteratorINS9_10device_ptrIcEEEENS0_8identityIcEEEE10hipError_tT2_T3_mT4_P12ihipStream_tbEUlT_E_NS1_11comp_targetILNS1_3genE2ELNS1_11target_archE906ELNS1_3gpuE6ELNS1_3repE0EEENS1_30default_config_static_selectorELNS0_4arch9wavefront6targetE1EEEvT1_,comdat
.Lfunc_end2761:
	.size	_ZN7rocprim17ROCPRIM_400000_NS6detail17trampoline_kernelINS0_14default_configENS1_25transform_config_selectorIcLb0EEEZNS1_14transform_implILb0ES3_S5_PcN6thrust23THRUST_200600_302600_NS6detail15normal_iteratorINS9_10device_ptrIcEEEENS0_8identityIcEEEE10hipError_tT2_T3_mT4_P12ihipStream_tbEUlT_E_NS1_11comp_targetILNS1_3genE2ELNS1_11target_archE906ELNS1_3gpuE6ELNS1_3repE0EEENS1_30default_config_static_selectorELNS0_4arch9wavefront6targetE1EEEvT1_, .Lfunc_end2761-_ZN7rocprim17ROCPRIM_400000_NS6detail17trampoline_kernelINS0_14default_configENS1_25transform_config_selectorIcLb0EEEZNS1_14transform_implILb0ES3_S5_PcN6thrust23THRUST_200600_302600_NS6detail15normal_iteratorINS9_10device_ptrIcEEEENS0_8identityIcEEEE10hipError_tT2_T3_mT4_P12ihipStream_tbEUlT_E_NS1_11comp_targetILNS1_3genE2ELNS1_11target_archE906ELNS1_3gpuE6ELNS1_3repE0EEENS1_30default_config_static_selectorELNS0_4arch9wavefront6targetE1EEEvT1_
                                        ; -- End function
	.section	.AMDGPU.csdata,"",@progbits
; Kernel info:
; codeLenInByte = 0
; NumSgprs: 4
; NumVgprs: 0
; NumAgprs: 0
; TotalNumVgprs: 0
; ScratchSize: 0
; MemoryBound: 0
; FloatMode: 240
; IeeeMode: 1
; LDSByteSize: 0 bytes/workgroup (compile time only)
; SGPRBlocks: 0
; VGPRBlocks: 0
; NumSGPRsForWavesPerEU: 4
; NumVGPRsForWavesPerEU: 1
; AccumOffset: 4
; Occupancy: 8
; WaveLimiterHint : 0
; COMPUTE_PGM_RSRC2:SCRATCH_EN: 0
; COMPUTE_PGM_RSRC2:USER_SGPR: 6
; COMPUTE_PGM_RSRC2:TRAP_HANDLER: 0
; COMPUTE_PGM_RSRC2:TGID_X_EN: 1
; COMPUTE_PGM_RSRC2:TGID_Y_EN: 0
; COMPUTE_PGM_RSRC2:TGID_Z_EN: 0
; COMPUTE_PGM_RSRC2:TIDIG_COMP_CNT: 0
; COMPUTE_PGM_RSRC3_GFX90A:ACCUM_OFFSET: 0
; COMPUTE_PGM_RSRC3_GFX90A:TG_SPLIT: 0
	.section	.text._ZN7rocprim17ROCPRIM_400000_NS6detail17trampoline_kernelINS0_14default_configENS1_25transform_config_selectorIcLb0EEEZNS1_14transform_implILb0ES3_S5_PcN6thrust23THRUST_200600_302600_NS6detail15normal_iteratorINS9_10device_ptrIcEEEENS0_8identityIcEEEE10hipError_tT2_T3_mT4_P12ihipStream_tbEUlT_E_NS1_11comp_targetILNS1_3genE10ELNS1_11target_archE1201ELNS1_3gpuE5ELNS1_3repE0EEENS1_30default_config_static_selectorELNS0_4arch9wavefront6targetE1EEEvT1_,"axG",@progbits,_ZN7rocprim17ROCPRIM_400000_NS6detail17trampoline_kernelINS0_14default_configENS1_25transform_config_selectorIcLb0EEEZNS1_14transform_implILb0ES3_S5_PcN6thrust23THRUST_200600_302600_NS6detail15normal_iteratorINS9_10device_ptrIcEEEENS0_8identityIcEEEE10hipError_tT2_T3_mT4_P12ihipStream_tbEUlT_E_NS1_11comp_targetILNS1_3genE10ELNS1_11target_archE1201ELNS1_3gpuE5ELNS1_3repE0EEENS1_30default_config_static_selectorELNS0_4arch9wavefront6targetE1EEEvT1_,comdat
	.protected	_ZN7rocprim17ROCPRIM_400000_NS6detail17trampoline_kernelINS0_14default_configENS1_25transform_config_selectorIcLb0EEEZNS1_14transform_implILb0ES3_S5_PcN6thrust23THRUST_200600_302600_NS6detail15normal_iteratorINS9_10device_ptrIcEEEENS0_8identityIcEEEE10hipError_tT2_T3_mT4_P12ihipStream_tbEUlT_E_NS1_11comp_targetILNS1_3genE10ELNS1_11target_archE1201ELNS1_3gpuE5ELNS1_3repE0EEENS1_30default_config_static_selectorELNS0_4arch9wavefront6targetE1EEEvT1_ ; -- Begin function _ZN7rocprim17ROCPRIM_400000_NS6detail17trampoline_kernelINS0_14default_configENS1_25transform_config_selectorIcLb0EEEZNS1_14transform_implILb0ES3_S5_PcN6thrust23THRUST_200600_302600_NS6detail15normal_iteratorINS9_10device_ptrIcEEEENS0_8identityIcEEEE10hipError_tT2_T3_mT4_P12ihipStream_tbEUlT_E_NS1_11comp_targetILNS1_3genE10ELNS1_11target_archE1201ELNS1_3gpuE5ELNS1_3repE0EEENS1_30default_config_static_selectorELNS0_4arch9wavefront6targetE1EEEvT1_
	.globl	_ZN7rocprim17ROCPRIM_400000_NS6detail17trampoline_kernelINS0_14default_configENS1_25transform_config_selectorIcLb0EEEZNS1_14transform_implILb0ES3_S5_PcN6thrust23THRUST_200600_302600_NS6detail15normal_iteratorINS9_10device_ptrIcEEEENS0_8identityIcEEEE10hipError_tT2_T3_mT4_P12ihipStream_tbEUlT_E_NS1_11comp_targetILNS1_3genE10ELNS1_11target_archE1201ELNS1_3gpuE5ELNS1_3repE0EEENS1_30default_config_static_selectorELNS0_4arch9wavefront6targetE1EEEvT1_
	.p2align	8
	.type	_ZN7rocprim17ROCPRIM_400000_NS6detail17trampoline_kernelINS0_14default_configENS1_25transform_config_selectorIcLb0EEEZNS1_14transform_implILb0ES3_S5_PcN6thrust23THRUST_200600_302600_NS6detail15normal_iteratorINS9_10device_ptrIcEEEENS0_8identityIcEEEE10hipError_tT2_T3_mT4_P12ihipStream_tbEUlT_E_NS1_11comp_targetILNS1_3genE10ELNS1_11target_archE1201ELNS1_3gpuE5ELNS1_3repE0EEENS1_30default_config_static_selectorELNS0_4arch9wavefront6targetE1EEEvT1_,@function
_ZN7rocprim17ROCPRIM_400000_NS6detail17trampoline_kernelINS0_14default_configENS1_25transform_config_selectorIcLb0EEEZNS1_14transform_implILb0ES3_S5_PcN6thrust23THRUST_200600_302600_NS6detail15normal_iteratorINS9_10device_ptrIcEEEENS0_8identityIcEEEE10hipError_tT2_T3_mT4_P12ihipStream_tbEUlT_E_NS1_11comp_targetILNS1_3genE10ELNS1_11target_archE1201ELNS1_3gpuE5ELNS1_3repE0EEENS1_30default_config_static_selectorELNS0_4arch9wavefront6targetE1EEEvT1_: ; @_ZN7rocprim17ROCPRIM_400000_NS6detail17trampoline_kernelINS0_14default_configENS1_25transform_config_selectorIcLb0EEEZNS1_14transform_implILb0ES3_S5_PcN6thrust23THRUST_200600_302600_NS6detail15normal_iteratorINS9_10device_ptrIcEEEENS0_8identityIcEEEE10hipError_tT2_T3_mT4_P12ihipStream_tbEUlT_E_NS1_11comp_targetILNS1_3genE10ELNS1_11target_archE1201ELNS1_3gpuE5ELNS1_3repE0EEENS1_30default_config_static_selectorELNS0_4arch9wavefront6targetE1EEEvT1_
; %bb.0:
	.section	.rodata,"a",@progbits
	.p2align	6, 0x0
	.amdhsa_kernel _ZN7rocprim17ROCPRIM_400000_NS6detail17trampoline_kernelINS0_14default_configENS1_25transform_config_selectorIcLb0EEEZNS1_14transform_implILb0ES3_S5_PcN6thrust23THRUST_200600_302600_NS6detail15normal_iteratorINS9_10device_ptrIcEEEENS0_8identityIcEEEE10hipError_tT2_T3_mT4_P12ihipStream_tbEUlT_E_NS1_11comp_targetILNS1_3genE10ELNS1_11target_archE1201ELNS1_3gpuE5ELNS1_3repE0EEENS1_30default_config_static_selectorELNS0_4arch9wavefront6targetE1EEEvT1_
		.amdhsa_group_segment_fixed_size 0
		.amdhsa_private_segment_fixed_size 0
		.amdhsa_kernarg_size 40
		.amdhsa_user_sgpr_count 6
		.amdhsa_user_sgpr_private_segment_buffer 1
		.amdhsa_user_sgpr_dispatch_ptr 0
		.amdhsa_user_sgpr_queue_ptr 0
		.amdhsa_user_sgpr_kernarg_segment_ptr 1
		.amdhsa_user_sgpr_dispatch_id 0
		.amdhsa_user_sgpr_flat_scratch_init 0
		.amdhsa_user_sgpr_kernarg_preload_length 0
		.amdhsa_user_sgpr_kernarg_preload_offset 0
		.amdhsa_user_sgpr_private_segment_size 0
		.amdhsa_uses_dynamic_stack 0
		.amdhsa_system_sgpr_private_segment_wavefront_offset 0
		.amdhsa_system_sgpr_workgroup_id_x 1
		.amdhsa_system_sgpr_workgroup_id_y 0
		.amdhsa_system_sgpr_workgroup_id_z 0
		.amdhsa_system_sgpr_workgroup_info 0
		.amdhsa_system_vgpr_workitem_id 0
		.amdhsa_next_free_vgpr 1
		.amdhsa_next_free_sgpr 0
		.amdhsa_accum_offset 4
		.amdhsa_reserve_vcc 0
		.amdhsa_reserve_flat_scratch 0
		.amdhsa_float_round_mode_32 0
		.amdhsa_float_round_mode_16_64 0
		.amdhsa_float_denorm_mode_32 3
		.amdhsa_float_denorm_mode_16_64 3
		.amdhsa_dx10_clamp 1
		.amdhsa_ieee_mode 1
		.amdhsa_fp16_overflow 0
		.amdhsa_tg_split 0
		.amdhsa_exception_fp_ieee_invalid_op 0
		.amdhsa_exception_fp_denorm_src 0
		.amdhsa_exception_fp_ieee_div_zero 0
		.amdhsa_exception_fp_ieee_overflow 0
		.amdhsa_exception_fp_ieee_underflow 0
		.amdhsa_exception_fp_ieee_inexact 0
		.amdhsa_exception_int_div_zero 0
	.end_amdhsa_kernel
	.section	.text._ZN7rocprim17ROCPRIM_400000_NS6detail17trampoline_kernelINS0_14default_configENS1_25transform_config_selectorIcLb0EEEZNS1_14transform_implILb0ES3_S5_PcN6thrust23THRUST_200600_302600_NS6detail15normal_iteratorINS9_10device_ptrIcEEEENS0_8identityIcEEEE10hipError_tT2_T3_mT4_P12ihipStream_tbEUlT_E_NS1_11comp_targetILNS1_3genE10ELNS1_11target_archE1201ELNS1_3gpuE5ELNS1_3repE0EEENS1_30default_config_static_selectorELNS0_4arch9wavefront6targetE1EEEvT1_,"axG",@progbits,_ZN7rocprim17ROCPRIM_400000_NS6detail17trampoline_kernelINS0_14default_configENS1_25transform_config_selectorIcLb0EEEZNS1_14transform_implILb0ES3_S5_PcN6thrust23THRUST_200600_302600_NS6detail15normal_iteratorINS9_10device_ptrIcEEEENS0_8identityIcEEEE10hipError_tT2_T3_mT4_P12ihipStream_tbEUlT_E_NS1_11comp_targetILNS1_3genE10ELNS1_11target_archE1201ELNS1_3gpuE5ELNS1_3repE0EEENS1_30default_config_static_selectorELNS0_4arch9wavefront6targetE1EEEvT1_,comdat
.Lfunc_end2762:
	.size	_ZN7rocprim17ROCPRIM_400000_NS6detail17trampoline_kernelINS0_14default_configENS1_25transform_config_selectorIcLb0EEEZNS1_14transform_implILb0ES3_S5_PcN6thrust23THRUST_200600_302600_NS6detail15normal_iteratorINS9_10device_ptrIcEEEENS0_8identityIcEEEE10hipError_tT2_T3_mT4_P12ihipStream_tbEUlT_E_NS1_11comp_targetILNS1_3genE10ELNS1_11target_archE1201ELNS1_3gpuE5ELNS1_3repE0EEENS1_30default_config_static_selectorELNS0_4arch9wavefront6targetE1EEEvT1_, .Lfunc_end2762-_ZN7rocprim17ROCPRIM_400000_NS6detail17trampoline_kernelINS0_14default_configENS1_25transform_config_selectorIcLb0EEEZNS1_14transform_implILb0ES3_S5_PcN6thrust23THRUST_200600_302600_NS6detail15normal_iteratorINS9_10device_ptrIcEEEENS0_8identityIcEEEE10hipError_tT2_T3_mT4_P12ihipStream_tbEUlT_E_NS1_11comp_targetILNS1_3genE10ELNS1_11target_archE1201ELNS1_3gpuE5ELNS1_3repE0EEENS1_30default_config_static_selectorELNS0_4arch9wavefront6targetE1EEEvT1_
                                        ; -- End function
	.section	.AMDGPU.csdata,"",@progbits
; Kernel info:
; codeLenInByte = 0
; NumSgprs: 4
; NumVgprs: 0
; NumAgprs: 0
; TotalNumVgprs: 0
; ScratchSize: 0
; MemoryBound: 0
; FloatMode: 240
; IeeeMode: 1
; LDSByteSize: 0 bytes/workgroup (compile time only)
; SGPRBlocks: 0
; VGPRBlocks: 0
; NumSGPRsForWavesPerEU: 4
; NumVGPRsForWavesPerEU: 1
; AccumOffset: 4
; Occupancy: 8
; WaveLimiterHint : 0
; COMPUTE_PGM_RSRC2:SCRATCH_EN: 0
; COMPUTE_PGM_RSRC2:USER_SGPR: 6
; COMPUTE_PGM_RSRC2:TRAP_HANDLER: 0
; COMPUTE_PGM_RSRC2:TGID_X_EN: 1
; COMPUTE_PGM_RSRC2:TGID_Y_EN: 0
; COMPUTE_PGM_RSRC2:TGID_Z_EN: 0
; COMPUTE_PGM_RSRC2:TIDIG_COMP_CNT: 0
; COMPUTE_PGM_RSRC3_GFX90A:ACCUM_OFFSET: 0
; COMPUTE_PGM_RSRC3_GFX90A:TG_SPLIT: 0
	.section	.text._ZN7rocprim17ROCPRIM_400000_NS6detail17trampoline_kernelINS0_14default_configENS1_25transform_config_selectorIcLb0EEEZNS1_14transform_implILb0ES3_S5_PcN6thrust23THRUST_200600_302600_NS6detail15normal_iteratorINS9_10device_ptrIcEEEENS0_8identityIcEEEE10hipError_tT2_T3_mT4_P12ihipStream_tbEUlT_E_NS1_11comp_targetILNS1_3genE10ELNS1_11target_archE1200ELNS1_3gpuE4ELNS1_3repE0EEENS1_30default_config_static_selectorELNS0_4arch9wavefront6targetE1EEEvT1_,"axG",@progbits,_ZN7rocprim17ROCPRIM_400000_NS6detail17trampoline_kernelINS0_14default_configENS1_25transform_config_selectorIcLb0EEEZNS1_14transform_implILb0ES3_S5_PcN6thrust23THRUST_200600_302600_NS6detail15normal_iteratorINS9_10device_ptrIcEEEENS0_8identityIcEEEE10hipError_tT2_T3_mT4_P12ihipStream_tbEUlT_E_NS1_11comp_targetILNS1_3genE10ELNS1_11target_archE1200ELNS1_3gpuE4ELNS1_3repE0EEENS1_30default_config_static_selectorELNS0_4arch9wavefront6targetE1EEEvT1_,comdat
	.protected	_ZN7rocprim17ROCPRIM_400000_NS6detail17trampoline_kernelINS0_14default_configENS1_25transform_config_selectorIcLb0EEEZNS1_14transform_implILb0ES3_S5_PcN6thrust23THRUST_200600_302600_NS6detail15normal_iteratorINS9_10device_ptrIcEEEENS0_8identityIcEEEE10hipError_tT2_T3_mT4_P12ihipStream_tbEUlT_E_NS1_11comp_targetILNS1_3genE10ELNS1_11target_archE1200ELNS1_3gpuE4ELNS1_3repE0EEENS1_30default_config_static_selectorELNS0_4arch9wavefront6targetE1EEEvT1_ ; -- Begin function _ZN7rocprim17ROCPRIM_400000_NS6detail17trampoline_kernelINS0_14default_configENS1_25transform_config_selectorIcLb0EEEZNS1_14transform_implILb0ES3_S5_PcN6thrust23THRUST_200600_302600_NS6detail15normal_iteratorINS9_10device_ptrIcEEEENS0_8identityIcEEEE10hipError_tT2_T3_mT4_P12ihipStream_tbEUlT_E_NS1_11comp_targetILNS1_3genE10ELNS1_11target_archE1200ELNS1_3gpuE4ELNS1_3repE0EEENS1_30default_config_static_selectorELNS0_4arch9wavefront6targetE1EEEvT1_
	.globl	_ZN7rocprim17ROCPRIM_400000_NS6detail17trampoline_kernelINS0_14default_configENS1_25transform_config_selectorIcLb0EEEZNS1_14transform_implILb0ES3_S5_PcN6thrust23THRUST_200600_302600_NS6detail15normal_iteratorINS9_10device_ptrIcEEEENS0_8identityIcEEEE10hipError_tT2_T3_mT4_P12ihipStream_tbEUlT_E_NS1_11comp_targetILNS1_3genE10ELNS1_11target_archE1200ELNS1_3gpuE4ELNS1_3repE0EEENS1_30default_config_static_selectorELNS0_4arch9wavefront6targetE1EEEvT1_
	.p2align	8
	.type	_ZN7rocprim17ROCPRIM_400000_NS6detail17trampoline_kernelINS0_14default_configENS1_25transform_config_selectorIcLb0EEEZNS1_14transform_implILb0ES3_S5_PcN6thrust23THRUST_200600_302600_NS6detail15normal_iteratorINS9_10device_ptrIcEEEENS0_8identityIcEEEE10hipError_tT2_T3_mT4_P12ihipStream_tbEUlT_E_NS1_11comp_targetILNS1_3genE10ELNS1_11target_archE1200ELNS1_3gpuE4ELNS1_3repE0EEENS1_30default_config_static_selectorELNS0_4arch9wavefront6targetE1EEEvT1_,@function
_ZN7rocprim17ROCPRIM_400000_NS6detail17trampoline_kernelINS0_14default_configENS1_25transform_config_selectorIcLb0EEEZNS1_14transform_implILb0ES3_S5_PcN6thrust23THRUST_200600_302600_NS6detail15normal_iteratorINS9_10device_ptrIcEEEENS0_8identityIcEEEE10hipError_tT2_T3_mT4_P12ihipStream_tbEUlT_E_NS1_11comp_targetILNS1_3genE10ELNS1_11target_archE1200ELNS1_3gpuE4ELNS1_3repE0EEENS1_30default_config_static_selectorELNS0_4arch9wavefront6targetE1EEEvT1_: ; @_ZN7rocprim17ROCPRIM_400000_NS6detail17trampoline_kernelINS0_14default_configENS1_25transform_config_selectorIcLb0EEEZNS1_14transform_implILb0ES3_S5_PcN6thrust23THRUST_200600_302600_NS6detail15normal_iteratorINS9_10device_ptrIcEEEENS0_8identityIcEEEE10hipError_tT2_T3_mT4_P12ihipStream_tbEUlT_E_NS1_11comp_targetILNS1_3genE10ELNS1_11target_archE1200ELNS1_3gpuE4ELNS1_3repE0EEENS1_30default_config_static_selectorELNS0_4arch9wavefront6targetE1EEEvT1_
; %bb.0:
	.section	.rodata,"a",@progbits
	.p2align	6, 0x0
	.amdhsa_kernel _ZN7rocprim17ROCPRIM_400000_NS6detail17trampoline_kernelINS0_14default_configENS1_25transform_config_selectorIcLb0EEEZNS1_14transform_implILb0ES3_S5_PcN6thrust23THRUST_200600_302600_NS6detail15normal_iteratorINS9_10device_ptrIcEEEENS0_8identityIcEEEE10hipError_tT2_T3_mT4_P12ihipStream_tbEUlT_E_NS1_11comp_targetILNS1_3genE10ELNS1_11target_archE1200ELNS1_3gpuE4ELNS1_3repE0EEENS1_30default_config_static_selectorELNS0_4arch9wavefront6targetE1EEEvT1_
		.amdhsa_group_segment_fixed_size 0
		.amdhsa_private_segment_fixed_size 0
		.amdhsa_kernarg_size 40
		.amdhsa_user_sgpr_count 6
		.amdhsa_user_sgpr_private_segment_buffer 1
		.amdhsa_user_sgpr_dispatch_ptr 0
		.amdhsa_user_sgpr_queue_ptr 0
		.amdhsa_user_sgpr_kernarg_segment_ptr 1
		.amdhsa_user_sgpr_dispatch_id 0
		.amdhsa_user_sgpr_flat_scratch_init 0
		.amdhsa_user_sgpr_kernarg_preload_length 0
		.amdhsa_user_sgpr_kernarg_preload_offset 0
		.amdhsa_user_sgpr_private_segment_size 0
		.amdhsa_uses_dynamic_stack 0
		.amdhsa_system_sgpr_private_segment_wavefront_offset 0
		.amdhsa_system_sgpr_workgroup_id_x 1
		.amdhsa_system_sgpr_workgroup_id_y 0
		.amdhsa_system_sgpr_workgroup_id_z 0
		.amdhsa_system_sgpr_workgroup_info 0
		.amdhsa_system_vgpr_workitem_id 0
		.amdhsa_next_free_vgpr 1
		.amdhsa_next_free_sgpr 0
		.amdhsa_accum_offset 4
		.amdhsa_reserve_vcc 0
		.amdhsa_reserve_flat_scratch 0
		.amdhsa_float_round_mode_32 0
		.amdhsa_float_round_mode_16_64 0
		.amdhsa_float_denorm_mode_32 3
		.amdhsa_float_denorm_mode_16_64 3
		.amdhsa_dx10_clamp 1
		.amdhsa_ieee_mode 1
		.amdhsa_fp16_overflow 0
		.amdhsa_tg_split 0
		.amdhsa_exception_fp_ieee_invalid_op 0
		.amdhsa_exception_fp_denorm_src 0
		.amdhsa_exception_fp_ieee_div_zero 0
		.amdhsa_exception_fp_ieee_overflow 0
		.amdhsa_exception_fp_ieee_underflow 0
		.amdhsa_exception_fp_ieee_inexact 0
		.amdhsa_exception_int_div_zero 0
	.end_amdhsa_kernel
	.section	.text._ZN7rocprim17ROCPRIM_400000_NS6detail17trampoline_kernelINS0_14default_configENS1_25transform_config_selectorIcLb0EEEZNS1_14transform_implILb0ES3_S5_PcN6thrust23THRUST_200600_302600_NS6detail15normal_iteratorINS9_10device_ptrIcEEEENS0_8identityIcEEEE10hipError_tT2_T3_mT4_P12ihipStream_tbEUlT_E_NS1_11comp_targetILNS1_3genE10ELNS1_11target_archE1200ELNS1_3gpuE4ELNS1_3repE0EEENS1_30default_config_static_selectorELNS0_4arch9wavefront6targetE1EEEvT1_,"axG",@progbits,_ZN7rocprim17ROCPRIM_400000_NS6detail17trampoline_kernelINS0_14default_configENS1_25transform_config_selectorIcLb0EEEZNS1_14transform_implILb0ES3_S5_PcN6thrust23THRUST_200600_302600_NS6detail15normal_iteratorINS9_10device_ptrIcEEEENS0_8identityIcEEEE10hipError_tT2_T3_mT4_P12ihipStream_tbEUlT_E_NS1_11comp_targetILNS1_3genE10ELNS1_11target_archE1200ELNS1_3gpuE4ELNS1_3repE0EEENS1_30default_config_static_selectorELNS0_4arch9wavefront6targetE1EEEvT1_,comdat
.Lfunc_end2763:
	.size	_ZN7rocprim17ROCPRIM_400000_NS6detail17trampoline_kernelINS0_14default_configENS1_25transform_config_selectorIcLb0EEEZNS1_14transform_implILb0ES3_S5_PcN6thrust23THRUST_200600_302600_NS6detail15normal_iteratorINS9_10device_ptrIcEEEENS0_8identityIcEEEE10hipError_tT2_T3_mT4_P12ihipStream_tbEUlT_E_NS1_11comp_targetILNS1_3genE10ELNS1_11target_archE1200ELNS1_3gpuE4ELNS1_3repE0EEENS1_30default_config_static_selectorELNS0_4arch9wavefront6targetE1EEEvT1_, .Lfunc_end2763-_ZN7rocprim17ROCPRIM_400000_NS6detail17trampoline_kernelINS0_14default_configENS1_25transform_config_selectorIcLb0EEEZNS1_14transform_implILb0ES3_S5_PcN6thrust23THRUST_200600_302600_NS6detail15normal_iteratorINS9_10device_ptrIcEEEENS0_8identityIcEEEE10hipError_tT2_T3_mT4_P12ihipStream_tbEUlT_E_NS1_11comp_targetILNS1_3genE10ELNS1_11target_archE1200ELNS1_3gpuE4ELNS1_3repE0EEENS1_30default_config_static_selectorELNS0_4arch9wavefront6targetE1EEEvT1_
                                        ; -- End function
	.section	.AMDGPU.csdata,"",@progbits
; Kernel info:
; codeLenInByte = 0
; NumSgprs: 4
; NumVgprs: 0
; NumAgprs: 0
; TotalNumVgprs: 0
; ScratchSize: 0
; MemoryBound: 0
; FloatMode: 240
; IeeeMode: 1
; LDSByteSize: 0 bytes/workgroup (compile time only)
; SGPRBlocks: 0
; VGPRBlocks: 0
; NumSGPRsForWavesPerEU: 4
; NumVGPRsForWavesPerEU: 1
; AccumOffset: 4
; Occupancy: 8
; WaveLimiterHint : 0
; COMPUTE_PGM_RSRC2:SCRATCH_EN: 0
; COMPUTE_PGM_RSRC2:USER_SGPR: 6
; COMPUTE_PGM_RSRC2:TRAP_HANDLER: 0
; COMPUTE_PGM_RSRC2:TGID_X_EN: 1
; COMPUTE_PGM_RSRC2:TGID_Y_EN: 0
; COMPUTE_PGM_RSRC2:TGID_Z_EN: 0
; COMPUTE_PGM_RSRC2:TIDIG_COMP_CNT: 0
; COMPUTE_PGM_RSRC3_GFX90A:ACCUM_OFFSET: 0
; COMPUTE_PGM_RSRC3_GFX90A:TG_SPLIT: 0
	.section	.text._ZN7rocprim17ROCPRIM_400000_NS6detail17trampoline_kernelINS0_14default_configENS1_25transform_config_selectorIcLb0EEEZNS1_14transform_implILb0ES3_S5_PcN6thrust23THRUST_200600_302600_NS6detail15normal_iteratorINS9_10device_ptrIcEEEENS0_8identityIcEEEE10hipError_tT2_T3_mT4_P12ihipStream_tbEUlT_E_NS1_11comp_targetILNS1_3genE9ELNS1_11target_archE1100ELNS1_3gpuE3ELNS1_3repE0EEENS1_30default_config_static_selectorELNS0_4arch9wavefront6targetE1EEEvT1_,"axG",@progbits,_ZN7rocprim17ROCPRIM_400000_NS6detail17trampoline_kernelINS0_14default_configENS1_25transform_config_selectorIcLb0EEEZNS1_14transform_implILb0ES3_S5_PcN6thrust23THRUST_200600_302600_NS6detail15normal_iteratorINS9_10device_ptrIcEEEENS0_8identityIcEEEE10hipError_tT2_T3_mT4_P12ihipStream_tbEUlT_E_NS1_11comp_targetILNS1_3genE9ELNS1_11target_archE1100ELNS1_3gpuE3ELNS1_3repE0EEENS1_30default_config_static_selectorELNS0_4arch9wavefront6targetE1EEEvT1_,comdat
	.protected	_ZN7rocprim17ROCPRIM_400000_NS6detail17trampoline_kernelINS0_14default_configENS1_25transform_config_selectorIcLb0EEEZNS1_14transform_implILb0ES3_S5_PcN6thrust23THRUST_200600_302600_NS6detail15normal_iteratorINS9_10device_ptrIcEEEENS0_8identityIcEEEE10hipError_tT2_T3_mT4_P12ihipStream_tbEUlT_E_NS1_11comp_targetILNS1_3genE9ELNS1_11target_archE1100ELNS1_3gpuE3ELNS1_3repE0EEENS1_30default_config_static_selectorELNS0_4arch9wavefront6targetE1EEEvT1_ ; -- Begin function _ZN7rocprim17ROCPRIM_400000_NS6detail17trampoline_kernelINS0_14default_configENS1_25transform_config_selectorIcLb0EEEZNS1_14transform_implILb0ES3_S5_PcN6thrust23THRUST_200600_302600_NS6detail15normal_iteratorINS9_10device_ptrIcEEEENS0_8identityIcEEEE10hipError_tT2_T3_mT4_P12ihipStream_tbEUlT_E_NS1_11comp_targetILNS1_3genE9ELNS1_11target_archE1100ELNS1_3gpuE3ELNS1_3repE0EEENS1_30default_config_static_selectorELNS0_4arch9wavefront6targetE1EEEvT1_
	.globl	_ZN7rocprim17ROCPRIM_400000_NS6detail17trampoline_kernelINS0_14default_configENS1_25transform_config_selectorIcLb0EEEZNS1_14transform_implILb0ES3_S5_PcN6thrust23THRUST_200600_302600_NS6detail15normal_iteratorINS9_10device_ptrIcEEEENS0_8identityIcEEEE10hipError_tT2_T3_mT4_P12ihipStream_tbEUlT_E_NS1_11comp_targetILNS1_3genE9ELNS1_11target_archE1100ELNS1_3gpuE3ELNS1_3repE0EEENS1_30default_config_static_selectorELNS0_4arch9wavefront6targetE1EEEvT1_
	.p2align	8
	.type	_ZN7rocprim17ROCPRIM_400000_NS6detail17trampoline_kernelINS0_14default_configENS1_25transform_config_selectorIcLb0EEEZNS1_14transform_implILb0ES3_S5_PcN6thrust23THRUST_200600_302600_NS6detail15normal_iteratorINS9_10device_ptrIcEEEENS0_8identityIcEEEE10hipError_tT2_T3_mT4_P12ihipStream_tbEUlT_E_NS1_11comp_targetILNS1_3genE9ELNS1_11target_archE1100ELNS1_3gpuE3ELNS1_3repE0EEENS1_30default_config_static_selectorELNS0_4arch9wavefront6targetE1EEEvT1_,@function
_ZN7rocprim17ROCPRIM_400000_NS6detail17trampoline_kernelINS0_14default_configENS1_25transform_config_selectorIcLb0EEEZNS1_14transform_implILb0ES3_S5_PcN6thrust23THRUST_200600_302600_NS6detail15normal_iteratorINS9_10device_ptrIcEEEENS0_8identityIcEEEE10hipError_tT2_T3_mT4_P12ihipStream_tbEUlT_E_NS1_11comp_targetILNS1_3genE9ELNS1_11target_archE1100ELNS1_3gpuE3ELNS1_3repE0EEENS1_30default_config_static_selectorELNS0_4arch9wavefront6targetE1EEEvT1_: ; @_ZN7rocprim17ROCPRIM_400000_NS6detail17trampoline_kernelINS0_14default_configENS1_25transform_config_selectorIcLb0EEEZNS1_14transform_implILb0ES3_S5_PcN6thrust23THRUST_200600_302600_NS6detail15normal_iteratorINS9_10device_ptrIcEEEENS0_8identityIcEEEE10hipError_tT2_T3_mT4_P12ihipStream_tbEUlT_E_NS1_11comp_targetILNS1_3genE9ELNS1_11target_archE1100ELNS1_3gpuE3ELNS1_3repE0EEENS1_30default_config_static_selectorELNS0_4arch9wavefront6targetE1EEEvT1_
; %bb.0:
	.section	.rodata,"a",@progbits
	.p2align	6, 0x0
	.amdhsa_kernel _ZN7rocprim17ROCPRIM_400000_NS6detail17trampoline_kernelINS0_14default_configENS1_25transform_config_selectorIcLb0EEEZNS1_14transform_implILb0ES3_S5_PcN6thrust23THRUST_200600_302600_NS6detail15normal_iteratorINS9_10device_ptrIcEEEENS0_8identityIcEEEE10hipError_tT2_T3_mT4_P12ihipStream_tbEUlT_E_NS1_11comp_targetILNS1_3genE9ELNS1_11target_archE1100ELNS1_3gpuE3ELNS1_3repE0EEENS1_30default_config_static_selectorELNS0_4arch9wavefront6targetE1EEEvT1_
		.amdhsa_group_segment_fixed_size 0
		.amdhsa_private_segment_fixed_size 0
		.amdhsa_kernarg_size 40
		.amdhsa_user_sgpr_count 6
		.amdhsa_user_sgpr_private_segment_buffer 1
		.amdhsa_user_sgpr_dispatch_ptr 0
		.amdhsa_user_sgpr_queue_ptr 0
		.amdhsa_user_sgpr_kernarg_segment_ptr 1
		.amdhsa_user_sgpr_dispatch_id 0
		.amdhsa_user_sgpr_flat_scratch_init 0
		.amdhsa_user_sgpr_kernarg_preload_length 0
		.amdhsa_user_sgpr_kernarg_preload_offset 0
		.amdhsa_user_sgpr_private_segment_size 0
		.amdhsa_uses_dynamic_stack 0
		.amdhsa_system_sgpr_private_segment_wavefront_offset 0
		.amdhsa_system_sgpr_workgroup_id_x 1
		.amdhsa_system_sgpr_workgroup_id_y 0
		.amdhsa_system_sgpr_workgroup_id_z 0
		.amdhsa_system_sgpr_workgroup_info 0
		.amdhsa_system_vgpr_workitem_id 0
		.amdhsa_next_free_vgpr 1
		.amdhsa_next_free_sgpr 0
		.amdhsa_accum_offset 4
		.amdhsa_reserve_vcc 0
		.amdhsa_reserve_flat_scratch 0
		.amdhsa_float_round_mode_32 0
		.amdhsa_float_round_mode_16_64 0
		.amdhsa_float_denorm_mode_32 3
		.amdhsa_float_denorm_mode_16_64 3
		.amdhsa_dx10_clamp 1
		.amdhsa_ieee_mode 1
		.amdhsa_fp16_overflow 0
		.amdhsa_tg_split 0
		.amdhsa_exception_fp_ieee_invalid_op 0
		.amdhsa_exception_fp_denorm_src 0
		.amdhsa_exception_fp_ieee_div_zero 0
		.amdhsa_exception_fp_ieee_overflow 0
		.amdhsa_exception_fp_ieee_underflow 0
		.amdhsa_exception_fp_ieee_inexact 0
		.amdhsa_exception_int_div_zero 0
	.end_amdhsa_kernel
	.section	.text._ZN7rocprim17ROCPRIM_400000_NS6detail17trampoline_kernelINS0_14default_configENS1_25transform_config_selectorIcLb0EEEZNS1_14transform_implILb0ES3_S5_PcN6thrust23THRUST_200600_302600_NS6detail15normal_iteratorINS9_10device_ptrIcEEEENS0_8identityIcEEEE10hipError_tT2_T3_mT4_P12ihipStream_tbEUlT_E_NS1_11comp_targetILNS1_3genE9ELNS1_11target_archE1100ELNS1_3gpuE3ELNS1_3repE0EEENS1_30default_config_static_selectorELNS0_4arch9wavefront6targetE1EEEvT1_,"axG",@progbits,_ZN7rocprim17ROCPRIM_400000_NS6detail17trampoline_kernelINS0_14default_configENS1_25transform_config_selectorIcLb0EEEZNS1_14transform_implILb0ES3_S5_PcN6thrust23THRUST_200600_302600_NS6detail15normal_iteratorINS9_10device_ptrIcEEEENS0_8identityIcEEEE10hipError_tT2_T3_mT4_P12ihipStream_tbEUlT_E_NS1_11comp_targetILNS1_3genE9ELNS1_11target_archE1100ELNS1_3gpuE3ELNS1_3repE0EEENS1_30default_config_static_selectorELNS0_4arch9wavefront6targetE1EEEvT1_,comdat
.Lfunc_end2764:
	.size	_ZN7rocprim17ROCPRIM_400000_NS6detail17trampoline_kernelINS0_14default_configENS1_25transform_config_selectorIcLb0EEEZNS1_14transform_implILb0ES3_S5_PcN6thrust23THRUST_200600_302600_NS6detail15normal_iteratorINS9_10device_ptrIcEEEENS0_8identityIcEEEE10hipError_tT2_T3_mT4_P12ihipStream_tbEUlT_E_NS1_11comp_targetILNS1_3genE9ELNS1_11target_archE1100ELNS1_3gpuE3ELNS1_3repE0EEENS1_30default_config_static_selectorELNS0_4arch9wavefront6targetE1EEEvT1_, .Lfunc_end2764-_ZN7rocprim17ROCPRIM_400000_NS6detail17trampoline_kernelINS0_14default_configENS1_25transform_config_selectorIcLb0EEEZNS1_14transform_implILb0ES3_S5_PcN6thrust23THRUST_200600_302600_NS6detail15normal_iteratorINS9_10device_ptrIcEEEENS0_8identityIcEEEE10hipError_tT2_T3_mT4_P12ihipStream_tbEUlT_E_NS1_11comp_targetILNS1_3genE9ELNS1_11target_archE1100ELNS1_3gpuE3ELNS1_3repE0EEENS1_30default_config_static_selectorELNS0_4arch9wavefront6targetE1EEEvT1_
                                        ; -- End function
	.section	.AMDGPU.csdata,"",@progbits
; Kernel info:
; codeLenInByte = 0
; NumSgprs: 4
; NumVgprs: 0
; NumAgprs: 0
; TotalNumVgprs: 0
; ScratchSize: 0
; MemoryBound: 0
; FloatMode: 240
; IeeeMode: 1
; LDSByteSize: 0 bytes/workgroup (compile time only)
; SGPRBlocks: 0
; VGPRBlocks: 0
; NumSGPRsForWavesPerEU: 4
; NumVGPRsForWavesPerEU: 1
; AccumOffset: 4
; Occupancy: 8
; WaveLimiterHint : 0
; COMPUTE_PGM_RSRC2:SCRATCH_EN: 0
; COMPUTE_PGM_RSRC2:USER_SGPR: 6
; COMPUTE_PGM_RSRC2:TRAP_HANDLER: 0
; COMPUTE_PGM_RSRC2:TGID_X_EN: 1
; COMPUTE_PGM_RSRC2:TGID_Y_EN: 0
; COMPUTE_PGM_RSRC2:TGID_Z_EN: 0
; COMPUTE_PGM_RSRC2:TIDIG_COMP_CNT: 0
; COMPUTE_PGM_RSRC3_GFX90A:ACCUM_OFFSET: 0
; COMPUTE_PGM_RSRC3_GFX90A:TG_SPLIT: 0
	.section	.text._ZN7rocprim17ROCPRIM_400000_NS6detail17trampoline_kernelINS0_14default_configENS1_25transform_config_selectorIcLb0EEEZNS1_14transform_implILb0ES3_S5_PcN6thrust23THRUST_200600_302600_NS6detail15normal_iteratorINS9_10device_ptrIcEEEENS0_8identityIcEEEE10hipError_tT2_T3_mT4_P12ihipStream_tbEUlT_E_NS1_11comp_targetILNS1_3genE8ELNS1_11target_archE1030ELNS1_3gpuE2ELNS1_3repE0EEENS1_30default_config_static_selectorELNS0_4arch9wavefront6targetE1EEEvT1_,"axG",@progbits,_ZN7rocprim17ROCPRIM_400000_NS6detail17trampoline_kernelINS0_14default_configENS1_25transform_config_selectorIcLb0EEEZNS1_14transform_implILb0ES3_S5_PcN6thrust23THRUST_200600_302600_NS6detail15normal_iteratorINS9_10device_ptrIcEEEENS0_8identityIcEEEE10hipError_tT2_T3_mT4_P12ihipStream_tbEUlT_E_NS1_11comp_targetILNS1_3genE8ELNS1_11target_archE1030ELNS1_3gpuE2ELNS1_3repE0EEENS1_30default_config_static_selectorELNS0_4arch9wavefront6targetE1EEEvT1_,comdat
	.protected	_ZN7rocprim17ROCPRIM_400000_NS6detail17trampoline_kernelINS0_14default_configENS1_25transform_config_selectorIcLb0EEEZNS1_14transform_implILb0ES3_S5_PcN6thrust23THRUST_200600_302600_NS6detail15normal_iteratorINS9_10device_ptrIcEEEENS0_8identityIcEEEE10hipError_tT2_T3_mT4_P12ihipStream_tbEUlT_E_NS1_11comp_targetILNS1_3genE8ELNS1_11target_archE1030ELNS1_3gpuE2ELNS1_3repE0EEENS1_30default_config_static_selectorELNS0_4arch9wavefront6targetE1EEEvT1_ ; -- Begin function _ZN7rocprim17ROCPRIM_400000_NS6detail17trampoline_kernelINS0_14default_configENS1_25transform_config_selectorIcLb0EEEZNS1_14transform_implILb0ES3_S5_PcN6thrust23THRUST_200600_302600_NS6detail15normal_iteratorINS9_10device_ptrIcEEEENS0_8identityIcEEEE10hipError_tT2_T3_mT4_P12ihipStream_tbEUlT_E_NS1_11comp_targetILNS1_3genE8ELNS1_11target_archE1030ELNS1_3gpuE2ELNS1_3repE0EEENS1_30default_config_static_selectorELNS0_4arch9wavefront6targetE1EEEvT1_
	.globl	_ZN7rocprim17ROCPRIM_400000_NS6detail17trampoline_kernelINS0_14default_configENS1_25transform_config_selectorIcLb0EEEZNS1_14transform_implILb0ES3_S5_PcN6thrust23THRUST_200600_302600_NS6detail15normal_iteratorINS9_10device_ptrIcEEEENS0_8identityIcEEEE10hipError_tT2_T3_mT4_P12ihipStream_tbEUlT_E_NS1_11comp_targetILNS1_3genE8ELNS1_11target_archE1030ELNS1_3gpuE2ELNS1_3repE0EEENS1_30default_config_static_selectorELNS0_4arch9wavefront6targetE1EEEvT1_
	.p2align	8
	.type	_ZN7rocprim17ROCPRIM_400000_NS6detail17trampoline_kernelINS0_14default_configENS1_25transform_config_selectorIcLb0EEEZNS1_14transform_implILb0ES3_S5_PcN6thrust23THRUST_200600_302600_NS6detail15normal_iteratorINS9_10device_ptrIcEEEENS0_8identityIcEEEE10hipError_tT2_T3_mT4_P12ihipStream_tbEUlT_E_NS1_11comp_targetILNS1_3genE8ELNS1_11target_archE1030ELNS1_3gpuE2ELNS1_3repE0EEENS1_30default_config_static_selectorELNS0_4arch9wavefront6targetE1EEEvT1_,@function
_ZN7rocprim17ROCPRIM_400000_NS6detail17trampoline_kernelINS0_14default_configENS1_25transform_config_selectorIcLb0EEEZNS1_14transform_implILb0ES3_S5_PcN6thrust23THRUST_200600_302600_NS6detail15normal_iteratorINS9_10device_ptrIcEEEENS0_8identityIcEEEE10hipError_tT2_T3_mT4_P12ihipStream_tbEUlT_E_NS1_11comp_targetILNS1_3genE8ELNS1_11target_archE1030ELNS1_3gpuE2ELNS1_3repE0EEENS1_30default_config_static_selectorELNS0_4arch9wavefront6targetE1EEEvT1_: ; @_ZN7rocprim17ROCPRIM_400000_NS6detail17trampoline_kernelINS0_14default_configENS1_25transform_config_selectorIcLb0EEEZNS1_14transform_implILb0ES3_S5_PcN6thrust23THRUST_200600_302600_NS6detail15normal_iteratorINS9_10device_ptrIcEEEENS0_8identityIcEEEE10hipError_tT2_T3_mT4_P12ihipStream_tbEUlT_E_NS1_11comp_targetILNS1_3genE8ELNS1_11target_archE1030ELNS1_3gpuE2ELNS1_3repE0EEENS1_30default_config_static_selectorELNS0_4arch9wavefront6targetE1EEEvT1_
; %bb.0:
	.section	.rodata,"a",@progbits
	.p2align	6, 0x0
	.amdhsa_kernel _ZN7rocprim17ROCPRIM_400000_NS6detail17trampoline_kernelINS0_14default_configENS1_25transform_config_selectorIcLb0EEEZNS1_14transform_implILb0ES3_S5_PcN6thrust23THRUST_200600_302600_NS6detail15normal_iteratorINS9_10device_ptrIcEEEENS0_8identityIcEEEE10hipError_tT2_T3_mT4_P12ihipStream_tbEUlT_E_NS1_11comp_targetILNS1_3genE8ELNS1_11target_archE1030ELNS1_3gpuE2ELNS1_3repE0EEENS1_30default_config_static_selectorELNS0_4arch9wavefront6targetE1EEEvT1_
		.amdhsa_group_segment_fixed_size 0
		.amdhsa_private_segment_fixed_size 0
		.amdhsa_kernarg_size 40
		.amdhsa_user_sgpr_count 6
		.amdhsa_user_sgpr_private_segment_buffer 1
		.amdhsa_user_sgpr_dispatch_ptr 0
		.amdhsa_user_sgpr_queue_ptr 0
		.amdhsa_user_sgpr_kernarg_segment_ptr 1
		.amdhsa_user_sgpr_dispatch_id 0
		.amdhsa_user_sgpr_flat_scratch_init 0
		.amdhsa_user_sgpr_kernarg_preload_length 0
		.amdhsa_user_sgpr_kernarg_preload_offset 0
		.amdhsa_user_sgpr_private_segment_size 0
		.amdhsa_uses_dynamic_stack 0
		.amdhsa_system_sgpr_private_segment_wavefront_offset 0
		.amdhsa_system_sgpr_workgroup_id_x 1
		.amdhsa_system_sgpr_workgroup_id_y 0
		.amdhsa_system_sgpr_workgroup_id_z 0
		.amdhsa_system_sgpr_workgroup_info 0
		.amdhsa_system_vgpr_workitem_id 0
		.amdhsa_next_free_vgpr 1
		.amdhsa_next_free_sgpr 0
		.amdhsa_accum_offset 4
		.amdhsa_reserve_vcc 0
		.amdhsa_reserve_flat_scratch 0
		.amdhsa_float_round_mode_32 0
		.amdhsa_float_round_mode_16_64 0
		.amdhsa_float_denorm_mode_32 3
		.amdhsa_float_denorm_mode_16_64 3
		.amdhsa_dx10_clamp 1
		.amdhsa_ieee_mode 1
		.amdhsa_fp16_overflow 0
		.amdhsa_tg_split 0
		.amdhsa_exception_fp_ieee_invalid_op 0
		.amdhsa_exception_fp_denorm_src 0
		.amdhsa_exception_fp_ieee_div_zero 0
		.amdhsa_exception_fp_ieee_overflow 0
		.amdhsa_exception_fp_ieee_underflow 0
		.amdhsa_exception_fp_ieee_inexact 0
		.amdhsa_exception_int_div_zero 0
	.end_amdhsa_kernel
	.section	.text._ZN7rocprim17ROCPRIM_400000_NS6detail17trampoline_kernelINS0_14default_configENS1_25transform_config_selectorIcLb0EEEZNS1_14transform_implILb0ES3_S5_PcN6thrust23THRUST_200600_302600_NS6detail15normal_iteratorINS9_10device_ptrIcEEEENS0_8identityIcEEEE10hipError_tT2_T3_mT4_P12ihipStream_tbEUlT_E_NS1_11comp_targetILNS1_3genE8ELNS1_11target_archE1030ELNS1_3gpuE2ELNS1_3repE0EEENS1_30default_config_static_selectorELNS0_4arch9wavefront6targetE1EEEvT1_,"axG",@progbits,_ZN7rocprim17ROCPRIM_400000_NS6detail17trampoline_kernelINS0_14default_configENS1_25transform_config_selectorIcLb0EEEZNS1_14transform_implILb0ES3_S5_PcN6thrust23THRUST_200600_302600_NS6detail15normal_iteratorINS9_10device_ptrIcEEEENS0_8identityIcEEEE10hipError_tT2_T3_mT4_P12ihipStream_tbEUlT_E_NS1_11comp_targetILNS1_3genE8ELNS1_11target_archE1030ELNS1_3gpuE2ELNS1_3repE0EEENS1_30default_config_static_selectorELNS0_4arch9wavefront6targetE1EEEvT1_,comdat
.Lfunc_end2765:
	.size	_ZN7rocprim17ROCPRIM_400000_NS6detail17trampoline_kernelINS0_14default_configENS1_25transform_config_selectorIcLb0EEEZNS1_14transform_implILb0ES3_S5_PcN6thrust23THRUST_200600_302600_NS6detail15normal_iteratorINS9_10device_ptrIcEEEENS0_8identityIcEEEE10hipError_tT2_T3_mT4_P12ihipStream_tbEUlT_E_NS1_11comp_targetILNS1_3genE8ELNS1_11target_archE1030ELNS1_3gpuE2ELNS1_3repE0EEENS1_30default_config_static_selectorELNS0_4arch9wavefront6targetE1EEEvT1_, .Lfunc_end2765-_ZN7rocprim17ROCPRIM_400000_NS6detail17trampoline_kernelINS0_14default_configENS1_25transform_config_selectorIcLb0EEEZNS1_14transform_implILb0ES3_S5_PcN6thrust23THRUST_200600_302600_NS6detail15normal_iteratorINS9_10device_ptrIcEEEENS0_8identityIcEEEE10hipError_tT2_T3_mT4_P12ihipStream_tbEUlT_E_NS1_11comp_targetILNS1_3genE8ELNS1_11target_archE1030ELNS1_3gpuE2ELNS1_3repE0EEENS1_30default_config_static_selectorELNS0_4arch9wavefront6targetE1EEEvT1_
                                        ; -- End function
	.section	.AMDGPU.csdata,"",@progbits
; Kernel info:
; codeLenInByte = 0
; NumSgprs: 4
; NumVgprs: 0
; NumAgprs: 0
; TotalNumVgprs: 0
; ScratchSize: 0
; MemoryBound: 0
; FloatMode: 240
; IeeeMode: 1
; LDSByteSize: 0 bytes/workgroup (compile time only)
; SGPRBlocks: 0
; VGPRBlocks: 0
; NumSGPRsForWavesPerEU: 4
; NumVGPRsForWavesPerEU: 1
; AccumOffset: 4
; Occupancy: 8
; WaveLimiterHint : 0
; COMPUTE_PGM_RSRC2:SCRATCH_EN: 0
; COMPUTE_PGM_RSRC2:USER_SGPR: 6
; COMPUTE_PGM_RSRC2:TRAP_HANDLER: 0
; COMPUTE_PGM_RSRC2:TGID_X_EN: 1
; COMPUTE_PGM_RSRC2:TGID_Y_EN: 0
; COMPUTE_PGM_RSRC2:TGID_Z_EN: 0
; COMPUTE_PGM_RSRC2:TIDIG_COMP_CNT: 0
; COMPUTE_PGM_RSRC3_GFX90A:ACCUM_OFFSET: 0
; COMPUTE_PGM_RSRC3_GFX90A:TG_SPLIT: 0
	.section	.text._ZN7rocprim17ROCPRIM_400000_NS6detail44device_merge_sort_compile_time_verifier_archINS1_11comp_targetILNS1_3genE0ELNS1_11target_archE4294967295ELNS1_3gpuE0ELNS1_3repE0EEES8_NS0_14default_configES9_NS1_37merge_sort_block_sort_config_selectorIaNS0_10empty_typeEEENS1_38merge_sort_block_merge_config_selectorIaSB_EEEEvv,"axG",@progbits,_ZN7rocprim17ROCPRIM_400000_NS6detail44device_merge_sort_compile_time_verifier_archINS1_11comp_targetILNS1_3genE0ELNS1_11target_archE4294967295ELNS1_3gpuE0ELNS1_3repE0EEES8_NS0_14default_configES9_NS1_37merge_sort_block_sort_config_selectorIaNS0_10empty_typeEEENS1_38merge_sort_block_merge_config_selectorIaSB_EEEEvv,comdat
	.protected	_ZN7rocprim17ROCPRIM_400000_NS6detail44device_merge_sort_compile_time_verifier_archINS1_11comp_targetILNS1_3genE0ELNS1_11target_archE4294967295ELNS1_3gpuE0ELNS1_3repE0EEES8_NS0_14default_configES9_NS1_37merge_sort_block_sort_config_selectorIaNS0_10empty_typeEEENS1_38merge_sort_block_merge_config_selectorIaSB_EEEEvv ; -- Begin function _ZN7rocprim17ROCPRIM_400000_NS6detail44device_merge_sort_compile_time_verifier_archINS1_11comp_targetILNS1_3genE0ELNS1_11target_archE4294967295ELNS1_3gpuE0ELNS1_3repE0EEES8_NS0_14default_configES9_NS1_37merge_sort_block_sort_config_selectorIaNS0_10empty_typeEEENS1_38merge_sort_block_merge_config_selectorIaSB_EEEEvv
	.globl	_ZN7rocprim17ROCPRIM_400000_NS6detail44device_merge_sort_compile_time_verifier_archINS1_11comp_targetILNS1_3genE0ELNS1_11target_archE4294967295ELNS1_3gpuE0ELNS1_3repE0EEES8_NS0_14default_configES9_NS1_37merge_sort_block_sort_config_selectorIaNS0_10empty_typeEEENS1_38merge_sort_block_merge_config_selectorIaSB_EEEEvv
	.p2align	8
	.type	_ZN7rocprim17ROCPRIM_400000_NS6detail44device_merge_sort_compile_time_verifier_archINS1_11comp_targetILNS1_3genE0ELNS1_11target_archE4294967295ELNS1_3gpuE0ELNS1_3repE0EEES8_NS0_14default_configES9_NS1_37merge_sort_block_sort_config_selectorIaNS0_10empty_typeEEENS1_38merge_sort_block_merge_config_selectorIaSB_EEEEvv,@function
_ZN7rocprim17ROCPRIM_400000_NS6detail44device_merge_sort_compile_time_verifier_archINS1_11comp_targetILNS1_3genE0ELNS1_11target_archE4294967295ELNS1_3gpuE0ELNS1_3repE0EEES8_NS0_14default_configES9_NS1_37merge_sort_block_sort_config_selectorIaNS0_10empty_typeEEENS1_38merge_sort_block_merge_config_selectorIaSB_EEEEvv: ; @_ZN7rocprim17ROCPRIM_400000_NS6detail44device_merge_sort_compile_time_verifier_archINS1_11comp_targetILNS1_3genE0ELNS1_11target_archE4294967295ELNS1_3gpuE0ELNS1_3repE0EEES8_NS0_14default_configES9_NS1_37merge_sort_block_sort_config_selectorIaNS0_10empty_typeEEENS1_38merge_sort_block_merge_config_selectorIaSB_EEEEvv
; %bb.0:
	s_endpgm
	.section	.rodata,"a",@progbits
	.p2align	6, 0x0
	.amdhsa_kernel _ZN7rocprim17ROCPRIM_400000_NS6detail44device_merge_sort_compile_time_verifier_archINS1_11comp_targetILNS1_3genE0ELNS1_11target_archE4294967295ELNS1_3gpuE0ELNS1_3repE0EEES8_NS0_14default_configES9_NS1_37merge_sort_block_sort_config_selectorIaNS0_10empty_typeEEENS1_38merge_sort_block_merge_config_selectorIaSB_EEEEvv
		.amdhsa_group_segment_fixed_size 0
		.amdhsa_private_segment_fixed_size 0
		.amdhsa_kernarg_size 0
		.amdhsa_user_sgpr_count 4
		.amdhsa_user_sgpr_private_segment_buffer 1
		.amdhsa_user_sgpr_dispatch_ptr 0
		.amdhsa_user_sgpr_queue_ptr 0
		.amdhsa_user_sgpr_kernarg_segment_ptr 0
		.amdhsa_user_sgpr_dispatch_id 0
		.amdhsa_user_sgpr_flat_scratch_init 0
		.amdhsa_user_sgpr_kernarg_preload_length 0
		.amdhsa_user_sgpr_kernarg_preload_offset 0
		.amdhsa_user_sgpr_private_segment_size 0
		.amdhsa_uses_dynamic_stack 0
		.amdhsa_system_sgpr_private_segment_wavefront_offset 0
		.amdhsa_system_sgpr_workgroup_id_x 1
		.amdhsa_system_sgpr_workgroup_id_y 0
		.amdhsa_system_sgpr_workgroup_id_z 0
		.amdhsa_system_sgpr_workgroup_info 0
		.amdhsa_system_vgpr_workitem_id 0
		.amdhsa_next_free_vgpr 1
		.amdhsa_next_free_sgpr 0
		.amdhsa_accum_offset 4
		.amdhsa_reserve_vcc 0
		.amdhsa_reserve_flat_scratch 0
		.amdhsa_float_round_mode_32 0
		.amdhsa_float_round_mode_16_64 0
		.amdhsa_float_denorm_mode_32 3
		.amdhsa_float_denorm_mode_16_64 3
		.amdhsa_dx10_clamp 1
		.amdhsa_ieee_mode 1
		.amdhsa_fp16_overflow 0
		.amdhsa_tg_split 0
		.amdhsa_exception_fp_ieee_invalid_op 0
		.amdhsa_exception_fp_denorm_src 0
		.amdhsa_exception_fp_ieee_div_zero 0
		.amdhsa_exception_fp_ieee_overflow 0
		.amdhsa_exception_fp_ieee_underflow 0
		.amdhsa_exception_fp_ieee_inexact 0
		.amdhsa_exception_int_div_zero 0
	.end_amdhsa_kernel
	.section	.text._ZN7rocprim17ROCPRIM_400000_NS6detail44device_merge_sort_compile_time_verifier_archINS1_11comp_targetILNS1_3genE0ELNS1_11target_archE4294967295ELNS1_3gpuE0ELNS1_3repE0EEES8_NS0_14default_configES9_NS1_37merge_sort_block_sort_config_selectorIaNS0_10empty_typeEEENS1_38merge_sort_block_merge_config_selectorIaSB_EEEEvv,"axG",@progbits,_ZN7rocprim17ROCPRIM_400000_NS6detail44device_merge_sort_compile_time_verifier_archINS1_11comp_targetILNS1_3genE0ELNS1_11target_archE4294967295ELNS1_3gpuE0ELNS1_3repE0EEES8_NS0_14default_configES9_NS1_37merge_sort_block_sort_config_selectorIaNS0_10empty_typeEEENS1_38merge_sort_block_merge_config_selectorIaSB_EEEEvv,comdat
.Lfunc_end2766:
	.size	_ZN7rocprim17ROCPRIM_400000_NS6detail44device_merge_sort_compile_time_verifier_archINS1_11comp_targetILNS1_3genE0ELNS1_11target_archE4294967295ELNS1_3gpuE0ELNS1_3repE0EEES8_NS0_14default_configES9_NS1_37merge_sort_block_sort_config_selectorIaNS0_10empty_typeEEENS1_38merge_sort_block_merge_config_selectorIaSB_EEEEvv, .Lfunc_end2766-_ZN7rocprim17ROCPRIM_400000_NS6detail44device_merge_sort_compile_time_verifier_archINS1_11comp_targetILNS1_3genE0ELNS1_11target_archE4294967295ELNS1_3gpuE0ELNS1_3repE0EEES8_NS0_14default_configES9_NS1_37merge_sort_block_sort_config_selectorIaNS0_10empty_typeEEENS1_38merge_sort_block_merge_config_selectorIaSB_EEEEvv
                                        ; -- End function
	.section	.AMDGPU.csdata,"",@progbits
; Kernel info:
; codeLenInByte = 4
; NumSgprs: 4
; NumVgprs: 0
; NumAgprs: 0
; TotalNumVgprs: 0
; ScratchSize: 0
; MemoryBound: 0
; FloatMode: 240
; IeeeMode: 1
; LDSByteSize: 0 bytes/workgroup (compile time only)
; SGPRBlocks: 0
; VGPRBlocks: 0
; NumSGPRsForWavesPerEU: 4
; NumVGPRsForWavesPerEU: 1
; AccumOffset: 4
; Occupancy: 8
; WaveLimiterHint : 0
; COMPUTE_PGM_RSRC2:SCRATCH_EN: 0
; COMPUTE_PGM_RSRC2:USER_SGPR: 4
; COMPUTE_PGM_RSRC2:TRAP_HANDLER: 0
; COMPUTE_PGM_RSRC2:TGID_X_EN: 1
; COMPUTE_PGM_RSRC2:TGID_Y_EN: 0
; COMPUTE_PGM_RSRC2:TGID_Z_EN: 0
; COMPUTE_PGM_RSRC2:TIDIG_COMP_CNT: 0
; COMPUTE_PGM_RSRC3_GFX90A:ACCUM_OFFSET: 0
; COMPUTE_PGM_RSRC3_GFX90A:TG_SPLIT: 0
	.section	.text._ZN7rocprim17ROCPRIM_400000_NS6detail44device_merge_sort_compile_time_verifier_archINS1_11comp_targetILNS1_3genE5ELNS1_11target_archE942ELNS1_3gpuE9ELNS1_3repE0EEES8_NS0_14default_configES9_NS1_37merge_sort_block_sort_config_selectorIaNS0_10empty_typeEEENS1_38merge_sort_block_merge_config_selectorIaSB_EEEEvv,"axG",@progbits,_ZN7rocprim17ROCPRIM_400000_NS6detail44device_merge_sort_compile_time_verifier_archINS1_11comp_targetILNS1_3genE5ELNS1_11target_archE942ELNS1_3gpuE9ELNS1_3repE0EEES8_NS0_14default_configES9_NS1_37merge_sort_block_sort_config_selectorIaNS0_10empty_typeEEENS1_38merge_sort_block_merge_config_selectorIaSB_EEEEvv,comdat
	.protected	_ZN7rocprim17ROCPRIM_400000_NS6detail44device_merge_sort_compile_time_verifier_archINS1_11comp_targetILNS1_3genE5ELNS1_11target_archE942ELNS1_3gpuE9ELNS1_3repE0EEES8_NS0_14default_configES9_NS1_37merge_sort_block_sort_config_selectorIaNS0_10empty_typeEEENS1_38merge_sort_block_merge_config_selectorIaSB_EEEEvv ; -- Begin function _ZN7rocprim17ROCPRIM_400000_NS6detail44device_merge_sort_compile_time_verifier_archINS1_11comp_targetILNS1_3genE5ELNS1_11target_archE942ELNS1_3gpuE9ELNS1_3repE0EEES8_NS0_14default_configES9_NS1_37merge_sort_block_sort_config_selectorIaNS0_10empty_typeEEENS1_38merge_sort_block_merge_config_selectorIaSB_EEEEvv
	.globl	_ZN7rocprim17ROCPRIM_400000_NS6detail44device_merge_sort_compile_time_verifier_archINS1_11comp_targetILNS1_3genE5ELNS1_11target_archE942ELNS1_3gpuE9ELNS1_3repE0EEES8_NS0_14default_configES9_NS1_37merge_sort_block_sort_config_selectorIaNS0_10empty_typeEEENS1_38merge_sort_block_merge_config_selectorIaSB_EEEEvv
	.p2align	8
	.type	_ZN7rocprim17ROCPRIM_400000_NS6detail44device_merge_sort_compile_time_verifier_archINS1_11comp_targetILNS1_3genE5ELNS1_11target_archE942ELNS1_3gpuE9ELNS1_3repE0EEES8_NS0_14default_configES9_NS1_37merge_sort_block_sort_config_selectorIaNS0_10empty_typeEEENS1_38merge_sort_block_merge_config_selectorIaSB_EEEEvv,@function
_ZN7rocprim17ROCPRIM_400000_NS6detail44device_merge_sort_compile_time_verifier_archINS1_11comp_targetILNS1_3genE5ELNS1_11target_archE942ELNS1_3gpuE9ELNS1_3repE0EEES8_NS0_14default_configES9_NS1_37merge_sort_block_sort_config_selectorIaNS0_10empty_typeEEENS1_38merge_sort_block_merge_config_selectorIaSB_EEEEvv: ; @_ZN7rocprim17ROCPRIM_400000_NS6detail44device_merge_sort_compile_time_verifier_archINS1_11comp_targetILNS1_3genE5ELNS1_11target_archE942ELNS1_3gpuE9ELNS1_3repE0EEES8_NS0_14default_configES9_NS1_37merge_sort_block_sort_config_selectorIaNS0_10empty_typeEEENS1_38merge_sort_block_merge_config_selectorIaSB_EEEEvv
; %bb.0:
	s_endpgm
	.section	.rodata,"a",@progbits
	.p2align	6, 0x0
	.amdhsa_kernel _ZN7rocprim17ROCPRIM_400000_NS6detail44device_merge_sort_compile_time_verifier_archINS1_11comp_targetILNS1_3genE5ELNS1_11target_archE942ELNS1_3gpuE9ELNS1_3repE0EEES8_NS0_14default_configES9_NS1_37merge_sort_block_sort_config_selectorIaNS0_10empty_typeEEENS1_38merge_sort_block_merge_config_selectorIaSB_EEEEvv
		.amdhsa_group_segment_fixed_size 0
		.amdhsa_private_segment_fixed_size 0
		.amdhsa_kernarg_size 0
		.amdhsa_user_sgpr_count 4
		.amdhsa_user_sgpr_private_segment_buffer 1
		.amdhsa_user_sgpr_dispatch_ptr 0
		.amdhsa_user_sgpr_queue_ptr 0
		.amdhsa_user_sgpr_kernarg_segment_ptr 0
		.amdhsa_user_sgpr_dispatch_id 0
		.amdhsa_user_sgpr_flat_scratch_init 0
		.amdhsa_user_sgpr_kernarg_preload_length 0
		.amdhsa_user_sgpr_kernarg_preload_offset 0
		.amdhsa_user_sgpr_private_segment_size 0
		.amdhsa_uses_dynamic_stack 0
		.amdhsa_system_sgpr_private_segment_wavefront_offset 0
		.amdhsa_system_sgpr_workgroup_id_x 1
		.amdhsa_system_sgpr_workgroup_id_y 0
		.amdhsa_system_sgpr_workgroup_id_z 0
		.amdhsa_system_sgpr_workgroup_info 0
		.amdhsa_system_vgpr_workitem_id 0
		.amdhsa_next_free_vgpr 1
		.amdhsa_next_free_sgpr 0
		.amdhsa_accum_offset 4
		.amdhsa_reserve_vcc 0
		.amdhsa_reserve_flat_scratch 0
		.amdhsa_float_round_mode_32 0
		.amdhsa_float_round_mode_16_64 0
		.amdhsa_float_denorm_mode_32 3
		.amdhsa_float_denorm_mode_16_64 3
		.amdhsa_dx10_clamp 1
		.amdhsa_ieee_mode 1
		.amdhsa_fp16_overflow 0
		.amdhsa_tg_split 0
		.amdhsa_exception_fp_ieee_invalid_op 0
		.amdhsa_exception_fp_denorm_src 0
		.amdhsa_exception_fp_ieee_div_zero 0
		.amdhsa_exception_fp_ieee_overflow 0
		.amdhsa_exception_fp_ieee_underflow 0
		.amdhsa_exception_fp_ieee_inexact 0
		.amdhsa_exception_int_div_zero 0
	.end_amdhsa_kernel
	.section	.text._ZN7rocprim17ROCPRIM_400000_NS6detail44device_merge_sort_compile_time_verifier_archINS1_11comp_targetILNS1_3genE5ELNS1_11target_archE942ELNS1_3gpuE9ELNS1_3repE0EEES8_NS0_14default_configES9_NS1_37merge_sort_block_sort_config_selectorIaNS0_10empty_typeEEENS1_38merge_sort_block_merge_config_selectorIaSB_EEEEvv,"axG",@progbits,_ZN7rocprim17ROCPRIM_400000_NS6detail44device_merge_sort_compile_time_verifier_archINS1_11comp_targetILNS1_3genE5ELNS1_11target_archE942ELNS1_3gpuE9ELNS1_3repE0EEES8_NS0_14default_configES9_NS1_37merge_sort_block_sort_config_selectorIaNS0_10empty_typeEEENS1_38merge_sort_block_merge_config_selectorIaSB_EEEEvv,comdat
.Lfunc_end2767:
	.size	_ZN7rocprim17ROCPRIM_400000_NS6detail44device_merge_sort_compile_time_verifier_archINS1_11comp_targetILNS1_3genE5ELNS1_11target_archE942ELNS1_3gpuE9ELNS1_3repE0EEES8_NS0_14default_configES9_NS1_37merge_sort_block_sort_config_selectorIaNS0_10empty_typeEEENS1_38merge_sort_block_merge_config_selectorIaSB_EEEEvv, .Lfunc_end2767-_ZN7rocprim17ROCPRIM_400000_NS6detail44device_merge_sort_compile_time_verifier_archINS1_11comp_targetILNS1_3genE5ELNS1_11target_archE942ELNS1_3gpuE9ELNS1_3repE0EEES8_NS0_14default_configES9_NS1_37merge_sort_block_sort_config_selectorIaNS0_10empty_typeEEENS1_38merge_sort_block_merge_config_selectorIaSB_EEEEvv
                                        ; -- End function
	.section	.AMDGPU.csdata,"",@progbits
; Kernel info:
; codeLenInByte = 4
; NumSgprs: 4
; NumVgprs: 0
; NumAgprs: 0
; TotalNumVgprs: 0
; ScratchSize: 0
; MemoryBound: 0
; FloatMode: 240
; IeeeMode: 1
; LDSByteSize: 0 bytes/workgroup (compile time only)
; SGPRBlocks: 0
; VGPRBlocks: 0
; NumSGPRsForWavesPerEU: 4
; NumVGPRsForWavesPerEU: 1
; AccumOffset: 4
; Occupancy: 8
; WaveLimiterHint : 0
; COMPUTE_PGM_RSRC2:SCRATCH_EN: 0
; COMPUTE_PGM_RSRC2:USER_SGPR: 4
; COMPUTE_PGM_RSRC2:TRAP_HANDLER: 0
; COMPUTE_PGM_RSRC2:TGID_X_EN: 1
; COMPUTE_PGM_RSRC2:TGID_Y_EN: 0
; COMPUTE_PGM_RSRC2:TGID_Z_EN: 0
; COMPUTE_PGM_RSRC2:TIDIG_COMP_CNT: 0
; COMPUTE_PGM_RSRC3_GFX90A:ACCUM_OFFSET: 0
; COMPUTE_PGM_RSRC3_GFX90A:TG_SPLIT: 0
	.section	.text._ZN7rocprim17ROCPRIM_400000_NS6detail44device_merge_sort_compile_time_verifier_archINS1_11comp_targetILNS1_3genE4ELNS1_11target_archE910ELNS1_3gpuE8ELNS1_3repE0EEES8_NS0_14default_configES9_NS1_37merge_sort_block_sort_config_selectorIaNS0_10empty_typeEEENS1_38merge_sort_block_merge_config_selectorIaSB_EEEEvv,"axG",@progbits,_ZN7rocprim17ROCPRIM_400000_NS6detail44device_merge_sort_compile_time_verifier_archINS1_11comp_targetILNS1_3genE4ELNS1_11target_archE910ELNS1_3gpuE8ELNS1_3repE0EEES8_NS0_14default_configES9_NS1_37merge_sort_block_sort_config_selectorIaNS0_10empty_typeEEENS1_38merge_sort_block_merge_config_selectorIaSB_EEEEvv,comdat
	.protected	_ZN7rocprim17ROCPRIM_400000_NS6detail44device_merge_sort_compile_time_verifier_archINS1_11comp_targetILNS1_3genE4ELNS1_11target_archE910ELNS1_3gpuE8ELNS1_3repE0EEES8_NS0_14default_configES9_NS1_37merge_sort_block_sort_config_selectorIaNS0_10empty_typeEEENS1_38merge_sort_block_merge_config_selectorIaSB_EEEEvv ; -- Begin function _ZN7rocprim17ROCPRIM_400000_NS6detail44device_merge_sort_compile_time_verifier_archINS1_11comp_targetILNS1_3genE4ELNS1_11target_archE910ELNS1_3gpuE8ELNS1_3repE0EEES8_NS0_14default_configES9_NS1_37merge_sort_block_sort_config_selectorIaNS0_10empty_typeEEENS1_38merge_sort_block_merge_config_selectorIaSB_EEEEvv
	.globl	_ZN7rocprim17ROCPRIM_400000_NS6detail44device_merge_sort_compile_time_verifier_archINS1_11comp_targetILNS1_3genE4ELNS1_11target_archE910ELNS1_3gpuE8ELNS1_3repE0EEES8_NS0_14default_configES9_NS1_37merge_sort_block_sort_config_selectorIaNS0_10empty_typeEEENS1_38merge_sort_block_merge_config_selectorIaSB_EEEEvv
	.p2align	8
	.type	_ZN7rocprim17ROCPRIM_400000_NS6detail44device_merge_sort_compile_time_verifier_archINS1_11comp_targetILNS1_3genE4ELNS1_11target_archE910ELNS1_3gpuE8ELNS1_3repE0EEES8_NS0_14default_configES9_NS1_37merge_sort_block_sort_config_selectorIaNS0_10empty_typeEEENS1_38merge_sort_block_merge_config_selectorIaSB_EEEEvv,@function
_ZN7rocprim17ROCPRIM_400000_NS6detail44device_merge_sort_compile_time_verifier_archINS1_11comp_targetILNS1_3genE4ELNS1_11target_archE910ELNS1_3gpuE8ELNS1_3repE0EEES8_NS0_14default_configES9_NS1_37merge_sort_block_sort_config_selectorIaNS0_10empty_typeEEENS1_38merge_sort_block_merge_config_selectorIaSB_EEEEvv: ; @_ZN7rocprim17ROCPRIM_400000_NS6detail44device_merge_sort_compile_time_verifier_archINS1_11comp_targetILNS1_3genE4ELNS1_11target_archE910ELNS1_3gpuE8ELNS1_3repE0EEES8_NS0_14default_configES9_NS1_37merge_sort_block_sort_config_selectorIaNS0_10empty_typeEEENS1_38merge_sort_block_merge_config_selectorIaSB_EEEEvv
; %bb.0:
	s_endpgm
	.section	.rodata,"a",@progbits
	.p2align	6, 0x0
	.amdhsa_kernel _ZN7rocprim17ROCPRIM_400000_NS6detail44device_merge_sort_compile_time_verifier_archINS1_11comp_targetILNS1_3genE4ELNS1_11target_archE910ELNS1_3gpuE8ELNS1_3repE0EEES8_NS0_14default_configES9_NS1_37merge_sort_block_sort_config_selectorIaNS0_10empty_typeEEENS1_38merge_sort_block_merge_config_selectorIaSB_EEEEvv
		.amdhsa_group_segment_fixed_size 0
		.amdhsa_private_segment_fixed_size 0
		.amdhsa_kernarg_size 0
		.amdhsa_user_sgpr_count 4
		.amdhsa_user_sgpr_private_segment_buffer 1
		.amdhsa_user_sgpr_dispatch_ptr 0
		.amdhsa_user_sgpr_queue_ptr 0
		.amdhsa_user_sgpr_kernarg_segment_ptr 0
		.amdhsa_user_sgpr_dispatch_id 0
		.amdhsa_user_sgpr_flat_scratch_init 0
		.amdhsa_user_sgpr_kernarg_preload_length 0
		.amdhsa_user_sgpr_kernarg_preload_offset 0
		.amdhsa_user_sgpr_private_segment_size 0
		.amdhsa_uses_dynamic_stack 0
		.amdhsa_system_sgpr_private_segment_wavefront_offset 0
		.amdhsa_system_sgpr_workgroup_id_x 1
		.amdhsa_system_sgpr_workgroup_id_y 0
		.amdhsa_system_sgpr_workgroup_id_z 0
		.amdhsa_system_sgpr_workgroup_info 0
		.amdhsa_system_vgpr_workitem_id 0
		.amdhsa_next_free_vgpr 1
		.amdhsa_next_free_sgpr 0
		.amdhsa_accum_offset 4
		.amdhsa_reserve_vcc 0
		.amdhsa_reserve_flat_scratch 0
		.amdhsa_float_round_mode_32 0
		.amdhsa_float_round_mode_16_64 0
		.amdhsa_float_denorm_mode_32 3
		.amdhsa_float_denorm_mode_16_64 3
		.amdhsa_dx10_clamp 1
		.amdhsa_ieee_mode 1
		.amdhsa_fp16_overflow 0
		.amdhsa_tg_split 0
		.amdhsa_exception_fp_ieee_invalid_op 0
		.amdhsa_exception_fp_denorm_src 0
		.amdhsa_exception_fp_ieee_div_zero 0
		.amdhsa_exception_fp_ieee_overflow 0
		.amdhsa_exception_fp_ieee_underflow 0
		.amdhsa_exception_fp_ieee_inexact 0
		.amdhsa_exception_int_div_zero 0
	.end_amdhsa_kernel
	.section	.text._ZN7rocprim17ROCPRIM_400000_NS6detail44device_merge_sort_compile_time_verifier_archINS1_11comp_targetILNS1_3genE4ELNS1_11target_archE910ELNS1_3gpuE8ELNS1_3repE0EEES8_NS0_14default_configES9_NS1_37merge_sort_block_sort_config_selectorIaNS0_10empty_typeEEENS1_38merge_sort_block_merge_config_selectorIaSB_EEEEvv,"axG",@progbits,_ZN7rocprim17ROCPRIM_400000_NS6detail44device_merge_sort_compile_time_verifier_archINS1_11comp_targetILNS1_3genE4ELNS1_11target_archE910ELNS1_3gpuE8ELNS1_3repE0EEES8_NS0_14default_configES9_NS1_37merge_sort_block_sort_config_selectorIaNS0_10empty_typeEEENS1_38merge_sort_block_merge_config_selectorIaSB_EEEEvv,comdat
.Lfunc_end2768:
	.size	_ZN7rocprim17ROCPRIM_400000_NS6detail44device_merge_sort_compile_time_verifier_archINS1_11comp_targetILNS1_3genE4ELNS1_11target_archE910ELNS1_3gpuE8ELNS1_3repE0EEES8_NS0_14default_configES9_NS1_37merge_sort_block_sort_config_selectorIaNS0_10empty_typeEEENS1_38merge_sort_block_merge_config_selectorIaSB_EEEEvv, .Lfunc_end2768-_ZN7rocprim17ROCPRIM_400000_NS6detail44device_merge_sort_compile_time_verifier_archINS1_11comp_targetILNS1_3genE4ELNS1_11target_archE910ELNS1_3gpuE8ELNS1_3repE0EEES8_NS0_14default_configES9_NS1_37merge_sort_block_sort_config_selectorIaNS0_10empty_typeEEENS1_38merge_sort_block_merge_config_selectorIaSB_EEEEvv
                                        ; -- End function
	.section	.AMDGPU.csdata,"",@progbits
; Kernel info:
; codeLenInByte = 4
; NumSgprs: 4
; NumVgprs: 0
; NumAgprs: 0
; TotalNumVgprs: 0
; ScratchSize: 0
; MemoryBound: 0
; FloatMode: 240
; IeeeMode: 1
; LDSByteSize: 0 bytes/workgroup (compile time only)
; SGPRBlocks: 0
; VGPRBlocks: 0
; NumSGPRsForWavesPerEU: 4
; NumVGPRsForWavesPerEU: 1
; AccumOffset: 4
; Occupancy: 8
; WaveLimiterHint : 0
; COMPUTE_PGM_RSRC2:SCRATCH_EN: 0
; COMPUTE_PGM_RSRC2:USER_SGPR: 4
; COMPUTE_PGM_RSRC2:TRAP_HANDLER: 0
; COMPUTE_PGM_RSRC2:TGID_X_EN: 1
; COMPUTE_PGM_RSRC2:TGID_Y_EN: 0
; COMPUTE_PGM_RSRC2:TGID_Z_EN: 0
; COMPUTE_PGM_RSRC2:TIDIG_COMP_CNT: 0
; COMPUTE_PGM_RSRC3_GFX90A:ACCUM_OFFSET: 0
; COMPUTE_PGM_RSRC3_GFX90A:TG_SPLIT: 0
	.section	.text._ZN7rocprim17ROCPRIM_400000_NS6detail44device_merge_sort_compile_time_verifier_archINS1_11comp_targetILNS1_3genE3ELNS1_11target_archE908ELNS1_3gpuE7ELNS1_3repE0EEES8_NS0_14default_configES9_NS1_37merge_sort_block_sort_config_selectorIaNS0_10empty_typeEEENS1_38merge_sort_block_merge_config_selectorIaSB_EEEEvv,"axG",@progbits,_ZN7rocprim17ROCPRIM_400000_NS6detail44device_merge_sort_compile_time_verifier_archINS1_11comp_targetILNS1_3genE3ELNS1_11target_archE908ELNS1_3gpuE7ELNS1_3repE0EEES8_NS0_14default_configES9_NS1_37merge_sort_block_sort_config_selectorIaNS0_10empty_typeEEENS1_38merge_sort_block_merge_config_selectorIaSB_EEEEvv,comdat
	.protected	_ZN7rocprim17ROCPRIM_400000_NS6detail44device_merge_sort_compile_time_verifier_archINS1_11comp_targetILNS1_3genE3ELNS1_11target_archE908ELNS1_3gpuE7ELNS1_3repE0EEES8_NS0_14default_configES9_NS1_37merge_sort_block_sort_config_selectorIaNS0_10empty_typeEEENS1_38merge_sort_block_merge_config_selectorIaSB_EEEEvv ; -- Begin function _ZN7rocprim17ROCPRIM_400000_NS6detail44device_merge_sort_compile_time_verifier_archINS1_11comp_targetILNS1_3genE3ELNS1_11target_archE908ELNS1_3gpuE7ELNS1_3repE0EEES8_NS0_14default_configES9_NS1_37merge_sort_block_sort_config_selectorIaNS0_10empty_typeEEENS1_38merge_sort_block_merge_config_selectorIaSB_EEEEvv
	.globl	_ZN7rocprim17ROCPRIM_400000_NS6detail44device_merge_sort_compile_time_verifier_archINS1_11comp_targetILNS1_3genE3ELNS1_11target_archE908ELNS1_3gpuE7ELNS1_3repE0EEES8_NS0_14default_configES9_NS1_37merge_sort_block_sort_config_selectorIaNS0_10empty_typeEEENS1_38merge_sort_block_merge_config_selectorIaSB_EEEEvv
	.p2align	8
	.type	_ZN7rocprim17ROCPRIM_400000_NS6detail44device_merge_sort_compile_time_verifier_archINS1_11comp_targetILNS1_3genE3ELNS1_11target_archE908ELNS1_3gpuE7ELNS1_3repE0EEES8_NS0_14default_configES9_NS1_37merge_sort_block_sort_config_selectorIaNS0_10empty_typeEEENS1_38merge_sort_block_merge_config_selectorIaSB_EEEEvv,@function
_ZN7rocprim17ROCPRIM_400000_NS6detail44device_merge_sort_compile_time_verifier_archINS1_11comp_targetILNS1_3genE3ELNS1_11target_archE908ELNS1_3gpuE7ELNS1_3repE0EEES8_NS0_14default_configES9_NS1_37merge_sort_block_sort_config_selectorIaNS0_10empty_typeEEENS1_38merge_sort_block_merge_config_selectorIaSB_EEEEvv: ; @_ZN7rocprim17ROCPRIM_400000_NS6detail44device_merge_sort_compile_time_verifier_archINS1_11comp_targetILNS1_3genE3ELNS1_11target_archE908ELNS1_3gpuE7ELNS1_3repE0EEES8_NS0_14default_configES9_NS1_37merge_sort_block_sort_config_selectorIaNS0_10empty_typeEEENS1_38merge_sort_block_merge_config_selectorIaSB_EEEEvv
; %bb.0:
	s_endpgm
	.section	.rodata,"a",@progbits
	.p2align	6, 0x0
	.amdhsa_kernel _ZN7rocprim17ROCPRIM_400000_NS6detail44device_merge_sort_compile_time_verifier_archINS1_11comp_targetILNS1_3genE3ELNS1_11target_archE908ELNS1_3gpuE7ELNS1_3repE0EEES8_NS0_14default_configES9_NS1_37merge_sort_block_sort_config_selectorIaNS0_10empty_typeEEENS1_38merge_sort_block_merge_config_selectorIaSB_EEEEvv
		.amdhsa_group_segment_fixed_size 0
		.amdhsa_private_segment_fixed_size 0
		.amdhsa_kernarg_size 0
		.amdhsa_user_sgpr_count 4
		.amdhsa_user_sgpr_private_segment_buffer 1
		.amdhsa_user_sgpr_dispatch_ptr 0
		.amdhsa_user_sgpr_queue_ptr 0
		.amdhsa_user_sgpr_kernarg_segment_ptr 0
		.amdhsa_user_sgpr_dispatch_id 0
		.amdhsa_user_sgpr_flat_scratch_init 0
		.amdhsa_user_sgpr_kernarg_preload_length 0
		.amdhsa_user_sgpr_kernarg_preload_offset 0
		.amdhsa_user_sgpr_private_segment_size 0
		.amdhsa_uses_dynamic_stack 0
		.amdhsa_system_sgpr_private_segment_wavefront_offset 0
		.amdhsa_system_sgpr_workgroup_id_x 1
		.amdhsa_system_sgpr_workgroup_id_y 0
		.amdhsa_system_sgpr_workgroup_id_z 0
		.amdhsa_system_sgpr_workgroup_info 0
		.amdhsa_system_vgpr_workitem_id 0
		.amdhsa_next_free_vgpr 1
		.amdhsa_next_free_sgpr 0
		.amdhsa_accum_offset 4
		.amdhsa_reserve_vcc 0
		.amdhsa_reserve_flat_scratch 0
		.amdhsa_float_round_mode_32 0
		.amdhsa_float_round_mode_16_64 0
		.amdhsa_float_denorm_mode_32 3
		.amdhsa_float_denorm_mode_16_64 3
		.amdhsa_dx10_clamp 1
		.amdhsa_ieee_mode 1
		.amdhsa_fp16_overflow 0
		.amdhsa_tg_split 0
		.amdhsa_exception_fp_ieee_invalid_op 0
		.amdhsa_exception_fp_denorm_src 0
		.amdhsa_exception_fp_ieee_div_zero 0
		.amdhsa_exception_fp_ieee_overflow 0
		.amdhsa_exception_fp_ieee_underflow 0
		.amdhsa_exception_fp_ieee_inexact 0
		.amdhsa_exception_int_div_zero 0
	.end_amdhsa_kernel
	.section	.text._ZN7rocprim17ROCPRIM_400000_NS6detail44device_merge_sort_compile_time_verifier_archINS1_11comp_targetILNS1_3genE3ELNS1_11target_archE908ELNS1_3gpuE7ELNS1_3repE0EEES8_NS0_14default_configES9_NS1_37merge_sort_block_sort_config_selectorIaNS0_10empty_typeEEENS1_38merge_sort_block_merge_config_selectorIaSB_EEEEvv,"axG",@progbits,_ZN7rocprim17ROCPRIM_400000_NS6detail44device_merge_sort_compile_time_verifier_archINS1_11comp_targetILNS1_3genE3ELNS1_11target_archE908ELNS1_3gpuE7ELNS1_3repE0EEES8_NS0_14default_configES9_NS1_37merge_sort_block_sort_config_selectorIaNS0_10empty_typeEEENS1_38merge_sort_block_merge_config_selectorIaSB_EEEEvv,comdat
.Lfunc_end2769:
	.size	_ZN7rocprim17ROCPRIM_400000_NS6detail44device_merge_sort_compile_time_verifier_archINS1_11comp_targetILNS1_3genE3ELNS1_11target_archE908ELNS1_3gpuE7ELNS1_3repE0EEES8_NS0_14default_configES9_NS1_37merge_sort_block_sort_config_selectorIaNS0_10empty_typeEEENS1_38merge_sort_block_merge_config_selectorIaSB_EEEEvv, .Lfunc_end2769-_ZN7rocprim17ROCPRIM_400000_NS6detail44device_merge_sort_compile_time_verifier_archINS1_11comp_targetILNS1_3genE3ELNS1_11target_archE908ELNS1_3gpuE7ELNS1_3repE0EEES8_NS0_14default_configES9_NS1_37merge_sort_block_sort_config_selectorIaNS0_10empty_typeEEENS1_38merge_sort_block_merge_config_selectorIaSB_EEEEvv
                                        ; -- End function
	.section	.AMDGPU.csdata,"",@progbits
; Kernel info:
; codeLenInByte = 4
; NumSgprs: 4
; NumVgprs: 0
; NumAgprs: 0
; TotalNumVgprs: 0
; ScratchSize: 0
; MemoryBound: 0
; FloatMode: 240
; IeeeMode: 1
; LDSByteSize: 0 bytes/workgroup (compile time only)
; SGPRBlocks: 0
; VGPRBlocks: 0
; NumSGPRsForWavesPerEU: 4
; NumVGPRsForWavesPerEU: 1
; AccumOffset: 4
; Occupancy: 8
; WaveLimiterHint : 0
; COMPUTE_PGM_RSRC2:SCRATCH_EN: 0
; COMPUTE_PGM_RSRC2:USER_SGPR: 4
; COMPUTE_PGM_RSRC2:TRAP_HANDLER: 0
; COMPUTE_PGM_RSRC2:TGID_X_EN: 1
; COMPUTE_PGM_RSRC2:TGID_Y_EN: 0
; COMPUTE_PGM_RSRC2:TGID_Z_EN: 0
; COMPUTE_PGM_RSRC2:TIDIG_COMP_CNT: 0
; COMPUTE_PGM_RSRC3_GFX90A:ACCUM_OFFSET: 0
; COMPUTE_PGM_RSRC3_GFX90A:TG_SPLIT: 0
	.section	.text._ZN7rocprim17ROCPRIM_400000_NS6detail44device_merge_sort_compile_time_verifier_archINS1_11comp_targetILNS1_3genE2ELNS1_11target_archE906ELNS1_3gpuE6ELNS1_3repE0EEES8_NS0_14default_configES9_NS1_37merge_sort_block_sort_config_selectorIaNS0_10empty_typeEEENS1_38merge_sort_block_merge_config_selectorIaSB_EEEEvv,"axG",@progbits,_ZN7rocprim17ROCPRIM_400000_NS6detail44device_merge_sort_compile_time_verifier_archINS1_11comp_targetILNS1_3genE2ELNS1_11target_archE906ELNS1_3gpuE6ELNS1_3repE0EEES8_NS0_14default_configES9_NS1_37merge_sort_block_sort_config_selectorIaNS0_10empty_typeEEENS1_38merge_sort_block_merge_config_selectorIaSB_EEEEvv,comdat
	.protected	_ZN7rocprim17ROCPRIM_400000_NS6detail44device_merge_sort_compile_time_verifier_archINS1_11comp_targetILNS1_3genE2ELNS1_11target_archE906ELNS1_3gpuE6ELNS1_3repE0EEES8_NS0_14default_configES9_NS1_37merge_sort_block_sort_config_selectorIaNS0_10empty_typeEEENS1_38merge_sort_block_merge_config_selectorIaSB_EEEEvv ; -- Begin function _ZN7rocprim17ROCPRIM_400000_NS6detail44device_merge_sort_compile_time_verifier_archINS1_11comp_targetILNS1_3genE2ELNS1_11target_archE906ELNS1_3gpuE6ELNS1_3repE0EEES8_NS0_14default_configES9_NS1_37merge_sort_block_sort_config_selectorIaNS0_10empty_typeEEENS1_38merge_sort_block_merge_config_selectorIaSB_EEEEvv
	.globl	_ZN7rocprim17ROCPRIM_400000_NS6detail44device_merge_sort_compile_time_verifier_archINS1_11comp_targetILNS1_3genE2ELNS1_11target_archE906ELNS1_3gpuE6ELNS1_3repE0EEES8_NS0_14default_configES9_NS1_37merge_sort_block_sort_config_selectorIaNS0_10empty_typeEEENS1_38merge_sort_block_merge_config_selectorIaSB_EEEEvv
	.p2align	8
	.type	_ZN7rocprim17ROCPRIM_400000_NS6detail44device_merge_sort_compile_time_verifier_archINS1_11comp_targetILNS1_3genE2ELNS1_11target_archE906ELNS1_3gpuE6ELNS1_3repE0EEES8_NS0_14default_configES9_NS1_37merge_sort_block_sort_config_selectorIaNS0_10empty_typeEEENS1_38merge_sort_block_merge_config_selectorIaSB_EEEEvv,@function
_ZN7rocprim17ROCPRIM_400000_NS6detail44device_merge_sort_compile_time_verifier_archINS1_11comp_targetILNS1_3genE2ELNS1_11target_archE906ELNS1_3gpuE6ELNS1_3repE0EEES8_NS0_14default_configES9_NS1_37merge_sort_block_sort_config_selectorIaNS0_10empty_typeEEENS1_38merge_sort_block_merge_config_selectorIaSB_EEEEvv: ; @_ZN7rocprim17ROCPRIM_400000_NS6detail44device_merge_sort_compile_time_verifier_archINS1_11comp_targetILNS1_3genE2ELNS1_11target_archE906ELNS1_3gpuE6ELNS1_3repE0EEES8_NS0_14default_configES9_NS1_37merge_sort_block_sort_config_selectorIaNS0_10empty_typeEEENS1_38merge_sort_block_merge_config_selectorIaSB_EEEEvv
; %bb.0:
	s_endpgm
	.section	.rodata,"a",@progbits
	.p2align	6, 0x0
	.amdhsa_kernel _ZN7rocprim17ROCPRIM_400000_NS6detail44device_merge_sort_compile_time_verifier_archINS1_11comp_targetILNS1_3genE2ELNS1_11target_archE906ELNS1_3gpuE6ELNS1_3repE0EEES8_NS0_14default_configES9_NS1_37merge_sort_block_sort_config_selectorIaNS0_10empty_typeEEENS1_38merge_sort_block_merge_config_selectorIaSB_EEEEvv
		.amdhsa_group_segment_fixed_size 0
		.amdhsa_private_segment_fixed_size 0
		.amdhsa_kernarg_size 0
		.amdhsa_user_sgpr_count 4
		.amdhsa_user_sgpr_private_segment_buffer 1
		.amdhsa_user_sgpr_dispatch_ptr 0
		.amdhsa_user_sgpr_queue_ptr 0
		.amdhsa_user_sgpr_kernarg_segment_ptr 0
		.amdhsa_user_sgpr_dispatch_id 0
		.amdhsa_user_sgpr_flat_scratch_init 0
		.amdhsa_user_sgpr_kernarg_preload_length 0
		.amdhsa_user_sgpr_kernarg_preload_offset 0
		.amdhsa_user_sgpr_private_segment_size 0
		.amdhsa_uses_dynamic_stack 0
		.amdhsa_system_sgpr_private_segment_wavefront_offset 0
		.amdhsa_system_sgpr_workgroup_id_x 1
		.amdhsa_system_sgpr_workgroup_id_y 0
		.amdhsa_system_sgpr_workgroup_id_z 0
		.amdhsa_system_sgpr_workgroup_info 0
		.amdhsa_system_vgpr_workitem_id 0
		.amdhsa_next_free_vgpr 1
		.amdhsa_next_free_sgpr 0
		.amdhsa_accum_offset 4
		.amdhsa_reserve_vcc 0
		.amdhsa_reserve_flat_scratch 0
		.amdhsa_float_round_mode_32 0
		.amdhsa_float_round_mode_16_64 0
		.amdhsa_float_denorm_mode_32 3
		.amdhsa_float_denorm_mode_16_64 3
		.amdhsa_dx10_clamp 1
		.amdhsa_ieee_mode 1
		.amdhsa_fp16_overflow 0
		.amdhsa_tg_split 0
		.amdhsa_exception_fp_ieee_invalid_op 0
		.amdhsa_exception_fp_denorm_src 0
		.amdhsa_exception_fp_ieee_div_zero 0
		.amdhsa_exception_fp_ieee_overflow 0
		.amdhsa_exception_fp_ieee_underflow 0
		.amdhsa_exception_fp_ieee_inexact 0
		.amdhsa_exception_int_div_zero 0
	.end_amdhsa_kernel
	.section	.text._ZN7rocprim17ROCPRIM_400000_NS6detail44device_merge_sort_compile_time_verifier_archINS1_11comp_targetILNS1_3genE2ELNS1_11target_archE906ELNS1_3gpuE6ELNS1_3repE0EEES8_NS0_14default_configES9_NS1_37merge_sort_block_sort_config_selectorIaNS0_10empty_typeEEENS1_38merge_sort_block_merge_config_selectorIaSB_EEEEvv,"axG",@progbits,_ZN7rocprim17ROCPRIM_400000_NS6detail44device_merge_sort_compile_time_verifier_archINS1_11comp_targetILNS1_3genE2ELNS1_11target_archE906ELNS1_3gpuE6ELNS1_3repE0EEES8_NS0_14default_configES9_NS1_37merge_sort_block_sort_config_selectorIaNS0_10empty_typeEEENS1_38merge_sort_block_merge_config_selectorIaSB_EEEEvv,comdat
.Lfunc_end2770:
	.size	_ZN7rocprim17ROCPRIM_400000_NS6detail44device_merge_sort_compile_time_verifier_archINS1_11comp_targetILNS1_3genE2ELNS1_11target_archE906ELNS1_3gpuE6ELNS1_3repE0EEES8_NS0_14default_configES9_NS1_37merge_sort_block_sort_config_selectorIaNS0_10empty_typeEEENS1_38merge_sort_block_merge_config_selectorIaSB_EEEEvv, .Lfunc_end2770-_ZN7rocprim17ROCPRIM_400000_NS6detail44device_merge_sort_compile_time_verifier_archINS1_11comp_targetILNS1_3genE2ELNS1_11target_archE906ELNS1_3gpuE6ELNS1_3repE0EEES8_NS0_14default_configES9_NS1_37merge_sort_block_sort_config_selectorIaNS0_10empty_typeEEENS1_38merge_sort_block_merge_config_selectorIaSB_EEEEvv
                                        ; -- End function
	.section	.AMDGPU.csdata,"",@progbits
; Kernel info:
; codeLenInByte = 4
; NumSgprs: 4
; NumVgprs: 0
; NumAgprs: 0
; TotalNumVgprs: 0
; ScratchSize: 0
; MemoryBound: 0
; FloatMode: 240
; IeeeMode: 1
; LDSByteSize: 0 bytes/workgroup (compile time only)
; SGPRBlocks: 0
; VGPRBlocks: 0
; NumSGPRsForWavesPerEU: 4
; NumVGPRsForWavesPerEU: 1
; AccumOffset: 4
; Occupancy: 8
; WaveLimiterHint : 0
; COMPUTE_PGM_RSRC2:SCRATCH_EN: 0
; COMPUTE_PGM_RSRC2:USER_SGPR: 4
; COMPUTE_PGM_RSRC2:TRAP_HANDLER: 0
; COMPUTE_PGM_RSRC2:TGID_X_EN: 1
; COMPUTE_PGM_RSRC2:TGID_Y_EN: 0
; COMPUTE_PGM_RSRC2:TGID_Z_EN: 0
; COMPUTE_PGM_RSRC2:TIDIG_COMP_CNT: 0
; COMPUTE_PGM_RSRC3_GFX90A:ACCUM_OFFSET: 0
; COMPUTE_PGM_RSRC3_GFX90A:TG_SPLIT: 0
	.section	.text._ZN7rocprim17ROCPRIM_400000_NS6detail44device_merge_sort_compile_time_verifier_archINS1_11comp_targetILNS1_3genE10ELNS1_11target_archE1201ELNS1_3gpuE5ELNS1_3repE0EEES8_NS0_14default_configES9_NS1_37merge_sort_block_sort_config_selectorIaNS0_10empty_typeEEENS1_38merge_sort_block_merge_config_selectorIaSB_EEEEvv,"axG",@progbits,_ZN7rocprim17ROCPRIM_400000_NS6detail44device_merge_sort_compile_time_verifier_archINS1_11comp_targetILNS1_3genE10ELNS1_11target_archE1201ELNS1_3gpuE5ELNS1_3repE0EEES8_NS0_14default_configES9_NS1_37merge_sort_block_sort_config_selectorIaNS0_10empty_typeEEENS1_38merge_sort_block_merge_config_selectorIaSB_EEEEvv,comdat
	.protected	_ZN7rocprim17ROCPRIM_400000_NS6detail44device_merge_sort_compile_time_verifier_archINS1_11comp_targetILNS1_3genE10ELNS1_11target_archE1201ELNS1_3gpuE5ELNS1_3repE0EEES8_NS0_14default_configES9_NS1_37merge_sort_block_sort_config_selectorIaNS0_10empty_typeEEENS1_38merge_sort_block_merge_config_selectorIaSB_EEEEvv ; -- Begin function _ZN7rocprim17ROCPRIM_400000_NS6detail44device_merge_sort_compile_time_verifier_archINS1_11comp_targetILNS1_3genE10ELNS1_11target_archE1201ELNS1_3gpuE5ELNS1_3repE0EEES8_NS0_14default_configES9_NS1_37merge_sort_block_sort_config_selectorIaNS0_10empty_typeEEENS1_38merge_sort_block_merge_config_selectorIaSB_EEEEvv
	.globl	_ZN7rocprim17ROCPRIM_400000_NS6detail44device_merge_sort_compile_time_verifier_archINS1_11comp_targetILNS1_3genE10ELNS1_11target_archE1201ELNS1_3gpuE5ELNS1_3repE0EEES8_NS0_14default_configES9_NS1_37merge_sort_block_sort_config_selectorIaNS0_10empty_typeEEENS1_38merge_sort_block_merge_config_selectorIaSB_EEEEvv
	.p2align	8
	.type	_ZN7rocprim17ROCPRIM_400000_NS6detail44device_merge_sort_compile_time_verifier_archINS1_11comp_targetILNS1_3genE10ELNS1_11target_archE1201ELNS1_3gpuE5ELNS1_3repE0EEES8_NS0_14default_configES9_NS1_37merge_sort_block_sort_config_selectorIaNS0_10empty_typeEEENS1_38merge_sort_block_merge_config_selectorIaSB_EEEEvv,@function
_ZN7rocprim17ROCPRIM_400000_NS6detail44device_merge_sort_compile_time_verifier_archINS1_11comp_targetILNS1_3genE10ELNS1_11target_archE1201ELNS1_3gpuE5ELNS1_3repE0EEES8_NS0_14default_configES9_NS1_37merge_sort_block_sort_config_selectorIaNS0_10empty_typeEEENS1_38merge_sort_block_merge_config_selectorIaSB_EEEEvv: ; @_ZN7rocprim17ROCPRIM_400000_NS6detail44device_merge_sort_compile_time_verifier_archINS1_11comp_targetILNS1_3genE10ELNS1_11target_archE1201ELNS1_3gpuE5ELNS1_3repE0EEES8_NS0_14default_configES9_NS1_37merge_sort_block_sort_config_selectorIaNS0_10empty_typeEEENS1_38merge_sort_block_merge_config_selectorIaSB_EEEEvv
; %bb.0:
	s_endpgm
	.section	.rodata,"a",@progbits
	.p2align	6, 0x0
	.amdhsa_kernel _ZN7rocprim17ROCPRIM_400000_NS6detail44device_merge_sort_compile_time_verifier_archINS1_11comp_targetILNS1_3genE10ELNS1_11target_archE1201ELNS1_3gpuE5ELNS1_3repE0EEES8_NS0_14default_configES9_NS1_37merge_sort_block_sort_config_selectorIaNS0_10empty_typeEEENS1_38merge_sort_block_merge_config_selectorIaSB_EEEEvv
		.amdhsa_group_segment_fixed_size 0
		.amdhsa_private_segment_fixed_size 0
		.amdhsa_kernarg_size 0
		.amdhsa_user_sgpr_count 4
		.amdhsa_user_sgpr_private_segment_buffer 1
		.amdhsa_user_sgpr_dispatch_ptr 0
		.amdhsa_user_sgpr_queue_ptr 0
		.amdhsa_user_sgpr_kernarg_segment_ptr 0
		.amdhsa_user_sgpr_dispatch_id 0
		.amdhsa_user_sgpr_flat_scratch_init 0
		.amdhsa_user_sgpr_kernarg_preload_length 0
		.amdhsa_user_sgpr_kernarg_preload_offset 0
		.amdhsa_user_sgpr_private_segment_size 0
		.amdhsa_uses_dynamic_stack 0
		.amdhsa_system_sgpr_private_segment_wavefront_offset 0
		.amdhsa_system_sgpr_workgroup_id_x 1
		.amdhsa_system_sgpr_workgroup_id_y 0
		.amdhsa_system_sgpr_workgroup_id_z 0
		.amdhsa_system_sgpr_workgroup_info 0
		.amdhsa_system_vgpr_workitem_id 0
		.amdhsa_next_free_vgpr 1
		.amdhsa_next_free_sgpr 0
		.amdhsa_accum_offset 4
		.amdhsa_reserve_vcc 0
		.amdhsa_reserve_flat_scratch 0
		.amdhsa_float_round_mode_32 0
		.amdhsa_float_round_mode_16_64 0
		.amdhsa_float_denorm_mode_32 3
		.amdhsa_float_denorm_mode_16_64 3
		.amdhsa_dx10_clamp 1
		.amdhsa_ieee_mode 1
		.amdhsa_fp16_overflow 0
		.amdhsa_tg_split 0
		.amdhsa_exception_fp_ieee_invalid_op 0
		.amdhsa_exception_fp_denorm_src 0
		.amdhsa_exception_fp_ieee_div_zero 0
		.amdhsa_exception_fp_ieee_overflow 0
		.amdhsa_exception_fp_ieee_underflow 0
		.amdhsa_exception_fp_ieee_inexact 0
		.amdhsa_exception_int_div_zero 0
	.end_amdhsa_kernel
	.section	.text._ZN7rocprim17ROCPRIM_400000_NS6detail44device_merge_sort_compile_time_verifier_archINS1_11comp_targetILNS1_3genE10ELNS1_11target_archE1201ELNS1_3gpuE5ELNS1_3repE0EEES8_NS0_14default_configES9_NS1_37merge_sort_block_sort_config_selectorIaNS0_10empty_typeEEENS1_38merge_sort_block_merge_config_selectorIaSB_EEEEvv,"axG",@progbits,_ZN7rocprim17ROCPRIM_400000_NS6detail44device_merge_sort_compile_time_verifier_archINS1_11comp_targetILNS1_3genE10ELNS1_11target_archE1201ELNS1_3gpuE5ELNS1_3repE0EEES8_NS0_14default_configES9_NS1_37merge_sort_block_sort_config_selectorIaNS0_10empty_typeEEENS1_38merge_sort_block_merge_config_selectorIaSB_EEEEvv,comdat
.Lfunc_end2771:
	.size	_ZN7rocprim17ROCPRIM_400000_NS6detail44device_merge_sort_compile_time_verifier_archINS1_11comp_targetILNS1_3genE10ELNS1_11target_archE1201ELNS1_3gpuE5ELNS1_3repE0EEES8_NS0_14default_configES9_NS1_37merge_sort_block_sort_config_selectorIaNS0_10empty_typeEEENS1_38merge_sort_block_merge_config_selectorIaSB_EEEEvv, .Lfunc_end2771-_ZN7rocprim17ROCPRIM_400000_NS6detail44device_merge_sort_compile_time_verifier_archINS1_11comp_targetILNS1_3genE10ELNS1_11target_archE1201ELNS1_3gpuE5ELNS1_3repE0EEES8_NS0_14default_configES9_NS1_37merge_sort_block_sort_config_selectorIaNS0_10empty_typeEEENS1_38merge_sort_block_merge_config_selectorIaSB_EEEEvv
                                        ; -- End function
	.section	.AMDGPU.csdata,"",@progbits
; Kernel info:
; codeLenInByte = 4
; NumSgprs: 4
; NumVgprs: 0
; NumAgprs: 0
; TotalNumVgprs: 0
; ScratchSize: 0
; MemoryBound: 0
; FloatMode: 240
; IeeeMode: 1
; LDSByteSize: 0 bytes/workgroup (compile time only)
; SGPRBlocks: 0
; VGPRBlocks: 0
; NumSGPRsForWavesPerEU: 4
; NumVGPRsForWavesPerEU: 1
; AccumOffset: 4
; Occupancy: 8
; WaveLimiterHint : 0
; COMPUTE_PGM_RSRC2:SCRATCH_EN: 0
; COMPUTE_PGM_RSRC2:USER_SGPR: 4
; COMPUTE_PGM_RSRC2:TRAP_HANDLER: 0
; COMPUTE_PGM_RSRC2:TGID_X_EN: 1
; COMPUTE_PGM_RSRC2:TGID_Y_EN: 0
; COMPUTE_PGM_RSRC2:TGID_Z_EN: 0
; COMPUTE_PGM_RSRC2:TIDIG_COMP_CNT: 0
; COMPUTE_PGM_RSRC3_GFX90A:ACCUM_OFFSET: 0
; COMPUTE_PGM_RSRC3_GFX90A:TG_SPLIT: 0
	.section	.text._ZN7rocprim17ROCPRIM_400000_NS6detail44device_merge_sort_compile_time_verifier_archINS1_11comp_targetILNS1_3genE10ELNS1_11target_archE1200ELNS1_3gpuE4ELNS1_3repE0EEENS3_ILS4_10ELS5_1201ELS6_5ELS7_0EEENS0_14default_configESA_NS1_37merge_sort_block_sort_config_selectorIaNS0_10empty_typeEEENS1_38merge_sort_block_merge_config_selectorIaSC_EEEEvv,"axG",@progbits,_ZN7rocprim17ROCPRIM_400000_NS6detail44device_merge_sort_compile_time_verifier_archINS1_11comp_targetILNS1_3genE10ELNS1_11target_archE1200ELNS1_3gpuE4ELNS1_3repE0EEENS3_ILS4_10ELS5_1201ELS6_5ELS7_0EEENS0_14default_configESA_NS1_37merge_sort_block_sort_config_selectorIaNS0_10empty_typeEEENS1_38merge_sort_block_merge_config_selectorIaSC_EEEEvv,comdat
	.protected	_ZN7rocprim17ROCPRIM_400000_NS6detail44device_merge_sort_compile_time_verifier_archINS1_11comp_targetILNS1_3genE10ELNS1_11target_archE1200ELNS1_3gpuE4ELNS1_3repE0EEENS3_ILS4_10ELS5_1201ELS6_5ELS7_0EEENS0_14default_configESA_NS1_37merge_sort_block_sort_config_selectorIaNS0_10empty_typeEEENS1_38merge_sort_block_merge_config_selectorIaSC_EEEEvv ; -- Begin function _ZN7rocprim17ROCPRIM_400000_NS6detail44device_merge_sort_compile_time_verifier_archINS1_11comp_targetILNS1_3genE10ELNS1_11target_archE1200ELNS1_3gpuE4ELNS1_3repE0EEENS3_ILS4_10ELS5_1201ELS6_5ELS7_0EEENS0_14default_configESA_NS1_37merge_sort_block_sort_config_selectorIaNS0_10empty_typeEEENS1_38merge_sort_block_merge_config_selectorIaSC_EEEEvv
	.globl	_ZN7rocprim17ROCPRIM_400000_NS6detail44device_merge_sort_compile_time_verifier_archINS1_11comp_targetILNS1_3genE10ELNS1_11target_archE1200ELNS1_3gpuE4ELNS1_3repE0EEENS3_ILS4_10ELS5_1201ELS6_5ELS7_0EEENS0_14default_configESA_NS1_37merge_sort_block_sort_config_selectorIaNS0_10empty_typeEEENS1_38merge_sort_block_merge_config_selectorIaSC_EEEEvv
	.p2align	8
	.type	_ZN7rocprim17ROCPRIM_400000_NS6detail44device_merge_sort_compile_time_verifier_archINS1_11comp_targetILNS1_3genE10ELNS1_11target_archE1200ELNS1_3gpuE4ELNS1_3repE0EEENS3_ILS4_10ELS5_1201ELS6_5ELS7_0EEENS0_14default_configESA_NS1_37merge_sort_block_sort_config_selectorIaNS0_10empty_typeEEENS1_38merge_sort_block_merge_config_selectorIaSC_EEEEvv,@function
_ZN7rocprim17ROCPRIM_400000_NS6detail44device_merge_sort_compile_time_verifier_archINS1_11comp_targetILNS1_3genE10ELNS1_11target_archE1200ELNS1_3gpuE4ELNS1_3repE0EEENS3_ILS4_10ELS5_1201ELS6_5ELS7_0EEENS0_14default_configESA_NS1_37merge_sort_block_sort_config_selectorIaNS0_10empty_typeEEENS1_38merge_sort_block_merge_config_selectorIaSC_EEEEvv: ; @_ZN7rocprim17ROCPRIM_400000_NS6detail44device_merge_sort_compile_time_verifier_archINS1_11comp_targetILNS1_3genE10ELNS1_11target_archE1200ELNS1_3gpuE4ELNS1_3repE0EEENS3_ILS4_10ELS5_1201ELS6_5ELS7_0EEENS0_14default_configESA_NS1_37merge_sort_block_sort_config_selectorIaNS0_10empty_typeEEENS1_38merge_sort_block_merge_config_selectorIaSC_EEEEvv
; %bb.0:
	s_endpgm
	.section	.rodata,"a",@progbits
	.p2align	6, 0x0
	.amdhsa_kernel _ZN7rocprim17ROCPRIM_400000_NS6detail44device_merge_sort_compile_time_verifier_archINS1_11comp_targetILNS1_3genE10ELNS1_11target_archE1200ELNS1_3gpuE4ELNS1_3repE0EEENS3_ILS4_10ELS5_1201ELS6_5ELS7_0EEENS0_14default_configESA_NS1_37merge_sort_block_sort_config_selectorIaNS0_10empty_typeEEENS1_38merge_sort_block_merge_config_selectorIaSC_EEEEvv
		.amdhsa_group_segment_fixed_size 0
		.amdhsa_private_segment_fixed_size 0
		.amdhsa_kernarg_size 0
		.amdhsa_user_sgpr_count 4
		.amdhsa_user_sgpr_private_segment_buffer 1
		.amdhsa_user_sgpr_dispatch_ptr 0
		.amdhsa_user_sgpr_queue_ptr 0
		.amdhsa_user_sgpr_kernarg_segment_ptr 0
		.amdhsa_user_sgpr_dispatch_id 0
		.amdhsa_user_sgpr_flat_scratch_init 0
		.amdhsa_user_sgpr_kernarg_preload_length 0
		.amdhsa_user_sgpr_kernarg_preload_offset 0
		.amdhsa_user_sgpr_private_segment_size 0
		.amdhsa_uses_dynamic_stack 0
		.amdhsa_system_sgpr_private_segment_wavefront_offset 0
		.amdhsa_system_sgpr_workgroup_id_x 1
		.amdhsa_system_sgpr_workgroup_id_y 0
		.amdhsa_system_sgpr_workgroup_id_z 0
		.amdhsa_system_sgpr_workgroup_info 0
		.amdhsa_system_vgpr_workitem_id 0
		.amdhsa_next_free_vgpr 1
		.amdhsa_next_free_sgpr 0
		.amdhsa_accum_offset 4
		.amdhsa_reserve_vcc 0
		.amdhsa_reserve_flat_scratch 0
		.amdhsa_float_round_mode_32 0
		.amdhsa_float_round_mode_16_64 0
		.amdhsa_float_denorm_mode_32 3
		.amdhsa_float_denorm_mode_16_64 3
		.amdhsa_dx10_clamp 1
		.amdhsa_ieee_mode 1
		.amdhsa_fp16_overflow 0
		.amdhsa_tg_split 0
		.amdhsa_exception_fp_ieee_invalid_op 0
		.amdhsa_exception_fp_denorm_src 0
		.amdhsa_exception_fp_ieee_div_zero 0
		.amdhsa_exception_fp_ieee_overflow 0
		.amdhsa_exception_fp_ieee_underflow 0
		.amdhsa_exception_fp_ieee_inexact 0
		.amdhsa_exception_int_div_zero 0
	.end_amdhsa_kernel
	.section	.text._ZN7rocprim17ROCPRIM_400000_NS6detail44device_merge_sort_compile_time_verifier_archINS1_11comp_targetILNS1_3genE10ELNS1_11target_archE1200ELNS1_3gpuE4ELNS1_3repE0EEENS3_ILS4_10ELS5_1201ELS6_5ELS7_0EEENS0_14default_configESA_NS1_37merge_sort_block_sort_config_selectorIaNS0_10empty_typeEEENS1_38merge_sort_block_merge_config_selectorIaSC_EEEEvv,"axG",@progbits,_ZN7rocprim17ROCPRIM_400000_NS6detail44device_merge_sort_compile_time_verifier_archINS1_11comp_targetILNS1_3genE10ELNS1_11target_archE1200ELNS1_3gpuE4ELNS1_3repE0EEENS3_ILS4_10ELS5_1201ELS6_5ELS7_0EEENS0_14default_configESA_NS1_37merge_sort_block_sort_config_selectorIaNS0_10empty_typeEEENS1_38merge_sort_block_merge_config_selectorIaSC_EEEEvv,comdat
.Lfunc_end2772:
	.size	_ZN7rocprim17ROCPRIM_400000_NS6detail44device_merge_sort_compile_time_verifier_archINS1_11comp_targetILNS1_3genE10ELNS1_11target_archE1200ELNS1_3gpuE4ELNS1_3repE0EEENS3_ILS4_10ELS5_1201ELS6_5ELS7_0EEENS0_14default_configESA_NS1_37merge_sort_block_sort_config_selectorIaNS0_10empty_typeEEENS1_38merge_sort_block_merge_config_selectorIaSC_EEEEvv, .Lfunc_end2772-_ZN7rocprim17ROCPRIM_400000_NS6detail44device_merge_sort_compile_time_verifier_archINS1_11comp_targetILNS1_3genE10ELNS1_11target_archE1200ELNS1_3gpuE4ELNS1_3repE0EEENS3_ILS4_10ELS5_1201ELS6_5ELS7_0EEENS0_14default_configESA_NS1_37merge_sort_block_sort_config_selectorIaNS0_10empty_typeEEENS1_38merge_sort_block_merge_config_selectorIaSC_EEEEvv
                                        ; -- End function
	.section	.AMDGPU.csdata,"",@progbits
; Kernel info:
; codeLenInByte = 4
; NumSgprs: 4
; NumVgprs: 0
; NumAgprs: 0
; TotalNumVgprs: 0
; ScratchSize: 0
; MemoryBound: 0
; FloatMode: 240
; IeeeMode: 1
; LDSByteSize: 0 bytes/workgroup (compile time only)
; SGPRBlocks: 0
; VGPRBlocks: 0
; NumSGPRsForWavesPerEU: 4
; NumVGPRsForWavesPerEU: 1
; AccumOffset: 4
; Occupancy: 8
; WaveLimiterHint : 0
; COMPUTE_PGM_RSRC2:SCRATCH_EN: 0
; COMPUTE_PGM_RSRC2:USER_SGPR: 4
; COMPUTE_PGM_RSRC2:TRAP_HANDLER: 0
; COMPUTE_PGM_RSRC2:TGID_X_EN: 1
; COMPUTE_PGM_RSRC2:TGID_Y_EN: 0
; COMPUTE_PGM_RSRC2:TGID_Z_EN: 0
; COMPUTE_PGM_RSRC2:TIDIG_COMP_CNT: 0
; COMPUTE_PGM_RSRC3_GFX90A:ACCUM_OFFSET: 0
; COMPUTE_PGM_RSRC3_GFX90A:TG_SPLIT: 0
	.section	.text._ZN7rocprim17ROCPRIM_400000_NS6detail44device_merge_sort_compile_time_verifier_archINS1_11comp_targetILNS1_3genE9ELNS1_11target_archE1100ELNS1_3gpuE3ELNS1_3repE0EEES8_NS0_14default_configES9_NS1_37merge_sort_block_sort_config_selectorIaNS0_10empty_typeEEENS1_38merge_sort_block_merge_config_selectorIaSB_EEEEvv,"axG",@progbits,_ZN7rocprim17ROCPRIM_400000_NS6detail44device_merge_sort_compile_time_verifier_archINS1_11comp_targetILNS1_3genE9ELNS1_11target_archE1100ELNS1_3gpuE3ELNS1_3repE0EEES8_NS0_14default_configES9_NS1_37merge_sort_block_sort_config_selectorIaNS0_10empty_typeEEENS1_38merge_sort_block_merge_config_selectorIaSB_EEEEvv,comdat
	.protected	_ZN7rocprim17ROCPRIM_400000_NS6detail44device_merge_sort_compile_time_verifier_archINS1_11comp_targetILNS1_3genE9ELNS1_11target_archE1100ELNS1_3gpuE3ELNS1_3repE0EEES8_NS0_14default_configES9_NS1_37merge_sort_block_sort_config_selectorIaNS0_10empty_typeEEENS1_38merge_sort_block_merge_config_selectorIaSB_EEEEvv ; -- Begin function _ZN7rocprim17ROCPRIM_400000_NS6detail44device_merge_sort_compile_time_verifier_archINS1_11comp_targetILNS1_3genE9ELNS1_11target_archE1100ELNS1_3gpuE3ELNS1_3repE0EEES8_NS0_14default_configES9_NS1_37merge_sort_block_sort_config_selectorIaNS0_10empty_typeEEENS1_38merge_sort_block_merge_config_selectorIaSB_EEEEvv
	.globl	_ZN7rocprim17ROCPRIM_400000_NS6detail44device_merge_sort_compile_time_verifier_archINS1_11comp_targetILNS1_3genE9ELNS1_11target_archE1100ELNS1_3gpuE3ELNS1_3repE0EEES8_NS0_14default_configES9_NS1_37merge_sort_block_sort_config_selectorIaNS0_10empty_typeEEENS1_38merge_sort_block_merge_config_selectorIaSB_EEEEvv
	.p2align	8
	.type	_ZN7rocprim17ROCPRIM_400000_NS6detail44device_merge_sort_compile_time_verifier_archINS1_11comp_targetILNS1_3genE9ELNS1_11target_archE1100ELNS1_3gpuE3ELNS1_3repE0EEES8_NS0_14default_configES9_NS1_37merge_sort_block_sort_config_selectorIaNS0_10empty_typeEEENS1_38merge_sort_block_merge_config_selectorIaSB_EEEEvv,@function
_ZN7rocprim17ROCPRIM_400000_NS6detail44device_merge_sort_compile_time_verifier_archINS1_11comp_targetILNS1_3genE9ELNS1_11target_archE1100ELNS1_3gpuE3ELNS1_3repE0EEES8_NS0_14default_configES9_NS1_37merge_sort_block_sort_config_selectorIaNS0_10empty_typeEEENS1_38merge_sort_block_merge_config_selectorIaSB_EEEEvv: ; @_ZN7rocprim17ROCPRIM_400000_NS6detail44device_merge_sort_compile_time_verifier_archINS1_11comp_targetILNS1_3genE9ELNS1_11target_archE1100ELNS1_3gpuE3ELNS1_3repE0EEES8_NS0_14default_configES9_NS1_37merge_sort_block_sort_config_selectorIaNS0_10empty_typeEEENS1_38merge_sort_block_merge_config_selectorIaSB_EEEEvv
; %bb.0:
	s_endpgm
	.section	.rodata,"a",@progbits
	.p2align	6, 0x0
	.amdhsa_kernel _ZN7rocprim17ROCPRIM_400000_NS6detail44device_merge_sort_compile_time_verifier_archINS1_11comp_targetILNS1_3genE9ELNS1_11target_archE1100ELNS1_3gpuE3ELNS1_3repE0EEES8_NS0_14default_configES9_NS1_37merge_sort_block_sort_config_selectorIaNS0_10empty_typeEEENS1_38merge_sort_block_merge_config_selectorIaSB_EEEEvv
		.amdhsa_group_segment_fixed_size 0
		.amdhsa_private_segment_fixed_size 0
		.amdhsa_kernarg_size 0
		.amdhsa_user_sgpr_count 4
		.amdhsa_user_sgpr_private_segment_buffer 1
		.amdhsa_user_sgpr_dispatch_ptr 0
		.amdhsa_user_sgpr_queue_ptr 0
		.amdhsa_user_sgpr_kernarg_segment_ptr 0
		.amdhsa_user_sgpr_dispatch_id 0
		.amdhsa_user_sgpr_flat_scratch_init 0
		.amdhsa_user_sgpr_kernarg_preload_length 0
		.amdhsa_user_sgpr_kernarg_preload_offset 0
		.amdhsa_user_sgpr_private_segment_size 0
		.amdhsa_uses_dynamic_stack 0
		.amdhsa_system_sgpr_private_segment_wavefront_offset 0
		.amdhsa_system_sgpr_workgroup_id_x 1
		.amdhsa_system_sgpr_workgroup_id_y 0
		.amdhsa_system_sgpr_workgroup_id_z 0
		.amdhsa_system_sgpr_workgroup_info 0
		.amdhsa_system_vgpr_workitem_id 0
		.amdhsa_next_free_vgpr 1
		.amdhsa_next_free_sgpr 0
		.amdhsa_accum_offset 4
		.amdhsa_reserve_vcc 0
		.amdhsa_reserve_flat_scratch 0
		.amdhsa_float_round_mode_32 0
		.amdhsa_float_round_mode_16_64 0
		.amdhsa_float_denorm_mode_32 3
		.amdhsa_float_denorm_mode_16_64 3
		.amdhsa_dx10_clamp 1
		.amdhsa_ieee_mode 1
		.amdhsa_fp16_overflow 0
		.amdhsa_tg_split 0
		.amdhsa_exception_fp_ieee_invalid_op 0
		.amdhsa_exception_fp_denorm_src 0
		.amdhsa_exception_fp_ieee_div_zero 0
		.amdhsa_exception_fp_ieee_overflow 0
		.amdhsa_exception_fp_ieee_underflow 0
		.amdhsa_exception_fp_ieee_inexact 0
		.amdhsa_exception_int_div_zero 0
	.end_amdhsa_kernel
	.section	.text._ZN7rocprim17ROCPRIM_400000_NS6detail44device_merge_sort_compile_time_verifier_archINS1_11comp_targetILNS1_3genE9ELNS1_11target_archE1100ELNS1_3gpuE3ELNS1_3repE0EEES8_NS0_14default_configES9_NS1_37merge_sort_block_sort_config_selectorIaNS0_10empty_typeEEENS1_38merge_sort_block_merge_config_selectorIaSB_EEEEvv,"axG",@progbits,_ZN7rocprim17ROCPRIM_400000_NS6detail44device_merge_sort_compile_time_verifier_archINS1_11comp_targetILNS1_3genE9ELNS1_11target_archE1100ELNS1_3gpuE3ELNS1_3repE0EEES8_NS0_14default_configES9_NS1_37merge_sort_block_sort_config_selectorIaNS0_10empty_typeEEENS1_38merge_sort_block_merge_config_selectorIaSB_EEEEvv,comdat
.Lfunc_end2773:
	.size	_ZN7rocprim17ROCPRIM_400000_NS6detail44device_merge_sort_compile_time_verifier_archINS1_11comp_targetILNS1_3genE9ELNS1_11target_archE1100ELNS1_3gpuE3ELNS1_3repE0EEES8_NS0_14default_configES9_NS1_37merge_sort_block_sort_config_selectorIaNS0_10empty_typeEEENS1_38merge_sort_block_merge_config_selectorIaSB_EEEEvv, .Lfunc_end2773-_ZN7rocprim17ROCPRIM_400000_NS6detail44device_merge_sort_compile_time_verifier_archINS1_11comp_targetILNS1_3genE9ELNS1_11target_archE1100ELNS1_3gpuE3ELNS1_3repE0EEES8_NS0_14default_configES9_NS1_37merge_sort_block_sort_config_selectorIaNS0_10empty_typeEEENS1_38merge_sort_block_merge_config_selectorIaSB_EEEEvv
                                        ; -- End function
	.section	.AMDGPU.csdata,"",@progbits
; Kernel info:
; codeLenInByte = 4
; NumSgprs: 4
; NumVgprs: 0
; NumAgprs: 0
; TotalNumVgprs: 0
; ScratchSize: 0
; MemoryBound: 0
; FloatMode: 240
; IeeeMode: 1
; LDSByteSize: 0 bytes/workgroup (compile time only)
; SGPRBlocks: 0
; VGPRBlocks: 0
; NumSGPRsForWavesPerEU: 4
; NumVGPRsForWavesPerEU: 1
; AccumOffset: 4
; Occupancy: 8
; WaveLimiterHint : 0
; COMPUTE_PGM_RSRC2:SCRATCH_EN: 0
; COMPUTE_PGM_RSRC2:USER_SGPR: 4
; COMPUTE_PGM_RSRC2:TRAP_HANDLER: 0
; COMPUTE_PGM_RSRC2:TGID_X_EN: 1
; COMPUTE_PGM_RSRC2:TGID_Y_EN: 0
; COMPUTE_PGM_RSRC2:TGID_Z_EN: 0
; COMPUTE_PGM_RSRC2:TIDIG_COMP_CNT: 0
; COMPUTE_PGM_RSRC3_GFX90A:ACCUM_OFFSET: 0
; COMPUTE_PGM_RSRC3_GFX90A:TG_SPLIT: 0
	.section	.text._ZN7rocprim17ROCPRIM_400000_NS6detail44device_merge_sort_compile_time_verifier_archINS1_11comp_targetILNS1_3genE8ELNS1_11target_archE1030ELNS1_3gpuE2ELNS1_3repE0EEES8_NS0_14default_configES9_NS1_37merge_sort_block_sort_config_selectorIaNS0_10empty_typeEEENS1_38merge_sort_block_merge_config_selectorIaSB_EEEEvv,"axG",@progbits,_ZN7rocprim17ROCPRIM_400000_NS6detail44device_merge_sort_compile_time_verifier_archINS1_11comp_targetILNS1_3genE8ELNS1_11target_archE1030ELNS1_3gpuE2ELNS1_3repE0EEES8_NS0_14default_configES9_NS1_37merge_sort_block_sort_config_selectorIaNS0_10empty_typeEEENS1_38merge_sort_block_merge_config_selectorIaSB_EEEEvv,comdat
	.protected	_ZN7rocprim17ROCPRIM_400000_NS6detail44device_merge_sort_compile_time_verifier_archINS1_11comp_targetILNS1_3genE8ELNS1_11target_archE1030ELNS1_3gpuE2ELNS1_3repE0EEES8_NS0_14default_configES9_NS1_37merge_sort_block_sort_config_selectorIaNS0_10empty_typeEEENS1_38merge_sort_block_merge_config_selectorIaSB_EEEEvv ; -- Begin function _ZN7rocprim17ROCPRIM_400000_NS6detail44device_merge_sort_compile_time_verifier_archINS1_11comp_targetILNS1_3genE8ELNS1_11target_archE1030ELNS1_3gpuE2ELNS1_3repE0EEES8_NS0_14default_configES9_NS1_37merge_sort_block_sort_config_selectorIaNS0_10empty_typeEEENS1_38merge_sort_block_merge_config_selectorIaSB_EEEEvv
	.globl	_ZN7rocprim17ROCPRIM_400000_NS6detail44device_merge_sort_compile_time_verifier_archINS1_11comp_targetILNS1_3genE8ELNS1_11target_archE1030ELNS1_3gpuE2ELNS1_3repE0EEES8_NS0_14default_configES9_NS1_37merge_sort_block_sort_config_selectorIaNS0_10empty_typeEEENS1_38merge_sort_block_merge_config_selectorIaSB_EEEEvv
	.p2align	8
	.type	_ZN7rocprim17ROCPRIM_400000_NS6detail44device_merge_sort_compile_time_verifier_archINS1_11comp_targetILNS1_3genE8ELNS1_11target_archE1030ELNS1_3gpuE2ELNS1_3repE0EEES8_NS0_14default_configES9_NS1_37merge_sort_block_sort_config_selectorIaNS0_10empty_typeEEENS1_38merge_sort_block_merge_config_selectorIaSB_EEEEvv,@function
_ZN7rocprim17ROCPRIM_400000_NS6detail44device_merge_sort_compile_time_verifier_archINS1_11comp_targetILNS1_3genE8ELNS1_11target_archE1030ELNS1_3gpuE2ELNS1_3repE0EEES8_NS0_14default_configES9_NS1_37merge_sort_block_sort_config_selectorIaNS0_10empty_typeEEENS1_38merge_sort_block_merge_config_selectorIaSB_EEEEvv: ; @_ZN7rocprim17ROCPRIM_400000_NS6detail44device_merge_sort_compile_time_verifier_archINS1_11comp_targetILNS1_3genE8ELNS1_11target_archE1030ELNS1_3gpuE2ELNS1_3repE0EEES8_NS0_14default_configES9_NS1_37merge_sort_block_sort_config_selectorIaNS0_10empty_typeEEENS1_38merge_sort_block_merge_config_selectorIaSB_EEEEvv
; %bb.0:
	s_endpgm
	.section	.rodata,"a",@progbits
	.p2align	6, 0x0
	.amdhsa_kernel _ZN7rocprim17ROCPRIM_400000_NS6detail44device_merge_sort_compile_time_verifier_archINS1_11comp_targetILNS1_3genE8ELNS1_11target_archE1030ELNS1_3gpuE2ELNS1_3repE0EEES8_NS0_14default_configES9_NS1_37merge_sort_block_sort_config_selectorIaNS0_10empty_typeEEENS1_38merge_sort_block_merge_config_selectorIaSB_EEEEvv
		.amdhsa_group_segment_fixed_size 0
		.amdhsa_private_segment_fixed_size 0
		.amdhsa_kernarg_size 0
		.amdhsa_user_sgpr_count 4
		.amdhsa_user_sgpr_private_segment_buffer 1
		.amdhsa_user_sgpr_dispatch_ptr 0
		.amdhsa_user_sgpr_queue_ptr 0
		.amdhsa_user_sgpr_kernarg_segment_ptr 0
		.amdhsa_user_sgpr_dispatch_id 0
		.amdhsa_user_sgpr_flat_scratch_init 0
		.amdhsa_user_sgpr_kernarg_preload_length 0
		.amdhsa_user_sgpr_kernarg_preload_offset 0
		.amdhsa_user_sgpr_private_segment_size 0
		.amdhsa_uses_dynamic_stack 0
		.amdhsa_system_sgpr_private_segment_wavefront_offset 0
		.amdhsa_system_sgpr_workgroup_id_x 1
		.amdhsa_system_sgpr_workgroup_id_y 0
		.amdhsa_system_sgpr_workgroup_id_z 0
		.amdhsa_system_sgpr_workgroup_info 0
		.amdhsa_system_vgpr_workitem_id 0
		.amdhsa_next_free_vgpr 1
		.amdhsa_next_free_sgpr 0
		.amdhsa_accum_offset 4
		.amdhsa_reserve_vcc 0
		.amdhsa_reserve_flat_scratch 0
		.amdhsa_float_round_mode_32 0
		.amdhsa_float_round_mode_16_64 0
		.amdhsa_float_denorm_mode_32 3
		.amdhsa_float_denorm_mode_16_64 3
		.amdhsa_dx10_clamp 1
		.amdhsa_ieee_mode 1
		.amdhsa_fp16_overflow 0
		.amdhsa_tg_split 0
		.amdhsa_exception_fp_ieee_invalid_op 0
		.amdhsa_exception_fp_denorm_src 0
		.amdhsa_exception_fp_ieee_div_zero 0
		.amdhsa_exception_fp_ieee_overflow 0
		.amdhsa_exception_fp_ieee_underflow 0
		.amdhsa_exception_fp_ieee_inexact 0
		.amdhsa_exception_int_div_zero 0
	.end_amdhsa_kernel
	.section	.text._ZN7rocprim17ROCPRIM_400000_NS6detail44device_merge_sort_compile_time_verifier_archINS1_11comp_targetILNS1_3genE8ELNS1_11target_archE1030ELNS1_3gpuE2ELNS1_3repE0EEES8_NS0_14default_configES9_NS1_37merge_sort_block_sort_config_selectorIaNS0_10empty_typeEEENS1_38merge_sort_block_merge_config_selectorIaSB_EEEEvv,"axG",@progbits,_ZN7rocprim17ROCPRIM_400000_NS6detail44device_merge_sort_compile_time_verifier_archINS1_11comp_targetILNS1_3genE8ELNS1_11target_archE1030ELNS1_3gpuE2ELNS1_3repE0EEES8_NS0_14default_configES9_NS1_37merge_sort_block_sort_config_selectorIaNS0_10empty_typeEEENS1_38merge_sort_block_merge_config_selectorIaSB_EEEEvv,comdat
.Lfunc_end2774:
	.size	_ZN7rocprim17ROCPRIM_400000_NS6detail44device_merge_sort_compile_time_verifier_archINS1_11comp_targetILNS1_3genE8ELNS1_11target_archE1030ELNS1_3gpuE2ELNS1_3repE0EEES8_NS0_14default_configES9_NS1_37merge_sort_block_sort_config_selectorIaNS0_10empty_typeEEENS1_38merge_sort_block_merge_config_selectorIaSB_EEEEvv, .Lfunc_end2774-_ZN7rocprim17ROCPRIM_400000_NS6detail44device_merge_sort_compile_time_verifier_archINS1_11comp_targetILNS1_3genE8ELNS1_11target_archE1030ELNS1_3gpuE2ELNS1_3repE0EEES8_NS0_14default_configES9_NS1_37merge_sort_block_sort_config_selectorIaNS0_10empty_typeEEENS1_38merge_sort_block_merge_config_selectorIaSB_EEEEvv
                                        ; -- End function
	.section	.AMDGPU.csdata,"",@progbits
; Kernel info:
; codeLenInByte = 4
; NumSgprs: 4
; NumVgprs: 0
; NumAgprs: 0
; TotalNumVgprs: 0
; ScratchSize: 0
; MemoryBound: 0
; FloatMode: 240
; IeeeMode: 1
; LDSByteSize: 0 bytes/workgroup (compile time only)
; SGPRBlocks: 0
; VGPRBlocks: 0
; NumSGPRsForWavesPerEU: 4
; NumVGPRsForWavesPerEU: 1
; AccumOffset: 4
; Occupancy: 8
; WaveLimiterHint : 0
; COMPUTE_PGM_RSRC2:SCRATCH_EN: 0
; COMPUTE_PGM_RSRC2:USER_SGPR: 4
; COMPUTE_PGM_RSRC2:TRAP_HANDLER: 0
; COMPUTE_PGM_RSRC2:TGID_X_EN: 1
; COMPUTE_PGM_RSRC2:TGID_Y_EN: 0
; COMPUTE_PGM_RSRC2:TGID_Z_EN: 0
; COMPUTE_PGM_RSRC2:TIDIG_COMP_CNT: 0
; COMPUTE_PGM_RSRC3_GFX90A:ACCUM_OFFSET: 0
; COMPUTE_PGM_RSRC3_GFX90A:TG_SPLIT: 0
	.section	.text._ZN7rocprim17ROCPRIM_400000_NS6detail17trampoline_kernelINS0_14default_configENS1_37merge_sort_block_sort_config_selectorIaNS0_10empty_typeEEEZNS1_21merge_sort_block_sortIS3_N6thrust23THRUST_200600_302600_NS6detail15normal_iteratorINS9_10device_ptrIaEEEESE_PS5_SF_14custom_greaterIaEEE10hipError_tT0_T1_T2_T3_mRjT4_P12ihipStream_tbNS1_7vsmem_tEEUlT_E_NS1_11comp_targetILNS1_3genE0ELNS1_11target_archE4294967295ELNS1_3gpuE0ELNS1_3repE0EEENS1_30default_config_static_selectorELNS0_4arch9wavefront6targetE1EEEvSK_,"axG",@progbits,_ZN7rocprim17ROCPRIM_400000_NS6detail17trampoline_kernelINS0_14default_configENS1_37merge_sort_block_sort_config_selectorIaNS0_10empty_typeEEEZNS1_21merge_sort_block_sortIS3_N6thrust23THRUST_200600_302600_NS6detail15normal_iteratorINS9_10device_ptrIaEEEESE_PS5_SF_14custom_greaterIaEEE10hipError_tT0_T1_T2_T3_mRjT4_P12ihipStream_tbNS1_7vsmem_tEEUlT_E_NS1_11comp_targetILNS1_3genE0ELNS1_11target_archE4294967295ELNS1_3gpuE0ELNS1_3repE0EEENS1_30default_config_static_selectorELNS0_4arch9wavefront6targetE1EEEvSK_,comdat
	.protected	_ZN7rocprim17ROCPRIM_400000_NS6detail17trampoline_kernelINS0_14default_configENS1_37merge_sort_block_sort_config_selectorIaNS0_10empty_typeEEEZNS1_21merge_sort_block_sortIS3_N6thrust23THRUST_200600_302600_NS6detail15normal_iteratorINS9_10device_ptrIaEEEESE_PS5_SF_14custom_greaterIaEEE10hipError_tT0_T1_T2_T3_mRjT4_P12ihipStream_tbNS1_7vsmem_tEEUlT_E_NS1_11comp_targetILNS1_3genE0ELNS1_11target_archE4294967295ELNS1_3gpuE0ELNS1_3repE0EEENS1_30default_config_static_selectorELNS0_4arch9wavefront6targetE1EEEvSK_ ; -- Begin function _ZN7rocprim17ROCPRIM_400000_NS6detail17trampoline_kernelINS0_14default_configENS1_37merge_sort_block_sort_config_selectorIaNS0_10empty_typeEEEZNS1_21merge_sort_block_sortIS3_N6thrust23THRUST_200600_302600_NS6detail15normal_iteratorINS9_10device_ptrIaEEEESE_PS5_SF_14custom_greaterIaEEE10hipError_tT0_T1_T2_T3_mRjT4_P12ihipStream_tbNS1_7vsmem_tEEUlT_E_NS1_11comp_targetILNS1_3genE0ELNS1_11target_archE4294967295ELNS1_3gpuE0ELNS1_3repE0EEENS1_30default_config_static_selectorELNS0_4arch9wavefront6targetE1EEEvSK_
	.globl	_ZN7rocprim17ROCPRIM_400000_NS6detail17trampoline_kernelINS0_14default_configENS1_37merge_sort_block_sort_config_selectorIaNS0_10empty_typeEEEZNS1_21merge_sort_block_sortIS3_N6thrust23THRUST_200600_302600_NS6detail15normal_iteratorINS9_10device_ptrIaEEEESE_PS5_SF_14custom_greaterIaEEE10hipError_tT0_T1_T2_T3_mRjT4_P12ihipStream_tbNS1_7vsmem_tEEUlT_E_NS1_11comp_targetILNS1_3genE0ELNS1_11target_archE4294967295ELNS1_3gpuE0ELNS1_3repE0EEENS1_30default_config_static_selectorELNS0_4arch9wavefront6targetE1EEEvSK_
	.p2align	8
	.type	_ZN7rocprim17ROCPRIM_400000_NS6detail17trampoline_kernelINS0_14default_configENS1_37merge_sort_block_sort_config_selectorIaNS0_10empty_typeEEEZNS1_21merge_sort_block_sortIS3_N6thrust23THRUST_200600_302600_NS6detail15normal_iteratorINS9_10device_ptrIaEEEESE_PS5_SF_14custom_greaterIaEEE10hipError_tT0_T1_T2_T3_mRjT4_P12ihipStream_tbNS1_7vsmem_tEEUlT_E_NS1_11comp_targetILNS1_3genE0ELNS1_11target_archE4294967295ELNS1_3gpuE0ELNS1_3repE0EEENS1_30default_config_static_selectorELNS0_4arch9wavefront6targetE1EEEvSK_,@function
_ZN7rocprim17ROCPRIM_400000_NS6detail17trampoline_kernelINS0_14default_configENS1_37merge_sort_block_sort_config_selectorIaNS0_10empty_typeEEEZNS1_21merge_sort_block_sortIS3_N6thrust23THRUST_200600_302600_NS6detail15normal_iteratorINS9_10device_ptrIaEEEESE_PS5_SF_14custom_greaterIaEEE10hipError_tT0_T1_T2_T3_mRjT4_P12ihipStream_tbNS1_7vsmem_tEEUlT_E_NS1_11comp_targetILNS1_3genE0ELNS1_11target_archE4294967295ELNS1_3gpuE0ELNS1_3repE0EEENS1_30default_config_static_selectorELNS0_4arch9wavefront6targetE1EEEvSK_: ; @_ZN7rocprim17ROCPRIM_400000_NS6detail17trampoline_kernelINS0_14default_configENS1_37merge_sort_block_sort_config_selectorIaNS0_10empty_typeEEEZNS1_21merge_sort_block_sortIS3_N6thrust23THRUST_200600_302600_NS6detail15normal_iteratorINS9_10device_ptrIaEEEESE_PS5_SF_14custom_greaterIaEEE10hipError_tT0_T1_T2_T3_mRjT4_P12ihipStream_tbNS1_7vsmem_tEEUlT_E_NS1_11comp_targetILNS1_3genE0ELNS1_11target_archE4294967295ELNS1_3gpuE0ELNS1_3repE0EEENS1_30default_config_static_selectorELNS0_4arch9wavefront6targetE1EEEvSK_
; %bb.0:
	.section	.rodata,"a",@progbits
	.p2align	6, 0x0
	.amdhsa_kernel _ZN7rocprim17ROCPRIM_400000_NS6detail17trampoline_kernelINS0_14default_configENS1_37merge_sort_block_sort_config_selectorIaNS0_10empty_typeEEEZNS1_21merge_sort_block_sortIS3_N6thrust23THRUST_200600_302600_NS6detail15normal_iteratorINS9_10device_ptrIaEEEESE_PS5_SF_14custom_greaterIaEEE10hipError_tT0_T1_T2_T3_mRjT4_P12ihipStream_tbNS1_7vsmem_tEEUlT_E_NS1_11comp_targetILNS1_3genE0ELNS1_11target_archE4294967295ELNS1_3gpuE0ELNS1_3repE0EEENS1_30default_config_static_selectorELNS0_4arch9wavefront6targetE1EEEvSK_
		.amdhsa_group_segment_fixed_size 0
		.amdhsa_private_segment_fixed_size 0
		.amdhsa_kernarg_size 64
		.amdhsa_user_sgpr_count 6
		.amdhsa_user_sgpr_private_segment_buffer 1
		.amdhsa_user_sgpr_dispatch_ptr 0
		.amdhsa_user_sgpr_queue_ptr 0
		.amdhsa_user_sgpr_kernarg_segment_ptr 1
		.amdhsa_user_sgpr_dispatch_id 0
		.amdhsa_user_sgpr_flat_scratch_init 0
		.amdhsa_user_sgpr_kernarg_preload_length 0
		.amdhsa_user_sgpr_kernarg_preload_offset 0
		.amdhsa_user_sgpr_private_segment_size 0
		.amdhsa_uses_dynamic_stack 0
		.amdhsa_system_sgpr_private_segment_wavefront_offset 0
		.amdhsa_system_sgpr_workgroup_id_x 1
		.amdhsa_system_sgpr_workgroup_id_y 0
		.amdhsa_system_sgpr_workgroup_id_z 0
		.amdhsa_system_sgpr_workgroup_info 0
		.amdhsa_system_vgpr_workitem_id 0
		.amdhsa_next_free_vgpr 1
		.amdhsa_next_free_sgpr 0
		.amdhsa_accum_offset 4
		.amdhsa_reserve_vcc 0
		.amdhsa_reserve_flat_scratch 0
		.amdhsa_float_round_mode_32 0
		.amdhsa_float_round_mode_16_64 0
		.amdhsa_float_denorm_mode_32 3
		.amdhsa_float_denorm_mode_16_64 3
		.amdhsa_dx10_clamp 1
		.amdhsa_ieee_mode 1
		.amdhsa_fp16_overflow 0
		.amdhsa_tg_split 0
		.amdhsa_exception_fp_ieee_invalid_op 0
		.amdhsa_exception_fp_denorm_src 0
		.amdhsa_exception_fp_ieee_div_zero 0
		.amdhsa_exception_fp_ieee_overflow 0
		.amdhsa_exception_fp_ieee_underflow 0
		.amdhsa_exception_fp_ieee_inexact 0
		.amdhsa_exception_int_div_zero 0
	.end_amdhsa_kernel
	.section	.text._ZN7rocprim17ROCPRIM_400000_NS6detail17trampoline_kernelINS0_14default_configENS1_37merge_sort_block_sort_config_selectorIaNS0_10empty_typeEEEZNS1_21merge_sort_block_sortIS3_N6thrust23THRUST_200600_302600_NS6detail15normal_iteratorINS9_10device_ptrIaEEEESE_PS5_SF_14custom_greaterIaEEE10hipError_tT0_T1_T2_T3_mRjT4_P12ihipStream_tbNS1_7vsmem_tEEUlT_E_NS1_11comp_targetILNS1_3genE0ELNS1_11target_archE4294967295ELNS1_3gpuE0ELNS1_3repE0EEENS1_30default_config_static_selectorELNS0_4arch9wavefront6targetE1EEEvSK_,"axG",@progbits,_ZN7rocprim17ROCPRIM_400000_NS6detail17trampoline_kernelINS0_14default_configENS1_37merge_sort_block_sort_config_selectorIaNS0_10empty_typeEEEZNS1_21merge_sort_block_sortIS3_N6thrust23THRUST_200600_302600_NS6detail15normal_iteratorINS9_10device_ptrIaEEEESE_PS5_SF_14custom_greaterIaEEE10hipError_tT0_T1_T2_T3_mRjT4_P12ihipStream_tbNS1_7vsmem_tEEUlT_E_NS1_11comp_targetILNS1_3genE0ELNS1_11target_archE4294967295ELNS1_3gpuE0ELNS1_3repE0EEENS1_30default_config_static_selectorELNS0_4arch9wavefront6targetE1EEEvSK_,comdat
.Lfunc_end2775:
	.size	_ZN7rocprim17ROCPRIM_400000_NS6detail17trampoline_kernelINS0_14default_configENS1_37merge_sort_block_sort_config_selectorIaNS0_10empty_typeEEEZNS1_21merge_sort_block_sortIS3_N6thrust23THRUST_200600_302600_NS6detail15normal_iteratorINS9_10device_ptrIaEEEESE_PS5_SF_14custom_greaterIaEEE10hipError_tT0_T1_T2_T3_mRjT4_P12ihipStream_tbNS1_7vsmem_tEEUlT_E_NS1_11comp_targetILNS1_3genE0ELNS1_11target_archE4294967295ELNS1_3gpuE0ELNS1_3repE0EEENS1_30default_config_static_selectorELNS0_4arch9wavefront6targetE1EEEvSK_, .Lfunc_end2775-_ZN7rocprim17ROCPRIM_400000_NS6detail17trampoline_kernelINS0_14default_configENS1_37merge_sort_block_sort_config_selectorIaNS0_10empty_typeEEEZNS1_21merge_sort_block_sortIS3_N6thrust23THRUST_200600_302600_NS6detail15normal_iteratorINS9_10device_ptrIaEEEESE_PS5_SF_14custom_greaterIaEEE10hipError_tT0_T1_T2_T3_mRjT4_P12ihipStream_tbNS1_7vsmem_tEEUlT_E_NS1_11comp_targetILNS1_3genE0ELNS1_11target_archE4294967295ELNS1_3gpuE0ELNS1_3repE0EEENS1_30default_config_static_selectorELNS0_4arch9wavefront6targetE1EEEvSK_
                                        ; -- End function
	.section	.AMDGPU.csdata,"",@progbits
; Kernel info:
; codeLenInByte = 0
; NumSgprs: 4
; NumVgprs: 0
; NumAgprs: 0
; TotalNumVgprs: 0
; ScratchSize: 0
; MemoryBound: 0
; FloatMode: 240
; IeeeMode: 1
; LDSByteSize: 0 bytes/workgroup (compile time only)
; SGPRBlocks: 0
; VGPRBlocks: 0
; NumSGPRsForWavesPerEU: 4
; NumVGPRsForWavesPerEU: 1
; AccumOffset: 4
; Occupancy: 8
; WaveLimiterHint : 0
; COMPUTE_PGM_RSRC2:SCRATCH_EN: 0
; COMPUTE_PGM_RSRC2:USER_SGPR: 6
; COMPUTE_PGM_RSRC2:TRAP_HANDLER: 0
; COMPUTE_PGM_RSRC2:TGID_X_EN: 1
; COMPUTE_PGM_RSRC2:TGID_Y_EN: 0
; COMPUTE_PGM_RSRC2:TGID_Z_EN: 0
; COMPUTE_PGM_RSRC2:TIDIG_COMP_CNT: 0
; COMPUTE_PGM_RSRC3_GFX90A:ACCUM_OFFSET: 0
; COMPUTE_PGM_RSRC3_GFX90A:TG_SPLIT: 0
	.section	.text._ZN7rocprim17ROCPRIM_400000_NS6detail17trampoline_kernelINS0_14default_configENS1_37merge_sort_block_sort_config_selectorIaNS0_10empty_typeEEEZNS1_21merge_sort_block_sortIS3_N6thrust23THRUST_200600_302600_NS6detail15normal_iteratorINS9_10device_ptrIaEEEESE_PS5_SF_14custom_greaterIaEEE10hipError_tT0_T1_T2_T3_mRjT4_P12ihipStream_tbNS1_7vsmem_tEEUlT_E_NS1_11comp_targetILNS1_3genE5ELNS1_11target_archE942ELNS1_3gpuE9ELNS1_3repE0EEENS1_30default_config_static_selectorELNS0_4arch9wavefront6targetE1EEEvSK_,"axG",@progbits,_ZN7rocprim17ROCPRIM_400000_NS6detail17trampoline_kernelINS0_14default_configENS1_37merge_sort_block_sort_config_selectorIaNS0_10empty_typeEEEZNS1_21merge_sort_block_sortIS3_N6thrust23THRUST_200600_302600_NS6detail15normal_iteratorINS9_10device_ptrIaEEEESE_PS5_SF_14custom_greaterIaEEE10hipError_tT0_T1_T2_T3_mRjT4_P12ihipStream_tbNS1_7vsmem_tEEUlT_E_NS1_11comp_targetILNS1_3genE5ELNS1_11target_archE942ELNS1_3gpuE9ELNS1_3repE0EEENS1_30default_config_static_selectorELNS0_4arch9wavefront6targetE1EEEvSK_,comdat
	.protected	_ZN7rocprim17ROCPRIM_400000_NS6detail17trampoline_kernelINS0_14default_configENS1_37merge_sort_block_sort_config_selectorIaNS0_10empty_typeEEEZNS1_21merge_sort_block_sortIS3_N6thrust23THRUST_200600_302600_NS6detail15normal_iteratorINS9_10device_ptrIaEEEESE_PS5_SF_14custom_greaterIaEEE10hipError_tT0_T1_T2_T3_mRjT4_P12ihipStream_tbNS1_7vsmem_tEEUlT_E_NS1_11comp_targetILNS1_3genE5ELNS1_11target_archE942ELNS1_3gpuE9ELNS1_3repE0EEENS1_30default_config_static_selectorELNS0_4arch9wavefront6targetE1EEEvSK_ ; -- Begin function _ZN7rocprim17ROCPRIM_400000_NS6detail17trampoline_kernelINS0_14default_configENS1_37merge_sort_block_sort_config_selectorIaNS0_10empty_typeEEEZNS1_21merge_sort_block_sortIS3_N6thrust23THRUST_200600_302600_NS6detail15normal_iteratorINS9_10device_ptrIaEEEESE_PS5_SF_14custom_greaterIaEEE10hipError_tT0_T1_T2_T3_mRjT4_P12ihipStream_tbNS1_7vsmem_tEEUlT_E_NS1_11comp_targetILNS1_3genE5ELNS1_11target_archE942ELNS1_3gpuE9ELNS1_3repE0EEENS1_30default_config_static_selectorELNS0_4arch9wavefront6targetE1EEEvSK_
	.globl	_ZN7rocprim17ROCPRIM_400000_NS6detail17trampoline_kernelINS0_14default_configENS1_37merge_sort_block_sort_config_selectorIaNS0_10empty_typeEEEZNS1_21merge_sort_block_sortIS3_N6thrust23THRUST_200600_302600_NS6detail15normal_iteratorINS9_10device_ptrIaEEEESE_PS5_SF_14custom_greaterIaEEE10hipError_tT0_T1_T2_T3_mRjT4_P12ihipStream_tbNS1_7vsmem_tEEUlT_E_NS1_11comp_targetILNS1_3genE5ELNS1_11target_archE942ELNS1_3gpuE9ELNS1_3repE0EEENS1_30default_config_static_selectorELNS0_4arch9wavefront6targetE1EEEvSK_
	.p2align	8
	.type	_ZN7rocprim17ROCPRIM_400000_NS6detail17trampoline_kernelINS0_14default_configENS1_37merge_sort_block_sort_config_selectorIaNS0_10empty_typeEEEZNS1_21merge_sort_block_sortIS3_N6thrust23THRUST_200600_302600_NS6detail15normal_iteratorINS9_10device_ptrIaEEEESE_PS5_SF_14custom_greaterIaEEE10hipError_tT0_T1_T2_T3_mRjT4_P12ihipStream_tbNS1_7vsmem_tEEUlT_E_NS1_11comp_targetILNS1_3genE5ELNS1_11target_archE942ELNS1_3gpuE9ELNS1_3repE0EEENS1_30default_config_static_selectorELNS0_4arch9wavefront6targetE1EEEvSK_,@function
_ZN7rocprim17ROCPRIM_400000_NS6detail17trampoline_kernelINS0_14default_configENS1_37merge_sort_block_sort_config_selectorIaNS0_10empty_typeEEEZNS1_21merge_sort_block_sortIS3_N6thrust23THRUST_200600_302600_NS6detail15normal_iteratorINS9_10device_ptrIaEEEESE_PS5_SF_14custom_greaterIaEEE10hipError_tT0_T1_T2_T3_mRjT4_P12ihipStream_tbNS1_7vsmem_tEEUlT_E_NS1_11comp_targetILNS1_3genE5ELNS1_11target_archE942ELNS1_3gpuE9ELNS1_3repE0EEENS1_30default_config_static_selectorELNS0_4arch9wavefront6targetE1EEEvSK_: ; @_ZN7rocprim17ROCPRIM_400000_NS6detail17trampoline_kernelINS0_14default_configENS1_37merge_sort_block_sort_config_selectorIaNS0_10empty_typeEEEZNS1_21merge_sort_block_sortIS3_N6thrust23THRUST_200600_302600_NS6detail15normal_iteratorINS9_10device_ptrIaEEEESE_PS5_SF_14custom_greaterIaEEE10hipError_tT0_T1_T2_T3_mRjT4_P12ihipStream_tbNS1_7vsmem_tEEUlT_E_NS1_11comp_targetILNS1_3genE5ELNS1_11target_archE942ELNS1_3gpuE9ELNS1_3repE0EEENS1_30default_config_static_selectorELNS0_4arch9wavefront6targetE1EEEvSK_
; %bb.0:
	.section	.rodata,"a",@progbits
	.p2align	6, 0x0
	.amdhsa_kernel _ZN7rocprim17ROCPRIM_400000_NS6detail17trampoline_kernelINS0_14default_configENS1_37merge_sort_block_sort_config_selectorIaNS0_10empty_typeEEEZNS1_21merge_sort_block_sortIS3_N6thrust23THRUST_200600_302600_NS6detail15normal_iteratorINS9_10device_ptrIaEEEESE_PS5_SF_14custom_greaterIaEEE10hipError_tT0_T1_T2_T3_mRjT4_P12ihipStream_tbNS1_7vsmem_tEEUlT_E_NS1_11comp_targetILNS1_3genE5ELNS1_11target_archE942ELNS1_3gpuE9ELNS1_3repE0EEENS1_30default_config_static_selectorELNS0_4arch9wavefront6targetE1EEEvSK_
		.amdhsa_group_segment_fixed_size 0
		.amdhsa_private_segment_fixed_size 0
		.amdhsa_kernarg_size 64
		.amdhsa_user_sgpr_count 6
		.amdhsa_user_sgpr_private_segment_buffer 1
		.amdhsa_user_sgpr_dispatch_ptr 0
		.amdhsa_user_sgpr_queue_ptr 0
		.amdhsa_user_sgpr_kernarg_segment_ptr 1
		.amdhsa_user_sgpr_dispatch_id 0
		.amdhsa_user_sgpr_flat_scratch_init 0
		.amdhsa_user_sgpr_kernarg_preload_length 0
		.amdhsa_user_sgpr_kernarg_preload_offset 0
		.amdhsa_user_sgpr_private_segment_size 0
		.amdhsa_uses_dynamic_stack 0
		.amdhsa_system_sgpr_private_segment_wavefront_offset 0
		.amdhsa_system_sgpr_workgroup_id_x 1
		.amdhsa_system_sgpr_workgroup_id_y 0
		.amdhsa_system_sgpr_workgroup_id_z 0
		.amdhsa_system_sgpr_workgroup_info 0
		.amdhsa_system_vgpr_workitem_id 0
		.amdhsa_next_free_vgpr 1
		.amdhsa_next_free_sgpr 0
		.amdhsa_accum_offset 4
		.amdhsa_reserve_vcc 0
		.amdhsa_reserve_flat_scratch 0
		.amdhsa_float_round_mode_32 0
		.amdhsa_float_round_mode_16_64 0
		.amdhsa_float_denorm_mode_32 3
		.amdhsa_float_denorm_mode_16_64 3
		.amdhsa_dx10_clamp 1
		.amdhsa_ieee_mode 1
		.amdhsa_fp16_overflow 0
		.amdhsa_tg_split 0
		.amdhsa_exception_fp_ieee_invalid_op 0
		.amdhsa_exception_fp_denorm_src 0
		.amdhsa_exception_fp_ieee_div_zero 0
		.amdhsa_exception_fp_ieee_overflow 0
		.amdhsa_exception_fp_ieee_underflow 0
		.amdhsa_exception_fp_ieee_inexact 0
		.amdhsa_exception_int_div_zero 0
	.end_amdhsa_kernel
	.section	.text._ZN7rocprim17ROCPRIM_400000_NS6detail17trampoline_kernelINS0_14default_configENS1_37merge_sort_block_sort_config_selectorIaNS0_10empty_typeEEEZNS1_21merge_sort_block_sortIS3_N6thrust23THRUST_200600_302600_NS6detail15normal_iteratorINS9_10device_ptrIaEEEESE_PS5_SF_14custom_greaterIaEEE10hipError_tT0_T1_T2_T3_mRjT4_P12ihipStream_tbNS1_7vsmem_tEEUlT_E_NS1_11comp_targetILNS1_3genE5ELNS1_11target_archE942ELNS1_3gpuE9ELNS1_3repE0EEENS1_30default_config_static_selectorELNS0_4arch9wavefront6targetE1EEEvSK_,"axG",@progbits,_ZN7rocprim17ROCPRIM_400000_NS6detail17trampoline_kernelINS0_14default_configENS1_37merge_sort_block_sort_config_selectorIaNS0_10empty_typeEEEZNS1_21merge_sort_block_sortIS3_N6thrust23THRUST_200600_302600_NS6detail15normal_iteratorINS9_10device_ptrIaEEEESE_PS5_SF_14custom_greaterIaEEE10hipError_tT0_T1_T2_T3_mRjT4_P12ihipStream_tbNS1_7vsmem_tEEUlT_E_NS1_11comp_targetILNS1_3genE5ELNS1_11target_archE942ELNS1_3gpuE9ELNS1_3repE0EEENS1_30default_config_static_selectorELNS0_4arch9wavefront6targetE1EEEvSK_,comdat
.Lfunc_end2776:
	.size	_ZN7rocprim17ROCPRIM_400000_NS6detail17trampoline_kernelINS0_14default_configENS1_37merge_sort_block_sort_config_selectorIaNS0_10empty_typeEEEZNS1_21merge_sort_block_sortIS3_N6thrust23THRUST_200600_302600_NS6detail15normal_iteratorINS9_10device_ptrIaEEEESE_PS5_SF_14custom_greaterIaEEE10hipError_tT0_T1_T2_T3_mRjT4_P12ihipStream_tbNS1_7vsmem_tEEUlT_E_NS1_11comp_targetILNS1_3genE5ELNS1_11target_archE942ELNS1_3gpuE9ELNS1_3repE0EEENS1_30default_config_static_selectorELNS0_4arch9wavefront6targetE1EEEvSK_, .Lfunc_end2776-_ZN7rocprim17ROCPRIM_400000_NS6detail17trampoline_kernelINS0_14default_configENS1_37merge_sort_block_sort_config_selectorIaNS0_10empty_typeEEEZNS1_21merge_sort_block_sortIS3_N6thrust23THRUST_200600_302600_NS6detail15normal_iteratorINS9_10device_ptrIaEEEESE_PS5_SF_14custom_greaterIaEEE10hipError_tT0_T1_T2_T3_mRjT4_P12ihipStream_tbNS1_7vsmem_tEEUlT_E_NS1_11comp_targetILNS1_3genE5ELNS1_11target_archE942ELNS1_3gpuE9ELNS1_3repE0EEENS1_30default_config_static_selectorELNS0_4arch9wavefront6targetE1EEEvSK_
                                        ; -- End function
	.section	.AMDGPU.csdata,"",@progbits
; Kernel info:
; codeLenInByte = 0
; NumSgprs: 4
; NumVgprs: 0
; NumAgprs: 0
; TotalNumVgprs: 0
; ScratchSize: 0
; MemoryBound: 0
; FloatMode: 240
; IeeeMode: 1
; LDSByteSize: 0 bytes/workgroup (compile time only)
; SGPRBlocks: 0
; VGPRBlocks: 0
; NumSGPRsForWavesPerEU: 4
; NumVGPRsForWavesPerEU: 1
; AccumOffset: 4
; Occupancy: 8
; WaveLimiterHint : 0
; COMPUTE_PGM_RSRC2:SCRATCH_EN: 0
; COMPUTE_PGM_RSRC2:USER_SGPR: 6
; COMPUTE_PGM_RSRC2:TRAP_HANDLER: 0
; COMPUTE_PGM_RSRC2:TGID_X_EN: 1
; COMPUTE_PGM_RSRC2:TGID_Y_EN: 0
; COMPUTE_PGM_RSRC2:TGID_Z_EN: 0
; COMPUTE_PGM_RSRC2:TIDIG_COMP_CNT: 0
; COMPUTE_PGM_RSRC3_GFX90A:ACCUM_OFFSET: 0
; COMPUTE_PGM_RSRC3_GFX90A:TG_SPLIT: 0
	.text
	.p2align	2                               ; -- Begin function _ZN7rocprim17ROCPRIM_400000_NS6detail15block_sort_implIaNS0_10empty_typeELj256ELj32ELNS0_4arch9wavefront6targetE1EvE4sortIN6thrust23THRUST_200600_302600_NS6detail15normal_iteratorINSA_10device_ptrIaEEEESF_PS3_SG_14custom_greaterIaEEEvjbT_T0_T1_T2_T3_RNS7_12storage_typeE
	.type	_ZN7rocprim17ROCPRIM_400000_NS6detail15block_sort_implIaNS0_10empty_typeELj256ELj32ELNS0_4arch9wavefront6targetE1EvE4sortIN6thrust23THRUST_200600_302600_NS6detail15normal_iteratorINSA_10device_ptrIaEEEESF_PS3_SG_14custom_greaterIaEEEvjbT_T0_T1_T2_T3_RNS7_12storage_typeE,@function
_ZN7rocprim17ROCPRIM_400000_NS6detail15block_sort_implIaNS0_10empty_typeELj256ELj32ELNS0_4arch9wavefront6targetE1EvE4sortIN6thrust23THRUST_200600_302600_NS6detail15normal_iteratorINSA_10device_ptrIaEEEESF_PS3_SG_14custom_greaterIaEEEvjbT_T0_T1_T2_T3_RNS7_12storage_typeE: ; @_ZN7rocprim17ROCPRIM_400000_NS6detail15block_sort_implIaNS0_10empty_typeELj256ELj32ELNS0_4arch9wavefront6targetE1EvE4sortIN6thrust23THRUST_200600_302600_NS6detail15normal_iteratorINSA_10device_ptrIaEEEESF_PS3_SG_14custom_greaterIaEEEvjbT_T0_T1_T2_T3_RNS7_12storage_typeE
; %bb.0:
	s_waitcnt vmcnt(0) expcnt(0) lgkmcnt(0)
	s_or_saveexec_b64 s[4:5], -1
	buffer_store_dword v40, off, s[0:3], s32 ; 4-byte Folded Spill
	buffer_store_dword v41, off, s[0:3], s32 offset:4 ; 4-byte Folded Spill
	buffer_store_dword v42, off, s[0:3], s32 offset:8 ; 4-byte Folded Spill
	s_mov_b64 exec, s[4:5]
	v_writelane_b32 v40, s34, 0
	v_writelane_b32 v40, s35, 1
	;; [unrolled: 1-line block ×68, first 2 shown]
	v_and_b32_e32 v1, 1, v1
	v_cmp_eq_u32_e32 vcc, 1, v1
	v_and_b32_e32 v6, 0x3ff, v31
	s_xor_b64 s[4:5], vcc, -1
	s_mov_b64 s[36:37], 0
	v_bfe_u32 v81, v31, 10, 10
	v_bfe_u32 v65, v31, 20, 10
	v_lshrrev_b32_e32 v1, 5, v6
	v_lshlrev_b32_e32 v7, 5, v6
                                        ; implicit-def: $vgpr10
	s_and_saveexec_b64 s[6:7], s[4:5]
	s_xor_b64 s[58:59], exec, s[6:7]
                                        ; implicit-def: $vgpr8_vgpr9
	s_cbranch_execnz .LBB2777_5
; %bb.1:
	s_andn2_saveexec_b64 s[38:39], s[58:59]
	s_cbranch_execnz .LBB2777_61
.LBB2777_2:
	s_or_b64 exec, exec, s[38:39]
	s_and_saveexec_b64 s[4:5], s[36:37]
	s_cbranch_execz .LBB2777_4
.LBB2777_3:
	v_add_co_u32_e32 v0, vcc, v4, v6
	v_addc_co_u32_e32 v1, vcc, v5, v9, vcc
	v_add_co_u32_e32 v0, vcc, 0x1000, v0
	v_addc_co_u32_e32 v1, vcc, 0, v1, vcc
	s_waitcnt lgkmcnt(0)
	flat_store_byte v[0:1], v10 offset:3840
.LBB2777_4:
	s_or_b64 exec, exec, s[4:5]
	v_readlane_b32 s30, v41, 2
	v_readlane_b32 s31, v41, 3
	;; [unrolled: 1-line block ×68, first 2 shown]
	s_or_saveexec_b64 s[4:5], -1
	buffer_load_dword v40, off, s[0:3], s32 ; 4-byte Folded Reload
	buffer_load_dword v41, off, s[0:3], s32 offset:4 ; 4-byte Folded Reload
	buffer_load_dword v42, off, s[0:3], s32 offset:8 ; 4-byte Folded Reload
	s_mov_b64 exec, s[4:5]
	s_waitcnt vmcnt(0) lgkmcnt(0)
	s_setpc_b64 s[30:31]
.LBB2777_5:
	v_add_co_u32_e32 v2, vcc, v2, v6
	v_addc_co_u32_e32 v3, vcc, 0, v3, vcc
	flat_load_ubyte v9, v[2:3]
	flat_load_ubyte v10, v[2:3] offset:256
	flat_load_ubyte v11, v[2:3] offset:512
	;; [unrolled: 1-line block ×15, first 2 shown]
	s_movk_i32 s4, 0x1000
	v_add_co_u32_e32 v0, vcc, s4, v2
	v_and_b32_e32 v8, 28, v1
	v_addc_co_u32_e32 v1, vcc, 0, v3, vcc
	flat_load_ubyte v33, v[0:1]
	flat_load_ubyte v34, v[0:1] offset:256
	flat_load_ubyte v35, v[0:1] offset:512
	;; [unrolled: 1-line block ×14, first 2 shown]
	s_nop 0
	flat_load_ubyte v0, v[0:1] offset:3840
	v_add_u32_e32 v14, 0x100, v6
	v_add_u32_e32 v15, 0x200, v6
	;; [unrolled: 1-line block ×3, first 2 shown]
	v_lshrrev_b32_e32 v2, 5, v14
	v_lshrrev_b32_e32 v3, 5, v15
	;; [unrolled: 1-line block ×3, first 2 shown]
	v_and_b32_e32 v1, 60, v2
	v_or_b32_e32 v17, 0x400, v6
	v_add_u32_e32 v18, 0x500, v6
	v_add_u32_e32 v19, 0x600, v6
	;; [unrolled: 1-line block ×3, first 2 shown]
	v_and_b32_e32 v2, 60, v3
	v_and_b32_e32 v3, 60, v14
	v_add_u32_e32 v14, v1, v6
	v_add_u32_e32 v1, 0x900, v6
	v_or_b32_e32 v29, 0x800, v6
	v_lshrrev_b32_e32 v15, 5, v17
	v_lshrrev_b32_e32 v16, 5, v18
	;; [unrolled: 1-line block ×5, first 2 shown]
	v_add_u32_e32 v8, v8, v6
	v_lshrrev_b32_e32 v19, 5, v29
	v_and_b32_e32 v20, 60, v15
	v_and_b32_e32 v29, 0x7c, v16
	;; [unrolled: 1-line block ×6, first 2 shown]
	v_add_u32_e32 v15, v2, v6
	v_add_u32_e32 v16, v3, v6
	;; [unrolled: 1-line block ×6, first 2 shown]
	s_waitcnt vmcnt(0) lgkmcnt(0)
	ds_write_b8 v8, v9
	ds_write_b8 v14, v10 offset:256
	ds_write_b8 v15, v11 offset:512
	;; [unrolled: 1-line block ×7, first 2 shown]
	v_add_u32_e32 v22, v1, v6
	v_add_u32_e32 v1, 0xa00, v6
	v_lshrrev_b32_e32 v1, 5, v1
	v_and_b32_e32 v1, 0x7c, v1
	v_add_u32_e32 v23, v1, v6
	v_add_u32_e32 v1, 0xb00, v6
	v_lshrrev_b32_e32 v1, 5, v1
	v_add_u32_e32 v21, v67, v6
	v_and_b32_e32 v1, 0x7c, v1
	ds_write_b8 v21, v24 offset:2048
	v_add_u32_e32 v24, v1, v6
	v_or_b32_e32 v1, 0xc00, v6
	v_lshrrev_b32_e32 v1, 5, v1
	v_and_b32_e32 v1, 0x7c, v1
	ds_write_b8 v22, v25 offset:2304
	v_add_u32_e32 v25, v1, v6
	v_add_u32_e32 v1, 0xd00, v6
	v_lshrrev_b32_e32 v1, 5, v1
	v_and_b32_e32 v1, 0xfc, v1
	ds_write_b8 v23, v26 offset:2560
	v_add_u32_e32 v26, v1, v6
	v_add_u32_e32 v1, 0xe00, v6
	;; [unrolled: 5-line block ×3, first 2 shown]
	v_lshrrev_b32_e32 v1, 5, v1
	v_and_b32_e32 v1, 0xfc, v1
	ds_write_b8 v25, v28 offset:3072
	v_add_u32_e32 v28, v1, v6
	v_or_b32_e32 v1, 0x1000, v6
	v_lshrrev_b32_e32 v1, 5, v1
	v_and_b32_e32 v1, 0x9c, v1
	v_add_u32_e32 v29, v1, v6
	v_add_u32_e32 v1, 0x1100, v6
	v_lshrrev_b32_e32 v1, 5, v1
	v_and_b32_e32 v1, 0xbc, v1
	ds_write_b8 v26, v30 offset:3328
	v_add_u32_e32 v30, v1, v6
	v_add_u32_e32 v1, 0x1200, v6
	v_lshrrev_b32_e32 v1, 5, v1
	v_and_b32_e32 v1, 0xbc, v1
	ds_write_b8 v27, v31 offset:3584
	v_add_u32_e32 v31, v1, v6
	v_add_u32_e32 v1, 0x1300, v6
	v_lshrrev_b32_e32 v1, 5, v1
	v_and_b32_e32 v1, 0xbc, v1
	ds_write_b8 v28, v32 offset:3840
	v_add_u32_e32 v32, v1, v6
	v_or_b32_e32 v1, 0x1400, v6
	v_lshrrev_b32_e32 v1, 5, v1
	v_and_b32_e32 v1, 0xbc, v1
	ds_write_b8 v29, v33 offset:4096
	v_add_u32_e32 v33, v1, v6
	v_add_u32_e32 v1, 0x1500, v6
	v_lshrrev_b32_e32 v1, 5, v1
	v_and_b32_e32 v1, 0xfc, v1
	ds_write_b8 v30, v34 offset:4352
	v_add_u32_e32 v34, v1, v6
	v_add_u32_e32 v1, 0x1600, v6
	v_lshrrev_b32_e32 v1, 5, v1
	v_and_b32_e32 v1, 0xfc, v1
	ds_write_b8 v31, v35 offset:4608
	v_add_u32_e32 v35, v1, v6
	v_add_u32_e32 v1, 0x1700, v6
	v_lshrrev_b32_e32 v1, 5, v1
	v_and_b32_e32 v1, 0xfc, v1
	ds_write_b8 v32, v36 offset:4864
	v_add_u32_e32 v36, v1, v6
	v_or_b32_e32 v1, 0x1800, v6
	v_lshrrev_b32_e32 v1, 5, v1
	v_and_b32_e32 v1, 0xdc, v1
	ds_write_b8 v33, v37 offset:5120
	;; [unrolled: 20-line block ×3, first 2 shown]
	v_add_u32_e32 v49, v1, v6
	v_add_u32_e32 v1, 0x1d00, v6
	v_lshrrev_b32_e32 v1, 5, v1
	v_and_b32_e32 v1, 0x1fc, v1
	ds_write_b8 v38, v50 offset:6400
	v_add_u32_e32 v50, v1, v6
	v_add_u32_e32 v1, 0x1e00, v6
	v_lshrrev_b32_e32 v1, 5, v1
	v_and_b32_e32 v1, 0x1fc, v1
	ds_write_b8 v39, v51 offset:6656
	;; [unrolled: 5-line block ×3, first 2 shown]
	v_add_u32_e32 v52, v1, v6
	ds_write_b8 v50, v54 offset:7424
	ds_write_b8 v51, v55 offset:7680
	;; [unrolled: 1-line block ×3, first 2 shown]
	v_and_b32_e32 v0, 0x3fc, v6
	ds_write_b8 v49, v53 offset:7168
	v_add_u32_e32 v53, v0, v7
	s_waitcnt lgkmcnt(0)
	s_barrier
	ds_read2_b32 v[0:1], v53 offset1:1
	ds_read2_b32 v[2:3], v53 offset0:2 offset1:3
	ds_read2_b32 v[10:11], v53 offset0:4 offset1:5
	ds_read2_b32 v[12:13], v53 offset0:6 offset1:7
	s_waitcnt lgkmcnt(0)
	s_barrier
	s_load_dwordx2 s[4:5], s[8:9], 0x0
	v_mov_b32_e32 v9, 0
	v_lshrrev_b32_e32 v54, 8, v0
	v_lshrrev_b32_e32 v55, 16, v0
	;; [unrolled: 1-line block ×3, first 2 shown]
	s_waitcnt lgkmcnt(0)
	s_cmp_lt_u32 s12, s4
	s_cselect_b32 s6, 12, 18
	s_cmp_lt_u32 s13, s5
	s_cselect_b32 s4, 14, 20
	s_add_u32 s4, s8, s4
	s_addc_u32 s5, s9, 0
	s_add_u32 s6, s8, s6
	s_addc_u32 s7, s9, 0
	global_load_ushort v82, v9, s[4:5]
	global_load_ushort v84, v9, s[6:7]
	s_movk_i32 s6, 0x2000
	v_lshrrev_b32_e32 v66, 8, v1
	v_lshrrev_b32_e32 v67, 16, v1
	;; [unrolled: 1-line block ×21, first 2 shown]
	s_waitcnt vmcnt(1)
	v_mad_u32_u24 v65, v65, v82, v81
	s_waitcnt vmcnt(0)
	v_mul_lo_u32 v65, v65, v84
	v_add_lshl_u32 v65, v65, v6, 5
	v_cmp_gt_u32_e32 vcc, s6, v65
	s_and_saveexec_b64 s[4:5], vcc
	s_cbranch_execz .LBB2777_7
; %bb.6:
	v_max_i16_sdwa v81, sext(v0), sext(v54) dst_sel:DWORD dst_unused:UNUSED_PAD src0_sel:BYTE_0 src1_sel:BYTE_0
	v_min_i16_sdwa v0, sext(v0), sext(v54) dst_sel:DWORD dst_unused:UNUSED_PAD src0_sel:BYTE_0 src1_sel:BYTE_0
	v_max_i16_sdwa v54, sext(v55), sext(v64) dst_sel:DWORD dst_unused:UNUSED_PAD src0_sel:BYTE_0 src1_sel:BYTE_0
	v_min_i16_sdwa v55, sext(v55), sext(v64) dst_sel:DWORD dst_unused:UNUSED_PAD src0_sel:BYTE_0 src1_sel:BYTE_0
	;; [unrolled: 2-line block ×9, first 2 shown]
	v_min_i16_sdwa v85, sext(v87), sext(v96) dst_sel:DWORD dst_unused:UNUSED_PAD src0_sel:BYTE_0 src1_sel:BYTE_0
	v_max_i16_sdwa v84, sext(v87), sext(v96) dst_sel:DWORD dst_unused:UNUSED_PAD src0_sel:BYTE_0 src1_sel:BYTE_0
	v_max_i16_sdwa v86, sext(v11), sext(v97) dst_sel:DWORD dst_unused:UNUSED_PAD src0_sel:BYTE_0 src1_sel:BYTE_0
	v_min_i16_sdwa v11, sext(v11), sext(v97) dst_sel:DWORD dst_unused:UNUSED_PAD src0_sel:BYTE_0 src1_sel:BYTE_0
	v_max_i16_sdwa v87, sext(v98), sext(v99) dst_sel:DWORD dst_unused:UNUSED_PAD src0_sel:BYTE_0 src1_sel:BYTE_0
	v_min_i16_sdwa v96, sext(v98), sext(v99) dst_sel:DWORD dst_unused:UNUSED_PAD src0_sel:BYTE_0 src1_sel:BYTE_0
	;; [unrolled: 2-line block ×3, first 2 shown]
	v_min_i16_sdwa v98, sext(v101), sext(v102) dst_sel:DWORD dst_unused:UNUSED_PAD src0_sel:BYTE_0 src1_sel:BYTE_0
	v_max_i16_sdwa v99, sext(v101), sext(v102) dst_sel:DWORD dst_unused:UNUSED_PAD src0_sel:BYTE_0 src1_sel:BYTE_0
	v_min_i16_sdwa v100, sext(v13), sext(v103) dst_sel:DWORD dst_unused:UNUSED_PAD src0_sel:BYTE_0 src1_sel:BYTE_0
	v_max_i16_sdwa v13, sext(v13), sext(v103) dst_sel:DWORD dst_unused:UNUSED_PAD src0_sel:BYTE_0 src1_sel:BYTE_0
	;; [unrolled: 2-line block ×3, first 2 shown]
	v_max_i16_e32 v103, v81, v55
	v_min_i16_e32 v81, v81, v55
	v_max_i16_e32 v112, v54, v1
	v_min_i16_e32 v1, v54, v1
	;; [unrolled: 2-line block ×9, first 2 shown]
	v_cmp_lt_i16_e32 vcc, v55, v0
	v_max_i16_e32 v85, v84, v11
	v_min_i16_e32 v11, v84, v11
	v_max_i16_e32 v84, v86, v96
	v_min_i16_e32 v86, v86, v96
	;; [unrolled: 2-line block ×3, first 2 shown]
	v_min_i16_e32 v87, v97, v98
	v_max_i16_e32 v97, v97, v98
	v_min_i16_e32 v98, v99, v100
	v_max_i16_e32 v99, v99, v100
	;; [unrolled: 2-line block ×3, first 2 shown]
	v_cndmask_b32_e32 v55, v81, v0, vcc
	v_cndmask_b32_e32 v0, v0, v81, vcc
	v_max_i16_e32 v81, v103, v1
	v_min_i16_e32 v1, v103, v1
	v_max_i16_e32 v103, v112, v64
	v_min_i16_e32 v64, v112, v64
	;; [unrolled: 2-line block ×8, first 2 shown]
	v_cmp_gt_i16_e32 vcc, v13, v102
	v_max_i16_e32 v83, v80, v11
	v_min_i16_e32 v11, v80, v11
	v_max_i16_e32 v80, v85, v86
	v_min_i16_e32 v85, v85, v86
	;; [unrolled: 2-line block ×4, first 2 shown]
	v_min_i16_e32 v96, v97, v98
	v_max_i16_e32 v97, v97, v98
	v_min_i16_e32 v98, v99, v100
	v_max_i16_e32 v99, v99, v100
	v_cndmask_b32_e32 v13, v101, v102, vcc
	v_cndmask_b32_e32 v100, v102, v101, vcc
	v_max_i16_e32 v101, v55, v1
	v_min_i16_e32 v1, v55, v1
	v_max_i16_e32 v55, v81, v64
	v_min_i16_e32 v64, v81, v64
	;; [unrolled: 2-line block ×12, first 2 shown]
	v_min_i16_e32 v87, v84, v96
	v_max_i16_e32 v84, v84, v96
	v_min_i16_e32 v96, v97, v98
	v_max_i16_e32 v97, v97, v98
	;; [unrolled: 2-line block ×3, first 2 shown]
	v_max_i16_e32 v99, v0, v1
	v_max_i16_e32 v113, v101, v64
	v_min_i16_e32 v64, v101, v64
	v_max_i16_e32 v101, v55, v2
	v_min_i16_e32 v2, v55, v2
	;; [unrolled: 2-line block ×7, first 2 shown]
	v_min_i16_e32 v112, v0, v1
	v_max_i16_e32 v71, v66, v11
	v_min_i16_e32 v11, v66, v11
	v_max_i16_e32 v66, v82, v83
	;; [unrolled: 2-line block ×5, first 2 shown]
	v_min_i16_e32 v80, v80, v87
	v_min_i16_e32 v87, v84, v96
	v_max_i16_e32 v84, v84, v96
	v_min_i16_e32 v96, v97, v98
	v_max_i16_e32 v97, v97, v98
	;; [unrolled: 2-line block ×10, first 2 shown]
	v_max_i16_e32 v103, v54, v11
	v_min_i16_e32 v11, v54, v11
	v_max_i16_e32 v54, v71, v82
	v_min_i16_e32 v71, v71, v82
	;; [unrolled: 2-line block ×5, first 2 shown]
	v_min_i16_e32 v80, v86, v87
	v_max_i16_e32 v86, v86, v87
	v_min_i16_e32 v87, v84, v96
	v_max_i16_e32 v84, v84, v96
	;; [unrolled: 2-line block ×3, first 2 shown]
	v_med3_i16 v0, v0, v1, v64
	v_min_i16_e32 v1, v112, v99
	v_max_i16_e32 v64, v115, v2
	v_min_i16_e32 v2, v115, v2
	v_max_i16_e32 v99, v116, v67
	;; [unrolled: 2-line block ×12, first 2 shown]
	v_min_i16_e32 v80, v85, v80
	v_min_i16_e32 v85, v86, v87
	v_max_i16_e32 v86, v86, v87
	v_min_i16_e32 v87, v84, v96
	v_max_i16_e32 v84, v84, v96
	v_med3_i16 v13, v13, v100, v97
	v_max_i16_e32 v96, v98, v114
	v_max_i16_e32 v97, v0, v2
	v_min_i16_e32 v0, v0, v2
	v_max_i16_e32 v98, v64, v67
	v_min_i16_e32 v64, v64, v67
	;; [unrolled: 2-line block ×6, first 2 shown]
	v_cmp_lt_i16_e32 vcc, v2, v1
	v_max_i16_e32 v101, v55, v11
	v_min_i16_e32 v11, v55, v11
	v_max_i16_e32 v55, v81, v71
	v_min_i16_e32 v71, v81, v71
	;; [unrolled: 2-line block ×6, first 2 shown]
	v_min_i16_e32 v83, v69, v85
	v_max_i16_e32 v69, v69, v85
	v_min_i16_e32 v85, v86, v87
	v_max_i16_e32 v86, v86, v87
	;; [unrolled: 2-line block ×3, first 2 shown]
	v_cndmask_b32_e32 v2, v0, v1, vcc
	v_cndmask_b32_e32 v0, v1, v0, vcc
	v_max_i16_e32 v1, v97, v64
	v_min_i16_e32 v64, v97, v64
	v_max_i16_e32 v97, v98, v3
	v_min_i16_e32 v3, v98, v3
	;; [unrolled: 2-line block ×5, first 2 shown]
	v_cmp_gt_i16_e32 vcc, v84, v96
	v_max_i16_e32 v100, v112, v11
	v_min_i16_e32 v11, v112, v11
	v_max_i16_e32 v112, v101, v71
	v_min_i16_e32 v71, v101, v71
	;; [unrolled: 2-line block ×7, first 2 shown]
	v_min_i16_e32 v83, v69, v85
	v_max_i16_e32 v69, v69, v85
	v_min_i16_e32 v85, v86, v87
	v_max_i16_e32 v86, v86, v87
	v_cndmask_b32_e32 v84, v13, v96, vcc
	v_cndmask_b32_e32 v13, v96, v13, vcc
	v_max_i16_e32 v87, v2, v64
	v_min_i16_e32 v2, v2, v64
	v_max_i16_e32 v64, v1, v3
	v_min_i16_e32 v1, v1, v3
	;; [unrolled: 2-line block ×12, first 2 shown]
	v_min_i16_e32 v102, v103, v83
	v_max_i16_e32 v83, v103, v83
	v_min_i16_e32 v103, v69, v85
	v_max_i16_e32 v69, v69, v85
	;; [unrolled: 2-line block ×3, first 2 shown]
	v_max_i16_e32 v86, v0, v2
	v_min_i16_e32 v0, v0, v2
	v_max_i16_e32 v2, v87, v1
	v_min_i16_e32 v1, v87, v1
	;; [unrolled: 2-line block ×13, first 2 shown]
	v_min_i16_e32 v102, v83, v103
	v_max_i16_e32 v83, v83, v103
	v_min_i16_e32 v103, v69, v85
	v_max_i16_e32 v69, v69, v85
	;; [unrolled: 2-line block ×3, first 2 shown]
	v_max_i16_e32 v84, v86, v1
	v_min_i16_e32 v86, v86, v1
	v_max_i16_e32 v112, v2, v64
	v_min_i16_e32 v2, v2, v64
	v_max_i16_e32 v64, v87, v3
	v_min_i16_e32 v3, v87, v3
	v_max_i16_e32 v87, v67, v68
	v_min_i16_e32 v67, v67, v68
	v_cmp_lt_i16_e32 vcc, v1, v0
	v_max_i16_e32 v68, v10, v11
	v_min_i16_e32 v10, v10, v11
	v_max_i16_e32 v11, v96, v70
	v_min_i16_e32 v70, v96, v70
	v_max_i16_e32 v96, v97, v12
	v_min_i16_e32 v12, v97, v12
	v_max_i16_e32 v97, v71, v81
	v_min_i16_e32 v71, v71, v81
	v_max_i16_e32 v81, v98, v54
	v_min_i16_e32 v54, v98, v54
	v_max_i16_e32 v98, v99, v80
	v_min_i16_e32 v80, v99, v80
	v_max_i16_e32 v99, v100, v55
	v_min_i16_e32 v55, v100, v55
	v_max_i16_e32 v100, v101, v82
	v_min_i16_e32 v82, v101, v82
	v_min_i16_e32 v101, v66, v102
	v_max_i16_e32 v66, v66, v102
	v_min_i16_e32 v102, v83, v103
	v_max_i16_e32 v83, v83, v103
	;; [unrolled: 2-line block ×3, first 2 shown]
	v_cndmask_b32_e32 v1, v86, v0, vcc
	v_cndmask_b32_e32 v0, v0, v86, vcc
	v_max_i16_e32 v86, v84, v2
	v_min_i16_e32 v2, v84, v2
	v_max_i16_e32 v84, v112, v3
	v_min_i16_e32 v3, v112, v3
	;; [unrolled: 2-line block ×3, first 2 shown]
	v_cmp_gt_i16_e32 vcc, v69, v13
	v_max_i16_e32 v67, v87, v10
	v_min_i16_e32 v10, v87, v10
	v_max_i16_e32 v87, v68, v70
	v_min_i16_e32 v68, v68, v70
	v_max_i16_e32 v70, v11, v12
	v_min_i16_e32 v11, v11, v12
	v_max_i16_e32 v12, v96, v71
	v_min_i16_e32 v71, v96, v71
	v_max_i16_e32 v96, v97, v54
	v_min_i16_e32 v54, v97, v54
	v_max_i16_e32 v97, v81, v80
	v_min_i16_e32 v80, v81, v80
	v_max_i16_e32 v81, v98, v55
	v_min_i16_e32 v55, v98, v55
	v_max_i16_e32 v98, v99, v82
	v_min_i16_e32 v82, v99, v82
	v_max_i16_e32 v99, v100, v101
	v_min_i16_e32 v100, v100, v101
	v_min_i16_e32 v101, v66, v102
	v_max_i16_e32 v66, v66, v102
	v_min_i16_e32 v102, v83, v103
	v_max_i16_e32 v83, v83, v103
	v_cndmask_b32_e32 v69, v85, v13, vcc
	v_cndmask_b32_e32 v13, v13, v85, vcc
	v_max_i16_e32 v85, v1, v2
	v_min_i16_e32 v1, v1, v2
	v_max_i16_e32 v2, v86, v3
	v_min_i16_e32 v3, v86, v3
	v_max_i16_e32 v86, v84, v64
	v_min_i16_e32 v64, v84, v64
	v_max_i16_e32 v84, v112, v10
	v_min_i16_e32 v10, v112, v10
	v_max_i16_e32 v103, v67, v68
	v_min_i16_e32 v67, v67, v68
	v_max_i16_e32 v68, v87, v11
	v_min_i16_e32 v11, v87, v11
	v_max_i16_e32 v87, v70, v71
	v_min_i16_e32 v70, v70, v71
	v_max_i16_e32 v71, v12, v54
	v_min_i16_e32 v12, v12, v54
	v_max_i16_e32 v54, v96, v80
	v_min_i16_e32 v80, v96, v80
	v_max_i16_e32 v96, v97, v55
	v_min_i16_e32 v55, v97, v55
	v_max_i16_e32 v97, v81, v82
	v_min_i16_e32 v81, v81, v82
	v_max_i16_e32 v82, v98, v100
	v_min_i16_e32 v98, v98, v100
	v_min_i16_e32 v100, v99, v101
	v_max_i16_e32 v99, v99, v101
	v_min_i16_e32 v101, v66, v102
	v_max_i16_e32 v66, v66, v102
	;; [unrolled: 2-line block ×3, first 2 shown]
	v_max_i16_e32 v83, v0, v1
	v_min_i16_e32 v0, v0, v1
	v_max_i16_e32 v1, v85, v3
	v_min_i16_e32 v3, v85, v3
	v_max_i16_e32 v85, v2, v64
	v_min_i16_e32 v2, v2, v64
	v_max_i16_e32 v64, v86, v10
	v_min_i16_e32 v10, v86, v10
	v_max_i16_e32 v86, v84, v67
	v_min_i16_e32 v67, v84, v67
	v_max_i16_e32 v84, v103, v11
	v_min_i16_e32 v11, v103, v11
	v_max_i16_e32 v103, v68, v70
	v_min_i16_e32 v68, v68, v70
	v_max_i16_e32 v70, v87, v12
	v_min_i16_e32 v12, v87, v12
	v_max_i16_e32 v87, v71, v80
	v_min_i16_e32 v71, v71, v80
	v_max_i16_e32 v80, v54, v55
	v_min_i16_e32 v54, v54, v55
	v_max_i16_e32 v55, v96, v81
	v_min_i16_e32 v81, v96, v81
	v_max_i16_e32 v96, v97, v98
	v_min_i16_e32 v97, v97, v98
	v_max_i16_e32 v98, v82, v100
	v_min_i16_e32 v82, v82, v100
	v_min_i16_e32 v100, v99, v101
	v_max_i16_e32 v99, v99, v101
	v_min_i16_e32 v101, v66, v102
	v_max_i16_e32 v66, v66, v102
	;; [unrolled: 2-line block ×3, first 2 shown]
	v_max_i16_e32 v69, v83, v3
	v_min_i16_e32 v83, v83, v3
	v_max_i16_e32 v112, v1, v2
	v_min_i16_e32 v1, v1, v2
	v_cmp_lt_i16_e32 vcc, v3, v0
	v_max_i16_e32 v2, v85, v10
	v_min_i16_e32 v10, v85, v10
	v_max_i16_e32 v85, v64, v67
	v_min_i16_e32 v64, v64, v67
	;; [unrolled: 2-line block ×10, first 2 shown]
	v_min_i16_e32 v96, v98, v100
	v_max_i16_e32 v98, v98, v100
	v_min_i16_e32 v100, v99, v101
	v_max_i16_e32 v99, v99, v101
	;; [unrolled: 2-line block ×3, first 2 shown]
	v_cndmask_b32_e32 v3, v83, v0, vcc
	v_cndmask_b32_e32 v0, v0, v83, vcc
	v_max_i16_e32 v83, v69, v1
	v_min_i16_e32 v1, v69, v1
	v_cmp_gt_i16_e32 vcc, v66, v13
	v_max_i16_e32 v69, v112, v10
	v_min_i16_e32 v10, v112, v10
	v_max_i16_e32 v112, v2, v64
	v_min_i16_e32 v2, v2, v64
	;; [unrolled: 2-line block ×11, first 2 shown]
	v_min_i16_e32 v97, v98, v100
	v_max_i16_e32 v98, v98, v100
	v_min_i16_e32 v100, v99, v101
	v_max_i16_e32 v99, v99, v101
	v_cndmask_b32_e32 v66, v102, v13, vcc
	v_max_i16_e32 v101, v3, v1
	v_min_i16_e32 v1, v3, v1
	v_cndmask_b32_e32 v13, v13, v102, vcc
	v_max_i16_e32 v3, v83, v10
	v_min_i16_e32 v10, v83, v10
	v_max_i16_e32 v102, v64, v67
	v_min_i16_e32 v64, v64, v67
	;; [unrolled: 2-line block ×9, first 2 shown]
	v_min_i16_e32 v96, v82, v97
	v_max_i16_e32 v82, v82, v97
	v_min_i16_e32 v97, v98, v100
	v_max_i16_e32 v98, v98, v100
	;; [unrolled: 2-line block ×3, first 2 shown]
	v_cmp_gt_i16_e32 vcc, v0, v1
	v_max_i16_e32 v83, v69, v2
	v_min_i16_e32 v2, v69, v2
	v_max_i16_e32 v69, v112, v11
	v_min_i16_e32 v11, v112, v11
	v_cndmask_b32_e32 v99, v1, v0, vcc
	v_min_i16_e32 v112, v0, v1
	v_max_i16_e32 v0, v0, v1
	v_max_i16_e32 v1, v101, v10
	v_min_i16_e32 v10, v101, v10
	v_cmp_gt_i16_e32 vcc, v66, v13
	v_max_i16_e32 v101, v3, v2
	v_min_i16_e32 v2, v3, v2
	v_max_i16_e32 v3, v83, v11
	v_min_i16_e32 v11, v83, v11
	;; [unrolled: 2-line block ×11, first 2 shown]
	v_min_i16_e32 v96, v82, v97
	v_max_i16_e32 v82, v82, v97
	v_min_i16_e32 v97, v98, v100
	v_max_i16_e32 v98, v98, v100
	v_cndmask_b32_e32 v100, v66, v13, vcc
	v_max_i16_e32 v113, v66, v13
	v_min_i16_e32 v13, v66, v13
	v_cmp_gt_i16_e32 vcc, v0, v10
	v_cndmask_b32_e32 v99, v99, v10, vcc
	v_cmp_gt_i16_e32 vcc, v98, v13
	v_max_i16_e32 v66, v0, v10
	v_max_i16_e32 v114, v1, v2
	v_min_i16_e32 v1, v1, v2
	v_max_i16_e32 v2, v101, v11
	v_min_i16_e32 v11, v101, v11
	;; [unrolled: 2-line block ×3, first 2 shown]
	v_cndmask_b32_e32 v100, v100, v98, vcc
	v_cmp_lt_i16_e32 vcc, v10, v112
	v_max_i16_e32 v64, v83, v12
	v_min_i16_e32 v12, v83, v12
	v_max_i16_e32 v83, v69, v67
	v_min_i16_e32 v67, v69, v67
	v_max_i16_e32 v69, v102, v54
	v_min_i16_e32 v54, v102, v54
	v_max_i16_e32 v102, v68, v70
	v_min_i16_e32 v68, v68, v70
	v_max_i16_e32 v70, v85, v55
	v_min_i16_e32 v55, v85, v55
	v_max_i16_e32 v85, v71, v80
	v_min_i16_e32 v71, v71, v80
	v_max_i16_e32 v80, v86, v87
	v_min_i16_e32 v86, v86, v87
	v_max_i16_e32 v87, v84, v81
	v_min_i16_e32 v81, v84, v81
	v_min_i16_e32 v84, v103, v96
	v_max_i16_e32 v96, v103, v96
	v_min_i16_e32 v103, v82, v97
	v_max_i16_e32 v82, v82, v97
	v_min_i16_e32 v97, v98, v13
	v_cndmask_b32_e32 v99, v99, v112, vcc
	v_min3_i16 v0, v112, v0, v10
	v_max_i16_e32 v10, v66, v1
	v_min_i16_e32 v1, v66, v1
	v_max_i16_e32 v66, v114, v11
	v_min_i16_e32 v11, v114, v11
	;; [unrolled: 2-line block ×3, first 2 shown]
	v_cmp_gt_i16_e32 vcc, v98, v113
	v_max_i16_e32 v3, v101, v12
	v_min_i16_e32 v12, v101, v12
	v_max_i16_e32 v101, v64, v67
	v_min_i16_e32 v64, v64, v67
	;; [unrolled: 2-line block ×9, first 2 shown]
	v_min_i16_e32 v87, v96, v103
	v_max_i16_e32 v96, v96, v103
	v_min_i16_e32 v103, v82, v97
	v_max_i16_e32 v82, v82, v97
	v_cndmask_b32_e32 v97, v100, v113, vcc
	v_max3_i16 v13, v98, v13, v113
	v_max_i16_e32 v98, v99, v1
	v_min_i16_e32 v1, v99, v1
	v_max_i16_e32 v99, v10, v11
	v_min_i16_e32 v10, v10, v11
	;; [unrolled: 2-line block ×12, first 2 shown]
	v_min_i16_e32 v86, v81, v87
	v_max_i16_e32 v81, v81, v87
	v_min_i16_e32 v87, v96, v103
	v_max_i16_e32 v96, v96, v103
	;; [unrolled: 2-line block ×3, first 2 shown]
	v_max_i16_e32 v97, v0, v1
	v_min_i16_e32 v112, v0, v1
	v_max_i16_e32 v113, v98, v10
	v_min_i16_e32 v10, v98, v10
	;; [unrolled: 2-line block ×13, first 2 shown]
	v_min_i16_e32 v86, v81, v87
	v_max_i16_e32 v81, v81, v87
	v_min_i16_e32 v87, v96, v103
	v_max_i16_e32 v96, v96, v103
	;; [unrolled: 2-line block ×3, first 2 shown]
	v_max_i16_e32 v115, v97, v10
	v_min_i16_e32 v97, v97, v10
	v_max_i16_e32 v116, v113, v2
	v_min_i16_e32 v2, v113, v2
	v_cmp_lt_i16_e32 vcc, v10, v112
	v_max_i16_e32 v113, v98, v11
	v_min_i16_e32 v11, v98, v11
	v_max_i16_e32 v98, v99, v3
	v_min_i16_e32 v3, v99, v3
	;; [unrolled: 2-line block ×10, first 2 shown]
	v_min_i16_e32 v80, v102, v86
	v_max_i16_e32 v86, v102, v86
	v_min_i16_e32 v102, v81, v87
	v_max_i16_e32 v81, v81, v87
	;; [unrolled: 2-line block ×3, first 2 shown]
	v_cndmask_b32_e32 v117, v97, v112, vcc
	v_med3_i16 v0, v0, v1, v10
	v_max_i16_e32 v1, v115, v2
	v_min_i16_e32 v2, v115, v2
	v_cmp_gt_i16_e32 vcc, v96, v114
	v_min_i16_e32 v97, v112, v97
	v_max_i16_e32 v112, v113, v3
	v_min_i16_e32 v3, v113, v3
	v_max_i16_e32 v113, v98, v12
	v_min_i16_e32 v12, v98, v12
	v_max_i16_e32 v98, v99, v64
	v_min_i16_e32 v64, v99, v64
	v_max_i16_e32 v99, v54, v55
	v_min_i16_e32 v54, v54, v55
	v_max_i16_e32 v55, v66, v67
	v_min_i16_e32 v66, v66, v67
	v_max_i16_e32 v67, v100, v83
	v_min_i16_e32 v83, v100, v83
	v_max_i16_e32 v100, v68, v69
	v_min_i16_e32 v68, v68, v69
	v_max_i16_e32 v69, v101, v84
	v_min_i16_e32 v84, v101, v84
	v_max_i16_e32 v101, v70, v71
	v_min_i16_e32 v70, v70, v71
	v_max_i16_e32 v71, v85, v80
	v_min_i16_e32 v80, v85, v80
	v_min_i16_e32 v85, v86, v102
	v_max_i16_e32 v86, v86, v102
	v_min_i16_e32 v102, v81, v87
	v_max_i16_e32 v81, v81, v87
	v_cndmask_b32_e32 v87, v103, v114, vcc
	v_med3_i16 v13, v82, v13, v96
	v_cmp_gt_i16_e32 vcc, v0, v2
	v_max_i16_e32 v10, v116, v11
	v_min_i16_e32 v11, v116, v11
	v_cndmask_b32_e32 v96, v117, v2, vcc
	v_cmp_gt_i16_e32 vcc, v81, v13
	v_max_i16_e32 v103, v103, v114
	v_max_i16_e32 v82, v0, v2
	v_min_i16_e32 v0, v0, v2
	v_max_i16_e32 v114, v1, v11
	v_min_i16_e32 v1, v1, v11
	v_cndmask_b32_e32 v87, v87, v81, vcc
	v_cmp_lt_i16_e32 vcc, v2, v97
	v_max_i16_e32 v11, v10, v3
	v_min_i16_e32 v3, v10, v3
	v_max_i16_e32 v10, v112, v12
	v_min_i16_e32 v12, v112, v12
	;; [unrolled: 2-line block ×10, first 2 shown]
	v_min_i16_e32 v101, v71, v85
	v_max_i16_e32 v71, v71, v85
	v_min_i16_e32 v85, v86, v102
	v_max_i16_e32 v86, v86, v102
	;; [unrolled: 2-line block ×3, first 2 shown]
	v_cndmask_b32_e32 v2, v96, v97, vcc
	v_cndmask_b32_e32 v96, v97, v0, vcc
	;; [unrolled: 1-line block ×3, first 2 shown]
	v_max_i16_e32 v97, v82, v1
	v_min_i16_e32 v1, v82, v1
	v_cmp_gt_i16_e32 vcc, v81, v103
	v_max_i16_e32 v82, v114, v3
	v_min_i16_e32 v3, v114, v3
	v_max_i16_e32 v114, v11, v12
	v_min_i16_e32 v11, v11, v12
	v_max_i16_e32 v12, v10, v64
	v_min_i16_e32 v10, v10, v64
	v_max_i16_e32 v64, v112, v54
	v_min_i16_e32 v54, v112, v54
	v_max_i16_e32 v112, v113, v66
	v_min_i16_e32 v66, v113, v66
	v_max_i16_e32 v113, v98, v55
	v_min_i16_e32 v55, v98, v55
	v_max_i16_e32 v98, v99, v67
	v_min_i16_e32 v67, v99, v67
	v_max_i16_e32 v99, v83, v84
	v_min_i16_e32 v83, v83, v84
	v_max_i16_e32 v84, v68, v69
	v_min_i16_e32 v68, v68, v69
	v_max_i16_e32 v69, v100, v80
	v_min_i16_e32 v80, v100, v80
	v_max_i16_e32 v100, v70, v101
	v_min_i16_e32 v70, v70, v101
	v_min_i16_e32 v101, v71, v85
	v_max_i16_e32 v71, v71, v85
	v_min_i16_e32 v85, v86, v102
	v_max_i16_e32 v86, v86, v102
	v_cndmask_b32_e32 v81, v87, v103, vcc
	v_cndmask_b32_e32 v87, v103, v13, vcc
	;; [unrolled: 1-line block ×3, first 2 shown]
	v_cmp_gt_i16_e32 vcc, v0, v1
	v_max_i16_e32 v102, v0, v1
	v_cndmask_b32_e32 v0, v2, v1, vcc
	v_cmp_gt_i16_e32 vcc, v86, v13
	v_max_i16_e32 v1, v97, v3
	v_min_i16_e32 v2, v97, v3
	v_max_i16_e32 v3, v82, v11
	v_min_i16_e32 v11, v82, v11
	;; [unrolled: 2-line block ×11, first 2 shown]
	v_min_i16_e32 v70, v100, v101
	v_max_i16_e32 v100, v100, v101
	v_min_i16_e32 v101, v71, v85
	v_max_i16_e32 v71, v71, v85
	v_min_i16_e32 v85, v86, v13
	v_cndmask_b32_e32 v13, v81, v86, vcc
	v_max_i16_e32 v81, v96, v0
	v_max_i16_e32 v113, v102, v2
	v_min_i16_e32 v2, v102, v2
	v_max_i16_e32 v102, v1, v11
	v_min_i16_e32 v1, v1, v11
	;; [unrolled: 2-line block ×12, first 2 shown]
	v_min_i16_e32 v84, v100, v101
	v_max_i16_e32 v100, v100, v101
	v_min_i16_e32 v101, v71, v85
	v_max_i16_e32 v71, v71, v85
	v_min_i16_e32 v85, v13, v87
	v_min_i16_e32 v86, v96, v0
	v_max_i16_e32 v115, v81, v2
	v_min_i16_e32 v81, v81, v2
	v_max_i16_e32 v116, v113, v1
	;; [unrolled: 2-line block ×12, first 2 shown]
	v_min_i16_e32 v70, v98, v70
	v_min_i16_e32 v98, v99, v84
	v_max_i16_e32 v84, v99, v84
	v_min_i16_e32 v99, v100, v101
	v_max_i16_e32 v100, v100, v101
	;; [unrolled: 2-line block ×3, first 2 shown]
	v_max_i16_e32 v85, v71, v85
	v_med3_i16 v2, v96, v0, v2
	v_min_i16_e32 v0, v86, v81
	v_max_i16_e32 v81, v115, v1
	v_min_i16_e32 v1, v115, v1
	v_max_i16_e32 v86, v116, v3
	;; [unrolled: 2-line block ×12, first 2 shown]
	v_min_i16_e32 v112, v112, v98
	v_min_i16_e32 v134, v84, v99
	v_max_i16_e32 v84, v84, v99
	v_min_i16_e32 v135, v100, v101
	v_max_i16_e32 v144, v100, v101
	v_med3_i16 v145, v13, v87, v71
	v_max_i16_e32 v113, v85, v114
	v_max_i16_e32 v55, v2, v1
	v_min_i16_e32 v54, v2, v1
	v_max_i16_e32 v1, v81, v3
	v_min_i16_e32 v64, v81, v3
	;; [unrolled: 2-line block ×12, first 2 shown]
	v_min_i16_e32 v100, v133, v134
	v_max_i16_e32 v101, v133, v134
	v_min_i16_e32 v102, v84, v135
	v_max_i16_e32 v13, v84, v135
	v_min_i16_e32 v103, v144, v145
	v_max_i16_e32 v112, v144, v145
.LBB2777_7:
	s_or_b64 exec, exec, s[4:5]
	v_lshlrev_b16_e32 v114, 8, v80
	v_lshlrev_b16_e32 v115, 8, v85
	v_or_b32_sdwa v114, v3, v114 dst_sel:DWORD dst_unused:UNUSED_PAD src0_sel:BYTE_0 src1_sel:DWORD
	v_or_b32_sdwa v115, v83, v115 dst_sel:WORD_1 dst_unused:UNUSED_PAD src0_sel:BYTE_0 src1_sel:DWORD
	v_or_b32_sdwa v117, v114, v115 dst_sel:DWORD dst_unused:UNUSED_PAD src0_sel:WORD_0 src1_sel:DWORD
	v_lshlrev_b16_e32 v114, 8, v69
	v_lshlrev_b16_e32 v115, 8, v71
	v_or_b32_sdwa v114, v2, v114 dst_sel:DWORD dst_unused:UNUSED_PAD src0_sel:BYTE_0 src1_sel:DWORD
	v_or_b32_sdwa v115, v70, v115 dst_sel:WORD_1 dst_unused:UNUSED_PAD src0_sel:BYTE_0 src1_sel:DWORD
	v_or_b32_sdwa v116, v114, v115 dst_sel:DWORD dst_unused:UNUSED_PAD src0_sel:WORD_0 src1_sel:DWORD
	v_lshlrev_b16_e32 v114, 8, v66
	v_lshlrev_b16_e32 v115, 8, v68
	v_mbcnt_lo_u32_b32 v81, -1, 0
	v_or_b32_sdwa v114, v1, v114 dst_sel:DWORD dst_unused:UNUSED_PAD src0_sel:BYTE_0 src1_sel:DWORD
	v_or_b32_sdwa v115, v67, v115 dst_sel:WORD_1 dst_unused:UNUSED_PAD src0_sel:BYTE_0 src1_sel:DWORD
	v_mbcnt_hi_u32_b32 v82, -1, v81
	v_or_b32_sdwa v115, v114, v115 dst_sel:DWORD dst_unused:UNUSED_PAD src0_sel:WORD_0 src1_sel:DWORD
	v_lshlrev_b16_e32 v114, 8, v54
	v_lshlrev_b16_e32 v118, 8, v64
	v_and_b32_e32 v65, 0xfffff800, v65
	v_lshlrev_b32_e32 v82, 5, v82
	v_or_b32_sdwa v114, v0, v114 dst_sel:DWORD dst_unused:UNUSED_PAD src0_sel:BYTE_0 src1_sel:DWORD
	v_or_b32_sdwa v118, v55, v118 dst_sel:WORD_1 dst_unused:UNUSED_PAD src0_sel:BYTE_0 src1_sel:DWORD
	v_add_u32_e32 v84, v65, v82
	v_or_b32_sdwa v114, v114, v118 dst_sel:DWORD dst_unused:UNUSED_PAD src0_sel:WORD_0 src1_sel:DWORD
	ds_write_b128 v84, v[114:117]
	v_lshlrev_b16_e32 v114, 8, v103
	v_lshlrev_b16_e32 v115, 8, v113
	v_or_b32_sdwa v114, v13, v114 dst_sel:DWORD dst_unused:UNUSED_PAD src0_sel:BYTE_0 src1_sel:DWORD
	v_or_b32_sdwa v115, v112, v115 dst_sel:WORD_1 dst_unused:UNUSED_PAD src0_sel:BYTE_0 src1_sel:DWORD
	v_or_b32_sdwa v117, v114, v115 dst_sel:DWORD dst_unused:UNUSED_PAD src0_sel:WORD_0 src1_sel:DWORD
	v_lshlrev_b16_e32 v114, 8, v100
	v_lshlrev_b16_e32 v115, 8, v102
	v_or_b32_sdwa v114, v12, v114 dst_sel:DWORD dst_unused:UNUSED_PAD src0_sel:BYTE_0 src1_sel:DWORD
	v_or_b32_sdwa v115, v101, v115 dst_sel:WORD_1 dst_unused:UNUSED_PAD src0_sel:BYTE_0 src1_sel:DWORD
	v_or_b32_sdwa v116, v114, v115 dst_sel:DWORD dst_unused:UNUSED_PAD src0_sel:WORD_0 src1_sel:DWORD
	;; [unrolled: 5-line block ×4, first 2 shown]
	v_sub_u32_e64 v81, s6, v65 clamp
	ds_write_b128 v84, v[114:117] offset:16
	v_or_b32_e32 v114, 32, v82
	v_min_u32_e32 v114, v81, v114
	v_add_u32_e32 v115, 32, v114
	v_and_b32_e32 v116, 0xfc0, v82
	v_min_u32_e32 v115, v81, v115
	v_and_b32_e32 v117, 32, v82
	v_min_u32_e32 v117, v81, v117
	v_sub_u32_e32 v119, v114, v116
	v_sub_u32_e32 v118, v115, v114
	v_sub_u32_e64 v118, v117, v118 clamp
	v_min_u32_e32 v119, v117, v119
	v_cmp_lt_u32_e32 vcc, v118, v119
	; wave barrier
	s_and_saveexec_b64 s[4:5], vcc
	s_cbranch_execz .LBB2777_11
; %bb.8:
	v_add_u32_e32 v128, v65, v116
	v_add3_u32 v129, v65, v114, v117
	s_mov_b64 s[6:7], 0
.LBB2777_9:                             ; =>This Inner Loop Header: Depth=1
	v_add_u32_e32 v130, v119, v118
	v_lshrrev_b32_e32 v130, 1, v130
	v_add_u32_e32 v131, v128, v130
	v_xad_u32 v132, v130, -1, v129
	ds_read_i8 v131, v131
	ds_read_i8 v132, v132
	v_add_u32_e32 v133, 1, v130
	s_waitcnt lgkmcnt(0)
	v_cmp_gt_i16_e32 vcc, v131, v132
	v_cndmask_b32_e32 v119, v119, v130, vcc
	v_cndmask_b32_e32 v118, v133, v118, vcc
	v_cmp_ge_u32_e32 vcc, v118, v119
	s_or_b64 s[6:7], vcc, s[6:7]
	s_andn2_b64 exec, exec, s[6:7]
	s_cbranch_execnz .LBB2777_9
; %bb.10:
	s_or_b64 exec, exec, s[6:7]
.LBB2777_11:
	s_or_b64 exec, exec, s[4:5]
	v_add_u32_e32 v117, v114, v117
	v_add_u32_e32 v116, v118, v116
	v_sub_u32_e32 v117, v117, v118
	v_cmp_le_u32_e32 vcc, v116, v114
	v_cmp_le_u32_e64 s[4:5], v117, v115
	s_or_b64 s[4:5], vcc, s[4:5]
	s_and_saveexec_b64 s[10:11], s[4:5]
	s_cbranch_execz .LBB2777_17
; %bb.12:
	v_cmp_lt_u32_e32 vcc, v116, v114
                                        ; implicit-def: $vgpr1
	s_and_saveexec_b64 s[4:5], vcc
	s_cbranch_execz .LBB2777_14
; %bb.13:
	v_add_u32_e32 v0, v65, v116
	ds_read_u8 v1, v0
.LBB2777_14:
	s_or_b64 exec, exec, s[4:5]
	v_cmp_ge_u32_e64 s[4:5], v117, v115
	v_cmp_lt_u32_e64 s[6:7], v117, v115
                                        ; implicit-def: $vgpr2
	s_and_saveexec_b64 s[14:15], s[6:7]
	s_cbranch_execz .LBB2777_16
; %bb.15:
	v_add_u32_e32 v0, v65, v117
	ds_read_u8 v2, v0
.LBB2777_16:
	s_or_b64 exec, exec, s[14:15]
	s_waitcnt lgkmcnt(0)
	v_cmp_le_i16_sdwa s[6:7], sext(v1), sext(v2) src0_sel:BYTE_0 src1_sel:BYTE_0
	s_and_b64 s[6:7], vcc, s[6:7]
	s_or_b64 vcc, s[4:5], s[6:7]
	v_cndmask_b32_e32 v3, v117, v116, vcc
	v_cndmask_b32_e32 v10, v115, v114, vcc
	v_add_u32_e32 v3, 1, v3
	v_add_u32_e32 v10, -1, v10
	v_min_u32_e32 v10, v3, v10
	v_add_u32_e32 v10, v65, v10
	ds_read_u8 v10, v10
	v_cndmask_b32_e32 v0, v2, v1, vcc
	s_waitcnt lgkmcnt(0)
	v_cndmask_b32_e32 v2, v10, v2, vcc
	v_cndmask_b32_e32 v1, v1, v10, vcc
	;; [unrolled: 1-line block ×4, first 2 shown]
	v_cmp_lt_u32_e64 s[4:5], v3, v114
	v_cmp_le_i16_sdwa s[6:7], sext(v1), sext(v2) src0_sel:BYTE_0 src1_sel:BYTE_0
	v_cmp_ge_u32_e32 vcc, v10, v115
	s_and_b64 s[4:5], s[4:5], s[6:7]
	s_or_b64 vcc, vcc, s[4:5]
	v_cndmask_b32_e32 v11, v10, v3, vcc
	v_cndmask_b32_e32 v12, v115, v114, vcc
	v_add_u32_e32 v11, 1, v11
	v_add_u32_e32 v12, -1, v12
	v_min_u32_e32 v12, v11, v12
	v_add_u32_e32 v12, v65, v12
	ds_read_u8 v12, v12
	v_cndmask_b32_e32 v54, v2, v1, vcc
	v_cndmask_b32_e32 v3, v3, v11, vcc
	v_cndmask_b32_e32 v10, v11, v10, vcc
	v_cmp_lt_u32_e64 s[4:5], v3, v114
	s_waitcnt lgkmcnt(0)
	v_cndmask_b32_e32 v2, v12, v2, vcc
	v_cndmask_b32_e32 v1, v1, v12, vcc
	v_cmp_le_i16_sdwa s[6:7], sext(v1), sext(v2) src0_sel:BYTE_0 src1_sel:BYTE_0
	v_cmp_ge_u32_e32 vcc, v10, v115
	s_and_b64 s[4:5], s[4:5], s[6:7]
	s_or_b64 vcc, vcc, s[4:5]
	v_cndmask_b32_e32 v11, v10, v3, vcc
	v_cndmask_b32_e32 v12, v115, v114, vcc
	v_add_u32_e32 v11, 1, v11
	v_add_u32_e32 v12, -1, v12
	v_min_u32_e32 v12, v11, v12
	v_add_u32_e32 v12, v65, v12
	ds_read_u8 v12, v12
	v_cndmask_b32_e32 v55, v2, v1, vcc
	v_cndmask_b32_e32 v3, v3, v11, vcc
	v_cndmask_b32_e32 v10, v11, v10, vcc
	v_cmp_lt_u32_e64 s[4:5], v3, v114
	s_waitcnt lgkmcnt(0)
	v_cndmask_b32_e32 v2, v12, v2, vcc
	v_cndmask_b32_e32 v1, v1, v12, vcc
	;; [unrolled: 18-line block ×14, first 2 shown]
	v_cmp_le_i16_sdwa s[6:7], sext(v12), sext(v87) src0_sel:BYTE_0 src1_sel:BYTE_0
	v_cmp_ge_u32_e32 vcc, v10, v115
	s_and_b64 s[4:5], s[4:5], s[6:7]
	s_or_b64 vcc, vcc, s[4:5]
	v_cndmask_b32_e32 v13, v10, v11, vcc
	v_cndmask_b32_e32 v86, v115, v114, vcc
	v_add_u32_e32 v13, 1, v13
	v_add_u32_e32 v86, -1, v86
	v_min_u32_e32 v86, v13, v86
	v_add_u32_e32 v86, v65, v86
	ds_read_u8 v86, v86
	v_cndmask_b32_e32 v85, v87, v12, vcc
	v_cndmask_b32_e32 v11, v11, v13, vcc
	v_cmp_lt_u32_e64 s[4:5], v11, v114
	s_waitcnt lgkmcnt(0)
	v_cndmask_b32_e32 v87, v86, v87, vcc
	v_cndmask_b32_e32 v12, v12, v86, vcc
	;; [unrolled: 1-line block ×3, first 2 shown]
	v_cmp_le_i16_sdwa s[6:7], sext(v12), sext(v87) src0_sel:BYTE_0 src1_sel:BYTE_0
	v_cmp_ge_u32_e32 vcc, v86, v115
	s_and_b64 s[4:5], s[4:5], s[6:7]
	s_or_b64 vcc, vcc, s[4:5]
	v_cndmask_b32_e32 v13, v86, v11, vcc
	v_cndmask_b32_e32 v96, v115, v114, vcc
	v_add_u32_e32 v13, 1, v13
	v_add_u32_e32 v96, -1, v96
	v_min_u32_e32 v96, v13, v96
	v_add_u32_e32 v96, v65, v96
	ds_read_u8 v96, v96
	v_cndmask_b32_e32 v10, v87, v12, vcc
	v_cndmask_b32_e32 v11, v11, v13, vcc
	v_cmp_lt_u32_e64 s[4:5], v11, v114
	s_waitcnt lgkmcnt(0)
	v_cndmask_b32_e32 v87, v96, v87, vcc
	v_cndmask_b32_e32 v12, v12, v96, vcc
	v_cndmask_b32_e32 v96, v13, v86, vcc
	v_cmp_le_i16_sdwa s[6:7], sext(v12), sext(v87) src0_sel:BYTE_0 src1_sel:BYTE_0
	v_cmp_ge_u32_e32 vcc, v96, v115
	s_and_b64 s[4:5], s[4:5], s[6:7]
	s_or_b64 vcc, vcc, s[4:5]
	v_cndmask_b32_e32 v13, v96, v11, vcc
	v_cndmask_b32_e32 v97, v115, v114, vcc
	v_add_u32_e32 v13, 1, v13
	v_add_u32_e32 v97, -1, v97
	v_min_u32_e32 v97, v13, v97
	v_add_u32_e32 v97, v65, v97
	ds_read_u8 v97, v97
	v_cndmask_b32_e32 v86, v87, v12, vcc
	v_cndmask_b32_e32 v11, v11, v13, vcc
	v_cndmask_b32_e32 v96, v13, v96, vcc
	v_cmp_lt_u32_e64 s[4:5], v11, v114
	s_waitcnt lgkmcnt(0)
	v_cndmask_b32_e32 v98, v97, v87, vcc
	v_cndmask_b32_e32 v12, v12, v97, vcc
	v_cmp_le_i16_sdwa s[6:7], sext(v12), sext(v98) src0_sel:BYTE_0 src1_sel:BYTE_0
	v_cmp_ge_u32_e32 vcc, v96, v115
	s_and_b64 s[4:5], s[4:5], s[6:7]
	s_or_b64 vcc, vcc, s[4:5]
	v_cndmask_b32_e32 v13, v96, v11, vcc
	v_cndmask_b32_e32 v97, v115, v114, vcc
	v_add_u32_e32 v13, 1, v13
	v_add_u32_e32 v97, -1, v97
	v_min_u32_e32 v97, v13, v97
	v_add_u32_e32 v97, v65, v97
	ds_read_u8 v97, v97
	v_cndmask_b32_e32 v87, v98, v12, vcc
	v_cndmask_b32_e32 v11, v11, v13, vcc
	v_cmp_lt_u32_e64 s[4:5], v11, v114
	s_waitcnt lgkmcnt(0)
	v_cndmask_b32_e32 v98, v97, v98, vcc
	v_cndmask_b32_e32 v12, v12, v97, vcc
	v_cndmask_b32_e32 v97, v13, v96, vcc
	v_cmp_le_i16_sdwa s[6:7], sext(v12), sext(v98) src0_sel:BYTE_0 src1_sel:BYTE_0
	v_cmp_ge_u32_e32 vcc, v97, v115
	s_and_b64 s[4:5], s[4:5], s[6:7]
	s_or_b64 vcc, vcc, s[4:5]
	v_cndmask_b32_e32 v13, v97, v11, vcc
	v_cndmask_b32_e32 v99, v115, v114, vcc
	v_add_u32_e32 v13, 1, v13
	v_add_u32_e32 v99, -1, v99
	v_min_u32_e32 v99, v13, v99
	v_add_u32_e32 v99, v65, v99
	ds_read_u8 v99, v99
	v_cndmask_b32_e32 v96, v98, v12, vcc
	v_cndmask_b32_e32 v97, v13, v97, vcc
	v_cndmask_b32_e32 v13, v11, v13, vcc
	v_cmp_lt_u32_e64 s[4:5], v13, v114
	s_waitcnt lgkmcnt(0)
	v_cndmask_b32_e32 v98, v99, v98, vcc
	v_cndmask_b32_e32 v12, v12, v99, vcc
	;; [unrolled: 36-line block ×3, first 2 shown]
	v_cmp_le_i16_sdwa s[6:7], sext(v12), sext(v102) src0_sel:BYTE_0 src1_sel:BYTE_0
	v_cmp_ge_u32_e32 vcc, v100, v115
	s_and_b64 s[4:5], s[4:5], s[6:7]
	s_or_b64 vcc, vcc, s[4:5]
	v_cndmask_b32_e32 v99, v100, v13, vcc
	v_cndmask_b32_e32 v101, v115, v114, vcc
	v_add_u32_e32 v99, 1, v99
	v_add_u32_e32 v101, -1, v101
	v_min_u32_e32 v101, v99, v101
	v_add_u32_e32 v101, v65, v101
	ds_read_u8 v101, v101
	v_cndmask_b32_e32 v98, v102, v12, vcc
	v_cndmask_b32_e32 v13, v13, v99, vcc
	;; [unrolled: 1-line block ×3, first 2 shown]
	v_cmp_lt_u32_e64 s[4:5], v13, v114
	s_waitcnt lgkmcnt(0)
	v_cndmask_b32_e32 v102, v101, v102, vcc
	v_cndmask_b32_e32 v12, v12, v101, vcc
	v_cmp_le_i16_sdwa s[6:7], sext(v12), sext(v102) src0_sel:BYTE_0 src1_sel:BYTE_0
	v_cmp_ge_u32_e32 vcc, v100, v115
	s_and_b64 s[4:5], s[4:5], s[6:7]
	s_or_b64 vcc, vcc, s[4:5]
	v_cndmask_b32_e32 v101, v100, v13, vcc
	v_cndmask_b32_e32 v103, v115, v114, vcc
	v_add_u32_e32 v101, 1, v101
	v_add_u32_e32 v103, -1, v103
	v_min_u32_e32 v103, v101, v103
	v_add_u32_e32 v103, v65, v103
	ds_read_u8 v103, v103
	v_cndmask_b32_e32 v99, v102, v12, vcc
	v_cndmask_b32_e32 v13, v13, v101, vcc
	;; [unrolled: 1-line block ×3, first 2 shown]
	v_cmp_lt_u32_e64 s[4:5], v13, v114
	s_waitcnt lgkmcnt(0)
	v_cndmask_b32_e32 v102, v103, v102, vcc
	v_cndmask_b32_e32 v103, v12, v103, vcc
	v_cmp_le_i16_sdwa s[6:7], sext(v103), sext(v102) src0_sel:BYTE_0 src1_sel:BYTE_0
	v_cmp_ge_u32_e32 vcc, v100, v115
	s_and_b64 s[4:5], s[4:5], s[6:7]
	s_or_b64 vcc, vcc, s[4:5]
	v_cndmask_b32_e32 v101, v100, v13, vcc
	v_cndmask_b32_e32 v112, v115, v114, vcc
	v_add_u32_e32 v101, 1, v101
	v_add_u32_e32 v112, -1, v112
	v_min_u32_e32 v112, v101, v112
	v_add_u32_e32 v112, v65, v112
	ds_read_u8 v112, v112
	v_cndmask_b32_e32 v12, v102, v103, vcc
	v_cndmask_b32_e32 v13, v13, v101, vcc
	v_cmp_lt_u32_e64 s[4:5], v13, v114
	s_waitcnt lgkmcnt(0)
	v_cndmask_b32_e32 v102, v112, v102, vcc
	v_cndmask_b32_e32 v103, v103, v112, vcc
	;; [unrolled: 1-line block ×3, first 2 shown]
	v_cmp_le_i16_sdwa s[6:7], sext(v103), sext(v102) src0_sel:BYTE_0 src1_sel:BYTE_0
	v_cmp_ge_u32_e32 vcc, v112, v115
	s_and_b64 s[4:5], s[4:5], s[6:7]
	s_or_b64 vcc, vcc, s[4:5]
	v_cndmask_b32_e32 v101, v112, v13, vcc
	v_cndmask_b32_e32 v113, v115, v114, vcc
	v_add_u32_e32 v101, 1, v101
	v_add_u32_e32 v113, -1, v113
	v_min_u32_e32 v113, v101, v113
	v_add_u32_e32 v113, v65, v113
	ds_read_u8 v113, v113
	v_cndmask_b32_e32 v100, v102, v103, vcc
	v_cndmask_b32_e32 v13, v13, v101, vcc
	v_cndmask_b32_e32 v112, v101, v112, vcc
	v_cmp_lt_u32_e64 s[4:5], v13, v114
	s_waitcnt lgkmcnt(0)
	v_cndmask_b32_e32 v102, v113, v102, vcc
	v_cndmask_b32_e32 v103, v103, v113, vcc
	v_cmp_le_i16_sdwa s[6:7], sext(v103), sext(v102) src0_sel:BYTE_0 src1_sel:BYTE_0
	v_cmp_ge_u32_e32 vcc, v112, v115
	s_and_b64 s[4:5], s[4:5], s[6:7]
	s_or_b64 vcc, vcc, s[4:5]
	v_cndmask_b32_e32 v113, v112, v13, vcc
	v_cndmask_b32_e32 v116, v115, v114, vcc
	v_add_u32_e32 v113, 1, v113
	v_add_u32_e32 v116, -1, v116
	v_min_u32_e32 v116, v113, v116
	v_add_u32_e32 v116, v65, v116
	ds_read_u8 v116, v116
	v_cndmask_b32_e32 v101, v102, v103, vcc
	v_cndmask_b32_e32 v13, v13, v113, vcc
	v_cndmask_b32_e32 v112, v113, v112, vcc
	v_cmp_lt_u32_e64 s[4:5], v13, v114
	s_waitcnt lgkmcnt(0)
	v_cndmask_b32_e32 v117, v116, v102, vcc
	v_cndmask_b32_e32 v103, v103, v116, vcc
	;; [unrolled: 18-line block ×4, first 2 shown]
	v_cmp_le_i16_sdwa s[6:7], sext(v118), sext(v117) src0_sel:BYTE_0 src1_sel:BYTE_0
	v_cmp_ge_u32_e32 vcc, v112, v115
	s_and_b64 s[4:5], s[4:5], s[6:7]
	s_or_b64 vcc, vcc, s[4:5]
	v_cndmask_b32_e32 v116, v112, v113, vcc
	v_cndmask_b32_e32 v119, v115, v114, vcc
	v_add_u32_e32 v116, 1, v116
	v_add_u32_e32 v119, -1, v119
	v_min_u32_e32 v119, v116, v119
	v_add_u32_e32 v119, v65, v119
	ds_read_u8 v119, v119
	v_cndmask_b32_e32 v103, v117, v118, vcc
	v_cndmask_b32_e32 v113, v113, v116, vcc
	v_cmp_lt_u32_e64 s[4:5], v113, v114
	s_waitcnt lgkmcnt(0)
	v_cndmask_b32_e32 v117, v119, v117, vcc
	v_cndmask_b32_e32 v118, v118, v119, vcc
	;; [unrolled: 1-line block ×3, first 2 shown]
	v_cmp_le_i16_sdwa s[6:7], sext(v118), sext(v117) src0_sel:BYTE_0 src1_sel:BYTE_0
	v_cmp_ge_u32_e32 vcc, v119, v115
	s_and_b64 s[4:5], s[4:5], s[6:7]
	s_or_b64 vcc, vcc, s[4:5]
	v_cndmask_b32_e32 v116, v119, v113, vcc
	v_cndmask_b32_e32 v128, v115, v114, vcc
	v_add_u32_e32 v116, 1, v116
	v_add_u32_e32 v128, -1, v128
	v_min_u32_e32 v128, v116, v128
	v_add_u32_e32 v128, v65, v128
	ds_read_u8 v128, v128
	v_cndmask_b32_e32 v119, v116, v119, vcc
	v_cndmask_b32_e32 v112, v117, v118, vcc
	v_cmp_lt_u32_e64 s[4:5], v119, v115
	v_cndmask_b32_e32 v113, v113, v116, vcc
	s_waitcnt lgkmcnt(0)
	v_cndmask_b32_e32 v118, v118, v128, vcc
	v_cndmask_b32_e32 v115, v128, v117, vcc
	v_cmp_lt_u32_e32 vcc, v113, v114
	v_min_i16_sdwa v113, sext(v118), sext(v115) dst_sel:DWORD dst_unused:UNUSED_PAD src0_sel:BYTE_0 src1_sel:BYTE_0
	v_cndmask_b32_e32 v113, v115, v113, vcc
	v_cndmask_b32_e64 v113, v118, v113, s[4:5]
.LBB2777_17:
	s_or_b64 exec, exec, s[10:11]
	v_lshlrev_b16_e32 v114, 8, v80
	v_lshlrev_b16_e32 v115, 8, v85
	v_or_b32_sdwa v114, v3, v114 dst_sel:DWORD dst_unused:UNUSED_PAD src0_sel:BYTE_0 src1_sel:DWORD
	v_or_b32_sdwa v115, v83, v115 dst_sel:WORD_1 dst_unused:UNUSED_PAD src0_sel:BYTE_0 src1_sel:DWORD
	v_or_b32_sdwa v117, v114, v115 dst_sel:DWORD dst_unused:UNUSED_PAD src0_sel:WORD_0 src1_sel:DWORD
	v_lshlrev_b16_e32 v114, 8, v69
	v_lshlrev_b16_e32 v115, 8, v71
	v_or_b32_sdwa v114, v2, v114 dst_sel:DWORD dst_unused:UNUSED_PAD src0_sel:BYTE_0 src1_sel:DWORD
	v_or_b32_sdwa v115, v70, v115 dst_sel:WORD_1 dst_unused:UNUSED_PAD src0_sel:BYTE_0 src1_sel:DWORD
	v_or_b32_sdwa v116, v114, v115 dst_sel:DWORD dst_unused:UNUSED_PAD src0_sel:WORD_0 src1_sel:DWORD
	;; [unrolled: 5-line block ×4, first 2 shown]
	; wave barrier
	ds_write_b128 v84, v[114:117]
	v_lshlrev_b16_e32 v114, 8, v103
	v_lshlrev_b16_e32 v115, 8, v113
	v_or_b32_sdwa v114, v13, v114 dst_sel:DWORD dst_unused:UNUSED_PAD src0_sel:BYTE_0 src1_sel:DWORD
	v_or_b32_sdwa v115, v112, v115 dst_sel:WORD_1 dst_unused:UNUSED_PAD src0_sel:BYTE_0 src1_sel:DWORD
	v_or_b32_sdwa v117, v114, v115 dst_sel:DWORD dst_unused:UNUSED_PAD src0_sel:WORD_0 src1_sel:DWORD
	v_lshlrev_b16_e32 v114, 8, v100
	v_lshlrev_b16_e32 v115, 8, v102
	v_or_b32_sdwa v114, v12, v114 dst_sel:DWORD dst_unused:UNUSED_PAD src0_sel:BYTE_0 src1_sel:DWORD
	v_or_b32_sdwa v115, v101, v115 dst_sel:WORD_1 dst_unused:UNUSED_PAD src0_sel:BYTE_0 src1_sel:DWORD
	v_or_b32_sdwa v116, v114, v115 dst_sel:DWORD dst_unused:UNUSED_PAD src0_sel:WORD_0 src1_sel:DWORD
	;; [unrolled: 5-line block ×4, first 2 shown]
	ds_write_b128 v84, v[114:117] offset:16
	v_and_b32_e32 v116, 0xf80, v82
	v_or_b32_e32 v114, 64, v116
	v_min_u32_e32 v114, v81, v114
	v_add_u32_e32 v115, 64, v114
	v_min_u32_e32 v115, v81, v115
	v_and_b32_e32 v117, 0x60, v82
	v_min_u32_e32 v117, v81, v117
	v_sub_u32_e32 v119, v114, v116
	v_sub_u32_e32 v118, v115, v114
	v_sub_u32_e64 v118, v117, v118 clamp
	v_min_u32_e32 v119, v117, v119
	v_cmp_lt_u32_e32 vcc, v118, v119
	; wave barrier
	s_and_saveexec_b64 s[4:5], vcc
	s_cbranch_execz .LBB2777_21
; %bb.18:
	v_add_u32_e32 v128, v65, v116
	v_add3_u32 v129, v65, v114, v117
	s_mov_b64 s[6:7], 0
.LBB2777_19:                            ; =>This Inner Loop Header: Depth=1
	v_add_u32_e32 v130, v119, v118
	v_lshrrev_b32_e32 v130, 1, v130
	v_add_u32_e32 v131, v128, v130
	v_xad_u32 v132, v130, -1, v129
	ds_read_i8 v131, v131
	ds_read_i8 v132, v132
	v_add_u32_e32 v133, 1, v130
	s_waitcnt lgkmcnt(0)
	v_cmp_gt_i16_e32 vcc, v131, v132
	v_cndmask_b32_e32 v119, v119, v130, vcc
	v_cndmask_b32_e32 v118, v133, v118, vcc
	v_cmp_ge_u32_e32 vcc, v118, v119
	s_or_b64 s[6:7], vcc, s[6:7]
	s_andn2_b64 exec, exec, s[6:7]
	s_cbranch_execnz .LBB2777_19
; %bb.20:
	s_or_b64 exec, exec, s[6:7]
.LBB2777_21:
	s_or_b64 exec, exec, s[4:5]
	v_add_u32_e32 v117, v114, v117
	v_add_u32_e32 v116, v118, v116
	v_sub_u32_e32 v117, v117, v118
	v_cmp_le_u32_e32 vcc, v116, v114
	v_cmp_le_u32_e64 s[4:5], v117, v115
	s_or_b64 s[4:5], vcc, s[4:5]
	s_and_saveexec_b64 s[10:11], s[4:5]
	s_cbranch_execz .LBB2777_27
; %bb.22:
	v_cmp_lt_u32_e32 vcc, v116, v114
                                        ; implicit-def: $vgpr1
	s_and_saveexec_b64 s[4:5], vcc
	s_cbranch_execz .LBB2777_24
; %bb.23:
	v_add_u32_e32 v0, v65, v116
	ds_read_u8 v1, v0
.LBB2777_24:
	s_or_b64 exec, exec, s[4:5]
	v_cmp_ge_u32_e64 s[4:5], v117, v115
	v_cmp_lt_u32_e64 s[6:7], v117, v115
                                        ; implicit-def: $vgpr2
	s_and_saveexec_b64 s[14:15], s[6:7]
	s_cbranch_execz .LBB2777_26
; %bb.25:
	v_add_u32_e32 v0, v65, v117
	ds_read_u8 v2, v0
.LBB2777_26:
	s_or_b64 exec, exec, s[14:15]
	s_waitcnt lgkmcnt(0)
	v_cmp_le_i16_sdwa s[6:7], sext(v1), sext(v2) src0_sel:BYTE_0 src1_sel:BYTE_0
	s_and_b64 s[6:7], vcc, s[6:7]
	s_or_b64 vcc, s[4:5], s[6:7]
	v_cndmask_b32_e32 v3, v117, v116, vcc
	v_cndmask_b32_e32 v10, v115, v114, vcc
	v_add_u32_e32 v3, 1, v3
	v_add_u32_e32 v10, -1, v10
	v_min_u32_e32 v10, v3, v10
	v_add_u32_e32 v10, v65, v10
	ds_read_u8 v10, v10
	v_cndmask_b32_e32 v0, v2, v1, vcc
	s_waitcnt lgkmcnt(0)
	v_cndmask_b32_e32 v2, v10, v2, vcc
	v_cndmask_b32_e32 v1, v1, v10, vcc
	v_cndmask_b32_e32 v10, v3, v117, vcc
	v_cndmask_b32_e32 v3, v116, v3, vcc
	v_cmp_lt_u32_e64 s[4:5], v3, v114
	v_cmp_le_i16_sdwa s[6:7], sext(v1), sext(v2) src0_sel:BYTE_0 src1_sel:BYTE_0
	v_cmp_ge_u32_e32 vcc, v10, v115
	s_and_b64 s[4:5], s[4:5], s[6:7]
	s_or_b64 vcc, vcc, s[4:5]
	v_cndmask_b32_e32 v11, v10, v3, vcc
	v_cndmask_b32_e32 v12, v115, v114, vcc
	v_add_u32_e32 v11, 1, v11
	v_add_u32_e32 v12, -1, v12
	v_min_u32_e32 v12, v11, v12
	v_add_u32_e32 v12, v65, v12
	ds_read_u8 v12, v12
	v_cndmask_b32_e32 v54, v2, v1, vcc
	v_cndmask_b32_e32 v3, v3, v11, vcc
	v_cndmask_b32_e32 v10, v11, v10, vcc
	v_cmp_lt_u32_e64 s[4:5], v3, v114
	s_waitcnt lgkmcnt(0)
	v_cndmask_b32_e32 v2, v12, v2, vcc
	v_cndmask_b32_e32 v1, v1, v12, vcc
	v_cmp_le_i16_sdwa s[6:7], sext(v1), sext(v2) src0_sel:BYTE_0 src1_sel:BYTE_0
	v_cmp_ge_u32_e32 vcc, v10, v115
	s_and_b64 s[4:5], s[4:5], s[6:7]
	s_or_b64 vcc, vcc, s[4:5]
	v_cndmask_b32_e32 v11, v10, v3, vcc
	v_cndmask_b32_e32 v12, v115, v114, vcc
	v_add_u32_e32 v11, 1, v11
	v_add_u32_e32 v12, -1, v12
	v_min_u32_e32 v12, v11, v12
	v_add_u32_e32 v12, v65, v12
	ds_read_u8 v12, v12
	v_cndmask_b32_e32 v55, v2, v1, vcc
	v_cndmask_b32_e32 v3, v3, v11, vcc
	v_cndmask_b32_e32 v10, v11, v10, vcc
	v_cmp_lt_u32_e64 s[4:5], v3, v114
	s_waitcnt lgkmcnt(0)
	v_cndmask_b32_e32 v2, v12, v2, vcc
	v_cndmask_b32_e32 v1, v1, v12, vcc
	v_cmp_le_i16_sdwa s[6:7], sext(v1), sext(v2) src0_sel:BYTE_0 src1_sel:BYTE_0
	v_cmp_ge_u32_e32 vcc, v10, v115
	s_and_b64 s[4:5], s[4:5], s[6:7]
	s_or_b64 vcc, vcc, s[4:5]
	v_cndmask_b32_e32 v11, v10, v3, vcc
	v_cndmask_b32_e32 v12, v115, v114, vcc
	v_add_u32_e32 v11, 1, v11
	v_add_u32_e32 v12, -1, v12
	v_min_u32_e32 v12, v11, v12
	v_add_u32_e32 v12, v65, v12
	ds_read_u8 v12, v12
	v_cndmask_b32_e32 v64, v2, v1, vcc
	v_cndmask_b32_e32 v3, v3, v11, vcc
	v_cndmask_b32_e32 v10, v11, v10, vcc
	v_cmp_lt_u32_e64 s[4:5], v3, v114
	s_waitcnt lgkmcnt(0)
	v_cndmask_b32_e32 v2, v12, v2, vcc
	v_cndmask_b32_e32 v12, v1, v12, vcc
	v_cmp_le_i16_sdwa s[6:7], sext(v12), sext(v2) src0_sel:BYTE_0 src1_sel:BYTE_0
	v_cmp_ge_u32_e32 vcc, v10, v115
	s_and_b64 s[4:5], s[4:5], s[6:7]
	s_or_b64 vcc, vcc, s[4:5]
	v_cndmask_b32_e32 v11, v10, v3, vcc
	v_cndmask_b32_e32 v13, v115, v114, vcc
	v_add_u32_e32 v11, 1, v11
	v_add_u32_e32 v13, -1, v13
	v_min_u32_e32 v13, v11, v13
	v_add_u32_e32 v13, v65, v13
	ds_read_u8 v13, v13
	v_cndmask_b32_e32 v1, v2, v12, vcc
	v_cndmask_b32_e32 v3, v3, v11, vcc
	v_cndmask_b32_e32 v10, v11, v10, vcc
	v_cmp_lt_u32_e64 s[4:5], v3, v114
	s_waitcnt lgkmcnt(0)
	v_cndmask_b32_e32 v2, v13, v2, vcc
	v_cndmask_b32_e32 v12, v12, v13, vcc
	v_cmp_le_i16_sdwa s[6:7], sext(v12), sext(v2) src0_sel:BYTE_0 src1_sel:BYTE_0
	v_cmp_ge_u32_e32 vcc, v10, v115
	s_and_b64 s[4:5], s[4:5], s[6:7]
	s_or_b64 vcc, vcc, s[4:5]
	v_cndmask_b32_e32 v11, v10, v3, vcc
	v_cndmask_b32_e32 v13, v115, v114, vcc
	v_add_u32_e32 v11, 1, v11
	v_add_u32_e32 v13, -1, v13
	v_min_u32_e32 v13, v11, v13
	v_add_u32_e32 v13, v65, v13
	ds_read_u8 v13, v13
	v_cndmask_b32_e32 v66, v2, v12, vcc
	v_cndmask_b32_e32 v3, v3, v11, vcc
	v_cndmask_b32_e32 v10, v11, v10, vcc
	v_cmp_lt_u32_e64 s[4:5], v3, v114
	s_waitcnt lgkmcnt(0)
	v_cndmask_b32_e32 v2, v13, v2, vcc
	v_cndmask_b32_e32 v12, v12, v13, vcc
	v_cmp_le_i16_sdwa s[6:7], sext(v12), sext(v2) src0_sel:BYTE_0 src1_sel:BYTE_0
	v_cmp_ge_u32_e32 vcc, v10, v115
	s_and_b64 s[4:5], s[4:5], s[6:7]
	s_or_b64 vcc, vcc, s[4:5]
	v_cndmask_b32_e32 v11, v10, v3, vcc
	v_cndmask_b32_e32 v13, v115, v114, vcc
	v_add_u32_e32 v11, 1, v11
	v_add_u32_e32 v13, -1, v13
	v_min_u32_e32 v13, v11, v13
	v_add_u32_e32 v13, v65, v13
	ds_read_u8 v13, v13
	v_cndmask_b32_e32 v67, v2, v12, vcc
	v_cndmask_b32_e32 v3, v3, v11, vcc
	v_cndmask_b32_e32 v10, v11, v10, vcc
	v_cmp_lt_u32_e64 s[4:5], v3, v114
	s_waitcnt lgkmcnt(0)
	v_cndmask_b32_e32 v2, v13, v2, vcc
	v_cndmask_b32_e32 v12, v12, v13, vcc
	v_cmp_le_i16_sdwa s[6:7], sext(v12), sext(v2) src0_sel:BYTE_0 src1_sel:BYTE_0
	v_cmp_ge_u32_e32 vcc, v10, v115
	s_and_b64 s[4:5], s[4:5], s[6:7]
	s_or_b64 vcc, vcc, s[4:5]
	v_cndmask_b32_e32 v11, v10, v3, vcc
	v_cndmask_b32_e32 v13, v115, v114, vcc
	v_add_u32_e32 v11, 1, v11
	v_add_u32_e32 v13, -1, v13
	v_min_u32_e32 v13, v11, v13
	v_add_u32_e32 v13, v65, v13
	ds_read_u8 v13, v13
	v_cndmask_b32_e32 v68, v2, v12, vcc
	v_cndmask_b32_e32 v3, v3, v11, vcc
	v_cndmask_b32_e32 v10, v11, v10, vcc
	v_cmp_lt_u32_e64 s[4:5], v3, v114
	s_waitcnt lgkmcnt(0)
	v_cndmask_b32_e32 v69, v13, v2, vcc
	v_cndmask_b32_e32 v12, v12, v13, vcc
	v_cmp_le_i16_sdwa s[6:7], sext(v12), sext(v69) src0_sel:BYTE_0 src1_sel:BYTE_0
	v_cmp_ge_u32_e32 vcc, v10, v115
	s_and_b64 s[4:5], s[4:5], s[6:7]
	s_or_b64 vcc, vcc, s[4:5]
	v_cndmask_b32_e32 v11, v10, v3, vcc
	v_cndmask_b32_e32 v13, v115, v114, vcc
	v_add_u32_e32 v11, 1, v11
	v_add_u32_e32 v13, -1, v13
	v_min_u32_e32 v13, v11, v13
	v_add_u32_e32 v13, v65, v13
	ds_read_u8 v13, v13
	v_cndmask_b32_e32 v2, v69, v12, vcc
	v_cndmask_b32_e32 v3, v3, v11, vcc
	v_cndmask_b32_e32 v10, v11, v10, vcc
	v_cmp_lt_u32_e64 s[4:5], v3, v114
	s_waitcnt lgkmcnt(0)
	v_cndmask_b32_e32 v70, v13, v69, vcc
	v_cndmask_b32_e32 v12, v12, v13, vcc
	v_cmp_le_i16_sdwa s[6:7], sext(v12), sext(v70) src0_sel:BYTE_0 src1_sel:BYTE_0
	v_cmp_ge_u32_e32 vcc, v10, v115
	s_and_b64 s[4:5], s[4:5], s[6:7]
	s_or_b64 vcc, vcc, s[4:5]
	v_cndmask_b32_e32 v11, v10, v3, vcc
	v_cndmask_b32_e32 v13, v115, v114, vcc
	v_add_u32_e32 v11, 1, v11
	v_add_u32_e32 v13, -1, v13
	v_min_u32_e32 v13, v11, v13
	v_add_u32_e32 v13, v65, v13
	ds_read_u8 v13, v13
	v_cndmask_b32_e32 v69, v70, v12, vcc
	v_cndmask_b32_e32 v3, v3, v11, vcc
	v_cndmask_b32_e32 v10, v11, v10, vcc
	v_cmp_lt_u32_e64 s[4:5], v3, v114
	s_waitcnt lgkmcnt(0)
	v_cndmask_b32_e32 v71, v13, v70, vcc
	v_cndmask_b32_e32 v12, v12, v13, vcc
	v_cmp_le_i16_sdwa s[6:7], sext(v12), sext(v71) src0_sel:BYTE_0 src1_sel:BYTE_0
	v_cmp_ge_u32_e32 vcc, v10, v115
	s_and_b64 s[4:5], s[4:5], s[6:7]
	s_or_b64 vcc, vcc, s[4:5]
	v_cndmask_b32_e32 v11, v10, v3, vcc
	v_cndmask_b32_e32 v13, v115, v114, vcc
	v_add_u32_e32 v11, 1, v11
	v_add_u32_e32 v13, -1, v13
	v_min_u32_e32 v13, v11, v13
	v_add_u32_e32 v13, v65, v13
	ds_read_u8 v13, v13
	v_cndmask_b32_e32 v70, v71, v12, vcc
	v_cndmask_b32_e32 v3, v3, v11, vcc
	v_cndmask_b32_e32 v10, v11, v10, vcc
	v_cmp_lt_u32_e64 s[4:5], v3, v114
	s_waitcnt lgkmcnt(0)
	v_cndmask_b32_e32 v80, v13, v71, vcc
	v_cndmask_b32_e32 v12, v12, v13, vcc
	v_cmp_le_i16_sdwa s[6:7], sext(v12), sext(v80) src0_sel:BYTE_0 src1_sel:BYTE_0
	v_cmp_ge_u32_e32 vcc, v10, v115
	s_and_b64 s[4:5], s[4:5], s[6:7]
	s_or_b64 vcc, vcc, s[4:5]
	v_cndmask_b32_e32 v11, v10, v3, vcc
	v_cndmask_b32_e32 v13, v115, v114, vcc
	v_add_u32_e32 v11, 1, v11
	v_add_u32_e32 v13, -1, v13
	v_min_u32_e32 v13, v11, v13
	v_add_u32_e32 v13, v65, v13
	ds_read_u8 v13, v13
	v_cndmask_b32_e32 v71, v80, v12, vcc
	v_cndmask_b32_e32 v10, v11, v10, vcc
	v_cndmask_b32_e32 v11, v3, v11, vcc
	v_cmp_lt_u32_e64 s[4:5], v11, v114
	s_waitcnt lgkmcnt(0)
	v_cndmask_b32_e32 v80, v13, v80, vcc
	v_cndmask_b32_e32 v12, v12, v13, vcc
	v_cmp_le_i16_sdwa s[6:7], sext(v12), sext(v80) src0_sel:BYTE_0 src1_sel:BYTE_0
	v_cmp_ge_u32_e32 vcc, v10, v115
	s_and_b64 s[4:5], s[4:5], s[6:7]
	s_or_b64 vcc, vcc, s[4:5]
	v_cndmask_b32_e32 v13, v10, v11, vcc
	v_cndmask_b32_e32 v83, v115, v114, vcc
	v_add_u32_e32 v13, 1, v13
	v_add_u32_e32 v83, -1, v83
	v_min_u32_e32 v83, v13, v83
	v_add_u32_e32 v83, v65, v83
	ds_read_u8 v83, v83
	v_cndmask_b32_e32 v3, v80, v12, vcc
	v_cndmask_b32_e32 v11, v11, v13, vcc
	v_cndmask_b32_e32 v10, v13, v10, vcc
	v_cmp_lt_u32_e64 s[4:5], v11, v114
	s_waitcnt lgkmcnt(0)
	v_cndmask_b32_e32 v85, v83, v80, vcc
	v_cndmask_b32_e32 v12, v12, v83, vcc
	v_cmp_le_i16_sdwa s[6:7], sext(v12), sext(v85) src0_sel:BYTE_0 src1_sel:BYTE_0
	v_cmp_ge_u32_e32 vcc, v10, v115
	s_and_b64 s[4:5], s[4:5], s[6:7]
	s_or_b64 vcc, vcc, s[4:5]
	v_cndmask_b32_e32 v13, v10, v11, vcc
	v_cndmask_b32_e32 v83, v115, v114, vcc
	v_add_u32_e32 v13, 1, v13
	v_add_u32_e32 v83, -1, v83
	v_min_u32_e32 v83, v13, v83
	v_add_u32_e32 v83, v65, v83
	ds_read_u8 v83, v83
	v_cndmask_b32_e32 v80, v85, v12, vcc
	v_cndmask_b32_e32 v11, v11, v13, vcc
	v_cndmask_b32_e32 v10, v13, v10, vcc
	v_cmp_lt_u32_e64 s[4:5], v11, v114
	s_waitcnt lgkmcnt(0)
	v_cndmask_b32_e32 v85, v83, v85, vcc
	v_cndmask_b32_e32 v12, v12, v83, vcc
	v_cmp_le_i16_sdwa s[6:7], sext(v12), sext(v85) src0_sel:BYTE_0 src1_sel:BYTE_0
	v_cmp_ge_u32_e32 vcc, v10, v115
	s_and_b64 s[4:5], s[4:5], s[6:7]
	s_or_b64 vcc, vcc, s[4:5]
	v_cndmask_b32_e32 v13, v10, v11, vcc
	v_cndmask_b32_e32 v86, v115, v114, vcc
	v_add_u32_e32 v13, 1, v13
	v_add_u32_e32 v86, -1, v86
	v_min_u32_e32 v86, v13, v86
	v_add_u32_e32 v86, v65, v86
	ds_read_u8 v86, v86
	v_cndmask_b32_e32 v83, v85, v12, vcc
	v_cndmask_b32_e32 v11, v11, v13, vcc
	v_cndmask_b32_e32 v10, v13, v10, vcc
	v_cmp_lt_u32_e64 s[4:5], v11, v114
	s_waitcnt lgkmcnt(0)
	v_cndmask_b32_e32 v87, v86, v85, vcc
	v_cndmask_b32_e32 v12, v12, v86, vcc
	v_cmp_le_i16_sdwa s[6:7], sext(v12), sext(v87) src0_sel:BYTE_0 src1_sel:BYTE_0
	v_cmp_ge_u32_e32 vcc, v10, v115
	s_and_b64 s[4:5], s[4:5], s[6:7]
	s_or_b64 vcc, vcc, s[4:5]
	v_cndmask_b32_e32 v13, v10, v11, vcc
	v_cndmask_b32_e32 v86, v115, v114, vcc
	v_add_u32_e32 v13, 1, v13
	v_add_u32_e32 v86, -1, v86
	v_min_u32_e32 v86, v13, v86
	v_add_u32_e32 v86, v65, v86
	ds_read_u8 v86, v86
	v_cndmask_b32_e32 v85, v87, v12, vcc
	v_cndmask_b32_e32 v11, v11, v13, vcc
	v_cmp_lt_u32_e64 s[4:5], v11, v114
	s_waitcnt lgkmcnt(0)
	v_cndmask_b32_e32 v87, v86, v87, vcc
	v_cndmask_b32_e32 v12, v12, v86, vcc
	;; [unrolled: 1-line block ×3, first 2 shown]
	v_cmp_le_i16_sdwa s[6:7], sext(v12), sext(v87) src0_sel:BYTE_0 src1_sel:BYTE_0
	v_cmp_ge_u32_e32 vcc, v86, v115
	s_and_b64 s[4:5], s[4:5], s[6:7]
	s_or_b64 vcc, vcc, s[4:5]
	v_cndmask_b32_e32 v13, v86, v11, vcc
	v_cndmask_b32_e32 v96, v115, v114, vcc
	v_add_u32_e32 v13, 1, v13
	v_add_u32_e32 v96, -1, v96
	v_min_u32_e32 v96, v13, v96
	v_add_u32_e32 v96, v65, v96
	ds_read_u8 v96, v96
	v_cndmask_b32_e32 v10, v87, v12, vcc
	v_cndmask_b32_e32 v11, v11, v13, vcc
	v_cmp_lt_u32_e64 s[4:5], v11, v114
	s_waitcnt lgkmcnt(0)
	v_cndmask_b32_e32 v87, v96, v87, vcc
	v_cndmask_b32_e32 v12, v12, v96, vcc
	v_cndmask_b32_e32 v96, v13, v86, vcc
	v_cmp_le_i16_sdwa s[6:7], sext(v12), sext(v87) src0_sel:BYTE_0 src1_sel:BYTE_0
	v_cmp_ge_u32_e32 vcc, v96, v115
	s_and_b64 s[4:5], s[4:5], s[6:7]
	s_or_b64 vcc, vcc, s[4:5]
	v_cndmask_b32_e32 v13, v96, v11, vcc
	v_cndmask_b32_e32 v97, v115, v114, vcc
	v_add_u32_e32 v13, 1, v13
	v_add_u32_e32 v97, -1, v97
	v_min_u32_e32 v97, v13, v97
	v_add_u32_e32 v97, v65, v97
	ds_read_u8 v97, v97
	v_cndmask_b32_e32 v86, v87, v12, vcc
	v_cndmask_b32_e32 v11, v11, v13, vcc
	v_cndmask_b32_e32 v96, v13, v96, vcc
	v_cmp_lt_u32_e64 s[4:5], v11, v114
	s_waitcnt lgkmcnt(0)
	v_cndmask_b32_e32 v98, v97, v87, vcc
	v_cndmask_b32_e32 v12, v12, v97, vcc
	v_cmp_le_i16_sdwa s[6:7], sext(v12), sext(v98) src0_sel:BYTE_0 src1_sel:BYTE_0
	v_cmp_ge_u32_e32 vcc, v96, v115
	s_and_b64 s[4:5], s[4:5], s[6:7]
	s_or_b64 vcc, vcc, s[4:5]
	v_cndmask_b32_e32 v13, v96, v11, vcc
	v_cndmask_b32_e32 v97, v115, v114, vcc
	v_add_u32_e32 v13, 1, v13
	v_add_u32_e32 v97, -1, v97
	v_min_u32_e32 v97, v13, v97
	v_add_u32_e32 v97, v65, v97
	ds_read_u8 v97, v97
	v_cndmask_b32_e32 v87, v98, v12, vcc
	v_cndmask_b32_e32 v11, v11, v13, vcc
	v_cmp_lt_u32_e64 s[4:5], v11, v114
	s_waitcnt lgkmcnt(0)
	v_cndmask_b32_e32 v98, v97, v98, vcc
	v_cndmask_b32_e32 v12, v12, v97, vcc
	v_cndmask_b32_e32 v97, v13, v96, vcc
	v_cmp_le_i16_sdwa s[6:7], sext(v12), sext(v98) src0_sel:BYTE_0 src1_sel:BYTE_0
	v_cmp_ge_u32_e32 vcc, v97, v115
	s_and_b64 s[4:5], s[4:5], s[6:7]
	s_or_b64 vcc, vcc, s[4:5]
	v_cndmask_b32_e32 v13, v97, v11, vcc
	v_cndmask_b32_e32 v99, v115, v114, vcc
	v_add_u32_e32 v13, 1, v13
	v_add_u32_e32 v99, -1, v99
	v_min_u32_e32 v99, v13, v99
	v_add_u32_e32 v99, v65, v99
	ds_read_u8 v99, v99
	v_cndmask_b32_e32 v96, v98, v12, vcc
	v_cndmask_b32_e32 v97, v13, v97, vcc
	v_cndmask_b32_e32 v13, v11, v13, vcc
	v_cmp_lt_u32_e64 s[4:5], v13, v114
	s_waitcnt lgkmcnt(0)
	v_cndmask_b32_e32 v98, v99, v98, vcc
	v_cndmask_b32_e32 v12, v12, v99, vcc
	;; [unrolled: 36-line block ×3, first 2 shown]
	v_cmp_le_i16_sdwa s[6:7], sext(v12), sext(v102) src0_sel:BYTE_0 src1_sel:BYTE_0
	v_cmp_ge_u32_e32 vcc, v100, v115
	s_and_b64 s[4:5], s[4:5], s[6:7]
	s_or_b64 vcc, vcc, s[4:5]
	v_cndmask_b32_e32 v99, v100, v13, vcc
	v_cndmask_b32_e32 v101, v115, v114, vcc
	v_add_u32_e32 v99, 1, v99
	v_add_u32_e32 v101, -1, v101
	v_min_u32_e32 v101, v99, v101
	v_add_u32_e32 v101, v65, v101
	ds_read_u8 v101, v101
	v_cndmask_b32_e32 v98, v102, v12, vcc
	v_cndmask_b32_e32 v13, v13, v99, vcc
	;; [unrolled: 1-line block ×3, first 2 shown]
	v_cmp_lt_u32_e64 s[4:5], v13, v114
	s_waitcnt lgkmcnt(0)
	v_cndmask_b32_e32 v102, v101, v102, vcc
	v_cndmask_b32_e32 v12, v12, v101, vcc
	v_cmp_le_i16_sdwa s[6:7], sext(v12), sext(v102) src0_sel:BYTE_0 src1_sel:BYTE_0
	v_cmp_ge_u32_e32 vcc, v100, v115
	s_and_b64 s[4:5], s[4:5], s[6:7]
	s_or_b64 vcc, vcc, s[4:5]
	v_cndmask_b32_e32 v101, v100, v13, vcc
	v_cndmask_b32_e32 v103, v115, v114, vcc
	v_add_u32_e32 v101, 1, v101
	v_add_u32_e32 v103, -1, v103
	v_min_u32_e32 v103, v101, v103
	v_add_u32_e32 v103, v65, v103
	ds_read_u8 v103, v103
	v_cndmask_b32_e32 v99, v102, v12, vcc
	v_cndmask_b32_e32 v13, v13, v101, vcc
	;; [unrolled: 1-line block ×3, first 2 shown]
	v_cmp_lt_u32_e64 s[4:5], v13, v114
	s_waitcnt lgkmcnt(0)
	v_cndmask_b32_e32 v102, v103, v102, vcc
	v_cndmask_b32_e32 v103, v12, v103, vcc
	v_cmp_le_i16_sdwa s[6:7], sext(v103), sext(v102) src0_sel:BYTE_0 src1_sel:BYTE_0
	v_cmp_ge_u32_e32 vcc, v100, v115
	s_and_b64 s[4:5], s[4:5], s[6:7]
	s_or_b64 vcc, vcc, s[4:5]
	v_cndmask_b32_e32 v101, v100, v13, vcc
	v_cndmask_b32_e32 v112, v115, v114, vcc
	v_add_u32_e32 v101, 1, v101
	v_add_u32_e32 v112, -1, v112
	v_min_u32_e32 v112, v101, v112
	v_add_u32_e32 v112, v65, v112
	ds_read_u8 v112, v112
	v_cndmask_b32_e32 v12, v102, v103, vcc
	v_cndmask_b32_e32 v13, v13, v101, vcc
	v_cmp_lt_u32_e64 s[4:5], v13, v114
	s_waitcnt lgkmcnt(0)
	v_cndmask_b32_e32 v102, v112, v102, vcc
	v_cndmask_b32_e32 v103, v103, v112, vcc
	;; [unrolled: 1-line block ×3, first 2 shown]
	v_cmp_le_i16_sdwa s[6:7], sext(v103), sext(v102) src0_sel:BYTE_0 src1_sel:BYTE_0
	v_cmp_ge_u32_e32 vcc, v112, v115
	s_and_b64 s[4:5], s[4:5], s[6:7]
	s_or_b64 vcc, vcc, s[4:5]
	v_cndmask_b32_e32 v101, v112, v13, vcc
	v_cndmask_b32_e32 v113, v115, v114, vcc
	v_add_u32_e32 v101, 1, v101
	v_add_u32_e32 v113, -1, v113
	v_min_u32_e32 v113, v101, v113
	v_add_u32_e32 v113, v65, v113
	ds_read_u8 v113, v113
	v_cndmask_b32_e32 v100, v102, v103, vcc
	v_cndmask_b32_e32 v13, v13, v101, vcc
	v_cndmask_b32_e32 v112, v101, v112, vcc
	v_cmp_lt_u32_e64 s[4:5], v13, v114
	s_waitcnt lgkmcnt(0)
	v_cndmask_b32_e32 v102, v113, v102, vcc
	v_cndmask_b32_e32 v103, v103, v113, vcc
	v_cmp_le_i16_sdwa s[6:7], sext(v103), sext(v102) src0_sel:BYTE_0 src1_sel:BYTE_0
	v_cmp_ge_u32_e32 vcc, v112, v115
	s_and_b64 s[4:5], s[4:5], s[6:7]
	s_or_b64 vcc, vcc, s[4:5]
	v_cndmask_b32_e32 v113, v112, v13, vcc
	v_cndmask_b32_e32 v116, v115, v114, vcc
	v_add_u32_e32 v113, 1, v113
	v_add_u32_e32 v116, -1, v116
	v_min_u32_e32 v116, v113, v116
	v_add_u32_e32 v116, v65, v116
	ds_read_u8 v116, v116
	v_cndmask_b32_e32 v101, v102, v103, vcc
	v_cndmask_b32_e32 v13, v13, v113, vcc
	v_cndmask_b32_e32 v112, v113, v112, vcc
	v_cmp_lt_u32_e64 s[4:5], v13, v114
	s_waitcnt lgkmcnt(0)
	v_cndmask_b32_e32 v117, v116, v102, vcc
	v_cndmask_b32_e32 v103, v103, v116, vcc
	;; [unrolled: 18-line block ×4, first 2 shown]
	v_cmp_le_i16_sdwa s[6:7], sext(v118), sext(v117) src0_sel:BYTE_0 src1_sel:BYTE_0
	v_cmp_ge_u32_e32 vcc, v112, v115
	s_and_b64 s[4:5], s[4:5], s[6:7]
	s_or_b64 vcc, vcc, s[4:5]
	v_cndmask_b32_e32 v116, v112, v113, vcc
	v_cndmask_b32_e32 v119, v115, v114, vcc
	v_add_u32_e32 v116, 1, v116
	v_add_u32_e32 v119, -1, v119
	v_min_u32_e32 v119, v116, v119
	v_add_u32_e32 v119, v65, v119
	ds_read_u8 v119, v119
	v_cndmask_b32_e32 v103, v117, v118, vcc
	v_cndmask_b32_e32 v113, v113, v116, vcc
	v_cmp_lt_u32_e64 s[4:5], v113, v114
	s_waitcnt lgkmcnt(0)
	v_cndmask_b32_e32 v117, v119, v117, vcc
	v_cndmask_b32_e32 v118, v118, v119, vcc
	;; [unrolled: 1-line block ×3, first 2 shown]
	v_cmp_le_i16_sdwa s[6:7], sext(v118), sext(v117) src0_sel:BYTE_0 src1_sel:BYTE_0
	v_cmp_ge_u32_e32 vcc, v119, v115
	s_and_b64 s[4:5], s[4:5], s[6:7]
	s_or_b64 vcc, vcc, s[4:5]
	v_cndmask_b32_e32 v116, v119, v113, vcc
	v_cndmask_b32_e32 v128, v115, v114, vcc
	v_add_u32_e32 v116, 1, v116
	v_add_u32_e32 v128, -1, v128
	v_min_u32_e32 v128, v116, v128
	v_add_u32_e32 v128, v65, v128
	ds_read_u8 v128, v128
	v_cndmask_b32_e32 v119, v116, v119, vcc
	v_cndmask_b32_e32 v112, v117, v118, vcc
	v_cmp_lt_u32_e64 s[4:5], v119, v115
	v_cndmask_b32_e32 v113, v113, v116, vcc
	s_waitcnt lgkmcnt(0)
	v_cndmask_b32_e32 v118, v118, v128, vcc
	v_cndmask_b32_e32 v115, v128, v117, vcc
	v_cmp_lt_u32_e32 vcc, v113, v114
	v_min_i16_sdwa v113, sext(v118), sext(v115) dst_sel:DWORD dst_unused:UNUSED_PAD src0_sel:BYTE_0 src1_sel:BYTE_0
	v_cndmask_b32_e32 v113, v115, v113, vcc
	v_cndmask_b32_e64 v113, v118, v113, s[4:5]
.LBB2777_27:
	s_or_b64 exec, exec, s[10:11]
	v_lshlrev_b16_e32 v114, 8, v80
	v_lshlrev_b16_e32 v115, 8, v85
	v_or_b32_sdwa v114, v3, v114 dst_sel:DWORD dst_unused:UNUSED_PAD src0_sel:BYTE_0 src1_sel:DWORD
	v_or_b32_sdwa v115, v83, v115 dst_sel:WORD_1 dst_unused:UNUSED_PAD src0_sel:BYTE_0 src1_sel:DWORD
	v_or_b32_sdwa v117, v114, v115 dst_sel:DWORD dst_unused:UNUSED_PAD src0_sel:WORD_0 src1_sel:DWORD
	v_lshlrev_b16_e32 v114, 8, v69
	v_lshlrev_b16_e32 v115, 8, v71
	v_or_b32_sdwa v114, v2, v114 dst_sel:DWORD dst_unused:UNUSED_PAD src0_sel:BYTE_0 src1_sel:DWORD
	v_or_b32_sdwa v115, v70, v115 dst_sel:WORD_1 dst_unused:UNUSED_PAD src0_sel:BYTE_0 src1_sel:DWORD
	v_or_b32_sdwa v116, v114, v115 dst_sel:DWORD dst_unused:UNUSED_PAD src0_sel:WORD_0 src1_sel:DWORD
	;; [unrolled: 5-line block ×4, first 2 shown]
	; wave barrier
	ds_write_b128 v84, v[114:117]
	v_lshlrev_b16_e32 v114, 8, v103
	v_lshlrev_b16_e32 v115, 8, v113
	v_or_b32_sdwa v114, v13, v114 dst_sel:DWORD dst_unused:UNUSED_PAD src0_sel:BYTE_0 src1_sel:DWORD
	v_or_b32_sdwa v115, v112, v115 dst_sel:WORD_1 dst_unused:UNUSED_PAD src0_sel:BYTE_0 src1_sel:DWORD
	v_or_b32_sdwa v117, v114, v115 dst_sel:DWORD dst_unused:UNUSED_PAD src0_sel:WORD_0 src1_sel:DWORD
	v_lshlrev_b16_e32 v114, 8, v100
	v_lshlrev_b16_e32 v115, 8, v102
	v_or_b32_sdwa v114, v12, v114 dst_sel:DWORD dst_unused:UNUSED_PAD src0_sel:BYTE_0 src1_sel:DWORD
	v_or_b32_sdwa v115, v101, v115 dst_sel:WORD_1 dst_unused:UNUSED_PAD src0_sel:BYTE_0 src1_sel:DWORD
	v_or_b32_sdwa v116, v114, v115 dst_sel:DWORD dst_unused:UNUSED_PAD src0_sel:WORD_0 src1_sel:DWORD
	;; [unrolled: 5-line block ×4, first 2 shown]
	ds_write_b128 v84, v[114:117] offset:16
	v_and_b32_e32 v116, 0xf00, v82
	v_or_b32_e32 v114, 0x80, v116
	v_min_u32_e32 v114, v81, v114
	v_add_u32_e32 v115, 0x80, v114
	v_min_u32_e32 v115, v81, v115
	v_and_b32_e32 v117, 0xe0, v82
	v_min_u32_e32 v117, v81, v117
	v_sub_u32_e32 v119, v114, v116
	v_sub_u32_e32 v118, v115, v114
	v_sub_u32_e64 v118, v117, v118 clamp
	v_min_u32_e32 v119, v117, v119
	v_cmp_lt_u32_e32 vcc, v118, v119
	; wave barrier
	s_and_saveexec_b64 s[4:5], vcc
	s_cbranch_execz .LBB2777_31
; %bb.28:
	v_add_u32_e32 v128, v65, v116
	v_add3_u32 v129, v65, v114, v117
	s_mov_b64 s[6:7], 0
.LBB2777_29:                            ; =>This Inner Loop Header: Depth=1
	v_add_u32_e32 v130, v119, v118
	v_lshrrev_b32_e32 v130, 1, v130
	v_add_u32_e32 v131, v128, v130
	v_xad_u32 v132, v130, -1, v129
	ds_read_i8 v131, v131
	ds_read_i8 v132, v132
	v_add_u32_e32 v133, 1, v130
	s_waitcnt lgkmcnt(0)
	v_cmp_gt_i16_e32 vcc, v131, v132
	v_cndmask_b32_e32 v119, v119, v130, vcc
	v_cndmask_b32_e32 v118, v133, v118, vcc
	v_cmp_ge_u32_e32 vcc, v118, v119
	s_or_b64 s[6:7], vcc, s[6:7]
	s_andn2_b64 exec, exec, s[6:7]
	s_cbranch_execnz .LBB2777_29
; %bb.30:
	s_or_b64 exec, exec, s[6:7]
.LBB2777_31:
	s_or_b64 exec, exec, s[4:5]
	v_add_u32_e32 v117, v114, v117
	v_add_u32_e32 v116, v118, v116
	v_sub_u32_e32 v117, v117, v118
	v_cmp_le_u32_e32 vcc, v116, v114
	v_cmp_le_u32_e64 s[4:5], v117, v115
	s_or_b64 s[4:5], vcc, s[4:5]
	s_and_saveexec_b64 s[10:11], s[4:5]
	s_cbranch_execz .LBB2777_37
; %bb.32:
	v_cmp_lt_u32_e32 vcc, v116, v114
                                        ; implicit-def: $vgpr1
	s_and_saveexec_b64 s[4:5], vcc
	s_cbranch_execz .LBB2777_34
; %bb.33:
	v_add_u32_e32 v0, v65, v116
	ds_read_u8 v1, v0
.LBB2777_34:
	s_or_b64 exec, exec, s[4:5]
	v_cmp_ge_u32_e64 s[4:5], v117, v115
	v_cmp_lt_u32_e64 s[6:7], v117, v115
                                        ; implicit-def: $vgpr2
	s_and_saveexec_b64 s[14:15], s[6:7]
	s_cbranch_execz .LBB2777_36
; %bb.35:
	v_add_u32_e32 v0, v65, v117
	ds_read_u8 v2, v0
.LBB2777_36:
	s_or_b64 exec, exec, s[14:15]
	s_waitcnt lgkmcnt(0)
	v_cmp_le_i16_sdwa s[6:7], sext(v1), sext(v2) src0_sel:BYTE_0 src1_sel:BYTE_0
	s_and_b64 s[6:7], vcc, s[6:7]
	s_or_b64 vcc, s[4:5], s[6:7]
	v_cndmask_b32_e32 v3, v117, v116, vcc
	v_cndmask_b32_e32 v10, v115, v114, vcc
	v_add_u32_e32 v3, 1, v3
	v_add_u32_e32 v10, -1, v10
	v_min_u32_e32 v10, v3, v10
	v_add_u32_e32 v10, v65, v10
	ds_read_u8 v10, v10
	v_cndmask_b32_e32 v0, v2, v1, vcc
	s_waitcnt lgkmcnt(0)
	v_cndmask_b32_e32 v2, v10, v2, vcc
	v_cndmask_b32_e32 v1, v1, v10, vcc
	;; [unrolled: 1-line block ×4, first 2 shown]
	v_cmp_lt_u32_e64 s[4:5], v3, v114
	v_cmp_le_i16_sdwa s[6:7], sext(v1), sext(v2) src0_sel:BYTE_0 src1_sel:BYTE_0
	v_cmp_ge_u32_e32 vcc, v10, v115
	s_and_b64 s[4:5], s[4:5], s[6:7]
	s_or_b64 vcc, vcc, s[4:5]
	v_cndmask_b32_e32 v11, v10, v3, vcc
	v_cndmask_b32_e32 v12, v115, v114, vcc
	v_add_u32_e32 v11, 1, v11
	v_add_u32_e32 v12, -1, v12
	v_min_u32_e32 v12, v11, v12
	v_add_u32_e32 v12, v65, v12
	ds_read_u8 v12, v12
	v_cndmask_b32_e32 v54, v2, v1, vcc
	v_cndmask_b32_e32 v3, v3, v11, vcc
	v_cndmask_b32_e32 v10, v11, v10, vcc
	v_cmp_lt_u32_e64 s[4:5], v3, v114
	s_waitcnt lgkmcnt(0)
	v_cndmask_b32_e32 v2, v12, v2, vcc
	v_cndmask_b32_e32 v1, v1, v12, vcc
	v_cmp_le_i16_sdwa s[6:7], sext(v1), sext(v2) src0_sel:BYTE_0 src1_sel:BYTE_0
	v_cmp_ge_u32_e32 vcc, v10, v115
	s_and_b64 s[4:5], s[4:5], s[6:7]
	s_or_b64 vcc, vcc, s[4:5]
	v_cndmask_b32_e32 v11, v10, v3, vcc
	v_cndmask_b32_e32 v12, v115, v114, vcc
	v_add_u32_e32 v11, 1, v11
	v_add_u32_e32 v12, -1, v12
	v_min_u32_e32 v12, v11, v12
	v_add_u32_e32 v12, v65, v12
	ds_read_u8 v12, v12
	v_cndmask_b32_e32 v55, v2, v1, vcc
	v_cndmask_b32_e32 v3, v3, v11, vcc
	v_cndmask_b32_e32 v10, v11, v10, vcc
	v_cmp_lt_u32_e64 s[4:5], v3, v114
	s_waitcnt lgkmcnt(0)
	v_cndmask_b32_e32 v2, v12, v2, vcc
	v_cndmask_b32_e32 v1, v1, v12, vcc
	;; [unrolled: 18-line block ×14, first 2 shown]
	v_cmp_le_i16_sdwa s[6:7], sext(v12), sext(v87) src0_sel:BYTE_0 src1_sel:BYTE_0
	v_cmp_ge_u32_e32 vcc, v10, v115
	s_and_b64 s[4:5], s[4:5], s[6:7]
	s_or_b64 vcc, vcc, s[4:5]
	v_cndmask_b32_e32 v13, v10, v11, vcc
	v_cndmask_b32_e32 v86, v115, v114, vcc
	v_add_u32_e32 v13, 1, v13
	v_add_u32_e32 v86, -1, v86
	v_min_u32_e32 v86, v13, v86
	v_add_u32_e32 v86, v65, v86
	ds_read_u8 v86, v86
	v_cndmask_b32_e32 v85, v87, v12, vcc
	v_cndmask_b32_e32 v11, v11, v13, vcc
	v_cmp_lt_u32_e64 s[4:5], v11, v114
	s_waitcnt lgkmcnt(0)
	v_cndmask_b32_e32 v87, v86, v87, vcc
	v_cndmask_b32_e32 v12, v12, v86, vcc
	;; [unrolled: 1-line block ×3, first 2 shown]
	v_cmp_le_i16_sdwa s[6:7], sext(v12), sext(v87) src0_sel:BYTE_0 src1_sel:BYTE_0
	v_cmp_ge_u32_e32 vcc, v86, v115
	s_and_b64 s[4:5], s[4:5], s[6:7]
	s_or_b64 vcc, vcc, s[4:5]
	v_cndmask_b32_e32 v13, v86, v11, vcc
	v_cndmask_b32_e32 v96, v115, v114, vcc
	v_add_u32_e32 v13, 1, v13
	v_add_u32_e32 v96, -1, v96
	v_min_u32_e32 v96, v13, v96
	v_add_u32_e32 v96, v65, v96
	ds_read_u8 v96, v96
	v_cndmask_b32_e32 v10, v87, v12, vcc
	v_cndmask_b32_e32 v11, v11, v13, vcc
	v_cmp_lt_u32_e64 s[4:5], v11, v114
	s_waitcnt lgkmcnt(0)
	v_cndmask_b32_e32 v87, v96, v87, vcc
	v_cndmask_b32_e32 v12, v12, v96, vcc
	v_cndmask_b32_e32 v96, v13, v86, vcc
	v_cmp_le_i16_sdwa s[6:7], sext(v12), sext(v87) src0_sel:BYTE_0 src1_sel:BYTE_0
	v_cmp_ge_u32_e32 vcc, v96, v115
	s_and_b64 s[4:5], s[4:5], s[6:7]
	s_or_b64 vcc, vcc, s[4:5]
	v_cndmask_b32_e32 v13, v96, v11, vcc
	v_cndmask_b32_e32 v97, v115, v114, vcc
	v_add_u32_e32 v13, 1, v13
	v_add_u32_e32 v97, -1, v97
	v_min_u32_e32 v97, v13, v97
	v_add_u32_e32 v97, v65, v97
	ds_read_u8 v97, v97
	v_cndmask_b32_e32 v86, v87, v12, vcc
	v_cndmask_b32_e32 v11, v11, v13, vcc
	v_cndmask_b32_e32 v96, v13, v96, vcc
	v_cmp_lt_u32_e64 s[4:5], v11, v114
	s_waitcnt lgkmcnt(0)
	v_cndmask_b32_e32 v98, v97, v87, vcc
	v_cndmask_b32_e32 v12, v12, v97, vcc
	v_cmp_le_i16_sdwa s[6:7], sext(v12), sext(v98) src0_sel:BYTE_0 src1_sel:BYTE_0
	v_cmp_ge_u32_e32 vcc, v96, v115
	s_and_b64 s[4:5], s[4:5], s[6:7]
	s_or_b64 vcc, vcc, s[4:5]
	v_cndmask_b32_e32 v13, v96, v11, vcc
	v_cndmask_b32_e32 v97, v115, v114, vcc
	v_add_u32_e32 v13, 1, v13
	v_add_u32_e32 v97, -1, v97
	v_min_u32_e32 v97, v13, v97
	v_add_u32_e32 v97, v65, v97
	ds_read_u8 v97, v97
	v_cndmask_b32_e32 v87, v98, v12, vcc
	v_cndmask_b32_e32 v11, v11, v13, vcc
	v_cmp_lt_u32_e64 s[4:5], v11, v114
	s_waitcnt lgkmcnt(0)
	v_cndmask_b32_e32 v98, v97, v98, vcc
	v_cndmask_b32_e32 v12, v12, v97, vcc
	v_cndmask_b32_e32 v97, v13, v96, vcc
	v_cmp_le_i16_sdwa s[6:7], sext(v12), sext(v98) src0_sel:BYTE_0 src1_sel:BYTE_0
	v_cmp_ge_u32_e32 vcc, v97, v115
	s_and_b64 s[4:5], s[4:5], s[6:7]
	s_or_b64 vcc, vcc, s[4:5]
	v_cndmask_b32_e32 v13, v97, v11, vcc
	v_cndmask_b32_e32 v99, v115, v114, vcc
	v_add_u32_e32 v13, 1, v13
	v_add_u32_e32 v99, -1, v99
	v_min_u32_e32 v99, v13, v99
	v_add_u32_e32 v99, v65, v99
	ds_read_u8 v99, v99
	v_cndmask_b32_e32 v96, v98, v12, vcc
	v_cndmask_b32_e32 v97, v13, v97, vcc
	v_cndmask_b32_e32 v13, v11, v13, vcc
	v_cmp_lt_u32_e64 s[4:5], v13, v114
	s_waitcnt lgkmcnt(0)
	v_cndmask_b32_e32 v98, v99, v98, vcc
	v_cndmask_b32_e32 v12, v12, v99, vcc
	;; [unrolled: 36-line block ×3, first 2 shown]
	v_cmp_le_i16_sdwa s[6:7], sext(v12), sext(v102) src0_sel:BYTE_0 src1_sel:BYTE_0
	v_cmp_ge_u32_e32 vcc, v100, v115
	s_and_b64 s[4:5], s[4:5], s[6:7]
	s_or_b64 vcc, vcc, s[4:5]
	v_cndmask_b32_e32 v99, v100, v13, vcc
	v_cndmask_b32_e32 v101, v115, v114, vcc
	v_add_u32_e32 v99, 1, v99
	v_add_u32_e32 v101, -1, v101
	v_min_u32_e32 v101, v99, v101
	v_add_u32_e32 v101, v65, v101
	ds_read_u8 v101, v101
	v_cndmask_b32_e32 v98, v102, v12, vcc
	v_cndmask_b32_e32 v13, v13, v99, vcc
	;; [unrolled: 1-line block ×3, first 2 shown]
	v_cmp_lt_u32_e64 s[4:5], v13, v114
	s_waitcnt lgkmcnt(0)
	v_cndmask_b32_e32 v102, v101, v102, vcc
	v_cndmask_b32_e32 v12, v12, v101, vcc
	v_cmp_le_i16_sdwa s[6:7], sext(v12), sext(v102) src0_sel:BYTE_0 src1_sel:BYTE_0
	v_cmp_ge_u32_e32 vcc, v100, v115
	s_and_b64 s[4:5], s[4:5], s[6:7]
	s_or_b64 vcc, vcc, s[4:5]
	v_cndmask_b32_e32 v101, v100, v13, vcc
	v_cndmask_b32_e32 v103, v115, v114, vcc
	v_add_u32_e32 v101, 1, v101
	v_add_u32_e32 v103, -1, v103
	v_min_u32_e32 v103, v101, v103
	v_add_u32_e32 v103, v65, v103
	ds_read_u8 v103, v103
	v_cndmask_b32_e32 v99, v102, v12, vcc
	v_cndmask_b32_e32 v13, v13, v101, vcc
	;; [unrolled: 1-line block ×3, first 2 shown]
	v_cmp_lt_u32_e64 s[4:5], v13, v114
	s_waitcnt lgkmcnt(0)
	v_cndmask_b32_e32 v102, v103, v102, vcc
	v_cndmask_b32_e32 v103, v12, v103, vcc
	v_cmp_le_i16_sdwa s[6:7], sext(v103), sext(v102) src0_sel:BYTE_0 src1_sel:BYTE_0
	v_cmp_ge_u32_e32 vcc, v100, v115
	s_and_b64 s[4:5], s[4:5], s[6:7]
	s_or_b64 vcc, vcc, s[4:5]
	v_cndmask_b32_e32 v101, v100, v13, vcc
	v_cndmask_b32_e32 v112, v115, v114, vcc
	v_add_u32_e32 v101, 1, v101
	v_add_u32_e32 v112, -1, v112
	v_min_u32_e32 v112, v101, v112
	v_add_u32_e32 v112, v65, v112
	ds_read_u8 v112, v112
	v_cndmask_b32_e32 v12, v102, v103, vcc
	v_cndmask_b32_e32 v13, v13, v101, vcc
	v_cmp_lt_u32_e64 s[4:5], v13, v114
	s_waitcnt lgkmcnt(0)
	v_cndmask_b32_e32 v102, v112, v102, vcc
	v_cndmask_b32_e32 v103, v103, v112, vcc
	;; [unrolled: 1-line block ×3, first 2 shown]
	v_cmp_le_i16_sdwa s[6:7], sext(v103), sext(v102) src0_sel:BYTE_0 src1_sel:BYTE_0
	v_cmp_ge_u32_e32 vcc, v112, v115
	s_and_b64 s[4:5], s[4:5], s[6:7]
	s_or_b64 vcc, vcc, s[4:5]
	v_cndmask_b32_e32 v101, v112, v13, vcc
	v_cndmask_b32_e32 v113, v115, v114, vcc
	v_add_u32_e32 v101, 1, v101
	v_add_u32_e32 v113, -1, v113
	v_min_u32_e32 v113, v101, v113
	v_add_u32_e32 v113, v65, v113
	ds_read_u8 v113, v113
	v_cndmask_b32_e32 v100, v102, v103, vcc
	v_cndmask_b32_e32 v13, v13, v101, vcc
	v_cndmask_b32_e32 v112, v101, v112, vcc
	v_cmp_lt_u32_e64 s[4:5], v13, v114
	s_waitcnt lgkmcnt(0)
	v_cndmask_b32_e32 v102, v113, v102, vcc
	v_cndmask_b32_e32 v103, v103, v113, vcc
	v_cmp_le_i16_sdwa s[6:7], sext(v103), sext(v102) src0_sel:BYTE_0 src1_sel:BYTE_0
	v_cmp_ge_u32_e32 vcc, v112, v115
	s_and_b64 s[4:5], s[4:5], s[6:7]
	s_or_b64 vcc, vcc, s[4:5]
	v_cndmask_b32_e32 v113, v112, v13, vcc
	v_cndmask_b32_e32 v116, v115, v114, vcc
	v_add_u32_e32 v113, 1, v113
	v_add_u32_e32 v116, -1, v116
	v_min_u32_e32 v116, v113, v116
	v_add_u32_e32 v116, v65, v116
	ds_read_u8 v116, v116
	v_cndmask_b32_e32 v101, v102, v103, vcc
	v_cndmask_b32_e32 v13, v13, v113, vcc
	v_cndmask_b32_e32 v112, v113, v112, vcc
	v_cmp_lt_u32_e64 s[4:5], v13, v114
	s_waitcnt lgkmcnt(0)
	v_cndmask_b32_e32 v117, v116, v102, vcc
	v_cndmask_b32_e32 v103, v103, v116, vcc
	;; [unrolled: 18-line block ×4, first 2 shown]
	v_cmp_le_i16_sdwa s[6:7], sext(v118), sext(v117) src0_sel:BYTE_0 src1_sel:BYTE_0
	v_cmp_ge_u32_e32 vcc, v112, v115
	s_and_b64 s[4:5], s[4:5], s[6:7]
	s_or_b64 vcc, vcc, s[4:5]
	v_cndmask_b32_e32 v116, v112, v113, vcc
	v_cndmask_b32_e32 v119, v115, v114, vcc
	v_add_u32_e32 v116, 1, v116
	v_add_u32_e32 v119, -1, v119
	v_min_u32_e32 v119, v116, v119
	v_add_u32_e32 v119, v65, v119
	ds_read_u8 v119, v119
	v_cndmask_b32_e32 v103, v117, v118, vcc
	v_cndmask_b32_e32 v113, v113, v116, vcc
	v_cmp_lt_u32_e64 s[4:5], v113, v114
	s_waitcnt lgkmcnt(0)
	v_cndmask_b32_e32 v117, v119, v117, vcc
	v_cndmask_b32_e32 v118, v118, v119, vcc
	;; [unrolled: 1-line block ×3, first 2 shown]
	v_cmp_le_i16_sdwa s[6:7], sext(v118), sext(v117) src0_sel:BYTE_0 src1_sel:BYTE_0
	v_cmp_ge_u32_e32 vcc, v119, v115
	s_and_b64 s[4:5], s[4:5], s[6:7]
	s_or_b64 vcc, vcc, s[4:5]
	v_cndmask_b32_e32 v116, v119, v113, vcc
	v_cndmask_b32_e32 v128, v115, v114, vcc
	v_add_u32_e32 v116, 1, v116
	v_add_u32_e32 v128, -1, v128
	v_min_u32_e32 v128, v116, v128
	v_add_u32_e32 v128, v65, v128
	ds_read_u8 v128, v128
	v_cndmask_b32_e32 v119, v116, v119, vcc
	v_cndmask_b32_e32 v112, v117, v118, vcc
	v_cmp_lt_u32_e64 s[4:5], v119, v115
	v_cndmask_b32_e32 v113, v113, v116, vcc
	s_waitcnt lgkmcnt(0)
	v_cndmask_b32_e32 v118, v118, v128, vcc
	v_cndmask_b32_e32 v115, v128, v117, vcc
	v_cmp_lt_u32_e32 vcc, v113, v114
	v_min_i16_sdwa v113, sext(v118), sext(v115) dst_sel:DWORD dst_unused:UNUSED_PAD src0_sel:BYTE_0 src1_sel:BYTE_0
	v_cndmask_b32_e32 v113, v115, v113, vcc
	v_cndmask_b32_e64 v113, v118, v113, s[4:5]
.LBB2777_37:
	s_or_b64 exec, exec, s[10:11]
	v_lshlrev_b16_e32 v114, 8, v80
	v_lshlrev_b16_e32 v115, 8, v85
	v_or_b32_sdwa v114, v3, v114 dst_sel:DWORD dst_unused:UNUSED_PAD src0_sel:BYTE_0 src1_sel:DWORD
	v_or_b32_sdwa v115, v83, v115 dst_sel:WORD_1 dst_unused:UNUSED_PAD src0_sel:BYTE_0 src1_sel:DWORD
	v_or_b32_sdwa v117, v114, v115 dst_sel:DWORD dst_unused:UNUSED_PAD src0_sel:WORD_0 src1_sel:DWORD
	v_lshlrev_b16_e32 v114, 8, v69
	v_lshlrev_b16_e32 v115, 8, v71
	v_or_b32_sdwa v114, v2, v114 dst_sel:DWORD dst_unused:UNUSED_PAD src0_sel:BYTE_0 src1_sel:DWORD
	v_or_b32_sdwa v115, v70, v115 dst_sel:WORD_1 dst_unused:UNUSED_PAD src0_sel:BYTE_0 src1_sel:DWORD
	v_or_b32_sdwa v116, v114, v115 dst_sel:DWORD dst_unused:UNUSED_PAD src0_sel:WORD_0 src1_sel:DWORD
	;; [unrolled: 5-line block ×4, first 2 shown]
	; wave barrier
	ds_write_b128 v84, v[114:117]
	v_lshlrev_b16_e32 v114, 8, v103
	v_lshlrev_b16_e32 v115, 8, v113
	v_or_b32_sdwa v114, v13, v114 dst_sel:DWORD dst_unused:UNUSED_PAD src0_sel:BYTE_0 src1_sel:DWORD
	v_or_b32_sdwa v115, v112, v115 dst_sel:WORD_1 dst_unused:UNUSED_PAD src0_sel:BYTE_0 src1_sel:DWORD
	v_or_b32_sdwa v117, v114, v115 dst_sel:DWORD dst_unused:UNUSED_PAD src0_sel:WORD_0 src1_sel:DWORD
	v_lshlrev_b16_e32 v114, 8, v100
	v_lshlrev_b16_e32 v115, 8, v102
	v_or_b32_sdwa v114, v12, v114 dst_sel:DWORD dst_unused:UNUSED_PAD src0_sel:BYTE_0 src1_sel:DWORD
	v_or_b32_sdwa v115, v101, v115 dst_sel:WORD_1 dst_unused:UNUSED_PAD src0_sel:BYTE_0 src1_sel:DWORD
	v_or_b32_sdwa v116, v114, v115 dst_sel:DWORD dst_unused:UNUSED_PAD src0_sel:WORD_0 src1_sel:DWORD
	;; [unrolled: 5-line block ×4, first 2 shown]
	ds_write_b128 v84, v[114:117] offset:16
	v_and_b32_e32 v115, 0xe00, v82
	v_or_b32_e32 v84, 0x100, v115
	v_min_u32_e32 v84, v81, v84
	v_add_u32_e32 v114, 0x100, v84
	v_min_u32_e32 v114, v81, v114
	v_and_b32_e32 v82, 0x1e0, v82
	v_min_u32_e32 v82, v81, v82
	v_sub_u32_e32 v81, v84, v115
	v_sub_u32_e32 v116, v114, v84
	v_sub_u32_e64 v116, v82, v116 clamp
	v_min_u32_e32 v81, v82, v81
	v_cmp_lt_u32_e32 vcc, v116, v81
	; wave barrier
	s_and_saveexec_b64 s[4:5], vcc
	s_cbranch_execz .LBB2777_41
; %bb.38:
	v_add_u32_e32 v117, v65, v115
	v_add3_u32 v118, v65, v84, v82
	s_mov_b64 s[6:7], 0
.LBB2777_39:                            ; =>This Inner Loop Header: Depth=1
	v_add_u32_e32 v119, v81, v116
	v_lshrrev_b32_e32 v119, 1, v119
	v_add_u32_e32 v128, v117, v119
	v_xad_u32 v129, v119, -1, v118
	ds_read_i8 v128, v128
	ds_read_i8 v129, v129
	v_add_u32_e32 v130, 1, v119
	s_waitcnt lgkmcnt(0)
	v_cmp_gt_i16_e32 vcc, v128, v129
	v_cndmask_b32_e32 v81, v81, v119, vcc
	v_cndmask_b32_e32 v116, v130, v116, vcc
	v_cmp_ge_u32_e32 vcc, v116, v81
	s_or_b64 s[6:7], vcc, s[6:7]
	s_andn2_b64 exec, exec, s[6:7]
	s_cbranch_execnz .LBB2777_39
; %bb.40:
	s_or_b64 exec, exec, s[6:7]
.LBB2777_41:
	s_or_b64 exec, exec, s[4:5]
	v_add_u32_e32 v82, v84, v82
	v_add_u32_e32 v81, v116, v115
	v_sub_u32_e32 v82, v82, v116
	v_cmp_le_u32_e32 vcc, v81, v84
	v_cmp_le_u32_e64 s[4:5], v82, v114
	s_or_b64 s[4:5], vcc, s[4:5]
	s_and_saveexec_b64 s[60:61], s[4:5]
	s_cbranch_execz .LBB2777_47
; %bb.42:
	v_cmp_lt_u32_e32 vcc, v81, v84
                                        ; implicit-def: $vgpr0
	s_and_saveexec_b64 s[4:5], vcc
	s_cbranch_execz .LBB2777_44
; %bb.43:
	v_add_u32_e32 v0, v65, v81
	ds_read_u8 v0, v0
.LBB2777_44:
	s_or_b64 exec, exec, s[4:5]
	v_cmp_ge_u32_e64 s[4:5], v82, v114
	v_cmp_lt_u32_e64 s[6:7], v82, v114
                                        ; implicit-def: $vgpr1
	s_and_saveexec_b64 s[10:11], s[6:7]
	s_cbranch_execz .LBB2777_46
; %bb.45:
	v_add_u32_e32 v1, v65, v82
	ds_read_u8 v1, v1
.LBB2777_46:
	s_or_b64 exec, exec, s[10:11]
	s_waitcnt lgkmcnt(0)
	v_cmp_le_i16_sdwa s[6:7], sext(v0), sext(v1) src0_sel:BYTE_0 src1_sel:BYTE_0
	s_and_b64 s[6:7], vcc, s[6:7]
	s_or_b64 vcc, s[4:5], s[6:7]
	v_cndmask_b32_e32 v2, v82, v81, vcc
	v_cndmask_b32_e32 v3, v114, v84, vcc
	v_add_u32_e32 v2, 1, v2
	v_add_u32_e32 v3, -1, v3
	v_min_u32_e32 v3, v2, v3
	v_add_u32_e32 v3, v65, v3
	ds_read_u8 v3, v3
	v_cndmask_b32_e32 v10, v2, v82, vcc
	v_cndmask_b32_e32 v2, v81, v2, vcc
	v_cmp_lt_u32_e64 s[6:7], v2, v84
	v_cmp_ge_u32_e64 s[4:5], v10, v114
	s_waitcnt lgkmcnt(0)
	v_cndmask_b32_e32 v11, v3, v1, vcc
	v_cndmask_b32_e32 v3, v0, v3, vcc
	v_cmp_le_i16_sdwa s[10:11], sext(v3), sext(v11) src0_sel:BYTE_0 src1_sel:BYTE_0
	s_and_b64 s[6:7], s[6:7], s[10:11]
	s_or_b64 s[4:5], s[4:5], s[6:7]
	v_cndmask_b32_e64 v12, v10, v2, s[4:5]
	v_cndmask_b32_e64 v13, v114, v84, s[4:5]
	v_add_u32_e32 v12, 1, v12
	v_add_u32_e32 v13, -1, v13
	v_min_u32_e32 v13, v12, v13
	v_add_u32_e32 v13, v65, v13
	ds_read_u8 v13, v13
	v_cndmask_b32_e64 v2, v2, v12, s[4:5]
	v_cndmask_b32_e64 v10, v12, v10, s[4:5]
	v_cmp_lt_u32_e64 s[10:11], v2, v84
	v_cmp_ge_u32_e64 s[6:7], v10, v114
	s_waitcnt lgkmcnt(0)
	v_cndmask_b32_e64 v55, v13, v11, s[4:5]
	v_cndmask_b32_e64 v13, v3, v13, s[4:5]
	v_cmp_le_i16_sdwa s[14:15], sext(v13), sext(v55) src0_sel:BYTE_0 src1_sel:BYTE_0
	s_and_b64 s[10:11], s[10:11], s[14:15]
	s_or_b64 s[10:11], s[6:7], s[10:11]
	v_cndmask_b32_e64 v12, v10, v2, s[10:11]
	v_cndmask_b32_e64 v54, v114, v84, s[10:11]
	v_add_u32_e32 v12, 1, v12
	v_add_u32_e32 v54, -1, v54
	v_min_u32_e32 v54, v12, v54
	v_add_u32_e32 v54, v65, v54
	ds_read_u8 v54, v54
	v_cndmask_b32_e64 v2, v2, v12, s[10:11]
	v_cndmask_b32_e64 v10, v12, v10, s[10:11]
	v_cmp_lt_u32_e64 s[14:15], v2, v84
	v_cmp_ge_u32_e64 s[6:7], v10, v114
	s_waitcnt lgkmcnt(0)
	v_cndmask_b32_e64 v64, v54, v55, s[10:11]
	v_cndmask_b32_e64 v66, v13, v54, s[10:11]
	;; [unrolled: 17-line block ×22, first 2 shown]
	v_cmp_le_i16_sdwa s[62:63], sext(v148), sext(v147) src0_sel:BYTE_0 src1_sel:BYTE_0
	s_and_b64 s[56:57], s[56:57], s[62:63]
	s_or_b64 s[50:51], s[50:51], s[56:57]
	v_cndmask_b32_e64 v12, v10, v2, s[50:51]
	v_cndmask_b32_e64 v54, v114, v84, s[50:51]
	v_add_u32_e32 v12, 1, v12
	v_add_u32_e32 v54, -1, v54
	v_min_u32_e32 v54, v12, v54
	v_add_u32_e32 v54, v65, v54
	ds_read_u8 v149, v54
	v_cndmask_b32_e64 v55, v55, v13, s[10:11]
	v_cndmask_b32_e64 v2, v2, v12, s[50:51]
	;; [unrolled: 1-line block ×4, first 2 shown]
	s_waitcnt lgkmcnt(0)
	v_cndmask_b32_e64 v13, v149, v147, s[50:51]
	v_cndmask_b32_e64 v149, v148, v149, s[50:51]
	v_cmp_lt_u32_e64 s[4:5], v2, v84
	v_cmp_le_i16_sdwa s[10:11], sext(v149), sext(v13) src0_sel:BYTE_0 src1_sel:BYTE_0
	v_cndmask_b32_e32 v0, v1, v0, vcc
	v_cmp_ge_u32_e32 vcc, v3, v114
	s_and_b64 s[4:5], s[4:5], s[10:11]
	s_or_b64 vcc, vcc, s[4:5]
	v_cndmask_b32_e32 v1, v3, v2, vcc
	v_cndmask_b32_e32 v10, v114, v84, vcc
	v_add_u32_e32 v11, 1, v1
	v_add_u32_e32 v1, -1, v10
	v_min_u32_e32 v1, v11, v1
	v_add_u32_e32 v1, v65, v1
	ds_read_u8 v10, v1
	v_cndmask_b32_e64 v64, v64, v66, s[6:7]
	v_cndmask_b32_e32 v3, v11, v3, vcc
	v_cmp_ge_u32_e64 s[4:5], v3, v114
	v_cndmask_b32_e64 v1, v67, v68, s[54:55]
	s_waitcnt lgkmcnt(0)
	v_cndmask_b32_e32 v150, v10, v13, vcc
	v_cndmask_b32_e32 v151, v149, v10, vcc
	;; [unrolled: 1-line block ×3, first 2 shown]
	v_cmp_lt_u32_e64 s[6:7], v10, v84
	v_cmp_le_i16_sdwa s[10:11], sext(v151), sext(v150) src0_sel:BYTE_0 src1_sel:BYTE_0
	s_and_b64 s[6:7], s[6:7], s[10:11]
	s_or_b64 s[4:5], s[4:5], s[6:7]
	v_cndmask_b32_e64 v2, v3, v10, s[4:5]
	v_cndmask_b32_e64 v11, v114, v84, s[4:5]
	v_add_u32_e32 v12, 1, v2
	v_add_u32_e32 v2, -1, v11
	v_min_u32_e32 v2, v12, v2
	v_add_u32_e32 v2, v65, v2
	ds_read_u8 v11, v2
	v_cndmask_b32_e64 v68, v81, v82, s[16:17]
	v_cndmask_b32_e64 v10, v10, v12, s[4:5]
	;; [unrolled: 1-line block ×3, first 2 shown]
	v_cmp_lt_u32_e64 s[10:11], v10, v84
	s_waitcnt lgkmcnt(0)
	v_cndmask_b32_e64 v81, v11, v150, s[4:5]
	v_cndmask_b32_e64 v82, v151, v11, s[4:5]
	;; [unrolled: 1-line block ×3, first 2 shown]
	v_cmp_le_i16_sdwa s[14:15], sext(v82), sext(v81) src0_sel:BYTE_0 src1_sel:BYTE_0
	v_cmp_ge_u32_e64 s[6:7], v11, v114
	s_and_b64 s[10:11], s[10:11], s[14:15]
	s_or_b64 s[6:7], s[6:7], s[10:11]
	v_cndmask_b32_e64 v3, v11, v10, s[6:7]
	v_cndmask_b32_e64 v12, v114, v84, s[6:7]
	;; [unrolled: 1-line block ×3, first 2 shown]
	v_add_u32_e32 v85, 1, v3
	v_add_u32_e32 v3, -1, v12
	v_min_u32_e32 v3, v85, v3
	v_add_u32_e32 v3, v65, v3
	ds_read_u8 v12, v3
	v_cndmask_b32_e64 v67, v71, v80, s[18:19]
	v_cndmask_b32_e64 v80, v102, v103, s[30:31]
	;; [unrolled: 1-line block ×3, first 2 shown]
	v_cmp_ge_u32_e64 s[10:11], v11, v114
	s_waitcnt lgkmcnt(0)
	v_cndmask_b32_e64 v102, v12, v81, s[6:7]
	v_cndmask_b32_e64 v103, v82, v12, s[6:7]
	;; [unrolled: 1-line block ×3, first 2 shown]
	v_cmp_lt_u32_e64 s[14:15], v12, v84
	v_cmp_le_i16_sdwa s[16:17], sext(v103), sext(v102) src0_sel:BYTE_0 src1_sel:BYTE_0
	s_and_b64 s[14:15], s[14:15], s[16:17]
	s_or_b64 s[10:11], s[10:11], s[14:15]
	v_cndmask_b32_e64 v10, v11, v12, s[10:11]
	v_cndmask_b32_e64 v85, v114, v84, s[10:11]
	;; [unrolled: 1-line block ×3, first 2 shown]
	v_add_u32_e32 v96, 1, v10
	v_add_u32_e32 v10, -1, v85
	v_min_u32_e32 v10, v96, v10
	v_add_u32_e32 v10, v65, v10
	ds_read_u8 v97, v10
	v_cndmask_b32_e64 v83, v112, v113, s[36:37]
	v_cndmask_b32_e64 v12, v12, v96, s[10:11]
	;; [unrolled: 1-line block ×4, first 2 shown]
	s_waitcnt lgkmcnt(0)
	v_cndmask_b32_e64 v112, v97, v102, s[10:11]
	v_cndmask_b32_e64 v113, v103, v97, s[10:11]
	v_cmp_lt_u32_e64 s[16:17], v12, v84
	v_cmp_le_i16_sdwa s[18:19], sext(v113), sext(v112) src0_sel:BYTE_0 src1_sel:BYTE_0
	v_cmp_ge_u32_e64 s[14:15], v99, v114
	s_and_b64 s[16:17], s[16:17], s[18:19]
	s_or_b64 s[14:15], s[14:15], s[16:17]
	v_cndmask_b32_e64 v11, v99, v12, s[14:15]
	v_cndmask_b32_e64 v96, v114, v84, s[14:15]
	v_cndmask_b32_e64 v3, v100, v101, s[28:29]
	v_add_u32_e32 v100, 1, v11
	v_add_u32_e32 v11, -1, v96
	v_min_u32_e32 v11, v100, v11
	v_add_u32_e32 v11, v65, v11
	ds_read_u8 v101, v11
	v_cndmask_b32_e64 v85, v115, v116, s[34:35]
	v_cndmask_b32_e64 v10, v117, v118, s[38:39]
	;; [unrolled: 1-line block ×4, first 2 shown]
	s_waitcnt lgkmcnt(0)
	v_cndmask_b32_e64 v115, v101, v112, s[14:15]
	v_cndmask_b32_e64 v116, v113, v101, s[14:15]
	v_cmp_lt_u32_e64 s[18:19], v118, v84
	v_cmp_le_i16_sdwa s[20:21], sext(v116), sext(v115) src0_sel:BYTE_0 src1_sel:BYTE_0
	v_cmp_ge_u32_e64 s[16:17], v117, v114
	s_and_b64 s[18:19], s[18:19], s[20:21]
	s_or_b64 s[16:17], s[16:17], s[18:19]
	v_cndmask_b32_e64 v12, v117, v118, s[16:17]
	v_cndmask_b32_e64 v99, v114, v84, s[16:17]
	;; [unrolled: 1-line block ×4, first 2 shown]
	v_add_u32_e32 v119, 1, v12
	v_add_u32_e32 v12, -1, v99
	v_min_u32_e32 v12, v119, v12
	v_add_u32_e32 v12, v65, v12
	ds_read_u8 v128, v12
	v_cndmask_b32_e64 v101, v81, v82, s[6:7]
	v_cndmask_b32_e64 v118, v118, v119, s[16:17]
	;; [unrolled: 1-line block ×4, first 2 shown]
	s_waitcnt lgkmcnt(0)
	v_cndmask_b32_e64 v81, v128, v115, s[16:17]
	v_cndmask_b32_e64 v82, v116, v128, s[16:17]
	v_cmp_lt_u32_e64 s[4:5], v118, v84
	v_cmp_le_i16_sdwa s[6:7], sext(v82), sext(v81) src0_sel:BYTE_0 src1_sel:BYTE_0
	v_cndmask_b32_e32 v12, v13, v149, vcc
	v_cmp_ge_u32_e32 vcc, v117, v114
	s_and_b64 s[4:5], s[4:5], s[6:7]
	s_or_b64 vcc, vcc, s[4:5]
	v_cndmask_b32_e32 v13, v117, v118, vcc
	v_cndmask_b32_e32 v119, v114, v84, vcc
	v_add_u32_e32 v128, 1, v13
	v_add_u32_e32 v13, -1, v119
	v_min_u32_e32 v13, v128, v13
	v_add_u32_e32 v13, v65, v13
	ds_read_u8 v65, v13
	v_cndmask_b32_e64 v13, v112, v113, s[14:15]
	v_cndmask_b32_e32 v112, v81, v82, vcc
	v_cndmask_b32_e64 v102, v102, v103, s[10:11]
	v_cndmask_b32_e64 v103, v115, v116, s[16:17]
	s_waitcnt lgkmcnt(0)
	v_cndmask_b32_e32 v82, v82, v65, vcc
	v_cndmask_b32_e32 v65, v65, v81, vcc
	;; [unrolled: 1-line block ×4, first 2 shown]
	v_min_i16_sdwa v115, sext(v82), sext(v65) dst_sel:DWORD dst_unused:UNUSED_PAD src0_sel:BYTE_0 src1_sel:BYTE_0
	v_cmp_lt_u32_e32 vcc, v81, v84
	v_cndmask_b32_e32 v65, v65, v115, vcc
	v_cmp_lt_u32_e32 vcc, v113, v114
	v_cndmask_b32_e64 v87, v129, v130, s[44:45]
	v_cndmask_b32_e64 v96, v131, v132, s[42:43]
	;; [unrolled: 1-line block ×6, first 2 shown]
	v_cndmask_b32_e32 v113, v82, v65, vcc
.LBB2777_47:
	s_or_b64 exec, exec, s[60:61]
	s_movk_i32 s62, 0x200
	; wave barrier
	s_waitcnt lgkmcnt(0)
	s_barrier
.LBB2777_48:                            ; =>This Loop Header: Depth=1
                                        ;     Child Loop BB2777_50 Depth 2
	v_lshlrev_b16_e32 v65, 8, v80
	v_lshlrev_b16_e32 v81, 8, v85
	v_or_b32_sdwa v65, v3, v65 dst_sel:DWORD dst_unused:UNUSED_PAD src0_sel:BYTE_0 src1_sel:DWORD
	v_or_b32_sdwa v81, v83, v81 dst_sel:WORD_1 dst_unused:UNUSED_PAD src0_sel:BYTE_0 src1_sel:DWORD
	v_or_b32_sdwa v117, v65, v81 dst_sel:DWORD dst_unused:UNUSED_PAD src0_sel:WORD_0 src1_sel:DWORD
	v_lshlrev_b16_e32 v65, 8, v69
	v_lshlrev_b16_e32 v81, 8, v71
	v_or_b32_sdwa v65, v2, v65 dst_sel:DWORD dst_unused:UNUSED_PAD src0_sel:BYTE_0 src1_sel:DWORD
	v_or_b32_sdwa v81, v70, v81 dst_sel:WORD_1 dst_unused:UNUSED_PAD src0_sel:BYTE_0 src1_sel:DWORD
	v_or_b32_sdwa v116, v65, v81 dst_sel:DWORD dst_unused:UNUSED_PAD src0_sel:WORD_0 src1_sel:DWORD
	;; [unrolled: 5-line block ×4, first 2 shown]
	v_lshlrev_b16_e32 v65, 8, v103
	v_lshlrev_b16_e32 v81, 8, v113
	v_or_b32_sdwa v65, v13, v65 dst_sel:DWORD dst_unused:UNUSED_PAD src0_sel:BYTE_0 src1_sel:DWORD
	v_or_b32_sdwa v81, v112, v81 dst_sel:WORD_1 dst_unused:UNUSED_PAD src0_sel:BYTE_0 src1_sel:DWORD
	ds_write_b128 v7, v[114:117]
	v_or_b32_sdwa v117, v65, v81 dst_sel:DWORD dst_unused:UNUSED_PAD src0_sel:WORD_0 src1_sel:DWORD
	v_lshlrev_b16_e32 v65, 8, v100
	v_lshlrev_b16_e32 v81, 8, v102
	v_or_b32_sdwa v65, v12, v65 dst_sel:DWORD dst_unused:UNUSED_PAD src0_sel:BYTE_0 src1_sel:DWORD
	v_or_b32_sdwa v81, v101, v81 dst_sel:WORD_1 dst_unused:UNUSED_PAD src0_sel:BYTE_0 src1_sel:DWORD
	v_or_b32_sdwa v116, v65, v81 dst_sel:DWORD dst_unused:UNUSED_PAD src0_sel:WORD_0 src1_sel:DWORD
	v_lshlrev_b16_e32 v65, 8, v97
	v_lshlrev_b16_e32 v81, 8, v99
	v_or_b32_sdwa v65, v11, v65 dst_sel:DWORD dst_unused:UNUSED_PAD src0_sel:BYTE_0 src1_sel:DWORD
	v_or_b32_sdwa v81, v98, v81 dst_sel:WORD_1 dst_unused:UNUSED_PAD src0_sel:BYTE_0 src1_sel:DWORD
	s_lshl_b32 s63, s62, 1
	v_or_b32_sdwa v115, v65, v81 dst_sel:DWORD dst_unused:UNUSED_PAD src0_sel:WORD_0 src1_sel:DWORD
	v_lshlrev_b16_e32 v65, 8, v86
	v_lshlrev_b16_e32 v81, 8, v96
	s_sub_i32 s5, 0, s63
	v_or_b32_sdwa v65, v10, v65 dst_sel:DWORD dst_unused:UNUSED_PAD src0_sel:BYTE_0 src1_sel:DWORD
	v_or_b32_sdwa v81, v87, v81 dst_sel:WORD_1 dst_unused:UNUSED_PAD src0_sel:BYTE_0 src1_sel:DWORD
	v_and_b32_e32 v82, s5, v7
	v_or_b32_sdwa v114, v65, v81 dst_sel:DWORD dst_unused:UNUSED_PAD src0_sel:WORD_0 src1_sel:DWORD
	v_add_u32_e32 v65, s62, v82
	v_min_u32_e32 v65, 0x2000, v65
	s_add_i32 s4, s63, -1
	v_add_u32_e32 v81, s62, v65
	v_min_u32_e32 v81, 0x2000, v81
	v_and_b32_e32 v84, s4, v7
	ds_write_b128 v7, v[114:117] offset:16
	v_min_u32_e32 v84, 0x2000, v84
	v_sub_u32_e32 v115, v65, v82
	v_sub_u32_e32 v114, v81, v65
	v_sub_u32_e64 v114, v84, v114 clamp
	v_min_u32_e32 v115, v84, v115
	v_cmp_lt_u32_e32 vcc, v114, v115
	s_waitcnt lgkmcnt(0)
	s_barrier
	s_and_saveexec_b64 s[4:5], vcc
	s_cbranch_execz .LBB2777_52
; %bb.49:                               ;   in Loop: Header=BB2777_48 Depth=1
	v_add_u32_e32 v116, v65, v84
	s_mov_b64 s[6:7], 0
.LBB2777_50:                            ;   Parent Loop BB2777_48 Depth=1
                                        ; =>  This Inner Loop Header: Depth=2
	v_add_u32_e32 v117, v115, v114
	v_lshrrev_b32_e32 v117, 1, v117
	v_add_u32_e32 v118, v82, v117
	v_xad_u32 v119, v117, -1, v116
	ds_read_i8 v118, v118
	ds_read_i8 v119, v119
	v_add_u32_e32 v128, 1, v117
	s_waitcnt lgkmcnt(0)
	v_cmp_gt_i16_e32 vcc, v118, v119
	v_cndmask_b32_e32 v115, v115, v117, vcc
	v_cndmask_b32_e32 v114, v128, v114, vcc
	v_cmp_ge_u32_e32 vcc, v114, v115
	s_or_b64 s[6:7], vcc, s[6:7]
	s_andn2_b64 exec, exec, s[6:7]
	s_cbranch_execnz .LBB2777_50
; %bb.51:                               ;   in Loop: Header=BB2777_48 Depth=1
	s_or_b64 exec, exec, s[6:7]
.LBB2777_52:                            ;   in Loop: Header=BB2777_48 Depth=1
	s_or_b64 exec, exec, s[4:5]
	v_sub_u32_e32 v84, v84, v114
	v_add_u32_e32 v82, v114, v82
	v_add_u32_e32 v84, v84, v65
	v_cmp_le_u32_e32 vcc, v82, v65
	v_cmp_le_u32_e64 s[4:5], v84, v81
	s_or_b64 s[4:5], vcc, s[4:5]
	s_and_saveexec_b64 s[60:61], s[4:5]
	s_cbranch_execz .LBB2777_58
; %bb.53:                               ;   in Loop: Header=BB2777_48 Depth=1
	v_cmp_lt_u32_e32 vcc, v82, v65
                                        ; implicit-def: $vgpr0
	s_and_saveexec_b64 s[4:5], vcc
	s_cbranch_execz .LBB2777_55
; %bb.54:                               ;   in Loop: Header=BB2777_48 Depth=1
	ds_read_u8 v0, v82
.LBB2777_55:                            ;   in Loop: Header=BB2777_48 Depth=1
	s_or_b64 exec, exec, s[4:5]
	v_cmp_ge_u32_e64 s[4:5], v84, v81
	v_cmp_lt_u32_e64 s[6:7], v84, v81
                                        ; implicit-def: $vgpr1
	s_and_saveexec_b64 s[10:11], s[6:7]
	s_cbranch_execz .LBB2777_57
; %bb.56:                               ;   in Loop: Header=BB2777_48 Depth=1
	ds_read_u8 v1, v84
.LBB2777_57:                            ;   in Loop: Header=BB2777_48 Depth=1
	s_or_b64 exec, exec, s[10:11]
	s_waitcnt lgkmcnt(0)
	v_cmp_le_i16_sdwa s[6:7], sext(v0), sext(v1) src0_sel:BYTE_0 src1_sel:BYTE_0
	s_and_b64 s[6:7], vcc, s[6:7]
	s_or_b64 vcc, s[4:5], s[6:7]
	v_cndmask_b32_e32 v2, v84, v82, vcc
	v_cndmask_b32_e32 v3, v81, v65, vcc
	v_add_u32_e32 v2, 1, v2
	v_add_u32_e32 v3, -1, v3
	v_min_u32_e32 v3, v2, v3
	ds_read_u8 v3, v3
	v_cndmask_b32_e32 v10, v2, v84, vcc
	v_cndmask_b32_e32 v2, v82, v2, vcc
	v_cmp_lt_u32_e64 s[6:7], v2, v65
	v_cmp_ge_u32_e64 s[4:5], v10, v81
	s_waitcnt lgkmcnt(0)
	v_cndmask_b32_e32 v11, v3, v1, vcc
	v_cndmask_b32_e32 v3, v0, v3, vcc
	v_cmp_le_i16_sdwa s[10:11], sext(v3), sext(v11) src0_sel:BYTE_0 src1_sel:BYTE_0
	s_and_b64 s[6:7], s[6:7], s[10:11]
	s_or_b64 s[4:5], s[4:5], s[6:7]
	v_cndmask_b32_e64 v12, v10, v2, s[4:5]
	v_cndmask_b32_e64 v13, v81, v65, s[4:5]
	v_add_u32_e32 v12, 1, v12
	v_add_u32_e32 v13, -1, v13
	v_min_u32_e32 v13, v12, v13
	ds_read_u8 v13, v13
	v_cndmask_b32_e64 v2, v2, v12, s[4:5]
	v_cndmask_b32_e64 v10, v12, v10, s[4:5]
	v_cmp_lt_u32_e64 s[10:11], v2, v65
	v_cmp_ge_u32_e64 s[6:7], v10, v81
	s_waitcnt lgkmcnt(0)
	v_cndmask_b32_e64 v55, v13, v11, s[4:5]
	v_cndmask_b32_e64 v13, v3, v13, s[4:5]
	v_cmp_le_i16_sdwa s[14:15], sext(v13), sext(v55) src0_sel:BYTE_0 src1_sel:BYTE_0
	s_and_b64 s[10:11], s[10:11], s[14:15]
	s_or_b64 s[10:11], s[6:7], s[10:11]
	v_cndmask_b32_e64 v12, v10, v2, s[10:11]
	v_cndmask_b32_e64 v54, v81, v65, s[10:11]
	v_add_u32_e32 v12, 1, v12
	v_add_u32_e32 v54, -1, v54
	v_min_u32_e32 v54, v12, v54
	ds_read_u8 v54, v54
	v_cndmask_b32_e64 v2, v2, v12, s[10:11]
	v_cndmask_b32_e64 v10, v12, v10, s[10:11]
	v_cmp_lt_u32_e64 s[14:15], v2, v65
	v_cmp_ge_u32_e64 s[6:7], v10, v81
	s_waitcnt lgkmcnt(0)
	v_cndmask_b32_e64 v64, v54, v55, s[10:11]
	v_cndmask_b32_e64 v66, v13, v54, s[10:11]
	;; [unrolled: 16-line block ×22, first 2 shown]
	v_cmp_le_i16_sdwa s[64:65], sext(v147), sext(v146) src0_sel:BYTE_0 src1_sel:BYTE_0
	s_and_b64 s[56:57], s[56:57], s[64:65]
	s_or_b64 s[50:51], s[50:51], s[56:57]
	v_cndmask_b32_e64 v12, v10, v2, s[50:51]
	v_cndmask_b32_e64 v54, v81, v65, s[50:51]
	v_add_u32_e32 v12, 1, v12
	v_add_u32_e32 v54, -1, v54
	v_min_u32_e32 v54, v12, v54
	ds_read_u8 v148, v54
	v_cndmask_b32_e64 v55, v55, v13, s[10:11]
	v_cndmask_b32_e64 v2, v2, v12, s[50:51]
	;; [unrolled: 1-line block ×4, first 2 shown]
	s_waitcnt lgkmcnt(0)
	v_cndmask_b32_e64 v13, v148, v146, s[50:51]
	v_cndmask_b32_e64 v148, v147, v148, s[50:51]
	v_cmp_lt_u32_e64 s[4:5], v2, v65
	v_cmp_le_i16_sdwa s[10:11], sext(v148), sext(v13) src0_sel:BYTE_0 src1_sel:BYTE_0
	v_cndmask_b32_e32 v0, v1, v0, vcc
	v_cmp_ge_u32_e32 vcc, v3, v81
	s_and_b64 s[4:5], s[4:5], s[10:11]
	s_or_b64 vcc, vcc, s[4:5]
	v_cndmask_b32_e32 v1, v3, v2, vcc
	v_cndmask_b32_e32 v10, v81, v65, vcc
	v_add_u32_e32 v11, 1, v1
	v_add_u32_e32 v1, -1, v10
	v_min_u32_e32 v1, v11, v1
	ds_read_u8 v10, v1
	v_cndmask_b32_e64 v64, v64, v66, s[6:7]
	v_cndmask_b32_e32 v3, v11, v3, vcc
	v_cmp_ge_u32_e64 s[4:5], v3, v81
	v_cndmask_b32_e64 v1, v67, v68, s[54:55]
	s_waitcnt lgkmcnt(0)
	v_cndmask_b32_e32 v149, v10, v13, vcc
	v_cndmask_b32_e32 v150, v148, v10, vcc
	;; [unrolled: 1-line block ×3, first 2 shown]
	v_cmp_lt_u32_e64 s[6:7], v10, v65
	v_cmp_le_i16_sdwa s[10:11], sext(v150), sext(v149) src0_sel:BYTE_0 src1_sel:BYTE_0
	s_and_b64 s[6:7], s[6:7], s[10:11]
	s_or_b64 s[4:5], s[4:5], s[6:7]
	v_cndmask_b32_e64 v2, v3, v10, s[4:5]
	v_cndmask_b32_e64 v11, v81, v65, s[4:5]
	v_add_u32_e32 v12, 1, v2
	v_add_u32_e32 v2, -1, v11
	v_min_u32_e32 v2, v12, v2
	ds_read_u8 v11, v2
	v_cndmask_b32_e64 v68, v82, v83, s[16:17]
	v_cndmask_b32_e64 v2, v84, v85, s[20:21]
	;; [unrolled: 1-line block ×4, first 2 shown]
	s_waitcnt lgkmcnt(0)
	v_cndmask_b32_e64 v82, v11, v149, s[4:5]
	v_cndmask_b32_e64 v84, v150, v11, s[4:5]
	;; [unrolled: 1-line block ×3, first 2 shown]
	v_cmp_lt_u32_e64 s[10:11], v10, v65
	v_cmp_le_i16_sdwa s[14:15], sext(v84), sext(v82) src0_sel:BYTE_0 src1_sel:BYTE_0
	v_cmp_ge_u32_e64 s[6:7], v11, v81
	s_and_b64 s[10:11], s[10:11], s[14:15]
	s_or_b64 s[6:7], s[6:7], s[10:11]
	v_cndmask_b32_e64 v3, v11, v10, s[6:7]
	v_cndmask_b32_e64 v12, v81, v65, s[6:7]
	v_add_u32_e32 v85, 1, v3
	v_add_u32_e32 v3, -1, v12
	v_min_u32_e32 v3, v85, v3
	ds_read_u8 v12, v3
	v_cndmask_b32_e64 v67, v71, v80, s[18:19]
	v_cndmask_b32_e64 v80, v102, v103, s[30:31]
	;; [unrolled: 1-line block ×3, first 2 shown]
	v_cmp_ge_u32_e64 s[10:11], v11, v81
	s_waitcnt lgkmcnt(0)
	v_cndmask_b32_e64 v102, v12, v82, s[6:7]
	v_cndmask_b32_e64 v103, v84, v12, s[6:7]
	;; [unrolled: 1-line block ×3, first 2 shown]
	v_cmp_lt_u32_e64 s[14:15], v12, v65
	v_cmp_le_i16_sdwa s[16:17], sext(v103), sext(v102) src0_sel:BYTE_0 src1_sel:BYTE_0
	s_and_b64 s[14:15], s[14:15], s[16:17]
	s_or_b64 s[10:11], s[10:11], s[14:15]
	v_cndmask_b32_e64 v10, v11, v12, s[10:11]
	v_cndmask_b32_e64 v85, v81, v65, s[10:11]
	;; [unrolled: 1-line block ×3, first 2 shown]
	v_add_u32_e32 v96, 1, v10
	v_add_u32_e32 v10, -1, v85
	v_min_u32_e32 v10, v96, v10
	ds_read_u8 v97, v10
	v_cndmask_b32_e64 v83, v112, v113, s[36:37]
	v_cndmask_b32_e64 v12, v12, v96, s[10:11]
	;; [unrolled: 1-line block ×4, first 2 shown]
	s_waitcnt lgkmcnt(0)
	v_cndmask_b32_e64 v112, v97, v102, s[10:11]
	v_cndmask_b32_e64 v113, v103, v97, s[10:11]
	v_cmp_lt_u32_e64 s[16:17], v12, v65
	v_cmp_le_i16_sdwa s[18:19], sext(v113), sext(v112) src0_sel:BYTE_0 src1_sel:BYTE_0
	v_cmp_ge_u32_e64 s[14:15], v99, v81
	s_and_b64 s[16:17], s[16:17], s[18:19]
	s_or_b64 s[14:15], s[14:15], s[16:17]
	v_cndmask_b32_e64 v11, v99, v12, s[14:15]
	v_cndmask_b32_e64 v96, v81, v65, s[14:15]
	v_cndmask_b32_e64 v3, v100, v101, s[28:29]
	v_add_u32_e32 v100, 1, v11
	v_add_u32_e32 v11, -1, v96
	v_min_u32_e32 v11, v100, v11
	ds_read_u8 v101, v11
	v_cndmask_b32_e64 v85, v114, v115, s[34:35]
	v_cndmask_b32_e64 v10, v116, v117, s[38:39]
	;; [unrolled: 1-line block ×4, first 2 shown]
	s_waitcnt lgkmcnt(0)
	v_cndmask_b32_e64 v114, v101, v112, s[14:15]
	v_cndmask_b32_e64 v115, v113, v101, s[14:15]
	v_cmp_lt_u32_e64 s[18:19], v117, v65
	v_cmp_le_i16_sdwa s[20:21], sext(v115), sext(v114) src0_sel:BYTE_0 src1_sel:BYTE_0
	v_cmp_ge_u32_e64 s[16:17], v116, v81
	s_and_b64 s[18:19], s[18:19], s[20:21]
	s_or_b64 s[16:17], s[16:17], s[18:19]
	v_cndmask_b32_e64 v12, v116, v117, s[16:17]
	v_cndmask_b32_e64 v99, v81, v65, s[16:17]
	;; [unrolled: 1-line block ×4, first 2 shown]
	v_add_u32_e32 v118, 1, v12
	v_add_u32_e32 v12, -1, v99
	v_min_u32_e32 v12, v118, v12
	ds_read_u8 v119, v12
	v_cndmask_b32_e64 v101, v82, v84, s[6:7]
	v_cndmask_b32_e64 v117, v117, v118, s[16:17]
	;; [unrolled: 1-line block ×4, first 2 shown]
	s_waitcnt lgkmcnt(0)
	v_cndmask_b32_e64 v82, v119, v114, s[16:17]
	v_cndmask_b32_e64 v84, v115, v119, s[16:17]
	v_cmp_lt_u32_e64 s[4:5], v117, v65
	v_cmp_le_i16_sdwa s[6:7], sext(v84), sext(v82) src0_sel:BYTE_0 src1_sel:BYTE_0
	v_cndmask_b32_e32 v12, v13, v148, vcc
	v_cmp_ge_u32_e32 vcc, v116, v81
	s_and_b64 s[4:5], s[4:5], s[6:7]
	s_or_b64 vcc, vcc, s[4:5]
	v_cndmask_b32_e32 v13, v116, v117, vcc
	v_cndmask_b32_e32 v118, v81, v65, vcc
	v_add_u32_e32 v119, 1, v13
	v_add_u32_e32 v13, -1, v118
	v_min_u32_e32 v13, v119, v13
	ds_read_u8 v118, v13
	v_cndmask_b32_e64 v102, v102, v103, s[10:11]
	v_cndmask_b32_e64 v13, v112, v113, s[14:15]
	;; [unrolled: 1-line block ×3, first 2 shown]
	v_cndmask_b32_e32 v112, v82, v84, vcc
	s_waitcnt lgkmcnt(0)
	v_cndmask_b32_e32 v84, v84, v118, vcc
	v_cndmask_b32_e32 v82, v118, v82, vcc
	;; [unrolled: 1-line block ×4, first 2 shown]
	v_min_i16_sdwa v115, sext(v84), sext(v82) dst_sel:DWORD dst_unused:UNUSED_PAD src0_sel:BYTE_0 src1_sel:BYTE_0
	v_cmp_lt_u32_e32 vcc, v114, v65
	v_cndmask_b32_e32 v65, v82, v115, vcc
	v_cmp_lt_u32_e32 vcc, v113, v81
	v_cndmask_b32_e64 v87, v128, v129, s[44:45]
	v_cndmask_b32_e64 v96, v130, v131, s[42:43]
	;; [unrolled: 1-line block ×6, first 2 shown]
	v_cndmask_b32_e32 v113, v84, v65, vcc
.LBB2777_58:                            ;   in Loop: Header=BB2777_48 Depth=1
	s_or_b64 exec, exec, s[60:61]
	s_cmpk_lt_u32 s62, 0x1000
	s_barrier
	s_cbranch_scc0 .LBB2777_60
; %bb.59:                               ;   in Loop: Header=BB2777_48 Depth=1
	s_mov_b32 s62, s63
	s_branch .LBB2777_48
.LBB2777_60:
	v_lshlrev_b16_e32 v7, 8, v66
	v_or_b32_sdwa v1, v1, v7 dst_sel:DWORD dst_unused:UNUSED_PAD src0_sel:BYTE_0 src1_sel:DWORD
	v_lshlrev_b16_e32 v7, 8, v68
	v_or_b32_sdwa v7, v67, v7 dst_sel:WORD_1 dst_unused:UNUSED_PAD src0_sel:BYTE_0 src1_sel:DWORD
	v_or_b32_sdwa v1, v1, v7 dst_sel:DWORD dst_unused:UNUSED_PAD src0_sel:WORD_0 src1_sel:DWORD
	v_lshlrev_b16_e32 v7, 8, v54
	v_or_b32_sdwa v0, v0, v7 dst_sel:DWORD dst_unused:UNUSED_PAD src0_sel:BYTE_0 src1_sel:DWORD
	v_lshlrev_b16_e32 v7, 8, v64
	v_or_b32_sdwa v7, v55, v7 dst_sel:WORD_1 dst_unused:UNUSED_PAD src0_sel:BYTE_0 src1_sel:DWORD
	v_or_b32_sdwa v0, v0, v7 dst_sel:DWORD dst_unused:UNUSED_PAD src0_sel:WORD_0 src1_sel:DWORD
	s_barrier
	ds_write2_b32 v53, v0, v1 offset1:1
	v_lshlrev_b16_e32 v0, 8, v80
	v_lshlrev_b16_e32 v1, 8, v85
	v_or_b32_sdwa v0, v3, v0 dst_sel:DWORD dst_unused:UNUSED_PAD src0_sel:BYTE_0 src1_sel:DWORD
	v_or_b32_sdwa v1, v83, v1 dst_sel:WORD_1 dst_unused:UNUSED_PAD src0_sel:BYTE_0 src1_sel:DWORD
	v_or_b32_sdwa v0, v0, v1 dst_sel:DWORD dst_unused:UNUSED_PAD src0_sel:WORD_0 src1_sel:DWORD
	v_lshlrev_b16_e32 v1, 8, v69
	v_or_b32_sdwa v1, v2, v1 dst_sel:DWORD dst_unused:UNUSED_PAD src0_sel:BYTE_0 src1_sel:DWORD
	v_lshlrev_b16_e32 v2, 8, v71
	v_or_b32_sdwa v2, v70, v2 dst_sel:WORD_1 dst_unused:UNUSED_PAD src0_sel:BYTE_0 src1_sel:DWORD
	v_or_b32_sdwa v1, v1, v2 dst_sel:DWORD dst_unused:UNUSED_PAD src0_sel:WORD_0 src1_sel:DWORD
	ds_write2_b32 v53, v1, v0 offset0:2 offset1:3
	v_lshlrev_b16_e32 v0, 8, v97
	v_lshlrev_b16_e32 v1, 8, v99
	v_or_b32_sdwa v0, v11, v0 dst_sel:DWORD dst_unused:UNUSED_PAD src0_sel:BYTE_0 src1_sel:DWORD
	v_or_b32_sdwa v1, v98, v1 dst_sel:WORD_1 dst_unused:UNUSED_PAD src0_sel:BYTE_0 src1_sel:DWORD
	v_or_b32_sdwa v0, v0, v1 dst_sel:DWORD dst_unused:UNUSED_PAD src0_sel:WORD_0 src1_sel:DWORD
	v_lshlrev_b16_e32 v1, 8, v86
	v_lshlrev_b16_e32 v2, 8, v96
	v_or_b32_sdwa v1, v10, v1 dst_sel:DWORD dst_unused:UNUSED_PAD src0_sel:BYTE_0 src1_sel:DWORD
	v_or_b32_sdwa v2, v87, v2 dst_sel:WORD_1 dst_unused:UNUSED_PAD src0_sel:BYTE_0 src1_sel:DWORD
	v_or_b32_sdwa v1, v1, v2 dst_sel:DWORD dst_unused:UNUSED_PAD src0_sel:WORD_0 src1_sel:DWORD
	ds_write2_b32 v53, v1, v0 offset0:4 offset1:5
	v_lshlrev_b16_e32 v0, 8, v103
	v_lshlrev_b16_e32 v1, 8, v113
	v_or_b32_sdwa v0, v13, v0 dst_sel:DWORD dst_unused:UNUSED_PAD src0_sel:BYTE_0 src1_sel:DWORD
	v_or_b32_sdwa v1, v112, v1 dst_sel:WORD_1 dst_unused:UNUSED_PAD src0_sel:BYTE_0 src1_sel:DWORD
	v_or_b32_sdwa v0, v0, v1 dst_sel:DWORD dst_unused:UNUSED_PAD src0_sel:WORD_0 src1_sel:DWORD
	v_lshlrev_b16_e32 v1, 8, v100
	v_lshlrev_b16_e32 v2, 8, v102
	v_or_b32_sdwa v1, v12, v1 dst_sel:DWORD dst_unused:UNUSED_PAD src0_sel:BYTE_0 src1_sel:DWORD
	v_or_b32_sdwa v2, v101, v2 dst_sel:WORD_1 dst_unused:UNUSED_PAD src0_sel:BYTE_0 src1_sel:DWORD
	v_or_b32_sdwa v1, v1, v2 dst_sel:DWORD dst_unused:UNUSED_PAD src0_sel:WORD_0 src1_sel:DWORD
	ds_write2_b32 v53, v1, v0 offset0:6 offset1:7
	s_waitcnt lgkmcnt(0)
	s_barrier
	ds_read_u8 v2, v8
	ds_read_u8 v3, v14 offset:256
	ds_read_u8 v7, v15 offset:512
	;; [unrolled: 1-line block ×31, first 2 shown]
	v_add_co_u32_e32 v0, vcc, v4, v6
	v_addc_co_u32_e32 v1, vcc, 0, v5, vcc
	s_movk_i32 s4, 0x1000
	s_waitcnt lgkmcnt(14)
	flat_store_byte v[0:1], v2
	flat_store_byte v[0:1], v3 offset:256
	flat_store_byte v[0:1], v7 offset:512
	flat_store_byte v[0:1], v8 offset:768
	flat_store_byte v[0:1], v11 offset:1024
	flat_store_byte v[0:1], v12 offset:1280
	flat_store_byte v[0:1], v13 offset:1536
	flat_store_byte v[0:1], v14 offset:1792
	flat_store_byte v[0:1], v15 offset:2048
	flat_store_byte v[0:1], v16 offset:2304
	flat_store_byte v[0:1], v17 offset:2560
	flat_store_byte v[0:1], v18 offset:2816
	flat_store_byte v[0:1], v19 offset:3072
	flat_store_byte v[0:1], v20 offset:3328
	flat_store_byte v[0:1], v21 offset:3584
	flat_store_byte v[0:1], v22 offset:3840
	v_add_co_u32_e32 v0, vcc, s4, v0
	s_mov_b64 s[36:37], exec
	v_addc_co_u32_e32 v1, vcc, 0, v1, vcc
	flat_store_byte v[0:1], v23
	flat_store_byte v[0:1], v24 offset:256
	s_waitcnt lgkmcnt(0)
	flat_store_byte v[0:1], v25 offset:512
	flat_store_byte v[0:1], v26 offset:768
	;; [unrolled: 1-line block ×13, first 2 shown]
                                        ; implicit-def: $vgpr0
                                        ; implicit-def: $vgpr7
                                        ; implicit-def: $vgpr1
                                        ; implicit-def: $vgpr65
                                        ; implicit-def: $vgpr81
                                        ; implicit-def: $vgpr2
                                        ; implicit-def: $vgpr3
	s_andn2_saveexec_b64 s[38:39], s[58:59]
	s_cbranch_execz .LBB2777_2
.LBB2777_61:
	v_cmp_lt_u32_e64 s[6:7], v6, v0
                                        ; implicit-def: $vgpr8
	s_mov_b64 s[4:5], exec
                                        ; implicit-def: $vgpr42 : SGPR spill to VGPR lane
	v_writelane_b32 v42, s6, 0
	v_writelane_b32 v42, s7, 1
	s_and_b64 s[6:7], s[4:5], s[6:7]
	s_mov_b64 exec, s[6:7]
	s_cbranch_execz .LBB2777_63
; %bb.62:
	v_add_co_u32_e32 v8, vcc, v2, v6
	v_addc_co_u32_e32 v9, vcc, 0, v3, vcc
	flat_load_ubyte v8, v[8:9]
.LBB2777_63:
	s_or_b64 exec, exec, s[4:5]
	v_add_u32_e32 v9, 0x100, v6
	v_cmp_lt_u32_e64 s[6:7], v9, v0
                                        ; implicit-def: $vgpr10
	s_mov_b64 s[4:5], exec
	v_writelane_b32 v42, s6, 2
	v_writelane_b32 v42, s7, 3
	s_and_b64 s[6:7], s[4:5], s[6:7]
	s_mov_b64 exec, s[6:7]
	s_cbranch_execz .LBB2777_65
; %bb.64:
	v_add_co_u32_e32 v10, vcc, v2, v6
	v_addc_co_u32_e32 v11, vcc, 0, v3, vcc
	flat_load_ubyte v10, v[10:11] offset:256
.LBB2777_65:
	s_or_b64 exec, exec, s[4:5]
	v_add_u32_e32 v11, 0x200, v6
	v_cmp_lt_u32_e64 s[6:7], v11, v0
                                        ; implicit-def: $vgpr12
	s_mov_b64 s[4:5], exec
	v_writelane_b32 v42, s6, 4
	v_writelane_b32 v42, s7, 5
	s_and_b64 s[6:7], s[4:5], s[6:7]
	s_mov_b64 exec, s[6:7]
	s_cbranch_execz .LBB2777_67
; %bb.66:
	v_add_co_u32_e32 v12, vcc, v2, v6
	v_addc_co_u32_e32 v13, vcc, 0, v3, vcc
	flat_load_ubyte v12, v[12:13] offset:512
.LBB2777_67:
	s_or_b64 exec, exec, s[4:5]
	v_add_u32_e32 v13, 0x300, v6
	v_cmp_lt_u32_e64 s[6:7], v13, v0
                                        ; implicit-def: $vgpr14
	s_mov_b64 s[4:5], exec
	v_writelane_b32 v42, s6, 6
	v_writelane_b32 v42, s7, 7
	s_and_b64 s[6:7], s[4:5], s[6:7]
	s_mov_b64 exec, s[6:7]
	s_cbranch_execz .LBB2777_69
; %bb.68:
	v_add_co_u32_e32 v14, vcc, v2, v6
	v_addc_co_u32_e32 v15, vcc, 0, v3, vcc
	flat_load_ubyte v14, v[14:15] offset:768
.LBB2777_69:
	s_or_b64 exec, exec, s[4:5]
	v_or_b32_e32 v15, 0x400, v6
	v_cmp_lt_u32_e64 s[6:7], v15, v0
                                        ; implicit-def: $vgpr16
	s_mov_b64 s[4:5], exec
	v_writelane_b32 v42, s6, 8
	v_writelane_b32 v42, s7, 9
	s_and_b64 s[6:7], s[4:5], s[6:7]
	s_mov_b64 exec, s[6:7]
	s_cbranch_execz .LBB2777_71
; %bb.70:
	v_add_co_u32_e32 v16, vcc, v2, v6
	v_addc_co_u32_e32 v17, vcc, 0, v3, vcc
	flat_load_ubyte v16, v[16:17] offset:1024
.LBB2777_71:
	s_or_b64 exec, exec, s[4:5]
	v_add_u32_e32 v17, 0x500, v6
	v_cmp_lt_u32_e64 s[6:7], v17, v0
                                        ; implicit-def: $vgpr18
	s_mov_b64 s[4:5], exec
	v_writelane_b32 v42, s6, 10
	v_writelane_b32 v42, s7, 11
	s_and_b64 s[6:7], s[4:5], s[6:7]
	s_mov_b64 exec, s[6:7]
	s_cbranch_execz .LBB2777_73
; %bb.72:
	v_add_co_u32_e32 v18, vcc, v2, v6
	v_addc_co_u32_e32 v19, vcc, 0, v3, vcc
	flat_load_ubyte v18, v[18:19] offset:1280
.LBB2777_73:
	s_or_b64 exec, exec, s[4:5]
	v_add_u32_e32 v19, 0x600, v6
	v_cmp_lt_u32_e64 s[6:7], v19, v0
                                        ; implicit-def: $vgpr20
	s_mov_b64 s[4:5], exec
	v_writelane_b32 v42, s6, 12
	v_writelane_b32 v42, s7, 13
	s_and_b64 s[6:7], s[4:5], s[6:7]
	s_mov_b64 exec, s[6:7]
	s_cbranch_execz .LBB2777_75
; %bb.74:
	v_add_co_u32_e32 v20, vcc, v2, v6
	v_addc_co_u32_e32 v21, vcc, 0, v3, vcc
	flat_load_ubyte v20, v[20:21] offset:1536
.LBB2777_75:
	s_or_b64 exec, exec, s[4:5]
	v_add_u32_e32 v21, 0x700, v6
	v_cmp_lt_u32_e64 s[6:7], v21, v0
                                        ; implicit-def: $vgpr22
	s_mov_b64 s[4:5], exec
	v_writelane_b32 v42, s6, 14
	v_writelane_b32 v42, s7, 15
	s_and_b64 s[6:7], s[4:5], s[6:7]
	s_mov_b64 exec, s[6:7]
	s_cbranch_execz .LBB2777_77
; %bb.76:
	v_add_co_u32_e32 v22, vcc, v2, v6
	v_addc_co_u32_e32 v23, vcc, 0, v3, vcc
	flat_load_ubyte v22, v[22:23] offset:1792
.LBB2777_77:
	s_or_b64 exec, exec, s[4:5]
	v_or_b32_e32 v23, 0x800, v6
	v_cmp_lt_u32_e64 s[6:7], v23, v0
                                        ; implicit-def: $vgpr24
	s_mov_b64 s[4:5], exec
	v_writelane_b32 v42, s6, 16
	v_writelane_b32 v42, s7, 17
	s_and_b64 s[6:7], s[4:5], s[6:7]
	s_mov_b64 exec, s[6:7]
	s_cbranch_execz .LBB2777_79
; %bb.78:
	v_add_co_u32_e32 v24, vcc, v2, v6
	v_addc_co_u32_e32 v25, vcc, 0, v3, vcc
	flat_load_ubyte v24, v[24:25] offset:2048
.LBB2777_79:
	s_or_b64 exec, exec, s[4:5]
	v_add_u32_e32 v25, 0x900, v6
	v_cmp_lt_u32_e64 s[6:7], v25, v0
                                        ; implicit-def: $vgpr26
	s_mov_b64 s[4:5], exec
	v_writelane_b32 v42, s6, 18
	v_writelane_b32 v42, s7, 19
	s_and_b64 s[6:7], s[4:5], s[6:7]
	s_mov_b64 exec, s[6:7]
	s_cbranch_execz .LBB2777_81
; %bb.80:
	v_add_co_u32_e32 v26, vcc, v2, v6
	v_addc_co_u32_e32 v27, vcc, 0, v3, vcc
	flat_load_ubyte v26, v[26:27] offset:2304
.LBB2777_81:
	s_or_b64 exec, exec, s[4:5]
	v_add_u32_e32 v27, 0xa00, v6
	v_cmp_lt_u32_e64 s[6:7], v27, v0
                                        ; implicit-def: $vgpr28
	s_mov_b64 s[4:5], exec
	v_writelane_b32 v42, s6, 20
	v_writelane_b32 v42, s7, 21
	s_and_b64 s[6:7], s[4:5], s[6:7]
	s_mov_b64 exec, s[6:7]
	s_cbranch_execz .LBB2777_83
; %bb.82:
	v_add_co_u32_e32 v28, vcc, v2, v6
	v_addc_co_u32_e32 v29, vcc, 0, v3, vcc
	flat_load_ubyte v28, v[28:29] offset:2560
.LBB2777_83:
	s_or_b64 exec, exec, s[4:5]
	v_add_u32_e32 v29, 0xb00, v6
	v_cmp_lt_u32_e64 s[6:7], v29, v0
                                        ; implicit-def: $vgpr30
	s_mov_b64 s[4:5], exec
	v_writelane_b32 v42, s6, 22
	v_writelane_b32 v42, s7, 23
	s_and_b64 s[6:7], s[4:5], s[6:7]
	s_mov_b64 exec, s[6:7]
	s_cbranch_execz .LBB2777_85
; %bb.84:
	v_add_co_u32_e32 v30, vcc, v2, v6
	v_addc_co_u32_e32 v31, vcc, 0, v3, vcc
	flat_load_ubyte v30, v[30:31] offset:2816
.LBB2777_85:
	s_or_b64 exec, exec, s[4:5]
	v_or_b32_e32 v31, 0xc00, v6
	v_cmp_lt_u32_e64 s[6:7], v31, v0
                                        ; implicit-def: $vgpr32
	s_mov_b64 s[4:5], exec
	v_writelane_b32 v42, s6, 24
	v_writelane_b32 v42, s7, 25
	s_and_b64 s[6:7], s[4:5], s[6:7]
	s_mov_b64 exec, s[6:7]
	s_cbranch_execz .LBB2777_87
; %bb.86:
	v_add_co_u32_e32 v32, vcc, v2, v6
	v_addc_co_u32_e32 v33, vcc, 0, v3, vcc
	flat_load_ubyte v32, v[32:33] offset:3072
.LBB2777_87:
	s_or_b64 exec, exec, s[4:5]
	v_add_u32_e32 v33, 0xd00, v6
	v_cmp_lt_u32_e64 s[6:7], v33, v0
                                        ; implicit-def: $vgpr34
	s_mov_b64 s[4:5], exec
	v_writelane_b32 v42, s6, 26
	v_writelane_b32 v42, s7, 27
	s_and_b64 s[6:7], s[4:5], s[6:7]
	s_mov_b64 exec, s[6:7]
	s_cbranch_execz .LBB2777_89
; %bb.88:
	v_add_co_u32_e32 v34, vcc, v2, v6
	v_addc_co_u32_e32 v35, vcc, 0, v3, vcc
	flat_load_ubyte v34, v[34:35] offset:3328
.LBB2777_89:
	s_or_b64 exec, exec, s[4:5]
	v_add_u32_e32 v35, 0xe00, v6
	v_cmp_lt_u32_e64 s[6:7], v35, v0
                                        ; implicit-def: $vgpr36
	s_mov_b64 s[4:5], exec
	v_writelane_b32 v42, s6, 28
	v_writelane_b32 v42, s7, 29
	s_and_b64 s[6:7], s[4:5], s[6:7]
	s_mov_b64 exec, s[6:7]
	s_cbranch_execz .LBB2777_91
; %bb.90:
	v_add_co_u32_e32 v36, vcc, v2, v6
	v_addc_co_u32_e32 v37, vcc, 0, v3, vcc
	flat_load_ubyte v36, v[36:37] offset:3584
.LBB2777_91:
	s_or_b64 exec, exec, s[4:5]
	v_add_u32_e32 v37, 0xf00, v6
	v_cmp_lt_u32_e64 s[6:7], v37, v0
                                        ; implicit-def: $vgpr38
	s_mov_b64 s[4:5], exec
	v_writelane_b32 v42, s6, 30
	v_writelane_b32 v42, s7, 31
	s_and_b64 s[6:7], s[4:5], s[6:7]
	s_mov_b64 exec, s[6:7]
	s_cbranch_execz .LBB2777_93
; %bb.92:
	v_add_co_u32_e32 v38, vcc, v2, v6
	v_addc_co_u32_e32 v39, vcc, 0, v3, vcc
	flat_load_ubyte v38, v[38:39] offset:3840
.LBB2777_93:
	s_or_b64 exec, exec, s[4:5]
	v_or_b32_e32 v39, 0x1000, v6
	v_cmp_lt_u32_e64 s[6:7], v39, v0
                                        ; implicit-def: $vgpr48
	s_mov_b64 s[4:5], exec
	v_writelane_b32 v42, s6, 32
	v_writelane_b32 v42, s7, 33
	s_and_b64 s[6:7], s[4:5], s[6:7]
	s_mov_b64 exec, s[6:7]
	s_cbranch_execz .LBB2777_95
; %bb.94:
	v_add_co_u32_e32 v48, vcc, v2, v39
	v_addc_co_u32_e32 v49, vcc, 0, v3, vcc
	flat_load_ubyte v48, v[48:49]
.LBB2777_95:
	s_or_b64 exec, exec, s[4:5]
	v_add_u32_e32 v49, 0x1100, v6
	v_cmp_lt_u32_e64 s[6:7], v49, v0
                                        ; implicit-def: $vgpr50
	s_mov_b64 s[4:5], exec
	v_writelane_b32 v42, s6, 34
	v_writelane_b32 v42, s7, 35
	s_and_b64 s[6:7], s[4:5], s[6:7]
	s_mov_b64 exec, s[6:7]
	s_cbranch_execz .LBB2777_97
; %bb.96:
	v_add_co_u32_e32 v50, vcc, v2, v49
	v_addc_co_u32_e32 v51, vcc, 0, v3, vcc
	flat_load_ubyte v50, v[50:51]
.LBB2777_97:
	s_or_b64 exec, exec, s[4:5]
	v_add_u32_e32 v51, 0x1200, v6
	v_cmp_lt_u32_e64 s[6:7], v51, v0
                                        ; implicit-def: $vgpr52
	s_mov_b64 s[4:5], exec
	v_writelane_b32 v42, s6, 36
	v_writelane_b32 v42, s7, 37
	s_and_b64 s[6:7], s[4:5], s[6:7]
	s_mov_b64 exec, s[6:7]
	s_cbranch_execz .LBB2777_99
; %bb.98:
	v_add_co_u32_e32 v52, vcc, v2, v51
	v_addc_co_u32_e32 v53, vcc, 0, v3, vcc
	flat_load_ubyte v52, v[52:53]
.LBB2777_99:
	s_or_b64 exec, exec, s[4:5]
	v_add_u32_e32 v53, 0x1300, v6
	v_cmp_lt_u32_e64 s[42:43], v53, v0
                                        ; implicit-def: $vgpr54
	s_and_saveexec_b64 s[4:5], s[42:43]
	s_cbranch_execz .LBB2777_101
; %bb.100:
	v_add_co_u32_e32 v54, vcc, v2, v53
	v_addc_co_u32_e32 v55, vcc, 0, v3, vcc
	flat_load_ubyte v54, v[54:55]
.LBB2777_101:
	s_or_b64 exec, exec, s[4:5]
	v_or_b32_e32 v55, 0x1400, v6
	v_cmp_lt_u32_e64 s[44:45], v55, v0
                                        ; implicit-def: $vgpr64
	s_and_saveexec_b64 s[4:5], s[44:45]
	s_cbranch_execz .LBB2777_103
; %bb.102:
	v_add_co_u32_e32 v66, vcc, v2, v55
	v_addc_co_u32_e32 v67, vcc, 0, v3, vcc
	flat_load_ubyte v64, v[66:67]
.LBB2777_103:
	s_or_b64 exec, exec, s[4:5]
	v_add_u32_e32 v66, 0x1500, v6
	v_cmp_lt_u32_e64 s[46:47], v66, v0
                                        ; implicit-def: $vgpr67
	s_and_saveexec_b64 s[4:5], s[46:47]
	s_cbranch_execz .LBB2777_105
; %bb.104:
	v_add_co_u32_e32 v68, vcc, v2, v66
	v_addc_co_u32_e32 v69, vcc, 0, v3, vcc
	flat_load_ubyte v67, v[68:69]
.LBB2777_105:
	s_or_b64 exec, exec, s[4:5]
	v_add_u32_e32 v68, 0x1600, v6
	v_cmp_lt_u32_e64 s[48:49], v68, v0
                                        ; implicit-def: $vgpr69
	s_and_saveexec_b64 s[4:5], s[48:49]
	s_cbranch_execz .LBB2777_107
; %bb.106:
	v_add_co_u32_e32 v70, vcc, v2, v68
	v_addc_co_u32_e32 v71, vcc, 0, v3, vcc
	flat_load_ubyte v69, v[70:71]
.LBB2777_107:
	s_or_b64 exec, exec, s[4:5]
	v_add_u32_e32 v70, 0x1700, v6
	v_cmp_lt_u32_e64 s[50:51], v70, v0
                                        ; implicit-def: $vgpr71
	s_and_saveexec_b64 s[4:5], s[50:51]
	s_cbranch_execz .LBB2777_109
; %bb.108:
	v_add_co_u32_e32 v82, vcc, v2, v70
	v_addc_co_u32_e32 v83, vcc, 0, v3, vcc
	flat_load_ubyte v71, v[82:83]
.LBB2777_109:
	s_or_b64 exec, exec, s[4:5]
	v_or_b32_e32 v80, 0x1800, v6
	v_cmp_lt_u32_e64 s[52:53], v80, v0
                                        ; implicit-def: $vgpr82
	s_and_saveexec_b64 s[4:5], s[52:53]
	s_cbranch_execz .LBB2777_111
; %bb.110:
	v_add_co_u32_e32 v82, vcc, v2, v80
	v_addc_co_u32_e32 v83, vcc, 0, v3, vcc
	flat_load_ubyte v82, v[82:83]
.LBB2777_111:
	s_or_b64 exec, exec, s[4:5]
	v_add_u32_e32 v83, 0x1900, v6
	v_cmp_lt_u32_e64 s[54:55], v83, v0
                                        ; implicit-def: $vgpr84
	s_and_saveexec_b64 s[4:5], s[54:55]
	s_cbranch_execz .LBB2777_113
; %bb.112:
	v_add_co_u32_e32 v84, vcc, v2, v83
	v_addc_co_u32_e32 v85, vcc, 0, v3, vcc
	flat_load_ubyte v84, v[84:85]
.LBB2777_113:
	s_or_b64 exec, exec, s[4:5]
	v_add_u32_e32 v85, 0x1a00, v6
	v_cmp_lt_u32_e64 s[56:57], v85, v0
                                        ; implicit-def: $vgpr86
	s_and_saveexec_b64 s[4:5], s[56:57]
	s_cbranch_execz .LBB2777_115
; %bb.114:
	v_add_co_u32_e32 v86, vcc, v2, v85
	v_addc_co_u32_e32 v87, vcc, 0, v3, vcc
	flat_load_ubyte v86, v[86:87]
.LBB2777_115:
	s_or_b64 exec, exec, s[4:5]
	v_add_u32_e32 v87, 0x1b00, v6
	v_cmp_lt_u32_e64 s[58:59], v87, v0
                                        ; implicit-def: $vgpr96
	s_and_saveexec_b64 s[4:5], s[58:59]
	s_cbranch_execz .LBB2777_117
; %bb.116:
	v_add_co_u32_e32 v96, vcc, v2, v87
	v_addc_co_u32_e32 v97, vcc, 0, v3, vcc
	flat_load_ubyte v96, v[96:97]
.LBB2777_117:
	s_or_b64 exec, exec, s[4:5]
	v_or_b32_e32 v97, 0x1c00, v6
	v_cmp_lt_u32_e64 s[60:61], v97, v0
                                        ; implicit-def: $vgpr98
	s_and_saveexec_b64 s[4:5], s[60:61]
	s_cbranch_execz .LBB2777_119
; %bb.118:
	v_add_co_u32_e32 v98, vcc, v2, v97
	v_addc_co_u32_e32 v99, vcc, 0, v3, vcc
	flat_load_ubyte v98, v[98:99]
.LBB2777_119:
	s_or_b64 exec, exec, s[4:5]
	v_add_u32_e32 v99, 0x1d00, v6
	v_cmp_lt_u32_e64 s[62:63], v99, v0
                                        ; implicit-def: $vgpr100
	s_and_saveexec_b64 s[4:5], s[62:63]
	s_cbranch_execz .LBB2777_121
; %bb.120:
	v_add_co_u32_e32 v100, vcc, v2, v99
	v_addc_co_u32_e32 v101, vcc, 0, v3, vcc
	flat_load_ubyte v100, v[100:101]
.LBB2777_121:
	s_or_b64 exec, exec, s[4:5]
	v_add_u32_e32 v101, 0x1e00, v6
	v_cmp_lt_u32_e64 s[64:65], v101, v0
                                        ; implicit-def: $vgpr102
	s_and_saveexec_b64 s[4:5], s[64:65]
	s_cbranch_execz .LBB2777_123
; %bb.122:
	v_add_co_u32_e32 v102, vcc, v2, v101
	v_addc_co_u32_e32 v103, vcc, 0, v3, vcc
	flat_load_ubyte v102, v[102:103]
.LBB2777_123:
	s_or_b64 exec, exec, s[4:5]
	v_add_u32_e32 v103, 0x1f00, v6
	v_cmp_lt_u32_e64 s[66:67], v103, v0
                                        ; implicit-def: $vgpr112
	s_and_saveexec_b64 s[4:5], s[66:67]
	s_cbranch_execz .LBB2777_125
; %bb.124:
	v_add_co_u32_e32 v2, vcc, v2, v103
	v_addc_co_u32_e32 v3, vcc, 0, v3, vcc
	flat_load_ubyte v112, v[2:3]
.LBB2777_125:
	s_or_b64 exec, exec, s[4:5]
	v_and_b32_e32 v1, 28, v1
	v_add_u32_e32 v2, v1, v6
	v_lshrrev_b32_e32 v1, 5, v9
	v_and_b32_e32 v1, 60, v1
	v_add_u32_e32 v1, v1, v6
	s_waitcnt vmcnt(0) lgkmcnt(0)
	ds_write_b8 v2, v8
	ds_write_b8 v1, v10 offset:256
	v_lshrrev_b32_e32 v3, 5, v11
	v_lshrrev_b32_e32 v8, 5, v13
	;; [unrolled: 1-line block ×4, first 2 shown]
	v_and_b32_e32 v3, 60, v3
	v_and_b32_e32 v8, 60, v8
	;; [unrolled: 1-line block ×4, first 2 shown]
	v_add_u32_e32 v3, v3, v6
	v_add_u32_e32 v8, v8, v6
	;; [unrolled: 1-line block ×4, first 2 shown]
	ds_write_b8 v3, v12 offset:512
	ds_write_b8 v8, v14 offset:768
	ds_write_b8 v9, v16 offset:1024
	ds_write_b8 v10, v18 offset:1280
	v_lshrrev_b32_e32 v11, 5, v19
	v_lshrrev_b32_e32 v12, 5, v21
	;; [unrolled: 1-line block ×9, first 2 shown]
	v_and_b32_e32 v11, 0x7c, v11
	v_and_b32_e32 v12, 0x7c, v12
	;; [unrolled: 1-line block ×9, first 2 shown]
	v_add_u32_e32 v11, v11, v6
	v_add_u32_e32 v12, v12, v6
	;; [unrolled: 1-line block ×9, first 2 shown]
	ds_write_b8 v11, v20 offset:1536
	ds_write_b8 v12, v22 offset:1792
	;; [unrolled: 1-line block ×9, first 2 shown]
	v_lshrrev_b32_e32 v20, 5, v37
	v_lshrrev_b32_e32 v21, 5, v39
	;; [unrolled: 1-line block ×17, first 2 shown]
	v_and_b32_e32 v20, 0xfc, v20
	v_and_b32_e32 v21, 0x9c, v21
	;; [unrolled: 1-line block ×18, first 2 shown]
	v_add_u32_e32 v20, v20, v6
	v_add_u32_e32 v21, v21, v6
	;; [unrolled: 1-line block ×18, first 2 shown]
	ds_write_b8 v20, v38 offset:3840
	ds_write_b8 v21, v48 offset:4096
	;; [unrolled: 1-line block ×17, first 2 shown]
	s_waitcnt lgkmcnt(0)
	s_barrier
	ds_read2_b32 v[38:39], v37 offset1:1
	ds_read2_b32 v[48:49], v37 offset0:2 offset1:3
	ds_read2_b32 v[50:51], v37 offset0:4 offset1:5
	;; [unrolled: 1-line block ×3, first 2 shown]
	s_waitcnt lgkmcnt(0)
	s_barrier
	s_load_dwordx2 s[4:5], s[8:9], 0x0
	v_mov_b32_e32 v52, 0
	v_lshrrev_b32_e32 v80, 16, v38
	v_lshrrev_b64 v[66:67], 24, v[38:39]
	v_lshrrev_b32_e32 v64, 8, v38
	s_waitcnt lgkmcnt(0)
	s_cmp_lt_u32 s12, s4
	s_cselect_b32 s6, 12, 18
	s_cmp_lt_u32 s13, s5
	s_cselect_b32 s4, 14, 20
	s_add_u32 s4, s8, s4
	s_addc_u32 s5, s9, 0
	s_add_u32 s6, s8, s6
	global_load_ushort v53, v52, s[4:5]
	s_addc_u32 s7, s9, 0
	global_load_ushort v52, v52, s[6:7]
	v_cmp_gt_i16_sdwa s[6:7], sext(v80), sext(v66) src0_sel:BYTE_0 src1_sel:BYTE_0
	v_lshrrev_b32_e32 v67, 8, v39
	v_cmp_gt_i16_sdwa s[4:5], sext(v38), sext(v64) src0_sel:BYTE_0 src1_sel:BYTE_0
	v_lshrrev_b32_e32 v84, 16, v39
	v_lshrrev_b32_e32 v85, 24, v39
	;; [unrolled: 1-line block ×4, first 2 shown]
	v_lshrrev_b64 v[68:69], 24, v[48:49]
	v_lshrrev_b32_e32 v69, 8, v49
	v_lshrrev_b32_e32 v96, 16, v49
	v_lshrrev_b32_e32 v97, 24, v49
	v_cmp_gt_i16_sdwa s[8:9], sext(v49), sext(v69) src0_sel:BYTE_0 src1_sel:BYTE_0
	v_lshrrev_b32_e32 v98, 8, v50
	v_lshrrev_b32_e32 v99, 16, v50
	v_lshrrev_b64 v[70:71], 24, v[50:51]
	v_lshrrev_b32_e32 v71, 8, v51
	v_lshrrev_b32_e32 v100, 16, v51
	;; [unrolled: 1-line block ×5, first 2 shown]
	v_lshrrev_b64 v[82:83], 24, v[54:55]
	v_lshrrev_b32_e32 v83, 8, v55
	v_lshrrev_b32_e32 v112, 16, v55
	s_waitcnt vmcnt(1)
	v_mad_u32_u24 v53, v65, v53, v81
	v_lshrrev_b32_e32 v65, 24, v55
	s_waitcnt vmcnt(0)
	v_mul_lo_u32 v52, v53, v52
	v_add_lshl_u32 v52, v52, v6, 5
	v_sub_u32_e64 v53, v0, v52 clamp
	v_cmp_lt_u32_e64 s[14:15], 3, v53
	v_cmp_lt_u32_e64 s[12:13], 1, v53
	s_and_b64 vcc, s[14:15], s[6:7]
	v_cndmask_b32_e32 v81, v66, v80, vcc
	v_cndmask_b32_e32 v66, v80, v66, vcc
	s_and_b64 vcc, s[12:13], s[4:5]
	v_cmp_lt_u32_e64 s[16:17], 5, v53
	v_cmp_gt_i16_sdwa s[4:5], sext(v39), sext(v67) src0_sel:BYTE_0 src1_sel:BYTE_0
	v_cndmask_b32_e32 v80, v64, v38, vcc
	v_cndmask_b32_e32 v38, v38, v64, vcc
	s_and_b64 vcc, s[16:17], s[4:5]
	v_cmp_lt_u32_e64 s[18:19], 7, v53
	v_cmp_gt_i16_sdwa s[4:5], sext(v84), sext(v85) src0_sel:BYTE_0 src1_sel:BYTE_0
	;; [unrolled: 5-line block ×4, first 2 shown]
	v_cndmask_b32_e32 v85, v86, v48, vcc
	v_cndmask_b32_e32 v48, v48, v86, vcc
	s_and_b64 vcc, s[4:5], s[6:7]
	v_cmp_lt_u32_e64 s[6:7], 13, v53
	v_cndmask_b32_e32 v86, v68, v87, vcc
	v_cndmask_b32_e32 v68, v87, v68, vcc
	s_and_b64 vcc, s[6:7], s[8:9]
	v_cmp_lt_u32_e64 s[68:69], 15, v53
	v_cmp_gt_i16_sdwa s[8:9], sext(v96), sext(v97) src0_sel:BYTE_0 src1_sel:BYTE_0
	v_cndmask_b32_e32 v87, v69, v49, vcc
	v_cndmask_b32_e32 v49, v49, v69, vcc
	s_and_b64 vcc, s[68:69], s[8:9]
	v_cmp_lt_u32_e64 s[10:11], 17, v53
	v_cmp_gt_i16_sdwa s[8:9], sext(v50), sext(v98) src0_sel:BYTE_0 src1_sel:BYTE_0
	;; [unrolled: 5-line block ×13, first 2 shown]
	s_and_b64 s[20:21], s[34:35], s[20:21]
	v_cndmask_b32_e32 v81, v84, v64, vcc
	v_cndmask_b32_e32 v64, v64, v84, vcc
	v_cndmask_b32_e64 v84, v48, v67, s[20:21]
	v_cndmask_b32_e64 v48, v67, v48, s[20:21]
	v_cmp_lt_u32_e64 s[20:21], 10, v53
	v_cmp_gt_i16_sdwa s[22:23], sext(v85), sext(v68) src0_sel:BYTE_0 src1_sel:BYTE_0
	s_and_b64 s[22:23], s[20:21], s[22:23]
	v_cndmask_b32_e64 v67, v68, v85, s[22:23]
	v_cndmask_b32_e64 v68, v85, v68, s[22:23]
	v_cmp_lt_u32_e64 s[22:23], 12, v53
	v_cmp_gt_i16_sdwa s[24:25], sext(v86), sext(v49) src0_sel:BYTE_0 src1_sel:BYTE_0
	s_and_b64 s[24:25], s[22:23], s[24:25]
	v_cndmask_b32_e64 v85, v49, v86, s[24:25]
	v_cndmask_b32_e64 v49, v86, v49, s[24:25]
	v_cmp_lt_u32_e64 s[24:25], 14, v53
	v_cmp_gt_i16_sdwa vcc, sext(v87), sext(v96) src0_sel:BYTE_0 src1_sel:BYTE_0
	s_and_b64 s[82:83], s[24:25], vcc
	v_cmp_lt_u32_e64 s[96:97], 16, v53
	v_cmp_gt_i16_sdwa vcc, sext(v69), sext(v50) src0_sel:BYTE_0 src1_sel:BYTE_0
	v_cndmask_b32_e64 v86, v96, v87, s[82:83]
	v_cndmask_b32_e64 v87, v87, v96, s[82:83]
	s_and_b64 s[82:83], s[96:97], vcc
	v_cndmask_b32_e64 v96, v50, v69, s[82:83]
	v_cndmask_b32_e64 v50, v69, v50, s[82:83]
	v_cmp_lt_u32_e64 s[82:83], 18, v53
	v_cmp_gt_i16_sdwa vcc, sext(v97), sext(v70) src0_sel:BYTE_0 src1_sel:BYTE_0
	s_and_b64 s[84:85], s[82:83], vcc
	v_cmp_lt_u32_e64 s[86:87], 20, v53
	v_cmp_gt_i16_sdwa vcc, sext(v98), sext(v51) src0_sel:BYTE_0 src1_sel:BYTE_0
	v_cndmask_b32_e64 v69, v70, v97, s[84:85]
	v_cndmask_b32_e64 v70, v97, v70, s[84:85]
	s_and_b64 s[84:85], s[86:87], vcc
	v_cmp_lt_u32_e64 s[90:91], 22, v53
	v_cmp_gt_i16_sdwa vcc, sext(v99), sext(v100) src0_sel:BYTE_0 src1_sel:BYTE_0
	v_cndmask_b32_e64 v97, v51, v98, s[84:85]
	v_cndmask_b32_e64 v51, v98, v51, s[84:85]
	;; [unrolled: 5-line block ×5, first 2 shown]
	s_and_b64 s[84:85], s[88:89], vcc
	v_cndmask_b32_e64 v102, v82, v103, s[84:85]
	v_cndmask_b32_e64 v82, v103, v82, s[84:85]
	v_cmp_lt_u32_e64 s[84:85], 30, v53
	v_cmp_gt_i16_sdwa vcc, sext(v55), sext(v83) src0_sel:BYTE_0 src1_sel:BYTE_0
	s_and_b64 vcc, s[84:85], vcc
	v_cndmask_b32_e32 v53, v55, v83, vcc
	v_cndmask_b32_e32 v55, v83, v55, vcc
	v_cmp_gt_i16_sdwa vcc, sext(v38), sext(v66) src0_sel:BYTE_0 src1_sel:BYTE_0
	s_and_b64 vcc, s[12:13], vcc
	v_cndmask_b32_e32 v83, v66, v38, vcc
	v_cndmask_b32_e32 v38, v38, v66, vcc
	;; [unrolled: 4-line block ×428, first 2 shown]
	v_cmp_gt_i16_sdwa vcc, sext(v38), sext(v53) src0_sel:BYTE_0 src1_sel:BYTE_0
	s_and_b64 vcc, s[12:13], vcc
	v_cmp_gt_i16_sdwa s[12:13], sext(v55), sext(v39) src0_sel:BYTE_0 src1_sel:BYTE_0
	v_cndmask_b32_e32 v69, v53, v38, vcc
	v_cndmask_b32_e32 v38, v38, v53, vcc
	s_and_b64 vcc, s[14:15], s[12:13]
	v_cmp_gt_i16_sdwa s[12:13], sext(v67), sext(v64) src0_sel:BYTE_0 src1_sel:BYTE_0
	v_cndmask_b32_e32 v53, v39, v55, vcc
	v_cndmask_b32_e32 v39, v55, v39, vcc
	s_and_b64 vcc, s[16:17], s[12:13]
	;; [unrolled: 4-line block ×16, first 2 shown]
	v_cmp_gt_i16_sdwa s[4:5], sext(v83), sext(v98) src0_sel:BYTE_0 src1_sel:BYTE_0
	s_and_b64 s[4:5], s[86:87], s[4:5]
	v_cndmask_b32_e64 v101, v98, v83, s[4:5]
	v_cndmask_b32_e64 v83, v83, v98, s[4:5]
	v_cmp_gt_i16_sdwa s[4:5], sext(v84), sext(v99) src0_sel:BYTE_0 src1_sel:BYTE_0
	s_and_b64 s[4:5], s[90:91], s[4:5]
	v_cndmask_b32_e32 v80, v70, v116, vcc
	v_cndmask_b32_e64 v98, v99, v84, s[4:5]
	v_cndmask_b32_e64 v84, v84, v99, s[4:5]
	v_cmp_gt_i16_sdwa s[4:5], sext(v85), sext(v100) src0_sel:BYTE_0 src1_sel:BYTE_0
	v_cndmask_b32_e32 v81, v116, v70, vcc
	v_lshlrev_b16_e32 v70, 8, v68
	v_lshlrev_b16_e32 v71, 8, v80
	s_and_b64 s[4:5], s[92:93], s[4:5]
	v_or_b32_sdwa v70, v67, v70 dst_sel:DWORD dst_unused:UNUSED_PAD src0_sel:BYTE_0 src1_sel:DWORD
	v_or_b32_sdwa v71, v69, v71 dst_sel:WORD_1 dst_unused:UNUSED_PAD src0_sel:BYTE_0 src1_sel:DWORD
	v_cndmask_b32_e64 v99, v100, v85, s[4:5]
	v_cndmask_b32_e64 v85, v85, v100, s[4:5]
	v_cmp_gt_i16_sdwa s[4:5], sext(v86), sext(v96) src0_sel:BYTE_0 src1_sel:BYTE_0
	v_or_b32_sdwa v117, v70, v71 dst_sel:DWORD dst_unused:UNUSED_PAD src0_sel:WORD_0 src1_sel:DWORD
	v_lshlrev_b16_e32 v70, 8, v64
	v_lshlrev_b16_e32 v71, 8, v66
	s_and_b64 s[4:5], s[94:95], s[4:5]
	v_or_b32_sdwa v70, v55, v70 dst_sel:DWORD dst_unused:UNUSED_PAD src0_sel:BYTE_0 src1_sel:DWORD
	v_or_b32_sdwa v71, v65, v71 dst_sel:WORD_1 dst_unused:UNUSED_PAD src0_sel:BYTE_0 src1_sel:DWORD
	v_cndmask_b32_e64 v100, v86, v96, s[4:5]
	v_cndmask_b32_e64 v86, v96, v86, s[4:5]
	v_cmp_gt_i16_sdwa s[4:5], sext(v87), sext(v97) src0_sel:BYTE_0 src1_sel:BYTE_0
	v_cmp_gt_i16_sdwa s[10:11], sext(v101), sext(v84) src0_sel:BYTE_0 src1_sel:BYTE_0
	v_or_b32_sdwa v116, v70, v71 dst_sel:DWORD dst_unused:UNUSED_PAD src0_sel:WORD_0 src1_sel:DWORD
	v_lshlrev_b16_e32 v70, 8, v51
	v_lshlrev_b16_e32 v71, 8, v54
	s_and_b64 s[4:5], s[88:89], s[4:5]
	s_and_b64 s[10:11], s[72:73], s[10:11]
	v_or_b32_sdwa v70, v50, v70 dst_sel:DWORD dst_unused:UNUSED_PAD src0_sel:BYTE_0 src1_sel:DWORD
	v_or_b32_sdwa v71, v53, v71 dst_sel:WORD_1 dst_unused:UNUSED_PAD src0_sel:BYTE_0 src1_sel:DWORD
	v_cndmask_b32_e64 v96, v87, v97, s[4:5]
	v_cndmask_b32_e64 v118, v97, v87, s[4:5]
	;; [unrolled: 1-line block ×4, first 2 shown]
	v_cmp_gt_i16_sdwa s[10:11], sext(v98), sext(v85) src0_sel:BYTE_0 src1_sel:BYTE_0
	v_or_b32_sdwa v115, v70, v71 dst_sel:DWORD dst_unused:UNUSED_PAD src0_sel:WORD_0 src1_sel:DWORD
	v_lshlrev_b16_e32 v70, 8, v49
	v_lshlrev_b16_e32 v71, 8, v39
	s_and_b64 s[10:11], s[74:75], s[10:11]
	v_or_b32_sdwa v70, v48, v70 dst_sel:WORD_1 dst_unused:UNUSED_PAD src0_sel:BYTE_0 src1_sel:DWORD
	v_or_b32_sdwa v71, v38, v71 dst_sel:DWORD dst_unused:UNUSED_PAD src0_sel:BYTE_0 src1_sel:DWORD
	v_cndmask_b32_e64 v84, v85, v98, s[10:11]
	v_cndmask_b32_e64 v85, v98, v85, s[10:11]
	v_cmp_gt_i16_sdwa s[10:11], sext(v99), sext(v100) src0_sel:BYTE_0 src1_sel:BYTE_0
	v_or_b32_sdwa v114, v71, v70 dst_sel:DWORD dst_unused:UNUSED_PAD src0_sel:WORD_0 src1_sel:DWORD
	v_mbcnt_lo_u32_b32 v70, -1, 0
	s_and_b64 s[10:11], s[76:77], s[10:11]
	v_mbcnt_hi_u32_b32 v70, -1, v70
	v_cndmask_b32_e64 v101, v100, v99, s[10:11]
	v_cndmask_b32_e64 v97, v99, v100, s[10:11]
	v_cmp_gt_i16_sdwa s[10:11], sext(v86), sext(v96) src0_sel:BYTE_0 src1_sel:BYTE_0
	v_cmp_gt_i16_sdwa s[40:41], sext(v102), sext(v82) src0_sel:BYTE_0 src1_sel:BYTE_0
	v_and_b32_e32 v52, 0xfffff800, v52
	v_lshlrev_b32_e32 v70, 5, v70
	s_and_b64 s[10:11], s[80:81], s[10:11]
	v_add_u32_e32 v71, v52, v70
	s_and_b64 vcc, s[8:9], s[40:41]
	v_cndmask_b32_e64 v100, v86, v96, s[10:11]
	v_cndmask_b32_e64 v129, v96, v86, s[10:11]
	v_cmp_gt_i16_sdwa s[10:11], sext(v87), sext(v85) src0_sel:BYTE_0 src1_sel:BYTE_0
	ds_write_b128 v71, v[114:117]
	v_cndmask_b32_e32 v117, v102, v82, vcc
	s_and_b64 s[10:11], s[90:91], s[10:11]
	v_cmp_gt_i16_sdwa s[4:5], sext(v103), sext(v117) src0_sel:BYTE_0 src1_sel:BYTE_0
	v_cndmask_b32_e64 v96, v85, v87, s[10:11]
	v_cndmask_b32_e64 v87, v87, v85, s[10:11]
	v_cmp_gt_i16_sdwa s[10:11], sext(v84), sext(v97) src0_sel:BYTE_0 src1_sel:BYTE_0
	s_and_b64 s[4:5], s[84:85], s[4:5]
	s_and_b64 s[10:11], s[92:93], s[10:11]
	v_cndmask_b32_e64 v119, v103, v117, s[4:5]
	v_cndmask_b32_e64 v98, v97, v84, s[10:11]
	;; [unrolled: 1-line block ×3, first 2 shown]
	v_cmp_gt_i16_sdwa s[10:11], sext(v101), sext(v100) src0_sel:BYTE_0 src1_sel:BYTE_0
	v_cmp_gt_i16_sdwa s[12:13], sext(v118), sext(v119) src0_sel:BYTE_0 src1_sel:BYTE_0
	s_and_b64 s[10:11], s[94:95], s[10:11]
	v_cndmask_b32_e64 v99, v101, v100, s[10:11]
	v_cndmask_b32_e64 v100, v100, v101, s[10:11]
	s_and_b64 s[10:11], s[70:71], s[12:13]
	v_cndmask_b32_e64 v130, v118, v119, s[10:11]
	v_cmp_gt_i16_sdwa s[6:7], sext(v112), sext(v83) src0_sel:BYTE_0 src1_sel:BYTE_0
	v_cmp_gt_i16_sdwa s[12:13], sext(v129), sext(v130) src0_sel:BYTE_0 src1_sel:BYTE_0
	s_and_b64 s[6:7], s[78:79], s[6:7]
	s_and_b64 s[12:13], s[88:89], s[12:13]
	v_cndmask_b32_e64 v114, v83, v112, s[6:7]
	v_cndmask_b32_e64 v101, v129, v130, s[12:13]
	;; [unrolled: 1-line block ×3, first 2 shown]
	v_cmp_gt_i16_sdwa s[14:15], sext(v114), sext(v128) src0_sel:BYTE_0 src1_sel:BYTE_0
	v_lshlrev_b16_e32 v84, 8, v99
	v_lshlrev_b16_e32 v85, 8, v101
	v_cmp_gt_i16_sdwa s[6:7], sext(v113), sext(v83) src0_sel:BYTE_0 src1_sel:BYTE_0
	v_or_b32_sdwa v84, v98, v84 dst_sel:DWORD dst_unused:UNUSED_PAD src0_sel:BYTE_0 src1_sel:DWORD
	v_or_b32_sdwa v85, v100, v85 dst_sel:WORD_1 dst_unused:UNUSED_PAD src0_sel:BYTE_0 src1_sel:DWORD
	s_and_b64 s[14:15], s[86:87], s[14:15]
	v_lshlrev_b16_e32 v116, 8, v97
	s_and_b64 s[6:7], s[82:83], s[6:7]
	v_or_b32_sdwa v131, v96, v116 dst_sel:WORD_1 dst_unused:UNUSED_PAD src0_sel:BYTE_0 src1_sel:DWORD
	v_or_b32_sdwa v116, v84, v85 dst_sel:DWORD dst_unused:UNUSED_PAD src0_sel:WORD_0 src1_sel:DWORD
	v_cndmask_b32_e64 v84, v83, v113, s[6:7]
	v_cndmask_b32_e64 v83, v113, v83, s[6:7]
	;; [unrolled: 1-line block ×3, first 2 shown]
	v_cndmask_b32_e32 v82, v82, v102, vcc
	v_cndmask_b32_e64 v102, v117, v103, s[4:5]
	v_lshlrev_b16_e32 v112, 8, v83
	v_lshlrev_b16_e32 v113, 8, v85
	v_cmp_gt_i16_sdwa s[4:5], sext(v102), sext(v82) src0_sel:BYTE_0 src1_sel:BYTE_0
	v_or_b32_sdwa v112, v81, v112 dst_sel:DWORD dst_unused:UNUSED_PAD src0_sel:BYTE_0 src1_sel:DWORD
	v_or_b32_sdwa v113, v84, v113 dst_sel:WORD_1 dst_unused:UNUSED_PAD src0_sel:BYTE_0 src1_sel:DWORD
	s_and_b64 vcc, s[8:9], s[4:5]
	v_cndmask_b32_e64 v86, v128, v114, s[14:15]
	v_or_b32_sdwa v114, v112, v113 dst_sel:DWORD dst_unused:UNUSED_PAD src0_sel:WORD_0 src1_sel:DWORD
	v_cndmask_b32_e64 v112, v119, v118, s[10:11]
	v_cndmask_b32_e32 v117, v102, v82, vcc
	v_cmp_gt_i16_sdwa s[4:5], sext(v112), sext(v117) src0_sel:BYTE_0 src1_sel:BYTE_0
	v_cndmask_b32_e32 v113, v82, v102, vcc
	s_and_b64 vcc, s[84:85], s[4:5]
	v_cndmask_b32_e32 v103, v112, v117, vcc
	v_lshlrev_b16_e32 v115, 8, v87
	v_cndmask_b32_e64 v102, v130, v129, s[12:13]
	v_cndmask_b32_e32 v112, v117, v112, vcc
	v_lshlrev_b16_e32 v82, 8, v103
	v_lshlrev_b16_e32 v117, 8, v113
	v_or_b32_sdwa v115, v86, v115 dst_sel:DWORD dst_unused:UNUSED_PAD src0_sel:BYTE_0 src1_sel:DWORD
	v_or_b32_sdwa v82, v102, v82 dst_sel:DWORD dst_unused:UNUSED_PAD src0_sel:BYTE_0 src1_sel:DWORD
	v_or_b32_sdwa v117, v112, v117 dst_sel:WORD_1 dst_unused:UNUSED_PAD src0_sel:BYTE_0 src1_sel:DWORD
	v_or_b32_sdwa v115, v115, v131 dst_sel:DWORD dst_unused:UNUSED_PAD src0_sel:WORD_0 src1_sel:DWORD
	v_or_b32_sdwa v117, v82, v117 dst_sel:DWORD dst_unused:UNUSED_PAD src0_sel:WORD_0 src1_sel:DWORD
	ds_write_b128 v71, v[114:117] offset:16
	v_sub_u32_e64 v82, v0, v52 clamp
	v_or_b32_e32 v114, 32, v70
	v_min_u32_e32 v114, v82, v114
	v_add_u32_e32 v115, 32, v114
	v_min_u32_e32 v115, v82, v115
	v_and_b32_e32 v116, 32, v70
	v_min_u32_e32 v117, v82, v116
	v_sub_u32_e32 v116, v115, v114
	v_sub_u32_e64 v118, v117, v116 clamp
	v_and_b32_e32 v116, 0xfc0, v70
	v_sub_u32_e32 v119, v114, v116
	v_min_u32_e32 v119, v117, v119
	v_cmp_lt_u32_e32 vcc, v118, v119
	; wave barrier
	s_and_saveexec_b64 s[4:5], vcc
	s_cbranch_execz .LBB2777_129
; %bb.126:
	v_add_u32_e32 v128, v52, v116
	v_add3_u32 v129, v52, v114, v117
	s_mov_b64 s[6:7], 0
.LBB2777_127:                           ; =>This Inner Loop Header: Depth=1
	v_add_u32_e32 v130, v119, v118
	v_lshrrev_b32_e32 v130, 1, v130
	v_add_u32_e32 v131, v128, v130
	v_xad_u32 v132, v130, -1, v129
	ds_read_i8 v131, v131
	ds_read_i8 v132, v132
	v_add_u32_e32 v133, 1, v130
	s_waitcnt lgkmcnt(0)
	v_cmp_gt_i16_e32 vcc, v131, v132
	v_cndmask_b32_e32 v119, v119, v130, vcc
	v_cndmask_b32_e32 v118, v133, v118, vcc
	v_cmp_ge_u32_e32 vcc, v118, v119
	s_or_b64 s[6:7], vcc, s[6:7]
	s_andn2_b64 exec, exec, s[6:7]
	s_cbranch_execnz .LBB2777_127
; %bb.128:
	s_or_b64 exec, exec, s[6:7]
.LBB2777_129:
	s_or_b64 exec, exec, s[4:5]
	v_add_u32_e32 v117, v114, v117
	v_add_u32_e32 v116, v118, v116
	v_sub_u32_e32 v117, v117, v118
	v_cmp_le_u32_e32 vcc, v116, v114
	v_cmp_le_u32_e64 s[4:5], v117, v115
	s_or_b64 s[4:5], vcc, s[4:5]
	s_and_saveexec_b64 s[8:9], s[4:5]
	s_cbranch_execz .LBB2777_135
; %bb.130:
	v_cmp_lt_u32_e32 vcc, v116, v114
                                        ; implicit-def: $vgpr39
	s_and_saveexec_b64 s[4:5], vcc
	s_cbranch_execz .LBB2777_132
; %bb.131:
	v_add_u32_e32 v38, v52, v116
	ds_read_u8 v39, v38
.LBB2777_132:
	s_or_b64 exec, exec, s[4:5]
	v_cmp_ge_u32_e64 s[4:5], v117, v115
	v_cmp_lt_u32_e64 s[6:7], v117, v115
                                        ; implicit-def: $vgpr48
	s_and_saveexec_b64 s[10:11], s[6:7]
	s_cbranch_execz .LBB2777_134
; %bb.133:
	v_add_u32_e32 v38, v52, v117
	ds_read_u8 v48, v38
.LBB2777_134:
	s_or_b64 exec, exec, s[10:11]
	s_waitcnt lgkmcnt(0)
	v_cmp_le_i16_sdwa s[6:7], sext(v39), sext(v48) src0_sel:BYTE_0 src1_sel:BYTE_0
	s_and_b64 s[6:7], vcc, s[6:7]
	s_or_b64 vcc, s[4:5], s[6:7]
	v_cndmask_b32_e32 v49, v117, v116, vcc
	v_cndmask_b32_e32 v50, v115, v114, vcc
	v_add_u32_e32 v49, 1, v49
	v_add_u32_e32 v50, -1, v50
	v_min_u32_e32 v50, v49, v50
	v_add_u32_e32 v50, v52, v50
	ds_read_u8 v50, v50
	v_cndmask_b32_e32 v38, v48, v39, vcc
	v_cndmask_b32_e32 v51, v49, v117, vcc
	v_cndmask_b32_e32 v49, v116, v49, vcc
	v_cmp_lt_u32_e64 s[4:5], v49, v114
	s_waitcnt lgkmcnt(0)
	v_cndmask_b32_e32 v48, v50, v48, vcc
	v_cndmask_b32_e32 v50, v39, v50, vcc
	v_cmp_le_i16_sdwa s[6:7], sext(v50), sext(v48) src0_sel:BYTE_0 src1_sel:BYTE_0
	v_cmp_ge_u32_e32 vcc, v51, v115
	s_and_b64 s[4:5], s[4:5], s[6:7]
	s_or_b64 vcc, vcc, s[4:5]
	v_cndmask_b32_e32 v53, v51, v49, vcc
	v_cndmask_b32_e32 v54, v115, v114, vcc
	v_add_u32_e32 v53, 1, v53
	v_add_u32_e32 v54, -1, v54
	v_min_u32_e32 v54, v53, v54
	v_add_u32_e32 v54, v52, v54
	ds_read_u8 v54, v54
	v_cndmask_b32_e32 v39, v48, v50, vcc
	v_cndmask_b32_e32 v49, v49, v53, vcc
	v_cndmask_b32_e32 v51, v53, v51, vcc
	v_cmp_lt_u32_e64 s[4:5], v49, v114
	s_waitcnt lgkmcnt(0)
	v_cndmask_b32_e32 v55, v54, v48, vcc
	v_cndmask_b32_e32 v50, v50, v54, vcc
	v_cmp_le_i16_sdwa s[6:7], sext(v50), sext(v55) src0_sel:BYTE_0 src1_sel:BYTE_0
	v_cmp_ge_u32_e32 vcc, v51, v115
	s_and_b64 s[4:5], s[4:5], s[6:7]
	s_or_b64 vcc, vcc, s[4:5]
	;; [unrolled: 18-line block ×4, first 2 shown]
	v_cndmask_b32_e32 v54, v51, v53, vcc
	v_cndmask_b32_e32 v65, v115, v114, vcc
	v_add_u32_e32 v54, 1, v54
	v_add_u32_e32 v65, -1, v65
	v_min_u32_e32 v65, v54, v65
	v_add_u32_e32 v65, v52, v65
	ds_read_u8 v65, v65
	v_cndmask_b32_e32 v50, v55, v64, vcc
	v_cndmask_b32_e32 v53, v53, v54, vcc
	v_cmp_lt_u32_e64 s[4:5], v53, v114
	s_waitcnt lgkmcnt(0)
	v_cndmask_b32_e32 v55, v65, v55, vcc
	v_cndmask_b32_e32 v64, v64, v65, vcc
	;; [unrolled: 1-line block ×3, first 2 shown]
	v_cmp_le_i16_sdwa s[6:7], sext(v64), sext(v55) src0_sel:BYTE_0 src1_sel:BYTE_0
	v_cmp_ge_u32_e32 vcc, v65, v115
	s_and_b64 s[4:5], s[4:5], s[6:7]
	s_or_b64 vcc, vcc, s[4:5]
	v_cndmask_b32_e32 v54, v65, v53, vcc
	v_cndmask_b32_e32 v66, v115, v114, vcc
	v_add_u32_e32 v54, 1, v54
	v_add_u32_e32 v66, -1, v66
	v_min_u32_e32 v66, v54, v66
	v_add_u32_e32 v66, v52, v66
	ds_read_u8 v66, v66
	v_cndmask_b32_e32 v51, v55, v64, vcc
	v_cndmask_b32_e32 v65, v54, v65, vcc
	v_cndmask_b32_e32 v54, v53, v54, vcc
	v_cmp_lt_u32_e64 s[4:5], v54, v114
	s_waitcnt lgkmcnt(0)
	v_cndmask_b32_e32 v55, v66, v55, vcc
	v_cndmask_b32_e32 v64, v64, v66, vcc
	v_cmp_le_i16_sdwa s[6:7], sext(v64), sext(v55) src0_sel:BYTE_0 src1_sel:BYTE_0
	v_cmp_ge_u32_e32 vcc, v65, v115
	s_and_b64 s[4:5], s[4:5], s[6:7]
	s_or_b64 vcc, vcc, s[4:5]
	v_cndmask_b32_e32 v66, v65, v54, vcc
	v_cndmask_b32_e32 v67, v115, v114, vcc
	v_add_u32_e32 v66, 1, v66
	v_add_u32_e32 v67, -1, v67
	v_min_u32_e32 v67, v66, v67
	v_add_u32_e32 v67, v52, v67
	ds_read_u8 v67, v67
	v_cndmask_b32_e32 v53, v55, v64, vcc
	v_cndmask_b32_e32 v65, v66, v65, vcc
	v_cndmask_b32_e32 v66, v54, v66, vcc
	v_cmp_lt_u32_e64 s[4:5], v66, v114
	s_waitcnt lgkmcnt(0)
	v_cndmask_b32_e32 v55, v67, v55, vcc
	v_cndmask_b32_e32 v64, v64, v67, vcc
	;; [unrolled: 18-line block ×4, first 2 shown]
	v_cmp_le_i16_sdwa s[6:7], sext(v68), sext(v69) src0_sel:BYTE_0 src1_sel:BYTE_0
	v_cmp_ge_u32_e32 vcc, v65, v115
	s_and_b64 s[4:5], s[4:5], s[6:7]
	s_or_b64 vcc, vcc, s[4:5]
	v_cndmask_b32_e32 v67, v65, v66, vcc
	v_cndmask_b32_e32 v80, v115, v114, vcc
	v_add_u32_e32 v67, 1, v67
	v_add_u32_e32 v80, -1, v80
	v_min_u32_e32 v80, v67, v80
	v_add_u32_e32 v80, v52, v80
	ds_read_u8 v80, v80
	v_cndmask_b32_e32 v64, v69, v68, vcc
	v_cndmask_b32_e32 v66, v66, v67, vcc
	v_cmp_lt_u32_e64 s[4:5], v66, v114
	s_waitcnt lgkmcnt(0)
	v_cndmask_b32_e32 v69, v80, v69, vcc
	v_cndmask_b32_e32 v68, v68, v80, vcc
	;; [unrolled: 1-line block ×3, first 2 shown]
	v_cmp_le_i16_sdwa s[6:7], sext(v68), sext(v69) src0_sel:BYTE_0 src1_sel:BYTE_0
	v_cmp_ge_u32_e32 vcc, v80, v115
	s_and_b64 s[4:5], s[4:5], s[6:7]
	s_or_b64 vcc, vcc, s[4:5]
	v_cndmask_b32_e32 v67, v80, v66, vcc
	v_cndmask_b32_e32 v81, v115, v114, vcc
	v_add_u32_e32 v67, 1, v67
	v_add_u32_e32 v81, -1, v81
	v_min_u32_e32 v81, v67, v81
	v_add_u32_e32 v81, v52, v81
	ds_read_u8 v81, v81
	v_cndmask_b32_e32 v65, v69, v68, vcc
	v_cndmask_b32_e32 v80, v67, v80, vcc
	v_cndmask_b32_e32 v67, v66, v67, vcc
	v_cmp_lt_u32_e64 s[4:5], v67, v114
	s_waitcnt lgkmcnt(0)
	v_cndmask_b32_e32 v69, v81, v69, vcc
	v_cndmask_b32_e32 v68, v68, v81, vcc
	v_cmp_le_i16_sdwa s[6:7], sext(v68), sext(v69) src0_sel:BYTE_0 src1_sel:BYTE_0
	v_cmp_ge_u32_e32 vcc, v80, v115
	s_and_b64 s[4:5], s[4:5], s[6:7]
	s_or_b64 vcc, vcc, s[4:5]
	v_cndmask_b32_e32 v81, v80, v67, vcc
	v_cndmask_b32_e32 v83, v115, v114, vcc
	v_add_u32_e32 v81, 1, v81
	v_add_u32_e32 v83, -1, v83
	v_min_u32_e32 v83, v81, v83
	v_add_u32_e32 v83, v52, v83
	ds_read_u8 v83, v83
	v_cndmask_b32_e32 v66, v69, v68, vcc
	v_cndmask_b32_e32 v80, v81, v80, vcc
	v_cndmask_b32_e32 v81, v67, v81, vcc
	v_cmp_lt_u32_e64 s[4:5], v81, v114
	s_waitcnt lgkmcnt(0)
	v_cndmask_b32_e32 v69, v83, v69, vcc
	v_cndmask_b32_e32 v68, v68, v83, vcc
	;; [unrolled: 18-line block ×4, first 2 shown]
	v_cmp_le_i16_sdwa s[6:7], sext(v84), sext(v86) src0_sel:BYTE_0 src1_sel:BYTE_0
	v_cmp_ge_u32_e32 vcc, v80, v115
	s_and_b64 s[4:5], s[4:5], s[6:7]
	s_or_b64 vcc, vcc, s[4:5]
	v_cndmask_b32_e32 v83, v80, v81, vcc
	v_cndmask_b32_e32 v85, v115, v114, vcc
	v_add_u32_e32 v83, 1, v83
	v_add_u32_e32 v85, -1, v85
	v_min_u32_e32 v85, v83, v85
	v_add_u32_e32 v85, v52, v85
	ds_read_u8 v85, v85
	v_cndmask_b32_e32 v69, v86, v84, vcc
	v_cndmask_b32_e32 v81, v81, v83, vcc
	v_cmp_lt_u32_e64 s[4:5], v81, v114
	s_waitcnt lgkmcnt(0)
	v_cndmask_b32_e32 v86, v85, v86, vcc
	v_cndmask_b32_e32 v84, v84, v85, vcc
	;; [unrolled: 1-line block ×3, first 2 shown]
	v_cmp_le_i16_sdwa s[6:7], sext(v84), sext(v86) src0_sel:BYTE_0 src1_sel:BYTE_0
	v_cmp_ge_u32_e32 vcc, v85, v115
	s_and_b64 s[4:5], s[4:5], s[6:7]
	s_or_b64 vcc, vcc, s[4:5]
	v_cndmask_b32_e32 v83, v85, v81, vcc
	v_cndmask_b32_e32 v87, v115, v114, vcc
	v_add_u32_e32 v83, 1, v83
	v_add_u32_e32 v87, -1, v87
	v_min_u32_e32 v87, v83, v87
	v_add_u32_e32 v87, v52, v87
	ds_read_u8 v87, v87
	v_cndmask_b32_e32 v80, v86, v84, vcc
	v_cndmask_b32_e32 v85, v83, v85, vcc
	v_cndmask_b32_e32 v83, v81, v83, vcc
	v_cmp_lt_u32_e64 s[4:5], v83, v114
	s_waitcnt lgkmcnt(0)
	v_cndmask_b32_e32 v86, v87, v86, vcc
	v_cndmask_b32_e32 v84, v84, v87, vcc
	v_cmp_le_i16_sdwa s[6:7], sext(v84), sext(v86) src0_sel:BYTE_0 src1_sel:BYTE_0
	v_cmp_ge_u32_e32 vcc, v85, v115
	s_and_b64 s[4:5], s[4:5], s[6:7]
	s_or_b64 vcc, vcc, s[4:5]
	v_cndmask_b32_e32 v87, v85, v83, vcc
	v_cndmask_b32_e32 v96, v115, v114, vcc
	v_add_u32_e32 v87, 1, v87
	v_add_u32_e32 v96, -1, v96
	v_min_u32_e32 v96, v87, v96
	v_add_u32_e32 v96, v52, v96
	ds_read_u8 v96, v96
	v_cndmask_b32_e32 v81, v86, v84, vcc
	v_cndmask_b32_e32 v85, v87, v85, vcc
	v_cndmask_b32_e32 v87, v83, v87, vcc
	v_cmp_lt_u32_e64 s[4:5], v87, v114
	s_waitcnt lgkmcnt(0)
	v_cndmask_b32_e32 v86, v96, v86, vcc
	v_cndmask_b32_e32 v84, v84, v96, vcc
	;; [unrolled: 18-line block ×3, first 2 shown]
	v_cmp_le_i16_sdwa s[6:7], sext(v97), sext(v86) src0_sel:BYTE_0 src1_sel:BYTE_0
	v_cmp_ge_u32_e32 vcc, v85, v115
	s_and_b64 s[4:5], s[4:5], s[6:7]
	s_or_b64 vcc, vcc, s[4:5]
	v_cndmask_b32_e32 v96, v85, v87, vcc
	v_cndmask_b32_e32 v98, v115, v114, vcc
	v_add_u32_e32 v96, 1, v96
	v_add_u32_e32 v98, -1, v98
	v_min_u32_e32 v98, v96, v98
	v_add_u32_e32 v98, v52, v98
	ds_read_u8 v98, v98
	v_cndmask_b32_e32 v84, v86, v97, vcc
	v_cndmask_b32_e32 v87, v87, v96, vcc
	v_cmp_lt_u32_e64 s[4:5], v87, v114
	s_waitcnt lgkmcnt(0)
	v_cndmask_b32_e32 v86, v98, v86, vcc
	v_cndmask_b32_e32 v97, v97, v98, vcc
	;; [unrolled: 1-line block ×3, first 2 shown]
	v_cmp_le_i16_sdwa s[6:7], sext(v97), sext(v86) src0_sel:BYTE_0 src1_sel:BYTE_0
	v_cmp_ge_u32_e32 vcc, v98, v115
	s_and_b64 s[4:5], s[4:5], s[6:7]
	s_or_b64 vcc, vcc, s[4:5]
	v_cndmask_b32_e32 v96, v98, v87, vcc
	v_cndmask_b32_e32 v99, v115, v114, vcc
	v_add_u32_e32 v96, 1, v96
	v_add_u32_e32 v99, -1, v99
	v_min_u32_e32 v99, v96, v99
	v_add_u32_e32 v99, v52, v99
	ds_read_u8 v99, v99
	v_cndmask_b32_e32 v85, v86, v97, vcc
	v_cndmask_b32_e32 v87, v87, v96, vcc
	v_cndmask_b32_e32 v98, v96, v98, vcc
	v_cmp_lt_u32_e64 s[4:5], v87, v114
	s_waitcnt lgkmcnt(0)
	v_cndmask_b32_e32 v100, v99, v86, vcc
	v_cndmask_b32_e32 v97, v97, v99, vcc
	v_cmp_le_i16_sdwa s[6:7], sext(v97), sext(v100) src0_sel:BYTE_0 src1_sel:BYTE_0
	v_cmp_ge_u32_e32 vcc, v98, v115
	s_and_b64 s[4:5], s[4:5], s[6:7]
	s_or_b64 vcc, vcc, s[4:5]
	v_cndmask_b32_e32 v96, v98, v87, vcc
	v_cndmask_b32_e32 v99, v115, v114, vcc
	v_add_u32_e32 v96, 1, v96
	v_add_u32_e32 v99, -1, v99
	v_min_u32_e32 v99, v96, v99
	v_add_u32_e32 v99, v52, v99
	ds_read_u8 v99, v99
	v_cndmask_b32_e32 v86, v100, v97, vcc
	v_cndmask_b32_e32 v98, v96, v98, vcc
	v_cndmask_b32_e32 v96, v87, v96, vcc
	v_cmp_lt_u32_e64 s[4:5], v96, v114
	s_waitcnt lgkmcnt(0)
	v_cndmask_b32_e32 v100, v99, v100, vcc
	v_cndmask_b32_e32 v97, v97, v99, vcc
	;; [unrolled: 18-line block ×4, first 2 shown]
	v_cmp_le_i16_sdwa s[6:7], sext(v102), sext(v100) src0_sel:BYTE_0 src1_sel:BYTE_0
	v_cmp_ge_u32_e32 vcc, v98, v115
	s_and_b64 s[4:5], s[4:5], s[6:7]
	s_or_b64 vcc, vcc, s[4:5]
	v_cndmask_b32_e32 v101, v98, v99, vcc
	v_cndmask_b32_e32 v103, v115, v114, vcc
	v_add_u32_e32 v101, 1, v101
	v_add_u32_e32 v103, -1, v103
	v_min_u32_e32 v103, v101, v103
	v_add_u32_e32 v103, v52, v103
	ds_read_u8 v103, v103
	v_cndmask_b32_e32 v97, v100, v102, vcc
	v_cndmask_b32_e32 v99, v99, v101, vcc
	v_cmp_lt_u32_e64 s[4:5], v99, v114
	s_waitcnt lgkmcnt(0)
	v_cndmask_b32_e32 v100, v103, v100, vcc
	v_cndmask_b32_e32 v102, v102, v103, vcc
	;; [unrolled: 1-line block ×3, first 2 shown]
	v_cmp_le_i16_sdwa s[6:7], sext(v102), sext(v100) src0_sel:BYTE_0 src1_sel:BYTE_0
	v_cmp_ge_u32_e32 vcc, v103, v115
	s_and_b64 s[4:5], s[4:5], s[6:7]
	s_or_b64 vcc, vcc, s[4:5]
	v_cndmask_b32_e32 v101, v103, v99, vcc
	v_cndmask_b32_e32 v112, v115, v114, vcc
	v_add_u32_e32 v101, 1, v101
	v_add_u32_e32 v112, -1, v112
	v_min_u32_e32 v112, v101, v112
	v_add_u32_e32 v112, v52, v112
	ds_read_u8 v112, v112
	v_cndmask_b32_e32 v98, v100, v102, vcc
	v_cndmask_b32_e32 v103, v101, v103, vcc
	v_cndmask_b32_e32 v101, v99, v101, vcc
	v_cmp_lt_u32_e64 s[4:5], v101, v114
	s_waitcnt lgkmcnt(0)
	v_cndmask_b32_e32 v100, v112, v100, vcc
	v_cndmask_b32_e32 v102, v102, v112, vcc
	v_cmp_le_i16_sdwa s[6:7], sext(v102), sext(v100) src0_sel:BYTE_0 src1_sel:BYTE_0
	v_cmp_ge_u32_e32 vcc, v103, v115
	s_and_b64 s[4:5], s[4:5], s[6:7]
	s_or_b64 vcc, vcc, s[4:5]
	v_cndmask_b32_e32 v112, v103, v101, vcc
	v_cndmask_b32_e32 v113, v115, v114, vcc
	v_add_u32_e32 v112, 1, v112
	v_add_u32_e32 v113, -1, v113
	v_min_u32_e32 v113, v112, v113
	v_add_u32_e32 v113, v52, v113
	ds_read_u8 v113, v113
	v_cndmask_b32_e32 v99, v100, v102, vcc
	v_cndmask_b32_e32 v101, v101, v112, vcc
	v_cndmask_b32_e32 v103, v112, v103, vcc
	v_cmp_lt_u32_e64 s[4:5], v101, v114
	s_waitcnt lgkmcnt(0)
	v_cndmask_b32_e32 v116, v113, v100, vcc
	v_cndmask_b32_e32 v102, v102, v113, vcc
	;; [unrolled: 18-line block ×4, first 2 shown]
	v_cmp_le_i16_sdwa s[6:7], sext(v117), sext(v116) src0_sel:BYTE_0 src1_sel:BYTE_0
	v_cmp_ge_u32_e32 vcc, v103, v115
	s_and_b64 s[4:5], s[4:5], s[6:7]
	s_or_b64 vcc, vcc, s[4:5]
	v_cndmask_b32_e32 v113, v103, v112, vcc
	v_cndmask_b32_e32 v118, v115, v114, vcc
	v_add_u32_e32 v113, 1, v113
	v_add_u32_e32 v118, -1, v118
	v_min_u32_e32 v118, v113, v118
	v_add_u32_e32 v118, v52, v118
	ds_read_u8 v118, v118
	v_cndmask_b32_e32 v102, v116, v117, vcc
	v_cndmask_b32_e32 v112, v112, v113, vcc
	v_cmp_lt_u32_e64 s[4:5], v112, v114
	s_waitcnt lgkmcnt(0)
	v_cndmask_b32_e32 v116, v118, v116, vcc
	v_cndmask_b32_e32 v117, v117, v118, vcc
	;; [unrolled: 1-line block ×3, first 2 shown]
	v_cmp_le_i16_sdwa s[6:7], sext(v117), sext(v116) src0_sel:BYTE_0 src1_sel:BYTE_0
	v_cmp_ge_u32_e32 vcc, v118, v115
	s_and_b64 s[4:5], s[4:5], s[6:7]
	s_or_b64 vcc, vcc, s[4:5]
	v_cndmask_b32_e32 v113, v118, v112, vcc
	v_cndmask_b32_e32 v119, v115, v114, vcc
	v_add_u32_e32 v113, 1, v113
	v_add_u32_e32 v119, -1, v119
	v_min_u32_e32 v119, v113, v119
	v_add_u32_e32 v119, v52, v119
	ds_read_u8 v119, v119
	v_cndmask_b32_e32 v103, v116, v117, vcc
	v_cndmask_b32_e32 v118, v113, v118, vcc
	;; [unrolled: 1-line block ×3, first 2 shown]
	v_cmp_lt_u32_e64 s[4:5], v113, v114
	s_waitcnt lgkmcnt(0)
	v_cndmask_b32_e32 v116, v119, v116, vcc
	v_cndmask_b32_e32 v117, v117, v119, vcc
	v_cmp_le_i16_sdwa s[6:7], sext(v117), sext(v116) src0_sel:BYTE_0 src1_sel:BYTE_0
	v_cmp_ge_u32_e32 vcc, v118, v115
	s_and_b64 s[4:5], s[4:5], s[6:7]
	s_or_b64 vcc, vcc, s[4:5]
	v_cndmask_b32_e32 v119, v118, v113, vcc
	v_cndmask_b32_e32 v128, v115, v114, vcc
	v_add_u32_e32 v119, 1, v119
	v_add_u32_e32 v128, -1, v128
	v_min_u32_e32 v128, v119, v128
	v_add_u32_e32 v128, v52, v128
	ds_read_u8 v128, v128
	v_cndmask_b32_e32 v118, v119, v118, vcc
	v_cndmask_b32_e32 v112, v116, v117, vcc
	v_cmp_lt_u32_e64 s[4:5], v118, v115
	v_cndmask_b32_e32 v113, v113, v119, vcc
	s_waitcnt lgkmcnt(0)
	v_cndmask_b32_e32 v117, v117, v128, vcc
	v_cndmask_b32_e32 v115, v128, v116, vcc
	v_cmp_lt_u32_e32 vcc, v113, v114
	v_min_i16_sdwa v113, sext(v117), sext(v115) dst_sel:DWORD dst_unused:UNUSED_PAD src0_sel:BYTE_0 src1_sel:BYTE_0
	v_cndmask_b32_e32 v113, v115, v113, vcc
	v_cndmask_b32_e64 v113, v117, v113, s[4:5]
.LBB2777_135:
	s_or_b64 exec, exec, s[8:9]
	v_lshlrev_b16_e32 v114, 8, v68
	v_lshlrev_b16_e32 v115, 8, v80
	v_or_b32_sdwa v114, v67, v114 dst_sel:DWORD dst_unused:UNUSED_PAD src0_sel:BYTE_0 src1_sel:DWORD
	v_or_b32_sdwa v115, v69, v115 dst_sel:WORD_1 dst_unused:UNUSED_PAD src0_sel:BYTE_0 src1_sel:DWORD
	v_or_b32_sdwa v117, v114, v115 dst_sel:DWORD dst_unused:UNUSED_PAD src0_sel:WORD_0 src1_sel:DWORD
	v_lshlrev_b16_e32 v114, 8, v64
	v_lshlrev_b16_e32 v115, 8, v66
	v_or_b32_sdwa v114, v55, v114 dst_sel:DWORD dst_unused:UNUSED_PAD src0_sel:BYTE_0 src1_sel:DWORD
	v_or_b32_sdwa v115, v65, v115 dst_sel:WORD_1 dst_unused:UNUSED_PAD src0_sel:BYTE_0 src1_sel:DWORD
	v_or_b32_sdwa v116, v114, v115 dst_sel:DWORD dst_unused:UNUSED_PAD src0_sel:WORD_0 src1_sel:DWORD
	;; [unrolled: 5-line block ×4, first 2 shown]
	; wave barrier
	ds_write_b128 v71, v[114:117]
	v_lshlrev_b16_e32 v114, 8, v103
	v_lshlrev_b16_e32 v115, 8, v113
	v_or_b32_sdwa v114, v102, v114 dst_sel:DWORD dst_unused:UNUSED_PAD src0_sel:BYTE_0 src1_sel:DWORD
	v_or_b32_sdwa v115, v112, v115 dst_sel:WORD_1 dst_unused:UNUSED_PAD src0_sel:BYTE_0 src1_sel:DWORD
	v_or_b32_sdwa v117, v114, v115 dst_sel:DWORD dst_unused:UNUSED_PAD src0_sel:WORD_0 src1_sel:DWORD
	v_lshlrev_b16_e32 v114, 8, v99
	v_lshlrev_b16_e32 v115, 8, v101
	v_or_b32_sdwa v114, v98, v114 dst_sel:DWORD dst_unused:UNUSED_PAD src0_sel:BYTE_0 src1_sel:DWORD
	v_or_b32_sdwa v115, v100, v115 dst_sel:WORD_1 dst_unused:UNUSED_PAD src0_sel:BYTE_0 src1_sel:DWORD
	v_or_b32_sdwa v116, v114, v115 dst_sel:DWORD dst_unused:UNUSED_PAD src0_sel:WORD_0 src1_sel:DWORD
	;; [unrolled: 5-line block ×4, first 2 shown]
	ds_write_b128 v71, v[114:117] offset:16
	v_and_b32_e32 v116, 0xf80, v70
	v_or_b32_e32 v114, 64, v116
	v_min_u32_e32 v114, v82, v114
	v_add_u32_e32 v115, 64, v114
	v_min_u32_e32 v115, v82, v115
	v_and_b32_e32 v117, 0x60, v70
	v_min_u32_e32 v117, v82, v117
	v_sub_u32_e32 v119, v114, v116
	v_sub_u32_e32 v118, v115, v114
	v_sub_u32_e64 v118, v117, v118 clamp
	v_min_u32_e32 v119, v117, v119
	v_cmp_lt_u32_e32 vcc, v118, v119
	; wave barrier
	s_and_saveexec_b64 s[4:5], vcc
	s_cbranch_execz .LBB2777_139
; %bb.136:
	v_add_u32_e32 v128, v52, v116
	v_add3_u32 v129, v52, v114, v117
	s_mov_b64 s[6:7], 0
.LBB2777_137:                           ; =>This Inner Loop Header: Depth=1
	v_add_u32_e32 v130, v119, v118
	v_lshrrev_b32_e32 v130, 1, v130
	v_add_u32_e32 v131, v128, v130
	v_xad_u32 v132, v130, -1, v129
	ds_read_i8 v131, v131
	ds_read_i8 v132, v132
	v_add_u32_e32 v133, 1, v130
	s_waitcnt lgkmcnt(0)
	v_cmp_gt_i16_e32 vcc, v131, v132
	v_cndmask_b32_e32 v119, v119, v130, vcc
	v_cndmask_b32_e32 v118, v133, v118, vcc
	v_cmp_ge_u32_e32 vcc, v118, v119
	s_or_b64 s[6:7], vcc, s[6:7]
	s_andn2_b64 exec, exec, s[6:7]
	s_cbranch_execnz .LBB2777_137
; %bb.138:
	s_or_b64 exec, exec, s[6:7]
.LBB2777_139:
	s_or_b64 exec, exec, s[4:5]
	v_add_u32_e32 v117, v114, v117
	v_add_u32_e32 v116, v118, v116
	v_sub_u32_e32 v117, v117, v118
	v_cmp_le_u32_e32 vcc, v116, v114
	v_cmp_le_u32_e64 s[4:5], v117, v115
	s_or_b64 s[4:5], vcc, s[4:5]
	s_and_saveexec_b64 s[8:9], s[4:5]
	s_cbranch_execz .LBB2777_145
; %bb.140:
	v_cmp_lt_u32_e32 vcc, v116, v114
                                        ; implicit-def: $vgpr39
	s_and_saveexec_b64 s[4:5], vcc
	s_cbranch_execz .LBB2777_142
; %bb.141:
	v_add_u32_e32 v38, v52, v116
	ds_read_u8 v39, v38
.LBB2777_142:
	s_or_b64 exec, exec, s[4:5]
	v_cmp_ge_u32_e64 s[4:5], v117, v115
	v_cmp_lt_u32_e64 s[6:7], v117, v115
                                        ; implicit-def: $vgpr48
	s_and_saveexec_b64 s[10:11], s[6:7]
	s_cbranch_execz .LBB2777_144
; %bb.143:
	v_add_u32_e32 v38, v52, v117
	ds_read_u8 v48, v38
.LBB2777_144:
	s_or_b64 exec, exec, s[10:11]
	s_waitcnt lgkmcnt(0)
	v_cmp_le_i16_sdwa s[6:7], sext(v39), sext(v48) src0_sel:BYTE_0 src1_sel:BYTE_0
	s_and_b64 s[6:7], vcc, s[6:7]
	s_or_b64 vcc, s[4:5], s[6:7]
	v_cndmask_b32_e32 v49, v117, v116, vcc
	v_cndmask_b32_e32 v50, v115, v114, vcc
	v_add_u32_e32 v49, 1, v49
	v_add_u32_e32 v50, -1, v50
	v_min_u32_e32 v50, v49, v50
	v_add_u32_e32 v50, v52, v50
	ds_read_u8 v50, v50
	v_cndmask_b32_e32 v38, v48, v39, vcc
	v_cndmask_b32_e32 v51, v49, v117, vcc
	v_cndmask_b32_e32 v49, v116, v49, vcc
	v_cmp_lt_u32_e64 s[4:5], v49, v114
	s_waitcnt lgkmcnt(0)
	v_cndmask_b32_e32 v48, v50, v48, vcc
	v_cndmask_b32_e32 v50, v39, v50, vcc
	v_cmp_le_i16_sdwa s[6:7], sext(v50), sext(v48) src0_sel:BYTE_0 src1_sel:BYTE_0
	v_cmp_ge_u32_e32 vcc, v51, v115
	s_and_b64 s[4:5], s[4:5], s[6:7]
	s_or_b64 vcc, vcc, s[4:5]
	v_cndmask_b32_e32 v53, v51, v49, vcc
	v_cndmask_b32_e32 v54, v115, v114, vcc
	v_add_u32_e32 v53, 1, v53
	v_add_u32_e32 v54, -1, v54
	v_min_u32_e32 v54, v53, v54
	v_add_u32_e32 v54, v52, v54
	ds_read_u8 v54, v54
	v_cndmask_b32_e32 v39, v48, v50, vcc
	v_cndmask_b32_e32 v49, v49, v53, vcc
	v_cndmask_b32_e32 v51, v53, v51, vcc
	v_cmp_lt_u32_e64 s[4:5], v49, v114
	s_waitcnt lgkmcnt(0)
	v_cndmask_b32_e32 v55, v54, v48, vcc
	v_cndmask_b32_e32 v50, v50, v54, vcc
	v_cmp_le_i16_sdwa s[6:7], sext(v50), sext(v55) src0_sel:BYTE_0 src1_sel:BYTE_0
	v_cmp_ge_u32_e32 vcc, v51, v115
	s_and_b64 s[4:5], s[4:5], s[6:7]
	s_or_b64 vcc, vcc, s[4:5]
	;; [unrolled: 18-line block ×4, first 2 shown]
	v_cndmask_b32_e32 v54, v51, v53, vcc
	v_cndmask_b32_e32 v65, v115, v114, vcc
	v_add_u32_e32 v54, 1, v54
	v_add_u32_e32 v65, -1, v65
	v_min_u32_e32 v65, v54, v65
	v_add_u32_e32 v65, v52, v65
	ds_read_u8 v65, v65
	v_cndmask_b32_e32 v50, v55, v64, vcc
	v_cndmask_b32_e32 v53, v53, v54, vcc
	v_cmp_lt_u32_e64 s[4:5], v53, v114
	s_waitcnt lgkmcnt(0)
	v_cndmask_b32_e32 v55, v65, v55, vcc
	v_cndmask_b32_e32 v64, v64, v65, vcc
	;; [unrolled: 1-line block ×3, first 2 shown]
	v_cmp_le_i16_sdwa s[6:7], sext(v64), sext(v55) src0_sel:BYTE_0 src1_sel:BYTE_0
	v_cmp_ge_u32_e32 vcc, v65, v115
	s_and_b64 s[4:5], s[4:5], s[6:7]
	s_or_b64 vcc, vcc, s[4:5]
	v_cndmask_b32_e32 v54, v65, v53, vcc
	v_cndmask_b32_e32 v66, v115, v114, vcc
	v_add_u32_e32 v54, 1, v54
	v_add_u32_e32 v66, -1, v66
	v_min_u32_e32 v66, v54, v66
	v_add_u32_e32 v66, v52, v66
	ds_read_u8 v66, v66
	v_cndmask_b32_e32 v51, v55, v64, vcc
	v_cndmask_b32_e32 v65, v54, v65, vcc
	v_cndmask_b32_e32 v54, v53, v54, vcc
	v_cmp_lt_u32_e64 s[4:5], v54, v114
	s_waitcnt lgkmcnt(0)
	v_cndmask_b32_e32 v55, v66, v55, vcc
	v_cndmask_b32_e32 v64, v64, v66, vcc
	v_cmp_le_i16_sdwa s[6:7], sext(v64), sext(v55) src0_sel:BYTE_0 src1_sel:BYTE_0
	v_cmp_ge_u32_e32 vcc, v65, v115
	s_and_b64 s[4:5], s[4:5], s[6:7]
	s_or_b64 vcc, vcc, s[4:5]
	v_cndmask_b32_e32 v66, v65, v54, vcc
	v_cndmask_b32_e32 v67, v115, v114, vcc
	v_add_u32_e32 v66, 1, v66
	v_add_u32_e32 v67, -1, v67
	v_min_u32_e32 v67, v66, v67
	v_add_u32_e32 v67, v52, v67
	ds_read_u8 v67, v67
	v_cndmask_b32_e32 v53, v55, v64, vcc
	v_cndmask_b32_e32 v65, v66, v65, vcc
	v_cndmask_b32_e32 v66, v54, v66, vcc
	v_cmp_lt_u32_e64 s[4:5], v66, v114
	s_waitcnt lgkmcnt(0)
	v_cndmask_b32_e32 v55, v67, v55, vcc
	v_cndmask_b32_e32 v64, v64, v67, vcc
	;; [unrolled: 18-line block ×4, first 2 shown]
	v_cmp_le_i16_sdwa s[6:7], sext(v68), sext(v69) src0_sel:BYTE_0 src1_sel:BYTE_0
	v_cmp_ge_u32_e32 vcc, v65, v115
	s_and_b64 s[4:5], s[4:5], s[6:7]
	s_or_b64 vcc, vcc, s[4:5]
	v_cndmask_b32_e32 v67, v65, v66, vcc
	v_cndmask_b32_e32 v80, v115, v114, vcc
	v_add_u32_e32 v67, 1, v67
	v_add_u32_e32 v80, -1, v80
	v_min_u32_e32 v80, v67, v80
	v_add_u32_e32 v80, v52, v80
	ds_read_u8 v80, v80
	v_cndmask_b32_e32 v64, v69, v68, vcc
	v_cndmask_b32_e32 v66, v66, v67, vcc
	v_cmp_lt_u32_e64 s[4:5], v66, v114
	s_waitcnt lgkmcnt(0)
	v_cndmask_b32_e32 v69, v80, v69, vcc
	v_cndmask_b32_e32 v68, v68, v80, vcc
	;; [unrolled: 1-line block ×3, first 2 shown]
	v_cmp_le_i16_sdwa s[6:7], sext(v68), sext(v69) src0_sel:BYTE_0 src1_sel:BYTE_0
	v_cmp_ge_u32_e32 vcc, v80, v115
	s_and_b64 s[4:5], s[4:5], s[6:7]
	s_or_b64 vcc, vcc, s[4:5]
	v_cndmask_b32_e32 v67, v80, v66, vcc
	v_cndmask_b32_e32 v81, v115, v114, vcc
	v_add_u32_e32 v67, 1, v67
	v_add_u32_e32 v81, -1, v81
	v_min_u32_e32 v81, v67, v81
	v_add_u32_e32 v81, v52, v81
	ds_read_u8 v81, v81
	v_cndmask_b32_e32 v65, v69, v68, vcc
	v_cndmask_b32_e32 v80, v67, v80, vcc
	v_cndmask_b32_e32 v67, v66, v67, vcc
	v_cmp_lt_u32_e64 s[4:5], v67, v114
	s_waitcnt lgkmcnt(0)
	v_cndmask_b32_e32 v69, v81, v69, vcc
	v_cndmask_b32_e32 v68, v68, v81, vcc
	v_cmp_le_i16_sdwa s[6:7], sext(v68), sext(v69) src0_sel:BYTE_0 src1_sel:BYTE_0
	v_cmp_ge_u32_e32 vcc, v80, v115
	s_and_b64 s[4:5], s[4:5], s[6:7]
	s_or_b64 vcc, vcc, s[4:5]
	v_cndmask_b32_e32 v81, v80, v67, vcc
	v_cndmask_b32_e32 v83, v115, v114, vcc
	v_add_u32_e32 v81, 1, v81
	v_add_u32_e32 v83, -1, v83
	v_min_u32_e32 v83, v81, v83
	v_add_u32_e32 v83, v52, v83
	ds_read_u8 v83, v83
	v_cndmask_b32_e32 v66, v69, v68, vcc
	v_cndmask_b32_e32 v80, v81, v80, vcc
	v_cndmask_b32_e32 v81, v67, v81, vcc
	v_cmp_lt_u32_e64 s[4:5], v81, v114
	s_waitcnt lgkmcnt(0)
	v_cndmask_b32_e32 v69, v83, v69, vcc
	v_cndmask_b32_e32 v68, v68, v83, vcc
	;; [unrolled: 18-line block ×4, first 2 shown]
	v_cmp_le_i16_sdwa s[6:7], sext(v84), sext(v86) src0_sel:BYTE_0 src1_sel:BYTE_0
	v_cmp_ge_u32_e32 vcc, v80, v115
	s_and_b64 s[4:5], s[4:5], s[6:7]
	s_or_b64 vcc, vcc, s[4:5]
	v_cndmask_b32_e32 v83, v80, v81, vcc
	v_cndmask_b32_e32 v85, v115, v114, vcc
	v_add_u32_e32 v83, 1, v83
	v_add_u32_e32 v85, -1, v85
	v_min_u32_e32 v85, v83, v85
	v_add_u32_e32 v85, v52, v85
	ds_read_u8 v85, v85
	v_cndmask_b32_e32 v69, v86, v84, vcc
	v_cndmask_b32_e32 v81, v81, v83, vcc
	v_cmp_lt_u32_e64 s[4:5], v81, v114
	s_waitcnt lgkmcnt(0)
	v_cndmask_b32_e32 v86, v85, v86, vcc
	v_cndmask_b32_e32 v84, v84, v85, vcc
	;; [unrolled: 1-line block ×3, first 2 shown]
	v_cmp_le_i16_sdwa s[6:7], sext(v84), sext(v86) src0_sel:BYTE_0 src1_sel:BYTE_0
	v_cmp_ge_u32_e32 vcc, v85, v115
	s_and_b64 s[4:5], s[4:5], s[6:7]
	s_or_b64 vcc, vcc, s[4:5]
	v_cndmask_b32_e32 v83, v85, v81, vcc
	v_cndmask_b32_e32 v87, v115, v114, vcc
	v_add_u32_e32 v83, 1, v83
	v_add_u32_e32 v87, -1, v87
	v_min_u32_e32 v87, v83, v87
	v_add_u32_e32 v87, v52, v87
	ds_read_u8 v87, v87
	v_cndmask_b32_e32 v80, v86, v84, vcc
	v_cndmask_b32_e32 v85, v83, v85, vcc
	v_cndmask_b32_e32 v83, v81, v83, vcc
	v_cmp_lt_u32_e64 s[4:5], v83, v114
	s_waitcnt lgkmcnt(0)
	v_cndmask_b32_e32 v86, v87, v86, vcc
	v_cndmask_b32_e32 v84, v84, v87, vcc
	v_cmp_le_i16_sdwa s[6:7], sext(v84), sext(v86) src0_sel:BYTE_0 src1_sel:BYTE_0
	v_cmp_ge_u32_e32 vcc, v85, v115
	s_and_b64 s[4:5], s[4:5], s[6:7]
	s_or_b64 vcc, vcc, s[4:5]
	v_cndmask_b32_e32 v87, v85, v83, vcc
	v_cndmask_b32_e32 v96, v115, v114, vcc
	v_add_u32_e32 v87, 1, v87
	v_add_u32_e32 v96, -1, v96
	v_min_u32_e32 v96, v87, v96
	v_add_u32_e32 v96, v52, v96
	ds_read_u8 v96, v96
	v_cndmask_b32_e32 v81, v86, v84, vcc
	v_cndmask_b32_e32 v85, v87, v85, vcc
	v_cndmask_b32_e32 v87, v83, v87, vcc
	v_cmp_lt_u32_e64 s[4:5], v87, v114
	s_waitcnt lgkmcnt(0)
	v_cndmask_b32_e32 v86, v96, v86, vcc
	v_cndmask_b32_e32 v84, v84, v96, vcc
	;; [unrolled: 18-line block ×3, first 2 shown]
	v_cmp_le_i16_sdwa s[6:7], sext(v97), sext(v86) src0_sel:BYTE_0 src1_sel:BYTE_0
	v_cmp_ge_u32_e32 vcc, v85, v115
	s_and_b64 s[4:5], s[4:5], s[6:7]
	s_or_b64 vcc, vcc, s[4:5]
	v_cndmask_b32_e32 v96, v85, v87, vcc
	v_cndmask_b32_e32 v98, v115, v114, vcc
	v_add_u32_e32 v96, 1, v96
	v_add_u32_e32 v98, -1, v98
	v_min_u32_e32 v98, v96, v98
	v_add_u32_e32 v98, v52, v98
	ds_read_u8 v98, v98
	v_cndmask_b32_e32 v84, v86, v97, vcc
	v_cndmask_b32_e32 v87, v87, v96, vcc
	v_cmp_lt_u32_e64 s[4:5], v87, v114
	s_waitcnt lgkmcnt(0)
	v_cndmask_b32_e32 v86, v98, v86, vcc
	v_cndmask_b32_e32 v97, v97, v98, vcc
	;; [unrolled: 1-line block ×3, first 2 shown]
	v_cmp_le_i16_sdwa s[6:7], sext(v97), sext(v86) src0_sel:BYTE_0 src1_sel:BYTE_0
	v_cmp_ge_u32_e32 vcc, v98, v115
	s_and_b64 s[4:5], s[4:5], s[6:7]
	s_or_b64 vcc, vcc, s[4:5]
	v_cndmask_b32_e32 v96, v98, v87, vcc
	v_cndmask_b32_e32 v99, v115, v114, vcc
	v_add_u32_e32 v96, 1, v96
	v_add_u32_e32 v99, -1, v99
	v_min_u32_e32 v99, v96, v99
	v_add_u32_e32 v99, v52, v99
	ds_read_u8 v99, v99
	v_cndmask_b32_e32 v85, v86, v97, vcc
	v_cndmask_b32_e32 v87, v87, v96, vcc
	v_cndmask_b32_e32 v98, v96, v98, vcc
	v_cmp_lt_u32_e64 s[4:5], v87, v114
	s_waitcnt lgkmcnt(0)
	v_cndmask_b32_e32 v100, v99, v86, vcc
	v_cndmask_b32_e32 v97, v97, v99, vcc
	v_cmp_le_i16_sdwa s[6:7], sext(v97), sext(v100) src0_sel:BYTE_0 src1_sel:BYTE_0
	v_cmp_ge_u32_e32 vcc, v98, v115
	s_and_b64 s[4:5], s[4:5], s[6:7]
	s_or_b64 vcc, vcc, s[4:5]
	v_cndmask_b32_e32 v96, v98, v87, vcc
	v_cndmask_b32_e32 v99, v115, v114, vcc
	v_add_u32_e32 v96, 1, v96
	v_add_u32_e32 v99, -1, v99
	v_min_u32_e32 v99, v96, v99
	v_add_u32_e32 v99, v52, v99
	ds_read_u8 v99, v99
	v_cndmask_b32_e32 v86, v100, v97, vcc
	v_cndmask_b32_e32 v98, v96, v98, vcc
	v_cndmask_b32_e32 v96, v87, v96, vcc
	v_cmp_lt_u32_e64 s[4:5], v96, v114
	s_waitcnt lgkmcnt(0)
	v_cndmask_b32_e32 v100, v99, v100, vcc
	v_cndmask_b32_e32 v97, v97, v99, vcc
	;; [unrolled: 18-line block ×4, first 2 shown]
	v_cmp_le_i16_sdwa s[6:7], sext(v102), sext(v100) src0_sel:BYTE_0 src1_sel:BYTE_0
	v_cmp_ge_u32_e32 vcc, v98, v115
	s_and_b64 s[4:5], s[4:5], s[6:7]
	s_or_b64 vcc, vcc, s[4:5]
	v_cndmask_b32_e32 v101, v98, v99, vcc
	v_cndmask_b32_e32 v103, v115, v114, vcc
	v_add_u32_e32 v101, 1, v101
	v_add_u32_e32 v103, -1, v103
	v_min_u32_e32 v103, v101, v103
	v_add_u32_e32 v103, v52, v103
	ds_read_u8 v103, v103
	v_cndmask_b32_e32 v97, v100, v102, vcc
	v_cndmask_b32_e32 v99, v99, v101, vcc
	v_cmp_lt_u32_e64 s[4:5], v99, v114
	s_waitcnt lgkmcnt(0)
	v_cndmask_b32_e32 v100, v103, v100, vcc
	v_cndmask_b32_e32 v102, v102, v103, vcc
	;; [unrolled: 1-line block ×3, first 2 shown]
	v_cmp_le_i16_sdwa s[6:7], sext(v102), sext(v100) src0_sel:BYTE_0 src1_sel:BYTE_0
	v_cmp_ge_u32_e32 vcc, v103, v115
	s_and_b64 s[4:5], s[4:5], s[6:7]
	s_or_b64 vcc, vcc, s[4:5]
	v_cndmask_b32_e32 v101, v103, v99, vcc
	v_cndmask_b32_e32 v112, v115, v114, vcc
	v_add_u32_e32 v101, 1, v101
	v_add_u32_e32 v112, -1, v112
	v_min_u32_e32 v112, v101, v112
	v_add_u32_e32 v112, v52, v112
	ds_read_u8 v112, v112
	v_cndmask_b32_e32 v98, v100, v102, vcc
	v_cndmask_b32_e32 v103, v101, v103, vcc
	v_cndmask_b32_e32 v101, v99, v101, vcc
	v_cmp_lt_u32_e64 s[4:5], v101, v114
	s_waitcnt lgkmcnt(0)
	v_cndmask_b32_e32 v100, v112, v100, vcc
	v_cndmask_b32_e32 v102, v102, v112, vcc
	v_cmp_le_i16_sdwa s[6:7], sext(v102), sext(v100) src0_sel:BYTE_0 src1_sel:BYTE_0
	v_cmp_ge_u32_e32 vcc, v103, v115
	s_and_b64 s[4:5], s[4:5], s[6:7]
	s_or_b64 vcc, vcc, s[4:5]
	v_cndmask_b32_e32 v112, v103, v101, vcc
	v_cndmask_b32_e32 v113, v115, v114, vcc
	v_add_u32_e32 v112, 1, v112
	v_add_u32_e32 v113, -1, v113
	v_min_u32_e32 v113, v112, v113
	v_add_u32_e32 v113, v52, v113
	ds_read_u8 v113, v113
	v_cndmask_b32_e32 v99, v100, v102, vcc
	v_cndmask_b32_e32 v101, v101, v112, vcc
	v_cndmask_b32_e32 v103, v112, v103, vcc
	v_cmp_lt_u32_e64 s[4:5], v101, v114
	s_waitcnt lgkmcnt(0)
	v_cndmask_b32_e32 v116, v113, v100, vcc
	v_cndmask_b32_e32 v102, v102, v113, vcc
	;; [unrolled: 18-line block ×4, first 2 shown]
	v_cmp_le_i16_sdwa s[6:7], sext(v117), sext(v116) src0_sel:BYTE_0 src1_sel:BYTE_0
	v_cmp_ge_u32_e32 vcc, v103, v115
	s_and_b64 s[4:5], s[4:5], s[6:7]
	s_or_b64 vcc, vcc, s[4:5]
	v_cndmask_b32_e32 v113, v103, v112, vcc
	v_cndmask_b32_e32 v118, v115, v114, vcc
	v_add_u32_e32 v113, 1, v113
	v_add_u32_e32 v118, -1, v118
	v_min_u32_e32 v118, v113, v118
	v_add_u32_e32 v118, v52, v118
	ds_read_u8 v118, v118
	v_cndmask_b32_e32 v102, v116, v117, vcc
	v_cndmask_b32_e32 v112, v112, v113, vcc
	v_cmp_lt_u32_e64 s[4:5], v112, v114
	s_waitcnt lgkmcnt(0)
	v_cndmask_b32_e32 v116, v118, v116, vcc
	v_cndmask_b32_e32 v117, v117, v118, vcc
	;; [unrolled: 1-line block ×3, first 2 shown]
	v_cmp_le_i16_sdwa s[6:7], sext(v117), sext(v116) src0_sel:BYTE_0 src1_sel:BYTE_0
	v_cmp_ge_u32_e32 vcc, v118, v115
	s_and_b64 s[4:5], s[4:5], s[6:7]
	s_or_b64 vcc, vcc, s[4:5]
	v_cndmask_b32_e32 v113, v118, v112, vcc
	v_cndmask_b32_e32 v119, v115, v114, vcc
	v_add_u32_e32 v113, 1, v113
	v_add_u32_e32 v119, -1, v119
	v_min_u32_e32 v119, v113, v119
	v_add_u32_e32 v119, v52, v119
	ds_read_u8 v119, v119
	v_cndmask_b32_e32 v103, v116, v117, vcc
	v_cndmask_b32_e32 v118, v113, v118, vcc
	v_cndmask_b32_e32 v113, v112, v113, vcc
	v_cmp_lt_u32_e64 s[4:5], v113, v114
	s_waitcnt lgkmcnt(0)
	v_cndmask_b32_e32 v116, v119, v116, vcc
	v_cndmask_b32_e32 v117, v117, v119, vcc
	v_cmp_le_i16_sdwa s[6:7], sext(v117), sext(v116) src0_sel:BYTE_0 src1_sel:BYTE_0
	v_cmp_ge_u32_e32 vcc, v118, v115
	s_and_b64 s[4:5], s[4:5], s[6:7]
	s_or_b64 vcc, vcc, s[4:5]
	v_cndmask_b32_e32 v119, v118, v113, vcc
	v_cndmask_b32_e32 v128, v115, v114, vcc
	v_add_u32_e32 v119, 1, v119
	v_add_u32_e32 v128, -1, v128
	v_min_u32_e32 v128, v119, v128
	v_add_u32_e32 v128, v52, v128
	ds_read_u8 v128, v128
	v_cndmask_b32_e32 v118, v119, v118, vcc
	v_cndmask_b32_e32 v112, v116, v117, vcc
	v_cmp_lt_u32_e64 s[4:5], v118, v115
	v_cndmask_b32_e32 v113, v113, v119, vcc
	s_waitcnt lgkmcnt(0)
	v_cndmask_b32_e32 v117, v117, v128, vcc
	v_cndmask_b32_e32 v115, v128, v116, vcc
	v_cmp_lt_u32_e32 vcc, v113, v114
	v_min_i16_sdwa v113, sext(v117), sext(v115) dst_sel:DWORD dst_unused:UNUSED_PAD src0_sel:BYTE_0 src1_sel:BYTE_0
	v_cndmask_b32_e32 v113, v115, v113, vcc
	v_cndmask_b32_e64 v113, v117, v113, s[4:5]
.LBB2777_145:
	s_or_b64 exec, exec, s[8:9]
	v_lshlrev_b16_e32 v114, 8, v68
	v_lshlrev_b16_e32 v115, 8, v80
	v_or_b32_sdwa v114, v67, v114 dst_sel:DWORD dst_unused:UNUSED_PAD src0_sel:BYTE_0 src1_sel:DWORD
	v_or_b32_sdwa v115, v69, v115 dst_sel:WORD_1 dst_unused:UNUSED_PAD src0_sel:BYTE_0 src1_sel:DWORD
	v_or_b32_sdwa v117, v114, v115 dst_sel:DWORD dst_unused:UNUSED_PAD src0_sel:WORD_0 src1_sel:DWORD
	v_lshlrev_b16_e32 v114, 8, v64
	v_lshlrev_b16_e32 v115, 8, v66
	v_or_b32_sdwa v114, v55, v114 dst_sel:DWORD dst_unused:UNUSED_PAD src0_sel:BYTE_0 src1_sel:DWORD
	v_or_b32_sdwa v115, v65, v115 dst_sel:WORD_1 dst_unused:UNUSED_PAD src0_sel:BYTE_0 src1_sel:DWORD
	v_or_b32_sdwa v116, v114, v115 dst_sel:DWORD dst_unused:UNUSED_PAD src0_sel:WORD_0 src1_sel:DWORD
	;; [unrolled: 5-line block ×4, first 2 shown]
	; wave barrier
	ds_write_b128 v71, v[114:117]
	v_lshlrev_b16_e32 v114, 8, v103
	v_lshlrev_b16_e32 v115, 8, v113
	v_or_b32_sdwa v114, v102, v114 dst_sel:DWORD dst_unused:UNUSED_PAD src0_sel:BYTE_0 src1_sel:DWORD
	v_or_b32_sdwa v115, v112, v115 dst_sel:WORD_1 dst_unused:UNUSED_PAD src0_sel:BYTE_0 src1_sel:DWORD
	v_or_b32_sdwa v117, v114, v115 dst_sel:DWORD dst_unused:UNUSED_PAD src0_sel:WORD_0 src1_sel:DWORD
	v_lshlrev_b16_e32 v114, 8, v99
	v_lshlrev_b16_e32 v115, 8, v101
	v_or_b32_sdwa v114, v98, v114 dst_sel:DWORD dst_unused:UNUSED_PAD src0_sel:BYTE_0 src1_sel:DWORD
	v_or_b32_sdwa v115, v100, v115 dst_sel:WORD_1 dst_unused:UNUSED_PAD src0_sel:BYTE_0 src1_sel:DWORD
	v_or_b32_sdwa v116, v114, v115 dst_sel:DWORD dst_unused:UNUSED_PAD src0_sel:WORD_0 src1_sel:DWORD
	;; [unrolled: 5-line block ×4, first 2 shown]
	ds_write_b128 v71, v[114:117] offset:16
	v_and_b32_e32 v116, 0xf00, v70
	v_or_b32_e32 v114, 0x80, v116
	v_min_u32_e32 v114, v82, v114
	v_add_u32_e32 v115, 0x80, v114
	v_min_u32_e32 v115, v82, v115
	v_and_b32_e32 v117, 0xe0, v70
	v_min_u32_e32 v117, v82, v117
	v_sub_u32_e32 v119, v114, v116
	v_sub_u32_e32 v118, v115, v114
	v_sub_u32_e64 v118, v117, v118 clamp
	v_min_u32_e32 v119, v117, v119
	v_cmp_lt_u32_e32 vcc, v118, v119
	; wave barrier
	s_and_saveexec_b64 s[4:5], vcc
	s_cbranch_execz .LBB2777_149
; %bb.146:
	v_add_u32_e32 v128, v52, v116
	v_add3_u32 v129, v52, v114, v117
	s_mov_b64 s[6:7], 0
.LBB2777_147:                           ; =>This Inner Loop Header: Depth=1
	v_add_u32_e32 v130, v119, v118
	v_lshrrev_b32_e32 v130, 1, v130
	v_add_u32_e32 v131, v128, v130
	v_xad_u32 v132, v130, -1, v129
	ds_read_i8 v131, v131
	ds_read_i8 v132, v132
	v_add_u32_e32 v133, 1, v130
	s_waitcnt lgkmcnt(0)
	v_cmp_gt_i16_e32 vcc, v131, v132
	v_cndmask_b32_e32 v119, v119, v130, vcc
	v_cndmask_b32_e32 v118, v133, v118, vcc
	v_cmp_ge_u32_e32 vcc, v118, v119
	s_or_b64 s[6:7], vcc, s[6:7]
	s_andn2_b64 exec, exec, s[6:7]
	s_cbranch_execnz .LBB2777_147
; %bb.148:
	s_or_b64 exec, exec, s[6:7]
.LBB2777_149:
	s_or_b64 exec, exec, s[4:5]
	v_add_u32_e32 v117, v114, v117
	v_add_u32_e32 v116, v118, v116
	v_sub_u32_e32 v117, v117, v118
	v_cmp_le_u32_e32 vcc, v116, v114
	v_cmp_le_u32_e64 s[4:5], v117, v115
	s_or_b64 s[4:5], vcc, s[4:5]
	s_and_saveexec_b64 s[8:9], s[4:5]
	s_cbranch_execz .LBB2777_155
; %bb.150:
	v_cmp_lt_u32_e32 vcc, v116, v114
                                        ; implicit-def: $vgpr39
	s_and_saveexec_b64 s[4:5], vcc
	s_cbranch_execz .LBB2777_152
; %bb.151:
	v_add_u32_e32 v38, v52, v116
	ds_read_u8 v39, v38
.LBB2777_152:
	s_or_b64 exec, exec, s[4:5]
	v_cmp_ge_u32_e64 s[4:5], v117, v115
	v_cmp_lt_u32_e64 s[6:7], v117, v115
                                        ; implicit-def: $vgpr48
	s_and_saveexec_b64 s[10:11], s[6:7]
	s_cbranch_execz .LBB2777_154
; %bb.153:
	v_add_u32_e32 v38, v52, v117
	ds_read_u8 v48, v38
.LBB2777_154:
	s_or_b64 exec, exec, s[10:11]
	s_waitcnt lgkmcnt(0)
	v_cmp_le_i16_sdwa s[6:7], sext(v39), sext(v48) src0_sel:BYTE_0 src1_sel:BYTE_0
	s_and_b64 s[6:7], vcc, s[6:7]
	s_or_b64 vcc, s[4:5], s[6:7]
	v_cndmask_b32_e32 v49, v117, v116, vcc
	v_cndmask_b32_e32 v50, v115, v114, vcc
	v_add_u32_e32 v49, 1, v49
	v_add_u32_e32 v50, -1, v50
	v_min_u32_e32 v50, v49, v50
	v_add_u32_e32 v50, v52, v50
	ds_read_u8 v50, v50
	v_cndmask_b32_e32 v38, v48, v39, vcc
	v_cndmask_b32_e32 v51, v49, v117, vcc
	v_cndmask_b32_e32 v49, v116, v49, vcc
	v_cmp_lt_u32_e64 s[4:5], v49, v114
	s_waitcnt lgkmcnt(0)
	v_cndmask_b32_e32 v48, v50, v48, vcc
	v_cndmask_b32_e32 v50, v39, v50, vcc
	v_cmp_le_i16_sdwa s[6:7], sext(v50), sext(v48) src0_sel:BYTE_0 src1_sel:BYTE_0
	v_cmp_ge_u32_e32 vcc, v51, v115
	s_and_b64 s[4:5], s[4:5], s[6:7]
	s_or_b64 vcc, vcc, s[4:5]
	v_cndmask_b32_e32 v53, v51, v49, vcc
	v_cndmask_b32_e32 v54, v115, v114, vcc
	v_add_u32_e32 v53, 1, v53
	v_add_u32_e32 v54, -1, v54
	v_min_u32_e32 v54, v53, v54
	v_add_u32_e32 v54, v52, v54
	ds_read_u8 v54, v54
	v_cndmask_b32_e32 v39, v48, v50, vcc
	v_cndmask_b32_e32 v49, v49, v53, vcc
	v_cndmask_b32_e32 v51, v53, v51, vcc
	v_cmp_lt_u32_e64 s[4:5], v49, v114
	s_waitcnt lgkmcnt(0)
	v_cndmask_b32_e32 v55, v54, v48, vcc
	v_cndmask_b32_e32 v50, v50, v54, vcc
	v_cmp_le_i16_sdwa s[6:7], sext(v50), sext(v55) src0_sel:BYTE_0 src1_sel:BYTE_0
	v_cmp_ge_u32_e32 vcc, v51, v115
	s_and_b64 s[4:5], s[4:5], s[6:7]
	s_or_b64 vcc, vcc, s[4:5]
	;; [unrolled: 18-line block ×4, first 2 shown]
	v_cndmask_b32_e32 v54, v51, v53, vcc
	v_cndmask_b32_e32 v65, v115, v114, vcc
	v_add_u32_e32 v54, 1, v54
	v_add_u32_e32 v65, -1, v65
	v_min_u32_e32 v65, v54, v65
	v_add_u32_e32 v65, v52, v65
	ds_read_u8 v65, v65
	v_cndmask_b32_e32 v50, v55, v64, vcc
	v_cndmask_b32_e32 v53, v53, v54, vcc
	v_cmp_lt_u32_e64 s[4:5], v53, v114
	s_waitcnt lgkmcnt(0)
	v_cndmask_b32_e32 v55, v65, v55, vcc
	v_cndmask_b32_e32 v64, v64, v65, vcc
	;; [unrolled: 1-line block ×3, first 2 shown]
	v_cmp_le_i16_sdwa s[6:7], sext(v64), sext(v55) src0_sel:BYTE_0 src1_sel:BYTE_0
	v_cmp_ge_u32_e32 vcc, v65, v115
	s_and_b64 s[4:5], s[4:5], s[6:7]
	s_or_b64 vcc, vcc, s[4:5]
	v_cndmask_b32_e32 v54, v65, v53, vcc
	v_cndmask_b32_e32 v66, v115, v114, vcc
	v_add_u32_e32 v54, 1, v54
	v_add_u32_e32 v66, -1, v66
	v_min_u32_e32 v66, v54, v66
	v_add_u32_e32 v66, v52, v66
	ds_read_u8 v66, v66
	v_cndmask_b32_e32 v51, v55, v64, vcc
	v_cndmask_b32_e32 v65, v54, v65, vcc
	v_cndmask_b32_e32 v54, v53, v54, vcc
	v_cmp_lt_u32_e64 s[4:5], v54, v114
	s_waitcnt lgkmcnt(0)
	v_cndmask_b32_e32 v55, v66, v55, vcc
	v_cndmask_b32_e32 v64, v64, v66, vcc
	v_cmp_le_i16_sdwa s[6:7], sext(v64), sext(v55) src0_sel:BYTE_0 src1_sel:BYTE_0
	v_cmp_ge_u32_e32 vcc, v65, v115
	s_and_b64 s[4:5], s[4:5], s[6:7]
	s_or_b64 vcc, vcc, s[4:5]
	v_cndmask_b32_e32 v66, v65, v54, vcc
	v_cndmask_b32_e32 v67, v115, v114, vcc
	v_add_u32_e32 v66, 1, v66
	v_add_u32_e32 v67, -1, v67
	v_min_u32_e32 v67, v66, v67
	v_add_u32_e32 v67, v52, v67
	ds_read_u8 v67, v67
	v_cndmask_b32_e32 v53, v55, v64, vcc
	v_cndmask_b32_e32 v65, v66, v65, vcc
	v_cndmask_b32_e32 v66, v54, v66, vcc
	v_cmp_lt_u32_e64 s[4:5], v66, v114
	s_waitcnt lgkmcnt(0)
	v_cndmask_b32_e32 v55, v67, v55, vcc
	v_cndmask_b32_e32 v64, v64, v67, vcc
	;; [unrolled: 18-line block ×4, first 2 shown]
	v_cmp_le_i16_sdwa s[6:7], sext(v68), sext(v69) src0_sel:BYTE_0 src1_sel:BYTE_0
	v_cmp_ge_u32_e32 vcc, v65, v115
	s_and_b64 s[4:5], s[4:5], s[6:7]
	s_or_b64 vcc, vcc, s[4:5]
	v_cndmask_b32_e32 v67, v65, v66, vcc
	v_cndmask_b32_e32 v80, v115, v114, vcc
	v_add_u32_e32 v67, 1, v67
	v_add_u32_e32 v80, -1, v80
	v_min_u32_e32 v80, v67, v80
	v_add_u32_e32 v80, v52, v80
	ds_read_u8 v80, v80
	v_cndmask_b32_e32 v64, v69, v68, vcc
	v_cndmask_b32_e32 v66, v66, v67, vcc
	v_cmp_lt_u32_e64 s[4:5], v66, v114
	s_waitcnt lgkmcnt(0)
	v_cndmask_b32_e32 v69, v80, v69, vcc
	v_cndmask_b32_e32 v68, v68, v80, vcc
	v_cndmask_b32_e32 v80, v67, v65, vcc
	v_cmp_le_i16_sdwa s[6:7], sext(v68), sext(v69) src0_sel:BYTE_0 src1_sel:BYTE_0
	v_cmp_ge_u32_e32 vcc, v80, v115
	s_and_b64 s[4:5], s[4:5], s[6:7]
	s_or_b64 vcc, vcc, s[4:5]
	v_cndmask_b32_e32 v67, v80, v66, vcc
	v_cndmask_b32_e32 v81, v115, v114, vcc
	v_add_u32_e32 v67, 1, v67
	v_add_u32_e32 v81, -1, v81
	v_min_u32_e32 v81, v67, v81
	v_add_u32_e32 v81, v52, v81
	ds_read_u8 v81, v81
	v_cndmask_b32_e32 v65, v69, v68, vcc
	v_cndmask_b32_e32 v80, v67, v80, vcc
	v_cndmask_b32_e32 v67, v66, v67, vcc
	v_cmp_lt_u32_e64 s[4:5], v67, v114
	s_waitcnt lgkmcnt(0)
	v_cndmask_b32_e32 v69, v81, v69, vcc
	v_cndmask_b32_e32 v68, v68, v81, vcc
	v_cmp_le_i16_sdwa s[6:7], sext(v68), sext(v69) src0_sel:BYTE_0 src1_sel:BYTE_0
	v_cmp_ge_u32_e32 vcc, v80, v115
	s_and_b64 s[4:5], s[4:5], s[6:7]
	s_or_b64 vcc, vcc, s[4:5]
	v_cndmask_b32_e32 v81, v80, v67, vcc
	v_cndmask_b32_e32 v83, v115, v114, vcc
	v_add_u32_e32 v81, 1, v81
	v_add_u32_e32 v83, -1, v83
	v_min_u32_e32 v83, v81, v83
	v_add_u32_e32 v83, v52, v83
	ds_read_u8 v83, v83
	v_cndmask_b32_e32 v66, v69, v68, vcc
	v_cndmask_b32_e32 v80, v81, v80, vcc
	v_cndmask_b32_e32 v81, v67, v81, vcc
	v_cmp_lt_u32_e64 s[4:5], v81, v114
	s_waitcnt lgkmcnt(0)
	v_cndmask_b32_e32 v69, v83, v69, vcc
	v_cndmask_b32_e32 v68, v68, v83, vcc
	;; [unrolled: 18-line block ×4, first 2 shown]
	v_cmp_le_i16_sdwa s[6:7], sext(v84), sext(v86) src0_sel:BYTE_0 src1_sel:BYTE_0
	v_cmp_ge_u32_e32 vcc, v80, v115
	s_and_b64 s[4:5], s[4:5], s[6:7]
	s_or_b64 vcc, vcc, s[4:5]
	v_cndmask_b32_e32 v83, v80, v81, vcc
	v_cndmask_b32_e32 v85, v115, v114, vcc
	v_add_u32_e32 v83, 1, v83
	v_add_u32_e32 v85, -1, v85
	v_min_u32_e32 v85, v83, v85
	v_add_u32_e32 v85, v52, v85
	ds_read_u8 v85, v85
	v_cndmask_b32_e32 v69, v86, v84, vcc
	v_cndmask_b32_e32 v81, v81, v83, vcc
	v_cmp_lt_u32_e64 s[4:5], v81, v114
	s_waitcnt lgkmcnt(0)
	v_cndmask_b32_e32 v86, v85, v86, vcc
	v_cndmask_b32_e32 v84, v84, v85, vcc
	v_cndmask_b32_e32 v85, v83, v80, vcc
	v_cmp_le_i16_sdwa s[6:7], sext(v84), sext(v86) src0_sel:BYTE_0 src1_sel:BYTE_0
	v_cmp_ge_u32_e32 vcc, v85, v115
	s_and_b64 s[4:5], s[4:5], s[6:7]
	s_or_b64 vcc, vcc, s[4:5]
	v_cndmask_b32_e32 v83, v85, v81, vcc
	v_cndmask_b32_e32 v87, v115, v114, vcc
	v_add_u32_e32 v83, 1, v83
	v_add_u32_e32 v87, -1, v87
	v_min_u32_e32 v87, v83, v87
	v_add_u32_e32 v87, v52, v87
	ds_read_u8 v87, v87
	v_cndmask_b32_e32 v80, v86, v84, vcc
	v_cndmask_b32_e32 v85, v83, v85, vcc
	v_cndmask_b32_e32 v83, v81, v83, vcc
	v_cmp_lt_u32_e64 s[4:5], v83, v114
	s_waitcnt lgkmcnt(0)
	v_cndmask_b32_e32 v86, v87, v86, vcc
	v_cndmask_b32_e32 v84, v84, v87, vcc
	v_cmp_le_i16_sdwa s[6:7], sext(v84), sext(v86) src0_sel:BYTE_0 src1_sel:BYTE_0
	v_cmp_ge_u32_e32 vcc, v85, v115
	s_and_b64 s[4:5], s[4:5], s[6:7]
	s_or_b64 vcc, vcc, s[4:5]
	v_cndmask_b32_e32 v87, v85, v83, vcc
	v_cndmask_b32_e32 v96, v115, v114, vcc
	v_add_u32_e32 v87, 1, v87
	v_add_u32_e32 v96, -1, v96
	v_min_u32_e32 v96, v87, v96
	v_add_u32_e32 v96, v52, v96
	ds_read_u8 v96, v96
	v_cndmask_b32_e32 v81, v86, v84, vcc
	v_cndmask_b32_e32 v85, v87, v85, vcc
	v_cndmask_b32_e32 v87, v83, v87, vcc
	v_cmp_lt_u32_e64 s[4:5], v87, v114
	s_waitcnt lgkmcnt(0)
	v_cndmask_b32_e32 v86, v96, v86, vcc
	v_cndmask_b32_e32 v84, v84, v96, vcc
	;; [unrolled: 18-line block ×3, first 2 shown]
	v_cmp_le_i16_sdwa s[6:7], sext(v97), sext(v86) src0_sel:BYTE_0 src1_sel:BYTE_0
	v_cmp_ge_u32_e32 vcc, v85, v115
	s_and_b64 s[4:5], s[4:5], s[6:7]
	s_or_b64 vcc, vcc, s[4:5]
	v_cndmask_b32_e32 v96, v85, v87, vcc
	v_cndmask_b32_e32 v98, v115, v114, vcc
	v_add_u32_e32 v96, 1, v96
	v_add_u32_e32 v98, -1, v98
	v_min_u32_e32 v98, v96, v98
	v_add_u32_e32 v98, v52, v98
	ds_read_u8 v98, v98
	v_cndmask_b32_e32 v84, v86, v97, vcc
	v_cndmask_b32_e32 v87, v87, v96, vcc
	v_cmp_lt_u32_e64 s[4:5], v87, v114
	s_waitcnt lgkmcnt(0)
	v_cndmask_b32_e32 v86, v98, v86, vcc
	v_cndmask_b32_e32 v97, v97, v98, vcc
	;; [unrolled: 1-line block ×3, first 2 shown]
	v_cmp_le_i16_sdwa s[6:7], sext(v97), sext(v86) src0_sel:BYTE_0 src1_sel:BYTE_0
	v_cmp_ge_u32_e32 vcc, v98, v115
	s_and_b64 s[4:5], s[4:5], s[6:7]
	s_or_b64 vcc, vcc, s[4:5]
	v_cndmask_b32_e32 v96, v98, v87, vcc
	v_cndmask_b32_e32 v99, v115, v114, vcc
	v_add_u32_e32 v96, 1, v96
	v_add_u32_e32 v99, -1, v99
	v_min_u32_e32 v99, v96, v99
	v_add_u32_e32 v99, v52, v99
	ds_read_u8 v99, v99
	v_cndmask_b32_e32 v85, v86, v97, vcc
	v_cndmask_b32_e32 v87, v87, v96, vcc
	v_cndmask_b32_e32 v98, v96, v98, vcc
	v_cmp_lt_u32_e64 s[4:5], v87, v114
	s_waitcnt lgkmcnt(0)
	v_cndmask_b32_e32 v100, v99, v86, vcc
	v_cndmask_b32_e32 v97, v97, v99, vcc
	v_cmp_le_i16_sdwa s[6:7], sext(v97), sext(v100) src0_sel:BYTE_0 src1_sel:BYTE_0
	v_cmp_ge_u32_e32 vcc, v98, v115
	s_and_b64 s[4:5], s[4:5], s[6:7]
	s_or_b64 vcc, vcc, s[4:5]
	v_cndmask_b32_e32 v96, v98, v87, vcc
	v_cndmask_b32_e32 v99, v115, v114, vcc
	v_add_u32_e32 v96, 1, v96
	v_add_u32_e32 v99, -1, v99
	v_min_u32_e32 v99, v96, v99
	v_add_u32_e32 v99, v52, v99
	ds_read_u8 v99, v99
	v_cndmask_b32_e32 v86, v100, v97, vcc
	v_cndmask_b32_e32 v98, v96, v98, vcc
	v_cndmask_b32_e32 v96, v87, v96, vcc
	v_cmp_lt_u32_e64 s[4:5], v96, v114
	s_waitcnt lgkmcnt(0)
	v_cndmask_b32_e32 v100, v99, v100, vcc
	v_cndmask_b32_e32 v97, v97, v99, vcc
	;; [unrolled: 18-line block ×4, first 2 shown]
	v_cmp_le_i16_sdwa s[6:7], sext(v102), sext(v100) src0_sel:BYTE_0 src1_sel:BYTE_0
	v_cmp_ge_u32_e32 vcc, v98, v115
	s_and_b64 s[4:5], s[4:5], s[6:7]
	s_or_b64 vcc, vcc, s[4:5]
	v_cndmask_b32_e32 v101, v98, v99, vcc
	v_cndmask_b32_e32 v103, v115, v114, vcc
	v_add_u32_e32 v101, 1, v101
	v_add_u32_e32 v103, -1, v103
	v_min_u32_e32 v103, v101, v103
	v_add_u32_e32 v103, v52, v103
	ds_read_u8 v103, v103
	v_cndmask_b32_e32 v97, v100, v102, vcc
	v_cndmask_b32_e32 v99, v99, v101, vcc
	v_cmp_lt_u32_e64 s[4:5], v99, v114
	s_waitcnt lgkmcnt(0)
	v_cndmask_b32_e32 v100, v103, v100, vcc
	v_cndmask_b32_e32 v102, v102, v103, vcc
	;; [unrolled: 1-line block ×3, first 2 shown]
	v_cmp_le_i16_sdwa s[6:7], sext(v102), sext(v100) src0_sel:BYTE_0 src1_sel:BYTE_0
	v_cmp_ge_u32_e32 vcc, v103, v115
	s_and_b64 s[4:5], s[4:5], s[6:7]
	s_or_b64 vcc, vcc, s[4:5]
	v_cndmask_b32_e32 v101, v103, v99, vcc
	v_cndmask_b32_e32 v112, v115, v114, vcc
	v_add_u32_e32 v101, 1, v101
	v_add_u32_e32 v112, -1, v112
	v_min_u32_e32 v112, v101, v112
	v_add_u32_e32 v112, v52, v112
	ds_read_u8 v112, v112
	v_cndmask_b32_e32 v98, v100, v102, vcc
	v_cndmask_b32_e32 v103, v101, v103, vcc
	v_cndmask_b32_e32 v101, v99, v101, vcc
	v_cmp_lt_u32_e64 s[4:5], v101, v114
	s_waitcnt lgkmcnt(0)
	v_cndmask_b32_e32 v100, v112, v100, vcc
	v_cndmask_b32_e32 v102, v102, v112, vcc
	v_cmp_le_i16_sdwa s[6:7], sext(v102), sext(v100) src0_sel:BYTE_0 src1_sel:BYTE_0
	v_cmp_ge_u32_e32 vcc, v103, v115
	s_and_b64 s[4:5], s[4:5], s[6:7]
	s_or_b64 vcc, vcc, s[4:5]
	v_cndmask_b32_e32 v112, v103, v101, vcc
	v_cndmask_b32_e32 v113, v115, v114, vcc
	v_add_u32_e32 v112, 1, v112
	v_add_u32_e32 v113, -1, v113
	v_min_u32_e32 v113, v112, v113
	v_add_u32_e32 v113, v52, v113
	ds_read_u8 v113, v113
	v_cndmask_b32_e32 v99, v100, v102, vcc
	v_cndmask_b32_e32 v101, v101, v112, vcc
	v_cndmask_b32_e32 v103, v112, v103, vcc
	v_cmp_lt_u32_e64 s[4:5], v101, v114
	s_waitcnt lgkmcnt(0)
	v_cndmask_b32_e32 v116, v113, v100, vcc
	v_cndmask_b32_e32 v102, v102, v113, vcc
	;; [unrolled: 18-line block ×4, first 2 shown]
	v_cmp_le_i16_sdwa s[6:7], sext(v117), sext(v116) src0_sel:BYTE_0 src1_sel:BYTE_0
	v_cmp_ge_u32_e32 vcc, v103, v115
	s_and_b64 s[4:5], s[4:5], s[6:7]
	s_or_b64 vcc, vcc, s[4:5]
	v_cndmask_b32_e32 v113, v103, v112, vcc
	v_cndmask_b32_e32 v118, v115, v114, vcc
	v_add_u32_e32 v113, 1, v113
	v_add_u32_e32 v118, -1, v118
	v_min_u32_e32 v118, v113, v118
	v_add_u32_e32 v118, v52, v118
	ds_read_u8 v118, v118
	v_cndmask_b32_e32 v102, v116, v117, vcc
	v_cndmask_b32_e32 v112, v112, v113, vcc
	v_cmp_lt_u32_e64 s[4:5], v112, v114
	s_waitcnt lgkmcnt(0)
	v_cndmask_b32_e32 v116, v118, v116, vcc
	v_cndmask_b32_e32 v117, v117, v118, vcc
	;; [unrolled: 1-line block ×3, first 2 shown]
	v_cmp_le_i16_sdwa s[6:7], sext(v117), sext(v116) src0_sel:BYTE_0 src1_sel:BYTE_0
	v_cmp_ge_u32_e32 vcc, v118, v115
	s_and_b64 s[4:5], s[4:5], s[6:7]
	s_or_b64 vcc, vcc, s[4:5]
	v_cndmask_b32_e32 v113, v118, v112, vcc
	v_cndmask_b32_e32 v119, v115, v114, vcc
	v_add_u32_e32 v113, 1, v113
	v_add_u32_e32 v119, -1, v119
	v_min_u32_e32 v119, v113, v119
	v_add_u32_e32 v119, v52, v119
	ds_read_u8 v119, v119
	v_cndmask_b32_e32 v103, v116, v117, vcc
	v_cndmask_b32_e32 v118, v113, v118, vcc
	;; [unrolled: 1-line block ×3, first 2 shown]
	v_cmp_lt_u32_e64 s[4:5], v113, v114
	s_waitcnt lgkmcnt(0)
	v_cndmask_b32_e32 v116, v119, v116, vcc
	v_cndmask_b32_e32 v117, v117, v119, vcc
	v_cmp_le_i16_sdwa s[6:7], sext(v117), sext(v116) src0_sel:BYTE_0 src1_sel:BYTE_0
	v_cmp_ge_u32_e32 vcc, v118, v115
	s_and_b64 s[4:5], s[4:5], s[6:7]
	s_or_b64 vcc, vcc, s[4:5]
	v_cndmask_b32_e32 v119, v118, v113, vcc
	v_cndmask_b32_e32 v128, v115, v114, vcc
	v_add_u32_e32 v119, 1, v119
	v_add_u32_e32 v128, -1, v128
	v_min_u32_e32 v128, v119, v128
	v_add_u32_e32 v128, v52, v128
	ds_read_u8 v128, v128
	v_cndmask_b32_e32 v118, v119, v118, vcc
	v_cndmask_b32_e32 v112, v116, v117, vcc
	v_cmp_lt_u32_e64 s[4:5], v118, v115
	v_cndmask_b32_e32 v113, v113, v119, vcc
	s_waitcnt lgkmcnt(0)
	v_cndmask_b32_e32 v117, v117, v128, vcc
	v_cndmask_b32_e32 v115, v128, v116, vcc
	v_cmp_lt_u32_e32 vcc, v113, v114
	v_min_i16_sdwa v113, sext(v117), sext(v115) dst_sel:DWORD dst_unused:UNUSED_PAD src0_sel:BYTE_0 src1_sel:BYTE_0
	v_cndmask_b32_e32 v113, v115, v113, vcc
	v_cndmask_b32_e64 v113, v117, v113, s[4:5]
.LBB2777_155:
	s_or_b64 exec, exec, s[8:9]
	v_lshlrev_b16_e32 v114, 8, v68
	v_lshlrev_b16_e32 v115, 8, v80
	v_or_b32_sdwa v114, v67, v114 dst_sel:DWORD dst_unused:UNUSED_PAD src0_sel:BYTE_0 src1_sel:DWORD
	v_or_b32_sdwa v115, v69, v115 dst_sel:WORD_1 dst_unused:UNUSED_PAD src0_sel:BYTE_0 src1_sel:DWORD
	v_or_b32_sdwa v117, v114, v115 dst_sel:DWORD dst_unused:UNUSED_PAD src0_sel:WORD_0 src1_sel:DWORD
	v_lshlrev_b16_e32 v114, 8, v64
	v_lshlrev_b16_e32 v115, 8, v66
	v_or_b32_sdwa v114, v55, v114 dst_sel:DWORD dst_unused:UNUSED_PAD src0_sel:BYTE_0 src1_sel:DWORD
	v_or_b32_sdwa v115, v65, v115 dst_sel:WORD_1 dst_unused:UNUSED_PAD src0_sel:BYTE_0 src1_sel:DWORD
	v_or_b32_sdwa v116, v114, v115 dst_sel:DWORD dst_unused:UNUSED_PAD src0_sel:WORD_0 src1_sel:DWORD
	;; [unrolled: 5-line block ×4, first 2 shown]
	; wave barrier
	ds_write_b128 v71, v[114:117]
	v_lshlrev_b16_e32 v114, 8, v103
	v_lshlrev_b16_e32 v115, 8, v113
	v_or_b32_sdwa v114, v102, v114 dst_sel:DWORD dst_unused:UNUSED_PAD src0_sel:BYTE_0 src1_sel:DWORD
	v_or_b32_sdwa v115, v112, v115 dst_sel:WORD_1 dst_unused:UNUSED_PAD src0_sel:BYTE_0 src1_sel:DWORD
	v_or_b32_sdwa v117, v114, v115 dst_sel:DWORD dst_unused:UNUSED_PAD src0_sel:WORD_0 src1_sel:DWORD
	v_lshlrev_b16_e32 v114, 8, v99
	v_lshlrev_b16_e32 v115, 8, v101
	v_or_b32_sdwa v114, v98, v114 dst_sel:DWORD dst_unused:UNUSED_PAD src0_sel:BYTE_0 src1_sel:DWORD
	v_or_b32_sdwa v115, v100, v115 dst_sel:WORD_1 dst_unused:UNUSED_PAD src0_sel:BYTE_0 src1_sel:DWORD
	v_or_b32_sdwa v116, v114, v115 dst_sel:DWORD dst_unused:UNUSED_PAD src0_sel:WORD_0 src1_sel:DWORD
	v_lshlrev_b16_e32 v114, 8, v87
	v_lshlrev_b16_e32 v115, 8, v97
	v_or_b32_sdwa v114, v86, v114 dst_sel:DWORD dst_unused:UNUSED_PAD src0_sel:BYTE_0 src1_sel:DWORD
	v_or_b32_sdwa v115, v96, v115 dst_sel:WORD_1 dst_unused:UNUSED_PAD src0_sel:BYTE_0 src1_sel:DWORD
	v_or_b32_sdwa v115, v114, v115 dst_sel:DWORD dst_unused:UNUSED_PAD src0_sel:WORD_0 src1_sel:DWORD
	v_lshlrev_b16_e32 v114, 8, v83
	v_lshlrev_b16_e32 v118, 8, v85
	v_or_b32_sdwa v114, v81, v114 dst_sel:DWORD dst_unused:UNUSED_PAD src0_sel:BYTE_0 src1_sel:DWORD
	v_or_b32_sdwa v118, v84, v118 dst_sel:WORD_1 dst_unused:UNUSED_PAD src0_sel:BYTE_0 src1_sel:DWORD
	v_or_b32_sdwa v114, v114, v118 dst_sel:DWORD dst_unused:UNUSED_PAD src0_sel:WORD_0 src1_sel:DWORD
	ds_write_b128 v71, v[114:117] offset:16
	v_and_b32_e32 v115, 0xe00, v70
	v_or_b32_e32 v71, 0x100, v115
	v_min_u32_e32 v71, v82, v71
	v_add_u32_e32 v114, 0x100, v71
	v_min_u32_e32 v114, v82, v114
	v_and_b32_e32 v70, 0x1e0, v70
	v_min_u32_e32 v82, v82, v70
	v_sub_u32_e32 v70, v71, v115
	v_sub_u32_e32 v116, v114, v71
	v_sub_u32_e64 v116, v82, v116 clamp
	v_min_u32_e32 v70, v82, v70
	v_cmp_lt_u32_e32 vcc, v116, v70
	; wave barrier
	s_and_saveexec_b64 s[4:5], vcc
	s_cbranch_execz .LBB2777_159
; %bb.156:
	v_add_u32_e32 v117, v52, v115
	v_add3_u32 v118, v52, v71, v82
	s_mov_b64 s[6:7], 0
.LBB2777_157:                           ; =>This Inner Loop Header: Depth=1
	v_add_u32_e32 v119, v70, v116
	v_lshrrev_b32_e32 v119, 1, v119
	v_add_u32_e32 v128, v117, v119
	v_xad_u32 v129, v119, -1, v118
	ds_read_i8 v128, v128
	ds_read_i8 v129, v129
	v_add_u32_e32 v130, 1, v119
	s_waitcnt lgkmcnt(0)
	v_cmp_gt_i16_e32 vcc, v128, v129
	v_cndmask_b32_e32 v70, v70, v119, vcc
	v_cndmask_b32_e32 v116, v130, v116, vcc
	v_cmp_ge_u32_e32 vcc, v116, v70
	s_or_b64 s[6:7], vcc, s[6:7]
	s_andn2_b64 exec, exec, s[6:7]
	s_cbranch_execnz .LBB2777_157
; %bb.158:
	s_or_b64 exec, exec, s[6:7]
.LBB2777_159:
	s_or_b64 exec, exec, s[4:5]
	v_add_u32_e32 v82, v71, v82
	v_add_u32_e32 v70, v116, v115
	v_sub_u32_e32 v82, v82, v116
	v_cmp_le_u32_e32 vcc, v70, v71
	v_cmp_le_u32_e64 s[4:5], v82, v114
	s_or_b64 s[4:5], vcc, s[4:5]
	s_and_saveexec_b64 s[86:87], s[4:5]
	s_cbranch_execz .LBB2777_165
; %bb.160:
	v_cmp_lt_u32_e32 vcc, v70, v71
                                        ; implicit-def: $vgpr38
	s_and_saveexec_b64 s[4:5], vcc
	s_cbranch_execz .LBB2777_162
; %bb.161:
	v_add_u32_e32 v38, v52, v70
	ds_read_u8 v38, v38
.LBB2777_162:
	s_or_b64 exec, exec, s[4:5]
	v_cmp_ge_u32_e64 s[4:5], v82, v114
	v_cmp_lt_u32_e64 s[6:7], v82, v114
                                        ; implicit-def: $vgpr39
	s_and_saveexec_b64 s[8:9], s[6:7]
	s_cbranch_execz .LBB2777_164
; %bb.163:
	v_add_u32_e32 v39, v52, v82
	ds_read_u8 v39, v39
.LBB2777_164:
	s_or_b64 exec, exec, s[8:9]
	s_waitcnt lgkmcnt(0)
	v_cmp_le_i16_sdwa s[6:7], sext(v38), sext(v39) src0_sel:BYTE_0 src1_sel:BYTE_0
	s_and_b64 s[6:7], vcc, s[6:7]
	s_or_b64 vcc, s[4:5], s[6:7]
	v_cndmask_b32_e32 v48, v82, v70, vcc
	v_cndmask_b32_e32 v49, v114, v71, vcc
	v_add_u32_e32 v48, 1, v48
	v_add_u32_e32 v49, -1, v49
	v_min_u32_e32 v49, v48, v49
	v_add_u32_e32 v49, v52, v49
	ds_read_u8 v49, v49
	v_cndmask_b32_e32 v50, v48, v82, vcc
	v_cndmask_b32_e32 v48, v70, v48, vcc
	v_cmp_lt_u32_e64 s[6:7], v48, v71
	v_cmp_ge_u32_e64 s[4:5], v50, v114
	s_waitcnt lgkmcnt(0)
	v_cndmask_b32_e32 v51, v49, v39, vcc
	v_cndmask_b32_e32 v49, v38, v49, vcc
	v_cmp_le_i16_sdwa s[8:9], sext(v49), sext(v51) src0_sel:BYTE_0 src1_sel:BYTE_0
	s_and_b64 s[6:7], s[6:7], s[8:9]
	s_or_b64 s[4:5], s[4:5], s[6:7]
	v_cndmask_b32_e64 v53, v50, v48, s[4:5]
	v_cndmask_b32_e64 v54, v114, v71, s[4:5]
	v_add_u32_e32 v53, 1, v53
	v_add_u32_e32 v54, -1, v54
	v_min_u32_e32 v54, v53, v54
	v_add_u32_e32 v54, v52, v54
	ds_read_u8 v54, v54
	v_cndmask_b32_e64 v48, v48, v53, s[4:5]
	v_cndmask_b32_e64 v50, v53, v50, s[4:5]
	v_cmp_lt_u32_e64 s[8:9], v48, v71
	v_cmp_ge_u32_e64 s[6:7], v50, v114
	s_waitcnt lgkmcnt(0)
	v_cndmask_b32_e64 v55, v54, v51, s[4:5]
	v_cndmask_b32_e64 v54, v49, v54, s[4:5]
	v_cmp_le_i16_sdwa s[10:11], sext(v54), sext(v55) src0_sel:BYTE_0 src1_sel:BYTE_0
	s_and_b64 s[8:9], s[8:9], s[10:11]
	s_or_b64 s[8:9], s[6:7], s[8:9]
	v_cndmask_b32_e64 v53, v50, v48, s[8:9]
	v_cndmask_b32_e64 v64, v114, v71, s[8:9]
	v_add_u32_e32 v53, 1, v53
	v_add_u32_e32 v64, -1, v64
	v_min_u32_e32 v64, v53, v64
	v_add_u32_e32 v64, v52, v64
	ds_read_u8 v64, v64
	v_cndmask_b32_e64 v48, v48, v53, s[8:9]
	v_cndmask_b32_e64 v50, v53, v50, s[8:9]
	v_cmp_lt_u32_e64 s[10:11], v48, v71
	v_cmp_ge_u32_e64 s[6:7], v50, v114
	s_waitcnt lgkmcnt(0)
	v_cndmask_b32_e64 v65, v64, v55, s[8:9]
	v_cndmask_b32_e64 v64, v54, v64, s[8:9]
	;; [unrolled: 17-line block ×22, first 2 shown]
	v_cmp_le_i16_sdwa s[40:41], sext(v146), sext(v147) src0_sel:BYTE_0 src1_sel:BYTE_0
	s_and_b64 s[40:41], s[82:83], s[40:41]
	s_or_b64 s[82:83], s[34:35], s[40:41]
	v_cndmask_b32_e64 v48, v50, v53, s[82:83]
	v_cndmask_b32_e64 v148, v114, v71, s[82:83]
	v_add_u32_e32 v149, 1, v48
	v_add_u32_e32 v48, -1, v148
	v_min_u32_e32 v48, v149, v48
	v_add_u32_e32 v48, v52, v48
	ds_read_u8 v148, v48
	v_cndmask_b32_e64 v48, v55, v54, s[8:9]
	v_cndmask_b32_e64 v55, v53, v149, s[82:83]
	v_cndmask_b32_e32 v38, v39, v38, vcc
	v_cndmask_b32_e64 v39, v51, v49, s[4:5]
	s_waitcnt lgkmcnt(0)
	v_cndmask_b32_e64 v150, v148, v147, s[82:83]
	v_cndmask_b32_e64 v148, v146, v148, s[82:83]
	;; [unrolled: 1-line block ×3, first 2 shown]
	v_cmp_lt_u32_e64 s[4:5], v55, v71
	v_cmp_le_i16_sdwa s[8:9], sext(v148), sext(v150) src0_sel:BYTE_0 src1_sel:BYTE_0
	v_cmp_ge_u32_e32 vcc, v54, v114
	s_and_b64 s[4:5], s[4:5], s[8:9]
	s_or_b64 vcc, vcc, s[4:5]
	v_cndmask_b32_e32 v49, v54, v55, vcc
	v_cndmask_b32_e32 v50, v114, v71, vcc
	v_add_u32_e32 v149, 1, v49
	v_add_u32_e32 v49, -1, v50
	v_min_u32_e32 v49, v149, v49
	v_add_u32_e32 v49, v52, v49
	ds_read_u8 v151, v49
	v_cndmask_b32_e64 v50, v67, v66, s[10:11]
	v_cndmask_b32_e64 v53, v80, v70, s[16:17]
	v_cndmask_b32_e32 v67, v55, v149, vcc
	v_cndmask_b32_e64 v49, v65, v64, s[6:7]
	s_waitcnt lgkmcnt(0)
	v_cndmask_b32_e32 v70, v151, v150, vcc
	v_cndmask_b32_e32 v151, v148, v151, vcc
	;; [unrolled: 1-line block ×3, first 2 shown]
	v_cmp_lt_u32_e64 s[6:7], v67, v71
	v_cmp_le_i16_sdwa s[8:9], sext(v151), sext(v70) src0_sel:BYTE_0 src1_sel:BYTE_0
	v_cmp_ge_u32_e64 s[4:5], v66, v114
	s_and_b64 s[6:7], s[6:7], s[8:9]
	s_or_b64 s[4:5], s[4:5], s[6:7]
	v_cndmask_b32_e64 v54, v66, v67, s[4:5]
	v_cndmask_b32_e64 v55, v114, v71, s[4:5]
	;; [unrolled: 1-line block ×3, first 2 shown]
	v_add_u32_e32 v68, 1, v54
	v_add_u32_e32 v54, -1, v55
	v_min_u32_e32 v54, v68, v54
	v_add_u32_e32 v54, v52, v54
	ds_read_u8 v69, v54
	v_cndmask_b32_e64 v54, v82, v81, s[14:15]
	v_cndmask_b32_e64 v81, v67, v68, s[4:5]
	;; [unrolled: 1-line block ×3, first 2 shown]
	v_cmp_lt_u32_e64 s[8:9], v81, v71
	s_waitcnt lgkmcnt(0)
	v_cndmask_b32_e64 v82, v69, v70, s[4:5]
	v_cndmask_b32_e64 v149, v151, v69, s[4:5]
	v_cmp_le_i16_sdwa s[10:11], sext(v149), sext(v82) src0_sel:BYTE_0 src1_sel:BYTE_0
	v_cmp_ge_u32_e64 s[6:7], v80, v114
	s_and_b64 s[8:9], s[8:9], s[10:11]
	s_or_b64 s[6:7], s[6:7], s[8:9]
	v_cndmask_b32_e64 v66, v80, v81, s[6:7]
	v_cndmask_b32_e64 v67, v114, v71, s[6:7]
	v_cndmask_b32_e64 v55, v84, v83, s[18:19]
	v_add_u32_e32 v83, 1, v66
	v_add_u32_e32 v66, -1, v67
	v_min_u32_e32 v66, v83, v66
	v_add_u32_e32 v66, v52, v66
	ds_read_u8 v84, v66
	v_cndmask_b32_e64 v64, v86, v85, s[20:21]
	v_cndmask_b32_e64 v68, v102, v101, s[28:29]
	v_cndmask_b32_e64 v86, v81, v83, s[6:7]
	v_cndmask_b32_e64 v85, v83, v80, s[6:7]
	s_waitcnt lgkmcnt(0)
	v_cndmask_b32_e64 v101, v84, v82, s[6:7]
	v_cndmask_b32_e64 v102, v149, v84, s[6:7]
	v_cmp_lt_u32_e64 s[10:11], v86, v71
	v_cmp_le_i16_sdwa s[12:13], sext(v102), sext(v101) src0_sel:BYTE_0 src1_sel:BYTE_0
	v_cmp_ge_u32_e64 s[8:9], v85, v114
	s_and_b64 s[10:11], s[10:11], s[12:13]
	s_or_b64 s[8:9], s[8:9], s[10:11]
	v_cndmask_b32_e64 v80, v85, v86, s[8:9]
	v_cndmask_b32_e64 v81, v114, v71, s[8:9]
	v_cndmask_b32_e64 v65, v96, v87, s[24:25]
	v_add_u32_e32 v87, 1, v80
	v_add_u32_e32 v80, -1, v81
	v_min_u32_e32 v80, v87, v80
	v_add_u32_e32 v80, v52, v80
	ds_read_u8 v96, v80
	v_cndmask_b32_e64 v66, v98, v97, s[22:23]
	v_cndmask_b32_e64 v69, v112, v103, s[68:69]
	v_cndmask_b32_e64 v98, v86, v87, s[8:9]
	v_cndmask_b32_e64 v97, v87, v85, s[8:9]
	s_waitcnt lgkmcnt(0)
	v_cndmask_b32_e64 v103, v96, v101, s[8:9]
	v_cndmask_b32_e64 v112, v102, v96, s[8:9]
	v_cmp_lt_u32_e64 s[12:13], v98, v71
	;; [unrolled: 20-line block ×4, first 2 shown]
	v_cmp_le_i16_sdwa s[6:7], sext(v82), sext(v70) src0_sel:BYTE_0 src1_sel:BYTE_0
	v_cndmask_b32_e32 v98, v150, v148, vcc
	v_cmp_ge_u32_e32 vcc, v116, v114
	s_and_b64 s[4:5], s[4:5], s[6:7]
	s_or_b64 vcc, vcc, s[4:5]
	v_cndmask_b32_e32 v118, v116, v117, vcc
	v_cndmask_b32_e32 v119, v114, v71, vcc
	v_add_u32_e32 v118, 1, v118
	v_add_u32_e32 v119, -1, v119
	v_min_u32_e32 v119, v118, v119
	v_add_u32_e32 v52, v52, v119
	ds_read_u8 v52, v52
	v_cndmask_b32_e64 v101, v101, v102, s[8:9]
	v_cndmask_b32_e64 v102, v103, v112, s[10:11]
	v_cndmask_b32_e32 v112, v70, v82, vcc
	v_cndmask_b32_e64 v103, v113, v115, s[12:13]
	s_waitcnt lgkmcnt(0)
	v_cndmask_b32_e32 v82, v82, v52, vcc
	v_cndmask_b32_e32 v52, v52, v70, vcc
	;; [unrolled: 1-line block ×4, first 2 shown]
	v_min_i16_sdwa v115, sext(v82), sext(v52) dst_sel:DWORD dst_unused:UNUSED_PAD src0_sel:BYTE_0 src1_sel:BYTE_0
	v_cmp_lt_u32_e32 vcc, v70, v71
	v_cndmask_b32_e32 v52, v52, v115, vcc
	v_cmp_lt_u32_e32 vcc, v113, v114
	v_cndmask_b32_e64 v84, v129, v128, s[76:77]
	v_cndmask_b32_e64 v85, v131, v130, s[74:75]
	;; [unrolled: 1-line block ×6, first 2 shown]
	v_cndmask_b32_e32 v113, v82, v52, vcc
.LBB2777_165:
	s_or_b64 exec, exec, s[86:87]
	s_movk_i32 s40, 0x200
	v_cmp_lt_u32_e32 vcc, s40, v0
	; wave barrier
	s_waitcnt lgkmcnt(0)
	s_barrier
	s_and_saveexec_b64 s[86:87], vcc
	s_cbranch_execz .LBB2777_179
; %bb.166:
	s_mov_b64 s[88:89], 0
	s_branch .LBB2777_169
.LBB2777_167:                           ;   in Loop: Header=BB2777_169 Depth=1
	s_or_b64 exec, exec, s[8:9]
	s_waitcnt lgkmcnt(0)
	v_cmp_le_i16_sdwa s[6:7], sext(v38), sext(v39) src0_sel:BYTE_0 src1_sel:BYTE_0
	s_and_b64 s[6:7], vcc, s[6:7]
	s_or_b64 vcc, s[4:5], s[6:7]
	v_cndmask_b32_e32 v48, v82, v71, vcc
	v_cndmask_b32_e32 v49, v70, v52, vcc
	v_add_u32_e32 v48, 1, v48
	v_add_u32_e32 v49, -1, v49
	v_min_u32_e32 v49, v48, v49
	ds_read_u8 v49, v49
	v_cndmask_b32_e32 v50, v48, v82, vcc
	v_cndmask_b32_e32 v48, v71, v48, vcc
	v_cmp_lt_u32_e64 s[6:7], v48, v52
	v_cmp_ge_u32_e64 s[4:5], v50, v70
	s_waitcnt lgkmcnt(0)
	v_cndmask_b32_e32 v51, v49, v39, vcc
	v_cndmask_b32_e32 v49, v38, v49, vcc
	v_cmp_le_i16_sdwa s[8:9], sext(v49), sext(v51) src0_sel:BYTE_0 src1_sel:BYTE_0
	s_and_b64 s[6:7], s[6:7], s[8:9]
	s_or_b64 s[4:5], s[4:5], s[6:7]
	v_cndmask_b32_e64 v53, v50, v48, s[4:5]
	v_cndmask_b32_e64 v54, v70, v52, s[4:5]
	v_add_u32_e32 v53, 1, v53
	v_add_u32_e32 v54, -1, v54
	v_min_u32_e32 v54, v53, v54
	ds_read_u8 v54, v54
	v_cndmask_b32_e64 v48, v48, v53, s[4:5]
	v_cndmask_b32_e64 v50, v53, v50, s[4:5]
	v_cmp_lt_u32_e64 s[8:9], v48, v52
	v_cmp_ge_u32_e64 s[6:7], v50, v70
	s_waitcnt lgkmcnt(0)
	v_cndmask_b32_e64 v55, v54, v51, s[4:5]
	v_cndmask_b32_e64 v54, v49, v54, s[4:5]
	v_cmp_le_i16_sdwa s[10:11], sext(v54), sext(v55) src0_sel:BYTE_0 src1_sel:BYTE_0
	s_and_b64 s[8:9], s[8:9], s[10:11]
	s_or_b64 s[8:9], s[6:7], s[8:9]
	v_cndmask_b32_e64 v53, v50, v48, s[8:9]
	v_cndmask_b32_e64 v64, v70, v52, s[8:9]
	v_add_u32_e32 v53, 1, v53
	v_add_u32_e32 v64, -1, v64
	v_min_u32_e32 v64, v53, v64
	ds_read_u8 v64, v64
	v_cndmask_b32_e64 v48, v48, v53, s[8:9]
	v_cndmask_b32_e64 v50, v53, v50, s[8:9]
	v_cmp_lt_u32_e64 s[10:11], v48, v52
	v_cmp_ge_u32_e64 s[6:7], v50, v70
	s_waitcnt lgkmcnt(0)
	v_cndmask_b32_e64 v65, v64, v55, s[8:9]
	v_cndmask_b32_e64 v64, v54, v64, s[8:9]
	;; [unrolled: 16-line block ×22, first 2 shown]
	v_cmp_le_i16_sdwa s[92:93], sext(v145), sext(v146) src0_sel:BYTE_0 src1_sel:BYTE_0
	s_and_b64 s[82:83], s[82:83], s[92:93]
	s_or_b64 s[82:83], s[34:35], s[82:83]
	v_cndmask_b32_e64 v48, v50, v53, s[82:83]
	v_cndmask_b32_e64 v147, v70, v52, s[82:83]
	v_add_u32_e32 v148, 1, v48
	v_add_u32_e32 v48, -1, v147
	v_min_u32_e32 v48, v148, v48
	ds_read_u8 v147, v48
	v_cndmask_b32_e64 v48, v55, v54, s[8:9]
	v_cndmask_b32_e64 v55, v53, v148, s[82:83]
	v_cndmask_b32_e32 v38, v39, v38, vcc
	v_cndmask_b32_e64 v39, v51, v49, s[4:5]
	s_waitcnt lgkmcnt(0)
	v_cndmask_b32_e64 v149, v147, v146, s[82:83]
	v_cndmask_b32_e64 v147, v145, v147, s[82:83]
	;; [unrolled: 1-line block ×3, first 2 shown]
	v_cmp_lt_u32_e64 s[4:5], v55, v52
	v_cmp_le_i16_sdwa s[8:9], sext(v147), sext(v149) src0_sel:BYTE_0 src1_sel:BYTE_0
	v_cmp_ge_u32_e32 vcc, v54, v70
	s_and_b64 s[4:5], s[4:5], s[8:9]
	s_or_b64 vcc, vcc, s[4:5]
	v_cndmask_b32_e32 v49, v54, v55, vcc
	v_cndmask_b32_e32 v50, v70, v52, vcc
	v_add_u32_e32 v148, 1, v49
	v_add_u32_e32 v49, -1, v50
	v_min_u32_e32 v49, v148, v49
	ds_read_u8 v150, v49
	v_cndmask_b32_e64 v50, v67, v66, s[10:11]
	v_cndmask_b32_e64 v53, v80, v71, s[16:17]
	v_cndmask_b32_e32 v67, v55, v148, vcc
	v_cndmask_b32_e64 v49, v65, v64, s[6:7]
	s_waitcnt lgkmcnt(0)
	v_cndmask_b32_e32 v71, v150, v149, vcc
	v_cndmask_b32_e32 v150, v147, v150, vcc
	;; [unrolled: 1-line block ×3, first 2 shown]
	v_cmp_lt_u32_e64 s[6:7], v67, v52
	v_cmp_le_i16_sdwa s[8:9], sext(v150), sext(v71) src0_sel:BYTE_0 src1_sel:BYTE_0
	v_cmp_ge_u32_e64 s[4:5], v66, v70
	s_and_b64 s[6:7], s[6:7], s[8:9]
	s_or_b64 s[4:5], s[4:5], s[6:7]
	v_cndmask_b32_e64 v54, v66, v67, s[4:5]
	v_cndmask_b32_e64 v55, v70, v52, s[4:5]
	;; [unrolled: 1-line block ×3, first 2 shown]
	v_add_u32_e32 v68, 1, v54
	v_add_u32_e32 v54, -1, v55
	v_min_u32_e32 v54, v68, v54
	ds_read_u8 v69, v54
	v_cndmask_b32_e64 v54, v82, v81, s[14:15]
	v_cndmask_b32_e64 v81, v67, v68, s[4:5]
	;; [unrolled: 1-line block ×3, first 2 shown]
	v_cmp_lt_u32_e64 s[8:9], v81, v52
	s_waitcnt lgkmcnt(0)
	v_cndmask_b32_e64 v82, v69, v71, s[4:5]
	v_cndmask_b32_e64 v148, v150, v69, s[4:5]
	v_cmp_le_i16_sdwa s[10:11], sext(v148), sext(v82) src0_sel:BYTE_0 src1_sel:BYTE_0
	v_cmp_ge_u32_e64 s[6:7], v80, v70
	s_and_b64 s[8:9], s[8:9], s[10:11]
	s_or_b64 s[6:7], s[6:7], s[8:9]
	v_cndmask_b32_e64 v66, v80, v81, s[6:7]
	v_cndmask_b32_e64 v67, v70, v52, s[6:7]
	v_cndmask_b32_e64 v55, v84, v83, s[18:19]
	v_add_u32_e32 v83, 1, v66
	v_add_u32_e32 v66, -1, v67
	v_min_u32_e32 v66, v83, v66
	ds_read_u8 v84, v66
	v_cndmask_b32_e64 v64, v86, v85, s[20:21]
	v_cndmask_b32_e64 v68, v102, v101, s[28:29]
	v_cndmask_b32_e64 v86, v81, v83, s[6:7]
	v_cndmask_b32_e64 v85, v83, v80, s[6:7]
	s_waitcnt lgkmcnt(0)
	v_cndmask_b32_e64 v101, v84, v82, s[6:7]
	v_cndmask_b32_e64 v102, v148, v84, s[6:7]
	v_cmp_lt_u32_e64 s[10:11], v86, v52
	v_cmp_le_i16_sdwa s[12:13], sext(v102), sext(v101) src0_sel:BYTE_0 src1_sel:BYTE_0
	v_cmp_ge_u32_e64 s[8:9], v85, v70
	s_and_b64 s[10:11], s[10:11], s[12:13]
	s_or_b64 s[8:9], s[8:9], s[10:11]
	v_cndmask_b32_e64 v80, v85, v86, s[8:9]
	v_cndmask_b32_e64 v81, v70, v52, s[8:9]
	v_cndmask_b32_e64 v65, v96, v87, s[24:25]
	v_add_u32_e32 v87, 1, v80
	v_add_u32_e32 v80, -1, v81
	v_min_u32_e32 v80, v87, v80
	ds_read_u8 v96, v80
	v_cndmask_b32_e64 v66, v98, v97, s[22:23]
	v_cndmask_b32_e64 v69, v112, v103, s[68:69]
	v_cndmask_b32_e64 v98, v86, v87, s[8:9]
	v_cndmask_b32_e64 v97, v87, v85, s[8:9]
	s_waitcnt lgkmcnt(0)
	v_cndmask_b32_e64 v103, v96, v101, s[8:9]
	v_cndmask_b32_e64 v112, v102, v96, s[8:9]
	v_cmp_lt_u32_e64 s[12:13], v98, v52
	;; [unrolled: 19-line block ×4, first 2 shown]
	v_cmp_le_i16_sdwa s[6:7], sext(v82), sext(v71) src0_sel:BYTE_0 src1_sel:BYTE_0
	v_cndmask_b32_e32 v98, v149, v147, vcc
	v_cmp_ge_u32_e32 vcc, v115, v70
	s_and_b64 s[4:5], s[4:5], s[6:7]
	s_or_b64 vcc, vcc, s[4:5]
	v_cndmask_b32_e32 v117, v115, v116, vcc
	v_cndmask_b32_e32 v118, v70, v52, vcc
	v_add_u32_e32 v117, 1, v117
	v_add_u32_e32 v118, -1, v118
	v_min_u32_e32 v118, v117, v118
	ds_read_u8 v118, v118
	v_cndmask_b32_e64 v101, v101, v102, s[8:9]
	v_cndmask_b32_e64 v102, v103, v112, s[10:11]
	;; [unrolled: 1-line block ×3, first 2 shown]
	v_cndmask_b32_e32 v112, v71, v82, vcc
	s_waitcnt lgkmcnt(0)
	v_cndmask_b32_e32 v82, v82, v118, vcc
	v_cndmask_b32_e32 v71, v118, v71, vcc
	;; [unrolled: 1-line block ×4, first 2 shown]
	v_min_i16_sdwa v115, sext(v82), sext(v71) dst_sel:DWORD dst_unused:UNUSED_PAD src0_sel:BYTE_0 src1_sel:BYTE_0
	v_cmp_lt_u32_e32 vcc, v114, v52
	v_cndmask_b32_e32 v52, v71, v115, vcc
	v_cmp_lt_u32_e32 vcc, v113, v70
	v_cndmask_b32_e64 v84, v128, v119, s[76:77]
	v_cndmask_b32_e64 v85, v130, v129, s[74:75]
	;; [unrolled: 1-line block ×6, first 2 shown]
	v_cndmask_b32_e32 v113, v82, v52, vcc
.LBB2777_168:                           ;   in Loop: Header=BB2777_169 Depth=1
	s_or_b64 exec, exec, s[90:91]
	v_cmp_ge_u32_e32 vcc, s40, v0
	s_or_b64 s[88:89], vcc, s[88:89]
	s_barrier
	s_andn2_b64 exec, exec, s[88:89]
	s_cbranch_execz .LBB2777_178
.LBB2777_169:                           ; =>This Loop Header: Depth=1
                                        ;     Child Loop BB2777_171 Depth 2
	v_lshlrev_b16_e32 v52, 8, v68
	v_lshlrev_b16_e32 v70, 8, v80
	v_or_b32_sdwa v52, v67, v52 dst_sel:DWORD dst_unused:UNUSED_PAD src0_sel:BYTE_0 src1_sel:DWORD
	v_or_b32_sdwa v70, v69, v70 dst_sel:WORD_1 dst_unused:UNUSED_PAD src0_sel:BYTE_0 src1_sel:DWORD
	v_or_b32_sdwa v117, v52, v70 dst_sel:DWORD dst_unused:UNUSED_PAD src0_sel:WORD_0 src1_sel:DWORD
	v_lshlrev_b16_e32 v52, 8, v64
	v_lshlrev_b16_e32 v70, 8, v66
	v_or_b32_sdwa v52, v55, v52 dst_sel:DWORD dst_unused:UNUSED_PAD src0_sel:BYTE_0 src1_sel:DWORD
	v_or_b32_sdwa v70, v65, v70 dst_sel:WORD_1 dst_unused:UNUSED_PAD src0_sel:BYTE_0 src1_sel:DWORD
	v_or_b32_sdwa v116, v52, v70 dst_sel:DWORD dst_unused:UNUSED_PAD src0_sel:WORD_0 src1_sel:DWORD
	;; [unrolled: 5-line block ×4, first 2 shown]
	v_lshlrev_b16_e32 v52, 8, v103
	v_lshlrev_b16_e32 v70, 8, v113
	v_or_b32_sdwa v52, v102, v52 dst_sel:DWORD dst_unused:UNUSED_PAD src0_sel:BYTE_0 src1_sel:DWORD
	v_or_b32_sdwa v70, v112, v70 dst_sel:WORD_1 dst_unused:UNUSED_PAD src0_sel:BYTE_0 src1_sel:DWORD
	ds_write_b128 v7, v[114:117]
	v_or_b32_sdwa v117, v52, v70 dst_sel:DWORD dst_unused:UNUSED_PAD src0_sel:WORD_0 src1_sel:DWORD
	v_lshlrev_b16_e32 v52, 8, v99
	v_lshlrev_b16_e32 v70, 8, v101
	v_or_b32_sdwa v52, v98, v52 dst_sel:DWORD dst_unused:UNUSED_PAD src0_sel:BYTE_0 src1_sel:DWORD
	v_or_b32_sdwa v70, v100, v70 dst_sel:WORD_1 dst_unused:UNUSED_PAD src0_sel:BYTE_0 src1_sel:DWORD
	v_or_b32_sdwa v116, v52, v70 dst_sel:DWORD dst_unused:UNUSED_PAD src0_sel:WORD_0 src1_sel:DWORD
	v_lshlrev_b16_e32 v52, 8, v87
	v_lshlrev_b16_e32 v70, 8, v97
	v_or_b32_sdwa v52, v86, v52 dst_sel:DWORD dst_unused:UNUSED_PAD src0_sel:BYTE_0 src1_sel:DWORD
	v_or_b32_sdwa v70, v96, v70 dst_sel:WORD_1 dst_unused:UNUSED_PAD src0_sel:BYTE_0 src1_sel:DWORD
	s_mov_b32 s4, s40
	s_lshl_b32 s40, s40, 1
	v_or_b32_sdwa v115, v52, v70 dst_sel:DWORD dst_unused:UNUSED_PAD src0_sel:WORD_0 src1_sel:DWORD
	v_lshlrev_b16_e32 v52, 8, v83
	v_lshlrev_b16_e32 v70, 8, v85
	s_sub_i32 s6, 0, s40
	v_or_b32_sdwa v52, v81, v52 dst_sel:DWORD dst_unused:UNUSED_PAD src0_sel:BYTE_0 src1_sel:DWORD
	v_or_b32_sdwa v70, v84, v70 dst_sel:WORD_1 dst_unused:UNUSED_PAD src0_sel:BYTE_0 src1_sel:DWORD
	v_and_b32_e32 v71, s6, v7
	v_or_b32_sdwa v114, v52, v70 dst_sel:DWORD dst_unused:UNUSED_PAD src0_sel:WORD_0 src1_sel:DWORD
	v_add_u32_e32 v52, s4, v71
	v_min_u32_e32 v52, v52, v0
	s_add_i32 s5, s40, -1
	v_add_u32_e32 v70, s4, v52
	v_min_u32_e32 v70, v70, v0
	v_and_b32_e32 v82, s5, v7
	ds_write_b128 v7, v[114:117] offset:16
	v_min_u32_e32 v82, v82, v0
	v_sub_u32_e32 v115, v52, v71
	v_sub_u32_e32 v114, v70, v52
	v_sub_u32_e64 v114, v82, v114 clamp
	v_min_u32_e32 v115, v82, v115
	v_cmp_lt_u32_e32 vcc, v114, v115
	s_waitcnt lgkmcnt(0)
	s_barrier
	s_and_saveexec_b64 s[4:5], vcc
	s_cbranch_execz .LBB2777_173
; %bb.170:                              ;   in Loop: Header=BB2777_169 Depth=1
	v_add_u32_e32 v116, v52, v82
	s_mov_b64 s[6:7], 0
.LBB2777_171:                           ;   Parent Loop BB2777_169 Depth=1
                                        ; =>  This Inner Loop Header: Depth=2
	v_add_u32_e32 v117, v115, v114
	v_lshrrev_b32_e32 v117, 1, v117
	v_add_u32_e32 v118, v71, v117
	v_xad_u32 v119, v117, -1, v116
	ds_read_i8 v118, v118
	ds_read_i8 v119, v119
	v_add_u32_e32 v128, 1, v117
	s_waitcnt lgkmcnt(0)
	v_cmp_gt_i16_e32 vcc, v118, v119
	v_cndmask_b32_e32 v115, v115, v117, vcc
	v_cndmask_b32_e32 v114, v128, v114, vcc
	v_cmp_ge_u32_e32 vcc, v114, v115
	s_or_b64 s[6:7], vcc, s[6:7]
	s_andn2_b64 exec, exec, s[6:7]
	s_cbranch_execnz .LBB2777_171
; %bb.172:                              ;   in Loop: Header=BB2777_169 Depth=1
	s_or_b64 exec, exec, s[6:7]
.LBB2777_173:                           ;   in Loop: Header=BB2777_169 Depth=1
	s_or_b64 exec, exec, s[4:5]
	v_sub_u32_e32 v82, v82, v114
	v_add_u32_e32 v71, v114, v71
	v_add_u32_e32 v82, v82, v52
	v_cmp_le_u32_e32 vcc, v71, v52
	v_cmp_le_u32_e64 s[4:5], v82, v70
	s_or_b64 s[4:5], vcc, s[4:5]
	s_and_saveexec_b64 s[90:91], s[4:5]
	s_cbranch_execz .LBB2777_168
; %bb.174:                              ;   in Loop: Header=BB2777_169 Depth=1
	v_cmp_lt_u32_e32 vcc, v71, v52
                                        ; implicit-def: $vgpr38
	s_and_saveexec_b64 s[4:5], vcc
	s_cbranch_execz .LBB2777_176
; %bb.175:                              ;   in Loop: Header=BB2777_169 Depth=1
	ds_read_u8 v38, v71
.LBB2777_176:                           ;   in Loop: Header=BB2777_169 Depth=1
	s_or_b64 exec, exec, s[4:5]
	v_cmp_ge_u32_e64 s[4:5], v82, v70
	v_cmp_lt_u32_e64 s[6:7], v82, v70
                                        ; implicit-def: $vgpr39
	s_and_saveexec_b64 s[8:9], s[6:7]
	s_cbranch_execz .LBB2777_167
; %bb.177:                              ;   in Loop: Header=BB2777_169 Depth=1
	ds_read_u8 v39, v82
	s_branch .LBB2777_167
.LBB2777_178:
	s_or_b64 exec, exec, s[88:89]
.LBB2777_179:
	s_or_b64 exec, exec, s[86:87]
	v_lshlrev_b16_e32 v0, 8, v51
	v_lshlrev_b16_e32 v7, 8, v54
	v_or_b32_sdwa v0, v50, v0 dst_sel:DWORD dst_unused:UNUSED_PAD src0_sel:BYTE_0 src1_sel:DWORD
	v_or_b32_sdwa v7, v53, v7 dst_sel:WORD_1 dst_unused:UNUSED_PAD src0_sel:BYTE_0 src1_sel:DWORD
	v_or_b32_sdwa v0, v0, v7 dst_sel:DWORD dst_unused:UNUSED_PAD src0_sel:WORD_0 src1_sel:DWORD
	v_lshlrev_b16_e32 v7, 8, v39
	v_or_b32_sdwa v7, v38, v7 dst_sel:DWORD dst_unused:UNUSED_PAD src0_sel:BYTE_0 src1_sel:DWORD
	v_lshlrev_b16_e32 v38, 8, v49
	v_or_b32_sdwa v38, v48, v38 dst_sel:WORD_1 dst_unused:UNUSED_PAD src0_sel:BYTE_0 src1_sel:DWORD
	v_or_b32_sdwa v7, v7, v38 dst_sel:DWORD dst_unused:UNUSED_PAD src0_sel:WORD_0 src1_sel:DWORD
	s_barrier
	ds_write2_b32 v37, v7, v0 offset1:1
	v_lshlrev_b16_e32 v0, 8, v68
	v_lshlrev_b16_e32 v7, 8, v80
	v_or_b32_sdwa v0, v67, v0 dst_sel:DWORD dst_unused:UNUSED_PAD src0_sel:BYTE_0 src1_sel:DWORD
	v_or_b32_sdwa v7, v69, v7 dst_sel:WORD_1 dst_unused:UNUSED_PAD src0_sel:BYTE_0 src1_sel:DWORD
	v_or_b32_sdwa v0, v0, v7 dst_sel:DWORD dst_unused:UNUSED_PAD src0_sel:WORD_0 src1_sel:DWORD
	v_lshlrev_b16_e32 v7, 8, v64
	v_lshlrev_b16_e32 v38, 8, v66
	v_or_b32_sdwa v7, v55, v7 dst_sel:DWORD dst_unused:UNUSED_PAD src0_sel:BYTE_0 src1_sel:DWORD
	v_or_b32_sdwa v38, v65, v38 dst_sel:WORD_1 dst_unused:UNUSED_PAD src0_sel:BYTE_0 src1_sel:DWORD
	v_or_b32_sdwa v7, v7, v38 dst_sel:DWORD dst_unused:UNUSED_PAD src0_sel:WORD_0 src1_sel:DWORD
	ds_write2_b32 v37, v7, v0 offset0:2 offset1:3
	v_lshlrev_b16_e32 v0, 8, v87
	v_lshlrev_b16_e32 v7, 8, v97
	v_or_b32_sdwa v0, v86, v0 dst_sel:DWORD dst_unused:UNUSED_PAD src0_sel:BYTE_0 src1_sel:DWORD
	v_or_b32_sdwa v7, v96, v7 dst_sel:WORD_1 dst_unused:UNUSED_PAD src0_sel:BYTE_0 src1_sel:DWORD
	v_or_b32_sdwa v0, v0, v7 dst_sel:DWORD dst_unused:UNUSED_PAD src0_sel:WORD_0 src1_sel:DWORD
	v_lshlrev_b16_e32 v7, 8, v83
	v_lshlrev_b16_e32 v38, 8, v85
	v_or_b32_sdwa v7, v81, v7 dst_sel:DWORD dst_unused:UNUSED_PAD src0_sel:BYTE_0 src1_sel:DWORD
	v_or_b32_sdwa v38, v84, v38 dst_sel:WORD_1 dst_unused:UNUSED_PAD src0_sel:BYTE_0 src1_sel:DWORD
	v_or_b32_sdwa v7, v7, v38 dst_sel:DWORD dst_unused:UNUSED_PAD src0_sel:WORD_0 src1_sel:DWORD
	ds_write2_b32 v37, v7, v0 offset0:4 offset1:5
	;; [unrolled: 11-line block ×3, first 2 shown]
	s_waitcnt lgkmcnt(0)
	s_barrier
	ds_read_u8 v68, v1 offset:256
	ds_read_u8 v67, v3 offset:512
	;; [unrolled: 1-line block ×31, first 2 shown]
	v_add_co_u32_e32 v0, vcc, v4, v6
	v_mov_b32_e32 v9, 0
	v_addc_co_u32_e32 v1, vcc, 0, v5, vcc
	s_mov_b64 s[4:5], exec
	v_readlane_b32 s6, v42, 0
	v_readlane_b32 s7, v42, 1
	s_and_b64 s[6:7], s[4:5], s[6:7]
	s_mov_b64 exec, s[6:7]
	s_cbranch_execz .LBB2777_181
; %bb.180:
	ds_read_u8 v2, v2
	s_waitcnt lgkmcnt(0)
	flat_store_byte v[0:1], v2
.LBB2777_181:
	s_or_b64 exec, exec, s[4:5]
	s_mov_b64 s[4:5], exec
	v_readlane_b32 s6, v42, 2
	v_readlane_b32 s7, v42, 3
	s_and_b64 s[6:7], s[4:5], s[6:7]
	s_mov_b64 exec, s[6:7]
	s_cbranch_execz .LBB2777_183
; %bb.182:
	s_waitcnt lgkmcnt(0)
	flat_store_byte v[0:1], v68 offset:256
.LBB2777_183:
	s_or_b64 exec, exec, s[4:5]
	s_mov_b64 s[4:5], exec
	v_readlane_b32 s6, v42, 4
	v_readlane_b32 s7, v42, 5
	s_and_b64 s[6:7], s[4:5], s[6:7]
	s_mov_b64 exec, s[6:7]
	s_cbranch_execz .LBB2777_185
; %bb.184:
	s_waitcnt lgkmcnt(0)
	flat_store_byte v[0:1], v67 offset:512
.LBB2777_185:
	;; [unrolled: 11-line block ×15, first 2 shown]
	s_or_b64 exec, exec, s[4:5]
	s_mov_b64 s[4:5], exec
	v_readlane_b32 s6, v42, 32
	v_readlane_b32 s7, v42, 33
	s_and_b64 s[6:7], s[4:5], s[6:7]
	s_mov_b64 exec, s[6:7]
	s_cbranch_execz .LBB2777_213
; %bb.212:
	v_add_co_u32_e32 v22, vcc, 0x1000, v0
	v_addc_co_u32_e32 v23, vcc, 0, v1, vcc
	s_waitcnt lgkmcnt(0)
	flat_store_byte v[22:23], v37
.LBB2777_213:
	s_or_b64 exec, exec, s[4:5]
	s_mov_b64 s[4:5], exec
	v_readlane_b32 s6, v42, 34
	v_readlane_b32 s7, v42, 35
	s_and_b64 s[6:7], s[4:5], s[6:7]
	s_mov_b64 exec, s[6:7]
	s_cbranch_execz .LBB2777_215
; %bb.214:
	v_add_co_u32_e32 v22, vcc, 0x1000, v0
	v_addc_co_u32_e32 v23, vcc, 0, v1, vcc
	s_waitcnt lgkmcnt(0)
	flat_store_byte v[22:23], v21 offset:256
.LBB2777_215:
	s_or_b64 exec, exec, s[4:5]
	s_mov_b64 s[4:5], exec
	v_readlane_b32 s6, v42, 36
	v_readlane_b32 s7, v42, 37
	s_and_b64 s[6:7], s[4:5], s[6:7]
	s_mov_b64 exec, s[6:7]
	s_cbranch_execnz .LBB2777_230
; %bb.216:
	s_or_b64 exec, exec, s[4:5]
	s_and_saveexec_b64 s[4:5], s[42:43]
	s_cbranch_execnz .LBB2777_231
.LBB2777_217:
	s_or_b64 exec, exec, s[4:5]
	s_and_saveexec_b64 s[4:5], s[44:45]
	s_cbranch_execnz .LBB2777_232
.LBB2777_218:
	s_or_b64 exec, exec, s[4:5]
	s_and_saveexec_b64 s[4:5], s[46:47]
	s_cbranch_execnz .LBB2777_233
.LBB2777_219:
	s_or_b64 exec, exec, s[4:5]
	s_and_saveexec_b64 s[4:5], s[48:49]
	s_cbranch_execnz .LBB2777_234
.LBB2777_220:
	s_or_b64 exec, exec, s[4:5]
	s_and_saveexec_b64 s[4:5], s[50:51]
	s_cbranch_execnz .LBB2777_235
.LBB2777_221:
	s_or_b64 exec, exec, s[4:5]
	s_and_saveexec_b64 s[4:5], s[52:53]
	s_cbranch_execnz .LBB2777_236
.LBB2777_222:
	s_or_b64 exec, exec, s[4:5]
	s_and_saveexec_b64 s[4:5], s[54:55]
	s_cbranch_execnz .LBB2777_237
.LBB2777_223:
	s_or_b64 exec, exec, s[4:5]
	s_and_saveexec_b64 s[4:5], s[56:57]
	s_cbranch_execnz .LBB2777_238
.LBB2777_224:
	s_or_b64 exec, exec, s[4:5]
	s_and_saveexec_b64 s[4:5], s[58:59]
	s_cbranch_execnz .LBB2777_239
.LBB2777_225:
	s_or_b64 exec, exec, s[4:5]
	s_and_saveexec_b64 s[4:5], s[60:61]
	s_cbranch_execnz .LBB2777_240
.LBB2777_226:
	s_or_b64 exec, exec, s[4:5]
	s_and_saveexec_b64 s[4:5], s[62:63]
	s_cbranch_execnz .LBB2777_241
.LBB2777_227:
	s_or_b64 exec, exec, s[4:5]
	s_and_saveexec_b64 s[4:5], s[64:65]
	s_cbranch_execz .LBB2777_229
.LBB2777_228:
	v_add_co_u32_e32 v0, vcc, 0x1000, v0
	v_addc_co_u32_e32 v1, vcc, 0, v1, vcc
	s_waitcnt lgkmcnt(0)
	flat_store_byte v[0:1], v3 offset:3584
.LBB2777_229:
	s_or_b64 exec, exec, s[4:5]
	s_andn2_b64 s[4:5], s[36:37], exec
	s_and_b64 s[6:7], s[66:67], exec
	s_or_b64 s[36:37], s[4:5], s[6:7]
	s_or_b64 exec, exec, s[38:39]
	s_and_saveexec_b64 s[4:5], s[36:37]
	s_cbranch_execnz .LBB2777_3
	s_branch .LBB2777_4
.LBB2777_230:
	v_add_co_u32_e32 v22, vcc, 0x1000, v0
	v_addc_co_u32_e32 v23, vcc, 0, v1, vcc
	s_waitcnt lgkmcnt(0)
	flat_store_byte v[22:23], v20 offset:512
	s_or_b64 exec, exec, s[4:5]
	s_and_saveexec_b64 s[4:5], s[42:43]
	s_cbranch_execz .LBB2777_217
.LBB2777_231:
	s_waitcnt lgkmcnt(0)
	v_add_co_u32_e32 v20, vcc, 0x1000, v0
	v_addc_co_u32_e32 v21, vcc, 0, v1, vcc
	flat_store_byte v[20:21], v19 offset:768
	s_or_b64 exec, exec, s[4:5]
	s_and_saveexec_b64 s[4:5], s[44:45]
	s_cbranch_execz .LBB2777_218
.LBB2777_232:
	s_waitcnt lgkmcnt(0)
	v_add_co_u32_e32 v20, vcc, 0x1000, v0
	v_addc_co_u32_e32 v21, vcc, 0, v1, vcc
	flat_store_byte v[20:21], v18 offset:1024
	s_or_b64 exec, exec, s[4:5]
	s_and_saveexec_b64 s[4:5], s[46:47]
	s_cbranch_execz .LBB2777_219
.LBB2777_233:
	s_waitcnt lgkmcnt(0)
	v_add_co_u32_e32 v18, vcc, 0x1000, v0
	v_addc_co_u32_e32 v19, vcc, 0, v1, vcc
	flat_store_byte v[18:19], v17 offset:1280
	s_or_b64 exec, exec, s[4:5]
	s_and_saveexec_b64 s[4:5], s[48:49]
	s_cbranch_execz .LBB2777_220
.LBB2777_234:
	s_waitcnt lgkmcnt(0)
	v_add_co_u32_e32 v18, vcc, 0x1000, v0
	v_addc_co_u32_e32 v19, vcc, 0, v1, vcc
	flat_store_byte v[18:19], v16 offset:1536
	s_or_b64 exec, exec, s[4:5]
	s_and_saveexec_b64 s[4:5], s[50:51]
	s_cbranch_execz .LBB2777_221
.LBB2777_235:
	s_waitcnt lgkmcnt(0)
	v_add_co_u32_e32 v16, vcc, 0x1000, v0
	v_addc_co_u32_e32 v17, vcc, 0, v1, vcc
	flat_store_byte v[16:17], v15 offset:1792
	s_or_b64 exec, exec, s[4:5]
	s_and_saveexec_b64 s[4:5], s[52:53]
	s_cbranch_execz .LBB2777_222
.LBB2777_236:
	s_waitcnt lgkmcnt(0)
	v_add_co_u32_e32 v16, vcc, 0x1000, v0
	v_addc_co_u32_e32 v17, vcc, 0, v1, vcc
	flat_store_byte v[16:17], v14 offset:2048
	s_or_b64 exec, exec, s[4:5]
	s_and_saveexec_b64 s[4:5], s[54:55]
	s_cbranch_execz .LBB2777_223
.LBB2777_237:
	s_waitcnt lgkmcnt(0)
	v_add_co_u32_e32 v14, vcc, 0x1000, v0
	v_addc_co_u32_e32 v15, vcc, 0, v1, vcc
	flat_store_byte v[14:15], v13 offset:2304
	s_or_b64 exec, exec, s[4:5]
	s_and_saveexec_b64 s[4:5], s[56:57]
	s_cbranch_execz .LBB2777_224
.LBB2777_238:
	s_waitcnt lgkmcnt(0)
	v_add_co_u32_e32 v14, vcc, 0x1000, v0
	v_addc_co_u32_e32 v15, vcc, 0, v1, vcc
	flat_store_byte v[14:15], v12 offset:2560
	s_or_b64 exec, exec, s[4:5]
	s_and_saveexec_b64 s[4:5], s[58:59]
	s_cbranch_execz .LBB2777_225
.LBB2777_239:
	s_waitcnt lgkmcnt(0)
	v_add_co_u32_e32 v12, vcc, 0x1000, v0
	v_addc_co_u32_e32 v13, vcc, 0, v1, vcc
	flat_store_byte v[12:13], v11 offset:2816
	s_or_b64 exec, exec, s[4:5]
	s_and_saveexec_b64 s[4:5], s[60:61]
	s_cbranch_execz .LBB2777_226
.LBB2777_240:
	s_waitcnt lgkmcnt(0)
	v_add_co_u32_e32 v12, vcc, 0x1000, v0
	v_addc_co_u32_e32 v13, vcc, 0, v1, vcc
	flat_store_byte v[12:13], v8 offset:3072
	s_or_b64 exec, exec, s[4:5]
	s_and_saveexec_b64 s[4:5], s[62:63]
	s_cbranch_execz .LBB2777_227
.LBB2777_241:
	s_waitcnt lgkmcnt(0)
	v_add_co_u32_e32 v12, vcc, 0x1000, v0
	v_addc_co_u32_e32 v13, vcc, 0, v1, vcc
	flat_store_byte v[12:13], v7 offset:3328
	s_or_b64 exec, exec, s[4:5]
	s_and_saveexec_b64 s[4:5], s[64:65]
	s_cbranch_execnz .LBB2777_228
	s_branch .LBB2777_229
.Lfunc_end2777:
	.size	_ZN7rocprim17ROCPRIM_400000_NS6detail15block_sort_implIaNS0_10empty_typeELj256ELj32ELNS0_4arch9wavefront6targetE1EvE4sortIN6thrust23THRUST_200600_302600_NS6detail15normal_iteratorINSA_10device_ptrIaEEEESF_PS3_SG_14custom_greaterIaEEEvjbT_T0_T1_T2_T3_RNS7_12storage_typeE, .Lfunc_end2777-_ZN7rocprim17ROCPRIM_400000_NS6detail15block_sort_implIaNS0_10empty_typeELj256ELj32ELNS0_4arch9wavefront6targetE1EvE4sortIN6thrust23THRUST_200600_302600_NS6detail15normal_iteratorINSA_10device_ptrIaEEEESF_PS3_SG_14custom_greaterIaEEEvjbT_T0_T1_T2_T3_RNS7_12storage_typeE
                                        ; -- End function
	.section	.AMDGPU.csdata,"",@progbits
; Function info:
; codeLenInByte = 58556
; NumSgprs: 104
; NumVgprs: 152
; NumAgprs: 0
; TotalNumVgprs: 152
; ScratchSize: 16
; MemoryBound: 0
	.section	.text._ZN7rocprim17ROCPRIM_400000_NS6detail17trampoline_kernelINS0_14default_configENS1_37merge_sort_block_sort_config_selectorIaNS0_10empty_typeEEEZNS1_21merge_sort_block_sortIS3_N6thrust23THRUST_200600_302600_NS6detail15normal_iteratorINS9_10device_ptrIaEEEESE_PS5_SF_14custom_greaterIaEEE10hipError_tT0_T1_T2_T3_mRjT4_P12ihipStream_tbNS1_7vsmem_tEEUlT_E_NS1_11comp_targetILNS1_3genE4ELNS1_11target_archE910ELNS1_3gpuE8ELNS1_3repE0EEENS1_30default_config_static_selectorELNS0_4arch9wavefront6targetE1EEEvSK_,"axG",@progbits,_ZN7rocprim17ROCPRIM_400000_NS6detail17trampoline_kernelINS0_14default_configENS1_37merge_sort_block_sort_config_selectorIaNS0_10empty_typeEEEZNS1_21merge_sort_block_sortIS3_N6thrust23THRUST_200600_302600_NS6detail15normal_iteratorINS9_10device_ptrIaEEEESE_PS5_SF_14custom_greaterIaEEE10hipError_tT0_T1_T2_T3_mRjT4_P12ihipStream_tbNS1_7vsmem_tEEUlT_E_NS1_11comp_targetILNS1_3genE4ELNS1_11target_archE910ELNS1_3gpuE8ELNS1_3repE0EEENS1_30default_config_static_selectorELNS0_4arch9wavefront6targetE1EEEvSK_,comdat
	.protected	_ZN7rocprim17ROCPRIM_400000_NS6detail17trampoline_kernelINS0_14default_configENS1_37merge_sort_block_sort_config_selectorIaNS0_10empty_typeEEEZNS1_21merge_sort_block_sortIS3_N6thrust23THRUST_200600_302600_NS6detail15normal_iteratorINS9_10device_ptrIaEEEESE_PS5_SF_14custom_greaterIaEEE10hipError_tT0_T1_T2_T3_mRjT4_P12ihipStream_tbNS1_7vsmem_tEEUlT_E_NS1_11comp_targetILNS1_3genE4ELNS1_11target_archE910ELNS1_3gpuE8ELNS1_3repE0EEENS1_30default_config_static_selectorELNS0_4arch9wavefront6targetE1EEEvSK_ ; -- Begin function _ZN7rocprim17ROCPRIM_400000_NS6detail17trampoline_kernelINS0_14default_configENS1_37merge_sort_block_sort_config_selectorIaNS0_10empty_typeEEEZNS1_21merge_sort_block_sortIS3_N6thrust23THRUST_200600_302600_NS6detail15normal_iteratorINS9_10device_ptrIaEEEESE_PS5_SF_14custom_greaterIaEEE10hipError_tT0_T1_T2_T3_mRjT4_P12ihipStream_tbNS1_7vsmem_tEEUlT_E_NS1_11comp_targetILNS1_3genE4ELNS1_11target_archE910ELNS1_3gpuE8ELNS1_3repE0EEENS1_30default_config_static_selectorELNS0_4arch9wavefront6targetE1EEEvSK_
	.globl	_ZN7rocprim17ROCPRIM_400000_NS6detail17trampoline_kernelINS0_14default_configENS1_37merge_sort_block_sort_config_selectorIaNS0_10empty_typeEEEZNS1_21merge_sort_block_sortIS3_N6thrust23THRUST_200600_302600_NS6detail15normal_iteratorINS9_10device_ptrIaEEEESE_PS5_SF_14custom_greaterIaEEE10hipError_tT0_T1_T2_T3_mRjT4_P12ihipStream_tbNS1_7vsmem_tEEUlT_E_NS1_11comp_targetILNS1_3genE4ELNS1_11target_archE910ELNS1_3gpuE8ELNS1_3repE0EEENS1_30default_config_static_selectorELNS0_4arch9wavefront6targetE1EEEvSK_
	.p2align	8
	.type	_ZN7rocprim17ROCPRIM_400000_NS6detail17trampoline_kernelINS0_14default_configENS1_37merge_sort_block_sort_config_selectorIaNS0_10empty_typeEEEZNS1_21merge_sort_block_sortIS3_N6thrust23THRUST_200600_302600_NS6detail15normal_iteratorINS9_10device_ptrIaEEEESE_PS5_SF_14custom_greaterIaEEE10hipError_tT0_T1_T2_T3_mRjT4_P12ihipStream_tbNS1_7vsmem_tEEUlT_E_NS1_11comp_targetILNS1_3genE4ELNS1_11target_archE910ELNS1_3gpuE8ELNS1_3repE0EEENS1_30default_config_static_selectorELNS0_4arch9wavefront6targetE1EEEvSK_,@function
_ZN7rocprim17ROCPRIM_400000_NS6detail17trampoline_kernelINS0_14default_configENS1_37merge_sort_block_sort_config_selectorIaNS0_10empty_typeEEEZNS1_21merge_sort_block_sortIS3_N6thrust23THRUST_200600_302600_NS6detail15normal_iteratorINS9_10device_ptrIaEEEESE_PS5_SF_14custom_greaterIaEEE10hipError_tT0_T1_T2_T3_mRjT4_P12ihipStream_tbNS1_7vsmem_tEEUlT_E_NS1_11comp_targetILNS1_3genE4ELNS1_11target_archE910ELNS1_3gpuE8ELNS1_3repE0EEENS1_30default_config_static_selectorELNS0_4arch9wavefront6targetE1EEEvSK_: ; @_ZN7rocprim17ROCPRIM_400000_NS6detail17trampoline_kernelINS0_14default_configENS1_37merge_sort_block_sort_config_selectorIaNS0_10empty_typeEEEZNS1_21merge_sort_block_sortIS3_N6thrust23THRUST_200600_302600_NS6detail15normal_iteratorINS9_10device_ptrIaEEEESE_PS5_SF_14custom_greaterIaEEE10hipError_tT0_T1_T2_T3_mRjT4_P12ihipStream_tbNS1_7vsmem_tEEUlT_E_NS1_11comp_targetILNS1_3genE4ELNS1_11target_archE910ELNS1_3gpuE8ELNS1_3repE0EEENS1_30default_config_static_selectorELNS0_4arch9wavefront6targetE1EEEvSK_
; %bb.0:
	s_add_u32 flat_scratch_lo, s6, s11
	s_addc_u32 flat_scratch_hi, s7, 0
	s_mov_b32 s12, s8
	s_load_dwordx2 s[6:7], s[4:5], 0x40
	s_load_dword s8, s[4:5], 0x0
	s_add_u32 s0, s0, s11
	s_addc_u32 s1, s1, 0
	s_mov_b32 s32, 0
	s_waitcnt lgkmcnt(0)
	s_mul_i32 s7, s7, s10
	s_add_i32 s7, s7, s9
	s_mul_i32 s6, s7, s6
	s_add_i32 s6, s6, s12
	s_cmp_ge_u32 s6, s8
	s_cbranch_scc1 .LBB2778_2
; %bb.1:
	s_mov_b32 s13, s9
	s_load_dwordx4 s[8:11], s[4:5], 0x18
	s_load_dwordx2 s[14:15], s[4:5], 0x8
	s_mov_b32 s7, 0
	s_lshl_b64 s[16:17], s[6:7], 13
	v_mov_b32_e32 v31, v0
	s_waitcnt lgkmcnt(0)
	s_add_u32 s10, s10, s16
	s_addc_u32 s11, s11, s17
	s_add_u32 s18, s8, s16
	s_addc_u32 s17, s9, s17
	s_lshr_b64 s[8:9], s[14:15], 13
	s_cmp_eq_u64 s[8:9], s[6:7]
	s_cselect_b64 s[6:7], -1, 0
	s_sub_i32 s14, s14, s16
	s_add_u32 s8, s4, 64
	v_cndmask_b32_e64 v1, 0, 1, s[6:7]
	s_addc_u32 s9, s5, 0
	v_mov_b32_e32 v0, s14
	v_mov_b32_e32 v2, s18
	;; [unrolled: 1-line block ×5, first 2 shown]
	s_getpc_b64 s[4:5]
	s_add_u32 s4, s4, _ZN7rocprim17ROCPRIM_400000_NS6detail15block_sort_implIaNS0_10empty_typeELj256ELj32ELNS0_4arch9wavefront6targetE1EvE4sortIN6thrust23THRUST_200600_302600_NS6detail15normal_iteratorINSA_10device_ptrIaEEEESF_PS3_SG_14custom_greaterIaEEEvjbT_T0_T1_T2_T3_RNS7_12storage_typeE@rel32@lo+4
	s_addc_u32 s5, s5, _ZN7rocprim17ROCPRIM_400000_NS6detail15block_sort_implIaNS0_10empty_typeELj256ELj32ELNS0_4arch9wavefront6targetE1EvE4sortIN6thrust23THRUST_200600_302600_NS6detail15normal_iteratorINSA_10device_ptrIaEEEESF_PS3_SG_14custom_greaterIaEEEvjbT_T0_T1_T2_T3_RNS7_12storage_typeE@rel32@hi+12
	s_swappc_b64 s[30:31], s[4:5]
.LBB2778_2:
	s_endpgm
	.section	.rodata,"a",@progbits
	.p2align	6, 0x0
	.amdhsa_kernel _ZN7rocprim17ROCPRIM_400000_NS6detail17trampoline_kernelINS0_14default_configENS1_37merge_sort_block_sort_config_selectorIaNS0_10empty_typeEEEZNS1_21merge_sort_block_sortIS3_N6thrust23THRUST_200600_302600_NS6detail15normal_iteratorINS9_10device_ptrIaEEEESE_PS5_SF_14custom_greaterIaEEE10hipError_tT0_T1_T2_T3_mRjT4_P12ihipStream_tbNS1_7vsmem_tEEUlT_E_NS1_11comp_targetILNS1_3genE4ELNS1_11target_archE910ELNS1_3gpuE8ELNS1_3repE0EEENS1_30default_config_static_selectorELNS0_4arch9wavefront6targetE1EEEvSK_
		.amdhsa_group_segment_fixed_size 8448
		.amdhsa_private_segment_fixed_size 16
		.amdhsa_kernarg_size 320
		.amdhsa_user_sgpr_count 8
		.amdhsa_user_sgpr_private_segment_buffer 1
		.amdhsa_user_sgpr_dispatch_ptr 0
		.amdhsa_user_sgpr_queue_ptr 0
		.amdhsa_user_sgpr_kernarg_segment_ptr 1
		.amdhsa_user_sgpr_dispatch_id 0
		.amdhsa_user_sgpr_flat_scratch_init 1
		.amdhsa_user_sgpr_kernarg_preload_length 0
		.amdhsa_user_sgpr_kernarg_preload_offset 0
		.amdhsa_user_sgpr_private_segment_size 0
		.amdhsa_uses_dynamic_stack 0
		.amdhsa_system_sgpr_private_segment_wavefront_offset 1
		.amdhsa_system_sgpr_workgroup_id_x 1
		.amdhsa_system_sgpr_workgroup_id_y 1
		.amdhsa_system_sgpr_workgroup_id_z 1
		.amdhsa_system_sgpr_workgroup_info 0
		.amdhsa_system_vgpr_workitem_id 2
		.amdhsa_next_free_vgpr 152
		.amdhsa_next_free_sgpr 100
		.amdhsa_accum_offset 152
		.amdhsa_reserve_vcc 1
		.amdhsa_reserve_flat_scratch 1
		.amdhsa_float_round_mode_32 0
		.amdhsa_float_round_mode_16_64 0
		.amdhsa_float_denorm_mode_32 3
		.amdhsa_float_denorm_mode_16_64 3
		.amdhsa_dx10_clamp 1
		.amdhsa_ieee_mode 1
		.amdhsa_fp16_overflow 0
		.amdhsa_tg_split 0
		.amdhsa_exception_fp_ieee_invalid_op 0
		.amdhsa_exception_fp_denorm_src 0
		.amdhsa_exception_fp_ieee_div_zero 0
		.amdhsa_exception_fp_ieee_overflow 0
		.amdhsa_exception_fp_ieee_underflow 0
		.amdhsa_exception_fp_ieee_inexact 0
		.amdhsa_exception_int_div_zero 0
	.end_amdhsa_kernel
	.section	.text._ZN7rocprim17ROCPRIM_400000_NS6detail17trampoline_kernelINS0_14default_configENS1_37merge_sort_block_sort_config_selectorIaNS0_10empty_typeEEEZNS1_21merge_sort_block_sortIS3_N6thrust23THRUST_200600_302600_NS6detail15normal_iteratorINS9_10device_ptrIaEEEESE_PS5_SF_14custom_greaterIaEEE10hipError_tT0_T1_T2_T3_mRjT4_P12ihipStream_tbNS1_7vsmem_tEEUlT_E_NS1_11comp_targetILNS1_3genE4ELNS1_11target_archE910ELNS1_3gpuE8ELNS1_3repE0EEENS1_30default_config_static_selectorELNS0_4arch9wavefront6targetE1EEEvSK_,"axG",@progbits,_ZN7rocprim17ROCPRIM_400000_NS6detail17trampoline_kernelINS0_14default_configENS1_37merge_sort_block_sort_config_selectorIaNS0_10empty_typeEEEZNS1_21merge_sort_block_sortIS3_N6thrust23THRUST_200600_302600_NS6detail15normal_iteratorINS9_10device_ptrIaEEEESE_PS5_SF_14custom_greaterIaEEE10hipError_tT0_T1_T2_T3_mRjT4_P12ihipStream_tbNS1_7vsmem_tEEUlT_E_NS1_11comp_targetILNS1_3genE4ELNS1_11target_archE910ELNS1_3gpuE8ELNS1_3repE0EEENS1_30default_config_static_selectorELNS0_4arch9wavefront6targetE1EEEvSK_,comdat
.Lfunc_end2778:
	.size	_ZN7rocprim17ROCPRIM_400000_NS6detail17trampoline_kernelINS0_14default_configENS1_37merge_sort_block_sort_config_selectorIaNS0_10empty_typeEEEZNS1_21merge_sort_block_sortIS3_N6thrust23THRUST_200600_302600_NS6detail15normal_iteratorINS9_10device_ptrIaEEEESE_PS5_SF_14custom_greaterIaEEE10hipError_tT0_T1_T2_T3_mRjT4_P12ihipStream_tbNS1_7vsmem_tEEUlT_E_NS1_11comp_targetILNS1_3genE4ELNS1_11target_archE910ELNS1_3gpuE8ELNS1_3repE0EEENS1_30default_config_static_selectorELNS0_4arch9wavefront6targetE1EEEvSK_, .Lfunc_end2778-_ZN7rocprim17ROCPRIM_400000_NS6detail17trampoline_kernelINS0_14default_configENS1_37merge_sort_block_sort_config_selectorIaNS0_10empty_typeEEEZNS1_21merge_sort_block_sortIS3_N6thrust23THRUST_200600_302600_NS6detail15normal_iteratorINS9_10device_ptrIaEEEESE_PS5_SF_14custom_greaterIaEEE10hipError_tT0_T1_T2_T3_mRjT4_P12ihipStream_tbNS1_7vsmem_tEEUlT_E_NS1_11comp_targetILNS1_3genE4ELNS1_11target_archE910ELNS1_3gpuE8ELNS1_3repE0EEENS1_30default_config_static_selectorELNS0_4arch9wavefront6targetE1EEEvSK_
                                        ; -- End function
	.section	.AMDGPU.csdata,"",@progbits
; Kernel info:
; codeLenInByte = 200
; NumSgprs: 106
; NumVgprs: 152
; NumAgprs: 0
; TotalNumVgprs: 152
; ScratchSize: 16
; MemoryBound: 0
; FloatMode: 240
; IeeeMode: 1
; LDSByteSize: 8448 bytes/workgroup (compile time only)
; SGPRBlocks: 13
; VGPRBlocks: 18
; NumSGPRsForWavesPerEU: 106
; NumVGPRsForWavesPerEU: 152
; AccumOffset: 152
; Occupancy: 3
; WaveLimiterHint : 1
; COMPUTE_PGM_RSRC2:SCRATCH_EN: 1
; COMPUTE_PGM_RSRC2:USER_SGPR: 8
; COMPUTE_PGM_RSRC2:TRAP_HANDLER: 0
; COMPUTE_PGM_RSRC2:TGID_X_EN: 1
; COMPUTE_PGM_RSRC2:TGID_Y_EN: 1
; COMPUTE_PGM_RSRC2:TGID_Z_EN: 1
; COMPUTE_PGM_RSRC2:TIDIG_COMP_CNT: 2
; COMPUTE_PGM_RSRC3_GFX90A:ACCUM_OFFSET: 37
; COMPUTE_PGM_RSRC3_GFX90A:TG_SPLIT: 0
	.section	.text._ZN7rocprim17ROCPRIM_400000_NS6detail17trampoline_kernelINS0_14default_configENS1_37merge_sort_block_sort_config_selectorIaNS0_10empty_typeEEEZNS1_21merge_sort_block_sortIS3_N6thrust23THRUST_200600_302600_NS6detail15normal_iteratorINS9_10device_ptrIaEEEESE_PS5_SF_14custom_greaterIaEEE10hipError_tT0_T1_T2_T3_mRjT4_P12ihipStream_tbNS1_7vsmem_tEEUlT_E_NS1_11comp_targetILNS1_3genE3ELNS1_11target_archE908ELNS1_3gpuE7ELNS1_3repE0EEENS1_30default_config_static_selectorELNS0_4arch9wavefront6targetE1EEEvSK_,"axG",@progbits,_ZN7rocprim17ROCPRIM_400000_NS6detail17trampoline_kernelINS0_14default_configENS1_37merge_sort_block_sort_config_selectorIaNS0_10empty_typeEEEZNS1_21merge_sort_block_sortIS3_N6thrust23THRUST_200600_302600_NS6detail15normal_iteratorINS9_10device_ptrIaEEEESE_PS5_SF_14custom_greaterIaEEE10hipError_tT0_T1_T2_T3_mRjT4_P12ihipStream_tbNS1_7vsmem_tEEUlT_E_NS1_11comp_targetILNS1_3genE3ELNS1_11target_archE908ELNS1_3gpuE7ELNS1_3repE0EEENS1_30default_config_static_selectorELNS0_4arch9wavefront6targetE1EEEvSK_,comdat
	.protected	_ZN7rocprim17ROCPRIM_400000_NS6detail17trampoline_kernelINS0_14default_configENS1_37merge_sort_block_sort_config_selectorIaNS0_10empty_typeEEEZNS1_21merge_sort_block_sortIS3_N6thrust23THRUST_200600_302600_NS6detail15normal_iteratorINS9_10device_ptrIaEEEESE_PS5_SF_14custom_greaterIaEEE10hipError_tT0_T1_T2_T3_mRjT4_P12ihipStream_tbNS1_7vsmem_tEEUlT_E_NS1_11comp_targetILNS1_3genE3ELNS1_11target_archE908ELNS1_3gpuE7ELNS1_3repE0EEENS1_30default_config_static_selectorELNS0_4arch9wavefront6targetE1EEEvSK_ ; -- Begin function _ZN7rocprim17ROCPRIM_400000_NS6detail17trampoline_kernelINS0_14default_configENS1_37merge_sort_block_sort_config_selectorIaNS0_10empty_typeEEEZNS1_21merge_sort_block_sortIS3_N6thrust23THRUST_200600_302600_NS6detail15normal_iteratorINS9_10device_ptrIaEEEESE_PS5_SF_14custom_greaterIaEEE10hipError_tT0_T1_T2_T3_mRjT4_P12ihipStream_tbNS1_7vsmem_tEEUlT_E_NS1_11comp_targetILNS1_3genE3ELNS1_11target_archE908ELNS1_3gpuE7ELNS1_3repE0EEENS1_30default_config_static_selectorELNS0_4arch9wavefront6targetE1EEEvSK_
	.globl	_ZN7rocprim17ROCPRIM_400000_NS6detail17trampoline_kernelINS0_14default_configENS1_37merge_sort_block_sort_config_selectorIaNS0_10empty_typeEEEZNS1_21merge_sort_block_sortIS3_N6thrust23THRUST_200600_302600_NS6detail15normal_iteratorINS9_10device_ptrIaEEEESE_PS5_SF_14custom_greaterIaEEE10hipError_tT0_T1_T2_T3_mRjT4_P12ihipStream_tbNS1_7vsmem_tEEUlT_E_NS1_11comp_targetILNS1_3genE3ELNS1_11target_archE908ELNS1_3gpuE7ELNS1_3repE0EEENS1_30default_config_static_selectorELNS0_4arch9wavefront6targetE1EEEvSK_
	.p2align	8
	.type	_ZN7rocprim17ROCPRIM_400000_NS6detail17trampoline_kernelINS0_14default_configENS1_37merge_sort_block_sort_config_selectorIaNS0_10empty_typeEEEZNS1_21merge_sort_block_sortIS3_N6thrust23THRUST_200600_302600_NS6detail15normal_iteratorINS9_10device_ptrIaEEEESE_PS5_SF_14custom_greaterIaEEE10hipError_tT0_T1_T2_T3_mRjT4_P12ihipStream_tbNS1_7vsmem_tEEUlT_E_NS1_11comp_targetILNS1_3genE3ELNS1_11target_archE908ELNS1_3gpuE7ELNS1_3repE0EEENS1_30default_config_static_selectorELNS0_4arch9wavefront6targetE1EEEvSK_,@function
_ZN7rocprim17ROCPRIM_400000_NS6detail17trampoline_kernelINS0_14default_configENS1_37merge_sort_block_sort_config_selectorIaNS0_10empty_typeEEEZNS1_21merge_sort_block_sortIS3_N6thrust23THRUST_200600_302600_NS6detail15normal_iteratorINS9_10device_ptrIaEEEESE_PS5_SF_14custom_greaterIaEEE10hipError_tT0_T1_T2_T3_mRjT4_P12ihipStream_tbNS1_7vsmem_tEEUlT_E_NS1_11comp_targetILNS1_3genE3ELNS1_11target_archE908ELNS1_3gpuE7ELNS1_3repE0EEENS1_30default_config_static_selectorELNS0_4arch9wavefront6targetE1EEEvSK_: ; @_ZN7rocprim17ROCPRIM_400000_NS6detail17trampoline_kernelINS0_14default_configENS1_37merge_sort_block_sort_config_selectorIaNS0_10empty_typeEEEZNS1_21merge_sort_block_sortIS3_N6thrust23THRUST_200600_302600_NS6detail15normal_iteratorINS9_10device_ptrIaEEEESE_PS5_SF_14custom_greaterIaEEE10hipError_tT0_T1_T2_T3_mRjT4_P12ihipStream_tbNS1_7vsmem_tEEUlT_E_NS1_11comp_targetILNS1_3genE3ELNS1_11target_archE908ELNS1_3gpuE7ELNS1_3repE0EEENS1_30default_config_static_selectorELNS0_4arch9wavefront6targetE1EEEvSK_
; %bb.0:
	.section	.rodata,"a",@progbits
	.p2align	6, 0x0
	.amdhsa_kernel _ZN7rocprim17ROCPRIM_400000_NS6detail17trampoline_kernelINS0_14default_configENS1_37merge_sort_block_sort_config_selectorIaNS0_10empty_typeEEEZNS1_21merge_sort_block_sortIS3_N6thrust23THRUST_200600_302600_NS6detail15normal_iteratorINS9_10device_ptrIaEEEESE_PS5_SF_14custom_greaterIaEEE10hipError_tT0_T1_T2_T3_mRjT4_P12ihipStream_tbNS1_7vsmem_tEEUlT_E_NS1_11comp_targetILNS1_3genE3ELNS1_11target_archE908ELNS1_3gpuE7ELNS1_3repE0EEENS1_30default_config_static_selectorELNS0_4arch9wavefront6targetE1EEEvSK_
		.amdhsa_group_segment_fixed_size 0
		.amdhsa_private_segment_fixed_size 0
		.amdhsa_kernarg_size 64
		.amdhsa_user_sgpr_count 6
		.amdhsa_user_sgpr_private_segment_buffer 1
		.amdhsa_user_sgpr_dispatch_ptr 0
		.amdhsa_user_sgpr_queue_ptr 0
		.amdhsa_user_sgpr_kernarg_segment_ptr 1
		.amdhsa_user_sgpr_dispatch_id 0
		.amdhsa_user_sgpr_flat_scratch_init 0
		.amdhsa_user_sgpr_kernarg_preload_length 0
		.amdhsa_user_sgpr_kernarg_preload_offset 0
		.amdhsa_user_sgpr_private_segment_size 0
		.amdhsa_uses_dynamic_stack 0
		.amdhsa_system_sgpr_private_segment_wavefront_offset 0
		.amdhsa_system_sgpr_workgroup_id_x 1
		.amdhsa_system_sgpr_workgroup_id_y 0
		.amdhsa_system_sgpr_workgroup_id_z 0
		.amdhsa_system_sgpr_workgroup_info 0
		.amdhsa_system_vgpr_workitem_id 0
		.amdhsa_next_free_vgpr 1
		.amdhsa_next_free_sgpr 0
		.amdhsa_accum_offset 4
		.amdhsa_reserve_vcc 0
		.amdhsa_reserve_flat_scratch 0
		.amdhsa_float_round_mode_32 0
		.amdhsa_float_round_mode_16_64 0
		.amdhsa_float_denorm_mode_32 3
		.amdhsa_float_denorm_mode_16_64 3
		.amdhsa_dx10_clamp 1
		.amdhsa_ieee_mode 1
		.amdhsa_fp16_overflow 0
		.amdhsa_tg_split 0
		.amdhsa_exception_fp_ieee_invalid_op 0
		.amdhsa_exception_fp_denorm_src 0
		.amdhsa_exception_fp_ieee_div_zero 0
		.amdhsa_exception_fp_ieee_overflow 0
		.amdhsa_exception_fp_ieee_underflow 0
		.amdhsa_exception_fp_ieee_inexact 0
		.amdhsa_exception_int_div_zero 0
	.end_amdhsa_kernel
	.section	.text._ZN7rocprim17ROCPRIM_400000_NS6detail17trampoline_kernelINS0_14default_configENS1_37merge_sort_block_sort_config_selectorIaNS0_10empty_typeEEEZNS1_21merge_sort_block_sortIS3_N6thrust23THRUST_200600_302600_NS6detail15normal_iteratorINS9_10device_ptrIaEEEESE_PS5_SF_14custom_greaterIaEEE10hipError_tT0_T1_T2_T3_mRjT4_P12ihipStream_tbNS1_7vsmem_tEEUlT_E_NS1_11comp_targetILNS1_3genE3ELNS1_11target_archE908ELNS1_3gpuE7ELNS1_3repE0EEENS1_30default_config_static_selectorELNS0_4arch9wavefront6targetE1EEEvSK_,"axG",@progbits,_ZN7rocprim17ROCPRIM_400000_NS6detail17trampoline_kernelINS0_14default_configENS1_37merge_sort_block_sort_config_selectorIaNS0_10empty_typeEEEZNS1_21merge_sort_block_sortIS3_N6thrust23THRUST_200600_302600_NS6detail15normal_iteratorINS9_10device_ptrIaEEEESE_PS5_SF_14custom_greaterIaEEE10hipError_tT0_T1_T2_T3_mRjT4_P12ihipStream_tbNS1_7vsmem_tEEUlT_E_NS1_11comp_targetILNS1_3genE3ELNS1_11target_archE908ELNS1_3gpuE7ELNS1_3repE0EEENS1_30default_config_static_selectorELNS0_4arch9wavefront6targetE1EEEvSK_,comdat
.Lfunc_end2779:
	.size	_ZN7rocprim17ROCPRIM_400000_NS6detail17trampoline_kernelINS0_14default_configENS1_37merge_sort_block_sort_config_selectorIaNS0_10empty_typeEEEZNS1_21merge_sort_block_sortIS3_N6thrust23THRUST_200600_302600_NS6detail15normal_iteratorINS9_10device_ptrIaEEEESE_PS5_SF_14custom_greaterIaEEE10hipError_tT0_T1_T2_T3_mRjT4_P12ihipStream_tbNS1_7vsmem_tEEUlT_E_NS1_11comp_targetILNS1_3genE3ELNS1_11target_archE908ELNS1_3gpuE7ELNS1_3repE0EEENS1_30default_config_static_selectorELNS0_4arch9wavefront6targetE1EEEvSK_, .Lfunc_end2779-_ZN7rocprim17ROCPRIM_400000_NS6detail17trampoline_kernelINS0_14default_configENS1_37merge_sort_block_sort_config_selectorIaNS0_10empty_typeEEEZNS1_21merge_sort_block_sortIS3_N6thrust23THRUST_200600_302600_NS6detail15normal_iteratorINS9_10device_ptrIaEEEESE_PS5_SF_14custom_greaterIaEEE10hipError_tT0_T1_T2_T3_mRjT4_P12ihipStream_tbNS1_7vsmem_tEEUlT_E_NS1_11comp_targetILNS1_3genE3ELNS1_11target_archE908ELNS1_3gpuE7ELNS1_3repE0EEENS1_30default_config_static_selectorELNS0_4arch9wavefront6targetE1EEEvSK_
                                        ; -- End function
	.section	.AMDGPU.csdata,"",@progbits
; Kernel info:
; codeLenInByte = 0
; NumSgprs: 4
; NumVgprs: 0
; NumAgprs: 0
; TotalNumVgprs: 0
; ScratchSize: 0
; MemoryBound: 0
; FloatMode: 240
; IeeeMode: 1
; LDSByteSize: 0 bytes/workgroup (compile time only)
; SGPRBlocks: 0
; VGPRBlocks: 0
; NumSGPRsForWavesPerEU: 4
; NumVGPRsForWavesPerEU: 1
; AccumOffset: 4
; Occupancy: 8
; WaveLimiterHint : 0
; COMPUTE_PGM_RSRC2:SCRATCH_EN: 0
; COMPUTE_PGM_RSRC2:USER_SGPR: 6
; COMPUTE_PGM_RSRC2:TRAP_HANDLER: 0
; COMPUTE_PGM_RSRC2:TGID_X_EN: 1
; COMPUTE_PGM_RSRC2:TGID_Y_EN: 0
; COMPUTE_PGM_RSRC2:TGID_Z_EN: 0
; COMPUTE_PGM_RSRC2:TIDIG_COMP_CNT: 0
; COMPUTE_PGM_RSRC3_GFX90A:ACCUM_OFFSET: 0
; COMPUTE_PGM_RSRC3_GFX90A:TG_SPLIT: 0
	.section	.text._ZN7rocprim17ROCPRIM_400000_NS6detail17trampoline_kernelINS0_14default_configENS1_37merge_sort_block_sort_config_selectorIaNS0_10empty_typeEEEZNS1_21merge_sort_block_sortIS3_N6thrust23THRUST_200600_302600_NS6detail15normal_iteratorINS9_10device_ptrIaEEEESE_PS5_SF_14custom_greaterIaEEE10hipError_tT0_T1_T2_T3_mRjT4_P12ihipStream_tbNS1_7vsmem_tEEUlT_E_NS1_11comp_targetILNS1_3genE2ELNS1_11target_archE906ELNS1_3gpuE6ELNS1_3repE0EEENS1_30default_config_static_selectorELNS0_4arch9wavefront6targetE1EEEvSK_,"axG",@progbits,_ZN7rocprim17ROCPRIM_400000_NS6detail17trampoline_kernelINS0_14default_configENS1_37merge_sort_block_sort_config_selectorIaNS0_10empty_typeEEEZNS1_21merge_sort_block_sortIS3_N6thrust23THRUST_200600_302600_NS6detail15normal_iteratorINS9_10device_ptrIaEEEESE_PS5_SF_14custom_greaterIaEEE10hipError_tT0_T1_T2_T3_mRjT4_P12ihipStream_tbNS1_7vsmem_tEEUlT_E_NS1_11comp_targetILNS1_3genE2ELNS1_11target_archE906ELNS1_3gpuE6ELNS1_3repE0EEENS1_30default_config_static_selectorELNS0_4arch9wavefront6targetE1EEEvSK_,comdat
	.protected	_ZN7rocprim17ROCPRIM_400000_NS6detail17trampoline_kernelINS0_14default_configENS1_37merge_sort_block_sort_config_selectorIaNS0_10empty_typeEEEZNS1_21merge_sort_block_sortIS3_N6thrust23THRUST_200600_302600_NS6detail15normal_iteratorINS9_10device_ptrIaEEEESE_PS5_SF_14custom_greaterIaEEE10hipError_tT0_T1_T2_T3_mRjT4_P12ihipStream_tbNS1_7vsmem_tEEUlT_E_NS1_11comp_targetILNS1_3genE2ELNS1_11target_archE906ELNS1_3gpuE6ELNS1_3repE0EEENS1_30default_config_static_selectorELNS0_4arch9wavefront6targetE1EEEvSK_ ; -- Begin function _ZN7rocprim17ROCPRIM_400000_NS6detail17trampoline_kernelINS0_14default_configENS1_37merge_sort_block_sort_config_selectorIaNS0_10empty_typeEEEZNS1_21merge_sort_block_sortIS3_N6thrust23THRUST_200600_302600_NS6detail15normal_iteratorINS9_10device_ptrIaEEEESE_PS5_SF_14custom_greaterIaEEE10hipError_tT0_T1_T2_T3_mRjT4_P12ihipStream_tbNS1_7vsmem_tEEUlT_E_NS1_11comp_targetILNS1_3genE2ELNS1_11target_archE906ELNS1_3gpuE6ELNS1_3repE0EEENS1_30default_config_static_selectorELNS0_4arch9wavefront6targetE1EEEvSK_
	.globl	_ZN7rocprim17ROCPRIM_400000_NS6detail17trampoline_kernelINS0_14default_configENS1_37merge_sort_block_sort_config_selectorIaNS0_10empty_typeEEEZNS1_21merge_sort_block_sortIS3_N6thrust23THRUST_200600_302600_NS6detail15normal_iteratorINS9_10device_ptrIaEEEESE_PS5_SF_14custom_greaterIaEEE10hipError_tT0_T1_T2_T3_mRjT4_P12ihipStream_tbNS1_7vsmem_tEEUlT_E_NS1_11comp_targetILNS1_3genE2ELNS1_11target_archE906ELNS1_3gpuE6ELNS1_3repE0EEENS1_30default_config_static_selectorELNS0_4arch9wavefront6targetE1EEEvSK_
	.p2align	8
	.type	_ZN7rocprim17ROCPRIM_400000_NS6detail17trampoline_kernelINS0_14default_configENS1_37merge_sort_block_sort_config_selectorIaNS0_10empty_typeEEEZNS1_21merge_sort_block_sortIS3_N6thrust23THRUST_200600_302600_NS6detail15normal_iteratorINS9_10device_ptrIaEEEESE_PS5_SF_14custom_greaterIaEEE10hipError_tT0_T1_T2_T3_mRjT4_P12ihipStream_tbNS1_7vsmem_tEEUlT_E_NS1_11comp_targetILNS1_3genE2ELNS1_11target_archE906ELNS1_3gpuE6ELNS1_3repE0EEENS1_30default_config_static_selectorELNS0_4arch9wavefront6targetE1EEEvSK_,@function
_ZN7rocprim17ROCPRIM_400000_NS6detail17trampoline_kernelINS0_14default_configENS1_37merge_sort_block_sort_config_selectorIaNS0_10empty_typeEEEZNS1_21merge_sort_block_sortIS3_N6thrust23THRUST_200600_302600_NS6detail15normal_iteratorINS9_10device_ptrIaEEEESE_PS5_SF_14custom_greaterIaEEE10hipError_tT0_T1_T2_T3_mRjT4_P12ihipStream_tbNS1_7vsmem_tEEUlT_E_NS1_11comp_targetILNS1_3genE2ELNS1_11target_archE906ELNS1_3gpuE6ELNS1_3repE0EEENS1_30default_config_static_selectorELNS0_4arch9wavefront6targetE1EEEvSK_: ; @_ZN7rocprim17ROCPRIM_400000_NS6detail17trampoline_kernelINS0_14default_configENS1_37merge_sort_block_sort_config_selectorIaNS0_10empty_typeEEEZNS1_21merge_sort_block_sortIS3_N6thrust23THRUST_200600_302600_NS6detail15normal_iteratorINS9_10device_ptrIaEEEESE_PS5_SF_14custom_greaterIaEEE10hipError_tT0_T1_T2_T3_mRjT4_P12ihipStream_tbNS1_7vsmem_tEEUlT_E_NS1_11comp_targetILNS1_3genE2ELNS1_11target_archE906ELNS1_3gpuE6ELNS1_3repE0EEENS1_30default_config_static_selectorELNS0_4arch9wavefront6targetE1EEEvSK_
; %bb.0:
	.section	.rodata,"a",@progbits
	.p2align	6, 0x0
	.amdhsa_kernel _ZN7rocprim17ROCPRIM_400000_NS6detail17trampoline_kernelINS0_14default_configENS1_37merge_sort_block_sort_config_selectorIaNS0_10empty_typeEEEZNS1_21merge_sort_block_sortIS3_N6thrust23THRUST_200600_302600_NS6detail15normal_iteratorINS9_10device_ptrIaEEEESE_PS5_SF_14custom_greaterIaEEE10hipError_tT0_T1_T2_T3_mRjT4_P12ihipStream_tbNS1_7vsmem_tEEUlT_E_NS1_11comp_targetILNS1_3genE2ELNS1_11target_archE906ELNS1_3gpuE6ELNS1_3repE0EEENS1_30default_config_static_selectorELNS0_4arch9wavefront6targetE1EEEvSK_
		.amdhsa_group_segment_fixed_size 0
		.amdhsa_private_segment_fixed_size 0
		.amdhsa_kernarg_size 64
		.amdhsa_user_sgpr_count 6
		.amdhsa_user_sgpr_private_segment_buffer 1
		.amdhsa_user_sgpr_dispatch_ptr 0
		.amdhsa_user_sgpr_queue_ptr 0
		.amdhsa_user_sgpr_kernarg_segment_ptr 1
		.amdhsa_user_sgpr_dispatch_id 0
		.amdhsa_user_sgpr_flat_scratch_init 0
		.amdhsa_user_sgpr_kernarg_preload_length 0
		.amdhsa_user_sgpr_kernarg_preload_offset 0
		.amdhsa_user_sgpr_private_segment_size 0
		.amdhsa_uses_dynamic_stack 0
		.amdhsa_system_sgpr_private_segment_wavefront_offset 0
		.amdhsa_system_sgpr_workgroup_id_x 1
		.amdhsa_system_sgpr_workgroup_id_y 0
		.amdhsa_system_sgpr_workgroup_id_z 0
		.amdhsa_system_sgpr_workgroup_info 0
		.amdhsa_system_vgpr_workitem_id 0
		.amdhsa_next_free_vgpr 1
		.amdhsa_next_free_sgpr 0
		.amdhsa_accum_offset 4
		.amdhsa_reserve_vcc 0
		.amdhsa_reserve_flat_scratch 0
		.amdhsa_float_round_mode_32 0
		.amdhsa_float_round_mode_16_64 0
		.amdhsa_float_denorm_mode_32 3
		.amdhsa_float_denorm_mode_16_64 3
		.amdhsa_dx10_clamp 1
		.amdhsa_ieee_mode 1
		.amdhsa_fp16_overflow 0
		.amdhsa_tg_split 0
		.amdhsa_exception_fp_ieee_invalid_op 0
		.amdhsa_exception_fp_denorm_src 0
		.amdhsa_exception_fp_ieee_div_zero 0
		.amdhsa_exception_fp_ieee_overflow 0
		.amdhsa_exception_fp_ieee_underflow 0
		.amdhsa_exception_fp_ieee_inexact 0
		.amdhsa_exception_int_div_zero 0
	.end_amdhsa_kernel
	.section	.text._ZN7rocprim17ROCPRIM_400000_NS6detail17trampoline_kernelINS0_14default_configENS1_37merge_sort_block_sort_config_selectorIaNS0_10empty_typeEEEZNS1_21merge_sort_block_sortIS3_N6thrust23THRUST_200600_302600_NS6detail15normal_iteratorINS9_10device_ptrIaEEEESE_PS5_SF_14custom_greaterIaEEE10hipError_tT0_T1_T2_T3_mRjT4_P12ihipStream_tbNS1_7vsmem_tEEUlT_E_NS1_11comp_targetILNS1_3genE2ELNS1_11target_archE906ELNS1_3gpuE6ELNS1_3repE0EEENS1_30default_config_static_selectorELNS0_4arch9wavefront6targetE1EEEvSK_,"axG",@progbits,_ZN7rocprim17ROCPRIM_400000_NS6detail17trampoline_kernelINS0_14default_configENS1_37merge_sort_block_sort_config_selectorIaNS0_10empty_typeEEEZNS1_21merge_sort_block_sortIS3_N6thrust23THRUST_200600_302600_NS6detail15normal_iteratorINS9_10device_ptrIaEEEESE_PS5_SF_14custom_greaterIaEEE10hipError_tT0_T1_T2_T3_mRjT4_P12ihipStream_tbNS1_7vsmem_tEEUlT_E_NS1_11comp_targetILNS1_3genE2ELNS1_11target_archE906ELNS1_3gpuE6ELNS1_3repE0EEENS1_30default_config_static_selectorELNS0_4arch9wavefront6targetE1EEEvSK_,comdat
.Lfunc_end2780:
	.size	_ZN7rocprim17ROCPRIM_400000_NS6detail17trampoline_kernelINS0_14default_configENS1_37merge_sort_block_sort_config_selectorIaNS0_10empty_typeEEEZNS1_21merge_sort_block_sortIS3_N6thrust23THRUST_200600_302600_NS6detail15normal_iteratorINS9_10device_ptrIaEEEESE_PS5_SF_14custom_greaterIaEEE10hipError_tT0_T1_T2_T3_mRjT4_P12ihipStream_tbNS1_7vsmem_tEEUlT_E_NS1_11comp_targetILNS1_3genE2ELNS1_11target_archE906ELNS1_3gpuE6ELNS1_3repE0EEENS1_30default_config_static_selectorELNS0_4arch9wavefront6targetE1EEEvSK_, .Lfunc_end2780-_ZN7rocprim17ROCPRIM_400000_NS6detail17trampoline_kernelINS0_14default_configENS1_37merge_sort_block_sort_config_selectorIaNS0_10empty_typeEEEZNS1_21merge_sort_block_sortIS3_N6thrust23THRUST_200600_302600_NS6detail15normal_iteratorINS9_10device_ptrIaEEEESE_PS5_SF_14custom_greaterIaEEE10hipError_tT0_T1_T2_T3_mRjT4_P12ihipStream_tbNS1_7vsmem_tEEUlT_E_NS1_11comp_targetILNS1_3genE2ELNS1_11target_archE906ELNS1_3gpuE6ELNS1_3repE0EEENS1_30default_config_static_selectorELNS0_4arch9wavefront6targetE1EEEvSK_
                                        ; -- End function
	.section	.AMDGPU.csdata,"",@progbits
; Kernel info:
; codeLenInByte = 0
; NumSgprs: 4
; NumVgprs: 0
; NumAgprs: 0
; TotalNumVgprs: 0
; ScratchSize: 0
; MemoryBound: 0
; FloatMode: 240
; IeeeMode: 1
; LDSByteSize: 0 bytes/workgroup (compile time only)
; SGPRBlocks: 0
; VGPRBlocks: 0
; NumSGPRsForWavesPerEU: 4
; NumVGPRsForWavesPerEU: 1
; AccumOffset: 4
; Occupancy: 8
; WaveLimiterHint : 0
; COMPUTE_PGM_RSRC2:SCRATCH_EN: 0
; COMPUTE_PGM_RSRC2:USER_SGPR: 6
; COMPUTE_PGM_RSRC2:TRAP_HANDLER: 0
; COMPUTE_PGM_RSRC2:TGID_X_EN: 1
; COMPUTE_PGM_RSRC2:TGID_Y_EN: 0
; COMPUTE_PGM_RSRC2:TGID_Z_EN: 0
; COMPUTE_PGM_RSRC2:TIDIG_COMP_CNT: 0
; COMPUTE_PGM_RSRC3_GFX90A:ACCUM_OFFSET: 0
; COMPUTE_PGM_RSRC3_GFX90A:TG_SPLIT: 0
	.section	.text._ZN7rocprim17ROCPRIM_400000_NS6detail17trampoline_kernelINS0_14default_configENS1_37merge_sort_block_sort_config_selectorIaNS0_10empty_typeEEEZNS1_21merge_sort_block_sortIS3_N6thrust23THRUST_200600_302600_NS6detail15normal_iteratorINS9_10device_ptrIaEEEESE_PS5_SF_14custom_greaterIaEEE10hipError_tT0_T1_T2_T3_mRjT4_P12ihipStream_tbNS1_7vsmem_tEEUlT_E_NS1_11comp_targetILNS1_3genE10ELNS1_11target_archE1201ELNS1_3gpuE5ELNS1_3repE0EEENS1_30default_config_static_selectorELNS0_4arch9wavefront6targetE1EEEvSK_,"axG",@progbits,_ZN7rocprim17ROCPRIM_400000_NS6detail17trampoline_kernelINS0_14default_configENS1_37merge_sort_block_sort_config_selectorIaNS0_10empty_typeEEEZNS1_21merge_sort_block_sortIS3_N6thrust23THRUST_200600_302600_NS6detail15normal_iteratorINS9_10device_ptrIaEEEESE_PS5_SF_14custom_greaterIaEEE10hipError_tT0_T1_T2_T3_mRjT4_P12ihipStream_tbNS1_7vsmem_tEEUlT_E_NS1_11comp_targetILNS1_3genE10ELNS1_11target_archE1201ELNS1_3gpuE5ELNS1_3repE0EEENS1_30default_config_static_selectorELNS0_4arch9wavefront6targetE1EEEvSK_,comdat
	.protected	_ZN7rocprim17ROCPRIM_400000_NS6detail17trampoline_kernelINS0_14default_configENS1_37merge_sort_block_sort_config_selectorIaNS0_10empty_typeEEEZNS1_21merge_sort_block_sortIS3_N6thrust23THRUST_200600_302600_NS6detail15normal_iteratorINS9_10device_ptrIaEEEESE_PS5_SF_14custom_greaterIaEEE10hipError_tT0_T1_T2_T3_mRjT4_P12ihipStream_tbNS1_7vsmem_tEEUlT_E_NS1_11comp_targetILNS1_3genE10ELNS1_11target_archE1201ELNS1_3gpuE5ELNS1_3repE0EEENS1_30default_config_static_selectorELNS0_4arch9wavefront6targetE1EEEvSK_ ; -- Begin function _ZN7rocprim17ROCPRIM_400000_NS6detail17trampoline_kernelINS0_14default_configENS1_37merge_sort_block_sort_config_selectorIaNS0_10empty_typeEEEZNS1_21merge_sort_block_sortIS3_N6thrust23THRUST_200600_302600_NS6detail15normal_iteratorINS9_10device_ptrIaEEEESE_PS5_SF_14custom_greaterIaEEE10hipError_tT0_T1_T2_T3_mRjT4_P12ihipStream_tbNS1_7vsmem_tEEUlT_E_NS1_11comp_targetILNS1_3genE10ELNS1_11target_archE1201ELNS1_3gpuE5ELNS1_3repE0EEENS1_30default_config_static_selectorELNS0_4arch9wavefront6targetE1EEEvSK_
	.globl	_ZN7rocprim17ROCPRIM_400000_NS6detail17trampoline_kernelINS0_14default_configENS1_37merge_sort_block_sort_config_selectorIaNS0_10empty_typeEEEZNS1_21merge_sort_block_sortIS3_N6thrust23THRUST_200600_302600_NS6detail15normal_iteratorINS9_10device_ptrIaEEEESE_PS5_SF_14custom_greaterIaEEE10hipError_tT0_T1_T2_T3_mRjT4_P12ihipStream_tbNS1_7vsmem_tEEUlT_E_NS1_11comp_targetILNS1_3genE10ELNS1_11target_archE1201ELNS1_3gpuE5ELNS1_3repE0EEENS1_30default_config_static_selectorELNS0_4arch9wavefront6targetE1EEEvSK_
	.p2align	8
	.type	_ZN7rocprim17ROCPRIM_400000_NS6detail17trampoline_kernelINS0_14default_configENS1_37merge_sort_block_sort_config_selectorIaNS0_10empty_typeEEEZNS1_21merge_sort_block_sortIS3_N6thrust23THRUST_200600_302600_NS6detail15normal_iteratorINS9_10device_ptrIaEEEESE_PS5_SF_14custom_greaterIaEEE10hipError_tT0_T1_T2_T3_mRjT4_P12ihipStream_tbNS1_7vsmem_tEEUlT_E_NS1_11comp_targetILNS1_3genE10ELNS1_11target_archE1201ELNS1_3gpuE5ELNS1_3repE0EEENS1_30default_config_static_selectorELNS0_4arch9wavefront6targetE1EEEvSK_,@function
_ZN7rocprim17ROCPRIM_400000_NS6detail17trampoline_kernelINS0_14default_configENS1_37merge_sort_block_sort_config_selectorIaNS0_10empty_typeEEEZNS1_21merge_sort_block_sortIS3_N6thrust23THRUST_200600_302600_NS6detail15normal_iteratorINS9_10device_ptrIaEEEESE_PS5_SF_14custom_greaterIaEEE10hipError_tT0_T1_T2_T3_mRjT4_P12ihipStream_tbNS1_7vsmem_tEEUlT_E_NS1_11comp_targetILNS1_3genE10ELNS1_11target_archE1201ELNS1_3gpuE5ELNS1_3repE0EEENS1_30default_config_static_selectorELNS0_4arch9wavefront6targetE1EEEvSK_: ; @_ZN7rocprim17ROCPRIM_400000_NS6detail17trampoline_kernelINS0_14default_configENS1_37merge_sort_block_sort_config_selectorIaNS0_10empty_typeEEEZNS1_21merge_sort_block_sortIS3_N6thrust23THRUST_200600_302600_NS6detail15normal_iteratorINS9_10device_ptrIaEEEESE_PS5_SF_14custom_greaterIaEEE10hipError_tT0_T1_T2_T3_mRjT4_P12ihipStream_tbNS1_7vsmem_tEEUlT_E_NS1_11comp_targetILNS1_3genE10ELNS1_11target_archE1201ELNS1_3gpuE5ELNS1_3repE0EEENS1_30default_config_static_selectorELNS0_4arch9wavefront6targetE1EEEvSK_
; %bb.0:
	.section	.rodata,"a",@progbits
	.p2align	6, 0x0
	.amdhsa_kernel _ZN7rocprim17ROCPRIM_400000_NS6detail17trampoline_kernelINS0_14default_configENS1_37merge_sort_block_sort_config_selectorIaNS0_10empty_typeEEEZNS1_21merge_sort_block_sortIS3_N6thrust23THRUST_200600_302600_NS6detail15normal_iteratorINS9_10device_ptrIaEEEESE_PS5_SF_14custom_greaterIaEEE10hipError_tT0_T1_T2_T3_mRjT4_P12ihipStream_tbNS1_7vsmem_tEEUlT_E_NS1_11comp_targetILNS1_3genE10ELNS1_11target_archE1201ELNS1_3gpuE5ELNS1_3repE0EEENS1_30default_config_static_selectorELNS0_4arch9wavefront6targetE1EEEvSK_
		.amdhsa_group_segment_fixed_size 0
		.amdhsa_private_segment_fixed_size 0
		.amdhsa_kernarg_size 64
		.amdhsa_user_sgpr_count 6
		.amdhsa_user_sgpr_private_segment_buffer 1
		.amdhsa_user_sgpr_dispatch_ptr 0
		.amdhsa_user_sgpr_queue_ptr 0
		.amdhsa_user_sgpr_kernarg_segment_ptr 1
		.amdhsa_user_sgpr_dispatch_id 0
		.amdhsa_user_sgpr_flat_scratch_init 0
		.amdhsa_user_sgpr_kernarg_preload_length 0
		.amdhsa_user_sgpr_kernarg_preload_offset 0
		.amdhsa_user_sgpr_private_segment_size 0
		.amdhsa_uses_dynamic_stack 0
		.amdhsa_system_sgpr_private_segment_wavefront_offset 0
		.amdhsa_system_sgpr_workgroup_id_x 1
		.amdhsa_system_sgpr_workgroup_id_y 0
		.amdhsa_system_sgpr_workgroup_id_z 0
		.amdhsa_system_sgpr_workgroup_info 0
		.amdhsa_system_vgpr_workitem_id 0
		.amdhsa_next_free_vgpr 1
		.amdhsa_next_free_sgpr 0
		.amdhsa_accum_offset 4
		.amdhsa_reserve_vcc 0
		.amdhsa_reserve_flat_scratch 0
		.amdhsa_float_round_mode_32 0
		.amdhsa_float_round_mode_16_64 0
		.amdhsa_float_denorm_mode_32 3
		.amdhsa_float_denorm_mode_16_64 3
		.amdhsa_dx10_clamp 1
		.amdhsa_ieee_mode 1
		.amdhsa_fp16_overflow 0
		.amdhsa_tg_split 0
		.amdhsa_exception_fp_ieee_invalid_op 0
		.amdhsa_exception_fp_denorm_src 0
		.amdhsa_exception_fp_ieee_div_zero 0
		.amdhsa_exception_fp_ieee_overflow 0
		.amdhsa_exception_fp_ieee_underflow 0
		.amdhsa_exception_fp_ieee_inexact 0
		.amdhsa_exception_int_div_zero 0
	.end_amdhsa_kernel
	.section	.text._ZN7rocprim17ROCPRIM_400000_NS6detail17trampoline_kernelINS0_14default_configENS1_37merge_sort_block_sort_config_selectorIaNS0_10empty_typeEEEZNS1_21merge_sort_block_sortIS3_N6thrust23THRUST_200600_302600_NS6detail15normal_iteratorINS9_10device_ptrIaEEEESE_PS5_SF_14custom_greaterIaEEE10hipError_tT0_T1_T2_T3_mRjT4_P12ihipStream_tbNS1_7vsmem_tEEUlT_E_NS1_11comp_targetILNS1_3genE10ELNS1_11target_archE1201ELNS1_3gpuE5ELNS1_3repE0EEENS1_30default_config_static_selectorELNS0_4arch9wavefront6targetE1EEEvSK_,"axG",@progbits,_ZN7rocprim17ROCPRIM_400000_NS6detail17trampoline_kernelINS0_14default_configENS1_37merge_sort_block_sort_config_selectorIaNS0_10empty_typeEEEZNS1_21merge_sort_block_sortIS3_N6thrust23THRUST_200600_302600_NS6detail15normal_iteratorINS9_10device_ptrIaEEEESE_PS5_SF_14custom_greaterIaEEE10hipError_tT0_T1_T2_T3_mRjT4_P12ihipStream_tbNS1_7vsmem_tEEUlT_E_NS1_11comp_targetILNS1_3genE10ELNS1_11target_archE1201ELNS1_3gpuE5ELNS1_3repE0EEENS1_30default_config_static_selectorELNS0_4arch9wavefront6targetE1EEEvSK_,comdat
.Lfunc_end2781:
	.size	_ZN7rocprim17ROCPRIM_400000_NS6detail17trampoline_kernelINS0_14default_configENS1_37merge_sort_block_sort_config_selectorIaNS0_10empty_typeEEEZNS1_21merge_sort_block_sortIS3_N6thrust23THRUST_200600_302600_NS6detail15normal_iteratorINS9_10device_ptrIaEEEESE_PS5_SF_14custom_greaterIaEEE10hipError_tT0_T1_T2_T3_mRjT4_P12ihipStream_tbNS1_7vsmem_tEEUlT_E_NS1_11comp_targetILNS1_3genE10ELNS1_11target_archE1201ELNS1_3gpuE5ELNS1_3repE0EEENS1_30default_config_static_selectorELNS0_4arch9wavefront6targetE1EEEvSK_, .Lfunc_end2781-_ZN7rocprim17ROCPRIM_400000_NS6detail17trampoline_kernelINS0_14default_configENS1_37merge_sort_block_sort_config_selectorIaNS0_10empty_typeEEEZNS1_21merge_sort_block_sortIS3_N6thrust23THRUST_200600_302600_NS6detail15normal_iteratorINS9_10device_ptrIaEEEESE_PS5_SF_14custom_greaterIaEEE10hipError_tT0_T1_T2_T3_mRjT4_P12ihipStream_tbNS1_7vsmem_tEEUlT_E_NS1_11comp_targetILNS1_3genE10ELNS1_11target_archE1201ELNS1_3gpuE5ELNS1_3repE0EEENS1_30default_config_static_selectorELNS0_4arch9wavefront6targetE1EEEvSK_
                                        ; -- End function
	.section	.AMDGPU.csdata,"",@progbits
; Kernel info:
; codeLenInByte = 0
; NumSgprs: 4
; NumVgprs: 0
; NumAgprs: 0
; TotalNumVgprs: 0
; ScratchSize: 0
; MemoryBound: 0
; FloatMode: 240
; IeeeMode: 1
; LDSByteSize: 0 bytes/workgroup (compile time only)
; SGPRBlocks: 0
; VGPRBlocks: 0
; NumSGPRsForWavesPerEU: 4
; NumVGPRsForWavesPerEU: 1
; AccumOffset: 4
; Occupancy: 8
; WaveLimiterHint : 0
; COMPUTE_PGM_RSRC2:SCRATCH_EN: 0
; COMPUTE_PGM_RSRC2:USER_SGPR: 6
; COMPUTE_PGM_RSRC2:TRAP_HANDLER: 0
; COMPUTE_PGM_RSRC2:TGID_X_EN: 1
; COMPUTE_PGM_RSRC2:TGID_Y_EN: 0
; COMPUTE_PGM_RSRC2:TGID_Z_EN: 0
; COMPUTE_PGM_RSRC2:TIDIG_COMP_CNT: 0
; COMPUTE_PGM_RSRC3_GFX90A:ACCUM_OFFSET: 0
; COMPUTE_PGM_RSRC3_GFX90A:TG_SPLIT: 0
	.section	.text._ZN7rocprim17ROCPRIM_400000_NS6detail17trampoline_kernelINS0_14default_configENS1_37merge_sort_block_sort_config_selectorIaNS0_10empty_typeEEEZNS1_21merge_sort_block_sortIS3_N6thrust23THRUST_200600_302600_NS6detail15normal_iteratorINS9_10device_ptrIaEEEESE_PS5_SF_14custom_greaterIaEEE10hipError_tT0_T1_T2_T3_mRjT4_P12ihipStream_tbNS1_7vsmem_tEEUlT_E_NS1_11comp_targetILNS1_3genE10ELNS1_11target_archE1200ELNS1_3gpuE4ELNS1_3repE0EEENS1_30default_config_static_selectorELNS0_4arch9wavefront6targetE1EEEvSK_,"axG",@progbits,_ZN7rocprim17ROCPRIM_400000_NS6detail17trampoline_kernelINS0_14default_configENS1_37merge_sort_block_sort_config_selectorIaNS0_10empty_typeEEEZNS1_21merge_sort_block_sortIS3_N6thrust23THRUST_200600_302600_NS6detail15normal_iteratorINS9_10device_ptrIaEEEESE_PS5_SF_14custom_greaterIaEEE10hipError_tT0_T1_T2_T3_mRjT4_P12ihipStream_tbNS1_7vsmem_tEEUlT_E_NS1_11comp_targetILNS1_3genE10ELNS1_11target_archE1200ELNS1_3gpuE4ELNS1_3repE0EEENS1_30default_config_static_selectorELNS0_4arch9wavefront6targetE1EEEvSK_,comdat
	.protected	_ZN7rocprim17ROCPRIM_400000_NS6detail17trampoline_kernelINS0_14default_configENS1_37merge_sort_block_sort_config_selectorIaNS0_10empty_typeEEEZNS1_21merge_sort_block_sortIS3_N6thrust23THRUST_200600_302600_NS6detail15normal_iteratorINS9_10device_ptrIaEEEESE_PS5_SF_14custom_greaterIaEEE10hipError_tT0_T1_T2_T3_mRjT4_P12ihipStream_tbNS1_7vsmem_tEEUlT_E_NS1_11comp_targetILNS1_3genE10ELNS1_11target_archE1200ELNS1_3gpuE4ELNS1_3repE0EEENS1_30default_config_static_selectorELNS0_4arch9wavefront6targetE1EEEvSK_ ; -- Begin function _ZN7rocprim17ROCPRIM_400000_NS6detail17trampoline_kernelINS0_14default_configENS1_37merge_sort_block_sort_config_selectorIaNS0_10empty_typeEEEZNS1_21merge_sort_block_sortIS3_N6thrust23THRUST_200600_302600_NS6detail15normal_iteratorINS9_10device_ptrIaEEEESE_PS5_SF_14custom_greaterIaEEE10hipError_tT0_T1_T2_T3_mRjT4_P12ihipStream_tbNS1_7vsmem_tEEUlT_E_NS1_11comp_targetILNS1_3genE10ELNS1_11target_archE1200ELNS1_3gpuE4ELNS1_3repE0EEENS1_30default_config_static_selectorELNS0_4arch9wavefront6targetE1EEEvSK_
	.globl	_ZN7rocprim17ROCPRIM_400000_NS6detail17trampoline_kernelINS0_14default_configENS1_37merge_sort_block_sort_config_selectorIaNS0_10empty_typeEEEZNS1_21merge_sort_block_sortIS3_N6thrust23THRUST_200600_302600_NS6detail15normal_iteratorINS9_10device_ptrIaEEEESE_PS5_SF_14custom_greaterIaEEE10hipError_tT0_T1_T2_T3_mRjT4_P12ihipStream_tbNS1_7vsmem_tEEUlT_E_NS1_11comp_targetILNS1_3genE10ELNS1_11target_archE1200ELNS1_3gpuE4ELNS1_3repE0EEENS1_30default_config_static_selectorELNS0_4arch9wavefront6targetE1EEEvSK_
	.p2align	8
	.type	_ZN7rocprim17ROCPRIM_400000_NS6detail17trampoline_kernelINS0_14default_configENS1_37merge_sort_block_sort_config_selectorIaNS0_10empty_typeEEEZNS1_21merge_sort_block_sortIS3_N6thrust23THRUST_200600_302600_NS6detail15normal_iteratorINS9_10device_ptrIaEEEESE_PS5_SF_14custom_greaterIaEEE10hipError_tT0_T1_T2_T3_mRjT4_P12ihipStream_tbNS1_7vsmem_tEEUlT_E_NS1_11comp_targetILNS1_3genE10ELNS1_11target_archE1200ELNS1_3gpuE4ELNS1_3repE0EEENS1_30default_config_static_selectorELNS0_4arch9wavefront6targetE1EEEvSK_,@function
_ZN7rocprim17ROCPRIM_400000_NS6detail17trampoline_kernelINS0_14default_configENS1_37merge_sort_block_sort_config_selectorIaNS0_10empty_typeEEEZNS1_21merge_sort_block_sortIS3_N6thrust23THRUST_200600_302600_NS6detail15normal_iteratorINS9_10device_ptrIaEEEESE_PS5_SF_14custom_greaterIaEEE10hipError_tT0_T1_T2_T3_mRjT4_P12ihipStream_tbNS1_7vsmem_tEEUlT_E_NS1_11comp_targetILNS1_3genE10ELNS1_11target_archE1200ELNS1_3gpuE4ELNS1_3repE0EEENS1_30default_config_static_selectorELNS0_4arch9wavefront6targetE1EEEvSK_: ; @_ZN7rocprim17ROCPRIM_400000_NS6detail17trampoline_kernelINS0_14default_configENS1_37merge_sort_block_sort_config_selectorIaNS0_10empty_typeEEEZNS1_21merge_sort_block_sortIS3_N6thrust23THRUST_200600_302600_NS6detail15normal_iteratorINS9_10device_ptrIaEEEESE_PS5_SF_14custom_greaterIaEEE10hipError_tT0_T1_T2_T3_mRjT4_P12ihipStream_tbNS1_7vsmem_tEEUlT_E_NS1_11comp_targetILNS1_3genE10ELNS1_11target_archE1200ELNS1_3gpuE4ELNS1_3repE0EEENS1_30default_config_static_selectorELNS0_4arch9wavefront6targetE1EEEvSK_
; %bb.0:
	.section	.rodata,"a",@progbits
	.p2align	6, 0x0
	.amdhsa_kernel _ZN7rocprim17ROCPRIM_400000_NS6detail17trampoline_kernelINS0_14default_configENS1_37merge_sort_block_sort_config_selectorIaNS0_10empty_typeEEEZNS1_21merge_sort_block_sortIS3_N6thrust23THRUST_200600_302600_NS6detail15normal_iteratorINS9_10device_ptrIaEEEESE_PS5_SF_14custom_greaterIaEEE10hipError_tT0_T1_T2_T3_mRjT4_P12ihipStream_tbNS1_7vsmem_tEEUlT_E_NS1_11comp_targetILNS1_3genE10ELNS1_11target_archE1200ELNS1_3gpuE4ELNS1_3repE0EEENS1_30default_config_static_selectorELNS0_4arch9wavefront6targetE1EEEvSK_
		.amdhsa_group_segment_fixed_size 0
		.amdhsa_private_segment_fixed_size 0
		.amdhsa_kernarg_size 64
		.amdhsa_user_sgpr_count 6
		.amdhsa_user_sgpr_private_segment_buffer 1
		.amdhsa_user_sgpr_dispatch_ptr 0
		.amdhsa_user_sgpr_queue_ptr 0
		.amdhsa_user_sgpr_kernarg_segment_ptr 1
		.amdhsa_user_sgpr_dispatch_id 0
		.amdhsa_user_sgpr_flat_scratch_init 0
		.amdhsa_user_sgpr_kernarg_preload_length 0
		.amdhsa_user_sgpr_kernarg_preload_offset 0
		.amdhsa_user_sgpr_private_segment_size 0
		.amdhsa_uses_dynamic_stack 0
		.amdhsa_system_sgpr_private_segment_wavefront_offset 0
		.amdhsa_system_sgpr_workgroup_id_x 1
		.amdhsa_system_sgpr_workgroup_id_y 0
		.amdhsa_system_sgpr_workgroup_id_z 0
		.amdhsa_system_sgpr_workgroup_info 0
		.amdhsa_system_vgpr_workitem_id 0
		.amdhsa_next_free_vgpr 1
		.amdhsa_next_free_sgpr 0
		.amdhsa_accum_offset 4
		.amdhsa_reserve_vcc 0
		.amdhsa_reserve_flat_scratch 0
		.amdhsa_float_round_mode_32 0
		.amdhsa_float_round_mode_16_64 0
		.amdhsa_float_denorm_mode_32 3
		.amdhsa_float_denorm_mode_16_64 3
		.amdhsa_dx10_clamp 1
		.amdhsa_ieee_mode 1
		.amdhsa_fp16_overflow 0
		.amdhsa_tg_split 0
		.amdhsa_exception_fp_ieee_invalid_op 0
		.amdhsa_exception_fp_denorm_src 0
		.amdhsa_exception_fp_ieee_div_zero 0
		.amdhsa_exception_fp_ieee_overflow 0
		.amdhsa_exception_fp_ieee_underflow 0
		.amdhsa_exception_fp_ieee_inexact 0
		.amdhsa_exception_int_div_zero 0
	.end_amdhsa_kernel
	.section	.text._ZN7rocprim17ROCPRIM_400000_NS6detail17trampoline_kernelINS0_14default_configENS1_37merge_sort_block_sort_config_selectorIaNS0_10empty_typeEEEZNS1_21merge_sort_block_sortIS3_N6thrust23THRUST_200600_302600_NS6detail15normal_iteratorINS9_10device_ptrIaEEEESE_PS5_SF_14custom_greaterIaEEE10hipError_tT0_T1_T2_T3_mRjT4_P12ihipStream_tbNS1_7vsmem_tEEUlT_E_NS1_11comp_targetILNS1_3genE10ELNS1_11target_archE1200ELNS1_3gpuE4ELNS1_3repE0EEENS1_30default_config_static_selectorELNS0_4arch9wavefront6targetE1EEEvSK_,"axG",@progbits,_ZN7rocprim17ROCPRIM_400000_NS6detail17trampoline_kernelINS0_14default_configENS1_37merge_sort_block_sort_config_selectorIaNS0_10empty_typeEEEZNS1_21merge_sort_block_sortIS3_N6thrust23THRUST_200600_302600_NS6detail15normal_iteratorINS9_10device_ptrIaEEEESE_PS5_SF_14custom_greaterIaEEE10hipError_tT0_T1_T2_T3_mRjT4_P12ihipStream_tbNS1_7vsmem_tEEUlT_E_NS1_11comp_targetILNS1_3genE10ELNS1_11target_archE1200ELNS1_3gpuE4ELNS1_3repE0EEENS1_30default_config_static_selectorELNS0_4arch9wavefront6targetE1EEEvSK_,comdat
.Lfunc_end2782:
	.size	_ZN7rocprim17ROCPRIM_400000_NS6detail17trampoline_kernelINS0_14default_configENS1_37merge_sort_block_sort_config_selectorIaNS0_10empty_typeEEEZNS1_21merge_sort_block_sortIS3_N6thrust23THRUST_200600_302600_NS6detail15normal_iteratorINS9_10device_ptrIaEEEESE_PS5_SF_14custom_greaterIaEEE10hipError_tT0_T1_T2_T3_mRjT4_P12ihipStream_tbNS1_7vsmem_tEEUlT_E_NS1_11comp_targetILNS1_3genE10ELNS1_11target_archE1200ELNS1_3gpuE4ELNS1_3repE0EEENS1_30default_config_static_selectorELNS0_4arch9wavefront6targetE1EEEvSK_, .Lfunc_end2782-_ZN7rocprim17ROCPRIM_400000_NS6detail17trampoline_kernelINS0_14default_configENS1_37merge_sort_block_sort_config_selectorIaNS0_10empty_typeEEEZNS1_21merge_sort_block_sortIS3_N6thrust23THRUST_200600_302600_NS6detail15normal_iteratorINS9_10device_ptrIaEEEESE_PS5_SF_14custom_greaterIaEEE10hipError_tT0_T1_T2_T3_mRjT4_P12ihipStream_tbNS1_7vsmem_tEEUlT_E_NS1_11comp_targetILNS1_3genE10ELNS1_11target_archE1200ELNS1_3gpuE4ELNS1_3repE0EEENS1_30default_config_static_selectorELNS0_4arch9wavefront6targetE1EEEvSK_
                                        ; -- End function
	.section	.AMDGPU.csdata,"",@progbits
; Kernel info:
; codeLenInByte = 0
; NumSgprs: 4
; NumVgprs: 0
; NumAgprs: 0
; TotalNumVgprs: 0
; ScratchSize: 0
; MemoryBound: 0
; FloatMode: 240
; IeeeMode: 1
; LDSByteSize: 0 bytes/workgroup (compile time only)
; SGPRBlocks: 0
; VGPRBlocks: 0
; NumSGPRsForWavesPerEU: 4
; NumVGPRsForWavesPerEU: 1
; AccumOffset: 4
; Occupancy: 8
; WaveLimiterHint : 0
; COMPUTE_PGM_RSRC2:SCRATCH_EN: 0
; COMPUTE_PGM_RSRC2:USER_SGPR: 6
; COMPUTE_PGM_RSRC2:TRAP_HANDLER: 0
; COMPUTE_PGM_RSRC2:TGID_X_EN: 1
; COMPUTE_PGM_RSRC2:TGID_Y_EN: 0
; COMPUTE_PGM_RSRC2:TGID_Z_EN: 0
; COMPUTE_PGM_RSRC2:TIDIG_COMP_CNT: 0
; COMPUTE_PGM_RSRC3_GFX90A:ACCUM_OFFSET: 0
; COMPUTE_PGM_RSRC3_GFX90A:TG_SPLIT: 0
	.section	.text._ZN7rocprim17ROCPRIM_400000_NS6detail17trampoline_kernelINS0_14default_configENS1_37merge_sort_block_sort_config_selectorIaNS0_10empty_typeEEEZNS1_21merge_sort_block_sortIS3_N6thrust23THRUST_200600_302600_NS6detail15normal_iteratorINS9_10device_ptrIaEEEESE_PS5_SF_14custom_greaterIaEEE10hipError_tT0_T1_T2_T3_mRjT4_P12ihipStream_tbNS1_7vsmem_tEEUlT_E_NS1_11comp_targetILNS1_3genE9ELNS1_11target_archE1100ELNS1_3gpuE3ELNS1_3repE0EEENS1_30default_config_static_selectorELNS0_4arch9wavefront6targetE1EEEvSK_,"axG",@progbits,_ZN7rocprim17ROCPRIM_400000_NS6detail17trampoline_kernelINS0_14default_configENS1_37merge_sort_block_sort_config_selectorIaNS0_10empty_typeEEEZNS1_21merge_sort_block_sortIS3_N6thrust23THRUST_200600_302600_NS6detail15normal_iteratorINS9_10device_ptrIaEEEESE_PS5_SF_14custom_greaterIaEEE10hipError_tT0_T1_T2_T3_mRjT4_P12ihipStream_tbNS1_7vsmem_tEEUlT_E_NS1_11comp_targetILNS1_3genE9ELNS1_11target_archE1100ELNS1_3gpuE3ELNS1_3repE0EEENS1_30default_config_static_selectorELNS0_4arch9wavefront6targetE1EEEvSK_,comdat
	.protected	_ZN7rocprim17ROCPRIM_400000_NS6detail17trampoline_kernelINS0_14default_configENS1_37merge_sort_block_sort_config_selectorIaNS0_10empty_typeEEEZNS1_21merge_sort_block_sortIS3_N6thrust23THRUST_200600_302600_NS6detail15normal_iteratorINS9_10device_ptrIaEEEESE_PS5_SF_14custom_greaterIaEEE10hipError_tT0_T1_T2_T3_mRjT4_P12ihipStream_tbNS1_7vsmem_tEEUlT_E_NS1_11comp_targetILNS1_3genE9ELNS1_11target_archE1100ELNS1_3gpuE3ELNS1_3repE0EEENS1_30default_config_static_selectorELNS0_4arch9wavefront6targetE1EEEvSK_ ; -- Begin function _ZN7rocprim17ROCPRIM_400000_NS6detail17trampoline_kernelINS0_14default_configENS1_37merge_sort_block_sort_config_selectorIaNS0_10empty_typeEEEZNS1_21merge_sort_block_sortIS3_N6thrust23THRUST_200600_302600_NS6detail15normal_iteratorINS9_10device_ptrIaEEEESE_PS5_SF_14custom_greaterIaEEE10hipError_tT0_T1_T2_T3_mRjT4_P12ihipStream_tbNS1_7vsmem_tEEUlT_E_NS1_11comp_targetILNS1_3genE9ELNS1_11target_archE1100ELNS1_3gpuE3ELNS1_3repE0EEENS1_30default_config_static_selectorELNS0_4arch9wavefront6targetE1EEEvSK_
	.globl	_ZN7rocprim17ROCPRIM_400000_NS6detail17trampoline_kernelINS0_14default_configENS1_37merge_sort_block_sort_config_selectorIaNS0_10empty_typeEEEZNS1_21merge_sort_block_sortIS3_N6thrust23THRUST_200600_302600_NS6detail15normal_iteratorINS9_10device_ptrIaEEEESE_PS5_SF_14custom_greaterIaEEE10hipError_tT0_T1_T2_T3_mRjT4_P12ihipStream_tbNS1_7vsmem_tEEUlT_E_NS1_11comp_targetILNS1_3genE9ELNS1_11target_archE1100ELNS1_3gpuE3ELNS1_3repE0EEENS1_30default_config_static_selectorELNS0_4arch9wavefront6targetE1EEEvSK_
	.p2align	8
	.type	_ZN7rocprim17ROCPRIM_400000_NS6detail17trampoline_kernelINS0_14default_configENS1_37merge_sort_block_sort_config_selectorIaNS0_10empty_typeEEEZNS1_21merge_sort_block_sortIS3_N6thrust23THRUST_200600_302600_NS6detail15normal_iteratorINS9_10device_ptrIaEEEESE_PS5_SF_14custom_greaterIaEEE10hipError_tT0_T1_T2_T3_mRjT4_P12ihipStream_tbNS1_7vsmem_tEEUlT_E_NS1_11comp_targetILNS1_3genE9ELNS1_11target_archE1100ELNS1_3gpuE3ELNS1_3repE0EEENS1_30default_config_static_selectorELNS0_4arch9wavefront6targetE1EEEvSK_,@function
_ZN7rocprim17ROCPRIM_400000_NS6detail17trampoline_kernelINS0_14default_configENS1_37merge_sort_block_sort_config_selectorIaNS0_10empty_typeEEEZNS1_21merge_sort_block_sortIS3_N6thrust23THRUST_200600_302600_NS6detail15normal_iteratorINS9_10device_ptrIaEEEESE_PS5_SF_14custom_greaterIaEEE10hipError_tT0_T1_T2_T3_mRjT4_P12ihipStream_tbNS1_7vsmem_tEEUlT_E_NS1_11comp_targetILNS1_3genE9ELNS1_11target_archE1100ELNS1_3gpuE3ELNS1_3repE0EEENS1_30default_config_static_selectorELNS0_4arch9wavefront6targetE1EEEvSK_: ; @_ZN7rocprim17ROCPRIM_400000_NS6detail17trampoline_kernelINS0_14default_configENS1_37merge_sort_block_sort_config_selectorIaNS0_10empty_typeEEEZNS1_21merge_sort_block_sortIS3_N6thrust23THRUST_200600_302600_NS6detail15normal_iteratorINS9_10device_ptrIaEEEESE_PS5_SF_14custom_greaterIaEEE10hipError_tT0_T1_T2_T3_mRjT4_P12ihipStream_tbNS1_7vsmem_tEEUlT_E_NS1_11comp_targetILNS1_3genE9ELNS1_11target_archE1100ELNS1_3gpuE3ELNS1_3repE0EEENS1_30default_config_static_selectorELNS0_4arch9wavefront6targetE1EEEvSK_
; %bb.0:
	.section	.rodata,"a",@progbits
	.p2align	6, 0x0
	.amdhsa_kernel _ZN7rocprim17ROCPRIM_400000_NS6detail17trampoline_kernelINS0_14default_configENS1_37merge_sort_block_sort_config_selectorIaNS0_10empty_typeEEEZNS1_21merge_sort_block_sortIS3_N6thrust23THRUST_200600_302600_NS6detail15normal_iteratorINS9_10device_ptrIaEEEESE_PS5_SF_14custom_greaterIaEEE10hipError_tT0_T1_T2_T3_mRjT4_P12ihipStream_tbNS1_7vsmem_tEEUlT_E_NS1_11comp_targetILNS1_3genE9ELNS1_11target_archE1100ELNS1_3gpuE3ELNS1_3repE0EEENS1_30default_config_static_selectorELNS0_4arch9wavefront6targetE1EEEvSK_
		.amdhsa_group_segment_fixed_size 0
		.amdhsa_private_segment_fixed_size 0
		.amdhsa_kernarg_size 64
		.amdhsa_user_sgpr_count 6
		.amdhsa_user_sgpr_private_segment_buffer 1
		.amdhsa_user_sgpr_dispatch_ptr 0
		.amdhsa_user_sgpr_queue_ptr 0
		.amdhsa_user_sgpr_kernarg_segment_ptr 1
		.amdhsa_user_sgpr_dispatch_id 0
		.amdhsa_user_sgpr_flat_scratch_init 0
		.amdhsa_user_sgpr_kernarg_preload_length 0
		.amdhsa_user_sgpr_kernarg_preload_offset 0
		.amdhsa_user_sgpr_private_segment_size 0
		.amdhsa_uses_dynamic_stack 0
		.amdhsa_system_sgpr_private_segment_wavefront_offset 0
		.amdhsa_system_sgpr_workgroup_id_x 1
		.amdhsa_system_sgpr_workgroup_id_y 0
		.amdhsa_system_sgpr_workgroup_id_z 0
		.amdhsa_system_sgpr_workgroup_info 0
		.amdhsa_system_vgpr_workitem_id 0
		.amdhsa_next_free_vgpr 1
		.amdhsa_next_free_sgpr 0
		.amdhsa_accum_offset 4
		.amdhsa_reserve_vcc 0
		.amdhsa_reserve_flat_scratch 0
		.amdhsa_float_round_mode_32 0
		.amdhsa_float_round_mode_16_64 0
		.amdhsa_float_denorm_mode_32 3
		.amdhsa_float_denorm_mode_16_64 3
		.amdhsa_dx10_clamp 1
		.amdhsa_ieee_mode 1
		.amdhsa_fp16_overflow 0
		.amdhsa_tg_split 0
		.amdhsa_exception_fp_ieee_invalid_op 0
		.amdhsa_exception_fp_denorm_src 0
		.amdhsa_exception_fp_ieee_div_zero 0
		.amdhsa_exception_fp_ieee_overflow 0
		.amdhsa_exception_fp_ieee_underflow 0
		.amdhsa_exception_fp_ieee_inexact 0
		.amdhsa_exception_int_div_zero 0
	.end_amdhsa_kernel
	.section	.text._ZN7rocprim17ROCPRIM_400000_NS6detail17trampoline_kernelINS0_14default_configENS1_37merge_sort_block_sort_config_selectorIaNS0_10empty_typeEEEZNS1_21merge_sort_block_sortIS3_N6thrust23THRUST_200600_302600_NS6detail15normal_iteratorINS9_10device_ptrIaEEEESE_PS5_SF_14custom_greaterIaEEE10hipError_tT0_T1_T2_T3_mRjT4_P12ihipStream_tbNS1_7vsmem_tEEUlT_E_NS1_11comp_targetILNS1_3genE9ELNS1_11target_archE1100ELNS1_3gpuE3ELNS1_3repE0EEENS1_30default_config_static_selectorELNS0_4arch9wavefront6targetE1EEEvSK_,"axG",@progbits,_ZN7rocprim17ROCPRIM_400000_NS6detail17trampoline_kernelINS0_14default_configENS1_37merge_sort_block_sort_config_selectorIaNS0_10empty_typeEEEZNS1_21merge_sort_block_sortIS3_N6thrust23THRUST_200600_302600_NS6detail15normal_iteratorINS9_10device_ptrIaEEEESE_PS5_SF_14custom_greaterIaEEE10hipError_tT0_T1_T2_T3_mRjT4_P12ihipStream_tbNS1_7vsmem_tEEUlT_E_NS1_11comp_targetILNS1_3genE9ELNS1_11target_archE1100ELNS1_3gpuE3ELNS1_3repE0EEENS1_30default_config_static_selectorELNS0_4arch9wavefront6targetE1EEEvSK_,comdat
.Lfunc_end2783:
	.size	_ZN7rocprim17ROCPRIM_400000_NS6detail17trampoline_kernelINS0_14default_configENS1_37merge_sort_block_sort_config_selectorIaNS0_10empty_typeEEEZNS1_21merge_sort_block_sortIS3_N6thrust23THRUST_200600_302600_NS6detail15normal_iteratorINS9_10device_ptrIaEEEESE_PS5_SF_14custom_greaterIaEEE10hipError_tT0_T1_T2_T3_mRjT4_P12ihipStream_tbNS1_7vsmem_tEEUlT_E_NS1_11comp_targetILNS1_3genE9ELNS1_11target_archE1100ELNS1_3gpuE3ELNS1_3repE0EEENS1_30default_config_static_selectorELNS0_4arch9wavefront6targetE1EEEvSK_, .Lfunc_end2783-_ZN7rocprim17ROCPRIM_400000_NS6detail17trampoline_kernelINS0_14default_configENS1_37merge_sort_block_sort_config_selectorIaNS0_10empty_typeEEEZNS1_21merge_sort_block_sortIS3_N6thrust23THRUST_200600_302600_NS6detail15normal_iteratorINS9_10device_ptrIaEEEESE_PS5_SF_14custom_greaterIaEEE10hipError_tT0_T1_T2_T3_mRjT4_P12ihipStream_tbNS1_7vsmem_tEEUlT_E_NS1_11comp_targetILNS1_3genE9ELNS1_11target_archE1100ELNS1_3gpuE3ELNS1_3repE0EEENS1_30default_config_static_selectorELNS0_4arch9wavefront6targetE1EEEvSK_
                                        ; -- End function
	.section	.AMDGPU.csdata,"",@progbits
; Kernel info:
; codeLenInByte = 0
; NumSgprs: 4
; NumVgprs: 0
; NumAgprs: 0
; TotalNumVgprs: 0
; ScratchSize: 0
; MemoryBound: 0
; FloatMode: 240
; IeeeMode: 1
; LDSByteSize: 0 bytes/workgroup (compile time only)
; SGPRBlocks: 0
; VGPRBlocks: 0
; NumSGPRsForWavesPerEU: 4
; NumVGPRsForWavesPerEU: 1
; AccumOffset: 4
; Occupancy: 8
; WaveLimiterHint : 0
; COMPUTE_PGM_RSRC2:SCRATCH_EN: 0
; COMPUTE_PGM_RSRC2:USER_SGPR: 6
; COMPUTE_PGM_RSRC2:TRAP_HANDLER: 0
; COMPUTE_PGM_RSRC2:TGID_X_EN: 1
; COMPUTE_PGM_RSRC2:TGID_Y_EN: 0
; COMPUTE_PGM_RSRC2:TGID_Z_EN: 0
; COMPUTE_PGM_RSRC2:TIDIG_COMP_CNT: 0
; COMPUTE_PGM_RSRC3_GFX90A:ACCUM_OFFSET: 0
; COMPUTE_PGM_RSRC3_GFX90A:TG_SPLIT: 0
	.section	.text._ZN7rocprim17ROCPRIM_400000_NS6detail17trampoline_kernelINS0_14default_configENS1_37merge_sort_block_sort_config_selectorIaNS0_10empty_typeEEEZNS1_21merge_sort_block_sortIS3_N6thrust23THRUST_200600_302600_NS6detail15normal_iteratorINS9_10device_ptrIaEEEESE_PS5_SF_14custom_greaterIaEEE10hipError_tT0_T1_T2_T3_mRjT4_P12ihipStream_tbNS1_7vsmem_tEEUlT_E_NS1_11comp_targetILNS1_3genE8ELNS1_11target_archE1030ELNS1_3gpuE2ELNS1_3repE0EEENS1_30default_config_static_selectorELNS0_4arch9wavefront6targetE1EEEvSK_,"axG",@progbits,_ZN7rocprim17ROCPRIM_400000_NS6detail17trampoline_kernelINS0_14default_configENS1_37merge_sort_block_sort_config_selectorIaNS0_10empty_typeEEEZNS1_21merge_sort_block_sortIS3_N6thrust23THRUST_200600_302600_NS6detail15normal_iteratorINS9_10device_ptrIaEEEESE_PS5_SF_14custom_greaterIaEEE10hipError_tT0_T1_T2_T3_mRjT4_P12ihipStream_tbNS1_7vsmem_tEEUlT_E_NS1_11comp_targetILNS1_3genE8ELNS1_11target_archE1030ELNS1_3gpuE2ELNS1_3repE0EEENS1_30default_config_static_selectorELNS0_4arch9wavefront6targetE1EEEvSK_,comdat
	.protected	_ZN7rocprim17ROCPRIM_400000_NS6detail17trampoline_kernelINS0_14default_configENS1_37merge_sort_block_sort_config_selectorIaNS0_10empty_typeEEEZNS1_21merge_sort_block_sortIS3_N6thrust23THRUST_200600_302600_NS6detail15normal_iteratorINS9_10device_ptrIaEEEESE_PS5_SF_14custom_greaterIaEEE10hipError_tT0_T1_T2_T3_mRjT4_P12ihipStream_tbNS1_7vsmem_tEEUlT_E_NS1_11comp_targetILNS1_3genE8ELNS1_11target_archE1030ELNS1_3gpuE2ELNS1_3repE0EEENS1_30default_config_static_selectorELNS0_4arch9wavefront6targetE1EEEvSK_ ; -- Begin function _ZN7rocprim17ROCPRIM_400000_NS6detail17trampoline_kernelINS0_14default_configENS1_37merge_sort_block_sort_config_selectorIaNS0_10empty_typeEEEZNS1_21merge_sort_block_sortIS3_N6thrust23THRUST_200600_302600_NS6detail15normal_iteratorINS9_10device_ptrIaEEEESE_PS5_SF_14custom_greaterIaEEE10hipError_tT0_T1_T2_T3_mRjT4_P12ihipStream_tbNS1_7vsmem_tEEUlT_E_NS1_11comp_targetILNS1_3genE8ELNS1_11target_archE1030ELNS1_3gpuE2ELNS1_3repE0EEENS1_30default_config_static_selectorELNS0_4arch9wavefront6targetE1EEEvSK_
	.globl	_ZN7rocprim17ROCPRIM_400000_NS6detail17trampoline_kernelINS0_14default_configENS1_37merge_sort_block_sort_config_selectorIaNS0_10empty_typeEEEZNS1_21merge_sort_block_sortIS3_N6thrust23THRUST_200600_302600_NS6detail15normal_iteratorINS9_10device_ptrIaEEEESE_PS5_SF_14custom_greaterIaEEE10hipError_tT0_T1_T2_T3_mRjT4_P12ihipStream_tbNS1_7vsmem_tEEUlT_E_NS1_11comp_targetILNS1_3genE8ELNS1_11target_archE1030ELNS1_3gpuE2ELNS1_3repE0EEENS1_30default_config_static_selectorELNS0_4arch9wavefront6targetE1EEEvSK_
	.p2align	8
	.type	_ZN7rocprim17ROCPRIM_400000_NS6detail17trampoline_kernelINS0_14default_configENS1_37merge_sort_block_sort_config_selectorIaNS0_10empty_typeEEEZNS1_21merge_sort_block_sortIS3_N6thrust23THRUST_200600_302600_NS6detail15normal_iteratorINS9_10device_ptrIaEEEESE_PS5_SF_14custom_greaterIaEEE10hipError_tT0_T1_T2_T3_mRjT4_P12ihipStream_tbNS1_7vsmem_tEEUlT_E_NS1_11comp_targetILNS1_3genE8ELNS1_11target_archE1030ELNS1_3gpuE2ELNS1_3repE0EEENS1_30default_config_static_selectorELNS0_4arch9wavefront6targetE1EEEvSK_,@function
_ZN7rocprim17ROCPRIM_400000_NS6detail17trampoline_kernelINS0_14default_configENS1_37merge_sort_block_sort_config_selectorIaNS0_10empty_typeEEEZNS1_21merge_sort_block_sortIS3_N6thrust23THRUST_200600_302600_NS6detail15normal_iteratorINS9_10device_ptrIaEEEESE_PS5_SF_14custom_greaterIaEEE10hipError_tT0_T1_T2_T3_mRjT4_P12ihipStream_tbNS1_7vsmem_tEEUlT_E_NS1_11comp_targetILNS1_3genE8ELNS1_11target_archE1030ELNS1_3gpuE2ELNS1_3repE0EEENS1_30default_config_static_selectorELNS0_4arch9wavefront6targetE1EEEvSK_: ; @_ZN7rocprim17ROCPRIM_400000_NS6detail17trampoline_kernelINS0_14default_configENS1_37merge_sort_block_sort_config_selectorIaNS0_10empty_typeEEEZNS1_21merge_sort_block_sortIS3_N6thrust23THRUST_200600_302600_NS6detail15normal_iteratorINS9_10device_ptrIaEEEESE_PS5_SF_14custom_greaterIaEEE10hipError_tT0_T1_T2_T3_mRjT4_P12ihipStream_tbNS1_7vsmem_tEEUlT_E_NS1_11comp_targetILNS1_3genE8ELNS1_11target_archE1030ELNS1_3gpuE2ELNS1_3repE0EEENS1_30default_config_static_selectorELNS0_4arch9wavefront6targetE1EEEvSK_
; %bb.0:
	.section	.rodata,"a",@progbits
	.p2align	6, 0x0
	.amdhsa_kernel _ZN7rocprim17ROCPRIM_400000_NS6detail17trampoline_kernelINS0_14default_configENS1_37merge_sort_block_sort_config_selectorIaNS0_10empty_typeEEEZNS1_21merge_sort_block_sortIS3_N6thrust23THRUST_200600_302600_NS6detail15normal_iteratorINS9_10device_ptrIaEEEESE_PS5_SF_14custom_greaterIaEEE10hipError_tT0_T1_T2_T3_mRjT4_P12ihipStream_tbNS1_7vsmem_tEEUlT_E_NS1_11comp_targetILNS1_3genE8ELNS1_11target_archE1030ELNS1_3gpuE2ELNS1_3repE0EEENS1_30default_config_static_selectorELNS0_4arch9wavefront6targetE1EEEvSK_
		.amdhsa_group_segment_fixed_size 0
		.amdhsa_private_segment_fixed_size 0
		.amdhsa_kernarg_size 64
		.amdhsa_user_sgpr_count 6
		.amdhsa_user_sgpr_private_segment_buffer 1
		.amdhsa_user_sgpr_dispatch_ptr 0
		.amdhsa_user_sgpr_queue_ptr 0
		.amdhsa_user_sgpr_kernarg_segment_ptr 1
		.amdhsa_user_sgpr_dispatch_id 0
		.amdhsa_user_sgpr_flat_scratch_init 0
		.amdhsa_user_sgpr_kernarg_preload_length 0
		.amdhsa_user_sgpr_kernarg_preload_offset 0
		.amdhsa_user_sgpr_private_segment_size 0
		.amdhsa_uses_dynamic_stack 0
		.amdhsa_system_sgpr_private_segment_wavefront_offset 0
		.amdhsa_system_sgpr_workgroup_id_x 1
		.amdhsa_system_sgpr_workgroup_id_y 0
		.amdhsa_system_sgpr_workgroup_id_z 0
		.amdhsa_system_sgpr_workgroup_info 0
		.amdhsa_system_vgpr_workitem_id 0
		.amdhsa_next_free_vgpr 1
		.amdhsa_next_free_sgpr 0
		.amdhsa_accum_offset 4
		.amdhsa_reserve_vcc 0
		.amdhsa_reserve_flat_scratch 0
		.amdhsa_float_round_mode_32 0
		.amdhsa_float_round_mode_16_64 0
		.amdhsa_float_denorm_mode_32 3
		.amdhsa_float_denorm_mode_16_64 3
		.amdhsa_dx10_clamp 1
		.amdhsa_ieee_mode 1
		.amdhsa_fp16_overflow 0
		.amdhsa_tg_split 0
		.amdhsa_exception_fp_ieee_invalid_op 0
		.amdhsa_exception_fp_denorm_src 0
		.amdhsa_exception_fp_ieee_div_zero 0
		.amdhsa_exception_fp_ieee_overflow 0
		.amdhsa_exception_fp_ieee_underflow 0
		.amdhsa_exception_fp_ieee_inexact 0
		.amdhsa_exception_int_div_zero 0
	.end_amdhsa_kernel
	.section	.text._ZN7rocprim17ROCPRIM_400000_NS6detail17trampoline_kernelINS0_14default_configENS1_37merge_sort_block_sort_config_selectorIaNS0_10empty_typeEEEZNS1_21merge_sort_block_sortIS3_N6thrust23THRUST_200600_302600_NS6detail15normal_iteratorINS9_10device_ptrIaEEEESE_PS5_SF_14custom_greaterIaEEE10hipError_tT0_T1_T2_T3_mRjT4_P12ihipStream_tbNS1_7vsmem_tEEUlT_E_NS1_11comp_targetILNS1_3genE8ELNS1_11target_archE1030ELNS1_3gpuE2ELNS1_3repE0EEENS1_30default_config_static_selectorELNS0_4arch9wavefront6targetE1EEEvSK_,"axG",@progbits,_ZN7rocprim17ROCPRIM_400000_NS6detail17trampoline_kernelINS0_14default_configENS1_37merge_sort_block_sort_config_selectorIaNS0_10empty_typeEEEZNS1_21merge_sort_block_sortIS3_N6thrust23THRUST_200600_302600_NS6detail15normal_iteratorINS9_10device_ptrIaEEEESE_PS5_SF_14custom_greaterIaEEE10hipError_tT0_T1_T2_T3_mRjT4_P12ihipStream_tbNS1_7vsmem_tEEUlT_E_NS1_11comp_targetILNS1_3genE8ELNS1_11target_archE1030ELNS1_3gpuE2ELNS1_3repE0EEENS1_30default_config_static_selectorELNS0_4arch9wavefront6targetE1EEEvSK_,comdat
.Lfunc_end2784:
	.size	_ZN7rocprim17ROCPRIM_400000_NS6detail17trampoline_kernelINS0_14default_configENS1_37merge_sort_block_sort_config_selectorIaNS0_10empty_typeEEEZNS1_21merge_sort_block_sortIS3_N6thrust23THRUST_200600_302600_NS6detail15normal_iteratorINS9_10device_ptrIaEEEESE_PS5_SF_14custom_greaterIaEEE10hipError_tT0_T1_T2_T3_mRjT4_P12ihipStream_tbNS1_7vsmem_tEEUlT_E_NS1_11comp_targetILNS1_3genE8ELNS1_11target_archE1030ELNS1_3gpuE2ELNS1_3repE0EEENS1_30default_config_static_selectorELNS0_4arch9wavefront6targetE1EEEvSK_, .Lfunc_end2784-_ZN7rocprim17ROCPRIM_400000_NS6detail17trampoline_kernelINS0_14default_configENS1_37merge_sort_block_sort_config_selectorIaNS0_10empty_typeEEEZNS1_21merge_sort_block_sortIS3_N6thrust23THRUST_200600_302600_NS6detail15normal_iteratorINS9_10device_ptrIaEEEESE_PS5_SF_14custom_greaterIaEEE10hipError_tT0_T1_T2_T3_mRjT4_P12ihipStream_tbNS1_7vsmem_tEEUlT_E_NS1_11comp_targetILNS1_3genE8ELNS1_11target_archE1030ELNS1_3gpuE2ELNS1_3repE0EEENS1_30default_config_static_selectorELNS0_4arch9wavefront6targetE1EEEvSK_
                                        ; -- End function
	.section	.AMDGPU.csdata,"",@progbits
; Kernel info:
; codeLenInByte = 0
; NumSgprs: 4
; NumVgprs: 0
; NumAgprs: 0
; TotalNumVgprs: 0
; ScratchSize: 0
; MemoryBound: 0
; FloatMode: 240
; IeeeMode: 1
; LDSByteSize: 0 bytes/workgroup (compile time only)
; SGPRBlocks: 0
; VGPRBlocks: 0
; NumSGPRsForWavesPerEU: 4
; NumVGPRsForWavesPerEU: 1
; AccumOffset: 4
; Occupancy: 8
; WaveLimiterHint : 0
; COMPUTE_PGM_RSRC2:SCRATCH_EN: 0
; COMPUTE_PGM_RSRC2:USER_SGPR: 6
; COMPUTE_PGM_RSRC2:TRAP_HANDLER: 0
; COMPUTE_PGM_RSRC2:TGID_X_EN: 1
; COMPUTE_PGM_RSRC2:TGID_Y_EN: 0
; COMPUTE_PGM_RSRC2:TGID_Z_EN: 0
; COMPUTE_PGM_RSRC2:TIDIG_COMP_CNT: 0
; COMPUTE_PGM_RSRC3_GFX90A:ACCUM_OFFSET: 0
; COMPUTE_PGM_RSRC3_GFX90A:TG_SPLIT: 0
	.section	.text._ZN7rocprim17ROCPRIM_400000_NS6detail17trampoline_kernelINS0_14default_configENS1_38merge_sort_block_merge_config_selectorIaNS0_10empty_typeEEEZZNS1_27merge_sort_block_merge_implIS3_N6thrust23THRUST_200600_302600_NS6detail15normal_iteratorINS9_10device_ptrIaEEEEPS5_m14custom_greaterIaEEE10hipError_tT0_T1_T2_jT3_P12ihipStream_tbPNSt15iterator_traitsISJ_E10value_typeEPNSP_ISK_E10value_typeEPSL_NS1_7vsmem_tEENKUlT_SJ_SK_SL_E_clIPaSE_SF_SF_EESI_SY_SJ_SK_SL_EUlSY_E_NS1_11comp_targetILNS1_3genE0ELNS1_11target_archE4294967295ELNS1_3gpuE0ELNS1_3repE0EEENS1_48merge_mergepath_partition_config_static_selectorELNS0_4arch9wavefront6targetE1EEEvSK_,"axG",@progbits,_ZN7rocprim17ROCPRIM_400000_NS6detail17trampoline_kernelINS0_14default_configENS1_38merge_sort_block_merge_config_selectorIaNS0_10empty_typeEEEZZNS1_27merge_sort_block_merge_implIS3_N6thrust23THRUST_200600_302600_NS6detail15normal_iteratorINS9_10device_ptrIaEEEEPS5_m14custom_greaterIaEEE10hipError_tT0_T1_T2_jT3_P12ihipStream_tbPNSt15iterator_traitsISJ_E10value_typeEPNSP_ISK_E10value_typeEPSL_NS1_7vsmem_tEENKUlT_SJ_SK_SL_E_clIPaSE_SF_SF_EESI_SY_SJ_SK_SL_EUlSY_E_NS1_11comp_targetILNS1_3genE0ELNS1_11target_archE4294967295ELNS1_3gpuE0ELNS1_3repE0EEENS1_48merge_mergepath_partition_config_static_selectorELNS0_4arch9wavefront6targetE1EEEvSK_,comdat
	.protected	_ZN7rocprim17ROCPRIM_400000_NS6detail17trampoline_kernelINS0_14default_configENS1_38merge_sort_block_merge_config_selectorIaNS0_10empty_typeEEEZZNS1_27merge_sort_block_merge_implIS3_N6thrust23THRUST_200600_302600_NS6detail15normal_iteratorINS9_10device_ptrIaEEEEPS5_m14custom_greaterIaEEE10hipError_tT0_T1_T2_jT3_P12ihipStream_tbPNSt15iterator_traitsISJ_E10value_typeEPNSP_ISK_E10value_typeEPSL_NS1_7vsmem_tEENKUlT_SJ_SK_SL_E_clIPaSE_SF_SF_EESI_SY_SJ_SK_SL_EUlSY_E_NS1_11comp_targetILNS1_3genE0ELNS1_11target_archE4294967295ELNS1_3gpuE0ELNS1_3repE0EEENS1_48merge_mergepath_partition_config_static_selectorELNS0_4arch9wavefront6targetE1EEEvSK_ ; -- Begin function _ZN7rocprim17ROCPRIM_400000_NS6detail17trampoline_kernelINS0_14default_configENS1_38merge_sort_block_merge_config_selectorIaNS0_10empty_typeEEEZZNS1_27merge_sort_block_merge_implIS3_N6thrust23THRUST_200600_302600_NS6detail15normal_iteratorINS9_10device_ptrIaEEEEPS5_m14custom_greaterIaEEE10hipError_tT0_T1_T2_jT3_P12ihipStream_tbPNSt15iterator_traitsISJ_E10value_typeEPNSP_ISK_E10value_typeEPSL_NS1_7vsmem_tEENKUlT_SJ_SK_SL_E_clIPaSE_SF_SF_EESI_SY_SJ_SK_SL_EUlSY_E_NS1_11comp_targetILNS1_3genE0ELNS1_11target_archE4294967295ELNS1_3gpuE0ELNS1_3repE0EEENS1_48merge_mergepath_partition_config_static_selectorELNS0_4arch9wavefront6targetE1EEEvSK_
	.globl	_ZN7rocprim17ROCPRIM_400000_NS6detail17trampoline_kernelINS0_14default_configENS1_38merge_sort_block_merge_config_selectorIaNS0_10empty_typeEEEZZNS1_27merge_sort_block_merge_implIS3_N6thrust23THRUST_200600_302600_NS6detail15normal_iteratorINS9_10device_ptrIaEEEEPS5_m14custom_greaterIaEEE10hipError_tT0_T1_T2_jT3_P12ihipStream_tbPNSt15iterator_traitsISJ_E10value_typeEPNSP_ISK_E10value_typeEPSL_NS1_7vsmem_tEENKUlT_SJ_SK_SL_E_clIPaSE_SF_SF_EESI_SY_SJ_SK_SL_EUlSY_E_NS1_11comp_targetILNS1_3genE0ELNS1_11target_archE4294967295ELNS1_3gpuE0ELNS1_3repE0EEENS1_48merge_mergepath_partition_config_static_selectorELNS0_4arch9wavefront6targetE1EEEvSK_
	.p2align	8
	.type	_ZN7rocprim17ROCPRIM_400000_NS6detail17trampoline_kernelINS0_14default_configENS1_38merge_sort_block_merge_config_selectorIaNS0_10empty_typeEEEZZNS1_27merge_sort_block_merge_implIS3_N6thrust23THRUST_200600_302600_NS6detail15normal_iteratorINS9_10device_ptrIaEEEEPS5_m14custom_greaterIaEEE10hipError_tT0_T1_T2_jT3_P12ihipStream_tbPNSt15iterator_traitsISJ_E10value_typeEPNSP_ISK_E10value_typeEPSL_NS1_7vsmem_tEENKUlT_SJ_SK_SL_E_clIPaSE_SF_SF_EESI_SY_SJ_SK_SL_EUlSY_E_NS1_11comp_targetILNS1_3genE0ELNS1_11target_archE4294967295ELNS1_3gpuE0ELNS1_3repE0EEENS1_48merge_mergepath_partition_config_static_selectorELNS0_4arch9wavefront6targetE1EEEvSK_,@function
_ZN7rocprim17ROCPRIM_400000_NS6detail17trampoline_kernelINS0_14default_configENS1_38merge_sort_block_merge_config_selectorIaNS0_10empty_typeEEEZZNS1_27merge_sort_block_merge_implIS3_N6thrust23THRUST_200600_302600_NS6detail15normal_iteratorINS9_10device_ptrIaEEEEPS5_m14custom_greaterIaEEE10hipError_tT0_T1_T2_jT3_P12ihipStream_tbPNSt15iterator_traitsISJ_E10value_typeEPNSP_ISK_E10value_typeEPSL_NS1_7vsmem_tEENKUlT_SJ_SK_SL_E_clIPaSE_SF_SF_EESI_SY_SJ_SK_SL_EUlSY_E_NS1_11comp_targetILNS1_3genE0ELNS1_11target_archE4294967295ELNS1_3gpuE0ELNS1_3repE0EEENS1_48merge_mergepath_partition_config_static_selectorELNS0_4arch9wavefront6targetE1EEEvSK_: ; @_ZN7rocprim17ROCPRIM_400000_NS6detail17trampoline_kernelINS0_14default_configENS1_38merge_sort_block_merge_config_selectorIaNS0_10empty_typeEEEZZNS1_27merge_sort_block_merge_implIS3_N6thrust23THRUST_200600_302600_NS6detail15normal_iteratorINS9_10device_ptrIaEEEEPS5_m14custom_greaterIaEEE10hipError_tT0_T1_T2_jT3_P12ihipStream_tbPNSt15iterator_traitsISJ_E10value_typeEPNSP_ISK_E10value_typeEPSL_NS1_7vsmem_tEENKUlT_SJ_SK_SL_E_clIPaSE_SF_SF_EESI_SY_SJ_SK_SL_EUlSY_E_NS1_11comp_targetILNS1_3genE0ELNS1_11target_archE4294967295ELNS1_3gpuE0ELNS1_3repE0EEENS1_48merge_mergepath_partition_config_static_selectorELNS0_4arch9wavefront6targetE1EEEvSK_
; %bb.0:
	.section	.rodata,"a",@progbits
	.p2align	6, 0x0
	.amdhsa_kernel _ZN7rocprim17ROCPRIM_400000_NS6detail17trampoline_kernelINS0_14default_configENS1_38merge_sort_block_merge_config_selectorIaNS0_10empty_typeEEEZZNS1_27merge_sort_block_merge_implIS3_N6thrust23THRUST_200600_302600_NS6detail15normal_iteratorINS9_10device_ptrIaEEEEPS5_m14custom_greaterIaEEE10hipError_tT0_T1_T2_jT3_P12ihipStream_tbPNSt15iterator_traitsISJ_E10value_typeEPNSP_ISK_E10value_typeEPSL_NS1_7vsmem_tEENKUlT_SJ_SK_SL_E_clIPaSE_SF_SF_EESI_SY_SJ_SK_SL_EUlSY_E_NS1_11comp_targetILNS1_3genE0ELNS1_11target_archE4294967295ELNS1_3gpuE0ELNS1_3repE0EEENS1_48merge_mergepath_partition_config_static_selectorELNS0_4arch9wavefront6targetE1EEEvSK_
		.amdhsa_group_segment_fixed_size 0
		.amdhsa_private_segment_fixed_size 0
		.amdhsa_kernarg_size 48
		.amdhsa_user_sgpr_count 6
		.amdhsa_user_sgpr_private_segment_buffer 1
		.amdhsa_user_sgpr_dispatch_ptr 0
		.amdhsa_user_sgpr_queue_ptr 0
		.amdhsa_user_sgpr_kernarg_segment_ptr 1
		.amdhsa_user_sgpr_dispatch_id 0
		.amdhsa_user_sgpr_flat_scratch_init 0
		.amdhsa_user_sgpr_kernarg_preload_length 0
		.amdhsa_user_sgpr_kernarg_preload_offset 0
		.amdhsa_user_sgpr_private_segment_size 0
		.amdhsa_uses_dynamic_stack 0
		.amdhsa_system_sgpr_private_segment_wavefront_offset 0
		.amdhsa_system_sgpr_workgroup_id_x 1
		.amdhsa_system_sgpr_workgroup_id_y 0
		.amdhsa_system_sgpr_workgroup_id_z 0
		.amdhsa_system_sgpr_workgroup_info 0
		.amdhsa_system_vgpr_workitem_id 0
		.amdhsa_next_free_vgpr 1
		.amdhsa_next_free_sgpr 0
		.amdhsa_accum_offset 4
		.amdhsa_reserve_vcc 0
		.amdhsa_reserve_flat_scratch 0
		.amdhsa_float_round_mode_32 0
		.amdhsa_float_round_mode_16_64 0
		.amdhsa_float_denorm_mode_32 3
		.amdhsa_float_denorm_mode_16_64 3
		.amdhsa_dx10_clamp 1
		.amdhsa_ieee_mode 1
		.amdhsa_fp16_overflow 0
		.amdhsa_tg_split 0
		.amdhsa_exception_fp_ieee_invalid_op 0
		.amdhsa_exception_fp_denorm_src 0
		.amdhsa_exception_fp_ieee_div_zero 0
		.amdhsa_exception_fp_ieee_overflow 0
		.amdhsa_exception_fp_ieee_underflow 0
		.amdhsa_exception_fp_ieee_inexact 0
		.amdhsa_exception_int_div_zero 0
	.end_amdhsa_kernel
	.section	.text._ZN7rocprim17ROCPRIM_400000_NS6detail17trampoline_kernelINS0_14default_configENS1_38merge_sort_block_merge_config_selectorIaNS0_10empty_typeEEEZZNS1_27merge_sort_block_merge_implIS3_N6thrust23THRUST_200600_302600_NS6detail15normal_iteratorINS9_10device_ptrIaEEEEPS5_m14custom_greaterIaEEE10hipError_tT0_T1_T2_jT3_P12ihipStream_tbPNSt15iterator_traitsISJ_E10value_typeEPNSP_ISK_E10value_typeEPSL_NS1_7vsmem_tEENKUlT_SJ_SK_SL_E_clIPaSE_SF_SF_EESI_SY_SJ_SK_SL_EUlSY_E_NS1_11comp_targetILNS1_3genE0ELNS1_11target_archE4294967295ELNS1_3gpuE0ELNS1_3repE0EEENS1_48merge_mergepath_partition_config_static_selectorELNS0_4arch9wavefront6targetE1EEEvSK_,"axG",@progbits,_ZN7rocprim17ROCPRIM_400000_NS6detail17trampoline_kernelINS0_14default_configENS1_38merge_sort_block_merge_config_selectorIaNS0_10empty_typeEEEZZNS1_27merge_sort_block_merge_implIS3_N6thrust23THRUST_200600_302600_NS6detail15normal_iteratorINS9_10device_ptrIaEEEEPS5_m14custom_greaterIaEEE10hipError_tT0_T1_T2_jT3_P12ihipStream_tbPNSt15iterator_traitsISJ_E10value_typeEPNSP_ISK_E10value_typeEPSL_NS1_7vsmem_tEENKUlT_SJ_SK_SL_E_clIPaSE_SF_SF_EESI_SY_SJ_SK_SL_EUlSY_E_NS1_11comp_targetILNS1_3genE0ELNS1_11target_archE4294967295ELNS1_3gpuE0ELNS1_3repE0EEENS1_48merge_mergepath_partition_config_static_selectorELNS0_4arch9wavefront6targetE1EEEvSK_,comdat
.Lfunc_end2785:
	.size	_ZN7rocprim17ROCPRIM_400000_NS6detail17trampoline_kernelINS0_14default_configENS1_38merge_sort_block_merge_config_selectorIaNS0_10empty_typeEEEZZNS1_27merge_sort_block_merge_implIS3_N6thrust23THRUST_200600_302600_NS6detail15normal_iteratorINS9_10device_ptrIaEEEEPS5_m14custom_greaterIaEEE10hipError_tT0_T1_T2_jT3_P12ihipStream_tbPNSt15iterator_traitsISJ_E10value_typeEPNSP_ISK_E10value_typeEPSL_NS1_7vsmem_tEENKUlT_SJ_SK_SL_E_clIPaSE_SF_SF_EESI_SY_SJ_SK_SL_EUlSY_E_NS1_11comp_targetILNS1_3genE0ELNS1_11target_archE4294967295ELNS1_3gpuE0ELNS1_3repE0EEENS1_48merge_mergepath_partition_config_static_selectorELNS0_4arch9wavefront6targetE1EEEvSK_, .Lfunc_end2785-_ZN7rocprim17ROCPRIM_400000_NS6detail17trampoline_kernelINS0_14default_configENS1_38merge_sort_block_merge_config_selectorIaNS0_10empty_typeEEEZZNS1_27merge_sort_block_merge_implIS3_N6thrust23THRUST_200600_302600_NS6detail15normal_iteratorINS9_10device_ptrIaEEEEPS5_m14custom_greaterIaEEE10hipError_tT0_T1_T2_jT3_P12ihipStream_tbPNSt15iterator_traitsISJ_E10value_typeEPNSP_ISK_E10value_typeEPSL_NS1_7vsmem_tEENKUlT_SJ_SK_SL_E_clIPaSE_SF_SF_EESI_SY_SJ_SK_SL_EUlSY_E_NS1_11comp_targetILNS1_3genE0ELNS1_11target_archE4294967295ELNS1_3gpuE0ELNS1_3repE0EEENS1_48merge_mergepath_partition_config_static_selectorELNS0_4arch9wavefront6targetE1EEEvSK_
                                        ; -- End function
	.section	.AMDGPU.csdata,"",@progbits
; Kernel info:
; codeLenInByte = 0
; NumSgprs: 4
; NumVgprs: 0
; NumAgprs: 0
; TotalNumVgprs: 0
; ScratchSize: 0
; MemoryBound: 0
; FloatMode: 240
; IeeeMode: 1
; LDSByteSize: 0 bytes/workgroup (compile time only)
; SGPRBlocks: 0
; VGPRBlocks: 0
; NumSGPRsForWavesPerEU: 4
; NumVGPRsForWavesPerEU: 1
; AccumOffset: 4
; Occupancy: 8
; WaveLimiterHint : 0
; COMPUTE_PGM_RSRC2:SCRATCH_EN: 0
; COMPUTE_PGM_RSRC2:USER_SGPR: 6
; COMPUTE_PGM_RSRC2:TRAP_HANDLER: 0
; COMPUTE_PGM_RSRC2:TGID_X_EN: 1
; COMPUTE_PGM_RSRC2:TGID_Y_EN: 0
; COMPUTE_PGM_RSRC2:TGID_Z_EN: 0
; COMPUTE_PGM_RSRC2:TIDIG_COMP_CNT: 0
; COMPUTE_PGM_RSRC3_GFX90A:ACCUM_OFFSET: 0
; COMPUTE_PGM_RSRC3_GFX90A:TG_SPLIT: 0
	.section	.text._ZN7rocprim17ROCPRIM_400000_NS6detail17trampoline_kernelINS0_14default_configENS1_38merge_sort_block_merge_config_selectorIaNS0_10empty_typeEEEZZNS1_27merge_sort_block_merge_implIS3_N6thrust23THRUST_200600_302600_NS6detail15normal_iteratorINS9_10device_ptrIaEEEEPS5_m14custom_greaterIaEEE10hipError_tT0_T1_T2_jT3_P12ihipStream_tbPNSt15iterator_traitsISJ_E10value_typeEPNSP_ISK_E10value_typeEPSL_NS1_7vsmem_tEENKUlT_SJ_SK_SL_E_clIPaSE_SF_SF_EESI_SY_SJ_SK_SL_EUlSY_E_NS1_11comp_targetILNS1_3genE10ELNS1_11target_archE1201ELNS1_3gpuE5ELNS1_3repE0EEENS1_48merge_mergepath_partition_config_static_selectorELNS0_4arch9wavefront6targetE1EEEvSK_,"axG",@progbits,_ZN7rocprim17ROCPRIM_400000_NS6detail17trampoline_kernelINS0_14default_configENS1_38merge_sort_block_merge_config_selectorIaNS0_10empty_typeEEEZZNS1_27merge_sort_block_merge_implIS3_N6thrust23THRUST_200600_302600_NS6detail15normal_iteratorINS9_10device_ptrIaEEEEPS5_m14custom_greaterIaEEE10hipError_tT0_T1_T2_jT3_P12ihipStream_tbPNSt15iterator_traitsISJ_E10value_typeEPNSP_ISK_E10value_typeEPSL_NS1_7vsmem_tEENKUlT_SJ_SK_SL_E_clIPaSE_SF_SF_EESI_SY_SJ_SK_SL_EUlSY_E_NS1_11comp_targetILNS1_3genE10ELNS1_11target_archE1201ELNS1_3gpuE5ELNS1_3repE0EEENS1_48merge_mergepath_partition_config_static_selectorELNS0_4arch9wavefront6targetE1EEEvSK_,comdat
	.protected	_ZN7rocprim17ROCPRIM_400000_NS6detail17trampoline_kernelINS0_14default_configENS1_38merge_sort_block_merge_config_selectorIaNS0_10empty_typeEEEZZNS1_27merge_sort_block_merge_implIS3_N6thrust23THRUST_200600_302600_NS6detail15normal_iteratorINS9_10device_ptrIaEEEEPS5_m14custom_greaterIaEEE10hipError_tT0_T1_T2_jT3_P12ihipStream_tbPNSt15iterator_traitsISJ_E10value_typeEPNSP_ISK_E10value_typeEPSL_NS1_7vsmem_tEENKUlT_SJ_SK_SL_E_clIPaSE_SF_SF_EESI_SY_SJ_SK_SL_EUlSY_E_NS1_11comp_targetILNS1_3genE10ELNS1_11target_archE1201ELNS1_3gpuE5ELNS1_3repE0EEENS1_48merge_mergepath_partition_config_static_selectorELNS0_4arch9wavefront6targetE1EEEvSK_ ; -- Begin function _ZN7rocprim17ROCPRIM_400000_NS6detail17trampoline_kernelINS0_14default_configENS1_38merge_sort_block_merge_config_selectorIaNS0_10empty_typeEEEZZNS1_27merge_sort_block_merge_implIS3_N6thrust23THRUST_200600_302600_NS6detail15normal_iteratorINS9_10device_ptrIaEEEEPS5_m14custom_greaterIaEEE10hipError_tT0_T1_T2_jT3_P12ihipStream_tbPNSt15iterator_traitsISJ_E10value_typeEPNSP_ISK_E10value_typeEPSL_NS1_7vsmem_tEENKUlT_SJ_SK_SL_E_clIPaSE_SF_SF_EESI_SY_SJ_SK_SL_EUlSY_E_NS1_11comp_targetILNS1_3genE10ELNS1_11target_archE1201ELNS1_3gpuE5ELNS1_3repE0EEENS1_48merge_mergepath_partition_config_static_selectorELNS0_4arch9wavefront6targetE1EEEvSK_
	.globl	_ZN7rocprim17ROCPRIM_400000_NS6detail17trampoline_kernelINS0_14default_configENS1_38merge_sort_block_merge_config_selectorIaNS0_10empty_typeEEEZZNS1_27merge_sort_block_merge_implIS3_N6thrust23THRUST_200600_302600_NS6detail15normal_iteratorINS9_10device_ptrIaEEEEPS5_m14custom_greaterIaEEE10hipError_tT0_T1_T2_jT3_P12ihipStream_tbPNSt15iterator_traitsISJ_E10value_typeEPNSP_ISK_E10value_typeEPSL_NS1_7vsmem_tEENKUlT_SJ_SK_SL_E_clIPaSE_SF_SF_EESI_SY_SJ_SK_SL_EUlSY_E_NS1_11comp_targetILNS1_3genE10ELNS1_11target_archE1201ELNS1_3gpuE5ELNS1_3repE0EEENS1_48merge_mergepath_partition_config_static_selectorELNS0_4arch9wavefront6targetE1EEEvSK_
	.p2align	8
	.type	_ZN7rocprim17ROCPRIM_400000_NS6detail17trampoline_kernelINS0_14default_configENS1_38merge_sort_block_merge_config_selectorIaNS0_10empty_typeEEEZZNS1_27merge_sort_block_merge_implIS3_N6thrust23THRUST_200600_302600_NS6detail15normal_iteratorINS9_10device_ptrIaEEEEPS5_m14custom_greaterIaEEE10hipError_tT0_T1_T2_jT3_P12ihipStream_tbPNSt15iterator_traitsISJ_E10value_typeEPNSP_ISK_E10value_typeEPSL_NS1_7vsmem_tEENKUlT_SJ_SK_SL_E_clIPaSE_SF_SF_EESI_SY_SJ_SK_SL_EUlSY_E_NS1_11comp_targetILNS1_3genE10ELNS1_11target_archE1201ELNS1_3gpuE5ELNS1_3repE0EEENS1_48merge_mergepath_partition_config_static_selectorELNS0_4arch9wavefront6targetE1EEEvSK_,@function
_ZN7rocprim17ROCPRIM_400000_NS6detail17trampoline_kernelINS0_14default_configENS1_38merge_sort_block_merge_config_selectorIaNS0_10empty_typeEEEZZNS1_27merge_sort_block_merge_implIS3_N6thrust23THRUST_200600_302600_NS6detail15normal_iteratorINS9_10device_ptrIaEEEEPS5_m14custom_greaterIaEEE10hipError_tT0_T1_T2_jT3_P12ihipStream_tbPNSt15iterator_traitsISJ_E10value_typeEPNSP_ISK_E10value_typeEPSL_NS1_7vsmem_tEENKUlT_SJ_SK_SL_E_clIPaSE_SF_SF_EESI_SY_SJ_SK_SL_EUlSY_E_NS1_11comp_targetILNS1_3genE10ELNS1_11target_archE1201ELNS1_3gpuE5ELNS1_3repE0EEENS1_48merge_mergepath_partition_config_static_selectorELNS0_4arch9wavefront6targetE1EEEvSK_: ; @_ZN7rocprim17ROCPRIM_400000_NS6detail17trampoline_kernelINS0_14default_configENS1_38merge_sort_block_merge_config_selectorIaNS0_10empty_typeEEEZZNS1_27merge_sort_block_merge_implIS3_N6thrust23THRUST_200600_302600_NS6detail15normal_iteratorINS9_10device_ptrIaEEEEPS5_m14custom_greaterIaEEE10hipError_tT0_T1_T2_jT3_P12ihipStream_tbPNSt15iterator_traitsISJ_E10value_typeEPNSP_ISK_E10value_typeEPSL_NS1_7vsmem_tEENKUlT_SJ_SK_SL_E_clIPaSE_SF_SF_EESI_SY_SJ_SK_SL_EUlSY_E_NS1_11comp_targetILNS1_3genE10ELNS1_11target_archE1201ELNS1_3gpuE5ELNS1_3repE0EEENS1_48merge_mergepath_partition_config_static_selectorELNS0_4arch9wavefront6targetE1EEEvSK_
; %bb.0:
	.section	.rodata,"a",@progbits
	.p2align	6, 0x0
	.amdhsa_kernel _ZN7rocprim17ROCPRIM_400000_NS6detail17trampoline_kernelINS0_14default_configENS1_38merge_sort_block_merge_config_selectorIaNS0_10empty_typeEEEZZNS1_27merge_sort_block_merge_implIS3_N6thrust23THRUST_200600_302600_NS6detail15normal_iteratorINS9_10device_ptrIaEEEEPS5_m14custom_greaterIaEEE10hipError_tT0_T1_T2_jT3_P12ihipStream_tbPNSt15iterator_traitsISJ_E10value_typeEPNSP_ISK_E10value_typeEPSL_NS1_7vsmem_tEENKUlT_SJ_SK_SL_E_clIPaSE_SF_SF_EESI_SY_SJ_SK_SL_EUlSY_E_NS1_11comp_targetILNS1_3genE10ELNS1_11target_archE1201ELNS1_3gpuE5ELNS1_3repE0EEENS1_48merge_mergepath_partition_config_static_selectorELNS0_4arch9wavefront6targetE1EEEvSK_
		.amdhsa_group_segment_fixed_size 0
		.amdhsa_private_segment_fixed_size 0
		.amdhsa_kernarg_size 48
		.amdhsa_user_sgpr_count 6
		.amdhsa_user_sgpr_private_segment_buffer 1
		.amdhsa_user_sgpr_dispatch_ptr 0
		.amdhsa_user_sgpr_queue_ptr 0
		.amdhsa_user_sgpr_kernarg_segment_ptr 1
		.amdhsa_user_sgpr_dispatch_id 0
		.amdhsa_user_sgpr_flat_scratch_init 0
		.amdhsa_user_sgpr_kernarg_preload_length 0
		.amdhsa_user_sgpr_kernarg_preload_offset 0
		.amdhsa_user_sgpr_private_segment_size 0
		.amdhsa_uses_dynamic_stack 0
		.amdhsa_system_sgpr_private_segment_wavefront_offset 0
		.amdhsa_system_sgpr_workgroup_id_x 1
		.amdhsa_system_sgpr_workgroup_id_y 0
		.amdhsa_system_sgpr_workgroup_id_z 0
		.amdhsa_system_sgpr_workgroup_info 0
		.amdhsa_system_vgpr_workitem_id 0
		.amdhsa_next_free_vgpr 1
		.amdhsa_next_free_sgpr 0
		.amdhsa_accum_offset 4
		.amdhsa_reserve_vcc 0
		.amdhsa_reserve_flat_scratch 0
		.amdhsa_float_round_mode_32 0
		.amdhsa_float_round_mode_16_64 0
		.amdhsa_float_denorm_mode_32 3
		.amdhsa_float_denorm_mode_16_64 3
		.amdhsa_dx10_clamp 1
		.amdhsa_ieee_mode 1
		.amdhsa_fp16_overflow 0
		.amdhsa_tg_split 0
		.amdhsa_exception_fp_ieee_invalid_op 0
		.amdhsa_exception_fp_denorm_src 0
		.amdhsa_exception_fp_ieee_div_zero 0
		.amdhsa_exception_fp_ieee_overflow 0
		.amdhsa_exception_fp_ieee_underflow 0
		.amdhsa_exception_fp_ieee_inexact 0
		.amdhsa_exception_int_div_zero 0
	.end_amdhsa_kernel
	.section	.text._ZN7rocprim17ROCPRIM_400000_NS6detail17trampoline_kernelINS0_14default_configENS1_38merge_sort_block_merge_config_selectorIaNS0_10empty_typeEEEZZNS1_27merge_sort_block_merge_implIS3_N6thrust23THRUST_200600_302600_NS6detail15normal_iteratorINS9_10device_ptrIaEEEEPS5_m14custom_greaterIaEEE10hipError_tT0_T1_T2_jT3_P12ihipStream_tbPNSt15iterator_traitsISJ_E10value_typeEPNSP_ISK_E10value_typeEPSL_NS1_7vsmem_tEENKUlT_SJ_SK_SL_E_clIPaSE_SF_SF_EESI_SY_SJ_SK_SL_EUlSY_E_NS1_11comp_targetILNS1_3genE10ELNS1_11target_archE1201ELNS1_3gpuE5ELNS1_3repE0EEENS1_48merge_mergepath_partition_config_static_selectorELNS0_4arch9wavefront6targetE1EEEvSK_,"axG",@progbits,_ZN7rocprim17ROCPRIM_400000_NS6detail17trampoline_kernelINS0_14default_configENS1_38merge_sort_block_merge_config_selectorIaNS0_10empty_typeEEEZZNS1_27merge_sort_block_merge_implIS3_N6thrust23THRUST_200600_302600_NS6detail15normal_iteratorINS9_10device_ptrIaEEEEPS5_m14custom_greaterIaEEE10hipError_tT0_T1_T2_jT3_P12ihipStream_tbPNSt15iterator_traitsISJ_E10value_typeEPNSP_ISK_E10value_typeEPSL_NS1_7vsmem_tEENKUlT_SJ_SK_SL_E_clIPaSE_SF_SF_EESI_SY_SJ_SK_SL_EUlSY_E_NS1_11comp_targetILNS1_3genE10ELNS1_11target_archE1201ELNS1_3gpuE5ELNS1_3repE0EEENS1_48merge_mergepath_partition_config_static_selectorELNS0_4arch9wavefront6targetE1EEEvSK_,comdat
.Lfunc_end2786:
	.size	_ZN7rocprim17ROCPRIM_400000_NS6detail17trampoline_kernelINS0_14default_configENS1_38merge_sort_block_merge_config_selectorIaNS0_10empty_typeEEEZZNS1_27merge_sort_block_merge_implIS3_N6thrust23THRUST_200600_302600_NS6detail15normal_iteratorINS9_10device_ptrIaEEEEPS5_m14custom_greaterIaEEE10hipError_tT0_T1_T2_jT3_P12ihipStream_tbPNSt15iterator_traitsISJ_E10value_typeEPNSP_ISK_E10value_typeEPSL_NS1_7vsmem_tEENKUlT_SJ_SK_SL_E_clIPaSE_SF_SF_EESI_SY_SJ_SK_SL_EUlSY_E_NS1_11comp_targetILNS1_3genE10ELNS1_11target_archE1201ELNS1_3gpuE5ELNS1_3repE0EEENS1_48merge_mergepath_partition_config_static_selectorELNS0_4arch9wavefront6targetE1EEEvSK_, .Lfunc_end2786-_ZN7rocprim17ROCPRIM_400000_NS6detail17trampoline_kernelINS0_14default_configENS1_38merge_sort_block_merge_config_selectorIaNS0_10empty_typeEEEZZNS1_27merge_sort_block_merge_implIS3_N6thrust23THRUST_200600_302600_NS6detail15normal_iteratorINS9_10device_ptrIaEEEEPS5_m14custom_greaterIaEEE10hipError_tT0_T1_T2_jT3_P12ihipStream_tbPNSt15iterator_traitsISJ_E10value_typeEPNSP_ISK_E10value_typeEPSL_NS1_7vsmem_tEENKUlT_SJ_SK_SL_E_clIPaSE_SF_SF_EESI_SY_SJ_SK_SL_EUlSY_E_NS1_11comp_targetILNS1_3genE10ELNS1_11target_archE1201ELNS1_3gpuE5ELNS1_3repE0EEENS1_48merge_mergepath_partition_config_static_selectorELNS0_4arch9wavefront6targetE1EEEvSK_
                                        ; -- End function
	.section	.AMDGPU.csdata,"",@progbits
; Kernel info:
; codeLenInByte = 0
; NumSgprs: 4
; NumVgprs: 0
; NumAgprs: 0
; TotalNumVgprs: 0
; ScratchSize: 0
; MemoryBound: 0
; FloatMode: 240
; IeeeMode: 1
; LDSByteSize: 0 bytes/workgroup (compile time only)
; SGPRBlocks: 0
; VGPRBlocks: 0
; NumSGPRsForWavesPerEU: 4
; NumVGPRsForWavesPerEU: 1
; AccumOffset: 4
; Occupancy: 8
; WaveLimiterHint : 0
; COMPUTE_PGM_RSRC2:SCRATCH_EN: 0
; COMPUTE_PGM_RSRC2:USER_SGPR: 6
; COMPUTE_PGM_RSRC2:TRAP_HANDLER: 0
; COMPUTE_PGM_RSRC2:TGID_X_EN: 1
; COMPUTE_PGM_RSRC2:TGID_Y_EN: 0
; COMPUTE_PGM_RSRC2:TGID_Z_EN: 0
; COMPUTE_PGM_RSRC2:TIDIG_COMP_CNT: 0
; COMPUTE_PGM_RSRC3_GFX90A:ACCUM_OFFSET: 0
; COMPUTE_PGM_RSRC3_GFX90A:TG_SPLIT: 0
	.section	.text._ZN7rocprim17ROCPRIM_400000_NS6detail17trampoline_kernelINS0_14default_configENS1_38merge_sort_block_merge_config_selectorIaNS0_10empty_typeEEEZZNS1_27merge_sort_block_merge_implIS3_N6thrust23THRUST_200600_302600_NS6detail15normal_iteratorINS9_10device_ptrIaEEEEPS5_m14custom_greaterIaEEE10hipError_tT0_T1_T2_jT3_P12ihipStream_tbPNSt15iterator_traitsISJ_E10value_typeEPNSP_ISK_E10value_typeEPSL_NS1_7vsmem_tEENKUlT_SJ_SK_SL_E_clIPaSE_SF_SF_EESI_SY_SJ_SK_SL_EUlSY_E_NS1_11comp_targetILNS1_3genE5ELNS1_11target_archE942ELNS1_3gpuE9ELNS1_3repE0EEENS1_48merge_mergepath_partition_config_static_selectorELNS0_4arch9wavefront6targetE1EEEvSK_,"axG",@progbits,_ZN7rocprim17ROCPRIM_400000_NS6detail17trampoline_kernelINS0_14default_configENS1_38merge_sort_block_merge_config_selectorIaNS0_10empty_typeEEEZZNS1_27merge_sort_block_merge_implIS3_N6thrust23THRUST_200600_302600_NS6detail15normal_iteratorINS9_10device_ptrIaEEEEPS5_m14custom_greaterIaEEE10hipError_tT0_T1_T2_jT3_P12ihipStream_tbPNSt15iterator_traitsISJ_E10value_typeEPNSP_ISK_E10value_typeEPSL_NS1_7vsmem_tEENKUlT_SJ_SK_SL_E_clIPaSE_SF_SF_EESI_SY_SJ_SK_SL_EUlSY_E_NS1_11comp_targetILNS1_3genE5ELNS1_11target_archE942ELNS1_3gpuE9ELNS1_3repE0EEENS1_48merge_mergepath_partition_config_static_selectorELNS0_4arch9wavefront6targetE1EEEvSK_,comdat
	.protected	_ZN7rocprim17ROCPRIM_400000_NS6detail17trampoline_kernelINS0_14default_configENS1_38merge_sort_block_merge_config_selectorIaNS0_10empty_typeEEEZZNS1_27merge_sort_block_merge_implIS3_N6thrust23THRUST_200600_302600_NS6detail15normal_iteratorINS9_10device_ptrIaEEEEPS5_m14custom_greaterIaEEE10hipError_tT0_T1_T2_jT3_P12ihipStream_tbPNSt15iterator_traitsISJ_E10value_typeEPNSP_ISK_E10value_typeEPSL_NS1_7vsmem_tEENKUlT_SJ_SK_SL_E_clIPaSE_SF_SF_EESI_SY_SJ_SK_SL_EUlSY_E_NS1_11comp_targetILNS1_3genE5ELNS1_11target_archE942ELNS1_3gpuE9ELNS1_3repE0EEENS1_48merge_mergepath_partition_config_static_selectorELNS0_4arch9wavefront6targetE1EEEvSK_ ; -- Begin function _ZN7rocprim17ROCPRIM_400000_NS6detail17trampoline_kernelINS0_14default_configENS1_38merge_sort_block_merge_config_selectorIaNS0_10empty_typeEEEZZNS1_27merge_sort_block_merge_implIS3_N6thrust23THRUST_200600_302600_NS6detail15normal_iteratorINS9_10device_ptrIaEEEEPS5_m14custom_greaterIaEEE10hipError_tT0_T1_T2_jT3_P12ihipStream_tbPNSt15iterator_traitsISJ_E10value_typeEPNSP_ISK_E10value_typeEPSL_NS1_7vsmem_tEENKUlT_SJ_SK_SL_E_clIPaSE_SF_SF_EESI_SY_SJ_SK_SL_EUlSY_E_NS1_11comp_targetILNS1_3genE5ELNS1_11target_archE942ELNS1_3gpuE9ELNS1_3repE0EEENS1_48merge_mergepath_partition_config_static_selectorELNS0_4arch9wavefront6targetE1EEEvSK_
	.globl	_ZN7rocprim17ROCPRIM_400000_NS6detail17trampoline_kernelINS0_14default_configENS1_38merge_sort_block_merge_config_selectorIaNS0_10empty_typeEEEZZNS1_27merge_sort_block_merge_implIS3_N6thrust23THRUST_200600_302600_NS6detail15normal_iteratorINS9_10device_ptrIaEEEEPS5_m14custom_greaterIaEEE10hipError_tT0_T1_T2_jT3_P12ihipStream_tbPNSt15iterator_traitsISJ_E10value_typeEPNSP_ISK_E10value_typeEPSL_NS1_7vsmem_tEENKUlT_SJ_SK_SL_E_clIPaSE_SF_SF_EESI_SY_SJ_SK_SL_EUlSY_E_NS1_11comp_targetILNS1_3genE5ELNS1_11target_archE942ELNS1_3gpuE9ELNS1_3repE0EEENS1_48merge_mergepath_partition_config_static_selectorELNS0_4arch9wavefront6targetE1EEEvSK_
	.p2align	8
	.type	_ZN7rocprim17ROCPRIM_400000_NS6detail17trampoline_kernelINS0_14default_configENS1_38merge_sort_block_merge_config_selectorIaNS0_10empty_typeEEEZZNS1_27merge_sort_block_merge_implIS3_N6thrust23THRUST_200600_302600_NS6detail15normal_iteratorINS9_10device_ptrIaEEEEPS5_m14custom_greaterIaEEE10hipError_tT0_T1_T2_jT3_P12ihipStream_tbPNSt15iterator_traitsISJ_E10value_typeEPNSP_ISK_E10value_typeEPSL_NS1_7vsmem_tEENKUlT_SJ_SK_SL_E_clIPaSE_SF_SF_EESI_SY_SJ_SK_SL_EUlSY_E_NS1_11comp_targetILNS1_3genE5ELNS1_11target_archE942ELNS1_3gpuE9ELNS1_3repE0EEENS1_48merge_mergepath_partition_config_static_selectorELNS0_4arch9wavefront6targetE1EEEvSK_,@function
_ZN7rocprim17ROCPRIM_400000_NS6detail17trampoline_kernelINS0_14default_configENS1_38merge_sort_block_merge_config_selectorIaNS0_10empty_typeEEEZZNS1_27merge_sort_block_merge_implIS3_N6thrust23THRUST_200600_302600_NS6detail15normal_iteratorINS9_10device_ptrIaEEEEPS5_m14custom_greaterIaEEE10hipError_tT0_T1_T2_jT3_P12ihipStream_tbPNSt15iterator_traitsISJ_E10value_typeEPNSP_ISK_E10value_typeEPSL_NS1_7vsmem_tEENKUlT_SJ_SK_SL_E_clIPaSE_SF_SF_EESI_SY_SJ_SK_SL_EUlSY_E_NS1_11comp_targetILNS1_3genE5ELNS1_11target_archE942ELNS1_3gpuE9ELNS1_3repE0EEENS1_48merge_mergepath_partition_config_static_selectorELNS0_4arch9wavefront6targetE1EEEvSK_: ; @_ZN7rocprim17ROCPRIM_400000_NS6detail17trampoline_kernelINS0_14default_configENS1_38merge_sort_block_merge_config_selectorIaNS0_10empty_typeEEEZZNS1_27merge_sort_block_merge_implIS3_N6thrust23THRUST_200600_302600_NS6detail15normal_iteratorINS9_10device_ptrIaEEEEPS5_m14custom_greaterIaEEE10hipError_tT0_T1_T2_jT3_P12ihipStream_tbPNSt15iterator_traitsISJ_E10value_typeEPNSP_ISK_E10value_typeEPSL_NS1_7vsmem_tEENKUlT_SJ_SK_SL_E_clIPaSE_SF_SF_EESI_SY_SJ_SK_SL_EUlSY_E_NS1_11comp_targetILNS1_3genE5ELNS1_11target_archE942ELNS1_3gpuE9ELNS1_3repE0EEENS1_48merge_mergepath_partition_config_static_selectorELNS0_4arch9wavefront6targetE1EEEvSK_
; %bb.0:
	.section	.rodata,"a",@progbits
	.p2align	6, 0x0
	.amdhsa_kernel _ZN7rocprim17ROCPRIM_400000_NS6detail17trampoline_kernelINS0_14default_configENS1_38merge_sort_block_merge_config_selectorIaNS0_10empty_typeEEEZZNS1_27merge_sort_block_merge_implIS3_N6thrust23THRUST_200600_302600_NS6detail15normal_iteratorINS9_10device_ptrIaEEEEPS5_m14custom_greaterIaEEE10hipError_tT0_T1_T2_jT3_P12ihipStream_tbPNSt15iterator_traitsISJ_E10value_typeEPNSP_ISK_E10value_typeEPSL_NS1_7vsmem_tEENKUlT_SJ_SK_SL_E_clIPaSE_SF_SF_EESI_SY_SJ_SK_SL_EUlSY_E_NS1_11comp_targetILNS1_3genE5ELNS1_11target_archE942ELNS1_3gpuE9ELNS1_3repE0EEENS1_48merge_mergepath_partition_config_static_selectorELNS0_4arch9wavefront6targetE1EEEvSK_
		.amdhsa_group_segment_fixed_size 0
		.amdhsa_private_segment_fixed_size 0
		.amdhsa_kernarg_size 48
		.amdhsa_user_sgpr_count 6
		.amdhsa_user_sgpr_private_segment_buffer 1
		.amdhsa_user_sgpr_dispatch_ptr 0
		.amdhsa_user_sgpr_queue_ptr 0
		.amdhsa_user_sgpr_kernarg_segment_ptr 1
		.amdhsa_user_sgpr_dispatch_id 0
		.amdhsa_user_sgpr_flat_scratch_init 0
		.amdhsa_user_sgpr_kernarg_preload_length 0
		.amdhsa_user_sgpr_kernarg_preload_offset 0
		.amdhsa_user_sgpr_private_segment_size 0
		.amdhsa_uses_dynamic_stack 0
		.amdhsa_system_sgpr_private_segment_wavefront_offset 0
		.amdhsa_system_sgpr_workgroup_id_x 1
		.amdhsa_system_sgpr_workgroup_id_y 0
		.amdhsa_system_sgpr_workgroup_id_z 0
		.amdhsa_system_sgpr_workgroup_info 0
		.amdhsa_system_vgpr_workitem_id 0
		.amdhsa_next_free_vgpr 1
		.amdhsa_next_free_sgpr 0
		.amdhsa_accum_offset 4
		.amdhsa_reserve_vcc 0
		.amdhsa_reserve_flat_scratch 0
		.amdhsa_float_round_mode_32 0
		.amdhsa_float_round_mode_16_64 0
		.amdhsa_float_denorm_mode_32 3
		.amdhsa_float_denorm_mode_16_64 3
		.amdhsa_dx10_clamp 1
		.amdhsa_ieee_mode 1
		.amdhsa_fp16_overflow 0
		.amdhsa_tg_split 0
		.amdhsa_exception_fp_ieee_invalid_op 0
		.amdhsa_exception_fp_denorm_src 0
		.amdhsa_exception_fp_ieee_div_zero 0
		.amdhsa_exception_fp_ieee_overflow 0
		.amdhsa_exception_fp_ieee_underflow 0
		.amdhsa_exception_fp_ieee_inexact 0
		.amdhsa_exception_int_div_zero 0
	.end_amdhsa_kernel
	.section	.text._ZN7rocprim17ROCPRIM_400000_NS6detail17trampoline_kernelINS0_14default_configENS1_38merge_sort_block_merge_config_selectorIaNS0_10empty_typeEEEZZNS1_27merge_sort_block_merge_implIS3_N6thrust23THRUST_200600_302600_NS6detail15normal_iteratorINS9_10device_ptrIaEEEEPS5_m14custom_greaterIaEEE10hipError_tT0_T1_T2_jT3_P12ihipStream_tbPNSt15iterator_traitsISJ_E10value_typeEPNSP_ISK_E10value_typeEPSL_NS1_7vsmem_tEENKUlT_SJ_SK_SL_E_clIPaSE_SF_SF_EESI_SY_SJ_SK_SL_EUlSY_E_NS1_11comp_targetILNS1_3genE5ELNS1_11target_archE942ELNS1_3gpuE9ELNS1_3repE0EEENS1_48merge_mergepath_partition_config_static_selectorELNS0_4arch9wavefront6targetE1EEEvSK_,"axG",@progbits,_ZN7rocprim17ROCPRIM_400000_NS6detail17trampoline_kernelINS0_14default_configENS1_38merge_sort_block_merge_config_selectorIaNS0_10empty_typeEEEZZNS1_27merge_sort_block_merge_implIS3_N6thrust23THRUST_200600_302600_NS6detail15normal_iteratorINS9_10device_ptrIaEEEEPS5_m14custom_greaterIaEEE10hipError_tT0_T1_T2_jT3_P12ihipStream_tbPNSt15iterator_traitsISJ_E10value_typeEPNSP_ISK_E10value_typeEPSL_NS1_7vsmem_tEENKUlT_SJ_SK_SL_E_clIPaSE_SF_SF_EESI_SY_SJ_SK_SL_EUlSY_E_NS1_11comp_targetILNS1_3genE5ELNS1_11target_archE942ELNS1_3gpuE9ELNS1_3repE0EEENS1_48merge_mergepath_partition_config_static_selectorELNS0_4arch9wavefront6targetE1EEEvSK_,comdat
.Lfunc_end2787:
	.size	_ZN7rocprim17ROCPRIM_400000_NS6detail17trampoline_kernelINS0_14default_configENS1_38merge_sort_block_merge_config_selectorIaNS0_10empty_typeEEEZZNS1_27merge_sort_block_merge_implIS3_N6thrust23THRUST_200600_302600_NS6detail15normal_iteratorINS9_10device_ptrIaEEEEPS5_m14custom_greaterIaEEE10hipError_tT0_T1_T2_jT3_P12ihipStream_tbPNSt15iterator_traitsISJ_E10value_typeEPNSP_ISK_E10value_typeEPSL_NS1_7vsmem_tEENKUlT_SJ_SK_SL_E_clIPaSE_SF_SF_EESI_SY_SJ_SK_SL_EUlSY_E_NS1_11comp_targetILNS1_3genE5ELNS1_11target_archE942ELNS1_3gpuE9ELNS1_3repE0EEENS1_48merge_mergepath_partition_config_static_selectorELNS0_4arch9wavefront6targetE1EEEvSK_, .Lfunc_end2787-_ZN7rocprim17ROCPRIM_400000_NS6detail17trampoline_kernelINS0_14default_configENS1_38merge_sort_block_merge_config_selectorIaNS0_10empty_typeEEEZZNS1_27merge_sort_block_merge_implIS3_N6thrust23THRUST_200600_302600_NS6detail15normal_iteratorINS9_10device_ptrIaEEEEPS5_m14custom_greaterIaEEE10hipError_tT0_T1_T2_jT3_P12ihipStream_tbPNSt15iterator_traitsISJ_E10value_typeEPNSP_ISK_E10value_typeEPSL_NS1_7vsmem_tEENKUlT_SJ_SK_SL_E_clIPaSE_SF_SF_EESI_SY_SJ_SK_SL_EUlSY_E_NS1_11comp_targetILNS1_3genE5ELNS1_11target_archE942ELNS1_3gpuE9ELNS1_3repE0EEENS1_48merge_mergepath_partition_config_static_selectorELNS0_4arch9wavefront6targetE1EEEvSK_
                                        ; -- End function
	.section	.AMDGPU.csdata,"",@progbits
; Kernel info:
; codeLenInByte = 0
; NumSgprs: 4
; NumVgprs: 0
; NumAgprs: 0
; TotalNumVgprs: 0
; ScratchSize: 0
; MemoryBound: 0
; FloatMode: 240
; IeeeMode: 1
; LDSByteSize: 0 bytes/workgroup (compile time only)
; SGPRBlocks: 0
; VGPRBlocks: 0
; NumSGPRsForWavesPerEU: 4
; NumVGPRsForWavesPerEU: 1
; AccumOffset: 4
; Occupancy: 8
; WaveLimiterHint : 0
; COMPUTE_PGM_RSRC2:SCRATCH_EN: 0
; COMPUTE_PGM_RSRC2:USER_SGPR: 6
; COMPUTE_PGM_RSRC2:TRAP_HANDLER: 0
; COMPUTE_PGM_RSRC2:TGID_X_EN: 1
; COMPUTE_PGM_RSRC2:TGID_Y_EN: 0
; COMPUTE_PGM_RSRC2:TGID_Z_EN: 0
; COMPUTE_PGM_RSRC2:TIDIG_COMP_CNT: 0
; COMPUTE_PGM_RSRC3_GFX90A:ACCUM_OFFSET: 0
; COMPUTE_PGM_RSRC3_GFX90A:TG_SPLIT: 0
	.section	.text._ZN7rocprim17ROCPRIM_400000_NS6detail17trampoline_kernelINS0_14default_configENS1_38merge_sort_block_merge_config_selectorIaNS0_10empty_typeEEEZZNS1_27merge_sort_block_merge_implIS3_N6thrust23THRUST_200600_302600_NS6detail15normal_iteratorINS9_10device_ptrIaEEEEPS5_m14custom_greaterIaEEE10hipError_tT0_T1_T2_jT3_P12ihipStream_tbPNSt15iterator_traitsISJ_E10value_typeEPNSP_ISK_E10value_typeEPSL_NS1_7vsmem_tEENKUlT_SJ_SK_SL_E_clIPaSE_SF_SF_EESI_SY_SJ_SK_SL_EUlSY_E_NS1_11comp_targetILNS1_3genE4ELNS1_11target_archE910ELNS1_3gpuE8ELNS1_3repE0EEENS1_48merge_mergepath_partition_config_static_selectorELNS0_4arch9wavefront6targetE1EEEvSK_,"axG",@progbits,_ZN7rocprim17ROCPRIM_400000_NS6detail17trampoline_kernelINS0_14default_configENS1_38merge_sort_block_merge_config_selectorIaNS0_10empty_typeEEEZZNS1_27merge_sort_block_merge_implIS3_N6thrust23THRUST_200600_302600_NS6detail15normal_iteratorINS9_10device_ptrIaEEEEPS5_m14custom_greaterIaEEE10hipError_tT0_T1_T2_jT3_P12ihipStream_tbPNSt15iterator_traitsISJ_E10value_typeEPNSP_ISK_E10value_typeEPSL_NS1_7vsmem_tEENKUlT_SJ_SK_SL_E_clIPaSE_SF_SF_EESI_SY_SJ_SK_SL_EUlSY_E_NS1_11comp_targetILNS1_3genE4ELNS1_11target_archE910ELNS1_3gpuE8ELNS1_3repE0EEENS1_48merge_mergepath_partition_config_static_selectorELNS0_4arch9wavefront6targetE1EEEvSK_,comdat
	.protected	_ZN7rocprim17ROCPRIM_400000_NS6detail17trampoline_kernelINS0_14default_configENS1_38merge_sort_block_merge_config_selectorIaNS0_10empty_typeEEEZZNS1_27merge_sort_block_merge_implIS3_N6thrust23THRUST_200600_302600_NS6detail15normal_iteratorINS9_10device_ptrIaEEEEPS5_m14custom_greaterIaEEE10hipError_tT0_T1_T2_jT3_P12ihipStream_tbPNSt15iterator_traitsISJ_E10value_typeEPNSP_ISK_E10value_typeEPSL_NS1_7vsmem_tEENKUlT_SJ_SK_SL_E_clIPaSE_SF_SF_EESI_SY_SJ_SK_SL_EUlSY_E_NS1_11comp_targetILNS1_3genE4ELNS1_11target_archE910ELNS1_3gpuE8ELNS1_3repE0EEENS1_48merge_mergepath_partition_config_static_selectorELNS0_4arch9wavefront6targetE1EEEvSK_ ; -- Begin function _ZN7rocprim17ROCPRIM_400000_NS6detail17trampoline_kernelINS0_14default_configENS1_38merge_sort_block_merge_config_selectorIaNS0_10empty_typeEEEZZNS1_27merge_sort_block_merge_implIS3_N6thrust23THRUST_200600_302600_NS6detail15normal_iteratorINS9_10device_ptrIaEEEEPS5_m14custom_greaterIaEEE10hipError_tT0_T1_T2_jT3_P12ihipStream_tbPNSt15iterator_traitsISJ_E10value_typeEPNSP_ISK_E10value_typeEPSL_NS1_7vsmem_tEENKUlT_SJ_SK_SL_E_clIPaSE_SF_SF_EESI_SY_SJ_SK_SL_EUlSY_E_NS1_11comp_targetILNS1_3genE4ELNS1_11target_archE910ELNS1_3gpuE8ELNS1_3repE0EEENS1_48merge_mergepath_partition_config_static_selectorELNS0_4arch9wavefront6targetE1EEEvSK_
	.globl	_ZN7rocprim17ROCPRIM_400000_NS6detail17trampoline_kernelINS0_14default_configENS1_38merge_sort_block_merge_config_selectorIaNS0_10empty_typeEEEZZNS1_27merge_sort_block_merge_implIS3_N6thrust23THRUST_200600_302600_NS6detail15normal_iteratorINS9_10device_ptrIaEEEEPS5_m14custom_greaterIaEEE10hipError_tT0_T1_T2_jT3_P12ihipStream_tbPNSt15iterator_traitsISJ_E10value_typeEPNSP_ISK_E10value_typeEPSL_NS1_7vsmem_tEENKUlT_SJ_SK_SL_E_clIPaSE_SF_SF_EESI_SY_SJ_SK_SL_EUlSY_E_NS1_11comp_targetILNS1_3genE4ELNS1_11target_archE910ELNS1_3gpuE8ELNS1_3repE0EEENS1_48merge_mergepath_partition_config_static_selectorELNS0_4arch9wavefront6targetE1EEEvSK_
	.p2align	8
	.type	_ZN7rocprim17ROCPRIM_400000_NS6detail17trampoline_kernelINS0_14default_configENS1_38merge_sort_block_merge_config_selectorIaNS0_10empty_typeEEEZZNS1_27merge_sort_block_merge_implIS3_N6thrust23THRUST_200600_302600_NS6detail15normal_iteratorINS9_10device_ptrIaEEEEPS5_m14custom_greaterIaEEE10hipError_tT0_T1_T2_jT3_P12ihipStream_tbPNSt15iterator_traitsISJ_E10value_typeEPNSP_ISK_E10value_typeEPSL_NS1_7vsmem_tEENKUlT_SJ_SK_SL_E_clIPaSE_SF_SF_EESI_SY_SJ_SK_SL_EUlSY_E_NS1_11comp_targetILNS1_3genE4ELNS1_11target_archE910ELNS1_3gpuE8ELNS1_3repE0EEENS1_48merge_mergepath_partition_config_static_selectorELNS0_4arch9wavefront6targetE1EEEvSK_,@function
_ZN7rocprim17ROCPRIM_400000_NS6detail17trampoline_kernelINS0_14default_configENS1_38merge_sort_block_merge_config_selectorIaNS0_10empty_typeEEEZZNS1_27merge_sort_block_merge_implIS3_N6thrust23THRUST_200600_302600_NS6detail15normal_iteratorINS9_10device_ptrIaEEEEPS5_m14custom_greaterIaEEE10hipError_tT0_T1_T2_jT3_P12ihipStream_tbPNSt15iterator_traitsISJ_E10value_typeEPNSP_ISK_E10value_typeEPSL_NS1_7vsmem_tEENKUlT_SJ_SK_SL_E_clIPaSE_SF_SF_EESI_SY_SJ_SK_SL_EUlSY_E_NS1_11comp_targetILNS1_3genE4ELNS1_11target_archE910ELNS1_3gpuE8ELNS1_3repE0EEENS1_48merge_mergepath_partition_config_static_selectorELNS0_4arch9wavefront6targetE1EEEvSK_: ; @_ZN7rocprim17ROCPRIM_400000_NS6detail17trampoline_kernelINS0_14default_configENS1_38merge_sort_block_merge_config_selectorIaNS0_10empty_typeEEEZZNS1_27merge_sort_block_merge_implIS3_N6thrust23THRUST_200600_302600_NS6detail15normal_iteratorINS9_10device_ptrIaEEEEPS5_m14custom_greaterIaEEE10hipError_tT0_T1_T2_jT3_P12ihipStream_tbPNSt15iterator_traitsISJ_E10value_typeEPNSP_ISK_E10value_typeEPSL_NS1_7vsmem_tEENKUlT_SJ_SK_SL_E_clIPaSE_SF_SF_EESI_SY_SJ_SK_SL_EUlSY_E_NS1_11comp_targetILNS1_3genE4ELNS1_11target_archE910ELNS1_3gpuE8ELNS1_3repE0EEENS1_48merge_mergepath_partition_config_static_selectorELNS0_4arch9wavefront6targetE1EEEvSK_
; %bb.0:
	s_load_dword s0, s[4:5], 0x0
	v_lshl_or_b32 v0, s6, 7, v0
	s_waitcnt lgkmcnt(0)
	v_cmp_gt_u32_e32 vcc, s0, v0
	s_and_saveexec_b64 s[0:1], vcc
	s_cbranch_execz .LBB2788_6
; %bb.1:
	s_load_dwordx4 s[0:3], s[4:5], 0x8
	s_load_dwordx2 s[6:7], s[4:5], 0x28
	v_mov_b32_e32 v5, 0
	s_waitcnt lgkmcnt(0)
	v_mov_b32_e32 v1, s0
	v_alignbit_b32 v1, s1, v1, 9
	v_and_b32_e32 v1, -2, v1
	v_add_u32_e32 v2, -1, v1
	v_sub_u32_e32 v1, 0, v1
	v_and_b32_e32 v4, v0, v1
	v_lshlrev_b64 v[8:9], 10, v[4:5]
	v_mov_b32_e32 v4, s3
	v_cmp_lt_u64_e32 vcc, s[2:3], v[8:9]
	v_mov_b32_e32 v7, s2
	v_and_b32_e32 v6, v2, v0
	v_cndmask_b32_e32 v1, v9, v4, vcc
	v_cndmask_b32_e32 v2, v8, v7, vcc
	v_mov_b32_e32 v3, s1
	v_add_co_u32_e32 v8, vcc, s0, v8
	v_addc_co_u32_e32 v9, vcc, v9, v3, vcc
	v_cmp_lt_u64_e32 vcc, s[2:3], v[8:9]
	v_cndmask_b32_e32 v8, v8, v7, vcc
	v_cndmask_b32_e32 v3, v9, v4, vcc
	v_mov_b32_e32 v9, s1
	v_add_co_u32_e32 v10, vcc, s0, v8
	v_addc_co_u32_e32 v11, vcc, v3, v9, vcc
	v_cmp_lt_u64_e32 vcc, s[2:3], v[10:11]
	v_cndmask_b32_e32 v12, v10, v7, vcc
	v_cndmask_b32_e32 v9, v11, v4, vcc
	v_sub_co_u32_e32 v10, vcc, v12, v2
	v_mov_b32_e32 v7, v5
	v_subb_co_u32_e32 v11, vcc, v9, v1, vcc
	v_lshlrev_b64 v[4:5], 10, v[6:7]
	v_cmp_lt_u64_e32 vcc, v[10:11], v[4:5]
	v_cndmask_b32_e32 v11, v5, v11, vcc
	v_cndmask_b32_e32 v10, v4, v10, vcc
	v_sub_co_u32_e32 v6, vcc, v8, v2
	v_subb_co_u32_e32 v7, vcc, v3, v1, vcc
	v_sub_co_u32_e32 v4, vcc, v8, v12
	v_subb_co_u32_e32 v5, vcc, v3, v9, vcc
	v_add_co_u32_e32 v4, vcc, v10, v4
	v_addc_co_u32_e32 v5, vcc, v11, v5, vcc
	v_cmp_gt_u64_e32 vcc, v[4:5], v[10:11]
	v_cndmask_b32_e64 v5, v5, 0, vcc
	v_cndmask_b32_e64 v4, v4, 0, vcc
	v_cmp_lt_u64_e32 vcc, v[10:11], v[6:7]
	v_cndmask_b32_e32 v7, v7, v11, vcc
	v_cndmask_b32_e32 v6, v6, v10, vcc
	v_cmp_lt_u64_e32 vcc, v[4:5], v[6:7]
	s_and_saveexec_b64 s[0:1], vcc
	s_cbranch_execz .LBB2788_5
; %bb.2:
	s_load_dwordx2 s[2:3], s[4:5], 0x18
	s_waitcnt lgkmcnt(0)
	v_mov_b32_e32 v13, s3
	v_add_co_u32_e32 v9, vcc, s2, v2
	v_addc_co_u32_e32 v12, vcc, v13, v1, vcc
	v_add_co_u32_e32 v8, vcc, s2, v8
	v_addc_co_u32_e32 v13, vcc, v13, v3, vcc
	;; [unrolled: 2-line block ×3, first 2 shown]
	s_mov_b64 s[2:3], 0
.LBB2788_3:                             ; =>This Inner Loop Header: Depth=1
	v_add_co_u32_e32 v10, vcc, v6, v4
	v_addc_co_u32_e32 v11, vcc, v7, v5, vcc
	v_lshrrev_b64 v[10:11], 1, v[10:11]
	v_add_co_u32_e32 v14, vcc, v9, v10
	v_not_b32_e32 v16, v10
	v_addc_co_u32_e32 v15, vcc, v12, v11, vcc
	v_not_b32_e32 v13, v11
	v_add_co_u32_e32 v16, vcc, v3, v16
	v_addc_co_u32_e32 v17, vcc, v8, v13, vcc
	global_load_sbyte v13, v[14:15], off
	global_load_sbyte v18, v[16:17], off
	v_add_co_u32_e32 v14, vcc, 1, v10
	v_addc_co_u32_e32 v15, vcc, 0, v11, vcc
	s_waitcnt vmcnt(0)
	v_cmp_gt_i16_e32 vcc, v13, v18
	v_cndmask_b32_e32 v7, v7, v11, vcc
	v_cndmask_b32_e32 v6, v6, v10, vcc
	;; [unrolled: 1-line block ×4, first 2 shown]
	v_cmp_ge_u64_e32 vcc, v[4:5], v[6:7]
	s_or_b64 s[2:3], vcc, s[2:3]
	s_andn2_b64 exec, exec, s[2:3]
	s_cbranch_execnz .LBB2788_3
; %bb.4:
	s_or_b64 exec, exec, s[2:3]
.LBB2788_5:
	s_or_b64 exec, exec, s[0:1]
	v_add_co_u32_e32 v2, vcc, v4, v2
	v_addc_co_u32_e32 v3, vcc, v5, v1, vcc
	v_mov_b32_e32 v1, 0
	v_lshlrev_b64 v[0:1], 3, v[0:1]
	v_mov_b32_e32 v4, s7
	v_add_co_u32_e32 v0, vcc, s6, v0
	v_addc_co_u32_e32 v1, vcc, v4, v1, vcc
	global_store_dwordx2 v[0:1], v[2:3], off
.LBB2788_6:
	s_endpgm
	.section	.rodata,"a",@progbits
	.p2align	6, 0x0
	.amdhsa_kernel _ZN7rocprim17ROCPRIM_400000_NS6detail17trampoline_kernelINS0_14default_configENS1_38merge_sort_block_merge_config_selectorIaNS0_10empty_typeEEEZZNS1_27merge_sort_block_merge_implIS3_N6thrust23THRUST_200600_302600_NS6detail15normal_iteratorINS9_10device_ptrIaEEEEPS5_m14custom_greaterIaEEE10hipError_tT0_T1_T2_jT3_P12ihipStream_tbPNSt15iterator_traitsISJ_E10value_typeEPNSP_ISK_E10value_typeEPSL_NS1_7vsmem_tEENKUlT_SJ_SK_SL_E_clIPaSE_SF_SF_EESI_SY_SJ_SK_SL_EUlSY_E_NS1_11comp_targetILNS1_3genE4ELNS1_11target_archE910ELNS1_3gpuE8ELNS1_3repE0EEENS1_48merge_mergepath_partition_config_static_selectorELNS0_4arch9wavefront6targetE1EEEvSK_
		.amdhsa_group_segment_fixed_size 0
		.amdhsa_private_segment_fixed_size 0
		.amdhsa_kernarg_size 48
		.amdhsa_user_sgpr_count 6
		.amdhsa_user_sgpr_private_segment_buffer 1
		.amdhsa_user_sgpr_dispatch_ptr 0
		.amdhsa_user_sgpr_queue_ptr 0
		.amdhsa_user_sgpr_kernarg_segment_ptr 1
		.amdhsa_user_sgpr_dispatch_id 0
		.amdhsa_user_sgpr_flat_scratch_init 0
		.amdhsa_user_sgpr_kernarg_preload_length 0
		.amdhsa_user_sgpr_kernarg_preload_offset 0
		.amdhsa_user_sgpr_private_segment_size 0
		.amdhsa_uses_dynamic_stack 0
		.amdhsa_system_sgpr_private_segment_wavefront_offset 0
		.amdhsa_system_sgpr_workgroup_id_x 1
		.amdhsa_system_sgpr_workgroup_id_y 0
		.amdhsa_system_sgpr_workgroup_id_z 0
		.amdhsa_system_sgpr_workgroup_info 0
		.amdhsa_system_vgpr_workitem_id 0
		.amdhsa_next_free_vgpr 19
		.amdhsa_next_free_sgpr 8
		.amdhsa_accum_offset 20
		.amdhsa_reserve_vcc 1
		.amdhsa_reserve_flat_scratch 0
		.amdhsa_float_round_mode_32 0
		.amdhsa_float_round_mode_16_64 0
		.amdhsa_float_denorm_mode_32 3
		.amdhsa_float_denorm_mode_16_64 3
		.amdhsa_dx10_clamp 1
		.amdhsa_ieee_mode 1
		.amdhsa_fp16_overflow 0
		.amdhsa_tg_split 0
		.amdhsa_exception_fp_ieee_invalid_op 0
		.amdhsa_exception_fp_denorm_src 0
		.amdhsa_exception_fp_ieee_div_zero 0
		.amdhsa_exception_fp_ieee_overflow 0
		.amdhsa_exception_fp_ieee_underflow 0
		.amdhsa_exception_fp_ieee_inexact 0
		.amdhsa_exception_int_div_zero 0
	.end_amdhsa_kernel
	.section	.text._ZN7rocprim17ROCPRIM_400000_NS6detail17trampoline_kernelINS0_14default_configENS1_38merge_sort_block_merge_config_selectorIaNS0_10empty_typeEEEZZNS1_27merge_sort_block_merge_implIS3_N6thrust23THRUST_200600_302600_NS6detail15normal_iteratorINS9_10device_ptrIaEEEEPS5_m14custom_greaterIaEEE10hipError_tT0_T1_T2_jT3_P12ihipStream_tbPNSt15iterator_traitsISJ_E10value_typeEPNSP_ISK_E10value_typeEPSL_NS1_7vsmem_tEENKUlT_SJ_SK_SL_E_clIPaSE_SF_SF_EESI_SY_SJ_SK_SL_EUlSY_E_NS1_11comp_targetILNS1_3genE4ELNS1_11target_archE910ELNS1_3gpuE8ELNS1_3repE0EEENS1_48merge_mergepath_partition_config_static_selectorELNS0_4arch9wavefront6targetE1EEEvSK_,"axG",@progbits,_ZN7rocprim17ROCPRIM_400000_NS6detail17trampoline_kernelINS0_14default_configENS1_38merge_sort_block_merge_config_selectorIaNS0_10empty_typeEEEZZNS1_27merge_sort_block_merge_implIS3_N6thrust23THRUST_200600_302600_NS6detail15normal_iteratorINS9_10device_ptrIaEEEEPS5_m14custom_greaterIaEEE10hipError_tT0_T1_T2_jT3_P12ihipStream_tbPNSt15iterator_traitsISJ_E10value_typeEPNSP_ISK_E10value_typeEPSL_NS1_7vsmem_tEENKUlT_SJ_SK_SL_E_clIPaSE_SF_SF_EESI_SY_SJ_SK_SL_EUlSY_E_NS1_11comp_targetILNS1_3genE4ELNS1_11target_archE910ELNS1_3gpuE8ELNS1_3repE0EEENS1_48merge_mergepath_partition_config_static_selectorELNS0_4arch9wavefront6targetE1EEEvSK_,comdat
.Lfunc_end2788:
	.size	_ZN7rocprim17ROCPRIM_400000_NS6detail17trampoline_kernelINS0_14default_configENS1_38merge_sort_block_merge_config_selectorIaNS0_10empty_typeEEEZZNS1_27merge_sort_block_merge_implIS3_N6thrust23THRUST_200600_302600_NS6detail15normal_iteratorINS9_10device_ptrIaEEEEPS5_m14custom_greaterIaEEE10hipError_tT0_T1_T2_jT3_P12ihipStream_tbPNSt15iterator_traitsISJ_E10value_typeEPNSP_ISK_E10value_typeEPSL_NS1_7vsmem_tEENKUlT_SJ_SK_SL_E_clIPaSE_SF_SF_EESI_SY_SJ_SK_SL_EUlSY_E_NS1_11comp_targetILNS1_3genE4ELNS1_11target_archE910ELNS1_3gpuE8ELNS1_3repE0EEENS1_48merge_mergepath_partition_config_static_selectorELNS0_4arch9wavefront6targetE1EEEvSK_, .Lfunc_end2788-_ZN7rocprim17ROCPRIM_400000_NS6detail17trampoline_kernelINS0_14default_configENS1_38merge_sort_block_merge_config_selectorIaNS0_10empty_typeEEEZZNS1_27merge_sort_block_merge_implIS3_N6thrust23THRUST_200600_302600_NS6detail15normal_iteratorINS9_10device_ptrIaEEEEPS5_m14custom_greaterIaEEE10hipError_tT0_T1_T2_jT3_P12ihipStream_tbPNSt15iterator_traitsISJ_E10value_typeEPNSP_ISK_E10value_typeEPSL_NS1_7vsmem_tEENKUlT_SJ_SK_SL_E_clIPaSE_SF_SF_EESI_SY_SJ_SK_SL_EUlSY_E_NS1_11comp_targetILNS1_3genE4ELNS1_11target_archE910ELNS1_3gpuE8ELNS1_3repE0EEENS1_48merge_mergepath_partition_config_static_selectorELNS0_4arch9wavefront6targetE1EEEvSK_
                                        ; -- End function
	.section	.AMDGPU.csdata,"",@progbits
; Kernel info:
; codeLenInByte = 464
; NumSgprs: 12
; NumVgprs: 19
; NumAgprs: 0
; TotalNumVgprs: 19
; ScratchSize: 0
; MemoryBound: 0
; FloatMode: 240
; IeeeMode: 1
; LDSByteSize: 0 bytes/workgroup (compile time only)
; SGPRBlocks: 1
; VGPRBlocks: 2
; NumSGPRsForWavesPerEU: 12
; NumVGPRsForWavesPerEU: 19
; AccumOffset: 20
; Occupancy: 8
; WaveLimiterHint : 0
; COMPUTE_PGM_RSRC2:SCRATCH_EN: 0
; COMPUTE_PGM_RSRC2:USER_SGPR: 6
; COMPUTE_PGM_RSRC2:TRAP_HANDLER: 0
; COMPUTE_PGM_RSRC2:TGID_X_EN: 1
; COMPUTE_PGM_RSRC2:TGID_Y_EN: 0
; COMPUTE_PGM_RSRC2:TGID_Z_EN: 0
; COMPUTE_PGM_RSRC2:TIDIG_COMP_CNT: 0
; COMPUTE_PGM_RSRC3_GFX90A:ACCUM_OFFSET: 4
; COMPUTE_PGM_RSRC3_GFX90A:TG_SPLIT: 0
	.section	.text._ZN7rocprim17ROCPRIM_400000_NS6detail17trampoline_kernelINS0_14default_configENS1_38merge_sort_block_merge_config_selectorIaNS0_10empty_typeEEEZZNS1_27merge_sort_block_merge_implIS3_N6thrust23THRUST_200600_302600_NS6detail15normal_iteratorINS9_10device_ptrIaEEEEPS5_m14custom_greaterIaEEE10hipError_tT0_T1_T2_jT3_P12ihipStream_tbPNSt15iterator_traitsISJ_E10value_typeEPNSP_ISK_E10value_typeEPSL_NS1_7vsmem_tEENKUlT_SJ_SK_SL_E_clIPaSE_SF_SF_EESI_SY_SJ_SK_SL_EUlSY_E_NS1_11comp_targetILNS1_3genE3ELNS1_11target_archE908ELNS1_3gpuE7ELNS1_3repE0EEENS1_48merge_mergepath_partition_config_static_selectorELNS0_4arch9wavefront6targetE1EEEvSK_,"axG",@progbits,_ZN7rocprim17ROCPRIM_400000_NS6detail17trampoline_kernelINS0_14default_configENS1_38merge_sort_block_merge_config_selectorIaNS0_10empty_typeEEEZZNS1_27merge_sort_block_merge_implIS3_N6thrust23THRUST_200600_302600_NS6detail15normal_iteratorINS9_10device_ptrIaEEEEPS5_m14custom_greaterIaEEE10hipError_tT0_T1_T2_jT3_P12ihipStream_tbPNSt15iterator_traitsISJ_E10value_typeEPNSP_ISK_E10value_typeEPSL_NS1_7vsmem_tEENKUlT_SJ_SK_SL_E_clIPaSE_SF_SF_EESI_SY_SJ_SK_SL_EUlSY_E_NS1_11comp_targetILNS1_3genE3ELNS1_11target_archE908ELNS1_3gpuE7ELNS1_3repE0EEENS1_48merge_mergepath_partition_config_static_selectorELNS0_4arch9wavefront6targetE1EEEvSK_,comdat
	.protected	_ZN7rocprim17ROCPRIM_400000_NS6detail17trampoline_kernelINS0_14default_configENS1_38merge_sort_block_merge_config_selectorIaNS0_10empty_typeEEEZZNS1_27merge_sort_block_merge_implIS3_N6thrust23THRUST_200600_302600_NS6detail15normal_iteratorINS9_10device_ptrIaEEEEPS5_m14custom_greaterIaEEE10hipError_tT0_T1_T2_jT3_P12ihipStream_tbPNSt15iterator_traitsISJ_E10value_typeEPNSP_ISK_E10value_typeEPSL_NS1_7vsmem_tEENKUlT_SJ_SK_SL_E_clIPaSE_SF_SF_EESI_SY_SJ_SK_SL_EUlSY_E_NS1_11comp_targetILNS1_3genE3ELNS1_11target_archE908ELNS1_3gpuE7ELNS1_3repE0EEENS1_48merge_mergepath_partition_config_static_selectorELNS0_4arch9wavefront6targetE1EEEvSK_ ; -- Begin function _ZN7rocprim17ROCPRIM_400000_NS6detail17trampoline_kernelINS0_14default_configENS1_38merge_sort_block_merge_config_selectorIaNS0_10empty_typeEEEZZNS1_27merge_sort_block_merge_implIS3_N6thrust23THRUST_200600_302600_NS6detail15normal_iteratorINS9_10device_ptrIaEEEEPS5_m14custom_greaterIaEEE10hipError_tT0_T1_T2_jT3_P12ihipStream_tbPNSt15iterator_traitsISJ_E10value_typeEPNSP_ISK_E10value_typeEPSL_NS1_7vsmem_tEENKUlT_SJ_SK_SL_E_clIPaSE_SF_SF_EESI_SY_SJ_SK_SL_EUlSY_E_NS1_11comp_targetILNS1_3genE3ELNS1_11target_archE908ELNS1_3gpuE7ELNS1_3repE0EEENS1_48merge_mergepath_partition_config_static_selectorELNS0_4arch9wavefront6targetE1EEEvSK_
	.globl	_ZN7rocprim17ROCPRIM_400000_NS6detail17trampoline_kernelINS0_14default_configENS1_38merge_sort_block_merge_config_selectorIaNS0_10empty_typeEEEZZNS1_27merge_sort_block_merge_implIS3_N6thrust23THRUST_200600_302600_NS6detail15normal_iteratorINS9_10device_ptrIaEEEEPS5_m14custom_greaterIaEEE10hipError_tT0_T1_T2_jT3_P12ihipStream_tbPNSt15iterator_traitsISJ_E10value_typeEPNSP_ISK_E10value_typeEPSL_NS1_7vsmem_tEENKUlT_SJ_SK_SL_E_clIPaSE_SF_SF_EESI_SY_SJ_SK_SL_EUlSY_E_NS1_11comp_targetILNS1_3genE3ELNS1_11target_archE908ELNS1_3gpuE7ELNS1_3repE0EEENS1_48merge_mergepath_partition_config_static_selectorELNS0_4arch9wavefront6targetE1EEEvSK_
	.p2align	8
	.type	_ZN7rocprim17ROCPRIM_400000_NS6detail17trampoline_kernelINS0_14default_configENS1_38merge_sort_block_merge_config_selectorIaNS0_10empty_typeEEEZZNS1_27merge_sort_block_merge_implIS3_N6thrust23THRUST_200600_302600_NS6detail15normal_iteratorINS9_10device_ptrIaEEEEPS5_m14custom_greaterIaEEE10hipError_tT0_T1_T2_jT3_P12ihipStream_tbPNSt15iterator_traitsISJ_E10value_typeEPNSP_ISK_E10value_typeEPSL_NS1_7vsmem_tEENKUlT_SJ_SK_SL_E_clIPaSE_SF_SF_EESI_SY_SJ_SK_SL_EUlSY_E_NS1_11comp_targetILNS1_3genE3ELNS1_11target_archE908ELNS1_3gpuE7ELNS1_3repE0EEENS1_48merge_mergepath_partition_config_static_selectorELNS0_4arch9wavefront6targetE1EEEvSK_,@function
_ZN7rocprim17ROCPRIM_400000_NS6detail17trampoline_kernelINS0_14default_configENS1_38merge_sort_block_merge_config_selectorIaNS0_10empty_typeEEEZZNS1_27merge_sort_block_merge_implIS3_N6thrust23THRUST_200600_302600_NS6detail15normal_iteratorINS9_10device_ptrIaEEEEPS5_m14custom_greaterIaEEE10hipError_tT0_T1_T2_jT3_P12ihipStream_tbPNSt15iterator_traitsISJ_E10value_typeEPNSP_ISK_E10value_typeEPSL_NS1_7vsmem_tEENKUlT_SJ_SK_SL_E_clIPaSE_SF_SF_EESI_SY_SJ_SK_SL_EUlSY_E_NS1_11comp_targetILNS1_3genE3ELNS1_11target_archE908ELNS1_3gpuE7ELNS1_3repE0EEENS1_48merge_mergepath_partition_config_static_selectorELNS0_4arch9wavefront6targetE1EEEvSK_: ; @_ZN7rocprim17ROCPRIM_400000_NS6detail17trampoline_kernelINS0_14default_configENS1_38merge_sort_block_merge_config_selectorIaNS0_10empty_typeEEEZZNS1_27merge_sort_block_merge_implIS3_N6thrust23THRUST_200600_302600_NS6detail15normal_iteratorINS9_10device_ptrIaEEEEPS5_m14custom_greaterIaEEE10hipError_tT0_T1_T2_jT3_P12ihipStream_tbPNSt15iterator_traitsISJ_E10value_typeEPNSP_ISK_E10value_typeEPSL_NS1_7vsmem_tEENKUlT_SJ_SK_SL_E_clIPaSE_SF_SF_EESI_SY_SJ_SK_SL_EUlSY_E_NS1_11comp_targetILNS1_3genE3ELNS1_11target_archE908ELNS1_3gpuE7ELNS1_3repE0EEENS1_48merge_mergepath_partition_config_static_selectorELNS0_4arch9wavefront6targetE1EEEvSK_
; %bb.0:
	.section	.rodata,"a",@progbits
	.p2align	6, 0x0
	.amdhsa_kernel _ZN7rocprim17ROCPRIM_400000_NS6detail17trampoline_kernelINS0_14default_configENS1_38merge_sort_block_merge_config_selectorIaNS0_10empty_typeEEEZZNS1_27merge_sort_block_merge_implIS3_N6thrust23THRUST_200600_302600_NS6detail15normal_iteratorINS9_10device_ptrIaEEEEPS5_m14custom_greaterIaEEE10hipError_tT0_T1_T2_jT3_P12ihipStream_tbPNSt15iterator_traitsISJ_E10value_typeEPNSP_ISK_E10value_typeEPSL_NS1_7vsmem_tEENKUlT_SJ_SK_SL_E_clIPaSE_SF_SF_EESI_SY_SJ_SK_SL_EUlSY_E_NS1_11comp_targetILNS1_3genE3ELNS1_11target_archE908ELNS1_3gpuE7ELNS1_3repE0EEENS1_48merge_mergepath_partition_config_static_selectorELNS0_4arch9wavefront6targetE1EEEvSK_
		.amdhsa_group_segment_fixed_size 0
		.amdhsa_private_segment_fixed_size 0
		.amdhsa_kernarg_size 48
		.amdhsa_user_sgpr_count 6
		.amdhsa_user_sgpr_private_segment_buffer 1
		.amdhsa_user_sgpr_dispatch_ptr 0
		.amdhsa_user_sgpr_queue_ptr 0
		.amdhsa_user_sgpr_kernarg_segment_ptr 1
		.amdhsa_user_sgpr_dispatch_id 0
		.amdhsa_user_sgpr_flat_scratch_init 0
		.amdhsa_user_sgpr_kernarg_preload_length 0
		.amdhsa_user_sgpr_kernarg_preload_offset 0
		.amdhsa_user_sgpr_private_segment_size 0
		.amdhsa_uses_dynamic_stack 0
		.amdhsa_system_sgpr_private_segment_wavefront_offset 0
		.amdhsa_system_sgpr_workgroup_id_x 1
		.amdhsa_system_sgpr_workgroup_id_y 0
		.amdhsa_system_sgpr_workgroup_id_z 0
		.amdhsa_system_sgpr_workgroup_info 0
		.amdhsa_system_vgpr_workitem_id 0
		.amdhsa_next_free_vgpr 1
		.amdhsa_next_free_sgpr 0
		.amdhsa_accum_offset 4
		.amdhsa_reserve_vcc 0
		.amdhsa_reserve_flat_scratch 0
		.amdhsa_float_round_mode_32 0
		.amdhsa_float_round_mode_16_64 0
		.amdhsa_float_denorm_mode_32 3
		.amdhsa_float_denorm_mode_16_64 3
		.amdhsa_dx10_clamp 1
		.amdhsa_ieee_mode 1
		.amdhsa_fp16_overflow 0
		.amdhsa_tg_split 0
		.amdhsa_exception_fp_ieee_invalid_op 0
		.amdhsa_exception_fp_denorm_src 0
		.amdhsa_exception_fp_ieee_div_zero 0
		.amdhsa_exception_fp_ieee_overflow 0
		.amdhsa_exception_fp_ieee_underflow 0
		.amdhsa_exception_fp_ieee_inexact 0
		.amdhsa_exception_int_div_zero 0
	.end_amdhsa_kernel
	.section	.text._ZN7rocprim17ROCPRIM_400000_NS6detail17trampoline_kernelINS0_14default_configENS1_38merge_sort_block_merge_config_selectorIaNS0_10empty_typeEEEZZNS1_27merge_sort_block_merge_implIS3_N6thrust23THRUST_200600_302600_NS6detail15normal_iteratorINS9_10device_ptrIaEEEEPS5_m14custom_greaterIaEEE10hipError_tT0_T1_T2_jT3_P12ihipStream_tbPNSt15iterator_traitsISJ_E10value_typeEPNSP_ISK_E10value_typeEPSL_NS1_7vsmem_tEENKUlT_SJ_SK_SL_E_clIPaSE_SF_SF_EESI_SY_SJ_SK_SL_EUlSY_E_NS1_11comp_targetILNS1_3genE3ELNS1_11target_archE908ELNS1_3gpuE7ELNS1_3repE0EEENS1_48merge_mergepath_partition_config_static_selectorELNS0_4arch9wavefront6targetE1EEEvSK_,"axG",@progbits,_ZN7rocprim17ROCPRIM_400000_NS6detail17trampoline_kernelINS0_14default_configENS1_38merge_sort_block_merge_config_selectorIaNS0_10empty_typeEEEZZNS1_27merge_sort_block_merge_implIS3_N6thrust23THRUST_200600_302600_NS6detail15normal_iteratorINS9_10device_ptrIaEEEEPS5_m14custom_greaterIaEEE10hipError_tT0_T1_T2_jT3_P12ihipStream_tbPNSt15iterator_traitsISJ_E10value_typeEPNSP_ISK_E10value_typeEPSL_NS1_7vsmem_tEENKUlT_SJ_SK_SL_E_clIPaSE_SF_SF_EESI_SY_SJ_SK_SL_EUlSY_E_NS1_11comp_targetILNS1_3genE3ELNS1_11target_archE908ELNS1_3gpuE7ELNS1_3repE0EEENS1_48merge_mergepath_partition_config_static_selectorELNS0_4arch9wavefront6targetE1EEEvSK_,comdat
.Lfunc_end2789:
	.size	_ZN7rocprim17ROCPRIM_400000_NS6detail17trampoline_kernelINS0_14default_configENS1_38merge_sort_block_merge_config_selectorIaNS0_10empty_typeEEEZZNS1_27merge_sort_block_merge_implIS3_N6thrust23THRUST_200600_302600_NS6detail15normal_iteratorINS9_10device_ptrIaEEEEPS5_m14custom_greaterIaEEE10hipError_tT0_T1_T2_jT3_P12ihipStream_tbPNSt15iterator_traitsISJ_E10value_typeEPNSP_ISK_E10value_typeEPSL_NS1_7vsmem_tEENKUlT_SJ_SK_SL_E_clIPaSE_SF_SF_EESI_SY_SJ_SK_SL_EUlSY_E_NS1_11comp_targetILNS1_3genE3ELNS1_11target_archE908ELNS1_3gpuE7ELNS1_3repE0EEENS1_48merge_mergepath_partition_config_static_selectorELNS0_4arch9wavefront6targetE1EEEvSK_, .Lfunc_end2789-_ZN7rocprim17ROCPRIM_400000_NS6detail17trampoline_kernelINS0_14default_configENS1_38merge_sort_block_merge_config_selectorIaNS0_10empty_typeEEEZZNS1_27merge_sort_block_merge_implIS3_N6thrust23THRUST_200600_302600_NS6detail15normal_iteratorINS9_10device_ptrIaEEEEPS5_m14custom_greaterIaEEE10hipError_tT0_T1_T2_jT3_P12ihipStream_tbPNSt15iterator_traitsISJ_E10value_typeEPNSP_ISK_E10value_typeEPSL_NS1_7vsmem_tEENKUlT_SJ_SK_SL_E_clIPaSE_SF_SF_EESI_SY_SJ_SK_SL_EUlSY_E_NS1_11comp_targetILNS1_3genE3ELNS1_11target_archE908ELNS1_3gpuE7ELNS1_3repE0EEENS1_48merge_mergepath_partition_config_static_selectorELNS0_4arch9wavefront6targetE1EEEvSK_
                                        ; -- End function
	.section	.AMDGPU.csdata,"",@progbits
; Kernel info:
; codeLenInByte = 0
; NumSgprs: 4
; NumVgprs: 0
; NumAgprs: 0
; TotalNumVgprs: 0
; ScratchSize: 0
; MemoryBound: 0
; FloatMode: 240
; IeeeMode: 1
; LDSByteSize: 0 bytes/workgroup (compile time only)
; SGPRBlocks: 0
; VGPRBlocks: 0
; NumSGPRsForWavesPerEU: 4
; NumVGPRsForWavesPerEU: 1
; AccumOffset: 4
; Occupancy: 8
; WaveLimiterHint : 0
; COMPUTE_PGM_RSRC2:SCRATCH_EN: 0
; COMPUTE_PGM_RSRC2:USER_SGPR: 6
; COMPUTE_PGM_RSRC2:TRAP_HANDLER: 0
; COMPUTE_PGM_RSRC2:TGID_X_EN: 1
; COMPUTE_PGM_RSRC2:TGID_Y_EN: 0
; COMPUTE_PGM_RSRC2:TGID_Z_EN: 0
; COMPUTE_PGM_RSRC2:TIDIG_COMP_CNT: 0
; COMPUTE_PGM_RSRC3_GFX90A:ACCUM_OFFSET: 0
; COMPUTE_PGM_RSRC3_GFX90A:TG_SPLIT: 0
	.section	.text._ZN7rocprim17ROCPRIM_400000_NS6detail17trampoline_kernelINS0_14default_configENS1_38merge_sort_block_merge_config_selectorIaNS0_10empty_typeEEEZZNS1_27merge_sort_block_merge_implIS3_N6thrust23THRUST_200600_302600_NS6detail15normal_iteratorINS9_10device_ptrIaEEEEPS5_m14custom_greaterIaEEE10hipError_tT0_T1_T2_jT3_P12ihipStream_tbPNSt15iterator_traitsISJ_E10value_typeEPNSP_ISK_E10value_typeEPSL_NS1_7vsmem_tEENKUlT_SJ_SK_SL_E_clIPaSE_SF_SF_EESI_SY_SJ_SK_SL_EUlSY_E_NS1_11comp_targetILNS1_3genE2ELNS1_11target_archE906ELNS1_3gpuE6ELNS1_3repE0EEENS1_48merge_mergepath_partition_config_static_selectorELNS0_4arch9wavefront6targetE1EEEvSK_,"axG",@progbits,_ZN7rocprim17ROCPRIM_400000_NS6detail17trampoline_kernelINS0_14default_configENS1_38merge_sort_block_merge_config_selectorIaNS0_10empty_typeEEEZZNS1_27merge_sort_block_merge_implIS3_N6thrust23THRUST_200600_302600_NS6detail15normal_iteratorINS9_10device_ptrIaEEEEPS5_m14custom_greaterIaEEE10hipError_tT0_T1_T2_jT3_P12ihipStream_tbPNSt15iterator_traitsISJ_E10value_typeEPNSP_ISK_E10value_typeEPSL_NS1_7vsmem_tEENKUlT_SJ_SK_SL_E_clIPaSE_SF_SF_EESI_SY_SJ_SK_SL_EUlSY_E_NS1_11comp_targetILNS1_3genE2ELNS1_11target_archE906ELNS1_3gpuE6ELNS1_3repE0EEENS1_48merge_mergepath_partition_config_static_selectorELNS0_4arch9wavefront6targetE1EEEvSK_,comdat
	.protected	_ZN7rocprim17ROCPRIM_400000_NS6detail17trampoline_kernelINS0_14default_configENS1_38merge_sort_block_merge_config_selectorIaNS0_10empty_typeEEEZZNS1_27merge_sort_block_merge_implIS3_N6thrust23THRUST_200600_302600_NS6detail15normal_iteratorINS9_10device_ptrIaEEEEPS5_m14custom_greaterIaEEE10hipError_tT0_T1_T2_jT3_P12ihipStream_tbPNSt15iterator_traitsISJ_E10value_typeEPNSP_ISK_E10value_typeEPSL_NS1_7vsmem_tEENKUlT_SJ_SK_SL_E_clIPaSE_SF_SF_EESI_SY_SJ_SK_SL_EUlSY_E_NS1_11comp_targetILNS1_3genE2ELNS1_11target_archE906ELNS1_3gpuE6ELNS1_3repE0EEENS1_48merge_mergepath_partition_config_static_selectorELNS0_4arch9wavefront6targetE1EEEvSK_ ; -- Begin function _ZN7rocprim17ROCPRIM_400000_NS6detail17trampoline_kernelINS0_14default_configENS1_38merge_sort_block_merge_config_selectorIaNS0_10empty_typeEEEZZNS1_27merge_sort_block_merge_implIS3_N6thrust23THRUST_200600_302600_NS6detail15normal_iteratorINS9_10device_ptrIaEEEEPS5_m14custom_greaterIaEEE10hipError_tT0_T1_T2_jT3_P12ihipStream_tbPNSt15iterator_traitsISJ_E10value_typeEPNSP_ISK_E10value_typeEPSL_NS1_7vsmem_tEENKUlT_SJ_SK_SL_E_clIPaSE_SF_SF_EESI_SY_SJ_SK_SL_EUlSY_E_NS1_11comp_targetILNS1_3genE2ELNS1_11target_archE906ELNS1_3gpuE6ELNS1_3repE0EEENS1_48merge_mergepath_partition_config_static_selectorELNS0_4arch9wavefront6targetE1EEEvSK_
	.globl	_ZN7rocprim17ROCPRIM_400000_NS6detail17trampoline_kernelINS0_14default_configENS1_38merge_sort_block_merge_config_selectorIaNS0_10empty_typeEEEZZNS1_27merge_sort_block_merge_implIS3_N6thrust23THRUST_200600_302600_NS6detail15normal_iteratorINS9_10device_ptrIaEEEEPS5_m14custom_greaterIaEEE10hipError_tT0_T1_T2_jT3_P12ihipStream_tbPNSt15iterator_traitsISJ_E10value_typeEPNSP_ISK_E10value_typeEPSL_NS1_7vsmem_tEENKUlT_SJ_SK_SL_E_clIPaSE_SF_SF_EESI_SY_SJ_SK_SL_EUlSY_E_NS1_11comp_targetILNS1_3genE2ELNS1_11target_archE906ELNS1_3gpuE6ELNS1_3repE0EEENS1_48merge_mergepath_partition_config_static_selectorELNS0_4arch9wavefront6targetE1EEEvSK_
	.p2align	8
	.type	_ZN7rocprim17ROCPRIM_400000_NS6detail17trampoline_kernelINS0_14default_configENS1_38merge_sort_block_merge_config_selectorIaNS0_10empty_typeEEEZZNS1_27merge_sort_block_merge_implIS3_N6thrust23THRUST_200600_302600_NS6detail15normal_iteratorINS9_10device_ptrIaEEEEPS5_m14custom_greaterIaEEE10hipError_tT0_T1_T2_jT3_P12ihipStream_tbPNSt15iterator_traitsISJ_E10value_typeEPNSP_ISK_E10value_typeEPSL_NS1_7vsmem_tEENKUlT_SJ_SK_SL_E_clIPaSE_SF_SF_EESI_SY_SJ_SK_SL_EUlSY_E_NS1_11comp_targetILNS1_3genE2ELNS1_11target_archE906ELNS1_3gpuE6ELNS1_3repE0EEENS1_48merge_mergepath_partition_config_static_selectorELNS0_4arch9wavefront6targetE1EEEvSK_,@function
_ZN7rocprim17ROCPRIM_400000_NS6detail17trampoline_kernelINS0_14default_configENS1_38merge_sort_block_merge_config_selectorIaNS0_10empty_typeEEEZZNS1_27merge_sort_block_merge_implIS3_N6thrust23THRUST_200600_302600_NS6detail15normal_iteratorINS9_10device_ptrIaEEEEPS5_m14custom_greaterIaEEE10hipError_tT0_T1_T2_jT3_P12ihipStream_tbPNSt15iterator_traitsISJ_E10value_typeEPNSP_ISK_E10value_typeEPSL_NS1_7vsmem_tEENKUlT_SJ_SK_SL_E_clIPaSE_SF_SF_EESI_SY_SJ_SK_SL_EUlSY_E_NS1_11comp_targetILNS1_3genE2ELNS1_11target_archE906ELNS1_3gpuE6ELNS1_3repE0EEENS1_48merge_mergepath_partition_config_static_selectorELNS0_4arch9wavefront6targetE1EEEvSK_: ; @_ZN7rocprim17ROCPRIM_400000_NS6detail17trampoline_kernelINS0_14default_configENS1_38merge_sort_block_merge_config_selectorIaNS0_10empty_typeEEEZZNS1_27merge_sort_block_merge_implIS3_N6thrust23THRUST_200600_302600_NS6detail15normal_iteratorINS9_10device_ptrIaEEEEPS5_m14custom_greaterIaEEE10hipError_tT0_T1_T2_jT3_P12ihipStream_tbPNSt15iterator_traitsISJ_E10value_typeEPNSP_ISK_E10value_typeEPSL_NS1_7vsmem_tEENKUlT_SJ_SK_SL_E_clIPaSE_SF_SF_EESI_SY_SJ_SK_SL_EUlSY_E_NS1_11comp_targetILNS1_3genE2ELNS1_11target_archE906ELNS1_3gpuE6ELNS1_3repE0EEENS1_48merge_mergepath_partition_config_static_selectorELNS0_4arch9wavefront6targetE1EEEvSK_
; %bb.0:
	.section	.rodata,"a",@progbits
	.p2align	6, 0x0
	.amdhsa_kernel _ZN7rocprim17ROCPRIM_400000_NS6detail17trampoline_kernelINS0_14default_configENS1_38merge_sort_block_merge_config_selectorIaNS0_10empty_typeEEEZZNS1_27merge_sort_block_merge_implIS3_N6thrust23THRUST_200600_302600_NS6detail15normal_iteratorINS9_10device_ptrIaEEEEPS5_m14custom_greaterIaEEE10hipError_tT0_T1_T2_jT3_P12ihipStream_tbPNSt15iterator_traitsISJ_E10value_typeEPNSP_ISK_E10value_typeEPSL_NS1_7vsmem_tEENKUlT_SJ_SK_SL_E_clIPaSE_SF_SF_EESI_SY_SJ_SK_SL_EUlSY_E_NS1_11comp_targetILNS1_3genE2ELNS1_11target_archE906ELNS1_3gpuE6ELNS1_3repE0EEENS1_48merge_mergepath_partition_config_static_selectorELNS0_4arch9wavefront6targetE1EEEvSK_
		.amdhsa_group_segment_fixed_size 0
		.amdhsa_private_segment_fixed_size 0
		.amdhsa_kernarg_size 48
		.amdhsa_user_sgpr_count 6
		.amdhsa_user_sgpr_private_segment_buffer 1
		.amdhsa_user_sgpr_dispatch_ptr 0
		.amdhsa_user_sgpr_queue_ptr 0
		.amdhsa_user_sgpr_kernarg_segment_ptr 1
		.amdhsa_user_sgpr_dispatch_id 0
		.amdhsa_user_sgpr_flat_scratch_init 0
		.amdhsa_user_sgpr_kernarg_preload_length 0
		.amdhsa_user_sgpr_kernarg_preload_offset 0
		.amdhsa_user_sgpr_private_segment_size 0
		.amdhsa_uses_dynamic_stack 0
		.amdhsa_system_sgpr_private_segment_wavefront_offset 0
		.amdhsa_system_sgpr_workgroup_id_x 1
		.amdhsa_system_sgpr_workgroup_id_y 0
		.amdhsa_system_sgpr_workgroup_id_z 0
		.amdhsa_system_sgpr_workgroup_info 0
		.amdhsa_system_vgpr_workitem_id 0
		.amdhsa_next_free_vgpr 1
		.amdhsa_next_free_sgpr 0
		.amdhsa_accum_offset 4
		.amdhsa_reserve_vcc 0
		.amdhsa_reserve_flat_scratch 0
		.amdhsa_float_round_mode_32 0
		.amdhsa_float_round_mode_16_64 0
		.amdhsa_float_denorm_mode_32 3
		.amdhsa_float_denorm_mode_16_64 3
		.amdhsa_dx10_clamp 1
		.amdhsa_ieee_mode 1
		.amdhsa_fp16_overflow 0
		.amdhsa_tg_split 0
		.amdhsa_exception_fp_ieee_invalid_op 0
		.amdhsa_exception_fp_denorm_src 0
		.amdhsa_exception_fp_ieee_div_zero 0
		.amdhsa_exception_fp_ieee_overflow 0
		.amdhsa_exception_fp_ieee_underflow 0
		.amdhsa_exception_fp_ieee_inexact 0
		.amdhsa_exception_int_div_zero 0
	.end_amdhsa_kernel
	.section	.text._ZN7rocprim17ROCPRIM_400000_NS6detail17trampoline_kernelINS0_14default_configENS1_38merge_sort_block_merge_config_selectorIaNS0_10empty_typeEEEZZNS1_27merge_sort_block_merge_implIS3_N6thrust23THRUST_200600_302600_NS6detail15normal_iteratorINS9_10device_ptrIaEEEEPS5_m14custom_greaterIaEEE10hipError_tT0_T1_T2_jT3_P12ihipStream_tbPNSt15iterator_traitsISJ_E10value_typeEPNSP_ISK_E10value_typeEPSL_NS1_7vsmem_tEENKUlT_SJ_SK_SL_E_clIPaSE_SF_SF_EESI_SY_SJ_SK_SL_EUlSY_E_NS1_11comp_targetILNS1_3genE2ELNS1_11target_archE906ELNS1_3gpuE6ELNS1_3repE0EEENS1_48merge_mergepath_partition_config_static_selectorELNS0_4arch9wavefront6targetE1EEEvSK_,"axG",@progbits,_ZN7rocprim17ROCPRIM_400000_NS6detail17trampoline_kernelINS0_14default_configENS1_38merge_sort_block_merge_config_selectorIaNS0_10empty_typeEEEZZNS1_27merge_sort_block_merge_implIS3_N6thrust23THRUST_200600_302600_NS6detail15normal_iteratorINS9_10device_ptrIaEEEEPS5_m14custom_greaterIaEEE10hipError_tT0_T1_T2_jT3_P12ihipStream_tbPNSt15iterator_traitsISJ_E10value_typeEPNSP_ISK_E10value_typeEPSL_NS1_7vsmem_tEENKUlT_SJ_SK_SL_E_clIPaSE_SF_SF_EESI_SY_SJ_SK_SL_EUlSY_E_NS1_11comp_targetILNS1_3genE2ELNS1_11target_archE906ELNS1_3gpuE6ELNS1_3repE0EEENS1_48merge_mergepath_partition_config_static_selectorELNS0_4arch9wavefront6targetE1EEEvSK_,comdat
.Lfunc_end2790:
	.size	_ZN7rocprim17ROCPRIM_400000_NS6detail17trampoline_kernelINS0_14default_configENS1_38merge_sort_block_merge_config_selectorIaNS0_10empty_typeEEEZZNS1_27merge_sort_block_merge_implIS3_N6thrust23THRUST_200600_302600_NS6detail15normal_iteratorINS9_10device_ptrIaEEEEPS5_m14custom_greaterIaEEE10hipError_tT0_T1_T2_jT3_P12ihipStream_tbPNSt15iterator_traitsISJ_E10value_typeEPNSP_ISK_E10value_typeEPSL_NS1_7vsmem_tEENKUlT_SJ_SK_SL_E_clIPaSE_SF_SF_EESI_SY_SJ_SK_SL_EUlSY_E_NS1_11comp_targetILNS1_3genE2ELNS1_11target_archE906ELNS1_3gpuE6ELNS1_3repE0EEENS1_48merge_mergepath_partition_config_static_selectorELNS0_4arch9wavefront6targetE1EEEvSK_, .Lfunc_end2790-_ZN7rocprim17ROCPRIM_400000_NS6detail17trampoline_kernelINS0_14default_configENS1_38merge_sort_block_merge_config_selectorIaNS0_10empty_typeEEEZZNS1_27merge_sort_block_merge_implIS3_N6thrust23THRUST_200600_302600_NS6detail15normal_iteratorINS9_10device_ptrIaEEEEPS5_m14custom_greaterIaEEE10hipError_tT0_T1_T2_jT3_P12ihipStream_tbPNSt15iterator_traitsISJ_E10value_typeEPNSP_ISK_E10value_typeEPSL_NS1_7vsmem_tEENKUlT_SJ_SK_SL_E_clIPaSE_SF_SF_EESI_SY_SJ_SK_SL_EUlSY_E_NS1_11comp_targetILNS1_3genE2ELNS1_11target_archE906ELNS1_3gpuE6ELNS1_3repE0EEENS1_48merge_mergepath_partition_config_static_selectorELNS0_4arch9wavefront6targetE1EEEvSK_
                                        ; -- End function
	.section	.AMDGPU.csdata,"",@progbits
; Kernel info:
; codeLenInByte = 0
; NumSgprs: 4
; NumVgprs: 0
; NumAgprs: 0
; TotalNumVgprs: 0
; ScratchSize: 0
; MemoryBound: 0
; FloatMode: 240
; IeeeMode: 1
; LDSByteSize: 0 bytes/workgroup (compile time only)
; SGPRBlocks: 0
; VGPRBlocks: 0
; NumSGPRsForWavesPerEU: 4
; NumVGPRsForWavesPerEU: 1
; AccumOffset: 4
; Occupancy: 8
; WaveLimiterHint : 0
; COMPUTE_PGM_RSRC2:SCRATCH_EN: 0
; COMPUTE_PGM_RSRC2:USER_SGPR: 6
; COMPUTE_PGM_RSRC2:TRAP_HANDLER: 0
; COMPUTE_PGM_RSRC2:TGID_X_EN: 1
; COMPUTE_PGM_RSRC2:TGID_Y_EN: 0
; COMPUTE_PGM_RSRC2:TGID_Z_EN: 0
; COMPUTE_PGM_RSRC2:TIDIG_COMP_CNT: 0
; COMPUTE_PGM_RSRC3_GFX90A:ACCUM_OFFSET: 0
; COMPUTE_PGM_RSRC3_GFX90A:TG_SPLIT: 0
	.section	.text._ZN7rocprim17ROCPRIM_400000_NS6detail17trampoline_kernelINS0_14default_configENS1_38merge_sort_block_merge_config_selectorIaNS0_10empty_typeEEEZZNS1_27merge_sort_block_merge_implIS3_N6thrust23THRUST_200600_302600_NS6detail15normal_iteratorINS9_10device_ptrIaEEEEPS5_m14custom_greaterIaEEE10hipError_tT0_T1_T2_jT3_P12ihipStream_tbPNSt15iterator_traitsISJ_E10value_typeEPNSP_ISK_E10value_typeEPSL_NS1_7vsmem_tEENKUlT_SJ_SK_SL_E_clIPaSE_SF_SF_EESI_SY_SJ_SK_SL_EUlSY_E_NS1_11comp_targetILNS1_3genE9ELNS1_11target_archE1100ELNS1_3gpuE3ELNS1_3repE0EEENS1_48merge_mergepath_partition_config_static_selectorELNS0_4arch9wavefront6targetE1EEEvSK_,"axG",@progbits,_ZN7rocprim17ROCPRIM_400000_NS6detail17trampoline_kernelINS0_14default_configENS1_38merge_sort_block_merge_config_selectorIaNS0_10empty_typeEEEZZNS1_27merge_sort_block_merge_implIS3_N6thrust23THRUST_200600_302600_NS6detail15normal_iteratorINS9_10device_ptrIaEEEEPS5_m14custom_greaterIaEEE10hipError_tT0_T1_T2_jT3_P12ihipStream_tbPNSt15iterator_traitsISJ_E10value_typeEPNSP_ISK_E10value_typeEPSL_NS1_7vsmem_tEENKUlT_SJ_SK_SL_E_clIPaSE_SF_SF_EESI_SY_SJ_SK_SL_EUlSY_E_NS1_11comp_targetILNS1_3genE9ELNS1_11target_archE1100ELNS1_3gpuE3ELNS1_3repE0EEENS1_48merge_mergepath_partition_config_static_selectorELNS0_4arch9wavefront6targetE1EEEvSK_,comdat
	.protected	_ZN7rocprim17ROCPRIM_400000_NS6detail17trampoline_kernelINS0_14default_configENS1_38merge_sort_block_merge_config_selectorIaNS0_10empty_typeEEEZZNS1_27merge_sort_block_merge_implIS3_N6thrust23THRUST_200600_302600_NS6detail15normal_iteratorINS9_10device_ptrIaEEEEPS5_m14custom_greaterIaEEE10hipError_tT0_T1_T2_jT3_P12ihipStream_tbPNSt15iterator_traitsISJ_E10value_typeEPNSP_ISK_E10value_typeEPSL_NS1_7vsmem_tEENKUlT_SJ_SK_SL_E_clIPaSE_SF_SF_EESI_SY_SJ_SK_SL_EUlSY_E_NS1_11comp_targetILNS1_3genE9ELNS1_11target_archE1100ELNS1_3gpuE3ELNS1_3repE0EEENS1_48merge_mergepath_partition_config_static_selectorELNS0_4arch9wavefront6targetE1EEEvSK_ ; -- Begin function _ZN7rocprim17ROCPRIM_400000_NS6detail17trampoline_kernelINS0_14default_configENS1_38merge_sort_block_merge_config_selectorIaNS0_10empty_typeEEEZZNS1_27merge_sort_block_merge_implIS3_N6thrust23THRUST_200600_302600_NS6detail15normal_iteratorINS9_10device_ptrIaEEEEPS5_m14custom_greaterIaEEE10hipError_tT0_T1_T2_jT3_P12ihipStream_tbPNSt15iterator_traitsISJ_E10value_typeEPNSP_ISK_E10value_typeEPSL_NS1_7vsmem_tEENKUlT_SJ_SK_SL_E_clIPaSE_SF_SF_EESI_SY_SJ_SK_SL_EUlSY_E_NS1_11comp_targetILNS1_3genE9ELNS1_11target_archE1100ELNS1_3gpuE3ELNS1_3repE0EEENS1_48merge_mergepath_partition_config_static_selectorELNS0_4arch9wavefront6targetE1EEEvSK_
	.globl	_ZN7rocprim17ROCPRIM_400000_NS6detail17trampoline_kernelINS0_14default_configENS1_38merge_sort_block_merge_config_selectorIaNS0_10empty_typeEEEZZNS1_27merge_sort_block_merge_implIS3_N6thrust23THRUST_200600_302600_NS6detail15normal_iteratorINS9_10device_ptrIaEEEEPS5_m14custom_greaterIaEEE10hipError_tT0_T1_T2_jT3_P12ihipStream_tbPNSt15iterator_traitsISJ_E10value_typeEPNSP_ISK_E10value_typeEPSL_NS1_7vsmem_tEENKUlT_SJ_SK_SL_E_clIPaSE_SF_SF_EESI_SY_SJ_SK_SL_EUlSY_E_NS1_11comp_targetILNS1_3genE9ELNS1_11target_archE1100ELNS1_3gpuE3ELNS1_3repE0EEENS1_48merge_mergepath_partition_config_static_selectorELNS0_4arch9wavefront6targetE1EEEvSK_
	.p2align	8
	.type	_ZN7rocprim17ROCPRIM_400000_NS6detail17trampoline_kernelINS0_14default_configENS1_38merge_sort_block_merge_config_selectorIaNS0_10empty_typeEEEZZNS1_27merge_sort_block_merge_implIS3_N6thrust23THRUST_200600_302600_NS6detail15normal_iteratorINS9_10device_ptrIaEEEEPS5_m14custom_greaterIaEEE10hipError_tT0_T1_T2_jT3_P12ihipStream_tbPNSt15iterator_traitsISJ_E10value_typeEPNSP_ISK_E10value_typeEPSL_NS1_7vsmem_tEENKUlT_SJ_SK_SL_E_clIPaSE_SF_SF_EESI_SY_SJ_SK_SL_EUlSY_E_NS1_11comp_targetILNS1_3genE9ELNS1_11target_archE1100ELNS1_3gpuE3ELNS1_3repE0EEENS1_48merge_mergepath_partition_config_static_selectorELNS0_4arch9wavefront6targetE1EEEvSK_,@function
_ZN7rocprim17ROCPRIM_400000_NS6detail17trampoline_kernelINS0_14default_configENS1_38merge_sort_block_merge_config_selectorIaNS0_10empty_typeEEEZZNS1_27merge_sort_block_merge_implIS3_N6thrust23THRUST_200600_302600_NS6detail15normal_iteratorINS9_10device_ptrIaEEEEPS5_m14custom_greaterIaEEE10hipError_tT0_T1_T2_jT3_P12ihipStream_tbPNSt15iterator_traitsISJ_E10value_typeEPNSP_ISK_E10value_typeEPSL_NS1_7vsmem_tEENKUlT_SJ_SK_SL_E_clIPaSE_SF_SF_EESI_SY_SJ_SK_SL_EUlSY_E_NS1_11comp_targetILNS1_3genE9ELNS1_11target_archE1100ELNS1_3gpuE3ELNS1_3repE0EEENS1_48merge_mergepath_partition_config_static_selectorELNS0_4arch9wavefront6targetE1EEEvSK_: ; @_ZN7rocprim17ROCPRIM_400000_NS6detail17trampoline_kernelINS0_14default_configENS1_38merge_sort_block_merge_config_selectorIaNS0_10empty_typeEEEZZNS1_27merge_sort_block_merge_implIS3_N6thrust23THRUST_200600_302600_NS6detail15normal_iteratorINS9_10device_ptrIaEEEEPS5_m14custom_greaterIaEEE10hipError_tT0_T1_T2_jT3_P12ihipStream_tbPNSt15iterator_traitsISJ_E10value_typeEPNSP_ISK_E10value_typeEPSL_NS1_7vsmem_tEENKUlT_SJ_SK_SL_E_clIPaSE_SF_SF_EESI_SY_SJ_SK_SL_EUlSY_E_NS1_11comp_targetILNS1_3genE9ELNS1_11target_archE1100ELNS1_3gpuE3ELNS1_3repE0EEENS1_48merge_mergepath_partition_config_static_selectorELNS0_4arch9wavefront6targetE1EEEvSK_
; %bb.0:
	.section	.rodata,"a",@progbits
	.p2align	6, 0x0
	.amdhsa_kernel _ZN7rocprim17ROCPRIM_400000_NS6detail17trampoline_kernelINS0_14default_configENS1_38merge_sort_block_merge_config_selectorIaNS0_10empty_typeEEEZZNS1_27merge_sort_block_merge_implIS3_N6thrust23THRUST_200600_302600_NS6detail15normal_iteratorINS9_10device_ptrIaEEEEPS5_m14custom_greaterIaEEE10hipError_tT0_T1_T2_jT3_P12ihipStream_tbPNSt15iterator_traitsISJ_E10value_typeEPNSP_ISK_E10value_typeEPSL_NS1_7vsmem_tEENKUlT_SJ_SK_SL_E_clIPaSE_SF_SF_EESI_SY_SJ_SK_SL_EUlSY_E_NS1_11comp_targetILNS1_3genE9ELNS1_11target_archE1100ELNS1_3gpuE3ELNS1_3repE0EEENS1_48merge_mergepath_partition_config_static_selectorELNS0_4arch9wavefront6targetE1EEEvSK_
		.amdhsa_group_segment_fixed_size 0
		.amdhsa_private_segment_fixed_size 0
		.amdhsa_kernarg_size 48
		.amdhsa_user_sgpr_count 6
		.amdhsa_user_sgpr_private_segment_buffer 1
		.amdhsa_user_sgpr_dispatch_ptr 0
		.amdhsa_user_sgpr_queue_ptr 0
		.amdhsa_user_sgpr_kernarg_segment_ptr 1
		.amdhsa_user_sgpr_dispatch_id 0
		.amdhsa_user_sgpr_flat_scratch_init 0
		.amdhsa_user_sgpr_kernarg_preload_length 0
		.amdhsa_user_sgpr_kernarg_preload_offset 0
		.amdhsa_user_sgpr_private_segment_size 0
		.amdhsa_uses_dynamic_stack 0
		.amdhsa_system_sgpr_private_segment_wavefront_offset 0
		.amdhsa_system_sgpr_workgroup_id_x 1
		.amdhsa_system_sgpr_workgroup_id_y 0
		.amdhsa_system_sgpr_workgroup_id_z 0
		.amdhsa_system_sgpr_workgroup_info 0
		.amdhsa_system_vgpr_workitem_id 0
		.amdhsa_next_free_vgpr 1
		.amdhsa_next_free_sgpr 0
		.amdhsa_accum_offset 4
		.amdhsa_reserve_vcc 0
		.amdhsa_reserve_flat_scratch 0
		.amdhsa_float_round_mode_32 0
		.amdhsa_float_round_mode_16_64 0
		.amdhsa_float_denorm_mode_32 3
		.amdhsa_float_denorm_mode_16_64 3
		.amdhsa_dx10_clamp 1
		.amdhsa_ieee_mode 1
		.amdhsa_fp16_overflow 0
		.amdhsa_tg_split 0
		.amdhsa_exception_fp_ieee_invalid_op 0
		.amdhsa_exception_fp_denorm_src 0
		.amdhsa_exception_fp_ieee_div_zero 0
		.amdhsa_exception_fp_ieee_overflow 0
		.amdhsa_exception_fp_ieee_underflow 0
		.amdhsa_exception_fp_ieee_inexact 0
		.amdhsa_exception_int_div_zero 0
	.end_amdhsa_kernel
	.section	.text._ZN7rocprim17ROCPRIM_400000_NS6detail17trampoline_kernelINS0_14default_configENS1_38merge_sort_block_merge_config_selectorIaNS0_10empty_typeEEEZZNS1_27merge_sort_block_merge_implIS3_N6thrust23THRUST_200600_302600_NS6detail15normal_iteratorINS9_10device_ptrIaEEEEPS5_m14custom_greaterIaEEE10hipError_tT0_T1_T2_jT3_P12ihipStream_tbPNSt15iterator_traitsISJ_E10value_typeEPNSP_ISK_E10value_typeEPSL_NS1_7vsmem_tEENKUlT_SJ_SK_SL_E_clIPaSE_SF_SF_EESI_SY_SJ_SK_SL_EUlSY_E_NS1_11comp_targetILNS1_3genE9ELNS1_11target_archE1100ELNS1_3gpuE3ELNS1_3repE0EEENS1_48merge_mergepath_partition_config_static_selectorELNS0_4arch9wavefront6targetE1EEEvSK_,"axG",@progbits,_ZN7rocprim17ROCPRIM_400000_NS6detail17trampoline_kernelINS0_14default_configENS1_38merge_sort_block_merge_config_selectorIaNS0_10empty_typeEEEZZNS1_27merge_sort_block_merge_implIS3_N6thrust23THRUST_200600_302600_NS6detail15normal_iteratorINS9_10device_ptrIaEEEEPS5_m14custom_greaterIaEEE10hipError_tT0_T1_T2_jT3_P12ihipStream_tbPNSt15iterator_traitsISJ_E10value_typeEPNSP_ISK_E10value_typeEPSL_NS1_7vsmem_tEENKUlT_SJ_SK_SL_E_clIPaSE_SF_SF_EESI_SY_SJ_SK_SL_EUlSY_E_NS1_11comp_targetILNS1_3genE9ELNS1_11target_archE1100ELNS1_3gpuE3ELNS1_3repE0EEENS1_48merge_mergepath_partition_config_static_selectorELNS0_4arch9wavefront6targetE1EEEvSK_,comdat
.Lfunc_end2791:
	.size	_ZN7rocprim17ROCPRIM_400000_NS6detail17trampoline_kernelINS0_14default_configENS1_38merge_sort_block_merge_config_selectorIaNS0_10empty_typeEEEZZNS1_27merge_sort_block_merge_implIS3_N6thrust23THRUST_200600_302600_NS6detail15normal_iteratorINS9_10device_ptrIaEEEEPS5_m14custom_greaterIaEEE10hipError_tT0_T1_T2_jT3_P12ihipStream_tbPNSt15iterator_traitsISJ_E10value_typeEPNSP_ISK_E10value_typeEPSL_NS1_7vsmem_tEENKUlT_SJ_SK_SL_E_clIPaSE_SF_SF_EESI_SY_SJ_SK_SL_EUlSY_E_NS1_11comp_targetILNS1_3genE9ELNS1_11target_archE1100ELNS1_3gpuE3ELNS1_3repE0EEENS1_48merge_mergepath_partition_config_static_selectorELNS0_4arch9wavefront6targetE1EEEvSK_, .Lfunc_end2791-_ZN7rocprim17ROCPRIM_400000_NS6detail17trampoline_kernelINS0_14default_configENS1_38merge_sort_block_merge_config_selectorIaNS0_10empty_typeEEEZZNS1_27merge_sort_block_merge_implIS3_N6thrust23THRUST_200600_302600_NS6detail15normal_iteratorINS9_10device_ptrIaEEEEPS5_m14custom_greaterIaEEE10hipError_tT0_T1_T2_jT3_P12ihipStream_tbPNSt15iterator_traitsISJ_E10value_typeEPNSP_ISK_E10value_typeEPSL_NS1_7vsmem_tEENKUlT_SJ_SK_SL_E_clIPaSE_SF_SF_EESI_SY_SJ_SK_SL_EUlSY_E_NS1_11comp_targetILNS1_3genE9ELNS1_11target_archE1100ELNS1_3gpuE3ELNS1_3repE0EEENS1_48merge_mergepath_partition_config_static_selectorELNS0_4arch9wavefront6targetE1EEEvSK_
                                        ; -- End function
	.section	.AMDGPU.csdata,"",@progbits
; Kernel info:
; codeLenInByte = 0
; NumSgprs: 4
; NumVgprs: 0
; NumAgprs: 0
; TotalNumVgprs: 0
; ScratchSize: 0
; MemoryBound: 0
; FloatMode: 240
; IeeeMode: 1
; LDSByteSize: 0 bytes/workgroup (compile time only)
; SGPRBlocks: 0
; VGPRBlocks: 0
; NumSGPRsForWavesPerEU: 4
; NumVGPRsForWavesPerEU: 1
; AccumOffset: 4
; Occupancy: 8
; WaveLimiterHint : 0
; COMPUTE_PGM_RSRC2:SCRATCH_EN: 0
; COMPUTE_PGM_RSRC2:USER_SGPR: 6
; COMPUTE_PGM_RSRC2:TRAP_HANDLER: 0
; COMPUTE_PGM_RSRC2:TGID_X_EN: 1
; COMPUTE_PGM_RSRC2:TGID_Y_EN: 0
; COMPUTE_PGM_RSRC2:TGID_Z_EN: 0
; COMPUTE_PGM_RSRC2:TIDIG_COMP_CNT: 0
; COMPUTE_PGM_RSRC3_GFX90A:ACCUM_OFFSET: 0
; COMPUTE_PGM_RSRC3_GFX90A:TG_SPLIT: 0
	.section	.text._ZN7rocprim17ROCPRIM_400000_NS6detail17trampoline_kernelINS0_14default_configENS1_38merge_sort_block_merge_config_selectorIaNS0_10empty_typeEEEZZNS1_27merge_sort_block_merge_implIS3_N6thrust23THRUST_200600_302600_NS6detail15normal_iteratorINS9_10device_ptrIaEEEEPS5_m14custom_greaterIaEEE10hipError_tT0_T1_T2_jT3_P12ihipStream_tbPNSt15iterator_traitsISJ_E10value_typeEPNSP_ISK_E10value_typeEPSL_NS1_7vsmem_tEENKUlT_SJ_SK_SL_E_clIPaSE_SF_SF_EESI_SY_SJ_SK_SL_EUlSY_E_NS1_11comp_targetILNS1_3genE8ELNS1_11target_archE1030ELNS1_3gpuE2ELNS1_3repE0EEENS1_48merge_mergepath_partition_config_static_selectorELNS0_4arch9wavefront6targetE1EEEvSK_,"axG",@progbits,_ZN7rocprim17ROCPRIM_400000_NS6detail17trampoline_kernelINS0_14default_configENS1_38merge_sort_block_merge_config_selectorIaNS0_10empty_typeEEEZZNS1_27merge_sort_block_merge_implIS3_N6thrust23THRUST_200600_302600_NS6detail15normal_iteratorINS9_10device_ptrIaEEEEPS5_m14custom_greaterIaEEE10hipError_tT0_T1_T2_jT3_P12ihipStream_tbPNSt15iterator_traitsISJ_E10value_typeEPNSP_ISK_E10value_typeEPSL_NS1_7vsmem_tEENKUlT_SJ_SK_SL_E_clIPaSE_SF_SF_EESI_SY_SJ_SK_SL_EUlSY_E_NS1_11comp_targetILNS1_3genE8ELNS1_11target_archE1030ELNS1_3gpuE2ELNS1_3repE0EEENS1_48merge_mergepath_partition_config_static_selectorELNS0_4arch9wavefront6targetE1EEEvSK_,comdat
	.protected	_ZN7rocprim17ROCPRIM_400000_NS6detail17trampoline_kernelINS0_14default_configENS1_38merge_sort_block_merge_config_selectorIaNS0_10empty_typeEEEZZNS1_27merge_sort_block_merge_implIS3_N6thrust23THRUST_200600_302600_NS6detail15normal_iteratorINS9_10device_ptrIaEEEEPS5_m14custom_greaterIaEEE10hipError_tT0_T1_T2_jT3_P12ihipStream_tbPNSt15iterator_traitsISJ_E10value_typeEPNSP_ISK_E10value_typeEPSL_NS1_7vsmem_tEENKUlT_SJ_SK_SL_E_clIPaSE_SF_SF_EESI_SY_SJ_SK_SL_EUlSY_E_NS1_11comp_targetILNS1_3genE8ELNS1_11target_archE1030ELNS1_3gpuE2ELNS1_3repE0EEENS1_48merge_mergepath_partition_config_static_selectorELNS0_4arch9wavefront6targetE1EEEvSK_ ; -- Begin function _ZN7rocprim17ROCPRIM_400000_NS6detail17trampoline_kernelINS0_14default_configENS1_38merge_sort_block_merge_config_selectorIaNS0_10empty_typeEEEZZNS1_27merge_sort_block_merge_implIS3_N6thrust23THRUST_200600_302600_NS6detail15normal_iteratorINS9_10device_ptrIaEEEEPS5_m14custom_greaterIaEEE10hipError_tT0_T1_T2_jT3_P12ihipStream_tbPNSt15iterator_traitsISJ_E10value_typeEPNSP_ISK_E10value_typeEPSL_NS1_7vsmem_tEENKUlT_SJ_SK_SL_E_clIPaSE_SF_SF_EESI_SY_SJ_SK_SL_EUlSY_E_NS1_11comp_targetILNS1_3genE8ELNS1_11target_archE1030ELNS1_3gpuE2ELNS1_3repE0EEENS1_48merge_mergepath_partition_config_static_selectorELNS0_4arch9wavefront6targetE1EEEvSK_
	.globl	_ZN7rocprim17ROCPRIM_400000_NS6detail17trampoline_kernelINS0_14default_configENS1_38merge_sort_block_merge_config_selectorIaNS0_10empty_typeEEEZZNS1_27merge_sort_block_merge_implIS3_N6thrust23THRUST_200600_302600_NS6detail15normal_iteratorINS9_10device_ptrIaEEEEPS5_m14custom_greaterIaEEE10hipError_tT0_T1_T2_jT3_P12ihipStream_tbPNSt15iterator_traitsISJ_E10value_typeEPNSP_ISK_E10value_typeEPSL_NS1_7vsmem_tEENKUlT_SJ_SK_SL_E_clIPaSE_SF_SF_EESI_SY_SJ_SK_SL_EUlSY_E_NS1_11comp_targetILNS1_3genE8ELNS1_11target_archE1030ELNS1_3gpuE2ELNS1_3repE0EEENS1_48merge_mergepath_partition_config_static_selectorELNS0_4arch9wavefront6targetE1EEEvSK_
	.p2align	8
	.type	_ZN7rocprim17ROCPRIM_400000_NS6detail17trampoline_kernelINS0_14default_configENS1_38merge_sort_block_merge_config_selectorIaNS0_10empty_typeEEEZZNS1_27merge_sort_block_merge_implIS3_N6thrust23THRUST_200600_302600_NS6detail15normal_iteratorINS9_10device_ptrIaEEEEPS5_m14custom_greaterIaEEE10hipError_tT0_T1_T2_jT3_P12ihipStream_tbPNSt15iterator_traitsISJ_E10value_typeEPNSP_ISK_E10value_typeEPSL_NS1_7vsmem_tEENKUlT_SJ_SK_SL_E_clIPaSE_SF_SF_EESI_SY_SJ_SK_SL_EUlSY_E_NS1_11comp_targetILNS1_3genE8ELNS1_11target_archE1030ELNS1_3gpuE2ELNS1_3repE0EEENS1_48merge_mergepath_partition_config_static_selectorELNS0_4arch9wavefront6targetE1EEEvSK_,@function
_ZN7rocprim17ROCPRIM_400000_NS6detail17trampoline_kernelINS0_14default_configENS1_38merge_sort_block_merge_config_selectorIaNS0_10empty_typeEEEZZNS1_27merge_sort_block_merge_implIS3_N6thrust23THRUST_200600_302600_NS6detail15normal_iteratorINS9_10device_ptrIaEEEEPS5_m14custom_greaterIaEEE10hipError_tT0_T1_T2_jT3_P12ihipStream_tbPNSt15iterator_traitsISJ_E10value_typeEPNSP_ISK_E10value_typeEPSL_NS1_7vsmem_tEENKUlT_SJ_SK_SL_E_clIPaSE_SF_SF_EESI_SY_SJ_SK_SL_EUlSY_E_NS1_11comp_targetILNS1_3genE8ELNS1_11target_archE1030ELNS1_3gpuE2ELNS1_3repE0EEENS1_48merge_mergepath_partition_config_static_selectorELNS0_4arch9wavefront6targetE1EEEvSK_: ; @_ZN7rocprim17ROCPRIM_400000_NS6detail17trampoline_kernelINS0_14default_configENS1_38merge_sort_block_merge_config_selectorIaNS0_10empty_typeEEEZZNS1_27merge_sort_block_merge_implIS3_N6thrust23THRUST_200600_302600_NS6detail15normal_iteratorINS9_10device_ptrIaEEEEPS5_m14custom_greaterIaEEE10hipError_tT0_T1_T2_jT3_P12ihipStream_tbPNSt15iterator_traitsISJ_E10value_typeEPNSP_ISK_E10value_typeEPSL_NS1_7vsmem_tEENKUlT_SJ_SK_SL_E_clIPaSE_SF_SF_EESI_SY_SJ_SK_SL_EUlSY_E_NS1_11comp_targetILNS1_3genE8ELNS1_11target_archE1030ELNS1_3gpuE2ELNS1_3repE0EEENS1_48merge_mergepath_partition_config_static_selectorELNS0_4arch9wavefront6targetE1EEEvSK_
; %bb.0:
	.section	.rodata,"a",@progbits
	.p2align	6, 0x0
	.amdhsa_kernel _ZN7rocprim17ROCPRIM_400000_NS6detail17trampoline_kernelINS0_14default_configENS1_38merge_sort_block_merge_config_selectorIaNS0_10empty_typeEEEZZNS1_27merge_sort_block_merge_implIS3_N6thrust23THRUST_200600_302600_NS6detail15normal_iteratorINS9_10device_ptrIaEEEEPS5_m14custom_greaterIaEEE10hipError_tT0_T1_T2_jT3_P12ihipStream_tbPNSt15iterator_traitsISJ_E10value_typeEPNSP_ISK_E10value_typeEPSL_NS1_7vsmem_tEENKUlT_SJ_SK_SL_E_clIPaSE_SF_SF_EESI_SY_SJ_SK_SL_EUlSY_E_NS1_11comp_targetILNS1_3genE8ELNS1_11target_archE1030ELNS1_3gpuE2ELNS1_3repE0EEENS1_48merge_mergepath_partition_config_static_selectorELNS0_4arch9wavefront6targetE1EEEvSK_
		.amdhsa_group_segment_fixed_size 0
		.amdhsa_private_segment_fixed_size 0
		.amdhsa_kernarg_size 48
		.amdhsa_user_sgpr_count 6
		.amdhsa_user_sgpr_private_segment_buffer 1
		.amdhsa_user_sgpr_dispatch_ptr 0
		.amdhsa_user_sgpr_queue_ptr 0
		.amdhsa_user_sgpr_kernarg_segment_ptr 1
		.amdhsa_user_sgpr_dispatch_id 0
		.amdhsa_user_sgpr_flat_scratch_init 0
		.amdhsa_user_sgpr_kernarg_preload_length 0
		.amdhsa_user_sgpr_kernarg_preload_offset 0
		.amdhsa_user_sgpr_private_segment_size 0
		.amdhsa_uses_dynamic_stack 0
		.amdhsa_system_sgpr_private_segment_wavefront_offset 0
		.amdhsa_system_sgpr_workgroup_id_x 1
		.amdhsa_system_sgpr_workgroup_id_y 0
		.amdhsa_system_sgpr_workgroup_id_z 0
		.amdhsa_system_sgpr_workgroup_info 0
		.amdhsa_system_vgpr_workitem_id 0
		.amdhsa_next_free_vgpr 1
		.amdhsa_next_free_sgpr 0
		.amdhsa_accum_offset 4
		.amdhsa_reserve_vcc 0
		.amdhsa_reserve_flat_scratch 0
		.amdhsa_float_round_mode_32 0
		.amdhsa_float_round_mode_16_64 0
		.amdhsa_float_denorm_mode_32 3
		.amdhsa_float_denorm_mode_16_64 3
		.amdhsa_dx10_clamp 1
		.amdhsa_ieee_mode 1
		.amdhsa_fp16_overflow 0
		.amdhsa_tg_split 0
		.amdhsa_exception_fp_ieee_invalid_op 0
		.amdhsa_exception_fp_denorm_src 0
		.amdhsa_exception_fp_ieee_div_zero 0
		.amdhsa_exception_fp_ieee_overflow 0
		.amdhsa_exception_fp_ieee_underflow 0
		.amdhsa_exception_fp_ieee_inexact 0
		.amdhsa_exception_int_div_zero 0
	.end_amdhsa_kernel
	.section	.text._ZN7rocprim17ROCPRIM_400000_NS6detail17trampoline_kernelINS0_14default_configENS1_38merge_sort_block_merge_config_selectorIaNS0_10empty_typeEEEZZNS1_27merge_sort_block_merge_implIS3_N6thrust23THRUST_200600_302600_NS6detail15normal_iteratorINS9_10device_ptrIaEEEEPS5_m14custom_greaterIaEEE10hipError_tT0_T1_T2_jT3_P12ihipStream_tbPNSt15iterator_traitsISJ_E10value_typeEPNSP_ISK_E10value_typeEPSL_NS1_7vsmem_tEENKUlT_SJ_SK_SL_E_clIPaSE_SF_SF_EESI_SY_SJ_SK_SL_EUlSY_E_NS1_11comp_targetILNS1_3genE8ELNS1_11target_archE1030ELNS1_3gpuE2ELNS1_3repE0EEENS1_48merge_mergepath_partition_config_static_selectorELNS0_4arch9wavefront6targetE1EEEvSK_,"axG",@progbits,_ZN7rocprim17ROCPRIM_400000_NS6detail17trampoline_kernelINS0_14default_configENS1_38merge_sort_block_merge_config_selectorIaNS0_10empty_typeEEEZZNS1_27merge_sort_block_merge_implIS3_N6thrust23THRUST_200600_302600_NS6detail15normal_iteratorINS9_10device_ptrIaEEEEPS5_m14custom_greaterIaEEE10hipError_tT0_T1_T2_jT3_P12ihipStream_tbPNSt15iterator_traitsISJ_E10value_typeEPNSP_ISK_E10value_typeEPSL_NS1_7vsmem_tEENKUlT_SJ_SK_SL_E_clIPaSE_SF_SF_EESI_SY_SJ_SK_SL_EUlSY_E_NS1_11comp_targetILNS1_3genE8ELNS1_11target_archE1030ELNS1_3gpuE2ELNS1_3repE0EEENS1_48merge_mergepath_partition_config_static_selectorELNS0_4arch9wavefront6targetE1EEEvSK_,comdat
.Lfunc_end2792:
	.size	_ZN7rocprim17ROCPRIM_400000_NS6detail17trampoline_kernelINS0_14default_configENS1_38merge_sort_block_merge_config_selectorIaNS0_10empty_typeEEEZZNS1_27merge_sort_block_merge_implIS3_N6thrust23THRUST_200600_302600_NS6detail15normal_iteratorINS9_10device_ptrIaEEEEPS5_m14custom_greaterIaEEE10hipError_tT0_T1_T2_jT3_P12ihipStream_tbPNSt15iterator_traitsISJ_E10value_typeEPNSP_ISK_E10value_typeEPSL_NS1_7vsmem_tEENKUlT_SJ_SK_SL_E_clIPaSE_SF_SF_EESI_SY_SJ_SK_SL_EUlSY_E_NS1_11comp_targetILNS1_3genE8ELNS1_11target_archE1030ELNS1_3gpuE2ELNS1_3repE0EEENS1_48merge_mergepath_partition_config_static_selectorELNS0_4arch9wavefront6targetE1EEEvSK_, .Lfunc_end2792-_ZN7rocprim17ROCPRIM_400000_NS6detail17trampoline_kernelINS0_14default_configENS1_38merge_sort_block_merge_config_selectorIaNS0_10empty_typeEEEZZNS1_27merge_sort_block_merge_implIS3_N6thrust23THRUST_200600_302600_NS6detail15normal_iteratorINS9_10device_ptrIaEEEEPS5_m14custom_greaterIaEEE10hipError_tT0_T1_T2_jT3_P12ihipStream_tbPNSt15iterator_traitsISJ_E10value_typeEPNSP_ISK_E10value_typeEPSL_NS1_7vsmem_tEENKUlT_SJ_SK_SL_E_clIPaSE_SF_SF_EESI_SY_SJ_SK_SL_EUlSY_E_NS1_11comp_targetILNS1_3genE8ELNS1_11target_archE1030ELNS1_3gpuE2ELNS1_3repE0EEENS1_48merge_mergepath_partition_config_static_selectorELNS0_4arch9wavefront6targetE1EEEvSK_
                                        ; -- End function
	.section	.AMDGPU.csdata,"",@progbits
; Kernel info:
; codeLenInByte = 0
; NumSgprs: 4
; NumVgprs: 0
; NumAgprs: 0
; TotalNumVgprs: 0
; ScratchSize: 0
; MemoryBound: 0
; FloatMode: 240
; IeeeMode: 1
; LDSByteSize: 0 bytes/workgroup (compile time only)
; SGPRBlocks: 0
; VGPRBlocks: 0
; NumSGPRsForWavesPerEU: 4
; NumVGPRsForWavesPerEU: 1
; AccumOffset: 4
; Occupancy: 8
; WaveLimiterHint : 0
; COMPUTE_PGM_RSRC2:SCRATCH_EN: 0
; COMPUTE_PGM_RSRC2:USER_SGPR: 6
; COMPUTE_PGM_RSRC2:TRAP_HANDLER: 0
; COMPUTE_PGM_RSRC2:TGID_X_EN: 1
; COMPUTE_PGM_RSRC2:TGID_Y_EN: 0
; COMPUTE_PGM_RSRC2:TGID_Z_EN: 0
; COMPUTE_PGM_RSRC2:TIDIG_COMP_CNT: 0
; COMPUTE_PGM_RSRC3_GFX90A:ACCUM_OFFSET: 0
; COMPUTE_PGM_RSRC3_GFX90A:TG_SPLIT: 0
	.section	.text._ZN7rocprim17ROCPRIM_400000_NS6detail17trampoline_kernelINS0_14default_configENS1_38merge_sort_block_merge_config_selectorIaNS0_10empty_typeEEEZZNS1_27merge_sort_block_merge_implIS3_N6thrust23THRUST_200600_302600_NS6detail15normal_iteratorINS9_10device_ptrIaEEEEPS5_m14custom_greaterIaEEE10hipError_tT0_T1_T2_jT3_P12ihipStream_tbPNSt15iterator_traitsISJ_E10value_typeEPNSP_ISK_E10value_typeEPSL_NS1_7vsmem_tEENKUlT_SJ_SK_SL_E_clIPaSE_SF_SF_EESI_SY_SJ_SK_SL_EUlSY_E0_NS1_11comp_targetILNS1_3genE0ELNS1_11target_archE4294967295ELNS1_3gpuE0ELNS1_3repE0EEENS1_38merge_mergepath_config_static_selectorELNS0_4arch9wavefront6targetE1EEEvSK_,"axG",@progbits,_ZN7rocprim17ROCPRIM_400000_NS6detail17trampoline_kernelINS0_14default_configENS1_38merge_sort_block_merge_config_selectorIaNS0_10empty_typeEEEZZNS1_27merge_sort_block_merge_implIS3_N6thrust23THRUST_200600_302600_NS6detail15normal_iteratorINS9_10device_ptrIaEEEEPS5_m14custom_greaterIaEEE10hipError_tT0_T1_T2_jT3_P12ihipStream_tbPNSt15iterator_traitsISJ_E10value_typeEPNSP_ISK_E10value_typeEPSL_NS1_7vsmem_tEENKUlT_SJ_SK_SL_E_clIPaSE_SF_SF_EESI_SY_SJ_SK_SL_EUlSY_E0_NS1_11comp_targetILNS1_3genE0ELNS1_11target_archE4294967295ELNS1_3gpuE0ELNS1_3repE0EEENS1_38merge_mergepath_config_static_selectorELNS0_4arch9wavefront6targetE1EEEvSK_,comdat
	.protected	_ZN7rocprim17ROCPRIM_400000_NS6detail17trampoline_kernelINS0_14default_configENS1_38merge_sort_block_merge_config_selectorIaNS0_10empty_typeEEEZZNS1_27merge_sort_block_merge_implIS3_N6thrust23THRUST_200600_302600_NS6detail15normal_iteratorINS9_10device_ptrIaEEEEPS5_m14custom_greaterIaEEE10hipError_tT0_T1_T2_jT3_P12ihipStream_tbPNSt15iterator_traitsISJ_E10value_typeEPNSP_ISK_E10value_typeEPSL_NS1_7vsmem_tEENKUlT_SJ_SK_SL_E_clIPaSE_SF_SF_EESI_SY_SJ_SK_SL_EUlSY_E0_NS1_11comp_targetILNS1_3genE0ELNS1_11target_archE4294967295ELNS1_3gpuE0ELNS1_3repE0EEENS1_38merge_mergepath_config_static_selectorELNS0_4arch9wavefront6targetE1EEEvSK_ ; -- Begin function _ZN7rocprim17ROCPRIM_400000_NS6detail17trampoline_kernelINS0_14default_configENS1_38merge_sort_block_merge_config_selectorIaNS0_10empty_typeEEEZZNS1_27merge_sort_block_merge_implIS3_N6thrust23THRUST_200600_302600_NS6detail15normal_iteratorINS9_10device_ptrIaEEEEPS5_m14custom_greaterIaEEE10hipError_tT0_T1_T2_jT3_P12ihipStream_tbPNSt15iterator_traitsISJ_E10value_typeEPNSP_ISK_E10value_typeEPSL_NS1_7vsmem_tEENKUlT_SJ_SK_SL_E_clIPaSE_SF_SF_EESI_SY_SJ_SK_SL_EUlSY_E0_NS1_11comp_targetILNS1_3genE0ELNS1_11target_archE4294967295ELNS1_3gpuE0ELNS1_3repE0EEENS1_38merge_mergepath_config_static_selectorELNS0_4arch9wavefront6targetE1EEEvSK_
	.globl	_ZN7rocprim17ROCPRIM_400000_NS6detail17trampoline_kernelINS0_14default_configENS1_38merge_sort_block_merge_config_selectorIaNS0_10empty_typeEEEZZNS1_27merge_sort_block_merge_implIS3_N6thrust23THRUST_200600_302600_NS6detail15normal_iteratorINS9_10device_ptrIaEEEEPS5_m14custom_greaterIaEEE10hipError_tT0_T1_T2_jT3_P12ihipStream_tbPNSt15iterator_traitsISJ_E10value_typeEPNSP_ISK_E10value_typeEPSL_NS1_7vsmem_tEENKUlT_SJ_SK_SL_E_clIPaSE_SF_SF_EESI_SY_SJ_SK_SL_EUlSY_E0_NS1_11comp_targetILNS1_3genE0ELNS1_11target_archE4294967295ELNS1_3gpuE0ELNS1_3repE0EEENS1_38merge_mergepath_config_static_selectorELNS0_4arch9wavefront6targetE1EEEvSK_
	.p2align	8
	.type	_ZN7rocprim17ROCPRIM_400000_NS6detail17trampoline_kernelINS0_14default_configENS1_38merge_sort_block_merge_config_selectorIaNS0_10empty_typeEEEZZNS1_27merge_sort_block_merge_implIS3_N6thrust23THRUST_200600_302600_NS6detail15normal_iteratorINS9_10device_ptrIaEEEEPS5_m14custom_greaterIaEEE10hipError_tT0_T1_T2_jT3_P12ihipStream_tbPNSt15iterator_traitsISJ_E10value_typeEPNSP_ISK_E10value_typeEPSL_NS1_7vsmem_tEENKUlT_SJ_SK_SL_E_clIPaSE_SF_SF_EESI_SY_SJ_SK_SL_EUlSY_E0_NS1_11comp_targetILNS1_3genE0ELNS1_11target_archE4294967295ELNS1_3gpuE0ELNS1_3repE0EEENS1_38merge_mergepath_config_static_selectorELNS0_4arch9wavefront6targetE1EEEvSK_,@function
_ZN7rocprim17ROCPRIM_400000_NS6detail17trampoline_kernelINS0_14default_configENS1_38merge_sort_block_merge_config_selectorIaNS0_10empty_typeEEEZZNS1_27merge_sort_block_merge_implIS3_N6thrust23THRUST_200600_302600_NS6detail15normal_iteratorINS9_10device_ptrIaEEEEPS5_m14custom_greaterIaEEE10hipError_tT0_T1_T2_jT3_P12ihipStream_tbPNSt15iterator_traitsISJ_E10value_typeEPNSP_ISK_E10value_typeEPSL_NS1_7vsmem_tEENKUlT_SJ_SK_SL_E_clIPaSE_SF_SF_EESI_SY_SJ_SK_SL_EUlSY_E0_NS1_11comp_targetILNS1_3genE0ELNS1_11target_archE4294967295ELNS1_3gpuE0ELNS1_3repE0EEENS1_38merge_mergepath_config_static_selectorELNS0_4arch9wavefront6targetE1EEEvSK_: ; @_ZN7rocprim17ROCPRIM_400000_NS6detail17trampoline_kernelINS0_14default_configENS1_38merge_sort_block_merge_config_selectorIaNS0_10empty_typeEEEZZNS1_27merge_sort_block_merge_implIS3_N6thrust23THRUST_200600_302600_NS6detail15normal_iteratorINS9_10device_ptrIaEEEEPS5_m14custom_greaterIaEEE10hipError_tT0_T1_T2_jT3_P12ihipStream_tbPNSt15iterator_traitsISJ_E10value_typeEPNSP_ISK_E10value_typeEPSL_NS1_7vsmem_tEENKUlT_SJ_SK_SL_E_clIPaSE_SF_SF_EESI_SY_SJ_SK_SL_EUlSY_E0_NS1_11comp_targetILNS1_3genE0ELNS1_11target_archE4294967295ELNS1_3gpuE0ELNS1_3repE0EEENS1_38merge_mergepath_config_static_selectorELNS0_4arch9wavefront6targetE1EEEvSK_
; %bb.0:
	.section	.rodata,"a",@progbits
	.p2align	6, 0x0
	.amdhsa_kernel _ZN7rocprim17ROCPRIM_400000_NS6detail17trampoline_kernelINS0_14default_configENS1_38merge_sort_block_merge_config_selectorIaNS0_10empty_typeEEEZZNS1_27merge_sort_block_merge_implIS3_N6thrust23THRUST_200600_302600_NS6detail15normal_iteratorINS9_10device_ptrIaEEEEPS5_m14custom_greaterIaEEE10hipError_tT0_T1_T2_jT3_P12ihipStream_tbPNSt15iterator_traitsISJ_E10value_typeEPNSP_ISK_E10value_typeEPSL_NS1_7vsmem_tEENKUlT_SJ_SK_SL_E_clIPaSE_SF_SF_EESI_SY_SJ_SK_SL_EUlSY_E0_NS1_11comp_targetILNS1_3genE0ELNS1_11target_archE4294967295ELNS1_3gpuE0ELNS1_3repE0EEENS1_38merge_mergepath_config_static_selectorELNS0_4arch9wavefront6targetE1EEEvSK_
		.amdhsa_group_segment_fixed_size 0
		.amdhsa_private_segment_fixed_size 0
		.amdhsa_kernarg_size 72
		.amdhsa_user_sgpr_count 6
		.amdhsa_user_sgpr_private_segment_buffer 1
		.amdhsa_user_sgpr_dispatch_ptr 0
		.amdhsa_user_sgpr_queue_ptr 0
		.amdhsa_user_sgpr_kernarg_segment_ptr 1
		.amdhsa_user_sgpr_dispatch_id 0
		.amdhsa_user_sgpr_flat_scratch_init 0
		.amdhsa_user_sgpr_kernarg_preload_length 0
		.amdhsa_user_sgpr_kernarg_preload_offset 0
		.amdhsa_user_sgpr_private_segment_size 0
		.amdhsa_uses_dynamic_stack 0
		.amdhsa_system_sgpr_private_segment_wavefront_offset 0
		.amdhsa_system_sgpr_workgroup_id_x 1
		.amdhsa_system_sgpr_workgroup_id_y 0
		.amdhsa_system_sgpr_workgroup_id_z 0
		.amdhsa_system_sgpr_workgroup_info 0
		.amdhsa_system_vgpr_workitem_id 0
		.amdhsa_next_free_vgpr 1
		.amdhsa_next_free_sgpr 0
		.amdhsa_accum_offset 4
		.amdhsa_reserve_vcc 0
		.amdhsa_reserve_flat_scratch 0
		.amdhsa_float_round_mode_32 0
		.amdhsa_float_round_mode_16_64 0
		.amdhsa_float_denorm_mode_32 3
		.amdhsa_float_denorm_mode_16_64 3
		.amdhsa_dx10_clamp 1
		.amdhsa_ieee_mode 1
		.amdhsa_fp16_overflow 0
		.amdhsa_tg_split 0
		.amdhsa_exception_fp_ieee_invalid_op 0
		.amdhsa_exception_fp_denorm_src 0
		.amdhsa_exception_fp_ieee_div_zero 0
		.amdhsa_exception_fp_ieee_overflow 0
		.amdhsa_exception_fp_ieee_underflow 0
		.amdhsa_exception_fp_ieee_inexact 0
		.amdhsa_exception_int_div_zero 0
	.end_amdhsa_kernel
	.section	.text._ZN7rocprim17ROCPRIM_400000_NS6detail17trampoline_kernelINS0_14default_configENS1_38merge_sort_block_merge_config_selectorIaNS0_10empty_typeEEEZZNS1_27merge_sort_block_merge_implIS3_N6thrust23THRUST_200600_302600_NS6detail15normal_iteratorINS9_10device_ptrIaEEEEPS5_m14custom_greaterIaEEE10hipError_tT0_T1_T2_jT3_P12ihipStream_tbPNSt15iterator_traitsISJ_E10value_typeEPNSP_ISK_E10value_typeEPSL_NS1_7vsmem_tEENKUlT_SJ_SK_SL_E_clIPaSE_SF_SF_EESI_SY_SJ_SK_SL_EUlSY_E0_NS1_11comp_targetILNS1_3genE0ELNS1_11target_archE4294967295ELNS1_3gpuE0ELNS1_3repE0EEENS1_38merge_mergepath_config_static_selectorELNS0_4arch9wavefront6targetE1EEEvSK_,"axG",@progbits,_ZN7rocprim17ROCPRIM_400000_NS6detail17trampoline_kernelINS0_14default_configENS1_38merge_sort_block_merge_config_selectorIaNS0_10empty_typeEEEZZNS1_27merge_sort_block_merge_implIS3_N6thrust23THRUST_200600_302600_NS6detail15normal_iteratorINS9_10device_ptrIaEEEEPS5_m14custom_greaterIaEEE10hipError_tT0_T1_T2_jT3_P12ihipStream_tbPNSt15iterator_traitsISJ_E10value_typeEPNSP_ISK_E10value_typeEPSL_NS1_7vsmem_tEENKUlT_SJ_SK_SL_E_clIPaSE_SF_SF_EESI_SY_SJ_SK_SL_EUlSY_E0_NS1_11comp_targetILNS1_3genE0ELNS1_11target_archE4294967295ELNS1_3gpuE0ELNS1_3repE0EEENS1_38merge_mergepath_config_static_selectorELNS0_4arch9wavefront6targetE1EEEvSK_,comdat
.Lfunc_end2793:
	.size	_ZN7rocprim17ROCPRIM_400000_NS6detail17trampoline_kernelINS0_14default_configENS1_38merge_sort_block_merge_config_selectorIaNS0_10empty_typeEEEZZNS1_27merge_sort_block_merge_implIS3_N6thrust23THRUST_200600_302600_NS6detail15normal_iteratorINS9_10device_ptrIaEEEEPS5_m14custom_greaterIaEEE10hipError_tT0_T1_T2_jT3_P12ihipStream_tbPNSt15iterator_traitsISJ_E10value_typeEPNSP_ISK_E10value_typeEPSL_NS1_7vsmem_tEENKUlT_SJ_SK_SL_E_clIPaSE_SF_SF_EESI_SY_SJ_SK_SL_EUlSY_E0_NS1_11comp_targetILNS1_3genE0ELNS1_11target_archE4294967295ELNS1_3gpuE0ELNS1_3repE0EEENS1_38merge_mergepath_config_static_selectorELNS0_4arch9wavefront6targetE1EEEvSK_, .Lfunc_end2793-_ZN7rocprim17ROCPRIM_400000_NS6detail17trampoline_kernelINS0_14default_configENS1_38merge_sort_block_merge_config_selectorIaNS0_10empty_typeEEEZZNS1_27merge_sort_block_merge_implIS3_N6thrust23THRUST_200600_302600_NS6detail15normal_iteratorINS9_10device_ptrIaEEEEPS5_m14custom_greaterIaEEE10hipError_tT0_T1_T2_jT3_P12ihipStream_tbPNSt15iterator_traitsISJ_E10value_typeEPNSP_ISK_E10value_typeEPSL_NS1_7vsmem_tEENKUlT_SJ_SK_SL_E_clIPaSE_SF_SF_EESI_SY_SJ_SK_SL_EUlSY_E0_NS1_11comp_targetILNS1_3genE0ELNS1_11target_archE4294967295ELNS1_3gpuE0ELNS1_3repE0EEENS1_38merge_mergepath_config_static_selectorELNS0_4arch9wavefront6targetE1EEEvSK_
                                        ; -- End function
	.section	.AMDGPU.csdata,"",@progbits
; Kernel info:
; codeLenInByte = 0
; NumSgprs: 4
; NumVgprs: 0
; NumAgprs: 0
; TotalNumVgprs: 0
; ScratchSize: 0
; MemoryBound: 0
; FloatMode: 240
; IeeeMode: 1
; LDSByteSize: 0 bytes/workgroup (compile time only)
; SGPRBlocks: 0
; VGPRBlocks: 0
; NumSGPRsForWavesPerEU: 4
; NumVGPRsForWavesPerEU: 1
; AccumOffset: 4
; Occupancy: 8
; WaveLimiterHint : 0
; COMPUTE_PGM_RSRC2:SCRATCH_EN: 0
; COMPUTE_PGM_RSRC2:USER_SGPR: 6
; COMPUTE_PGM_RSRC2:TRAP_HANDLER: 0
; COMPUTE_PGM_RSRC2:TGID_X_EN: 1
; COMPUTE_PGM_RSRC2:TGID_Y_EN: 0
; COMPUTE_PGM_RSRC2:TGID_Z_EN: 0
; COMPUTE_PGM_RSRC2:TIDIG_COMP_CNT: 0
; COMPUTE_PGM_RSRC3_GFX90A:ACCUM_OFFSET: 0
; COMPUTE_PGM_RSRC3_GFX90A:TG_SPLIT: 0
	.section	.text._ZN7rocprim17ROCPRIM_400000_NS6detail17trampoline_kernelINS0_14default_configENS1_38merge_sort_block_merge_config_selectorIaNS0_10empty_typeEEEZZNS1_27merge_sort_block_merge_implIS3_N6thrust23THRUST_200600_302600_NS6detail15normal_iteratorINS9_10device_ptrIaEEEEPS5_m14custom_greaterIaEEE10hipError_tT0_T1_T2_jT3_P12ihipStream_tbPNSt15iterator_traitsISJ_E10value_typeEPNSP_ISK_E10value_typeEPSL_NS1_7vsmem_tEENKUlT_SJ_SK_SL_E_clIPaSE_SF_SF_EESI_SY_SJ_SK_SL_EUlSY_E0_NS1_11comp_targetILNS1_3genE10ELNS1_11target_archE1201ELNS1_3gpuE5ELNS1_3repE0EEENS1_38merge_mergepath_config_static_selectorELNS0_4arch9wavefront6targetE1EEEvSK_,"axG",@progbits,_ZN7rocprim17ROCPRIM_400000_NS6detail17trampoline_kernelINS0_14default_configENS1_38merge_sort_block_merge_config_selectorIaNS0_10empty_typeEEEZZNS1_27merge_sort_block_merge_implIS3_N6thrust23THRUST_200600_302600_NS6detail15normal_iteratorINS9_10device_ptrIaEEEEPS5_m14custom_greaterIaEEE10hipError_tT0_T1_T2_jT3_P12ihipStream_tbPNSt15iterator_traitsISJ_E10value_typeEPNSP_ISK_E10value_typeEPSL_NS1_7vsmem_tEENKUlT_SJ_SK_SL_E_clIPaSE_SF_SF_EESI_SY_SJ_SK_SL_EUlSY_E0_NS1_11comp_targetILNS1_3genE10ELNS1_11target_archE1201ELNS1_3gpuE5ELNS1_3repE0EEENS1_38merge_mergepath_config_static_selectorELNS0_4arch9wavefront6targetE1EEEvSK_,comdat
	.protected	_ZN7rocprim17ROCPRIM_400000_NS6detail17trampoline_kernelINS0_14default_configENS1_38merge_sort_block_merge_config_selectorIaNS0_10empty_typeEEEZZNS1_27merge_sort_block_merge_implIS3_N6thrust23THRUST_200600_302600_NS6detail15normal_iteratorINS9_10device_ptrIaEEEEPS5_m14custom_greaterIaEEE10hipError_tT0_T1_T2_jT3_P12ihipStream_tbPNSt15iterator_traitsISJ_E10value_typeEPNSP_ISK_E10value_typeEPSL_NS1_7vsmem_tEENKUlT_SJ_SK_SL_E_clIPaSE_SF_SF_EESI_SY_SJ_SK_SL_EUlSY_E0_NS1_11comp_targetILNS1_3genE10ELNS1_11target_archE1201ELNS1_3gpuE5ELNS1_3repE0EEENS1_38merge_mergepath_config_static_selectorELNS0_4arch9wavefront6targetE1EEEvSK_ ; -- Begin function _ZN7rocprim17ROCPRIM_400000_NS6detail17trampoline_kernelINS0_14default_configENS1_38merge_sort_block_merge_config_selectorIaNS0_10empty_typeEEEZZNS1_27merge_sort_block_merge_implIS3_N6thrust23THRUST_200600_302600_NS6detail15normal_iteratorINS9_10device_ptrIaEEEEPS5_m14custom_greaterIaEEE10hipError_tT0_T1_T2_jT3_P12ihipStream_tbPNSt15iterator_traitsISJ_E10value_typeEPNSP_ISK_E10value_typeEPSL_NS1_7vsmem_tEENKUlT_SJ_SK_SL_E_clIPaSE_SF_SF_EESI_SY_SJ_SK_SL_EUlSY_E0_NS1_11comp_targetILNS1_3genE10ELNS1_11target_archE1201ELNS1_3gpuE5ELNS1_3repE0EEENS1_38merge_mergepath_config_static_selectorELNS0_4arch9wavefront6targetE1EEEvSK_
	.globl	_ZN7rocprim17ROCPRIM_400000_NS6detail17trampoline_kernelINS0_14default_configENS1_38merge_sort_block_merge_config_selectorIaNS0_10empty_typeEEEZZNS1_27merge_sort_block_merge_implIS3_N6thrust23THRUST_200600_302600_NS6detail15normal_iteratorINS9_10device_ptrIaEEEEPS5_m14custom_greaterIaEEE10hipError_tT0_T1_T2_jT3_P12ihipStream_tbPNSt15iterator_traitsISJ_E10value_typeEPNSP_ISK_E10value_typeEPSL_NS1_7vsmem_tEENKUlT_SJ_SK_SL_E_clIPaSE_SF_SF_EESI_SY_SJ_SK_SL_EUlSY_E0_NS1_11comp_targetILNS1_3genE10ELNS1_11target_archE1201ELNS1_3gpuE5ELNS1_3repE0EEENS1_38merge_mergepath_config_static_selectorELNS0_4arch9wavefront6targetE1EEEvSK_
	.p2align	8
	.type	_ZN7rocprim17ROCPRIM_400000_NS6detail17trampoline_kernelINS0_14default_configENS1_38merge_sort_block_merge_config_selectorIaNS0_10empty_typeEEEZZNS1_27merge_sort_block_merge_implIS3_N6thrust23THRUST_200600_302600_NS6detail15normal_iteratorINS9_10device_ptrIaEEEEPS5_m14custom_greaterIaEEE10hipError_tT0_T1_T2_jT3_P12ihipStream_tbPNSt15iterator_traitsISJ_E10value_typeEPNSP_ISK_E10value_typeEPSL_NS1_7vsmem_tEENKUlT_SJ_SK_SL_E_clIPaSE_SF_SF_EESI_SY_SJ_SK_SL_EUlSY_E0_NS1_11comp_targetILNS1_3genE10ELNS1_11target_archE1201ELNS1_3gpuE5ELNS1_3repE0EEENS1_38merge_mergepath_config_static_selectorELNS0_4arch9wavefront6targetE1EEEvSK_,@function
_ZN7rocprim17ROCPRIM_400000_NS6detail17trampoline_kernelINS0_14default_configENS1_38merge_sort_block_merge_config_selectorIaNS0_10empty_typeEEEZZNS1_27merge_sort_block_merge_implIS3_N6thrust23THRUST_200600_302600_NS6detail15normal_iteratorINS9_10device_ptrIaEEEEPS5_m14custom_greaterIaEEE10hipError_tT0_T1_T2_jT3_P12ihipStream_tbPNSt15iterator_traitsISJ_E10value_typeEPNSP_ISK_E10value_typeEPSL_NS1_7vsmem_tEENKUlT_SJ_SK_SL_E_clIPaSE_SF_SF_EESI_SY_SJ_SK_SL_EUlSY_E0_NS1_11comp_targetILNS1_3genE10ELNS1_11target_archE1201ELNS1_3gpuE5ELNS1_3repE0EEENS1_38merge_mergepath_config_static_selectorELNS0_4arch9wavefront6targetE1EEEvSK_: ; @_ZN7rocprim17ROCPRIM_400000_NS6detail17trampoline_kernelINS0_14default_configENS1_38merge_sort_block_merge_config_selectorIaNS0_10empty_typeEEEZZNS1_27merge_sort_block_merge_implIS3_N6thrust23THRUST_200600_302600_NS6detail15normal_iteratorINS9_10device_ptrIaEEEEPS5_m14custom_greaterIaEEE10hipError_tT0_T1_T2_jT3_P12ihipStream_tbPNSt15iterator_traitsISJ_E10value_typeEPNSP_ISK_E10value_typeEPSL_NS1_7vsmem_tEENKUlT_SJ_SK_SL_E_clIPaSE_SF_SF_EESI_SY_SJ_SK_SL_EUlSY_E0_NS1_11comp_targetILNS1_3genE10ELNS1_11target_archE1201ELNS1_3gpuE5ELNS1_3repE0EEENS1_38merge_mergepath_config_static_selectorELNS0_4arch9wavefront6targetE1EEEvSK_
; %bb.0:
	.section	.rodata,"a",@progbits
	.p2align	6, 0x0
	.amdhsa_kernel _ZN7rocprim17ROCPRIM_400000_NS6detail17trampoline_kernelINS0_14default_configENS1_38merge_sort_block_merge_config_selectorIaNS0_10empty_typeEEEZZNS1_27merge_sort_block_merge_implIS3_N6thrust23THRUST_200600_302600_NS6detail15normal_iteratorINS9_10device_ptrIaEEEEPS5_m14custom_greaterIaEEE10hipError_tT0_T1_T2_jT3_P12ihipStream_tbPNSt15iterator_traitsISJ_E10value_typeEPNSP_ISK_E10value_typeEPSL_NS1_7vsmem_tEENKUlT_SJ_SK_SL_E_clIPaSE_SF_SF_EESI_SY_SJ_SK_SL_EUlSY_E0_NS1_11comp_targetILNS1_3genE10ELNS1_11target_archE1201ELNS1_3gpuE5ELNS1_3repE0EEENS1_38merge_mergepath_config_static_selectorELNS0_4arch9wavefront6targetE1EEEvSK_
		.amdhsa_group_segment_fixed_size 0
		.amdhsa_private_segment_fixed_size 0
		.amdhsa_kernarg_size 72
		.amdhsa_user_sgpr_count 6
		.amdhsa_user_sgpr_private_segment_buffer 1
		.amdhsa_user_sgpr_dispatch_ptr 0
		.amdhsa_user_sgpr_queue_ptr 0
		.amdhsa_user_sgpr_kernarg_segment_ptr 1
		.amdhsa_user_sgpr_dispatch_id 0
		.amdhsa_user_sgpr_flat_scratch_init 0
		.amdhsa_user_sgpr_kernarg_preload_length 0
		.amdhsa_user_sgpr_kernarg_preload_offset 0
		.amdhsa_user_sgpr_private_segment_size 0
		.amdhsa_uses_dynamic_stack 0
		.amdhsa_system_sgpr_private_segment_wavefront_offset 0
		.amdhsa_system_sgpr_workgroup_id_x 1
		.amdhsa_system_sgpr_workgroup_id_y 0
		.amdhsa_system_sgpr_workgroup_id_z 0
		.amdhsa_system_sgpr_workgroup_info 0
		.amdhsa_system_vgpr_workitem_id 0
		.amdhsa_next_free_vgpr 1
		.amdhsa_next_free_sgpr 0
		.amdhsa_accum_offset 4
		.amdhsa_reserve_vcc 0
		.amdhsa_reserve_flat_scratch 0
		.amdhsa_float_round_mode_32 0
		.amdhsa_float_round_mode_16_64 0
		.amdhsa_float_denorm_mode_32 3
		.amdhsa_float_denorm_mode_16_64 3
		.amdhsa_dx10_clamp 1
		.amdhsa_ieee_mode 1
		.amdhsa_fp16_overflow 0
		.amdhsa_tg_split 0
		.amdhsa_exception_fp_ieee_invalid_op 0
		.amdhsa_exception_fp_denorm_src 0
		.amdhsa_exception_fp_ieee_div_zero 0
		.amdhsa_exception_fp_ieee_overflow 0
		.amdhsa_exception_fp_ieee_underflow 0
		.amdhsa_exception_fp_ieee_inexact 0
		.amdhsa_exception_int_div_zero 0
	.end_amdhsa_kernel
	.section	.text._ZN7rocprim17ROCPRIM_400000_NS6detail17trampoline_kernelINS0_14default_configENS1_38merge_sort_block_merge_config_selectorIaNS0_10empty_typeEEEZZNS1_27merge_sort_block_merge_implIS3_N6thrust23THRUST_200600_302600_NS6detail15normal_iteratorINS9_10device_ptrIaEEEEPS5_m14custom_greaterIaEEE10hipError_tT0_T1_T2_jT3_P12ihipStream_tbPNSt15iterator_traitsISJ_E10value_typeEPNSP_ISK_E10value_typeEPSL_NS1_7vsmem_tEENKUlT_SJ_SK_SL_E_clIPaSE_SF_SF_EESI_SY_SJ_SK_SL_EUlSY_E0_NS1_11comp_targetILNS1_3genE10ELNS1_11target_archE1201ELNS1_3gpuE5ELNS1_3repE0EEENS1_38merge_mergepath_config_static_selectorELNS0_4arch9wavefront6targetE1EEEvSK_,"axG",@progbits,_ZN7rocprim17ROCPRIM_400000_NS6detail17trampoline_kernelINS0_14default_configENS1_38merge_sort_block_merge_config_selectorIaNS0_10empty_typeEEEZZNS1_27merge_sort_block_merge_implIS3_N6thrust23THRUST_200600_302600_NS6detail15normal_iteratorINS9_10device_ptrIaEEEEPS5_m14custom_greaterIaEEE10hipError_tT0_T1_T2_jT3_P12ihipStream_tbPNSt15iterator_traitsISJ_E10value_typeEPNSP_ISK_E10value_typeEPSL_NS1_7vsmem_tEENKUlT_SJ_SK_SL_E_clIPaSE_SF_SF_EESI_SY_SJ_SK_SL_EUlSY_E0_NS1_11comp_targetILNS1_3genE10ELNS1_11target_archE1201ELNS1_3gpuE5ELNS1_3repE0EEENS1_38merge_mergepath_config_static_selectorELNS0_4arch9wavefront6targetE1EEEvSK_,comdat
.Lfunc_end2794:
	.size	_ZN7rocprim17ROCPRIM_400000_NS6detail17trampoline_kernelINS0_14default_configENS1_38merge_sort_block_merge_config_selectorIaNS0_10empty_typeEEEZZNS1_27merge_sort_block_merge_implIS3_N6thrust23THRUST_200600_302600_NS6detail15normal_iteratorINS9_10device_ptrIaEEEEPS5_m14custom_greaterIaEEE10hipError_tT0_T1_T2_jT3_P12ihipStream_tbPNSt15iterator_traitsISJ_E10value_typeEPNSP_ISK_E10value_typeEPSL_NS1_7vsmem_tEENKUlT_SJ_SK_SL_E_clIPaSE_SF_SF_EESI_SY_SJ_SK_SL_EUlSY_E0_NS1_11comp_targetILNS1_3genE10ELNS1_11target_archE1201ELNS1_3gpuE5ELNS1_3repE0EEENS1_38merge_mergepath_config_static_selectorELNS0_4arch9wavefront6targetE1EEEvSK_, .Lfunc_end2794-_ZN7rocprim17ROCPRIM_400000_NS6detail17trampoline_kernelINS0_14default_configENS1_38merge_sort_block_merge_config_selectorIaNS0_10empty_typeEEEZZNS1_27merge_sort_block_merge_implIS3_N6thrust23THRUST_200600_302600_NS6detail15normal_iteratorINS9_10device_ptrIaEEEEPS5_m14custom_greaterIaEEE10hipError_tT0_T1_T2_jT3_P12ihipStream_tbPNSt15iterator_traitsISJ_E10value_typeEPNSP_ISK_E10value_typeEPSL_NS1_7vsmem_tEENKUlT_SJ_SK_SL_E_clIPaSE_SF_SF_EESI_SY_SJ_SK_SL_EUlSY_E0_NS1_11comp_targetILNS1_3genE10ELNS1_11target_archE1201ELNS1_3gpuE5ELNS1_3repE0EEENS1_38merge_mergepath_config_static_selectorELNS0_4arch9wavefront6targetE1EEEvSK_
                                        ; -- End function
	.section	.AMDGPU.csdata,"",@progbits
; Kernel info:
; codeLenInByte = 0
; NumSgprs: 4
; NumVgprs: 0
; NumAgprs: 0
; TotalNumVgprs: 0
; ScratchSize: 0
; MemoryBound: 0
; FloatMode: 240
; IeeeMode: 1
; LDSByteSize: 0 bytes/workgroup (compile time only)
; SGPRBlocks: 0
; VGPRBlocks: 0
; NumSGPRsForWavesPerEU: 4
; NumVGPRsForWavesPerEU: 1
; AccumOffset: 4
; Occupancy: 8
; WaveLimiterHint : 0
; COMPUTE_PGM_RSRC2:SCRATCH_EN: 0
; COMPUTE_PGM_RSRC2:USER_SGPR: 6
; COMPUTE_PGM_RSRC2:TRAP_HANDLER: 0
; COMPUTE_PGM_RSRC2:TGID_X_EN: 1
; COMPUTE_PGM_RSRC2:TGID_Y_EN: 0
; COMPUTE_PGM_RSRC2:TGID_Z_EN: 0
; COMPUTE_PGM_RSRC2:TIDIG_COMP_CNT: 0
; COMPUTE_PGM_RSRC3_GFX90A:ACCUM_OFFSET: 0
; COMPUTE_PGM_RSRC3_GFX90A:TG_SPLIT: 0
	.section	.text._ZN7rocprim17ROCPRIM_400000_NS6detail17trampoline_kernelINS0_14default_configENS1_38merge_sort_block_merge_config_selectorIaNS0_10empty_typeEEEZZNS1_27merge_sort_block_merge_implIS3_N6thrust23THRUST_200600_302600_NS6detail15normal_iteratorINS9_10device_ptrIaEEEEPS5_m14custom_greaterIaEEE10hipError_tT0_T1_T2_jT3_P12ihipStream_tbPNSt15iterator_traitsISJ_E10value_typeEPNSP_ISK_E10value_typeEPSL_NS1_7vsmem_tEENKUlT_SJ_SK_SL_E_clIPaSE_SF_SF_EESI_SY_SJ_SK_SL_EUlSY_E0_NS1_11comp_targetILNS1_3genE5ELNS1_11target_archE942ELNS1_3gpuE9ELNS1_3repE0EEENS1_38merge_mergepath_config_static_selectorELNS0_4arch9wavefront6targetE1EEEvSK_,"axG",@progbits,_ZN7rocprim17ROCPRIM_400000_NS6detail17trampoline_kernelINS0_14default_configENS1_38merge_sort_block_merge_config_selectorIaNS0_10empty_typeEEEZZNS1_27merge_sort_block_merge_implIS3_N6thrust23THRUST_200600_302600_NS6detail15normal_iteratorINS9_10device_ptrIaEEEEPS5_m14custom_greaterIaEEE10hipError_tT0_T1_T2_jT3_P12ihipStream_tbPNSt15iterator_traitsISJ_E10value_typeEPNSP_ISK_E10value_typeEPSL_NS1_7vsmem_tEENKUlT_SJ_SK_SL_E_clIPaSE_SF_SF_EESI_SY_SJ_SK_SL_EUlSY_E0_NS1_11comp_targetILNS1_3genE5ELNS1_11target_archE942ELNS1_3gpuE9ELNS1_3repE0EEENS1_38merge_mergepath_config_static_selectorELNS0_4arch9wavefront6targetE1EEEvSK_,comdat
	.protected	_ZN7rocprim17ROCPRIM_400000_NS6detail17trampoline_kernelINS0_14default_configENS1_38merge_sort_block_merge_config_selectorIaNS0_10empty_typeEEEZZNS1_27merge_sort_block_merge_implIS3_N6thrust23THRUST_200600_302600_NS6detail15normal_iteratorINS9_10device_ptrIaEEEEPS5_m14custom_greaterIaEEE10hipError_tT0_T1_T2_jT3_P12ihipStream_tbPNSt15iterator_traitsISJ_E10value_typeEPNSP_ISK_E10value_typeEPSL_NS1_7vsmem_tEENKUlT_SJ_SK_SL_E_clIPaSE_SF_SF_EESI_SY_SJ_SK_SL_EUlSY_E0_NS1_11comp_targetILNS1_3genE5ELNS1_11target_archE942ELNS1_3gpuE9ELNS1_3repE0EEENS1_38merge_mergepath_config_static_selectorELNS0_4arch9wavefront6targetE1EEEvSK_ ; -- Begin function _ZN7rocprim17ROCPRIM_400000_NS6detail17trampoline_kernelINS0_14default_configENS1_38merge_sort_block_merge_config_selectorIaNS0_10empty_typeEEEZZNS1_27merge_sort_block_merge_implIS3_N6thrust23THRUST_200600_302600_NS6detail15normal_iteratorINS9_10device_ptrIaEEEEPS5_m14custom_greaterIaEEE10hipError_tT0_T1_T2_jT3_P12ihipStream_tbPNSt15iterator_traitsISJ_E10value_typeEPNSP_ISK_E10value_typeEPSL_NS1_7vsmem_tEENKUlT_SJ_SK_SL_E_clIPaSE_SF_SF_EESI_SY_SJ_SK_SL_EUlSY_E0_NS1_11comp_targetILNS1_3genE5ELNS1_11target_archE942ELNS1_3gpuE9ELNS1_3repE0EEENS1_38merge_mergepath_config_static_selectorELNS0_4arch9wavefront6targetE1EEEvSK_
	.globl	_ZN7rocprim17ROCPRIM_400000_NS6detail17trampoline_kernelINS0_14default_configENS1_38merge_sort_block_merge_config_selectorIaNS0_10empty_typeEEEZZNS1_27merge_sort_block_merge_implIS3_N6thrust23THRUST_200600_302600_NS6detail15normal_iteratorINS9_10device_ptrIaEEEEPS5_m14custom_greaterIaEEE10hipError_tT0_T1_T2_jT3_P12ihipStream_tbPNSt15iterator_traitsISJ_E10value_typeEPNSP_ISK_E10value_typeEPSL_NS1_7vsmem_tEENKUlT_SJ_SK_SL_E_clIPaSE_SF_SF_EESI_SY_SJ_SK_SL_EUlSY_E0_NS1_11comp_targetILNS1_3genE5ELNS1_11target_archE942ELNS1_3gpuE9ELNS1_3repE0EEENS1_38merge_mergepath_config_static_selectorELNS0_4arch9wavefront6targetE1EEEvSK_
	.p2align	8
	.type	_ZN7rocprim17ROCPRIM_400000_NS6detail17trampoline_kernelINS0_14default_configENS1_38merge_sort_block_merge_config_selectorIaNS0_10empty_typeEEEZZNS1_27merge_sort_block_merge_implIS3_N6thrust23THRUST_200600_302600_NS6detail15normal_iteratorINS9_10device_ptrIaEEEEPS5_m14custom_greaterIaEEE10hipError_tT0_T1_T2_jT3_P12ihipStream_tbPNSt15iterator_traitsISJ_E10value_typeEPNSP_ISK_E10value_typeEPSL_NS1_7vsmem_tEENKUlT_SJ_SK_SL_E_clIPaSE_SF_SF_EESI_SY_SJ_SK_SL_EUlSY_E0_NS1_11comp_targetILNS1_3genE5ELNS1_11target_archE942ELNS1_3gpuE9ELNS1_3repE0EEENS1_38merge_mergepath_config_static_selectorELNS0_4arch9wavefront6targetE1EEEvSK_,@function
_ZN7rocprim17ROCPRIM_400000_NS6detail17trampoline_kernelINS0_14default_configENS1_38merge_sort_block_merge_config_selectorIaNS0_10empty_typeEEEZZNS1_27merge_sort_block_merge_implIS3_N6thrust23THRUST_200600_302600_NS6detail15normal_iteratorINS9_10device_ptrIaEEEEPS5_m14custom_greaterIaEEE10hipError_tT0_T1_T2_jT3_P12ihipStream_tbPNSt15iterator_traitsISJ_E10value_typeEPNSP_ISK_E10value_typeEPSL_NS1_7vsmem_tEENKUlT_SJ_SK_SL_E_clIPaSE_SF_SF_EESI_SY_SJ_SK_SL_EUlSY_E0_NS1_11comp_targetILNS1_3genE5ELNS1_11target_archE942ELNS1_3gpuE9ELNS1_3repE0EEENS1_38merge_mergepath_config_static_selectorELNS0_4arch9wavefront6targetE1EEEvSK_: ; @_ZN7rocprim17ROCPRIM_400000_NS6detail17trampoline_kernelINS0_14default_configENS1_38merge_sort_block_merge_config_selectorIaNS0_10empty_typeEEEZZNS1_27merge_sort_block_merge_implIS3_N6thrust23THRUST_200600_302600_NS6detail15normal_iteratorINS9_10device_ptrIaEEEEPS5_m14custom_greaterIaEEE10hipError_tT0_T1_T2_jT3_P12ihipStream_tbPNSt15iterator_traitsISJ_E10value_typeEPNSP_ISK_E10value_typeEPSL_NS1_7vsmem_tEENKUlT_SJ_SK_SL_E_clIPaSE_SF_SF_EESI_SY_SJ_SK_SL_EUlSY_E0_NS1_11comp_targetILNS1_3genE5ELNS1_11target_archE942ELNS1_3gpuE9ELNS1_3repE0EEENS1_38merge_mergepath_config_static_selectorELNS0_4arch9wavefront6targetE1EEEvSK_
; %bb.0:
	.section	.rodata,"a",@progbits
	.p2align	6, 0x0
	.amdhsa_kernel _ZN7rocprim17ROCPRIM_400000_NS6detail17trampoline_kernelINS0_14default_configENS1_38merge_sort_block_merge_config_selectorIaNS0_10empty_typeEEEZZNS1_27merge_sort_block_merge_implIS3_N6thrust23THRUST_200600_302600_NS6detail15normal_iteratorINS9_10device_ptrIaEEEEPS5_m14custom_greaterIaEEE10hipError_tT0_T1_T2_jT3_P12ihipStream_tbPNSt15iterator_traitsISJ_E10value_typeEPNSP_ISK_E10value_typeEPSL_NS1_7vsmem_tEENKUlT_SJ_SK_SL_E_clIPaSE_SF_SF_EESI_SY_SJ_SK_SL_EUlSY_E0_NS1_11comp_targetILNS1_3genE5ELNS1_11target_archE942ELNS1_3gpuE9ELNS1_3repE0EEENS1_38merge_mergepath_config_static_selectorELNS0_4arch9wavefront6targetE1EEEvSK_
		.amdhsa_group_segment_fixed_size 0
		.amdhsa_private_segment_fixed_size 0
		.amdhsa_kernarg_size 72
		.amdhsa_user_sgpr_count 6
		.amdhsa_user_sgpr_private_segment_buffer 1
		.amdhsa_user_sgpr_dispatch_ptr 0
		.amdhsa_user_sgpr_queue_ptr 0
		.amdhsa_user_sgpr_kernarg_segment_ptr 1
		.amdhsa_user_sgpr_dispatch_id 0
		.amdhsa_user_sgpr_flat_scratch_init 0
		.amdhsa_user_sgpr_kernarg_preload_length 0
		.amdhsa_user_sgpr_kernarg_preload_offset 0
		.amdhsa_user_sgpr_private_segment_size 0
		.amdhsa_uses_dynamic_stack 0
		.amdhsa_system_sgpr_private_segment_wavefront_offset 0
		.amdhsa_system_sgpr_workgroup_id_x 1
		.amdhsa_system_sgpr_workgroup_id_y 0
		.amdhsa_system_sgpr_workgroup_id_z 0
		.amdhsa_system_sgpr_workgroup_info 0
		.amdhsa_system_vgpr_workitem_id 0
		.amdhsa_next_free_vgpr 1
		.amdhsa_next_free_sgpr 0
		.amdhsa_accum_offset 4
		.amdhsa_reserve_vcc 0
		.amdhsa_reserve_flat_scratch 0
		.amdhsa_float_round_mode_32 0
		.amdhsa_float_round_mode_16_64 0
		.amdhsa_float_denorm_mode_32 3
		.amdhsa_float_denorm_mode_16_64 3
		.amdhsa_dx10_clamp 1
		.amdhsa_ieee_mode 1
		.amdhsa_fp16_overflow 0
		.amdhsa_tg_split 0
		.amdhsa_exception_fp_ieee_invalid_op 0
		.amdhsa_exception_fp_denorm_src 0
		.amdhsa_exception_fp_ieee_div_zero 0
		.amdhsa_exception_fp_ieee_overflow 0
		.amdhsa_exception_fp_ieee_underflow 0
		.amdhsa_exception_fp_ieee_inexact 0
		.amdhsa_exception_int_div_zero 0
	.end_amdhsa_kernel
	.section	.text._ZN7rocprim17ROCPRIM_400000_NS6detail17trampoline_kernelINS0_14default_configENS1_38merge_sort_block_merge_config_selectorIaNS0_10empty_typeEEEZZNS1_27merge_sort_block_merge_implIS3_N6thrust23THRUST_200600_302600_NS6detail15normal_iteratorINS9_10device_ptrIaEEEEPS5_m14custom_greaterIaEEE10hipError_tT0_T1_T2_jT3_P12ihipStream_tbPNSt15iterator_traitsISJ_E10value_typeEPNSP_ISK_E10value_typeEPSL_NS1_7vsmem_tEENKUlT_SJ_SK_SL_E_clIPaSE_SF_SF_EESI_SY_SJ_SK_SL_EUlSY_E0_NS1_11comp_targetILNS1_3genE5ELNS1_11target_archE942ELNS1_3gpuE9ELNS1_3repE0EEENS1_38merge_mergepath_config_static_selectorELNS0_4arch9wavefront6targetE1EEEvSK_,"axG",@progbits,_ZN7rocprim17ROCPRIM_400000_NS6detail17trampoline_kernelINS0_14default_configENS1_38merge_sort_block_merge_config_selectorIaNS0_10empty_typeEEEZZNS1_27merge_sort_block_merge_implIS3_N6thrust23THRUST_200600_302600_NS6detail15normal_iteratorINS9_10device_ptrIaEEEEPS5_m14custom_greaterIaEEE10hipError_tT0_T1_T2_jT3_P12ihipStream_tbPNSt15iterator_traitsISJ_E10value_typeEPNSP_ISK_E10value_typeEPSL_NS1_7vsmem_tEENKUlT_SJ_SK_SL_E_clIPaSE_SF_SF_EESI_SY_SJ_SK_SL_EUlSY_E0_NS1_11comp_targetILNS1_3genE5ELNS1_11target_archE942ELNS1_3gpuE9ELNS1_3repE0EEENS1_38merge_mergepath_config_static_selectorELNS0_4arch9wavefront6targetE1EEEvSK_,comdat
.Lfunc_end2795:
	.size	_ZN7rocprim17ROCPRIM_400000_NS6detail17trampoline_kernelINS0_14default_configENS1_38merge_sort_block_merge_config_selectorIaNS0_10empty_typeEEEZZNS1_27merge_sort_block_merge_implIS3_N6thrust23THRUST_200600_302600_NS6detail15normal_iteratorINS9_10device_ptrIaEEEEPS5_m14custom_greaterIaEEE10hipError_tT0_T1_T2_jT3_P12ihipStream_tbPNSt15iterator_traitsISJ_E10value_typeEPNSP_ISK_E10value_typeEPSL_NS1_7vsmem_tEENKUlT_SJ_SK_SL_E_clIPaSE_SF_SF_EESI_SY_SJ_SK_SL_EUlSY_E0_NS1_11comp_targetILNS1_3genE5ELNS1_11target_archE942ELNS1_3gpuE9ELNS1_3repE0EEENS1_38merge_mergepath_config_static_selectorELNS0_4arch9wavefront6targetE1EEEvSK_, .Lfunc_end2795-_ZN7rocprim17ROCPRIM_400000_NS6detail17trampoline_kernelINS0_14default_configENS1_38merge_sort_block_merge_config_selectorIaNS0_10empty_typeEEEZZNS1_27merge_sort_block_merge_implIS3_N6thrust23THRUST_200600_302600_NS6detail15normal_iteratorINS9_10device_ptrIaEEEEPS5_m14custom_greaterIaEEE10hipError_tT0_T1_T2_jT3_P12ihipStream_tbPNSt15iterator_traitsISJ_E10value_typeEPNSP_ISK_E10value_typeEPSL_NS1_7vsmem_tEENKUlT_SJ_SK_SL_E_clIPaSE_SF_SF_EESI_SY_SJ_SK_SL_EUlSY_E0_NS1_11comp_targetILNS1_3genE5ELNS1_11target_archE942ELNS1_3gpuE9ELNS1_3repE0EEENS1_38merge_mergepath_config_static_selectorELNS0_4arch9wavefront6targetE1EEEvSK_
                                        ; -- End function
	.section	.AMDGPU.csdata,"",@progbits
; Kernel info:
; codeLenInByte = 0
; NumSgprs: 4
; NumVgprs: 0
; NumAgprs: 0
; TotalNumVgprs: 0
; ScratchSize: 0
; MemoryBound: 0
; FloatMode: 240
; IeeeMode: 1
; LDSByteSize: 0 bytes/workgroup (compile time only)
; SGPRBlocks: 0
; VGPRBlocks: 0
; NumSGPRsForWavesPerEU: 4
; NumVGPRsForWavesPerEU: 1
; AccumOffset: 4
; Occupancy: 8
; WaveLimiterHint : 0
; COMPUTE_PGM_RSRC2:SCRATCH_EN: 0
; COMPUTE_PGM_RSRC2:USER_SGPR: 6
; COMPUTE_PGM_RSRC2:TRAP_HANDLER: 0
; COMPUTE_PGM_RSRC2:TGID_X_EN: 1
; COMPUTE_PGM_RSRC2:TGID_Y_EN: 0
; COMPUTE_PGM_RSRC2:TGID_Z_EN: 0
; COMPUTE_PGM_RSRC2:TIDIG_COMP_CNT: 0
; COMPUTE_PGM_RSRC3_GFX90A:ACCUM_OFFSET: 0
; COMPUTE_PGM_RSRC3_GFX90A:TG_SPLIT: 0
	.section	.text._ZN7rocprim17ROCPRIM_400000_NS6detail17trampoline_kernelINS0_14default_configENS1_38merge_sort_block_merge_config_selectorIaNS0_10empty_typeEEEZZNS1_27merge_sort_block_merge_implIS3_N6thrust23THRUST_200600_302600_NS6detail15normal_iteratorINS9_10device_ptrIaEEEEPS5_m14custom_greaterIaEEE10hipError_tT0_T1_T2_jT3_P12ihipStream_tbPNSt15iterator_traitsISJ_E10value_typeEPNSP_ISK_E10value_typeEPSL_NS1_7vsmem_tEENKUlT_SJ_SK_SL_E_clIPaSE_SF_SF_EESI_SY_SJ_SK_SL_EUlSY_E0_NS1_11comp_targetILNS1_3genE4ELNS1_11target_archE910ELNS1_3gpuE8ELNS1_3repE0EEENS1_38merge_mergepath_config_static_selectorELNS0_4arch9wavefront6targetE1EEEvSK_,"axG",@progbits,_ZN7rocprim17ROCPRIM_400000_NS6detail17trampoline_kernelINS0_14default_configENS1_38merge_sort_block_merge_config_selectorIaNS0_10empty_typeEEEZZNS1_27merge_sort_block_merge_implIS3_N6thrust23THRUST_200600_302600_NS6detail15normal_iteratorINS9_10device_ptrIaEEEEPS5_m14custom_greaterIaEEE10hipError_tT0_T1_T2_jT3_P12ihipStream_tbPNSt15iterator_traitsISJ_E10value_typeEPNSP_ISK_E10value_typeEPSL_NS1_7vsmem_tEENKUlT_SJ_SK_SL_E_clIPaSE_SF_SF_EESI_SY_SJ_SK_SL_EUlSY_E0_NS1_11comp_targetILNS1_3genE4ELNS1_11target_archE910ELNS1_3gpuE8ELNS1_3repE0EEENS1_38merge_mergepath_config_static_selectorELNS0_4arch9wavefront6targetE1EEEvSK_,comdat
	.protected	_ZN7rocprim17ROCPRIM_400000_NS6detail17trampoline_kernelINS0_14default_configENS1_38merge_sort_block_merge_config_selectorIaNS0_10empty_typeEEEZZNS1_27merge_sort_block_merge_implIS3_N6thrust23THRUST_200600_302600_NS6detail15normal_iteratorINS9_10device_ptrIaEEEEPS5_m14custom_greaterIaEEE10hipError_tT0_T1_T2_jT3_P12ihipStream_tbPNSt15iterator_traitsISJ_E10value_typeEPNSP_ISK_E10value_typeEPSL_NS1_7vsmem_tEENKUlT_SJ_SK_SL_E_clIPaSE_SF_SF_EESI_SY_SJ_SK_SL_EUlSY_E0_NS1_11comp_targetILNS1_3genE4ELNS1_11target_archE910ELNS1_3gpuE8ELNS1_3repE0EEENS1_38merge_mergepath_config_static_selectorELNS0_4arch9wavefront6targetE1EEEvSK_ ; -- Begin function _ZN7rocprim17ROCPRIM_400000_NS6detail17trampoline_kernelINS0_14default_configENS1_38merge_sort_block_merge_config_selectorIaNS0_10empty_typeEEEZZNS1_27merge_sort_block_merge_implIS3_N6thrust23THRUST_200600_302600_NS6detail15normal_iteratorINS9_10device_ptrIaEEEEPS5_m14custom_greaterIaEEE10hipError_tT0_T1_T2_jT3_P12ihipStream_tbPNSt15iterator_traitsISJ_E10value_typeEPNSP_ISK_E10value_typeEPSL_NS1_7vsmem_tEENKUlT_SJ_SK_SL_E_clIPaSE_SF_SF_EESI_SY_SJ_SK_SL_EUlSY_E0_NS1_11comp_targetILNS1_3genE4ELNS1_11target_archE910ELNS1_3gpuE8ELNS1_3repE0EEENS1_38merge_mergepath_config_static_selectorELNS0_4arch9wavefront6targetE1EEEvSK_
	.globl	_ZN7rocprim17ROCPRIM_400000_NS6detail17trampoline_kernelINS0_14default_configENS1_38merge_sort_block_merge_config_selectorIaNS0_10empty_typeEEEZZNS1_27merge_sort_block_merge_implIS3_N6thrust23THRUST_200600_302600_NS6detail15normal_iteratorINS9_10device_ptrIaEEEEPS5_m14custom_greaterIaEEE10hipError_tT0_T1_T2_jT3_P12ihipStream_tbPNSt15iterator_traitsISJ_E10value_typeEPNSP_ISK_E10value_typeEPSL_NS1_7vsmem_tEENKUlT_SJ_SK_SL_E_clIPaSE_SF_SF_EESI_SY_SJ_SK_SL_EUlSY_E0_NS1_11comp_targetILNS1_3genE4ELNS1_11target_archE910ELNS1_3gpuE8ELNS1_3repE0EEENS1_38merge_mergepath_config_static_selectorELNS0_4arch9wavefront6targetE1EEEvSK_
	.p2align	8
	.type	_ZN7rocprim17ROCPRIM_400000_NS6detail17trampoline_kernelINS0_14default_configENS1_38merge_sort_block_merge_config_selectorIaNS0_10empty_typeEEEZZNS1_27merge_sort_block_merge_implIS3_N6thrust23THRUST_200600_302600_NS6detail15normal_iteratorINS9_10device_ptrIaEEEEPS5_m14custom_greaterIaEEE10hipError_tT0_T1_T2_jT3_P12ihipStream_tbPNSt15iterator_traitsISJ_E10value_typeEPNSP_ISK_E10value_typeEPSL_NS1_7vsmem_tEENKUlT_SJ_SK_SL_E_clIPaSE_SF_SF_EESI_SY_SJ_SK_SL_EUlSY_E0_NS1_11comp_targetILNS1_3genE4ELNS1_11target_archE910ELNS1_3gpuE8ELNS1_3repE0EEENS1_38merge_mergepath_config_static_selectorELNS0_4arch9wavefront6targetE1EEEvSK_,@function
_ZN7rocprim17ROCPRIM_400000_NS6detail17trampoline_kernelINS0_14default_configENS1_38merge_sort_block_merge_config_selectorIaNS0_10empty_typeEEEZZNS1_27merge_sort_block_merge_implIS3_N6thrust23THRUST_200600_302600_NS6detail15normal_iteratorINS9_10device_ptrIaEEEEPS5_m14custom_greaterIaEEE10hipError_tT0_T1_T2_jT3_P12ihipStream_tbPNSt15iterator_traitsISJ_E10value_typeEPNSP_ISK_E10value_typeEPSL_NS1_7vsmem_tEENKUlT_SJ_SK_SL_E_clIPaSE_SF_SF_EESI_SY_SJ_SK_SL_EUlSY_E0_NS1_11comp_targetILNS1_3genE4ELNS1_11target_archE910ELNS1_3gpuE8ELNS1_3repE0EEENS1_38merge_mergepath_config_static_selectorELNS0_4arch9wavefront6targetE1EEEvSK_: ; @_ZN7rocprim17ROCPRIM_400000_NS6detail17trampoline_kernelINS0_14default_configENS1_38merge_sort_block_merge_config_selectorIaNS0_10empty_typeEEEZZNS1_27merge_sort_block_merge_implIS3_N6thrust23THRUST_200600_302600_NS6detail15normal_iteratorINS9_10device_ptrIaEEEEPS5_m14custom_greaterIaEEE10hipError_tT0_T1_T2_jT3_P12ihipStream_tbPNSt15iterator_traitsISJ_E10value_typeEPNSP_ISK_E10value_typeEPSL_NS1_7vsmem_tEENKUlT_SJ_SK_SL_E_clIPaSE_SF_SF_EESI_SY_SJ_SK_SL_EUlSY_E0_NS1_11comp_targetILNS1_3genE4ELNS1_11target_archE910ELNS1_3gpuE8ELNS1_3repE0EEENS1_38merge_mergepath_config_static_selectorELNS0_4arch9wavefront6targetE1EEEvSK_
; %bb.0:
	s_load_dwordx2 s[22:23], s[4:5], 0x48
	s_load_dword s0, s[4:5], 0x38
	s_add_u32 s10, s4, 0x48
	s_addc_u32 s11, s5, 0
	s_waitcnt lgkmcnt(0)
	s_mul_i32 s1, s23, s8
	s_add_i32 s1, s1, s7
	s_mul_i32 s1, s1, s22
	s_add_i32 s8, s1, s6
	s_cmp_ge_u32 s8, s0
	s_cbranch_scc1 .LBB2796_53
; %bb.1:
	s_load_dwordx2 s[0:1], s[4:5], 0x40
	s_load_dwordx4 s[16:19], s[4:5], 0x8
	s_load_dwordx4 s[12:15], s[4:5], 0x28
	s_mov_b32 s9, 0
	s_lshl_b64 s[2:3], s[8:9], 3
	s_waitcnt lgkmcnt(0)
	s_add_u32 s0, s0, s2
	s_addc_u32 s1, s1, s3
	v_mov_b32_e32 v1, s14
	v_alignbit_b32 v1, s15, v1, 9
	v_readfirstlane_b32 s4, v1
	s_and_b32 s4, s4, -2
	s_sub_i32 s30, 0, s4
	s_and_b32 s24, s8, s30
	s_mov_b32 s25, s9
	s_lshl_b64 s[4:5], s[24:25], 10
	s_lshl_b64 s[20:21], s[8:9], 10
	s_sub_u32 s7, s20, s4
	s_load_dwordx4 s[0:3], s[0:1], 0x0
	s_subb_u32 s23, s21, s5
	s_lshl_b64 s[24:25], s[24:25], 11
	s_add_u32 s24, s24, s14
	s_addc_u32 s25, s25, s15
	s_add_u32 s7, s24, s7
	s_addc_u32 s23, s25, s23
	s_waitcnt lgkmcnt(0)
	s_sub_u32 s26, s7, s2
	s_subb_u32 s3, s23, s3
	s_add_u32 s26, s26, 0x400
	s_addc_u32 s27, s3, 0
	v_pk_mov_b32 v[2:3], s[26:27], s[26:27] op_sel:[0,1]
	v_cmp_lt_u64_e32 vcc, s[12:13], v[2:3]
	s_and_b64 s[28:29], vcc, exec
	s_cselect_b32 s3, s12, s26
	s_or_b32 s26, s8, s30
	s_cmp_lg_u32 s26, -1
	s_cbranch_scc1 .LBB2796_3
; %bb.2:
	s_sub_u32 s4, s24, s4
	s_subb_u32 s5, s25, s5
	v_pk_mov_b32 v[2:3], s[4:5], s[4:5] op_sel:[0,1]
	v_cmp_lt_u64_e32 vcc, s[12:13], v[2:3]
	s_and_b64 s[2:3], vcc, exec
	s_cselect_b32 s2, s12, s4
	s_add_u32 s4, s4, s14
	s_addc_u32 s5, s5, s15
	v_pk_mov_b32 v[2:3], s[4:5], s[4:5] op_sel:[0,1]
	v_cmp_lt_u64_e32 vcc, s[12:13], v[2:3]
	s_and_b64 s[14:15], vcc, exec
	s_cselect_b32 s3, s12, s4
.LBB2796_3:
	s_lshr_b64 s[24:25], s[12:13], 10
	s_cmp_lg_u64 s[24:25], s[8:9]
	s_cselect_b64 s[14:15], -1, 0
	s_sub_u32 s4, s7, s0
	s_subb_u32 s5, s23, s1
	v_pk_mov_b32 v[2:3], s[4:5], s[4:5] op_sel:[0,1]
	v_cmp_lt_u64_e32 vcc, s[12:13], v[2:3]
	s_and_b64 s[26:27], vcc, exec
	s_cselect_b32 s4, s12, s4
	s_cselect_b32 s23, s13, s5
	s_sub_i32 s13, s2, s0
	s_sub_i32 s2, s3, s4
	s_add_u32 s5, s16, s0
	s_addc_u32 s7, s17, s1
	s_add_u32 s3, s16, s4
	s_addc_u32 s4, s17, s23
	s_cmp_lt_u32 s6, s22
	v_mov_b32_e32 v1, 0
	s_cselect_b32 s0, 12, 18
	global_load_dword v2, v1, s[10:11] offset:14
	s_add_u32 s0, s10, s0
	s_addc_u32 s1, s11, 0
	global_load_ushort v1, v1, s[0:1]
	s_cmp_eq_u64 s[24:25], s[8:9]
	s_waitcnt vmcnt(1)
	v_lshrrev_b32_e32 v3, 16, v2
	v_and_b32_e32 v2, 0xffff, v2
	v_mul_lo_u32 v2, v2, v3
	s_waitcnt vmcnt(0)
	v_mul_lo_u32 v4, v2, v1
	v_add_u32_e32 v10, v4, v0
	v_add_u32_e32 v8, v10, v4
	s_cbranch_scc1 .LBB2796_5
; %bb.4:
	v_mov_b32_e32 v1, s7
	v_add_co_u32_e32 v2, vcc, s5, v0
	v_addc_co_u32_e32 v1, vcc, 0, v1, vcc
	v_subrev_u32_e32 v3, s13, v0
	v_mov_b32_e32 v5, s4
	v_add_co_u32_e32 v3, vcc, s3, v3
	v_addc_co_u32_e32 v5, vcc, 0, v5, vcc
	v_cmp_gt_u32_e32 vcc, s13, v0
	v_cndmask_b32_e32 v13, v5, v1, vcc
	v_cndmask_b32_e32 v12, v3, v2, vcc
	v_mov_b32_e32 v1, s7
	v_add_co_u32_e32 v2, vcc, s5, v10
	v_addc_co_u32_e32 v1, vcc, 0, v1, vcc
	v_subrev_u32_e32 v3, s13, v10
	v_mov_b32_e32 v5, s4
	v_add_co_u32_e32 v3, vcc, s3, v3
	v_addc_co_u32_e32 v5, vcc, 0, v5, vcc
	v_cmp_gt_u32_e32 vcc, s13, v10
	v_cndmask_b32_e32 v15, v5, v1, vcc
	v_cndmask_b32_e32 v14, v3, v2, vcc
	v_mov_b32_e32 v1, s7
	v_add_co_u32_e32 v2, vcc, s5, v8
	v_addc_co_u32_e32 v1, vcc, 0, v1, vcc
	v_subrev_u32_e32 v3, s13, v8
	v_mov_b32_e32 v5, s4
	v_add_co_u32_e32 v3, vcc, s3, v3
	v_addc_co_u32_e32 v5, vcc, 0, v5, vcc
	v_cmp_gt_u32_e32 vcc, s13, v8
	v_cndmask_b32_e32 v17, v5, v1, vcc
	v_add_u32_e32 v1, v8, v4
	v_cndmask_b32_e32 v16, v3, v2, vcc
	v_mov_b32_e32 v2, s7
	v_add_co_u32_e32 v3, vcc, s5, v1
	v_addc_co_u32_e32 v2, vcc, 0, v2, vcc
	v_subrev_u32_e32 v5, s13, v1
	v_mov_b32_e32 v6, s4
	v_add_co_u32_e32 v5, vcc, s3, v5
	v_addc_co_u32_e32 v6, vcc, 0, v6, vcc
	v_cmp_gt_u32_e32 vcc, s13, v1
	v_add_u32_e32 v1, v1, v4
	v_cndmask_b32_e32 v19, v6, v2, vcc
	v_cndmask_b32_e32 v18, v5, v3, vcc
	v_mov_b32_e32 v2, s7
	v_add_co_u32_e32 v3, vcc, s5, v1
	v_addc_co_u32_e32 v2, vcc, 0, v2, vcc
	v_subrev_u32_e32 v5, s13, v1
	v_mov_b32_e32 v6, s4
	v_add_co_u32_e32 v5, vcc, s3, v5
	v_addc_co_u32_e32 v6, vcc, 0, v6, vcc
	v_cmp_gt_u32_e32 vcc, s13, v1
	v_add_u32_e32 v1, v1, v4
	v_cndmask_b32_e32 v21, v6, v2, vcc
	;; [unrolled: 11-line block ×4, first 2 shown]
	v_cndmask_b32_e32 v24, v5, v3, vcc
	v_mov_b32_e32 v2, s7
	v_add_co_u32_e32 v3, vcc, s5, v1
	v_addc_co_u32_e32 v2, vcc, 0, v2, vcc
	v_subrev_u32_e32 v5, s13, v1
	v_mov_b32_e32 v6, s4
	v_add_co_u32_e32 v5, vcc, s3, v5
	v_addc_co_u32_e32 v6, vcc, 0, v6, vcc
	v_cmp_gt_u32_e32 vcc, s13, v1
	v_cndmask_b32_e32 v27, v6, v2, vcc
	v_cndmask_b32_e32 v26, v5, v3, vcc
	global_load_ubyte v1, v[12:13], off
	global_load_ubyte v2, v[14:15], off
	;; [unrolled: 1-line block ×8, first 2 shown]
	s_add_i32 s22, s13, s2
	s_cbranch_execz .LBB2796_6
	s_branch .LBB2796_23
.LBB2796_5:
                                        ; implicit-def: $vgpr1
                                        ; implicit-def: $vgpr2
                                        ; implicit-def: $vgpr3
                                        ; implicit-def: $vgpr5
                                        ; implicit-def: $vgpr6
                                        ; implicit-def: $vgpr7
                                        ; implicit-def: $vgpr9
                                        ; implicit-def: $vgpr11
                                        ; implicit-def: $sgpr22
.LBB2796_6:
	s_add_i32 s22, s13, s2
	v_cmp_gt_u32_e32 vcc, s22, v0
                                        ; implicit-def: $vgpr1
	s_and_saveexec_b64 s[0:1], vcc
	s_cbranch_execz .LBB2796_8
; %bb.7:
	s_waitcnt vmcnt(7)
	v_mov_b32_e32 v1, s7
	s_waitcnt vmcnt(6)
	v_add_co_u32_e32 v2, vcc, s5, v0
	v_addc_co_u32_e32 v1, vcc, 0, v1, vcc
	s_waitcnt vmcnt(5)
	v_subrev_u32_e32 v3, s13, v0
	s_waitcnt vmcnt(4)
	v_mov_b32_e32 v5, s4
	s_waitcnt vmcnt(3)
	v_add_co_u32_e32 v6, vcc, s3, v3
	v_addc_co_u32_e32 v3, vcc, 0, v5, vcc
	v_cmp_gt_u32_e32 vcc, s13, v0
	v_cndmask_b32_e32 v3, v3, v1, vcc
	v_cndmask_b32_e32 v2, v6, v2, vcc
	global_load_ubyte v1, v[2:3], off
.LBB2796_8:
	s_or_b64 exec, exec, s[0:1]
	v_cmp_gt_u32_e32 vcc, s22, v10
                                        ; implicit-def: $vgpr2
	s_and_saveexec_b64 s[0:1], vcc
	s_cbranch_execz .LBB2796_10
; %bb.9:
	s_waitcnt vmcnt(6)
	v_mov_b32_e32 v2, s7
	s_waitcnt vmcnt(4)
	v_add_co_u32_e32 v5, vcc, s5, v10
	v_addc_co_u32_e32 v2, vcc, 0, v2, vcc
	v_subrev_u32_e32 v3, s13, v10
	s_waitcnt vmcnt(3)
	v_mov_b32_e32 v6, s4
	s_waitcnt vmcnt(2)
	v_add_co_u32_e32 v7, vcc, s3, v3
	v_addc_co_u32_e32 v3, vcc, 0, v6, vcc
	v_cmp_gt_u32_e32 vcc, s13, v10
	v_cndmask_b32_e32 v3, v3, v2, vcc
	v_cndmask_b32_e32 v2, v7, v5, vcc
	global_load_ubyte v2, v[2:3], off
.LBB2796_10:
	s_or_b64 exec, exec, s[0:1]
	v_cmp_gt_u32_e32 vcc, s22, v8
                                        ; implicit-def: $vgpr3
	s_and_saveexec_b64 s[0:1], vcc
	s_cbranch_execz .LBB2796_12
; %bb.11:
	s_waitcnt vmcnt(5)
	v_mov_b32_e32 v3, s7
	s_waitcnt vmcnt(4)
	v_add_co_u32_e32 v5, vcc, s5, v8
	v_addc_co_u32_e32 v3, vcc, 0, v3, vcc
	s_waitcnt vmcnt(3)
	v_subrev_u32_e32 v6, s13, v8
	s_waitcnt vmcnt(2)
	v_mov_b32_e32 v7, s4
	v_add_co_u32_e32 v6, vcc, s3, v6
	v_addc_co_u32_e32 v7, vcc, 0, v7, vcc
	v_cmp_gt_u32_e32 vcc, s13, v8
	v_cndmask_b32_e32 v7, v7, v3, vcc
	v_cndmask_b32_e32 v6, v6, v5, vcc
	global_load_ubyte v3, v[6:7], off
.LBB2796_12:
	s_or_b64 exec, exec, s[0:1]
	s_waitcnt vmcnt(3)
	v_add_u32_e32 v6, v8, v4
	v_cmp_gt_u32_e32 vcc, s22, v6
                                        ; implicit-def: $vgpr5
	s_and_saveexec_b64 s[0:1], vcc
	s_cbranch_execz .LBB2796_14
; %bb.13:
	v_mov_b32_e32 v5, s7
	s_waitcnt vmcnt(2)
	v_add_co_u32_e32 v7, vcc, s5, v6
	v_addc_co_u32_e32 v5, vcc, 0, v5, vcc
	v_subrev_u32_e32 v8, s13, v6
	s_waitcnt vmcnt(1)
	v_mov_b32_e32 v9, s4
	v_add_co_u32_e32 v8, vcc, s3, v8
	v_addc_co_u32_e32 v9, vcc, 0, v9, vcc
	v_cmp_gt_u32_e32 vcc, s13, v6
	v_cndmask_b32_e32 v9, v9, v5, vcc
	v_cndmask_b32_e32 v8, v8, v7, vcc
	global_load_ubyte v5, v[8:9], off
.LBB2796_14:
	s_or_b64 exec, exec, s[0:1]
	s_waitcnt vmcnt(2)
	v_add_u32_e32 v7, v6, v4
	v_cmp_gt_u32_e32 vcc, s22, v7
                                        ; implicit-def: $vgpr6
	s_and_saveexec_b64 s[0:1], vcc
	s_cbranch_execz .LBB2796_16
; %bb.15:
	v_mov_b32_e32 v6, s7
	v_add_co_u32_e32 v8, vcc, s5, v7
	v_addc_co_u32_e32 v6, vcc, 0, v6, vcc
	s_waitcnt vmcnt(1)
	v_subrev_u32_e32 v9, s13, v7
	v_mov_b32_e32 v10, s4
	s_waitcnt vmcnt(0)
	v_add_co_u32_e32 v11, vcc, s3, v9
	v_addc_co_u32_e32 v9, vcc, 0, v10, vcc
	v_cmp_gt_u32_e32 vcc, s13, v7
	v_cndmask_b32_e32 v9, v9, v6, vcc
	v_cndmask_b32_e32 v8, v11, v8, vcc
	global_load_ubyte v6, v[8:9], off
.LBB2796_16:
	s_or_b64 exec, exec, s[0:1]
	v_add_u32_e32 v8, v7, v4
	v_cmp_gt_u32_e32 vcc, s22, v8
                                        ; implicit-def: $vgpr7
	s_and_saveexec_b64 s[0:1], vcc
	s_cbranch_execz .LBB2796_18
; %bb.17:
	v_mov_b32_e32 v7, s7
	s_waitcnt vmcnt(1)
	v_add_co_u32_e32 v9, vcc, s5, v8
	v_addc_co_u32_e32 v7, vcc, 0, v7, vcc
	v_subrev_u32_e32 v10, s13, v8
	s_waitcnt vmcnt(0)
	v_mov_b32_e32 v11, s4
	v_add_co_u32_e32 v10, vcc, s3, v10
	v_addc_co_u32_e32 v11, vcc, 0, v11, vcc
	v_cmp_gt_u32_e32 vcc, s13, v8
	v_cndmask_b32_e32 v11, v11, v7, vcc
	v_cndmask_b32_e32 v10, v10, v9, vcc
	global_load_ubyte v7, v[10:11], off
.LBB2796_18:
	s_or_b64 exec, exec, s[0:1]
	v_add_u32_e32 v8, v8, v4
	v_cmp_gt_u32_e32 vcc, s22, v8
                                        ; implicit-def: $vgpr9
	s_and_saveexec_b64 s[0:1], vcc
	s_cbranch_execz .LBB2796_20
; %bb.19:
	s_waitcnt vmcnt(1)
	v_mov_b32_e32 v9, s7
	v_add_co_u32_e32 v10, vcc, s5, v8
	v_addc_co_u32_e32 v9, vcc, 0, v9, vcc
	s_waitcnt vmcnt(0)
	v_subrev_u32_e32 v11, s13, v8
	v_mov_b32_e32 v12, s4
	v_add_co_u32_e32 v13, vcc, s3, v11
	v_addc_co_u32_e32 v11, vcc, 0, v12, vcc
	v_cmp_gt_u32_e32 vcc, s13, v8
	v_cndmask_b32_e32 v11, v11, v9, vcc
	v_cndmask_b32_e32 v10, v13, v10, vcc
	global_load_ubyte v9, v[10:11], off
.LBB2796_20:
	s_or_b64 exec, exec, s[0:1]
	v_add_u32_e32 v4, v8, v4
	v_cmp_gt_u32_e32 vcc, s22, v4
                                        ; implicit-def: $vgpr11
	s_and_saveexec_b64 s[0:1], vcc
	s_cbranch_execz .LBB2796_22
; %bb.21:
	v_mov_b32_e32 v8, s7
	v_add_co_u32_e32 v10, vcc, s5, v4
	v_addc_co_u32_e32 v8, vcc, 0, v8, vcc
	s_waitcnt vmcnt(0)
	v_subrev_u32_e32 v11, s13, v4
	v_mov_b32_e32 v12, s4
	v_add_co_u32_e32 v13, vcc, s3, v11
	v_addc_co_u32_e32 v11, vcc, 0, v12, vcc
	v_cmp_gt_u32_e32 vcc, s13, v4
	v_cndmask_b32_e32 v11, v11, v8, vcc
	v_cndmask_b32_e32 v10, v13, v10, vcc
	global_load_ubyte v11, v[10:11], off
.LBB2796_22:
	s_or_b64 exec, exec, s[0:1]
.LBB2796_23:
	v_lshlrev_b32_e32 v4, 3, v0
	v_min_u32_e32 v10, s22, v4
	v_sub_u32_e64 v8, v10, s2 clamp
	v_min_u32_e32 v12, s13, v10
	v_cmp_lt_u32_e32 vcc, v8, v12
	s_waitcnt vmcnt(0)
	ds_write_b8 v0, v1
	ds_write_b8 v0, v2 offset:128
	ds_write_b8 v0, v3 offset:256
	;; [unrolled: 1-line block ×7, first 2 shown]
	s_waitcnt lgkmcnt(0)
	s_barrier
	s_and_saveexec_b64 s[0:1], vcc
	s_cbranch_execz .LBB2796_27
; %bb.24:
	v_add_u32_e32 v13, s13, v10
	s_mov_b64 s[2:3], 0
.LBB2796_25:                            ; =>This Inner Loop Header: Depth=1
	v_add_u32_e32 v14, v12, v8
	v_lshrrev_b32_e32 v14, 1, v14
	v_xad_u32 v15, v14, -1, v13
	ds_read_i8 v16, v14
	ds_read_i8 v15, v15
	v_add_u32_e32 v17, 1, v14
	s_waitcnt lgkmcnt(0)
	v_cmp_gt_i16_e32 vcc, v16, v15
	v_cndmask_b32_e32 v12, v12, v14, vcc
	v_cndmask_b32_e32 v8, v17, v8, vcc
	v_cmp_ge_u32_e32 vcc, v8, v12
	s_or_b64 s[2:3], vcc, s[2:3]
	s_andn2_b64 exec, exec, s[2:3]
	s_cbranch_execnz .LBB2796_25
; %bb.26:
	s_or_b64 exec, exec, s[2:3]
.LBB2796_27:
	s_or_b64 exec, exec, s[0:1]
	v_sub_u32_e32 v10, v10, v8
	v_add_u32_e32 v10, s13, v10
	v_cmp_ge_u32_e32 vcc, s13, v8
	v_cmp_ge_u32_e64 s[0:1], s22, v10
	s_or_b64 s[0:1], vcc, s[0:1]
	s_and_saveexec_b64 s[16:17], s[0:1]
	s_cbranch_execz .LBB2796_33
; %bb.28:
	v_cmp_gt_u32_e32 vcc, s13, v8
                                        ; implicit-def: $vgpr1
	s_and_saveexec_b64 s[0:1], vcc
	s_cbranch_execz .LBB2796_30
; %bb.29:
	ds_read_u8 v1, v8
.LBB2796_30:
	s_or_b64 exec, exec, s[0:1]
	v_cmp_le_u32_e64 s[0:1], s22, v10
	v_cmp_gt_u32_e64 s[2:3], s22, v10
                                        ; implicit-def: $vgpr2
	s_and_saveexec_b64 s[4:5], s[2:3]
	s_cbranch_execz .LBB2796_32
; %bb.31:
	ds_read_u8 v2, v10
.LBB2796_32:
	s_or_b64 exec, exec, s[4:5]
	s_waitcnt lgkmcnt(0)
	v_cmp_le_i16_sdwa s[2:3], sext(v1), sext(v2) src0_sel:BYTE_0 src1_sel:BYTE_0
	s_and_b64 s[2:3], vcc, s[2:3]
	s_or_b64 vcc, s[0:1], s[2:3]
	v_mov_b32_e32 v5, s22
	v_mov_b32_e32 v6, s13
	v_cndmask_b32_e32 v3, v10, v8, vcc
	v_cndmask_b32_e32 v7, v5, v6, vcc
	v_add_u32_e32 v3, 1, v3
	v_add_u32_e32 v7, -1, v7
	v_min_u32_e32 v7, v3, v7
	ds_read_u8 v7, v7
	v_cndmask_b32_e32 v10, v3, v10, vcc
	v_cndmask_b32_e32 v3, v8, v3, vcc
	v_cmp_gt_u32_e64 s[2:3], s13, v3
	v_cmp_le_u32_e64 s[0:1], s22, v10
	s_waitcnt lgkmcnt(0)
	v_cndmask_b32_e32 v9, v7, v2, vcc
	v_cndmask_b32_e32 v7, v1, v7, vcc
	v_cmp_le_i16_sdwa s[4:5], sext(v7), sext(v9) src0_sel:BYTE_0 src1_sel:BYTE_0
	s_and_b64 s[2:3], s[2:3], s[4:5]
	s_or_b64 s[0:1], s[0:1], s[2:3]
	v_cndmask_b32_e64 v8, v10, v3, s[0:1]
	v_cndmask_b32_e64 v11, v5, v6, s[0:1]
	v_add_u32_e32 v8, 1, v8
	v_add_u32_e32 v11, -1, v11
	v_min_u32_e32 v11, v8, v11
	ds_read_u8 v11, v11
	v_cndmask_b32_e64 v3, v3, v8, s[0:1]
	v_cndmask_b32_e64 v10, v8, v10, s[0:1]
	v_cmp_gt_u32_e64 s[4:5], s13, v3
	v_cmp_le_u32_e64 s[2:3], s22, v10
	s_waitcnt lgkmcnt(0)
	v_cndmask_b32_e64 v12, v11, v9, s[0:1]
	v_cndmask_b32_e64 v11, v7, v11, s[0:1]
	v_cmp_le_i16_sdwa s[6:7], sext(v11), sext(v12) src0_sel:BYTE_0 src1_sel:BYTE_0
	s_and_b64 s[4:5], s[4:5], s[6:7]
	s_or_b64 s[2:3], s[2:3], s[4:5]
	v_cndmask_b32_e64 v8, v10, v3, s[2:3]
	v_cndmask_b32_e64 v13, v5, v6, s[2:3]
	v_add_u32_e32 v8, 1, v8
	v_add_u32_e32 v13, -1, v13
	v_min_u32_e32 v13, v8, v13
	ds_read_u8 v13, v13
	v_cndmask_b32_e64 v3, v3, v8, s[2:3]
	v_cndmask_b32_e64 v10, v8, v10, s[2:3]
	v_cmp_gt_u32_e64 s[6:7], s13, v3
	v_cmp_le_u32_e64 s[4:5], s22, v10
	s_waitcnt lgkmcnt(0)
	v_cndmask_b32_e64 v14, v13, v12, s[2:3]
	v_cndmask_b32_e64 v13, v11, v13, s[2:3]
	;; [unrolled: 16-line block ×4, first 2 shown]
	v_cmp_le_i16_sdwa s[24:25], sext(v17), sext(v18) src0_sel:BYTE_0 src1_sel:BYTE_0
	s_and_b64 s[10:11], s[10:11], s[24:25]
	s_or_b64 s[8:9], s[8:9], s[10:11]
	v_cndmask_b32_e64 v3, v10, v8, s[8:9]
	v_cndmask_b32_e64 v19, v5, v6, s[8:9]
	v_add_u32_e32 v20, 1, v3
	v_add_u32_e32 v3, -1, v19
	v_min_u32_e32 v3, v20, v3
	ds_read_u8 v19, v3
	v_cndmask_b32_e64 v3, v12, v11, s[2:3]
	v_cndmask_b32_e64 v8, v8, v20, s[8:9]
	v_cndmask_b32_e32 v1, v2, v1, vcc
	v_cndmask_b32_e64 v2, v9, v7, s[0:1]
	s_waitcnt lgkmcnt(0)
	v_cndmask_b32_e64 v11, v19, v18, s[8:9]
	v_cndmask_b32_e64 v12, v17, v19, s[8:9]
	;; [unrolled: 1-line block ×3, first 2 shown]
	v_cmp_gt_u32_e64 s[0:1], s13, v8
	v_cmp_le_i16_sdwa s[2:3], sext(v12), sext(v11) src0_sel:BYTE_0 src1_sel:BYTE_0
	v_cmp_le_u32_e32 vcc, s22, v10
	s_and_b64 s[0:1], s[0:1], s[2:3]
	s_or_b64 vcc, vcc, s[0:1]
	v_cndmask_b32_e32 v7, v10, v8, vcc
	v_cndmask_b32_e32 v5, v5, v6, vcc
	v_add_u32_e32 v19, 1, v7
	v_add_u32_e32 v5, -1, v5
	v_min_u32_e32 v5, v19, v5
	ds_read_u8 v20, v5
	v_cndmask_b32_e32 v9, v11, v12, vcc
	v_cndmask_b32_e32 v8, v8, v19, vcc
	;; [unrolled: 1-line block ×3, first 2 shown]
	v_cmp_gt_u32_e64 s[0:1], s13, v8
	s_waitcnt lgkmcnt(0)
	v_cndmask_b32_e32 v11, v20, v11, vcc
	v_cndmask_b32_e32 v12, v12, v20, vcc
	v_cmp_le_i16_sdwa s[2:3], sext(v12), sext(v11) src0_sel:BYTE_0 src1_sel:BYTE_0
	v_cmp_le_u32_e32 vcc, s22, v10
	s_and_b64 s[0:1], s[0:1], s[2:3]
	s_or_b64 vcc, vcc, s[0:1]
	v_cndmask_b32_e64 v5, v14, v13, s[4:5]
	v_cndmask_b32_e64 v6, v16, v15, s[6:7]
	;; [unrolled: 1-line block ×3, first 2 shown]
	v_cndmask_b32_e32 v11, v11, v12, vcc
.LBB2796_33:
	s_or_b64 exec, exec, s[16:17]
	v_lshlrev_b16_e32 v7, 8, v7
	v_lshlrev_b16_e32 v2, 8, v2
	v_lshrrev_b32_e32 v8, 2, v0
	v_or_b32_sdwa v6, v6, v7 dst_sel:DWORD dst_unused:UNUSED_PAD src0_sel:BYTE_0 src1_sel:DWORD
	v_lshlrev_b16_e32 v7, 8, v11
	v_or_b32_sdwa v1, v1, v2 dst_sel:DWORD dst_unused:UNUSED_PAD src0_sel:BYTE_0 src1_sel:DWORD
	v_lshlrev_b16_e32 v2, 8, v5
	s_add_u32 s0, s18, s20
	v_and_b32_e32 v8, 28, v8
	v_or_b32_sdwa v7, v9, v7 dst_sel:WORD_1 dst_unused:UNUSED_PAD src0_sel:BYTE_0 src1_sel:DWORD
	v_or_b32_sdwa v2, v3, v2 dst_sel:WORD_1 dst_unused:UNUSED_PAD src0_sel:BYTE_0 src1_sel:DWORD
	s_addc_u32 s1, s19, s21
	v_add_u32_e32 v4, v8, v4
	v_or_b32_sdwa v6, v6, v7 dst_sel:DWORD dst_unused:UNUSED_PAD src0_sel:WORD_0 src1_sel:DWORD
	v_or_b32_sdwa v1, v1, v2 dst_sel:DWORD dst_unused:UNUSED_PAD src0_sel:WORD_0 src1_sel:DWORD
	s_barrier
	s_barrier
	ds_write2_b32 v4, v1, v6 offset1:1
	v_mov_b32_e32 v1, s1
	v_add_co_u32_e32 v2, vcc, s0, v0
	v_addc_co_u32_e32 v3, vcc, 0, v1, vcc
	s_and_b64 vcc, exec, s[14:15]
	v_add_u32_e32 v1, 4, v0
	v_add_u32_e32 v4, 8, v0
	v_add_u32_e32 v5, 12, v0
	v_add_u32_e32 v6, 16, v0
	v_add_u32_e32 v7, 20, v0
	v_add_u32_e32 v8, 24, v0
	v_add_u32_e32 v9, 28, v0
	s_waitcnt lgkmcnt(0)
	s_cbranch_vccz .LBB2796_35
; %bb.34:
	s_barrier
	ds_read_u8 v10, v0
	ds_read_u8 v11, v1 offset:128
	ds_read_u8 v12, v4 offset:256
	;; [unrolled: 1-line block ×7, first 2 shown]
	s_waitcnt lgkmcnt(7)
	global_store_byte v[2:3], v10, off
	s_waitcnt lgkmcnt(6)
	global_store_byte v[2:3], v11, off offset:128
	s_waitcnt lgkmcnt(5)
	global_store_byte v[2:3], v12, off offset:256
	;; [unrolled: 2-line block ×6, first 2 shown]
	v_lshlrev_b16_e32 v10, 8, v15
	s_waitcnt lgkmcnt(0)
	v_lshlrev_b16_e32 v11, 8, v17
	v_or_b32_e32 v10, v14, v10
	v_or_b32_sdwa v11, v16, v11 dst_sel:WORD_1 dst_unused:UNUSED_PAD src0_sel:DWORD src1_sel:DWORD
	v_or_b32_sdwa v10, v10, v11 dst_sel:DWORD dst_unused:UNUSED_PAD src0_sel:WORD_0 src1_sel:DWORD
	s_mov_b64 s[0:1], -1
	s_cbranch_execz .LBB2796_36
	s_branch .LBB2796_51
.LBB2796_35:
	s_mov_b64 s[0:1], 0
                                        ; implicit-def: $vgpr10
.LBB2796_36:
	s_barrier
	ds_read_u8 v13, v0
	ds_read_u8 v12, v1 offset:128
	ds_read_u8 v11, v4 offset:256
	;; [unrolled: 1-line block ×7, first 2 shown]
	s_sub_i32 s2, s12, s20
	v_or_b32_e32 v7, 0x80, v0
	v_cmp_gt_u32_e32 vcc, s2, v0
	s_and_saveexec_b64 s[0:1], vcc
	s_cbranch_execz .LBB2796_38
; %bb.37:
	s_waitcnt lgkmcnt(7)
	global_store_byte v[2:3], v13, off
.LBB2796_38:
	s_or_b64 exec, exec, s[0:1]
	v_or_b32_e32 v8, 0x100, v0
	v_cmp_gt_u32_e32 vcc, s2, v7
	s_and_saveexec_b64 s[0:1], vcc
	s_cbranch_execz .LBB2796_40
; %bb.39:
	s_waitcnt lgkmcnt(6)
	global_store_byte v[2:3], v12, off offset:128
.LBB2796_40:
	s_or_b64 exec, exec, s[0:1]
	v_or_b32_e32 v7, 0x180, v0
	v_cmp_gt_u32_e32 vcc, s2, v8
	s_and_saveexec_b64 s[0:1], vcc
	s_cbranch_execz .LBB2796_42
; %bb.41:
	s_waitcnt lgkmcnt(5)
	global_store_byte v[2:3], v11, off offset:256
.LBB2796_42:
	;; [unrolled: 9-line block ×6, first 2 shown]
	s_or_b64 exec, exec, s[0:1]
	v_cmp_gt_u32_e64 s[0:1], s2, v0
	s_waitcnt lgkmcnt(2)
	v_lshlrev_b16_e32 v0, 8, v5
	v_or_b32_sdwa v0, v1, v0 dst_sel:DWORD dst_unused:UNUSED_PAD src0_sel:BYTE_0 src1_sel:DWORD
	s_waitcnt lgkmcnt(0)
	v_lshlrev_b16_e32 v1, 8, v6
	v_or_b32_sdwa v1, v4, v1 dst_sel:WORD_1 dst_unused:UNUSED_PAD src0_sel:BYTE_0 src1_sel:DWORD
	v_or_b32_sdwa v10, v0, v1 dst_sel:DWORD dst_unused:UNUSED_PAD src0_sel:WORD_0 src1_sel:DWORD
.LBB2796_51:
	s_and_saveexec_b64 s[2:3], s[0:1]
	s_cbranch_execz .LBB2796_53
; %bb.52:
	v_lshrrev_b32_e32 v0, 24, v10
	global_store_byte v[2:3], v0, off offset:896
.LBB2796_53:
	s_endpgm
	.section	.rodata,"a",@progbits
	.p2align	6, 0x0
	.amdhsa_kernel _ZN7rocprim17ROCPRIM_400000_NS6detail17trampoline_kernelINS0_14default_configENS1_38merge_sort_block_merge_config_selectorIaNS0_10empty_typeEEEZZNS1_27merge_sort_block_merge_implIS3_N6thrust23THRUST_200600_302600_NS6detail15normal_iteratorINS9_10device_ptrIaEEEEPS5_m14custom_greaterIaEEE10hipError_tT0_T1_T2_jT3_P12ihipStream_tbPNSt15iterator_traitsISJ_E10value_typeEPNSP_ISK_E10value_typeEPSL_NS1_7vsmem_tEENKUlT_SJ_SK_SL_E_clIPaSE_SF_SF_EESI_SY_SJ_SK_SL_EUlSY_E0_NS1_11comp_targetILNS1_3genE4ELNS1_11target_archE910ELNS1_3gpuE8ELNS1_3repE0EEENS1_38merge_mergepath_config_static_selectorELNS0_4arch9wavefront6targetE1EEEvSK_
		.amdhsa_group_segment_fixed_size 1056
		.amdhsa_private_segment_fixed_size 0
		.amdhsa_kernarg_size 328
		.amdhsa_user_sgpr_count 6
		.amdhsa_user_sgpr_private_segment_buffer 1
		.amdhsa_user_sgpr_dispatch_ptr 0
		.amdhsa_user_sgpr_queue_ptr 0
		.amdhsa_user_sgpr_kernarg_segment_ptr 1
		.amdhsa_user_sgpr_dispatch_id 0
		.amdhsa_user_sgpr_flat_scratch_init 0
		.amdhsa_user_sgpr_kernarg_preload_length 0
		.amdhsa_user_sgpr_kernarg_preload_offset 0
		.amdhsa_user_sgpr_private_segment_size 0
		.amdhsa_uses_dynamic_stack 0
		.amdhsa_system_sgpr_private_segment_wavefront_offset 0
		.amdhsa_system_sgpr_workgroup_id_x 1
		.amdhsa_system_sgpr_workgroup_id_y 1
		.amdhsa_system_sgpr_workgroup_id_z 1
		.amdhsa_system_sgpr_workgroup_info 0
		.amdhsa_system_vgpr_workitem_id 0
		.amdhsa_next_free_vgpr 28
		.amdhsa_next_free_sgpr 31
		.amdhsa_accum_offset 28
		.amdhsa_reserve_vcc 1
		.amdhsa_reserve_flat_scratch 0
		.amdhsa_float_round_mode_32 0
		.amdhsa_float_round_mode_16_64 0
		.amdhsa_float_denorm_mode_32 3
		.amdhsa_float_denorm_mode_16_64 3
		.amdhsa_dx10_clamp 1
		.amdhsa_ieee_mode 1
		.amdhsa_fp16_overflow 0
		.amdhsa_tg_split 0
		.amdhsa_exception_fp_ieee_invalid_op 0
		.amdhsa_exception_fp_denorm_src 0
		.amdhsa_exception_fp_ieee_div_zero 0
		.amdhsa_exception_fp_ieee_overflow 0
		.amdhsa_exception_fp_ieee_underflow 0
		.amdhsa_exception_fp_ieee_inexact 0
		.amdhsa_exception_int_div_zero 0
	.end_amdhsa_kernel
	.section	.text._ZN7rocprim17ROCPRIM_400000_NS6detail17trampoline_kernelINS0_14default_configENS1_38merge_sort_block_merge_config_selectorIaNS0_10empty_typeEEEZZNS1_27merge_sort_block_merge_implIS3_N6thrust23THRUST_200600_302600_NS6detail15normal_iteratorINS9_10device_ptrIaEEEEPS5_m14custom_greaterIaEEE10hipError_tT0_T1_T2_jT3_P12ihipStream_tbPNSt15iterator_traitsISJ_E10value_typeEPNSP_ISK_E10value_typeEPSL_NS1_7vsmem_tEENKUlT_SJ_SK_SL_E_clIPaSE_SF_SF_EESI_SY_SJ_SK_SL_EUlSY_E0_NS1_11comp_targetILNS1_3genE4ELNS1_11target_archE910ELNS1_3gpuE8ELNS1_3repE0EEENS1_38merge_mergepath_config_static_selectorELNS0_4arch9wavefront6targetE1EEEvSK_,"axG",@progbits,_ZN7rocprim17ROCPRIM_400000_NS6detail17trampoline_kernelINS0_14default_configENS1_38merge_sort_block_merge_config_selectorIaNS0_10empty_typeEEEZZNS1_27merge_sort_block_merge_implIS3_N6thrust23THRUST_200600_302600_NS6detail15normal_iteratorINS9_10device_ptrIaEEEEPS5_m14custom_greaterIaEEE10hipError_tT0_T1_T2_jT3_P12ihipStream_tbPNSt15iterator_traitsISJ_E10value_typeEPNSP_ISK_E10value_typeEPSL_NS1_7vsmem_tEENKUlT_SJ_SK_SL_E_clIPaSE_SF_SF_EESI_SY_SJ_SK_SL_EUlSY_E0_NS1_11comp_targetILNS1_3genE4ELNS1_11target_archE910ELNS1_3gpuE8ELNS1_3repE0EEENS1_38merge_mergepath_config_static_selectorELNS0_4arch9wavefront6targetE1EEEvSK_,comdat
.Lfunc_end2796:
	.size	_ZN7rocprim17ROCPRIM_400000_NS6detail17trampoline_kernelINS0_14default_configENS1_38merge_sort_block_merge_config_selectorIaNS0_10empty_typeEEEZZNS1_27merge_sort_block_merge_implIS3_N6thrust23THRUST_200600_302600_NS6detail15normal_iteratorINS9_10device_ptrIaEEEEPS5_m14custom_greaterIaEEE10hipError_tT0_T1_T2_jT3_P12ihipStream_tbPNSt15iterator_traitsISJ_E10value_typeEPNSP_ISK_E10value_typeEPSL_NS1_7vsmem_tEENKUlT_SJ_SK_SL_E_clIPaSE_SF_SF_EESI_SY_SJ_SK_SL_EUlSY_E0_NS1_11comp_targetILNS1_3genE4ELNS1_11target_archE910ELNS1_3gpuE8ELNS1_3repE0EEENS1_38merge_mergepath_config_static_selectorELNS0_4arch9wavefront6targetE1EEEvSK_, .Lfunc_end2796-_ZN7rocprim17ROCPRIM_400000_NS6detail17trampoline_kernelINS0_14default_configENS1_38merge_sort_block_merge_config_selectorIaNS0_10empty_typeEEEZZNS1_27merge_sort_block_merge_implIS3_N6thrust23THRUST_200600_302600_NS6detail15normal_iteratorINS9_10device_ptrIaEEEEPS5_m14custom_greaterIaEEE10hipError_tT0_T1_T2_jT3_P12ihipStream_tbPNSt15iterator_traitsISJ_E10value_typeEPNSP_ISK_E10value_typeEPSL_NS1_7vsmem_tEENKUlT_SJ_SK_SL_E_clIPaSE_SF_SF_EESI_SY_SJ_SK_SL_EUlSY_E0_NS1_11comp_targetILNS1_3genE4ELNS1_11target_archE910ELNS1_3gpuE8ELNS1_3repE0EEENS1_38merge_mergepath_config_static_selectorELNS0_4arch9wavefront6targetE1EEEvSK_
                                        ; -- End function
	.section	.AMDGPU.csdata,"",@progbits
; Kernel info:
; codeLenInByte = 3280
; NumSgprs: 35
; NumVgprs: 28
; NumAgprs: 0
; TotalNumVgprs: 28
; ScratchSize: 0
; MemoryBound: 0
; FloatMode: 240
; IeeeMode: 1
; LDSByteSize: 1056 bytes/workgroup (compile time only)
; SGPRBlocks: 4
; VGPRBlocks: 3
; NumSGPRsForWavesPerEU: 35
; NumVGPRsForWavesPerEU: 28
; AccumOffset: 28
; Occupancy: 8
; WaveLimiterHint : 1
; COMPUTE_PGM_RSRC2:SCRATCH_EN: 0
; COMPUTE_PGM_RSRC2:USER_SGPR: 6
; COMPUTE_PGM_RSRC2:TRAP_HANDLER: 0
; COMPUTE_PGM_RSRC2:TGID_X_EN: 1
; COMPUTE_PGM_RSRC2:TGID_Y_EN: 1
; COMPUTE_PGM_RSRC2:TGID_Z_EN: 1
; COMPUTE_PGM_RSRC2:TIDIG_COMP_CNT: 0
; COMPUTE_PGM_RSRC3_GFX90A:ACCUM_OFFSET: 6
; COMPUTE_PGM_RSRC3_GFX90A:TG_SPLIT: 0
	.section	.text._ZN7rocprim17ROCPRIM_400000_NS6detail17trampoline_kernelINS0_14default_configENS1_38merge_sort_block_merge_config_selectorIaNS0_10empty_typeEEEZZNS1_27merge_sort_block_merge_implIS3_N6thrust23THRUST_200600_302600_NS6detail15normal_iteratorINS9_10device_ptrIaEEEEPS5_m14custom_greaterIaEEE10hipError_tT0_T1_T2_jT3_P12ihipStream_tbPNSt15iterator_traitsISJ_E10value_typeEPNSP_ISK_E10value_typeEPSL_NS1_7vsmem_tEENKUlT_SJ_SK_SL_E_clIPaSE_SF_SF_EESI_SY_SJ_SK_SL_EUlSY_E0_NS1_11comp_targetILNS1_3genE3ELNS1_11target_archE908ELNS1_3gpuE7ELNS1_3repE0EEENS1_38merge_mergepath_config_static_selectorELNS0_4arch9wavefront6targetE1EEEvSK_,"axG",@progbits,_ZN7rocprim17ROCPRIM_400000_NS6detail17trampoline_kernelINS0_14default_configENS1_38merge_sort_block_merge_config_selectorIaNS0_10empty_typeEEEZZNS1_27merge_sort_block_merge_implIS3_N6thrust23THRUST_200600_302600_NS6detail15normal_iteratorINS9_10device_ptrIaEEEEPS5_m14custom_greaterIaEEE10hipError_tT0_T1_T2_jT3_P12ihipStream_tbPNSt15iterator_traitsISJ_E10value_typeEPNSP_ISK_E10value_typeEPSL_NS1_7vsmem_tEENKUlT_SJ_SK_SL_E_clIPaSE_SF_SF_EESI_SY_SJ_SK_SL_EUlSY_E0_NS1_11comp_targetILNS1_3genE3ELNS1_11target_archE908ELNS1_3gpuE7ELNS1_3repE0EEENS1_38merge_mergepath_config_static_selectorELNS0_4arch9wavefront6targetE1EEEvSK_,comdat
	.protected	_ZN7rocprim17ROCPRIM_400000_NS6detail17trampoline_kernelINS0_14default_configENS1_38merge_sort_block_merge_config_selectorIaNS0_10empty_typeEEEZZNS1_27merge_sort_block_merge_implIS3_N6thrust23THRUST_200600_302600_NS6detail15normal_iteratorINS9_10device_ptrIaEEEEPS5_m14custom_greaterIaEEE10hipError_tT0_T1_T2_jT3_P12ihipStream_tbPNSt15iterator_traitsISJ_E10value_typeEPNSP_ISK_E10value_typeEPSL_NS1_7vsmem_tEENKUlT_SJ_SK_SL_E_clIPaSE_SF_SF_EESI_SY_SJ_SK_SL_EUlSY_E0_NS1_11comp_targetILNS1_3genE3ELNS1_11target_archE908ELNS1_3gpuE7ELNS1_3repE0EEENS1_38merge_mergepath_config_static_selectorELNS0_4arch9wavefront6targetE1EEEvSK_ ; -- Begin function _ZN7rocprim17ROCPRIM_400000_NS6detail17trampoline_kernelINS0_14default_configENS1_38merge_sort_block_merge_config_selectorIaNS0_10empty_typeEEEZZNS1_27merge_sort_block_merge_implIS3_N6thrust23THRUST_200600_302600_NS6detail15normal_iteratorINS9_10device_ptrIaEEEEPS5_m14custom_greaterIaEEE10hipError_tT0_T1_T2_jT3_P12ihipStream_tbPNSt15iterator_traitsISJ_E10value_typeEPNSP_ISK_E10value_typeEPSL_NS1_7vsmem_tEENKUlT_SJ_SK_SL_E_clIPaSE_SF_SF_EESI_SY_SJ_SK_SL_EUlSY_E0_NS1_11comp_targetILNS1_3genE3ELNS1_11target_archE908ELNS1_3gpuE7ELNS1_3repE0EEENS1_38merge_mergepath_config_static_selectorELNS0_4arch9wavefront6targetE1EEEvSK_
	.globl	_ZN7rocprim17ROCPRIM_400000_NS6detail17trampoline_kernelINS0_14default_configENS1_38merge_sort_block_merge_config_selectorIaNS0_10empty_typeEEEZZNS1_27merge_sort_block_merge_implIS3_N6thrust23THRUST_200600_302600_NS6detail15normal_iteratorINS9_10device_ptrIaEEEEPS5_m14custom_greaterIaEEE10hipError_tT0_T1_T2_jT3_P12ihipStream_tbPNSt15iterator_traitsISJ_E10value_typeEPNSP_ISK_E10value_typeEPSL_NS1_7vsmem_tEENKUlT_SJ_SK_SL_E_clIPaSE_SF_SF_EESI_SY_SJ_SK_SL_EUlSY_E0_NS1_11comp_targetILNS1_3genE3ELNS1_11target_archE908ELNS1_3gpuE7ELNS1_3repE0EEENS1_38merge_mergepath_config_static_selectorELNS0_4arch9wavefront6targetE1EEEvSK_
	.p2align	8
	.type	_ZN7rocprim17ROCPRIM_400000_NS6detail17trampoline_kernelINS0_14default_configENS1_38merge_sort_block_merge_config_selectorIaNS0_10empty_typeEEEZZNS1_27merge_sort_block_merge_implIS3_N6thrust23THRUST_200600_302600_NS6detail15normal_iteratorINS9_10device_ptrIaEEEEPS5_m14custom_greaterIaEEE10hipError_tT0_T1_T2_jT3_P12ihipStream_tbPNSt15iterator_traitsISJ_E10value_typeEPNSP_ISK_E10value_typeEPSL_NS1_7vsmem_tEENKUlT_SJ_SK_SL_E_clIPaSE_SF_SF_EESI_SY_SJ_SK_SL_EUlSY_E0_NS1_11comp_targetILNS1_3genE3ELNS1_11target_archE908ELNS1_3gpuE7ELNS1_3repE0EEENS1_38merge_mergepath_config_static_selectorELNS0_4arch9wavefront6targetE1EEEvSK_,@function
_ZN7rocprim17ROCPRIM_400000_NS6detail17trampoline_kernelINS0_14default_configENS1_38merge_sort_block_merge_config_selectorIaNS0_10empty_typeEEEZZNS1_27merge_sort_block_merge_implIS3_N6thrust23THRUST_200600_302600_NS6detail15normal_iteratorINS9_10device_ptrIaEEEEPS5_m14custom_greaterIaEEE10hipError_tT0_T1_T2_jT3_P12ihipStream_tbPNSt15iterator_traitsISJ_E10value_typeEPNSP_ISK_E10value_typeEPSL_NS1_7vsmem_tEENKUlT_SJ_SK_SL_E_clIPaSE_SF_SF_EESI_SY_SJ_SK_SL_EUlSY_E0_NS1_11comp_targetILNS1_3genE3ELNS1_11target_archE908ELNS1_3gpuE7ELNS1_3repE0EEENS1_38merge_mergepath_config_static_selectorELNS0_4arch9wavefront6targetE1EEEvSK_: ; @_ZN7rocprim17ROCPRIM_400000_NS6detail17trampoline_kernelINS0_14default_configENS1_38merge_sort_block_merge_config_selectorIaNS0_10empty_typeEEEZZNS1_27merge_sort_block_merge_implIS3_N6thrust23THRUST_200600_302600_NS6detail15normal_iteratorINS9_10device_ptrIaEEEEPS5_m14custom_greaterIaEEE10hipError_tT0_T1_T2_jT3_P12ihipStream_tbPNSt15iterator_traitsISJ_E10value_typeEPNSP_ISK_E10value_typeEPSL_NS1_7vsmem_tEENKUlT_SJ_SK_SL_E_clIPaSE_SF_SF_EESI_SY_SJ_SK_SL_EUlSY_E0_NS1_11comp_targetILNS1_3genE3ELNS1_11target_archE908ELNS1_3gpuE7ELNS1_3repE0EEENS1_38merge_mergepath_config_static_selectorELNS0_4arch9wavefront6targetE1EEEvSK_
; %bb.0:
	.section	.rodata,"a",@progbits
	.p2align	6, 0x0
	.amdhsa_kernel _ZN7rocprim17ROCPRIM_400000_NS6detail17trampoline_kernelINS0_14default_configENS1_38merge_sort_block_merge_config_selectorIaNS0_10empty_typeEEEZZNS1_27merge_sort_block_merge_implIS3_N6thrust23THRUST_200600_302600_NS6detail15normal_iteratorINS9_10device_ptrIaEEEEPS5_m14custom_greaterIaEEE10hipError_tT0_T1_T2_jT3_P12ihipStream_tbPNSt15iterator_traitsISJ_E10value_typeEPNSP_ISK_E10value_typeEPSL_NS1_7vsmem_tEENKUlT_SJ_SK_SL_E_clIPaSE_SF_SF_EESI_SY_SJ_SK_SL_EUlSY_E0_NS1_11comp_targetILNS1_3genE3ELNS1_11target_archE908ELNS1_3gpuE7ELNS1_3repE0EEENS1_38merge_mergepath_config_static_selectorELNS0_4arch9wavefront6targetE1EEEvSK_
		.amdhsa_group_segment_fixed_size 0
		.amdhsa_private_segment_fixed_size 0
		.amdhsa_kernarg_size 72
		.amdhsa_user_sgpr_count 6
		.amdhsa_user_sgpr_private_segment_buffer 1
		.amdhsa_user_sgpr_dispatch_ptr 0
		.amdhsa_user_sgpr_queue_ptr 0
		.amdhsa_user_sgpr_kernarg_segment_ptr 1
		.amdhsa_user_sgpr_dispatch_id 0
		.amdhsa_user_sgpr_flat_scratch_init 0
		.amdhsa_user_sgpr_kernarg_preload_length 0
		.amdhsa_user_sgpr_kernarg_preload_offset 0
		.amdhsa_user_sgpr_private_segment_size 0
		.amdhsa_uses_dynamic_stack 0
		.amdhsa_system_sgpr_private_segment_wavefront_offset 0
		.amdhsa_system_sgpr_workgroup_id_x 1
		.amdhsa_system_sgpr_workgroup_id_y 0
		.amdhsa_system_sgpr_workgroup_id_z 0
		.amdhsa_system_sgpr_workgroup_info 0
		.amdhsa_system_vgpr_workitem_id 0
		.amdhsa_next_free_vgpr 1
		.amdhsa_next_free_sgpr 0
		.amdhsa_accum_offset 4
		.amdhsa_reserve_vcc 0
		.amdhsa_reserve_flat_scratch 0
		.amdhsa_float_round_mode_32 0
		.amdhsa_float_round_mode_16_64 0
		.amdhsa_float_denorm_mode_32 3
		.amdhsa_float_denorm_mode_16_64 3
		.amdhsa_dx10_clamp 1
		.amdhsa_ieee_mode 1
		.amdhsa_fp16_overflow 0
		.amdhsa_tg_split 0
		.amdhsa_exception_fp_ieee_invalid_op 0
		.amdhsa_exception_fp_denorm_src 0
		.amdhsa_exception_fp_ieee_div_zero 0
		.amdhsa_exception_fp_ieee_overflow 0
		.amdhsa_exception_fp_ieee_underflow 0
		.amdhsa_exception_fp_ieee_inexact 0
		.amdhsa_exception_int_div_zero 0
	.end_amdhsa_kernel
	.section	.text._ZN7rocprim17ROCPRIM_400000_NS6detail17trampoline_kernelINS0_14default_configENS1_38merge_sort_block_merge_config_selectorIaNS0_10empty_typeEEEZZNS1_27merge_sort_block_merge_implIS3_N6thrust23THRUST_200600_302600_NS6detail15normal_iteratorINS9_10device_ptrIaEEEEPS5_m14custom_greaterIaEEE10hipError_tT0_T1_T2_jT3_P12ihipStream_tbPNSt15iterator_traitsISJ_E10value_typeEPNSP_ISK_E10value_typeEPSL_NS1_7vsmem_tEENKUlT_SJ_SK_SL_E_clIPaSE_SF_SF_EESI_SY_SJ_SK_SL_EUlSY_E0_NS1_11comp_targetILNS1_3genE3ELNS1_11target_archE908ELNS1_3gpuE7ELNS1_3repE0EEENS1_38merge_mergepath_config_static_selectorELNS0_4arch9wavefront6targetE1EEEvSK_,"axG",@progbits,_ZN7rocprim17ROCPRIM_400000_NS6detail17trampoline_kernelINS0_14default_configENS1_38merge_sort_block_merge_config_selectorIaNS0_10empty_typeEEEZZNS1_27merge_sort_block_merge_implIS3_N6thrust23THRUST_200600_302600_NS6detail15normal_iteratorINS9_10device_ptrIaEEEEPS5_m14custom_greaterIaEEE10hipError_tT0_T1_T2_jT3_P12ihipStream_tbPNSt15iterator_traitsISJ_E10value_typeEPNSP_ISK_E10value_typeEPSL_NS1_7vsmem_tEENKUlT_SJ_SK_SL_E_clIPaSE_SF_SF_EESI_SY_SJ_SK_SL_EUlSY_E0_NS1_11comp_targetILNS1_3genE3ELNS1_11target_archE908ELNS1_3gpuE7ELNS1_3repE0EEENS1_38merge_mergepath_config_static_selectorELNS0_4arch9wavefront6targetE1EEEvSK_,comdat
.Lfunc_end2797:
	.size	_ZN7rocprim17ROCPRIM_400000_NS6detail17trampoline_kernelINS0_14default_configENS1_38merge_sort_block_merge_config_selectorIaNS0_10empty_typeEEEZZNS1_27merge_sort_block_merge_implIS3_N6thrust23THRUST_200600_302600_NS6detail15normal_iteratorINS9_10device_ptrIaEEEEPS5_m14custom_greaterIaEEE10hipError_tT0_T1_T2_jT3_P12ihipStream_tbPNSt15iterator_traitsISJ_E10value_typeEPNSP_ISK_E10value_typeEPSL_NS1_7vsmem_tEENKUlT_SJ_SK_SL_E_clIPaSE_SF_SF_EESI_SY_SJ_SK_SL_EUlSY_E0_NS1_11comp_targetILNS1_3genE3ELNS1_11target_archE908ELNS1_3gpuE7ELNS1_3repE0EEENS1_38merge_mergepath_config_static_selectorELNS0_4arch9wavefront6targetE1EEEvSK_, .Lfunc_end2797-_ZN7rocprim17ROCPRIM_400000_NS6detail17trampoline_kernelINS0_14default_configENS1_38merge_sort_block_merge_config_selectorIaNS0_10empty_typeEEEZZNS1_27merge_sort_block_merge_implIS3_N6thrust23THRUST_200600_302600_NS6detail15normal_iteratorINS9_10device_ptrIaEEEEPS5_m14custom_greaterIaEEE10hipError_tT0_T1_T2_jT3_P12ihipStream_tbPNSt15iterator_traitsISJ_E10value_typeEPNSP_ISK_E10value_typeEPSL_NS1_7vsmem_tEENKUlT_SJ_SK_SL_E_clIPaSE_SF_SF_EESI_SY_SJ_SK_SL_EUlSY_E0_NS1_11comp_targetILNS1_3genE3ELNS1_11target_archE908ELNS1_3gpuE7ELNS1_3repE0EEENS1_38merge_mergepath_config_static_selectorELNS0_4arch9wavefront6targetE1EEEvSK_
                                        ; -- End function
	.section	.AMDGPU.csdata,"",@progbits
; Kernel info:
; codeLenInByte = 0
; NumSgprs: 4
; NumVgprs: 0
; NumAgprs: 0
; TotalNumVgprs: 0
; ScratchSize: 0
; MemoryBound: 0
; FloatMode: 240
; IeeeMode: 1
; LDSByteSize: 0 bytes/workgroup (compile time only)
; SGPRBlocks: 0
; VGPRBlocks: 0
; NumSGPRsForWavesPerEU: 4
; NumVGPRsForWavesPerEU: 1
; AccumOffset: 4
; Occupancy: 8
; WaveLimiterHint : 0
; COMPUTE_PGM_RSRC2:SCRATCH_EN: 0
; COMPUTE_PGM_RSRC2:USER_SGPR: 6
; COMPUTE_PGM_RSRC2:TRAP_HANDLER: 0
; COMPUTE_PGM_RSRC2:TGID_X_EN: 1
; COMPUTE_PGM_RSRC2:TGID_Y_EN: 0
; COMPUTE_PGM_RSRC2:TGID_Z_EN: 0
; COMPUTE_PGM_RSRC2:TIDIG_COMP_CNT: 0
; COMPUTE_PGM_RSRC3_GFX90A:ACCUM_OFFSET: 0
; COMPUTE_PGM_RSRC3_GFX90A:TG_SPLIT: 0
	.section	.text._ZN7rocprim17ROCPRIM_400000_NS6detail17trampoline_kernelINS0_14default_configENS1_38merge_sort_block_merge_config_selectorIaNS0_10empty_typeEEEZZNS1_27merge_sort_block_merge_implIS3_N6thrust23THRUST_200600_302600_NS6detail15normal_iteratorINS9_10device_ptrIaEEEEPS5_m14custom_greaterIaEEE10hipError_tT0_T1_T2_jT3_P12ihipStream_tbPNSt15iterator_traitsISJ_E10value_typeEPNSP_ISK_E10value_typeEPSL_NS1_7vsmem_tEENKUlT_SJ_SK_SL_E_clIPaSE_SF_SF_EESI_SY_SJ_SK_SL_EUlSY_E0_NS1_11comp_targetILNS1_3genE2ELNS1_11target_archE906ELNS1_3gpuE6ELNS1_3repE0EEENS1_38merge_mergepath_config_static_selectorELNS0_4arch9wavefront6targetE1EEEvSK_,"axG",@progbits,_ZN7rocprim17ROCPRIM_400000_NS6detail17trampoline_kernelINS0_14default_configENS1_38merge_sort_block_merge_config_selectorIaNS0_10empty_typeEEEZZNS1_27merge_sort_block_merge_implIS3_N6thrust23THRUST_200600_302600_NS6detail15normal_iteratorINS9_10device_ptrIaEEEEPS5_m14custom_greaterIaEEE10hipError_tT0_T1_T2_jT3_P12ihipStream_tbPNSt15iterator_traitsISJ_E10value_typeEPNSP_ISK_E10value_typeEPSL_NS1_7vsmem_tEENKUlT_SJ_SK_SL_E_clIPaSE_SF_SF_EESI_SY_SJ_SK_SL_EUlSY_E0_NS1_11comp_targetILNS1_3genE2ELNS1_11target_archE906ELNS1_3gpuE6ELNS1_3repE0EEENS1_38merge_mergepath_config_static_selectorELNS0_4arch9wavefront6targetE1EEEvSK_,comdat
	.protected	_ZN7rocprim17ROCPRIM_400000_NS6detail17trampoline_kernelINS0_14default_configENS1_38merge_sort_block_merge_config_selectorIaNS0_10empty_typeEEEZZNS1_27merge_sort_block_merge_implIS3_N6thrust23THRUST_200600_302600_NS6detail15normal_iteratorINS9_10device_ptrIaEEEEPS5_m14custom_greaterIaEEE10hipError_tT0_T1_T2_jT3_P12ihipStream_tbPNSt15iterator_traitsISJ_E10value_typeEPNSP_ISK_E10value_typeEPSL_NS1_7vsmem_tEENKUlT_SJ_SK_SL_E_clIPaSE_SF_SF_EESI_SY_SJ_SK_SL_EUlSY_E0_NS1_11comp_targetILNS1_3genE2ELNS1_11target_archE906ELNS1_3gpuE6ELNS1_3repE0EEENS1_38merge_mergepath_config_static_selectorELNS0_4arch9wavefront6targetE1EEEvSK_ ; -- Begin function _ZN7rocprim17ROCPRIM_400000_NS6detail17trampoline_kernelINS0_14default_configENS1_38merge_sort_block_merge_config_selectorIaNS0_10empty_typeEEEZZNS1_27merge_sort_block_merge_implIS3_N6thrust23THRUST_200600_302600_NS6detail15normal_iteratorINS9_10device_ptrIaEEEEPS5_m14custom_greaterIaEEE10hipError_tT0_T1_T2_jT3_P12ihipStream_tbPNSt15iterator_traitsISJ_E10value_typeEPNSP_ISK_E10value_typeEPSL_NS1_7vsmem_tEENKUlT_SJ_SK_SL_E_clIPaSE_SF_SF_EESI_SY_SJ_SK_SL_EUlSY_E0_NS1_11comp_targetILNS1_3genE2ELNS1_11target_archE906ELNS1_3gpuE6ELNS1_3repE0EEENS1_38merge_mergepath_config_static_selectorELNS0_4arch9wavefront6targetE1EEEvSK_
	.globl	_ZN7rocprim17ROCPRIM_400000_NS6detail17trampoline_kernelINS0_14default_configENS1_38merge_sort_block_merge_config_selectorIaNS0_10empty_typeEEEZZNS1_27merge_sort_block_merge_implIS3_N6thrust23THRUST_200600_302600_NS6detail15normal_iteratorINS9_10device_ptrIaEEEEPS5_m14custom_greaterIaEEE10hipError_tT0_T1_T2_jT3_P12ihipStream_tbPNSt15iterator_traitsISJ_E10value_typeEPNSP_ISK_E10value_typeEPSL_NS1_7vsmem_tEENKUlT_SJ_SK_SL_E_clIPaSE_SF_SF_EESI_SY_SJ_SK_SL_EUlSY_E0_NS1_11comp_targetILNS1_3genE2ELNS1_11target_archE906ELNS1_3gpuE6ELNS1_3repE0EEENS1_38merge_mergepath_config_static_selectorELNS0_4arch9wavefront6targetE1EEEvSK_
	.p2align	8
	.type	_ZN7rocprim17ROCPRIM_400000_NS6detail17trampoline_kernelINS0_14default_configENS1_38merge_sort_block_merge_config_selectorIaNS0_10empty_typeEEEZZNS1_27merge_sort_block_merge_implIS3_N6thrust23THRUST_200600_302600_NS6detail15normal_iteratorINS9_10device_ptrIaEEEEPS5_m14custom_greaterIaEEE10hipError_tT0_T1_T2_jT3_P12ihipStream_tbPNSt15iterator_traitsISJ_E10value_typeEPNSP_ISK_E10value_typeEPSL_NS1_7vsmem_tEENKUlT_SJ_SK_SL_E_clIPaSE_SF_SF_EESI_SY_SJ_SK_SL_EUlSY_E0_NS1_11comp_targetILNS1_3genE2ELNS1_11target_archE906ELNS1_3gpuE6ELNS1_3repE0EEENS1_38merge_mergepath_config_static_selectorELNS0_4arch9wavefront6targetE1EEEvSK_,@function
_ZN7rocprim17ROCPRIM_400000_NS6detail17trampoline_kernelINS0_14default_configENS1_38merge_sort_block_merge_config_selectorIaNS0_10empty_typeEEEZZNS1_27merge_sort_block_merge_implIS3_N6thrust23THRUST_200600_302600_NS6detail15normal_iteratorINS9_10device_ptrIaEEEEPS5_m14custom_greaterIaEEE10hipError_tT0_T1_T2_jT3_P12ihipStream_tbPNSt15iterator_traitsISJ_E10value_typeEPNSP_ISK_E10value_typeEPSL_NS1_7vsmem_tEENKUlT_SJ_SK_SL_E_clIPaSE_SF_SF_EESI_SY_SJ_SK_SL_EUlSY_E0_NS1_11comp_targetILNS1_3genE2ELNS1_11target_archE906ELNS1_3gpuE6ELNS1_3repE0EEENS1_38merge_mergepath_config_static_selectorELNS0_4arch9wavefront6targetE1EEEvSK_: ; @_ZN7rocprim17ROCPRIM_400000_NS6detail17trampoline_kernelINS0_14default_configENS1_38merge_sort_block_merge_config_selectorIaNS0_10empty_typeEEEZZNS1_27merge_sort_block_merge_implIS3_N6thrust23THRUST_200600_302600_NS6detail15normal_iteratorINS9_10device_ptrIaEEEEPS5_m14custom_greaterIaEEE10hipError_tT0_T1_T2_jT3_P12ihipStream_tbPNSt15iterator_traitsISJ_E10value_typeEPNSP_ISK_E10value_typeEPSL_NS1_7vsmem_tEENKUlT_SJ_SK_SL_E_clIPaSE_SF_SF_EESI_SY_SJ_SK_SL_EUlSY_E0_NS1_11comp_targetILNS1_3genE2ELNS1_11target_archE906ELNS1_3gpuE6ELNS1_3repE0EEENS1_38merge_mergepath_config_static_selectorELNS0_4arch9wavefront6targetE1EEEvSK_
; %bb.0:
	.section	.rodata,"a",@progbits
	.p2align	6, 0x0
	.amdhsa_kernel _ZN7rocprim17ROCPRIM_400000_NS6detail17trampoline_kernelINS0_14default_configENS1_38merge_sort_block_merge_config_selectorIaNS0_10empty_typeEEEZZNS1_27merge_sort_block_merge_implIS3_N6thrust23THRUST_200600_302600_NS6detail15normal_iteratorINS9_10device_ptrIaEEEEPS5_m14custom_greaterIaEEE10hipError_tT0_T1_T2_jT3_P12ihipStream_tbPNSt15iterator_traitsISJ_E10value_typeEPNSP_ISK_E10value_typeEPSL_NS1_7vsmem_tEENKUlT_SJ_SK_SL_E_clIPaSE_SF_SF_EESI_SY_SJ_SK_SL_EUlSY_E0_NS1_11comp_targetILNS1_3genE2ELNS1_11target_archE906ELNS1_3gpuE6ELNS1_3repE0EEENS1_38merge_mergepath_config_static_selectorELNS0_4arch9wavefront6targetE1EEEvSK_
		.amdhsa_group_segment_fixed_size 0
		.amdhsa_private_segment_fixed_size 0
		.amdhsa_kernarg_size 72
		.amdhsa_user_sgpr_count 6
		.amdhsa_user_sgpr_private_segment_buffer 1
		.amdhsa_user_sgpr_dispatch_ptr 0
		.amdhsa_user_sgpr_queue_ptr 0
		.amdhsa_user_sgpr_kernarg_segment_ptr 1
		.amdhsa_user_sgpr_dispatch_id 0
		.amdhsa_user_sgpr_flat_scratch_init 0
		.amdhsa_user_sgpr_kernarg_preload_length 0
		.amdhsa_user_sgpr_kernarg_preload_offset 0
		.amdhsa_user_sgpr_private_segment_size 0
		.amdhsa_uses_dynamic_stack 0
		.amdhsa_system_sgpr_private_segment_wavefront_offset 0
		.amdhsa_system_sgpr_workgroup_id_x 1
		.amdhsa_system_sgpr_workgroup_id_y 0
		.amdhsa_system_sgpr_workgroup_id_z 0
		.amdhsa_system_sgpr_workgroup_info 0
		.amdhsa_system_vgpr_workitem_id 0
		.amdhsa_next_free_vgpr 1
		.amdhsa_next_free_sgpr 0
		.amdhsa_accum_offset 4
		.amdhsa_reserve_vcc 0
		.amdhsa_reserve_flat_scratch 0
		.amdhsa_float_round_mode_32 0
		.amdhsa_float_round_mode_16_64 0
		.amdhsa_float_denorm_mode_32 3
		.amdhsa_float_denorm_mode_16_64 3
		.amdhsa_dx10_clamp 1
		.amdhsa_ieee_mode 1
		.amdhsa_fp16_overflow 0
		.amdhsa_tg_split 0
		.amdhsa_exception_fp_ieee_invalid_op 0
		.amdhsa_exception_fp_denorm_src 0
		.amdhsa_exception_fp_ieee_div_zero 0
		.amdhsa_exception_fp_ieee_overflow 0
		.amdhsa_exception_fp_ieee_underflow 0
		.amdhsa_exception_fp_ieee_inexact 0
		.amdhsa_exception_int_div_zero 0
	.end_amdhsa_kernel
	.section	.text._ZN7rocprim17ROCPRIM_400000_NS6detail17trampoline_kernelINS0_14default_configENS1_38merge_sort_block_merge_config_selectorIaNS0_10empty_typeEEEZZNS1_27merge_sort_block_merge_implIS3_N6thrust23THRUST_200600_302600_NS6detail15normal_iteratorINS9_10device_ptrIaEEEEPS5_m14custom_greaterIaEEE10hipError_tT0_T1_T2_jT3_P12ihipStream_tbPNSt15iterator_traitsISJ_E10value_typeEPNSP_ISK_E10value_typeEPSL_NS1_7vsmem_tEENKUlT_SJ_SK_SL_E_clIPaSE_SF_SF_EESI_SY_SJ_SK_SL_EUlSY_E0_NS1_11comp_targetILNS1_3genE2ELNS1_11target_archE906ELNS1_3gpuE6ELNS1_3repE0EEENS1_38merge_mergepath_config_static_selectorELNS0_4arch9wavefront6targetE1EEEvSK_,"axG",@progbits,_ZN7rocprim17ROCPRIM_400000_NS6detail17trampoline_kernelINS0_14default_configENS1_38merge_sort_block_merge_config_selectorIaNS0_10empty_typeEEEZZNS1_27merge_sort_block_merge_implIS3_N6thrust23THRUST_200600_302600_NS6detail15normal_iteratorINS9_10device_ptrIaEEEEPS5_m14custom_greaterIaEEE10hipError_tT0_T1_T2_jT3_P12ihipStream_tbPNSt15iterator_traitsISJ_E10value_typeEPNSP_ISK_E10value_typeEPSL_NS1_7vsmem_tEENKUlT_SJ_SK_SL_E_clIPaSE_SF_SF_EESI_SY_SJ_SK_SL_EUlSY_E0_NS1_11comp_targetILNS1_3genE2ELNS1_11target_archE906ELNS1_3gpuE6ELNS1_3repE0EEENS1_38merge_mergepath_config_static_selectorELNS0_4arch9wavefront6targetE1EEEvSK_,comdat
.Lfunc_end2798:
	.size	_ZN7rocprim17ROCPRIM_400000_NS6detail17trampoline_kernelINS0_14default_configENS1_38merge_sort_block_merge_config_selectorIaNS0_10empty_typeEEEZZNS1_27merge_sort_block_merge_implIS3_N6thrust23THRUST_200600_302600_NS6detail15normal_iteratorINS9_10device_ptrIaEEEEPS5_m14custom_greaterIaEEE10hipError_tT0_T1_T2_jT3_P12ihipStream_tbPNSt15iterator_traitsISJ_E10value_typeEPNSP_ISK_E10value_typeEPSL_NS1_7vsmem_tEENKUlT_SJ_SK_SL_E_clIPaSE_SF_SF_EESI_SY_SJ_SK_SL_EUlSY_E0_NS1_11comp_targetILNS1_3genE2ELNS1_11target_archE906ELNS1_3gpuE6ELNS1_3repE0EEENS1_38merge_mergepath_config_static_selectorELNS0_4arch9wavefront6targetE1EEEvSK_, .Lfunc_end2798-_ZN7rocprim17ROCPRIM_400000_NS6detail17trampoline_kernelINS0_14default_configENS1_38merge_sort_block_merge_config_selectorIaNS0_10empty_typeEEEZZNS1_27merge_sort_block_merge_implIS3_N6thrust23THRUST_200600_302600_NS6detail15normal_iteratorINS9_10device_ptrIaEEEEPS5_m14custom_greaterIaEEE10hipError_tT0_T1_T2_jT3_P12ihipStream_tbPNSt15iterator_traitsISJ_E10value_typeEPNSP_ISK_E10value_typeEPSL_NS1_7vsmem_tEENKUlT_SJ_SK_SL_E_clIPaSE_SF_SF_EESI_SY_SJ_SK_SL_EUlSY_E0_NS1_11comp_targetILNS1_3genE2ELNS1_11target_archE906ELNS1_3gpuE6ELNS1_3repE0EEENS1_38merge_mergepath_config_static_selectorELNS0_4arch9wavefront6targetE1EEEvSK_
                                        ; -- End function
	.section	.AMDGPU.csdata,"",@progbits
; Kernel info:
; codeLenInByte = 0
; NumSgprs: 4
; NumVgprs: 0
; NumAgprs: 0
; TotalNumVgprs: 0
; ScratchSize: 0
; MemoryBound: 0
; FloatMode: 240
; IeeeMode: 1
; LDSByteSize: 0 bytes/workgroup (compile time only)
; SGPRBlocks: 0
; VGPRBlocks: 0
; NumSGPRsForWavesPerEU: 4
; NumVGPRsForWavesPerEU: 1
; AccumOffset: 4
; Occupancy: 8
; WaveLimiterHint : 0
; COMPUTE_PGM_RSRC2:SCRATCH_EN: 0
; COMPUTE_PGM_RSRC2:USER_SGPR: 6
; COMPUTE_PGM_RSRC2:TRAP_HANDLER: 0
; COMPUTE_PGM_RSRC2:TGID_X_EN: 1
; COMPUTE_PGM_RSRC2:TGID_Y_EN: 0
; COMPUTE_PGM_RSRC2:TGID_Z_EN: 0
; COMPUTE_PGM_RSRC2:TIDIG_COMP_CNT: 0
; COMPUTE_PGM_RSRC3_GFX90A:ACCUM_OFFSET: 0
; COMPUTE_PGM_RSRC3_GFX90A:TG_SPLIT: 0
	.section	.text._ZN7rocprim17ROCPRIM_400000_NS6detail17trampoline_kernelINS0_14default_configENS1_38merge_sort_block_merge_config_selectorIaNS0_10empty_typeEEEZZNS1_27merge_sort_block_merge_implIS3_N6thrust23THRUST_200600_302600_NS6detail15normal_iteratorINS9_10device_ptrIaEEEEPS5_m14custom_greaterIaEEE10hipError_tT0_T1_T2_jT3_P12ihipStream_tbPNSt15iterator_traitsISJ_E10value_typeEPNSP_ISK_E10value_typeEPSL_NS1_7vsmem_tEENKUlT_SJ_SK_SL_E_clIPaSE_SF_SF_EESI_SY_SJ_SK_SL_EUlSY_E0_NS1_11comp_targetILNS1_3genE9ELNS1_11target_archE1100ELNS1_3gpuE3ELNS1_3repE0EEENS1_38merge_mergepath_config_static_selectorELNS0_4arch9wavefront6targetE1EEEvSK_,"axG",@progbits,_ZN7rocprim17ROCPRIM_400000_NS6detail17trampoline_kernelINS0_14default_configENS1_38merge_sort_block_merge_config_selectorIaNS0_10empty_typeEEEZZNS1_27merge_sort_block_merge_implIS3_N6thrust23THRUST_200600_302600_NS6detail15normal_iteratorINS9_10device_ptrIaEEEEPS5_m14custom_greaterIaEEE10hipError_tT0_T1_T2_jT3_P12ihipStream_tbPNSt15iterator_traitsISJ_E10value_typeEPNSP_ISK_E10value_typeEPSL_NS1_7vsmem_tEENKUlT_SJ_SK_SL_E_clIPaSE_SF_SF_EESI_SY_SJ_SK_SL_EUlSY_E0_NS1_11comp_targetILNS1_3genE9ELNS1_11target_archE1100ELNS1_3gpuE3ELNS1_3repE0EEENS1_38merge_mergepath_config_static_selectorELNS0_4arch9wavefront6targetE1EEEvSK_,comdat
	.protected	_ZN7rocprim17ROCPRIM_400000_NS6detail17trampoline_kernelINS0_14default_configENS1_38merge_sort_block_merge_config_selectorIaNS0_10empty_typeEEEZZNS1_27merge_sort_block_merge_implIS3_N6thrust23THRUST_200600_302600_NS6detail15normal_iteratorINS9_10device_ptrIaEEEEPS5_m14custom_greaterIaEEE10hipError_tT0_T1_T2_jT3_P12ihipStream_tbPNSt15iterator_traitsISJ_E10value_typeEPNSP_ISK_E10value_typeEPSL_NS1_7vsmem_tEENKUlT_SJ_SK_SL_E_clIPaSE_SF_SF_EESI_SY_SJ_SK_SL_EUlSY_E0_NS1_11comp_targetILNS1_3genE9ELNS1_11target_archE1100ELNS1_3gpuE3ELNS1_3repE0EEENS1_38merge_mergepath_config_static_selectorELNS0_4arch9wavefront6targetE1EEEvSK_ ; -- Begin function _ZN7rocprim17ROCPRIM_400000_NS6detail17trampoline_kernelINS0_14default_configENS1_38merge_sort_block_merge_config_selectorIaNS0_10empty_typeEEEZZNS1_27merge_sort_block_merge_implIS3_N6thrust23THRUST_200600_302600_NS6detail15normal_iteratorINS9_10device_ptrIaEEEEPS5_m14custom_greaterIaEEE10hipError_tT0_T1_T2_jT3_P12ihipStream_tbPNSt15iterator_traitsISJ_E10value_typeEPNSP_ISK_E10value_typeEPSL_NS1_7vsmem_tEENKUlT_SJ_SK_SL_E_clIPaSE_SF_SF_EESI_SY_SJ_SK_SL_EUlSY_E0_NS1_11comp_targetILNS1_3genE9ELNS1_11target_archE1100ELNS1_3gpuE3ELNS1_3repE0EEENS1_38merge_mergepath_config_static_selectorELNS0_4arch9wavefront6targetE1EEEvSK_
	.globl	_ZN7rocprim17ROCPRIM_400000_NS6detail17trampoline_kernelINS0_14default_configENS1_38merge_sort_block_merge_config_selectorIaNS0_10empty_typeEEEZZNS1_27merge_sort_block_merge_implIS3_N6thrust23THRUST_200600_302600_NS6detail15normal_iteratorINS9_10device_ptrIaEEEEPS5_m14custom_greaterIaEEE10hipError_tT0_T1_T2_jT3_P12ihipStream_tbPNSt15iterator_traitsISJ_E10value_typeEPNSP_ISK_E10value_typeEPSL_NS1_7vsmem_tEENKUlT_SJ_SK_SL_E_clIPaSE_SF_SF_EESI_SY_SJ_SK_SL_EUlSY_E0_NS1_11comp_targetILNS1_3genE9ELNS1_11target_archE1100ELNS1_3gpuE3ELNS1_3repE0EEENS1_38merge_mergepath_config_static_selectorELNS0_4arch9wavefront6targetE1EEEvSK_
	.p2align	8
	.type	_ZN7rocprim17ROCPRIM_400000_NS6detail17trampoline_kernelINS0_14default_configENS1_38merge_sort_block_merge_config_selectorIaNS0_10empty_typeEEEZZNS1_27merge_sort_block_merge_implIS3_N6thrust23THRUST_200600_302600_NS6detail15normal_iteratorINS9_10device_ptrIaEEEEPS5_m14custom_greaterIaEEE10hipError_tT0_T1_T2_jT3_P12ihipStream_tbPNSt15iterator_traitsISJ_E10value_typeEPNSP_ISK_E10value_typeEPSL_NS1_7vsmem_tEENKUlT_SJ_SK_SL_E_clIPaSE_SF_SF_EESI_SY_SJ_SK_SL_EUlSY_E0_NS1_11comp_targetILNS1_3genE9ELNS1_11target_archE1100ELNS1_3gpuE3ELNS1_3repE0EEENS1_38merge_mergepath_config_static_selectorELNS0_4arch9wavefront6targetE1EEEvSK_,@function
_ZN7rocprim17ROCPRIM_400000_NS6detail17trampoline_kernelINS0_14default_configENS1_38merge_sort_block_merge_config_selectorIaNS0_10empty_typeEEEZZNS1_27merge_sort_block_merge_implIS3_N6thrust23THRUST_200600_302600_NS6detail15normal_iteratorINS9_10device_ptrIaEEEEPS5_m14custom_greaterIaEEE10hipError_tT0_T1_T2_jT3_P12ihipStream_tbPNSt15iterator_traitsISJ_E10value_typeEPNSP_ISK_E10value_typeEPSL_NS1_7vsmem_tEENKUlT_SJ_SK_SL_E_clIPaSE_SF_SF_EESI_SY_SJ_SK_SL_EUlSY_E0_NS1_11comp_targetILNS1_3genE9ELNS1_11target_archE1100ELNS1_3gpuE3ELNS1_3repE0EEENS1_38merge_mergepath_config_static_selectorELNS0_4arch9wavefront6targetE1EEEvSK_: ; @_ZN7rocprim17ROCPRIM_400000_NS6detail17trampoline_kernelINS0_14default_configENS1_38merge_sort_block_merge_config_selectorIaNS0_10empty_typeEEEZZNS1_27merge_sort_block_merge_implIS3_N6thrust23THRUST_200600_302600_NS6detail15normal_iteratorINS9_10device_ptrIaEEEEPS5_m14custom_greaterIaEEE10hipError_tT0_T1_T2_jT3_P12ihipStream_tbPNSt15iterator_traitsISJ_E10value_typeEPNSP_ISK_E10value_typeEPSL_NS1_7vsmem_tEENKUlT_SJ_SK_SL_E_clIPaSE_SF_SF_EESI_SY_SJ_SK_SL_EUlSY_E0_NS1_11comp_targetILNS1_3genE9ELNS1_11target_archE1100ELNS1_3gpuE3ELNS1_3repE0EEENS1_38merge_mergepath_config_static_selectorELNS0_4arch9wavefront6targetE1EEEvSK_
; %bb.0:
	.section	.rodata,"a",@progbits
	.p2align	6, 0x0
	.amdhsa_kernel _ZN7rocprim17ROCPRIM_400000_NS6detail17trampoline_kernelINS0_14default_configENS1_38merge_sort_block_merge_config_selectorIaNS0_10empty_typeEEEZZNS1_27merge_sort_block_merge_implIS3_N6thrust23THRUST_200600_302600_NS6detail15normal_iteratorINS9_10device_ptrIaEEEEPS5_m14custom_greaterIaEEE10hipError_tT0_T1_T2_jT3_P12ihipStream_tbPNSt15iterator_traitsISJ_E10value_typeEPNSP_ISK_E10value_typeEPSL_NS1_7vsmem_tEENKUlT_SJ_SK_SL_E_clIPaSE_SF_SF_EESI_SY_SJ_SK_SL_EUlSY_E0_NS1_11comp_targetILNS1_3genE9ELNS1_11target_archE1100ELNS1_3gpuE3ELNS1_3repE0EEENS1_38merge_mergepath_config_static_selectorELNS0_4arch9wavefront6targetE1EEEvSK_
		.amdhsa_group_segment_fixed_size 0
		.amdhsa_private_segment_fixed_size 0
		.amdhsa_kernarg_size 72
		.amdhsa_user_sgpr_count 6
		.amdhsa_user_sgpr_private_segment_buffer 1
		.amdhsa_user_sgpr_dispatch_ptr 0
		.amdhsa_user_sgpr_queue_ptr 0
		.amdhsa_user_sgpr_kernarg_segment_ptr 1
		.amdhsa_user_sgpr_dispatch_id 0
		.amdhsa_user_sgpr_flat_scratch_init 0
		.amdhsa_user_sgpr_kernarg_preload_length 0
		.amdhsa_user_sgpr_kernarg_preload_offset 0
		.amdhsa_user_sgpr_private_segment_size 0
		.amdhsa_uses_dynamic_stack 0
		.amdhsa_system_sgpr_private_segment_wavefront_offset 0
		.amdhsa_system_sgpr_workgroup_id_x 1
		.amdhsa_system_sgpr_workgroup_id_y 0
		.amdhsa_system_sgpr_workgroup_id_z 0
		.amdhsa_system_sgpr_workgroup_info 0
		.amdhsa_system_vgpr_workitem_id 0
		.amdhsa_next_free_vgpr 1
		.amdhsa_next_free_sgpr 0
		.amdhsa_accum_offset 4
		.amdhsa_reserve_vcc 0
		.amdhsa_reserve_flat_scratch 0
		.amdhsa_float_round_mode_32 0
		.amdhsa_float_round_mode_16_64 0
		.amdhsa_float_denorm_mode_32 3
		.amdhsa_float_denorm_mode_16_64 3
		.amdhsa_dx10_clamp 1
		.amdhsa_ieee_mode 1
		.amdhsa_fp16_overflow 0
		.amdhsa_tg_split 0
		.amdhsa_exception_fp_ieee_invalid_op 0
		.amdhsa_exception_fp_denorm_src 0
		.amdhsa_exception_fp_ieee_div_zero 0
		.amdhsa_exception_fp_ieee_overflow 0
		.amdhsa_exception_fp_ieee_underflow 0
		.amdhsa_exception_fp_ieee_inexact 0
		.amdhsa_exception_int_div_zero 0
	.end_amdhsa_kernel
	.section	.text._ZN7rocprim17ROCPRIM_400000_NS6detail17trampoline_kernelINS0_14default_configENS1_38merge_sort_block_merge_config_selectorIaNS0_10empty_typeEEEZZNS1_27merge_sort_block_merge_implIS3_N6thrust23THRUST_200600_302600_NS6detail15normal_iteratorINS9_10device_ptrIaEEEEPS5_m14custom_greaterIaEEE10hipError_tT0_T1_T2_jT3_P12ihipStream_tbPNSt15iterator_traitsISJ_E10value_typeEPNSP_ISK_E10value_typeEPSL_NS1_7vsmem_tEENKUlT_SJ_SK_SL_E_clIPaSE_SF_SF_EESI_SY_SJ_SK_SL_EUlSY_E0_NS1_11comp_targetILNS1_3genE9ELNS1_11target_archE1100ELNS1_3gpuE3ELNS1_3repE0EEENS1_38merge_mergepath_config_static_selectorELNS0_4arch9wavefront6targetE1EEEvSK_,"axG",@progbits,_ZN7rocprim17ROCPRIM_400000_NS6detail17trampoline_kernelINS0_14default_configENS1_38merge_sort_block_merge_config_selectorIaNS0_10empty_typeEEEZZNS1_27merge_sort_block_merge_implIS3_N6thrust23THRUST_200600_302600_NS6detail15normal_iteratorINS9_10device_ptrIaEEEEPS5_m14custom_greaterIaEEE10hipError_tT0_T1_T2_jT3_P12ihipStream_tbPNSt15iterator_traitsISJ_E10value_typeEPNSP_ISK_E10value_typeEPSL_NS1_7vsmem_tEENKUlT_SJ_SK_SL_E_clIPaSE_SF_SF_EESI_SY_SJ_SK_SL_EUlSY_E0_NS1_11comp_targetILNS1_3genE9ELNS1_11target_archE1100ELNS1_3gpuE3ELNS1_3repE0EEENS1_38merge_mergepath_config_static_selectorELNS0_4arch9wavefront6targetE1EEEvSK_,comdat
.Lfunc_end2799:
	.size	_ZN7rocprim17ROCPRIM_400000_NS6detail17trampoline_kernelINS0_14default_configENS1_38merge_sort_block_merge_config_selectorIaNS0_10empty_typeEEEZZNS1_27merge_sort_block_merge_implIS3_N6thrust23THRUST_200600_302600_NS6detail15normal_iteratorINS9_10device_ptrIaEEEEPS5_m14custom_greaterIaEEE10hipError_tT0_T1_T2_jT3_P12ihipStream_tbPNSt15iterator_traitsISJ_E10value_typeEPNSP_ISK_E10value_typeEPSL_NS1_7vsmem_tEENKUlT_SJ_SK_SL_E_clIPaSE_SF_SF_EESI_SY_SJ_SK_SL_EUlSY_E0_NS1_11comp_targetILNS1_3genE9ELNS1_11target_archE1100ELNS1_3gpuE3ELNS1_3repE0EEENS1_38merge_mergepath_config_static_selectorELNS0_4arch9wavefront6targetE1EEEvSK_, .Lfunc_end2799-_ZN7rocprim17ROCPRIM_400000_NS6detail17trampoline_kernelINS0_14default_configENS1_38merge_sort_block_merge_config_selectorIaNS0_10empty_typeEEEZZNS1_27merge_sort_block_merge_implIS3_N6thrust23THRUST_200600_302600_NS6detail15normal_iteratorINS9_10device_ptrIaEEEEPS5_m14custom_greaterIaEEE10hipError_tT0_T1_T2_jT3_P12ihipStream_tbPNSt15iterator_traitsISJ_E10value_typeEPNSP_ISK_E10value_typeEPSL_NS1_7vsmem_tEENKUlT_SJ_SK_SL_E_clIPaSE_SF_SF_EESI_SY_SJ_SK_SL_EUlSY_E0_NS1_11comp_targetILNS1_3genE9ELNS1_11target_archE1100ELNS1_3gpuE3ELNS1_3repE0EEENS1_38merge_mergepath_config_static_selectorELNS0_4arch9wavefront6targetE1EEEvSK_
                                        ; -- End function
	.section	.AMDGPU.csdata,"",@progbits
; Kernel info:
; codeLenInByte = 0
; NumSgprs: 4
; NumVgprs: 0
; NumAgprs: 0
; TotalNumVgprs: 0
; ScratchSize: 0
; MemoryBound: 0
; FloatMode: 240
; IeeeMode: 1
; LDSByteSize: 0 bytes/workgroup (compile time only)
; SGPRBlocks: 0
; VGPRBlocks: 0
; NumSGPRsForWavesPerEU: 4
; NumVGPRsForWavesPerEU: 1
; AccumOffset: 4
; Occupancy: 8
; WaveLimiterHint : 0
; COMPUTE_PGM_RSRC2:SCRATCH_EN: 0
; COMPUTE_PGM_RSRC2:USER_SGPR: 6
; COMPUTE_PGM_RSRC2:TRAP_HANDLER: 0
; COMPUTE_PGM_RSRC2:TGID_X_EN: 1
; COMPUTE_PGM_RSRC2:TGID_Y_EN: 0
; COMPUTE_PGM_RSRC2:TGID_Z_EN: 0
; COMPUTE_PGM_RSRC2:TIDIG_COMP_CNT: 0
; COMPUTE_PGM_RSRC3_GFX90A:ACCUM_OFFSET: 0
; COMPUTE_PGM_RSRC3_GFX90A:TG_SPLIT: 0
	.section	.text._ZN7rocprim17ROCPRIM_400000_NS6detail17trampoline_kernelINS0_14default_configENS1_38merge_sort_block_merge_config_selectorIaNS0_10empty_typeEEEZZNS1_27merge_sort_block_merge_implIS3_N6thrust23THRUST_200600_302600_NS6detail15normal_iteratorINS9_10device_ptrIaEEEEPS5_m14custom_greaterIaEEE10hipError_tT0_T1_T2_jT3_P12ihipStream_tbPNSt15iterator_traitsISJ_E10value_typeEPNSP_ISK_E10value_typeEPSL_NS1_7vsmem_tEENKUlT_SJ_SK_SL_E_clIPaSE_SF_SF_EESI_SY_SJ_SK_SL_EUlSY_E0_NS1_11comp_targetILNS1_3genE8ELNS1_11target_archE1030ELNS1_3gpuE2ELNS1_3repE0EEENS1_38merge_mergepath_config_static_selectorELNS0_4arch9wavefront6targetE1EEEvSK_,"axG",@progbits,_ZN7rocprim17ROCPRIM_400000_NS6detail17trampoline_kernelINS0_14default_configENS1_38merge_sort_block_merge_config_selectorIaNS0_10empty_typeEEEZZNS1_27merge_sort_block_merge_implIS3_N6thrust23THRUST_200600_302600_NS6detail15normal_iteratorINS9_10device_ptrIaEEEEPS5_m14custom_greaterIaEEE10hipError_tT0_T1_T2_jT3_P12ihipStream_tbPNSt15iterator_traitsISJ_E10value_typeEPNSP_ISK_E10value_typeEPSL_NS1_7vsmem_tEENKUlT_SJ_SK_SL_E_clIPaSE_SF_SF_EESI_SY_SJ_SK_SL_EUlSY_E0_NS1_11comp_targetILNS1_3genE8ELNS1_11target_archE1030ELNS1_3gpuE2ELNS1_3repE0EEENS1_38merge_mergepath_config_static_selectorELNS0_4arch9wavefront6targetE1EEEvSK_,comdat
	.protected	_ZN7rocprim17ROCPRIM_400000_NS6detail17trampoline_kernelINS0_14default_configENS1_38merge_sort_block_merge_config_selectorIaNS0_10empty_typeEEEZZNS1_27merge_sort_block_merge_implIS3_N6thrust23THRUST_200600_302600_NS6detail15normal_iteratorINS9_10device_ptrIaEEEEPS5_m14custom_greaterIaEEE10hipError_tT0_T1_T2_jT3_P12ihipStream_tbPNSt15iterator_traitsISJ_E10value_typeEPNSP_ISK_E10value_typeEPSL_NS1_7vsmem_tEENKUlT_SJ_SK_SL_E_clIPaSE_SF_SF_EESI_SY_SJ_SK_SL_EUlSY_E0_NS1_11comp_targetILNS1_3genE8ELNS1_11target_archE1030ELNS1_3gpuE2ELNS1_3repE0EEENS1_38merge_mergepath_config_static_selectorELNS0_4arch9wavefront6targetE1EEEvSK_ ; -- Begin function _ZN7rocprim17ROCPRIM_400000_NS6detail17trampoline_kernelINS0_14default_configENS1_38merge_sort_block_merge_config_selectorIaNS0_10empty_typeEEEZZNS1_27merge_sort_block_merge_implIS3_N6thrust23THRUST_200600_302600_NS6detail15normal_iteratorINS9_10device_ptrIaEEEEPS5_m14custom_greaterIaEEE10hipError_tT0_T1_T2_jT3_P12ihipStream_tbPNSt15iterator_traitsISJ_E10value_typeEPNSP_ISK_E10value_typeEPSL_NS1_7vsmem_tEENKUlT_SJ_SK_SL_E_clIPaSE_SF_SF_EESI_SY_SJ_SK_SL_EUlSY_E0_NS1_11comp_targetILNS1_3genE8ELNS1_11target_archE1030ELNS1_3gpuE2ELNS1_3repE0EEENS1_38merge_mergepath_config_static_selectorELNS0_4arch9wavefront6targetE1EEEvSK_
	.globl	_ZN7rocprim17ROCPRIM_400000_NS6detail17trampoline_kernelINS0_14default_configENS1_38merge_sort_block_merge_config_selectorIaNS0_10empty_typeEEEZZNS1_27merge_sort_block_merge_implIS3_N6thrust23THRUST_200600_302600_NS6detail15normal_iteratorINS9_10device_ptrIaEEEEPS5_m14custom_greaterIaEEE10hipError_tT0_T1_T2_jT3_P12ihipStream_tbPNSt15iterator_traitsISJ_E10value_typeEPNSP_ISK_E10value_typeEPSL_NS1_7vsmem_tEENKUlT_SJ_SK_SL_E_clIPaSE_SF_SF_EESI_SY_SJ_SK_SL_EUlSY_E0_NS1_11comp_targetILNS1_3genE8ELNS1_11target_archE1030ELNS1_3gpuE2ELNS1_3repE0EEENS1_38merge_mergepath_config_static_selectorELNS0_4arch9wavefront6targetE1EEEvSK_
	.p2align	8
	.type	_ZN7rocprim17ROCPRIM_400000_NS6detail17trampoline_kernelINS0_14default_configENS1_38merge_sort_block_merge_config_selectorIaNS0_10empty_typeEEEZZNS1_27merge_sort_block_merge_implIS3_N6thrust23THRUST_200600_302600_NS6detail15normal_iteratorINS9_10device_ptrIaEEEEPS5_m14custom_greaterIaEEE10hipError_tT0_T1_T2_jT3_P12ihipStream_tbPNSt15iterator_traitsISJ_E10value_typeEPNSP_ISK_E10value_typeEPSL_NS1_7vsmem_tEENKUlT_SJ_SK_SL_E_clIPaSE_SF_SF_EESI_SY_SJ_SK_SL_EUlSY_E0_NS1_11comp_targetILNS1_3genE8ELNS1_11target_archE1030ELNS1_3gpuE2ELNS1_3repE0EEENS1_38merge_mergepath_config_static_selectorELNS0_4arch9wavefront6targetE1EEEvSK_,@function
_ZN7rocprim17ROCPRIM_400000_NS6detail17trampoline_kernelINS0_14default_configENS1_38merge_sort_block_merge_config_selectorIaNS0_10empty_typeEEEZZNS1_27merge_sort_block_merge_implIS3_N6thrust23THRUST_200600_302600_NS6detail15normal_iteratorINS9_10device_ptrIaEEEEPS5_m14custom_greaterIaEEE10hipError_tT0_T1_T2_jT3_P12ihipStream_tbPNSt15iterator_traitsISJ_E10value_typeEPNSP_ISK_E10value_typeEPSL_NS1_7vsmem_tEENKUlT_SJ_SK_SL_E_clIPaSE_SF_SF_EESI_SY_SJ_SK_SL_EUlSY_E0_NS1_11comp_targetILNS1_3genE8ELNS1_11target_archE1030ELNS1_3gpuE2ELNS1_3repE0EEENS1_38merge_mergepath_config_static_selectorELNS0_4arch9wavefront6targetE1EEEvSK_: ; @_ZN7rocprim17ROCPRIM_400000_NS6detail17trampoline_kernelINS0_14default_configENS1_38merge_sort_block_merge_config_selectorIaNS0_10empty_typeEEEZZNS1_27merge_sort_block_merge_implIS3_N6thrust23THRUST_200600_302600_NS6detail15normal_iteratorINS9_10device_ptrIaEEEEPS5_m14custom_greaterIaEEE10hipError_tT0_T1_T2_jT3_P12ihipStream_tbPNSt15iterator_traitsISJ_E10value_typeEPNSP_ISK_E10value_typeEPSL_NS1_7vsmem_tEENKUlT_SJ_SK_SL_E_clIPaSE_SF_SF_EESI_SY_SJ_SK_SL_EUlSY_E0_NS1_11comp_targetILNS1_3genE8ELNS1_11target_archE1030ELNS1_3gpuE2ELNS1_3repE0EEENS1_38merge_mergepath_config_static_selectorELNS0_4arch9wavefront6targetE1EEEvSK_
; %bb.0:
	.section	.rodata,"a",@progbits
	.p2align	6, 0x0
	.amdhsa_kernel _ZN7rocprim17ROCPRIM_400000_NS6detail17trampoline_kernelINS0_14default_configENS1_38merge_sort_block_merge_config_selectorIaNS0_10empty_typeEEEZZNS1_27merge_sort_block_merge_implIS3_N6thrust23THRUST_200600_302600_NS6detail15normal_iteratorINS9_10device_ptrIaEEEEPS5_m14custom_greaterIaEEE10hipError_tT0_T1_T2_jT3_P12ihipStream_tbPNSt15iterator_traitsISJ_E10value_typeEPNSP_ISK_E10value_typeEPSL_NS1_7vsmem_tEENKUlT_SJ_SK_SL_E_clIPaSE_SF_SF_EESI_SY_SJ_SK_SL_EUlSY_E0_NS1_11comp_targetILNS1_3genE8ELNS1_11target_archE1030ELNS1_3gpuE2ELNS1_3repE0EEENS1_38merge_mergepath_config_static_selectorELNS0_4arch9wavefront6targetE1EEEvSK_
		.amdhsa_group_segment_fixed_size 0
		.amdhsa_private_segment_fixed_size 0
		.amdhsa_kernarg_size 72
		.amdhsa_user_sgpr_count 6
		.amdhsa_user_sgpr_private_segment_buffer 1
		.amdhsa_user_sgpr_dispatch_ptr 0
		.amdhsa_user_sgpr_queue_ptr 0
		.amdhsa_user_sgpr_kernarg_segment_ptr 1
		.amdhsa_user_sgpr_dispatch_id 0
		.amdhsa_user_sgpr_flat_scratch_init 0
		.amdhsa_user_sgpr_kernarg_preload_length 0
		.amdhsa_user_sgpr_kernarg_preload_offset 0
		.amdhsa_user_sgpr_private_segment_size 0
		.amdhsa_uses_dynamic_stack 0
		.amdhsa_system_sgpr_private_segment_wavefront_offset 0
		.amdhsa_system_sgpr_workgroup_id_x 1
		.amdhsa_system_sgpr_workgroup_id_y 0
		.amdhsa_system_sgpr_workgroup_id_z 0
		.amdhsa_system_sgpr_workgroup_info 0
		.amdhsa_system_vgpr_workitem_id 0
		.amdhsa_next_free_vgpr 1
		.amdhsa_next_free_sgpr 0
		.amdhsa_accum_offset 4
		.amdhsa_reserve_vcc 0
		.amdhsa_reserve_flat_scratch 0
		.amdhsa_float_round_mode_32 0
		.amdhsa_float_round_mode_16_64 0
		.amdhsa_float_denorm_mode_32 3
		.amdhsa_float_denorm_mode_16_64 3
		.amdhsa_dx10_clamp 1
		.amdhsa_ieee_mode 1
		.amdhsa_fp16_overflow 0
		.amdhsa_tg_split 0
		.amdhsa_exception_fp_ieee_invalid_op 0
		.amdhsa_exception_fp_denorm_src 0
		.amdhsa_exception_fp_ieee_div_zero 0
		.amdhsa_exception_fp_ieee_overflow 0
		.amdhsa_exception_fp_ieee_underflow 0
		.amdhsa_exception_fp_ieee_inexact 0
		.amdhsa_exception_int_div_zero 0
	.end_amdhsa_kernel
	.section	.text._ZN7rocprim17ROCPRIM_400000_NS6detail17trampoline_kernelINS0_14default_configENS1_38merge_sort_block_merge_config_selectorIaNS0_10empty_typeEEEZZNS1_27merge_sort_block_merge_implIS3_N6thrust23THRUST_200600_302600_NS6detail15normal_iteratorINS9_10device_ptrIaEEEEPS5_m14custom_greaterIaEEE10hipError_tT0_T1_T2_jT3_P12ihipStream_tbPNSt15iterator_traitsISJ_E10value_typeEPNSP_ISK_E10value_typeEPSL_NS1_7vsmem_tEENKUlT_SJ_SK_SL_E_clIPaSE_SF_SF_EESI_SY_SJ_SK_SL_EUlSY_E0_NS1_11comp_targetILNS1_3genE8ELNS1_11target_archE1030ELNS1_3gpuE2ELNS1_3repE0EEENS1_38merge_mergepath_config_static_selectorELNS0_4arch9wavefront6targetE1EEEvSK_,"axG",@progbits,_ZN7rocprim17ROCPRIM_400000_NS6detail17trampoline_kernelINS0_14default_configENS1_38merge_sort_block_merge_config_selectorIaNS0_10empty_typeEEEZZNS1_27merge_sort_block_merge_implIS3_N6thrust23THRUST_200600_302600_NS6detail15normal_iteratorINS9_10device_ptrIaEEEEPS5_m14custom_greaterIaEEE10hipError_tT0_T1_T2_jT3_P12ihipStream_tbPNSt15iterator_traitsISJ_E10value_typeEPNSP_ISK_E10value_typeEPSL_NS1_7vsmem_tEENKUlT_SJ_SK_SL_E_clIPaSE_SF_SF_EESI_SY_SJ_SK_SL_EUlSY_E0_NS1_11comp_targetILNS1_3genE8ELNS1_11target_archE1030ELNS1_3gpuE2ELNS1_3repE0EEENS1_38merge_mergepath_config_static_selectorELNS0_4arch9wavefront6targetE1EEEvSK_,comdat
.Lfunc_end2800:
	.size	_ZN7rocprim17ROCPRIM_400000_NS6detail17trampoline_kernelINS0_14default_configENS1_38merge_sort_block_merge_config_selectorIaNS0_10empty_typeEEEZZNS1_27merge_sort_block_merge_implIS3_N6thrust23THRUST_200600_302600_NS6detail15normal_iteratorINS9_10device_ptrIaEEEEPS5_m14custom_greaterIaEEE10hipError_tT0_T1_T2_jT3_P12ihipStream_tbPNSt15iterator_traitsISJ_E10value_typeEPNSP_ISK_E10value_typeEPSL_NS1_7vsmem_tEENKUlT_SJ_SK_SL_E_clIPaSE_SF_SF_EESI_SY_SJ_SK_SL_EUlSY_E0_NS1_11comp_targetILNS1_3genE8ELNS1_11target_archE1030ELNS1_3gpuE2ELNS1_3repE0EEENS1_38merge_mergepath_config_static_selectorELNS0_4arch9wavefront6targetE1EEEvSK_, .Lfunc_end2800-_ZN7rocprim17ROCPRIM_400000_NS6detail17trampoline_kernelINS0_14default_configENS1_38merge_sort_block_merge_config_selectorIaNS0_10empty_typeEEEZZNS1_27merge_sort_block_merge_implIS3_N6thrust23THRUST_200600_302600_NS6detail15normal_iteratorINS9_10device_ptrIaEEEEPS5_m14custom_greaterIaEEE10hipError_tT0_T1_T2_jT3_P12ihipStream_tbPNSt15iterator_traitsISJ_E10value_typeEPNSP_ISK_E10value_typeEPSL_NS1_7vsmem_tEENKUlT_SJ_SK_SL_E_clIPaSE_SF_SF_EESI_SY_SJ_SK_SL_EUlSY_E0_NS1_11comp_targetILNS1_3genE8ELNS1_11target_archE1030ELNS1_3gpuE2ELNS1_3repE0EEENS1_38merge_mergepath_config_static_selectorELNS0_4arch9wavefront6targetE1EEEvSK_
                                        ; -- End function
	.section	.AMDGPU.csdata,"",@progbits
; Kernel info:
; codeLenInByte = 0
; NumSgprs: 4
; NumVgprs: 0
; NumAgprs: 0
; TotalNumVgprs: 0
; ScratchSize: 0
; MemoryBound: 0
; FloatMode: 240
; IeeeMode: 1
; LDSByteSize: 0 bytes/workgroup (compile time only)
; SGPRBlocks: 0
; VGPRBlocks: 0
; NumSGPRsForWavesPerEU: 4
; NumVGPRsForWavesPerEU: 1
; AccumOffset: 4
; Occupancy: 8
; WaveLimiterHint : 0
; COMPUTE_PGM_RSRC2:SCRATCH_EN: 0
; COMPUTE_PGM_RSRC2:USER_SGPR: 6
; COMPUTE_PGM_RSRC2:TRAP_HANDLER: 0
; COMPUTE_PGM_RSRC2:TGID_X_EN: 1
; COMPUTE_PGM_RSRC2:TGID_Y_EN: 0
; COMPUTE_PGM_RSRC2:TGID_Z_EN: 0
; COMPUTE_PGM_RSRC2:TIDIG_COMP_CNT: 0
; COMPUTE_PGM_RSRC3_GFX90A:ACCUM_OFFSET: 0
; COMPUTE_PGM_RSRC3_GFX90A:TG_SPLIT: 0
	.section	.text._ZN7rocprim17ROCPRIM_400000_NS6detail17trampoline_kernelINS0_14default_configENS1_38merge_sort_block_merge_config_selectorIaNS0_10empty_typeEEEZZNS1_27merge_sort_block_merge_implIS3_N6thrust23THRUST_200600_302600_NS6detail15normal_iteratorINS9_10device_ptrIaEEEEPS5_m14custom_greaterIaEEE10hipError_tT0_T1_T2_jT3_P12ihipStream_tbPNSt15iterator_traitsISJ_E10value_typeEPNSP_ISK_E10value_typeEPSL_NS1_7vsmem_tEENKUlT_SJ_SK_SL_E_clIPaSE_SF_SF_EESI_SY_SJ_SK_SL_EUlSY_E1_NS1_11comp_targetILNS1_3genE0ELNS1_11target_archE4294967295ELNS1_3gpuE0ELNS1_3repE0EEENS1_36merge_oddeven_config_static_selectorELNS0_4arch9wavefront6targetE1EEEvSK_,"axG",@progbits,_ZN7rocprim17ROCPRIM_400000_NS6detail17trampoline_kernelINS0_14default_configENS1_38merge_sort_block_merge_config_selectorIaNS0_10empty_typeEEEZZNS1_27merge_sort_block_merge_implIS3_N6thrust23THRUST_200600_302600_NS6detail15normal_iteratorINS9_10device_ptrIaEEEEPS5_m14custom_greaterIaEEE10hipError_tT0_T1_T2_jT3_P12ihipStream_tbPNSt15iterator_traitsISJ_E10value_typeEPNSP_ISK_E10value_typeEPSL_NS1_7vsmem_tEENKUlT_SJ_SK_SL_E_clIPaSE_SF_SF_EESI_SY_SJ_SK_SL_EUlSY_E1_NS1_11comp_targetILNS1_3genE0ELNS1_11target_archE4294967295ELNS1_3gpuE0ELNS1_3repE0EEENS1_36merge_oddeven_config_static_selectorELNS0_4arch9wavefront6targetE1EEEvSK_,comdat
	.protected	_ZN7rocprim17ROCPRIM_400000_NS6detail17trampoline_kernelINS0_14default_configENS1_38merge_sort_block_merge_config_selectorIaNS0_10empty_typeEEEZZNS1_27merge_sort_block_merge_implIS3_N6thrust23THRUST_200600_302600_NS6detail15normal_iteratorINS9_10device_ptrIaEEEEPS5_m14custom_greaterIaEEE10hipError_tT0_T1_T2_jT3_P12ihipStream_tbPNSt15iterator_traitsISJ_E10value_typeEPNSP_ISK_E10value_typeEPSL_NS1_7vsmem_tEENKUlT_SJ_SK_SL_E_clIPaSE_SF_SF_EESI_SY_SJ_SK_SL_EUlSY_E1_NS1_11comp_targetILNS1_3genE0ELNS1_11target_archE4294967295ELNS1_3gpuE0ELNS1_3repE0EEENS1_36merge_oddeven_config_static_selectorELNS0_4arch9wavefront6targetE1EEEvSK_ ; -- Begin function _ZN7rocprim17ROCPRIM_400000_NS6detail17trampoline_kernelINS0_14default_configENS1_38merge_sort_block_merge_config_selectorIaNS0_10empty_typeEEEZZNS1_27merge_sort_block_merge_implIS3_N6thrust23THRUST_200600_302600_NS6detail15normal_iteratorINS9_10device_ptrIaEEEEPS5_m14custom_greaterIaEEE10hipError_tT0_T1_T2_jT3_P12ihipStream_tbPNSt15iterator_traitsISJ_E10value_typeEPNSP_ISK_E10value_typeEPSL_NS1_7vsmem_tEENKUlT_SJ_SK_SL_E_clIPaSE_SF_SF_EESI_SY_SJ_SK_SL_EUlSY_E1_NS1_11comp_targetILNS1_3genE0ELNS1_11target_archE4294967295ELNS1_3gpuE0ELNS1_3repE0EEENS1_36merge_oddeven_config_static_selectorELNS0_4arch9wavefront6targetE1EEEvSK_
	.globl	_ZN7rocprim17ROCPRIM_400000_NS6detail17trampoline_kernelINS0_14default_configENS1_38merge_sort_block_merge_config_selectorIaNS0_10empty_typeEEEZZNS1_27merge_sort_block_merge_implIS3_N6thrust23THRUST_200600_302600_NS6detail15normal_iteratorINS9_10device_ptrIaEEEEPS5_m14custom_greaterIaEEE10hipError_tT0_T1_T2_jT3_P12ihipStream_tbPNSt15iterator_traitsISJ_E10value_typeEPNSP_ISK_E10value_typeEPSL_NS1_7vsmem_tEENKUlT_SJ_SK_SL_E_clIPaSE_SF_SF_EESI_SY_SJ_SK_SL_EUlSY_E1_NS1_11comp_targetILNS1_3genE0ELNS1_11target_archE4294967295ELNS1_3gpuE0ELNS1_3repE0EEENS1_36merge_oddeven_config_static_selectorELNS0_4arch9wavefront6targetE1EEEvSK_
	.p2align	8
	.type	_ZN7rocprim17ROCPRIM_400000_NS6detail17trampoline_kernelINS0_14default_configENS1_38merge_sort_block_merge_config_selectorIaNS0_10empty_typeEEEZZNS1_27merge_sort_block_merge_implIS3_N6thrust23THRUST_200600_302600_NS6detail15normal_iteratorINS9_10device_ptrIaEEEEPS5_m14custom_greaterIaEEE10hipError_tT0_T1_T2_jT3_P12ihipStream_tbPNSt15iterator_traitsISJ_E10value_typeEPNSP_ISK_E10value_typeEPSL_NS1_7vsmem_tEENKUlT_SJ_SK_SL_E_clIPaSE_SF_SF_EESI_SY_SJ_SK_SL_EUlSY_E1_NS1_11comp_targetILNS1_3genE0ELNS1_11target_archE4294967295ELNS1_3gpuE0ELNS1_3repE0EEENS1_36merge_oddeven_config_static_selectorELNS0_4arch9wavefront6targetE1EEEvSK_,@function
_ZN7rocprim17ROCPRIM_400000_NS6detail17trampoline_kernelINS0_14default_configENS1_38merge_sort_block_merge_config_selectorIaNS0_10empty_typeEEEZZNS1_27merge_sort_block_merge_implIS3_N6thrust23THRUST_200600_302600_NS6detail15normal_iteratorINS9_10device_ptrIaEEEEPS5_m14custom_greaterIaEEE10hipError_tT0_T1_T2_jT3_P12ihipStream_tbPNSt15iterator_traitsISJ_E10value_typeEPNSP_ISK_E10value_typeEPSL_NS1_7vsmem_tEENKUlT_SJ_SK_SL_E_clIPaSE_SF_SF_EESI_SY_SJ_SK_SL_EUlSY_E1_NS1_11comp_targetILNS1_3genE0ELNS1_11target_archE4294967295ELNS1_3gpuE0ELNS1_3repE0EEENS1_36merge_oddeven_config_static_selectorELNS0_4arch9wavefront6targetE1EEEvSK_: ; @_ZN7rocprim17ROCPRIM_400000_NS6detail17trampoline_kernelINS0_14default_configENS1_38merge_sort_block_merge_config_selectorIaNS0_10empty_typeEEEZZNS1_27merge_sort_block_merge_implIS3_N6thrust23THRUST_200600_302600_NS6detail15normal_iteratorINS9_10device_ptrIaEEEEPS5_m14custom_greaterIaEEE10hipError_tT0_T1_T2_jT3_P12ihipStream_tbPNSt15iterator_traitsISJ_E10value_typeEPNSP_ISK_E10value_typeEPSL_NS1_7vsmem_tEENKUlT_SJ_SK_SL_E_clIPaSE_SF_SF_EESI_SY_SJ_SK_SL_EUlSY_E1_NS1_11comp_targetILNS1_3genE0ELNS1_11target_archE4294967295ELNS1_3gpuE0ELNS1_3repE0EEENS1_36merge_oddeven_config_static_selectorELNS0_4arch9wavefront6targetE1EEEvSK_
; %bb.0:
	.section	.rodata,"a",@progbits
	.p2align	6, 0x0
	.amdhsa_kernel _ZN7rocprim17ROCPRIM_400000_NS6detail17trampoline_kernelINS0_14default_configENS1_38merge_sort_block_merge_config_selectorIaNS0_10empty_typeEEEZZNS1_27merge_sort_block_merge_implIS3_N6thrust23THRUST_200600_302600_NS6detail15normal_iteratorINS9_10device_ptrIaEEEEPS5_m14custom_greaterIaEEE10hipError_tT0_T1_T2_jT3_P12ihipStream_tbPNSt15iterator_traitsISJ_E10value_typeEPNSP_ISK_E10value_typeEPSL_NS1_7vsmem_tEENKUlT_SJ_SK_SL_E_clIPaSE_SF_SF_EESI_SY_SJ_SK_SL_EUlSY_E1_NS1_11comp_targetILNS1_3genE0ELNS1_11target_archE4294967295ELNS1_3gpuE0ELNS1_3repE0EEENS1_36merge_oddeven_config_static_selectorELNS0_4arch9wavefront6targetE1EEEvSK_
		.amdhsa_group_segment_fixed_size 0
		.amdhsa_private_segment_fixed_size 0
		.amdhsa_kernarg_size 56
		.amdhsa_user_sgpr_count 6
		.amdhsa_user_sgpr_private_segment_buffer 1
		.amdhsa_user_sgpr_dispatch_ptr 0
		.amdhsa_user_sgpr_queue_ptr 0
		.amdhsa_user_sgpr_kernarg_segment_ptr 1
		.amdhsa_user_sgpr_dispatch_id 0
		.amdhsa_user_sgpr_flat_scratch_init 0
		.amdhsa_user_sgpr_kernarg_preload_length 0
		.amdhsa_user_sgpr_kernarg_preload_offset 0
		.amdhsa_user_sgpr_private_segment_size 0
		.amdhsa_uses_dynamic_stack 0
		.amdhsa_system_sgpr_private_segment_wavefront_offset 0
		.amdhsa_system_sgpr_workgroup_id_x 1
		.amdhsa_system_sgpr_workgroup_id_y 0
		.amdhsa_system_sgpr_workgroup_id_z 0
		.amdhsa_system_sgpr_workgroup_info 0
		.amdhsa_system_vgpr_workitem_id 0
		.amdhsa_next_free_vgpr 1
		.amdhsa_next_free_sgpr 0
		.amdhsa_accum_offset 4
		.amdhsa_reserve_vcc 0
		.amdhsa_reserve_flat_scratch 0
		.amdhsa_float_round_mode_32 0
		.amdhsa_float_round_mode_16_64 0
		.amdhsa_float_denorm_mode_32 3
		.amdhsa_float_denorm_mode_16_64 3
		.amdhsa_dx10_clamp 1
		.amdhsa_ieee_mode 1
		.amdhsa_fp16_overflow 0
		.amdhsa_tg_split 0
		.amdhsa_exception_fp_ieee_invalid_op 0
		.amdhsa_exception_fp_denorm_src 0
		.amdhsa_exception_fp_ieee_div_zero 0
		.amdhsa_exception_fp_ieee_overflow 0
		.amdhsa_exception_fp_ieee_underflow 0
		.amdhsa_exception_fp_ieee_inexact 0
		.amdhsa_exception_int_div_zero 0
	.end_amdhsa_kernel
	.section	.text._ZN7rocprim17ROCPRIM_400000_NS6detail17trampoline_kernelINS0_14default_configENS1_38merge_sort_block_merge_config_selectorIaNS0_10empty_typeEEEZZNS1_27merge_sort_block_merge_implIS3_N6thrust23THRUST_200600_302600_NS6detail15normal_iteratorINS9_10device_ptrIaEEEEPS5_m14custom_greaterIaEEE10hipError_tT0_T1_T2_jT3_P12ihipStream_tbPNSt15iterator_traitsISJ_E10value_typeEPNSP_ISK_E10value_typeEPSL_NS1_7vsmem_tEENKUlT_SJ_SK_SL_E_clIPaSE_SF_SF_EESI_SY_SJ_SK_SL_EUlSY_E1_NS1_11comp_targetILNS1_3genE0ELNS1_11target_archE4294967295ELNS1_3gpuE0ELNS1_3repE0EEENS1_36merge_oddeven_config_static_selectorELNS0_4arch9wavefront6targetE1EEEvSK_,"axG",@progbits,_ZN7rocprim17ROCPRIM_400000_NS6detail17trampoline_kernelINS0_14default_configENS1_38merge_sort_block_merge_config_selectorIaNS0_10empty_typeEEEZZNS1_27merge_sort_block_merge_implIS3_N6thrust23THRUST_200600_302600_NS6detail15normal_iteratorINS9_10device_ptrIaEEEEPS5_m14custom_greaterIaEEE10hipError_tT0_T1_T2_jT3_P12ihipStream_tbPNSt15iterator_traitsISJ_E10value_typeEPNSP_ISK_E10value_typeEPSL_NS1_7vsmem_tEENKUlT_SJ_SK_SL_E_clIPaSE_SF_SF_EESI_SY_SJ_SK_SL_EUlSY_E1_NS1_11comp_targetILNS1_3genE0ELNS1_11target_archE4294967295ELNS1_3gpuE0ELNS1_3repE0EEENS1_36merge_oddeven_config_static_selectorELNS0_4arch9wavefront6targetE1EEEvSK_,comdat
.Lfunc_end2801:
	.size	_ZN7rocprim17ROCPRIM_400000_NS6detail17trampoline_kernelINS0_14default_configENS1_38merge_sort_block_merge_config_selectorIaNS0_10empty_typeEEEZZNS1_27merge_sort_block_merge_implIS3_N6thrust23THRUST_200600_302600_NS6detail15normal_iteratorINS9_10device_ptrIaEEEEPS5_m14custom_greaterIaEEE10hipError_tT0_T1_T2_jT3_P12ihipStream_tbPNSt15iterator_traitsISJ_E10value_typeEPNSP_ISK_E10value_typeEPSL_NS1_7vsmem_tEENKUlT_SJ_SK_SL_E_clIPaSE_SF_SF_EESI_SY_SJ_SK_SL_EUlSY_E1_NS1_11comp_targetILNS1_3genE0ELNS1_11target_archE4294967295ELNS1_3gpuE0ELNS1_3repE0EEENS1_36merge_oddeven_config_static_selectorELNS0_4arch9wavefront6targetE1EEEvSK_, .Lfunc_end2801-_ZN7rocprim17ROCPRIM_400000_NS6detail17trampoline_kernelINS0_14default_configENS1_38merge_sort_block_merge_config_selectorIaNS0_10empty_typeEEEZZNS1_27merge_sort_block_merge_implIS3_N6thrust23THRUST_200600_302600_NS6detail15normal_iteratorINS9_10device_ptrIaEEEEPS5_m14custom_greaterIaEEE10hipError_tT0_T1_T2_jT3_P12ihipStream_tbPNSt15iterator_traitsISJ_E10value_typeEPNSP_ISK_E10value_typeEPSL_NS1_7vsmem_tEENKUlT_SJ_SK_SL_E_clIPaSE_SF_SF_EESI_SY_SJ_SK_SL_EUlSY_E1_NS1_11comp_targetILNS1_3genE0ELNS1_11target_archE4294967295ELNS1_3gpuE0ELNS1_3repE0EEENS1_36merge_oddeven_config_static_selectorELNS0_4arch9wavefront6targetE1EEEvSK_
                                        ; -- End function
	.section	.AMDGPU.csdata,"",@progbits
; Kernel info:
; codeLenInByte = 0
; NumSgprs: 4
; NumVgprs: 0
; NumAgprs: 0
; TotalNumVgprs: 0
; ScratchSize: 0
; MemoryBound: 0
; FloatMode: 240
; IeeeMode: 1
; LDSByteSize: 0 bytes/workgroup (compile time only)
; SGPRBlocks: 0
; VGPRBlocks: 0
; NumSGPRsForWavesPerEU: 4
; NumVGPRsForWavesPerEU: 1
; AccumOffset: 4
; Occupancy: 8
; WaveLimiterHint : 0
; COMPUTE_PGM_RSRC2:SCRATCH_EN: 0
; COMPUTE_PGM_RSRC2:USER_SGPR: 6
; COMPUTE_PGM_RSRC2:TRAP_HANDLER: 0
; COMPUTE_PGM_RSRC2:TGID_X_EN: 1
; COMPUTE_PGM_RSRC2:TGID_Y_EN: 0
; COMPUTE_PGM_RSRC2:TGID_Z_EN: 0
; COMPUTE_PGM_RSRC2:TIDIG_COMP_CNT: 0
; COMPUTE_PGM_RSRC3_GFX90A:ACCUM_OFFSET: 0
; COMPUTE_PGM_RSRC3_GFX90A:TG_SPLIT: 0
	.section	.text._ZN7rocprim17ROCPRIM_400000_NS6detail17trampoline_kernelINS0_14default_configENS1_38merge_sort_block_merge_config_selectorIaNS0_10empty_typeEEEZZNS1_27merge_sort_block_merge_implIS3_N6thrust23THRUST_200600_302600_NS6detail15normal_iteratorINS9_10device_ptrIaEEEEPS5_m14custom_greaterIaEEE10hipError_tT0_T1_T2_jT3_P12ihipStream_tbPNSt15iterator_traitsISJ_E10value_typeEPNSP_ISK_E10value_typeEPSL_NS1_7vsmem_tEENKUlT_SJ_SK_SL_E_clIPaSE_SF_SF_EESI_SY_SJ_SK_SL_EUlSY_E1_NS1_11comp_targetILNS1_3genE10ELNS1_11target_archE1201ELNS1_3gpuE5ELNS1_3repE0EEENS1_36merge_oddeven_config_static_selectorELNS0_4arch9wavefront6targetE1EEEvSK_,"axG",@progbits,_ZN7rocprim17ROCPRIM_400000_NS6detail17trampoline_kernelINS0_14default_configENS1_38merge_sort_block_merge_config_selectorIaNS0_10empty_typeEEEZZNS1_27merge_sort_block_merge_implIS3_N6thrust23THRUST_200600_302600_NS6detail15normal_iteratorINS9_10device_ptrIaEEEEPS5_m14custom_greaterIaEEE10hipError_tT0_T1_T2_jT3_P12ihipStream_tbPNSt15iterator_traitsISJ_E10value_typeEPNSP_ISK_E10value_typeEPSL_NS1_7vsmem_tEENKUlT_SJ_SK_SL_E_clIPaSE_SF_SF_EESI_SY_SJ_SK_SL_EUlSY_E1_NS1_11comp_targetILNS1_3genE10ELNS1_11target_archE1201ELNS1_3gpuE5ELNS1_3repE0EEENS1_36merge_oddeven_config_static_selectorELNS0_4arch9wavefront6targetE1EEEvSK_,comdat
	.protected	_ZN7rocprim17ROCPRIM_400000_NS6detail17trampoline_kernelINS0_14default_configENS1_38merge_sort_block_merge_config_selectorIaNS0_10empty_typeEEEZZNS1_27merge_sort_block_merge_implIS3_N6thrust23THRUST_200600_302600_NS6detail15normal_iteratorINS9_10device_ptrIaEEEEPS5_m14custom_greaterIaEEE10hipError_tT0_T1_T2_jT3_P12ihipStream_tbPNSt15iterator_traitsISJ_E10value_typeEPNSP_ISK_E10value_typeEPSL_NS1_7vsmem_tEENKUlT_SJ_SK_SL_E_clIPaSE_SF_SF_EESI_SY_SJ_SK_SL_EUlSY_E1_NS1_11comp_targetILNS1_3genE10ELNS1_11target_archE1201ELNS1_3gpuE5ELNS1_3repE0EEENS1_36merge_oddeven_config_static_selectorELNS0_4arch9wavefront6targetE1EEEvSK_ ; -- Begin function _ZN7rocprim17ROCPRIM_400000_NS6detail17trampoline_kernelINS0_14default_configENS1_38merge_sort_block_merge_config_selectorIaNS0_10empty_typeEEEZZNS1_27merge_sort_block_merge_implIS3_N6thrust23THRUST_200600_302600_NS6detail15normal_iteratorINS9_10device_ptrIaEEEEPS5_m14custom_greaterIaEEE10hipError_tT0_T1_T2_jT3_P12ihipStream_tbPNSt15iterator_traitsISJ_E10value_typeEPNSP_ISK_E10value_typeEPSL_NS1_7vsmem_tEENKUlT_SJ_SK_SL_E_clIPaSE_SF_SF_EESI_SY_SJ_SK_SL_EUlSY_E1_NS1_11comp_targetILNS1_3genE10ELNS1_11target_archE1201ELNS1_3gpuE5ELNS1_3repE0EEENS1_36merge_oddeven_config_static_selectorELNS0_4arch9wavefront6targetE1EEEvSK_
	.globl	_ZN7rocprim17ROCPRIM_400000_NS6detail17trampoline_kernelINS0_14default_configENS1_38merge_sort_block_merge_config_selectorIaNS0_10empty_typeEEEZZNS1_27merge_sort_block_merge_implIS3_N6thrust23THRUST_200600_302600_NS6detail15normal_iteratorINS9_10device_ptrIaEEEEPS5_m14custom_greaterIaEEE10hipError_tT0_T1_T2_jT3_P12ihipStream_tbPNSt15iterator_traitsISJ_E10value_typeEPNSP_ISK_E10value_typeEPSL_NS1_7vsmem_tEENKUlT_SJ_SK_SL_E_clIPaSE_SF_SF_EESI_SY_SJ_SK_SL_EUlSY_E1_NS1_11comp_targetILNS1_3genE10ELNS1_11target_archE1201ELNS1_3gpuE5ELNS1_3repE0EEENS1_36merge_oddeven_config_static_selectorELNS0_4arch9wavefront6targetE1EEEvSK_
	.p2align	8
	.type	_ZN7rocprim17ROCPRIM_400000_NS6detail17trampoline_kernelINS0_14default_configENS1_38merge_sort_block_merge_config_selectorIaNS0_10empty_typeEEEZZNS1_27merge_sort_block_merge_implIS3_N6thrust23THRUST_200600_302600_NS6detail15normal_iteratorINS9_10device_ptrIaEEEEPS5_m14custom_greaterIaEEE10hipError_tT0_T1_T2_jT3_P12ihipStream_tbPNSt15iterator_traitsISJ_E10value_typeEPNSP_ISK_E10value_typeEPSL_NS1_7vsmem_tEENKUlT_SJ_SK_SL_E_clIPaSE_SF_SF_EESI_SY_SJ_SK_SL_EUlSY_E1_NS1_11comp_targetILNS1_3genE10ELNS1_11target_archE1201ELNS1_3gpuE5ELNS1_3repE0EEENS1_36merge_oddeven_config_static_selectorELNS0_4arch9wavefront6targetE1EEEvSK_,@function
_ZN7rocprim17ROCPRIM_400000_NS6detail17trampoline_kernelINS0_14default_configENS1_38merge_sort_block_merge_config_selectorIaNS0_10empty_typeEEEZZNS1_27merge_sort_block_merge_implIS3_N6thrust23THRUST_200600_302600_NS6detail15normal_iteratorINS9_10device_ptrIaEEEEPS5_m14custom_greaterIaEEE10hipError_tT0_T1_T2_jT3_P12ihipStream_tbPNSt15iterator_traitsISJ_E10value_typeEPNSP_ISK_E10value_typeEPSL_NS1_7vsmem_tEENKUlT_SJ_SK_SL_E_clIPaSE_SF_SF_EESI_SY_SJ_SK_SL_EUlSY_E1_NS1_11comp_targetILNS1_3genE10ELNS1_11target_archE1201ELNS1_3gpuE5ELNS1_3repE0EEENS1_36merge_oddeven_config_static_selectorELNS0_4arch9wavefront6targetE1EEEvSK_: ; @_ZN7rocprim17ROCPRIM_400000_NS6detail17trampoline_kernelINS0_14default_configENS1_38merge_sort_block_merge_config_selectorIaNS0_10empty_typeEEEZZNS1_27merge_sort_block_merge_implIS3_N6thrust23THRUST_200600_302600_NS6detail15normal_iteratorINS9_10device_ptrIaEEEEPS5_m14custom_greaterIaEEE10hipError_tT0_T1_T2_jT3_P12ihipStream_tbPNSt15iterator_traitsISJ_E10value_typeEPNSP_ISK_E10value_typeEPSL_NS1_7vsmem_tEENKUlT_SJ_SK_SL_E_clIPaSE_SF_SF_EESI_SY_SJ_SK_SL_EUlSY_E1_NS1_11comp_targetILNS1_3genE10ELNS1_11target_archE1201ELNS1_3gpuE5ELNS1_3repE0EEENS1_36merge_oddeven_config_static_selectorELNS0_4arch9wavefront6targetE1EEEvSK_
; %bb.0:
	.section	.rodata,"a",@progbits
	.p2align	6, 0x0
	.amdhsa_kernel _ZN7rocprim17ROCPRIM_400000_NS6detail17trampoline_kernelINS0_14default_configENS1_38merge_sort_block_merge_config_selectorIaNS0_10empty_typeEEEZZNS1_27merge_sort_block_merge_implIS3_N6thrust23THRUST_200600_302600_NS6detail15normal_iteratorINS9_10device_ptrIaEEEEPS5_m14custom_greaterIaEEE10hipError_tT0_T1_T2_jT3_P12ihipStream_tbPNSt15iterator_traitsISJ_E10value_typeEPNSP_ISK_E10value_typeEPSL_NS1_7vsmem_tEENKUlT_SJ_SK_SL_E_clIPaSE_SF_SF_EESI_SY_SJ_SK_SL_EUlSY_E1_NS1_11comp_targetILNS1_3genE10ELNS1_11target_archE1201ELNS1_3gpuE5ELNS1_3repE0EEENS1_36merge_oddeven_config_static_selectorELNS0_4arch9wavefront6targetE1EEEvSK_
		.amdhsa_group_segment_fixed_size 0
		.amdhsa_private_segment_fixed_size 0
		.amdhsa_kernarg_size 56
		.amdhsa_user_sgpr_count 6
		.amdhsa_user_sgpr_private_segment_buffer 1
		.amdhsa_user_sgpr_dispatch_ptr 0
		.amdhsa_user_sgpr_queue_ptr 0
		.amdhsa_user_sgpr_kernarg_segment_ptr 1
		.amdhsa_user_sgpr_dispatch_id 0
		.amdhsa_user_sgpr_flat_scratch_init 0
		.amdhsa_user_sgpr_kernarg_preload_length 0
		.amdhsa_user_sgpr_kernarg_preload_offset 0
		.amdhsa_user_sgpr_private_segment_size 0
		.amdhsa_uses_dynamic_stack 0
		.amdhsa_system_sgpr_private_segment_wavefront_offset 0
		.amdhsa_system_sgpr_workgroup_id_x 1
		.amdhsa_system_sgpr_workgroup_id_y 0
		.amdhsa_system_sgpr_workgroup_id_z 0
		.amdhsa_system_sgpr_workgroup_info 0
		.amdhsa_system_vgpr_workitem_id 0
		.amdhsa_next_free_vgpr 1
		.amdhsa_next_free_sgpr 0
		.amdhsa_accum_offset 4
		.amdhsa_reserve_vcc 0
		.amdhsa_reserve_flat_scratch 0
		.amdhsa_float_round_mode_32 0
		.amdhsa_float_round_mode_16_64 0
		.amdhsa_float_denorm_mode_32 3
		.amdhsa_float_denorm_mode_16_64 3
		.amdhsa_dx10_clamp 1
		.amdhsa_ieee_mode 1
		.amdhsa_fp16_overflow 0
		.amdhsa_tg_split 0
		.amdhsa_exception_fp_ieee_invalid_op 0
		.amdhsa_exception_fp_denorm_src 0
		.amdhsa_exception_fp_ieee_div_zero 0
		.amdhsa_exception_fp_ieee_overflow 0
		.amdhsa_exception_fp_ieee_underflow 0
		.amdhsa_exception_fp_ieee_inexact 0
		.amdhsa_exception_int_div_zero 0
	.end_amdhsa_kernel
	.section	.text._ZN7rocprim17ROCPRIM_400000_NS6detail17trampoline_kernelINS0_14default_configENS1_38merge_sort_block_merge_config_selectorIaNS0_10empty_typeEEEZZNS1_27merge_sort_block_merge_implIS3_N6thrust23THRUST_200600_302600_NS6detail15normal_iteratorINS9_10device_ptrIaEEEEPS5_m14custom_greaterIaEEE10hipError_tT0_T1_T2_jT3_P12ihipStream_tbPNSt15iterator_traitsISJ_E10value_typeEPNSP_ISK_E10value_typeEPSL_NS1_7vsmem_tEENKUlT_SJ_SK_SL_E_clIPaSE_SF_SF_EESI_SY_SJ_SK_SL_EUlSY_E1_NS1_11comp_targetILNS1_3genE10ELNS1_11target_archE1201ELNS1_3gpuE5ELNS1_3repE0EEENS1_36merge_oddeven_config_static_selectorELNS0_4arch9wavefront6targetE1EEEvSK_,"axG",@progbits,_ZN7rocprim17ROCPRIM_400000_NS6detail17trampoline_kernelINS0_14default_configENS1_38merge_sort_block_merge_config_selectorIaNS0_10empty_typeEEEZZNS1_27merge_sort_block_merge_implIS3_N6thrust23THRUST_200600_302600_NS6detail15normal_iteratorINS9_10device_ptrIaEEEEPS5_m14custom_greaterIaEEE10hipError_tT0_T1_T2_jT3_P12ihipStream_tbPNSt15iterator_traitsISJ_E10value_typeEPNSP_ISK_E10value_typeEPSL_NS1_7vsmem_tEENKUlT_SJ_SK_SL_E_clIPaSE_SF_SF_EESI_SY_SJ_SK_SL_EUlSY_E1_NS1_11comp_targetILNS1_3genE10ELNS1_11target_archE1201ELNS1_3gpuE5ELNS1_3repE0EEENS1_36merge_oddeven_config_static_selectorELNS0_4arch9wavefront6targetE1EEEvSK_,comdat
.Lfunc_end2802:
	.size	_ZN7rocprim17ROCPRIM_400000_NS6detail17trampoline_kernelINS0_14default_configENS1_38merge_sort_block_merge_config_selectorIaNS0_10empty_typeEEEZZNS1_27merge_sort_block_merge_implIS3_N6thrust23THRUST_200600_302600_NS6detail15normal_iteratorINS9_10device_ptrIaEEEEPS5_m14custom_greaterIaEEE10hipError_tT0_T1_T2_jT3_P12ihipStream_tbPNSt15iterator_traitsISJ_E10value_typeEPNSP_ISK_E10value_typeEPSL_NS1_7vsmem_tEENKUlT_SJ_SK_SL_E_clIPaSE_SF_SF_EESI_SY_SJ_SK_SL_EUlSY_E1_NS1_11comp_targetILNS1_3genE10ELNS1_11target_archE1201ELNS1_3gpuE5ELNS1_3repE0EEENS1_36merge_oddeven_config_static_selectorELNS0_4arch9wavefront6targetE1EEEvSK_, .Lfunc_end2802-_ZN7rocprim17ROCPRIM_400000_NS6detail17trampoline_kernelINS0_14default_configENS1_38merge_sort_block_merge_config_selectorIaNS0_10empty_typeEEEZZNS1_27merge_sort_block_merge_implIS3_N6thrust23THRUST_200600_302600_NS6detail15normal_iteratorINS9_10device_ptrIaEEEEPS5_m14custom_greaterIaEEE10hipError_tT0_T1_T2_jT3_P12ihipStream_tbPNSt15iterator_traitsISJ_E10value_typeEPNSP_ISK_E10value_typeEPSL_NS1_7vsmem_tEENKUlT_SJ_SK_SL_E_clIPaSE_SF_SF_EESI_SY_SJ_SK_SL_EUlSY_E1_NS1_11comp_targetILNS1_3genE10ELNS1_11target_archE1201ELNS1_3gpuE5ELNS1_3repE0EEENS1_36merge_oddeven_config_static_selectorELNS0_4arch9wavefront6targetE1EEEvSK_
                                        ; -- End function
	.section	.AMDGPU.csdata,"",@progbits
; Kernel info:
; codeLenInByte = 0
; NumSgprs: 4
; NumVgprs: 0
; NumAgprs: 0
; TotalNumVgprs: 0
; ScratchSize: 0
; MemoryBound: 0
; FloatMode: 240
; IeeeMode: 1
; LDSByteSize: 0 bytes/workgroup (compile time only)
; SGPRBlocks: 0
; VGPRBlocks: 0
; NumSGPRsForWavesPerEU: 4
; NumVGPRsForWavesPerEU: 1
; AccumOffset: 4
; Occupancy: 8
; WaveLimiterHint : 0
; COMPUTE_PGM_RSRC2:SCRATCH_EN: 0
; COMPUTE_PGM_RSRC2:USER_SGPR: 6
; COMPUTE_PGM_RSRC2:TRAP_HANDLER: 0
; COMPUTE_PGM_RSRC2:TGID_X_EN: 1
; COMPUTE_PGM_RSRC2:TGID_Y_EN: 0
; COMPUTE_PGM_RSRC2:TGID_Z_EN: 0
; COMPUTE_PGM_RSRC2:TIDIG_COMP_CNT: 0
; COMPUTE_PGM_RSRC3_GFX90A:ACCUM_OFFSET: 0
; COMPUTE_PGM_RSRC3_GFX90A:TG_SPLIT: 0
	.section	.text._ZN7rocprim17ROCPRIM_400000_NS6detail17trampoline_kernelINS0_14default_configENS1_38merge_sort_block_merge_config_selectorIaNS0_10empty_typeEEEZZNS1_27merge_sort_block_merge_implIS3_N6thrust23THRUST_200600_302600_NS6detail15normal_iteratorINS9_10device_ptrIaEEEEPS5_m14custom_greaterIaEEE10hipError_tT0_T1_T2_jT3_P12ihipStream_tbPNSt15iterator_traitsISJ_E10value_typeEPNSP_ISK_E10value_typeEPSL_NS1_7vsmem_tEENKUlT_SJ_SK_SL_E_clIPaSE_SF_SF_EESI_SY_SJ_SK_SL_EUlSY_E1_NS1_11comp_targetILNS1_3genE5ELNS1_11target_archE942ELNS1_3gpuE9ELNS1_3repE0EEENS1_36merge_oddeven_config_static_selectorELNS0_4arch9wavefront6targetE1EEEvSK_,"axG",@progbits,_ZN7rocprim17ROCPRIM_400000_NS6detail17trampoline_kernelINS0_14default_configENS1_38merge_sort_block_merge_config_selectorIaNS0_10empty_typeEEEZZNS1_27merge_sort_block_merge_implIS3_N6thrust23THRUST_200600_302600_NS6detail15normal_iteratorINS9_10device_ptrIaEEEEPS5_m14custom_greaterIaEEE10hipError_tT0_T1_T2_jT3_P12ihipStream_tbPNSt15iterator_traitsISJ_E10value_typeEPNSP_ISK_E10value_typeEPSL_NS1_7vsmem_tEENKUlT_SJ_SK_SL_E_clIPaSE_SF_SF_EESI_SY_SJ_SK_SL_EUlSY_E1_NS1_11comp_targetILNS1_3genE5ELNS1_11target_archE942ELNS1_3gpuE9ELNS1_3repE0EEENS1_36merge_oddeven_config_static_selectorELNS0_4arch9wavefront6targetE1EEEvSK_,comdat
	.protected	_ZN7rocprim17ROCPRIM_400000_NS6detail17trampoline_kernelINS0_14default_configENS1_38merge_sort_block_merge_config_selectorIaNS0_10empty_typeEEEZZNS1_27merge_sort_block_merge_implIS3_N6thrust23THRUST_200600_302600_NS6detail15normal_iteratorINS9_10device_ptrIaEEEEPS5_m14custom_greaterIaEEE10hipError_tT0_T1_T2_jT3_P12ihipStream_tbPNSt15iterator_traitsISJ_E10value_typeEPNSP_ISK_E10value_typeEPSL_NS1_7vsmem_tEENKUlT_SJ_SK_SL_E_clIPaSE_SF_SF_EESI_SY_SJ_SK_SL_EUlSY_E1_NS1_11comp_targetILNS1_3genE5ELNS1_11target_archE942ELNS1_3gpuE9ELNS1_3repE0EEENS1_36merge_oddeven_config_static_selectorELNS0_4arch9wavefront6targetE1EEEvSK_ ; -- Begin function _ZN7rocprim17ROCPRIM_400000_NS6detail17trampoline_kernelINS0_14default_configENS1_38merge_sort_block_merge_config_selectorIaNS0_10empty_typeEEEZZNS1_27merge_sort_block_merge_implIS3_N6thrust23THRUST_200600_302600_NS6detail15normal_iteratorINS9_10device_ptrIaEEEEPS5_m14custom_greaterIaEEE10hipError_tT0_T1_T2_jT3_P12ihipStream_tbPNSt15iterator_traitsISJ_E10value_typeEPNSP_ISK_E10value_typeEPSL_NS1_7vsmem_tEENKUlT_SJ_SK_SL_E_clIPaSE_SF_SF_EESI_SY_SJ_SK_SL_EUlSY_E1_NS1_11comp_targetILNS1_3genE5ELNS1_11target_archE942ELNS1_3gpuE9ELNS1_3repE0EEENS1_36merge_oddeven_config_static_selectorELNS0_4arch9wavefront6targetE1EEEvSK_
	.globl	_ZN7rocprim17ROCPRIM_400000_NS6detail17trampoline_kernelINS0_14default_configENS1_38merge_sort_block_merge_config_selectorIaNS0_10empty_typeEEEZZNS1_27merge_sort_block_merge_implIS3_N6thrust23THRUST_200600_302600_NS6detail15normal_iteratorINS9_10device_ptrIaEEEEPS5_m14custom_greaterIaEEE10hipError_tT0_T1_T2_jT3_P12ihipStream_tbPNSt15iterator_traitsISJ_E10value_typeEPNSP_ISK_E10value_typeEPSL_NS1_7vsmem_tEENKUlT_SJ_SK_SL_E_clIPaSE_SF_SF_EESI_SY_SJ_SK_SL_EUlSY_E1_NS1_11comp_targetILNS1_3genE5ELNS1_11target_archE942ELNS1_3gpuE9ELNS1_3repE0EEENS1_36merge_oddeven_config_static_selectorELNS0_4arch9wavefront6targetE1EEEvSK_
	.p2align	8
	.type	_ZN7rocprim17ROCPRIM_400000_NS6detail17trampoline_kernelINS0_14default_configENS1_38merge_sort_block_merge_config_selectorIaNS0_10empty_typeEEEZZNS1_27merge_sort_block_merge_implIS3_N6thrust23THRUST_200600_302600_NS6detail15normal_iteratorINS9_10device_ptrIaEEEEPS5_m14custom_greaterIaEEE10hipError_tT0_T1_T2_jT3_P12ihipStream_tbPNSt15iterator_traitsISJ_E10value_typeEPNSP_ISK_E10value_typeEPSL_NS1_7vsmem_tEENKUlT_SJ_SK_SL_E_clIPaSE_SF_SF_EESI_SY_SJ_SK_SL_EUlSY_E1_NS1_11comp_targetILNS1_3genE5ELNS1_11target_archE942ELNS1_3gpuE9ELNS1_3repE0EEENS1_36merge_oddeven_config_static_selectorELNS0_4arch9wavefront6targetE1EEEvSK_,@function
_ZN7rocprim17ROCPRIM_400000_NS6detail17trampoline_kernelINS0_14default_configENS1_38merge_sort_block_merge_config_selectorIaNS0_10empty_typeEEEZZNS1_27merge_sort_block_merge_implIS3_N6thrust23THRUST_200600_302600_NS6detail15normal_iteratorINS9_10device_ptrIaEEEEPS5_m14custom_greaterIaEEE10hipError_tT0_T1_T2_jT3_P12ihipStream_tbPNSt15iterator_traitsISJ_E10value_typeEPNSP_ISK_E10value_typeEPSL_NS1_7vsmem_tEENKUlT_SJ_SK_SL_E_clIPaSE_SF_SF_EESI_SY_SJ_SK_SL_EUlSY_E1_NS1_11comp_targetILNS1_3genE5ELNS1_11target_archE942ELNS1_3gpuE9ELNS1_3repE0EEENS1_36merge_oddeven_config_static_selectorELNS0_4arch9wavefront6targetE1EEEvSK_: ; @_ZN7rocprim17ROCPRIM_400000_NS6detail17trampoline_kernelINS0_14default_configENS1_38merge_sort_block_merge_config_selectorIaNS0_10empty_typeEEEZZNS1_27merge_sort_block_merge_implIS3_N6thrust23THRUST_200600_302600_NS6detail15normal_iteratorINS9_10device_ptrIaEEEEPS5_m14custom_greaterIaEEE10hipError_tT0_T1_T2_jT3_P12ihipStream_tbPNSt15iterator_traitsISJ_E10value_typeEPNSP_ISK_E10value_typeEPSL_NS1_7vsmem_tEENKUlT_SJ_SK_SL_E_clIPaSE_SF_SF_EESI_SY_SJ_SK_SL_EUlSY_E1_NS1_11comp_targetILNS1_3genE5ELNS1_11target_archE942ELNS1_3gpuE9ELNS1_3repE0EEENS1_36merge_oddeven_config_static_selectorELNS0_4arch9wavefront6targetE1EEEvSK_
; %bb.0:
	.section	.rodata,"a",@progbits
	.p2align	6, 0x0
	.amdhsa_kernel _ZN7rocprim17ROCPRIM_400000_NS6detail17trampoline_kernelINS0_14default_configENS1_38merge_sort_block_merge_config_selectorIaNS0_10empty_typeEEEZZNS1_27merge_sort_block_merge_implIS3_N6thrust23THRUST_200600_302600_NS6detail15normal_iteratorINS9_10device_ptrIaEEEEPS5_m14custom_greaterIaEEE10hipError_tT0_T1_T2_jT3_P12ihipStream_tbPNSt15iterator_traitsISJ_E10value_typeEPNSP_ISK_E10value_typeEPSL_NS1_7vsmem_tEENKUlT_SJ_SK_SL_E_clIPaSE_SF_SF_EESI_SY_SJ_SK_SL_EUlSY_E1_NS1_11comp_targetILNS1_3genE5ELNS1_11target_archE942ELNS1_3gpuE9ELNS1_3repE0EEENS1_36merge_oddeven_config_static_selectorELNS0_4arch9wavefront6targetE1EEEvSK_
		.amdhsa_group_segment_fixed_size 0
		.amdhsa_private_segment_fixed_size 0
		.amdhsa_kernarg_size 56
		.amdhsa_user_sgpr_count 6
		.amdhsa_user_sgpr_private_segment_buffer 1
		.amdhsa_user_sgpr_dispatch_ptr 0
		.amdhsa_user_sgpr_queue_ptr 0
		.amdhsa_user_sgpr_kernarg_segment_ptr 1
		.amdhsa_user_sgpr_dispatch_id 0
		.amdhsa_user_sgpr_flat_scratch_init 0
		.amdhsa_user_sgpr_kernarg_preload_length 0
		.amdhsa_user_sgpr_kernarg_preload_offset 0
		.amdhsa_user_sgpr_private_segment_size 0
		.amdhsa_uses_dynamic_stack 0
		.amdhsa_system_sgpr_private_segment_wavefront_offset 0
		.amdhsa_system_sgpr_workgroup_id_x 1
		.amdhsa_system_sgpr_workgroup_id_y 0
		.amdhsa_system_sgpr_workgroup_id_z 0
		.amdhsa_system_sgpr_workgroup_info 0
		.amdhsa_system_vgpr_workitem_id 0
		.amdhsa_next_free_vgpr 1
		.amdhsa_next_free_sgpr 0
		.amdhsa_accum_offset 4
		.amdhsa_reserve_vcc 0
		.amdhsa_reserve_flat_scratch 0
		.amdhsa_float_round_mode_32 0
		.amdhsa_float_round_mode_16_64 0
		.amdhsa_float_denorm_mode_32 3
		.amdhsa_float_denorm_mode_16_64 3
		.amdhsa_dx10_clamp 1
		.amdhsa_ieee_mode 1
		.amdhsa_fp16_overflow 0
		.amdhsa_tg_split 0
		.amdhsa_exception_fp_ieee_invalid_op 0
		.amdhsa_exception_fp_denorm_src 0
		.amdhsa_exception_fp_ieee_div_zero 0
		.amdhsa_exception_fp_ieee_overflow 0
		.amdhsa_exception_fp_ieee_underflow 0
		.amdhsa_exception_fp_ieee_inexact 0
		.amdhsa_exception_int_div_zero 0
	.end_amdhsa_kernel
	.section	.text._ZN7rocprim17ROCPRIM_400000_NS6detail17trampoline_kernelINS0_14default_configENS1_38merge_sort_block_merge_config_selectorIaNS0_10empty_typeEEEZZNS1_27merge_sort_block_merge_implIS3_N6thrust23THRUST_200600_302600_NS6detail15normal_iteratorINS9_10device_ptrIaEEEEPS5_m14custom_greaterIaEEE10hipError_tT0_T1_T2_jT3_P12ihipStream_tbPNSt15iterator_traitsISJ_E10value_typeEPNSP_ISK_E10value_typeEPSL_NS1_7vsmem_tEENKUlT_SJ_SK_SL_E_clIPaSE_SF_SF_EESI_SY_SJ_SK_SL_EUlSY_E1_NS1_11comp_targetILNS1_3genE5ELNS1_11target_archE942ELNS1_3gpuE9ELNS1_3repE0EEENS1_36merge_oddeven_config_static_selectorELNS0_4arch9wavefront6targetE1EEEvSK_,"axG",@progbits,_ZN7rocprim17ROCPRIM_400000_NS6detail17trampoline_kernelINS0_14default_configENS1_38merge_sort_block_merge_config_selectorIaNS0_10empty_typeEEEZZNS1_27merge_sort_block_merge_implIS3_N6thrust23THRUST_200600_302600_NS6detail15normal_iteratorINS9_10device_ptrIaEEEEPS5_m14custom_greaterIaEEE10hipError_tT0_T1_T2_jT3_P12ihipStream_tbPNSt15iterator_traitsISJ_E10value_typeEPNSP_ISK_E10value_typeEPSL_NS1_7vsmem_tEENKUlT_SJ_SK_SL_E_clIPaSE_SF_SF_EESI_SY_SJ_SK_SL_EUlSY_E1_NS1_11comp_targetILNS1_3genE5ELNS1_11target_archE942ELNS1_3gpuE9ELNS1_3repE0EEENS1_36merge_oddeven_config_static_selectorELNS0_4arch9wavefront6targetE1EEEvSK_,comdat
.Lfunc_end2803:
	.size	_ZN7rocprim17ROCPRIM_400000_NS6detail17trampoline_kernelINS0_14default_configENS1_38merge_sort_block_merge_config_selectorIaNS0_10empty_typeEEEZZNS1_27merge_sort_block_merge_implIS3_N6thrust23THRUST_200600_302600_NS6detail15normal_iteratorINS9_10device_ptrIaEEEEPS5_m14custom_greaterIaEEE10hipError_tT0_T1_T2_jT3_P12ihipStream_tbPNSt15iterator_traitsISJ_E10value_typeEPNSP_ISK_E10value_typeEPSL_NS1_7vsmem_tEENKUlT_SJ_SK_SL_E_clIPaSE_SF_SF_EESI_SY_SJ_SK_SL_EUlSY_E1_NS1_11comp_targetILNS1_3genE5ELNS1_11target_archE942ELNS1_3gpuE9ELNS1_3repE0EEENS1_36merge_oddeven_config_static_selectorELNS0_4arch9wavefront6targetE1EEEvSK_, .Lfunc_end2803-_ZN7rocprim17ROCPRIM_400000_NS6detail17trampoline_kernelINS0_14default_configENS1_38merge_sort_block_merge_config_selectorIaNS0_10empty_typeEEEZZNS1_27merge_sort_block_merge_implIS3_N6thrust23THRUST_200600_302600_NS6detail15normal_iteratorINS9_10device_ptrIaEEEEPS5_m14custom_greaterIaEEE10hipError_tT0_T1_T2_jT3_P12ihipStream_tbPNSt15iterator_traitsISJ_E10value_typeEPNSP_ISK_E10value_typeEPSL_NS1_7vsmem_tEENKUlT_SJ_SK_SL_E_clIPaSE_SF_SF_EESI_SY_SJ_SK_SL_EUlSY_E1_NS1_11comp_targetILNS1_3genE5ELNS1_11target_archE942ELNS1_3gpuE9ELNS1_3repE0EEENS1_36merge_oddeven_config_static_selectorELNS0_4arch9wavefront6targetE1EEEvSK_
                                        ; -- End function
	.section	.AMDGPU.csdata,"",@progbits
; Kernel info:
; codeLenInByte = 0
; NumSgprs: 4
; NumVgprs: 0
; NumAgprs: 0
; TotalNumVgprs: 0
; ScratchSize: 0
; MemoryBound: 0
; FloatMode: 240
; IeeeMode: 1
; LDSByteSize: 0 bytes/workgroup (compile time only)
; SGPRBlocks: 0
; VGPRBlocks: 0
; NumSGPRsForWavesPerEU: 4
; NumVGPRsForWavesPerEU: 1
; AccumOffset: 4
; Occupancy: 8
; WaveLimiterHint : 0
; COMPUTE_PGM_RSRC2:SCRATCH_EN: 0
; COMPUTE_PGM_RSRC2:USER_SGPR: 6
; COMPUTE_PGM_RSRC2:TRAP_HANDLER: 0
; COMPUTE_PGM_RSRC2:TGID_X_EN: 1
; COMPUTE_PGM_RSRC2:TGID_Y_EN: 0
; COMPUTE_PGM_RSRC2:TGID_Z_EN: 0
; COMPUTE_PGM_RSRC2:TIDIG_COMP_CNT: 0
; COMPUTE_PGM_RSRC3_GFX90A:ACCUM_OFFSET: 0
; COMPUTE_PGM_RSRC3_GFX90A:TG_SPLIT: 0
	.section	.text._ZN7rocprim17ROCPRIM_400000_NS6detail17trampoline_kernelINS0_14default_configENS1_38merge_sort_block_merge_config_selectorIaNS0_10empty_typeEEEZZNS1_27merge_sort_block_merge_implIS3_N6thrust23THRUST_200600_302600_NS6detail15normal_iteratorINS9_10device_ptrIaEEEEPS5_m14custom_greaterIaEEE10hipError_tT0_T1_T2_jT3_P12ihipStream_tbPNSt15iterator_traitsISJ_E10value_typeEPNSP_ISK_E10value_typeEPSL_NS1_7vsmem_tEENKUlT_SJ_SK_SL_E_clIPaSE_SF_SF_EESI_SY_SJ_SK_SL_EUlSY_E1_NS1_11comp_targetILNS1_3genE4ELNS1_11target_archE910ELNS1_3gpuE8ELNS1_3repE0EEENS1_36merge_oddeven_config_static_selectorELNS0_4arch9wavefront6targetE1EEEvSK_,"axG",@progbits,_ZN7rocprim17ROCPRIM_400000_NS6detail17trampoline_kernelINS0_14default_configENS1_38merge_sort_block_merge_config_selectorIaNS0_10empty_typeEEEZZNS1_27merge_sort_block_merge_implIS3_N6thrust23THRUST_200600_302600_NS6detail15normal_iteratorINS9_10device_ptrIaEEEEPS5_m14custom_greaterIaEEE10hipError_tT0_T1_T2_jT3_P12ihipStream_tbPNSt15iterator_traitsISJ_E10value_typeEPNSP_ISK_E10value_typeEPSL_NS1_7vsmem_tEENKUlT_SJ_SK_SL_E_clIPaSE_SF_SF_EESI_SY_SJ_SK_SL_EUlSY_E1_NS1_11comp_targetILNS1_3genE4ELNS1_11target_archE910ELNS1_3gpuE8ELNS1_3repE0EEENS1_36merge_oddeven_config_static_selectorELNS0_4arch9wavefront6targetE1EEEvSK_,comdat
	.protected	_ZN7rocprim17ROCPRIM_400000_NS6detail17trampoline_kernelINS0_14default_configENS1_38merge_sort_block_merge_config_selectorIaNS0_10empty_typeEEEZZNS1_27merge_sort_block_merge_implIS3_N6thrust23THRUST_200600_302600_NS6detail15normal_iteratorINS9_10device_ptrIaEEEEPS5_m14custom_greaterIaEEE10hipError_tT0_T1_T2_jT3_P12ihipStream_tbPNSt15iterator_traitsISJ_E10value_typeEPNSP_ISK_E10value_typeEPSL_NS1_7vsmem_tEENKUlT_SJ_SK_SL_E_clIPaSE_SF_SF_EESI_SY_SJ_SK_SL_EUlSY_E1_NS1_11comp_targetILNS1_3genE4ELNS1_11target_archE910ELNS1_3gpuE8ELNS1_3repE0EEENS1_36merge_oddeven_config_static_selectorELNS0_4arch9wavefront6targetE1EEEvSK_ ; -- Begin function _ZN7rocprim17ROCPRIM_400000_NS6detail17trampoline_kernelINS0_14default_configENS1_38merge_sort_block_merge_config_selectorIaNS0_10empty_typeEEEZZNS1_27merge_sort_block_merge_implIS3_N6thrust23THRUST_200600_302600_NS6detail15normal_iteratorINS9_10device_ptrIaEEEEPS5_m14custom_greaterIaEEE10hipError_tT0_T1_T2_jT3_P12ihipStream_tbPNSt15iterator_traitsISJ_E10value_typeEPNSP_ISK_E10value_typeEPSL_NS1_7vsmem_tEENKUlT_SJ_SK_SL_E_clIPaSE_SF_SF_EESI_SY_SJ_SK_SL_EUlSY_E1_NS1_11comp_targetILNS1_3genE4ELNS1_11target_archE910ELNS1_3gpuE8ELNS1_3repE0EEENS1_36merge_oddeven_config_static_selectorELNS0_4arch9wavefront6targetE1EEEvSK_
	.globl	_ZN7rocprim17ROCPRIM_400000_NS6detail17trampoline_kernelINS0_14default_configENS1_38merge_sort_block_merge_config_selectorIaNS0_10empty_typeEEEZZNS1_27merge_sort_block_merge_implIS3_N6thrust23THRUST_200600_302600_NS6detail15normal_iteratorINS9_10device_ptrIaEEEEPS5_m14custom_greaterIaEEE10hipError_tT0_T1_T2_jT3_P12ihipStream_tbPNSt15iterator_traitsISJ_E10value_typeEPNSP_ISK_E10value_typeEPSL_NS1_7vsmem_tEENKUlT_SJ_SK_SL_E_clIPaSE_SF_SF_EESI_SY_SJ_SK_SL_EUlSY_E1_NS1_11comp_targetILNS1_3genE4ELNS1_11target_archE910ELNS1_3gpuE8ELNS1_3repE0EEENS1_36merge_oddeven_config_static_selectorELNS0_4arch9wavefront6targetE1EEEvSK_
	.p2align	8
	.type	_ZN7rocprim17ROCPRIM_400000_NS6detail17trampoline_kernelINS0_14default_configENS1_38merge_sort_block_merge_config_selectorIaNS0_10empty_typeEEEZZNS1_27merge_sort_block_merge_implIS3_N6thrust23THRUST_200600_302600_NS6detail15normal_iteratorINS9_10device_ptrIaEEEEPS5_m14custom_greaterIaEEE10hipError_tT0_T1_T2_jT3_P12ihipStream_tbPNSt15iterator_traitsISJ_E10value_typeEPNSP_ISK_E10value_typeEPSL_NS1_7vsmem_tEENKUlT_SJ_SK_SL_E_clIPaSE_SF_SF_EESI_SY_SJ_SK_SL_EUlSY_E1_NS1_11comp_targetILNS1_3genE4ELNS1_11target_archE910ELNS1_3gpuE8ELNS1_3repE0EEENS1_36merge_oddeven_config_static_selectorELNS0_4arch9wavefront6targetE1EEEvSK_,@function
_ZN7rocprim17ROCPRIM_400000_NS6detail17trampoline_kernelINS0_14default_configENS1_38merge_sort_block_merge_config_selectorIaNS0_10empty_typeEEEZZNS1_27merge_sort_block_merge_implIS3_N6thrust23THRUST_200600_302600_NS6detail15normal_iteratorINS9_10device_ptrIaEEEEPS5_m14custom_greaterIaEEE10hipError_tT0_T1_T2_jT3_P12ihipStream_tbPNSt15iterator_traitsISJ_E10value_typeEPNSP_ISK_E10value_typeEPSL_NS1_7vsmem_tEENKUlT_SJ_SK_SL_E_clIPaSE_SF_SF_EESI_SY_SJ_SK_SL_EUlSY_E1_NS1_11comp_targetILNS1_3genE4ELNS1_11target_archE910ELNS1_3gpuE8ELNS1_3repE0EEENS1_36merge_oddeven_config_static_selectorELNS0_4arch9wavefront6targetE1EEEvSK_: ; @_ZN7rocprim17ROCPRIM_400000_NS6detail17trampoline_kernelINS0_14default_configENS1_38merge_sort_block_merge_config_selectorIaNS0_10empty_typeEEEZZNS1_27merge_sort_block_merge_implIS3_N6thrust23THRUST_200600_302600_NS6detail15normal_iteratorINS9_10device_ptrIaEEEEPS5_m14custom_greaterIaEEE10hipError_tT0_T1_T2_jT3_P12ihipStream_tbPNSt15iterator_traitsISJ_E10value_typeEPNSP_ISK_E10value_typeEPSL_NS1_7vsmem_tEENKUlT_SJ_SK_SL_E_clIPaSE_SF_SF_EESI_SY_SJ_SK_SL_EUlSY_E1_NS1_11comp_targetILNS1_3genE4ELNS1_11target_archE910ELNS1_3gpuE8ELNS1_3repE0EEENS1_36merge_oddeven_config_static_selectorELNS0_4arch9wavefront6targetE1EEEvSK_
; %bb.0:
	s_load_dword s17, s[4:5], 0x20
	s_waitcnt lgkmcnt(0)
	s_lshr_b32 s0, s17, 8
	s_cmp_lg_u32 s6, s0
	s_cselect_b64 s[14:15], -1, 0
	s_cmp_eq_u32 s6, s0
	s_cselect_b64 s[12:13], -1, 0
	s_lshl_b32 s7, s6, 8
	s_sub_i32 s0, s17, s7
	v_cmp_gt_u32_e64 s[2:3], s0, v0
	s_or_b64 s[0:1], s[14:15], s[2:3]
	s_and_saveexec_b64 s[8:9], s[0:1]
	s_cbranch_execz .LBB2804_20
; %bb.1:
	s_load_dwordx4 s[8:11], s[4:5], 0x0
	s_load_dword s18, s[4:5], 0x28
	v_add_u32_e32 v2, s7, v0
	s_waitcnt lgkmcnt(0)
	s_add_u32 s0, s8, s7
	s_addc_u32 s1, s9, 0
	global_load_sbyte v1, v0, s[0:1]
	s_lshr_b32 s0, s18, 8
	s_sub_i32 s1, 0, s0
	s_and_b32 s1, s6, s1
	s_and_b32 s0, s1, s0
	s_lshl_b32 s19, s1, 8
	s_sub_i32 s6, 0, s18
	s_cmp_eq_u32 s0, 0
	s_cselect_b64 s[0:1], -1, 0
	s_and_b64 s[4:5], s[0:1], exec
	s_cselect_b32 s16, s18, s6
	s_add_i32 s16, s16, s19
	s_cmp_lt_u32 s16, s17
	s_cbranch_scc1 .LBB2804_3
; %bb.2:
	v_cmp_gt_u32_e32 vcc, s17, v2
	s_or_b64 s[4:5], vcc, s[14:15]
	s_and_b64 s[4:5], s[4:5], exec
	s_cbranch_execz .LBB2804_4
	s_branch .LBB2804_18
.LBB2804_3:
	s_mov_b64 s[4:5], 0
.LBB2804_4:
	s_min_u32 s14, s16, s17
	s_add_i32 s6, s14, s18
	s_min_u32 s15, s6, s17
	s_min_u32 s6, s19, s14
	s_add_i32 s19, s19, s14
	v_subrev_u32_e32 v0, s19, v2
	v_add_u32_e32 v0, s6, v0
	s_and_b64 vcc, exec, s[12:13]
	s_cbranch_vccz .LBB2804_12
; %bb.5:
                                        ; implicit-def: $vgpr2
	s_and_saveexec_b64 s[6:7], s[2:3]
	s_cbranch_execz .LBB2804_11
; %bb.6:
	s_cmp_ge_u32 s16, s15
	v_mov_b32_e32 v2, s14
	s_cbranch_scc1 .LBB2804_10
; %bb.7:
	s_mov_b64 s[2:3], 0
	v_mov_b32_e32 v3, s15
	v_mov_b32_e32 v2, s14
.LBB2804_8:                             ; =>This Inner Loop Header: Depth=1
	v_add_u32_e32 v4, v2, v3
	v_lshrrev_b32_e32 v4, 1, v4
	global_load_sbyte v5, v4, s[8:9]
	v_add_u32_e32 v6, 1, v4
	s_waitcnt vmcnt(0)
	v_cmp_gt_i16_e32 vcc, v1, v5
	v_cndmask_b32_e64 v7, 0, 1, vcc
	v_cmp_le_i16_e32 vcc, v5, v1
	v_cndmask_b32_e64 v5, 0, 1, vcc
	v_cndmask_b32_e64 v5, v5, v7, s[0:1]
	v_and_b32_e32 v5, 1, v5
	v_cmp_eq_u32_e32 vcc, 1, v5
	v_cndmask_b32_e32 v3, v4, v3, vcc
	v_cndmask_b32_e32 v2, v2, v6, vcc
	v_cmp_ge_u32_e32 vcc, v2, v3
	s_or_b64 s[2:3], vcc, s[2:3]
	s_andn2_b64 exec, exec, s[2:3]
	s_cbranch_execnz .LBB2804_8
; %bb.9:
	s_or_b64 exec, exec, s[2:3]
.LBB2804_10:
	v_add_u32_e32 v2, v2, v0
	s_or_b64 s[4:5], s[4:5], exec
.LBB2804_11:
	s_or_b64 exec, exec, s[6:7]
	s_branch .LBB2804_18
.LBB2804_12:
                                        ; implicit-def: $vgpr2
	s_cbranch_execz .LBB2804_18
; %bb.13:
	s_cmp_ge_u32 s16, s15
	v_mov_b32_e32 v2, s14
	s_cbranch_scc1 .LBB2804_17
; %bb.14:
	s_mov_b64 s[2:3], 0
	v_mov_b32_e32 v3, s15
	v_mov_b32_e32 v2, s14
.LBB2804_15:                            ; =>This Inner Loop Header: Depth=1
	v_add_u32_e32 v4, v2, v3
	v_lshrrev_b32_e32 v4, 1, v4
	global_load_sbyte v5, v4, s[8:9]
	v_add_u32_e32 v6, 1, v4
	s_waitcnt vmcnt(0)
	v_cmp_gt_i16_e32 vcc, v1, v5
	v_cndmask_b32_e64 v7, 0, 1, vcc
	v_cmp_le_i16_e32 vcc, v5, v1
	v_cndmask_b32_e64 v5, 0, 1, vcc
	v_cndmask_b32_e64 v5, v5, v7, s[0:1]
	v_and_b32_e32 v5, 1, v5
	v_cmp_eq_u32_e32 vcc, 1, v5
	v_cndmask_b32_e32 v3, v4, v3, vcc
	v_cndmask_b32_e32 v2, v2, v6, vcc
	v_cmp_ge_u32_e32 vcc, v2, v3
	s_or_b64 s[2:3], vcc, s[2:3]
	s_andn2_b64 exec, exec, s[2:3]
	s_cbranch_execnz .LBB2804_15
; %bb.16:
	s_or_b64 exec, exec, s[2:3]
.LBB2804_17:
	v_add_u32_e32 v2, v2, v0
	s_mov_b64 s[4:5], -1
.LBB2804_18:
	s_and_b64 exec, exec, s[4:5]
	s_cbranch_execz .LBB2804_20
; %bb.19:
	s_waitcnt vmcnt(0)
	global_store_byte v2, v1, s[10:11]
.LBB2804_20:
	s_endpgm
	.section	.rodata,"a",@progbits
	.p2align	6, 0x0
	.amdhsa_kernel _ZN7rocprim17ROCPRIM_400000_NS6detail17trampoline_kernelINS0_14default_configENS1_38merge_sort_block_merge_config_selectorIaNS0_10empty_typeEEEZZNS1_27merge_sort_block_merge_implIS3_N6thrust23THRUST_200600_302600_NS6detail15normal_iteratorINS9_10device_ptrIaEEEEPS5_m14custom_greaterIaEEE10hipError_tT0_T1_T2_jT3_P12ihipStream_tbPNSt15iterator_traitsISJ_E10value_typeEPNSP_ISK_E10value_typeEPSL_NS1_7vsmem_tEENKUlT_SJ_SK_SL_E_clIPaSE_SF_SF_EESI_SY_SJ_SK_SL_EUlSY_E1_NS1_11comp_targetILNS1_3genE4ELNS1_11target_archE910ELNS1_3gpuE8ELNS1_3repE0EEENS1_36merge_oddeven_config_static_selectorELNS0_4arch9wavefront6targetE1EEEvSK_
		.amdhsa_group_segment_fixed_size 0
		.amdhsa_private_segment_fixed_size 0
		.amdhsa_kernarg_size 56
		.amdhsa_user_sgpr_count 6
		.amdhsa_user_sgpr_private_segment_buffer 1
		.amdhsa_user_sgpr_dispatch_ptr 0
		.amdhsa_user_sgpr_queue_ptr 0
		.amdhsa_user_sgpr_kernarg_segment_ptr 1
		.amdhsa_user_sgpr_dispatch_id 0
		.amdhsa_user_sgpr_flat_scratch_init 0
		.amdhsa_user_sgpr_kernarg_preload_length 0
		.amdhsa_user_sgpr_kernarg_preload_offset 0
		.amdhsa_user_sgpr_private_segment_size 0
		.amdhsa_uses_dynamic_stack 0
		.amdhsa_system_sgpr_private_segment_wavefront_offset 0
		.amdhsa_system_sgpr_workgroup_id_x 1
		.amdhsa_system_sgpr_workgroup_id_y 0
		.amdhsa_system_sgpr_workgroup_id_z 0
		.amdhsa_system_sgpr_workgroup_info 0
		.amdhsa_system_vgpr_workitem_id 0
		.amdhsa_next_free_vgpr 8
		.amdhsa_next_free_sgpr 20
		.amdhsa_accum_offset 8
		.amdhsa_reserve_vcc 1
		.amdhsa_reserve_flat_scratch 0
		.amdhsa_float_round_mode_32 0
		.amdhsa_float_round_mode_16_64 0
		.amdhsa_float_denorm_mode_32 3
		.amdhsa_float_denorm_mode_16_64 3
		.amdhsa_dx10_clamp 1
		.amdhsa_ieee_mode 1
		.amdhsa_fp16_overflow 0
		.amdhsa_tg_split 0
		.amdhsa_exception_fp_ieee_invalid_op 0
		.amdhsa_exception_fp_denorm_src 0
		.amdhsa_exception_fp_ieee_div_zero 0
		.amdhsa_exception_fp_ieee_overflow 0
		.amdhsa_exception_fp_ieee_underflow 0
		.amdhsa_exception_fp_ieee_inexact 0
		.amdhsa_exception_int_div_zero 0
	.end_amdhsa_kernel
	.section	.text._ZN7rocprim17ROCPRIM_400000_NS6detail17trampoline_kernelINS0_14default_configENS1_38merge_sort_block_merge_config_selectorIaNS0_10empty_typeEEEZZNS1_27merge_sort_block_merge_implIS3_N6thrust23THRUST_200600_302600_NS6detail15normal_iteratorINS9_10device_ptrIaEEEEPS5_m14custom_greaterIaEEE10hipError_tT0_T1_T2_jT3_P12ihipStream_tbPNSt15iterator_traitsISJ_E10value_typeEPNSP_ISK_E10value_typeEPSL_NS1_7vsmem_tEENKUlT_SJ_SK_SL_E_clIPaSE_SF_SF_EESI_SY_SJ_SK_SL_EUlSY_E1_NS1_11comp_targetILNS1_3genE4ELNS1_11target_archE910ELNS1_3gpuE8ELNS1_3repE0EEENS1_36merge_oddeven_config_static_selectorELNS0_4arch9wavefront6targetE1EEEvSK_,"axG",@progbits,_ZN7rocprim17ROCPRIM_400000_NS6detail17trampoline_kernelINS0_14default_configENS1_38merge_sort_block_merge_config_selectorIaNS0_10empty_typeEEEZZNS1_27merge_sort_block_merge_implIS3_N6thrust23THRUST_200600_302600_NS6detail15normal_iteratorINS9_10device_ptrIaEEEEPS5_m14custom_greaterIaEEE10hipError_tT0_T1_T2_jT3_P12ihipStream_tbPNSt15iterator_traitsISJ_E10value_typeEPNSP_ISK_E10value_typeEPSL_NS1_7vsmem_tEENKUlT_SJ_SK_SL_E_clIPaSE_SF_SF_EESI_SY_SJ_SK_SL_EUlSY_E1_NS1_11comp_targetILNS1_3genE4ELNS1_11target_archE910ELNS1_3gpuE8ELNS1_3repE0EEENS1_36merge_oddeven_config_static_selectorELNS0_4arch9wavefront6targetE1EEEvSK_,comdat
.Lfunc_end2804:
	.size	_ZN7rocprim17ROCPRIM_400000_NS6detail17trampoline_kernelINS0_14default_configENS1_38merge_sort_block_merge_config_selectorIaNS0_10empty_typeEEEZZNS1_27merge_sort_block_merge_implIS3_N6thrust23THRUST_200600_302600_NS6detail15normal_iteratorINS9_10device_ptrIaEEEEPS5_m14custom_greaterIaEEE10hipError_tT0_T1_T2_jT3_P12ihipStream_tbPNSt15iterator_traitsISJ_E10value_typeEPNSP_ISK_E10value_typeEPSL_NS1_7vsmem_tEENKUlT_SJ_SK_SL_E_clIPaSE_SF_SF_EESI_SY_SJ_SK_SL_EUlSY_E1_NS1_11comp_targetILNS1_3genE4ELNS1_11target_archE910ELNS1_3gpuE8ELNS1_3repE0EEENS1_36merge_oddeven_config_static_selectorELNS0_4arch9wavefront6targetE1EEEvSK_, .Lfunc_end2804-_ZN7rocprim17ROCPRIM_400000_NS6detail17trampoline_kernelINS0_14default_configENS1_38merge_sort_block_merge_config_selectorIaNS0_10empty_typeEEEZZNS1_27merge_sort_block_merge_implIS3_N6thrust23THRUST_200600_302600_NS6detail15normal_iteratorINS9_10device_ptrIaEEEEPS5_m14custom_greaterIaEEE10hipError_tT0_T1_T2_jT3_P12ihipStream_tbPNSt15iterator_traitsISJ_E10value_typeEPNSP_ISK_E10value_typeEPSL_NS1_7vsmem_tEENKUlT_SJ_SK_SL_E_clIPaSE_SF_SF_EESI_SY_SJ_SK_SL_EUlSY_E1_NS1_11comp_targetILNS1_3genE4ELNS1_11target_archE910ELNS1_3gpuE8ELNS1_3repE0EEENS1_36merge_oddeven_config_static_selectorELNS0_4arch9wavefront6targetE1EEEvSK_
                                        ; -- End function
	.section	.AMDGPU.csdata,"",@progbits
; Kernel info:
; codeLenInByte = 504
; NumSgprs: 24
; NumVgprs: 8
; NumAgprs: 0
; TotalNumVgprs: 8
; ScratchSize: 0
; MemoryBound: 0
; FloatMode: 240
; IeeeMode: 1
; LDSByteSize: 0 bytes/workgroup (compile time only)
; SGPRBlocks: 2
; VGPRBlocks: 0
; NumSGPRsForWavesPerEU: 24
; NumVGPRsForWavesPerEU: 8
; AccumOffset: 8
; Occupancy: 8
; WaveLimiterHint : 0
; COMPUTE_PGM_RSRC2:SCRATCH_EN: 0
; COMPUTE_PGM_RSRC2:USER_SGPR: 6
; COMPUTE_PGM_RSRC2:TRAP_HANDLER: 0
; COMPUTE_PGM_RSRC2:TGID_X_EN: 1
; COMPUTE_PGM_RSRC2:TGID_Y_EN: 0
; COMPUTE_PGM_RSRC2:TGID_Z_EN: 0
; COMPUTE_PGM_RSRC2:TIDIG_COMP_CNT: 0
; COMPUTE_PGM_RSRC3_GFX90A:ACCUM_OFFSET: 1
; COMPUTE_PGM_RSRC3_GFX90A:TG_SPLIT: 0
	.section	.text._ZN7rocprim17ROCPRIM_400000_NS6detail17trampoline_kernelINS0_14default_configENS1_38merge_sort_block_merge_config_selectorIaNS0_10empty_typeEEEZZNS1_27merge_sort_block_merge_implIS3_N6thrust23THRUST_200600_302600_NS6detail15normal_iteratorINS9_10device_ptrIaEEEEPS5_m14custom_greaterIaEEE10hipError_tT0_T1_T2_jT3_P12ihipStream_tbPNSt15iterator_traitsISJ_E10value_typeEPNSP_ISK_E10value_typeEPSL_NS1_7vsmem_tEENKUlT_SJ_SK_SL_E_clIPaSE_SF_SF_EESI_SY_SJ_SK_SL_EUlSY_E1_NS1_11comp_targetILNS1_3genE3ELNS1_11target_archE908ELNS1_3gpuE7ELNS1_3repE0EEENS1_36merge_oddeven_config_static_selectorELNS0_4arch9wavefront6targetE1EEEvSK_,"axG",@progbits,_ZN7rocprim17ROCPRIM_400000_NS6detail17trampoline_kernelINS0_14default_configENS1_38merge_sort_block_merge_config_selectorIaNS0_10empty_typeEEEZZNS1_27merge_sort_block_merge_implIS3_N6thrust23THRUST_200600_302600_NS6detail15normal_iteratorINS9_10device_ptrIaEEEEPS5_m14custom_greaterIaEEE10hipError_tT0_T1_T2_jT3_P12ihipStream_tbPNSt15iterator_traitsISJ_E10value_typeEPNSP_ISK_E10value_typeEPSL_NS1_7vsmem_tEENKUlT_SJ_SK_SL_E_clIPaSE_SF_SF_EESI_SY_SJ_SK_SL_EUlSY_E1_NS1_11comp_targetILNS1_3genE3ELNS1_11target_archE908ELNS1_3gpuE7ELNS1_3repE0EEENS1_36merge_oddeven_config_static_selectorELNS0_4arch9wavefront6targetE1EEEvSK_,comdat
	.protected	_ZN7rocprim17ROCPRIM_400000_NS6detail17trampoline_kernelINS0_14default_configENS1_38merge_sort_block_merge_config_selectorIaNS0_10empty_typeEEEZZNS1_27merge_sort_block_merge_implIS3_N6thrust23THRUST_200600_302600_NS6detail15normal_iteratorINS9_10device_ptrIaEEEEPS5_m14custom_greaterIaEEE10hipError_tT0_T1_T2_jT3_P12ihipStream_tbPNSt15iterator_traitsISJ_E10value_typeEPNSP_ISK_E10value_typeEPSL_NS1_7vsmem_tEENKUlT_SJ_SK_SL_E_clIPaSE_SF_SF_EESI_SY_SJ_SK_SL_EUlSY_E1_NS1_11comp_targetILNS1_3genE3ELNS1_11target_archE908ELNS1_3gpuE7ELNS1_3repE0EEENS1_36merge_oddeven_config_static_selectorELNS0_4arch9wavefront6targetE1EEEvSK_ ; -- Begin function _ZN7rocprim17ROCPRIM_400000_NS6detail17trampoline_kernelINS0_14default_configENS1_38merge_sort_block_merge_config_selectorIaNS0_10empty_typeEEEZZNS1_27merge_sort_block_merge_implIS3_N6thrust23THRUST_200600_302600_NS6detail15normal_iteratorINS9_10device_ptrIaEEEEPS5_m14custom_greaterIaEEE10hipError_tT0_T1_T2_jT3_P12ihipStream_tbPNSt15iterator_traitsISJ_E10value_typeEPNSP_ISK_E10value_typeEPSL_NS1_7vsmem_tEENKUlT_SJ_SK_SL_E_clIPaSE_SF_SF_EESI_SY_SJ_SK_SL_EUlSY_E1_NS1_11comp_targetILNS1_3genE3ELNS1_11target_archE908ELNS1_3gpuE7ELNS1_3repE0EEENS1_36merge_oddeven_config_static_selectorELNS0_4arch9wavefront6targetE1EEEvSK_
	.globl	_ZN7rocprim17ROCPRIM_400000_NS6detail17trampoline_kernelINS0_14default_configENS1_38merge_sort_block_merge_config_selectorIaNS0_10empty_typeEEEZZNS1_27merge_sort_block_merge_implIS3_N6thrust23THRUST_200600_302600_NS6detail15normal_iteratorINS9_10device_ptrIaEEEEPS5_m14custom_greaterIaEEE10hipError_tT0_T1_T2_jT3_P12ihipStream_tbPNSt15iterator_traitsISJ_E10value_typeEPNSP_ISK_E10value_typeEPSL_NS1_7vsmem_tEENKUlT_SJ_SK_SL_E_clIPaSE_SF_SF_EESI_SY_SJ_SK_SL_EUlSY_E1_NS1_11comp_targetILNS1_3genE3ELNS1_11target_archE908ELNS1_3gpuE7ELNS1_3repE0EEENS1_36merge_oddeven_config_static_selectorELNS0_4arch9wavefront6targetE1EEEvSK_
	.p2align	8
	.type	_ZN7rocprim17ROCPRIM_400000_NS6detail17trampoline_kernelINS0_14default_configENS1_38merge_sort_block_merge_config_selectorIaNS0_10empty_typeEEEZZNS1_27merge_sort_block_merge_implIS3_N6thrust23THRUST_200600_302600_NS6detail15normal_iteratorINS9_10device_ptrIaEEEEPS5_m14custom_greaterIaEEE10hipError_tT0_T1_T2_jT3_P12ihipStream_tbPNSt15iterator_traitsISJ_E10value_typeEPNSP_ISK_E10value_typeEPSL_NS1_7vsmem_tEENKUlT_SJ_SK_SL_E_clIPaSE_SF_SF_EESI_SY_SJ_SK_SL_EUlSY_E1_NS1_11comp_targetILNS1_3genE3ELNS1_11target_archE908ELNS1_3gpuE7ELNS1_3repE0EEENS1_36merge_oddeven_config_static_selectorELNS0_4arch9wavefront6targetE1EEEvSK_,@function
_ZN7rocprim17ROCPRIM_400000_NS6detail17trampoline_kernelINS0_14default_configENS1_38merge_sort_block_merge_config_selectorIaNS0_10empty_typeEEEZZNS1_27merge_sort_block_merge_implIS3_N6thrust23THRUST_200600_302600_NS6detail15normal_iteratorINS9_10device_ptrIaEEEEPS5_m14custom_greaterIaEEE10hipError_tT0_T1_T2_jT3_P12ihipStream_tbPNSt15iterator_traitsISJ_E10value_typeEPNSP_ISK_E10value_typeEPSL_NS1_7vsmem_tEENKUlT_SJ_SK_SL_E_clIPaSE_SF_SF_EESI_SY_SJ_SK_SL_EUlSY_E1_NS1_11comp_targetILNS1_3genE3ELNS1_11target_archE908ELNS1_3gpuE7ELNS1_3repE0EEENS1_36merge_oddeven_config_static_selectorELNS0_4arch9wavefront6targetE1EEEvSK_: ; @_ZN7rocprim17ROCPRIM_400000_NS6detail17trampoline_kernelINS0_14default_configENS1_38merge_sort_block_merge_config_selectorIaNS0_10empty_typeEEEZZNS1_27merge_sort_block_merge_implIS3_N6thrust23THRUST_200600_302600_NS6detail15normal_iteratorINS9_10device_ptrIaEEEEPS5_m14custom_greaterIaEEE10hipError_tT0_T1_T2_jT3_P12ihipStream_tbPNSt15iterator_traitsISJ_E10value_typeEPNSP_ISK_E10value_typeEPSL_NS1_7vsmem_tEENKUlT_SJ_SK_SL_E_clIPaSE_SF_SF_EESI_SY_SJ_SK_SL_EUlSY_E1_NS1_11comp_targetILNS1_3genE3ELNS1_11target_archE908ELNS1_3gpuE7ELNS1_3repE0EEENS1_36merge_oddeven_config_static_selectorELNS0_4arch9wavefront6targetE1EEEvSK_
; %bb.0:
	.section	.rodata,"a",@progbits
	.p2align	6, 0x0
	.amdhsa_kernel _ZN7rocprim17ROCPRIM_400000_NS6detail17trampoline_kernelINS0_14default_configENS1_38merge_sort_block_merge_config_selectorIaNS0_10empty_typeEEEZZNS1_27merge_sort_block_merge_implIS3_N6thrust23THRUST_200600_302600_NS6detail15normal_iteratorINS9_10device_ptrIaEEEEPS5_m14custom_greaterIaEEE10hipError_tT0_T1_T2_jT3_P12ihipStream_tbPNSt15iterator_traitsISJ_E10value_typeEPNSP_ISK_E10value_typeEPSL_NS1_7vsmem_tEENKUlT_SJ_SK_SL_E_clIPaSE_SF_SF_EESI_SY_SJ_SK_SL_EUlSY_E1_NS1_11comp_targetILNS1_3genE3ELNS1_11target_archE908ELNS1_3gpuE7ELNS1_3repE0EEENS1_36merge_oddeven_config_static_selectorELNS0_4arch9wavefront6targetE1EEEvSK_
		.amdhsa_group_segment_fixed_size 0
		.amdhsa_private_segment_fixed_size 0
		.amdhsa_kernarg_size 56
		.amdhsa_user_sgpr_count 6
		.amdhsa_user_sgpr_private_segment_buffer 1
		.amdhsa_user_sgpr_dispatch_ptr 0
		.amdhsa_user_sgpr_queue_ptr 0
		.amdhsa_user_sgpr_kernarg_segment_ptr 1
		.amdhsa_user_sgpr_dispatch_id 0
		.amdhsa_user_sgpr_flat_scratch_init 0
		.amdhsa_user_sgpr_kernarg_preload_length 0
		.amdhsa_user_sgpr_kernarg_preload_offset 0
		.amdhsa_user_sgpr_private_segment_size 0
		.amdhsa_uses_dynamic_stack 0
		.amdhsa_system_sgpr_private_segment_wavefront_offset 0
		.amdhsa_system_sgpr_workgroup_id_x 1
		.amdhsa_system_sgpr_workgroup_id_y 0
		.amdhsa_system_sgpr_workgroup_id_z 0
		.amdhsa_system_sgpr_workgroup_info 0
		.amdhsa_system_vgpr_workitem_id 0
		.amdhsa_next_free_vgpr 1
		.amdhsa_next_free_sgpr 0
		.amdhsa_accum_offset 4
		.amdhsa_reserve_vcc 0
		.amdhsa_reserve_flat_scratch 0
		.amdhsa_float_round_mode_32 0
		.amdhsa_float_round_mode_16_64 0
		.amdhsa_float_denorm_mode_32 3
		.amdhsa_float_denorm_mode_16_64 3
		.amdhsa_dx10_clamp 1
		.amdhsa_ieee_mode 1
		.amdhsa_fp16_overflow 0
		.amdhsa_tg_split 0
		.amdhsa_exception_fp_ieee_invalid_op 0
		.amdhsa_exception_fp_denorm_src 0
		.amdhsa_exception_fp_ieee_div_zero 0
		.amdhsa_exception_fp_ieee_overflow 0
		.amdhsa_exception_fp_ieee_underflow 0
		.amdhsa_exception_fp_ieee_inexact 0
		.amdhsa_exception_int_div_zero 0
	.end_amdhsa_kernel
	.section	.text._ZN7rocprim17ROCPRIM_400000_NS6detail17trampoline_kernelINS0_14default_configENS1_38merge_sort_block_merge_config_selectorIaNS0_10empty_typeEEEZZNS1_27merge_sort_block_merge_implIS3_N6thrust23THRUST_200600_302600_NS6detail15normal_iteratorINS9_10device_ptrIaEEEEPS5_m14custom_greaterIaEEE10hipError_tT0_T1_T2_jT3_P12ihipStream_tbPNSt15iterator_traitsISJ_E10value_typeEPNSP_ISK_E10value_typeEPSL_NS1_7vsmem_tEENKUlT_SJ_SK_SL_E_clIPaSE_SF_SF_EESI_SY_SJ_SK_SL_EUlSY_E1_NS1_11comp_targetILNS1_3genE3ELNS1_11target_archE908ELNS1_3gpuE7ELNS1_3repE0EEENS1_36merge_oddeven_config_static_selectorELNS0_4arch9wavefront6targetE1EEEvSK_,"axG",@progbits,_ZN7rocprim17ROCPRIM_400000_NS6detail17trampoline_kernelINS0_14default_configENS1_38merge_sort_block_merge_config_selectorIaNS0_10empty_typeEEEZZNS1_27merge_sort_block_merge_implIS3_N6thrust23THRUST_200600_302600_NS6detail15normal_iteratorINS9_10device_ptrIaEEEEPS5_m14custom_greaterIaEEE10hipError_tT0_T1_T2_jT3_P12ihipStream_tbPNSt15iterator_traitsISJ_E10value_typeEPNSP_ISK_E10value_typeEPSL_NS1_7vsmem_tEENKUlT_SJ_SK_SL_E_clIPaSE_SF_SF_EESI_SY_SJ_SK_SL_EUlSY_E1_NS1_11comp_targetILNS1_3genE3ELNS1_11target_archE908ELNS1_3gpuE7ELNS1_3repE0EEENS1_36merge_oddeven_config_static_selectorELNS0_4arch9wavefront6targetE1EEEvSK_,comdat
.Lfunc_end2805:
	.size	_ZN7rocprim17ROCPRIM_400000_NS6detail17trampoline_kernelINS0_14default_configENS1_38merge_sort_block_merge_config_selectorIaNS0_10empty_typeEEEZZNS1_27merge_sort_block_merge_implIS3_N6thrust23THRUST_200600_302600_NS6detail15normal_iteratorINS9_10device_ptrIaEEEEPS5_m14custom_greaterIaEEE10hipError_tT0_T1_T2_jT3_P12ihipStream_tbPNSt15iterator_traitsISJ_E10value_typeEPNSP_ISK_E10value_typeEPSL_NS1_7vsmem_tEENKUlT_SJ_SK_SL_E_clIPaSE_SF_SF_EESI_SY_SJ_SK_SL_EUlSY_E1_NS1_11comp_targetILNS1_3genE3ELNS1_11target_archE908ELNS1_3gpuE7ELNS1_3repE0EEENS1_36merge_oddeven_config_static_selectorELNS0_4arch9wavefront6targetE1EEEvSK_, .Lfunc_end2805-_ZN7rocprim17ROCPRIM_400000_NS6detail17trampoline_kernelINS0_14default_configENS1_38merge_sort_block_merge_config_selectorIaNS0_10empty_typeEEEZZNS1_27merge_sort_block_merge_implIS3_N6thrust23THRUST_200600_302600_NS6detail15normal_iteratorINS9_10device_ptrIaEEEEPS5_m14custom_greaterIaEEE10hipError_tT0_T1_T2_jT3_P12ihipStream_tbPNSt15iterator_traitsISJ_E10value_typeEPNSP_ISK_E10value_typeEPSL_NS1_7vsmem_tEENKUlT_SJ_SK_SL_E_clIPaSE_SF_SF_EESI_SY_SJ_SK_SL_EUlSY_E1_NS1_11comp_targetILNS1_3genE3ELNS1_11target_archE908ELNS1_3gpuE7ELNS1_3repE0EEENS1_36merge_oddeven_config_static_selectorELNS0_4arch9wavefront6targetE1EEEvSK_
                                        ; -- End function
	.section	.AMDGPU.csdata,"",@progbits
; Kernel info:
; codeLenInByte = 0
; NumSgprs: 4
; NumVgprs: 0
; NumAgprs: 0
; TotalNumVgprs: 0
; ScratchSize: 0
; MemoryBound: 0
; FloatMode: 240
; IeeeMode: 1
; LDSByteSize: 0 bytes/workgroup (compile time only)
; SGPRBlocks: 0
; VGPRBlocks: 0
; NumSGPRsForWavesPerEU: 4
; NumVGPRsForWavesPerEU: 1
; AccumOffset: 4
; Occupancy: 8
; WaveLimiterHint : 0
; COMPUTE_PGM_RSRC2:SCRATCH_EN: 0
; COMPUTE_PGM_RSRC2:USER_SGPR: 6
; COMPUTE_PGM_RSRC2:TRAP_HANDLER: 0
; COMPUTE_PGM_RSRC2:TGID_X_EN: 1
; COMPUTE_PGM_RSRC2:TGID_Y_EN: 0
; COMPUTE_PGM_RSRC2:TGID_Z_EN: 0
; COMPUTE_PGM_RSRC2:TIDIG_COMP_CNT: 0
; COMPUTE_PGM_RSRC3_GFX90A:ACCUM_OFFSET: 0
; COMPUTE_PGM_RSRC3_GFX90A:TG_SPLIT: 0
	.section	.text._ZN7rocprim17ROCPRIM_400000_NS6detail17trampoline_kernelINS0_14default_configENS1_38merge_sort_block_merge_config_selectorIaNS0_10empty_typeEEEZZNS1_27merge_sort_block_merge_implIS3_N6thrust23THRUST_200600_302600_NS6detail15normal_iteratorINS9_10device_ptrIaEEEEPS5_m14custom_greaterIaEEE10hipError_tT0_T1_T2_jT3_P12ihipStream_tbPNSt15iterator_traitsISJ_E10value_typeEPNSP_ISK_E10value_typeEPSL_NS1_7vsmem_tEENKUlT_SJ_SK_SL_E_clIPaSE_SF_SF_EESI_SY_SJ_SK_SL_EUlSY_E1_NS1_11comp_targetILNS1_3genE2ELNS1_11target_archE906ELNS1_3gpuE6ELNS1_3repE0EEENS1_36merge_oddeven_config_static_selectorELNS0_4arch9wavefront6targetE1EEEvSK_,"axG",@progbits,_ZN7rocprim17ROCPRIM_400000_NS6detail17trampoline_kernelINS0_14default_configENS1_38merge_sort_block_merge_config_selectorIaNS0_10empty_typeEEEZZNS1_27merge_sort_block_merge_implIS3_N6thrust23THRUST_200600_302600_NS6detail15normal_iteratorINS9_10device_ptrIaEEEEPS5_m14custom_greaterIaEEE10hipError_tT0_T1_T2_jT3_P12ihipStream_tbPNSt15iterator_traitsISJ_E10value_typeEPNSP_ISK_E10value_typeEPSL_NS1_7vsmem_tEENKUlT_SJ_SK_SL_E_clIPaSE_SF_SF_EESI_SY_SJ_SK_SL_EUlSY_E1_NS1_11comp_targetILNS1_3genE2ELNS1_11target_archE906ELNS1_3gpuE6ELNS1_3repE0EEENS1_36merge_oddeven_config_static_selectorELNS0_4arch9wavefront6targetE1EEEvSK_,comdat
	.protected	_ZN7rocprim17ROCPRIM_400000_NS6detail17trampoline_kernelINS0_14default_configENS1_38merge_sort_block_merge_config_selectorIaNS0_10empty_typeEEEZZNS1_27merge_sort_block_merge_implIS3_N6thrust23THRUST_200600_302600_NS6detail15normal_iteratorINS9_10device_ptrIaEEEEPS5_m14custom_greaterIaEEE10hipError_tT0_T1_T2_jT3_P12ihipStream_tbPNSt15iterator_traitsISJ_E10value_typeEPNSP_ISK_E10value_typeEPSL_NS1_7vsmem_tEENKUlT_SJ_SK_SL_E_clIPaSE_SF_SF_EESI_SY_SJ_SK_SL_EUlSY_E1_NS1_11comp_targetILNS1_3genE2ELNS1_11target_archE906ELNS1_3gpuE6ELNS1_3repE0EEENS1_36merge_oddeven_config_static_selectorELNS0_4arch9wavefront6targetE1EEEvSK_ ; -- Begin function _ZN7rocprim17ROCPRIM_400000_NS6detail17trampoline_kernelINS0_14default_configENS1_38merge_sort_block_merge_config_selectorIaNS0_10empty_typeEEEZZNS1_27merge_sort_block_merge_implIS3_N6thrust23THRUST_200600_302600_NS6detail15normal_iteratorINS9_10device_ptrIaEEEEPS5_m14custom_greaterIaEEE10hipError_tT0_T1_T2_jT3_P12ihipStream_tbPNSt15iterator_traitsISJ_E10value_typeEPNSP_ISK_E10value_typeEPSL_NS1_7vsmem_tEENKUlT_SJ_SK_SL_E_clIPaSE_SF_SF_EESI_SY_SJ_SK_SL_EUlSY_E1_NS1_11comp_targetILNS1_3genE2ELNS1_11target_archE906ELNS1_3gpuE6ELNS1_3repE0EEENS1_36merge_oddeven_config_static_selectorELNS0_4arch9wavefront6targetE1EEEvSK_
	.globl	_ZN7rocprim17ROCPRIM_400000_NS6detail17trampoline_kernelINS0_14default_configENS1_38merge_sort_block_merge_config_selectorIaNS0_10empty_typeEEEZZNS1_27merge_sort_block_merge_implIS3_N6thrust23THRUST_200600_302600_NS6detail15normal_iteratorINS9_10device_ptrIaEEEEPS5_m14custom_greaterIaEEE10hipError_tT0_T1_T2_jT3_P12ihipStream_tbPNSt15iterator_traitsISJ_E10value_typeEPNSP_ISK_E10value_typeEPSL_NS1_7vsmem_tEENKUlT_SJ_SK_SL_E_clIPaSE_SF_SF_EESI_SY_SJ_SK_SL_EUlSY_E1_NS1_11comp_targetILNS1_3genE2ELNS1_11target_archE906ELNS1_3gpuE6ELNS1_3repE0EEENS1_36merge_oddeven_config_static_selectorELNS0_4arch9wavefront6targetE1EEEvSK_
	.p2align	8
	.type	_ZN7rocprim17ROCPRIM_400000_NS6detail17trampoline_kernelINS0_14default_configENS1_38merge_sort_block_merge_config_selectorIaNS0_10empty_typeEEEZZNS1_27merge_sort_block_merge_implIS3_N6thrust23THRUST_200600_302600_NS6detail15normal_iteratorINS9_10device_ptrIaEEEEPS5_m14custom_greaterIaEEE10hipError_tT0_T1_T2_jT3_P12ihipStream_tbPNSt15iterator_traitsISJ_E10value_typeEPNSP_ISK_E10value_typeEPSL_NS1_7vsmem_tEENKUlT_SJ_SK_SL_E_clIPaSE_SF_SF_EESI_SY_SJ_SK_SL_EUlSY_E1_NS1_11comp_targetILNS1_3genE2ELNS1_11target_archE906ELNS1_3gpuE6ELNS1_3repE0EEENS1_36merge_oddeven_config_static_selectorELNS0_4arch9wavefront6targetE1EEEvSK_,@function
_ZN7rocprim17ROCPRIM_400000_NS6detail17trampoline_kernelINS0_14default_configENS1_38merge_sort_block_merge_config_selectorIaNS0_10empty_typeEEEZZNS1_27merge_sort_block_merge_implIS3_N6thrust23THRUST_200600_302600_NS6detail15normal_iteratorINS9_10device_ptrIaEEEEPS5_m14custom_greaterIaEEE10hipError_tT0_T1_T2_jT3_P12ihipStream_tbPNSt15iterator_traitsISJ_E10value_typeEPNSP_ISK_E10value_typeEPSL_NS1_7vsmem_tEENKUlT_SJ_SK_SL_E_clIPaSE_SF_SF_EESI_SY_SJ_SK_SL_EUlSY_E1_NS1_11comp_targetILNS1_3genE2ELNS1_11target_archE906ELNS1_3gpuE6ELNS1_3repE0EEENS1_36merge_oddeven_config_static_selectorELNS0_4arch9wavefront6targetE1EEEvSK_: ; @_ZN7rocprim17ROCPRIM_400000_NS6detail17trampoline_kernelINS0_14default_configENS1_38merge_sort_block_merge_config_selectorIaNS0_10empty_typeEEEZZNS1_27merge_sort_block_merge_implIS3_N6thrust23THRUST_200600_302600_NS6detail15normal_iteratorINS9_10device_ptrIaEEEEPS5_m14custom_greaterIaEEE10hipError_tT0_T1_T2_jT3_P12ihipStream_tbPNSt15iterator_traitsISJ_E10value_typeEPNSP_ISK_E10value_typeEPSL_NS1_7vsmem_tEENKUlT_SJ_SK_SL_E_clIPaSE_SF_SF_EESI_SY_SJ_SK_SL_EUlSY_E1_NS1_11comp_targetILNS1_3genE2ELNS1_11target_archE906ELNS1_3gpuE6ELNS1_3repE0EEENS1_36merge_oddeven_config_static_selectorELNS0_4arch9wavefront6targetE1EEEvSK_
; %bb.0:
	.section	.rodata,"a",@progbits
	.p2align	6, 0x0
	.amdhsa_kernel _ZN7rocprim17ROCPRIM_400000_NS6detail17trampoline_kernelINS0_14default_configENS1_38merge_sort_block_merge_config_selectorIaNS0_10empty_typeEEEZZNS1_27merge_sort_block_merge_implIS3_N6thrust23THRUST_200600_302600_NS6detail15normal_iteratorINS9_10device_ptrIaEEEEPS5_m14custom_greaterIaEEE10hipError_tT0_T1_T2_jT3_P12ihipStream_tbPNSt15iterator_traitsISJ_E10value_typeEPNSP_ISK_E10value_typeEPSL_NS1_7vsmem_tEENKUlT_SJ_SK_SL_E_clIPaSE_SF_SF_EESI_SY_SJ_SK_SL_EUlSY_E1_NS1_11comp_targetILNS1_3genE2ELNS1_11target_archE906ELNS1_3gpuE6ELNS1_3repE0EEENS1_36merge_oddeven_config_static_selectorELNS0_4arch9wavefront6targetE1EEEvSK_
		.amdhsa_group_segment_fixed_size 0
		.amdhsa_private_segment_fixed_size 0
		.amdhsa_kernarg_size 56
		.amdhsa_user_sgpr_count 6
		.amdhsa_user_sgpr_private_segment_buffer 1
		.amdhsa_user_sgpr_dispatch_ptr 0
		.amdhsa_user_sgpr_queue_ptr 0
		.amdhsa_user_sgpr_kernarg_segment_ptr 1
		.amdhsa_user_sgpr_dispatch_id 0
		.amdhsa_user_sgpr_flat_scratch_init 0
		.amdhsa_user_sgpr_kernarg_preload_length 0
		.amdhsa_user_sgpr_kernarg_preload_offset 0
		.amdhsa_user_sgpr_private_segment_size 0
		.amdhsa_uses_dynamic_stack 0
		.amdhsa_system_sgpr_private_segment_wavefront_offset 0
		.amdhsa_system_sgpr_workgroup_id_x 1
		.amdhsa_system_sgpr_workgroup_id_y 0
		.amdhsa_system_sgpr_workgroup_id_z 0
		.amdhsa_system_sgpr_workgroup_info 0
		.amdhsa_system_vgpr_workitem_id 0
		.amdhsa_next_free_vgpr 1
		.amdhsa_next_free_sgpr 0
		.amdhsa_accum_offset 4
		.amdhsa_reserve_vcc 0
		.amdhsa_reserve_flat_scratch 0
		.amdhsa_float_round_mode_32 0
		.amdhsa_float_round_mode_16_64 0
		.amdhsa_float_denorm_mode_32 3
		.amdhsa_float_denorm_mode_16_64 3
		.amdhsa_dx10_clamp 1
		.amdhsa_ieee_mode 1
		.amdhsa_fp16_overflow 0
		.amdhsa_tg_split 0
		.amdhsa_exception_fp_ieee_invalid_op 0
		.amdhsa_exception_fp_denorm_src 0
		.amdhsa_exception_fp_ieee_div_zero 0
		.amdhsa_exception_fp_ieee_overflow 0
		.amdhsa_exception_fp_ieee_underflow 0
		.amdhsa_exception_fp_ieee_inexact 0
		.amdhsa_exception_int_div_zero 0
	.end_amdhsa_kernel
	.section	.text._ZN7rocprim17ROCPRIM_400000_NS6detail17trampoline_kernelINS0_14default_configENS1_38merge_sort_block_merge_config_selectorIaNS0_10empty_typeEEEZZNS1_27merge_sort_block_merge_implIS3_N6thrust23THRUST_200600_302600_NS6detail15normal_iteratorINS9_10device_ptrIaEEEEPS5_m14custom_greaterIaEEE10hipError_tT0_T1_T2_jT3_P12ihipStream_tbPNSt15iterator_traitsISJ_E10value_typeEPNSP_ISK_E10value_typeEPSL_NS1_7vsmem_tEENKUlT_SJ_SK_SL_E_clIPaSE_SF_SF_EESI_SY_SJ_SK_SL_EUlSY_E1_NS1_11comp_targetILNS1_3genE2ELNS1_11target_archE906ELNS1_3gpuE6ELNS1_3repE0EEENS1_36merge_oddeven_config_static_selectorELNS0_4arch9wavefront6targetE1EEEvSK_,"axG",@progbits,_ZN7rocprim17ROCPRIM_400000_NS6detail17trampoline_kernelINS0_14default_configENS1_38merge_sort_block_merge_config_selectorIaNS0_10empty_typeEEEZZNS1_27merge_sort_block_merge_implIS3_N6thrust23THRUST_200600_302600_NS6detail15normal_iteratorINS9_10device_ptrIaEEEEPS5_m14custom_greaterIaEEE10hipError_tT0_T1_T2_jT3_P12ihipStream_tbPNSt15iterator_traitsISJ_E10value_typeEPNSP_ISK_E10value_typeEPSL_NS1_7vsmem_tEENKUlT_SJ_SK_SL_E_clIPaSE_SF_SF_EESI_SY_SJ_SK_SL_EUlSY_E1_NS1_11comp_targetILNS1_3genE2ELNS1_11target_archE906ELNS1_3gpuE6ELNS1_3repE0EEENS1_36merge_oddeven_config_static_selectorELNS0_4arch9wavefront6targetE1EEEvSK_,comdat
.Lfunc_end2806:
	.size	_ZN7rocprim17ROCPRIM_400000_NS6detail17trampoline_kernelINS0_14default_configENS1_38merge_sort_block_merge_config_selectorIaNS0_10empty_typeEEEZZNS1_27merge_sort_block_merge_implIS3_N6thrust23THRUST_200600_302600_NS6detail15normal_iteratorINS9_10device_ptrIaEEEEPS5_m14custom_greaterIaEEE10hipError_tT0_T1_T2_jT3_P12ihipStream_tbPNSt15iterator_traitsISJ_E10value_typeEPNSP_ISK_E10value_typeEPSL_NS1_7vsmem_tEENKUlT_SJ_SK_SL_E_clIPaSE_SF_SF_EESI_SY_SJ_SK_SL_EUlSY_E1_NS1_11comp_targetILNS1_3genE2ELNS1_11target_archE906ELNS1_3gpuE6ELNS1_3repE0EEENS1_36merge_oddeven_config_static_selectorELNS0_4arch9wavefront6targetE1EEEvSK_, .Lfunc_end2806-_ZN7rocprim17ROCPRIM_400000_NS6detail17trampoline_kernelINS0_14default_configENS1_38merge_sort_block_merge_config_selectorIaNS0_10empty_typeEEEZZNS1_27merge_sort_block_merge_implIS3_N6thrust23THRUST_200600_302600_NS6detail15normal_iteratorINS9_10device_ptrIaEEEEPS5_m14custom_greaterIaEEE10hipError_tT0_T1_T2_jT3_P12ihipStream_tbPNSt15iterator_traitsISJ_E10value_typeEPNSP_ISK_E10value_typeEPSL_NS1_7vsmem_tEENKUlT_SJ_SK_SL_E_clIPaSE_SF_SF_EESI_SY_SJ_SK_SL_EUlSY_E1_NS1_11comp_targetILNS1_3genE2ELNS1_11target_archE906ELNS1_3gpuE6ELNS1_3repE0EEENS1_36merge_oddeven_config_static_selectorELNS0_4arch9wavefront6targetE1EEEvSK_
                                        ; -- End function
	.section	.AMDGPU.csdata,"",@progbits
; Kernel info:
; codeLenInByte = 0
; NumSgprs: 4
; NumVgprs: 0
; NumAgprs: 0
; TotalNumVgprs: 0
; ScratchSize: 0
; MemoryBound: 0
; FloatMode: 240
; IeeeMode: 1
; LDSByteSize: 0 bytes/workgroup (compile time only)
; SGPRBlocks: 0
; VGPRBlocks: 0
; NumSGPRsForWavesPerEU: 4
; NumVGPRsForWavesPerEU: 1
; AccumOffset: 4
; Occupancy: 8
; WaveLimiterHint : 0
; COMPUTE_PGM_RSRC2:SCRATCH_EN: 0
; COMPUTE_PGM_RSRC2:USER_SGPR: 6
; COMPUTE_PGM_RSRC2:TRAP_HANDLER: 0
; COMPUTE_PGM_RSRC2:TGID_X_EN: 1
; COMPUTE_PGM_RSRC2:TGID_Y_EN: 0
; COMPUTE_PGM_RSRC2:TGID_Z_EN: 0
; COMPUTE_PGM_RSRC2:TIDIG_COMP_CNT: 0
; COMPUTE_PGM_RSRC3_GFX90A:ACCUM_OFFSET: 0
; COMPUTE_PGM_RSRC3_GFX90A:TG_SPLIT: 0
	.section	.text._ZN7rocprim17ROCPRIM_400000_NS6detail17trampoline_kernelINS0_14default_configENS1_38merge_sort_block_merge_config_selectorIaNS0_10empty_typeEEEZZNS1_27merge_sort_block_merge_implIS3_N6thrust23THRUST_200600_302600_NS6detail15normal_iteratorINS9_10device_ptrIaEEEEPS5_m14custom_greaterIaEEE10hipError_tT0_T1_T2_jT3_P12ihipStream_tbPNSt15iterator_traitsISJ_E10value_typeEPNSP_ISK_E10value_typeEPSL_NS1_7vsmem_tEENKUlT_SJ_SK_SL_E_clIPaSE_SF_SF_EESI_SY_SJ_SK_SL_EUlSY_E1_NS1_11comp_targetILNS1_3genE9ELNS1_11target_archE1100ELNS1_3gpuE3ELNS1_3repE0EEENS1_36merge_oddeven_config_static_selectorELNS0_4arch9wavefront6targetE1EEEvSK_,"axG",@progbits,_ZN7rocprim17ROCPRIM_400000_NS6detail17trampoline_kernelINS0_14default_configENS1_38merge_sort_block_merge_config_selectorIaNS0_10empty_typeEEEZZNS1_27merge_sort_block_merge_implIS3_N6thrust23THRUST_200600_302600_NS6detail15normal_iteratorINS9_10device_ptrIaEEEEPS5_m14custom_greaterIaEEE10hipError_tT0_T1_T2_jT3_P12ihipStream_tbPNSt15iterator_traitsISJ_E10value_typeEPNSP_ISK_E10value_typeEPSL_NS1_7vsmem_tEENKUlT_SJ_SK_SL_E_clIPaSE_SF_SF_EESI_SY_SJ_SK_SL_EUlSY_E1_NS1_11comp_targetILNS1_3genE9ELNS1_11target_archE1100ELNS1_3gpuE3ELNS1_3repE0EEENS1_36merge_oddeven_config_static_selectorELNS0_4arch9wavefront6targetE1EEEvSK_,comdat
	.protected	_ZN7rocprim17ROCPRIM_400000_NS6detail17trampoline_kernelINS0_14default_configENS1_38merge_sort_block_merge_config_selectorIaNS0_10empty_typeEEEZZNS1_27merge_sort_block_merge_implIS3_N6thrust23THRUST_200600_302600_NS6detail15normal_iteratorINS9_10device_ptrIaEEEEPS5_m14custom_greaterIaEEE10hipError_tT0_T1_T2_jT3_P12ihipStream_tbPNSt15iterator_traitsISJ_E10value_typeEPNSP_ISK_E10value_typeEPSL_NS1_7vsmem_tEENKUlT_SJ_SK_SL_E_clIPaSE_SF_SF_EESI_SY_SJ_SK_SL_EUlSY_E1_NS1_11comp_targetILNS1_3genE9ELNS1_11target_archE1100ELNS1_3gpuE3ELNS1_3repE0EEENS1_36merge_oddeven_config_static_selectorELNS0_4arch9wavefront6targetE1EEEvSK_ ; -- Begin function _ZN7rocprim17ROCPRIM_400000_NS6detail17trampoline_kernelINS0_14default_configENS1_38merge_sort_block_merge_config_selectorIaNS0_10empty_typeEEEZZNS1_27merge_sort_block_merge_implIS3_N6thrust23THRUST_200600_302600_NS6detail15normal_iteratorINS9_10device_ptrIaEEEEPS5_m14custom_greaterIaEEE10hipError_tT0_T1_T2_jT3_P12ihipStream_tbPNSt15iterator_traitsISJ_E10value_typeEPNSP_ISK_E10value_typeEPSL_NS1_7vsmem_tEENKUlT_SJ_SK_SL_E_clIPaSE_SF_SF_EESI_SY_SJ_SK_SL_EUlSY_E1_NS1_11comp_targetILNS1_3genE9ELNS1_11target_archE1100ELNS1_3gpuE3ELNS1_3repE0EEENS1_36merge_oddeven_config_static_selectorELNS0_4arch9wavefront6targetE1EEEvSK_
	.globl	_ZN7rocprim17ROCPRIM_400000_NS6detail17trampoline_kernelINS0_14default_configENS1_38merge_sort_block_merge_config_selectorIaNS0_10empty_typeEEEZZNS1_27merge_sort_block_merge_implIS3_N6thrust23THRUST_200600_302600_NS6detail15normal_iteratorINS9_10device_ptrIaEEEEPS5_m14custom_greaterIaEEE10hipError_tT0_T1_T2_jT3_P12ihipStream_tbPNSt15iterator_traitsISJ_E10value_typeEPNSP_ISK_E10value_typeEPSL_NS1_7vsmem_tEENKUlT_SJ_SK_SL_E_clIPaSE_SF_SF_EESI_SY_SJ_SK_SL_EUlSY_E1_NS1_11comp_targetILNS1_3genE9ELNS1_11target_archE1100ELNS1_3gpuE3ELNS1_3repE0EEENS1_36merge_oddeven_config_static_selectorELNS0_4arch9wavefront6targetE1EEEvSK_
	.p2align	8
	.type	_ZN7rocprim17ROCPRIM_400000_NS6detail17trampoline_kernelINS0_14default_configENS1_38merge_sort_block_merge_config_selectorIaNS0_10empty_typeEEEZZNS1_27merge_sort_block_merge_implIS3_N6thrust23THRUST_200600_302600_NS6detail15normal_iteratorINS9_10device_ptrIaEEEEPS5_m14custom_greaterIaEEE10hipError_tT0_T1_T2_jT3_P12ihipStream_tbPNSt15iterator_traitsISJ_E10value_typeEPNSP_ISK_E10value_typeEPSL_NS1_7vsmem_tEENKUlT_SJ_SK_SL_E_clIPaSE_SF_SF_EESI_SY_SJ_SK_SL_EUlSY_E1_NS1_11comp_targetILNS1_3genE9ELNS1_11target_archE1100ELNS1_3gpuE3ELNS1_3repE0EEENS1_36merge_oddeven_config_static_selectorELNS0_4arch9wavefront6targetE1EEEvSK_,@function
_ZN7rocprim17ROCPRIM_400000_NS6detail17trampoline_kernelINS0_14default_configENS1_38merge_sort_block_merge_config_selectorIaNS0_10empty_typeEEEZZNS1_27merge_sort_block_merge_implIS3_N6thrust23THRUST_200600_302600_NS6detail15normal_iteratorINS9_10device_ptrIaEEEEPS5_m14custom_greaterIaEEE10hipError_tT0_T1_T2_jT3_P12ihipStream_tbPNSt15iterator_traitsISJ_E10value_typeEPNSP_ISK_E10value_typeEPSL_NS1_7vsmem_tEENKUlT_SJ_SK_SL_E_clIPaSE_SF_SF_EESI_SY_SJ_SK_SL_EUlSY_E1_NS1_11comp_targetILNS1_3genE9ELNS1_11target_archE1100ELNS1_3gpuE3ELNS1_3repE0EEENS1_36merge_oddeven_config_static_selectorELNS0_4arch9wavefront6targetE1EEEvSK_: ; @_ZN7rocprim17ROCPRIM_400000_NS6detail17trampoline_kernelINS0_14default_configENS1_38merge_sort_block_merge_config_selectorIaNS0_10empty_typeEEEZZNS1_27merge_sort_block_merge_implIS3_N6thrust23THRUST_200600_302600_NS6detail15normal_iteratorINS9_10device_ptrIaEEEEPS5_m14custom_greaterIaEEE10hipError_tT0_T1_T2_jT3_P12ihipStream_tbPNSt15iterator_traitsISJ_E10value_typeEPNSP_ISK_E10value_typeEPSL_NS1_7vsmem_tEENKUlT_SJ_SK_SL_E_clIPaSE_SF_SF_EESI_SY_SJ_SK_SL_EUlSY_E1_NS1_11comp_targetILNS1_3genE9ELNS1_11target_archE1100ELNS1_3gpuE3ELNS1_3repE0EEENS1_36merge_oddeven_config_static_selectorELNS0_4arch9wavefront6targetE1EEEvSK_
; %bb.0:
	.section	.rodata,"a",@progbits
	.p2align	6, 0x0
	.amdhsa_kernel _ZN7rocprim17ROCPRIM_400000_NS6detail17trampoline_kernelINS0_14default_configENS1_38merge_sort_block_merge_config_selectorIaNS0_10empty_typeEEEZZNS1_27merge_sort_block_merge_implIS3_N6thrust23THRUST_200600_302600_NS6detail15normal_iteratorINS9_10device_ptrIaEEEEPS5_m14custom_greaterIaEEE10hipError_tT0_T1_T2_jT3_P12ihipStream_tbPNSt15iterator_traitsISJ_E10value_typeEPNSP_ISK_E10value_typeEPSL_NS1_7vsmem_tEENKUlT_SJ_SK_SL_E_clIPaSE_SF_SF_EESI_SY_SJ_SK_SL_EUlSY_E1_NS1_11comp_targetILNS1_3genE9ELNS1_11target_archE1100ELNS1_3gpuE3ELNS1_3repE0EEENS1_36merge_oddeven_config_static_selectorELNS0_4arch9wavefront6targetE1EEEvSK_
		.amdhsa_group_segment_fixed_size 0
		.amdhsa_private_segment_fixed_size 0
		.amdhsa_kernarg_size 56
		.amdhsa_user_sgpr_count 6
		.amdhsa_user_sgpr_private_segment_buffer 1
		.amdhsa_user_sgpr_dispatch_ptr 0
		.amdhsa_user_sgpr_queue_ptr 0
		.amdhsa_user_sgpr_kernarg_segment_ptr 1
		.amdhsa_user_sgpr_dispatch_id 0
		.amdhsa_user_sgpr_flat_scratch_init 0
		.amdhsa_user_sgpr_kernarg_preload_length 0
		.amdhsa_user_sgpr_kernarg_preload_offset 0
		.amdhsa_user_sgpr_private_segment_size 0
		.amdhsa_uses_dynamic_stack 0
		.amdhsa_system_sgpr_private_segment_wavefront_offset 0
		.amdhsa_system_sgpr_workgroup_id_x 1
		.amdhsa_system_sgpr_workgroup_id_y 0
		.amdhsa_system_sgpr_workgroup_id_z 0
		.amdhsa_system_sgpr_workgroup_info 0
		.amdhsa_system_vgpr_workitem_id 0
		.amdhsa_next_free_vgpr 1
		.amdhsa_next_free_sgpr 0
		.amdhsa_accum_offset 4
		.amdhsa_reserve_vcc 0
		.amdhsa_reserve_flat_scratch 0
		.amdhsa_float_round_mode_32 0
		.amdhsa_float_round_mode_16_64 0
		.amdhsa_float_denorm_mode_32 3
		.amdhsa_float_denorm_mode_16_64 3
		.amdhsa_dx10_clamp 1
		.amdhsa_ieee_mode 1
		.amdhsa_fp16_overflow 0
		.amdhsa_tg_split 0
		.amdhsa_exception_fp_ieee_invalid_op 0
		.amdhsa_exception_fp_denorm_src 0
		.amdhsa_exception_fp_ieee_div_zero 0
		.amdhsa_exception_fp_ieee_overflow 0
		.amdhsa_exception_fp_ieee_underflow 0
		.amdhsa_exception_fp_ieee_inexact 0
		.amdhsa_exception_int_div_zero 0
	.end_amdhsa_kernel
	.section	.text._ZN7rocprim17ROCPRIM_400000_NS6detail17trampoline_kernelINS0_14default_configENS1_38merge_sort_block_merge_config_selectorIaNS0_10empty_typeEEEZZNS1_27merge_sort_block_merge_implIS3_N6thrust23THRUST_200600_302600_NS6detail15normal_iteratorINS9_10device_ptrIaEEEEPS5_m14custom_greaterIaEEE10hipError_tT0_T1_T2_jT3_P12ihipStream_tbPNSt15iterator_traitsISJ_E10value_typeEPNSP_ISK_E10value_typeEPSL_NS1_7vsmem_tEENKUlT_SJ_SK_SL_E_clIPaSE_SF_SF_EESI_SY_SJ_SK_SL_EUlSY_E1_NS1_11comp_targetILNS1_3genE9ELNS1_11target_archE1100ELNS1_3gpuE3ELNS1_3repE0EEENS1_36merge_oddeven_config_static_selectorELNS0_4arch9wavefront6targetE1EEEvSK_,"axG",@progbits,_ZN7rocprim17ROCPRIM_400000_NS6detail17trampoline_kernelINS0_14default_configENS1_38merge_sort_block_merge_config_selectorIaNS0_10empty_typeEEEZZNS1_27merge_sort_block_merge_implIS3_N6thrust23THRUST_200600_302600_NS6detail15normal_iteratorINS9_10device_ptrIaEEEEPS5_m14custom_greaterIaEEE10hipError_tT0_T1_T2_jT3_P12ihipStream_tbPNSt15iterator_traitsISJ_E10value_typeEPNSP_ISK_E10value_typeEPSL_NS1_7vsmem_tEENKUlT_SJ_SK_SL_E_clIPaSE_SF_SF_EESI_SY_SJ_SK_SL_EUlSY_E1_NS1_11comp_targetILNS1_3genE9ELNS1_11target_archE1100ELNS1_3gpuE3ELNS1_3repE0EEENS1_36merge_oddeven_config_static_selectorELNS0_4arch9wavefront6targetE1EEEvSK_,comdat
.Lfunc_end2807:
	.size	_ZN7rocprim17ROCPRIM_400000_NS6detail17trampoline_kernelINS0_14default_configENS1_38merge_sort_block_merge_config_selectorIaNS0_10empty_typeEEEZZNS1_27merge_sort_block_merge_implIS3_N6thrust23THRUST_200600_302600_NS6detail15normal_iteratorINS9_10device_ptrIaEEEEPS5_m14custom_greaterIaEEE10hipError_tT0_T1_T2_jT3_P12ihipStream_tbPNSt15iterator_traitsISJ_E10value_typeEPNSP_ISK_E10value_typeEPSL_NS1_7vsmem_tEENKUlT_SJ_SK_SL_E_clIPaSE_SF_SF_EESI_SY_SJ_SK_SL_EUlSY_E1_NS1_11comp_targetILNS1_3genE9ELNS1_11target_archE1100ELNS1_3gpuE3ELNS1_3repE0EEENS1_36merge_oddeven_config_static_selectorELNS0_4arch9wavefront6targetE1EEEvSK_, .Lfunc_end2807-_ZN7rocprim17ROCPRIM_400000_NS6detail17trampoline_kernelINS0_14default_configENS1_38merge_sort_block_merge_config_selectorIaNS0_10empty_typeEEEZZNS1_27merge_sort_block_merge_implIS3_N6thrust23THRUST_200600_302600_NS6detail15normal_iteratorINS9_10device_ptrIaEEEEPS5_m14custom_greaterIaEEE10hipError_tT0_T1_T2_jT3_P12ihipStream_tbPNSt15iterator_traitsISJ_E10value_typeEPNSP_ISK_E10value_typeEPSL_NS1_7vsmem_tEENKUlT_SJ_SK_SL_E_clIPaSE_SF_SF_EESI_SY_SJ_SK_SL_EUlSY_E1_NS1_11comp_targetILNS1_3genE9ELNS1_11target_archE1100ELNS1_3gpuE3ELNS1_3repE0EEENS1_36merge_oddeven_config_static_selectorELNS0_4arch9wavefront6targetE1EEEvSK_
                                        ; -- End function
	.section	.AMDGPU.csdata,"",@progbits
; Kernel info:
; codeLenInByte = 0
; NumSgprs: 4
; NumVgprs: 0
; NumAgprs: 0
; TotalNumVgprs: 0
; ScratchSize: 0
; MemoryBound: 0
; FloatMode: 240
; IeeeMode: 1
; LDSByteSize: 0 bytes/workgroup (compile time only)
; SGPRBlocks: 0
; VGPRBlocks: 0
; NumSGPRsForWavesPerEU: 4
; NumVGPRsForWavesPerEU: 1
; AccumOffset: 4
; Occupancy: 8
; WaveLimiterHint : 0
; COMPUTE_PGM_RSRC2:SCRATCH_EN: 0
; COMPUTE_PGM_RSRC2:USER_SGPR: 6
; COMPUTE_PGM_RSRC2:TRAP_HANDLER: 0
; COMPUTE_PGM_RSRC2:TGID_X_EN: 1
; COMPUTE_PGM_RSRC2:TGID_Y_EN: 0
; COMPUTE_PGM_RSRC2:TGID_Z_EN: 0
; COMPUTE_PGM_RSRC2:TIDIG_COMP_CNT: 0
; COMPUTE_PGM_RSRC3_GFX90A:ACCUM_OFFSET: 0
; COMPUTE_PGM_RSRC3_GFX90A:TG_SPLIT: 0
	.section	.text._ZN7rocprim17ROCPRIM_400000_NS6detail17trampoline_kernelINS0_14default_configENS1_38merge_sort_block_merge_config_selectorIaNS0_10empty_typeEEEZZNS1_27merge_sort_block_merge_implIS3_N6thrust23THRUST_200600_302600_NS6detail15normal_iteratorINS9_10device_ptrIaEEEEPS5_m14custom_greaterIaEEE10hipError_tT0_T1_T2_jT3_P12ihipStream_tbPNSt15iterator_traitsISJ_E10value_typeEPNSP_ISK_E10value_typeEPSL_NS1_7vsmem_tEENKUlT_SJ_SK_SL_E_clIPaSE_SF_SF_EESI_SY_SJ_SK_SL_EUlSY_E1_NS1_11comp_targetILNS1_3genE8ELNS1_11target_archE1030ELNS1_3gpuE2ELNS1_3repE0EEENS1_36merge_oddeven_config_static_selectorELNS0_4arch9wavefront6targetE1EEEvSK_,"axG",@progbits,_ZN7rocprim17ROCPRIM_400000_NS6detail17trampoline_kernelINS0_14default_configENS1_38merge_sort_block_merge_config_selectorIaNS0_10empty_typeEEEZZNS1_27merge_sort_block_merge_implIS3_N6thrust23THRUST_200600_302600_NS6detail15normal_iteratorINS9_10device_ptrIaEEEEPS5_m14custom_greaterIaEEE10hipError_tT0_T1_T2_jT3_P12ihipStream_tbPNSt15iterator_traitsISJ_E10value_typeEPNSP_ISK_E10value_typeEPSL_NS1_7vsmem_tEENKUlT_SJ_SK_SL_E_clIPaSE_SF_SF_EESI_SY_SJ_SK_SL_EUlSY_E1_NS1_11comp_targetILNS1_3genE8ELNS1_11target_archE1030ELNS1_3gpuE2ELNS1_3repE0EEENS1_36merge_oddeven_config_static_selectorELNS0_4arch9wavefront6targetE1EEEvSK_,comdat
	.protected	_ZN7rocprim17ROCPRIM_400000_NS6detail17trampoline_kernelINS0_14default_configENS1_38merge_sort_block_merge_config_selectorIaNS0_10empty_typeEEEZZNS1_27merge_sort_block_merge_implIS3_N6thrust23THRUST_200600_302600_NS6detail15normal_iteratorINS9_10device_ptrIaEEEEPS5_m14custom_greaterIaEEE10hipError_tT0_T1_T2_jT3_P12ihipStream_tbPNSt15iterator_traitsISJ_E10value_typeEPNSP_ISK_E10value_typeEPSL_NS1_7vsmem_tEENKUlT_SJ_SK_SL_E_clIPaSE_SF_SF_EESI_SY_SJ_SK_SL_EUlSY_E1_NS1_11comp_targetILNS1_3genE8ELNS1_11target_archE1030ELNS1_3gpuE2ELNS1_3repE0EEENS1_36merge_oddeven_config_static_selectorELNS0_4arch9wavefront6targetE1EEEvSK_ ; -- Begin function _ZN7rocprim17ROCPRIM_400000_NS6detail17trampoline_kernelINS0_14default_configENS1_38merge_sort_block_merge_config_selectorIaNS0_10empty_typeEEEZZNS1_27merge_sort_block_merge_implIS3_N6thrust23THRUST_200600_302600_NS6detail15normal_iteratorINS9_10device_ptrIaEEEEPS5_m14custom_greaterIaEEE10hipError_tT0_T1_T2_jT3_P12ihipStream_tbPNSt15iterator_traitsISJ_E10value_typeEPNSP_ISK_E10value_typeEPSL_NS1_7vsmem_tEENKUlT_SJ_SK_SL_E_clIPaSE_SF_SF_EESI_SY_SJ_SK_SL_EUlSY_E1_NS1_11comp_targetILNS1_3genE8ELNS1_11target_archE1030ELNS1_3gpuE2ELNS1_3repE0EEENS1_36merge_oddeven_config_static_selectorELNS0_4arch9wavefront6targetE1EEEvSK_
	.globl	_ZN7rocprim17ROCPRIM_400000_NS6detail17trampoline_kernelINS0_14default_configENS1_38merge_sort_block_merge_config_selectorIaNS0_10empty_typeEEEZZNS1_27merge_sort_block_merge_implIS3_N6thrust23THRUST_200600_302600_NS6detail15normal_iteratorINS9_10device_ptrIaEEEEPS5_m14custom_greaterIaEEE10hipError_tT0_T1_T2_jT3_P12ihipStream_tbPNSt15iterator_traitsISJ_E10value_typeEPNSP_ISK_E10value_typeEPSL_NS1_7vsmem_tEENKUlT_SJ_SK_SL_E_clIPaSE_SF_SF_EESI_SY_SJ_SK_SL_EUlSY_E1_NS1_11comp_targetILNS1_3genE8ELNS1_11target_archE1030ELNS1_3gpuE2ELNS1_3repE0EEENS1_36merge_oddeven_config_static_selectorELNS0_4arch9wavefront6targetE1EEEvSK_
	.p2align	8
	.type	_ZN7rocprim17ROCPRIM_400000_NS6detail17trampoline_kernelINS0_14default_configENS1_38merge_sort_block_merge_config_selectorIaNS0_10empty_typeEEEZZNS1_27merge_sort_block_merge_implIS3_N6thrust23THRUST_200600_302600_NS6detail15normal_iteratorINS9_10device_ptrIaEEEEPS5_m14custom_greaterIaEEE10hipError_tT0_T1_T2_jT3_P12ihipStream_tbPNSt15iterator_traitsISJ_E10value_typeEPNSP_ISK_E10value_typeEPSL_NS1_7vsmem_tEENKUlT_SJ_SK_SL_E_clIPaSE_SF_SF_EESI_SY_SJ_SK_SL_EUlSY_E1_NS1_11comp_targetILNS1_3genE8ELNS1_11target_archE1030ELNS1_3gpuE2ELNS1_3repE0EEENS1_36merge_oddeven_config_static_selectorELNS0_4arch9wavefront6targetE1EEEvSK_,@function
_ZN7rocprim17ROCPRIM_400000_NS6detail17trampoline_kernelINS0_14default_configENS1_38merge_sort_block_merge_config_selectorIaNS0_10empty_typeEEEZZNS1_27merge_sort_block_merge_implIS3_N6thrust23THRUST_200600_302600_NS6detail15normal_iteratorINS9_10device_ptrIaEEEEPS5_m14custom_greaterIaEEE10hipError_tT0_T1_T2_jT3_P12ihipStream_tbPNSt15iterator_traitsISJ_E10value_typeEPNSP_ISK_E10value_typeEPSL_NS1_7vsmem_tEENKUlT_SJ_SK_SL_E_clIPaSE_SF_SF_EESI_SY_SJ_SK_SL_EUlSY_E1_NS1_11comp_targetILNS1_3genE8ELNS1_11target_archE1030ELNS1_3gpuE2ELNS1_3repE0EEENS1_36merge_oddeven_config_static_selectorELNS0_4arch9wavefront6targetE1EEEvSK_: ; @_ZN7rocprim17ROCPRIM_400000_NS6detail17trampoline_kernelINS0_14default_configENS1_38merge_sort_block_merge_config_selectorIaNS0_10empty_typeEEEZZNS1_27merge_sort_block_merge_implIS3_N6thrust23THRUST_200600_302600_NS6detail15normal_iteratorINS9_10device_ptrIaEEEEPS5_m14custom_greaterIaEEE10hipError_tT0_T1_T2_jT3_P12ihipStream_tbPNSt15iterator_traitsISJ_E10value_typeEPNSP_ISK_E10value_typeEPSL_NS1_7vsmem_tEENKUlT_SJ_SK_SL_E_clIPaSE_SF_SF_EESI_SY_SJ_SK_SL_EUlSY_E1_NS1_11comp_targetILNS1_3genE8ELNS1_11target_archE1030ELNS1_3gpuE2ELNS1_3repE0EEENS1_36merge_oddeven_config_static_selectorELNS0_4arch9wavefront6targetE1EEEvSK_
; %bb.0:
	.section	.rodata,"a",@progbits
	.p2align	6, 0x0
	.amdhsa_kernel _ZN7rocprim17ROCPRIM_400000_NS6detail17trampoline_kernelINS0_14default_configENS1_38merge_sort_block_merge_config_selectorIaNS0_10empty_typeEEEZZNS1_27merge_sort_block_merge_implIS3_N6thrust23THRUST_200600_302600_NS6detail15normal_iteratorINS9_10device_ptrIaEEEEPS5_m14custom_greaterIaEEE10hipError_tT0_T1_T2_jT3_P12ihipStream_tbPNSt15iterator_traitsISJ_E10value_typeEPNSP_ISK_E10value_typeEPSL_NS1_7vsmem_tEENKUlT_SJ_SK_SL_E_clIPaSE_SF_SF_EESI_SY_SJ_SK_SL_EUlSY_E1_NS1_11comp_targetILNS1_3genE8ELNS1_11target_archE1030ELNS1_3gpuE2ELNS1_3repE0EEENS1_36merge_oddeven_config_static_selectorELNS0_4arch9wavefront6targetE1EEEvSK_
		.amdhsa_group_segment_fixed_size 0
		.amdhsa_private_segment_fixed_size 0
		.amdhsa_kernarg_size 56
		.amdhsa_user_sgpr_count 6
		.amdhsa_user_sgpr_private_segment_buffer 1
		.amdhsa_user_sgpr_dispatch_ptr 0
		.amdhsa_user_sgpr_queue_ptr 0
		.amdhsa_user_sgpr_kernarg_segment_ptr 1
		.amdhsa_user_sgpr_dispatch_id 0
		.amdhsa_user_sgpr_flat_scratch_init 0
		.amdhsa_user_sgpr_kernarg_preload_length 0
		.amdhsa_user_sgpr_kernarg_preload_offset 0
		.amdhsa_user_sgpr_private_segment_size 0
		.amdhsa_uses_dynamic_stack 0
		.amdhsa_system_sgpr_private_segment_wavefront_offset 0
		.amdhsa_system_sgpr_workgroup_id_x 1
		.amdhsa_system_sgpr_workgroup_id_y 0
		.amdhsa_system_sgpr_workgroup_id_z 0
		.amdhsa_system_sgpr_workgroup_info 0
		.amdhsa_system_vgpr_workitem_id 0
		.amdhsa_next_free_vgpr 1
		.amdhsa_next_free_sgpr 0
		.amdhsa_accum_offset 4
		.amdhsa_reserve_vcc 0
		.amdhsa_reserve_flat_scratch 0
		.amdhsa_float_round_mode_32 0
		.amdhsa_float_round_mode_16_64 0
		.amdhsa_float_denorm_mode_32 3
		.amdhsa_float_denorm_mode_16_64 3
		.amdhsa_dx10_clamp 1
		.amdhsa_ieee_mode 1
		.amdhsa_fp16_overflow 0
		.amdhsa_tg_split 0
		.amdhsa_exception_fp_ieee_invalid_op 0
		.amdhsa_exception_fp_denorm_src 0
		.amdhsa_exception_fp_ieee_div_zero 0
		.amdhsa_exception_fp_ieee_overflow 0
		.amdhsa_exception_fp_ieee_underflow 0
		.amdhsa_exception_fp_ieee_inexact 0
		.amdhsa_exception_int_div_zero 0
	.end_amdhsa_kernel
	.section	.text._ZN7rocprim17ROCPRIM_400000_NS6detail17trampoline_kernelINS0_14default_configENS1_38merge_sort_block_merge_config_selectorIaNS0_10empty_typeEEEZZNS1_27merge_sort_block_merge_implIS3_N6thrust23THRUST_200600_302600_NS6detail15normal_iteratorINS9_10device_ptrIaEEEEPS5_m14custom_greaterIaEEE10hipError_tT0_T1_T2_jT3_P12ihipStream_tbPNSt15iterator_traitsISJ_E10value_typeEPNSP_ISK_E10value_typeEPSL_NS1_7vsmem_tEENKUlT_SJ_SK_SL_E_clIPaSE_SF_SF_EESI_SY_SJ_SK_SL_EUlSY_E1_NS1_11comp_targetILNS1_3genE8ELNS1_11target_archE1030ELNS1_3gpuE2ELNS1_3repE0EEENS1_36merge_oddeven_config_static_selectorELNS0_4arch9wavefront6targetE1EEEvSK_,"axG",@progbits,_ZN7rocprim17ROCPRIM_400000_NS6detail17trampoline_kernelINS0_14default_configENS1_38merge_sort_block_merge_config_selectorIaNS0_10empty_typeEEEZZNS1_27merge_sort_block_merge_implIS3_N6thrust23THRUST_200600_302600_NS6detail15normal_iteratorINS9_10device_ptrIaEEEEPS5_m14custom_greaterIaEEE10hipError_tT0_T1_T2_jT3_P12ihipStream_tbPNSt15iterator_traitsISJ_E10value_typeEPNSP_ISK_E10value_typeEPSL_NS1_7vsmem_tEENKUlT_SJ_SK_SL_E_clIPaSE_SF_SF_EESI_SY_SJ_SK_SL_EUlSY_E1_NS1_11comp_targetILNS1_3genE8ELNS1_11target_archE1030ELNS1_3gpuE2ELNS1_3repE0EEENS1_36merge_oddeven_config_static_selectorELNS0_4arch9wavefront6targetE1EEEvSK_,comdat
.Lfunc_end2808:
	.size	_ZN7rocprim17ROCPRIM_400000_NS6detail17trampoline_kernelINS0_14default_configENS1_38merge_sort_block_merge_config_selectorIaNS0_10empty_typeEEEZZNS1_27merge_sort_block_merge_implIS3_N6thrust23THRUST_200600_302600_NS6detail15normal_iteratorINS9_10device_ptrIaEEEEPS5_m14custom_greaterIaEEE10hipError_tT0_T1_T2_jT3_P12ihipStream_tbPNSt15iterator_traitsISJ_E10value_typeEPNSP_ISK_E10value_typeEPSL_NS1_7vsmem_tEENKUlT_SJ_SK_SL_E_clIPaSE_SF_SF_EESI_SY_SJ_SK_SL_EUlSY_E1_NS1_11comp_targetILNS1_3genE8ELNS1_11target_archE1030ELNS1_3gpuE2ELNS1_3repE0EEENS1_36merge_oddeven_config_static_selectorELNS0_4arch9wavefront6targetE1EEEvSK_, .Lfunc_end2808-_ZN7rocprim17ROCPRIM_400000_NS6detail17trampoline_kernelINS0_14default_configENS1_38merge_sort_block_merge_config_selectorIaNS0_10empty_typeEEEZZNS1_27merge_sort_block_merge_implIS3_N6thrust23THRUST_200600_302600_NS6detail15normal_iteratorINS9_10device_ptrIaEEEEPS5_m14custom_greaterIaEEE10hipError_tT0_T1_T2_jT3_P12ihipStream_tbPNSt15iterator_traitsISJ_E10value_typeEPNSP_ISK_E10value_typeEPSL_NS1_7vsmem_tEENKUlT_SJ_SK_SL_E_clIPaSE_SF_SF_EESI_SY_SJ_SK_SL_EUlSY_E1_NS1_11comp_targetILNS1_3genE8ELNS1_11target_archE1030ELNS1_3gpuE2ELNS1_3repE0EEENS1_36merge_oddeven_config_static_selectorELNS0_4arch9wavefront6targetE1EEEvSK_
                                        ; -- End function
	.section	.AMDGPU.csdata,"",@progbits
; Kernel info:
; codeLenInByte = 0
; NumSgprs: 4
; NumVgprs: 0
; NumAgprs: 0
; TotalNumVgprs: 0
; ScratchSize: 0
; MemoryBound: 0
; FloatMode: 240
; IeeeMode: 1
; LDSByteSize: 0 bytes/workgroup (compile time only)
; SGPRBlocks: 0
; VGPRBlocks: 0
; NumSGPRsForWavesPerEU: 4
; NumVGPRsForWavesPerEU: 1
; AccumOffset: 4
; Occupancy: 8
; WaveLimiterHint : 0
; COMPUTE_PGM_RSRC2:SCRATCH_EN: 0
; COMPUTE_PGM_RSRC2:USER_SGPR: 6
; COMPUTE_PGM_RSRC2:TRAP_HANDLER: 0
; COMPUTE_PGM_RSRC2:TGID_X_EN: 1
; COMPUTE_PGM_RSRC2:TGID_Y_EN: 0
; COMPUTE_PGM_RSRC2:TGID_Z_EN: 0
; COMPUTE_PGM_RSRC2:TIDIG_COMP_CNT: 0
; COMPUTE_PGM_RSRC3_GFX90A:ACCUM_OFFSET: 0
; COMPUTE_PGM_RSRC3_GFX90A:TG_SPLIT: 0
	.section	.text._ZN7rocprim17ROCPRIM_400000_NS6detail17trampoline_kernelINS0_14default_configENS1_38merge_sort_block_merge_config_selectorIaNS0_10empty_typeEEEZZNS1_27merge_sort_block_merge_implIS3_N6thrust23THRUST_200600_302600_NS6detail15normal_iteratorINS9_10device_ptrIaEEEEPS5_m14custom_greaterIaEEE10hipError_tT0_T1_T2_jT3_P12ihipStream_tbPNSt15iterator_traitsISJ_E10value_typeEPNSP_ISK_E10value_typeEPSL_NS1_7vsmem_tEENKUlT_SJ_SK_SL_E_clISE_PaSF_SF_EESI_SY_SJ_SK_SL_EUlSY_E_NS1_11comp_targetILNS1_3genE0ELNS1_11target_archE4294967295ELNS1_3gpuE0ELNS1_3repE0EEENS1_48merge_mergepath_partition_config_static_selectorELNS0_4arch9wavefront6targetE1EEEvSK_,"axG",@progbits,_ZN7rocprim17ROCPRIM_400000_NS6detail17trampoline_kernelINS0_14default_configENS1_38merge_sort_block_merge_config_selectorIaNS0_10empty_typeEEEZZNS1_27merge_sort_block_merge_implIS3_N6thrust23THRUST_200600_302600_NS6detail15normal_iteratorINS9_10device_ptrIaEEEEPS5_m14custom_greaterIaEEE10hipError_tT0_T1_T2_jT3_P12ihipStream_tbPNSt15iterator_traitsISJ_E10value_typeEPNSP_ISK_E10value_typeEPSL_NS1_7vsmem_tEENKUlT_SJ_SK_SL_E_clISE_PaSF_SF_EESI_SY_SJ_SK_SL_EUlSY_E_NS1_11comp_targetILNS1_3genE0ELNS1_11target_archE4294967295ELNS1_3gpuE0ELNS1_3repE0EEENS1_48merge_mergepath_partition_config_static_selectorELNS0_4arch9wavefront6targetE1EEEvSK_,comdat
	.protected	_ZN7rocprim17ROCPRIM_400000_NS6detail17trampoline_kernelINS0_14default_configENS1_38merge_sort_block_merge_config_selectorIaNS0_10empty_typeEEEZZNS1_27merge_sort_block_merge_implIS3_N6thrust23THRUST_200600_302600_NS6detail15normal_iteratorINS9_10device_ptrIaEEEEPS5_m14custom_greaterIaEEE10hipError_tT0_T1_T2_jT3_P12ihipStream_tbPNSt15iterator_traitsISJ_E10value_typeEPNSP_ISK_E10value_typeEPSL_NS1_7vsmem_tEENKUlT_SJ_SK_SL_E_clISE_PaSF_SF_EESI_SY_SJ_SK_SL_EUlSY_E_NS1_11comp_targetILNS1_3genE0ELNS1_11target_archE4294967295ELNS1_3gpuE0ELNS1_3repE0EEENS1_48merge_mergepath_partition_config_static_selectorELNS0_4arch9wavefront6targetE1EEEvSK_ ; -- Begin function _ZN7rocprim17ROCPRIM_400000_NS6detail17trampoline_kernelINS0_14default_configENS1_38merge_sort_block_merge_config_selectorIaNS0_10empty_typeEEEZZNS1_27merge_sort_block_merge_implIS3_N6thrust23THRUST_200600_302600_NS6detail15normal_iteratorINS9_10device_ptrIaEEEEPS5_m14custom_greaterIaEEE10hipError_tT0_T1_T2_jT3_P12ihipStream_tbPNSt15iterator_traitsISJ_E10value_typeEPNSP_ISK_E10value_typeEPSL_NS1_7vsmem_tEENKUlT_SJ_SK_SL_E_clISE_PaSF_SF_EESI_SY_SJ_SK_SL_EUlSY_E_NS1_11comp_targetILNS1_3genE0ELNS1_11target_archE4294967295ELNS1_3gpuE0ELNS1_3repE0EEENS1_48merge_mergepath_partition_config_static_selectorELNS0_4arch9wavefront6targetE1EEEvSK_
	.globl	_ZN7rocprim17ROCPRIM_400000_NS6detail17trampoline_kernelINS0_14default_configENS1_38merge_sort_block_merge_config_selectorIaNS0_10empty_typeEEEZZNS1_27merge_sort_block_merge_implIS3_N6thrust23THRUST_200600_302600_NS6detail15normal_iteratorINS9_10device_ptrIaEEEEPS5_m14custom_greaterIaEEE10hipError_tT0_T1_T2_jT3_P12ihipStream_tbPNSt15iterator_traitsISJ_E10value_typeEPNSP_ISK_E10value_typeEPSL_NS1_7vsmem_tEENKUlT_SJ_SK_SL_E_clISE_PaSF_SF_EESI_SY_SJ_SK_SL_EUlSY_E_NS1_11comp_targetILNS1_3genE0ELNS1_11target_archE4294967295ELNS1_3gpuE0ELNS1_3repE0EEENS1_48merge_mergepath_partition_config_static_selectorELNS0_4arch9wavefront6targetE1EEEvSK_
	.p2align	8
	.type	_ZN7rocprim17ROCPRIM_400000_NS6detail17trampoline_kernelINS0_14default_configENS1_38merge_sort_block_merge_config_selectorIaNS0_10empty_typeEEEZZNS1_27merge_sort_block_merge_implIS3_N6thrust23THRUST_200600_302600_NS6detail15normal_iteratorINS9_10device_ptrIaEEEEPS5_m14custom_greaterIaEEE10hipError_tT0_T1_T2_jT3_P12ihipStream_tbPNSt15iterator_traitsISJ_E10value_typeEPNSP_ISK_E10value_typeEPSL_NS1_7vsmem_tEENKUlT_SJ_SK_SL_E_clISE_PaSF_SF_EESI_SY_SJ_SK_SL_EUlSY_E_NS1_11comp_targetILNS1_3genE0ELNS1_11target_archE4294967295ELNS1_3gpuE0ELNS1_3repE0EEENS1_48merge_mergepath_partition_config_static_selectorELNS0_4arch9wavefront6targetE1EEEvSK_,@function
_ZN7rocprim17ROCPRIM_400000_NS6detail17trampoline_kernelINS0_14default_configENS1_38merge_sort_block_merge_config_selectorIaNS0_10empty_typeEEEZZNS1_27merge_sort_block_merge_implIS3_N6thrust23THRUST_200600_302600_NS6detail15normal_iteratorINS9_10device_ptrIaEEEEPS5_m14custom_greaterIaEEE10hipError_tT0_T1_T2_jT3_P12ihipStream_tbPNSt15iterator_traitsISJ_E10value_typeEPNSP_ISK_E10value_typeEPSL_NS1_7vsmem_tEENKUlT_SJ_SK_SL_E_clISE_PaSF_SF_EESI_SY_SJ_SK_SL_EUlSY_E_NS1_11comp_targetILNS1_3genE0ELNS1_11target_archE4294967295ELNS1_3gpuE0ELNS1_3repE0EEENS1_48merge_mergepath_partition_config_static_selectorELNS0_4arch9wavefront6targetE1EEEvSK_: ; @_ZN7rocprim17ROCPRIM_400000_NS6detail17trampoline_kernelINS0_14default_configENS1_38merge_sort_block_merge_config_selectorIaNS0_10empty_typeEEEZZNS1_27merge_sort_block_merge_implIS3_N6thrust23THRUST_200600_302600_NS6detail15normal_iteratorINS9_10device_ptrIaEEEEPS5_m14custom_greaterIaEEE10hipError_tT0_T1_T2_jT3_P12ihipStream_tbPNSt15iterator_traitsISJ_E10value_typeEPNSP_ISK_E10value_typeEPSL_NS1_7vsmem_tEENKUlT_SJ_SK_SL_E_clISE_PaSF_SF_EESI_SY_SJ_SK_SL_EUlSY_E_NS1_11comp_targetILNS1_3genE0ELNS1_11target_archE4294967295ELNS1_3gpuE0ELNS1_3repE0EEENS1_48merge_mergepath_partition_config_static_selectorELNS0_4arch9wavefront6targetE1EEEvSK_
; %bb.0:
	.section	.rodata,"a",@progbits
	.p2align	6, 0x0
	.amdhsa_kernel _ZN7rocprim17ROCPRIM_400000_NS6detail17trampoline_kernelINS0_14default_configENS1_38merge_sort_block_merge_config_selectorIaNS0_10empty_typeEEEZZNS1_27merge_sort_block_merge_implIS3_N6thrust23THRUST_200600_302600_NS6detail15normal_iteratorINS9_10device_ptrIaEEEEPS5_m14custom_greaterIaEEE10hipError_tT0_T1_T2_jT3_P12ihipStream_tbPNSt15iterator_traitsISJ_E10value_typeEPNSP_ISK_E10value_typeEPSL_NS1_7vsmem_tEENKUlT_SJ_SK_SL_E_clISE_PaSF_SF_EESI_SY_SJ_SK_SL_EUlSY_E_NS1_11comp_targetILNS1_3genE0ELNS1_11target_archE4294967295ELNS1_3gpuE0ELNS1_3repE0EEENS1_48merge_mergepath_partition_config_static_selectorELNS0_4arch9wavefront6targetE1EEEvSK_
		.amdhsa_group_segment_fixed_size 0
		.amdhsa_private_segment_fixed_size 0
		.amdhsa_kernarg_size 48
		.amdhsa_user_sgpr_count 6
		.amdhsa_user_sgpr_private_segment_buffer 1
		.amdhsa_user_sgpr_dispatch_ptr 0
		.amdhsa_user_sgpr_queue_ptr 0
		.amdhsa_user_sgpr_kernarg_segment_ptr 1
		.amdhsa_user_sgpr_dispatch_id 0
		.amdhsa_user_sgpr_flat_scratch_init 0
		.amdhsa_user_sgpr_kernarg_preload_length 0
		.amdhsa_user_sgpr_kernarg_preload_offset 0
		.amdhsa_user_sgpr_private_segment_size 0
		.amdhsa_uses_dynamic_stack 0
		.amdhsa_system_sgpr_private_segment_wavefront_offset 0
		.amdhsa_system_sgpr_workgroup_id_x 1
		.amdhsa_system_sgpr_workgroup_id_y 0
		.amdhsa_system_sgpr_workgroup_id_z 0
		.amdhsa_system_sgpr_workgroup_info 0
		.amdhsa_system_vgpr_workitem_id 0
		.amdhsa_next_free_vgpr 1
		.amdhsa_next_free_sgpr 0
		.amdhsa_accum_offset 4
		.amdhsa_reserve_vcc 0
		.amdhsa_reserve_flat_scratch 0
		.amdhsa_float_round_mode_32 0
		.amdhsa_float_round_mode_16_64 0
		.amdhsa_float_denorm_mode_32 3
		.amdhsa_float_denorm_mode_16_64 3
		.amdhsa_dx10_clamp 1
		.amdhsa_ieee_mode 1
		.amdhsa_fp16_overflow 0
		.amdhsa_tg_split 0
		.amdhsa_exception_fp_ieee_invalid_op 0
		.amdhsa_exception_fp_denorm_src 0
		.amdhsa_exception_fp_ieee_div_zero 0
		.amdhsa_exception_fp_ieee_overflow 0
		.amdhsa_exception_fp_ieee_underflow 0
		.amdhsa_exception_fp_ieee_inexact 0
		.amdhsa_exception_int_div_zero 0
	.end_amdhsa_kernel
	.section	.text._ZN7rocprim17ROCPRIM_400000_NS6detail17trampoline_kernelINS0_14default_configENS1_38merge_sort_block_merge_config_selectorIaNS0_10empty_typeEEEZZNS1_27merge_sort_block_merge_implIS3_N6thrust23THRUST_200600_302600_NS6detail15normal_iteratorINS9_10device_ptrIaEEEEPS5_m14custom_greaterIaEEE10hipError_tT0_T1_T2_jT3_P12ihipStream_tbPNSt15iterator_traitsISJ_E10value_typeEPNSP_ISK_E10value_typeEPSL_NS1_7vsmem_tEENKUlT_SJ_SK_SL_E_clISE_PaSF_SF_EESI_SY_SJ_SK_SL_EUlSY_E_NS1_11comp_targetILNS1_3genE0ELNS1_11target_archE4294967295ELNS1_3gpuE0ELNS1_3repE0EEENS1_48merge_mergepath_partition_config_static_selectorELNS0_4arch9wavefront6targetE1EEEvSK_,"axG",@progbits,_ZN7rocprim17ROCPRIM_400000_NS6detail17trampoline_kernelINS0_14default_configENS1_38merge_sort_block_merge_config_selectorIaNS0_10empty_typeEEEZZNS1_27merge_sort_block_merge_implIS3_N6thrust23THRUST_200600_302600_NS6detail15normal_iteratorINS9_10device_ptrIaEEEEPS5_m14custom_greaterIaEEE10hipError_tT0_T1_T2_jT3_P12ihipStream_tbPNSt15iterator_traitsISJ_E10value_typeEPNSP_ISK_E10value_typeEPSL_NS1_7vsmem_tEENKUlT_SJ_SK_SL_E_clISE_PaSF_SF_EESI_SY_SJ_SK_SL_EUlSY_E_NS1_11comp_targetILNS1_3genE0ELNS1_11target_archE4294967295ELNS1_3gpuE0ELNS1_3repE0EEENS1_48merge_mergepath_partition_config_static_selectorELNS0_4arch9wavefront6targetE1EEEvSK_,comdat
.Lfunc_end2809:
	.size	_ZN7rocprim17ROCPRIM_400000_NS6detail17trampoline_kernelINS0_14default_configENS1_38merge_sort_block_merge_config_selectorIaNS0_10empty_typeEEEZZNS1_27merge_sort_block_merge_implIS3_N6thrust23THRUST_200600_302600_NS6detail15normal_iteratorINS9_10device_ptrIaEEEEPS5_m14custom_greaterIaEEE10hipError_tT0_T1_T2_jT3_P12ihipStream_tbPNSt15iterator_traitsISJ_E10value_typeEPNSP_ISK_E10value_typeEPSL_NS1_7vsmem_tEENKUlT_SJ_SK_SL_E_clISE_PaSF_SF_EESI_SY_SJ_SK_SL_EUlSY_E_NS1_11comp_targetILNS1_3genE0ELNS1_11target_archE4294967295ELNS1_3gpuE0ELNS1_3repE0EEENS1_48merge_mergepath_partition_config_static_selectorELNS0_4arch9wavefront6targetE1EEEvSK_, .Lfunc_end2809-_ZN7rocprim17ROCPRIM_400000_NS6detail17trampoline_kernelINS0_14default_configENS1_38merge_sort_block_merge_config_selectorIaNS0_10empty_typeEEEZZNS1_27merge_sort_block_merge_implIS3_N6thrust23THRUST_200600_302600_NS6detail15normal_iteratorINS9_10device_ptrIaEEEEPS5_m14custom_greaterIaEEE10hipError_tT0_T1_T2_jT3_P12ihipStream_tbPNSt15iterator_traitsISJ_E10value_typeEPNSP_ISK_E10value_typeEPSL_NS1_7vsmem_tEENKUlT_SJ_SK_SL_E_clISE_PaSF_SF_EESI_SY_SJ_SK_SL_EUlSY_E_NS1_11comp_targetILNS1_3genE0ELNS1_11target_archE4294967295ELNS1_3gpuE0ELNS1_3repE0EEENS1_48merge_mergepath_partition_config_static_selectorELNS0_4arch9wavefront6targetE1EEEvSK_
                                        ; -- End function
	.section	.AMDGPU.csdata,"",@progbits
; Kernel info:
; codeLenInByte = 0
; NumSgprs: 4
; NumVgprs: 0
; NumAgprs: 0
; TotalNumVgprs: 0
; ScratchSize: 0
; MemoryBound: 0
; FloatMode: 240
; IeeeMode: 1
; LDSByteSize: 0 bytes/workgroup (compile time only)
; SGPRBlocks: 0
; VGPRBlocks: 0
; NumSGPRsForWavesPerEU: 4
; NumVGPRsForWavesPerEU: 1
; AccumOffset: 4
; Occupancy: 8
; WaveLimiterHint : 0
; COMPUTE_PGM_RSRC2:SCRATCH_EN: 0
; COMPUTE_PGM_RSRC2:USER_SGPR: 6
; COMPUTE_PGM_RSRC2:TRAP_HANDLER: 0
; COMPUTE_PGM_RSRC2:TGID_X_EN: 1
; COMPUTE_PGM_RSRC2:TGID_Y_EN: 0
; COMPUTE_PGM_RSRC2:TGID_Z_EN: 0
; COMPUTE_PGM_RSRC2:TIDIG_COMP_CNT: 0
; COMPUTE_PGM_RSRC3_GFX90A:ACCUM_OFFSET: 0
; COMPUTE_PGM_RSRC3_GFX90A:TG_SPLIT: 0
	.section	.text._ZN7rocprim17ROCPRIM_400000_NS6detail17trampoline_kernelINS0_14default_configENS1_38merge_sort_block_merge_config_selectorIaNS0_10empty_typeEEEZZNS1_27merge_sort_block_merge_implIS3_N6thrust23THRUST_200600_302600_NS6detail15normal_iteratorINS9_10device_ptrIaEEEEPS5_m14custom_greaterIaEEE10hipError_tT0_T1_T2_jT3_P12ihipStream_tbPNSt15iterator_traitsISJ_E10value_typeEPNSP_ISK_E10value_typeEPSL_NS1_7vsmem_tEENKUlT_SJ_SK_SL_E_clISE_PaSF_SF_EESI_SY_SJ_SK_SL_EUlSY_E_NS1_11comp_targetILNS1_3genE10ELNS1_11target_archE1201ELNS1_3gpuE5ELNS1_3repE0EEENS1_48merge_mergepath_partition_config_static_selectorELNS0_4arch9wavefront6targetE1EEEvSK_,"axG",@progbits,_ZN7rocprim17ROCPRIM_400000_NS6detail17trampoline_kernelINS0_14default_configENS1_38merge_sort_block_merge_config_selectorIaNS0_10empty_typeEEEZZNS1_27merge_sort_block_merge_implIS3_N6thrust23THRUST_200600_302600_NS6detail15normal_iteratorINS9_10device_ptrIaEEEEPS5_m14custom_greaterIaEEE10hipError_tT0_T1_T2_jT3_P12ihipStream_tbPNSt15iterator_traitsISJ_E10value_typeEPNSP_ISK_E10value_typeEPSL_NS1_7vsmem_tEENKUlT_SJ_SK_SL_E_clISE_PaSF_SF_EESI_SY_SJ_SK_SL_EUlSY_E_NS1_11comp_targetILNS1_3genE10ELNS1_11target_archE1201ELNS1_3gpuE5ELNS1_3repE0EEENS1_48merge_mergepath_partition_config_static_selectorELNS0_4arch9wavefront6targetE1EEEvSK_,comdat
	.protected	_ZN7rocprim17ROCPRIM_400000_NS6detail17trampoline_kernelINS0_14default_configENS1_38merge_sort_block_merge_config_selectorIaNS0_10empty_typeEEEZZNS1_27merge_sort_block_merge_implIS3_N6thrust23THRUST_200600_302600_NS6detail15normal_iteratorINS9_10device_ptrIaEEEEPS5_m14custom_greaterIaEEE10hipError_tT0_T1_T2_jT3_P12ihipStream_tbPNSt15iterator_traitsISJ_E10value_typeEPNSP_ISK_E10value_typeEPSL_NS1_7vsmem_tEENKUlT_SJ_SK_SL_E_clISE_PaSF_SF_EESI_SY_SJ_SK_SL_EUlSY_E_NS1_11comp_targetILNS1_3genE10ELNS1_11target_archE1201ELNS1_3gpuE5ELNS1_3repE0EEENS1_48merge_mergepath_partition_config_static_selectorELNS0_4arch9wavefront6targetE1EEEvSK_ ; -- Begin function _ZN7rocprim17ROCPRIM_400000_NS6detail17trampoline_kernelINS0_14default_configENS1_38merge_sort_block_merge_config_selectorIaNS0_10empty_typeEEEZZNS1_27merge_sort_block_merge_implIS3_N6thrust23THRUST_200600_302600_NS6detail15normal_iteratorINS9_10device_ptrIaEEEEPS5_m14custom_greaterIaEEE10hipError_tT0_T1_T2_jT3_P12ihipStream_tbPNSt15iterator_traitsISJ_E10value_typeEPNSP_ISK_E10value_typeEPSL_NS1_7vsmem_tEENKUlT_SJ_SK_SL_E_clISE_PaSF_SF_EESI_SY_SJ_SK_SL_EUlSY_E_NS1_11comp_targetILNS1_3genE10ELNS1_11target_archE1201ELNS1_3gpuE5ELNS1_3repE0EEENS1_48merge_mergepath_partition_config_static_selectorELNS0_4arch9wavefront6targetE1EEEvSK_
	.globl	_ZN7rocprim17ROCPRIM_400000_NS6detail17trampoline_kernelINS0_14default_configENS1_38merge_sort_block_merge_config_selectorIaNS0_10empty_typeEEEZZNS1_27merge_sort_block_merge_implIS3_N6thrust23THRUST_200600_302600_NS6detail15normal_iteratorINS9_10device_ptrIaEEEEPS5_m14custom_greaterIaEEE10hipError_tT0_T1_T2_jT3_P12ihipStream_tbPNSt15iterator_traitsISJ_E10value_typeEPNSP_ISK_E10value_typeEPSL_NS1_7vsmem_tEENKUlT_SJ_SK_SL_E_clISE_PaSF_SF_EESI_SY_SJ_SK_SL_EUlSY_E_NS1_11comp_targetILNS1_3genE10ELNS1_11target_archE1201ELNS1_3gpuE5ELNS1_3repE0EEENS1_48merge_mergepath_partition_config_static_selectorELNS0_4arch9wavefront6targetE1EEEvSK_
	.p2align	8
	.type	_ZN7rocprim17ROCPRIM_400000_NS6detail17trampoline_kernelINS0_14default_configENS1_38merge_sort_block_merge_config_selectorIaNS0_10empty_typeEEEZZNS1_27merge_sort_block_merge_implIS3_N6thrust23THRUST_200600_302600_NS6detail15normal_iteratorINS9_10device_ptrIaEEEEPS5_m14custom_greaterIaEEE10hipError_tT0_T1_T2_jT3_P12ihipStream_tbPNSt15iterator_traitsISJ_E10value_typeEPNSP_ISK_E10value_typeEPSL_NS1_7vsmem_tEENKUlT_SJ_SK_SL_E_clISE_PaSF_SF_EESI_SY_SJ_SK_SL_EUlSY_E_NS1_11comp_targetILNS1_3genE10ELNS1_11target_archE1201ELNS1_3gpuE5ELNS1_3repE0EEENS1_48merge_mergepath_partition_config_static_selectorELNS0_4arch9wavefront6targetE1EEEvSK_,@function
_ZN7rocprim17ROCPRIM_400000_NS6detail17trampoline_kernelINS0_14default_configENS1_38merge_sort_block_merge_config_selectorIaNS0_10empty_typeEEEZZNS1_27merge_sort_block_merge_implIS3_N6thrust23THRUST_200600_302600_NS6detail15normal_iteratorINS9_10device_ptrIaEEEEPS5_m14custom_greaterIaEEE10hipError_tT0_T1_T2_jT3_P12ihipStream_tbPNSt15iterator_traitsISJ_E10value_typeEPNSP_ISK_E10value_typeEPSL_NS1_7vsmem_tEENKUlT_SJ_SK_SL_E_clISE_PaSF_SF_EESI_SY_SJ_SK_SL_EUlSY_E_NS1_11comp_targetILNS1_3genE10ELNS1_11target_archE1201ELNS1_3gpuE5ELNS1_3repE0EEENS1_48merge_mergepath_partition_config_static_selectorELNS0_4arch9wavefront6targetE1EEEvSK_: ; @_ZN7rocprim17ROCPRIM_400000_NS6detail17trampoline_kernelINS0_14default_configENS1_38merge_sort_block_merge_config_selectorIaNS0_10empty_typeEEEZZNS1_27merge_sort_block_merge_implIS3_N6thrust23THRUST_200600_302600_NS6detail15normal_iteratorINS9_10device_ptrIaEEEEPS5_m14custom_greaterIaEEE10hipError_tT0_T1_T2_jT3_P12ihipStream_tbPNSt15iterator_traitsISJ_E10value_typeEPNSP_ISK_E10value_typeEPSL_NS1_7vsmem_tEENKUlT_SJ_SK_SL_E_clISE_PaSF_SF_EESI_SY_SJ_SK_SL_EUlSY_E_NS1_11comp_targetILNS1_3genE10ELNS1_11target_archE1201ELNS1_3gpuE5ELNS1_3repE0EEENS1_48merge_mergepath_partition_config_static_selectorELNS0_4arch9wavefront6targetE1EEEvSK_
; %bb.0:
	.section	.rodata,"a",@progbits
	.p2align	6, 0x0
	.amdhsa_kernel _ZN7rocprim17ROCPRIM_400000_NS6detail17trampoline_kernelINS0_14default_configENS1_38merge_sort_block_merge_config_selectorIaNS0_10empty_typeEEEZZNS1_27merge_sort_block_merge_implIS3_N6thrust23THRUST_200600_302600_NS6detail15normal_iteratorINS9_10device_ptrIaEEEEPS5_m14custom_greaterIaEEE10hipError_tT0_T1_T2_jT3_P12ihipStream_tbPNSt15iterator_traitsISJ_E10value_typeEPNSP_ISK_E10value_typeEPSL_NS1_7vsmem_tEENKUlT_SJ_SK_SL_E_clISE_PaSF_SF_EESI_SY_SJ_SK_SL_EUlSY_E_NS1_11comp_targetILNS1_3genE10ELNS1_11target_archE1201ELNS1_3gpuE5ELNS1_3repE0EEENS1_48merge_mergepath_partition_config_static_selectorELNS0_4arch9wavefront6targetE1EEEvSK_
		.amdhsa_group_segment_fixed_size 0
		.amdhsa_private_segment_fixed_size 0
		.amdhsa_kernarg_size 48
		.amdhsa_user_sgpr_count 6
		.amdhsa_user_sgpr_private_segment_buffer 1
		.amdhsa_user_sgpr_dispatch_ptr 0
		.amdhsa_user_sgpr_queue_ptr 0
		.amdhsa_user_sgpr_kernarg_segment_ptr 1
		.amdhsa_user_sgpr_dispatch_id 0
		.amdhsa_user_sgpr_flat_scratch_init 0
		.amdhsa_user_sgpr_kernarg_preload_length 0
		.amdhsa_user_sgpr_kernarg_preload_offset 0
		.amdhsa_user_sgpr_private_segment_size 0
		.amdhsa_uses_dynamic_stack 0
		.amdhsa_system_sgpr_private_segment_wavefront_offset 0
		.amdhsa_system_sgpr_workgroup_id_x 1
		.amdhsa_system_sgpr_workgroup_id_y 0
		.amdhsa_system_sgpr_workgroup_id_z 0
		.amdhsa_system_sgpr_workgroup_info 0
		.amdhsa_system_vgpr_workitem_id 0
		.amdhsa_next_free_vgpr 1
		.amdhsa_next_free_sgpr 0
		.amdhsa_accum_offset 4
		.amdhsa_reserve_vcc 0
		.amdhsa_reserve_flat_scratch 0
		.amdhsa_float_round_mode_32 0
		.amdhsa_float_round_mode_16_64 0
		.amdhsa_float_denorm_mode_32 3
		.amdhsa_float_denorm_mode_16_64 3
		.amdhsa_dx10_clamp 1
		.amdhsa_ieee_mode 1
		.amdhsa_fp16_overflow 0
		.amdhsa_tg_split 0
		.amdhsa_exception_fp_ieee_invalid_op 0
		.amdhsa_exception_fp_denorm_src 0
		.amdhsa_exception_fp_ieee_div_zero 0
		.amdhsa_exception_fp_ieee_overflow 0
		.amdhsa_exception_fp_ieee_underflow 0
		.amdhsa_exception_fp_ieee_inexact 0
		.amdhsa_exception_int_div_zero 0
	.end_amdhsa_kernel
	.section	.text._ZN7rocprim17ROCPRIM_400000_NS6detail17trampoline_kernelINS0_14default_configENS1_38merge_sort_block_merge_config_selectorIaNS0_10empty_typeEEEZZNS1_27merge_sort_block_merge_implIS3_N6thrust23THRUST_200600_302600_NS6detail15normal_iteratorINS9_10device_ptrIaEEEEPS5_m14custom_greaterIaEEE10hipError_tT0_T1_T2_jT3_P12ihipStream_tbPNSt15iterator_traitsISJ_E10value_typeEPNSP_ISK_E10value_typeEPSL_NS1_7vsmem_tEENKUlT_SJ_SK_SL_E_clISE_PaSF_SF_EESI_SY_SJ_SK_SL_EUlSY_E_NS1_11comp_targetILNS1_3genE10ELNS1_11target_archE1201ELNS1_3gpuE5ELNS1_3repE0EEENS1_48merge_mergepath_partition_config_static_selectorELNS0_4arch9wavefront6targetE1EEEvSK_,"axG",@progbits,_ZN7rocprim17ROCPRIM_400000_NS6detail17trampoline_kernelINS0_14default_configENS1_38merge_sort_block_merge_config_selectorIaNS0_10empty_typeEEEZZNS1_27merge_sort_block_merge_implIS3_N6thrust23THRUST_200600_302600_NS6detail15normal_iteratorINS9_10device_ptrIaEEEEPS5_m14custom_greaterIaEEE10hipError_tT0_T1_T2_jT3_P12ihipStream_tbPNSt15iterator_traitsISJ_E10value_typeEPNSP_ISK_E10value_typeEPSL_NS1_7vsmem_tEENKUlT_SJ_SK_SL_E_clISE_PaSF_SF_EESI_SY_SJ_SK_SL_EUlSY_E_NS1_11comp_targetILNS1_3genE10ELNS1_11target_archE1201ELNS1_3gpuE5ELNS1_3repE0EEENS1_48merge_mergepath_partition_config_static_selectorELNS0_4arch9wavefront6targetE1EEEvSK_,comdat
.Lfunc_end2810:
	.size	_ZN7rocprim17ROCPRIM_400000_NS6detail17trampoline_kernelINS0_14default_configENS1_38merge_sort_block_merge_config_selectorIaNS0_10empty_typeEEEZZNS1_27merge_sort_block_merge_implIS3_N6thrust23THRUST_200600_302600_NS6detail15normal_iteratorINS9_10device_ptrIaEEEEPS5_m14custom_greaterIaEEE10hipError_tT0_T1_T2_jT3_P12ihipStream_tbPNSt15iterator_traitsISJ_E10value_typeEPNSP_ISK_E10value_typeEPSL_NS1_7vsmem_tEENKUlT_SJ_SK_SL_E_clISE_PaSF_SF_EESI_SY_SJ_SK_SL_EUlSY_E_NS1_11comp_targetILNS1_3genE10ELNS1_11target_archE1201ELNS1_3gpuE5ELNS1_3repE0EEENS1_48merge_mergepath_partition_config_static_selectorELNS0_4arch9wavefront6targetE1EEEvSK_, .Lfunc_end2810-_ZN7rocprim17ROCPRIM_400000_NS6detail17trampoline_kernelINS0_14default_configENS1_38merge_sort_block_merge_config_selectorIaNS0_10empty_typeEEEZZNS1_27merge_sort_block_merge_implIS3_N6thrust23THRUST_200600_302600_NS6detail15normal_iteratorINS9_10device_ptrIaEEEEPS5_m14custom_greaterIaEEE10hipError_tT0_T1_T2_jT3_P12ihipStream_tbPNSt15iterator_traitsISJ_E10value_typeEPNSP_ISK_E10value_typeEPSL_NS1_7vsmem_tEENKUlT_SJ_SK_SL_E_clISE_PaSF_SF_EESI_SY_SJ_SK_SL_EUlSY_E_NS1_11comp_targetILNS1_3genE10ELNS1_11target_archE1201ELNS1_3gpuE5ELNS1_3repE0EEENS1_48merge_mergepath_partition_config_static_selectorELNS0_4arch9wavefront6targetE1EEEvSK_
                                        ; -- End function
	.section	.AMDGPU.csdata,"",@progbits
; Kernel info:
; codeLenInByte = 0
; NumSgprs: 4
; NumVgprs: 0
; NumAgprs: 0
; TotalNumVgprs: 0
; ScratchSize: 0
; MemoryBound: 0
; FloatMode: 240
; IeeeMode: 1
; LDSByteSize: 0 bytes/workgroup (compile time only)
; SGPRBlocks: 0
; VGPRBlocks: 0
; NumSGPRsForWavesPerEU: 4
; NumVGPRsForWavesPerEU: 1
; AccumOffset: 4
; Occupancy: 8
; WaveLimiterHint : 0
; COMPUTE_PGM_RSRC2:SCRATCH_EN: 0
; COMPUTE_PGM_RSRC2:USER_SGPR: 6
; COMPUTE_PGM_RSRC2:TRAP_HANDLER: 0
; COMPUTE_PGM_RSRC2:TGID_X_EN: 1
; COMPUTE_PGM_RSRC2:TGID_Y_EN: 0
; COMPUTE_PGM_RSRC2:TGID_Z_EN: 0
; COMPUTE_PGM_RSRC2:TIDIG_COMP_CNT: 0
; COMPUTE_PGM_RSRC3_GFX90A:ACCUM_OFFSET: 0
; COMPUTE_PGM_RSRC3_GFX90A:TG_SPLIT: 0
	.section	.text._ZN7rocprim17ROCPRIM_400000_NS6detail17trampoline_kernelINS0_14default_configENS1_38merge_sort_block_merge_config_selectorIaNS0_10empty_typeEEEZZNS1_27merge_sort_block_merge_implIS3_N6thrust23THRUST_200600_302600_NS6detail15normal_iteratorINS9_10device_ptrIaEEEEPS5_m14custom_greaterIaEEE10hipError_tT0_T1_T2_jT3_P12ihipStream_tbPNSt15iterator_traitsISJ_E10value_typeEPNSP_ISK_E10value_typeEPSL_NS1_7vsmem_tEENKUlT_SJ_SK_SL_E_clISE_PaSF_SF_EESI_SY_SJ_SK_SL_EUlSY_E_NS1_11comp_targetILNS1_3genE5ELNS1_11target_archE942ELNS1_3gpuE9ELNS1_3repE0EEENS1_48merge_mergepath_partition_config_static_selectorELNS0_4arch9wavefront6targetE1EEEvSK_,"axG",@progbits,_ZN7rocprim17ROCPRIM_400000_NS6detail17trampoline_kernelINS0_14default_configENS1_38merge_sort_block_merge_config_selectorIaNS0_10empty_typeEEEZZNS1_27merge_sort_block_merge_implIS3_N6thrust23THRUST_200600_302600_NS6detail15normal_iteratorINS9_10device_ptrIaEEEEPS5_m14custom_greaterIaEEE10hipError_tT0_T1_T2_jT3_P12ihipStream_tbPNSt15iterator_traitsISJ_E10value_typeEPNSP_ISK_E10value_typeEPSL_NS1_7vsmem_tEENKUlT_SJ_SK_SL_E_clISE_PaSF_SF_EESI_SY_SJ_SK_SL_EUlSY_E_NS1_11comp_targetILNS1_3genE5ELNS1_11target_archE942ELNS1_3gpuE9ELNS1_3repE0EEENS1_48merge_mergepath_partition_config_static_selectorELNS0_4arch9wavefront6targetE1EEEvSK_,comdat
	.protected	_ZN7rocprim17ROCPRIM_400000_NS6detail17trampoline_kernelINS0_14default_configENS1_38merge_sort_block_merge_config_selectorIaNS0_10empty_typeEEEZZNS1_27merge_sort_block_merge_implIS3_N6thrust23THRUST_200600_302600_NS6detail15normal_iteratorINS9_10device_ptrIaEEEEPS5_m14custom_greaterIaEEE10hipError_tT0_T1_T2_jT3_P12ihipStream_tbPNSt15iterator_traitsISJ_E10value_typeEPNSP_ISK_E10value_typeEPSL_NS1_7vsmem_tEENKUlT_SJ_SK_SL_E_clISE_PaSF_SF_EESI_SY_SJ_SK_SL_EUlSY_E_NS1_11comp_targetILNS1_3genE5ELNS1_11target_archE942ELNS1_3gpuE9ELNS1_3repE0EEENS1_48merge_mergepath_partition_config_static_selectorELNS0_4arch9wavefront6targetE1EEEvSK_ ; -- Begin function _ZN7rocprim17ROCPRIM_400000_NS6detail17trampoline_kernelINS0_14default_configENS1_38merge_sort_block_merge_config_selectorIaNS0_10empty_typeEEEZZNS1_27merge_sort_block_merge_implIS3_N6thrust23THRUST_200600_302600_NS6detail15normal_iteratorINS9_10device_ptrIaEEEEPS5_m14custom_greaterIaEEE10hipError_tT0_T1_T2_jT3_P12ihipStream_tbPNSt15iterator_traitsISJ_E10value_typeEPNSP_ISK_E10value_typeEPSL_NS1_7vsmem_tEENKUlT_SJ_SK_SL_E_clISE_PaSF_SF_EESI_SY_SJ_SK_SL_EUlSY_E_NS1_11comp_targetILNS1_3genE5ELNS1_11target_archE942ELNS1_3gpuE9ELNS1_3repE0EEENS1_48merge_mergepath_partition_config_static_selectorELNS0_4arch9wavefront6targetE1EEEvSK_
	.globl	_ZN7rocprim17ROCPRIM_400000_NS6detail17trampoline_kernelINS0_14default_configENS1_38merge_sort_block_merge_config_selectorIaNS0_10empty_typeEEEZZNS1_27merge_sort_block_merge_implIS3_N6thrust23THRUST_200600_302600_NS6detail15normal_iteratorINS9_10device_ptrIaEEEEPS5_m14custom_greaterIaEEE10hipError_tT0_T1_T2_jT3_P12ihipStream_tbPNSt15iterator_traitsISJ_E10value_typeEPNSP_ISK_E10value_typeEPSL_NS1_7vsmem_tEENKUlT_SJ_SK_SL_E_clISE_PaSF_SF_EESI_SY_SJ_SK_SL_EUlSY_E_NS1_11comp_targetILNS1_3genE5ELNS1_11target_archE942ELNS1_3gpuE9ELNS1_3repE0EEENS1_48merge_mergepath_partition_config_static_selectorELNS0_4arch9wavefront6targetE1EEEvSK_
	.p2align	8
	.type	_ZN7rocprim17ROCPRIM_400000_NS6detail17trampoline_kernelINS0_14default_configENS1_38merge_sort_block_merge_config_selectorIaNS0_10empty_typeEEEZZNS1_27merge_sort_block_merge_implIS3_N6thrust23THRUST_200600_302600_NS6detail15normal_iteratorINS9_10device_ptrIaEEEEPS5_m14custom_greaterIaEEE10hipError_tT0_T1_T2_jT3_P12ihipStream_tbPNSt15iterator_traitsISJ_E10value_typeEPNSP_ISK_E10value_typeEPSL_NS1_7vsmem_tEENKUlT_SJ_SK_SL_E_clISE_PaSF_SF_EESI_SY_SJ_SK_SL_EUlSY_E_NS1_11comp_targetILNS1_3genE5ELNS1_11target_archE942ELNS1_3gpuE9ELNS1_3repE0EEENS1_48merge_mergepath_partition_config_static_selectorELNS0_4arch9wavefront6targetE1EEEvSK_,@function
_ZN7rocprim17ROCPRIM_400000_NS6detail17trampoline_kernelINS0_14default_configENS1_38merge_sort_block_merge_config_selectorIaNS0_10empty_typeEEEZZNS1_27merge_sort_block_merge_implIS3_N6thrust23THRUST_200600_302600_NS6detail15normal_iteratorINS9_10device_ptrIaEEEEPS5_m14custom_greaterIaEEE10hipError_tT0_T1_T2_jT3_P12ihipStream_tbPNSt15iterator_traitsISJ_E10value_typeEPNSP_ISK_E10value_typeEPSL_NS1_7vsmem_tEENKUlT_SJ_SK_SL_E_clISE_PaSF_SF_EESI_SY_SJ_SK_SL_EUlSY_E_NS1_11comp_targetILNS1_3genE5ELNS1_11target_archE942ELNS1_3gpuE9ELNS1_3repE0EEENS1_48merge_mergepath_partition_config_static_selectorELNS0_4arch9wavefront6targetE1EEEvSK_: ; @_ZN7rocprim17ROCPRIM_400000_NS6detail17trampoline_kernelINS0_14default_configENS1_38merge_sort_block_merge_config_selectorIaNS0_10empty_typeEEEZZNS1_27merge_sort_block_merge_implIS3_N6thrust23THRUST_200600_302600_NS6detail15normal_iteratorINS9_10device_ptrIaEEEEPS5_m14custom_greaterIaEEE10hipError_tT0_T1_T2_jT3_P12ihipStream_tbPNSt15iterator_traitsISJ_E10value_typeEPNSP_ISK_E10value_typeEPSL_NS1_7vsmem_tEENKUlT_SJ_SK_SL_E_clISE_PaSF_SF_EESI_SY_SJ_SK_SL_EUlSY_E_NS1_11comp_targetILNS1_3genE5ELNS1_11target_archE942ELNS1_3gpuE9ELNS1_3repE0EEENS1_48merge_mergepath_partition_config_static_selectorELNS0_4arch9wavefront6targetE1EEEvSK_
; %bb.0:
	.section	.rodata,"a",@progbits
	.p2align	6, 0x0
	.amdhsa_kernel _ZN7rocprim17ROCPRIM_400000_NS6detail17trampoline_kernelINS0_14default_configENS1_38merge_sort_block_merge_config_selectorIaNS0_10empty_typeEEEZZNS1_27merge_sort_block_merge_implIS3_N6thrust23THRUST_200600_302600_NS6detail15normal_iteratorINS9_10device_ptrIaEEEEPS5_m14custom_greaterIaEEE10hipError_tT0_T1_T2_jT3_P12ihipStream_tbPNSt15iterator_traitsISJ_E10value_typeEPNSP_ISK_E10value_typeEPSL_NS1_7vsmem_tEENKUlT_SJ_SK_SL_E_clISE_PaSF_SF_EESI_SY_SJ_SK_SL_EUlSY_E_NS1_11comp_targetILNS1_3genE5ELNS1_11target_archE942ELNS1_3gpuE9ELNS1_3repE0EEENS1_48merge_mergepath_partition_config_static_selectorELNS0_4arch9wavefront6targetE1EEEvSK_
		.amdhsa_group_segment_fixed_size 0
		.amdhsa_private_segment_fixed_size 0
		.amdhsa_kernarg_size 48
		.amdhsa_user_sgpr_count 6
		.amdhsa_user_sgpr_private_segment_buffer 1
		.amdhsa_user_sgpr_dispatch_ptr 0
		.amdhsa_user_sgpr_queue_ptr 0
		.amdhsa_user_sgpr_kernarg_segment_ptr 1
		.amdhsa_user_sgpr_dispatch_id 0
		.amdhsa_user_sgpr_flat_scratch_init 0
		.amdhsa_user_sgpr_kernarg_preload_length 0
		.amdhsa_user_sgpr_kernarg_preload_offset 0
		.amdhsa_user_sgpr_private_segment_size 0
		.amdhsa_uses_dynamic_stack 0
		.amdhsa_system_sgpr_private_segment_wavefront_offset 0
		.amdhsa_system_sgpr_workgroup_id_x 1
		.amdhsa_system_sgpr_workgroup_id_y 0
		.amdhsa_system_sgpr_workgroup_id_z 0
		.amdhsa_system_sgpr_workgroup_info 0
		.amdhsa_system_vgpr_workitem_id 0
		.amdhsa_next_free_vgpr 1
		.amdhsa_next_free_sgpr 0
		.amdhsa_accum_offset 4
		.amdhsa_reserve_vcc 0
		.amdhsa_reserve_flat_scratch 0
		.amdhsa_float_round_mode_32 0
		.amdhsa_float_round_mode_16_64 0
		.amdhsa_float_denorm_mode_32 3
		.amdhsa_float_denorm_mode_16_64 3
		.amdhsa_dx10_clamp 1
		.amdhsa_ieee_mode 1
		.amdhsa_fp16_overflow 0
		.amdhsa_tg_split 0
		.amdhsa_exception_fp_ieee_invalid_op 0
		.amdhsa_exception_fp_denorm_src 0
		.amdhsa_exception_fp_ieee_div_zero 0
		.amdhsa_exception_fp_ieee_overflow 0
		.amdhsa_exception_fp_ieee_underflow 0
		.amdhsa_exception_fp_ieee_inexact 0
		.amdhsa_exception_int_div_zero 0
	.end_amdhsa_kernel
	.section	.text._ZN7rocprim17ROCPRIM_400000_NS6detail17trampoline_kernelINS0_14default_configENS1_38merge_sort_block_merge_config_selectorIaNS0_10empty_typeEEEZZNS1_27merge_sort_block_merge_implIS3_N6thrust23THRUST_200600_302600_NS6detail15normal_iteratorINS9_10device_ptrIaEEEEPS5_m14custom_greaterIaEEE10hipError_tT0_T1_T2_jT3_P12ihipStream_tbPNSt15iterator_traitsISJ_E10value_typeEPNSP_ISK_E10value_typeEPSL_NS1_7vsmem_tEENKUlT_SJ_SK_SL_E_clISE_PaSF_SF_EESI_SY_SJ_SK_SL_EUlSY_E_NS1_11comp_targetILNS1_3genE5ELNS1_11target_archE942ELNS1_3gpuE9ELNS1_3repE0EEENS1_48merge_mergepath_partition_config_static_selectorELNS0_4arch9wavefront6targetE1EEEvSK_,"axG",@progbits,_ZN7rocprim17ROCPRIM_400000_NS6detail17trampoline_kernelINS0_14default_configENS1_38merge_sort_block_merge_config_selectorIaNS0_10empty_typeEEEZZNS1_27merge_sort_block_merge_implIS3_N6thrust23THRUST_200600_302600_NS6detail15normal_iteratorINS9_10device_ptrIaEEEEPS5_m14custom_greaterIaEEE10hipError_tT0_T1_T2_jT3_P12ihipStream_tbPNSt15iterator_traitsISJ_E10value_typeEPNSP_ISK_E10value_typeEPSL_NS1_7vsmem_tEENKUlT_SJ_SK_SL_E_clISE_PaSF_SF_EESI_SY_SJ_SK_SL_EUlSY_E_NS1_11comp_targetILNS1_3genE5ELNS1_11target_archE942ELNS1_3gpuE9ELNS1_3repE0EEENS1_48merge_mergepath_partition_config_static_selectorELNS0_4arch9wavefront6targetE1EEEvSK_,comdat
.Lfunc_end2811:
	.size	_ZN7rocprim17ROCPRIM_400000_NS6detail17trampoline_kernelINS0_14default_configENS1_38merge_sort_block_merge_config_selectorIaNS0_10empty_typeEEEZZNS1_27merge_sort_block_merge_implIS3_N6thrust23THRUST_200600_302600_NS6detail15normal_iteratorINS9_10device_ptrIaEEEEPS5_m14custom_greaterIaEEE10hipError_tT0_T1_T2_jT3_P12ihipStream_tbPNSt15iterator_traitsISJ_E10value_typeEPNSP_ISK_E10value_typeEPSL_NS1_7vsmem_tEENKUlT_SJ_SK_SL_E_clISE_PaSF_SF_EESI_SY_SJ_SK_SL_EUlSY_E_NS1_11comp_targetILNS1_3genE5ELNS1_11target_archE942ELNS1_3gpuE9ELNS1_3repE0EEENS1_48merge_mergepath_partition_config_static_selectorELNS0_4arch9wavefront6targetE1EEEvSK_, .Lfunc_end2811-_ZN7rocprim17ROCPRIM_400000_NS6detail17trampoline_kernelINS0_14default_configENS1_38merge_sort_block_merge_config_selectorIaNS0_10empty_typeEEEZZNS1_27merge_sort_block_merge_implIS3_N6thrust23THRUST_200600_302600_NS6detail15normal_iteratorINS9_10device_ptrIaEEEEPS5_m14custom_greaterIaEEE10hipError_tT0_T1_T2_jT3_P12ihipStream_tbPNSt15iterator_traitsISJ_E10value_typeEPNSP_ISK_E10value_typeEPSL_NS1_7vsmem_tEENKUlT_SJ_SK_SL_E_clISE_PaSF_SF_EESI_SY_SJ_SK_SL_EUlSY_E_NS1_11comp_targetILNS1_3genE5ELNS1_11target_archE942ELNS1_3gpuE9ELNS1_3repE0EEENS1_48merge_mergepath_partition_config_static_selectorELNS0_4arch9wavefront6targetE1EEEvSK_
                                        ; -- End function
	.section	.AMDGPU.csdata,"",@progbits
; Kernel info:
; codeLenInByte = 0
; NumSgprs: 4
; NumVgprs: 0
; NumAgprs: 0
; TotalNumVgprs: 0
; ScratchSize: 0
; MemoryBound: 0
; FloatMode: 240
; IeeeMode: 1
; LDSByteSize: 0 bytes/workgroup (compile time only)
; SGPRBlocks: 0
; VGPRBlocks: 0
; NumSGPRsForWavesPerEU: 4
; NumVGPRsForWavesPerEU: 1
; AccumOffset: 4
; Occupancy: 8
; WaveLimiterHint : 0
; COMPUTE_PGM_RSRC2:SCRATCH_EN: 0
; COMPUTE_PGM_RSRC2:USER_SGPR: 6
; COMPUTE_PGM_RSRC2:TRAP_HANDLER: 0
; COMPUTE_PGM_RSRC2:TGID_X_EN: 1
; COMPUTE_PGM_RSRC2:TGID_Y_EN: 0
; COMPUTE_PGM_RSRC2:TGID_Z_EN: 0
; COMPUTE_PGM_RSRC2:TIDIG_COMP_CNT: 0
; COMPUTE_PGM_RSRC3_GFX90A:ACCUM_OFFSET: 0
; COMPUTE_PGM_RSRC3_GFX90A:TG_SPLIT: 0
	.section	.text._ZN7rocprim17ROCPRIM_400000_NS6detail17trampoline_kernelINS0_14default_configENS1_38merge_sort_block_merge_config_selectorIaNS0_10empty_typeEEEZZNS1_27merge_sort_block_merge_implIS3_N6thrust23THRUST_200600_302600_NS6detail15normal_iteratorINS9_10device_ptrIaEEEEPS5_m14custom_greaterIaEEE10hipError_tT0_T1_T2_jT3_P12ihipStream_tbPNSt15iterator_traitsISJ_E10value_typeEPNSP_ISK_E10value_typeEPSL_NS1_7vsmem_tEENKUlT_SJ_SK_SL_E_clISE_PaSF_SF_EESI_SY_SJ_SK_SL_EUlSY_E_NS1_11comp_targetILNS1_3genE4ELNS1_11target_archE910ELNS1_3gpuE8ELNS1_3repE0EEENS1_48merge_mergepath_partition_config_static_selectorELNS0_4arch9wavefront6targetE1EEEvSK_,"axG",@progbits,_ZN7rocprim17ROCPRIM_400000_NS6detail17trampoline_kernelINS0_14default_configENS1_38merge_sort_block_merge_config_selectorIaNS0_10empty_typeEEEZZNS1_27merge_sort_block_merge_implIS3_N6thrust23THRUST_200600_302600_NS6detail15normal_iteratorINS9_10device_ptrIaEEEEPS5_m14custom_greaterIaEEE10hipError_tT0_T1_T2_jT3_P12ihipStream_tbPNSt15iterator_traitsISJ_E10value_typeEPNSP_ISK_E10value_typeEPSL_NS1_7vsmem_tEENKUlT_SJ_SK_SL_E_clISE_PaSF_SF_EESI_SY_SJ_SK_SL_EUlSY_E_NS1_11comp_targetILNS1_3genE4ELNS1_11target_archE910ELNS1_3gpuE8ELNS1_3repE0EEENS1_48merge_mergepath_partition_config_static_selectorELNS0_4arch9wavefront6targetE1EEEvSK_,comdat
	.protected	_ZN7rocprim17ROCPRIM_400000_NS6detail17trampoline_kernelINS0_14default_configENS1_38merge_sort_block_merge_config_selectorIaNS0_10empty_typeEEEZZNS1_27merge_sort_block_merge_implIS3_N6thrust23THRUST_200600_302600_NS6detail15normal_iteratorINS9_10device_ptrIaEEEEPS5_m14custom_greaterIaEEE10hipError_tT0_T1_T2_jT3_P12ihipStream_tbPNSt15iterator_traitsISJ_E10value_typeEPNSP_ISK_E10value_typeEPSL_NS1_7vsmem_tEENKUlT_SJ_SK_SL_E_clISE_PaSF_SF_EESI_SY_SJ_SK_SL_EUlSY_E_NS1_11comp_targetILNS1_3genE4ELNS1_11target_archE910ELNS1_3gpuE8ELNS1_3repE0EEENS1_48merge_mergepath_partition_config_static_selectorELNS0_4arch9wavefront6targetE1EEEvSK_ ; -- Begin function _ZN7rocprim17ROCPRIM_400000_NS6detail17trampoline_kernelINS0_14default_configENS1_38merge_sort_block_merge_config_selectorIaNS0_10empty_typeEEEZZNS1_27merge_sort_block_merge_implIS3_N6thrust23THRUST_200600_302600_NS6detail15normal_iteratorINS9_10device_ptrIaEEEEPS5_m14custom_greaterIaEEE10hipError_tT0_T1_T2_jT3_P12ihipStream_tbPNSt15iterator_traitsISJ_E10value_typeEPNSP_ISK_E10value_typeEPSL_NS1_7vsmem_tEENKUlT_SJ_SK_SL_E_clISE_PaSF_SF_EESI_SY_SJ_SK_SL_EUlSY_E_NS1_11comp_targetILNS1_3genE4ELNS1_11target_archE910ELNS1_3gpuE8ELNS1_3repE0EEENS1_48merge_mergepath_partition_config_static_selectorELNS0_4arch9wavefront6targetE1EEEvSK_
	.globl	_ZN7rocprim17ROCPRIM_400000_NS6detail17trampoline_kernelINS0_14default_configENS1_38merge_sort_block_merge_config_selectorIaNS0_10empty_typeEEEZZNS1_27merge_sort_block_merge_implIS3_N6thrust23THRUST_200600_302600_NS6detail15normal_iteratorINS9_10device_ptrIaEEEEPS5_m14custom_greaterIaEEE10hipError_tT0_T1_T2_jT3_P12ihipStream_tbPNSt15iterator_traitsISJ_E10value_typeEPNSP_ISK_E10value_typeEPSL_NS1_7vsmem_tEENKUlT_SJ_SK_SL_E_clISE_PaSF_SF_EESI_SY_SJ_SK_SL_EUlSY_E_NS1_11comp_targetILNS1_3genE4ELNS1_11target_archE910ELNS1_3gpuE8ELNS1_3repE0EEENS1_48merge_mergepath_partition_config_static_selectorELNS0_4arch9wavefront6targetE1EEEvSK_
	.p2align	8
	.type	_ZN7rocprim17ROCPRIM_400000_NS6detail17trampoline_kernelINS0_14default_configENS1_38merge_sort_block_merge_config_selectorIaNS0_10empty_typeEEEZZNS1_27merge_sort_block_merge_implIS3_N6thrust23THRUST_200600_302600_NS6detail15normal_iteratorINS9_10device_ptrIaEEEEPS5_m14custom_greaterIaEEE10hipError_tT0_T1_T2_jT3_P12ihipStream_tbPNSt15iterator_traitsISJ_E10value_typeEPNSP_ISK_E10value_typeEPSL_NS1_7vsmem_tEENKUlT_SJ_SK_SL_E_clISE_PaSF_SF_EESI_SY_SJ_SK_SL_EUlSY_E_NS1_11comp_targetILNS1_3genE4ELNS1_11target_archE910ELNS1_3gpuE8ELNS1_3repE0EEENS1_48merge_mergepath_partition_config_static_selectorELNS0_4arch9wavefront6targetE1EEEvSK_,@function
_ZN7rocprim17ROCPRIM_400000_NS6detail17trampoline_kernelINS0_14default_configENS1_38merge_sort_block_merge_config_selectorIaNS0_10empty_typeEEEZZNS1_27merge_sort_block_merge_implIS3_N6thrust23THRUST_200600_302600_NS6detail15normal_iteratorINS9_10device_ptrIaEEEEPS5_m14custom_greaterIaEEE10hipError_tT0_T1_T2_jT3_P12ihipStream_tbPNSt15iterator_traitsISJ_E10value_typeEPNSP_ISK_E10value_typeEPSL_NS1_7vsmem_tEENKUlT_SJ_SK_SL_E_clISE_PaSF_SF_EESI_SY_SJ_SK_SL_EUlSY_E_NS1_11comp_targetILNS1_3genE4ELNS1_11target_archE910ELNS1_3gpuE8ELNS1_3repE0EEENS1_48merge_mergepath_partition_config_static_selectorELNS0_4arch9wavefront6targetE1EEEvSK_: ; @_ZN7rocprim17ROCPRIM_400000_NS6detail17trampoline_kernelINS0_14default_configENS1_38merge_sort_block_merge_config_selectorIaNS0_10empty_typeEEEZZNS1_27merge_sort_block_merge_implIS3_N6thrust23THRUST_200600_302600_NS6detail15normal_iteratorINS9_10device_ptrIaEEEEPS5_m14custom_greaterIaEEE10hipError_tT0_T1_T2_jT3_P12ihipStream_tbPNSt15iterator_traitsISJ_E10value_typeEPNSP_ISK_E10value_typeEPSL_NS1_7vsmem_tEENKUlT_SJ_SK_SL_E_clISE_PaSF_SF_EESI_SY_SJ_SK_SL_EUlSY_E_NS1_11comp_targetILNS1_3genE4ELNS1_11target_archE910ELNS1_3gpuE8ELNS1_3repE0EEENS1_48merge_mergepath_partition_config_static_selectorELNS0_4arch9wavefront6targetE1EEEvSK_
; %bb.0:
	s_load_dword s0, s[4:5], 0x0
	v_lshl_or_b32 v0, s6, 7, v0
	s_waitcnt lgkmcnt(0)
	v_cmp_gt_u32_e32 vcc, s0, v0
	s_and_saveexec_b64 s[0:1], vcc
	s_cbranch_execz .LBB2812_6
; %bb.1:
	s_load_dwordx4 s[0:3], s[4:5], 0x8
	s_load_dwordx2 s[6:7], s[4:5], 0x28
	v_mov_b32_e32 v5, 0
	s_waitcnt lgkmcnt(0)
	v_mov_b32_e32 v1, s0
	v_alignbit_b32 v1, s1, v1, 9
	v_and_b32_e32 v1, -2, v1
	v_add_u32_e32 v2, -1, v1
	v_sub_u32_e32 v1, 0, v1
	v_and_b32_e32 v4, v0, v1
	v_lshlrev_b64 v[8:9], 10, v[4:5]
	v_mov_b32_e32 v4, s3
	v_cmp_lt_u64_e32 vcc, s[2:3], v[8:9]
	v_mov_b32_e32 v7, s2
	v_and_b32_e32 v6, v2, v0
	v_cndmask_b32_e32 v1, v9, v4, vcc
	v_cndmask_b32_e32 v2, v8, v7, vcc
	v_mov_b32_e32 v3, s1
	v_add_co_u32_e32 v8, vcc, s0, v8
	v_addc_co_u32_e32 v9, vcc, v9, v3, vcc
	v_cmp_lt_u64_e32 vcc, s[2:3], v[8:9]
	v_cndmask_b32_e32 v8, v8, v7, vcc
	v_cndmask_b32_e32 v3, v9, v4, vcc
	v_mov_b32_e32 v9, s1
	v_add_co_u32_e32 v10, vcc, s0, v8
	v_addc_co_u32_e32 v11, vcc, v3, v9, vcc
	v_cmp_lt_u64_e32 vcc, s[2:3], v[10:11]
	v_cndmask_b32_e32 v12, v10, v7, vcc
	v_cndmask_b32_e32 v9, v11, v4, vcc
	v_sub_co_u32_e32 v10, vcc, v12, v2
	v_mov_b32_e32 v7, v5
	v_subb_co_u32_e32 v11, vcc, v9, v1, vcc
	v_lshlrev_b64 v[4:5], 10, v[6:7]
	v_cmp_lt_u64_e32 vcc, v[10:11], v[4:5]
	v_cndmask_b32_e32 v11, v5, v11, vcc
	v_cndmask_b32_e32 v10, v4, v10, vcc
	v_sub_co_u32_e32 v6, vcc, v8, v2
	v_subb_co_u32_e32 v7, vcc, v3, v1, vcc
	v_sub_co_u32_e32 v4, vcc, v8, v12
	v_subb_co_u32_e32 v5, vcc, v3, v9, vcc
	v_add_co_u32_e32 v4, vcc, v10, v4
	v_addc_co_u32_e32 v5, vcc, v11, v5, vcc
	v_cmp_gt_u64_e32 vcc, v[4:5], v[10:11]
	v_cndmask_b32_e64 v5, v5, 0, vcc
	v_cndmask_b32_e64 v4, v4, 0, vcc
	v_cmp_lt_u64_e32 vcc, v[10:11], v[6:7]
	v_cndmask_b32_e32 v7, v7, v11, vcc
	v_cndmask_b32_e32 v6, v6, v10, vcc
	v_cmp_lt_u64_e32 vcc, v[4:5], v[6:7]
	s_and_saveexec_b64 s[0:1], vcc
	s_cbranch_execz .LBB2812_5
; %bb.2:
	s_load_dwordx2 s[2:3], s[4:5], 0x18
	s_waitcnt lgkmcnt(0)
	v_mov_b32_e32 v13, s3
	v_add_co_u32_e32 v9, vcc, s2, v2
	v_addc_co_u32_e32 v12, vcc, v13, v1, vcc
	v_add_co_u32_e32 v8, vcc, s2, v8
	v_addc_co_u32_e32 v13, vcc, v13, v3, vcc
	;; [unrolled: 2-line block ×3, first 2 shown]
	s_mov_b64 s[2:3], 0
.LBB2812_3:                             ; =>This Inner Loop Header: Depth=1
	v_add_co_u32_e32 v10, vcc, v6, v4
	v_addc_co_u32_e32 v11, vcc, v7, v5, vcc
	v_lshrrev_b64 v[10:11], 1, v[10:11]
	v_add_co_u32_e32 v14, vcc, v9, v10
	v_not_b32_e32 v16, v10
	v_addc_co_u32_e32 v15, vcc, v12, v11, vcc
	v_not_b32_e32 v13, v11
	v_add_co_u32_e32 v16, vcc, v3, v16
	v_addc_co_u32_e32 v17, vcc, v8, v13, vcc
	flat_load_sbyte v13, v[14:15]
	flat_load_sbyte v18, v[16:17]
	v_add_co_u32_e32 v14, vcc, 1, v10
	v_addc_co_u32_e32 v15, vcc, 0, v11, vcc
	s_waitcnt vmcnt(0) lgkmcnt(0)
	v_cmp_gt_i16_e32 vcc, v13, v18
	v_cndmask_b32_e32 v7, v7, v11, vcc
	v_cndmask_b32_e32 v6, v6, v10, vcc
	;; [unrolled: 1-line block ×4, first 2 shown]
	v_cmp_ge_u64_e32 vcc, v[4:5], v[6:7]
	s_or_b64 s[2:3], vcc, s[2:3]
	s_andn2_b64 exec, exec, s[2:3]
	s_cbranch_execnz .LBB2812_3
; %bb.4:
	s_or_b64 exec, exec, s[2:3]
.LBB2812_5:
	s_or_b64 exec, exec, s[0:1]
	v_add_co_u32_e32 v2, vcc, v4, v2
	v_addc_co_u32_e32 v3, vcc, v5, v1, vcc
	v_mov_b32_e32 v1, 0
	v_lshlrev_b64 v[0:1], 3, v[0:1]
	v_mov_b32_e32 v4, s7
	v_add_co_u32_e32 v0, vcc, s6, v0
	v_addc_co_u32_e32 v1, vcc, v4, v1, vcc
	global_store_dwordx2 v[0:1], v[2:3], off
.LBB2812_6:
	s_endpgm
	.section	.rodata,"a",@progbits
	.p2align	6, 0x0
	.amdhsa_kernel _ZN7rocprim17ROCPRIM_400000_NS6detail17trampoline_kernelINS0_14default_configENS1_38merge_sort_block_merge_config_selectorIaNS0_10empty_typeEEEZZNS1_27merge_sort_block_merge_implIS3_N6thrust23THRUST_200600_302600_NS6detail15normal_iteratorINS9_10device_ptrIaEEEEPS5_m14custom_greaterIaEEE10hipError_tT0_T1_T2_jT3_P12ihipStream_tbPNSt15iterator_traitsISJ_E10value_typeEPNSP_ISK_E10value_typeEPSL_NS1_7vsmem_tEENKUlT_SJ_SK_SL_E_clISE_PaSF_SF_EESI_SY_SJ_SK_SL_EUlSY_E_NS1_11comp_targetILNS1_3genE4ELNS1_11target_archE910ELNS1_3gpuE8ELNS1_3repE0EEENS1_48merge_mergepath_partition_config_static_selectorELNS0_4arch9wavefront6targetE1EEEvSK_
		.amdhsa_group_segment_fixed_size 0
		.amdhsa_private_segment_fixed_size 0
		.amdhsa_kernarg_size 48
		.amdhsa_user_sgpr_count 6
		.amdhsa_user_sgpr_private_segment_buffer 1
		.amdhsa_user_sgpr_dispatch_ptr 0
		.amdhsa_user_sgpr_queue_ptr 0
		.amdhsa_user_sgpr_kernarg_segment_ptr 1
		.amdhsa_user_sgpr_dispatch_id 0
		.amdhsa_user_sgpr_flat_scratch_init 0
		.amdhsa_user_sgpr_kernarg_preload_length 0
		.amdhsa_user_sgpr_kernarg_preload_offset 0
		.amdhsa_user_sgpr_private_segment_size 0
		.amdhsa_uses_dynamic_stack 0
		.amdhsa_system_sgpr_private_segment_wavefront_offset 0
		.amdhsa_system_sgpr_workgroup_id_x 1
		.amdhsa_system_sgpr_workgroup_id_y 0
		.amdhsa_system_sgpr_workgroup_id_z 0
		.amdhsa_system_sgpr_workgroup_info 0
		.amdhsa_system_vgpr_workitem_id 0
		.amdhsa_next_free_vgpr 19
		.amdhsa_next_free_sgpr 8
		.amdhsa_accum_offset 20
		.amdhsa_reserve_vcc 1
		.amdhsa_reserve_flat_scratch 0
		.amdhsa_float_round_mode_32 0
		.amdhsa_float_round_mode_16_64 0
		.amdhsa_float_denorm_mode_32 3
		.amdhsa_float_denorm_mode_16_64 3
		.amdhsa_dx10_clamp 1
		.amdhsa_ieee_mode 1
		.amdhsa_fp16_overflow 0
		.amdhsa_tg_split 0
		.amdhsa_exception_fp_ieee_invalid_op 0
		.amdhsa_exception_fp_denorm_src 0
		.amdhsa_exception_fp_ieee_div_zero 0
		.amdhsa_exception_fp_ieee_overflow 0
		.amdhsa_exception_fp_ieee_underflow 0
		.amdhsa_exception_fp_ieee_inexact 0
		.amdhsa_exception_int_div_zero 0
	.end_amdhsa_kernel
	.section	.text._ZN7rocprim17ROCPRIM_400000_NS6detail17trampoline_kernelINS0_14default_configENS1_38merge_sort_block_merge_config_selectorIaNS0_10empty_typeEEEZZNS1_27merge_sort_block_merge_implIS3_N6thrust23THRUST_200600_302600_NS6detail15normal_iteratorINS9_10device_ptrIaEEEEPS5_m14custom_greaterIaEEE10hipError_tT0_T1_T2_jT3_P12ihipStream_tbPNSt15iterator_traitsISJ_E10value_typeEPNSP_ISK_E10value_typeEPSL_NS1_7vsmem_tEENKUlT_SJ_SK_SL_E_clISE_PaSF_SF_EESI_SY_SJ_SK_SL_EUlSY_E_NS1_11comp_targetILNS1_3genE4ELNS1_11target_archE910ELNS1_3gpuE8ELNS1_3repE0EEENS1_48merge_mergepath_partition_config_static_selectorELNS0_4arch9wavefront6targetE1EEEvSK_,"axG",@progbits,_ZN7rocprim17ROCPRIM_400000_NS6detail17trampoline_kernelINS0_14default_configENS1_38merge_sort_block_merge_config_selectorIaNS0_10empty_typeEEEZZNS1_27merge_sort_block_merge_implIS3_N6thrust23THRUST_200600_302600_NS6detail15normal_iteratorINS9_10device_ptrIaEEEEPS5_m14custom_greaterIaEEE10hipError_tT0_T1_T2_jT3_P12ihipStream_tbPNSt15iterator_traitsISJ_E10value_typeEPNSP_ISK_E10value_typeEPSL_NS1_7vsmem_tEENKUlT_SJ_SK_SL_E_clISE_PaSF_SF_EESI_SY_SJ_SK_SL_EUlSY_E_NS1_11comp_targetILNS1_3genE4ELNS1_11target_archE910ELNS1_3gpuE8ELNS1_3repE0EEENS1_48merge_mergepath_partition_config_static_selectorELNS0_4arch9wavefront6targetE1EEEvSK_,comdat
.Lfunc_end2812:
	.size	_ZN7rocprim17ROCPRIM_400000_NS6detail17trampoline_kernelINS0_14default_configENS1_38merge_sort_block_merge_config_selectorIaNS0_10empty_typeEEEZZNS1_27merge_sort_block_merge_implIS3_N6thrust23THRUST_200600_302600_NS6detail15normal_iteratorINS9_10device_ptrIaEEEEPS5_m14custom_greaterIaEEE10hipError_tT0_T1_T2_jT3_P12ihipStream_tbPNSt15iterator_traitsISJ_E10value_typeEPNSP_ISK_E10value_typeEPSL_NS1_7vsmem_tEENKUlT_SJ_SK_SL_E_clISE_PaSF_SF_EESI_SY_SJ_SK_SL_EUlSY_E_NS1_11comp_targetILNS1_3genE4ELNS1_11target_archE910ELNS1_3gpuE8ELNS1_3repE0EEENS1_48merge_mergepath_partition_config_static_selectorELNS0_4arch9wavefront6targetE1EEEvSK_, .Lfunc_end2812-_ZN7rocprim17ROCPRIM_400000_NS6detail17trampoline_kernelINS0_14default_configENS1_38merge_sort_block_merge_config_selectorIaNS0_10empty_typeEEEZZNS1_27merge_sort_block_merge_implIS3_N6thrust23THRUST_200600_302600_NS6detail15normal_iteratorINS9_10device_ptrIaEEEEPS5_m14custom_greaterIaEEE10hipError_tT0_T1_T2_jT3_P12ihipStream_tbPNSt15iterator_traitsISJ_E10value_typeEPNSP_ISK_E10value_typeEPSL_NS1_7vsmem_tEENKUlT_SJ_SK_SL_E_clISE_PaSF_SF_EESI_SY_SJ_SK_SL_EUlSY_E_NS1_11comp_targetILNS1_3genE4ELNS1_11target_archE910ELNS1_3gpuE8ELNS1_3repE0EEENS1_48merge_mergepath_partition_config_static_selectorELNS0_4arch9wavefront6targetE1EEEvSK_
                                        ; -- End function
	.section	.AMDGPU.csdata,"",@progbits
; Kernel info:
; codeLenInByte = 464
; NumSgprs: 12
; NumVgprs: 19
; NumAgprs: 0
; TotalNumVgprs: 19
; ScratchSize: 0
; MemoryBound: 0
; FloatMode: 240
; IeeeMode: 1
; LDSByteSize: 0 bytes/workgroup (compile time only)
; SGPRBlocks: 1
; VGPRBlocks: 2
; NumSGPRsForWavesPerEU: 12
; NumVGPRsForWavesPerEU: 19
; AccumOffset: 20
; Occupancy: 8
; WaveLimiterHint : 0
; COMPUTE_PGM_RSRC2:SCRATCH_EN: 0
; COMPUTE_PGM_RSRC2:USER_SGPR: 6
; COMPUTE_PGM_RSRC2:TRAP_HANDLER: 0
; COMPUTE_PGM_RSRC2:TGID_X_EN: 1
; COMPUTE_PGM_RSRC2:TGID_Y_EN: 0
; COMPUTE_PGM_RSRC2:TGID_Z_EN: 0
; COMPUTE_PGM_RSRC2:TIDIG_COMP_CNT: 0
; COMPUTE_PGM_RSRC3_GFX90A:ACCUM_OFFSET: 4
; COMPUTE_PGM_RSRC3_GFX90A:TG_SPLIT: 0
	.section	.text._ZN7rocprim17ROCPRIM_400000_NS6detail17trampoline_kernelINS0_14default_configENS1_38merge_sort_block_merge_config_selectorIaNS0_10empty_typeEEEZZNS1_27merge_sort_block_merge_implIS3_N6thrust23THRUST_200600_302600_NS6detail15normal_iteratorINS9_10device_ptrIaEEEEPS5_m14custom_greaterIaEEE10hipError_tT0_T1_T2_jT3_P12ihipStream_tbPNSt15iterator_traitsISJ_E10value_typeEPNSP_ISK_E10value_typeEPSL_NS1_7vsmem_tEENKUlT_SJ_SK_SL_E_clISE_PaSF_SF_EESI_SY_SJ_SK_SL_EUlSY_E_NS1_11comp_targetILNS1_3genE3ELNS1_11target_archE908ELNS1_3gpuE7ELNS1_3repE0EEENS1_48merge_mergepath_partition_config_static_selectorELNS0_4arch9wavefront6targetE1EEEvSK_,"axG",@progbits,_ZN7rocprim17ROCPRIM_400000_NS6detail17trampoline_kernelINS0_14default_configENS1_38merge_sort_block_merge_config_selectorIaNS0_10empty_typeEEEZZNS1_27merge_sort_block_merge_implIS3_N6thrust23THRUST_200600_302600_NS6detail15normal_iteratorINS9_10device_ptrIaEEEEPS5_m14custom_greaterIaEEE10hipError_tT0_T1_T2_jT3_P12ihipStream_tbPNSt15iterator_traitsISJ_E10value_typeEPNSP_ISK_E10value_typeEPSL_NS1_7vsmem_tEENKUlT_SJ_SK_SL_E_clISE_PaSF_SF_EESI_SY_SJ_SK_SL_EUlSY_E_NS1_11comp_targetILNS1_3genE3ELNS1_11target_archE908ELNS1_3gpuE7ELNS1_3repE0EEENS1_48merge_mergepath_partition_config_static_selectorELNS0_4arch9wavefront6targetE1EEEvSK_,comdat
	.protected	_ZN7rocprim17ROCPRIM_400000_NS6detail17trampoline_kernelINS0_14default_configENS1_38merge_sort_block_merge_config_selectorIaNS0_10empty_typeEEEZZNS1_27merge_sort_block_merge_implIS3_N6thrust23THRUST_200600_302600_NS6detail15normal_iteratorINS9_10device_ptrIaEEEEPS5_m14custom_greaterIaEEE10hipError_tT0_T1_T2_jT3_P12ihipStream_tbPNSt15iterator_traitsISJ_E10value_typeEPNSP_ISK_E10value_typeEPSL_NS1_7vsmem_tEENKUlT_SJ_SK_SL_E_clISE_PaSF_SF_EESI_SY_SJ_SK_SL_EUlSY_E_NS1_11comp_targetILNS1_3genE3ELNS1_11target_archE908ELNS1_3gpuE7ELNS1_3repE0EEENS1_48merge_mergepath_partition_config_static_selectorELNS0_4arch9wavefront6targetE1EEEvSK_ ; -- Begin function _ZN7rocprim17ROCPRIM_400000_NS6detail17trampoline_kernelINS0_14default_configENS1_38merge_sort_block_merge_config_selectorIaNS0_10empty_typeEEEZZNS1_27merge_sort_block_merge_implIS3_N6thrust23THRUST_200600_302600_NS6detail15normal_iteratorINS9_10device_ptrIaEEEEPS5_m14custom_greaterIaEEE10hipError_tT0_T1_T2_jT3_P12ihipStream_tbPNSt15iterator_traitsISJ_E10value_typeEPNSP_ISK_E10value_typeEPSL_NS1_7vsmem_tEENKUlT_SJ_SK_SL_E_clISE_PaSF_SF_EESI_SY_SJ_SK_SL_EUlSY_E_NS1_11comp_targetILNS1_3genE3ELNS1_11target_archE908ELNS1_3gpuE7ELNS1_3repE0EEENS1_48merge_mergepath_partition_config_static_selectorELNS0_4arch9wavefront6targetE1EEEvSK_
	.globl	_ZN7rocprim17ROCPRIM_400000_NS6detail17trampoline_kernelINS0_14default_configENS1_38merge_sort_block_merge_config_selectorIaNS0_10empty_typeEEEZZNS1_27merge_sort_block_merge_implIS3_N6thrust23THRUST_200600_302600_NS6detail15normal_iteratorINS9_10device_ptrIaEEEEPS5_m14custom_greaterIaEEE10hipError_tT0_T1_T2_jT3_P12ihipStream_tbPNSt15iterator_traitsISJ_E10value_typeEPNSP_ISK_E10value_typeEPSL_NS1_7vsmem_tEENKUlT_SJ_SK_SL_E_clISE_PaSF_SF_EESI_SY_SJ_SK_SL_EUlSY_E_NS1_11comp_targetILNS1_3genE3ELNS1_11target_archE908ELNS1_3gpuE7ELNS1_3repE0EEENS1_48merge_mergepath_partition_config_static_selectorELNS0_4arch9wavefront6targetE1EEEvSK_
	.p2align	8
	.type	_ZN7rocprim17ROCPRIM_400000_NS6detail17trampoline_kernelINS0_14default_configENS1_38merge_sort_block_merge_config_selectorIaNS0_10empty_typeEEEZZNS1_27merge_sort_block_merge_implIS3_N6thrust23THRUST_200600_302600_NS6detail15normal_iteratorINS9_10device_ptrIaEEEEPS5_m14custom_greaterIaEEE10hipError_tT0_T1_T2_jT3_P12ihipStream_tbPNSt15iterator_traitsISJ_E10value_typeEPNSP_ISK_E10value_typeEPSL_NS1_7vsmem_tEENKUlT_SJ_SK_SL_E_clISE_PaSF_SF_EESI_SY_SJ_SK_SL_EUlSY_E_NS1_11comp_targetILNS1_3genE3ELNS1_11target_archE908ELNS1_3gpuE7ELNS1_3repE0EEENS1_48merge_mergepath_partition_config_static_selectorELNS0_4arch9wavefront6targetE1EEEvSK_,@function
_ZN7rocprim17ROCPRIM_400000_NS6detail17trampoline_kernelINS0_14default_configENS1_38merge_sort_block_merge_config_selectorIaNS0_10empty_typeEEEZZNS1_27merge_sort_block_merge_implIS3_N6thrust23THRUST_200600_302600_NS6detail15normal_iteratorINS9_10device_ptrIaEEEEPS5_m14custom_greaterIaEEE10hipError_tT0_T1_T2_jT3_P12ihipStream_tbPNSt15iterator_traitsISJ_E10value_typeEPNSP_ISK_E10value_typeEPSL_NS1_7vsmem_tEENKUlT_SJ_SK_SL_E_clISE_PaSF_SF_EESI_SY_SJ_SK_SL_EUlSY_E_NS1_11comp_targetILNS1_3genE3ELNS1_11target_archE908ELNS1_3gpuE7ELNS1_3repE0EEENS1_48merge_mergepath_partition_config_static_selectorELNS0_4arch9wavefront6targetE1EEEvSK_: ; @_ZN7rocprim17ROCPRIM_400000_NS6detail17trampoline_kernelINS0_14default_configENS1_38merge_sort_block_merge_config_selectorIaNS0_10empty_typeEEEZZNS1_27merge_sort_block_merge_implIS3_N6thrust23THRUST_200600_302600_NS6detail15normal_iteratorINS9_10device_ptrIaEEEEPS5_m14custom_greaterIaEEE10hipError_tT0_T1_T2_jT3_P12ihipStream_tbPNSt15iterator_traitsISJ_E10value_typeEPNSP_ISK_E10value_typeEPSL_NS1_7vsmem_tEENKUlT_SJ_SK_SL_E_clISE_PaSF_SF_EESI_SY_SJ_SK_SL_EUlSY_E_NS1_11comp_targetILNS1_3genE3ELNS1_11target_archE908ELNS1_3gpuE7ELNS1_3repE0EEENS1_48merge_mergepath_partition_config_static_selectorELNS0_4arch9wavefront6targetE1EEEvSK_
; %bb.0:
	.section	.rodata,"a",@progbits
	.p2align	6, 0x0
	.amdhsa_kernel _ZN7rocprim17ROCPRIM_400000_NS6detail17trampoline_kernelINS0_14default_configENS1_38merge_sort_block_merge_config_selectorIaNS0_10empty_typeEEEZZNS1_27merge_sort_block_merge_implIS3_N6thrust23THRUST_200600_302600_NS6detail15normal_iteratorINS9_10device_ptrIaEEEEPS5_m14custom_greaterIaEEE10hipError_tT0_T1_T2_jT3_P12ihipStream_tbPNSt15iterator_traitsISJ_E10value_typeEPNSP_ISK_E10value_typeEPSL_NS1_7vsmem_tEENKUlT_SJ_SK_SL_E_clISE_PaSF_SF_EESI_SY_SJ_SK_SL_EUlSY_E_NS1_11comp_targetILNS1_3genE3ELNS1_11target_archE908ELNS1_3gpuE7ELNS1_3repE0EEENS1_48merge_mergepath_partition_config_static_selectorELNS0_4arch9wavefront6targetE1EEEvSK_
		.amdhsa_group_segment_fixed_size 0
		.amdhsa_private_segment_fixed_size 0
		.amdhsa_kernarg_size 48
		.amdhsa_user_sgpr_count 6
		.amdhsa_user_sgpr_private_segment_buffer 1
		.amdhsa_user_sgpr_dispatch_ptr 0
		.amdhsa_user_sgpr_queue_ptr 0
		.amdhsa_user_sgpr_kernarg_segment_ptr 1
		.amdhsa_user_sgpr_dispatch_id 0
		.amdhsa_user_sgpr_flat_scratch_init 0
		.amdhsa_user_sgpr_kernarg_preload_length 0
		.amdhsa_user_sgpr_kernarg_preload_offset 0
		.amdhsa_user_sgpr_private_segment_size 0
		.amdhsa_uses_dynamic_stack 0
		.amdhsa_system_sgpr_private_segment_wavefront_offset 0
		.amdhsa_system_sgpr_workgroup_id_x 1
		.amdhsa_system_sgpr_workgroup_id_y 0
		.amdhsa_system_sgpr_workgroup_id_z 0
		.amdhsa_system_sgpr_workgroup_info 0
		.amdhsa_system_vgpr_workitem_id 0
		.amdhsa_next_free_vgpr 1
		.amdhsa_next_free_sgpr 0
		.amdhsa_accum_offset 4
		.amdhsa_reserve_vcc 0
		.amdhsa_reserve_flat_scratch 0
		.amdhsa_float_round_mode_32 0
		.amdhsa_float_round_mode_16_64 0
		.amdhsa_float_denorm_mode_32 3
		.amdhsa_float_denorm_mode_16_64 3
		.amdhsa_dx10_clamp 1
		.amdhsa_ieee_mode 1
		.amdhsa_fp16_overflow 0
		.amdhsa_tg_split 0
		.amdhsa_exception_fp_ieee_invalid_op 0
		.amdhsa_exception_fp_denorm_src 0
		.amdhsa_exception_fp_ieee_div_zero 0
		.amdhsa_exception_fp_ieee_overflow 0
		.amdhsa_exception_fp_ieee_underflow 0
		.amdhsa_exception_fp_ieee_inexact 0
		.amdhsa_exception_int_div_zero 0
	.end_amdhsa_kernel
	.section	.text._ZN7rocprim17ROCPRIM_400000_NS6detail17trampoline_kernelINS0_14default_configENS1_38merge_sort_block_merge_config_selectorIaNS0_10empty_typeEEEZZNS1_27merge_sort_block_merge_implIS3_N6thrust23THRUST_200600_302600_NS6detail15normal_iteratorINS9_10device_ptrIaEEEEPS5_m14custom_greaterIaEEE10hipError_tT0_T1_T2_jT3_P12ihipStream_tbPNSt15iterator_traitsISJ_E10value_typeEPNSP_ISK_E10value_typeEPSL_NS1_7vsmem_tEENKUlT_SJ_SK_SL_E_clISE_PaSF_SF_EESI_SY_SJ_SK_SL_EUlSY_E_NS1_11comp_targetILNS1_3genE3ELNS1_11target_archE908ELNS1_3gpuE7ELNS1_3repE0EEENS1_48merge_mergepath_partition_config_static_selectorELNS0_4arch9wavefront6targetE1EEEvSK_,"axG",@progbits,_ZN7rocprim17ROCPRIM_400000_NS6detail17trampoline_kernelINS0_14default_configENS1_38merge_sort_block_merge_config_selectorIaNS0_10empty_typeEEEZZNS1_27merge_sort_block_merge_implIS3_N6thrust23THRUST_200600_302600_NS6detail15normal_iteratorINS9_10device_ptrIaEEEEPS5_m14custom_greaterIaEEE10hipError_tT0_T1_T2_jT3_P12ihipStream_tbPNSt15iterator_traitsISJ_E10value_typeEPNSP_ISK_E10value_typeEPSL_NS1_7vsmem_tEENKUlT_SJ_SK_SL_E_clISE_PaSF_SF_EESI_SY_SJ_SK_SL_EUlSY_E_NS1_11comp_targetILNS1_3genE3ELNS1_11target_archE908ELNS1_3gpuE7ELNS1_3repE0EEENS1_48merge_mergepath_partition_config_static_selectorELNS0_4arch9wavefront6targetE1EEEvSK_,comdat
.Lfunc_end2813:
	.size	_ZN7rocprim17ROCPRIM_400000_NS6detail17trampoline_kernelINS0_14default_configENS1_38merge_sort_block_merge_config_selectorIaNS0_10empty_typeEEEZZNS1_27merge_sort_block_merge_implIS3_N6thrust23THRUST_200600_302600_NS6detail15normal_iteratorINS9_10device_ptrIaEEEEPS5_m14custom_greaterIaEEE10hipError_tT0_T1_T2_jT3_P12ihipStream_tbPNSt15iterator_traitsISJ_E10value_typeEPNSP_ISK_E10value_typeEPSL_NS1_7vsmem_tEENKUlT_SJ_SK_SL_E_clISE_PaSF_SF_EESI_SY_SJ_SK_SL_EUlSY_E_NS1_11comp_targetILNS1_3genE3ELNS1_11target_archE908ELNS1_3gpuE7ELNS1_3repE0EEENS1_48merge_mergepath_partition_config_static_selectorELNS0_4arch9wavefront6targetE1EEEvSK_, .Lfunc_end2813-_ZN7rocprim17ROCPRIM_400000_NS6detail17trampoline_kernelINS0_14default_configENS1_38merge_sort_block_merge_config_selectorIaNS0_10empty_typeEEEZZNS1_27merge_sort_block_merge_implIS3_N6thrust23THRUST_200600_302600_NS6detail15normal_iteratorINS9_10device_ptrIaEEEEPS5_m14custom_greaterIaEEE10hipError_tT0_T1_T2_jT3_P12ihipStream_tbPNSt15iterator_traitsISJ_E10value_typeEPNSP_ISK_E10value_typeEPSL_NS1_7vsmem_tEENKUlT_SJ_SK_SL_E_clISE_PaSF_SF_EESI_SY_SJ_SK_SL_EUlSY_E_NS1_11comp_targetILNS1_3genE3ELNS1_11target_archE908ELNS1_3gpuE7ELNS1_3repE0EEENS1_48merge_mergepath_partition_config_static_selectorELNS0_4arch9wavefront6targetE1EEEvSK_
                                        ; -- End function
	.section	.AMDGPU.csdata,"",@progbits
; Kernel info:
; codeLenInByte = 0
; NumSgprs: 4
; NumVgprs: 0
; NumAgprs: 0
; TotalNumVgprs: 0
; ScratchSize: 0
; MemoryBound: 0
; FloatMode: 240
; IeeeMode: 1
; LDSByteSize: 0 bytes/workgroup (compile time only)
; SGPRBlocks: 0
; VGPRBlocks: 0
; NumSGPRsForWavesPerEU: 4
; NumVGPRsForWavesPerEU: 1
; AccumOffset: 4
; Occupancy: 8
; WaveLimiterHint : 0
; COMPUTE_PGM_RSRC2:SCRATCH_EN: 0
; COMPUTE_PGM_RSRC2:USER_SGPR: 6
; COMPUTE_PGM_RSRC2:TRAP_HANDLER: 0
; COMPUTE_PGM_RSRC2:TGID_X_EN: 1
; COMPUTE_PGM_RSRC2:TGID_Y_EN: 0
; COMPUTE_PGM_RSRC2:TGID_Z_EN: 0
; COMPUTE_PGM_RSRC2:TIDIG_COMP_CNT: 0
; COMPUTE_PGM_RSRC3_GFX90A:ACCUM_OFFSET: 0
; COMPUTE_PGM_RSRC3_GFX90A:TG_SPLIT: 0
	.section	.text._ZN7rocprim17ROCPRIM_400000_NS6detail17trampoline_kernelINS0_14default_configENS1_38merge_sort_block_merge_config_selectorIaNS0_10empty_typeEEEZZNS1_27merge_sort_block_merge_implIS3_N6thrust23THRUST_200600_302600_NS6detail15normal_iteratorINS9_10device_ptrIaEEEEPS5_m14custom_greaterIaEEE10hipError_tT0_T1_T2_jT3_P12ihipStream_tbPNSt15iterator_traitsISJ_E10value_typeEPNSP_ISK_E10value_typeEPSL_NS1_7vsmem_tEENKUlT_SJ_SK_SL_E_clISE_PaSF_SF_EESI_SY_SJ_SK_SL_EUlSY_E_NS1_11comp_targetILNS1_3genE2ELNS1_11target_archE906ELNS1_3gpuE6ELNS1_3repE0EEENS1_48merge_mergepath_partition_config_static_selectorELNS0_4arch9wavefront6targetE1EEEvSK_,"axG",@progbits,_ZN7rocprim17ROCPRIM_400000_NS6detail17trampoline_kernelINS0_14default_configENS1_38merge_sort_block_merge_config_selectorIaNS0_10empty_typeEEEZZNS1_27merge_sort_block_merge_implIS3_N6thrust23THRUST_200600_302600_NS6detail15normal_iteratorINS9_10device_ptrIaEEEEPS5_m14custom_greaterIaEEE10hipError_tT0_T1_T2_jT3_P12ihipStream_tbPNSt15iterator_traitsISJ_E10value_typeEPNSP_ISK_E10value_typeEPSL_NS1_7vsmem_tEENKUlT_SJ_SK_SL_E_clISE_PaSF_SF_EESI_SY_SJ_SK_SL_EUlSY_E_NS1_11comp_targetILNS1_3genE2ELNS1_11target_archE906ELNS1_3gpuE6ELNS1_3repE0EEENS1_48merge_mergepath_partition_config_static_selectorELNS0_4arch9wavefront6targetE1EEEvSK_,comdat
	.protected	_ZN7rocprim17ROCPRIM_400000_NS6detail17trampoline_kernelINS0_14default_configENS1_38merge_sort_block_merge_config_selectorIaNS0_10empty_typeEEEZZNS1_27merge_sort_block_merge_implIS3_N6thrust23THRUST_200600_302600_NS6detail15normal_iteratorINS9_10device_ptrIaEEEEPS5_m14custom_greaterIaEEE10hipError_tT0_T1_T2_jT3_P12ihipStream_tbPNSt15iterator_traitsISJ_E10value_typeEPNSP_ISK_E10value_typeEPSL_NS1_7vsmem_tEENKUlT_SJ_SK_SL_E_clISE_PaSF_SF_EESI_SY_SJ_SK_SL_EUlSY_E_NS1_11comp_targetILNS1_3genE2ELNS1_11target_archE906ELNS1_3gpuE6ELNS1_3repE0EEENS1_48merge_mergepath_partition_config_static_selectorELNS0_4arch9wavefront6targetE1EEEvSK_ ; -- Begin function _ZN7rocprim17ROCPRIM_400000_NS6detail17trampoline_kernelINS0_14default_configENS1_38merge_sort_block_merge_config_selectorIaNS0_10empty_typeEEEZZNS1_27merge_sort_block_merge_implIS3_N6thrust23THRUST_200600_302600_NS6detail15normal_iteratorINS9_10device_ptrIaEEEEPS5_m14custom_greaterIaEEE10hipError_tT0_T1_T2_jT3_P12ihipStream_tbPNSt15iterator_traitsISJ_E10value_typeEPNSP_ISK_E10value_typeEPSL_NS1_7vsmem_tEENKUlT_SJ_SK_SL_E_clISE_PaSF_SF_EESI_SY_SJ_SK_SL_EUlSY_E_NS1_11comp_targetILNS1_3genE2ELNS1_11target_archE906ELNS1_3gpuE6ELNS1_3repE0EEENS1_48merge_mergepath_partition_config_static_selectorELNS0_4arch9wavefront6targetE1EEEvSK_
	.globl	_ZN7rocprim17ROCPRIM_400000_NS6detail17trampoline_kernelINS0_14default_configENS1_38merge_sort_block_merge_config_selectorIaNS0_10empty_typeEEEZZNS1_27merge_sort_block_merge_implIS3_N6thrust23THRUST_200600_302600_NS6detail15normal_iteratorINS9_10device_ptrIaEEEEPS5_m14custom_greaterIaEEE10hipError_tT0_T1_T2_jT3_P12ihipStream_tbPNSt15iterator_traitsISJ_E10value_typeEPNSP_ISK_E10value_typeEPSL_NS1_7vsmem_tEENKUlT_SJ_SK_SL_E_clISE_PaSF_SF_EESI_SY_SJ_SK_SL_EUlSY_E_NS1_11comp_targetILNS1_3genE2ELNS1_11target_archE906ELNS1_3gpuE6ELNS1_3repE0EEENS1_48merge_mergepath_partition_config_static_selectorELNS0_4arch9wavefront6targetE1EEEvSK_
	.p2align	8
	.type	_ZN7rocprim17ROCPRIM_400000_NS6detail17trampoline_kernelINS0_14default_configENS1_38merge_sort_block_merge_config_selectorIaNS0_10empty_typeEEEZZNS1_27merge_sort_block_merge_implIS3_N6thrust23THRUST_200600_302600_NS6detail15normal_iteratorINS9_10device_ptrIaEEEEPS5_m14custom_greaterIaEEE10hipError_tT0_T1_T2_jT3_P12ihipStream_tbPNSt15iterator_traitsISJ_E10value_typeEPNSP_ISK_E10value_typeEPSL_NS1_7vsmem_tEENKUlT_SJ_SK_SL_E_clISE_PaSF_SF_EESI_SY_SJ_SK_SL_EUlSY_E_NS1_11comp_targetILNS1_3genE2ELNS1_11target_archE906ELNS1_3gpuE6ELNS1_3repE0EEENS1_48merge_mergepath_partition_config_static_selectorELNS0_4arch9wavefront6targetE1EEEvSK_,@function
_ZN7rocprim17ROCPRIM_400000_NS6detail17trampoline_kernelINS0_14default_configENS1_38merge_sort_block_merge_config_selectorIaNS0_10empty_typeEEEZZNS1_27merge_sort_block_merge_implIS3_N6thrust23THRUST_200600_302600_NS6detail15normal_iteratorINS9_10device_ptrIaEEEEPS5_m14custom_greaterIaEEE10hipError_tT0_T1_T2_jT3_P12ihipStream_tbPNSt15iterator_traitsISJ_E10value_typeEPNSP_ISK_E10value_typeEPSL_NS1_7vsmem_tEENKUlT_SJ_SK_SL_E_clISE_PaSF_SF_EESI_SY_SJ_SK_SL_EUlSY_E_NS1_11comp_targetILNS1_3genE2ELNS1_11target_archE906ELNS1_3gpuE6ELNS1_3repE0EEENS1_48merge_mergepath_partition_config_static_selectorELNS0_4arch9wavefront6targetE1EEEvSK_: ; @_ZN7rocprim17ROCPRIM_400000_NS6detail17trampoline_kernelINS0_14default_configENS1_38merge_sort_block_merge_config_selectorIaNS0_10empty_typeEEEZZNS1_27merge_sort_block_merge_implIS3_N6thrust23THRUST_200600_302600_NS6detail15normal_iteratorINS9_10device_ptrIaEEEEPS5_m14custom_greaterIaEEE10hipError_tT0_T1_T2_jT3_P12ihipStream_tbPNSt15iterator_traitsISJ_E10value_typeEPNSP_ISK_E10value_typeEPSL_NS1_7vsmem_tEENKUlT_SJ_SK_SL_E_clISE_PaSF_SF_EESI_SY_SJ_SK_SL_EUlSY_E_NS1_11comp_targetILNS1_3genE2ELNS1_11target_archE906ELNS1_3gpuE6ELNS1_3repE0EEENS1_48merge_mergepath_partition_config_static_selectorELNS0_4arch9wavefront6targetE1EEEvSK_
; %bb.0:
	.section	.rodata,"a",@progbits
	.p2align	6, 0x0
	.amdhsa_kernel _ZN7rocprim17ROCPRIM_400000_NS6detail17trampoline_kernelINS0_14default_configENS1_38merge_sort_block_merge_config_selectorIaNS0_10empty_typeEEEZZNS1_27merge_sort_block_merge_implIS3_N6thrust23THRUST_200600_302600_NS6detail15normal_iteratorINS9_10device_ptrIaEEEEPS5_m14custom_greaterIaEEE10hipError_tT0_T1_T2_jT3_P12ihipStream_tbPNSt15iterator_traitsISJ_E10value_typeEPNSP_ISK_E10value_typeEPSL_NS1_7vsmem_tEENKUlT_SJ_SK_SL_E_clISE_PaSF_SF_EESI_SY_SJ_SK_SL_EUlSY_E_NS1_11comp_targetILNS1_3genE2ELNS1_11target_archE906ELNS1_3gpuE6ELNS1_3repE0EEENS1_48merge_mergepath_partition_config_static_selectorELNS0_4arch9wavefront6targetE1EEEvSK_
		.amdhsa_group_segment_fixed_size 0
		.amdhsa_private_segment_fixed_size 0
		.amdhsa_kernarg_size 48
		.amdhsa_user_sgpr_count 6
		.amdhsa_user_sgpr_private_segment_buffer 1
		.amdhsa_user_sgpr_dispatch_ptr 0
		.amdhsa_user_sgpr_queue_ptr 0
		.amdhsa_user_sgpr_kernarg_segment_ptr 1
		.amdhsa_user_sgpr_dispatch_id 0
		.amdhsa_user_sgpr_flat_scratch_init 0
		.amdhsa_user_sgpr_kernarg_preload_length 0
		.amdhsa_user_sgpr_kernarg_preload_offset 0
		.amdhsa_user_sgpr_private_segment_size 0
		.amdhsa_uses_dynamic_stack 0
		.amdhsa_system_sgpr_private_segment_wavefront_offset 0
		.amdhsa_system_sgpr_workgroup_id_x 1
		.amdhsa_system_sgpr_workgroup_id_y 0
		.amdhsa_system_sgpr_workgroup_id_z 0
		.amdhsa_system_sgpr_workgroup_info 0
		.amdhsa_system_vgpr_workitem_id 0
		.amdhsa_next_free_vgpr 1
		.amdhsa_next_free_sgpr 0
		.amdhsa_accum_offset 4
		.amdhsa_reserve_vcc 0
		.amdhsa_reserve_flat_scratch 0
		.amdhsa_float_round_mode_32 0
		.amdhsa_float_round_mode_16_64 0
		.amdhsa_float_denorm_mode_32 3
		.amdhsa_float_denorm_mode_16_64 3
		.amdhsa_dx10_clamp 1
		.amdhsa_ieee_mode 1
		.amdhsa_fp16_overflow 0
		.amdhsa_tg_split 0
		.amdhsa_exception_fp_ieee_invalid_op 0
		.amdhsa_exception_fp_denorm_src 0
		.amdhsa_exception_fp_ieee_div_zero 0
		.amdhsa_exception_fp_ieee_overflow 0
		.amdhsa_exception_fp_ieee_underflow 0
		.amdhsa_exception_fp_ieee_inexact 0
		.amdhsa_exception_int_div_zero 0
	.end_amdhsa_kernel
	.section	.text._ZN7rocprim17ROCPRIM_400000_NS6detail17trampoline_kernelINS0_14default_configENS1_38merge_sort_block_merge_config_selectorIaNS0_10empty_typeEEEZZNS1_27merge_sort_block_merge_implIS3_N6thrust23THRUST_200600_302600_NS6detail15normal_iteratorINS9_10device_ptrIaEEEEPS5_m14custom_greaterIaEEE10hipError_tT0_T1_T2_jT3_P12ihipStream_tbPNSt15iterator_traitsISJ_E10value_typeEPNSP_ISK_E10value_typeEPSL_NS1_7vsmem_tEENKUlT_SJ_SK_SL_E_clISE_PaSF_SF_EESI_SY_SJ_SK_SL_EUlSY_E_NS1_11comp_targetILNS1_3genE2ELNS1_11target_archE906ELNS1_3gpuE6ELNS1_3repE0EEENS1_48merge_mergepath_partition_config_static_selectorELNS0_4arch9wavefront6targetE1EEEvSK_,"axG",@progbits,_ZN7rocprim17ROCPRIM_400000_NS6detail17trampoline_kernelINS0_14default_configENS1_38merge_sort_block_merge_config_selectorIaNS0_10empty_typeEEEZZNS1_27merge_sort_block_merge_implIS3_N6thrust23THRUST_200600_302600_NS6detail15normal_iteratorINS9_10device_ptrIaEEEEPS5_m14custom_greaterIaEEE10hipError_tT0_T1_T2_jT3_P12ihipStream_tbPNSt15iterator_traitsISJ_E10value_typeEPNSP_ISK_E10value_typeEPSL_NS1_7vsmem_tEENKUlT_SJ_SK_SL_E_clISE_PaSF_SF_EESI_SY_SJ_SK_SL_EUlSY_E_NS1_11comp_targetILNS1_3genE2ELNS1_11target_archE906ELNS1_3gpuE6ELNS1_3repE0EEENS1_48merge_mergepath_partition_config_static_selectorELNS0_4arch9wavefront6targetE1EEEvSK_,comdat
.Lfunc_end2814:
	.size	_ZN7rocprim17ROCPRIM_400000_NS6detail17trampoline_kernelINS0_14default_configENS1_38merge_sort_block_merge_config_selectorIaNS0_10empty_typeEEEZZNS1_27merge_sort_block_merge_implIS3_N6thrust23THRUST_200600_302600_NS6detail15normal_iteratorINS9_10device_ptrIaEEEEPS5_m14custom_greaterIaEEE10hipError_tT0_T1_T2_jT3_P12ihipStream_tbPNSt15iterator_traitsISJ_E10value_typeEPNSP_ISK_E10value_typeEPSL_NS1_7vsmem_tEENKUlT_SJ_SK_SL_E_clISE_PaSF_SF_EESI_SY_SJ_SK_SL_EUlSY_E_NS1_11comp_targetILNS1_3genE2ELNS1_11target_archE906ELNS1_3gpuE6ELNS1_3repE0EEENS1_48merge_mergepath_partition_config_static_selectorELNS0_4arch9wavefront6targetE1EEEvSK_, .Lfunc_end2814-_ZN7rocprim17ROCPRIM_400000_NS6detail17trampoline_kernelINS0_14default_configENS1_38merge_sort_block_merge_config_selectorIaNS0_10empty_typeEEEZZNS1_27merge_sort_block_merge_implIS3_N6thrust23THRUST_200600_302600_NS6detail15normal_iteratorINS9_10device_ptrIaEEEEPS5_m14custom_greaterIaEEE10hipError_tT0_T1_T2_jT3_P12ihipStream_tbPNSt15iterator_traitsISJ_E10value_typeEPNSP_ISK_E10value_typeEPSL_NS1_7vsmem_tEENKUlT_SJ_SK_SL_E_clISE_PaSF_SF_EESI_SY_SJ_SK_SL_EUlSY_E_NS1_11comp_targetILNS1_3genE2ELNS1_11target_archE906ELNS1_3gpuE6ELNS1_3repE0EEENS1_48merge_mergepath_partition_config_static_selectorELNS0_4arch9wavefront6targetE1EEEvSK_
                                        ; -- End function
	.section	.AMDGPU.csdata,"",@progbits
; Kernel info:
; codeLenInByte = 0
; NumSgprs: 4
; NumVgprs: 0
; NumAgprs: 0
; TotalNumVgprs: 0
; ScratchSize: 0
; MemoryBound: 0
; FloatMode: 240
; IeeeMode: 1
; LDSByteSize: 0 bytes/workgroup (compile time only)
; SGPRBlocks: 0
; VGPRBlocks: 0
; NumSGPRsForWavesPerEU: 4
; NumVGPRsForWavesPerEU: 1
; AccumOffset: 4
; Occupancy: 8
; WaveLimiterHint : 0
; COMPUTE_PGM_RSRC2:SCRATCH_EN: 0
; COMPUTE_PGM_RSRC2:USER_SGPR: 6
; COMPUTE_PGM_RSRC2:TRAP_HANDLER: 0
; COMPUTE_PGM_RSRC2:TGID_X_EN: 1
; COMPUTE_PGM_RSRC2:TGID_Y_EN: 0
; COMPUTE_PGM_RSRC2:TGID_Z_EN: 0
; COMPUTE_PGM_RSRC2:TIDIG_COMP_CNT: 0
; COMPUTE_PGM_RSRC3_GFX90A:ACCUM_OFFSET: 0
; COMPUTE_PGM_RSRC3_GFX90A:TG_SPLIT: 0
	.section	.text._ZN7rocprim17ROCPRIM_400000_NS6detail17trampoline_kernelINS0_14default_configENS1_38merge_sort_block_merge_config_selectorIaNS0_10empty_typeEEEZZNS1_27merge_sort_block_merge_implIS3_N6thrust23THRUST_200600_302600_NS6detail15normal_iteratorINS9_10device_ptrIaEEEEPS5_m14custom_greaterIaEEE10hipError_tT0_T1_T2_jT3_P12ihipStream_tbPNSt15iterator_traitsISJ_E10value_typeEPNSP_ISK_E10value_typeEPSL_NS1_7vsmem_tEENKUlT_SJ_SK_SL_E_clISE_PaSF_SF_EESI_SY_SJ_SK_SL_EUlSY_E_NS1_11comp_targetILNS1_3genE9ELNS1_11target_archE1100ELNS1_3gpuE3ELNS1_3repE0EEENS1_48merge_mergepath_partition_config_static_selectorELNS0_4arch9wavefront6targetE1EEEvSK_,"axG",@progbits,_ZN7rocprim17ROCPRIM_400000_NS6detail17trampoline_kernelINS0_14default_configENS1_38merge_sort_block_merge_config_selectorIaNS0_10empty_typeEEEZZNS1_27merge_sort_block_merge_implIS3_N6thrust23THRUST_200600_302600_NS6detail15normal_iteratorINS9_10device_ptrIaEEEEPS5_m14custom_greaterIaEEE10hipError_tT0_T1_T2_jT3_P12ihipStream_tbPNSt15iterator_traitsISJ_E10value_typeEPNSP_ISK_E10value_typeEPSL_NS1_7vsmem_tEENKUlT_SJ_SK_SL_E_clISE_PaSF_SF_EESI_SY_SJ_SK_SL_EUlSY_E_NS1_11comp_targetILNS1_3genE9ELNS1_11target_archE1100ELNS1_3gpuE3ELNS1_3repE0EEENS1_48merge_mergepath_partition_config_static_selectorELNS0_4arch9wavefront6targetE1EEEvSK_,comdat
	.protected	_ZN7rocprim17ROCPRIM_400000_NS6detail17trampoline_kernelINS0_14default_configENS1_38merge_sort_block_merge_config_selectorIaNS0_10empty_typeEEEZZNS1_27merge_sort_block_merge_implIS3_N6thrust23THRUST_200600_302600_NS6detail15normal_iteratorINS9_10device_ptrIaEEEEPS5_m14custom_greaterIaEEE10hipError_tT0_T1_T2_jT3_P12ihipStream_tbPNSt15iterator_traitsISJ_E10value_typeEPNSP_ISK_E10value_typeEPSL_NS1_7vsmem_tEENKUlT_SJ_SK_SL_E_clISE_PaSF_SF_EESI_SY_SJ_SK_SL_EUlSY_E_NS1_11comp_targetILNS1_3genE9ELNS1_11target_archE1100ELNS1_3gpuE3ELNS1_3repE0EEENS1_48merge_mergepath_partition_config_static_selectorELNS0_4arch9wavefront6targetE1EEEvSK_ ; -- Begin function _ZN7rocprim17ROCPRIM_400000_NS6detail17trampoline_kernelINS0_14default_configENS1_38merge_sort_block_merge_config_selectorIaNS0_10empty_typeEEEZZNS1_27merge_sort_block_merge_implIS3_N6thrust23THRUST_200600_302600_NS6detail15normal_iteratorINS9_10device_ptrIaEEEEPS5_m14custom_greaterIaEEE10hipError_tT0_T1_T2_jT3_P12ihipStream_tbPNSt15iterator_traitsISJ_E10value_typeEPNSP_ISK_E10value_typeEPSL_NS1_7vsmem_tEENKUlT_SJ_SK_SL_E_clISE_PaSF_SF_EESI_SY_SJ_SK_SL_EUlSY_E_NS1_11comp_targetILNS1_3genE9ELNS1_11target_archE1100ELNS1_3gpuE3ELNS1_3repE0EEENS1_48merge_mergepath_partition_config_static_selectorELNS0_4arch9wavefront6targetE1EEEvSK_
	.globl	_ZN7rocprim17ROCPRIM_400000_NS6detail17trampoline_kernelINS0_14default_configENS1_38merge_sort_block_merge_config_selectorIaNS0_10empty_typeEEEZZNS1_27merge_sort_block_merge_implIS3_N6thrust23THRUST_200600_302600_NS6detail15normal_iteratorINS9_10device_ptrIaEEEEPS5_m14custom_greaterIaEEE10hipError_tT0_T1_T2_jT3_P12ihipStream_tbPNSt15iterator_traitsISJ_E10value_typeEPNSP_ISK_E10value_typeEPSL_NS1_7vsmem_tEENKUlT_SJ_SK_SL_E_clISE_PaSF_SF_EESI_SY_SJ_SK_SL_EUlSY_E_NS1_11comp_targetILNS1_3genE9ELNS1_11target_archE1100ELNS1_3gpuE3ELNS1_3repE0EEENS1_48merge_mergepath_partition_config_static_selectorELNS0_4arch9wavefront6targetE1EEEvSK_
	.p2align	8
	.type	_ZN7rocprim17ROCPRIM_400000_NS6detail17trampoline_kernelINS0_14default_configENS1_38merge_sort_block_merge_config_selectorIaNS0_10empty_typeEEEZZNS1_27merge_sort_block_merge_implIS3_N6thrust23THRUST_200600_302600_NS6detail15normal_iteratorINS9_10device_ptrIaEEEEPS5_m14custom_greaterIaEEE10hipError_tT0_T1_T2_jT3_P12ihipStream_tbPNSt15iterator_traitsISJ_E10value_typeEPNSP_ISK_E10value_typeEPSL_NS1_7vsmem_tEENKUlT_SJ_SK_SL_E_clISE_PaSF_SF_EESI_SY_SJ_SK_SL_EUlSY_E_NS1_11comp_targetILNS1_3genE9ELNS1_11target_archE1100ELNS1_3gpuE3ELNS1_3repE0EEENS1_48merge_mergepath_partition_config_static_selectorELNS0_4arch9wavefront6targetE1EEEvSK_,@function
_ZN7rocprim17ROCPRIM_400000_NS6detail17trampoline_kernelINS0_14default_configENS1_38merge_sort_block_merge_config_selectorIaNS0_10empty_typeEEEZZNS1_27merge_sort_block_merge_implIS3_N6thrust23THRUST_200600_302600_NS6detail15normal_iteratorINS9_10device_ptrIaEEEEPS5_m14custom_greaterIaEEE10hipError_tT0_T1_T2_jT3_P12ihipStream_tbPNSt15iterator_traitsISJ_E10value_typeEPNSP_ISK_E10value_typeEPSL_NS1_7vsmem_tEENKUlT_SJ_SK_SL_E_clISE_PaSF_SF_EESI_SY_SJ_SK_SL_EUlSY_E_NS1_11comp_targetILNS1_3genE9ELNS1_11target_archE1100ELNS1_3gpuE3ELNS1_3repE0EEENS1_48merge_mergepath_partition_config_static_selectorELNS0_4arch9wavefront6targetE1EEEvSK_: ; @_ZN7rocprim17ROCPRIM_400000_NS6detail17trampoline_kernelINS0_14default_configENS1_38merge_sort_block_merge_config_selectorIaNS0_10empty_typeEEEZZNS1_27merge_sort_block_merge_implIS3_N6thrust23THRUST_200600_302600_NS6detail15normal_iteratorINS9_10device_ptrIaEEEEPS5_m14custom_greaterIaEEE10hipError_tT0_T1_T2_jT3_P12ihipStream_tbPNSt15iterator_traitsISJ_E10value_typeEPNSP_ISK_E10value_typeEPSL_NS1_7vsmem_tEENKUlT_SJ_SK_SL_E_clISE_PaSF_SF_EESI_SY_SJ_SK_SL_EUlSY_E_NS1_11comp_targetILNS1_3genE9ELNS1_11target_archE1100ELNS1_3gpuE3ELNS1_3repE0EEENS1_48merge_mergepath_partition_config_static_selectorELNS0_4arch9wavefront6targetE1EEEvSK_
; %bb.0:
	.section	.rodata,"a",@progbits
	.p2align	6, 0x0
	.amdhsa_kernel _ZN7rocprim17ROCPRIM_400000_NS6detail17trampoline_kernelINS0_14default_configENS1_38merge_sort_block_merge_config_selectorIaNS0_10empty_typeEEEZZNS1_27merge_sort_block_merge_implIS3_N6thrust23THRUST_200600_302600_NS6detail15normal_iteratorINS9_10device_ptrIaEEEEPS5_m14custom_greaterIaEEE10hipError_tT0_T1_T2_jT3_P12ihipStream_tbPNSt15iterator_traitsISJ_E10value_typeEPNSP_ISK_E10value_typeEPSL_NS1_7vsmem_tEENKUlT_SJ_SK_SL_E_clISE_PaSF_SF_EESI_SY_SJ_SK_SL_EUlSY_E_NS1_11comp_targetILNS1_3genE9ELNS1_11target_archE1100ELNS1_3gpuE3ELNS1_3repE0EEENS1_48merge_mergepath_partition_config_static_selectorELNS0_4arch9wavefront6targetE1EEEvSK_
		.amdhsa_group_segment_fixed_size 0
		.amdhsa_private_segment_fixed_size 0
		.amdhsa_kernarg_size 48
		.amdhsa_user_sgpr_count 6
		.amdhsa_user_sgpr_private_segment_buffer 1
		.amdhsa_user_sgpr_dispatch_ptr 0
		.amdhsa_user_sgpr_queue_ptr 0
		.amdhsa_user_sgpr_kernarg_segment_ptr 1
		.amdhsa_user_sgpr_dispatch_id 0
		.amdhsa_user_sgpr_flat_scratch_init 0
		.amdhsa_user_sgpr_kernarg_preload_length 0
		.amdhsa_user_sgpr_kernarg_preload_offset 0
		.amdhsa_user_sgpr_private_segment_size 0
		.amdhsa_uses_dynamic_stack 0
		.amdhsa_system_sgpr_private_segment_wavefront_offset 0
		.amdhsa_system_sgpr_workgroup_id_x 1
		.amdhsa_system_sgpr_workgroup_id_y 0
		.amdhsa_system_sgpr_workgroup_id_z 0
		.amdhsa_system_sgpr_workgroup_info 0
		.amdhsa_system_vgpr_workitem_id 0
		.amdhsa_next_free_vgpr 1
		.amdhsa_next_free_sgpr 0
		.amdhsa_accum_offset 4
		.amdhsa_reserve_vcc 0
		.amdhsa_reserve_flat_scratch 0
		.amdhsa_float_round_mode_32 0
		.amdhsa_float_round_mode_16_64 0
		.amdhsa_float_denorm_mode_32 3
		.amdhsa_float_denorm_mode_16_64 3
		.amdhsa_dx10_clamp 1
		.amdhsa_ieee_mode 1
		.amdhsa_fp16_overflow 0
		.amdhsa_tg_split 0
		.amdhsa_exception_fp_ieee_invalid_op 0
		.amdhsa_exception_fp_denorm_src 0
		.amdhsa_exception_fp_ieee_div_zero 0
		.amdhsa_exception_fp_ieee_overflow 0
		.amdhsa_exception_fp_ieee_underflow 0
		.amdhsa_exception_fp_ieee_inexact 0
		.amdhsa_exception_int_div_zero 0
	.end_amdhsa_kernel
	.section	.text._ZN7rocprim17ROCPRIM_400000_NS6detail17trampoline_kernelINS0_14default_configENS1_38merge_sort_block_merge_config_selectorIaNS0_10empty_typeEEEZZNS1_27merge_sort_block_merge_implIS3_N6thrust23THRUST_200600_302600_NS6detail15normal_iteratorINS9_10device_ptrIaEEEEPS5_m14custom_greaterIaEEE10hipError_tT0_T1_T2_jT3_P12ihipStream_tbPNSt15iterator_traitsISJ_E10value_typeEPNSP_ISK_E10value_typeEPSL_NS1_7vsmem_tEENKUlT_SJ_SK_SL_E_clISE_PaSF_SF_EESI_SY_SJ_SK_SL_EUlSY_E_NS1_11comp_targetILNS1_3genE9ELNS1_11target_archE1100ELNS1_3gpuE3ELNS1_3repE0EEENS1_48merge_mergepath_partition_config_static_selectorELNS0_4arch9wavefront6targetE1EEEvSK_,"axG",@progbits,_ZN7rocprim17ROCPRIM_400000_NS6detail17trampoline_kernelINS0_14default_configENS1_38merge_sort_block_merge_config_selectorIaNS0_10empty_typeEEEZZNS1_27merge_sort_block_merge_implIS3_N6thrust23THRUST_200600_302600_NS6detail15normal_iteratorINS9_10device_ptrIaEEEEPS5_m14custom_greaterIaEEE10hipError_tT0_T1_T2_jT3_P12ihipStream_tbPNSt15iterator_traitsISJ_E10value_typeEPNSP_ISK_E10value_typeEPSL_NS1_7vsmem_tEENKUlT_SJ_SK_SL_E_clISE_PaSF_SF_EESI_SY_SJ_SK_SL_EUlSY_E_NS1_11comp_targetILNS1_3genE9ELNS1_11target_archE1100ELNS1_3gpuE3ELNS1_3repE0EEENS1_48merge_mergepath_partition_config_static_selectorELNS0_4arch9wavefront6targetE1EEEvSK_,comdat
.Lfunc_end2815:
	.size	_ZN7rocprim17ROCPRIM_400000_NS6detail17trampoline_kernelINS0_14default_configENS1_38merge_sort_block_merge_config_selectorIaNS0_10empty_typeEEEZZNS1_27merge_sort_block_merge_implIS3_N6thrust23THRUST_200600_302600_NS6detail15normal_iteratorINS9_10device_ptrIaEEEEPS5_m14custom_greaterIaEEE10hipError_tT0_T1_T2_jT3_P12ihipStream_tbPNSt15iterator_traitsISJ_E10value_typeEPNSP_ISK_E10value_typeEPSL_NS1_7vsmem_tEENKUlT_SJ_SK_SL_E_clISE_PaSF_SF_EESI_SY_SJ_SK_SL_EUlSY_E_NS1_11comp_targetILNS1_3genE9ELNS1_11target_archE1100ELNS1_3gpuE3ELNS1_3repE0EEENS1_48merge_mergepath_partition_config_static_selectorELNS0_4arch9wavefront6targetE1EEEvSK_, .Lfunc_end2815-_ZN7rocprim17ROCPRIM_400000_NS6detail17trampoline_kernelINS0_14default_configENS1_38merge_sort_block_merge_config_selectorIaNS0_10empty_typeEEEZZNS1_27merge_sort_block_merge_implIS3_N6thrust23THRUST_200600_302600_NS6detail15normal_iteratorINS9_10device_ptrIaEEEEPS5_m14custom_greaterIaEEE10hipError_tT0_T1_T2_jT3_P12ihipStream_tbPNSt15iterator_traitsISJ_E10value_typeEPNSP_ISK_E10value_typeEPSL_NS1_7vsmem_tEENKUlT_SJ_SK_SL_E_clISE_PaSF_SF_EESI_SY_SJ_SK_SL_EUlSY_E_NS1_11comp_targetILNS1_3genE9ELNS1_11target_archE1100ELNS1_3gpuE3ELNS1_3repE0EEENS1_48merge_mergepath_partition_config_static_selectorELNS0_4arch9wavefront6targetE1EEEvSK_
                                        ; -- End function
	.section	.AMDGPU.csdata,"",@progbits
; Kernel info:
; codeLenInByte = 0
; NumSgprs: 4
; NumVgprs: 0
; NumAgprs: 0
; TotalNumVgprs: 0
; ScratchSize: 0
; MemoryBound: 0
; FloatMode: 240
; IeeeMode: 1
; LDSByteSize: 0 bytes/workgroup (compile time only)
; SGPRBlocks: 0
; VGPRBlocks: 0
; NumSGPRsForWavesPerEU: 4
; NumVGPRsForWavesPerEU: 1
; AccumOffset: 4
; Occupancy: 8
; WaveLimiterHint : 0
; COMPUTE_PGM_RSRC2:SCRATCH_EN: 0
; COMPUTE_PGM_RSRC2:USER_SGPR: 6
; COMPUTE_PGM_RSRC2:TRAP_HANDLER: 0
; COMPUTE_PGM_RSRC2:TGID_X_EN: 1
; COMPUTE_PGM_RSRC2:TGID_Y_EN: 0
; COMPUTE_PGM_RSRC2:TGID_Z_EN: 0
; COMPUTE_PGM_RSRC2:TIDIG_COMP_CNT: 0
; COMPUTE_PGM_RSRC3_GFX90A:ACCUM_OFFSET: 0
; COMPUTE_PGM_RSRC3_GFX90A:TG_SPLIT: 0
	.section	.text._ZN7rocprim17ROCPRIM_400000_NS6detail17trampoline_kernelINS0_14default_configENS1_38merge_sort_block_merge_config_selectorIaNS0_10empty_typeEEEZZNS1_27merge_sort_block_merge_implIS3_N6thrust23THRUST_200600_302600_NS6detail15normal_iteratorINS9_10device_ptrIaEEEEPS5_m14custom_greaterIaEEE10hipError_tT0_T1_T2_jT3_P12ihipStream_tbPNSt15iterator_traitsISJ_E10value_typeEPNSP_ISK_E10value_typeEPSL_NS1_7vsmem_tEENKUlT_SJ_SK_SL_E_clISE_PaSF_SF_EESI_SY_SJ_SK_SL_EUlSY_E_NS1_11comp_targetILNS1_3genE8ELNS1_11target_archE1030ELNS1_3gpuE2ELNS1_3repE0EEENS1_48merge_mergepath_partition_config_static_selectorELNS0_4arch9wavefront6targetE1EEEvSK_,"axG",@progbits,_ZN7rocprim17ROCPRIM_400000_NS6detail17trampoline_kernelINS0_14default_configENS1_38merge_sort_block_merge_config_selectorIaNS0_10empty_typeEEEZZNS1_27merge_sort_block_merge_implIS3_N6thrust23THRUST_200600_302600_NS6detail15normal_iteratorINS9_10device_ptrIaEEEEPS5_m14custom_greaterIaEEE10hipError_tT0_T1_T2_jT3_P12ihipStream_tbPNSt15iterator_traitsISJ_E10value_typeEPNSP_ISK_E10value_typeEPSL_NS1_7vsmem_tEENKUlT_SJ_SK_SL_E_clISE_PaSF_SF_EESI_SY_SJ_SK_SL_EUlSY_E_NS1_11comp_targetILNS1_3genE8ELNS1_11target_archE1030ELNS1_3gpuE2ELNS1_3repE0EEENS1_48merge_mergepath_partition_config_static_selectorELNS0_4arch9wavefront6targetE1EEEvSK_,comdat
	.protected	_ZN7rocprim17ROCPRIM_400000_NS6detail17trampoline_kernelINS0_14default_configENS1_38merge_sort_block_merge_config_selectorIaNS0_10empty_typeEEEZZNS1_27merge_sort_block_merge_implIS3_N6thrust23THRUST_200600_302600_NS6detail15normal_iteratorINS9_10device_ptrIaEEEEPS5_m14custom_greaterIaEEE10hipError_tT0_T1_T2_jT3_P12ihipStream_tbPNSt15iterator_traitsISJ_E10value_typeEPNSP_ISK_E10value_typeEPSL_NS1_7vsmem_tEENKUlT_SJ_SK_SL_E_clISE_PaSF_SF_EESI_SY_SJ_SK_SL_EUlSY_E_NS1_11comp_targetILNS1_3genE8ELNS1_11target_archE1030ELNS1_3gpuE2ELNS1_3repE0EEENS1_48merge_mergepath_partition_config_static_selectorELNS0_4arch9wavefront6targetE1EEEvSK_ ; -- Begin function _ZN7rocprim17ROCPRIM_400000_NS6detail17trampoline_kernelINS0_14default_configENS1_38merge_sort_block_merge_config_selectorIaNS0_10empty_typeEEEZZNS1_27merge_sort_block_merge_implIS3_N6thrust23THRUST_200600_302600_NS6detail15normal_iteratorINS9_10device_ptrIaEEEEPS5_m14custom_greaterIaEEE10hipError_tT0_T1_T2_jT3_P12ihipStream_tbPNSt15iterator_traitsISJ_E10value_typeEPNSP_ISK_E10value_typeEPSL_NS1_7vsmem_tEENKUlT_SJ_SK_SL_E_clISE_PaSF_SF_EESI_SY_SJ_SK_SL_EUlSY_E_NS1_11comp_targetILNS1_3genE8ELNS1_11target_archE1030ELNS1_3gpuE2ELNS1_3repE0EEENS1_48merge_mergepath_partition_config_static_selectorELNS0_4arch9wavefront6targetE1EEEvSK_
	.globl	_ZN7rocprim17ROCPRIM_400000_NS6detail17trampoline_kernelINS0_14default_configENS1_38merge_sort_block_merge_config_selectorIaNS0_10empty_typeEEEZZNS1_27merge_sort_block_merge_implIS3_N6thrust23THRUST_200600_302600_NS6detail15normal_iteratorINS9_10device_ptrIaEEEEPS5_m14custom_greaterIaEEE10hipError_tT0_T1_T2_jT3_P12ihipStream_tbPNSt15iterator_traitsISJ_E10value_typeEPNSP_ISK_E10value_typeEPSL_NS1_7vsmem_tEENKUlT_SJ_SK_SL_E_clISE_PaSF_SF_EESI_SY_SJ_SK_SL_EUlSY_E_NS1_11comp_targetILNS1_3genE8ELNS1_11target_archE1030ELNS1_3gpuE2ELNS1_3repE0EEENS1_48merge_mergepath_partition_config_static_selectorELNS0_4arch9wavefront6targetE1EEEvSK_
	.p2align	8
	.type	_ZN7rocprim17ROCPRIM_400000_NS6detail17trampoline_kernelINS0_14default_configENS1_38merge_sort_block_merge_config_selectorIaNS0_10empty_typeEEEZZNS1_27merge_sort_block_merge_implIS3_N6thrust23THRUST_200600_302600_NS6detail15normal_iteratorINS9_10device_ptrIaEEEEPS5_m14custom_greaterIaEEE10hipError_tT0_T1_T2_jT3_P12ihipStream_tbPNSt15iterator_traitsISJ_E10value_typeEPNSP_ISK_E10value_typeEPSL_NS1_7vsmem_tEENKUlT_SJ_SK_SL_E_clISE_PaSF_SF_EESI_SY_SJ_SK_SL_EUlSY_E_NS1_11comp_targetILNS1_3genE8ELNS1_11target_archE1030ELNS1_3gpuE2ELNS1_3repE0EEENS1_48merge_mergepath_partition_config_static_selectorELNS0_4arch9wavefront6targetE1EEEvSK_,@function
_ZN7rocprim17ROCPRIM_400000_NS6detail17trampoline_kernelINS0_14default_configENS1_38merge_sort_block_merge_config_selectorIaNS0_10empty_typeEEEZZNS1_27merge_sort_block_merge_implIS3_N6thrust23THRUST_200600_302600_NS6detail15normal_iteratorINS9_10device_ptrIaEEEEPS5_m14custom_greaterIaEEE10hipError_tT0_T1_T2_jT3_P12ihipStream_tbPNSt15iterator_traitsISJ_E10value_typeEPNSP_ISK_E10value_typeEPSL_NS1_7vsmem_tEENKUlT_SJ_SK_SL_E_clISE_PaSF_SF_EESI_SY_SJ_SK_SL_EUlSY_E_NS1_11comp_targetILNS1_3genE8ELNS1_11target_archE1030ELNS1_3gpuE2ELNS1_3repE0EEENS1_48merge_mergepath_partition_config_static_selectorELNS0_4arch9wavefront6targetE1EEEvSK_: ; @_ZN7rocprim17ROCPRIM_400000_NS6detail17trampoline_kernelINS0_14default_configENS1_38merge_sort_block_merge_config_selectorIaNS0_10empty_typeEEEZZNS1_27merge_sort_block_merge_implIS3_N6thrust23THRUST_200600_302600_NS6detail15normal_iteratorINS9_10device_ptrIaEEEEPS5_m14custom_greaterIaEEE10hipError_tT0_T1_T2_jT3_P12ihipStream_tbPNSt15iterator_traitsISJ_E10value_typeEPNSP_ISK_E10value_typeEPSL_NS1_7vsmem_tEENKUlT_SJ_SK_SL_E_clISE_PaSF_SF_EESI_SY_SJ_SK_SL_EUlSY_E_NS1_11comp_targetILNS1_3genE8ELNS1_11target_archE1030ELNS1_3gpuE2ELNS1_3repE0EEENS1_48merge_mergepath_partition_config_static_selectorELNS0_4arch9wavefront6targetE1EEEvSK_
; %bb.0:
	.section	.rodata,"a",@progbits
	.p2align	6, 0x0
	.amdhsa_kernel _ZN7rocprim17ROCPRIM_400000_NS6detail17trampoline_kernelINS0_14default_configENS1_38merge_sort_block_merge_config_selectorIaNS0_10empty_typeEEEZZNS1_27merge_sort_block_merge_implIS3_N6thrust23THRUST_200600_302600_NS6detail15normal_iteratorINS9_10device_ptrIaEEEEPS5_m14custom_greaterIaEEE10hipError_tT0_T1_T2_jT3_P12ihipStream_tbPNSt15iterator_traitsISJ_E10value_typeEPNSP_ISK_E10value_typeEPSL_NS1_7vsmem_tEENKUlT_SJ_SK_SL_E_clISE_PaSF_SF_EESI_SY_SJ_SK_SL_EUlSY_E_NS1_11comp_targetILNS1_3genE8ELNS1_11target_archE1030ELNS1_3gpuE2ELNS1_3repE0EEENS1_48merge_mergepath_partition_config_static_selectorELNS0_4arch9wavefront6targetE1EEEvSK_
		.amdhsa_group_segment_fixed_size 0
		.amdhsa_private_segment_fixed_size 0
		.amdhsa_kernarg_size 48
		.amdhsa_user_sgpr_count 6
		.amdhsa_user_sgpr_private_segment_buffer 1
		.amdhsa_user_sgpr_dispatch_ptr 0
		.amdhsa_user_sgpr_queue_ptr 0
		.amdhsa_user_sgpr_kernarg_segment_ptr 1
		.amdhsa_user_sgpr_dispatch_id 0
		.amdhsa_user_sgpr_flat_scratch_init 0
		.amdhsa_user_sgpr_kernarg_preload_length 0
		.amdhsa_user_sgpr_kernarg_preload_offset 0
		.amdhsa_user_sgpr_private_segment_size 0
		.amdhsa_uses_dynamic_stack 0
		.amdhsa_system_sgpr_private_segment_wavefront_offset 0
		.amdhsa_system_sgpr_workgroup_id_x 1
		.amdhsa_system_sgpr_workgroup_id_y 0
		.amdhsa_system_sgpr_workgroup_id_z 0
		.amdhsa_system_sgpr_workgroup_info 0
		.amdhsa_system_vgpr_workitem_id 0
		.amdhsa_next_free_vgpr 1
		.amdhsa_next_free_sgpr 0
		.amdhsa_accum_offset 4
		.amdhsa_reserve_vcc 0
		.amdhsa_reserve_flat_scratch 0
		.amdhsa_float_round_mode_32 0
		.amdhsa_float_round_mode_16_64 0
		.amdhsa_float_denorm_mode_32 3
		.amdhsa_float_denorm_mode_16_64 3
		.amdhsa_dx10_clamp 1
		.amdhsa_ieee_mode 1
		.amdhsa_fp16_overflow 0
		.amdhsa_tg_split 0
		.amdhsa_exception_fp_ieee_invalid_op 0
		.amdhsa_exception_fp_denorm_src 0
		.amdhsa_exception_fp_ieee_div_zero 0
		.amdhsa_exception_fp_ieee_overflow 0
		.amdhsa_exception_fp_ieee_underflow 0
		.amdhsa_exception_fp_ieee_inexact 0
		.amdhsa_exception_int_div_zero 0
	.end_amdhsa_kernel
	.section	.text._ZN7rocprim17ROCPRIM_400000_NS6detail17trampoline_kernelINS0_14default_configENS1_38merge_sort_block_merge_config_selectorIaNS0_10empty_typeEEEZZNS1_27merge_sort_block_merge_implIS3_N6thrust23THRUST_200600_302600_NS6detail15normal_iteratorINS9_10device_ptrIaEEEEPS5_m14custom_greaterIaEEE10hipError_tT0_T1_T2_jT3_P12ihipStream_tbPNSt15iterator_traitsISJ_E10value_typeEPNSP_ISK_E10value_typeEPSL_NS1_7vsmem_tEENKUlT_SJ_SK_SL_E_clISE_PaSF_SF_EESI_SY_SJ_SK_SL_EUlSY_E_NS1_11comp_targetILNS1_3genE8ELNS1_11target_archE1030ELNS1_3gpuE2ELNS1_3repE0EEENS1_48merge_mergepath_partition_config_static_selectorELNS0_4arch9wavefront6targetE1EEEvSK_,"axG",@progbits,_ZN7rocprim17ROCPRIM_400000_NS6detail17trampoline_kernelINS0_14default_configENS1_38merge_sort_block_merge_config_selectorIaNS0_10empty_typeEEEZZNS1_27merge_sort_block_merge_implIS3_N6thrust23THRUST_200600_302600_NS6detail15normal_iteratorINS9_10device_ptrIaEEEEPS5_m14custom_greaterIaEEE10hipError_tT0_T1_T2_jT3_P12ihipStream_tbPNSt15iterator_traitsISJ_E10value_typeEPNSP_ISK_E10value_typeEPSL_NS1_7vsmem_tEENKUlT_SJ_SK_SL_E_clISE_PaSF_SF_EESI_SY_SJ_SK_SL_EUlSY_E_NS1_11comp_targetILNS1_3genE8ELNS1_11target_archE1030ELNS1_3gpuE2ELNS1_3repE0EEENS1_48merge_mergepath_partition_config_static_selectorELNS0_4arch9wavefront6targetE1EEEvSK_,comdat
.Lfunc_end2816:
	.size	_ZN7rocprim17ROCPRIM_400000_NS6detail17trampoline_kernelINS0_14default_configENS1_38merge_sort_block_merge_config_selectorIaNS0_10empty_typeEEEZZNS1_27merge_sort_block_merge_implIS3_N6thrust23THRUST_200600_302600_NS6detail15normal_iteratorINS9_10device_ptrIaEEEEPS5_m14custom_greaterIaEEE10hipError_tT0_T1_T2_jT3_P12ihipStream_tbPNSt15iterator_traitsISJ_E10value_typeEPNSP_ISK_E10value_typeEPSL_NS1_7vsmem_tEENKUlT_SJ_SK_SL_E_clISE_PaSF_SF_EESI_SY_SJ_SK_SL_EUlSY_E_NS1_11comp_targetILNS1_3genE8ELNS1_11target_archE1030ELNS1_3gpuE2ELNS1_3repE0EEENS1_48merge_mergepath_partition_config_static_selectorELNS0_4arch9wavefront6targetE1EEEvSK_, .Lfunc_end2816-_ZN7rocprim17ROCPRIM_400000_NS6detail17trampoline_kernelINS0_14default_configENS1_38merge_sort_block_merge_config_selectorIaNS0_10empty_typeEEEZZNS1_27merge_sort_block_merge_implIS3_N6thrust23THRUST_200600_302600_NS6detail15normal_iteratorINS9_10device_ptrIaEEEEPS5_m14custom_greaterIaEEE10hipError_tT0_T1_T2_jT3_P12ihipStream_tbPNSt15iterator_traitsISJ_E10value_typeEPNSP_ISK_E10value_typeEPSL_NS1_7vsmem_tEENKUlT_SJ_SK_SL_E_clISE_PaSF_SF_EESI_SY_SJ_SK_SL_EUlSY_E_NS1_11comp_targetILNS1_3genE8ELNS1_11target_archE1030ELNS1_3gpuE2ELNS1_3repE0EEENS1_48merge_mergepath_partition_config_static_selectorELNS0_4arch9wavefront6targetE1EEEvSK_
                                        ; -- End function
	.section	.AMDGPU.csdata,"",@progbits
; Kernel info:
; codeLenInByte = 0
; NumSgprs: 4
; NumVgprs: 0
; NumAgprs: 0
; TotalNumVgprs: 0
; ScratchSize: 0
; MemoryBound: 0
; FloatMode: 240
; IeeeMode: 1
; LDSByteSize: 0 bytes/workgroup (compile time only)
; SGPRBlocks: 0
; VGPRBlocks: 0
; NumSGPRsForWavesPerEU: 4
; NumVGPRsForWavesPerEU: 1
; AccumOffset: 4
; Occupancy: 8
; WaveLimiterHint : 0
; COMPUTE_PGM_RSRC2:SCRATCH_EN: 0
; COMPUTE_PGM_RSRC2:USER_SGPR: 6
; COMPUTE_PGM_RSRC2:TRAP_HANDLER: 0
; COMPUTE_PGM_RSRC2:TGID_X_EN: 1
; COMPUTE_PGM_RSRC2:TGID_Y_EN: 0
; COMPUTE_PGM_RSRC2:TGID_Z_EN: 0
; COMPUTE_PGM_RSRC2:TIDIG_COMP_CNT: 0
; COMPUTE_PGM_RSRC3_GFX90A:ACCUM_OFFSET: 0
; COMPUTE_PGM_RSRC3_GFX90A:TG_SPLIT: 0
	.section	.text._ZN7rocprim17ROCPRIM_400000_NS6detail17trampoline_kernelINS0_14default_configENS1_38merge_sort_block_merge_config_selectorIaNS0_10empty_typeEEEZZNS1_27merge_sort_block_merge_implIS3_N6thrust23THRUST_200600_302600_NS6detail15normal_iteratorINS9_10device_ptrIaEEEEPS5_m14custom_greaterIaEEE10hipError_tT0_T1_T2_jT3_P12ihipStream_tbPNSt15iterator_traitsISJ_E10value_typeEPNSP_ISK_E10value_typeEPSL_NS1_7vsmem_tEENKUlT_SJ_SK_SL_E_clISE_PaSF_SF_EESI_SY_SJ_SK_SL_EUlSY_E0_NS1_11comp_targetILNS1_3genE0ELNS1_11target_archE4294967295ELNS1_3gpuE0ELNS1_3repE0EEENS1_38merge_mergepath_config_static_selectorELNS0_4arch9wavefront6targetE1EEEvSK_,"axG",@progbits,_ZN7rocprim17ROCPRIM_400000_NS6detail17trampoline_kernelINS0_14default_configENS1_38merge_sort_block_merge_config_selectorIaNS0_10empty_typeEEEZZNS1_27merge_sort_block_merge_implIS3_N6thrust23THRUST_200600_302600_NS6detail15normal_iteratorINS9_10device_ptrIaEEEEPS5_m14custom_greaterIaEEE10hipError_tT0_T1_T2_jT3_P12ihipStream_tbPNSt15iterator_traitsISJ_E10value_typeEPNSP_ISK_E10value_typeEPSL_NS1_7vsmem_tEENKUlT_SJ_SK_SL_E_clISE_PaSF_SF_EESI_SY_SJ_SK_SL_EUlSY_E0_NS1_11comp_targetILNS1_3genE0ELNS1_11target_archE4294967295ELNS1_3gpuE0ELNS1_3repE0EEENS1_38merge_mergepath_config_static_selectorELNS0_4arch9wavefront6targetE1EEEvSK_,comdat
	.protected	_ZN7rocprim17ROCPRIM_400000_NS6detail17trampoline_kernelINS0_14default_configENS1_38merge_sort_block_merge_config_selectorIaNS0_10empty_typeEEEZZNS1_27merge_sort_block_merge_implIS3_N6thrust23THRUST_200600_302600_NS6detail15normal_iteratorINS9_10device_ptrIaEEEEPS5_m14custom_greaterIaEEE10hipError_tT0_T1_T2_jT3_P12ihipStream_tbPNSt15iterator_traitsISJ_E10value_typeEPNSP_ISK_E10value_typeEPSL_NS1_7vsmem_tEENKUlT_SJ_SK_SL_E_clISE_PaSF_SF_EESI_SY_SJ_SK_SL_EUlSY_E0_NS1_11comp_targetILNS1_3genE0ELNS1_11target_archE4294967295ELNS1_3gpuE0ELNS1_3repE0EEENS1_38merge_mergepath_config_static_selectorELNS0_4arch9wavefront6targetE1EEEvSK_ ; -- Begin function _ZN7rocprim17ROCPRIM_400000_NS6detail17trampoline_kernelINS0_14default_configENS1_38merge_sort_block_merge_config_selectorIaNS0_10empty_typeEEEZZNS1_27merge_sort_block_merge_implIS3_N6thrust23THRUST_200600_302600_NS6detail15normal_iteratorINS9_10device_ptrIaEEEEPS5_m14custom_greaterIaEEE10hipError_tT0_T1_T2_jT3_P12ihipStream_tbPNSt15iterator_traitsISJ_E10value_typeEPNSP_ISK_E10value_typeEPSL_NS1_7vsmem_tEENKUlT_SJ_SK_SL_E_clISE_PaSF_SF_EESI_SY_SJ_SK_SL_EUlSY_E0_NS1_11comp_targetILNS1_3genE0ELNS1_11target_archE4294967295ELNS1_3gpuE0ELNS1_3repE0EEENS1_38merge_mergepath_config_static_selectorELNS0_4arch9wavefront6targetE1EEEvSK_
	.globl	_ZN7rocprim17ROCPRIM_400000_NS6detail17trampoline_kernelINS0_14default_configENS1_38merge_sort_block_merge_config_selectorIaNS0_10empty_typeEEEZZNS1_27merge_sort_block_merge_implIS3_N6thrust23THRUST_200600_302600_NS6detail15normal_iteratorINS9_10device_ptrIaEEEEPS5_m14custom_greaterIaEEE10hipError_tT0_T1_T2_jT3_P12ihipStream_tbPNSt15iterator_traitsISJ_E10value_typeEPNSP_ISK_E10value_typeEPSL_NS1_7vsmem_tEENKUlT_SJ_SK_SL_E_clISE_PaSF_SF_EESI_SY_SJ_SK_SL_EUlSY_E0_NS1_11comp_targetILNS1_3genE0ELNS1_11target_archE4294967295ELNS1_3gpuE0ELNS1_3repE0EEENS1_38merge_mergepath_config_static_selectorELNS0_4arch9wavefront6targetE1EEEvSK_
	.p2align	8
	.type	_ZN7rocprim17ROCPRIM_400000_NS6detail17trampoline_kernelINS0_14default_configENS1_38merge_sort_block_merge_config_selectorIaNS0_10empty_typeEEEZZNS1_27merge_sort_block_merge_implIS3_N6thrust23THRUST_200600_302600_NS6detail15normal_iteratorINS9_10device_ptrIaEEEEPS5_m14custom_greaterIaEEE10hipError_tT0_T1_T2_jT3_P12ihipStream_tbPNSt15iterator_traitsISJ_E10value_typeEPNSP_ISK_E10value_typeEPSL_NS1_7vsmem_tEENKUlT_SJ_SK_SL_E_clISE_PaSF_SF_EESI_SY_SJ_SK_SL_EUlSY_E0_NS1_11comp_targetILNS1_3genE0ELNS1_11target_archE4294967295ELNS1_3gpuE0ELNS1_3repE0EEENS1_38merge_mergepath_config_static_selectorELNS0_4arch9wavefront6targetE1EEEvSK_,@function
_ZN7rocprim17ROCPRIM_400000_NS6detail17trampoline_kernelINS0_14default_configENS1_38merge_sort_block_merge_config_selectorIaNS0_10empty_typeEEEZZNS1_27merge_sort_block_merge_implIS3_N6thrust23THRUST_200600_302600_NS6detail15normal_iteratorINS9_10device_ptrIaEEEEPS5_m14custom_greaterIaEEE10hipError_tT0_T1_T2_jT3_P12ihipStream_tbPNSt15iterator_traitsISJ_E10value_typeEPNSP_ISK_E10value_typeEPSL_NS1_7vsmem_tEENKUlT_SJ_SK_SL_E_clISE_PaSF_SF_EESI_SY_SJ_SK_SL_EUlSY_E0_NS1_11comp_targetILNS1_3genE0ELNS1_11target_archE4294967295ELNS1_3gpuE0ELNS1_3repE0EEENS1_38merge_mergepath_config_static_selectorELNS0_4arch9wavefront6targetE1EEEvSK_: ; @_ZN7rocprim17ROCPRIM_400000_NS6detail17trampoline_kernelINS0_14default_configENS1_38merge_sort_block_merge_config_selectorIaNS0_10empty_typeEEEZZNS1_27merge_sort_block_merge_implIS3_N6thrust23THRUST_200600_302600_NS6detail15normal_iteratorINS9_10device_ptrIaEEEEPS5_m14custom_greaterIaEEE10hipError_tT0_T1_T2_jT3_P12ihipStream_tbPNSt15iterator_traitsISJ_E10value_typeEPNSP_ISK_E10value_typeEPSL_NS1_7vsmem_tEENKUlT_SJ_SK_SL_E_clISE_PaSF_SF_EESI_SY_SJ_SK_SL_EUlSY_E0_NS1_11comp_targetILNS1_3genE0ELNS1_11target_archE4294967295ELNS1_3gpuE0ELNS1_3repE0EEENS1_38merge_mergepath_config_static_selectorELNS0_4arch9wavefront6targetE1EEEvSK_
; %bb.0:
	.section	.rodata,"a",@progbits
	.p2align	6, 0x0
	.amdhsa_kernel _ZN7rocprim17ROCPRIM_400000_NS6detail17trampoline_kernelINS0_14default_configENS1_38merge_sort_block_merge_config_selectorIaNS0_10empty_typeEEEZZNS1_27merge_sort_block_merge_implIS3_N6thrust23THRUST_200600_302600_NS6detail15normal_iteratorINS9_10device_ptrIaEEEEPS5_m14custom_greaterIaEEE10hipError_tT0_T1_T2_jT3_P12ihipStream_tbPNSt15iterator_traitsISJ_E10value_typeEPNSP_ISK_E10value_typeEPSL_NS1_7vsmem_tEENKUlT_SJ_SK_SL_E_clISE_PaSF_SF_EESI_SY_SJ_SK_SL_EUlSY_E0_NS1_11comp_targetILNS1_3genE0ELNS1_11target_archE4294967295ELNS1_3gpuE0ELNS1_3repE0EEENS1_38merge_mergepath_config_static_selectorELNS0_4arch9wavefront6targetE1EEEvSK_
		.amdhsa_group_segment_fixed_size 0
		.amdhsa_private_segment_fixed_size 0
		.amdhsa_kernarg_size 72
		.amdhsa_user_sgpr_count 6
		.amdhsa_user_sgpr_private_segment_buffer 1
		.amdhsa_user_sgpr_dispatch_ptr 0
		.amdhsa_user_sgpr_queue_ptr 0
		.amdhsa_user_sgpr_kernarg_segment_ptr 1
		.amdhsa_user_sgpr_dispatch_id 0
		.amdhsa_user_sgpr_flat_scratch_init 0
		.amdhsa_user_sgpr_kernarg_preload_length 0
		.amdhsa_user_sgpr_kernarg_preload_offset 0
		.amdhsa_user_sgpr_private_segment_size 0
		.amdhsa_uses_dynamic_stack 0
		.amdhsa_system_sgpr_private_segment_wavefront_offset 0
		.amdhsa_system_sgpr_workgroup_id_x 1
		.amdhsa_system_sgpr_workgroup_id_y 0
		.amdhsa_system_sgpr_workgroup_id_z 0
		.amdhsa_system_sgpr_workgroup_info 0
		.amdhsa_system_vgpr_workitem_id 0
		.amdhsa_next_free_vgpr 1
		.amdhsa_next_free_sgpr 0
		.amdhsa_accum_offset 4
		.amdhsa_reserve_vcc 0
		.amdhsa_reserve_flat_scratch 0
		.amdhsa_float_round_mode_32 0
		.amdhsa_float_round_mode_16_64 0
		.amdhsa_float_denorm_mode_32 3
		.amdhsa_float_denorm_mode_16_64 3
		.amdhsa_dx10_clamp 1
		.amdhsa_ieee_mode 1
		.amdhsa_fp16_overflow 0
		.amdhsa_tg_split 0
		.amdhsa_exception_fp_ieee_invalid_op 0
		.amdhsa_exception_fp_denorm_src 0
		.amdhsa_exception_fp_ieee_div_zero 0
		.amdhsa_exception_fp_ieee_overflow 0
		.amdhsa_exception_fp_ieee_underflow 0
		.amdhsa_exception_fp_ieee_inexact 0
		.amdhsa_exception_int_div_zero 0
	.end_amdhsa_kernel
	.section	.text._ZN7rocprim17ROCPRIM_400000_NS6detail17trampoline_kernelINS0_14default_configENS1_38merge_sort_block_merge_config_selectorIaNS0_10empty_typeEEEZZNS1_27merge_sort_block_merge_implIS3_N6thrust23THRUST_200600_302600_NS6detail15normal_iteratorINS9_10device_ptrIaEEEEPS5_m14custom_greaterIaEEE10hipError_tT0_T1_T2_jT3_P12ihipStream_tbPNSt15iterator_traitsISJ_E10value_typeEPNSP_ISK_E10value_typeEPSL_NS1_7vsmem_tEENKUlT_SJ_SK_SL_E_clISE_PaSF_SF_EESI_SY_SJ_SK_SL_EUlSY_E0_NS1_11comp_targetILNS1_3genE0ELNS1_11target_archE4294967295ELNS1_3gpuE0ELNS1_3repE0EEENS1_38merge_mergepath_config_static_selectorELNS0_4arch9wavefront6targetE1EEEvSK_,"axG",@progbits,_ZN7rocprim17ROCPRIM_400000_NS6detail17trampoline_kernelINS0_14default_configENS1_38merge_sort_block_merge_config_selectorIaNS0_10empty_typeEEEZZNS1_27merge_sort_block_merge_implIS3_N6thrust23THRUST_200600_302600_NS6detail15normal_iteratorINS9_10device_ptrIaEEEEPS5_m14custom_greaterIaEEE10hipError_tT0_T1_T2_jT3_P12ihipStream_tbPNSt15iterator_traitsISJ_E10value_typeEPNSP_ISK_E10value_typeEPSL_NS1_7vsmem_tEENKUlT_SJ_SK_SL_E_clISE_PaSF_SF_EESI_SY_SJ_SK_SL_EUlSY_E0_NS1_11comp_targetILNS1_3genE0ELNS1_11target_archE4294967295ELNS1_3gpuE0ELNS1_3repE0EEENS1_38merge_mergepath_config_static_selectorELNS0_4arch9wavefront6targetE1EEEvSK_,comdat
.Lfunc_end2817:
	.size	_ZN7rocprim17ROCPRIM_400000_NS6detail17trampoline_kernelINS0_14default_configENS1_38merge_sort_block_merge_config_selectorIaNS0_10empty_typeEEEZZNS1_27merge_sort_block_merge_implIS3_N6thrust23THRUST_200600_302600_NS6detail15normal_iteratorINS9_10device_ptrIaEEEEPS5_m14custom_greaterIaEEE10hipError_tT0_T1_T2_jT3_P12ihipStream_tbPNSt15iterator_traitsISJ_E10value_typeEPNSP_ISK_E10value_typeEPSL_NS1_7vsmem_tEENKUlT_SJ_SK_SL_E_clISE_PaSF_SF_EESI_SY_SJ_SK_SL_EUlSY_E0_NS1_11comp_targetILNS1_3genE0ELNS1_11target_archE4294967295ELNS1_3gpuE0ELNS1_3repE0EEENS1_38merge_mergepath_config_static_selectorELNS0_4arch9wavefront6targetE1EEEvSK_, .Lfunc_end2817-_ZN7rocprim17ROCPRIM_400000_NS6detail17trampoline_kernelINS0_14default_configENS1_38merge_sort_block_merge_config_selectorIaNS0_10empty_typeEEEZZNS1_27merge_sort_block_merge_implIS3_N6thrust23THRUST_200600_302600_NS6detail15normal_iteratorINS9_10device_ptrIaEEEEPS5_m14custom_greaterIaEEE10hipError_tT0_T1_T2_jT3_P12ihipStream_tbPNSt15iterator_traitsISJ_E10value_typeEPNSP_ISK_E10value_typeEPSL_NS1_7vsmem_tEENKUlT_SJ_SK_SL_E_clISE_PaSF_SF_EESI_SY_SJ_SK_SL_EUlSY_E0_NS1_11comp_targetILNS1_3genE0ELNS1_11target_archE4294967295ELNS1_3gpuE0ELNS1_3repE0EEENS1_38merge_mergepath_config_static_selectorELNS0_4arch9wavefront6targetE1EEEvSK_
                                        ; -- End function
	.section	.AMDGPU.csdata,"",@progbits
; Kernel info:
; codeLenInByte = 0
; NumSgprs: 4
; NumVgprs: 0
; NumAgprs: 0
; TotalNumVgprs: 0
; ScratchSize: 0
; MemoryBound: 0
; FloatMode: 240
; IeeeMode: 1
; LDSByteSize: 0 bytes/workgroup (compile time only)
; SGPRBlocks: 0
; VGPRBlocks: 0
; NumSGPRsForWavesPerEU: 4
; NumVGPRsForWavesPerEU: 1
; AccumOffset: 4
; Occupancy: 8
; WaveLimiterHint : 0
; COMPUTE_PGM_RSRC2:SCRATCH_EN: 0
; COMPUTE_PGM_RSRC2:USER_SGPR: 6
; COMPUTE_PGM_RSRC2:TRAP_HANDLER: 0
; COMPUTE_PGM_RSRC2:TGID_X_EN: 1
; COMPUTE_PGM_RSRC2:TGID_Y_EN: 0
; COMPUTE_PGM_RSRC2:TGID_Z_EN: 0
; COMPUTE_PGM_RSRC2:TIDIG_COMP_CNT: 0
; COMPUTE_PGM_RSRC3_GFX90A:ACCUM_OFFSET: 0
; COMPUTE_PGM_RSRC3_GFX90A:TG_SPLIT: 0
	.section	.text._ZN7rocprim17ROCPRIM_400000_NS6detail17trampoline_kernelINS0_14default_configENS1_38merge_sort_block_merge_config_selectorIaNS0_10empty_typeEEEZZNS1_27merge_sort_block_merge_implIS3_N6thrust23THRUST_200600_302600_NS6detail15normal_iteratorINS9_10device_ptrIaEEEEPS5_m14custom_greaterIaEEE10hipError_tT0_T1_T2_jT3_P12ihipStream_tbPNSt15iterator_traitsISJ_E10value_typeEPNSP_ISK_E10value_typeEPSL_NS1_7vsmem_tEENKUlT_SJ_SK_SL_E_clISE_PaSF_SF_EESI_SY_SJ_SK_SL_EUlSY_E0_NS1_11comp_targetILNS1_3genE10ELNS1_11target_archE1201ELNS1_3gpuE5ELNS1_3repE0EEENS1_38merge_mergepath_config_static_selectorELNS0_4arch9wavefront6targetE1EEEvSK_,"axG",@progbits,_ZN7rocprim17ROCPRIM_400000_NS6detail17trampoline_kernelINS0_14default_configENS1_38merge_sort_block_merge_config_selectorIaNS0_10empty_typeEEEZZNS1_27merge_sort_block_merge_implIS3_N6thrust23THRUST_200600_302600_NS6detail15normal_iteratorINS9_10device_ptrIaEEEEPS5_m14custom_greaterIaEEE10hipError_tT0_T1_T2_jT3_P12ihipStream_tbPNSt15iterator_traitsISJ_E10value_typeEPNSP_ISK_E10value_typeEPSL_NS1_7vsmem_tEENKUlT_SJ_SK_SL_E_clISE_PaSF_SF_EESI_SY_SJ_SK_SL_EUlSY_E0_NS1_11comp_targetILNS1_3genE10ELNS1_11target_archE1201ELNS1_3gpuE5ELNS1_3repE0EEENS1_38merge_mergepath_config_static_selectorELNS0_4arch9wavefront6targetE1EEEvSK_,comdat
	.protected	_ZN7rocprim17ROCPRIM_400000_NS6detail17trampoline_kernelINS0_14default_configENS1_38merge_sort_block_merge_config_selectorIaNS0_10empty_typeEEEZZNS1_27merge_sort_block_merge_implIS3_N6thrust23THRUST_200600_302600_NS6detail15normal_iteratorINS9_10device_ptrIaEEEEPS5_m14custom_greaterIaEEE10hipError_tT0_T1_T2_jT3_P12ihipStream_tbPNSt15iterator_traitsISJ_E10value_typeEPNSP_ISK_E10value_typeEPSL_NS1_7vsmem_tEENKUlT_SJ_SK_SL_E_clISE_PaSF_SF_EESI_SY_SJ_SK_SL_EUlSY_E0_NS1_11comp_targetILNS1_3genE10ELNS1_11target_archE1201ELNS1_3gpuE5ELNS1_3repE0EEENS1_38merge_mergepath_config_static_selectorELNS0_4arch9wavefront6targetE1EEEvSK_ ; -- Begin function _ZN7rocprim17ROCPRIM_400000_NS6detail17trampoline_kernelINS0_14default_configENS1_38merge_sort_block_merge_config_selectorIaNS0_10empty_typeEEEZZNS1_27merge_sort_block_merge_implIS3_N6thrust23THRUST_200600_302600_NS6detail15normal_iteratorINS9_10device_ptrIaEEEEPS5_m14custom_greaterIaEEE10hipError_tT0_T1_T2_jT3_P12ihipStream_tbPNSt15iterator_traitsISJ_E10value_typeEPNSP_ISK_E10value_typeEPSL_NS1_7vsmem_tEENKUlT_SJ_SK_SL_E_clISE_PaSF_SF_EESI_SY_SJ_SK_SL_EUlSY_E0_NS1_11comp_targetILNS1_3genE10ELNS1_11target_archE1201ELNS1_3gpuE5ELNS1_3repE0EEENS1_38merge_mergepath_config_static_selectorELNS0_4arch9wavefront6targetE1EEEvSK_
	.globl	_ZN7rocprim17ROCPRIM_400000_NS6detail17trampoline_kernelINS0_14default_configENS1_38merge_sort_block_merge_config_selectorIaNS0_10empty_typeEEEZZNS1_27merge_sort_block_merge_implIS3_N6thrust23THRUST_200600_302600_NS6detail15normal_iteratorINS9_10device_ptrIaEEEEPS5_m14custom_greaterIaEEE10hipError_tT0_T1_T2_jT3_P12ihipStream_tbPNSt15iterator_traitsISJ_E10value_typeEPNSP_ISK_E10value_typeEPSL_NS1_7vsmem_tEENKUlT_SJ_SK_SL_E_clISE_PaSF_SF_EESI_SY_SJ_SK_SL_EUlSY_E0_NS1_11comp_targetILNS1_3genE10ELNS1_11target_archE1201ELNS1_3gpuE5ELNS1_3repE0EEENS1_38merge_mergepath_config_static_selectorELNS0_4arch9wavefront6targetE1EEEvSK_
	.p2align	8
	.type	_ZN7rocprim17ROCPRIM_400000_NS6detail17trampoline_kernelINS0_14default_configENS1_38merge_sort_block_merge_config_selectorIaNS0_10empty_typeEEEZZNS1_27merge_sort_block_merge_implIS3_N6thrust23THRUST_200600_302600_NS6detail15normal_iteratorINS9_10device_ptrIaEEEEPS5_m14custom_greaterIaEEE10hipError_tT0_T1_T2_jT3_P12ihipStream_tbPNSt15iterator_traitsISJ_E10value_typeEPNSP_ISK_E10value_typeEPSL_NS1_7vsmem_tEENKUlT_SJ_SK_SL_E_clISE_PaSF_SF_EESI_SY_SJ_SK_SL_EUlSY_E0_NS1_11comp_targetILNS1_3genE10ELNS1_11target_archE1201ELNS1_3gpuE5ELNS1_3repE0EEENS1_38merge_mergepath_config_static_selectorELNS0_4arch9wavefront6targetE1EEEvSK_,@function
_ZN7rocprim17ROCPRIM_400000_NS6detail17trampoline_kernelINS0_14default_configENS1_38merge_sort_block_merge_config_selectorIaNS0_10empty_typeEEEZZNS1_27merge_sort_block_merge_implIS3_N6thrust23THRUST_200600_302600_NS6detail15normal_iteratorINS9_10device_ptrIaEEEEPS5_m14custom_greaterIaEEE10hipError_tT0_T1_T2_jT3_P12ihipStream_tbPNSt15iterator_traitsISJ_E10value_typeEPNSP_ISK_E10value_typeEPSL_NS1_7vsmem_tEENKUlT_SJ_SK_SL_E_clISE_PaSF_SF_EESI_SY_SJ_SK_SL_EUlSY_E0_NS1_11comp_targetILNS1_3genE10ELNS1_11target_archE1201ELNS1_3gpuE5ELNS1_3repE0EEENS1_38merge_mergepath_config_static_selectorELNS0_4arch9wavefront6targetE1EEEvSK_: ; @_ZN7rocprim17ROCPRIM_400000_NS6detail17trampoline_kernelINS0_14default_configENS1_38merge_sort_block_merge_config_selectorIaNS0_10empty_typeEEEZZNS1_27merge_sort_block_merge_implIS3_N6thrust23THRUST_200600_302600_NS6detail15normal_iteratorINS9_10device_ptrIaEEEEPS5_m14custom_greaterIaEEE10hipError_tT0_T1_T2_jT3_P12ihipStream_tbPNSt15iterator_traitsISJ_E10value_typeEPNSP_ISK_E10value_typeEPSL_NS1_7vsmem_tEENKUlT_SJ_SK_SL_E_clISE_PaSF_SF_EESI_SY_SJ_SK_SL_EUlSY_E0_NS1_11comp_targetILNS1_3genE10ELNS1_11target_archE1201ELNS1_3gpuE5ELNS1_3repE0EEENS1_38merge_mergepath_config_static_selectorELNS0_4arch9wavefront6targetE1EEEvSK_
; %bb.0:
	.section	.rodata,"a",@progbits
	.p2align	6, 0x0
	.amdhsa_kernel _ZN7rocprim17ROCPRIM_400000_NS6detail17trampoline_kernelINS0_14default_configENS1_38merge_sort_block_merge_config_selectorIaNS0_10empty_typeEEEZZNS1_27merge_sort_block_merge_implIS3_N6thrust23THRUST_200600_302600_NS6detail15normal_iteratorINS9_10device_ptrIaEEEEPS5_m14custom_greaterIaEEE10hipError_tT0_T1_T2_jT3_P12ihipStream_tbPNSt15iterator_traitsISJ_E10value_typeEPNSP_ISK_E10value_typeEPSL_NS1_7vsmem_tEENKUlT_SJ_SK_SL_E_clISE_PaSF_SF_EESI_SY_SJ_SK_SL_EUlSY_E0_NS1_11comp_targetILNS1_3genE10ELNS1_11target_archE1201ELNS1_3gpuE5ELNS1_3repE0EEENS1_38merge_mergepath_config_static_selectorELNS0_4arch9wavefront6targetE1EEEvSK_
		.amdhsa_group_segment_fixed_size 0
		.amdhsa_private_segment_fixed_size 0
		.amdhsa_kernarg_size 72
		.amdhsa_user_sgpr_count 6
		.amdhsa_user_sgpr_private_segment_buffer 1
		.amdhsa_user_sgpr_dispatch_ptr 0
		.amdhsa_user_sgpr_queue_ptr 0
		.amdhsa_user_sgpr_kernarg_segment_ptr 1
		.amdhsa_user_sgpr_dispatch_id 0
		.amdhsa_user_sgpr_flat_scratch_init 0
		.amdhsa_user_sgpr_kernarg_preload_length 0
		.amdhsa_user_sgpr_kernarg_preload_offset 0
		.amdhsa_user_sgpr_private_segment_size 0
		.amdhsa_uses_dynamic_stack 0
		.amdhsa_system_sgpr_private_segment_wavefront_offset 0
		.amdhsa_system_sgpr_workgroup_id_x 1
		.amdhsa_system_sgpr_workgroup_id_y 0
		.amdhsa_system_sgpr_workgroup_id_z 0
		.amdhsa_system_sgpr_workgroup_info 0
		.amdhsa_system_vgpr_workitem_id 0
		.amdhsa_next_free_vgpr 1
		.amdhsa_next_free_sgpr 0
		.amdhsa_accum_offset 4
		.amdhsa_reserve_vcc 0
		.amdhsa_reserve_flat_scratch 0
		.amdhsa_float_round_mode_32 0
		.amdhsa_float_round_mode_16_64 0
		.amdhsa_float_denorm_mode_32 3
		.amdhsa_float_denorm_mode_16_64 3
		.amdhsa_dx10_clamp 1
		.amdhsa_ieee_mode 1
		.amdhsa_fp16_overflow 0
		.amdhsa_tg_split 0
		.amdhsa_exception_fp_ieee_invalid_op 0
		.amdhsa_exception_fp_denorm_src 0
		.amdhsa_exception_fp_ieee_div_zero 0
		.amdhsa_exception_fp_ieee_overflow 0
		.amdhsa_exception_fp_ieee_underflow 0
		.amdhsa_exception_fp_ieee_inexact 0
		.amdhsa_exception_int_div_zero 0
	.end_amdhsa_kernel
	.section	.text._ZN7rocprim17ROCPRIM_400000_NS6detail17trampoline_kernelINS0_14default_configENS1_38merge_sort_block_merge_config_selectorIaNS0_10empty_typeEEEZZNS1_27merge_sort_block_merge_implIS3_N6thrust23THRUST_200600_302600_NS6detail15normal_iteratorINS9_10device_ptrIaEEEEPS5_m14custom_greaterIaEEE10hipError_tT0_T1_T2_jT3_P12ihipStream_tbPNSt15iterator_traitsISJ_E10value_typeEPNSP_ISK_E10value_typeEPSL_NS1_7vsmem_tEENKUlT_SJ_SK_SL_E_clISE_PaSF_SF_EESI_SY_SJ_SK_SL_EUlSY_E0_NS1_11comp_targetILNS1_3genE10ELNS1_11target_archE1201ELNS1_3gpuE5ELNS1_3repE0EEENS1_38merge_mergepath_config_static_selectorELNS0_4arch9wavefront6targetE1EEEvSK_,"axG",@progbits,_ZN7rocprim17ROCPRIM_400000_NS6detail17trampoline_kernelINS0_14default_configENS1_38merge_sort_block_merge_config_selectorIaNS0_10empty_typeEEEZZNS1_27merge_sort_block_merge_implIS3_N6thrust23THRUST_200600_302600_NS6detail15normal_iteratorINS9_10device_ptrIaEEEEPS5_m14custom_greaterIaEEE10hipError_tT0_T1_T2_jT3_P12ihipStream_tbPNSt15iterator_traitsISJ_E10value_typeEPNSP_ISK_E10value_typeEPSL_NS1_7vsmem_tEENKUlT_SJ_SK_SL_E_clISE_PaSF_SF_EESI_SY_SJ_SK_SL_EUlSY_E0_NS1_11comp_targetILNS1_3genE10ELNS1_11target_archE1201ELNS1_3gpuE5ELNS1_3repE0EEENS1_38merge_mergepath_config_static_selectorELNS0_4arch9wavefront6targetE1EEEvSK_,comdat
.Lfunc_end2818:
	.size	_ZN7rocprim17ROCPRIM_400000_NS6detail17trampoline_kernelINS0_14default_configENS1_38merge_sort_block_merge_config_selectorIaNS0_10empty_typeEEEZZNS1_27merge_sort_block_merge_implIS3_N6thrust23THRUST_200600_302600_NS6detail15normal_iteratorINS9_10device_ptrIaEEEEPS5_m14custom_greaterIaEEE10hipError_tT0_T1_T2_jT3_P12ihipStream_tbPNSt15iterator_traitsISJ_E10value_typeEPNSP_ISK_E10value_typeEPSL_NS1_7vsmem_tEENKUlT_SJ_SK_SL_E_clISE_PaSF_SF_EESI_SY_SJ_SK_SL_EUlSY_E0_NS1_11comp_targetILNS1_3genE10ELNS1_11target_archE1201ELNS1_3gpuE5ELNS1_3repE0EEENS1_38merge_mergepath_config_static_selectorELNS0_4arch9wavefront6targetE1EEEvSK_, .Lfunc_end2818-_ZN7rocprim17ROCPRIM_400000_NS6detail17trampoline_kernelINS0_14default_configENS1_38merge_sort_block_merge_config_selectorIaNS0_10empty_typeEEEZZNS1_27merge_sort_block_merge_implIS3_N6thrust23THRUST_200600_302600_NS6detail15normal_iteratorINS9_10device_ptrIaEEEEPS5_m14custom_greaterIaEEE10hipError_tT0_T1_T2_jT3_P12ihipStream_tbPNSt15iterator_traitsISJ_E10value_typeEPNSP_ISK_E10value_typeEPSL_NS1_7vsmem_tEENKUlT_SJ_SK_SL_E_clISE_PaSF_SF_EESI_SY_SJ_SK_SL_EUlSY_E0_NS1_11comp_targetILNS1_3genE10ELNS1_11target_archE1201ELNS1_3gpuE5ELNS1_3repE0EEENS1_38merge_mergepath_config_static_selectorELNS0_4arch9wavefront6targetE1EEEvSK_
                                        ; -- End function
	.section	.AMDGPU.csdata,"",@progbits
; Kernel info:
; codeLenInByte = 0
; NumSgprs: 4
; NumVgprs: 0
; NumAgprs: 0
; TotalNumVgprs: 0
; ScratchSize: 0
; MemoryBound: 0
; FloatMode: 240
; IeeeMode: 1
; LDSByteSize: 0 bytes/workgroup (compile time only)
; SGPRBlocks: 0
; VGPRBlocks: 0
; NumSGPRsForWavesPerEU: 4
; NumVGPRsForWavesPerEU: 1
; AccumOffset: 4
; Occupancy: 8
; WaveLimiterHint : 0
; COMPUTE_PGM_RSRC2:SCRATCH_EN: 0
; COMPUTE_PGM_RSRC2:USER_SGPR: 6
; COMPUTE_PGM_RSRC2:TRAP_HANDLER: 0
; COMPUTE_PGM_RSRC2:TGID_X_EN: 1
; COMPUTE_PGM_RSRC2:TGID_Y_EN: 0
; COMPUTE_PGM_RSRC2:TGID_Z_EN: 0
; COMPUTE_PGM_RSRC2:TIDIG_COMP_CNT: 0
; COMPUTE_PGM_RSRC3_GFX90A:ACCUM_OFFSET: 0
; COMPUTE_PGM_RSRC3_GFX90A:TG_SPLIT: 0
	.section	.text._ZN7rocprim17ROCPRIM_400000_NS6detail17trampoline_kernelINS0_14default_configENS1_38merge_sort_block_merge_config_selectorIaNS0_10empty_typeEEEZZNS1_27merge_sort_block_merge_implIS3_N6thrust23THRUST_200600_302600_NS6detail15normal_iteratorINS9_10device_ptrIaEEEEPS5_m14custom_greaterIaEEE10hipError_tT0_T1_T2_jT3_P12ihipStream_tbPNSt15iterator_traitsISJ_E10value_typeEPNSP_ISK_E10value_typeEPSL_NS1_7vsmem_tEENKUlT_SJ_SK_SL_E_clISE_PaSF_SF_EESI_SY_SJ_SK_SL_EUlSY_E0_NS1_11comp_targetILNS1_3genE5ELNS1_11target_archE942ELNS1_3gpuE9ELNS1_3repE0EEENS1_38merge_mergepath_config_static_selectorELNS0_4arch9wavefront6targetE1EEEvSK_,"axG",@progbits,_ZN7rocprim17ROCPRIM_400000_NS6detail17trampoline_kernelINS0_14default_configENS1_38merge_sort_block_merge_config_selectorIaNS0_10empty_typeEEEZZNS1_27merge_sort_block_merge_implIS3_N6thrust23THRUST_200600_302600_NS6detail15normal_iteratorINS9_10device_ptrIaEEEEPS5_m14custom_greaterIaEEE10hipError_tT0_T1_T2_jT3_P12ihipStream_tbPNSt15iterator_traitsISJ_E10value_typeEPNSP_ISK_E10value_typeEPSL_NS1_7vsmem_tEENKUlT_SJ_SK_SL_E_clISE_PaSF_SF_EESI_SY_SJ_SK_SL_EUlSY_E0_NS1_11comp_targetILNS1_3genE5ELNS1_11target_archE942ELNS1_3gpuE9ELNS1_3repE0EEENS1_38merge_mergepath_config_static_selectorELNS0_4arch9wavefront6targetE1EEEvSK_,comdat
	.protected	_ZN7rocprim17ROCPRIM_400000_NS6detail17trampoline_kernelINS0_14default_configENS1_38merge_sort_block_merge_config_selectorIaNS0_10empty_typeEEEZZNS1_27merge_sort_block_merge_implIS3_N6thrust23THRUST_200600_302600_NS6detail15normal_iteratorINS9_10device_ptrIaEEEEPS5_m14custom_greaterIaEEE10hipError_tT0_T1_T2_jT3_P12ihipStream_tbPNSt15iterator_traitsISJ_E10value_typeEPNSP_ISK_E10value_typeEPSL_NS1_7vsmem_tEENKUlT_SJ_SK_SL_E_clISE_PaSF_SF_EESI_SY_SJ_SK_SL_EUlSY_E0_NS1_11comp_targetILNS1_3genE5ELNS1_11target_archE942ELNS1_3gpuE9ELNS1_3repE0EEENS1_38merge_mergepath_config_static_selectorELNS0_4arch9wavefront6targetE1EEEvSK_ ; -- Begin function _ZN7rocprim17ROCPRIM_400000_NS6detail17trampoline_kernelINS0_14default_configENS1_38merge_sort_block_merge_config_selectorIaNS0_10empty_typeEEEZZNS1_27merge_sort_block_merge_implIS3_N6thrust23THRUST_200600_302600_NS6detail15normal_iteratorINS9_10device_ptrIaEEEEPS5_m14custom_greaterIaEEE10hipError_tT0_T1_T2_jT3_P12ihipStream_tbPNSt15iterator_traitsISJ_E10value_typeEPNSP_ISK_E10value_typeEPSL_NS1_7vsmem_tEENKUlT_SJ_SK_SL_E_clISE_PaSF_SF_EESI_SY_SJ_SK_SL_EUlSY_E0_NS1_11comp_targetILNS1_3genE5ELNS1_11target_archE942ELNS1_3gpuE9ELNS1_3repE0EEENS1_38merge_mergepath_config_static_selectorELNS0_4arch9wavefront6targetE1EEEvSK_
	.globl	_ZN7rocprim17ROCPRIM_400000_NS6detail17trampoline_kernelINS0_14default_configENS1_38merge_sort_block_merge_config_selectorIaNS0_10empty_typeEEEZZNS1_27merge_sort_block_merge_implIS3_N6thrust23THRUST_200600_302600_NS6detail15normal_iteratorINS9_10device_ptrIaEEEEPS5_m14custom_greaterIaEEE10hipError_tT0_T1_T2_jT3_P12ihipStream_tbPNSt15iterator_traitsISJ_E10value_typeEPNSP_ISK_E10value_typeEPSL_NS1_7vsmem_tEENKUlT_SJ_SK_SL_E_clISE_PaSF_SF_EESI_SY_SJ_SK_SL_EUlSY_E0_NS1_11comp_targetILNS1_3genE5ELNS1_11target_archE942ELNS1_3gpuE9ELNS1_3repE0EEENS1_38merge_mergepath_config_static_selectorELNS0_4arch9wavefront6targetE1EEEvSK_
	.p2align	8
	.type	_ZN7rocprim17ROCPRIM_400000_NS6detail17trampoline_kernelINS0_14default_configENS1_38merge_sort_block_merge_config_selectorIaNS0_10empty_typeEEEZZNS1_27merge_sort_block_merge_implIS3_N6thrust23THRUST_200600_302600_NS6detail15normal_iteratorINS9_10device_ptrIaEEEEPS5_m14custom_greaterIaEEE10hipError_tT0_T1_T2_jT3_P12ihipStream_tbPNSt15iterator_traitsISJ_E10value_typeEPNSP_ISK_E10value_typeEPSL_NS1_7vsmem_tEENKUlT_SJ_SK_SL_E_clISE_PaSF_SF_EESI_SY_SJ_SK_SL_EUlSY_E0_NS1_11comp_targetILNS1_3genE5ELNS1_11target_archE942ELNS1_3gpuE9ELNS1_3repE0EEENS1_38merge_mergepath_config_static_selectorELNS0_4arch9wavefront6targetE1EEEvSK_,@function
_ZN7rocprim17ROCPRIM_400000_NS6detail17trampoline_kernelINS0_14default_configENS1_38merge_sort_block_merge_config_selectorIaNS0_10empty_typeEEEZZNS1_27merge_sort_block_merge_implIS3_N6thrust23THRUST_200600_302600_NS6detail15normal_iteratorINS9_10device_ptrIaEEEEPS5_m14custom_greaterIaEEE10hipError_tT0_T1_T2_jT3_P12ihipStream_tbPNSt15iterator_traitsISJ_E10value_typeEPNSP_ISK_E10value_typeEPSL_NS1_7vsmem_tEENKUlT_SJ_SK_SL_E_clISE_PaSF_SF_EESI_SY_SJ_SK_SL_EUlSY_E0_NS1_11comp_targetILNS1_3genE5ELNS1_11target_archE942ELNS1_3gpuE9ELNS1_3repE0EEENS1_38merge_mergepath_config_static_selectorELNS0_4arch9wavefront6targetE1EEEvSK_: ; @_ZN7rocprim17ROCPRIM_400000_NS6detail17trampoline_kernelINS0_14default_configENS1_38merge_sort_block_merge_config_selectorIaNS0_10empty_typeEEEZZNS1_27merge_sort_block_merge_implIS3_N6thrust23THRUST_200600_302600_NS6detail15normal_iteratorINS9_10device_ptrIaEEEEPS5_m14custom_greaterIaEEE10hipError_tT0_T1_T2_jT3_P12ihipStream_tbPNSt15iterator_traitsISJ_E10value_typeEPNSP_ISK_E10value_typeEPSL_NS1_7vsmem_tEENKUlT_SJ_SK_SL_E_clISE_PaSF_SF_EESI_SY_SJ_SK_SL_EUlSY_E0_NS1_11comp_targetILNS1_3genE5ELNS1_11target_archE942ELNS1_3gpuE9ELNS1_3repE0EEENS1_38merge_mergepath_config_static_selectorELNS0_4arch9wavefront6targetE1EEEvSK_
; %bb.0:
	.section	.rodata,"a",@progbits
	.p2align	6, 0x0
	.amdhsa_kernel _ZN7rocprim17ROCPRIM_400000_NS6detail17trampoline_kernelINS0_14default_configENS1_38merge_sort_block_merge_config_selectorIaNS0_10empty_typeEEEZZNS1_27merge_sort_block_merge_implIS3_N6thrust23THRUST_200600_302600_NS6detail15normal_iteratorINS9_10device_ptrIaEEEEPS5_m14custom_greaterIaEEE10hipError_tT0_T1_T2_jT3_P12ihipStream_tbPNSt15iterator_traitsISJ_E10value_typeEPNSP_ISK_E10value_typeEPSL_NS1_7vsmem_tEENKUlT_SJ_SK_SL_E_clISE_PaSF_SF_EESI_SY_SJ_SK_SL_EUlSY_E0_NS1_11comp_targetILNS1_3genE5ELNS1_11target_archE942ELNS1_3gpuE9ELNS1_3repE0EEENS1_38merge_mergepath_config_static_selectorELNS0_4arch9wavefront6targetE1EEEvSK_
		.amdhsa_group_segment_fixed_size 0
		.amdhsa_private_segment_fixed_size 0
		.amdhsa_kernarg_size 72
		.amdhsa_user_sgpr_count 6
		.amdhsa_user_sgpr_private_segment_buffer 1
		.amdhsa_user_sgpr_dispatch_ptr 0
		.amdhsa_user_sgpr_queue_ptr 0
		.amdhsa_user_sgpr_kernarg_segment_ptr 1
		.amdhsa_user_sgpr_dispatch_id 0
		.amdhsa_user_sgpr_flat_scratch_init 0
		.amdhsa_user_sgpr_kernarg_preload_length 0
		.amdhsa_user_sgpr_kernarg_preload_offset 0
		.amdhsa_user_sgpr_private_segment_size 0
		.amdhsa_uses_dynamic_stack 0
		.amdhsa_system_sgpr_private_segment_wavefront_offset 0
		.amdhsa_system_sgpr_workgroup_id_x 1
		.amdhsa_system_sgpr_workgroup_id_y 0
		.amdhsa_system_sgpr_workgroup_id_z 0
		.amdhsa_system_sgpr_workgroup_info 0
		.amdhsa_system_vgpr_workitem_id 0
		.amdhsa_next_free_vgpr 1
		.amdhsa_next_free_sgpr 0
		.amdhsa_accum_offset 4
		.amdhsa_reserve_vcc 0
		.amdhsa_reserve_flat_scratch 0
		.amdhsa_float_round_mode_32 0
		.amdhsa_float_round_mode_16_64 0
		.amdhsa_float_denorm_mode_32 3
		.amdhsa_float_denorm_mode_16_64 3
		.amdhsa_dx10_clamp 1
		.amdhsa_ieee_mode 1
		.amdhsa_fp16_overflow 0
		.amdhsa_tg_split 0
		.amdhsa_exception_fp_ieee_invalid_op 0
		.amdhsa_exception_fp_denorm_src 0
		.amdhsa_exception_fp_ieee_div_zero 0
		.amdhsa_exception_fp_ieee_overflow 0
		.amdhsa_exception_fp_ieee_underflow 0
		.amdhsa_exception_fp_ieee_inexact 0
		.amdhsa_exception_int_div_zero 0
	.end_amdhsa_kernel
	.section	.text._ZN7rocprim17ROCPRIM_400000_NS6detail17trampoline_kernelINS0_14default_configENS1_38merge_sort_block_merge_config_selectorIaNS0_10empty_typeEEEZZNS1_27merge_sort_block_merge_implIS3_N6thrust23THRUST_200600_302600_NS6detail15normal_iteratorINS9_10device_ptrIaEEEEPS5_m14custom_greaterIaEEE10hipError_tT0_T1_T2_jT3_P12ihipStream_tbPNSt15iterator_traitsISJ_E10value_typeEPNSP_ISK_E10value_typeEPSL_NS1_7vsmem_tEENKUlT_SJ_SK_SL_E_clISE_PaSF_SF_EESI_SY_SJ_SK_SL_EUlSY_E0_NS1_11comp_targetILNS1_3genE5ELNS1_11target_archE942ELNS1_3gpuE9ELNS1_3repE0EEENS1_38merge_mergepath_config_static_selectorELNS0_4arch9wavefront6targetE1EEEvSK_,"axG",@progbits,_ZN7rocprim17ROCPRIM_400000_NS6detail17trampoline_kernelINS0_14default_configENS1_38merge_sort_block_merge_config_selectorIaNS0_10empty_typeEEEZZNS1_27merge_sort_block_merge_implIS3_N6thrust23THRUST_200600_302600_NS6detail15normal_iteratorINS9_10device_ptrIaEEEEPS5_m14custom_greaterIaEEE10hipError_tT0_T1_T2_jT3_P12ihipStream_tbPNSt15iterator_traitsISJ_E10value_typeEPNSP_ISK_E10value_typeEPSL_NS1_7vsmem_tEENKUlT_SJ_SK_SL_E_clISE_PaSF_SF_EESI_SY_SJ_SK_SL_EUlSY_E0_NS1_11comp_targetILNS1_3genE5ELNS1_11target_archE942ELNS1_3gpuE9ELNS1_3repE0EEENS1_38merge_mergepath_config_static_selectorELNS0_4arch9wavefront6targetE1EEEvSK_,comdat
.Lfunc_end2819:
	.size	_ZN7rocprim17ROCPRIM_400000_NS6detail17trampoline_kernelINS0_14default_configENS1_38merge_sort_block_merge_config_selectorIaNS0_10empty_typeEEEZZNS1_27merge_sort_block_merge_implIS3_N6thrust23THRUST_200600_302600_NS6detail15normal_iteratorINS9_10device_ptrIaEEEEPS5_m14custom_greaterIaEEE10hipError_tT0_T1_T2_jT3_P12ihipStream_tbPNSt15iterator_traitsISJ_E10value_typeEPNSP_ISK_E10value_typeEPSL_NS1_7vsmem_tEENKUlT_SJ_SK_SL_E_clISE_PaSF_SF_EESI_SY_SJ_SK_SL_EUlSY_E0_NS1_11comp_targetILNS1_3genE5ELNS1_11target_archE942ELNS1_3gpuE9ELNS1_3repE0EEENS1_38merge_mergepath_config_static_selectorELNS0_4arch9wavefront6targetE1EEEvSK_, .Lfunc_end2819-_ZN7rocprim17ROCPRIM_400000_NS6detail17trampoline_kernelINS0_14default_configENS1_38merge_sort_block_merge_config_selectorIaNS0_10empty_typeEEEZZNS1_27merge_sort_block_merge_implIS3_N6thrust23THRUST_200600_302600_NS6detail15normal_iteratorINS9_10device_ptrIaEEEEPS5_m14custom_greaterIaEEE10hipError_tT0_T1_T2_jT3_P12ihipStream_tbPNSt15iterator_traitsISJ_E10value_typeEPNSP_ISK_E10value_typeEPSL_NS1_7vsmem_tEENKUlT_SJ_SK_SL_E_clISE_PaSF_SF_EESI_SY_SJ_SK_SL_EUlSY_E0_NS1_11comp_targetILNS1_3genE5ELNS1_11target_archE942ELNS1_3gpuE9ELNS1_3repE0EEENS1_38merge_mergepath_config_static_selectorELNS0_4arch9wavefront6targetE1EEEvSK_
                                        ; -- End function
	.section	.AMDGPU.csdata,"",@progbits
; Kernel info:
; codeLenInByte = 0
; NumSgprs: 4
; NumVgprs: 0
; NumAgprs: 0
; TotalNumVgprs: 0
; ScratchSize: 0
; MemoryBound: 0
; FloatMode: 240
; IeeeMode: 1
; LDSByteSize: 0 bytes/workgroup (compile time only)
; SGPRBlocks: 0
; VGPRBlocks: 0
; NumSGPRsForWavesPerEU: 4
; NumVGPRsForWavesPerEU: 1
; AccumOffset: 4
; Occupancy: 8
; WaveLimiterHint : 0
; COMPUTE_PGM_RSRC2:SCRATCH_EN: 0
; COMPUTE_PGM_RSRC2:USER_SGPR: 6
; COMPUTE_PGM_RSRC2:TRAP_HANDLER: 0
; COMPUTE_PGM_RSRC2:TGID_X_EN: 1
; COMPUTE_PGM_RSRC2:TGID_Y_EN: 0
; COMPUTE_PGM_RSRC2:TGID_Z_EN: 0
; COMPUTE_PGM_RSRC2:TIDIG_COMP_CNT: 0
; COMPUTE_PGM_RSRC3_GFX90A:ACCUM_OFFSET: 0
; COMPUTE_PGM_RSRC3_GFX90A:TG_SPLIT: 0
	.section	.text._ZN7rocprim17ROCPRIM_400000_NS6detail17trampoline_kernelINS0_14default_configENS1_38merge_sort_block_merge_config_selectorIaNS0_10empty_typeEEEZZNS1_27merge_sort_block_merge_implIS3_N6thrust23THRUST_200600_302600_NS6detail15normal_iteratorINS9_10device_ptrIaEEEEPS5_m14custom_greaterIaEEE10hipError_tT0_T1_T2_jT3_P12ihipStream_tbPNSt15iterator_traitsISJ_E10value_typeEPNSP_ISK_E10value_typeEPSL_NS1_7vsmem_tEENKUlT_SJ_SK_SL_E_clISE_PaSF_SF_EESI_SY_SJ_SK_SL_EUlSY_E0_NS1_11comp_targetILNS1_3genE4ELNS1_11target_archE910ELNS1_3gpuE8ELNS1_3repE0EEENS1_38merge_mergepath_config_static_selectorELNS0_4arch9wavefront6targetE1EEEvSK_,"axG",@progbits,_ZN7rocprim17ROCPRIM_400000_NS6detail17trampoline_kernelINS0_14default_configENS1_38merge_sort_block_merge_config_selectorIaNS0_10empty_typeEEEZZNS1_27merge_sort_block_merge_implIS3_N6thrust23THRUST_200600_302600_NS6detail15normal_iteratorINS9_10device_ptrIaEEEEPS5_m14custom_greaterIaEEE10hipError_tT0_T1_T2_jT3_P12ihipStream_tbPNSt15iterator_traitsISJ_E10value_typeEPNSP_ISK_E10value_typeEPSL_NS1_7vsmem_tEENKUlT_SJ_SK_SL_E_clISE_PaSF_SF_EESI_SY_SJ_SK_SL_EUlSY_E0_NS1_11comp_targetILNS1_3genE4ELNS1_11target_archE910ELNS1_3gpuE8ELNS1_3repE0EEENS1_38merge_mergepath_config_static_selectorELNS0_4arch9wavefront6targetE1EEEvSK_,comdat
	.protected	_ZN7rocprim17ROCPRIM_400000_NS6detail17trampoline_kernelINS0_14default_configENS1_38merge_sort_block_merge_config_selectorIaNS0_10empty_typeEEEZZNS1_27merge_sort_block_merge_implIS3_N6thrust23THRUST_200600_302600_NS6detail15normal_iteratorINS9_10device_ptrIaEEEEPS5_m14custom_greaterIaEEE10hipError_tT0_T1_T2_jT3_P12ihipStream_tbPNSt15iterator_traitsISJ_E10value_typeEPNSP_ISK_E10value_typeEPSL_NS1_7vsmem_tEENKUlT_SJ_SK_SL_E_clISE_PaSF_SF_EESI_SY_SJ_SK_SL_EUlSY_E0_NS1_11comp_targetILNS1_3genE4ELNS1_11target_archE910ELNS1_3gpuE8ELNS1_3repE0EEENS1_38merge_mergepath_config_static_selectorELNS0_4arch9wavefront6targetE1EEEvSK_ ; -- Begin function _ZN7rocprim17ROCPRIM_400000_NS6detail17trampoline_kernelINS0_14default_configENS1_38merge_sort_block_merge_config_selectorIaNS0_10empty_typeEEEZZNS1_27merge_sort_block_merge_implIS3_N6thrust23THRUST_200600_302600_NS6detail15normal_iteratorINS9_10device_ptrIaEEEEPS5_m14custom_greaterIaEEE10hipError_tT0_T1_T2_jT3_P12ihipStream_tbPNSt15iterator_traitsISJ_E10value_typeEPNSP_ISK_E10value_typeEPSL_NS1_7vsmem_tEENKUlT_SJ_SK_SL_E_clISE_PaSF_SF_EESI_SY_SJ_SK_SL_EUlSY_E0_NS1_11comp_targetILNS1_3genE4ELNS1_11target_archE910ELNS1_3gpuE8ELNS1_3repE0EEENS1_38merge_mergepath_config_static_selectorELNS0_4arch9wavefront6targetE1EEEvSK_
	.globl	_ZN7rocprim17ROCPRIM_400000_NS6detail17trampoline_kernelINS0_14default_configENS1_38merge_sort_block_merge_config_selectorIaNS0_10empty_typeEEEZZNS1_27merge_sort_block_merge_implIS3_N6thrust23THRUST_200600_302600_NS6detail15normal_iteratorINS9_10device_ptrIaEEEEPS5_m14custom_greaterIaEEE10hipError_tT0_T1_T2_jT3_P12ihipStream_tbPNSt15iterator_traitsISJ_E10value_typeEPNSP_ISK_E10value_typeEPSL_NS1_7vsmem_tEENKUlT_SJ_SK_SL_E_clISE_PaSF_SF_EESI_SY_SJ_SK_SL_EUlSY_E0_NS1_11comp_targetILNS1_3genE4ELNS1_11target_archE910ELNS1_3gpuE8ELNS1_3repE0EEENS1_38merge_mergepath_config_static_selectorELNS0_4arch9wavefront6targetE1EEEvSK_
	.p2align	8
	.type	_ZN7rocprim17ROCPRIM_400000_NS6detail17trampoline_kernelINS0_14default_configENS1_38merge_sort_block_merge_config_selectorIaNS0_10empty_typeEEEZZNS1_27merge_sort_block_merge_implIS3_N6thrust23THRUST_200600_302600_NS6detail15normal_iteratorINS9_10device_ptrIaEEEEPS5_m14custom_greaterIaEEE10hipError_tT0_T1_T2_jT3_P12ihipStream_tbPNSt15iterator_traitsISJ_E10value_typeEPNSP_ISK_E10value_typeEPSL_NS1_7vsmem_tEENKUlT_SJ_SK_SL_E_clISE_PaSF_SF_EESI_SY_SJ_SK_SL_EUlSY_E0_NS1_11comp_targetILNS1_3genE4ELNS1_11target_archE910ELNS1_3gpuE8ELNS1_3repE0EEENS1_38merge_mergepath_config_static_selectorELNS0_4arch9wavefront6targetE1EEEvSK_,@function
_ZN7rocprim17ROCPRIM_400000_NS6detail17trampoline_kernelINS0_14default_configENS1_38merge_sort_block_merge_config_selectorIaNS0_10empty_typeEEEZZNS1_27merge_sort_block_merge_implIS3_N6thrust23THRUST_200600_302600_NS6detail15normal_iteratorINS9_10device_ptrIaEEEEPS5_m14custom_greaterIaEEE10hipError_tT0_T1_T2_jT3_P12ihipStream_tbPNSt15iterator_traitsISJ_E10value_typeEPNSP_ISK_E10value_typeEPSL_NS1_7vsmem_tEENKUlT_SJ_SK_SL_E_clISE_PaSF_SF_EESI_SY_SJ_SK_SL_EUlSY_E0_NS1_11comp_targetILNS1_3genE4ELNS1_11target_archE910ELNS1_3gpuE8ELNS1_3repE0EEENS1_38merge_mergepath_config_static_selectorELNS0_4arch9wavefront6targetE1EEEvSK_: ; @_ZN7rocprim17ROCPRIM_400000_NS6detail17trampoline_kernelINS0_14default_configENS1_38merge_sort_block_merge_config_selectorIaNS0_10empty_typeEEEZZNS1_27merge_sort_block_merge_implIS3_N6thrust23THRUST_200600_302600_NS6detail15normal_iteratorINS9_10device_ptrIaEEEEPS5_m14custom_greaterIaEEE10hipError_tT0_T1_T2_jT3_P12ihipStream_tbPNSt15iterator_traitsISJ_E10value_typeEPNSP_ISK_E10value_typeEPSL_NS1_7vsmem_tEENKUlT_SJ_SK_SL_E_clISE_PaSF_SF_EESI_SY_SJ_SK_SL_EUlSY_E0_NS1_11comp_targetILNS1_3genE4ELNS1_11target_archE910ELNS1_3gpuE8ELNS1_3repE0EEENS1_38merge_mergepath_config_static_selectorELNS0_4arch9wavefront6targetE1EEEvSK_
; %bb.0:
	s_load_dwordx2 s[22:23], s[4:5], 0x48
	s_load_dword s0, s[4:5], 0x38
	s_add_u32 s10, s4, 0x48
	s_addc_u32 s11, s5, 0
	s_waitcnt lgkmcnt(0)
	s_mul_i32 s1, s23, s8
	s_add_i32 s1, s1, s7
	s_mul_i32 s1, s1, s22
	s_add_i32 s8, s1, s6
	s_cmp_ge_u32 s8, s0
	s_cbranch_scc1 .LBB2820_53
; %bb.1:
	s_load_dwordx2 s[0:1], s[4:5], 0x40
	s_load_dwordx4 s[16:19], s[4:5], 0x8
	s_load_dwordx4 s[12:15], s[4:5], 0x28
	s_mov_b32 s9, 0
	s_lshl_b64 s[2:3], s[8:9], 3
	s_waitcnt lgkmcnt(0)
	s_add_u32 s0, s0, s2
	s_addc_u32 s1, s1, s3
	v_mov_b32_e32 v1, s14
	v_alignbit_b32 v1, s15, v1, 9
	v_readfirstlane_b32 s4, v1
	s_and_b32 s4, s4, -2
	s_sub_i32 s30, 0, s4
	s_and_b32 s24, s8, s30
	s_mov_b32 s25, s9
	s_lshl_b64 s[4:5], s[24:25], 10
	s_lshl_b64 s[20:21], s[8:9], 10
	s_sub_u32 s7, s20, s4
	s_load_dwordx4 s[0:3], s[0:1], 0x0
	s_subb_u32 s23, s21, s5
	s_lshl_b64 s[24:25], s[24:25], 11
	s_add_u32 s24, s24, s14
	s_addc_u32 s25, s25, s15
	s_add_u32 s7, s24, s7
	s_addc_u32 s23, s25, s23
	s_waitcnt lgkmcnt(0)
	s_sub_u32 s26, s7, s2
	s_subb_u32 s3, s23, s3
	s_add_u32 s26, s26, 0x400
	s_addc_u32 s27, s3, 0
	v_pk_mov_b32 v[2:3], s[26:27], s[26:27] op_sel:[0,1]
	v_cmp_lt_u64_e32 vcc, s[12:13], v[2:3]
	s_and_b64 s[28:29], vcc, exec
	s_cselect_b32 s3, s12, s26
	s_or_b32 s26, s8, s30
	s_cmp_lg_u32 s26, -1
	s_cbranch_scc1 .LBB2820_3
; %bb.2:
	s_sub_u32 s4, s24, s4
	s_subb_u32 s5, s25, s5
	v_pk_mov_b32 v[2:3], s[4:5], s[4:5] op_sel:[0,1]
	v_cmp_lt_u64_e32 vcc, s[12:13], v[2:3]
	s_and_b64 s[2:3], vcc, exec
	s_cselect_b32 s2, s12, s4
	s_add_u32 s4, s4, s14
	s_addc_u32 s5, s5, s15
	v_pk_mov_b32 v[2:3], s[4:5], s[4:5] op_sel:[0,1]
	v_cmp_lt_u64_e32 vcc, s[12:13], v[2:3]
	s_and_b64 s[14:15], vcc, exec
	s_cselect_b32 s3, s12, s4
.LBB2820_3:
	s_lshr_b64 s[24:25], s[12:13], 10
	s_cmp_lg_u64 s[24:25], s[8:9]
	s_cselect_b64 s[14:15], -1, 0
	s_sub_u32 s4, s7, s0
	s_subb_u32 s5, s23, s1
	v_pk_mov_b32 v[2:3], s[4:5], s[4:5] op_sel:[0,1]
	v_cmp_lt_u64_e32 vcc, s[12:13], v[2:3]
	s_and_b64 s[26:27], vcc, exec
	s_cselect_b32 s26, s12, s4
	s_cselect_b32 s23, s13, s5
	s_sub_i32 s13, s2, s0
	s_sub_i32 s4, s3, s26
	s_add_u32 s5, s16, s0
	s_addc_u32 s7, s17, s1
	s_add_u32 s16, s16, s26
	s_addc_u32 s17, s17, s23
	s_cmp_lt_u32 s6, s22
	v_mov_b32_e32 v1, 0
	s_cselect_b32 s0, 12, 18
	global_load_dword v2, v1, s[10:11] offset:14
	s_add_u32 s0, s10, s0
	s_addc_u32 s1, s11, 0
	global_load_ushort v1, v1, s[0:1]
	s_cmp_eq_u64 s[24:25], s[8:9]
	s_waitcnt vmcnt(1)
	v_lshrrev_b32_e32 v3, 16, v2
	v_and_b32_e32 v2, 0xffff, v2
	v_mul_lo_u32 v2, v2, v3
	s_waitcnt vmcnt(0)
	v_mul_lo_u32 v5, v2, v1
	v_add_u32_e32 v10, v5, v0
	v_add_u32_e32 v9, v10, v5
	s_cbranch_scc1 .LBB2820_5
; %bb.4:
	v_subrev_u32_e32 v1, s13, v0
	v_mov_b32_e32 v2, s17
	v_add_co_u32_e32 v1, vcc, s16, v1
	v_addc_co_u32_e32 v2, vcc, 0, v2, vcc
	v_mov_b32_e32 v3, s7
	v_add_co_u32_e32 v4, vcc, s5, v0
	v_addc_co_u32_e32 v3, vcc, 0, v3, vcc
	v_cmp_gt_u32_e32 vcc, s13, v0
	v_cndmask_b32_e32 v12, v1, v4, vcc
	v_subrev_u32_e32 v1, s13, v10
	v_cndmask_b32_e32 v13, v2, v3, vcc
	v_mov_b32_e32 v2, s17
	v_add_co_u32_e32 v1, vcc, s16, v1
	v_addc_co_u32_e32 v2, vcc, 0, v2, vcc
	v_mov_b32_e32 v3, s7
	v_add_co_u32_e32 v4, vcc, s5, v10
	v_addc_co_u32_e32 v3, vcc, 0, v3, vcc
	v_cmp_gt_u32_e32 vcc, s13, v10
	v_cndmask_b32_e32 v14, v1, v4, vcc
	v_subrev_u32_e32 v1, s13, v9
	v_cndmask_b32_e32 v15, v2, v3, vcc
	v_mov_b32_e32 v2, s17
	v_add_co_u32_e32 v1, vcc, s16, v1
	v_addc_co_u32_e32 v2, vcc, 0, v2, vcc
	v_mov_b32_e32 v3, s7
	v_add_co_u32_e32 v4, vcc, s5, v9
	v_addc_co_u32_e32 v3, vcc, 0, v3, vcc
	v_cmp_gt_u32_e32 vcc, s13, v9
	v_cndmask_b32_e32 v16, v1, v4, vcc
	v_add_u32_e32 v1, v9, v5
	v_cndmask_b32_e32 v17, v2, v3, vcc
	v_subrev_u32_e32 v2, s13, v1
	v_mov_b32_e32 v3, s17
	v_add_co_u32_e32 v2, vcc, s16, v2
	v_addc_co_u32_e32 v3, vcc, 0, v3, vcc
	v_mov_b32_e32 v4, s7
	v_add_co_u32_e32 v6, vcc, s5, v1
	v_addc_co_u32_e32 v4, vcc, 0, v4, vcc
	v_cmp_gt_u32_e32 vcc, s13, v1
	v_add_u32_e32 v1, v1, v5
	v_cndmask_b32_e32 v18, v2, v6, vcc
	v_subrev_u32_e32 v2, s13, v1
	v_cndmask_b32_e32 v19, v3, v4, vcc
	v_mov_b32_e32 v3, s17
	v_add_co_u32_e32 v2, vcc, s16, v2
	v_addc_co_u32_e32 v3, vcc, 0, v3, vcc
	v_mov_b32_e32 v4, s7
	v_add_co_u32_e32 v6, vcc, s5, v1
	v_addc_co_u32_e32 v4, vcc, 0, v4, vcc
	v_cmp_gt_u32_e32 vcc, s13, v1
	v_add_u32_e32 v1, v1, v5
	v_cndmask_b32_e32 v20, v2, v6, vcc
	v_subrev_u32_e32 v2, s13, v1
	v_cndmask_b32_e32 v21, v3, v4, vcc
	v_mov_b32_e32 v3, s17
	v_add_co_u32_e32 v2, vcc, s16, v2
	v_addc_co_u32_e32 v3, vcc, 0, v3, vcc
	v_mov_b32_e32 v4, s7
	v_add_co_u32_e32 v6, vcc, s5, v1
	v_addc_co_u32_e32 v4, vcc, 0, v4, vcc
	v_add_u32_e32 v11, v1, v5
	v_cmp_gt_u32_e32 vcc, s13, v1
	v_subrev_u32_e32 v1, s13, v11
	v_cndmask_b32_e32 v23, v3, v4, vcc
	v_cndmask_b32_e32 v22, v2, v6, vcc
	v_mov_b32_e32 v2, s17
	v_add_co_u32_e32 v1, vcc, s16, v1
	v_addc_co_u32_e32 v2, vcc, 0, v2, vcc
	v_mov_b32_e32 v3, s7
	v_add_co_u32_e32 v4, vcc, s5, v11
	v_addc_co_u32_e32 v3, vcc, 0, v3, vcc
	v_cmp_gt_u32_e32 vcc, s13, v11
	v_cndmask_b32_e32 v25, v2, v3, vcc
	v_cndmask_b32_e32 v24, v1, v4, vcc
	global_load_ubyte v1, v[12:13], off
	global_load_ubyte v2, v[14:15], off
	;; [unrolled: 1-line block ×7, first 2 shown]
	v_add_u32_e32 v11, v11, v5
	s_add_i32 s6, s13, s4
	s_mov_b64 s[0:1], -1
	s_cbranch_execz .LBB2820_6
	s_branch .LBB2820_21
.LBB2820_5:
	s_mov_b64 s[0:1], 0
                                        ; implicit-def: $vgpr11
                                        ; implicit-def: $vgpr1
                                        ; implicit-def: $vgpr2
                                        ; implicit-def: $vgpr3
                                        ; implicit-def: $vgpr4
                                        ; implicit-def: $vgpr6
                                        ; implicit-def: $vgpr7
                                        ; implicit-def: $vgpr8
                                        ; implicit-def: $sgpr6
.LBB2820_6:
	s_add_i32 s6, s13, s4
	v_cmp_gt_u32_e32 vcc, s6, v0
                                        ; implicit-def: $vgpr1
	s_and_saveexec_b64 s[0:1], vcc
	s_cbranch_execz .LBB2820_8
; %bb.7:
	s_waitcnt vmcnt(6)
	v_mov_b32_e32 v1, s7
	s_waitcnt vmcnt(5)
	v_add_co_u32_e32 v2, vcc, s5, v0
	v_addc_co_u32_e32 v1, vcc, 0, v1, vcc
	s_waitcnt vmcnt(4)
	v_subrev_u32_e32 v3, s13, v0
	s_waitcnt vmcnt(3)
	v_mov_b32_e32 v4, s17
	s_waitcnt vmcnt(2)
	v_add_co_u32_e32 v6, vcc, s16, v3
	v_addc_co_u32_e32 v3, vcc, 0, v4, vcc
	v_cmp_gt_u32_e32 vcc, s13, v0
	v_cndmask_b32_e32 v3, v3, v1, vcc
	v_cndmask_b32_e32 v2, v6, v2, vcc
	global_load_ubyte v1, v[2:3], off
.LBB2820_8:
	s_or_b64 exec, exec, s[0:1]
	v_cmp_gt_u32_e32 vcc, s6, v10
                                        ; implicit-def: $vgpr2
	s_and_saveexec_b64 s[0:1], vcc
	s_cbranch_execz .LBB2820_10
; %bb.9:
	s_waitcnt vmcnt(5)
	v_mov_b32_e32 v2, s7
	s_waitcnt vmcnt(3)
	v_add_co_u32_e32 v4, vcc, s5, v10
	v_addc_co_u32_e32 v2, vcc, 0, v2, vcc
	v_subrev_u32_e32 v3, s13, v10
	s_waitcnt vmcnt(2)
	v_mov_b32_e32 v6, s17
	s_waitcnt vmcnt(1)
	v_add_co_u32_e32 v7, vcc, s16, v3
	v_addc_co_u32_e32 v3, vcc, 0, v6, vcc
	v_cmp_gt_u32_e32 vcc, s13, v10
	v_cndmask_b32_e32 v3, v3, v2, vcc
	v_cndmask_b32_e32 v2, v7, v4, vcc
	global_load_ubyte v2, v[2:3], off
.LBB2820_10:
	s_or_b64 exec, exec, s[0:1]
	v_cmp_gt_u32_e32 vcc, s6, v9
                                        ; implicit-def: $vgpr3
	s_and_saveexec_b64 s[0:1], vcc
	s_cbranch_execz .LBB2820_12
; %bb.11:
	s_waitcnt vmcnt(4)
	v_mov_b32_e32 v3, s7
	s_waitcnt vmcnt(3)
	v_add_co_u32_e32 v4, vcc, s5, v9
	v_addc_co_u32_e32 v3, vcc, 0, v3, vcc
	s_waitcnt vmcnt(2)
	v_subrev_u32_e32 v6, s13, v9
	s_waitcnt vmcnt(1)
	v_mov_b32_e32 v7, s17
	v_add_co_u32_e32 v6, vcc, s16, v6
	v_addc_co_u32_e32 v7, vcc, 0, v7, vcc
	v_cmp_gt_u32_e32 vcc, s13, v9
	v_cndmask_b32_e32 v7, v7, v3, vcc
	v_cndmask_b32_e32 v6, v6, v4, vcc
	global_load_ubyte v3, v[6:7], off
.LBB2820_12:
	s_or_b64 exec, exec, s[0:1]
	s_waitcnt vmcnt(2)
	v_add_u32_e32 v6, v9, v5
	v_cmp_gt_u32_e32 vcc, s6, v6
                                        ; implicit-def: $vgpr4
	s_and_saveexec_b64 s[0:1], vcc
	s_cbranch_execz .LBB2820_14
; %bb.13:
	v_mov_b32_e32 v4, s7
	s_waitcnt vmcnt(1)
	v_add_co_u32_e32 v7, vcc, s5, v6
	v_addc_co_u32_e32 v4, vcc, 0, v4, vcc
	s_waitcnt vmcnt(0)
	v_subrev_u32_e32 v8, s13, v6
	v_mov_b32_e32 v9, s17
	v_add_co_u32_e32 v8, vcc, s16, v8
	v_addc_co_u32_e32 v9, vcc, 0, v9, vcc
	v_cmp_gt_u32_e32 vcc, s13, v6
	v_cndmask_b32_e32 v9, v9, v4, vcc
	v_cndmask_b32_e32 v8, v8, v7, vcc
	global_load_ubyte v4, v[8:9], off
.LBB2820_14:
	s_or_b64 exec, exec, s[0:1]
	s_waitcnt vmcnt(1)
	v_add_u32_e32 v7, v6, v5
	v_cmp_gt_u32_e32 vcc, s6, v7
                                        ; implicit-def: $vgpr6
	s_and_saveexec_b64 s[0:1], vcc
	s_cbranch_execz .LBB2820_16
; %bb.15:
	v_mov_b32_e32 v6, s7
	s_waitcnt vmcnt(0)
	v_add_co_u32_e32 v8, vcc, s5, v7
	v_addc_co_u32_e32 v6, vcc, 0, v6, vcc
	v_subrev_u32_e32 v9, s13, v7
	v_mov_b32_e32 v10, s17
	v_add_co_u32_e32 v11, vcc, s16, v9
	v_addc_co_u32_e32 v9, vcc, 0, v10, vcc
	v_cmp_gt_u32_e32 vcc, s13, v7
	v_cndmask_b32_e32 v9, v9, v6, vcc
	v_cndmask_b32_e32 v8, v11, v8, vcc
	global_load_ubyte v6, v[8:9], off
.LBB2820_16:
	s_or_b64 exec, exec, s[0:1]
	s_waitcnt vmcnt(0)
	v_add_u32_e32 v8, v7, v5
	v_cmp_gt_u32_e32 vcc, s6, v8
                                        ; implicit-def: $vgpr7
	s_and_saveexec_b64 s[0:1], vcc
	s_cbranch_execz .LBB2820_18
; %bb.17:
	v_mov_b32_e32 v7, s7
	v_add_co_u32_e32 v9, vcc, s5, v8
	v_addc_co_u32_e32 v7, vcc, 0, v7, vcc
	v_subrev_u32_e32 v10, s13, v8
	v_mov_b32_e32 v11, s17
	v_add_co_u32_e32 v10, vcc, s16, v10
	v_addc_co_u32_e32 v11, vcc, 0, v11, vcc
	v_cmp_gt_u32_e32 vcc, s13, v8
	v_cndmask_b32_e32 v11, v11, v7, vcc
	v_cndmask_b32_e32 v10, v10, v9, vcc
	global_load_ubyte v7, v[10:11], off
.LBB2820_18:
	s_or_b64 exec, exec, s[0:1]
	v_add_u32_e32 v9, v8, v5
	v_cmp_gt_u32_e32 vcc, s6, v9
                                        ; implicit-def: $vgpr8
	s_and_saveexec_b64 s[0:1], vcc
	s_cbranch_execz .LBB2820_20
; %bb.19:
	v_mov_b32_e32 v8, s7
	v_add_co_u32_e32 v10, vcc, s5, v9
	v_addc_co_u32_e32 v8, vcc, 0, v8, vcc
	v_subrev_u32_e32 v11, s13, v9
	v_mov_b32_e32 v12, s17
	v_add_co_u32_e32 v13, vcc, s16, v11
	v_addc_co_u32_e32 v11, vcc, 0, v12, vcc
	v_cmp_gt_u32_e32 vcc, s13, v9
	v_cndmask_b32_e32 v11, v11, v8, vcc
	v_cndmask_b32_e32 v10, v13, v10, vcc
	global_load_ubyte v8, v[10:11], off
.LBB2820_20:
	s_or_b64 exec, exec, s[0:1]
	v_add_u32_e32 v11, v9, v5
	v_cmp_gt_u32_e64 s[0:1], s6, v11
.LBB2820_21:
	v_mov_b32_e32 v5, s6
                                        ; implicit-def: $vgpr10
	s_and_saveexec_b64 s[2:3], s[0:1]
	s_cbranch_execz .LBB2820_23
; %bb.22:
	v_subrev_u32_e32 v5, s13, v11
	v_mov_b32_e32 v9, s17
	v_add_co_u32_e32 v5, vcc, s16, v5
	v_addc_co_u32_e32 v9, vcc, 0, v9, vcc
	v_mov_b32_e32 v10, s7
	v_add_co_u32_e32 v12, vcc, s5, v11
	v_addc_co_u32_e32 v10, vcc, 0, v10, vcc
	v_cmp_gt_u32_e32 vcc, s13, v11
	v_cndmask_b32_e32 v11, v9, v10, vcc
	v_cndmask_b32_e32 v10, v5, v12, vcc
	global_load_ubyte v10, v[10:11], off
	v_mov_b32_e32 v5, s6
.LBB2820_23:
	s_or_b64 exec, exec, s[2:3]
	v_lshlrev_b32_e32 v9, 3, v0
	v_min_u32_e32 v12, v5, v9
	v_sub_u32_e64 v11, v12, s4 clamp
	v_min_u32_e32 v13, s13, v12
	v_cmp_lt_u32_e32 vcc, v11, v13
	s_waitcnt vmcnt(6)
	ds_write_b8 v0, v1
	s_waitcnt vmcnt(5)
	ds_write_b8 v0, v2 offset:128
	s_waitcnt vmcnt(4)
	ds_write_b8 v0, v3 offset:256
	;; [unrolled: 2-line block ×5, first 2 shown]
	ds_write_b8 v0, v8 offset:768
	ds_write_b8 v0, v10 offset:896
	s_waitcnt lgkmcnt(0)
	s_barrier
	s_and_saveexec_b64 s[0:1], vcc
	s_cbranch_execz .LBB2820_27
; %bb.24:
	v_add_u32_e32 v14, s13, v12
	s_mov_b64 s[2:3], 0
.LBB2820_25:                            ; =>This Inner Loop Header: Depth=1
	v_add_u32_e32 v15, v13, v11
	v_lshrrev_b32_e32 v15, 1, v15
	v_xad_u32 v16, v15, -1, v14
	ds_read_i8 v17, v15
	ds_read_i8 v16, v16
	v_add_u32_e32 v18, 1, v15
	s_waitcnt lgkmcnt(0)
	v_cmp_gt_i16_e32 vcc, v17, v16
	v_cndmask_b32_e32 v13, v13, v15, vcc
	v_cndmask_b32_e32 v11, v18, v11, vcc
	v_cmp_ge_u32_e32 vcc, v11, v13
	s_or_b64 s[2:3], vcc, s[2:3]
	s_andn2_b64 exec, exec, s[2:3]
	s_cbranch_execnz .LBB2820_25
; %bb.26:
	s_or_b64 exec, exec, s[2:3]
.LBB2820_27:
	s_or_b64 exec, exec, s[0:1]
	v_sub_u32_e32 v12, v12, v11
	v_add_u32_e32 v12, s13, v12
	v_cmp_ge_u32_e32 vcc, s13, v11
	v_cmp_le_u32_e64 s[0:1], v12, v5
	s_or_b64 s[0:1], vcc, s[0:1]
	s_and_saveexec_b64 s[16:17], s[0:1]
	s_cbranch_execz .LBB2820_33
; %bb.28:
	v_cmp_gt_u32_e32 vcc, s13, v11
                                        ; implicit-def: $vgpr1
	s_and_saveexec_b64 s[0:1], vcc
	s_cbranch_execz .LBB2820_30
; %bb.29:
	ds_read_u8 v1, v11
.LBB2820_30:
	s_or_b64 exec, exec, s[0:1]
	v_cmp_ge_u32_e64 s[0:1], v12, v5
	v_cmp_lt_u32_e64 s[2:3], v12, v5
                                        ; implicit-def: $vgpr2
	s_and_saveexec_b64 s[4:5], s[2:3]
	s_cbranch_execz .LBB2820_32
; %bb.31:
	ds_read_u8 v2, v12
.LBB2820_32:
	s_or_b64 exec, exec, s[4:5]
	s_waitcnt lgkmcnt(0)
	v_cmp_le_i16_sdwa s[2:3], sext(v1), sext(v2) src0_sel:BYTE_0 src1_sel:BYTE_0
	s_and_b64 s[2:3], vcc, s[2:3]
	s_or_b64 vcc, s[0:1], s[2:3]
	v_mov_b32_e32 v4, s13
	v_cndmask_b32_e32 v3, v12, v11, vcc
	v_cndmask_b32_e32 v6, v5, v4, vcc
	v_add_u32_e32 v3, 1, v3
	v_add_u32_e32 v6, -1, v6
	v_min_u32_e32 v6, v3, v6
	ds_read_u8 v6, v6
	v_cndmask_b32_e32 v8, v3, v12, vcc
	v_cndmask_b32_e32 v3, v11, v3, vcc
	v_cmp_gt_u32_e64 s[2:3], s13, v3
	v_cmp_ge_u32_e64 s[0:1], v8, v5
	s_waitcnt lgkmcnt(0)
	v_cndmask_b32_e32 v7, v6, v2, vcc
	v_cndmask_b32_e32 v6, v1, v6, vcc
	v_cmp_le_i16_sdwa s[4:5], sext(v6), sext(v7) src0_sel:BYTE_0 src1_sel:BYTE_0
	s_and_b64 s[2:3], s[2:3], s[4:5]
	s_or_b64 s[0:1], s[0:1], s[2:3]
	v_cndmask_b32_e64 v10, v8, v3, s[0:1]
	v_cndmask_b32_e64 v11, v5, v4, s[0:1]
	v_add_u32_e32 v10, 1, v10
	v_add_u32_e32 v11, -1, v11
	v_min_u32_e32 v11, v10, v11
	ds_read_u8 v11, v11
	v_cndmask_b32_e64 v3, v3, v10, s[0:1]
	v_cndmask_b32_e64 v8, v10, v8, s[0:1]
	v_cmp_gt_u32_e64 s[4:5], s13, v3
	v_cmp_ge_u32_e64 s[2:3], v8, v5
	s_waitcnt lgkmcnt(0)
	v_cndmask_b32_e64 v12, v11, v7, s[0:1]
	v_cndmask_b32_e64 v11, v6, v11, s[0:1]
	v_cmp_le_i16_sdwa s[6:7], sext(v11), sext(v12) src0_sel:BYTE_0 src1_sel:BYTE_0
	s_and_b64 s[4:5], s[4:5], s[6:7]
	s_or_b64 s[2:3], s[2:3], s[4:5]
	v_cndmask_b32_e64 v10, v8, v3, s[2:3]
	v_cndmask_b32_e64 v13, v5, v4, s[2:3]
	v_add_u32_e32 v10, 1, v10
	v_add_u32_e32 v13, -1, v13
	v_min_u32_e32 v13, v10, v13
	ds_read_u8 v13, v13
	v_cndmask_b32_e64 v3, v3, v10, s[2:3]
	v_cndmask_b32_e64 v8, v10, v8, s[2:3]
	v_cmp_gt_u32_e64 s[6:7], s13, v3
	v_cmp_ge_u32_e64 s[4:5], v8, v5
	s_waitcnt lgkmcnt(0)
	v_cndmask_b32_e64 v14, v13, v12, s[2:3]
	v_cndmask_b32_e64 v13, v11, v13, s[2:3]
	;; [unrolled: 16-line block ×4, first 2 shown]
	v_cmp_le_i16_sdwa s[22:23], sext(v17), sext(v18) src0_sel:BYTE_0 src1_sel:BYTE_0
	s_and_b64 s[10:11], s[10:11], s[22:23]
	s_or_b64 s[8:9], s[8:9], s[10:11]
	v_cndmask_b32_e64 v3, v8, v10, s[8:9]
	v_cndmask_b32_e64 v19, v5, v4, s[8:9]
	v_add_u32_e32 v20, 1, v3
	v_add_u32_e32 v3, -1, v19
	v_min_u32_e32 v3, v20, v3
	ds_read_u8 v19, v3
	v_cndmask_b32_e64 v3, v12, v11, s[2:3]
	v_cndmask_b32_e64 v10, v10, v20, s[8:9]
	v_cndmask_b32_e32 v1, v2, v1, vcc
	v_cndmask_b32_e64 v2, v7, v6, s[0:1]
	s_waitcnt lgkmcnt(0)
	v_cndmask_b32_e64 v11, v19, v18, s[8:9]
	v_cndmask_b32_e64 v12, v17, v19, s[8:9]
	v_cndmask_b32_e64 v19, v20, v8, s[8:9]
	v_cmp_gt_u32_e64 s[0:1], s13, v10
	v_cmp_le_i16_sdwa s[2:3], sext(v12), sext(v11) src0_sel:BYTE_0 src1_sel:BYTE_0
	v_cmp_ge_u32_e32 vcc, v19, v5
	s_and_b64 s[0:1], s[0:1], s[2:3]
	s_or_b64 vcc, vcc, s[0:1]
	v_cndmask_b32_e32 v6, v19, v10, vcc
	v_cndmask_b32_e32 v4, v5, v4, vcc
	v_add_u32_e32 v20, 1, v6
	v_add_u32_e32 v4, -1, v4
	v_min_u32_e32 v4, v20, v4
	ds_read_u8 v21, v4
	v_cndmask_b32_e32 v8, v11, v12, vcc
	v_cndmask_b32_e32 v10, v10, v20, vcc
	v_cndmask_b32_e64 v4, v14, v13, s[4:5]
	v_cndmask_b32_e32 v13, v20, v19, vcc
	s_waitcnt lgkmcnt(0)
	v_cndmask_b32_e32 v11, v21, v11, vcc
	v_cndmask_b32_e32 v12, v12, v21, vcc
	v_cmp_gt_u32_e64 s[0:1], s13, v10
	v_cmp_le_i16_sdwa s[2:3], sext(v12), sext(v11) src0_sel:BYTE_0 src1_sel:BYTE_0
	v_cmp_ge_u32_e32 vcc, v13, v5
	s_and_b64 s[0:1], s[0:1], s[2:3]
	s_or_b64 vcc, vcc, s[0:1]
	v_cndmask_b32_e64 v6, v16, v15, s[6:7]
	v_cndmask_b32_e64 v7, v18, v17, s[8:9]
	v_cndmask_b32_e32 v10, v11, v12, vcc
.LBB2820_33:
	s_or_b64 exec, exec, s[16:17]
	v_lshlrev_b16_e32 v7, 8, v7
	v_lshlrev_b16_e32 v2, 8, v2
	v_lshrrev_b32_e32 v5, 2, v0
	v_or_b32_sdwa v6, v6, v7 dst_sel:DWORD dst_unused:UNUSED_PAD src0_sel:BYTE_0 src1_sel:DWORD
	v_lshlrev_b16_e32 v7, 8, v10
	v_or_b32_sdwa v1, v1, v2 dst_sel:DWORD dst_unused:UNUSED_PAD src0_sel:BYTE_0 src1_sel:DWORD
	v_lshlrev_b16_e32 v2, 8, v4
	s_add_u32 s0, s18, s20
	v_and_b32_e32 v5, 28, v5
	v_or_b32_sdwa v7, v8, v7 dst_sel:WORD_1 dst_unused:UNUSED_PAD src0_sel:BYTE_0 src1_sel:DWORD
	v_or_b32_sdwa v2, v3, v2 dst_sel:WORD_1 dst_unused:UNUSED_PAD src0_sel:BYTE_0 src1_sel:DWORD
	s_addc_u32 s1, s19, s21
	v_add_u32_e32 v5, v5, v9
	v_or_b32_sdwa v6, v6, v7 dst_sel:DWORD dst_unused:UNUSED_PAD src0_sel:WORD_0 src1_sel:DWORD
	v_or_b32_sdwa v1, v1, v2 dst_sel:DWORD dst_unused:UNUSED_PAD src0_sel:WORD_0 src1_sel:DWORD
	s_barrier
	s_barrier
	ds_write2_b32 v5, v1, v6 offset1:1
	v_mov_b32_e32 v1, s1
	v_add_co_u32_e32 v2, vcc, s0, v0
	v_addc_co_u32_e32 v3, vcc, 0, v1, vcc
	s_and_b64 vcc, exec, s[14:15]
	v_add_u32_e32 v4, 4, v0
	v_add_u32_e32 v5, 8, v0
	;; [unrolled: 1-line block ×7, first 2 shown]
	s_waitcnt lgkmcnt(0)
	s_cbranch_vccz .LBB2820_35
; %bb.34:
	s_barrier
	ds_read_u8 v11, v0
	ds_read_u8 v12, v4 offset:128
	ds_read_u8 v13, v5 offset:256
	ds_read_u8 v14, v6 offset:384
	ds_read_u8 v15, v7 offset:512
	ds_read_u8 v16, v8 offset:640
	ds_read_u8 v17, v9 offset:768
	ds_read_u8 v1, v10 offset:896
	s_waitcnt lgkmcnt(7)
	global_store_byte v[2:3], v11, off
	s_waitcnt lgkmcnt(6)
	global_store_byte v[2:3], v12, off offset:128
	s_waitcnt lgkmcnt(5)
	global_store_byte v[2:3], v13, off offset:256
	;; [unrolled: 2-line block ×6, first 2 shown]
	s_mov_b64 s[0:1], -1
	s_cbranch_execz .LBB2820_36
	s_branch .LBB2820_51
.LBB2820_35:
	s_mov_b64 s[0:1], 0
                                        ; implicit-def: $vgpr1
.LBB2820_36:
	s_barrier
	s_waitcnt lgkmcnt(0)
	ds_read_u8 v13, v4 offset:128
	ds_read_u8 v12, v5 offset:256
	;; [unrolled: 1-line block ×7, first 2 shown]
	s_sub_i32 s2, s12, s20
	v_or_b32_e32 v7, 0x80, v0
	v_cmp_gt_u32_e32 vcc, s2, v0
	s_and_saveexec_b64 s[0:1], vcc
	s_cbranch_execz .LBB2820_38
; %bb.37:
	ds_read_u8 v8, v0
	s_waitcnt lgkmcnt(0)
	global_store_byte v[2:3], v8, off
.LBB2820_38:
	s_or_b64 exec, exec, s[0:1]
	v_or_b32_e32 v8, 0x100, v0
	v_cmp_gt_u32_e32 vcc, s2, v7
	s_and_saveexec_b64 s[0:1], vcc
	s_cbranch_execz .LBB2820_40
; %bb.39:
	s_waitcnt lgkmcnt(6)
	global_store_byte v[2:3], v13, off offset:128
.LBB2820_40:
	s_or_b64 exec, exec, s[0:1]
	v_or_b32_e32 v7, 0x180, v0
	v_cmp_gt_u32_e32 vcc, s2, v8
	s_and_saveexec_b64 s[0:1], vcc
	s_cbranch_execz .LBB2820_42
; %bb.41:
	s_waitcnt lgkmcnt(5)
	global_store_byte v[2:3], v12, off offset:256
.LBB2820_42:
	;; [unrolled: 9-line block ×4, first 2 shown]
	s_or_b64 exec, exec, s[0:1]
	s_waitcnt lgkmcnt(3)
	v_or_b32_e32 v6, 0x300, v0
	v_cmp_gt_u32_e32 vcc, s2, v7
	s_and_saveexec_b64 s[0:1], vcc
	s_cbranch_execz .LBB2820_48
; %bb.47:
	s_waitcnt lgkmcnt(2)
	global_store_byte v[2:3], v5, off offset:640
.LBB2820_48:
	s_or_b64 exec, exec, s[0:1]
	v_or_b32_e32 v0, 0x380, v0
	v_cmp_gt_u32_e32 vcc, s2, v6
	s_and_saveexec_b64 s[0:1], vcc
	s_cbranch_execz .LBB2820_50
; %bb.49:
	s_waitcnt lgkmcnt(1)
	global_store_byte v[2:3], v4, off offset:768
.LBB2820_50:
	s_or_b64 exec, exec, s[0:1]
	v_cmp_gt_u32_e64 s[0:1], s2, v0
.LBB2820_51:
	s_and_saveexec_b64 s[2:3], s[0:1]
	s_cbranch_execz .LBB2820_53
; %bb.52:
	s_waitcnt lgkmcnt(0)
	global_store_byte v[2:3], v1, off offset:896
.LBB2820_53:
	s_endpgm
	.section	.rodata,"a",@progbits
	.p2align	6, 0x0
	.amdhsa_kernel _ZN7rocprim17ROCPRIM_400000_NS6detail17trampoline_kernelINS0_14default_configENS1_38merge_sort_block_merge_config_selectorIaNS0_10empty_typeEEEZZNS1_27merge_sort_block_merge_implIS3_N6thrust23THRUST_200600_302600_NS6detail15normal_iteratorINS9_10device_ptrIaEEEEPS5_m14custom_greaterIaEEE10hipError_tT0_T1_T2_jT3_P12ihipStream_tbPNSt15iterator_traitsISJ_E10value_typeEPNSP_ISK_E10value_typeEPSL_NS1_7vsmem_tEENKUlT_SJ_SK_SL_E_clISE_PaSF_SF_EESI_SY_SJ_SK_SL_EUlSY_E0_NS1_11comp_targetILNS1_3genE4ELNS1_11target_archE910ELNS1_3gpuE8ELNS1_3repE0EEENS1_38merge_mergepath_config_static_selectorELNS0_4arch9wavefront6targetE1EEEvSK_
		.amdhsa_group_segment_fixed_size 1056
		.amdhsa_private_segment_fixed_size 0
		.amdhsa_kernarg_size 328
		.amdhsa_user_sgpr_count 6
		.amdhsa_user_sgpr_private_segment_buffer 1
		.amdhsa_user_sgpr_dispatch_ptr 0
		.amdhsa_user_sgpr_queue_ptr 0
		.amdhsa_user_sgpr_kernarg_segment_ptr 1
		.amdhsa_user_sgpr_dispatch_id 0
		.amdhsa_user_sgpr_flat_scratch_init 0
		.amdhsa_user_sgpr_kernarg_preload_length 0
		.amdhsa_user_sgpr_kernarg_preload_offset 0
		.amdhsa_user_sgpr_private_segment_size 0
		.amdhsa_uses_dynamic_stack 0
		.amdhsa_system_sgpr_private_segment_wavefront_offset 0
		.amdhsa_system_sgpr_workgroup_id_x 1
		.amdhsa_system_sgpr_workgroup_id_y 1
		.amdhsa_system_sgpr_workgroup_id_z 1
		.amdhsa_system_sgpr_workgroup_info 0
		.amdhsa_system_vgpr_workitem_id 0
		.amdhsa_next_free_vgpr 26
		.amdhsa_next_free_sgpr 31
		.amdhsa_accum_offset 28
		.amdhsa_reserve_vcc 1
		.amdhsa_reserve_flat_scratch 0
		.amdhsa_float_round_mode_32 0
		.amdhsa_float_round_mode_16_64 0
		.amdhsa_float_denorm_mode_32 3
		.amdhsa_float_denorm_mode_16_64 3
		.amdhsa_dx10_clamp 1
		.amdhsa_ieee_mode 1
		.amdhsa_fp16_overflow 0
		.amdhsa_tg_split 0
		.amdhsa_exception_fp_ieee_invalid_op 0
		.amdhsa_exception_fp_denorm_src 0
		.amdhsa_exception_fp_ieee_div_zero 0
		.amdhsa_exception_fp_ieee_overflow 0
		.amdhsa_exception_fp_ieee_underflow 0
		.amdhsa_exception_fp_ieee_inexact 0
		.amdhsa_exception_int_div_zero 0
	.end_amdhsa_kernel
	.section	.text._ZN7rocprim17ROCPRIM_400000_NS6detail17trampoline_kernelINS0_14default_configENS1_38merge_sort_block_merge_config_selectorIaNS0_10empty_typeEEEZZNS1_27merge_sort_block_merge_implIS3_N6thrust23THRUST_200600_302600_NS6detail15normal_iteratorINS9_10device_ptrIaEEEEPS5_m14custom_greaterIaEEE10hipError_tT0_T1_T2_jT3_P12ihipStream_tbPNSt15iterator_traitsISJ_E10value_typeEPNSP_ISK_E10value_typeEPSL_NS1_7vsmem_tEENKUlT_SJ_SK_SL_E_clISE_PaSF_SF_EESI_SY_SJ_SK_SL_EUlSY_E0_NS1_11comp_targetILNS1_3genE4ELNS1_11target_archE910ELNS1_3gpuE8ELNS1_3repE0EEENS1_38merge_mergepath_config_static_selectorELNS0_4arch9wavefront6targetE1EEEvSK_,"axG",@progbits,_ZN7rocprim17ROCPRIM_400000_NS6detail17trampoline_kernelINS0_14default_configENS1_38merge_sort_block_merge_config_selectorIaNS0_10empty_typeEEEZZNS1_27merge_sort_block_merge_implIS3_N6thrust23THRUST_200600_302600_NS6detail15normal_iteratorINS9_10device_ptrIaEEEEPS5_m14custom_greaterIaEEE10hipError_tT0_T1_T2_jT3_P12ihipStream_tbPNSt15iterator_traitsISJ_E10value_typeEPNSP_ISK_E10value_typeEPSL_NS1_7vsmem_tEENKUlT_SJ_SK_SL_E_clISE_PaSF_SF_EESI_SY_SJ_SK_SL_EUlSY_E0_NS1_11comp_targetILNS1_3genE4ELNS1_11target_archE910ELNS1_3gpuE8ELNS1_3repE0EEENS1_38merge_mergepath_config_static_selectorELNS0_4arch9wavefront6targetE1EEEvSK_,comdat
.Lfunc_end2820:
	.size	_ZN7rocprim17ROCPRIM_400000_NS6detail17trampoline_kernelINS0_14default_configENS1_38merge_sort_block_merge_config_selectorIaNS0_10empty_typeEEEZZNS1_27merge_sort_block_merge_implIS3_N6thrust23THRUST_200600_302600_NS6detail15normal_iteratorINS9_10device_ptrIaEEEEPS5_m14custom_greaterIaEEE10hipError_tT0_T1_T2_jT3_P12ihipStream_tbPNSt15iterator_traitsISJ_E10value_typeEPNSP_ISK_E10value_typeEPSL_NS1_7vsmem_tEENKUlT_SJ_SK_SL_E_clISE_PaSF_SF_EESI_SY_SJ_SK_SL_EUlSY_E0_NS1_11comp_targetILNS1_3genE4ELNS1_11target_archE910ELNS1_3gpuE8ELNS1_3repE0EEENS1_38merge_mergepath_config_static_selectorELNS0_4arch9wavefront6targetE1EEEvSK_, .Lfunc_end2820-_ZN7rocprim17ROCPRIM_400000_NS6detail17trampoline_kernelINS0_14default_configENS1_38merge_sort_block_merge_config_selectorIaNS0_10empty_typeEEEZZNS1_27merge_sort_block_merge_implIS3_N6thrust23THRUST_200600_302600_NS6detail15normal_iteratorINS9_10device_ptrIaEEEEPS5_m14custom_greaterIaEEE10hipError_tT0_T1_T2_jT3_P12ihipStream_tbPNSt15iterator_traitsISJ_E10value_typeEPNSP_ISK_E10value_typeEPSL_NS1_7vsmem_tEENKUlT_SJ_SK_SL_E_clISE_PaSF_SF_EESI_SY_SJ_SK_SL_EUlSY_E0_NS1_11comp_targetILNS1_3genE4ELNS1_11target_archE910ELNS1_3gpuE8ELNS1_3repE0EEENS1_38merge_mergepath_config_static_selectorELNS0_4arch9wavefront6targetE1EEEvSK_
                                        ; -- End function
	.section	.AMDGPU.csdata,"",@progbits
; Kernel info:
; codeLenInByte = 3184
; NumSgprs: 35
; NumVgprs: 26
; NumAgprs: 0
; TotalNumVgprs: 26
; ScratchSize: 0
; MemoryBound: 0
; FloatMode: 240
; IeeeMode: 1
; LDSByteSize: 1056 bytes/workgroup (compile time only)
; SGPRBlocks: 4
; VGPRBlocks: 3
; NumSGPRsForWavesPerEU: 35
; NumVGPRsForWavesPerEU: 26
; AccumOffset: 28
; Occupancy: 8
; WaveLimiterHint : 1
; COMPUTE_PGM_RSRC2:SCRATCH_EN: 0
; COMPUTE_PGM_RSRC2:USER_SGPR: 6
; COMPUTE_PGM_RSRC2:TRAP_HANDLER: 0
; COMPUTE_PGM_RSRC2:TGID_X_EN: 1
; COMPUTE_PGM_RSRC2:TGID_Y_EN: 1
; COMPUTE_PGM_RSRC2:TGID_Z_EN: 1
; COMPUTE_PGM_RSRC2:TIDIG_COMP_CNT: 0
; COMPUTE_PGM_RSRC3_GFX90A:ACCUM_OFFSET: 6
; COMPUTE_PGM_RSRC3_GFX90A:TG_SPLIT: 0
	.section	.text._ZN7rocprim17ROCPRIM_400000_NS6detail17trampoline_kernelINS0_14default_configENS1_38merge_sort_block_merge_config_selectorIaNS0_10empty_typeEEEZZNS1_27merge_sort_block_merge_implIS3_N6thrust23THRUST_200600_302600_NS6detail15normal_iteratorINS9_10device_ptrIaEEEEPS5_m14custom_greaterIaEEE10hipError_tT0_T1_T2_jT3_P12ihipStream_tbPNSt15iterator_traitsISJ_E10value_typeEPNSP_ISK_E10value_typeEPSL_NS1_7vsmem_tEENKUlT_SJ_SK_SL_E_clISE_PaSF_SF_EESI_SY_SJ_SK_SL_EUlSY_E0_NS1_11comp_targetILNS1_3genE3ELNS1_11target_archE908ELNS1_3gpuE7ELNS1_3repE0EEENS1_38merge_mergepath_config_static_selectorELNS0_4arch9wavefront6targetE1EEEvSK_,"axG",@progbits,_ZN7rocprim17ROCPRIM_400000_NS6detail17trampoline_kernelINS0_14default_configENS1_38merge_sort_block_merge_config_selectorIaNS0_10empty_typeEEEZZNS1_27merge_sort_block_merge_implIS3_N6thrust23THRUST_200600_302600_NS6detail15normal_iteratorINS9_10device_ptrIaEEEEPS5_m14custom_greaterIaEEE10hipError_tT0_T1_T2_jT3_P12ihipStream_tbPNSt15iterator_traitsISJ_E10value_typeEPNSP_ISK_E10value_typeEPSL_NS1_7vsmem_tEENKUlT_SJ_SK_SL_E_clISE_PaSF_SF_EESI_SY_SJ_SK_SL_EUlSY_E0_NS1_11comp_targetILNS1_3genE3ELNS1_11target_archE908ELNS1_3gpuE7ELNS1_3repE0EEENS1_38merge_mergepath_config_static_selectorELNS0_4arch9wavefront6targetE1EEEvSK_,comdat
	.protected	_ZN7rocprim17ROCPRIM_400000_NS6detail17trampoline_kernelINS0_14default_configENS1_38merge_sort_block_merge_config_selectorIaNS0_10empty_typeEEEZZNS1_27merge_sort_block_merge_implIS3_N6thrust23THRUST_200600_302600_NS6detail15normal_iteratorINS9_10device_ptrIaEEEEPS5_m14custom_greaterIaEEE10hipError_tT0_T1_T2_jT3_P12ihipStream_tbPNSt15iterator_traitsISJ_E10value_typeEPNSP_ISK_E10value_typeEPSL_NS1_7vsmem_tEENKUlT_SJ_SK_SL_E_clISE_PaSF_SF_EESI_SY_SJ_SK_SL_EUlSY_E0_NS1_11comp_targetILNS1_3genE3ELNS1_11target_archE908ELNS1_3gpuE7ELNS1_3repE0EEENS1_38merge_mergepath_config_static_selectorELNS0_4arch9wavefront6targetE1EEEvSK_ ; -- Begin function _ZN7rocprim17ROCPRIM_400000_NS6detail17trampoline_kernelINS0_14default_configENS1_38merge_sort_block_merge_config_selectorIaNS0_10empty_typeEEEZZNS1_27merge_sort_block_merge_implIS3_N6thrust23THRUST_200600_302600_NS6detail15normal_iteratorINS9_10device_ptrIaEEEEPS5_m14custom_greaterIaEEE10hipError_tT0_T1_T2_jT3_P12ihipStream_tbPNSt15iterator_traitsISJ_E10value_typeEPNSP_ISK_E10value_typeEPSL_NS1_7vsmem_tEENKUlT_SJ_SK_SL_E_clISE_PaSF_SF_EESI_SY_SJ_SK_SL_EUlSY_E0_NS1_11comp_targetILNS1_3genE3ELNS1_11target_archE908ELNS1_3gpuE7ELNS1_3repE0EEENS1_38merge_mergepath_config_static_selectorELNS0_4arch9wavefront6targetE1EEEvSK_
	.globl	_ZN7rocprim17ROCPRIM_400000_NS6detail17trampoline_kernelINS0_14default_configENS1_38merge_sort_block_merge_config_selectorIaNS0_10empty_typeEEEZZNS1_27merge_sort_block_merge_implIS3_N6thrust23THRUST_200600_302600_NS6detail15normal_iteratorINS9_10device_ptrIaEEEEPS5_m14custom_greaterIaEEE10hipError_tT0_T1_T2_jT3_P12ihipStream_tbPNSt15iterator_traitsISJ_E10value_typeEPNSP_ISK_E10value_typeEPSL_NS1_7vsmem_tEENKUlT_SJ_SK_SL_E_clISE_PaSF_SF_EESI_SY_SJ_SK_SL_EUlSY_E0_NS1_11comp_targetILNS1_3genE3ELNS1_11target_archE908ELNS1_3gpuE7ELNS1_3repE0EEENS1_38merge_mergepath_config_static_selectorELNS0_4arch9wavefront6targetE1EEEvSK_
	.p2align	8
	.type	_ZN7rocprim17ROCPRIM_400000_NS6detail17trampoline_kernelINS0_14default_configENS1_38merge_sort_block_merge_config_selectorIaNS0_10empty_typeEEEZZNS1_27merge_sort_block_merge_implIS3_N6thrust23THRUST_200600_302600_NS6detail15normal_iteratorINS9_10device_ptrIaEEEEPS5_m14custom_greaterIaEEE10hipError_tT0_T1_T2_jT3_P12ihipStream_tbPNSt15iterator_traitsISJ_E10value_typeEPNSP_ISK_E10value_typeEPSL_NS1_7vsmem_tEENKUlT_SJ_SK_SL_E_clISE_PaSF_SF_EESI_SY_SJ_SK_SL_EUlSY_E0_NS1_11comp_targetILNS1_3genE3ELNS1_11target_archE908ELNS1_3gpuE7ELNS1_3repE0EEENS1_38merge_mergepath_config_static_selectorELNS0_4arch9wavefront6targetE1EEEvSK_,@function
_ZN7rocprim17ROCPRIM_400000_NS6detail17trampoline_kernelINS0_14default_configENS1_38merge_sort_block_merge_config_selectorIaNS0_10empty_typeEEEZZNS1_27merge_sort_block_merge_implIS3_N6thrust23THRUST_200600_302600_NS6detail15normal_iteratorINS9_10device_ptrIaEEEEPS5_m14custom_greaterIaEEE10hipError_tT0_T1_T2_jT3_P12ihipStream_tbPNSt15iterator_traitsISJ_E10value_typeEPNSP_ISK_E10value_typeEPSL_NS1_7vsmem_tEENKUlT_SJ_SK_SL_E_clISE_PaSF_SF_EESI_SY_SJ_SK_SL_EUlSY_E0_NS1_11comp_targetILNS1_3genE3ELNS1_11target_archE908ELNS1_3gpuE7ELNS1_3repE0EEENS1_38merge_mergepath_config_static_selectorELNS0_4arch9wavefront6targetE1EEEvSK_: ; @_ZN7rocprim17ROCPRIM_400000_NS6detail17trampoline_kernelINS0_14default_configENS1_38merge_sort_block_merge_config_selectorIaNS0_10empty_typeEEEZZNS1_27merge_sort_block_merge_implIS3_N6thrust23THRUST_200600_302600_NS6detail15normal_iteratorINS9_10device_ptrIaEEEEPS5_m14custom_greaterIaEEE10hipError_tT0_T1_T2_jT3_P12ihipStream_tbPNSt15iterator_traitsISJ_E10value_typeEPNSP_ISK_E10value_typeEPSL_NS1_7vsmem_tEENKUlT_SJ_SK_SL_E_clISE_PaSF_SF_EESI_SY_SJ_SK_SL_EUlSY_E0_NS1_11comp_targetILNS1_3genE3ELNS1_11target_archE908ELNS1_3gpuE7ELNS1_3repE0EEENS1_38merge_mergepath_config_static_selectorELNS0_4arch9wavefront6targetE1EEEvSK_
; %bb.0:
	.section	.rodata,"a",@progbits
	.p2align	6, 0x0
	.amdhsa_kernel _ZN7rocprim17ROCPRIM_400000_NS6detail17trampoline_kernelINS0_14default_configENS1_38merge_sort_block_merge_config_selectorIaNS0_10empty_typeEEEZZNS1_27merge_sort_block_merge_implIS3_N6thrust23THRUST_200600_302600_NS6detail15normal_iteratorINS9_10device_ptrIaEEEEPS5_m14custom_greaterIaEEE10hipError_tT0_T1_T2_jT3_P12ihipStream_tbPNSt15iterator_traitsISJ_E10value_typeEPNSP_ISK_E10value_typeEPSL_NS1_7vsmem_tEENKUlT_SJ_SK_SL_E_clISE_PaSF_SF_EESI_SY_SJ_SK_SL_EUlSY_E0_NS1_11comp_targetILNS1_3genE3ELNS1_11target_archE908ELNS1_3gpuE7ELNS1_3repE0EEENS1_38merge_mergepath_config_static_selectorELNS0_4arch9wavefront6targetE1EEEvSK_
		.amdhsa_group_segment_fixed_size 0
		.amdhsa_private_segment_fixed_size 0
		.amdhsa_kernarg_size 72
		.amdhsa_user_sgpr_count 6
		.amdhsa_user_sgpr_private_segment_buffer 1
		.amdhsa_user_sgpr_dispatch_ptr 0
		.amdhsa_user_sgpr_queue_ptr 0
		.amdhsa_user_sgpr_kernarg_segment_ptr 1
		.amdhsa_user_sgpr_dispatch_id 0
		.amdhsa_user_sgpr_flat_scratch_init 0
		.amdhsa_user_sgpr_kernarg_preload_length 0
		.amdhsa_user_sgpr_kernarg_preload_offset 0
		.amdhsa_user_sgpr_private_segment_size 0
		.amdhsa_uses_dynamic_stack 0
		.amdhsa_system_sgpr_private_segment_wavefront_offset 0
		.amdhsa_system_sgpr_workgroup_id_x 1
		.amdhsa_system_sgpr_workgroup_id_y 0
		.amdhsa_system_sgpr_workgroup_id_z 0
		.amdhsa_system_sgpr_workgroup_info 0
		.amdhsa_system_vgpr_workitem_id 0
		.amdhsa_next_free_vgpr 1
		.amdhsa_next_free_sgpr 0
		.amdhsa_accum_offset 4
		.amdhsa_reserve_vcc 0
		.amdhsa_reserve_flat_scratch 0
		.amdhsa_float_round_mode_32 0
		.amdhsa_float_round_mode_16_64 0
		.amdhsa_float_denorm_mode_32 3
		.amdhsa_float_denorm_mode_16_64 3
		.amdhsa_dx10_clamp 1
		.amdhsa_ieee_mode 1
		.amdhsa_fp16_overflow 0
		.amdhsa_tg_split 0
		.amdhsa_exception_fp_ieee_invalid_op 0
		.amdhsa_exception_fp_denorm_src 0
		.amdhsa_exception_fp_ieee_div_zero 0
		.amdhsa_exception_fp_ieee_overflow 0
		.amdhsa_exception_fp_ieee_underflow 0
		.amdhsa_exception_fp_ieee_inexact 0
		.amdhsa_exception_int_div_zero 0
	.end_amdhsa_kernel
	.section	.text._ZN7rocprim17ROCPRIM_400000_NS6detail17trampoline_kernelINS0_14default_configENS1_38merge_sort_block_merge_config_selectorIaNS0_10empty_typeEEEZZNS1_27merge_sort_block_merge_implIS3_N6thrust23THRUST_200600_302600_NS6detail15normal_iteratorINS9_10device_ptrIaEEEEPS5_m14custom_greaterIaEEE10hipError_tT0_T1_T2_jT3_P12ihipStream_tbPNSt15iterator_traitsISJ_E10value_typeEPNSP_ISK_E10value_typeEPSL_NS1_7vsmem_tEENKUlT_SJ_SK_SL_E_clISE_PaSF_SF_EESI_SY_SJ_SK_SL_EUlSY_E0_NS1_11comp_targetILNS1_3genE3ELNS1_11target_archE908ELNS1_3gpuE7ELNS1_3repE0EEENS1_38merge_mergepath_config_static_selectorELNS0_4arch9wavefront6targetE1EEEvSK_,"axG",@progbits,_ZN7rocprim17ROCPRIM_400000_NS6detail17trampoline_kernelINS0_14default_configENS1_38merge_sort_block_merge_config_selectorIaNS0_10empty_typeEEEZZNS1_27merge_sort_block_merge_implIS3_N6thrust23THRUST_200600_302600_NS6detail15normal_iteratorINS9_10device_ptrIaEEEEPS5_m14custom_greaterIaEEE10hipError_tT0_T1_T2_jT3_P12ihipStream_tbPNSt15iterator_traitsISJ_E10value_typeEPNSP_ISK_E10value_typeEPSL_NS1_7vsmem_tEENKUlT_SJ_SK_SL_E_clISE_PaSF_SF_EESI_SY_SJ_SK_SL_EUlSY_E0_NS1_11comp_targetILNS1_3genE3ELNS1_11target_archE908ELNS1_3gpuE7ELNS1_3repE0EEENS1_38merge_mergepath_config_static_selectorELNS0_4arch9wavefront6targetE1EEEvSK_,comdat
.Lfunc_end2821:
	.size	_ZN7rocprim17ROCPRIM_400000_NS6detail17trampoline_kernelINS0_14default_configENS1_38merge_sort_block_merge_config_selectorIaNS0_10empty_typeEEEZZNS1_27merge_sort_block_merge_implIS3_N6thrust23THRUST_200600_302600_NS6detail15normal_iteratorINS9_10device_ptrIaEEEEPS5_m14custom_greaterIaEEE10hipError_tT0_T1_T2_jT3_P12ihipStream_tbPNSt15iterator_traitsISJ_E10value_typeEPNSP_ISK_E10value_typeEPSL_NS1_7vsmem_tEENKUlT_SJ_SK_SL_E_clISE_PaSF_SF_EESI_SY_SJ_SK_SL_EUlSY_E0_NS1_11comp_targetILNS1_3genE3ELNS1_11target_archE908ELNS1_3gpuE7ELNS1_3repE0EEENS1_38merge_mergepath_config_static_selectorELNS0_4arch9wavefront6targetE1EEEvSK_, .Lfunc_end2821-_ZN7rocprim17ROCPRIM_400000_NS6detail17trampoline_kernelINS0_14default_configENS1_38merge_sort_block_merge_config_selectorIaNS0_10empty_typeEEEZZNS1_27merge_sort_block_merge_implIS3_N6thrust23THRUST_200600_302600_NS6detail15normal_iteratorINS9_10device_ptrIaEEEEPS5_m14custom_greaterIaEEE10hipError_tT0_T1_T2_jT3_P12ihipStream_tbPNSt15iterator_traitsISJ_E10value_typeEPNSP_ISK_E10value_typeEPSL_NS1_7vsmem_tEENKUlT_SJ_SK_SL_E_clISE_PaSF_SF_EESI_SY_SJ_SK_SL_EUlSY_E0_NS1_11comp_targetILNS1_3genE3ELNS1_11target_archE908ELNS1_3gpuE7ELNS1_3repE0EEENS1_38merge_mergepath_config_static_selectorELNS0_4arch9wavefront6targetE1EEEvSK_
                                        ; -- End function
	.section	.AMDGPU.csdata,"",@progbits
; Kernel info:
; codeLenInByte = 0
; NumSgprs: 4
; NumVgprs: 0
; NumAgprs: 0
; TotalNumVgprs: 0
; ScratchSize: 0
; MemoryBound: 0
; FloatMode: 240
; IeeeMode: 1
; LDSByteSize: 0 bytes/workgroup (compile time only)
; SGPRBlocks: 0
; VGPRBlocks: 0
; NumSGPRsForWavesPerEU: 4
; NumVGPRsForWavesPerEU: 1
; AccumOffset: 4
; Occupancy: 8
; WaveLimiterHint : 0
; COMPUTE_PGM_RSRC2:SCRATCH_EN: 0
; COMPUTE_PGM_RSRC2:USER_SGPR: 6
; COMPUTE_PGM_RSRC2:TRAP_HANDLER: 0
; COMPUTE_PGM_RSRC2:TGID_X_EN: 1
; COMPUTE_PGM_RSRC2:TGID_Y_EN: 0
; COMPUTE_PGM_RSRC2:TGID_Z_EN: 0
; COMPUTE_PGM_RSRC2:TIDIG_COMP_CNT: 0
; COMPUTE_PGM_RSRC3_GFX90A:ACCUM_OFFSET: 0
; COMPUTE_PGM_RSRC3_GFX90A:TG_SPLIT: 0
	.section	.text._ZN7rocprim17ROCPRIM_400000_NS6detail17trampoline_kernelINS0_14default_configENS1_38merge_sort_block_merge_config_selectorIaNS0_10empty_typeEEEZZNS1_27merge_sort_block_merge_implIS3_N6thrust23THRUST_200600_302600_NS6detail15normal_iteratorINS9_10device_ptrIaEEEEPS5_m14custom_greaterIaEEE10hipError_tT0_T1_T2_jT3_P12ihipStream_tbPNSt15iterator_traitsISJ_E10value_typeEPNSP_ISK_E10value_typeEPSL_NS1_7vsmem_tEENKUlT_SJ_SK_SL_E_clISE_PaSF_SF_EESI_SY_SJ_SK_SL_EUlSY_E0_NS1_11comp_targetILNS1_3genE2ELNS1_11target_archE906ELNS1_3gpuE6ELNS1_3repE0EEENS1_38merge_mergepath_config_static_selectorELNS0_4arch9wavefront6targetE1EEEvSK_,"axG",@progbits,_ZN7rocprim17ROCPRIM_400000_NS6detail17trampoline_kernelINS0_14default_configENS1_38merge_sort_block_merge_config_selectorIaNS0_10empty_typeEEEZZNS1_27merge_sort_block_merge_implIS3_N6thrust23THRUST_200600_302600_NS6detail15normal_iteratorINS9_10device_ptrIaEEEEPS5_m14custom_greaterIaEEE10hipError_tT0_T1_T2_jT3_P12ihipStream_tbPNSt15iterator_traitsISJ_E10value_typeEPNSP_ISK_E10value_typeEPSL_NS1_7vsmem_tEENKUlT_SJ_SK_SL_E_clISE_PaSF_SF_EESI_SY_SJ_SK_SL_EUlSY_E0_NS1_11comp_targetILNS1_3genE2ELNS1_11target_archE906ELNS1_3gpuE6ELNS1_3repE0EEENS1_38merge_mergepath_config_static_selectorELNS0_4arch9wavefront6targetE1EEEvSK_,comdat
	.protected	_ZN7rocprim17ROCPRIM_400000_NS6detail17trampoline_kernelINS0_14default_configENS1_38merge_sort_block_merge_config_selectorIaNS0_10empty_typeEEEZZNS1_27merge_sort_block_merge_implIS3_N6thrust23THRUST_200600_302600_NS6detail15normal_iteratorINS9_10device_ptrIaEEEEPS5_m14custom_greaterIaEEE10hipError_tT0_T1_T2_jT3_P12ihipStream_tbPNSt15iterator_traitsISJ_E10value_typeEPNSP_ISK_E10value_typeEPSL_NS1_7vsmem_tEENKUlT_SJ_SK_SL_E_clISE_PaSF_SF_EESI_SY_SJ_SK_SL_EUlSY_E0_NS1_11comp_targetILNS1_3genE2ELNS1_11target_archE906ELNS1_3gpuE6ELNS1_3repE0EEENS1_38merge_mergepath_config_static_selectorELNS0_4arch9wavefront6targetE1EEEvSK_ ; -- Begin function _ZN7rocprim17ROCPRIM_400000_NS6detail17trampoline_kernelINS0_14default_configENS1_38merge_sort_block_merge_config_selectorIaNS0_10empty_typeEEEZZNS1_27merge_sort_block_merge_implIS3_N6thrust23THRUST_200600_302600_NS6detail15normal_iteratorINS9_10device_ptrIaEEEEPS5_m14custom_greaterIaEEE10hipError_tT0_T1_T2_jT3_P12ihipStream_tbPNSt15iterator_traitsISJ_E10value_typeEPNSP_ISK_E10value_typeEPSL_NS1_7vsmem_tEENKUlT_SJ_SK_SL_E_clISE_PaSF_SF_EESI_SY_SJ_SK_SL_EUlSY_E0_NS1_11comp_targetILNS1_3genE2ELNS1_11target_archE906ELNS1_3gpuE6ELNS1_3repE0EEENS1_38merge_mergepath_config_static_selectorELNS0_4arch9wavefront6targetE1EEEvSK_
	.globl	_ZN7rocprim17ROCPRIM_400000_NS6detail17trampoline_kernelINS0_14default_configENS1_38merge_sort_block_merge_config_selectorIaNS0_10empty_typeEEEZZNS1_27merge_sort_block_merge_implIS3_N6thrust23THRUST_200600_302600_NS6detail15normal_iteratorINS9_10device_ptrIaEEEEPS5_m14custom_greaterIaEEE10hipError_tT0_T1_T2_jT3_P12ihipStream_tbPNSt15iterator_traitsISJ_E10value_typeEPNSP_ISK_E10value_typeEPSL_NS1_7vsmem_tEENKUlT_SJ_SK_SL_E_clISE_PaSF_SF_EESI_SY_SJ_SK_SL_EUlSY_E0_NS1_11comp_targetILNS1_3genE2ELNS1_11target_archE906ELNS1_3gpuE6ELNS1_3repE0EEENS1_38merge_mergepath_config_static_selectorELNS0_4arch9wavefront6targetE1EEEvSK_
	.p2align	8
	.type	_ZN7rocprim17ROCPRIM_400000_NS6detail17trampoline_kernelINS0_14default_configENS1_38merge_sort_block_merge_config_selectorIaNS0_10empty_typeEEEZZNS1_27merge_sort_block_merge_implIS3_N6thrust23THRUST_200600_302600_NS6detail15normal_iteratorINS9_10device_ptrIaEEEEPS5_m14custom_greaterIaEEE10hipError_tT0_T1_T2_jT3_P12ihipStream_tbPNSt15iterator_traitsISJ_E10value_typeEPNSP_ISK_E10value_typeEPSL_NS1_7vsmem_tEENKUlT_SJ_SK_SL_E_clISE_PaSF_SF_EESI_SY_SJ_SK_SL_EUlSY_E0_NS1_11comp_targetILNS1_3genE2ELNS1_11target_archE906ELNS1_3gpuE6ELNS1_3repE0EEENS1_38merge_mergepath_config_static_selectorELNS0_4arch9wavefront6targetE1EEEvSK_,@function
_ZN7rocprim17ROCPRIM_400000_NS6detail17trampoline_kernelINS0_14default_configENS1_38merge_sort_block_merge_config_selectorIaNS0_10empty_typeEEEZZNS1_27merge_sort_block_merge_implIS3_N6thrust23THRUST_200600_302600_NS6detail15normal_iteratorINS9_10device_ptrIaEEEEPS5_m14custom_greaterIaEEE10hipError_tT0_T1_T2_jT3_P12ihipStream_tbPNSt15iterator_traitsISJ_E10value_typeEPNSP_ISK_E10value_typeEPSL_NS1_7vsmem_tEENKUlT_SJ_SK_SL_E_clISE_PaSF_SF_EESI_SY_SJ_SK_SL_EUlSY_E0_NS1_11comp_targetILNS1_3genE2ELNS1_11target_archE906ELNS1_3gpuE6ELNS1_3repE0EEENS1_38merge_mergepath_config_static_selectorELNS0_4arch9wavefront6targetE1EEEvSK_: ; @_ZN7rocprim17ROCPRIM_400000_NS6detail17trampoline_kernelINS0_14default_configENS1_38merge_sort_block_merge_config_selectorIaNS0_10empty_typeEEEZZNS1_27merge_sort_block_merge_implIS3_N6thrust23THRUST_200600_302600_NS6detail15normal_iteratorINS9_10device_ptrIaEEEEPS5_m14custom_greaterIaEEE10hipError_tT0_T1_T2_jT3_P12ihipStream_tbPNSt15iterator_traitsISJ_E10value_typeEPNSP_ISK_E10value_typeEPSL_NS1_7vsmem_tEENKUlT_SJ_SK_SL_E_clISE_PaSF_SF_EESI_SY_SJ_SK_SL_EUlSY_E0_NS1_11comp_targetILNS1_3genE2ELNS1_11target_archE906ELNS1_3gpuE6ELNS1_3repE0EEENS1_38merge_mergepath_config_static_selectorELNS0_4arch9wavefront6targetE1EEEvSK_
; %bb.0:
	.section	.rodata,"a",@progbits
	.p2align	6, 0x0
	.amdhsa_kernel _ZN7rocprim17ROCPRIM_400000_NS6detail17trampoline_kernelINS0_14default_configENS1_38merge_sort_block_merge_config_selectorIaNS0_10empty_typeEEEZZNS1_27merge_sort_block_merge_implIS3_N6thrust23THRUST_200600_302600_NS6detail15normal_iteratorINS9_10device_ptrIaEEEEPS5_m14custom_greaterIaEEE10hipError_tT0_T1_T2_jT3_P12ihipStream_tbPNSt15iterator_traitsISJ_E10value_typeEPNSP_ISK_E10value_typeEPSL_NS1_7vsmem_tEENKUlT_SJ_SK_SL_E_clISE_PaSF_SF_EESI_SY_SJ_SK_SL_EUlSY_E0_NS1_11comp_targetILNS1_3genE2ELNS1_11target_archE906ELNS1_3gpuE6ELNS1_3repE0EEENS1_38merge_mergepath_config_static_selectorELNS0_4arch9wavefront6targetE1EEEvSK_
		.amdhsa_group_segment_fixed_size 0
		.amdhsa_private_segment_fixed_size 0
		.amdhsa_kernarg_size 72
		.amdhsa_user_sgpr_count 6
		.amdhsa_user_sgpr_private_segment_buffer 1
		.amdhsa_user_sgpr_dispatch_ptr 0
		.amdhsa_user_sgpr_queue_ptr 0
		.amdhsa_user_sgpr_kernarg_segment_ptr 1
		.amdhsa_user_sgpr_dispatch_id 0
		.amdhsa_user_sgpr_flat_scratch_init 0
		.amdhsa_user_sgpr_kernarg_preload_length 0
		.amdhsa_user_sgpr_kernarg_preload_offset 0
		.amdhsa_user_sgpr_private_segment_size 0
		.amdhsa_uses_dynamic_stack 0
		.amdhsa_system_sgpr_private_segment_wavefront_offset 0
		.amdhsa_system_sgpr_workgroup_id_x 1
		.amdhsa_system_sgpr_workgroup_id_y 0
		.amdhsa_system_sgpr_workgroup_id_z 0
		.amdhsa_system_sgpr_workgroup_info 0
		.amdhsa_system_vgpr_workitem_id 0
		.amdhsa_next_free_vgpr 1
		.amdhsa_next_free_sgpr 0
		.amdhsa_accum_offset 4
		.amdhsa_reserve_vcc 0
		.amdhsa_reserve_flat_scratch 0
		.amdhsa_float_round_mode_32 0
		.amdhsa_float_round_mode_16_64 0
		.amdhsa_float_denorm_mode_32 3
		.amdhsa_float_denorm_mode_16_64 3
		.amdhsa_dx10_clamp 1
		.amdhsa_ieee_mode 1
		.amdhsa_fp16_overflow 0
		.amdhsa_tg_split 0
		.amdhsa_exception_fp_ieee_invalid_op 0
		.amdhsa_exception_fp_denorm_src 0
		.amdhsa_exception_fp_ieee_div_zero 0
		.amdhsa_exception_fp_ieee_overflow 0
		.amdhsa_exception_fp_ieee_underflow 0
		.amdhsa_exception_fp_ieee_inexact 0
		.amdhsa_exception_int_div_zero 0
	.end_amdhsa_kernel
	.section	.text._ZN7rocprim17ROCPRIM_400000_NS6detail17trampoline_kernelINS0_14default_configENS1_38merge_sort_block_merge_config_selectorIaNS0_10empty_typeEEEZZNS1_27merge_sort_block_merge_implIS3_N6thrust23THRUST_200600_302600_NS6detail15normal_iteratorINS9_10device_ptrIaEEEEPS5_m14custom_greaterIaEEE10hipError_tT0_T1_T2_jT3_P12ihipStream_tbPNSt15iterator_traitsISJ_E10value_typeEPNSP_ISK_E10value_typeEPSL_NS1_7vsmem_tEENKUlT_SJ_SK_SL_E_clISE_PaSF_SF_EESI_SY_SJ_SK_SL_EUlSY_E0_NS1_11comp_targetILNS1_3genE2ELNS1_11target_archE906ELNS1_3gpuE6ELNS1_3repE0EEENS1_38merge_mergepath_config_static_selectorELNS0_4arch9wavefront6targetE1EEEvSK_,"axG",@progbits,_ZN7rocprim17ROCPRIM_400000_NS6detail17trampoline_kernelINS0_14default_configENS1_38merge_sort_block_merge_config_selectorIaNS0_10empty_typeEEEZZNS1_27merge_sort_block_merge_implIS3_N6thrust23THRUST_200600_302600_NS6detail15normal_iteratorINS9_10device_ptrIaEEEEPS5_m14custom_greaterIaEEE10hipError_tT0_T1_T2_jT3_P12ihipStream_tbPNSt15iterator_traitsISJ_E10value_typeEPNSP_ISK_E10value_typeEPSL_NS1_7vsmem_tEENKUlT_SJ_SK_SL_E_clISE_PaSF_SF_EESI_SY_SJ_SK_SL_EUlSY_E0_NS1_11comp_targetILNS1_3genE2ELNS1_11target_archE906ELNS1_3gpuE6ELNS1_3repE0EEENS1_38merge_mergepath_config_static_selectorELNS0_4arch9wavefront6targetE1EEEvSK_,comdat
.Lfunc_end2822:
	.size	_ZN7rocprim17ROCPRIM_400000_NS6detail17trampoline_kernelINS0_14default_configENS1_38merge_sort_block_merge_config_selectorIaNS0_10empty_typeEEEZZNS1_27merge_sort_block_merge_implIS3_N6thrust23THRUST_200600_302600_NS6detail15normal_iteratorINS9_10device_ptrIaEEEEPS5_m14custom_greaterIaEEE10hipError_tT0_T1_T2_jT3_P12ihipStream_tbPNSt15iterator_traitsISJ_E10value_typeEPNSP_ISK_E10value_typeEPSL_NS1_7vsmem_tEENKUlT_SJ_SK_SL_E_clISE_PaSF_SF_EESI_SY_SJ_SK_SL_EUlSY_E0_NS1_11comp_targetILNS1_3genE2ELNS1_11target_archE906ELNS1_3gpuE6ELNS1_3repE0EEENS1_38merge_mergepath_config_static_selectorELNS0_4arch9wavefront6targetE1EEEvSK_, .Lfunc_end2822-_ZN7rocprim17ROCPRIM_400000_NS6detail17trampoline_kernelINS0_14default_configENS1_38merge_sort_block_merge_config_selectorIaNS0_10empty_typeEEEZZNS1_27merge_sort_block_merge_implIS3_N6thrust23THRUST_200600_302600_NS6detail15normal_iteratorINS9_10device_ptrIaEEEEPS5_m14custom_greaterIaEEE10hipError_tT0_T1_T2_jT3_P12ihipStream_tbPNSt15iterator_traitsISJ_E10value_typeEPNSP_ISK_E10value_typeEPSL_NS1_7vsmem_tEENKUlT_SJ_SK_SL_E_clISE_PaSF_SF_EESI_SY_SJ_SK_SL_EUlSY_E0_NS1_11comp_targetILNS1_3genE2ELNS1_11target_archE906ELNS1_3gpuE6ELNS1_3repE0EEENS1_38merge_mergepath_config_static_selectorELNS0_4arch9wavefront6targetE1EEEvSK_
                                        ; -- End function
	.section	.AMDGPU.csdata,"",@progbits
; Kernel info:
; codeLenInByte = 0
; NumSgprs: 4
; NumVgprs: 0
; NumAgprs: 0
; TotalNumVgprs: 0
; ScratchSize: 0
; MemoryBound: 0
; FloatMode: 240
; IeeeMode: 1
; LDSByteSize: 0 bytes/workgroup (compile time only)
; SGPRBlocks: 0
; VGPRBlocks: 0
; NumSGPRsForWavesPerEU: 4
; NumVGPRsForWavesPerEU: 1
; AccumOffset: 4
; Occupancy: 8
; WaveLimiterHint : 0
; COMPUTE_PGM_RSRC2:SCRATCH_EN: 0
; COMPUTE_PGM_RSRC2:USER_SGPR: 6
; COMPUTE_PGM_RSRC2:TRAP_HANDLER: 0
; COMPUTE_PGM_RSRC2:TGID_X_EN: 1
; COMPUTE_PGM_RSRC2:TGID_Y_EN: 0
; COMPUTE_PGM_RSRC2:TGID_Z_EN: 0
; COMPUTE_PGM_RSRC2:TIDIG_COMP_CNT: 0
; COMPUTE_PGM_RSRC3_GFX90A:ACCUM_OFFSET: 0
; COMPUTE_PGM_RSRC3_GFX90A:TG_SPLIT: 0
	.section	.text._ZN7rocprim17ROCPRIM_400000_NS6detail17trampoline_kernelINS0_14default_configENS1_38merge_sort_block_merge_config_selectorIaNS0_10empty_typeEEEZZNS1_27merge_sort_block_merge_implIS3_N6thrust23THRUST_200600_302600_NS6detail15normal_iteratorINS9_10device_ptrIaEEEEPS5_m14custom_greaterIaEEE10hipError_tT0_T1_T2_jT3_P12ihipStream_tbPNSt15iterator_traitsISJ_E10value_typeEPNSP_ISK_E10value_typeEPSL_NS1_7vsmem_tEENKUlT_SJ_SK_SL_E_clISE_PaSF_SF_EESI_SY_SJ_SK_SL_EUlSY_E0_NS1_11comp_targetILNS1_3genE9ELNS1_11target_archE1100ELNS1_3gpuE3ELNS1_3repE0EEENS1_38merge_mergepath_config_static_selectorELNS0_4arch9wavefront6targetE1EEEvSK_,"axG",@progbits,_ZN7rocprim17ROCPRIM_400000_NS6detail17trampoline_kernelINS0_14default_configENS1_38merge_sort_block_merge_config_selectorIaNS0_10empty_typeEEEZZNS1_27merge_sort_block_merge_implIS3_N6thrust23THRUST_200600_302600_NS6detail15normal_iteratorINS9_10device_ptrIaEEEEPS5_m14custom_greaterIaEEE10hipError_tT0_T1_T2_jT3_P12ihipStream_tbPNSt15iterator_traitsISJ_E10value_typeEPNSP_ISK_E10value_typeEPSL_NS1_7vsmem_tEENKUlT_SJ_SK_SL_E_clISE_PaSF_SF_EESI_SY_SJ_SK_SL_EUlSY_E0_NS1_11comp_targetILNS1_3genE9ELNS1_11target_archE1100ELNS1_3gpuE3ELNS1_3repE0EEENS1_38merge_mergepath_config_static_selectorELNS0_4arch9wavefront6targetE1EEEvSK_,comdat
	.protected	_ZN7rocprim17ROCPRIM_400000_NS6detail17trampoline_kernelINS0_14default_configENS1_38merge_sort_block_merge_config_selectorIaNS0_10empty_typeEEEZZNS1_27merge_sort_block_merge_implIS3_N6thrust23THRUST_200600_302600_NS6detail15normal_iteratorINS9_10device_ptrIaEEEEPS5_m14custom_greaterIaEEE10hipError_tT0_T1_T2_jT3_P12ihipStream_tbPNSt15iterator_traitsISJ_E10value_typeEPNSP_ISK_E10value_typeEPSL_NS1_7vsmem_tEENKUlT_SJ_SK_SL_E_clISE_PaSF_SF_EESI_SY_SJ_SK_SL_EUlSY_E0_NS1_11comp_targetILNS1_3genE9ELNS1_11target_archE1100ELNS1_3gpuE3ELNS1_3repE0EEENS1_38merge_mergepath_config_static_selectorELNS0_4arch9wavefront6targetE1EEEvSK_ ; -- Begin function _ZN7rocprim17ROCPRIM_400000_NS6detail17trampoline_kernelINS0_14default_configENS1_38merge_sort_block_merge_config_selectorIaNS0_10empty_typeEEEZZNS1_27merge_sort_block_merge_implIS3_N6thrust23THRUST_200600_302600_NS6detail15normal_iteratorINS9_10device_ptrIaEEEEPS5_m14custom_greaterIaEEE10hipError_tT0_T1_T2_jT3_P12ihipStream_tbPNSt15iterator_traitsISJ_E10value_typeEPNSP_ISK_E10value_typeEPSL_NS1_7vsmem_tEENKUlT_SJ_SK_SL_E_clISE_PaSF_SF_EESI_SY_SJ_SK_SL_EUlSY_E0_NS1_11comp_targetILNS1_3genE9ELNS1_11target_archE1100ELNS1_3gpuE3ELNS1_3repE0EEENS1_38merge_mergepath_config_static_selectorELNS0_4arch9wavefront6targetE1EEEvSK_
	.globl	_ZN7rocprim17ROCPRIM_400000_NS6detail17trampoline_kernelINS0_14default_configENS1_38merge_sort_block_merge_config_selectorIaNS0_10empty_typeEEEZZNS1_27merge_sort_block_merge_implIS3_N6thrust23THRUST_200600_302600_NS6detail15normal_iteratorINS9_10device_ptrIaEEEEPS5_m14custom_greaterIaEEE10hipError_tT0_T1_T2_jT3_P12ihipStream_tbPNSt15iterator_traitsISJ_E10value_typeEPNSP_ISK_E10value_typeEPSL_NS1_7vsmem_tEENKUlT_SJ_SK_SL_E_clISE_PaSF_SF_EESI_SY_SJ_SK_SL_EUlSY_E0_NS1_11comp_targetILNS1_3genE9ELNS1_11target_archE1100ELNS1_3gpuE3ELNS1_3repE0EEENS1_38merge_mergepath_config_static_selectorELNS0_4arch9wavefront6targetE1EEEvSK_
	.p2align	8
	.type	_ZN7rocprim17ROCPRIM_400000_NS6detail17trampoline_kernelINS0_14default_configENS1_38merge_sort_block_merge_config_selectorIaNS0_10empty_typeEEEZZNS1_27merge_sort_block_merge_implIS3_N6thrust23THRUST_200600_302600_NS6detail15normal_iteratorINS9_10device_ptrIaEEEEPS5_m14custom_greaterIaEEE10hipError_tT0_T1_T2_jT3_P12ihipStream_tbPNSt15iterator_traitsISJ_E10value_typeEPNSP_ISK_E10value_typeEPSL_NS1_7vsmem_tEENKUlT_SJ_SK_SL_E_clISE_PaSF_SF_EESI_SY_SJ_SK_SL_EUlSY_E0_NS1_11comp_targetILNS1_3genE9ELNS1_11target_archE1100ELNS1_3gpuE3ELNS1_3repE0EEENS1_38merge_mergepath_config_static_selectorELNS0_4arch9wavefront6targetE1EEEvSK_,@function
_ZN7rocprim17ROCPRIM_400000_NS6detail17trampoline_kernelINS0_14default_configENS1_38merge_sort_block_merge_config_selectorIaNS0_10empty_typeEEEZZNS1_27merge_sort_block_merge_implIS3_N6thrust23THRUST_200600_302600_NS6detail15normal_iteratorINS9_10device_ptrIaEEEEPS5_m14custom_greaterIaEEE10hipError_tT0_T1_T2_jT3_P12ihipStream_tbPNSt15iterator_traitsISJ_E10value_typeEPNSP_ISK_E10value_typeEPSL_NS1_7vsmem_tEENKUlT_SJ_SK_SL_E_clISE_PaSF_SF_EESI_SY_SJ_SK_SL_EUlSY_E0_NS1_11comp_targetILNS1_3genE9ELNS1_11target_archE1100ELNS1_3gpuE3ELNS1_3repE0EEENS1_38merge_mergepath_config_static_selectorELNS0_4arch9wavefront6targetE1EEEvSK_: ; @_ZN7rocprim17ROCPRIM_400000_NS6detail17trampoline_kernelINS0_14default_configENS1_38merge_sort_block_merge_config_selectorIaNS0_10empty_typeEEEZZNS1_27merge_sort_block_merge_implIS3_N6thrust23THRUST_200600_302600_NS6detail15normal_iteratorINS9_10device_ptrIaEEEEPS5_m14custom_greaterIaEEE10hipError_tT0_T1_T2_jT3_P12ihipStream_tbPNSt15iterator_traitsISJ_E10value_typeEPNSP_ISK_E10value_typeEPSL_NS1_7vsmem_tEENKUlT_SJ_SK_SL_E_clISE_PaSF_SF_EESI_SY_SJ_SK_SL_EUlSY_E0_NS1_11comp_targetILNS1_3genE9ELNS1_11target_archE1100ELNS1_3gpuE3ELNS1_3repE0EEENS1_38merge_mergepath_config_static_selectorELNS0_4arch9wavefront6targetE1EEEvSK_
; %bb.0:
	.section	.rodata,"a",@progbits
	.p2align	6, 0x0
	.amdhsa_kernel _ZN7rocprim17ROCPRIM_400000_NS6detail17trampoline_kernelINS0_14default_configENS1_38merge_sort_block_merge_config_selectorIaNS0_10empty_typeEEEZZNS1_27merge_sort_block_merge_implIS3_N6thrust23THRUST_200600_302600_NS6detail15normal_iteratorINS9_10device_ptrIaEEEEPS5_m14custom_greaterIaEEE10hipError_tT0_T1_T2_jT3_P12ihipStream_tbPNSt15iterator_traitsISJ_E10value_typeEPNSP_ISK_E10value_typeEPSL_NS1_7vsmem_tEENKUlT_SJ_SK_SL_E_clISE_PaSF_SF_EESI_SY_SJ_SK_SL_EUlSY_E0_NS1_11comp_targetILNS1_3genE9ELNS1_11target_archE1100ELNS1_3gpuE3ELNS1_3repE0EEENS1_38merge_mergepath_config_static_selectorELNS0_4arch9wavefront6targetE1EEEvSK_
		.amdhsa_group_segment_fixed_size 0
		.amdhsa_private_segment_fixed_size 0
		.amdhsa_kernarg_size 72
		.amdhsa_user_sgpr_count 6
		.amdhsa_user_sgpr_private_segment_buffer 1
		.amdhsa_user_sgpr_dispatch_ptr 0
		.amdhsa_user_sgpr_queue_ptr 0
		.amdhsa_user_sgpr_kernarg_segment_ptr 1
		.amdhsa_user_sgpr_dispatch_id 0
		.amdhsa_user_sgpr_flat_scratch_init 0
		.amdhsa_user_sgpr_kernarg_preload_length 0
		.amdhsa_user_sgpr_kernarg_preload_offset 0
		.amdhsa_user_sgpr_private_segment_size 0
		.amdhsa_uses_dynamic_stack 0
		.amdhsa_system_sgpr_private_segment_wavefront_offset 0
		.amdhsa_system_sgpr_workgroup_id_x 1
		.amdhsa_system_sgpr_workgroup_id_y 0
		.amdhsa_system_sgpr_workgroup_id_z 0
		.amdhsa_system_sgpr_workgroup_info 0
		.amdhsa_system_vgpr_workitem_id 0
		.amdhsa_next_free_vgpr 1
		.amdhsa_next_free_sgpr 0
		.amdhsa_accum_offset 4
		.amdhsa_reserve_vcc 0
		.amdhsa_reserve_flat_scratch 0
		.amdhsa_float_round_mode_32 0
		.amdhsa_float_round_mode_16_64 0
		.amdhsa_float_denorm_mode_32 3
		.amdhsa_float_denorm_mode_16_64 3
		.amdhsa_dx10_clamp 1
		.amdhsa_ieee_mode 1
		.amdhsa_fp16_overflow 0
		.amdhsa_tg_split 0
		.amdhsa_exception_fp_ieee_invalid_op 0
		.amdhsa_exception_fp_denorm_src 0
		.amdhsa_exception_fp_ieee_div_zero 0
		.amdhsa_exception_fp_ieee_overflow 0
		.amdhsa_exception_fp_ieee_underflow 0
		.amdhsa_exception_fp_ieee_inexact 0
		.amdhsa_exception_int_div_zero 0
	.end_amdhsa_kernel
	.section	.text._ZN7rocprim17ROCPRIM_400000_NS6detail17trampoline_kernelINS0_14default_configENS1_38merge_sort_block_merge_config_selectorIaNS0_10empty_typeEEEZZNS1_27merge_sort_block_merge_implIS3_N6thrust23THRUST_200600_302600_NS6detail15normal_iteratorINS9_10device_ptrIaEEEEPS5_m14custom_greaterIaEEE10hipError_tT0_T1_T2_jT3_P12ihipStream_tbPNSt15iterator_traitsISJ_E10value_typeEPNSP_ISK_E10value_typeEPSL_NS1_7vsmem_tEENKUlT_SJ_SK_SL_E_clISE_PaSF_SF_EESI_SY_SJ_SK_SL_EUlSY_E0_NS1_11comp_targetILNS1_3genE9ELNS1_11target_archE1100ELNS1_3gpuE3ELNS1_3repE0EEENS1_38merge_mergepath_config_static_selectorELNS0_4arch9wavefront6targetE1EEEvSK_,"axG",@progbits,_ZN7rocprim17ROCPRIM_400000_NS6detail17trampoline_kernelINS0_14default_configENS1_38merge_sort_block_merge_config_selectorIaNS0_10empty_typeEEEZZNS1_27merge_sort_block_merge_implIS3_N6thrust23THRUST_200600_302600_NS6detail15normal_iteratorINS9_10device_ptrIaEEEEPS5_m14custom_greaterIaEEE10hipError_tT0_T1_T2_jT3_P12ihipStream_tbPNSt15iterator_traitsISJ_E10value_typeEPNSP_ISK_E10value_typeEPSL_NS1_7vsmem_tEENKUlT_SJ_SK_SL_E_clISE_PaSF_SF_EESI_SY_SJ_SK_SL_EUlSY_E0_NS1_11comp_targetILNS1_3genE9ELNS1_11target_archE1100ELNS1_3gpuE3ELNS1_3repE0EEENS1_38merge_mergepath_config_static_selectorELNS0_4arch9wavefront6targetE1EEEvSK_,comdat
.Lfunc_end2823:
	.size	_ZN7rocprim17ROCPRIM_400000_NS6detail17trampoline_kernelINS0_14default_configENS1_38merge_sort_block_merge_config_selectorIaNS0_10empty_typeEEEZZNS1_27merge_sort_block_merge_implIS3_N6thrust23THRUST_200600_302600_NS6detail15normal_iteratorINS9_10device_ptrIaEEEEPS5_m14custom_greaterIaEEE10hipError_tT0_T1_T2_jT3_P12ihipStream_tbPNSt15iterator_traitsISJ_E10value_typeEPNSP_ISK_E10value_typeEPSL_NS1_7vsmem_tEENKUlT_SJ_SK_SL_E_clISE_PaSF_SF_EESI_SY_SJ_SK_SL_EUlSY_E0_NS1_11comp_targetILNS1_3genE9ELNS1_11target_archE1100ELNS1_3gpuE3ELNS1_3repE0EEENS1_38merge_mergepath_config_static_selectorELNS0_4arch9wavefront6targetE1EEEvSK_, .Lfunc_end2823-_ZN7rocprim17ROCPRIM_400000_NS6detail17trampoline_kernelINS0_14default_configENS1_38merge_sort_block_merge_config_selectorIaNS0_10empty_typeEEEZZNS1_27merge_sort_block_merge_implIS3_N6thrust23THRUST_200600_302600_NS6detail15normal_iteratorINS9_10device_ptrIaEEEEPS5_m14custom_greaterIaEEE10hipError_tT0_T1_T2_jT3_P12ihipStream_tbPNSt15iterator_traitsISJ_E10value_typeEPNSP_ISK_E10value_typeEPSL_NS1_7vsmem_tEENKUlT_SJ_SK_SL_E_clISE_PaSF_SF_EESI_SY_SJ_SK_SL_EUlSY_E0_NS1_11comp_targetILNS1_3genE9ELNS1_11target_archE1100ELNS1_3gpuE3ELNS1_3repE0EEENS1_38merge_mergepath_config_static_selectorELNS0_4arch9wavefront6targetE1EEEvSK_
                                        ; -- End function
	.section	.AMDGPU.csdata,"",@progbits
; Kernel info:
; codeLenInByte = 0
; NumSgprs: 4
; NumVgprs: 0
; NumAgprs: 0
; TotalNumVgprs: 0
; ScratchSize: 0
; MemoryBound: 0
; FloatMode: 240
; IeeeMode: 1
; LDSByteSize: 0 bytes/workgroup (compile time only)
; SGPRBlocks: 0
; VGPRBlocks: 0
; NumSGPRsForWavesPerEU: 4
; NumVGPRsForWavesPerEU: 1
; AccumOffset: 4
; Occupancy: 8
; WaveLimiterHint : 0
; COMPUTE_PGM_RSRC2:SCRATCH_EN: 0
; COMPUTE_PGM_RSRC2:USER_SGPR: 6
; COMPUTE_PGM_RSRC2:TRAP_HANDLER: 0
; COMPUTE_PGM_RSRC2:TGID_X_EN: 1
; COMPUTE_PGM_RSRC2:TGID_Y_EN: 0
; COMPUTE_PGM_RSRC2:TGID_Z_EN: 0
; COMPUTE_PGM_RSRC2:TIDIG_COMP_CNT: 0
; COMPUTE_PGM_RSRC3_GFX90A:ACCUM_OFFSET: 0
; COMPUTE_PGM_RSRC3_GFX90A:TG_SPLIT: 0
	.section	.text._ZN7rocprim17ROCPRIM_400000_NS6detail17trampoline_kernelINS0_14default_configENS1_38merge_sort_block_merge_config_selectorIaNS0_10empty_typeEEEZZNS1_27merge_sort_block_merge_implIS3_N6thrust23THRUST_200600_302600_NS6detail15normal_iteratorINS9_10device_ptrIaEEEEPS5_m14custom_greaterIaEEE10hipError_tT0_T1_T2_jT3_P12ihipStream_tbPNSt15iterator_traitsISJ_E10value_typeEPNSP_ISK_E10value_typeEPSL_NS1_7vsmem_tEENKUlT_SJ_SK_SL_E_clISE_PaSF_SF_EESI_SY_SJ_SK_SL_EUlSY_E0_NS1_11comp_targetILNS1_3genE8ELNS1_11target_archE1030ELNS1_3gpuE2ELNS1_3repE0EEENS1_38merge_mergepath_config_static_selectorELNS0_4arch9wavefront6targetE1EEEvSK_,"axG",@progbits,_ZN7rocprim17ROCPRIM_400000_NS6detail17trampoline_kernelINS0_14default_configENS1_38merge_sort_block_merge_config_selectorIaNS0_10empty_typeEEEZZNS1_27merge_sort_block_merge_implIS3_N6thrust23THRUST_200600_302600_NS6detail15normal_iteratorINS9_10device_ptrIaEEEEPS5_m14custom_greaterIaEEE10hipError_tT0_T1_T2_jT3_P12ihipStream_tbPNSt15iterator_traitsISJ_E10value_typeEPNSP_ISK_E10value_typeEPSL_NS1_7vsmem_tEENKUlT_SJ_SK_SL_E_clISE_PaSF_SF_EESI_SY_SJ_SK_SL_EUlSY_E0_NS1_11comp_targetILNS1_3genE8ELNS1_11target_archE1030ELNS1_3gpuE2ELNS1_3repE0EEENS1_38merge_mergepath_config_static_selectorELNS0_4arch9wavefront6targetE1EEEvSK_,comdat
	.protected	_ZN7rocprim17ROCPRIM_400000_NS6detail17trampoline_kernelINS0_14default_configENS1_38merge_sort_block_merge_config_selectorIaNS0_10empty_typeEEEZZNS1_27merge_sort_block_merge_implIS3_N6thrust23THRUST_200600_302600_NS6detail15normal_iteratorINS9_10device_ptrIaEEEEPS5_m14custom_greaterIaEEE10hipError_tT0_T1_T2_jT3_P12ihipStream_tbPNSt15iterator_traitsISJ_E10value_typeEPNSP_ISK_E10value_typeEPSL_NS1_7vsmem_tEENKUlT_SJ_SK_SL_E_clISE_PaSF_SF_EESI_SY_SJ_SK_SL_EUlSY_E0_NS1_11comp_targetILNS1_3genE8ELNS1_11target_archE1030ELNS1_3gpuE2ELNS1_3repE0EEENS1_38merge_mergepath_config_static_selectorELNS0_4arch9wavefront6targetE1EEEvSK_ ; -- Begin function _ZN7rocprim17ROCPRIM_400000_NS6detail17trampoline_kernelINS0_14default_configENS1_38merge_sort_block_merge_config_selectorIaNS0_10empty_typeEEEZZNS1_27merge_sort_block_merge_implIS3_N6thrust23THRUST_200600_302600_NS6detail15normal_iteratorINS9_10device_ptrIaEEEEPS5_m14custom_greaterIaEEE10hipError_tT0_T1_T2_jT3_P12ihipStream_tbPNSt15iterator_traitsISJ_E10value_typeEPNSP_ISK_E10value_typeEPSL_NS1_7vsmem_tEENKUlT_SJ_SK_SL_E_clISE_PaSF_SF_EESI_SY_SJ_SK_SL_EUlSY_E0_NS1_11comp_targetILNS1_3genE8ELNS1_11target_archE1030ELNS1_3gpuE2ELNS1_3repE0EEENS1_38merge_mergepath_config_static_selectorELNS0_4arch9wavefront6targetE1EEEvSK_
	.globl	_ZN7rocprim17ROCPRIM_400000_NS6detail17trampoline_kernelINS0_14default_configENS1_38merge_sort_block_merge_config_selectorIaNS0_10empty_typeEEEZZNS1_27merge_sort_block_merge_implIS3_N6thrust23THRUST_200600_302600_NS6detail15normal_iteratorINS9_10device_ptrIaEEEEPS5_m14custom_greaterIaEEE10hipError_tT0_T1_T2_jT3_P12ihipStream_tbPNSt15iterator_traitsISJ_E10value_typeEPNSP_ISK_E10value_typeEPSL_NS1_7vsmem_tEENKUlT_SJ_SK_SL_E_clISE_PaSF_SF_EESI_SY_SJ_SK_SL_EUlSY_E0_NS1_11comp_targetILNS1_3genE8ELNS1_11target_archE1030ELNS1_3gpuE2ELNS1_3repE0EEENS1_38merge_mergepath_config_static_selectorELNS0_4arch9wavefront6targetE1EEEvSK_
	.p2align	8
	.type	_ZN7rocprim17ROCPRIM_400000_NS6detail17trampoline_kernelINS0_14default_configENS1_38merge_sort_block_merge_config_selectorIaNS0_10empty_typeEEEZZNS1_27merge_sort_block_merge_implIS3_N6thrust23THRUST_200600_302600_NS6detail15normal_iteratorINS9_10device_ptrIaEEEEPS5_m14custom_greaterIaEEE10hipError_tT0_T1_T2_jT3_P12ihipStream_tbPNSt15iterator_traitsISJ_E10value_typeEPNSP_ISK_E10value_typeEPSL_NS1_7vsmem_tEENKUlT_SJ_SK_SL_E_clISE_PaSF_SF_EESI_SY_SJ_SK_SL_EUlSY_E0_NS1_11comp_targetILNS1_3genE8ELNS1_11target_archE1030ELNS1_3gpuE2ELNS1_3repE0EEENS1_38merge_mergepath_config_static_selectorELNS0_4arch9wavefront6targetE1EEEvSK_,@function
_ZN7rocprim17ROCPRIM_400000_NS6detail17trampoline_kernelINS0_14default_configENS1_38merge_sort_block_merge_config_selectorIaNS0_10empty_typeEEEZZNS1_27merge_sort_block_merge_implIS3_N6thrust23THRUST_200600_302600_NS6detail15normal_iteratorINS9_10device_ptrIaEEEEPS5_m14custom_greaterIaEEE10hipError_tT0_T1_T2_jT3_P12ihipStream_tbPNSt15iterator_traitsISJ_E10value_typeEPNSP_ISK_E10value_typeEPSL_NS1_7vsmem_tEENKUlT_SJ_SK_SL_E_clISE_PaSF_SF_EESI_SY_SJ_SK_SL_EUlSY_E0_NS1_11comp_targetILNS1_3genE8ELNS1_11target_archE1030ELNS1_3gpuE2ELNS1_3repE0EEENS1_38merge_mergepath_config_static_selectorELNS0_4arch9wavefront6targetE1EEEvSK_: ; @_ZN7rocprim17ROCPRIM_400000_NS6detail17trampoline_kernelINS0_14default_configENS1_38merge_sort_block_merge_config_selectorIaNS0_10empty_typeEEEZZNS1_27merge_sort_block_merge_implIS3_N6thrust23THRUST_200600_302600_NS6detail15normal_iteratorINS9_10device_ptrIaEEEEPS5_m14custom_greaterIaEEE10hipError_tT0_T1_T2_jT3_P12ihipStream_tbPNSt15iterator_traitsISJ_E10value_typeEPNSP_ISK_E10value_typeEPSL_NS1_7vsmem_tEENKUlT_SJ_SK_SL_E_clISE_PaSF_SF_EESI_SY_SJ_SK_SL_EUlSY_E0_NS1_11comp_targetILNS1_3genE8ELNS1_11target_archE1030ELNS1_3gpuE2ELNS1_3repE0EEENS1_38merge_mergepath_config_static_selectorELNS0_4arch9wavefront6targetE1EEEvSK_
; %bb.0:
	.section	.rodata,"a",@progbits
	.p2align	6, 0x0
	.amdhsa_kernel _ZN7rocprim17ROCPRIM_400000_NS6detail17trampoline_kernelINS0_14default_configENS1_38merge_sort_block_merge_config_selectorIaNS0_10empty_typeEEEZZNS1_27merge_sort_block_merge_implIS3_N6thrust23THRUST_200600_302600_NS6detail15normal_iteratorINS9_10device_ptrIaEEEEPS5_m14custom_greaterIaEEE10hipError_tT0_T1_T2_jT3_P12ihipStream_tbPNSt15iterator_traitsISJ_E10value_typeEPNSP_ISK_E10value_typeEPSL_NS1_7vsmem_tEENKUlT_SJ_SK_SL_E_clISE_PaSF_SF_EESI_SY_SJ_SK_SL_EUlSY_E0_NS1_11comp_targetILNS1_3genE8ELNS1_11target_archE1030ELNS1_3gpuE2ELNS1_3repE0EEENS1_38merge_mergepath_config_static_selectorELNS0_4arch9wavefront6targetE1EEEvSK_
		.amdhsa_group_segment_fixed_size 0
		.amdhsa_private_segment_fixed_size 0
		.amdhsa_kernarg_size 72
		.amdhsa_user_sgpr_count 6
		.amdhsa_user_sgpr_private_segment_buffer 1
		.amdhsa_user_sgpr_dispatch_ptr 0
		.amdhsa_user_sgpr_queue_ptr 0
		.amdhsa_user_sgpr_kernarg_segment_ptr 1
		.amdhsa_user_sgpr_dispatch_id 0
		.amdhsa_user_sgpr_flat_scratch_init 0
		.amdhsa_user_sgpr_kernarg_preload_length 0
		.amdhsa_user_sgpr_kernarg_preload_offset 0
		.amdhsa_user_sgpr_private_segment_size 0
		.amdhsa_uses_dynamic_stack 0
		.amdhsa_system_sgpr_private_segment_wavefront_offset 0
		.amdhsa_system_sgpr_workgroup_id_x 1
		.amdhsa_system_sgpr_workgroup_id_y 0
		.amdhsa_system_sgpr_workgroup_id_z 0
		.amdhsa_system_sgpr_workgroup_info 0
		.amdhsa_system_vgpr_workitem_id 0
		.amdhsa_next_free_vgpr 1
		.amdhsa_next_free_sgpr 0
		.amdhsa_accum_offset 4
		.amdhsa_reserve_vcc 0
		.amdhsa_reserve_flat_scratch 0
		.amdhsa_float_round_mode_32 0
		.amdhsa_float_round_mode_16_64 0
		.amdhsa_float_denorm_mode_32 3
		.amdhsa_float_denorm_mode_16_64 3
		.amdhsa_dx10_clamp 1
		.amdhsa_ieee_mode 1
		.amdhsa_fp16_overflow 0
		.amdhsa_tg_split 0
		.amdhsa_exception_fp_ieee_invalid_op 0
		.amdhsa_exception_fp_denorm_src 0
		.amdhsa_exception_fp_ieee_div_zero 0
		.amdhsa_exception_fp_ieee_overflow 0
		.amdhsa_exception_fp_ieee_underflow 0
		.amdhsa_exception_fp_ieee_inexact 0
		.amdhsa_exception_int_div_zero 0
	.end_amdhsa_kernel
	.section	.text._ZN7rocprim17ROCPRIM_400000_NS6detail17trampoline_kernelINS0_14default_configENS1_38merge_sort_block_merge_config_selectorIaNS0_10empty_typeEEEZZNS1_27merge_sort_block_merge_implIS3_N6thrust23THRUST_200600_302600_NS6detail15normal_iteratorINS9_10device_ptrIaEEEEPS5_m14custom_greaterIaEEE10hipError_tT0_T1_T2_jT3_P12ihipStream_tbPNSt15iterator_traitsISJ_E10value_typeEPNSP_ISK_E10value_typeEPSL_NS1_7vsmem_tEENKUlT_SJ_SK_SL_E_clISE_PaSF_SF_EESI_SY_SJ_SK_SL_EUlSY_E0_NS1_11comp_targetILNS1_3genE8ELNS1_11target_archE1030ELNS1_3gpuE2ELNS1_3repE0EEENS1_38merge_mergepath_config_static_selectorELNS0_4arch9wavefront6targetE1EEEvSK_,"axG",@progbits,_ZN7rocprim17ROCPRIM_400000_NS6detail17trampoline_kernelINS0_14default_configENS1_38merge_sort_block_merge_config_selectorIaNS0_10empty_typeEEEZZNS1_27merge_sort_block_merge_implIS3_N6thrust23THRUST_200600_302600_NS6detail15normal_iteratorINS9_10device_ptrIaEEEEPS5_m14custom_greaterIaEEE10hipError_tT0_T1_T2_jT3_P12ihipStream_tbPNSt15iterator_traitsISJ_E10value_typeEPNSP_ISK_E10value_typeEPSL_NS1_7vsmem_tEENKUlT_SJ_SK_SL_E_clISE_PaSF_SF_EESI_SY_SJ_SK_SL_EUlSY_E0_NS1_11comp_targetILNS1_3genE8ELNS1_11target_archE1030ELNS1_3gpuE2ELNS1_3repE0EEENS1_38merge_mergepath_config_static_selectorELNS0_4arch9wavefront6targetE1EEEvSK_,comdat
.Lfunc_end2824:
	.size	_ZN7rocprim17ROCPRIM_400000_NS6detail17trampoline_kernelINS0_14default_configENS1_38merge_sort_block_merge_config_selectorIaNS0_10empty_typeEEEZZNS1_27merge_sort_block_merge_implIS3_N6thrust23THRUST_200600_302600_NS6detail15normal_iteratorINS9_10device_ptrIaEEEEPS5_m14custom_greaterIaEEE10hipError_tT0_T1_T2_jT3_P12ihipStream_tbPNSt15iterator_traitsISJ_E10value_typeEPNSP_ISK_E10value_typeEPSL_NS1_7vsmem_tEENKUlT_SJ_SK_SL_E_clISE_PaSF_SF_EESI_SY_SJ_SK_SL_EUlSY_E0_NS1_11comp_targetILNS1_3genE8ELNS1_11target_archE1030ELNS1_3gpuE2ELNS1_3repE0EEENS1_38merge_mergepath_config_static_selectorELNS0_4arch9wavefront6targetE1EEEvSK_, .Lfunc_end2824-_ZN7rocprim17ROCPRIM_400000_NS6detail17trampoline_kernelINS0_14default_configENS1_38merge_sort_block_merge_config_selectorIaNS0_10empty_typeEEEZZNS1_27merge_sort_block_merge_implIS3_N6thrust23THRUST_200600_302600_NS6detail15normal_iteratorINS9_10device_ptrIaEEEEPS5_m14custom_greaterIaEEE10hipError_tT0_T1_T2_jT3_P12ihipStream_tbPNSt15iterator_traitsISJ_E10value_typeEPNSP_ISK_E10value_typeEPSL_NS1_7vsmem_tEENKUlT_SJ_SK_SL_E_clISE_PaSF_SF_EESI_SY_SJ_SK_SL_EUlSY_E0_NS1_11comp_targetILNS1_3genE8ELNS1_11target_archE1030ELNS1_3gpuE2ELNS1_3repE0EEENS1_38merge_mergepath_config_static_selectorELNS0_4arch9wavefront6targetE1EEEvSK_
                                        ; -- End function
	.section	.AMDGPU.csdata,"",@progbits
; Kernel info:
; codeLenInByte = 0
; NumSgprs: 4
; NumVgprs: 0
; NumAgprs: 0
; TotalNumVgprs: 0
; ScratchSize: 0
; MemoryBound: 0
; FloatMode: 240
; IeeeMode: 1
; LDSByteSize: 0 bytes/workgroup (compile time only)
; SGPRBlocks: 0
; VGPRBlocks: 0
; NumSGPRsForWavesPerEU: 4
; NumVGPRsForWavesPerEU: 1
; AccumOffset: 4
; Occupancy: 8
; WaveLimiterHint : 0
; COMPUTE_PGM_RSRC2:SCRATCH_EN: 0
; COMPUTE_PGM_RSRC2:USER_SGPR: 6
; COMPUTE_PGM_RSRC2:TRAP_HANDLER: 0
; COMPUTE_PGM_RSRC2:TGID_X_EN: 1
; COMPUTE_PGM_RSRC2:TGID_Y_EN: 0
; COMPUTE_PGM_RSRC2:TGID_Z_EN: 0
; COMPUTE_PGM_RSRC2:TIDIG_COMP_CNT: 0
; COMPUTE_PGM_RSRC3_GFX90A:ACCUM_OFFSET: 0
; COMPUTE_PGM_RSRC3_GFX90A:TG_SPLIT: 0
	.section	.text._ZN7rocprim17ROCPRIM_400000_NS6detail17trampoline_kernelINS0_14default_configENS1_38merge_sort_block_merge_config_selectorIaNS0_10empty_typeEEEZZNS1_27merge_sort_block_merge_implIS3_N6thrust23THRUST_200600_302600_NS6detail15normal_iteratorINS9_10device_ptrIaEEEEPS5_m14custom_greaterIaEEE10hipError_tT0_T1_T2_jT3_P12ihipStream_tbPNSt15iterator_traitsISJ_E10value_typeEPNSP_ISK_E10value_typeEPSL_NS1_7vsmem_tEENKUlT_SJ_SK_SL_E_clISE_PaSF_SF_EESI_SY_SJ_SK_SL_EUlSY_E1_NS1_11comp_targetILNS1_3genE0ELNS1_11target_archE4294967295ELNS1_3gpuE0ELNS1_3repE0EEENS1_36merge_oddeven_config_static_selectorELNS0_4arch9wavefront6targetE1EEEvSK_,"axG",@progbits,_ZN7rocprim17ROCPRIM_400000_NS6detail17trampoline_kernelINS0_14default_configENS1_38merge_sort_block_merge_config_selectorIaNS0_10empty_typeEEEZZNS1_27merge_sort_block_merge_implIS3_N6thrust23THRUST_200600_302600_NS6detail15normal_iteratorINS9_10device_ptrIaEEEEPS5_m14custom_greaterIaEEE10hipError_tT0_T1_T2_jT3_P12ihipStream_tbPNSt15iterator_traitsISJ_E10value_typeEPNSP_ISK_E10value_typeEPSL_NS1_7vsmem_tEENKUlT_SJ_SK_SL_E_clISE_PaSF_SF_EESI_SY_SJ_SK_SL_EUlSY_E1_NS1_11comp_targetILNS1_3genE0ELNS1_11target_archE4294967295ELNS1_3gpuE0ELNS1_3repE0EEENS1_36merge_oddeven_config_static_selectorELNS0_4arch9wavefront6targetE1EEEvSK_,comdat
	.protected	_ZN7rocprim17ROCPRIM_400000_NS6detail17trampoline_kernelINS0_14default_configENS1_38merge_sort_block_merge_config_selectorIaNS0_10empty_typeEEEZZNS1_27merge_sort_block_merge_implIS3_N6thrust23THRUST_200600_302600_NS6detail15normal_iteratorINS9_10device_ptrIaEEEEPS5_m14custom_greaterIaEEE10hipError_tT0_T1_T2_jT3_P12ihipStream_tbPNSt15iterator_traitsISJ_E10value_typeEPNSP_ISK_E10value_typeEPSL_NS1_7vsmem_tEENKUlT_SJ_SK_SL_E_clISE_PaSF_SF_EESI_SY_SJ_SK_SL_EUlSY_E1_NS1_11comp_targetILNS1_3genE0ELNS1_11target_archE4294967295ELNS1_3gpuE0ELNS1_3repE0EEENS1_36merge_oddeven_config_static_selectorELNS0_4arch9wavefront6targetE1EEEvSK_ ; -- Begin function _ZN7rocprim17ROCPRIM_400000_NS6detail17trampoline_kernelINS0_14default_configENS1_38merge_sort_block_merge_config_selectorIaNS0_10empty_typeEEEZZNS1_27merge_sort_block_merge_implIS3_N6thrust23THRUST_200600_302600_NS6detail15normal_iteratorINS9_10device_ptrIaEEEEPS5_m14custom_greaterIaEEE10hipError_tT0_T1_T2_jT3_P12ihipStream_tbPNSt15iterator_traitsISJ_E10value_typeEPNSP_ISK_E10value_typeEPSL_NS1_7vsmem_tEENKUlT_SJ_SK_SL_E_clISE_PaSF_SF_EESI_SY_SJ_SK_SL_EUlSY_E1_NS1_11comp_targetILNS1_3genE0ELNS1_11target_archE4294967295ELNS1_3gpuE0ELNS1_3repE0EEENS1_36merge_oddeven_config_static_selectorELNS0_4arch9wavefront6targetE1EEEvSK_
	.globl	_ZN7rocprim17ROCPRIM_400000_NS6detail17trampoline_kernelINS0_14default_configENS1_38merge_sort_block_merge_config_selectorIaNS0_10empty_typeEEEZZNS1_27merge_sort_block_merge_implIS3_N6thrust23THRUST_200600_302600_NS6detail15normal_iteratorINS9_10device_ptrIaEEEEPS5_m14custom_greaterIaEEE10hipError_tT0_T1_T2_jT3_P12ihipStream_tbPNSt15iterator_traitsISJ_E10value_typeEPNSP_ISK_E10value_typeEPSL_NS1_7vsmem_tEENKUlT_SJ_SK_SL_E_clISE_PaSF_SF_EESI_SY_SJ_SK_SL_EUlSY_E1_NS1_11comp_targetILNS1_3genE0ELNS1_11target_archE4294967295ELNS1_3gpuE0ELNS1_3repE0EEENS1_36merge_oddeven_config_static_selectorELNS0_4arch9wavefront6targetE1EEEvSK_
	.p2align	8
	.type	_ZN7rocprim17ROCPRIM_400000_NS6detail17trampoline_kernelINS0_14default_configENS1_38merge_sort_block_merge_config_selectorIaNS0_10empty_typeEEEZZNS1_27merge_sort_block_merge_implIS3_N6thrust23THRUST_200600_302600_NS6detail15normal_iteratorINS9_10device_ptrIaEEEEPS5_m14custom_greaterIaEEE10hipError_tT0_T1_T2_jT3_P12ihipStream_tbPNSt15iterator_traitsISJ_E10value_typeEPNSP_ISK_E10value_typeEPSL_NS1_7vsmem_tEENKUlT_SJ_SK_SL_E_clISE_PaSF_SF_EESI_SY_SJ_SK_SL_EUlSY_E1_NS1_11comp_targetILNS1_3genE0ELNS1_11target_archE4294967295ELNS1_3gpuE0ELNS1_3repE0EEENS1_36merge_oddeven_config_static_selectorELNS0_4arch9wavefront6targetE1EEEvSK_,@function
_ZN7rocprim17ROCPRIM_400000_NS6detail17trampoline_kernelINS0_14default_configENS1_38merge_sort_block_merge_config_selectorIaNS0_10empty_typeEEEZZNS1_27merge_sort_block_merge_implIS3_N6thrust23THRUST_200600_302600_NS6detail15normal_iteratorINS9_10device_ptrIaEEEEPS5_m14custom_greaterIaEEE10hipError_tT0_T1_T2_jT3_P12ihipStream_tbPNSt15iterator_traitsISJ_E10value_typeEPNSP_ISK_E10value_typeEPSL_NS1_7vsmem_tEENKUlT_SJ_SK_SL_E_clISE_PaSF_SF_EESI_SY_SJ_SK_SL_EUlSY_E1_NS1_11comp_targetILNS1_3genE0ELNS1_11target_archE4294967295ELNS1_3gpuE0ELNS1_3repE0EEENS1_36merge_oddeven_config_static_selectorELNS0_4arch9wavefront6targetE1EEEvSK_: ; @_ZN7rocprim17ROCPRIM_400000_NS6detail17trampoline_kernelINS0_14default_configENS1_38merge_sort_block_merge_config_selectorIaNS0_10empty_typeEEEZZNS1_27merge_sort_block_merge_implIS3_N6thrust23THRUST_200600_302600_NS6detail15normal_iteratorINS9_10device_ptrIaEEEEPS5_m14custom_greaterIaEEE10hipError_tT0_T1_T2_jT3_P12ihipStream_tbPNSt15iterator_traitsISJ_E10value_typeEPNSP_ISK_E10value_typeEPSL_NS1_7vsmem_tEENKUlT_SJ_SK_SL_E_clISE_PaSF_SF_EESI_SY_SJ_SK_SL_EUlSY_E1_NS1_11comp_targetILNS1_3genE0ELNS1_11target_archE4294967295ELNS1_3gpuE0ELNS1_3repE0EEENS1_36merge_oddeven_config_static_selectorELNS0_4arch9wavefront6targetE1EEEvSK_
; %bb.0:
	.section	.rodata,"a",@progbits
	.p2align	6, 0x0
	.amdhsa_kernel _ZN7rocprim17ROCPRIM_400000_NS6detail17trampoline_kernelINS0_14default_configENS1_38merge_sort_block_merge_config_selectorIaNS0_10empty_typeEEEZZNS1_27merge_sort_block_merge_implIS3_N6thrust23THRUST_200600_302600_NS6detail15normal_iteratorINS9_10device_ptrIaEEEEPS5_m14custom_greaterIaEEE10hipError_tT0_T1_T2_jT3_P12ihipStream_tbPNSt15iterator_traitsISJ_E10value_typeEPNSP_ISK_E10value_typeEPSL_NS1_7vsmem_tEENKUlT_SJ_SK_SL_E_clISE_PaSF_SF_EESI_SY_SJ_SK_SL_EUlSY_E1_NS1_11comp_targetILNS1_3genE0ELNS1_11target_archE4294967295ELNS1_3gpuE0ELNS1_3repE0EEENS1_36merge_oddeven_config_static_selectorELNS0_4arch9wavefront6targetE1EEEvSK_
		.amdhsa_group_segment_fixed_size 0
		.amdhsa_private_segment_fixed_size 0
		.amdhsa_kernarg_size 56
		.amdhsa_user_sgpr_count 6
		.amdhsa_user_sgpr_private_segment_buffer 1
		.amdhsa_user_sgpr_dispatch_ptr 0
		.amdhsa_user_sgpr_queue_ptr 0
		.amdhsa_user_sgpr_kernarg_segment_ptr 1
		.amdhsa_user_sgpr_dispatch_id 0
		.amdhsa_user_sgpr_flat_scratch_init 0
		.amdhsa_user_sgpr_kernarg_preload_length 0
		.amdhsa_user_sgpr_kernarg_preload_offset 0
		.amdhsa_user_sgpr_private_segment_size 0
		.amdhsa_uses_dynamic_stack 0
		.amdhsa_system_sgpr_private_segment_wavefront_offset 0
		.amdhsa_system_sgpr_workgroup_id_x 1
		.amdhsa_system_sgpr_workgroup_id_y 0
		.amdhsa_system_sgpr_workgroup_id_z 0
		.amdhsa_system_sgpr_workgroup_info 0
		.amdhsa_system_vgpr_workitem_id 0
		.amdhsa_next_free_vgpr 1
		.amdhsa_next_free_sgpr 0
		.amdhsa_accum_offset 4
		.amdhsa_reserve_vcc 0
		.amdhsa_reserve_flat_scratch 0
		.amdhsa_float_round_mode_32 0
		.amdhsa_float_round_mode_16_64 0
		.amdhsa_float_denorm_mode_32 3
		.amdhsa_float_denorm_mode_16_64 3
		.amdhsa_dx10_clamp 1
		.amdhsa_ieee_mode 1
		.amdhsa_fp16_overflow 0
		.amdhsa_tg_split 0
		.amdhsa_exception_fp_ieee_invalid_op 0
		.amdhsa_exception_fp_denorm_src 0
		.amdhsa_exception_fp_ieee_div_zero 0
		.amdhsa_exception_fp_ieee_overflow 0
		.amdhsa_exception_fp_ieee_underflow 0
		.amdhsa_exception_fp_ieee_inexact 0
		.amdhsa_exception_int_div_zero 0
	.end_amdhsa_kernel
	.section	.text._ZN7rocprim17ROCPRIM_400000_NS6detail17trampoline_kernelINS0_14default_configENS1_38merge_sort_block_merge_config_selectorIaNS0_10empty_typeEEEZZNS1_27merge_sort_block_merge_implIS3_N6thrust23THRUST_200600_302600_NS6detail15normal_iteratorINS9_10device_ptrIaEEEEPS5_m14custom_greaterIaEEE10hipError_tT0_T1_T2_jT3_P12ihipStream_tbPNSt15iterator_traitsISJ_E10value_typeEPNSP_ISK_E10value_typeEPSL_NS1_7vsmem_tEENKUlT_SJ_SK_SL_E_clISE_PaSF_SF_EESI_SY_SJ_SK_SL_EUlSY_E1_NS1_11comp_targetILNS1_3genE0ELNS1_11target_archE4294967295ELNS1_3gpuE0ELNS1_3repE0EEENS1_36merge_oddeven_config_static_selectorELNS0_4arch9wavefront6targetE1EEEvSK_,"axG",@progbits,_ZN7rocprim17ROCPRIM_400000_NS6detail17trampoline_kernelINS0_14default_configENS1_38merge_sort_block_merge_config_selectorIaNS0_10empty_typeEEEZZNS1_27merge_sort_block_merge_implIS3_N6thrust23THRUST_200600_302600_NS6detail15normal_iteratorINS9_10device_ptrIaEEEEPS5_m14custom_greaterIaEEE10hipError_tT0_T1_T2_jT3_P12ihipStream_tbPNSt15iterator_traitsISJ_E10value_typeEPNSP_ISK_E10value_typeEPSL_NS1_7vsmem_tEENKUlT_SJ_SK_SL_E_clISE_PaSF_SF_EESI_SY_SJ_SK_SL_EUlSY_E1_NS1_11comp_targetILNS1_3genE0ELNS1_11target_archE4294967295ELNS1_3gpuE0ELNS1_3repE0EEENS1_36merge_oddeven_config_static_selectorELNS0_4arch9wavefront6targetE1EEEvSK_,comdat
.Lfunc_end2825:
	.size	_ZN7rocprim17ROCPRIM_400000_NS6detail17trampoline_kernelINS0_14default_configENS1_38merge_sort_block_merge_config_selectorIaNS0_10empty_typeEEEZZNS1_27merge_sort_block_merge_implIS3_N6thrust23THRUST_200600_302600_NS6detail15normal_iteratorINS9_10device_ptrIaEEEEPS5_m14custom_greaterIaEEE10hipError_tT0_T1_T2_jT3_P12ihipStream_tbPNSt15iterator_traitsISJ_E10value_typeEPNSP_ISK_E10value_typeEPSL_NS1_7vsmem_tEENKUlT_SJ_SK_SL_E_clISE_PaSF_SF_EESI_SY_SJ_SK_SL_EUlSY_E1_NS1_11comp_targetILNS1_3genE0ELNS1_11target_archE4294967295ELNS1_3gpuE0ELNS1_3repE0EEENS1_36merge_oddeven_config_static_selectorELNS0_4arch9wavefront6targetE1EEEvSK_, .Lfunc_end2825-_ZN7rocprim17ROCPRIM_400000_NS6detail17trampoline_kernelINS0_14default_configENS1_38merge_sort_block_merge_config_selectorIaNS0_10empty_typeEEEZZNS1_27merge_sort_block_merge_implIS3_N6thrust23THRUST_200600_302600_NS6detail15normal_iteratorINS9_10device_ptrIaEEEEPS5_m14custom_greaterIaEEE10hipError_tT0_T1_T2_jT3_P12ihipStream_tbPNSt15iterator_traitsISJ_E10value_typeEPNSP_ISK_E10value_typeEPSL_NS1_7vsmem_tEENKUlT_SJ_SK_SL_E_clISE_PaSF_SF_EESI_SY_SJ_SK_SL_EUlSY_E1_NS1_11comp_targetILNS1_3genE0ELNS1_11target_archE4294967295ELNS1_3gpuE0ELNS1_3repE0EEENS1_36merge_oddeven_config_static_selectorELNS0_4arch9wavefront6targetE1EEEvSK_
                                        ; -- End function
	.section	.AMDGPU.csdata,"",@progbits
; Kernel info:
; codeLenInByte = 0
; NumSgprs: 4
; NumVgprs: 0
; NumAgprs: 0
; TotalNumVgprs: 0
; ScratchSize: 0
; MemoryBound: 0
; FloatMode: 240
; IeeeMode: 1
; LDSByteSize: 0 bytes/workgroup (compile time only)
; SGPRBlocks: 0
; VGPRBlocks: 0
; NumSGPRsForWavesPerEU: 4
; NumVGPRsForWavesPerEU: 1
; AccumOffset: 4
; Occupancy: 8
; WaveLimiterHint : 0
; COMPUTE_PGM_RSRC2:SCRATCH_EN: 0
; COMPUTE_PGM_RSRC2:USER_SGPR: 6
; COMPUTE_PGM_RSRC2:TRAP_HANDLER: 0
; COMPUTE_PGM_RSRC2:TGID_X_EN: 1
; COMPUTE_PGM_RSRC2:TGID_Y_EN: 0
; COMPUTE_PGM_RSRC2:TGID_Z_EN: 0
; COMPUTE_PGM_RSRC2:TIDIG_COMP_CNT: 0
; COMPUTE_PGM_RSRC3_GFX90A:ACCUM_OFFSET: 0
; COMPUTE_PGM_RSRC3_GFX90A:TG_SPLIT: 0
	.section	.text._ZN7rocprim17ROCPRIM_400000_NS6detail17trampoline_kernelINS0_14default_configENS1_38merge_sort_block_merge_config_selectorIaNS0_10empty_typeEEEZZNS1_27merge_sort_block_merge_implIS3_N6thrust23THRUST_200600_302600_NS6detail15normal_iteratorINS9_10device_ptrIaEEEEPS5_m14custom_greaterIaEEE10hipError_tT0_T1_T2_jT3_P12ihipStream_tbPNSt15iterator_traitsISJ_E10value_typeEPNSP_ISK_E10value_typeEPSL_NS1_7vsmem_tEENKUlT_SJ_SK_SL_E_clISE_PaSF_SF_EESI_SY_SJ_SK_SL_EUlSY_E1_NS1_11comp_targetILNS1_3genE10ELNS1_11target_archE1201ELNS1_3gpuE5ELNS1_3repE0EEENS1_36merge_oddeven_config_static_selectorELNS0_4arch9wavefront6targetE1EEEvSK_,"axG",@progbits,_ZN7rocprim17ROCPRIM_400000_NS6detail17trampoline_kernelINS0_14default_configENS1_38merge_sort_block_merge_config_selectorIaNS0_10empty_typeEEEZZNS1_27merge_sort_block_merge_implIS3_N6thrust23THRUST_200600_302600_NS6detail15normal_iteratorINS9_10device_ptrIaEEEEPS5_m14custom_greaterIaEEE10hipError_tT0_T1_T2_jT3_P12ihipStream_tbPNSt15iterator_traitsISJ_E10value_typeEPNSP_ISK_E10value_typeEPSL_NS1_7vsmem_tEENKUlT_SJ_SK_SL_E_clISE_PaSF_SF_EESI_SY_SJ_SK_SL_EUlSY_E1_NS1_11comp_targetILNS1_3genE10ELNS1_11target_archE1201ELNS1_3gpuE5ELNS1_3repE0EEENS1_36merge_oddeven_config_static_selectorELNS0_4arch9wavefront6targetE1EEEvSK_,comdat
	.protected	_ZN7rocprim17ROCPRIM_400000_NS6detail17trampoline_kernelINS0_14default_configENS1_38merge_sort_block_merge_config_selectorIaNS0_10empty_typeEEEZZNS1_27merge_sort_block_merge_implIS3_N6thrust23THRUST_200600_302600_NS6detail15normal_iteratorINS9_10device_ptrIaEEEEPS5_m14custom_greaterIaEEE10hipError_tT0_T1_T2_jT3_P12ihipStream_tbPNSt15iterator_traitsISJ_E10value_typeEPNSP_ISK_E10value_typeEPSL_NS1_7vsmem_tEENKUlT_SJ_SK_SL_E_clISE_PaSF_SF_EESI_SY_SJ_SK_SL_EUlSY_E1_NS1_11comp_targetILNS1_3genE10ELNS1_11target_archE1201ELNS1_3gpuE5ELNS1_3repE0EEENS1_36merge_oddeven_config_static_selectorELNS0_4arch9wavefront6targetE1EEEvSK_ ; -- Begin function _ZN7rocprim17ROCPRIM_400000_NS6detail17trampoline_kernelINS0_14default_configENS1_38merge_sort_block_merge_config_selectorIaNS0_10empty_typeEEEZZNS1_27merge_sort_block_merge_implIS3_N6thrust23THRUST_200600_302600_NS6detail15normal_iteratorINS9_10device_ptrIaEEEEPS5_m14custom_greaterIaEEE10hipError_tT0_T1_T2_jT3_P12ihipStream_tbPNSt15iterator_traitsISJ_E10value_typeEPNSP_ISK_E10value_typeEPSL_NS1_7vsmem_tEENKUlT_SJ_SK_SL_E_clISE_PaSF_SF_EESI_SY_SJ_SK_SL_EUlSY_E1_NS1_11comp_targetILNS1_3genE10ELNS1_11target_archE1201ELNS1_3gpuE5ELNS1_3repE0EEENS1_36merge_oddeven_config_static_selectorELNS0_4arch9wavefront6targetE1EEEvSK_
	.globl	_ZN7rocprim17ROCPRIM_400000_NS6detail17trampoline_kernelINS0_14default_configENS1_38merge_sort_block_merge_config_selectorIaNS0_10empty_typeEEEZZNS1_27merge_sort_block_merge_implIS3_N6thrust23THRUST_200600_302600_NS6detail15normal_iteratorINS9_10device_ptrIaEEEEPS5_m14custom_greaterIaEEE10hipError_tT0_T1_T2_jT3_P12ihipStream_tbPNSt15iterator_traitsISJ_E10value_typeEPNSP_ISK_E10value_typeEPSL_NS1_7vsmem_tEENKUlT_SJ_SK_SL_E_clISE_PaSF_SF_EESI_SY_SJ_SK_SL_EUlSY_E1_NS1_11comp_targetILNS1_3genE10ELNS1_11target_archE1201ELNS1_3gpuE5ELNS1_3repE0EEENS1_36merge_oddeven_config_static_selectorELNS0_4arch9wavefront6targetE1EEEvSK_
	.p2align	8
	.type	_ZN7rocprim17ROCPRIM_400000_NS6detail17trampoline_kernelINS0_14default_configENS1_38merge_sort_block_merge_config_selectorIaNS0_10empty_typeEEEZZNS1_27merge_sort_block_merge_implIS3_N6thrust23THRUST_200600_302600_NS6detail15normal_iteratorINS9_10device_ptrIaEEEEPS5_m14custom_greaterIaEEE10hipError_tT0_T1_T2_jT3_P12ihipStream_tbPNSt15iterator_traitsISJ_E10value_typeEPNSP_ISK_E10value_typeEPSL_NS1_7vsmem_tEENKUlT_SJ_SK_SL_E_clISE_PaSF_SF_EESI_SY_SJ_SK_SL_EUlSY_E1_NS1_11comp_targetILNS1_3genE10ELNS1_11target_archE1201ELNS1_3gpuE5ELNS1_3repE0EEENS1_36merge_oddeven_config_static_selectorELNS0_4arch9wavefront6targetE1EEEvSK_,@function
_ZN7rocprim17ROCPRIM_400000_NS6detail17trampoline_kernelINS0_14default_configENS1_38merge_sort_block_merge_config_selectorIaNS0_10empty_typeEEEZZNS1_27merge_sort_block_merge_implIS3_N6thrust23THRUST_200600_302600_NS6detail15normal_iteratorINS9_10device_ptrIaEEEEPS5_m14custom_greaterIaEEE10hipError_tT0_T1_T2_jT3_P12ihipStream_tbPNSt15iterator_traitsISJ_E10value_typeEPNSP_ISK_E10value_typeEPSL_NS1_7vsmem_tEENKUlT_SJ_SK_SL_E_clISE_PaSF_SF_EESI_SY_SJ_SK_SL_EUlSY_E1_NS1_11comp_targetILNS1_3genE10ELNS1_11target_archE1201ELNS1_3gpuE5ELNS1_3repE0EEENS1_36merge_oddeven_config_static_selectorELNS0_4arch9wavefront6targetE1EEEvSK_: ; @_ZN7rocprim17ROCPRIM_400000_NS6detail17trampoline_kernelINS0_14default_configENS1_38merge_sort_block_merge_config_selectorIaNS0_10empty_typeEEEZZNS1_27merge_sort_block_merge_implIS3_N6thrust23THRUST_200600_302600_NS6detail15normal_iteratorINS9_10device_ptrIaEEEEPS5_m14custom_greaterIaEEE10hipError_tT0_T1_T2_jT3_P12ihipStream_tbPNSt15iterator_traitsISJ_E10value_typeEPNSP_ISK_E10value_typeEPSL_NS1_7vsmem_tEENKUlT_SJ_SK_SL_E_clISE_PaSF_SF_EESI_SY_SJ_SK_SL_EUlSY_E1_NS1_11comp_targetILNS1_3genE10ELNS1_11target_archE1201ELNS1_3gpuE5ELNS1_3repE0EEENS1_36merge_oddeven_config_static_selectorELNS0_4arch9wavefront6targetE1EEEvSK_
; %bb.0:
	.section	.rodata,"a",@progbits
	.p2align	6, 0x0
	.amdhsa_kernel _ZN7rocprim17ROCPRIM_400000_NS6detail17trampoline_kernelINS0_14default_configENS1_38merge_sort_block_merge_config_selectorIaNS0_10empty_typeEEEZZNS1_27merge_sort_block_merge_implIS3_N6thrust23THRUST_200600_302600_NS6detail15normal_iteratorINS9_10device_ptrIaEEEEPS5_m14custom_greaterIaEEE10hipError_tT0_T1_T2_jT3_P12ihipStream_tbPNSt15iterator_traitsISJ_E10value_typeEPNSP_ISK_E10value_typeEPSL_NS1_7vsmem_tEENKUlT_SJ_SK_SL_E_clISE_PaSF_SF_EESI_SY_SJ_SK_SL_EUlSY_E1_NS1_11comp_targetILNS1_3genE10ELNS1_11target_archE1201ELNS1_3gpuE5ELNS1_3repE0EEENS1_36merge_oddeven_config_static_selectorELNS0_4arch9wavefront6targetE1EEEvSK_
		.amdhsa_group_segment_fixed_size 0
		.amdhsa_private_segment_fixed_size 0
		.amdhsa_kernarg_size 56
		.amdhsa_user_sgpr_count 6
		.amdhsa_user_sgpr_private_segment_buffer 1
		.amdhsa_user_sgpr_dispatch_ptr 0
		.amdhsa_user_sgpr_queue_ptr 0
		.amdhsa_user_sgpr_kernarg_segment_ptr 1
		.amdhsa_user_sgpr_dispatch_id 0
		.amdhsa_user_sgpr_flat_scratch_init 0
		.amdhsa_user_sgpr_kernarg_preload_length 0
		.amdhsa_user_sgpr_kernarg_preload_offset 0
		.amdhsa_user_sgpr_private_segment_size 0
		.amdhsa_uses_dynamic_stack 0
		.amdhsa_system_sgpr_private_segment_wavefront_offset 0
		.amdhsa_system_sgpr_workgroup_id_x 1
		.amdhsa_system_sgpr_workgroup_id_y 0
		.amdhsa_system_sgpr_workgroup_id_z 0
		.amdhsa_system_sgpr_workgroup_info 0
		.amdhsa_system_vgpr_workitem_id 0
		.amdhsa_next_free_vgpr 1
		.amdhsa_next_free_sgpr 0
		.amdhsa_accum_offset 4
		.amdhsa_reserve_vcc 0
		.amdhsa_reserve_flat_scratch 0
		.amdhsa_float_round_mode_32 0
		.amdhsa_float_round_mode_16_64 0
		.amdhsa_float_denorm_mode_32 3
		.amdhsa_float_denorm_mode_16_64 3
		.amdhsa_dx10_clamp 1
		.amdhsa_ieee_mode 1
		.amdhsa_fp16_overflow 0
		.amdhsa_tg_split 0
		.amdhsa_exception_fp_ieee_invalid_op 0
		.amdhsa_exception_fp_denorm_src 0
		.amdhsa_exception_fp_ieee_div_zero 0
		.amdhsa_exception_fp_ieee_overflow 0
		.amdhsa_exception_fp_ieee_underflow 0
		.amdhsa_exception_fp_ieee_inexact 0
		.amdhsa_exception_int_div_zero 0
	.end_amdhsa_kernel
	.section	.text._ZN7rocprim17ROCPRIM_400000_NS6detail17trampoline_kernelINS0_14default_configENS1_38merge_sort_block_merge_config_selectorIaNS0_10empty_typeEEEZZNS1_27merge_sort_block_merge_implIS3_N6thrust23THRUST_200600_302600_NS6detail15normal_iteratorINS9_10device_ptrIaEEEEPS5_m14custom_greaterIaEEE10hipError_tT0_T1_T2_jT3_P12ihipStream_tbPNSt15iterator_traitsISJ_E10value_typeEPNSP_ISK_E10value_typeEPSL_NS1_7vsmem_tEENKUlT_SJ_SK_SL_E_clISE_PaSF_SF_EESI_SY_SJ_SK_SL_EUlSY_E1_NS1_11comp_targetILNS1_3genE10ELNS1_11target_archE1201ELNS1_3gpuE5ELNS1_3repE0EEENS1_36merge_oddeven_config_static_selectorELNS0_4arch9wavefront6targetE1EEEvSK_,"axG",@progbits,_ZN7rocprim17ROCPRIM_400000_NS6detail17trampoline_kernelINS0_14default_configENS1_38merge_sort_block_merge_config_selectorIaNS0_10empty_typeEEEZZNS1_27merge_sort_block_merge_implIS3_N6thrust23THRUST_200600_302600_NS6detail15normal_iteratorINS9_10device_ptrIaEEEEPS5_m14custom_greaterIaEEE10hipError_tT0_T1_T2_jT3_P12ihipStream_tbPNSt15iterator_traitsISJ_E10value_typeEPNSP_ISK_E10value_typeEPSL_NS1_7vsmem_tEENKUlT_SJ_SK_SL_E_clISE_PaSF_SF_EESI_SY_SJ_SK_SL_EUlSY_E1_NS1_11comp_targetILNS1_3genE10ELNS1_11target_archE1201ELNS1_3gpuE5ELNS1_3repE0EEENS1_36merge_oddeven_config_static_selectorELNS0_4arch9wavefront6targetE1EEEvSK_,comdat
.Lfunc_end2826:
	.size	_ZN7rocprim17ROCPRIM_400000_NS6detail17trampoline_kernelINS0_14default_configENS1_38merge_sort_block_merge_config_selectorIaNS0_10empty_typeEEEZZNS1_27merge_sort_block_merge_implIS3_N6thrust23THRUST_200600_302600_NS6detail15normal_iteratorINS9_10device_ptrIaEEEEPS5_m14custom_greaterIaEEE10hipError_tT0_T1_T2_jT3_P12ihipStream_tbPNSt15iterator_traitsISJ_E10value_typeEPNSP_ISK_E10value_typeEPSL_NS1_7vsmem_tEENKUlT_SJ_SK_SL_E_clISE_PaSF_SF_EESI_SY_SJ_SK_SL_EUlSY_E1_NS1_11comp_targetILNS1_3genE10ELNS1_11target_archE1201ELNS1_3gpuE5ELNS1_3repE0EEENS1_36merge_oddeven_config_static_selectorELNS0_4arch9wavefront6targetE1EEEvSK_, .Lfunc_end2826-_ZN7rocprim17ROCPRIM_400000_NS6detail17trampoline_kernelINS0_14default_configENS1_38merge_sort_block_merge_config_selectorIaNS0_10empty_typeEEEZZNS1_27merge_sort_block_merge_implIS3_N6thrust23THRUST_200600_302600_NS6detail15normal_iteratorINS9_10device_ptrIaEEEEPS5_m14custom_greaterIaEEE10hipError_tT0_T1_T2_jT3_P12ihipStream_tbPNSt15iterator_traitsISJ_E10value_typeEPNSP_ISK_E10value_typeEPSL_NS1_7vsmem_tEENKUlT_SJ_SK_SL_E_clISE_PaSF_SF_EESI_SY_SJ_SK_SL_EUlSY_E1_NS1_11comp_targetILNS1_3genE10ELNS1_11target_archE1201ELNS1_3gpuE5ELNS1_3repE0EEENS1_36merge_oddeven_config_static_selectorELNS0_4arch9wavefront6targetE1EEEvSK_
                                        ; -- End function
	.section	.AMDGPU.csdata,"",@progbits
; Kernel info:
; codeLenInByte = 0
; NumSgprs: 4
; NumVgprs: 0
; NumAgprs: 0
; TotalNumVgprs: 0
; ScratchSize: 0
; MemoryBound: 0
; FloatMode: 240
; IeeeMode: 1
; LDSByteSize: 0 bytes/workgroup (compile time only)
; SGPRBlocks: 0
; VGPRBlocks: 0
; NumSGPRsForWavesPerEU: 4
; NumVGPRsForWavesPerEU: 1
; AccumOffset: 4
; Occupancy: 8
; WaveLimiterHint : 0
; COMPUTE_PGM_RSRC2:SCRATCH_EN: 0
; COMPUTE_PGM_RSRC2:USER_SGPR: 6
; COMPUTE_PGM_RSRC2:TRAP_HANDLER: 0
; COMPUTE_PGM_RSRC2:TGID_X_EN: 1
; COMPUTE_PGM_RSRC2:TGID_Y_EN: 0
; COMPUTE_PGM_RSRC2:TGID_Z_EN: 0
; COMPUTE_PGM_RSRC2:TIDIG_COMP_CNT: 0
; COMPUTE_PGM_RSRC3_GFX90A:ACCUM_OFFSET: 0
; COMPUTE_PGM_RSRC3_GFX90A:TG_SPLIT: 0
	.section	.text._ZN7rocprim17ROCPRIM_400000_NS6detail17trampoline_kernelINS0_14default_configENS1_38merge_sort_block_merge_config_selectorIaNS0_10empty_typeEEEZZNS1_27merge_sort_block_merge_implIS3_N6thrust23THRUST_200600_302600_NS6detail15normal_iteratorINS9_10device_ptrIaEEEEPS5_m14custom_greaterIaEEE10hipError_tT0_T1_T2_jT3_P12ihipStream_tbPNSt15iterator_traitsISJ_E10value_typeEPNSP_ISK_E10value_typeEPSL_NS1_7vsmem_tEENKUlT_SJ_SK_SL_E_clISE_PaSF_SF_EESI_SY_SJ_SK_SL_EUlSY_E1_NS1_11comp_targetILNS1_3genE5ELNS1_11target_archE942ELNS1_3gpuE9ELNS1_3repE0EEENS1_36merge_oddeven_config_static_selectorELNS0_4arch9wavefront6targetE1EEEvSK_,"axG",@progbits,_ZN7rocprim17ROCPRIM_400000_NS6detail17trampoline_kernelINS0_14default_configENS1_38merge_sort_block_merge_config_selectorIaNS0_10empty_typeEEEZZNS1_27merge_sort_block_merge_implIS3_N6thrust23THRUST_200600_302600_NS6detail15normal_iteratorINS9_10device_ptrIaEEEEPS5_m14custom_greaterIaEEE10hipError_tT0_T1_T2_jT3_P12ihipStream_tbPNSt15iterator_traitsISJ_E10value_typeEPNSP_ISK_E10value_typeEPSL_NS1_7vsmem_tEENKUlT_SJ_SK_SL_E_clISE_PaSF_SF_EESI_SY_SJ_SK_SL_EUlSY_E1_NS1_11comp_targetILNS1_3genE5ELNS1_11target_archE942ELNS1_3gpuE9ELNS1_3repE0EEENS1_36merge_oddeven_config_static_selectorELNS0_4arch9wavefront6targetE1EEEvSK_,comdat
	.protected	_ZN7rocprim17ROCPRIM_400000_NS6detail17trampoline_kernelINS0_14default_configENS1_38merge_sort_block_merge_config_selectorIaNS0_10empty_typeEEEZZNS1_27merge_sort_block_merge_implIS3_N6thrust23THRUST_200600_302600_NS6detail15normal_iteratorINS9_10device_ptrIaEEEEPS5_m14custom_greaterIaEEE10hipError_tT0_T1_T2_jT3_P12ihipStream_tbPNSt15iterator_traitsISJ_E10value_typeEPNSP_ISK_E10value_typeEPSL_NS1_7vsmem_tEENKUlT_SJ_SK_SL_E_clISE_PaSF_SF_EESI_SY_SJ_SK_SL_EUlSY_E1_NS1_11comp_targetILNS1_3genE5ELNS1_11target_archE942ELNS1_3gpuE9ELNS1_3repE0EEENS1_36merge_oddeven_config_static_selectorELNS0_4arch9wavefront6targetE1EEEvSK_ ; -- Begin function _ZN7rocprim17ROCPRIM_400000_NS6detail17trampoline_kernelINS0_14default_configENS1_38merge_sort_block_merge_config_selectorIaNS0_10empty_typeEEEZZNS1_27merge_sort_block_merge_implIS3_N6thrust23THRUST_200600_302600_NS6detail15normal_iteratorINS9_10device_ptrIaEEEEPS5_m14custom_greaterIaEEE10hipError_tT0_T1_T2_jT3_P12ihipStream_tbPNSt15iterator_traitsISJ_E10value_typeEPNSP_ISK_E10value_typeEPSL_NS1_7vsmem_tEENKUlT_SJ_SK_SL_E_clISE_PaSF_SF_EESI_SY_SJ_SK_SL_EUlSY_E1_NS1_11comp_targetILNS1_3genE5ELNS1_11target_archE942ELNS1_3gpuE9ELNS1_3repE0EEENS1_36merge_oddeven_config_static_selectorELNS0_4arch9wavefront6targetE1EEEvSK_
	.globl	_ZN7rocprim17ROCPRIM_400000_NS6detail17trampoline_kernelINS0_14default_configENS1_38merge_sort_block_merge_config_selectorIaNS0_10empty_typeEEEZZNS1_27merge_sort_block_merge_implIS3_N6thrust23THRUST_200600_302600_NS6detail15normal_iteratorINS9_10device_ptrIaEEEEPS5_m14custom_greaterIaEEE10hipError_tT0_T1_T2_jT3_P12ihipStream_tbPNSt15iterator_traitsISJ_E10value_typeEPNSP_ISK_E10value_typeEPSL_NS1_7vsmem_tEENKUlT_SJ_SK_SL_E_clISE_PaSF_SF_EESI_SY_SJ_SK_SL_EUlSY_E1_NS1_11comp_targetILNS1_3genE5ELNS1_11target_archE942ELNS1_3gpuE9ELNS1_3repE0EEENS1_36merge_oddeven_config_static_selectorELNS0_4arch9wavefront6targetE1EEEvSK_
	.p2align	8
	.type	_ZN7rocprim17ROCPRIM_400000_NS6detail17trampoline_kernelINS0_14default_configENS1_38merge_sort_block_merge_config_selectorIaNS0_10empty_typeEEEZZNS1_27merge_sort_block_merge_implIS3_N6thrust23THRUST_200600_302600_NS6detail15normal_iteratorINS9_10device_ptrIaEEEEPS5_m14custom_greaterIaEEE10hipError_tT0_T1_T2_jT3_P12ihipStream_tbPNSt15iterator_traitsISJ_E10value_typeEPNSP_ISK_E10value_typeEPSL_NS1_7vsmem_tEENKUlT_SJ_SK_SL_E_clISE_PaSF_SF_EESI_SY_SJ_SK_SL_EUlSY_E1_NS1_11comp_targetILNS1_3genE5ELNS1_11target_archE942ELNS1_3gpuE9ELNS1_3repE0EEENS1_36merge_oddeven_config_static_selectorELNS0_4arch9wavefront6targetE1EEEvSK_,@function
_ZN7rocprim17ROCPRIM_400000_NS6detail17trampoline_kernelINS0_14default_configENS1_38merge_sort_block_merge_config_selectorIaNS0_10empty_typeEEEZZNS1_27merge_sort_block_merge_implIS3_N6thrust23THRUST_200600_302600_NS6detail15normal_iteratorINS9_10device_ptrIaEEEEPS5_m14custom_greaterIaEEE10hipError_tT0_T1_T2_jT3_P12ihipStream_tbPNSt15iterator_traitsISJ_E10value_typeEPNSP_ISK_E10value_typeEPSL_NS1_7vsmem_tEENKUlT_SJ_SK_SL_E_clISE_PaSF_SF_EESI_SY_SJ_SK_SL_EUlSY_E1_NS1_11comp_targetILNS1_3genE5ELNS1_11target_archE942ELNS1_3gpuE9ELNS1_3repE0EEENS1_36merge_oddeven_config_static_selectorELNS0_4arch9wavefront6targetE1EEEvSK_: ; @_ZN7rocprim17ROCPRIM_400000_NS6detail17trampoline_kernelINS0_14default_configENS1_38merge_sort_block_merge_config_selectorIaNS0_10empty_typeEEEZZNS1_27merge_sort_block_merge_implIS3_N6thrust23THRUST_200600_302600_NS6detail15normal_iteratorINS9_10device_ptrIaEEEEPS5_m14custom_greaterIaEEE10hipError_tT0_T1_T2_jT3_P12ihipStream_tbPNSt15iterator_traitsISJ_E10value_typeEPNSP_ISK_E10value_typeEPSL_NS1_7vsmem_tEENKUlT_SJ_SK_SL_E_clISE_PaSF_SF_EESI_SY_SJ_SK_SL_EUlSY_E1_NS1_11comp_targetILNS1_3genE5ELNS1_11target_archE942ELNS1_3gpuE9ELNS1_3repE0EEENS1_36merge_oddeven_config_static_selectorELNS0_4arch9wavefront6targetE1EEEvSK_
; %bb.0:
	.section	.rodata,"a",@progbits
	.p2align	6, 0x0
	.amdhsa_kernel _ZN7rocprim17ROCPRIM_400000_NS6detail17trampoline_kernelINS0_14default_configENS1_38merge_sort_block_merge_config_selectorIaNS0_10empty_typeEEEZZNS1_27merge_sort_block_merge_implIS3_N6thrust23THRUST_200600_302600_NS6detail15normal_iteratorINS9_10device_ptrIaEEEEPS5_m14custom_greaterIaEEE10hipError_tT0_T1_T2_jT3_P12ihipStream_tbPNSt15iterator_traitsISJ_E10value_typeEPNSP_ISK_E10value_typeEPSL_NS1_7vsmem_tEENKUlT_SJ_SK_SL_E_clISE_PaSF_SF_EESI_SY_SJ_SK_SL_EUlSY_E1_NS1_11comp_targetILNS1_3genE5ELNS1_11target_archE942ELNS1_3gpuE9ELNS1_3repE0EEENS1_36merge_oddeven_config_static_selectorELNS0_4arch9wavefront6targetE1EEEvSK_
		.amdhsa_group_segment_fixed_size 0
		.amdhsa_private_segment_fixed_size 0
		.amdhsa_kernarg_size 56
		.amdhsa_user_sgpr_count 6
		.amdhsa_user_sgpr_private_segment_buffer 1
		.amdhsa_user_sgpr_dispatch_ptr 0
		.amdhsa_user_sgpr_queue_ptr 0
		.amdhsa_user_sgpr_kernarg_segment_ptr 1
		.amdhsa_user_sgpr_dispatch_id 0
		.amdhsa_user_sgpr_flat_scratch_init 0
		.amdhsa_user_sgpr_kernarg_preload_length 0
		.amdhsa_user_sgpr_kernarg_preload_offset 0
		.amdhsa_user_sgpr_private_segment_size 0
		.amdhsa_uses_dynamic_stack 0
		.amdhsa_system_sgpr_private_segment_wavefront_offset 0
		.amdhsa_system_sgpr_workgroup_id_x 1
		.amdhsa_system_sgpr_workgroup_id_y 0
		.amdhsa_system_sgpr_workgroup_id_z 0
		.amdhsa_system_sgpr_workgroup_info 0
		.amdhsa_system_vgpr_workitem_id 0
		.amdhsa_next_free_vgpr 1
		.amdhsa_next_free_sgpr 0
		.amdhsa_accum_offset 4
		.amdhsa_reserve_vcc 0
		.amdhsa_reserve_flat_scratch 0
		.amdhsa_float_round_mode_32 0
		.amdhsa_float_round_mode_16_64 0
		.amdhsa_float_denorm_mode_32 3
		.amdhsa_float_denorm_mode_16_64 3
		.amdhsa_dx10_clamp 1
		.amdhsa_ieee_mode 1
		.amdhsa_fp16_overflow 0
		.amdhsa_tg_split 0
		.amdhsa_exception_fp_ieee_invalid_op 0
		.amdhsa_exception_fp_denorm_src 0
		.amdhsa_exception_fp_ieee_div_zero 0
		.amdhsa_exception_fp_ieee_overflow 0
		.amdhsa_exception_fp_ieee_underflow 0
		.amdhsa_exception_fp_ieee_inexact 0
		.amdhsa_exception_int_div_zero 0
	.end_amdhsa_kernel
	.section	.text._ZN7rocprim17ROCPRIM_400000_NS6detail17trampoline_kernelINS0_14default_configENS1_38merge_sort_block_merge_config_selectorIaNS0_10empty_typeEEEZZNS1_27merge_sort_block_merge_implIS3_N6thrust23THRUST_200600_302600_NS6detail15normal_iteratorINS9_10device_ptrIaEEEEPS5_m14custom_greaterIaEEE10hipError_tT0_T1_T2_jT3_P12ihipStream_tbPNSt15iterator_traitsISJ_E10value_typeEPNSP_ISK_E10value_typeEPSL_NS1_7vsmem_tEENKUlT_SJ_SK_SL_E_clISE_PaSF_SF_EESI_SY_SJ_SK_SL_EUlSY_E1_NS1_11comp_targetILNS1_3genE5ELNS1_11target_archE942ELNS1_3gpuE9ELNS1_3repE0EEENS1_36merge_oddeven_config_static_selectorELNS0_4arch9wavefront6targetE1EEEvSK_,"axG",@progbits,_ZN7rocprim17ROCPRIM_400000_NS6detail17trampoline_kernelINS0_14default_configENS1_38merge_sort_block_merge_config_selectorIaNS0_10empty_typeEEEZZNS1_27merge_sort_block_merge_implIS3_N6thrust23THRUST_200600_302600_NS6detail15normal_iteratorINS9_10device_ptrIaEEEEPS5_m14custom_greaterIaEEE10hipError_tT0_T1_T2_jT3_P12ihipStream_tbPNSt15iterator_traitsISJ_E10value_typeEPNSP_ISK_E10value_typeEPSL_NS1_7vsmem_tEENKUlT_SJ_SK_SL_E_clISE_PaSF_SF_EESI_SY_SJ_SK_SL_EUlSY_E1_NS1_11comp_targetILNS1_3genE5ELNS1_11target_archE942ELNS1_3gpuE9ELNS1_3repE0EEENS1_36merge_oddeven_config_static_selectorELNS0_4arch9wavefront6targetE1EEEvSK_,comdat
.Lfunc_end2827:
	.size	_ZN7rocprim17ROCPRIM_400000_NS6detail17trampoline_kernelINS0_14default_configENS1_38merge_sort_block_merge_config_selectorIaNS0_10empty_typeEEEZZNS1_27merge_sort_block_merge_implIS3_N6thrust23THRUST_200600_302600_NS6detail15normal_iteratorINS9_10device_ptrIaEEEEPS5_m14custom_greaterIaEEE10hipError_tT0_T1_T2_jT3_P12ihipStream_tbPNSt15iterator_traitsISJ_E10value_typeEPNSP_ISK_E10value_typeEPSL_NS1_7vsmem_tEENKUlT_SJ_SK_SL_E_clISE_PaSF_SF_EESI_SY_SJ_SK_SL_EUlSY_E1_NS1_11comp_targetILNS1_3genE5ELNS1_11target_archE942ELNS1_3gpuE9ELNS1_3repE0EEENS1_36merge_oddeven_config_static_selectorELNS0_4arch9wavefront6targetE1EEEvSK_, .Lfunc_end2827-_ZN7rocprim17ROCPRIM_400000_NS6detail17trampoline_kernelINS0_14default_configENS1_38merge_sort_block_merge_config_selectorIaNS0_10empty_typeEEEZZNS1_27merge_sort_block_merge_implIS3_N6thrust23THRUST_200600_302600_NS6detail15normal_iteratorINS9_10device_ptrIaEEEEPS5_m14custom_greaterIaEEE10hipError_tT0_T1_T2_jT3_P12ihipStream_tbPNSt15iterator_traitsISJ_E10value_typeEPNSP_ISK_E10value_typeEPSL_NS1_7vsmem_tEENKUlT_SJ_SK_SL_E_clISE_PaSF_SF_EESI_SY_SJ_SK_SL_EUlSY_E1_NS1_11comp_targetILNS1_3genE5ELNS1_11target_archE942ELNS1_3gpuE9ELNS1_3repE0EEENS1_36merge_oddeven_config_static_selectorELNS0_4arch9wavefront6targetE1EEEvSK_
                                        ; -- End function
	.section	.AMDGPU.csdata,"",@progbits
; Kernel info:
; codeLenInByte = 0
; NumSgprs: 4
; NumVgprs: 0
; NumAgprs: 0
; TotalNumVgprs: 0
; ScratchSize: 0
; MemoryBound: 0
; FloatMode: 240
; IeeeMode: 1
; LDSByteSize: 0 bytes/workgroup (compile time only)
; SGPRBlocks: 0
; VGPRBlocks: 0
; NumSGPRsForWavesPerEU: 4
; NumVGPRsForWavesPerEU: 1
; AccumOffset: 4
; Occupancy: 8
; WaveLimiterHint : 0
; COMPUTE_PGM_RSRC2:SCRATCH_EN: 0
; COMPUTE_PGM_RSRC2:USER_SGPR: 6
; COMPUTE_PGM_RSRC2:TRAP_HANDLER: 0
; COMPUTE_PGM_RSRC2:TGID_X_EN: 1
; COMPUTE_PGM_RSRC2:TGID_Y_EN: 0
; COMPUTE_PGM_RSRC2:TGID_Z_EN: 0
; COMPUTE_PGM_RSRC2:TIDIG_COMP_CNT: 0
; COMPUTE_PGM_RSRC3_GFX90A:ACCUM_OFFSET: 0
; COMPUTE_PGM_RSRC3_GFX90A:TG_SPLIT: 0
	.section	.text._ZN7rocprim17ROCPRIM_400000_NS6detail17trampoline_kernelINS0_14default_configENS1_38merge_sort_block_merge_config_selectorIaNS0_10empty_typeEEEZZNS1_27merge_sort_block_merge_implIS3_N6thrust23THRUST_200600_302600_NS6detail15normal_iteratorINS9_10device_ptrIaEEEEPS5_m14custom_greaterIaEEE10hipError_tT0_T1_T2_jT3_P12ihipStream_tbPNSt15iterator_traitsISJ_E10value_typeEPNSP_ISK_E10value_typeEPSL_NS1_7vsmem_tEENKUlT_SJ_SK_SL_E_clISE_PaSF_SF_EESI_SY_SJ_SK_SL_EUlSY_E1_NS1_11comp_targetILNS1_3genE4ELNS1_11target_archE910ELNS1_3gpuE8ELNS1_3repE0EEENS1_36merge_oddeven_config_static_selectorELNS0_4arch9wavefront6targetE1EEEvSK_,"axG",@progbits,_ZN7rocprim17ROCPRIM_400000_NS6detail17trampoline_kernelINS0_14default_configENS1_38merge_sort_block_merge_config_selectorIaNS0_10empty_typeEEEZZNS1_27merge_sort_block_merge_implIS3_N6thrust23THRUST_200600_302600_NS6detail15normal_iteratorINS9_10device_ptrIaEEEEPS5_m14custom_greaterIaEEE10hipError_tT0_T1_T2_jT3_P12ihipStream_tbPNSt15iterator_traitsISJ_E10value_typeEPNSP_ISK_E10value_typeEPSL_NS1_7vsmem_tEENKUlT_SJ_SK_SL_E_clISE_PaSF_SF_EESI_SY_SJ_SK_SL_EUlSY_E1_NS1_11comp_targetILNS1_3genE4ELNS1_11target_archE910ELNS1_3gpuE8ELNS1_3repE0EEENS1_36merge_oddeven_config_static_selectorELNS0_4arch9wavefront6targetE1EEEvSK_,comdat
	.protected	_ZN7rocprim17ROCPRIM_400000_NS6detail17trampoline_kernelINS0_14default_configENS1_38merge_sort_block_merge_config_selectorIaNS0_10empty_typeEEEZZNS1_27merge_sort_block_merge_implIS3_N6thrust23THRUST_200600_302600_NS6detail15normal_iteratorINS9_10device_ptrIaEEEEPS5_m14custom_greaterIaEEE10hipError_tT0_T1_T2_jT3_P12ihipStream_tbPNSt15iterator_traitsISJ_E10value_typeEPNSP_ISK_E10value_typeEPSL_NS1_7vsmem_tEENKUlT_SJ_SK_SL_E_clISE_PaSF_SF_EESI_SY_SJ_SK_SL_EUlSY_E1_NS1_11comp_targetILNS1_3genE4ELNS1_11target_archE910ELNS1_3gpuE8ELNS1_3repE0EEENS1_36merge_oddeven_config_static_selectorELNS0_4arch9wavefront6targetE1EEEvSK_ ; -- Begin function _ZN7rocprim17ROCPRIM_400000_NS6detail17trampoline_kernelINS0_14default_configENS1_38merge_sort_block_merge_config_selectorIaNS0_10empty_typeEEEZZNS1_27merge_sort_block_merge_implIS3_N6thrust23THRUST_200600_302600_NS6detail15normal_iteratorINS9_10device_ptrIaEEEEPS5_m14custom_greaterIaEEE10hipError_tT0_T1_T2_jT3_P12ihipStream_tbPNSt15iterator_traitsISJ_E10value_typeEPNSP_ISK_E10value_typeEPSL_NS1_7vsmem_tEENKUlT_SJ_SK_SL_E_clISE_PaSF_SF_EESI_SY_SJ_SK_SL_EUlSY_E1_NS1_11comp_targetILNS1_3genE4ELNS1_11target_archE910ELNS1_3gpuE8ELNS1_3repE0EEENS1_36merge_oddeven_config_static_selectorELNS0_4arch9wavefront6targetE1EEEvSK_
	.globl	_ZN7rocprim17ROCPRIM_400000_NS6detail17trampoline_kernelINS0_14default_configENS1_38merge_sort_block_merge_config_selectorIaNS0_10empty_typeEEEZZNS1_27merge_sort_block_merge_implIS3_N6thrust23THRUST_200600_302600_NS6detail15normal_iteratorINS9_10device_ptrIaEEEEPS5_m14custom_greaterIaEEE10hipError_tT0_T1_T2_jT3_P12ihipStream_tbPNSt15iterator_traitsISJ_E10value_typeEPNSP_ISK_E10value_typeEPSL_NS1_7vsmem_tEENKUlT_SJ_SK_SL_E_clISE_PaSF_SF_EESI_SY_SJ_SK_SL_EUlSY_E1_NS1_11comp_targetILNS1_3genE4ELNS1_11target_archE910ELNS1_3gpuE8ELNS1_3repE0EEENS1_36merge_oddeven_config_static_selectorELNS0_4arch9wavefront6targetE1EEEvSK_
	.p2align	8
	.type	_ZN7rocprim17ROCPRIM_400000_NS6detail17trampoline_kernelINS0_14default_configENS1_38merge_sort_block_merge_config_selectorIaNS0_10empty_typeEEEZZNS1_27merge_sort_block_merge_implIS3_N6thrust23THRUST_200600_302600_NS6detail15normal_iteratorINS9_10device_ptrIaEEEEPS5_m14custom_greaterIaEEE10hipError_tT0_T1_T2_jT3_P12ihipStream_tbPNSt15iterator_traitsISJ_E10value_typeEPNSP_ISK_E10value_typeEPSL_NS1_7vsmem_tEENKUlT_SJ_SK_SL_E_clISE_PaSF_SF_EESI_SY_SJ_SK_SL_EUlSY_E1_NS1_11comp_targetILNS1_3genE4ELNS1_11target_archE910ELNS1_3gpuE8ELNS1_3repE0EEENS1_36merge_oddeven_config_static_selectorELNS0_4arch9wavefront6targetE1EEEvSK_,@function
_ZN7rocprim17ROCPRIM_400000_NS6detail17trampoline_kernelINS0_14default_configENS1_38merge_sort_block_merge_config_selectorIaNS0_10empty_typeEEEZZNS1_27merge_sort_block_merge_implIS3_N6thrust23THRUST_200600_302600_NS6detail15normal_iteratorINS9_10device_ptrIaEEEEPS5_m14custom_greaterIaEEE10hipError_tT0_T1_T2_jT3_P12ihipStream_tbPNSt15iterator_traitsISJ_E10value_typeEPNSP_ISK_E10value_typeEPSL_NS1_7vsmem_tEENKUlT_SJ_SK_SL_E_clISE_PaSF_SF_EESI_SY_SJ_SK_SL_EUlSY_E1_NS1_11comp_targetILNS1_3genE4ELNS1_11target_archE910ELNS1_3gpuE8ELNS1_3repE0EEENS1_36merge_oddeven_config_static_selectorELNS0_4arch9wavefront6targetE1EEEvSK_: ; @_ZN7rocprim17ROCPRIM_400000_NS6detail17trampoline_kernelINS0_14default_configENS1_38merge_sort_block_merge_config_selectorIaNS0_10empty_typeEEEZZNS1_27merge_sort_block_merge_implIS3_N6thrust23THRUST_200600_302600_NS6detail15normal_iteratorINS9_10device_ptrIaEEEEPS5_m14custom_greaterIaEEE10hipError_tT0_T1_T2_jT3_P12ihipStream_tbPNSt15iterator_traitsISJ_E10value_typeEPNSP_ISK_E10value_typeEPSL_NS1_7vsmem_tEENKUlT_SJ_SK_SL_E_clISE_PaSF_SF_EESI_SY_SJ_SK_SL_EUlSY_E1_NS1_11comp_targetILNS1_3genE4ELNS1_11target_archE910ELNS1_3gpuE8ELNS1_3repE0EEENS1_36merge_oddeven_config_static_selectorELNS0_4arch9wavefront6targetE1EEEvSK_
; %bb.0:
	s_load_dword s17, s[4:5], 0x20
	s_waitcnt lgkmcnt(0)
	s_lshr_b32 s0, s17, 8
	s_cmp_lg_u32 s6, s0
	s_cselect_b64 s[14:15], -1, 0
	s_cmp_eq_u32 s6, s0
	s_cselect_b64 s[12:13], -1, 0
	s_lshl_b32 s7, s6, 8
	s_sub_i32 s0, s17, s7
	v_cmp_gt_u32_e64 s[2:3], s0, v0
	s_or_b64 s[0:1], s[14:15], s[2:3]
	s_and_saveexec_b64 s[8:9], s[0:1]
	s_cbranch_execz .LBB2828_20
; %bb.1:
	s_load_dwordx4 s[8:11], s[4:5], 0x0
	s_load_dword s18, s[4:5], 0x28
	v_add_u32_e32 v2, s7, v0
	s_waitcnt lgkmcnt(0)
	s_add_u32 s0, s8, s7
	s_addc_u32 s1, s9, 0
	global_load_sbyte v1, v0, s[0:1]
	s_lshr_b32 s0, s18, 8
	s_sub_i32 s1, 0, s0
	s_and_b32 s1, s6, s1
	s_and_b32 s0, s1, s0
	s_lshl_b32 s19, s1, 8
	s_sub_i32 s6, 0, s18
	s_cmp_eq_u32 s0, 0
	s_cselect_b64 s[0:1], -1, 0
	s_and_b64 s[4:5], s[0:1], exec
	s_cselect_b32 s16, s18, s6
	s_add_i32 s16, s16, s19
	s_cmp_lt_u32 s16, s17
	s_cbranch_scc1 .LBB2828_3
; %bb.2:
	v_cmp_gt_u32_e32 vcc, s17, v2
	s_or_b64 s[4:5], vcc, s[14:15]
	s_and_b64 s[4:5], s[4:5], exec
	s_cbranch_execz .LBB2828_4
	s_branch .LBB2828_18
.LBB2828_3:
	s_mov_b64 s[4:5], 0
.LBB2828_4:
	s_min_u32 s14, s16, s17
	s_add_i32 s6, s14, s18
	s_min_u32 s15, s6, s17
	s_min_u32 s6, s19, s14
	s_add_i32 s19, s19, s14
	v_subrev_u32_e32 v0, s19, v2
	v_add_u32_e32 v0, s6, v0
	s_and_b64 vcc, exec, s[12:13]
	s_cbranch_vccz .LBB2828_12
; %bb.5:
                                        ; implicit-def: $vgpr2
	s_and_saveexec_b64 s[6:7], s[2:3]
	s_cbranch_execz .LBB2828_11
; %bb.6:
	s_cmp_ge_u32 s16, s15
	v_mov_b32_e32 v2, s14
	s_cbranch_scc1 .LBB2828_10
; %bb.7:
	s_mov_b64 s[2:3], 0
	v_mov_b32_e32 v3, s15
	v_mov_b32_e32 v2, s14
.LBB2828_8:                             ; =>This Inner Loop Header: Depth=1
	v_add_u32_e32 v4, v2, v3
	v_lshrrev_b32_e32 v4, 1, v4
	global_load_sbyte v5, v4, s[8:9]
	v_add_u32_e32 v6, 1, v4
	s_waitcnt vmcnt(0)
	v_cmp_gt_i16_e32 vcc, v1, v5
	v_cndmask_b32_e64 v7, 0, 1, vcc
	v_cmp_le_i16_e32 vcc, v5, v1
	v_cndmask_b32_e64 v5, 0, 1, vcc
	v_cndmask_b32_e64 v5, v5, v7, s[0:1]
	v_and_b32_e32 v5, 1, v5
	v_cmp_eq_u32_e32 vcc, 1, v5
	v_cndmask_b32_e32 v3, v4, v3, vcc
	v_cndmask_b32_e32 v2, v2, v6, vcc
	v_cmp_ge_u32_e32 vcc, v2, v3
	s_or_b64 s[2:3], vcc, s[2:3]
	s_andn2_b64 exec, exec, s[2:3]
	s_cbranch_execnz .LBB2828_8
; %bb.9:
	s_or_b64 exec, exec, s[2:3]
.LBB2828_10:
	v_add_u32_e32 v2, v2, v0
	s_or_b64 s[4:5], s[4:5], exec
.LBB2828_11:
	s_or_b64 exec, exec, s[6:7]
	s_branch .LBB2828_18
.LBB2828_12:
                                        ; implicit-def: $vgpr2
	s_cbranch_execz .LBB2828_18
; %bb.13:
	s_cmp_ge_u32 s16, s15
	v_mov_b32_e32 v2, s14
	s_cbranch_scc1 .LBB2828_17
; %bb.14:
	s_mov_b64 s[2:3], 0
	v_mov_b32_e32 v3, s15
	v_mov_b32_e32 v2, s14
.LBB2828_15:                            ; =>This Inner Loop Header: Depth=1
	v_add_u32_e32 v4, v2, v3
	v_lshrrev_b32_e32 v4, 1, v4
	global_load_sbyte v5, v4, s[8:9]
	v_add_u32_e32 v6, 1, v4
	s_waitcnt vmcnt(0)
	v_cmp_gt_i16_e32 vcc, v1, v5
	v_cndmask_b32_e64 v7, 0, 1, vcc
	v_cmp_le_i16_e32 vcc, v5, v1
	v_cndmask_b32_e64 v5, 0, 1, vcc
	v_cndmask_b32_e64 v5, v5, v7, s[0:1]
	v_and_b32_e32 v5, 1, v5
	v_cmp_eq_u32_e32 vcc, 1, v5
	v_cndmask_b32_e32 v3, v4, v3, vcc
	v_cndmask_b32_e32 v2, v2, v6, vcc
	v_cmp_ge_u32_e32 vcc, v2, v3
	s_or_b64 s[2:3], vcc, s[2:3]
	s_andn2_b64 exec, exec, s[2:3]
	s_cbranch_execnz .LBB2828_15
; %bb.16:
	s_or_b64 exec, exec, s[2:3]
.LBB2828_17:
	v_add_u32_e32 v2, v2, v0
	s_mov_b64 s[4:5], -1
.LBB2828_18:
	s_and_b64 exec, exec, s[4:5]
	s_cbranch_execz .LBB2828_20
; %bb.19:
	s_waitcnt vmcnt(0)
	global_store_byte v2, v1, s[10:11]
.LBB2828_20:
	s_endpgm
	.section	.rodata,"a",@progbits
	.p2align	6, 0x0
	.amdhsa_kernel _ZN7rocprim17ROCPRIM_400000_NS6detail17trampoline_kernelINS0_14default_configENS1_38merge_sort_block_merge_config_selectorIaNS0_10empty_typeEEEZZNS1_27merge_sort_block_merge_implIS3_N6thrust23THRUST_200600_302600_NS6detail15normal_iteratorINS9_10device_ptrIaEEEEPS5_m14custom_greaterIaEEE10hipError_tT0_T1_T2_jT3_P12ihipStream_tbPNSt15iterator_traitsISJ_E10value_typeEPNSP_ISK_E10value_typeEPSL_NS1_7vsmem_tEENKUlT_SJ_SK_SL_E_clISE_PaSF_SF_EESI_SY_SJ_SK_SL_EUlSY_E1_NS1_11comp_targetILNS1_3genE4ELNS1_11target_archE910ELNS1_3gpuE8ELNS1_3repE0EEENS1_36merge_oddeven_config_static_selectorELNS0_4arch9wavefront6targetE1EEEvSK_
		.amdhsa_group_segment_fixed_size 0
		.amdhsa_private_segment_fixed_size 0
		.amdhsa_kernarg_size 56
		.amdhsa_user_sgpr_count 6
		.amdhsa_user_sgpr_private_segment_buffer 1
		.amdhsa_user_sgpr_dispatch_ptr 0
		.amdhsa_user_sgpr_queue_ptr 0
		.amdhsa_user_sgpr_kernarg_segment_ptr 1
		.amdhsa_user_sgpr_dispatch_id 0
		.amdhsa_user_sgpr_flat_scratch_init 0
		.amdhsa_user_sgpr_kernarg_preload_length 0
		.amdhsa_user_sgpr_kernarg_preload_offset 0
		.amdhsa_user_sgpr_private_segment_size 0
		.amdhsa_uses_dynamic_stack 0
		.amdhsa_system_sgpr_private_segment_wavefront_offset 0
		.amdhsa_system_sgpr_workgroup_id_x 1
		.amdhsa_system_sgpr_workgroup_id_y 0
		.amdhsa_system_sgpr_workgroup_id_z 0
		.amdhsa_system_sgpr_workgroup_info 0
		.amdhsa_system_vgpr_workitem_id 0
		.amdhsa_next_free_vgpr 8
		.amdhsa_next_free_sgpr 20
		.amdhsa_accum_offset 8
		.amdhsa_reserve_vcc 1
		.amdhsa_reserve_flat_scratch 0
		.amdhsa_float_round_mode_32 0
		.amdhsa_float_round_mode_16_64 0
		.amdhsa_float_denorm_mode_32 3
		.amdhsa_float_denorm_mode_16_64 3
		.amdhsa_dx10_clamp 1
		.amdhsa_ieee_mode 1
		.amdhsa_fp16_overflow 0
		.amdhsa_tg_split 0
		.amdhsa_exception_fp_ieee_invalid_op 0
		.amdhsa_exception_fp_denorm_src 0
		.amdhsa_exception_fp_ieee_div_zero 0
		.amdhsa_exception_fp_ieee_overflow 0
		.amdhsa_exception_fp_ieee_underflow 0
		.amdhsa_exception_fp_ieee_inexact 0
		.amdhsa_exception_int_div_zero 0
	.end_amdhsa_kernel
	.section	.text._ZN7rocprim17ROCPRIM_400000_NS6detail17trampoline_kernelINS0_14default_configENS1_38merge_sort_block_merge_config_selectorIaNS0_10empty_typeEEEZZNS1_27merge_sort_block_merge_implIS3_N6thrust23THRUST_200600_302600_NS6detail15normal_iteratorINS9_10device_ptrIaEEEEPS5_m14custom_greaterIaEEE10hipError_tT0_T1_T2_jT3_P12ihipStream_tbPNSt15iterator_traitsISJ_E10value_typeEPNSP_ISK_E10value_typeEPSL_NS1_7vsmem_tEENKUlT_SJ_SK_SL_E_clISE_PaSF_SF_EESI_SY_SJ_SK_SL_EUlSY_E1_NS1_11comp_targetILNS1_3genE4ELNS1_11target_archE910ELNS1_3gpuE8ELNS1_3repE0EEENS1_36merge_oddeven_config_static_selectorELNS0_4arch9wavefront6targetE1EEEvSK_,"axG",@progbits,_ZN7rocprim17ROCPRIM_400000_NS6detail17trampoline_kernelINS0_14default_configENS1_38merge_sort_block_merge_config_selectorIaNS0_10empty_typeEEEZZNS1_27merge_sort_block_merge_implIS3_N6thrust23THRUST_200600_302600_NS6detail15normal_iteratorINS9_10device_ptrIaEEEEPS5_m14custom_greaterIaEEE10hipError_tT0_T1_T2_jT3_P12ihipStream_tbPNSt15iterator_traitsISJ_E10value_typeEPNSP_ISK_E10value_typeEPSL_NS1_7vsmem_tEENKUlT_SJ_SK_SL_E_clISE_PaSF_SF_EESI_SY_SJ_SK_SL_EUlSY_E1_NS1_11comp_targetILNS1_3genE4ELNS1_11target_archE910ELNS1_3gpuE8ELNS1_3repE0EEENS1_36merge_oddeven_config_static_selectorELNS0_4arch9wavefront6targetE1EEEvSK_,comdat
.Lfunc_end2828:
	.size	_ZN7rocprim17ROCPRIM_400000_NS6detail17trampoline_kernelINS0_14default_configENS1_38merge_sort_block_merge_config_selectorIaNS0_10empty_typeEEEZZNS1_27merge_sort_block_merge_implIS3_N6thrust23THRUST_200600_302600_NS6detail15normal_iteratorINS9_10device_ptrIaEEEEPS5_m14custom_greaterIaEEE10hipError_tT0_T1_T2_jT3_P12ihipStream_tbPNSt15iterator_traitsISJ_E10value_typeEPNSP_ISK_E10value_typeEPSL_NS1_7vsmem_tEENKUlT_SJ_SK_SL_E_clISE_PaSF_SF_EESI_SY_SJ_SK_SL_EUlSY_E1_NS1_11comp_targetILNS1_3genE4ELNS1_11target_archE910ELNS1_3gpuE8ELNS1_3repE0EEENS1_36merge_oddeven_config_static_selectorELNS0_4arch9wavefront6targetE1EEEvSK_, .Lfunc_end2828-_ZN7rocprim17ROCPRIM_400000_NS6detail17trampoline_kernelINS0_14default_configENS1_38merge_sort_block_merge_config_selectorIaNS0_10empty_typeEEEZZNS1_27merge_sort_block_merge_implIS3_N6thrust23THRUST_200600_302600_NS6detail15normal_iteratorINS9_10device_ptrIaEEEEPS5_m14custom_greaterIaEEE10hipError_tT0_T1_T2_jT3_P12ihipStream_tbPNSt15iterator_traitsISJ_E10value_typeEPNSP_ISK_E10value_typeEPSL_NS1_7vsmem_tEENKUlT_SJ_SK_SL_E_clISE_PaSF_SF_EESI_SY_SJ_SK_SL_EUlSY_E1_NS1_11comp_targetILNS1_3genE4ELNS1_11target_archE910ELNS1_3gpuE8ELNS1_3repE0EEENS1_36merge_oddeven_config_static_selectorELNS0_4arch9wavefront6targetE1EEEvSK_
                                        ; -- End function
	.section	.AMDGPU.csdata,"",@progbits
; Kernel info:
; codeLenInByte = 504
; NumSgprs: 24
; NumVgprs: 8
; NumAgprs: 0
; TotalNumVgprs: 8
; ScratchSize: 0
; MemoryBound: 0
; FloatMode: 240
; IeeeMode: 1
; LDSByteSize: 0 bytes/workgroup (compile time only)
; SGPRBlocks: 2
; VGPRBlocks: 0
; NumSGPRsForWavesPerEU: 24
; NumVGPRsForWavesPerEU: 8
; AccumOffset: 8
; Occupancy: 8
; WaveLimiterHint : 0
; COMPUTE_PGM_RSRC2:SCRATCH_EN: 0
; COMPUTE_PGM_RSRC2:USER_SGPR: 6
; COMPUTE_PGM_RSRC2:TRAP_HANDLER: 0
; COMPUTE_PGM_RSRC2:TGID_X_EN: 1
; COMPUTE_PGM_RSRC2:TGID_Y_EN: 0
; COMPUTE_PGM_RSRC2:TGID_Z_EN: 0
; COMPUTE_PGM_RSRC2:TIDIG_COMP_CNT: 0
; COMPUTE_PGM_RSRC3_GFX90A:ACCUM_OFFSET: 1
; COMPUTE_PGM_RSRC3_GFX90A:TG_SPLIT: 0
	.section	.text._ZN7rocprim17ROCPRIM_400000_NS6detail17trampoline_kernelINS0_14default_configENS1_38merge_sort_block_merge_config_selectorIaNS0_10empty_typeEEEZZNS1_27merge_sort_block_merge_implIS3_N6thrust23THRUST_200600_302600_NS6detail15normal_iteratorINS9_10device_ptrIaEEEEPS5_m14custom_greaterIaEEE10hipError_tT0_T1_T2_jT3_P12ihipStream_tbPNSt15iterator_traitsISJ_E10value_typeEPNSP_ISK_E10value_typeEPSL_NS1_7vsmem_tEENKUlT_SJ_SK_SL_E_clISE_PaSF_SF_EESI_SY_SJ_SK_SL_EUlSY_E1_NS1_11comp_targetILNS1_3genE3ELNS1_11target_archE908ELNS1_3gpuE7ELNS1_3repE0EEENS1_36merge_oddeven_config_static_selectorELNS0_4arch9wavefront6targetE1EEEvSK_,"axG",@progbits,_ZN7rocprim17ROCPRIM_400000_NS6detail17trampoline_kernelINS0_14default_configENS1_38merge_sort_block_merge_config_selectorIaNS0_10empty_typeEEEZZNS1_27merge_sort_block_merge_implIS3_N6thrust23THRUST_200600_302600_NS6detail15normal_iteratorINS9_10device_ptrIaEEEEPS5_m14custom_greaterIaEEE10hipError_tT0_T1_T2_jT3_P12ihipStream_tbPNSt15iterator_traitsISJ_E10value_typeEPNSP_ISK_E10value_typeEPSL_NS1_7vsmem_tEENKUlT_SJ_SK_SL_E_clISE_PaSF_SF_EESI_SY_SJ_SK_SL_EUlSY_E1_NS1_11comp_targetILNS1_3genE3ELNS1_11target_archE908ELNS1_3gpuE7ELNS1_3repE0EEENS1_36merge_oddeven_config_static_selectorELNS0_4arch9wavefront6targetE1EEEvSK_,comdat
	.protected	_ZN7rocprim17ROCPRIM_400000_NS6detail17trampoline_kernelINS0_14default_configENS1_38merge_sort_block_merge_config_selectorIaNS0_10empty_typeEEEZZNS1_27merge_sort_block_merge_implIS3_N6thrust23THRUST_200600_302600_NS6detail15normal_iteratorINS9_10device_ptrIaEEEEPS5_m14custom_greaterIaEEE10hipError_tT0_T1_T2_jT3_P12ihipStream_tbPNSt15iterator_traitsISJ_E10value_typeEPNSP_ISK_E10value_typeEPSL_NS1_7vsmem_tEENKUlT_SJ_SK_SL_E_clISE_PaSF_SF_EESI_SY_SJ_SK_SL_EUlSY_E1_NS1_11comp_targetILNS1_3genE3ELNS1_11target_archE908ELNS1_3gpuE7ELNS1_3repE0EEENS1_36merge_oddeven_config_static_selectorELNS0_4arch9wavefront6targetE1EEEvSK_ ; -- Begin function _ZN7rocprim17ROCPRIM_400000_NS6detail17trampoline_kernelINS0_14default_configENS1_38merge_sort_block_merge_config_selectorIaNS0_10empty_typeEEEZZNS1_27merge_sort_block_merge_implIS3_N6thrust23THRUST_200600_302600_NS6detail15normal_iteratorINS9_10device_ptrIaEEEEPS5_m14custom_greaterIaEEE10hipError_tT0_T1_T2_jT3_P12ihipStream_tbPNSt15iterator_traitsISJ_E10value_typeEPNSP_ISK_E10value_typeEPSL_NS1_7vsmem_tEENKUlT_SJ_SK_SL_E_clISE_PaSF_SF_EESI_SY_SJ_SK_SL_EUlSY_E1_NS1_11comp_targetILNS1_3genE3ELNS1_11target_archE908ELNS1_3gpuE7ELNS1_3repE0EEENS1_36merge_oddeven_config_static_selectorELNS0_4arch9wavefront6targetE1EEEvSK_
	.globl	_ZN7rocprim17ROCPRIM_400000_NS6detail17trampoline_kernelINS0_14default_configENS1_38merge_sort_block_merge_config_selectorIaNS0_10empty_typeEEEZZNS1_27merge_sort_block_merge_implIS3_N6thrust23THRUST_200600_302600_NS6detail15normal_iteratorINS9_10device_ptrIaEEEEPS5_m14custom_greaterIaEEE10hipError_tT0_T1_T2_jT3_P12ihipStream_tbPNSt15iterator_traitsISJ_E10value_typeEPNSP_ISK_E10value_typeEPSL_NS1_7vsmem_tEENKUlT_SJ_SK_SL_E_clISE_PaSF_SF_EESI_SY_SJ_SK_SL_EUlSY_E1_NS1_11comp_targetILNS1_3genE3ELNS1_11target_archE908ELNS1_3gpuE7ELNS1_3repE0EEENS1_36merge_oddeven_config_static_selectorELNS0_4arch9wavefront6targetE1EEEvSK_
	.p2align	8
	.type	_ZN7rocprim17ROCPRIM_400000_NS6detail17trampoline_kernelINS0_14default_configENS1_38merge_sort_block_merge_config_selectorIaNS0_10empty_typeEEEZZNS1_27merge_sort_block_merge_implIS3_N6thrust23THRUST_200600_302600_NS6detail15normal_iteratorINS9_10device_ptrIaEEEEPS5_m14custom_greaterIaEEE10hipError_tT0_T1_T2_jT3_P12ihipStream_tbPNSt15iterator_traitsISJ_E10value_typeEPNSP_ISK_E10value_typeEPSL_NS1_7vsmem_tEENKUlT_SJ_SK_SL_E_clISE_PaSF_SF_EESI_SY_SJ_SK_SL_EUlSY_E1_NS1_11comp_targetILNS1_3genE3ELNS1_11target_archE908ELNS1_3gpuE7ELNS1_3repE0EEENS1_36merge_oddeven_config_static_selectorELNS0_4arch9wavefront6targetE1EEEvSK_,@function
_ZN7rocprim17ROCPRIM_400000_NS6detail17trampoline_kernelINS0_14default_configENS1_38merge_sort_block_merge_config_selectorIaNS0_10empty_typeEEEZZNS1_27merge_sort_block_merge_implIS3_N6thrust23THRUST_200600_302600_NS6detail15normal_iteratorINS9_10device_ptrIaEEEEPS5_m14custom_greaterIaEEE10hipError_tT0_T1_T2_jT3_P12ihipStream_tbPNSt15iterator_traitsISJ_E10value_typeEPNSP_ISK_E10value_typeEPSL_NS1_7vsmem_tEENKUlT_SJ_SK_SL_E_clISE_PaSF_SF_EESI_SY_SJ_SK_SL_EUlSY_E1_NS1_11comp_targetILNS1_3genE3ELNS1_11target_archE908ELNS1_3gpuE7ELNS1_3repE0EEENS1_36merge_oddeven_config_static_selectorELNS0_4arch9wavefront6targetE1EEEvSK_: ; @_ZN7rocprim17ROCPRIM_400000_NS6detail17trampoline_kernelINS0_14default_configENS1_38merge_sort_block_merge_config_selectorIaNS0_10empty_typeEEEZZNS1_27merge_sort_block_merge_implIS3_N6thrust23THRUST_200600_302600_NS6detail15normal_iteratorINS9_10device_ptrIaEEEEPS5_m14custom_greaterIaEEE10hipError_tT0_T1_T2_jT3_P12ihipStream_tbPNSt15iterator_traitsISJ_E10value_typeEPNSP_ISK_E10value_typeEPSL_NS1_7vsmem_tEENKUlT_SJ_SK_SL_E_clISE_PaSF_SF_EESI_SY_SJ_SK_SL_EUlSY_E1_NS1_11comp_targetILNS1_3genE3ELNS1_11target_archE908ELNS1_3gpuE7ELNS1_3repE0EEENS1_36merge_oddeven_config_static_selectorELNS0_4arch9wavefront6targetE1EEEvSK_
; %bb.0:
	.section	.rodata,"a",@progbits
	.p2align	6, 0x0
	.amdhsa_kernel _ZN7rocprim17ROCPRIM_400000_NS6detail17trampoline_kernelINS0_14default_configENS1_38merge_sort_block_merge_config_selectorIaNS0_10empty_typeEEEZZNS1_27merge_sort_block_merge_implIS3_N6thrust23THRUST_200600_302600_NS6detail15normal_iteratorINS9_10device_ptrIaEEEEPS5_m14custom_greaterIaEEE10hipError_tT0_T1_T2_jT3_P12ihipStream_tbPNSt15iterator_traitsISJ_E10value_typeEPNSP_ISK_E10value_typeEPSL_NS1_7vsmem_tEENKUlT_SJ_SK_SL_E_clISE_PaSF_SF_EESI_SY_SJ_SK_SL_EUlSY_E1_NS1_11comp_targetILNS1_3genE3ELNS1_11target_archE908ELNS1_3gpuE7ELNS1_3repE0EEENS1_36merge_oddeven_config_static_selectorELNS0_4arch9wavefront6targetE1EEEvSK_
		.amdhsa_group_segment_fixed_size 0
		.amdhsa_private_segment_fixed_size 0
		.amdhsa_kernarg_size 56
		.amdhsa_user_sgpr_count 6
		.amdhsa_user_sgpr_private_segment_buffer 1
		.amdhsa_user_sgpr_dispatch_ptr 0
		.amdhsa_user_sgpr_queue_ptr 0
		.amdhsa_user_sgpr_kernarg_segment_ptr 1
		.amdhsa_user_sgpr_dispatch_id 0
		.amdhsa_user_sgpr_flat_scratch_init 0
		.amdhsa_user_sgpr_kernarg_preload_length 0
		.amdhsa_user_sgpr_kernarg_preload_offset 0
		.amdhsa_user_sgpr_private_segment_size 0
		.amdhsa_uses_dynamic_stack 0
		.amdhsa_system_sgpr_private_segment_wavefront_offset 0
		.amdhsa_system_sgpr_workgroup_id_x 1
		.amdhsa_system_sgpr_workgroup_id_y 0
		.amdhsa_system_sgpr_workgroup_id_z 0
		.amdhsa_system_sgpr_workgroup_info 0
		.amdhsa_system_vgpr_workitem_id 0
		.amdhsa_next_free_vgpr 1
		.amdhsa_next_free_sgpr 0
		.amdhsa_accum_offset 4
		.amdhsa_reserve_vcc 0
		.amdhsa_reserve_flat_scratch 0
		.amdhsa_float_round_mode_32 0
		.amdhsa_float_round_mode_16_64 0
		.amdhsa_float_denorm_mode_32 3
		.amdhsa_float_denorm_mode_16_64 3
		.amdhsa_dx10_clamp 1
		.amdhsa_ieee_mode 1
		.amdhsa_fp16_overflow 0
		.amdhsa_tg_split 0
		.amdhsa_exception_fp_ieee_invalid_op 0
		.amdhsa_exception_fp_denorm_src 0
		.amdhsa_exception_fp_ieee_div_zero 0
		.amdhsa_exception_fp_ieee_overflow 0
		.amdhsa_exception_fp_ieee_underflow 0
		.amdhsa_exception_fp_ieee_inexact 0
		.amdhsa_exception_int_div_zero 0
	.end_amdhsa_kernel
	.section	.text._ZN7rocprim17ROCPRIM_400000_NS6detail17trampoline_kernelINS0_14default_configENS1_38merge_sort_block_merge_config_selectorIaNS0_10empty_typeEEEZZNS1_27merge_sort_block_merge_implIS3_N6thrust23THRUST_200600_302600_NS6detail15normal_iteratorINS9_10device_ptrIaEEEEPS5_m14custom_greaterIaEEE10hipError_tT0_T1_T2_jT3_P12ihipStream_tbPNSt15iterator_traitsISJ_E10value_typeEPNSP_ISK_E10value_typeEPSL_NS1_7vsmem_tEENKUlT_SJ_SK_SL_E_clISE_PaSF_SF_EESI_SY_SJ_SK_SL_EUlSY_E1_NS1_11comp_targetILNS1_3genE3ELNS1_11target_archE908ELNS1_3gpuE7ELNS1_3repE0EEENS1_36merge_oddeven_config_static_selectorELNS0_4arch9wavefront6targetE1EEEvSK_,"axG",@progbits,_ZN7rocprim17ROCPRIM_400000_NS6detail17trampoline_kernelINS0_14default_configENS1_38merge_sort_block_merge_config_selectorIaNS0_10empty_typeEEEZZNS1_27merge_sort_block_merge_implIS3_N6thrust23THRUST_200600_302600_NS6detail15normal_iteratorINS9_10device_ptrIaEEEEPS5_m14custom_greaterIaEEE10hipError_tT0_T1_T2_jT3_P12ihipStream_tbPNSt15iterator_traitsISJ_E10value_typeEPNSP_ISK_E10value_typeEPSL_NS1_7vsmem_tEENKUlT_SJ_SK_SL_E_clISE_PaSF_SF_EESI_SY_SJ_SK_SL_EUlSY_E1_NS1_11comp_targetILNS1_3genE3ELNS1_11target_archE908ELNS1_3gpuE7ELNS1_3repE0EEENS1_36merge_oddeven_config_static_selectorELNS0_4arch9wavefront6targetE1EEEvSK_,comdat
.Lfunc_end2829:
	.size	_ZN7rocprim17ROCPRIM_400000_NS6detail17trampoline_kernelINS0_14default_configENS1_38merge_sort_block_merge_config_selectorIaNS0_10empty_typeEEEZZNS1_27merge_sort_block_merge_implIS3_N6thrust23THRUST_200600_302600_NS6detail15normal_iteratorINS9_10device_ptrIaEEEEPS5_m14custom_greaterIaEEE10hipError_tT0_T1_T2_jT3_P12ihipStream_tbPNSt15iterator_traitsISJ_E10value_typeEPNSP_ISK_E10value_typeEPSL_NS1_7vsmem_tEENKUlT_SJ_SK_SL_E_clISE_PaSF_SF_EESI_SY_SJ_SK_SL_EUlSY_E1_NS1_11comp_targetILNS1_3genE3ELNS1_11target_archE908ELNS1_3gpuE7ELNS1_3repE0EEENS1_36merge_oddeven_config_static_selectorELNS0_4arch9wavefront6targetE1EEEvSK_, .Lfunc_end2829-_ZN7rocprim17ROCPRIM_400000_NS6detail17trampoline_kernelINS0_14default_configENS1_38merge_sort_block_merge_config_selectorIaNS0_10empty_typeEEEZZNS1_27merge_sort_block_merge_implIS3_N6thrust23THRUST_200600_302600_NS6detail15normal_iteratorINS9_10device_ptrIaEEEEPS5_m14custom_greaterIaEEE10hipError_tT0_T1_T2_jT3_P12ihipStream_tbPNSt15iterator_traitsISJ_E10value_typeEPNSP_ISK_E10value_typeEPSL_NS1_7vsmem_tEENKUlT_SJ_SK_SL_E_clISE_PaSF_SF_EESI_SY_SJ_SK_SL_EUlSY_E1_NS1_11comp_targetILNS1_3genE3ELNS1_11target_archE908ELNS1_3gpuE7ELNS1_3repE0EEENS1_36merge_oddeven_config_static_selectorELNS0_4arch9wavefront6targetE1EEEvSK_
                                        ; -- End function
	.section	.AMDGPU.csdata,"",@progbits
; Kernel info:
; codeLenInByte = 0
; NumSgprs: 4
; NumVgprs: 0
; NumAgprs: 0
; TotalNumVgprs: 0
; ScratchSize: 0
; MemoryBound: 0
; FloatMode: 240
; IeeeMode: 1
; LDSByteSize: 0 bytes/workgroup (compile time only)
; SGPRBlocks: 0
; VGPRBlocks: 0
; NumSGPRsForWavesPerEU: 4
; NumVGPRsForWavesPerEU: 1
; AccumOffset: 4
; Occupancy: 8
; WaveLimiterHint : 0
; COMPUTE_PGM_RSRC2:SCRATCH_EN: 0
; COMPUTE_PGM_RSRC2:USER_SGPR: 6
; COMPUTE_PGM_RSRC2:TRAP_HANDLER: 0
; COMPUTE_PGM_RSRC2:TGID_X_EN: 1
; COMPUTE_PGM_RSRC2:TGID_Y_EN: 0
; COMPUTE_PGM_RSRC2:TGID_Z_EN: 0
; COMPUTE_PGM_RSRC2:TIDIG_COMP_CNT: 0
; COMPUTE_PGM_RSRC3_GFX90A:ACCUM_OFFSET: 0
; COMPUTE_PGM_RSRC3_GFX90A:TG_SPLIT: 0
	.section	.text._ZN7rocprim17ROCPRIM_400000_NS6detail17trampoline_kernelINS0_14default_configENS1_38merge_sort_block_merge_config_selectorIaNS0_10empty_typeEEEZZNS1_27merge_sort_block_merge_implIS3_N6thrust23THRUST_200600_302600_NS6detail15normal_iteratorINS9_10device_ptrIaEEEEPS5_m14custom_greaterIaEEE10hipError_tT0_T1_T2_jT3_P12ihipStream_tbPNSt15iterator_traitsISJ_E10value_typeEPNSP_ISK_E10value_typeEPSL_NS1_7vsmem_tEENKUlT_SJ_SK_SL_E_clISE_PaSF_SF_EESI_SY_SJ_SK_SL_EUlSY_E1_NS1_11comp_targetILNS1_3genE2ELNS1_11target_archE906ELNS1_3gpuE6ELNS1_3repE0EEENS1_36merge_oddeven_config_static_selectorELNS0_4arch9wavefront6targetE1EEEvSK_,"axG",@progbits,_ZN7rocprim17ROCPRIM_400000_NS6detail17trampoline_kernelINS0_14default_configENS1_38merge_sort_block_merge_config_selectorIaNS0_10empty_typeEEEZZNS1_27merge_sort_block_merge_implIS3_N6thrust23THRUST_200600_302600_NS6detail15normal_iteratorINS9_10device_ptrIaEEEEPS5_m14custom_greaterIaEEE10hipError_tT0_T1_T2_jT3_P12ihipStream_tbPNSt15iterator_traitsISJ_E10value_typeEPNSP_ISK_E10value_typeEPSL_NS1_7vsmem_tEENKUlT_SJ_SK_SL_E_clISE_PaSF_SF_EESI_SY_SJ_SK_SL_EUlSY_E1_NS1_11comp_targetILNS1_3genE2ELNS1_11target_archE906ELNS1_3gpuE6ELNS1_3repE0EEENS1_36merge_oddeven_config_static_selectorELNS0_4arch9wavefront6targetE1EEEvSK_,comdat
	.protected	_ZN7rocprim17ROCPRIM_400000_NS6detail17trampoline_kernelINS0_14default_configENS1_38merge_sort_block_merge_config_selectorIaNS0_10empty_typeEEEZZNS1_27merge_sort_block_merge_implIS3_N6thrust23THRUST_200600_302600_NS6detail15normal_iteratorINS9_10device_ptrIaEEEEPS5_m14custom_greaterIaEEE10hipError_tT0_T1_T2_jT3_P12ihipStream_tbPNSt15iterator_traitsISJ_E10value_typeEPNSP_ISK_E10value_typeEPSL_NS1_7vsmem_tEENKUlT_SJ_SK_SL_E_clISE_PaSF_SF_EESI_SY_SJ_SK_SL_EUlSY_E1_NS1_11comp_targetILNS1_3genE2ELNS1_11target_archE906ELNS1_3gpuE6ELNS1_3repE0EEENS1_36merge_oddeven_config_static_selectorELNS0_4arch9wavefront6targetE1EEEvSK_ ; -- Begin function _ZN7rocprim17ROCPRIM_400000_NS6detail17trampoline_kernelINS0_14default_configENS1_38merge_sort_block_merge_config_selectorIaNS0_10empty_typeEEEZZNS1_27merge_sort_block_merge_implIS3_N6thrust23THRUST_200600_302600_NS6detail15normal_iteratorINS9_10device_ptrIaEEEEPS5_m14custom_greaterIaEEE10hipError_tT0_T1_T2_jT3_P12ihipStream_tbPNSt15iterator_traitsISJ_E10value_typeEPNSP_ISK_E10value_typeEPSL_NS1_7vsmem_tEENKUlT_SJ_SK_SL_E_clISE_PaSF_SF_EESI_SY_SJ_SK_SL_EUlSY_E1_NS1_11comp_targetILNS1_3genE2ELNS1_11target_archE906ELNS1_3gpuE6ELNS1_3repE0EEENS1_36merge_oddeven_config_static_selectorELNS0_4arch9wavefront6targetE1EEEvSK_
	.globl	_ZN7rocprim17ROCPRIM_400000_NS6detail17trampoline_kernelINS0_14default_configENS1_38merge_sort_block_merge_config_selectorIaNS0_10empty_typeEEEZZNS1_27merge_sort_block_merge_implIS3_N6thrust23THRUST_200600_302600_NS6detail15normal_iteratorINS9_10device_ptrIaEEEEPS5_m14custom_greaterIaEEE10hipError_tT0_T1_T2_jT3_P12ihipStream_tbPNSt15iterator_traitsISJ_E10value_typeEPNSP_ISK_E10value_typeEPSL_NS1_7vsmem_tEENKUlT_SJ_SK_SL_E_clISE_PaSF_SF_EESI_SY_SJ_SK_SL_EUlSY_E1_NS1_11comp_targetILNS1_3genE2ELNS1_11target_archE906ELNS1_3gpuE6ELNS1_3repE0EEENS1_36merge_oddeven_config_static_selectorELNS0_4arch9wavefront6targetE1EEEvSK_
	.p2align	8
	.type	_ZN7rocprim17ROCPRIM_400000_NS6detail17trampoline_kernelINS0_14default_configENS1_38merge_sort_block_merge_config_selectorIaNS0_10empty_typeEEEZZNS1_27merge_sort_block_merge_implIS3_N6thrust23THRUST_200600_302600_NS6detail15normal_iteratorINS9_10device_ptrIaEEEEPS5_m14custom_greaterIaEEE10hipError_tT0_T1_T2_jT3_P12ihipStream_tbPNSt15iterator_traitsISJ_E10value_typeEPNSP_ISK_E10value_typeEPSL_NS1_7vsmem_tEENKUlT_SJ_SK_SL_E_clISE_PaSF_SF_EESI_SY_SJ_SK_SL_EUlSY_E1_NS1_11comp_targetILNS1_3genE2ELNS1_11target_archE906ELNS1_3gpuE6ELNS1_3repE0EEENS1_36merge_oddeven_config_static_selectorELNS0_4arch9wavefront6targetE1EEEvSK_,@function
_ZN7rocprim17ROCPRIM_400000_NS6detail17trampoline_kernelINS0_14default_configENS1_38merge_sort_block_merge_config_selectorIaNS0_10empty_typeEEEZZNS1_27merge_sort_block_merge_implIS3_N6thrust23THRUST_200600_302600_NS6detail15normal_iteratorINS9_10device_ptrIaEEEEPS5_m14custom_greaterIaEEE10hipError_tT0_T1_T2_jT3_P12ihipStream_tbPNSt15iterator_traitsISJ_E10value_typeEPNSP_ISK_E10value_typeEPSL_NS1_7vsmem_tEENKUlT_SJ_SK_SL_E_clISE_PaSF_SF_EESI_SY_SJ_SK_SL_EUlSY_E1_NS1_11comp_targetILNS1_3genE2ELNS1_11target_archE906ELNS1_3gpuE6ELNS1_3repE0EEENS1_36merge_oddeven_config_static_selectorELNS0_4arch9wavefront6targetE1EEEvSK_: ; @_ZN7rocprim17ROCPRIM_400000_NS6detail17trampoline_kernelINS0_14default_configENS1_38merge_sort_block_merge_config_selectorIaNS0_10empty_typeEEEZZNS1_27merge_sort_block_merge_implIS3_N6thrust23THRUST_200600_302600_NS6detail15normal_iteratorINS9_10device_ptrIaEEEEPS5_m14custom_greaterIaEEE10hipError_tT0_T1_T2_jT3_P12ihipStream_tbPNSt15iterator_traitsISJ_E10value_typeEPNSP_ISK_E10value_typeEPSL_NS1_7vsmem_tEENKUlT_SJ_SK_SL_E_clISE_PaSF_SF_EESI_SY_SJ_SK_SL_EUlSY_E1_NS1_11comp_targetILNS1_3genE2ELNS1_11target_archE906ELNS1_3gpuE6ELNS1_3repE0EEENS1_36merge_oddeven_config_static_selectorELNS0_4arch9wavefront6targetE1EEEvSK_
; %bb.0:
	.section	.rodata,"a",@progbits
	.p2align	6, 0x0
	.amdhsa_kernel _ZN7rocprim17ROCPRIM_400000_NS6detail17trampoline_kernelINS0_14default_configENS1_38merge_sort_block_merge_config_selectorIaNS0_10empty_typeEEEZZNS1_27merge_sort_block_merge_implIS3_N6thrust23THRUST_200600_302600_NS6detail15normal_iteratorINS9_10device_ptrIaEEEEPS5_m14custom_greaterIaEEE10hipError_tT0_T1_T2_jT3_P12ihipStream_tbPNSt15iterator_traitsISJ_E10value_typeEPNSP_ISK_E10value_typeEPSL_NS1_7vsmem_tEENKUlT_SJ_SK_SL_E_clISE_PaSF_SF_EESI_SY_SJ_SK_SL_EUlSY_E1_NS1_11comp_targetILNS1_3genE2ELNS1_11target_archE906ELNS1_3gpuE6ELNS1_3repE0EEENS1_36merge_oddeven_config_static_selectorELNS0_4arch9wavefront6targetE1EEEvSK_
		.amdhsa_group_segment_fixed_size 0
		.amdhsa_private_segment_fixed_size 0
		.amdhsa_kernarg_size 56
		.amdhsa_user_sgpr_count 6
		.amdhsa_user_sgpr_private_segment_buffer 1
		.amdhsa_user_sgpr_dispatch_ptr 0
		.amdhsa_user_sgpr_queue_ptr 0
		.amdhsa_user_sgpr_kernarg_segment_ptr 1
		.amdhsa_user_sgpr_dispatch_id 0
		.amdhsa_user_sgpr_flat_scratch_init 0
		.amdhsa_user_sgpr_kernarg_preload_length 0
		.amdhsa_user_sgpr_kernarg_preload_offset 0
		.amdhsa_user_sgpr_private_segment_size 0
		.amdhsa_uses_dynamic_stack 0
		.amdhsa_system_sgpr_private_segment_wavefront_offset 0
		.amdhsa_system_sgpr_workgroup_id_x 1
		.amdhsa_system_sgpr_workgroup_id_y 0
		.amdhsa_system_sgpr_workgroup_id_z 0
		.amdhsa_system_sgpr_workgroup_info 0
		.amdhsa_system_vgpr_workitem_id 0
		.amdhsa_next_free_vgpr 1
		.amdhsa_next_free_sgpr 0
		.amdhsa_accum_offset 4
		.amdhsa_reserve_vcc 0
		.amdhsa_reserve_flat_scratch 0
		.amdhsa_float_round_mode_32 0
		.amdhsa_float_round_mode_16_64 0
		.amdhsa_float_denorm_mode_32 3
		.amdhsa_float_denorm_mode_16_64 3
		.amdhsa_dx10_clamp 1
		.amdhsa_ieee_mode 1
		.amdhsa_fp16_overflow 0
		.amdhsa_tg_split 0
		.amdhsa_exception_fp_ieee_invalid_op 0
		.amdhsa_exception_fp_denorm_src 0
		.amdhsa_exception_fp_ieee_div_zero 0
		.amdhsa_exception_fp_ieee_overflow 0
		.amdhsa_exception_fp_ieee_underflow 0
		.amdhsa_exception_fp_ieee_inexact 0
		.amdhsa_exception_int_div_zero 0
	.end_amdhsa_kernel
	.section	.text._ZN7rocprim17ROCPRIM_400000_NS6detail17trampoline_kernelINS0_14default_configENS1_38merge_sort_block_merge_config_selectorIaNS0_10empty_typeEEEZZNS1_27merge_sort_block_merge_implIS3_N6thrust23THRUST_200600_302600_NS6detail15normal_iteratorINS9_10device_ptrIaEEEEPS5_m14custom_greaterIaEEE10hipError_tT0_T1_T2_jT3_P12ihipStream_tbPNSt15iterator_traitsISJ_E10value_typeEPNSP_ISK_E10value_typeEPSL_NS1_7vsmem_tEENKUlT_SJ_SK_SL_E_clISE_PaSF_SF_EESI_SY_SJ_SK_SL_EUlSY_E1_NS1_11comp_targetILNS1_3genE2ELNS1_11target_archE906ELNS1_3gpuE6ELNS1_3repE0EEENS1_36merge_oddeven_config_static_selectorELNS0_4arch9wavefront6targetE1EEEvSK_,"axG",@progbits,_ZN7rocprim17ROCPRIM_400000_NS6detail17trampoline_kernelINS0_14default_configENS1_38merge_sort_block_merge_config_selectorIaNS0_10empty_typeEEEZZNS1_27merge_sort_block_merge_implIS3_N6thrust23THRUST_200600_302600_NS6detail15normal_iteratorINS9_10device_ptrIaEEEEPS5_m14custom_greaterIaEEE10hipError_tT0_T1_T2_jT3_P12ihipStream_tbPNSt15iterator_traitsISJ_E10value_typeEPNSP_ISK_E10value_typeEPSL_NS1_7vsmem_tEENKUlT_SJ_SK_SL_E_clISE_PaSF_SF_EESI_SY_SJ_SK_SL_EUlSY_E1_NS1_11comp_targetILNS1_3genE2ELNS1_11target_archE906ELNS1_3gpuE6ELNS1_3repE0EEENS1_36merge_oddeven_config_static_selectorELNS0_4arch9wavefront6targetE1EEEvSK_,comdat
.Lfunc_end2830:
	.size	_ZN7rocprim17ROCPRIM_400000_NS6detail17trampoline_kernelINS0_14default_configENS1_38merge_sort_block_merge_config_selectorIaNS0_10empty_typeEEEZZNS1_27merge_sort_block_merge_implIS3_N6thrust23THRUST_200600_302600_NS6detail15normal_iteratorINS9_10device_ptrIaEEEEPS5_m14custom_greaterIaEEE10hipError_tT0_T1_T2_jT3_P12ihipStream_tbPNSt15iterator_traitsISJ_E10value_typeEPNSP_ISK_E10value_typeEPSL_NS1_7vsmem_tEENKUlT_SJ_SK_SL_E_clISE_PaSF_SF_EESI_SY_SJ_SK_SL_EUlSY_E1_NS1_11comp_targetILNS1_3genE2ELNS1_11target_archE906ELNS1_3gpuE6ELNS1_3repE0EEENS1_36merge_oddeven_config_static_selectorELNS0_4arch9wavefront6targetE1EEEvSK_, .Lfunc_end2830-_ZN7rocprim17ROCPRIM_400000_NS6detail17trampoline_kernelINS0_14default_configENS1_38merge_sort_block_merge_config_selectorIaNS0_10empty_typeEEEZZNS1_27merge_sort_block_merge_implIS3_N6thrust23THRUST_200600_302600_NS6detail15normal_iteratorINS9_10device_ptrIaEEEEPS5_m14custom_greaterIaEEE10hipError_tT0_T1_T2_jT3_P12ihipStream_tbPNSt15iterator_traitsISJ_E10value_typeEPNSP_ISK_E10value_typeEPSL_NS1_7vsmem_tEENKUlT_SJ_SK_SL_E_clISE_PaSF_SF_EESI_SY_SJ_SK_SL_EUlSY_E1_NS1_11comp_targetILNS1_3genE2ELNS1_11target_archE906ELNS1_3gpuE6ELNS1_3repE0EEENS1_36merge_oddeven_config_static_selectorELNS0_4arch9wavefront6targetE1EEEvSK_
                                        ; -- End function
	.section	.AMDGPU.csdata,"",@progbits
; Kernel info:
; codeLenInByte = 0
; NumSgprs: 4
; NumVgprs: 0
; NumAgprs: 0
; TotalNumVgprs: 0
; ScratchSize: 0
; MemoryBound: 0
; FloatMode: 240
; IeeeMode: 1
; LDSByteSize: 0 bytes/workgroup (compile time only)
; SGPRBlocks: 0
; VGPRBlocks: 0
; NumSGPRsForWavesPerEU: 4
; NumVGPRsForWavesPerEU: 1
; AccumOffset: 4
; Occupancy: 8
; WaveLimiterHint : 0
; COMPUTE_PGM_RSRC2:SCRATCH_EN: 0
; COMPUTE_PGM_RSRC2:USER_SGPR: 6
; COMPUTE_PGM_RSRC2:TRAP_HANDLER: 0
; COMPUTE_PGM_RSRC2:TGID_X_EN: 1
; COMPUTE_PGM_RSRC2:TGID_Y_EN: 0
; COMPUTE_PGM_RSRC2:TGID_Z_EN: 0
; COMPUTE_PGM_RSRC2:TIDIG_COMP_CNT: 0
; COMPUTE_PGM_RSRC3_GFX90A:ACCUM_OFFSET: 0
; COMPUTE_PGM_RSRC3_GFX90A:TG_SPLIT: 0
	.section	.text._ZN7rocprim17ROCPRIM_400000_NS6detail17trampoline_kernelINS0_14default_configENS1_38merge_sort_block_merge_config_selectorIaNS0_10empty_typeEEEZZNS1_27merge_sort_block_merge_implIS3_N6thrust23THRUST_200600_302600_NS6detail15normal_iteratorINS9_10device_ptrIaEEEEPS5_m14custom_greaterIaEEE10hipError_tT0_T1_T2_jT3_P12ihipStream_tbPNSt15iterator_traitsISJ_E10value_typeEPNSP_ISK_E10value_typeEPSL_NS1_7vsmem_tEENKUlT_SJ_SK_SL_E_clISE_PaSF_SF_EESI_SY_SJ_SK_SL_EUlSY_E1_NS1_11comp_targetILNS1_3genE9ELNS1_11target_archE1100ELNS1_3gpuE3ELNS1_3repE0EEENS1_36merge_oddeven_config_static_selectorELNS0_4arch9wavefront6targetE1EEEvSK_,"axG",@progbits,_ZN7rocprim17ROCPRIM_400000_NS6detail17trampoline_kernelINS0_14default_configENS1_38merge_sort_block_merge_config_selectorIaNS0_10empty_typeEEEZZNS1_27merge_sort_block_merge_implIS3_N6thrust23THRUST_200600_302600_NS6detail15normal_iteratorINS9_10device_ptrIaEEEEPS5_m14custom_greaterIaEEE10hipError_tT0_T1_T2_jT3_P12ihipStream_tbPNSt15iterator_traitsISJ_E10value_typeEPNSP_ISK_E10value_typeEPSL_NS1_7vsmem_tEENKUlT_SJ_SK_SL_E_clISE_PaSF_SF_EESI_SY_SJ_SK_SL_EUlSY_E1_NS1_11comp_targetILNS1_3genE9ELNS1_11target_archE1100ELNS1_3gpuE3ELNS1_3repE0EEENS1_36merge_oddeven_config_static_selectorELNS0_4arch9wavefront6targetE1EEEvSK_,comdat
	.protected	_ZN7rocprim17ROCPRIM_400000_NS6detail17trampoline_kernelINS0_14default_configENS1_38merge_sort_block_merge_config_selectorIaNS0_10empty_typeEEEZZNS1_27merge_sort_block_merge_implIS3_N6thrust23THRUST_200600_302600_NS6detail15normal_iteratorINS9_10device_ptrIaEEEEPS5_m14custom_greaterIaEEE10hipError_tT0_T1_T2_jT3_P12ihipStream_tbPNSt15iterator_traitsISJ_E10value_typeEPNSP_ISK_E10value_typeEPSL_NS1_7vsmem_tEENKUlT_SJ_SK_SL_E_clISE_PaSF_SF_EESI_SY_SJ_SK_SL_EUlSY_E1_NS1_11comp_targetILNS1_3genE9ELNS1_11target_archE1100ELNS1_3gpuE3ELNS1_3repE0EEENS1_36merge_oddeven_config_static_selectorELNS0_4arch9wavefront6targetE1EEEvSK_ ; -- Begin function _ZN7rocprim17ROCPRIM_400000_NS6detail17trampoline_kernelINS0_14default_configENS1_38merge_sort_block_merge_config_selectorIaNS0_10empty_typeEEEZZNS1_27merge_sort_block_merge_implIS3_N6thrust23THRUST_200600_302600_NS6detail15normal_iteratorINS9_10device_ptrIaEEEEPS5_m14custom_greaterIaEEE10hipError_tT0_T1_T2_jT3_P12ihipStream_tbPNSt15iterator_traitsISJ_E10value_typeEPNSP_ISK_E10value_typeEPSL_NS1_7vsmem_tEENKUlT_SJ_SK_SL_E_clISE_PaSF_SF_EESI_SY_SJ_SK_SL_EUlSY_E1_NS1_11comp_targetILNS1_3genE9ELNS1_11target_archE1100ELNS1_3gpuE3ELNS1_3repE0EEENS1_36merge_oddeven_config_static_selectorELNS0_4arch9wavefront6targetE1EEEvSK_
	.globl	_ZN7rocprim17ROCPRIM_400000_NS6detail17trampoline_kernelINS0_14default_configENS1_38merge_sort_block_merge_config_selectorIaNS0_10empty_typeEEEZZNS1_27merge_sort_block_merge_implIS3_N6thrust23THRUST_200600_302600_NS6detail15normal_iteratorINS9_10device_ptrIaEEEEPS5_m14custom_greaterIaEEE10hipError_tT0_T1_T2_jT3_P12ihipStream_tbPNSt15iterator_traitsISJ_E10value_typeEPNSP_ISK_E10value_typeEPSL_NS1_7vsmem_tEENKUlT_SJ_SK_SL_E_clISE_PaSF_SF_EESI_SY_SJ_SK_SL_EUlSY_E1_NS1_11comp_targetILNS1_3genE9ELNS1_11target_archE1100ELNS1_3gpuE3ELNS1_3repE0EEENS1_36merge_oddeven_config_static_selectorELNS0_4arch9wavefront6targetE1EEEvSK_
	.p2align	8
	.type	_ZN7rocprim17ROCPRIM_400000_NS6detail17trampoline_kernelINS0_14default_configENS1_38merge_sort_block_merge_config_selectorIaNS0_10empty_typeEEEZZNS1_27merge_sort_block_merge_implIS3_N6thrust23THRUST_200600_302600_NS6detail15normal_iteratorINS9_10device_ptrIaEEEEPS5_m14custom_greaterIaEEE10hipError_tT0_T1_T2_jT3_P12ihipStream_tbPNSt15iterator_traitsISJ_E10value_typeEPNSP_ISK_E10value_typeEPSL_NS1_7vsmem_tEENKUlT_SJ_SK_SL_E_clISE_PaSF_SF_EESI_SY_SJ_SK_SL_EUlSY_E1_NS1_11comp_targetILNS1_3genE9ELNS1_11target_archE1100ELNS1_3gpuE3ELNS1_3repE0EEENS1_36merge_oddeven_config_static_selectorELNS0_4arch9wavefront6targetE1EEEvSK_,@function
_ZN7rocprim17ROCPRIM_400000_NS6detail17trampoline_kernelINS0_14default_configENS1_38merge_sort_block_merge_config_selectorIaNS0_10empty_typeEEEZZNS1_27merge_sort_block_merge_implIS3_N6thrust23THRUST_200600_302600_NS6detail15normal_iteratorINS9_10device_ptrIaEEEEPS5_m14custom_greaterIaEEE10hipError_tT0_T1_T2_jT3_P12ihipStream_tbPNSt15iterator_traitsISJ_E10value_typeEPNSP_ISK_E10value_typeEPSL_NS1_7vsmem_tEENKUlT_SJ_SK_SL_E_clISE_PaSF_SF_EESI_SY_SJ_SK_SL_EUlSY_E1_NS1_11comp_targetILNS1_3genE9ELNS1_11target_archE1100ELNS1_3gpuE3ELNS1_3repE0EEENS1_36merge_oddeven_config_static_selectorELNS0_4arch9wavefront6targetE1EEEvSK_: ; @_ZN7rocprim17ROCPRIM_400000_NS6detail17trampoline_kernelINS0_14default_configENS1_38merge_sort_block_merge_config_selectorIaNS0_10empty_typeEEEZZNS1_27merge_sort_block_merge_implIS3_N6thrust23THRUST_200600_302600_NS6detail15normal_iteratorINS9_10device_ptrIaEEEEPS5_m14custom_greaterIaEEE10hipError_tT0_T1_T2_jT3_P12ihipStream_tbPNSt15iterator_traitsISJ_E10value_typeEPNSP_ISK_E10value_typeEPSL_NS1_7vsmem_tEENKUlT_SJ_SK_SL_E_clISE_PaSF_SF_EESI_SY_SJ_SK_SL_EUlSY_E1_NS1_11comp_targetILNS1_3genE9ELNS1_11target_archE1100ELNS1_3gpuE3ELNS1_3repE0EEENS1_36merge_oddeven_config_static_selectorELNS0_4arch9wavefront6targetE1EEEvSK_
; %bb.0:
	.section	.rodata,"a",@progbits
	.p2align	6, 0x0
	.amdhsa_kernel _ZN7rocprim17ROCPRIM_400000_NS6detail17trampoline_kernelINS0_14default_configENS1_38merge_sort_block_merge_config_selectorIaNS0_10empty_typeEEEZZNS1_27merge_sort_block_merge_implIS3_N6thrust23THRUST_200600_302600_NS6detail15normal_iteratorINS9_10device_ptrIaEEEEPS5_m14custom_greaterIaEEE10hipError_tT0_T1_T2_jT3_P12ihipStream_tbPNSt15iterator_traitsISJ_E10value_typeEPNSP_ISK_E10value_typeEPSL_NS1_7vsmem_tEENKUlT_SJ_SK_SL_E_clISE_PaSF_SF_EESI_SY_SJ_SK_SL_EUlSY_E1_NS1_11comp_targetILNS1_3genE9ELNS1_11target_archE1100ELNS1_3gpuE3ELNS1_3repE0EEENS1_36merge_oddeven_config_static_selectorELNS0_4arch9wavefront6targetE1EEEvSK_
		.amdhsa_group_segment_fixed_size 0
		.amdhsa_private_segment_fixed_size 0
		.amdhsa_kernarg_size 56
		.amdhsa_user_sgpr_count 6
		.amdhsa_user_sgpr_private_segment_buffer 1
		.amdhsa_user_sgpr_dispatch_ptr 0
		.amdhsa_user_sgpr_queue_ptr 0
		.amdhsa_user_sgpr_kernarg_segment_ptr 1
		.amdhsa_user_sgpr_dispatch_id 0
		.amdhsa_user_sgpr_flat_scratch_init 0
		.amdhsa_user_sgpr_kernarg_preload_length 0
		.amdhsa_user_sgpr_kernarg_preload_offset 0
		.amdhsa_user_sgpr_private_segment_size 0
		.amdhsa_uses_dynamic_stack 0
		.amdhsa_system_sgpr_private_segment_wavefront_offset 0
		.amdhsa_system_sgpr_workgroup_id_x 1
		.amdhsa_system_sgpr_workgroup_id_y 0
		.amdhsa_system_sgpr_workgroup_id_z 0
		.amdhsa_system_sgpr_workgroup_info 0
		.amdhsa_system_vgpr_workitem_id 0
		.amdhsa_next_free_vgpr 1
		.amdhsa_next_free_sgpr 0
		.amdhsa_accum_offset 4
		.amdhsa_reserve_vcc 0
		.amdhsa_reserve_flat_scratch 0
		.amdhsa_float_round_mode_32 0
		.amdhsa_float_round_mode_16_64 0
		.amdhsa_float_denorm_mode_32 3
		.amdhsa_float_denorm_mode_16_64 3
		.amdhsa_dx10_clamp 1
		.amdhsa_ieee_mode 1
		.amdhsa_fp16_overflow 0
		.amdhsa_tg_split 0
		.amdhsa_exception_fp_ieee_invalid_op 0
		.amdhsa_exception_fp_denorm_src 0
		.amdhsa_exception_fp_ieee_div_zero 0
		.amdhsa_exception_fp_ieee_overflow 0
		.amdhsa_exception_fp_ieee_underflow 0
		.amdhsa_exception_fp_ieee_inexact 0
		.amdhsa_exception_int_div_zero 0
	.end_amdhsa_kernel
	.section	.text._ZN7rocprim17ROCPRIM_400000_NS6detail17trampoline_kernelINS0_14default_configENS1_38merge_sort_block_merge_config_selectorIaNS0_10empty_typeEEEZZNS1_27merge_sort_block_merge_implIS3_N6thrust23THRUST_200600_302600_NS6detail15normal_iteratorINS9_10device_ptrIaEEEEPS5_m14custom_greaterIaEEE10hipError_tT0_T1_T2_jT3_P12ihipStream_tbPNSt15iterator_traitsISJ_E10value_typeEPNSP_ISK_E10value_typeEPSL_NS1_7vsmem_tEENKUlT_SJ_SK_SL_E_clISE_PaSF_SF_EESI_SY_SJ_SK_SL_EUlSY_E1_NS1_11comp_targetILNS1_3genE9ELNS1_11target_archE1100ELNS1_3gpuE3ELNS1_3repE0EEENS1_36merge_oddeven_config_static_selectorELNS0_4arch9wavefront6targetE1EEEvSK_,"axG",@progbits,_ZN7rocprim17ROCPRIM_400000_NS6detail17trampoline_kernelINS0_14default_configENS1_38merge_sort_block_merge_config_selectorIaNS0_10empty_typeEEEZZNS1_27merge_sort_block_merge_implIS3_N6thrust23THRUST_200600_302600_NS6detail15normal_iteratorINS9_10device_ptrIaEEEEPS5_m14custom_greaterIaEEE10hipError_tT0_T1_T2_jT3_P12ihipStream_tbPNSt15iterator_traitsISJ_E10value_typeEPNSP_ISK_E10value_typeEPSL_NS1_7vsmem_tEENKUlT_SJ_SK_SL_E_clISE_PaSF_SF_EESI_SY_SJ_SK_SL_EUlSY_E1_NS1_11comp_targetILNS1_3genE9ELNS1_11target_archE1100ELNS1_3gpuE3ELNS1_3repE0EEENS1_36merge_oddeven_config_static_selectorELNS0_4arch9wavefront6targetE1EEEvSK_,comdat
.Lfunc_end2831:
	.size	_ZN7rocprim17ROCPRIM_400000_NS6detail17trampoline_kernelINS0_14default_configENS1_38merge_sort_block_merge_config_selectorIaNS0_10empty_typeEEEZZNS1_27merge_sort_block_merge_implIS3_N6thrust23THRUST_200600_302600_NS6detail15normal_iteratorINS9_10device_ptrIaEEEEPS5_m14custom_greaterIaEEE10hipError_tT0_T1_T2_jT3_P12ihipStream_tbPNSt15iterator_traitsISJ_E10value_typeEPNSP_ISK_E10value_typeEPSL_NS1_7vsmem_tEENKUlT_SJ_SK_SL_E_clISE_PaSF_SF_EESI_SY_SJ_SK_SL_EUlSY_E1_NS1_11comp_targetILNS1_3genE9ELNS1_11target_archE1100ELNS1_3gpuE3ELNS1_3repE0EEENS1_36merge_oddeven_config_static_selectorELNS0_4arch9wavefront6targetE1EEEvSK_, .Lfunc_end2831-_ZN7rocprim17ROCPRIM_400000_NS6detail17trampoline_kernelINS0_14default_configENS1_38merge_sort_block_merge_config_selectorIaNS0_10empty_typeEEEZZNS1_27merge_sort_block_merge_implIS3_N6thrust23THRUST_200600_302600_NS6detail15normal_iteratorINS9_10device_ptrIaEEEEPS5_m14custom_greaterIaEEE10hipError_tT0_T1_T2_jT3_P12ihipStream_tbPNSt15iterator_traitsISJ_E10value_typeEPNSP_ISK_E10value_typeEPSL_NS1_7vsmem_tEENKUlT_SJ_SK_SL_E_clISE_PaSF_SF_EESI_SY_SJ_SK_SL_EUlSY_E1_NS1_11comp_targetILNS1_3genE9ELNS1_11target_archE1100ELNS1_3gpuE3ELNS1_3repE0EEENS1_36merge_oddeven_config_static_selectorELNS0_4arch9wavefront6targetE1EEEvSK_
                                        ; -- End function
	.section	.AMDGPU.csdata,"",@progbits
; Kernel info:
; codeLenInByte = 0
; NumSgprs: 4
; NumVgprs: 0
; NumAgprs: 0
; TotalNumVgprs: 0
; ScratchSize: 0
; MemoryBound: 0
; FloatMode: 240
; IeeeMode: 1
; LDSByteSize: 0 bytes/workgroup (compile time only)
; SGPRBlocks: 0
; VGPRBlocks: 0
; NumSGPRsForWavesPerEU: 4
; NumVGPRsForWavesPerEU: 1
; AccumOffset: 4
; Occupancy: 8
; WaveLimiterHint : 0
; COMPUTE_PGM_RSRC2:SCRATCH_EN: 0
; COMPUTE_PGM_RSRC2:USER_SGPR: 6
; COMPUTE_PGM_RSRC2:TRAP_HANDLER: 0
; COMPUTE_PGM_RSRC2:TGID_X_EN: 1
; COMPUTE_PGM_RSRC2:TGID_Y_EN: 0
; COMPUTE_PGM_RSRC2:TGID_Z_EN: 0
; COMPUTE_PGM_RSRC2:TIDIG_COMP_CNT: 0
; COMPUTE_PGM_RSRC3_GFX90A:ACCUM_OFFSET: 0
; COMPUTE_PGM_RSRC3_GFX90A:TG_SPLIT: 0
	.section	.text._ZN7rocprim17ROCPRIM_400000_NS6detail17trampoline_kernelINS0_14default_configENS1_38merge_sort_block_merge_config_selectorIaNS0_10empty_typeEEEZZNS1_27merge_sort_block_merge_implIS3_N6thrust23THRUST_200600_302600_NS6detail15normal_iteratorINS9_10device_ptrIaEEEEPS5_m14custom_greaterIaEEE10hipError_tT0_T1_T2_jT3_P12ihipStream_tbPNSt15iterator_traitsISJ_E10value_typeEPNSP_ISK_E10value_typeEPSL_NS1_7vsmem_tEENKUlT_SJ_SK_SL_E_clISE_PaSF_SF_EESI_SY_SJ_SK_SL_EUlSY_E1_NS1_11comp_targetILNS1_3genE8ELNS1_11target_archE1030ELNS1_3gpuE2ELNS1_3repE0EEENS1_36merge_oddeven_config_static_selectorELNS0_4arch9wavefront6targetE1EEEvSK_,"axG",@progbits,_ZN7rocprim17ROCPRIM_400000_NS6detail17trampoline_kernelINS0_14default_configENS1_38merge_sort_block_merge_config_selectorIaNS0_10empty_typeEEEZZNS1_27merge_sort_block_merge_implIS3_N6thrust23THRUST_200600_302600_NS6detail15normal_iteratorINS9_10device_ptrIaEEEEPS5_m14custom_greaterIaEEE10hipError_tT0_T1_T2_jT3_P12ihipStream_tbPNSt15iterator_traitsISJ_E10value_typeEPNSP_ISK_E10value_typeEPSL_NS1_7vsmem_tEENKUlT_SJ_SK_SL_E_clISE_PaSF_SF_EESI_SY_SJ_SK_SL_EUlSY_E1_NS1_11comp_targetILNS1_3genE8ELNS1_11target_archE1030ELNS1_3gpuE2ELNS1_3repE0EEENS1_36merge_oddeven_config_static_selectorELNS0_4arch9wavefront6targetE1EEEvSK_,comdat
	.protected	_ZN7rocprim17ROCPRIM_400000_NS6detail17trampoline_kernelINS0_14default_configENS1_38merge_sort_block_merge_config_selectorIaNS0_10empty_typeEEEZZNS1_27merge_sort_block_merge_implIS3_N6thrust23THRUST_200600_302600_NS6detail15normal_iteratorINS9_10device_ptrIaEEEEPS5_m14custom_greaterIaEEE10hipError_tT0_T1_T2_jT3_P12ihipStream_tbPNSt15iterator_traitsISJ_E10value_typeEPNSP_ISK_E10value_typeEPSL_NS1_7vsmem_tEENKUlT_SJ_SK_SL_E_clISE_PaSF_SF_EESI_SY_SJ_SK_SL_EUlSY_E1_NS1_11comp_targetILNS1_3genE8ELNS1_11target_archE1030ELNS1_3gpuE2ELNS1_3repE0EEENS1_36merge_oddeven_config_static_selectorELNS0_4arch9wavefront6targetE1EEEvSK_ ; -- Begin function _ZN7rocprim17ROCPRIM_400000_NS6detail17trampoline_kernelINS0_14default_configENS1_38merge_sort_block_merge_config_selectorIaNS0_10empty_typeEEEZZNS1_27merge_sort_block_merge_implIS3_N6thrust23THRUST_200600_302600_NS6detail15normal_iteratorINS9_10device_ptrIaEEEEPS5_m14custom_greaterIaEEE10hipError_tT0_T1_T2_jT3_P12ihipStream_tbPNSt15iterator_traitsISJ_E10value_typeEPNSP_ISK_E10value_typeEPSL_NS1_7vsmem_tEENKUlT_SJ_SK_SL_E_clISE_PaSF_SF_EESI_SY_SJ_SK_SL_EUlSY_E1_NS1_11comp_targetILNS1_3genE8ELNS1_11target_archE1030ELNS1_3gpuE2ELNS1_3repE0EEENS1_36merge_oddeven_config_static_selectorELNS0_4arch9wavefront6targetE1EEEvSK_
	.globl	_ZN7rocprim17ROCPRIM_400000_NS6detail17trampoline_kernelINS0_14default_configENS1_38merge_sort_block_merge_config_selectorIaNS0_10empty_typeEEEZZNS1_27merge_sort_block_merge_implIS3_N6thrust23THRUST_200600_302600_NS6detail15normal_iteratorINS9_10device_ptrIaEEEEPS5_m14custom_greaterIaEEE10hipError_tT0_T1_T2_jT3_P12ihipStream_tbPNSt15iterator_traitsISJ_E10value_typeEPNSP_ISK_E10value_typeEPSL_NS1_7vsmem_tEENKUlT_SJ_SK_SL_E_clISE_PaSF_SF_EESI_SY_SJ_SK_SL_EUlSY_E1_NS1_11comp_targetILNS1_3genE8ELNS1_11target_archE1030ELNS1_3gpuE2ELNS1_3repE0EEENS1_36merge_oddeven_config_static_selectorELNS0_4arch9wavefront6targetE1EEEvSK_
	.p2align	8
	.type	_ZN7rocprim17ROCPRIM_400000_NS6detail17trampoline_kernelINS0_14default_configENS1_38merge_sort_block_merge_config_selectorIaNS0_10empty_typeEEEZZNS1_27merge_sort_block_merge_implIS3_N6thrust23THRUST_200600_302600_NS6detail15normal_iteratorINS9_10device_ptrIaEEEEPS5_m14custom_greaterIaEEE10hipError_tT0_T1_T2_jT3_P12ihipStream_tbPNSt15iterator_traitsISJ_E10value_typeEPNSP_ISK_E10value_typeEPSL_NS1_7vsmem_tEENKUlT_SJ_SK_SL_E_clISE_PaSF_SF_EESI_SY_SJ_SK_SL_EUlSY_E1_NS1_11comp_targetILNS1_3genE8ELNS1_11target_archE1030ELNS1_3gpuE2ELNS1_3repE0EEENS1_36merge_oddeven_config_static_selectorELNS0_4arch9wavefront6targetE1EEEvSK_,@function
_ZN7rocprim17ROCPRIM_400000_NS6detail17trampoline_kernelINS0_14default_configENS1_38merge_sort_block_merge_config_selectorIaNS0_10empty_typeEEEZZNS1_27merge_sort_block_merge_implIS3_N6thrust23THRUST_200600_302600_NS6detail15normal_iteratorINS9_10device_ptrIaEEEEPS5_m14custom_greaterIaEEE10hipError_tT0_T1_T2_jT3_P12ihipStream_tbPNSt15iterator_traitsISJ_E10value_typeEPNSP_ISK_E10value_typeEPSL_NS1_7vsmem_tEENKUlT_SJ_SK_SL_E_clISE_PaSF_SF_EESI_SY_SJ_SK_SL_EUlSY_E1_NS1_11comp_targetILNS1_3genE8ELNS1_11target_archE1030ELNS1_3gpuE2ELNS1_3repE0EEENS1_36merge_oddeven_config_static_selectorELNS0_4arch9wavefront6targetE1EEEvSK_: ; @_ZN7rocprim17ROCPRIM_400000_NS6detail17trampoline_kernelINS0_14default_configENS1_38merge_sort_block_merge_config_selectorIaNS0_10empty_typeEEEZZNS1_27merge_sort_block_merge_implIS3_N6thrust23THRUST_200600_302600_NS6detail15normal_iteratorINS9_10device_ptrIaEEEEPS5_m14custom_greaterIaEEE10hipError_tT0_T1_T2_jT3_P12ihipStream_tbPNSt15iterator_traitsISJ_E10value_typeEPNSP_ISK_E10value_typeEPSL_NS1_7vsmem_tEENKUlT_SJ_SK_SL_E_clISE_PaSF_SF_EESI_SY_SJ_SK_SL_EUlSY_E1_NS1_11comp_targetILNS1_3genE8ELNS1_11target_archE1030ELNS1_3gpuE2ELNS1_3repE0EEENS1_36merge_oddeven_config_static_selectorELNS0_4arch9wavefront6targetE1EEEvSK_
; %bb.0:
	.section	.rodata,"a",@progbits
	.p2align	6, 0x0
	.amdhsa_kernel _ZN7rocprim17ROCPRIM_400000_NS6detail17trampoline_kernelINS0_14default_configENS1_38merge_sort_block_merge_config_selectorIaNS0_10empty_typeEEEZZNS1_27merge_sort_block_merge_implIS3_N6thrust23THRUST_200600_302600_NS6detail15normal_iteratorINS9_10device_ptrIaEEEEPS5_m14custom_greaterIaEEE10hipError_tT0_T1_T2_jT3_P12ihipStream_tbPNSt15iterator_traitsISJ_E10value_typeEPNSP_ISK_E10value_typeEPSL_NS1_7vsmem_tEENKUlT_SJ_SK_SL_E_clISE_PaSF_SF_EESI_SY_SJ_SK_SL_EUlSY_E1_NS1_11comp_targetILNS1_3genE8ELNS1_11target_archE1030ELNS1_3gpuE2ELNS1_3repE0EEENS1_36merge_oddeven_config_static_selectorELNS0_4arch9wavefront6targetE1EEEvSK_
		.amdhsa_group_segment_fixed_size 0
		.amdhsa_private_segment_fixed_size 0
		.amdhsa_kernarg_size 56
		.amdhsa_user_sgpr_count 6
		.amdhsa_user_sgpr_private_segment_buffer 1
		.amdhsa_user_sgpr_dispatch_ptr 0
		.amdhsa_user_sgpr_queue_ptr 0
		.amdhsa_user_sgpr_kernarg_segment_ptr 1
		.amdhsa_user_sgpr_dispatch_id 0
		.amdhsa_user_sgpr_flat_scratch_init 0
		.amdhsa_user_sgpr_kernarg_preload_length 0
		.amdhsa_user_sgpr_kernarg_preload_offset 0
		.amdhsa_user_sgpr_private_segment_size 0
		.amdhsa_uses_dynamic_stack 0
		.amdhsa_system_sgpr_private_segment_wavefront_offset 0
		.amdhsa_system_sgpr_workgroup_id_x 1
		.amdhsa_system_sgpr_workgroup_id_y 0
		.amdhsa_system_sgpr_workgroup_id_z 0
		.amdhsa_system_sgpr_workgroup_info 0
		.amdhsa_system_vgpr_workitem_id 0
		.amdhsa_next_free_vgpr 1
		.amdhsa_next_free_sgpr 0
		.amdhsa_accum_offset 4
		.amdhsa_reserve_vcc 0
		.amdhsa_reserve_flat_scratch 0
		.amdhsa_float_round_mode_32 0
		.amdhsa_float_round_mode_16_64 0
		.amdhsa_float_denorm_mode_32 3
		.amdhsa_float_denorm_mode_16_64 3
		.amdhsa_dx10_clamp 1
		.amdhsa_ieee_mode 1
		.amdhsa_fp16_overflow 0
		.amdhsa_tg_split 0
		.amdhsa_exception_fp_ieee_invalid_op 0
		.amdhsa_exception_fp_denorm_src 0
		.amdhsa_exception_fp_ieee_div_zero 0
		.amdhsa_exception_fp_ieee_overflow 0
		.amdhsa_exception_fp_ieee_underflow 0
		.amdhsa_exception_fp_ieee_inexact 0
		.amdhsa_exception_int_div_zero 0
	.end_amdhsa_kernel
	.section	.text._ZN7rocprim17ROCPRIM_400000_NS6detail17trampoline_kernelINS0_14default_configENS1_38merge_sort_block_merge_config_selectorIaNS0_10empty_typeEEEZZNS1_27merge_sort_block_merge_implIS3_N6thrust23THRUST_200600_302600_NS6detail15normal_iteratorINS9_10device_ptrIaEEEEPS5_m14custom_greaterIaEEE10hipError_tT0_T1_T2_jT3_P12ihipStream_tbPNSt15iterator_traitsISJ_E10value_typeEPNSP_ISK_E10value_typeEPSL_NS1_7vsmem_tEENKUlT_SJ_SK_SL_E_clISE_PaSF_SF_EESI_SY_SJ_SK_SL_EUlSY_E1_NS1_11comp_targetILNS1_3genE8ELNS1_11target_archE1030ELNS1_3gpuE2ELNS1_3repE0EEENS1_36merge_oddeven_config_static_selectorELNS0_4arch9wavefront6targetE1EEEvSK_,"axG",@progbits,_ZN7rocprim17ROCPRIM_400000_NS6detail17trampoline_kernelINS0_14default_configENS1_38merge_sort_block_merge_config_selectorIaNS0_10empty_typeEEEZZNS1_27merge_sort_block_merge_implIS3_N6thrust23THRUST_200600_302600_NS6detail15normal_iteratorINS9_10device_ptrIaEEEEPS5_m14custom_greaterIaEEE10hipError_tT0_T1_T2_jT3_P12ihipStream_tbPNSt15iterator_traitsISJ_E10value_typeEPNSP_ISK_E10value_typeEPSL_NS1_7vsmem_tEENKUlT_SJ_SK_SL_E_clISE_PaSF_SF_EESI_SY_SJ_SK_SL_EUlSY_E1_NS1_11comp_targetILNS1_3genE8ELNS1_11target_archE1030ELNS1_3gpuE2ELNS1_3repE0EEENS1_36merge_oddeven_config_static_selectorELNS0_4arch9wavefront6targetE1EEEvSK_,comdat
.Lfunc_end2832:
	.size	_ZN7rocprim17ROCPRIM_400000_NS6detail17trampoline_kernelINS0_14default_configENS1_38merge_sort_block_merge_config_selectorIaNS0_10empty_typeEEEZZNS1_27merge_sort_block_merge_implIS3_N6thrust23THRUST_200600_302600_NS6detail15normal_iteratorINS9_10device_ptrIaEEEEPS5_m14custom_greaterIaEEE10hipError_tT0_T1_T2_jT3_P12ihipStream_tbPNSt15iterator_traitsISJ_E10value_typeEPNSP_ISK_E10value_typeEPSL_NS1_7vsmem_tEENKUlT_SJ_SK_SL_E_clISE_PaSF_SF_EESI_SY_SJ_SK_SL_EUlSY_E1_NS1_11comp_targetILNS1_3genE8ELNS1_11target_archE1030ELNS1_3gpuE2ELNS1_3repE0EEENS1_36merge_oddeven_config_static_selectorELNS0_4arch9wavefront6targetE1EEEvSK_, .Lfunc_end2832-_ZN7rocprim17ROCPRIM_400000_NS6detail17trampoline_kernelINS0_14default_configENS1_38merge_sort_block_merge_config_selectorIaNS0_10empty_typeEEEZZNS1_27merge_sort_block_merge_implIS3_N6thrust23THRUST_200600_302600_NS6detail15normal_iteratorINS9_10device_ptrIaEEEEPS5_m14custom_greaterIaEEE10hipError_tT0_T1_T2_jT3_P12ihipStream_tbPNSt15iterator_traitsISJ_E10value_typeEPNSP_ISK_E10value_typeEPSL_NS1_7vsmem_tEENKUlT_SJ_SK_SL_E_clISE_PaSF_SF_EESI_SY_SJ_SK_SL_EUlSY_E1_NS1_11comp_targetILNS1_3genE8ELNS1_11target_archE1030ELNS1_3gpuE2ELNS1_3repE0EEENS1_36merge_oddeven_config_static_selectorELNS0_4arch9wavefront6targetE1EEEvSK_
                                        ; -- End function
	.section	.AMDGPU.csdata,"",@progbits
; Kernel info:
; codeLenInByte = 0
; NumSgprs: 4
; NumVgprs: 0
; NumAgprs: 0
; TotalNumVgprs: 0
; ScratchSize: 0
; MemoryBound: 0
; FloatMode: 240
; IeeeMode: 1
; LDSByteSize: 0 bytes/workgroup (compile time only)
; SGPRBlocks: 0
; VGPRBlocks: 0
; NumSGPRsForWavesPerEU: 4
; NumVGPRsForWavesPerEU: 1
; AccumOffset: 4
; Occupancy: 8
; WaveLimiterHint : 0
; COMPUTE_PGM_RSRC2:SCRATCH_EN: 0
; COMPUTE_PGM_RSRC2:USER_SGPR: 6
; COMPUTE_PGM_RSRC2:TRAP_HANDLER: 0
; COMPUTE_PGM_RSRC2:TGID_X_EN: 1
; COMPUTE_PGM_RSRC2:TGID_Y_EN: 0
; COMPUTE_PGM_RSRC2:TGID_Z_EN: 0
; COMPUTE_PGM_RSRC2:TIDIG_COMP_CNT: 0
; COMPUTE_PGM_RSRC3_GFX90A:ACCUM_OFFSET: 0
; COMPUTE_PGM_RSRC3_GFX90A:TG_SPLIT: 0
	.section	.text._ZN7rocprim17ROCPRIM_400000_NS6detail17trampoline_kernelINS0_14default_configENS1_25transform_config_selectorIaLb0EEEZNS1_14transform_implILb0ES3_S5_PaN6thrust23THRUST_200600_302600_NS6detail15normal_iteratorINS9_10device_ptrIaEEEENS0_8identityIaEEEE10hipError_tT2_T3_mT4_P12ihipStream_tbEUlT_E_NS1_11comp_targetILNS1_3genE0ELNS1_11target_archE4294967295ELNS1_3gpuE0ELNS1_3repE0EEENS1_30default_config_static_selectorELNS0_4arch9wavefront6targetE1EEEvT1_,"axG",@progbits,_ZN7rocprim17ROCPRIM_400000_NS6detail17trampoline_kernelINS0_14default_configENS1_25transform_config_selectorIaLb0EEEZNS1_14transform_implILb0ES3_S5_PaN6thrust23THRUST_200600_302600_NS6detail15normal_iteratorINS9_10device_ptrIaEEEENS0_8identityIaEEEE10hipError_tT2_T3_mT4_P12ihipStream_tbEUlT_E_NS1_11comp_targetILNS1_3genE0ELNS1_11target_archE4294967295ELNS1_3gpuE0ELNS1_3repE0EEENS1_30default_config_static_selectorELNS0_4arch9wavefront6targetE1EEEvT1_,comdat
	.protected	_ZN7rocprim17ROCPRIM_400000_NS6detail17trampoline_kernelINS0_14default_configENS1_25transform_config_selectorIaLb0EEEZNS1_14transform_implILb0ES3_S5_PaN6thrust23THRUST_200600_302600_NS6detail15normal_iteratorINS9_10device_ptrIaEEEENS0_8identityIaEEEE10hipError_tT2_T3_mT4_P12ihipStream_tbEUlT_E_NS1_11comp_targetILNS1_3genE0ELNS1_11target_archE4294967295ELNS1_3gpuE0ELNS1_3repE0EEENS1_30default_config_static_selectorELNS0_4arch9wavefront6targetE1EEEvT1_ ; -- Begin function _ZN7rocprim17ROCPRIM_400000_NS6detail17trampoline_kernelINS0_14default_configENS1_25transform_config_selectorIaLb0EEEZNS1_14transform_implILb0ES3_S5_PaN6thrust23THRUST_200600_302600_NS6detail15normal_iteratorINS9_10device_ptrIaEEEENS0_8identityIaEEEE10hipError_tT2_T3_mT4_P12ihipStream_tbEUlT_E_NS1_11comp_targetILNS1_3genE0ELNS1_11target_archE4294967295ELNS1_3gpuE0ELNS1_3repE0EEENS1_30default_config_static_selectorELNS0_4arch9wavefront6targetE1EEEvT1_
	.globl	_ZN7rocprim17ROCPRIM_400000_NS6detail17trampoline_kernelINS0_14default_configENS1_25transform_config_selectorIaLb0EEEZNS1_14transform_implILb0ES3_S5_PaN6thrust23THRUST_200600_302600_NS6detail15normal_iteratorINS9_10device_ptrIaEEEENS0_8identityIaEEEE10hipError_tT2_T3_mT4_P12ihipStream_tbEUlT_E_NS1_11comp_targetILNS1_3genE0ELNS1_11target_archE4294967295ELNS1_3gpuE0ELNS1_3repE0EEENS1_30default_config_static_selectorELNS0_4arch9wavefront6targetE1EEEvT1_
	.p2align	8
	.type	_ZN7rocprim17ROCPRIM_400000_NS6detail17trampoline_kernelINS0_14default_configENS1_25transform_config_selectorIaLb0EEEZNS1_14transform_implILb0ES3_S5_PaN6thrust23THRUST_200600_302600_NS6detail15normal_iteratorINS9_10device_ptrIaEEEENS0_8identityIaEEEE10hipError_tT2_T3_mT4_P12ihipStream_tbEUlT_E_NS1_11comp_targetILNS1_3genE0ELNS1_11target_archE4294967295ELNS1_3gpuE0ELNS1_3repE0EEENS1_30default_config_static_selectorELNS0_4arch9wavefront6targetE1EEEvT1_,@function
_ZN7rocprim17ROCPRIM_400000_NS6detail17trampoline_kernelINS0_14default_configENS1_25transform_config_selectorIaLb0EEEZNS1_14transform_implILb0ES3_S5_PaN6thrust23THRUST_200600_302600_NS6detail15normal_iteratorINS9_10device_ptrIaEEEENS0_8identityIaEEEE10hipError_tT2_T3_mT4_P12ihipStream_tbEUlT_E_NS1_11comp_targetILNS1_3genE0ELNS1_11target_archE4294967295ELNS1_3gpuE0ELNS1_3repE0EEENS1_30default_config_static_selectorELNS0_4arch9wavefront6targetE1EEEvT1_: ; @_ZN7rocprim17ROCPRIM_400000_NS6detail17trampoline_kernelINS0_14default_configENS1_25transform_config_selectorIaLb0EEEZNS1_14transform_implILb0ES3_S5_PaN6thrust23THRUST_200600_302600_NS6detail15normal_iteratorINS9_10device_ptrIaEEEENS0_8identityIaEEEE10hipError_tT2_T3_mT4_P12ihipStream_tbEUlT_E_NS1_11comp_targetILNS1_3genE0ELNS1_11target_archE4294967295ELNS1_3gpuE0ELNS1_3repE0EEENS1_30default_config_static_selectorELNS0_4arch9wavefront6targetE1EEEvT1_
; %bb.0:
	.section	.rodata,"a",@progbits
	.p2align	6, 0x0
	.amdhsa_kernel _ZN7rocprim17ROCPRIM_400000_NS6detail17trampoline_kernelINS0_14default_configENS1_25transform_config_selectorIaLb0EEEZNS1_14transform_implILb0ES3_S5_PaN6thrust23THRUST_200600_302600_NS6detail15normal_iteratorINS9_10device_ptrIaEEEENS0_8identityIaEEEE10hipError_tT2_T3_mT4_P12ihipStream_tbEUlT_E_NS1_11comp_targetILNS1_3genE0ELNS1_11target_archE4294967295ELNS1_3gpuE0ELNS1_3repE0EEENS1_30default_config_static_selectorELNS0_4arch9wavefront6targetE1EEEvT1_
		.amdhsa_group_segment_fixed_size 0
		.amdhsa_private_segment_fixed_size 0
		.amdhsa_kernarg_size 40
		.amdhsa_user_sgpr_count 6
		.amdhsa_user_sgpr_private_segment_buffer 1
		.amdhsa_user_sgpr_dispatch_ptr 0
		.amdhsa_user_sgpr_queue_ptr 0
		.amdhsa_user_sgpr_kernarg_segment_ptr 1
		.amdhsa_user_sgpr_dispatch_id 0
		.amdhsa_user_sgpr_flat_scratch_init 0
		.amdhsa_user_sgpr_kernarg_preload_length 0
		.amdhsa_user_sgpr_kernarg_preload_offset 0
		.amdhsa_user_sgpr_private_segment_size 0
		.amdhsa_uses_dynamic_stack 0
		.amdhsa_system_sgpr_private_segment_wavefront_offset 0
		.amdhsa_system_sgpr_workgroup_id_x 1
		.amdhsa_system_sgpr_workgroup_id_y 0
		.amdhsa_system_sgpr_workgroup_id_z 0
		.amdhsa_system_sgpr_workgroup_info 0
		.amdhsa_system_vgpr_workitem_id 0
		.amdhsa_next_free_vgpr 1
		.amdhsa_next_free_sgpr 0
		.amdhsa_accum_offset 4
		.amdhsa_reserve_vcc 0
		.amdhsa_reserve_flat_scratch 0
		.amdhsa_float_round_mode_32 0
		.amdhsa_float_round_mode_16_64 0
		.amdhsa_float_denorm_mode_32 3
		.amdhsa_float_denorm_mode_16_64 3
		.amdhsa_dx10_clamp 1
		.amdhsa_ieee_mode 1
		.amdhsa_fp16_overflow 0
		.amdhsa_tg_split 0
		.amdhsa_exception_fp_ieee_invalid_op 0
		.amdhsa_exception_fp_denorm_src 0
		.amdhsa_exception_fp_ieee_div_zero 0
		.amdhsa_exception_fp_ieee_overflow 0
		.amdhsa_exception_fp_ieee_underflow 0
		.amdhsa_exception_fp_ieee_inexact 0
		.amdhsa_exception_int_div_zero 0
	.end_amdhsa_kernel
	.section	.text._ZN7rocprim17ROCPRIM_400000_NS6detail17trampoline_kernelINS0_14default_configENS1_25transform_config_selectorIaLb0EEEZNS1_14transform_implILb0ES3_S5_PaN6thrust23THRUST_200600_302600_NS6detail15normal_iteratorINS9_10device_ptrIaEEEENS0_8identityIaEEEE10hipError_tT2_T3_mT4_P12ihipStream_tbEUlT_E_NS1_11comp_targetILNS1_3genE0ELNS1_11target_archE4294967295ELNS1_3gpuE0ELNS1_3repE0EEENS1_30default_config_static_selectorELNS0_4arch9wavefront6targetE1EEEvT1_,"axG",@progbits,_ZN7rocprim17ROCPRIM_400000_NS6detail17trampoline_kernelINS0_14default_configENS1_25transform_config_selectorIaLb0EEEZNS1_14transform_implILb0ES3_S5_PaN6thrust23THRUST_200600_302600_NS6detail15normal_iteratorINS9_10device_ptrIaEEEENS0_8identityIaEEEE10hipError_tT2_T3_mT4_P12ihipStream_tbEUlT_E_NS1_11comp_targetILNS1_3genE0ELNS1_11target_archE4294967295ELNS1_3gpuE0ELNS1_3repE0EEENS1_30default_config_static_selectorELNS0_4arch9wavefront6targetE1EEEvT1_,comdat
.Lfunc_end2833:
	.size	_ZN7rocprim17ROCPRIM_400000_NS6detail17trampoline_kernelINS0_14default_configENS1_25transform_config_selectorIaLb0EEEZNS1_14transform_implILb0ES3_S5_PaN6thrust23THRUST_200600_302600_NS6detail15normal_iteratorINS9_10device_ptrIaEEEENS0_8identityIaEEEE10hipError_tT2_T3_mT4_P12ihipStream_tbEUlT_E_NS1_11comp_targetILNS1_3genE0ELNS1_11target_archE4294967295ELNS1_3gpuE0ELNS1_3repE0EEENS1_30default_config_static_selectorELNS0_4arch9wavefront6targetE1EEEvT1_, .Lfunc_end2833-_ZN7rocprim17ROCPRIM_400000_NS6detail17trampoline_kernelINS0_14default_configENS1_25transform_config_selectorIaLb0EEEZNS1_14transform_implILb0ES3_S5_PaN6thrust23THRUST_200600_302600_NS6detail15normal_iteratorINS9_10device_ptrIaEEEENS0_8identityIaEEEE10hipError_tT2_T3_mT4_P12ihipStream_tbEUlT_E_NS1_11comp_targetILNS1_3genE0ELNS1_11target_archE4294967295ELNS1_3gpuE0ELNS1_3repE0EEENS1_30default_config_static_selectorELNS0_4arch9wavefront6targetE1EEEvT1_
                                        ; -- End function
	.section	.AMDGPU.csdata,"",@progbits
; Kernel info:
; codeLenInByte = 0
; NumSgprs: 4
; NumVgprs: 0
; NumAgprs: 0
; TotalNumVgprs: 0
; ScratchSize: 0
; MemoryBound: 0
; FloatMode: 240
; IeeeMode: 1
; LDSByteSize: 0 bytes/workgroup (compile time only)
; SGPRBlocks: 0
; VGPRBlocks: 0
; NumSGPRsForWavesPerEU: 4
; NumVGPRsForWavesPerEU: 1
; AccumOffset: 4
; Occupancy: 8
; WaveLimiterHint : 0
; COMPUTE_PGM_RSRC2:SCRATCH_EN: 0
; COMPUTE_PGM_RSRC2:USER_SGPR: 6
; COMPUTE_PGM_RSRC2:TRAP_HANDLER: 0
; COMPUTE_PGM_RSRC2:TGID_X_EN: 1
; COMPUTE_PGM_RSRC2:TGID_Y_EN: 0
; COMPUTE_PGM_RSRC2:TGID_Z_EN: 0
; COMPUTE_PGM_RSRC2:TIDIG_COMP_CNT: 0
; COMPUTE_PGM_RSRC3_GFX90A:ACCUM_OFFSET: 0
; COMPUTE_PGM_RSRC3_GFX90A:TG_SPLIT: 0
	.section	.text._ZN7rocprim17ROCPRIM_400000_NS6detail17trampoline_kernelINS0_14default_configENS1_25transform_config_selectorIaLb0EEEZNS1_14transform_implILb0ES3_S5_PaN6thrust23THRUST_200600_302600_NS6detail15normal_iteratorINS9_10device_ptrIaEEEENS0_8identityIaEEEE10hipError_tT2_T3_mT4_P12ihipStream_tbEUlT_E_NS1_11comp_targetILNS1_3genE5ELNS1_11target_archE942ELNS1_3gpuE9ELNS1_3repE0EEENS1_30default_config_static_selectorELNS0_4arch9wavefront6targetE1EEEvT1_,"axG",@progbits,_ZN7rocprim17ROCPRIM_400000_NS6detail17trampoline_kernelINS0_14default_configENS1_25transform_config_selectorIaLb0EEEZNS1_14transform_implILb0ES3_S5_PaN6thrust23THRUST_200600_302600_NS6detail15normal_iteratorINS9_10device_ptrIaEEEENS0_8identityIaEEEE10hipError_tT2_T3_mT4_P12ihipStream_tbEUlT_E_NS1_11comp_targetILNS1_3genE5ELNS1_11target_archE942ELNS1_3gpuE9ELNS1_3repE0EEENS1_30default_config_static_selectorELNS0_4arch9wavefront6targetE1EEEvT1_,comdat
	.protected	_ZN7rocprim17ROCPRIM_400000_NS6detail17trampoline_kernelINS0_14default_configENS1_25transform_config_selectorIaLb0EEEZNS1_14transform_implILb0ES3_S5_PaN6thrust23THRUST_200600_302600_NS6detail15normal_iteratorINS9_10device_ptrIaEEEENS0_8identityIaEEEE10hipError_tT2_T3_mT4_P12ihipStream_tbEUlT_E_NS1_11comp_targetILNS1_3genE5ELNS1_11target_archE942ELNS1_3gpuE9ELNS1_3repE0EEENS1_30default_config_static_selectorELNS0_4arch9wavefront6targetE1EEEvT1_ ; -- Begin function _ZN7rocprim17ROCPRIM_400000_NS6detail17trampoline_kernelINS0_14default_configENS1_25transform_config_selectorIaLb0EEEZNS1_14transform_implILb0ES3_S5_PaN6thrust23THRUST_200600_302600_NS6detail15normal_iteratorINS9_10device_ptrIaEEEENS0_8identityIaEEEE10hipError_tT2_T3_mT4_P12ihipStream_tbEUlT_E_NS1_11comp_targetILNS1_3genE5ELNS1_11target_archE942ELNS1_3gpuE9ELNS1_3repE0EEENS1_30default_config_static_selectorELNS0_4arch9wavefront6targetE1EEEvT1_
	.globl	_ZN7rocprim17ROCPRIM_400000_NS6detail17trampoline_kernelINS0_14default_configENS1_25transform_config_selectorIaLb0EEEZNS1_14transform_implILb0ES3_S5_PaN6thrust23THRUST_200600_302600_NS6detail15normal_iteratorINS9_10device_ptrIaEEEENS0_8identityIaEEEE10hipError_tT2_T3_mT4_P12ihipStream_tbEUlT_E_NS1_11comp_targetILNS1_3genE5ELNS1_11target_archE942ELNS1_3gpuE9ELNS1_3repE0EEENS1_30default_config_static_selectorELNS0_4arch9wavefront6targetE1EEEvT1_
	.p2align	8
	.type	_ZN7rocprim17ROCPRIM_400000_NS6detail17trampoline_kernelINS0_14default_configENS1_25transform_config_selectorIaLb0EEEZNS1_14transform_implILb0ES3_S5_PaN6thrust23THRUST_200600_302600_NS6detail15normal_iteratorINS9_10device_ptrIaEEEENS0_8identityIaEEEE10hipError_tT2_T3_mT4_P12ihipStream_tbEUlT_E_NS1_11comp_targetILNS1_3genE5ELNS1_11target_archE942ELNS1_3gpuE9ELNS1_3repE0EEENS1_30default_config_static_selectorELNS0_4arch9wavefront6targetE1EEEvT1_,@function
_ZN7rocprim17ROCPRIM_400000_NS6detail17trampoline_kernelINS0_14default_configENS1_25transform_config_selectorIaLb0EEEZNS1_14transform_implILb0ES3_S5_PaN6thrust23THRUST_200600_302600_NS6detail15normal_iteratorINS9_10device_ptrIaEEEENS0_8identityIaEEEE10hipError_tT2_T3_mT4_P12ihipStream_tbEUlT_E_NS1_11comp_targetILNS1_3genE5ELNS1_11target_archE942ELNS1_3gpuE9ELNS1_3repE0EEENS1_30default_config_static_selectorELNS0_4arch9wavefront6targetE1EEEvT1_: ; @_ZN7rocprim17ROCPRIM_400000_NS6detail17trampoline_kernelINS0_14default_configENS1_25transform_config_selectorIaLb0EEEZNS1_14transform_implILb0ES3_S5_PaN6thrust23THRUST_200600_302600_NS6detail15normal_iteratorINS9_10device_ptrIaEEEENS0_8identityIaEEEE10hipError_tT2_T3_mT4_P12ihipStream_tbEUlT_E_NS1_11comp_targetILNS1_3genE5ELNS1_11target_archE942ELNS1_3gpuE9ELNS1_3repE0EEENS1_30default_config_static_selectorELNS0_4arch9wavefront6targetE1EEEvT1_
; %bb.0:
	.section	.rodata,"a",@progbits
	.p2align	6, 0x0
	.amdhsa_kernel _ZN7rocprim17ROCPRIM_400000_NS6detail17trampoline_kernelINS0_14default_configENS1_25transform_config_selectorIaLb0EEEZNS1_14transform_implILb0ES3_S5_PaN6thrust23THRUST_200600_302600_NS6detail15normal_iteratorINS9_10device_ptrIaEEEENS0_8identityIaEEEE10hipError_tT2_T3_mT4_P12ihipStream_tbEUlT_E_NS1_11comp_targetILNS1_3genE5ELNS1_11target_archE942ELNS1_3gpuE9ELNS1_3repE0EEENS1_30default_config_static_selectorELNS0_4arch9wavefront6targetE1EEEvT1_
		.amdhsa_group_segment_fixed_size 0
		.amdhsa_private_segment_fixed_size 0
		.amdhsa_kernarg_size 40
		.amdhsa_user_sgpr_count 6
		.amdhsa_user_sgpr_private_segment_buffer 1
		.amdhsa_user_sgpr_dispatch_ptr 0
		.amdhsa_user_sgpr_queue_ptr 0
		.amdhsa_user_sgpr_kernarg_segment_ptr 1
		.amdhsa_user_sgpr_dispatch_id 0
		.amdhsa_user_sgpr_flat_scratch_init 0
		.amdhsa_user_sgpr_kernarg_preload_length 0
		.amdhsa_user_sgpr_kernarg_preload_offset 0
		.amdhsa_user_sgpr_private_segment_size 0
		.amdhsa_uses_dynamic_stack 0
		.amdhsa_system_sgpr_private_segment_wavefront_offset 0
		.amdhsa_system_sgpr_workgroup_id_x 1
		.amdhsa_system_sgpr_workgroup_id_y 0
		.amdhsa_system_sgpr_workgroup_id_z 0
		.amdhsa_system_sgpr_workgroup_info 0
		.amdhsa_system_vgpr_workitem_id 0
		.amdhsa_next_free_vgpr 1
		.amdhsa_next_free_sgpr 0
		.amdhsa_accum_offset 4
		.amdhsa_reserve_vcc 0
		.amdhsa_reserve_flat_scratch 0
		.amdhsa_float_round_mode_32 0
		.amdhsa_float_round_mode_16_64 0
		.amdhsa_float_denorm_mode_32 3
		.amdhsa_float_denorm_mode_16_64 3
		.amdhsa_dx10_clamp 1
		.amdhsa_ieee_mode 1
		.amdhsa_fp16_overflow 0
		.amdhsa_tg_split 0
		.amdhsa_exception_fp_ieee_invalid_op 0
		.amdhsa_exception_fp_denorm_src 0
		.amdhsa_exception_fp_ieee_div_zero 0
		.amdhsa_exception_fp_ieee_overflow 0
		.amdhsa_exception_fp_ieee_underflow 0
		.amdhsa_exception_fp_ieee_inexact 0
		.amdhsa_exception_int_div_zero 0
	.end_amdhsa_kernel
	.section	.text._ZN7rocprim17ROCPRIM_400000_NS6detail17trampoline_kernelINS0_14default_configENS1_25transform_config_selectorIaLb0EEEZNS1_14transform_implILb0ES3_S5_PaN6thrust23THRUST_200600_302600_NS6detail15normal_iteratorINS9_10device_ptrIaEEEENS0_8identityIaEEEE10hipError_tT2_T3_mT4_P12ihipStream_tbEUlT_E_NS1_11comp_targetILNS1_3genE5ELNS1_11target_archE942ELNS1_3gpuE9ELNS1_3repE0EEENS1_30default_config_static_selectorELNS0_4arch9wavefront6targetE1EEEvT1_,"axG",@progbits,_ZN7rocprim17ROCPRIM_400000_NS6detail17trampoline_kernelINS0_14default_configENS1_25transform_config_selectorIaLb0EEEZNS1_14transform_implILb0ES3_S5_PaN6thrust23THRUST_200600_302600_NS6detail15normal_iteratorINS9_10device_ptrIaEEEENS0_8identityIaEEEE10hipError_tT2_T3_mT4_P12ihipStream_tbEUlT_E_NS1_11comp_targetILNS1_3genE5ELNS1_11target_archE942ELNS1_3gpuE9ELNS1_3repE0EEENS1_30default_config_static_selectorELNS0_4arch9wavefront6targetE1EEEvT1_,comdat
.Lfunc_end2834:
	.size	_ZN7rocprim17ROCPRIM_400000_NS6detail17trampoline_kernelINS0_14default_configENS1_25transform_config_selectorIaLb0EEEZNS1_14transform_implILb0ES3_S5_PaN6thrust23THRUST_200600_302600_NS6detail15normal_iteratorINS9_10device_ptrIaEEEENS0_8identityIaEEEE10hipError_tT2_T3_mT4_P12ihipStream_tbEUlT_E_NS1_11comp_targetILNS1_3genE5ELNS1_11target_archE942ELNS1_3gpuE9ELNS1_3repE0EEENS1_30default_config_static_selectorELNS0_4arch9wavefront6targetE1EEEvT1_, .Lfunc_end2834-_ZN7rocprim17ROCPRIM_400000_NS6detail17trampoline_kernelINS0_14default_configENS1_25transform_config_selectorIaLb0EEEZNS1_14transform_implILb0ES3_S5_PaN6thrust23THRUST_200600_302600_NS6detail15normal_iteratorINS9_10device_ptrIaEEEENS0_8identityIaEEEE10hipError_tT2_T3_mT4_P12ihipStream_tbEUlT_E_NS1_11comp_targetILNS1_3genE5ELNS1_11target_archE942ELNS1_3gpuE9ELNS1_3repE0EEENS1_30default_config_static_selectorELNS0_4arch9wavefront6targetE1EEEvT1_
                                        ; -- End function
	.section	.AMDGPU.csdata,"",@progbits
; Kernel info:
; codeLenInByte = 0
; NumSgprs: 4
; NumVgprs: 0
; NumAgprs: 0
; TotalNumVgprs: 0
; ScratchSize: 0
; MemoryBound: 0
; FloatMode: 240
; IeeeMode: 1
; LDSByteSize: 0 bytes/workgroup (compile time only)
; SGPRBlocks: 0
; VGPRBlocks: 0
; NumSGPRsForWavesPerEU: 4
; NumVGPRsForWavesPerEU: 1
; AccumOffset: 4
; Occupancy: 8
; WaveLimiterHint : 0
; COMPUTE_PGM_RSRC2:SCRATCH_EN: 0
; COMPUTE_PGM_RSRC2:USER_SGPR: 6
; COMPUTE_PGM_RSRC2:TRAP_HANDLER: 0
; COMPUTE_PGM_RSRC2:TGID_X_EN: 1
; COMPUTE_PGM_RSRC2:TGID_Y_EN: 0
; COMPUTE_PGM_RSRC2:TGID_Z_EN: 0
; COMPUTE_PGM_RSRC2:TIDIG_COMP_CNT: 0
; COMPUTE_PGM_RSRC3_GFX90A:ACCUM_OFFSET: 0
; COMPUTE_PGM_RSRC3_GFX90A:TG_SPLIT: 0
	.section	.text._ZN7rocprim17ROCPRIM_400000_NS6detail17trampoline_kernelINS0_14default_configENS1_25transform_config_selectorIaLb0EEEZNS1_14transform_implILb0ES3_S5_PaN6thrust23THRUST_200600_302600_NS6detail15normal_iteratorINS9_10device_ptrIaEEEENS0_8identityIaEEEE10hipError_tT2_T3_mT4_P12ihipStream_tbEUlT_E_NS1_11comp_targetILNS1_3genE4ELNS1_11target_archE910ELNS1_3gpuE8ELNS1_3repE0EEENS1_30default_config_static_selectorELNS0_4arch9wavefront6targetE1EEEvT1_,"axG",@progbits,_ZN7rocprim17ROCPRIM_400000_NS6detail17trampoline_kernelINS0_14default_configENS1_25transform_config_selectorIaLb0EEEZNS1_14transform_implILb0ES3_S5_PaN6thrust23THRUST_200600_302600_NS6detail15normal_iteratorINS9_10device_ptrIaEEEENS0_8identityIaEEEE10hipError_tT2_T3_mT4_P12ihipStream_tbEUlT_E_NS1_11comp_targetILNS1_3genE4ELNS1_11target_archE910ELNS1_3gpuE8ELNS1_3repE0EEENS1_30default_config_static_selectorELNS0_4arch9wavefront6targetE1EEEvT1_,comdat
	.protected	_ZN7rocprim17ROCPRIM_400000_NS6detail17trampoline_kernelINS0_14default_configENS1_25transform_config_selectorIaLb0EEEZNS1_14transform_implILb0ES3_S5_PaN6thrust23THRUST_200600_302600_NS6detail15normal_iteratorINS9_10device_ptrIaEEEENS0_8identityIaEEEE10hipError_tT2_T3_mT4_P12ihipStream_tbEUlT_E_NS1_11comp_targetILNS1_3genE4ELNS1_11target_archE910ELNS1_3gpuE8ELNS1_3repE0EEENS1_30default_config_static_selectorELNS0_4arch9wavefront6targetE1EEEvT1_ ; -- Begin function _ZN7rocprim17ROCPRIM_400000_NS6detail17trampoline_kernelINS0_14default_configENS1_25transform_config_selectorIaLb0EEEZNS1_14transform_implILb0ES3_S5_PaN6thrust23THRUST_200600_302600_NS6detail15normal_iteratorINS9_10device_ptrIaEEEENS0_8identityIaEEEE10hipError_tT2_T3_mT4_P12ihipStream_tbEUlT_E_NS1_11comp_targetILNS1_3genE4ELNS1_11target_archE910ELNS1_3gpuE8ELNS1_3repE0EEENS1_30default_config_static_selectorELNS0_4arch9wavefront6targetE1EEEvT1_
	.globl	_ZN7rocprim17ROCPRIM_400000_NS6detail17trampoline_kernelINS0_14default_configENS1_25transform_config_selectorIaLb0EEEZNS1_14transform_implILb0ES3_S5_PaN6thrust23THRUST_200600_302600_NS6detail15normal_iteratorINS9_10device_ptrIaEEEENS0_8identityIaEEEE10hipError_tT2_T3_mT4_P12ihipStream_tbEUlT_E_NS1_11comp_targetILNS1_3genE4ELNS1_11target_archE910ELNS1_3gpuE8ELNS1_3repE0EEENS1_30default_config_static_selectorELNS0_4arch9wavefront6targetE1EEEvT1_
	.p2align	8
	.type	_ZN7rocprim17ROCPRIM_400000_NS6detail17trampoline_kernelINS0_14default_configENS1_25transform_config_selectorIaLb0EEEZNS1_14transform_implILb0ES3_S5_PaN6thrust23THRUST_200600_302600_NS6detail15normal_iteratorINS9_10device_ptrIaEEEENS0_8identityIaEEEE10hipError_tT2_T3_mT4_P12ihipStream_tbEUlT_E_NS1_11comp_targetILNS1_3genE4ELNS1_11target_archE910ELNS1_3gpuE8ELNS1_3repE0EEENS1_30default_config_static_selectorELNS0_4arch9wavefront6targetE1EEEvT1_,@function
_ZN7rocprim17ROCPRIM_400000_NS6detail17trampoline_kernelINS0_14default_configENS1_25transform_config_selectorIaLb0EEEZNS1_14transform_implILb0ES3_S5_PaN6thrust23THRUST_200600_302600_NS6detail15normal_iteratorINS9_10device_ptrIaEEEENS0_8identityIaEEEE10hipError_tT2_T3_mT4_P12ihipStream_tbEUlT_E_NS1_11comp_targetILNS1_3genE4ELNS1_11target_archE910ELNS1_3gpuE8ELNS1_3repE0EEENS1_30default_config_static_selectorELNS0_4arch9wavefront6targetE1EEEvT1_: ; @_ZN7rocprim17ROCPRIM_400000_NS6detail17trampoline_kernelINS0_14default_configENS1_25transform_config_selectorIaLb0EEEZNS1_14transform_implILb0ES3_S5_PaN6thrust23THRUST_200600_302600_NS6detail15normal_iteratorINS9_10device_ptrIaEEEENS0_8identityIaEEEE10hipError_tT2_T3_mT4_P12ihipStream_tbEUlT_E_NS1_11comp_targetILNS1_3genE4ELNS1_11target_archE910ELNS1_3gpuE8ELNS1_3repE0EEENS1_30default_config_static_selectorELNS0_4arch9wavefront6targetE1EEEvT1_
; %bb.0:
	s_load_dwordx8 s[8:15], s[4:5], 0x0
	s_load_dword s0, s[4:5], 0x28
	s_waitcnt lgkmcnt(0)
	s_add_u32 s1, s8, s10
	s_addc_u32 s2, s9, s11
	s_add_u32 s33, s14, s10
	s_addc_u32 s38, s15, s11
	s_lshl_b32 s39, s6, 10
	s_add_i32 s0, s0, -1
	s_add_u32 s36, s1, s39
	s_addc_u32 s37, s2, 0
	s_cmp_lg_u32 s6, s0
	s_cbranch_scc0 .LBB2835_2
; %bb.1:
	global_load_ubyte v1, v0, s[36:37]
	global_load_ubyte v5, v0, s[36:37] offset:64
	global_load_ubyte v6, v0, s[36:37] offset:128
	;; [unrolled: 1-line block ×15, first 2 shown]
	s_add_u32 s2, s33, s39
	s_addc_u32 s3, s38, 0
	v_mov_b32_e32 v3, s3
	v_add_co_u32_e32 v2, vcc, s2, v0
	v_addc_co_u32_e32 v3, vcc, 0, v3, vcc
	s_mov_b64 s[34:35], -1
	s_waitcnt vmcnt(15)
	flat_store_byte v[2:3], v1
	s_waitcnt vmcnt(0)
	flat_store_byte v[2:3], v5 offset:64
	flat_store_byte v[2:3], v6 offset:128
	;; [unrolled: 1-line block ×14, first 2 shown]
	s_cbranch_execz .LBB2835_3
	s_branch .LBB2835_70
.LBB2835_2:
	s_mov_b64 s[34:35], 0
                                        ; implicit-def: $vgpr4
                                        ; implicit-def: $vgpr2_vgpr3
.LBB2835_3:
	s_sub_i32 s30, s12, s39
	v_cmp_gt_u32_e32 vcc, s30, v0
                                        ; implicit-def: $vgpr1
	s_and_saveexec_b64 s[0:1], vcc
	s_cbranch_execz .LBB2835_5
; %bb.4:
	global_load_ubyte v1, v0, s[36:37]
.LBB2835_5:
	s_or_b64 exec, exec, s[0:1]
	v_or_b32_e32 v2, 64, v0
	v_cmp_gt_u32_e64 s[0:1], s30, v2
                                        ; implicit-def: $vgpr4
	s_and_saveexec_b64 s[2:3], s[0:1]
	s_cbranch_execz .LBB2835_7
; %bb.6:
	global_load_ubyte v4, v0, s[36:37] offset:64
.LBB2835_7:
	s_or_b64 exec, exec, s[2:3]
	v_or_b32_e32 v2, 0x80, v0
	v_cmp_gt_u32_e64 s[2:3], s30, v2
                                        ; implicit-def: $vgpr5
	s_and_saveexec_b64 s[4:5], s[2:3]
	s_cbranch_execz .LBB2835_9
; %bb.8:
	global_load_ubyte v5, v0, s[36:37] offset:128
.LBB2835_9:
	s_or_b64 exec, exec, s[4:5]
	v_or_b32_e32 v2, 0xc0, v0
	v_cmp_gt_u32_e64 s[4:5], s30, v2
                                        ; implicit-def: $vgpr6
	s_and_saveexec_b64 s[6:7], s[4:5]
	s_cbranch_execz .LBB2835_11
; %bb.10:
	global_load_ubyte v6, v0, s[36:37] offset:192
.LBB2835_11:
	s_or_b64 exec, exec, s[6:7]
	v_or_b32_e32 v2, 0x100, v0
	v_cmp_gt_u32_e64 s[6:7], s30, v2
                                        ; implicit-def: $vgpr7
	s_and_saveexec_b64 s[8:9], s[6:7]
	s_cbranch_execz .LBB2835_13
; %bb.12:
	global_load_ubyte v7, v0, s[36:37] offset:256
.LBB2835_13:
	s_or_b64 exec, exec, s[8:9]
	v_or_b32_e32 v2, 0x140, v0
	v_cmp_gt_u32_e64 s[8:9], s30, v2
                                        ; implicit-def: $vgpr8
	s_and_saveexec_b64 s[10:11], s[8:9]
	s_cbranch_execz .LBB2835_15
; %bb.14:
	global_load_ubyte v8, v0, s[36:37] offset:320
.LBB2835_15:
	s_or_b64 exec, exec, s[10:11]
	v_or_b32_e32 v2, 0x180, v0
	v_cmp_gt_u32_e64 s[10:11], s30, v2
                                        ; implicit-def: $vgpr9
	s_and_saveexec_b64 s[12:13], s[10:11]
	s_cbranch_execz .LBB2835_17
; %bb.16:
	global_load_ubyte v9, v0, s[36:37] offset:384
.LBB2835_17:
	s_or_b64 exec, exec, s[12:13]
	v_or_b32_e32 v2, 0x1c0, v0
	v_cmp_gt_u32_e64 s[12:13], s30, v2
                                        ; implicit-def: $vgpr10
	s_and_saveexec_b64 s[14:15], s[12:13]
	s_cbranch_execz .LBB2835_19
; %bb.18:
	global_load_ubyte v10, v0, s[36:37] offset:448
.LBB2835_19:
	s_or_b64 exec, exec, s[14:15]
	v_or_b32_e32 v2, 0x200, v0
	v_cmp_gt_u32_e64 s[14:15], s30, v2
                                        ; implicit-def: $vgpr11
	s_and_saveexec_b64 s[16:17], s[14:15]
	s_cbranch_execz .LBB2835_21
; %bb.20:
	global_load_ubyte v11, v0, s[36:37] offset:512
.LBB2835_21:
	s_or_b64 exec, exec, s[16:17]
	v_or_b32_e32 v2, 0x240, v0
	v_cmp_gt_u32_e64 s[16:17], s30, v2
                                        ; implicit-def: $vgpr12
	s_and_saveexec_b64 s[18:19], s[16:17]
	s_cbranch_execz .LBB2835_23
; %bb.22:
	global_load_ubyte v12, v0, s[36:37] offset:576
.LBB2835_23:
	s_or_b64 exec, exec, s[18:19]
	v_or_b32_e32 v2, 0x280, v0
	v_cmp_gt_u32_e64 s[18:19], s30, v2
                                        ; implicit-def: $vgpr13
	s_and_saveexec_b64 s[20:21], s[18:19]
	s_cbranch_execz .LBB2835_25
; %bb.24:
	global_load_ubyte v13, v0, s[36:37] offset:640
.LBB2835_25:
	s_or_b64 exec, exec, s[20:21]
	v_or_b32_e32 v2, 0x2c0, v0
	v_cmp_gt_u32_e64 s[20:21], s30, v2
                                        ; implicit-def: $vgpr14
	s_and_saveexec_b64 s[22:23], s[20:21]
	s_cbranch_execz .LBB2835_27
; %bb.26:
	global_load_ubyte v14, v0, s[36:37] offset:704
.LBB2835_27:
	s_or_b64 exec, exec, s[22:23]
	v_or_b32_e32 v2, 0x300, v0
	v_cmp_gt_u32_e64 s[22:23], s30, v2
                                        ; implicit-def: $vgpr15
	s_and_saveexec_b64 s[24:25], s[22:23]
	s_cbranch_execz .LBB2835_29
; %bb.28:
	global_load_ubyte v15, v0, s[36:37] offset:768
.LBB2835_29:
	s_or_b64 exec, exec, s[24:25]
	v_or_b32_e32 v2, 0x340, v0
	v_cmp_gt_u32_e64 s[24:25], s30, v2
                                        ; implicit-def: $vgpr16
	s_and_saveexec_b64 s[26:27], s[24:25]
	s_cbranch_execz .LBB2835_31
; %bb.30:
	global_load_ubyte v16, v0, s[36:37] offset:832
.LBB2835_31:
	s_or_b64 exec, exec, s[26:27]
	v_or_b32_e32 v2, 0x380, v0
	v_cmp_gt_u32_e64 s[26:27], s30, v2
                                        ; implicit-def: $vgpr17
	s_and_saveexec_b64 s[28:29], s[26:27]
	s_cbranch_execz .LBB2835_33
; %bb.32:
	global_load_ubyte v17, v0, s[36:37] offset:896
.LBB2835_33:
	s_or_b64 exec, exec, s[28:29]
	v_or_b32_e32 v2, 0x3c0, v0
	v_cmp_gt_u32_e64 s[28:29], s30, v2
	v_cmp_le_u32_e64 s[30:31], s30, v2
	s_and_saveexec_b64 s[40:41], s[30:31]
	s_xor_b64 s[30:31], exec, s[40:41]
                                        ; implicit-def: $vgpr2_vgpr3
; %bb.34:
	v_mov_b32_e32 v3, 0
; %bb.35:
	s_or_saveexec_b64 s[30:31], s[30:31]
                                        ; implicit-def: $vgpr2
	s_xor_b64 exec, exec, s[30:31]
	s_cbranch_execz .LBB2835_37
; %bb.36:
	global_load_ubyte v2, v0, s[36:37] offset:960
	v_mov_b32_e32 v3, 0
.LBB2835_37:
	s_or_b64 exec, exec, s[30:31]
	s_waitcnt vmcnt(0)
	v_lshlrev_b16_e32 v4, 8, v4
	v_or_b32_sdwa v1, v1, v4 dst_sel:DWORD dst_unused:UNUSED_PAD src0_sel:BYTE_0 src1_sel:DWORD
	v_lshlrev_b16_e32 v4, 8, v6
	v_or_b32_sdwa v4, v5, v4 dst_sel:WORD_1 dst_unused:UNUSED_PAD src0_sel:BYTE_0 src1_sel:DWORD
	v_or_b32_sdwa v6, v1, v4 dst_sel:DWORD dst_unused:UNUSED_PAD src0_sel:WORD_0 src1_sel:DWORD
	v_lshlrev_b16_e32 v1, 8, v8
	v_lshlrev_b16_e32 v4, 8, v10
	v_or_b32_sdwa v1, v7, v1 dst_sel:DWORD dst_unused:UNUSED_PAD src0_sel:BYTE_0 src1_sel:DWORD
	v_or_b32_sdwa v4, v9, v4 dst_sel:WORD_1 dst_unused:UNUSED_PAD src0_sel:BYTE_0 src1_sel:DWORD
	v_or_b32_sdwa v5, v1, v4 dst_sel:DWORD dst_unused:UNUSED_PAD src0_sel:WORD_0 src1_sel:DWORD
	v_lshlrev_b16_e32 v1, 8, v12
	v_lshlrev_b16_e32 v4, 8, v14
	v_or_b32_sdwa v1, v11, v1 dst_sel:DWORD dst_unused:UNUSED_PAD src0_sel:BYTE_0 src1_sel:DWORD
	v_or_b32_sdwa v4, v13, v4 dst_sel:WORD_1 dst_unused:UNUSED_PAD src0_sel:BYTE_0 src1_sel:DWORD
	v_or_b32_sdwa v4, v1, v4 dst_sel:DWORD dst_unused:UNUSED_PAD src0_sel:WORD_0 src1_sel:DWORD
	v_lshlrev_b16_e32 v1, 8, v16
	v_lshlrev_b16_e32 v2, 8, v2
	s_add_u32 s30, s33, s39
	v_or_b32_sdwa v1, v15, v1 dst_sel:DWORD dst_unused:UNUSED_PAD src0_sel:BYTE_0 src1_sel:DWORD
	v_or_b32_sdwa v2, v17, v2 dst_sel:WORD_1 dst_unused:UNUSED_PAD src0_sel:BYTE_0 src1_sel:DWORD
	s_addc_u32 s31, s38, 0
	v_or_b32_sdwa v1, v1, v2 dst_sel:DWORD dst_unused:UNUSED_PAD src0_sel:WORD_0 src1_sel:DWORD
	v_mov_b32_e32 v7, s31
	v_add_co_u32_e64 v2, s[30:31], s30, v0
	v_addc_co_u32_e64 v3, s[30:31], v7, v3, s[30:31]
	s_and_saveexec_b64 s[30:31], vcc
	s_cbranch_execz .LBB2835_39
; %bb.38:
	flat_store_byte v[2:3], v6
.LBB2835_39:
	s_or_b64 exec, exec, s[30:31]
	s_and_saveexec_b64 s[30:31], s[0:1]
	s_cbranch_execz .LBB2835_41
; %bb.40:
	v_lshrrev_b32_e32 v0, 8, v6
	flat_store_byte v[2:3], v0 offset:64
.LBB2835_41:
	s_or_b64 exec, exec, s[30:31]
	s_mov_b32 s0, 0x7060104
	v_perm_b32 v0, v6, v6, s0
	v_cndmask_b32_e64 v7, v0, v6, s[2:3]
	s_and_saveexec_b64 s[0:1], s[2:3]
	s_cbranch_execz .LBB2835_43
; %bb.42:
	flat_store_byte_d16_hi v[2:3], v7 offset:128
.LBB2835_43:
	s_or_b64 exec, exec, s[0:1]
	s_mov_b32 s0, 0x7020504
	v_perm_b32 v0, v0, v7, s0
	v_cndmask_b32_e64 v0, v0, v6, s[4:5]
	s_and_saveexec_b64 s[0:1], s[4:5]
	s_cbranch_execz .LBB2835_45
; %bb.44:
	v_lshrrev_b32_e32 v0, 24, v0
	flat_store_byte v[2:3], v0 offset:192
.LBB2835_45:
	s_or_b64 exec, exec, s[0:1]
	s_and_saveexec_b64 s[0:1], s[6:7]
	s_cbranch_execz .LBB2835_47
; %bb.46:
	flat_store_byte v[2:3], v5 offset:256
.LBB2835_47:
	s_or_b64 exec, exec, s[0:1]
	s_mov_b32 s0, 0x3020104
	v_perm_b32 v0, v5, v5, s0
	v_cndmask_b32_e64 v6, v0, v5, s[8:9]
	s_and_saveexec_b64 s[0:1], s[8:9]
	s_cbranch_execz .LBB2835_49
; %bb.48:
	v_lshrrev_b32_e32 v7, 8, v6
	flat_store_byte v[2:3], v7 offset:320
.LBB2835_49:
	s_or_b64 exec, exec, s[0:1]
	s_mov_b32 s0, 0x7060104
	v_perm_b32 v0, v0, v6, s0
	v_cndmask_b32_e64 v6, v0, v5, s[10:11]
	s_and_saveexec_b64 s[0:1], s[10:11]
	s_cbranch_execz .LBB2835_51
; %bb.50:
	flat_store_byte_d16_hi v[2:3], v6 offset:384
.LBB2835_51:
	s_or_b64 exec, exec, s[0:1]
	s_mov_b32 s0, 0x7020504
	v_perm_b32 v0, v0, v6, s0
	v_cndmask_b32_e64 v0, v0, v5, s[12:13]
	s_and_saveexec_b64 s[0:1], s[12:13]
	s_cbranch_execz .LBB2835_53
; %bb.52:
	v_lshrrev_b32_e32 v0, 24, v0
	flat_store_byte v[2:3], v0 offset:448
.LBB2835_53:
	s_or_b64 exec, exec, s[0:1]
	s_and_saveexec_b64 s[0:1], s[14:15]
	s_cbranch_execz .LBB2835_55
; %bb.54:
	flat_store_byte v[2:3], v4 offset:512
.LBB2835_55:
	s_or_b64 exec, exec, s[0:1]
	s_mov_b32 s0, 0x3020104
	v_perm_b32 v0, v4, v4, s0
	v_cndmask_b32_e64 v5, v0, v4, s[16:17]
	;; [unrolled: 35-line block ×3, first 2 shown]
	s_and_saveexec_b64 s[0:1], s[24:25]
	s_cbranch_execz .LBB2835_65
; %bb.64:
	v_lshrrev_b32_e32 v5, 8, v4
	flat_store_byte v[2:3], v5 offset:832
.LBB2835_65:
	s_or_b64 exec, exec, s[0:1]
	s_mov_b32 s0, 0x7060104
	v_perm_b32 v0, v0, v4, s0
	s_and_saveexec_b64 s[0:1], s[26:27]
	s_cbranch_execz .LBB2835_67
; %bb.66:
	v_cndmask_b32_e64 v4, v0, v1, s[26:27]
	flat_store_byte_d16_hi v[2:3], v4 offset:896
.LBB2835_67:
	s_or_b64 exec, exec, s[0:1]
                                        ; implicit-def: $vgpr4
	s_and_saveexec_b64 s[0:1], s[28:29]
; %bb.68:
	v_cndmask_b32_e64 v0, v0, v1, s[28:29]
	v_lshrrev_b32_e32 v4, 24, v0
	s_or_b64 s[34:35], s[34:35], exec
; %bb.69:
	s_or_b64 exec, exec, s[0:1]
.LBB2835_70:
	s_and_saveexec_b64 s[0:1], s[34:35]
	s_cbranch_execnz .LBB2835_72
; %bb.71:
	s_endpgm
.LBB2835_72:
	flat_store_byte v[2:3], v4 offset:960
	s_endpgm
	.section	.rodata,"a",@progbits
	.p2align	6, 0x0
	.amdhsa_kernel _ZN7rocprim17ROCPRIM_400000_NS6detail17trampoline_kernelINS0_14default_configENS1_25transform_config_selectorIaLb0EEEZNS1_14transform_implILb0ES3_S5_PaN6thrust23THRUST_200600_302600_NS6detail15normal_iteratorINS9_10device_ptrIaEEEENS0_8identityIaEEEE10hipError_tT2_T3_mT4_P12ihipStream_tbEUlT_E_NS1_11comp_targetILNS1_3genE4ELNS1_11target_archE910ELNS1_3gpuE8ELNS1_3repE0EEENS1_30default_config_static_selectorELNS0_4arch9wavefront6targetE1EEEvT1_
		.amdhsa_group_segment_fixed_size 0
		.amdhsa_private_segment_fixed_size 0
		.amdhsa_kernarg_size 296
		.amdhsa_user_sgpr_count 6
		.amdhsa_user_sgpr_private_segment_buffer 1
		.amdhsa_user_sgpr_dispatch_ptr 0
		.amdhsa_user_sgpr_queue_ptr 0
		.amdhsa_user_sgpr_kernarg_segment_ptr 1
		.amdhsa_user_sgpr_dispatch_id 0
		.amdhsa_user_sgpr_flat_scratch_init 0
		.amdhsa_user_sgpr_kernarg_preload_length 0
		.amdhsa_user_sgpr_kernarg_preload_offset 0
		.amdhsa_user_sgpr_private_segment_size 0
		.amdhsa_uses_dynamic_stack 0
		.amdhsa_system_sgpr_private_segment_wavefront_offset 0
		.amdhsa_system_sgpr_workgroup_id_x 1
		.amdhsa_system_sgpr_workgroup_id_y 0
		.amdhsa_system_sgpr_workgroup_id_z 0
		.amdhsa_system_sgpr_workgroup_info 0
		.amdhsa_system_vgpr_workitem_id 0
		.amdhsa_next_free_vgpr 19
		.amdhsa_next_free_sgpr 42
		.amdhsa_accum_offset 20
		.amdhsa_reserve_vcc 1
		.amdhsa_reserve_flat_scratch 0
		.amdhsa_float_round_mode_32 0
		.amdhsa_float_round_mode_16_64 0
		.amdhsa_float_denorm_mode_32 3
		.amdhsa_float_denorm_mode_16_64 3
		.amdhsa_dx10_clamp 1
		.amdhsa_ieee_mode 1
		.amdhsa_fp16_overflow 0
		.amdhsa_tg_split 0
		.amdhsa_exception_fp_ieee_invalid_op 0
		.amdhsa_exception_fp_denorm_src 0
		.amdhsa_exception_fp_ieee_div_zero 0
		.amdhsa_exception_fp_ieee_overflow 0
		.amdhsa_exception_fp_ieee_underflow 0
		.amdhsa_exception_fp_ieee_inexact 0
		.amdhsa_exception_int_div_zero 0
	.end_amdhsa_kernel
	.section	.text._ZN7rocprim17ROCPRIM_400000_NS6detail17trampoline_kernelINS0_14default_configENS1_25transform_config_selectorIaLb0EEEZNS1_14transform_implILb0ES3_S5_PaN6thrust23THRUST_200600_302600_NS6detail15normal_iteratorINS9_10device_ptrIaEEEENS0_8identityIaEEEE10hipError_tT2_T3_mT4_P12ihipStream_tbEUlT_E_NS1_11comp_targetILNS1_3genE4ELNS1_11target_archE910ELNS1_3gpuE8ELNS1_3repE0EEENS1_30default_config_static_selectorELNS0_4arch9wavefront6targetE1EEEvT1_,"axG",@progbits,_ZN7rocprim17ROCPRIM_400000_NS6detail17trampoline_kernelINS0_14default_configENS1_25transform_config_selectorIaLb0EEEZNS1_14transform_implILb0ES3_S5_PaN6thrust23THRUST_200600_302600_NS6detail15normal_iteratorINS9_10device_ptrIaEEEENS0_8identityIaEEEE10hipError_tT2_T3_mT4_P12ihipStream_tbEUlT_E_NS1_11comp_targetILNS1_3genE4ELNS1_11target_archE910ELNS1_3gpuE8ELNS1_3repE0EEENS1_30default_config_static_selectorELNS0_4arch9wavefront6targetE1EEEvT1_,comdat
.Lfunc_end2835:
	.size	_ZN7rocprim17ROCPRIM_400000_NS6detail17trampoline_kernelINS0_14default_configENS1_25transform_config_selectorIaLb0EEEZNS1_14transform_implILb0ES3_S5_PaN6thrust23THRUST_200600_302600_NS6detail15normal_iteratorINS9_10device_ptrIaEEEENS0_8identityIaEEEE10hipError_tT2_T3_mT4_P12ihipStream_tbEUlT_E_NS1_11comp_targetILNS1_3genE4ELNS1_11target_archE910ELNS1_3gpuE8ELNS1_3repE0EEENS1_30default_config_static_selectorELNS0_4arch9wavefront6targetE1EEEvT1_, .Lfunc_end2835-_ZN7rocprim17ROCPRIM_400000_NS6detail17trampoline_kernelINS0_14default_configENS1_25transform_config_selectorIaLb0EEEZNS1_14transform_implILb0ES3_S5_PaN6thrust23THRUST_200600_302600_NS6detail15normal_iteratorINS9_10device_ptrIaEEEENS0_8identityIaEEEE10hipError_tT2_T3_mT4_P12ihipStream_tbEUlT_E_NS1_11comp_targetILNS1_3genE4ELNS1_11target_archE910ELNS1_3gpuE8ELNS1_3repE0EEENS1_30default_config_static_selectorELNS0_4arch9wavefront6targetE1EEEvT1_
                                        ; -- End function
	.section	.AMDGPU.csdata,"",@progbits
; Kernel info:
; codeLenInByte = 1720
; NumSgprs: 46
; NumVgprs: 19
; NumAgprs: 0
; TotalNumVgprs: 19
; ScratchSize: 0
; MemoryBound: 0
; FloatMode: 240
; IeeeMode: 1
; LDSByteSize: 0 bytes/workgroup (compile time only)
; SGPRBlocks: 5
; VGPRBlocks: 2
; NumSGPRsForWavesPerEU: 46
; NumVGPRsForWavesPerEU: 19
; AccumOffset: 20
; Occupancy: 8
; WaveLimiterHint : 0
; COMPUTE_PGM_RSRC2:SCRATCH_EN: 0
; COMPUTE_PGM_RSRC2:USER_SGPR: 6
; COMPUTE_PGM_RSRC2:TRAP_HANDLER: 0
; COMPUTE_PGM_RSRC2:TGID_X_EN: 1
; COMPUTE_PGM_RSRC2:TGID_Y_EN: 0
; COMPUTE_PGM_RSRC2:TGID_Z_EN: 0
; COMPUTE_PGM_RSRC2:TIDIG_COMP_CNT: 0
; COMPUTE_PGM_RSRC3_GFX90A:ACCUM_OFFSET: 4
; COMPUTE_PGM_RSRC3_GFX90A:TG_SPLIT: 0
	.section	.text._ZN7rocprim17ROCPRIM_400000_NS6detail17trampoline_kernelINS0_14default_configENS1_25transform_config_selectorIaLb0EEEZNS1_14transform_implILb0ES3_S5_PaN6thrust23THRUST_200600_302600_NS6detail15normal_iteratorINS9_10device_ptrIaEEEENS0_8identityIaEEEE10hipError_tT2_T3_mT4_P12ihipStream_tbEUlT_E_NS1_11comp_targetILNS1_3genE3ELNS1_11target_archE908ELNS1_3gpuE7ELNS1_3repE0EEENS1_30default_config_static_selectorELNS0_4arch9wavefront6targetE1EEEvT1_,"axG",@progbits,_ZN7rocprim17ROCPRIM_400000_NS6detail17trampoline_kernelINS0_14default_configENS1_25transform_config_selectorIaLb0EEEZNS1_14transform_implILb0ES3_S5_PaN6thrust23THRUST_200600_302600_NS6detail15normal_iteratorINS9_10device_ptrIaEEEENS0_8identityIaEEEE10hipError_tT2_T3_mT4_P12ihipStream_tbEUlT_E_NS1_11comp_targetILNS1_3genE3ELNS1_11target_archE908ELNS1_3gpuE7ELNS1_3repE0EEENS1_30default_config_static_selectorELNS0_4arch9wavefront6targetE1EEEvT1_,comdat
	.protected	_ZN7rocprim17ROCPRIM_400000_NS6detail17trampoline_kernelINS0_14default_configENS1_25transform_config_selectorIaLb0EEEZNS1_14transform_implILb0ES3_S5_PaN6thrust23THRUST_200600_302600_NS6detail15normal_iteratorINS9_10device_ptrIaEEEENS0_8identityIaEEEE10hipError_tT2_T3_mT4_P12ihipStream_tbEUlT_E_NS1_11comp_targetILNS1_3genE3ELNS1_11target_archE908ELNS1_3gpuE7ELNS1_3repE0EEENS1_30default_config_static_selectorELNS0_4arch9wavefront6targetE1EEEvT1_ ; -- Begin function _ZN7rocprim17ROCPRIM_400000_NS6detail17trampoline_kernelINS0_14default_configENS1_25transform_config_selectorIaLb0EEEZNS1_14transform_implILb0ES3_S5_PaN6thrust23THRUST_200600_302600_NS6detail15normal_iteratorINS9_10device_ptrIaEEEENS0_8identityIaEEEE10hipError_tT2_T3_mT4_P12ihipStream_tbEUlT_E_NS1_11comp_targetILNS1_3genE3ELNS1_11target_archE908ELNS1_3gpuE7ELNS1_3repE0EEENS1_30default_config_static_selectorELNS0_4arch9wavefront6targetE1EEEvT1_
	.globl	_ZN7rocprim17ROCPRIM_400000_NS6detail17trampoline_kernelINS0_14default_configENS1_25transform_config_selectorIaLb0EEEZNS1_14transform_implILb0ES3_S5_PaN6thrust23THRUST_200600_302600_NS6detail15normal_iteratorINS9_10device_ptrIaEEEENS0_8identityIaEEEE10hipError_tT2_T3_mT4_P12ihipStream_tbEUlT_E_NS1_11comp_targetILNS1_3genE3ELNS1_11target_archE908ELNS1_3gpuE7ELNS1_3repE0EEENS1_30default_config_static_selectorELNS0_4arch9wavefront6targetE1EEEvT1_
	.p2align	8
	.type	_ZN7rocprim17ROCPRIM_400000_NS6detail17trampoline_kernelINS0_14default_configENS1_25transform_config_selectorIaLb0EEEZNS1_14transform_implILb0ES3_S5_PaN6thrust23THRUST_200600_302600_NS6detail15normal_iteratorINS9_10device_ptrIaEEEENS0_8identityIaEEEE10hipError_tT2_T3_mT4_P12ihipStream_tbEUlT_E_NS1_11comp_targetILNS1_3genE3ELNS1_11target_archE908ELNS1_3gpuE7ELNS1_3repE0EEENS1_30default_config_static_selectorELNS0_4arch9wavefront6targetE1EEEvT1_,@function
_ZN7rocprim17ROCPRIM_400000_NS6detail17trampoline_kernelINS0_14default_configENS1_25transform_config_selectorIaLb0EEEZNS1_14transform_implILb0ES3_S5_PaN6thrust23THRUST_200600_302600_NS6detail15normal_iteratorINS9_10device_ptrIaEEEENS0_8identityIaEEEE10hipError_tT2_T3_mT4_P12ihipStream_tbEUlT_E_NS1_11comp_targetILNS1_3genE3ELNS1_11target_archE908ELNS1_3gpuE7ELNS1_3repE0EEENS1_30default_config_static_selectorELNS0_4arch9wavefront6targetE1EEEvT1_: ; @_ZN7rocprim17ROCPRIM_400000_NS6detail17trampoline_kernelINS0_14default_configENS1_25transform_config_selectorIaLb0EEEZNS1_14transform_implILb0ES3_S5_PaN6thrust23THRUST_200600_302600_NS6detail15normal_iteratorINS9_10device_ptrIaEEEENS0_8identityIaEEEE10hipError_tT2_T3_mT4_P12ihipStream_tbEUlT_E_NS1_11comp_targetILNS1_3genE3ELNS1_11target_archE908ELNS1_3gpuE7ELNS1_3repE0EEENS1_30default_config_static_selectorELNS0_4arch9wavefront6targetE1EEEvT1_
; %bb.0:
	.section	.rodata,"a",@progbits
	.p2align	6, 0x0
	.amdhsa_kernel _ZN7rocprim17ROCPRIM_400000_NS6detail17trampoline_kernelINS0_14default_configENS1_25transform_config_selectorIaLb0EEEZNS1_14transform_implILb0ES3_S5_PaN6thrust23THRUST_200600_302600_NS6detail15normal_iteratorINS9_10device_ptrIaEEEENS0_8identityIaEEEE10hipError_tT2_T3_mT4_P12ihipStream_tbEUlT_E_NS1_11comp_targetILNS1_3genE3ELNS1_11target_archE908ELNS1_3gpuE7ELNS1_3repE0EEENS1_30default_config_static_selectorELNS0_4arch9wavefront6targetE1EEEvT1_
		.amdhsa_group_segment_fixed_size 0
		.amdhsa_private_segment_fixed_size 0
		.amdhsa_kernarg_size 40
		.amdhsa_user_sgpr_count 6
		.amdhsa_user_sgpr_private_segment_buffer 1
		.amdhsa_user_sgpr_dispatch_ptr 0
		.amdhsa_user_sgpr_queue_ptr 0
		.amdhsa_user_sgpr_kernarg_segment_ptr 1
		.amdhsa_user_sgpr_dispatch_id 0
		.amdhsa_user_sgpr_flat_scratch_init 0
		.amdhsa_user_sgpr_kernarg_preload_length 0
		.amdhsa_user_sgpr_kernarg_preload_offset 0
		.amdhsa_user_sgpr_private_segment_size 0
		.amdhsa_uses_dynamic_stack 0
		.amdhsa_system_sgpr_private_segment_wavefront_offset 0
		.amdhsa_system_sgpr_workgroup_id_x 1
		.amdhsa_system_sgpr_workgroup_id_y 0
		.amdhsa_system_sgpr_workgroup_id_z 0
		.amdhsa_system_sgpr_workgroup_info 0
		.amdhsa_system_vgpr_workitem_id 0
		.amdhsa_next_free_vgpr 1
		.amdhsa_next_free_sgpr 0
		.amdhsa_accum_offset 4
		.amdhsa_reserve_vcc 0
		.amdhsa_reserve_flat_scratch 0
		.amdhsa_float_round_mode_32 0
		.amdhsa_float_round_mode_16_64 0
		.amdhsa_float_denorm_mode_32 3
		.amdhsa_float_denorm_mode_16_64 3
		.amdhsa_dx10_clamp 1
		.amdhsa_ieee_mode 1
		.amdhsa_fp16_overflow 0
		.amdhsa_tg_split 0
		.amdhsa_exception_fp_ieee_invalid_op 0
		.amdhsa_exception_fp_denorm_src 0
		.amdhsa_exception_fp_ieee_div_zero 0
		.amdhsa_exception_fp_ieee_overflow 0
		.amdhsa_exception_fp_ieee_underflow 0
		.amdhsa_exception_fp_ieee_inexact 0
		.amdhsa_exception_int_div_zero 0
	.end_amdhsa_kernel
	.section	.text._ZN7rocprim17ROCPRIM_400000_NS6detail17trampoline_kernelINS0_14default_configENS1_25transform_config_selectorIaLb0EEEZNS1_14transform_implILb0ES3_S5_PaN6thrust23THRUST_200600_302600_NS6detail15normal_iteratorINS9_10device_ptrIaEEEENS0_8identityIaEEEE10hipError_tT2_T3_mT4_P12ihipStream_tbEUlT_E_NS1_11comp_targetILNS1_3genE3ELNS1_11target_archE908ELNS1_3gpuE7ELNS1_3repE0EEENS1_30default_config_static_selectorELNS0_4arch9wavefront6targetE1EEEvT1_,"axG",@progbits,_ZN7rocprim17ROCPRIM_400000_NS6detail17trampoline_kernelINS0_14default_configENS1_25transform_config_selectorIaLb0EEEZNS1_14transform_implILb0ES3_S5_PaN6thrust23THRUST_200600_302600_NS6detail15normal_iteratorINS9_10device_ptrIaEEEENS0_8identityIaEEEE10hipError_tT2_T3_mT4_P12ihipStream_tbEUlT_E_NS1_11comp_targetILNS1_3genE3ELNS1_11target_archE908ELNS1_3gpuE7ELNS1_3repE0EEENS1_30default_config_static_selectorELNS0_4arch9wavefront6targetE1EEEvT1_,comdat
.Lfunc_end2836:
	.size	_ZN7rocprim17ROCPRIM_400000_NS6detail17trampoline_kernelINS0_14default_configENS1_25transform_config_selectorIaLb0EEEZNS1_14transform_implILb0ES3_S5_PaN6thrust23THRUST_200600_302600_NS6detail15normal_iteratorINS9_10device_ptrIaEEEENS0_8identityIaEEEE10hipError_tT2_T3_mT4_P12ihipStream_tbEUlT_E_NS1_11comp_targetILNS1_3genE3ELNS1_11target_archE908ELNS1_3gpuE7ELNS1_3repE0EEENS1_30default_config_static_selectorELNS0_4arch9wavefront6targetE1EEEvT1_, .Lfunc_end2836-_ZN7rocprim17ROCPRIM_400000_NS6detail17trampoline_kernelINS0_14default_configENS1_25transform_config_selectorIaLb0EEEZNS1_14transform_implILb0ES3_S5_PaN6thrust23THRUST_200600_302600_NS6detail15normal_iteratorINS9_10device_ptrIaEEEENS0_8identityIaEEEE10hipError_tT2_T3_mT4_P12ihipStream_tbEUlT_E_NS1_11comp_targetILNS1_3genE3ELNS1_11target_archE908ELNS1_3gpuE7ELNS1_3repE0EEENS1_30default_config_static_selectorELNS0_4arch9wavefront6targetE1EEEvT1_
                                        ; -- End function
	.section	.AMDGPU.csdata,"",@progbits
; Kernel info:
; codeLenInByte = 0
; NumSgprs: 4
; NumVgprs: 0
; NumAgprs: 0
; TotalNumVgprs: 0
; ScratchSize: 0
; MemoryBound: 0
; FloatMode: 240
; IeeeMode: 1
; LDSByteSize: 0 bytes/workgroup (compile time only)
; SGPRBlocks: 0
; VGPRBlocks: 0
; NumSGPRsForWavesPerEU: 4
; NumVGPRsForWavesPerEU: 1
; AccumOffset: 4
; Occupancy: 8
; WaveLimiterHint : 0
; COMPUTE_PGM_RSRC2:SCRATCH_EN: 0
; COMPUTE_PGM_RSRC2:USER_SGPR: 6
; COMPUTE_PGM_RSRC2:TRAP_HANDLER: 0
; COMPUTE_PGM_RSRC2:TGID_X_EN: 1
; COMPUTE_PGM_RSRC2:TGID_Y_EN: 0
; COMPUTE_PGM_RSRC2:TGID_Z_EN: 0
; COMPUTE_PGM_RSRC2:TIDIG_COMP_CNT: 0
; COMPUTE_PGM_RSRC3_GFX90A:ACCUM_OFFSET: 0
; COMPUTE_PGM_RSRC3_GFX90A:TG_SPLIT: 0
	.section	.text._ZN7rocprim17ROCPRIM_400000_NS6detail17trampoline_kernelINS0_14default_configENS1_25transform_config_selectorIaLb0EEEZNS1_14transform_implILb0ES3_S5_PaN6thrust23THRUST_200600_302600_NS6detail15normal_iteratorINS9_10device_ptrIaEEEENS0_8identityIaEEEE10hipError_tT2_T3_mT4_P12ihipStream_tbEUlT_E_NS1_11comp_targetILNS1_3genE2ELNS1_11target_archE906ELNS1_3gpuE6ELNS1_3repE0EEENS1_30default_config_static_selectorELNS0_4arch9wavefront6targetE1EEEvT1_,"axG",@progbits,_ZN7rocprim17ROCPRIM_400000_NS6detail17trampoline_kernelINS0_14default_configENS1_25transform_config_selectorIaLb0EEEZNS1_14transform_implILb0ES3_S5_PaN6thrust23THRUST_200600_302600_NS6detail15normal_iteratorINS9_10device_ptrIaEEEENS0_8identityIaEEEE10hipError_tT2_T3_mT4_P12ihipStream_tbEUlT_E_NS1_11comp_targetILNS1_3genE2ELNS1_11target_archE906ELNS1_3gpuE6ELNS1_3repE0EEENS1_30default_config_static_selectorELNS0_4arch9wavefront6targetE1EEEvT1_,comdat
	.protected	_ZN7rocprim17ROCPRIM_400000_NS6detail17trampoline_kernelINS0_14default_configENS1_25transform_config_selectorIaLb0EEEZNS1_14transform_implILb0ES3_S5_PaN6thrust23THRUST_200600_302600_NS6detail15normal_iteratorINS9_10device_ptrIaEEEENS0_8identityIaEEEE10hipError_tT2_T3_mT4_P12ihipStream_tbEUlT_E_NS1_11comp_targetILNS1_3genE2ELNS1_11target_archE906ELNS1_3gpuE6ELNS1_3repE0EEENS1_30default_config_static_selectorELNS0_4arch9wavefront6targetE1EEEvT1_ ; -- Begin function _ZN7rocprim17ROCPRIM_400000_NS6detail17trampoline_kernelINS0_14default_configENS1_25transform_config_selectorIaLb0EEEZNS1_14transform_implILb0ES3_S5_PaN6thrust23THRUST_200600_302600_NS6detail15normal_iteratorINS9_10device_ptrIaEEEENS0_8identityIaEEEE10hipError_tT2_T3_mT4_P12ihipStream_tbEUlT_E_NS1_11comp_targetILNS1_3genE2ELNS1_11target_archE906ELNS1_3gpuE6ELNS1_3repE0EEENS1_30default_config_static_selectorELNS0_4arch9wavefront6targetE1EEEvT1_
	.globl	_ZN7rocprim17ROCPRIM_400000_NS6detail17trampoline_kernelINS0_14default_configENS1_25transform_config_selectorIaLb0EEEZNS1_14transform_implILb0ES3_S5_PaN6thrust23THRUST_200600_302600_NS6detail15normal_iteratorINS9_10device_ptrIaEEEENS0_8identityIaEEEE10hipError_tT2_T3_mT4_P12ihipStream_tbEUlT_E_NS1_11comp_targetILNS1_3genE2ELNS1_11target_archE906ELNS1_3gpuE6ELNS1_3repE0EEENS1_30default_config_static_selectorELNS0_4arch9wavefront6targetE1EEEvT1_
	.p2align	8
	.type	_ZN7rocprim17ROCPRIM_400000_NS6detail17trampoline_kernelINS0_14default_configENS1_25transform_config_selectorIaLb0EEEZNS1_14transform_implILb0ES3_S5_PaN6thrust23THRUST_200600_302600_NS6detail15normal_iteratorINS9_10device_ptrIaEEEENS0_8identityIaEEEE10hipError_tT2_T3_mT4_P12ihipStream_tbEUlT_E_NS1_11comp_targetILNS1_3genE2ELNS1_11target_archE906ELNS1_3gpuE6ELNS1_3repE0EEENS1_30default_config_static_selectorELNS0_4arch9wavefront6targetE1EEEvT1_,@function
_ZN7rocprim17ROCPRIM_400000_NS6detail17trampoline_kernelINS0_14default_configENS1_25transform_config_selectorIaLb0EEEZNS1_14transform_implILb0ES3_S5_PaN6thrust23THRUST_200600_302600_NS6detail15normal_iteratorINS9_10device_ptrIaEEEENS0_8identityIaEEEE10hipError_tT2_T3_mT4_P12ihipStream_tbEUlT_E_NS1_11comp_targetILNS1_3genE2ELNS1_11target_archE906ELNS1_3gpuE6ELNS1_3repE0EEENS1_30default_config_static_selectorELNS0_4arch9wavefront6targetE1EEEvT1_: ; @_ZN7rocprim17ROCPRIM_400000_NS6detail17trampoline_kernelINS0_14default_configENS1_25transform_config_selectorIaLb0EEEZNS1_14transform_implILb0ES3_S5_PaN6thrust23THRUST_200600_302600_NS6detail15normal_iteratorINS9_10device_ptrIaEEEENS0_8identityIaEEEE10hipError_tT2_T3_mT4_P12ihipStream_tbEUlT_E_NS1_11comp_targetILNS1_3genE2ELNS1_11target_archE906ELNS1_3gpuE6ELNS1_3repE0EEENS1_30default_config_static_selectorELNS0_4arch9wavefront6targetE1EEEvT1_
; %bb.0:
	.section	.rodata,"a",@progbits
	.p2align	6, 0x0
	.amdhsa_kernel _ZN7rocprim17ROCPRIM_400000_NS6detail17trampoline_kernelINS0_14default_configENS1_25transform_config_selectorIaLb0EEEZNS1_14transform_implILb0ES3_S5_PaN6thrust23THRUST_200600_302600_NS6detail15normal_iteratorINS9_10device_ptrIaEEEENS0_8identityIaEEEE10hipError_tT2_T3_mT4_P12ihipStream_tbEUlT_E_NS1_11comp_targetILNS1_3genE2ELNS1_11target_archE906ELNS1_3gpuE6ELNS1_3repE0EEENS1_30default_config_static_selectorELNS0_4arch9wavefront6targetE1EEEvT1_
		.amdhsa_group_segment_fixed_size 0
		.amdhsa_private_segment_fixed_size 0
		.amdhsa_kernarg_size 40
		.amdhsa_user_sgpr_count 6
		.amdhsa_user_sgpr_private_segment_buffer 1
		.amdhsa_user_sgpr_dispatch_ptr 0
		.amdhsa_user_sgpr_queue_ptr 0
		.amdhsa_user_sgpr_kernarg_segment_ptr 1
		.amdhsa_user_sgpr_dispatch_id 0
		.amdhsa_user_sgpr_flat_scratch_init 0
		.amdhsa_user_sgpr_kernarg_preload_length 0
		.amdhsa_user_sgpr_kernarg_preload_offset 0
		.amdhsa_user_sgpr_private_segment_size 0
		.amdhsa_uses_dynamic_stack 0
		.amdhsa_system_sgpr_private_segment_wavefront_offset 0
		.amdhsa_system_sgpr_workgroup_id_x 1
		.amdhsa_system_sgpr_workgroup_id_y 0
		.amdhsa_system_sgpr_workgroup_id_z 0
		.amdhsa_system_sgpr_workgroup_info 0
		.amdhsa_system_vgpr_workitem_id 0
		.amdhsa_next_free_vgpr 1
		.amdhsa_next_free_sgpr 0
		.amdhsa_accum_offset 4
		.amdhsa_reserve_vcc 0
		.amdhsa_reserve_flat_scratch 0
		.amdhsa_float_round_mode_32 0
		.amdhsa_float_round_mode_16_64 0
		.amdhsa_float_denorm_mode_32 3
		.amdhsa_float_denorm_mode_16_64 3
		.amdhsa_dx10_clamp 1
		.amdhsa_ieee_mode 1
		.amdhsa_fp16_overflow 0
		.amdhsa_tg_split 0
		.amdhsa_exception_fp_ieee_invalid_op 0
		.amdhsa_exception_fp_denorm_src 0
		.amdhsa_exception_fp_ieee_div_zero 0
		.amdhsa_exception_fp_ieee_overflow 0
		.amdhsa_exception_fp_ieee_underflow 0
		.amdhsa_exception_fp_ieee_inexact 0
		.amdhsa_exception_int_div_zero 0
	.end_amdhsa_kernel
	.section	.text._ZN7rocprim17ROCPRIM_400000_NS6detail17trampoline_kernelINS0_14default_configENS1_25transform_config_selectorIaLb0EEEZNS1_14transform_implILb0ES3_S5_PaN6thrust23THRUST_200600_302600_NS6detail15normal_iteratorINS9_10device_ptrIaEEEENS0_8identityIaEEEE10hipError_tT2_T3_mT4_P12ihipStream_tbEUlT_E_NS1_11comp_targetILNS1_3genE2ELNS1_11target_archE906ELNS1_3gpuE6ELNS1_3repE0EEENS1_30default_config_static_selectorELNS0_4arch9wavefront6targetE1EEEvT1_,"axG",@progbits,_ZN7rocprim17ROCPRIM_400000_NS6detail17trampoline_kernelINS0_14default_configENS1_25transform_config_selectorIaLb0EEEZNS1_14transform_implILb0ES3_S5_PaN6thrust23THRUST_200600_302600_NS6detail15normal_iteratorINS9_10device_ptrIaEEEENS0_8identityIaEEEE10hipError_tT2_T3_mT4_P12ihipStream_tbEUlT_E_NS1_11comp_targetILNS1_3genE2ELNS1_11target_archE906ELNS1_3gpuE6ELNS1_3repE0EEENS1_30default_config_static_selectorELNS0_4arch9wavefront6targetE1EEEvT1_,comdat
.Lfunc_end2837:
	.size	_ZN7rocprim17ROCPRIM_400000_NS6detail17trampoline_kernelINS0_14default_configENS1_25transform_config_selectorIaLb0EEEZNS1_14transform_implILb0ES3_S5_PaN6thrust23THRUST_200600_302600_NS6detail15normal_iteratorINS9_10device_ptrIaEEEENS0_8identityIaEEEE10hipError_tT2_T3_mT4_P12ihipStream_tbEUlT_E_NS1_11comp_targetILNS1_3genE2ELNS1_11target_archE906ELNS1_3gpuE6ELNS1_3repE0EEENS1_30default_config_static_selectorELNS0_4arch9wavefront6targetE1EEEvT1_, .Lfunc_end2837-_ZN7rocprim17ROCPRIM_400000_NS6detail17trampoline_kernelINS0_14default_configENS1_25transform_config_selectorIaLb0EEEZNS1_14transform_implILb0ES3_S5_PaN6thrust23THRUST_200600_302600_NS6detail15normal_iteratorINS9_10device_ptrIaEEEENS0_8identityIaEEEE10hipError_tT2_T3_mT4_P12ihipStream_tbEUlT_E_NS1_11comp_targetILNS1_3genE2ELNS1_11target_archE906ELNS1_3gpuE6ELNS1_3repE0EEENS1_30default_config_static_selectorELNS0_4arch9wavefront6targetE1EEEvT1_
                                        ; -- End function
	.section	.AMDGPU.csdata,"",@progbits
; Kernel info:
; codeLenInByte = 0
; NumSgprs: 4
; NumVgprs: 0
; NumAgprs: 0
; TotalNumVgprs: 0
; ScratchSize: 0
; MemoryBound: 0
; FloatMode: 240
; IeeeMode: 1
; LDSByteSize: 0 bytes/workgroup (compile time only)
; SGPRBlocks: 0
; VGPRBlocks: 0
; NumSGPRsForWavesPerEU: 4
; NumVGPRsForWavesPerEU: 1
; AccumOffset: 4
; Occupancy: 8
; WaveLimiterHint : 0
; COMPUTE_PGM_RSRC2:SCRATCH_EN: 0
; COMPUTE_PGM_RSRC2:USER_SGPR: 6
; COMPUTE_PGM_RSRC2:TRAP_HANDLER: 0
; COMPUTE_PGM_RSRC2:TGID_X_EN: 1
; COMPUTE_PGM_RSRC2:TGID_Y_EN: 0
; COMPUTE_PGM_RSRC2:TGID_Z_EN: 0
; COMPUTE_PGM_RSRC2:TIDIG_COMP_CNT: 0
; COMPUTE_PGM_RSRC3_GFX90A:ACCUM_OFFSET: 0
; COMPUTE_PGM_RSRC3_GFX90A:TG_SPLIT: 0
	.section	.text._ZN7rocprim17ROCPRIM_400000_NS6detail17trampoline_kernelINS0_14default_configENS1_25transform_config_selectorIaLb0EEEZNS1_14transform_implILb0ES3_S5_PaN6thrust23THRUST_200600_302600_NS6detail15normal_iteratorINS9_10device_ptrIaEEEENS0_8identityIaEEEE10hipError_tT2_T3_mT4_P12ihipStream_tbEUlT_E_NS1_11comp_targetILNS1_3genE10ELNS1_11target_archE1201ELNS1_3gpuE5ELNS1_3repE0EEENS1_30default_config_static_selectorELNS0_4arch9wavefront6targetE1EEEvT1_,"axG",@progbits,_ZN7rocprim17ROCPRIM_400000_NS6detail17trampoline_kernelINS0_14default_configENS1_25transform_config_selectorIaLb0EEEZNS1_14transform_implILb0ES3_S5_PaN6thrust23THRUST_200600_302600_NS6detail15normal_iteratorINS9_10device_ptrIaEEEENS0_8identityIaEEEE10hipError_tT2_T3_mT4_P12ihipStream_tbEUlT_E_NS1_11comp_targetILNS1_3genE10ELNS1_11target_archE1201ELNS1_3gpuE5ELNS1_3repE0EEENS1_30default_config_static_selectorELNS0_4arch9wavefront6targetE1EEEvT1_,comdat
	.protected	_ZN7rocprim17ROCPRIM_400000_NS6detail17trampoline_kernelINS0_14default_configENS1_25transform_config_selectorIaLb0EEEZNS1_14transform_implILb0ES3_S5_PaN6thrust23THRUST_200600_302600_NS6detail15normal_iteratorINS9_10device_ptrIaEEEENS0_8identityIaEEEE10hipError_tT2_T3_mT4_P12ihipStream_tbEUlT_E_NS1_11comp_targetILNS1_3genE10ELNS1_11target_archE1201ELNS1_3gpuE5ELNS1_3repE0EEENS1_30default_config_static_selectorELNS0_4arch9wavefront6targetE1EEEvT1_ ; -- Begin function _ZN7rocprim17ROCPRIM_400000_NS6detail17trampoline_kernelINS0_14default_configENS1_25transform_config_selectorIaLb0EEEZNS1_14transform_implILb0ES3_S5_PaN6thrust23THRUST_200600_302600_NS6detail15normal_iteratorINS9_10device_ptrIaEEEENS0_8identityIaEEEE10hipError_tT2_T3_mT4_P12ihipStream_tbEUlT_E_NS1_11comp_targetILNS1_3genE10ELNS1_11target_archE1201ELNS1_3gpuE5ELNS1_3repE0EEENS1_30default_config_static_selectorELNS0_4arch9wavefront6targetE1EEEvT1_
	.globl	_ZN7rocprim17ROCPRIM_400000_NS6detail17trampoline_kernelINS0_14default_configENS1_25transform_config_selectorIaLb0EEEZNS1_14transform_implILb0ES3_S5_PaN6thrust23THRUST_200600_302600_NS6detail15normal_iteratorINS9_10device_ptrIaEEEENS0_8identityIaEEEE10hipError_tT2_T3_mT4_P12ihipStream_tbEUlT_E_NS1_11comp_targetILNS1_3genE10ELNS1_11target_archE1201ELNS1_3gpuE5ELNS1_3repE0EEENS1_30default_config_static_selectorELNS0_4arch9wavefront6targetE1EEEvT1_
	.p2align	8
	.type	_ZN7rocprim17ROCPRIM_400000_NS6detail17trampoline_kernelINS0_14default_configENS1_25transform_config_selectorIaLb0EEEZNS1_14transform_implILb0ES3_S5_PaN6thrust23THRUST_200600_302600_NS6detail15normal_iteratorINS9_10device_ptrIaEEEENS0_8identityIaEEEE10hipError_tT2_T3_mT4_P12ihipStream_tbEUlT_E_NS1_11comp_targetILNS1_3genE10ELNS1_11target_archE1201ELNS1_3gpuE5ELNS1_3repE0EEENS1_30default_config_static_selectorELNS0_4arch9wavefront6targetE1EEEvT1_,@function
_ZN7rocprim17ROCPRIM_400000_NS6detail17trampoline_kernelINS0_14default_configENS1_25transform_config_selectorIaLb0EEEZNS1_14transform_implILb0ES3_S5_PaN6thrust23THRUST_200600_302600_NS6detail15normal_iteratorINS9_10device_ptrIaEEEENS0_8identityIaEEEE10hipError_tT2_T3_mT4_P12ihipStream_tbEUlT_E_NS1_11comp_targetILNS1_3genE10ELNS1_11target_archE1201ELNS1_3gpuE5ELNS1_3repE0EEENS1_30default_config_static_selectorELNS0_4arch9wavefront6targetE1EEEvT1_: ; @_ZN7rocprim17ROCPRIM_400000_NS6detail17trampoline_kernelINS0_14default_configENS1_25transform_config_selectorIaLb0EEEZNS1_14transform_implILb0ES3_S5_PaN6thrust23THRUST_200600_302600_NS6detail15normal_iteratorINS9_10device_ptrIaEEEENS0_8identityIaEEEE10hipError_tT2_T3_mT4_P12ihipStream_tbEUlT_E_NS1_11comp_targetILNS1_3genE10ELNS1_11target_archE1201ELNS1_3gpuE5ELNS1_3repE0EEENS1_30default_config_static_selectorELNS0_4arch9wavefront6targetE1EEEvT1_
; %bb.0:
	.section	.rodata,"a",@progbits
	.p2align	6, 0x0
	.amdhsa_kernel _ZN7rocprim17ROCPRIM_400000_NS6detail17trampoline_kernelINS0_14default_configENS1_25transform_config_selectorIaLb0EEEZNS1_14transform_implILb0ES3_S5_PaN6thrust23THRUST_200600_302600_NS6detail15normal_iteratorINS9_10device_ptrIaEEEENS0_8identityIaEEEE10hipError_tT2_T3_mT4_P12ihipStream_tbEUlT_E_NS1_11comp_targetILNS1_3genE10ELNS1_11target_archE1201ELNS1_3gpuE5ELNS1_3repE0EEENS1_30default_config_static_selectorELNS0_4arch9wavefront6targetE1EEEvT1_
		.amdhsa_group_segment_fixed_size 0
		.amdhsa_private_segment_fixed_size 0
		.amdhsa_kernarg_size 40
		.amdhsa_user_sgpr_count 6
		.amdhsa_user_sgpr_private_segment_buffer 1
		.amdhsa_user_sgpr_dispatch_ptr 0
		.amdhsa_user_sgpr_queue_ptr 0
		.amdhsa_user_sgpr_kernarg_segment_ptr 1
		.amdhsa_user_sgpr_dispatch_id 0
		.amdhsa_user_sgpr_flat_scratch_init 0
		.amdhsa_user_sgpr_kernarg_preload_length 0
		.amdhsa_user_sgpr_kernarg_preload_offset 0
		.amdhsa_user_sgpr_private_segment_size 0
		.amdhsa_uses_dynamic_stack 0
		.amdhsa_system_sgpr_private_segment_wavefront_offset 0
		.amdhsa_system_sgpr_workgroup_id_x 1
		.amdhsa_system_sgpr_workgroup_id_y 0
		.amdhsa_system_sgpr_workgroup_id_z 0
		.amdhsa_system_sgpr_workgroup_info 0
		.amdhsa_system_vgpr_workitem_id 0
		.amdhsa_next_free_vgpr 1
		.amdhsa_next_free_sgpr 0
		.amdhsa_accum_offset 4
		.amdhsa_reserve_vcc 0
		.amdhsa_reserve_flat_scratch 0
		.amdhsa_float_round_mode_32 0
		.amdhsa_float_round_mode_16_64 0
		.amdhsa_float_denorm_mode_32 3
		.amdhsa_float_denorm_mode_16_64 3
		.amdhsa_dx10_clamp 1
		.amdhsa_ieee_mode 1
		.amdhsa_fp16_overflow 0
		.amdhsa_tg_split 0
		.amdhsa_exception_fp_ieee_invalid_op 0
		.amdhsa_exception_fp_denorm_src 0
		.amdhsa_exception_fp_ieee_div_zero 0
		.amdhsa_exception_fp_ieee_overflow 0
		.amdhsa_exception_fp_ieee_underflow 0
		.amdhsa_exception_fp_ieee_inexact 0
		.amdhsa_exception_int_div_zero 0
	.end_amdhsa_kernel
	.section	.text._ZN7rocprim17ROCPRIM_400000_NS6detail17trampoline_kernelINS0_14default_configENS1_25transform_config_selectorIaLb0EEEZNS1_14transform_implILb0ES3_S5_PaN6thrust23THRUST_200600_302600_NS6detail15normal_iteratorINS9_10device_ptrIaEEEENS0_8identityIaEEEE10hipError_tT2_T3_mT4_P12ihipStream_tbEUlT_E_NS1_11comp_targetILNS1_3genE10ELNS1_11target_archE1201ELNS1_3gpuE5ELNS1_3repE0EEENS1_30default_config_static_selectorELNS0_4arch9wavefront6targetE1EEEvT1_,"axG",@progbits,_ZN7rocprim17ROCPRIM_400000_NS6detail17trampoline_kernelINS0_14default_configENS1_25transform_config_selectorIaLb0EEEZNS1_14transform_implILb0ES3_S5_PaN6thrust23THRUST_200600_302600_NS6detail15normal_iteratorINS9_10device_ptrIaEEEENS0_8identityIaEEEE10hipError_tT2_T3_mT4_P12ihipStream_tbEUlT_E_NS1_11comp_targetILNS1_3genE10ELNS1_11target_archE1201ELNS1_3gpuE5ELNS1_3repE0EEENS1_30default_config_static_selectorELNS0_4arch9wavefront6targetE1EEEvT1_,comdat
.Lfunc_end2838:
	.size	_ZN7rocprim17ROCPRIM_400000_NS6detail17trampoline_kernelINS0_14default_configENS1_25transform_config_selectorIaLb0EEEZNS1_14transform_implILb0ES3_S5_PaN6thrust23THRUST_200600_302600_NS6detail15normal_iteratorINS9_10device_ptrIaEEEENS0_8identityIaEEEE10hipError_tT2_T3_mT4_P12ihipStream_tbEUlT_E_NS1_11comp_targetILNS1_3genE10ELNS1_11target_archE1201ELNS1_3gpuE5ELNS1_3repE0EEENS1_30default_config_static_selectorELNS0_4arch9wavefront6targetE1EEEvT1_, .Lfunc_end2838-_ZN7rocprim17ROCPRIM_400000_NS6detail17trampoline_kernelINS0_14default_configENS1_25transform_config_selectorIaLb0EEEZNS1_14transform_implILb0ES3_S5_PaN6thrust23THRUST_200600_302600_NS6detail15normal_iteratorINS9_10device_ptrIaEEEENS0_8identityIaEEEE10hipError_tT2_T3_mT4_P12ihipStream_tbEUlT_E_NS1_11comp_targetILNS1_3genE10ELNS1_11target_archE1201ELNS1_3gpuE5ELNS1_3repE0EEENS1_30default_config_static_selectorELNS0_4arch9wavefront6targetE1EEEvT1_
                                        ; -- End function
	.section	.AMDGPU.csdata,"",@progbits
; Kernel info:
; codeLenInByte = 0
; NumSgprs: 4
; NumVgprs: 0
; NumAgprs: 0
; TotalNumVgprs: 0
; ScratchSize: 0
; MemoryBound: 0
; FloatMode: 240
; IeeeMode: 1
; LDSByteSize: 0 bytes/workgroup (compile time only)
; SGPRBlocks: 0
; VGPRBlocks: 0
; NumSGPRsForWavesPerEU: 4
; NumVGPRsForWavesPerEU: 1
; AccumOffset: 4
; Occupancy: 8
; WaveLimiterHint : 0
; COMPUTE_PGM_RSRC2:SCRATCH_EN: 0
; COMPUTE_PGM_RSRC2:USER_SGPR: 6
; COMPUTE_PGM_RSRC2:TRAP_HANDLER: 0
; COMPUTE_PGM_RSRC2:TGID_X_EN: 1
; COMPUTE_PGM_RSRC2:TGID_Y_EN: 0
; COMPUTE_PGM_RSRC2:TGID_Z_EN: 0
; COMPUTE_PGM_RSRC2:TIDIG_COMP_CNT: 0
; COMPUTE_PGM_RSRC3_GFX90A:ACCUM_OFFSET: 0
; COMPUTE_PGM_RSRC3_GFX90A:TG_SPLIT: 0
	.section	.text._ZN7rocprim17ROCPRIM_400000_NS6detail17trampoline_kernelINS0_14default_configENS1_25transform_config_selectorIaLb0EEEZNS1_14transform_implILb0ES3_S5_PaN6thrust23THRUST_200600_302600_NS6detail15normal_iteratorINS9_10device_ptrIaEEEENS0_8identityIaEEEE10hipError_tT2_T3_mT4_P12ihipStream_tbEUlT_E_NS1_11comp_targetILNS1_3genE10ELNS1_11target_archE1200ELNS1_3gpuE4ELNS1_3repE0EEENS1_30default_config_static_selectorELNS0_4arch9wavefront6targetE1EEEvT1_,"axG",@progbits,_ZN7rocprim17ROCPRIM_400000_NS6detail17trampoline_kernelINS0_14default_configENS1_25transform_config_selectorIaLb0EEEZNS1_14transform_implILb0ES3_S5_PaN6thrust23THRUST_200600_302600_NS6detail15normal_iteratorINS9_10device_ptrIaEEEENS0_8identityIaEEEE10hipError_tT2_T3_mT4_P12ihipStream_tbEUlT_E_NS1_11comp_targetILNS1_3genE10ELNS1_11target_archE1200ELNS1_3gpuE4ELNS1_3repE0EEENS1_30default_config_static_selectorELNS0_4arch9wavefront6targetE1EEEvT1_,comdat
	.protected	_ZN7rocprim17ROCPRIM_400000_NS6detail17trampoline_kernelINS0_14default_configENS1_25transform_config_selectorIaLb0EEEZNS1_14transform_implILb0ES3_S5_PaN6thrust23THRUST_200600_302600_NS6detail15normal_iteratorINS9_10device_ptrIaEEEENS0_8identityIaEEEE10hipError_tT2_T3_mT4_P12ihipStream_tbEUlT_E_NS1_11comp_targetILNS1_3genE10ELNS1_11target_archE1200ELNS1_3gpuE4ELNS1_3repE0EEENS1_30default_config_static_selectorELNS0_4arch9wavefront6targetE1EEEvT1_ ; -- Begin function _ZN7rocprim17ROCPRIM_400000_NS6detail17trampoline_kernelINS0_14default_configENS1_25transform_config_selectorIaLb0EEEZNS1_14transform_implILb0ES3_S5_PaN6thrust23THRUST_200600_302600_NS6detail15normal_iteratorINS9_10device_ptrIaEEEENS0_8identityIaEEEE10hipError_tT2_T3_mT4_P12ihipStream_tbEUlT_E_NS1_11comp_targetILNS1_3genE10ELNS1_11target_archE1200ELNS1_3gpuE4ELNS1_3repE0EEENS1_30default_config_static_selectorELNS0_4arch9wavefront6targetE1EEEvT1_
	.globl	_ZN7rocprim17ROCPRIM_400000_NS6detail17trampoline_kernelINS0_14default_configENS1_25transform_config_selectorIaLb0EEEZNS1_14transform_implILb0ES3_S5_PaN6thrust23THRUST_200600_302600_NS6detail15normal_iteratorINS9_10device_ptrIaEEEENS0_8identityIaEEEE10hipError_tT2_T3_mT4_P12ihipStream_tbEUlT_E_NS1_11comp_targetILNS1_3genE10ELNS1_11target_archE1200ELNS1_3gpuE4ELNS1_3repE0EEENS1_30default_config_static_selectorELNS0_4arch9wavefront6targetE1EEEvT1_
	.p2align	8
	.type	_ZN7rocprim17ROCPRIM_400000_NS6detail17trampoline_kernelINS0_14default_configENS1_25transform_config_selectorIaLb0EEEZNS1_14transform_implILb0ES3_S5_PaN6thrust23THRUST_200600_302600_NS6detail15normal_iteratorINS9_10device_ptrIaEEEENS0_8identityIaEEEE10hipError_tT2_T3_mT4_P12ihipStream_tbEUlT_E_NS1_11comp_targetILNS1_3genE10ELNS1_11target_archE1200ELNS1_3gpuE4ELNS1_3repE0EEENS1_30default_config_static_selectorELNS0_4arch9wavefront6targetE1EEEvT1_,@function
_ZN7rocprim17ROCPRIM_400000_NS6detail17trampoline_kernelINS0_14default_configENS1_25transform_config_selectorIaLb0EEEZNS1_14transform_implILb0ES3_S5_PaN6thrust23THRUST_200600_302600_NS6detail15normal_iteratorINS9_10device_ptrIaEEEENS0_8identityIaEEEE10hipError_tT2_T3_mT4_P12ihipStream_tbEUlT_E_NS1_11comp_targetILNS1_3genE10ELNS1_11target_archE1200ELNS1_3gpuE4ELNS1_3repE0EEENS1_30default_config_static_selectorELNS0_4arch9wavefront6targetE1EEEvT1_: ; @_ZN7rocprim17ROCPRIM_400000_NS6detail17trampoline_kernelINS0_14default_configENS1_25transform_config_selectorIaLb0EEEZNS1_14transform_implILb0ES3_S5_PaN6thrust23THRUST_200600_302600_NS6detail15normal_iteratorINS9_10device_ptrIaEEEENS0_8identityIaEEEE10hipError_tT2_T3_mT4_P12ihipStream_tbEUlT_E_NS1_11comp_targetILNS1_3genE10ELNS1_11target_archE1200ELNS1_3gpuE4ELNS1_3repE0EEENS1_30default_config_static_selectorELNS0_4arch9wavefront6targetE1EEEvT1_
; %bb.0:
	.section	.rodata,"a",@progbits
	.p2align	6, 0x0
	.amdhsa_kernel _ZN7rocprim17ROCPRIM_400000_NS6detail17trampoline_kernelINS0_14default_configENS1_25transform_config_selectorIaLb0EEEZNS1_14transform_implILb0ES3_S5_PaN6thrust23THRUST_200600_302600_NS6detail15normal_iteratorINS9_10device_ptrIaEEEENS0_8identityIaEEEE10hipError_tT2_T3_mT4_P12ihipStream_tbEUlT_E_NS1_11comp_targetILNS1_3genE10ELNS1_11target_archE1200ELNS1_3gpuE4ELNS1_3repE0EEENS1_30default_config_static_selectorELNS0_4arch9wavefront6targetE1EEEvT1_
		.amdhsa_group_segment_fixed_size 0
		.amdhsa_private_segment_fixed_size 0
		.amdhsa_kernarg_size 40
		.amdhsa_user_sgpr_count 6
		.amdhsa_user_sgpr_private_segment_buffer 1
		.amdhsa_user_sgpr_dispatch_ptr 0
		.amdhsa_user_sgpr_queue_ptr 0
		.amdhsa_user_sgpr_kernarg_segment_ptr 1
		.amdhsa_user_sgpr_dispatch_id 0
		.amdhsa_user_sgpr_flat_scratch_init 0
		.amdhsa_user_sgpr_kernarg_preload_length 0
		.amdhsa_user_sgpr_kernarg_preload_offset 0
		.amdhsa_user_sgpr_private_segment_size 0
		.amdhsa_uses_dynamic_stack 0
		.amdhsa_system_sgpr_private_segment_wavefront_offset 0
		.amdhsa_system_sgpr_workgroup_id_x 1
		.amdhsa_system_sgpr_workgroup_id_y 0
		.amdhsa_system_sgpr_workgroup_id_z 0
		.amdhsa_system_sgpr_workgroup_info 0
		.amdhsa_system_vgpr_workitem_id 0
		.amdhsa_next_free_vgpr 1
		.amdhsa_next_free_sgpr 0
		.amdhsa_accum_offset 4
		.amdhsa_reserve_vcc 0
		.amdhsa_reserve_flat_scratch 0
		.amdhsa_float_round_mode_32 0
		.amdhsa_float_round_mode_16_64 0
		.amdhsa_float_denorm_mode_32 3
		.amdhsa_float_denorm_mode_16_64 3
		.amdhsa_dx10_clamp 1
		.amdhsa_ieee_mode 1
		.amdhsa_fp16_overflow 0
		.amdhsa_tg_split 0
		.amdhsa_exception_fp_ieee_invalid_op 0
		.amdhsa_exception_fp_denorm_src 0
		.amdhsa_exception_fp_ieee_div_zero 0
		.amdhsa_exception_fp_ieee_overflow 0
		.amdhsa_exception_fp_ieee_underflow 0
		.amdhsa_exception_fp_ieee_inexact 0
		.amdhsa_exception_int_div_zero 0
	.end_amdhsa_kernel
	.section	.text._ZN7rocprim17ROCPRIM_400000_NS6detail17trampoline_kernelINS0_14default_configENS1_25transform_config_selectorIaLb0EEEZNS1_14transform_implILb0ES3_S5_PaN6thrust23THRUST_200600_302600_NS6detail15normal_iteratorINS9_10device_ptrIaEEEENS0_8identityIaEEEE10hipError_tT2_T3_mT4_P12ihipStream_tbEUlT_E_NS1_11comp_targetILNS1_3genE10ELNS1_11target_archE1200ELNS1_3gpuE4ELNS1_3repE0EEENS1_30default_config_static_selectorELNS0_4arch9wavefront6targetE1EEEvT1_,"axG",@progbits,_ZN7rocprim17ROCPRIM_400000_NS6detail17trampoline_kernelINS0_14default_configENS1_25transform_config_selectorIaLb0EEEZNS1_14transform_implILb0ES3_S5_PaN6thrust23THRUST_200600_302600_NS6detail15normal_iteratorINS9_10device_ptrIaEEEENS0_8identityIaEEEE10hipError_tT2_T3_mT4_P12ihipStream_tbEUlT_E_NS1_11comp_targetILNS1_3genE10ELNS1_11target_archE1200ELNS1_3gpuE4ELNS1_3repE0EEENS1_30default_config_static_selectorELNS0_4arch9wavefront6targetE1EEEvT1_,comdat
.Lfunc_end2839:
	.size	_ZN7rocprim17ROCPRIM_400000_NS6detail17trampoline_kernelINS0_14default_configENS1_25transform_config_selectorIaLb0EEEZNS1_14transform_implILb0ES3_S5_PaN6thrust23THRUST_200600_302600_NS6detail15normal_iteratorINS9_10device_ptrIaEEEENS0_8identityIaEEEE10hipError_tT2_T3_mT4_P12ihipStream_tbEUlT_E_NS1_11comp_targetILNS1_3genE10ELNS1_11target_archE1200ELNS1_3gpuE4ELNS1_3repE0EEENS1_30default_config_static_selectorELNS0_4arch9wavefront6targetE1EEEvT1_, .Lfunc_end2839-_ZN7rocprim17ROCPRIM_400000_NS6detail17trampoline_kernelINS0_14default_configENS1_25transform_config_selectorIaLb0EEEZNS1_14transform_implILb0ES3_S5_PaN6thrust23THRUST_200600_302600_NS6detail15normal_iteratorINS9_10device_ptrIaEEEENS0_8identityIaEEEE10hipError_tT2_T3_mT4_P12ihipStream_tbEUlT_E_NS1_11comp_targetILNS1_3genE10ELNS1_11target_archE1200ELNS1_3gpuE4ELNS1_3repE0EEENS1_30default_config_static_selectorELNS0_4arch9wavefront6targetE1EEEvT1_
                                        ; -- End function
	.section	.AMDGPU.csdata,"",@progbits
; Kernel info:
; codeLenInByte = 0
; NumSgprs: 4
; NumVgprs: 0
; NumAgprs: 0
; TotalNumVgprs: 0
; ScratchSize: 0
; MemoryBound: 0
; FloatMode: 240
; IeeeMode: 1
; LDSByteSize: 0 bytes/workgroup (compile time only)
; SGPRBlocks: 0
; VGPRBlocks: 0
; NumSGPRsForWavesPerEU: 4
; NumVGPRsForWavesPerEU: 1
; AccumOffset: 4
; Occupancy: 8
; WaveLimiterHint : 0
; COMPUTE_PGM_RSRC2:SCRATCH_EN: 0
; COMPUTE_PGM_RSRC2:USER_SGPR: 6
; COMPUTE_PGM_RSRC2:TRAP_HANDLER: 0
; COMPUTE_PGM_RSRC2:TGID_X_EN: 1
; COMPUTE_PGM_RSRC2:TGID_Y_EN: 0
; COMPUTE_PGM_RSRC2:TGID_Z_EN: 0
; COMPUTE_PGM_RSRC2:TIDIG_COMP_CNT: 0
; COMPUTE_PGM_RSRC3_GFX90A:ACCUM_OFFSET: 0
; COMPUTE_PGM_RSRC3_GFX90A:TG_SPLIT: 0
	.section	.text._ZN7rocprim17ROCPRIM_400000_NS6detail17trampoline_kernelINS0_14default_configENS1_25transform_config_selectorIaLb0EEEZNS1_14transform_implILb0ES3_S5_PaN6thrust23THRUST_200600_302600_NS6detail15normal_iteratorINS9_10device_ptrIaEEEENS0_8identityIaEEEE10hipError_tT2_T3_mT4_P12ihipStream_tbEUlT_E_NS1_11comp_targetILNS1_3genE9ELNS1_11target_archE1100ELNS1_3gpuE3ELNS1_3repE0EEENS1_30default_config_static_selectorELNS0_4arch9wavefront6targetE1EEEvT1_,"axG",@progbits,_ZN7rocprim17ROCPRIM_400000_NS6detail17trampoline_kernelINS0_14default_configENS1_25transform_config_selectorIaLb0EEEZNS1_14transform_implILb0ES3_S5_PaN6thrust23THRUST_200600_302600_NS6detail15normal_iteratorINS9_10device_ptrIaEEEENS0_8identityIaEEEE10hipError_tT2_T3_mT4_P12ihipStream_tbEUlT_E_NS1_11comp_targetILNS1_3genE9ELNS1_11target_archE1100ELNS1_3gpuE3ELNS1_3repE0EEENS1_30default_config_static_selectorELNS0_4arch9wavefront6targetE1EEEvT1_,comdat
	.protected	_ZN7rocprim17ROCPRIM_400000_NS6detail17trampoline_kernelINS0_14default_configENS1_25transform_config_selectorIaLb0EEEZNS1_14transform_implILb0ES3_S5_PaN6thrust23THRUST_200600_302600_NS6detail15normal_iteratorINS9_10device_ptrIaEEEENS0_8identityIaEEEE10hipError_tT2_T3_mT4_P12ihipStream_tbEUlT_E_NS1_11comp_targetILNS1_3genE9ELNS1_11target_archE1100ELNS1_3gpuE3ELNS1_3repE0EEENS1_30default_config_static_selectorELNS0_4arch9wavefront6targetE1EEEvT1_ ; -- Begin function _ZN7rocprim17ROCPRIM_400000_NS6detail17trampoline_kernelINS0_14default_configENS1_25transform_config_selectorIaLb0EEEZNS1_14transform_implILb0ES3_S5_PaN6thrust23THRUST_200600_302600_NS6detail15normal_iteratorINS9_10device_ptrIaEEEENS0_8identityIaEEEE10hipError_tT2_T3_mT4_P12ihipStream_tbEUlT_E_NS1_11comp_targetILNS1_3genE9ELNS1_11target_archE1100ELNS1_3gpuE3ELNS1_3repE0EEENS1_30default_config_static_selectorELNS0_4arch9wavefront6targetE1EEEvT1_
	.globl	_ZN7rocprim17ROCPRIM_400000_NS6detail17trampoline_kernelINS0_14default_configENS1_25transform_config_selectorIaLb0EEEZNS1_14transform_implILb0ES3_S5_PaN6thrust23THRUST_200600_302600_NS6detail15normal_iteratorINS9_10device_ptrIaEEEENS0_8identityIaEEEE10hipError_tT2_T3_mT4_P12ihipStream_tbEUlT_E_NS1_11comp_targetILNS1_3genE9ELNS1_11target_archE1100ELNS1_3gpuE3ELNS1_3repE0EEENS1_30default_config_static_selectorELNS0_4arch9wavefront6targetE1EEEvT1_
	.p2align	8
	.type	_ZN7rocprim17ROCPRIM_400000_NS6detail17trampoline_kernelINS0_14default_configENS1_25transform_config_selectorIaLb0EEEZNS1_14transform_implILb0ES3_S5_PaN6thrust23THRUST_200600_302600_NS6detail15normal_iteratorINS9_10device_ptrIaEEEENS0_8identityIaEEEE10hipError_tT2_T3_mT4_P12ihipStream_tbEUlT_E_NS1_11comp_targetILNS1_3genE9ELNS1_11target_archE1100ELNS1_3gpuE3ELNS1_3repE0EEENS1_30default_config_static_selectorELNS0_4arch9wavefront6targetE1EEEvT1_,@function
_ZN7rocprim17ROCPRIM_400000_NS6detail17trampoline_kernelINS0_14default_configENS1_25transform_config_selectorIaLb0EEEZNS1_14transform_implILb0ES3_S5_PaN6thrust23THRUST_200600_302600_NS6detail15normal_iteratorINS9_10device_ptrIaEEEENS0_8identityIaEEEE10hipError_tT2_T3_mT4_P12ihipStream_tbEUlT_E_NS1_11comp_targetILNS1_3genE9ELNS1_11target_archE1100ELNS1_3gpuE3ELNS1_3repE0EEENS1_30default_config_static_selectorELNS0_4arch9wavefront6targetE1EEEvT1_: ; @_ZN7rocprim17ROCPRIM_400000_NS6detail17trampoline_kernelINS0_14default_configENS1_25transform_config_selectorIaLb0EEEZNS1_14transform_implILb0ES3_S5_PaN6thrust23THRUST_200600_302600_NS6detail15normal_iteratorINS9_10device_ptrIaEEEENS0_8identityIaEEEE10hipError_tT2_T3_mT4_P12ihipStream_tbEUlT_E_NS1_11comp_targetILNS1_3genE9ELNS1_11target_archE1100ELNS1_3gpuE3ELNS1_3repE0EEENS1_30default_config_static_selectorELNS0_4arch9wavefront6targetE1EEEvT1_
; %bb.0:
	.section	.rodata,"a",@progbits
	.p2align	6, 0x0
	.amdhsa_kernel _ZN7rocprim17ROCPRIM_400000_NS6detail17trampoline_kernelINS0_14default_configENS1_25transform_config_selectorIaLb0EEEZNS1_14transform_implILb0ES3_S5_PaN6thrust23THRUST_200600_302600_NS6detail15normal_iteratorINS9_10device_ptrIaEEEENS0_8identityIaEEEE10hipError_tT2_T3_mT4_P12ihipStream_tbEUlT_E_NS1_11comp_targetILNS1_3genE9ELNS1_11target_archE1100ELNS1_3gpuE3ELNS1_3repE0EEENS1_30default_config_static_selectorELNS0_4arch9wavefront6targetE1EEEvT1_
		.amdhsa_group_segment_fixed_size 0
		.amdhsa_private_segment_fixed_size 0
		.amdhsa_kernarg_size 40
		.amdhsa_user_sgpr_count 6
		.amdhsa_user_sgpr_private_segment_buffer 1
		.amdhsa_user_sgpr_dispatch_ptr 0
		.amdhsa_user_sgpr_queue_ptr 0
		.amdhsa_user_sgpr_kernarg_segment_ptr 1
		.amdhsa_user_sgpr_dispatch_id 0
		.amdhsa_user_sgpr_flat_scratch_init 0
		.amdhsa_user_sgpr_kernarg_preload_length 0
		.amdhsa_user_sgpr_kernarg_preload_offset 0
		.amdhsa_user_sgpr_private_segment_size 0
		.amdhsa_uses_dynamic_stack 0
		.amdhsa_system_sgpr_private_segment_wavefront_offset 0
		.amdhsa_system_sgpr_workgroup_id_x 1
		.amdhsa_system_sgpr_workgroup_id_y 0
		.amdhsa_system_sgpr_workgroup_id_z 0
		.amdhsa_system_sgpr_workgroup_info 0
		.amdhsa_system_vgpr_workitem_id 0
		.amdhsa_next_free_vgpr 1
		.amdhsa_next_free_sgpr 0
		.amdhsa_accum_offset 4
		.amdhsa_reserve_vcc 0
		.amdhsa_reserve_flat_scratch 0
		.amdhsa_float_round_mode_32 0
		.amdhsa_float_round_mode_16_64 0
		.amdhsa_float_denorm_mode_32 3
		.amdhsa_float_denorm_mode_16_64 3
		.amdhsa_dx10_clamp 1
		.amdhsa_ieee_mode 1
		.amdhsa_fp16_overflow 0
		.amdhsa_tg_split 0
		.amdhsa_exception_fp_ieee_invalid_op 0
		.amdhsa_exception_fp_denorm_src 0
		.amdhsa_exception_fp_ieee_div_zero 0
		.amdhsa_exception_fp_ieee_overflow 0
		.amdhsa_exception_fp_ieee_underflow 0
		.amdhsa_exception_fp_ieee_inexact 0
		.amdhsa_exception_int_div_zero 0
	.end_amdhsa_kernel
	.section	.text._ZN7rocprim17ROCPRIM_400000_NS6detail17trampoline_kernelINS0_14default_configENS1_25transform_config_selectorIaLb0EEEZNS1_14transform_implILb0ES3_S5_PaN6thrust23THRUST_200600_302600_NS6detail15normal_iteratorINS9_10device_ptrIaEEEENS0_8identityIaEEEE10hipError_tT2_T3_mT4_P12ihipStream_tbEUlT_E_NS1_11comp_targetILNS1_3genE9ELNS1_11target_archE1100ELNS1_3gpuE3ELNS1_3repE0EEENS1_30default_config_static_selectorELNS0_4arch9wavefront6targetE1EEEvT1_,"axG",@progbits,_ZN7rocprim17ROCPRIM_400000_NS6detail17trampoline_kernelINS0_14default_configENS1_25transform_config_selectorIaLb0EEEZNS1_14transform_implILb0ES3_S5_PaN6thrust23THRUST_200600_302600_NS6detail15normal_iteratorINS9_10device_ptrIaEEEENS0_8identityIaEEEE10hipError_tT2_T3_mT4_P12ihipStream_tbEUlT_E_NS1_11comp_targetILNS1_3genE9ELNS1_11target_archE1100ELNS1_3gpuE3ELNS1_3repE0EEENS1_30default_config_static_selectorELNS0_4arch9wavefront6targetE1EEEvT1_,comdat
.Lfunc_end2840:
	.size	_ZN7rocprim17ROCPRIM_400000_NS6detail17trampoline_kernelINS0_14default_configENS1_25transform_config_selectorIaLb0EEEZNS1_14transform_implILb0ES3_S5_PaN6thrust23THRUST_200600_302600_NS6detail15normal_iteratorINS9_10device_ptrIaEEEENS0_8identityIaEEEE10hipError_tT2_T3_mT4_P12ihipStream_tbEUlT_E_NS1_11comp_targetILNS1_3genE9ELNS1_11target_archE1100ELNS1_3gpuE3ELNS1_3repE0EEENS1_30default_config_static_selectorELNS0_4arch9wavefront6targetE1EEEvT1_, .Lfunc_end2840-_ZN7rocprim17ROCPRIM_400000_NS6detail17trampoline_kernelINS0_14default_configENS1_25transform_config_selectorIaLb0EEEZNS1_14transform_implILb0ES3_S5_PaN6thrust23THRUST_200600_302600_NS6detail15normal_iteratorINS9_10device_ptrIaEEEENS0_8identityIaEEEE10hipError_tT2_T3_mT4_P12ihipStream_tbEUlT_E_NS1_11comp_targetILNS1_3genE9ELNS1_11target_archE1100ELNS1_3gpuE3ELNS1_3repE0EEENS1_30default_config_static_selectorELNS0_4arch9wavefront6targetE1EEEvT1_
                                        ; -- End function
	.section	.AMDGPU.csdata,"",@progbits
; Kernel info:
; codeLenInByte = 0
; NumSgprs: 4
; NumVgprs: 0
; NumAgprs: 0
; TotalNumVgprs: 0
; ScratchSize: 0
; MemoryBound: 0
; FloatMode: 240
; IeeeMode: 1
; LDSByteSize: 0 bytes/workgroup (compile time only)
; SGPRBlocks: 0
; VGPRBlocks: 0
; NumSGPRsForWavesPerEU: 4
; NumVGPRsForWavesPerEU: 1
; AccumOffset: 4
; Occupancy: 8
; WaveLimiterHint : 0
; COMPUTE_PGM_RSRC2:SCRATCH_EN: 0
; COMPUTE_PGM_RSRC2:USER_SGPR: 6
; COMPUTE_PGM_RSRC2:TRAP_HANDLER: 0
; COMPUTE_PGM_RSRC2:TGID_X_EN: 1
; COMPUTE_PGM_RSRC2:TGID_Y_EN: 0
; COMPUTE_PGM_RSRC2:TGID_Z_EN: 0
; COMPUTE_PGM_RSRC2:TIDIG_COMP_CNT: 0
; COMPUTE_PGM_RSRC3_GFX90A:ACCUM_OFFSET: 0
; COMPUTE_PGM_RSRC3_GFX90A:TG_SPLIT: 0
	.section	.text._ZN7rocprim17ROCPRIM_400000_NS6detail17trampoline_kernelINS0_14default_configENS1_25transform_config_selectorIaLb0EEEZNS1_14transform_implILb0ES3_S5_PaN6thrust23THRUST_200600_302600_NS6detail15normal_iteratorINS9_10device_ptrIaEEEENS0_8identityIaEEEE10hipError_tT2_T3_mT4_P12ihipStream_tbEUlT_E_NS1_11comp_targetILNS1_3genE8ELNS1_11target_archE1030ELNS1_3gpuE2ELNS1_3repE0EEENS1_30default_config_static_selectorELNS0_4arch9wavefront6targetE1EEEvT1_,"axG",@progbits,_ZN7rocprim17ROCPRIM_400000_NS6detail17trampoline_kernelINS0_14default_configENS1_25transform_config_selectorIaLb0EEEZNS1_14transform_implILb0ES3_S5_PaN6thrust23THRUST_200600_302600_NS6detail15normal_iteratorINS9_10device_ptrIaEEEENS0_8identityIaEEEE10hipError_tT2_T3_mT4_P12ihipStream_tbEUlT_E_NS1_11comp_targetILNS1_3genE8ELNS1_11target_archE1030ELNS1_3gpuE2ELNS1_3repE0EEENS1_30default_config_static_selectorELNS0_4arch9wavefront6targetE1EEEvT1_,comdat
	.protected	_ZN7rocprim17ROCPRIM_400000_NS6detail17trampoline_kernelINS0_14default_configENS1_25transform_config_selectorIaLb0EEEZNS1_14transform_implILb0ES3_S5_PaN6thrust23THRUST_200600_302600_NS6detail15normal_iteratorINS9_10device_ptrIaEEEENS0_8identityIaEEEE10hipError_tT2_T3_mT4_P12ihipStream_tbEUlT_E_NS1_11comp_targetILNS1_3genE8ELNS1_11target_archE1030ELNS1_3gpuE2ELNS1_3repE0EEENS1_30default_config_static_selectorELNS0_4arch9wavefront6targetE1EEEvT1_ ; -- Begin function _ZN7rocprim17ROCPRIM_400000_NS6detail17trampoline_kernelINS0_14default_configENS1_25transform_config_selectorIaLb0EEEZNS1_14transform_implILb0ES3_S5_PaN6thrust23THRUST_200600_302600_NS6detail15normal_iteratorINS9_10device_ptrIaEEEENS0_8identityIaEEEE10hipError_tT2_T3_mT4_P12ihipStream_tbEUlT_E_NS1_11comp_targetILNS1_3genE8ELNS1_11target_archE1030ELNS1_3gpuE2ELNS1_3repE0EEENS1_30default_config_static_selectorELNS0_4arch9wavefront6targetE1EEEvT1_
	.globl	_ZN7rocprim17ROCPRIM_400000_NS6detail17trampoline_kernelINS0_14default_configENS1_25transform_config_selectorIaLb0EEEZNS1_14transform_implILb0ES3_S5_PaN6thrust23THRUST_200600_302600_NS6detail15normal_iteratorINS9_10device_ptrIaEEEENS0_8identityIaEEEE10hipError_tT2_T3_mT4_P12ihipStream_tbEUlT_E_NS1_11comp_targetILNS1_3genE8ELNS1_11target_archE1030ELNS1_3gpuE2ELNS1_3repE0EEENS1_30default_config_static_selectorELNS0_4arch9wavefront6targetE1EEEvT1_
	.p2align	8
	.type	_ZN7rocprim17ROCPRIM_400000_NS6detail17trampoline_kernelINS0_14default_configENS1_25transform_config_selectorIaLb0EEEZNS1_14transform_implILb0ES3_S5_PaN6thrust23THRUST_200600_302600_NS6detail15normal_iteratorINS9_10device_ptrIaEEEENS0_8identityIaEEEE10hipError_tT2_T3_mT4_P12ihipStream_tbEUlT_E_NS1_11comp_targetILNS1_3genE8ELNS1_11target_archE1030ELNS1_3gpuE2ELNS1_3repE0EEENS1_30default_config_static_selectorELNS0_4arch9wavefront6targetE1EEEvT1_,@function
_ZN7rocprim17ROCPRIM_400000_NS6detail17trampoline_kernelINS0_14default_configENS1_25transform_config_selectorIaLb0EEEZNS1_14transform_implILb0ES3_S5_PaN6thrust23THRUST_200600_302600_NS6detail15normal_iteratorINS9_10device_ptrIaEEEENS0_8identityIaEEEE10hipError_tT2_T3_mT4_P12ihipStream_tbEUlT_E_NS1_11comp_targetILNS1_3genE8ELNS1_11target_archE1030ELNS1_3gpuE2ELNS1_3repE0EEENS1_30default_config_static_selectorELNS0_4arch9wavefront6targetE1EEEvT1_: ; @_ZN7rocprim17ROCPRIM_400000_NS6detail17trampoline_kernelINS0_14default_configENS1_25transform_config_selectorIaLb0EEEZNS1_14transform_implILb0ES3_S5_PaN6thrust23THRUST_200600_302600_NS6detail15normal_iteratorINS9_10device_ptrIaEEEENS0_8identityIaEEEE10hipError_tT2_T3_mT4_P12ihipStream_tbEUlT_E_NS1_11comp_targetILNS1_3genE8ELNS1_11target_archE1030ELNS1_3gpuE2ELNS1_3repE0EEENS1_30default_config_static_selectorELNS0_4arch9wavefront6targetE1EEEvT1_
; %bb.0:
	.section	.rodata,"a",@progbits
	.p2align	6, 0x0
	.amdhsa_kernel _ZN7rocprim17ROCPRIM_400000_NS6detail17trampoline_kernelINS0_14default_configENS1_25transform_config_selectorIaLb0EEEZNS1_14transform_implILb0ES3_S5_PaN6thrust23THRUST_200600_302600_NS6detail15normal_iteratorINS9_10device_ptrIaEEEENS0_8identityIaEEEE10hipError_tT2_T3_mT4_P12ihipStream_tbEUlT_E_NS1_11comp_targetILNS1_3genE8ELNS1_11target_archE1030ELNS1_3gpuE2ELNS1_3repE0EEENS1_30default_config_static_selectorELNS0_4arch9wavefront6targetE1EEEvT1_
		.amdhsa_group_segment_fixed_size 0
		.amdhsa_private_segment_fixed_size 0
		.amdhsa_kernarg_size 40
		.amdhsa_user_sgpr_count 6
		.amdhsa_user_sgpr_private_segment_buffer 1
		.amdhsa_user_sgpr_dispatch_ptr 0
		.amdhsa_user_sgpr_queue_ptr 0
		.amdhsa_user_sgpr_kernarg_segment_ptr 1
		.amdhsa_user_sgpr_dispatch_id 0
		.amdhsa_user_sgpr_flat_scratch_init 0
		.amdhsa_user_sgpr_kernarg_preload_length 0
		.amdhsa_user_sgpr_kernarg_preload_offset 0
		.amdhsa_user_sgpr_private_segment_size 0
		.amdhsa_uses_dynamic_stack 0
		.amdhsa_system_sgpr_private_segment_wavefront_offset 0
		.amdhsa_system_sgpr_workgroup_id_x 1
		.amdhsa_system_sgpr_workgroup_id_y 0
		.amdhsa_system_sgpr_workgroup_id_z 0
		.amdhsa_system_sgpr_workgroup_info 0
		.amdhsa_system_vgpr_workitem_id 0
		.amdhsa_next_free_vgpr 1
		.amdhsa_next_free_sgpr 0
		.amdhsa_accum_offset 4
		.amdhsa_reserve_vcc 0
		.amdhsa_reserve_flat_scratch 0
		.amdhsa_float_round_mode_32 0
		.amdhsa_float_round_mode_16_64 0
		.amdhsa_float_denorm_mode_32 3
		.amdhsa_float_denorm_mode_16_64 3
		.amdhsa_dx10_clamp 1
		.amdhsa_ieee_mode 1
		.amdhsa_fp16_overflow 0
		.amdhsa_tg_split 0
		.amdhsa_exception_fp_ieee_invalid_op 0
		.amdhsa_exception_fp_denorm_src 0
		.amdhsa_exception_fp_ieee_div_zero 0
		.amdhsa_exception_fp_ieee_overflow 0
		.amdhsa_exception_fp_ieee_underflow 0
		.amdhsa_exception_fp_ieee_inexact 0
		.amdhsa_exception_int_div_zero 0
	.end_amdhsa_kernel
	.section	.text._ZN7rocprim17ROCPRIM_400000_NS6detail17trampoline_kernelINS0_14default_configENS1_25transform_config_selectorIaLb0EEEZNS1_14transform_implILb0ES3_S5_PaN6thrust23THRUST_200600_302600_NS6detail15normal_iteratorINS9_10device_ptrIaEEEENS0_8identityIaEEEE10hipError_tT2_T3_mT4_P12ihipStream_tbEUlT_E_NS1_11comp_targetILNS1_3genE8ELNS1_11target_archE1030ELNS1_3gpuE2ELNS1_3repE0EEENS1_30default_config_static_selectorELNS0_4arch9wavefront6targetE1EEEvT1_,"axG",@progbits,_ZN7rocprim17ROCPRIM_400000_NS6detail17trampoline_kernelINS0_14default_configENS1_25transform_config_selectorIaLb0EEEZNS1_14transform_implILb0ES3_S5_PaN6thrust23THRUST_200600_302600_NS6detail15normal_iteratorINS9_10device_ptrIaEEEENS0_8identityIaEEEE10hipError_tT2_T3_mT4_P12ihipStream_tbEUlT_E_NS1_11comp_targetILNS1_3genE8ELNS1_11target_archE1030ELNS1_3gpuE2ELNS1_3repE0EEENS1_30default_config_static_selectorELNS0_4arch9wavefront6targetE1EEEvT1_,comdat
.Lfunc_end2841:
	.size	_ZN7rocprim17ROCPRIM_400000_NS6detail17trampoline_kernelINS0_14default_configENS1_25transform_config_selectorIaLb0EEEZNS1_14transform_implILb0ES3_S5_PaN6thrust23THRUST_200600_302600_NS6detail15normal_iteratorINS9_10device_ptrIaEEEENS0_8identityIaEEEE10hipError_tT2_T3_mT4_P12ihipStream_tbEUlT_E_NS1_11comp_targetILNS1_3genE8ELNS1_11target_archE1030ELNS1_3gpuE2ELNS1_3repE0EEENS1_30default_config_static_selectorELNS0_4arch9wavefront6targetE1EEEvT1_, .Lfunc_end2841-_ZN7rocprim17ROCPRIM_400000_NS6detail17trampoline_kernelINS0_14default_configENS1_25transform_config_selectorIaLb0EEEZNS1_14transform_implILb0ES3_S5_PaN6thrust23THRUST_200600_302600_NS6detail15normal_iteratorINS9_10device_ptrIaEEEENS0_8identityIaEEEE10hipError_tT2_T3_mT4_P12ihipStream_tbEUlT_E_NS1_11comp_targetILNS1_3genE8ELNS1_11target_archE1030ELNS1_3gpuE2ELNS1_3repE0EEENS1_30default_config_static_selectorELNS0_4arch9wavefront6targetE1EEEvT1_
                                        ; -- End function
	.section	.AMDGPU.csdata,"",@progbits
; Kernel info:
; codeLenInByte = 0
; NumSgprs: 4
; NumVgprs: 0
; NumAgprs: 0
; TotalNumVgprs: 0
; ScratchSize: 0
; MemoryBound: 0
; FloatMode: 240
; IeeeMode: 1
; LDSByteSize: 0 bytes/workgroup (compile time only)
; SGPRBlocks: 0
; VGPRBlocks: 0
; NumSGPRsForWavesPerEU: 4
; NumVGPRsForWavesPerEU: 1
; AccumOffset: 4
; Occupancy: 8
; WaveLimiterHint : 0
; COMPUTE_PGM_RSRC2:SCRATCH_EN: 0
; COMPUTE_PGM_RSRC2:USER_SGPR: 6
; COMPUTE_PGM_RSRC2:TRAP_HANDLER: 0
; COMPUTE_PGM_RSRC2:TGID_X_EN: 1
; COMPUTE_PGM_RSRC2:TGID_Y_EN: 0
; COMPUTE_PGM_RSRC2:TGID_Z_EN: 0
; COMPUTE_PGM_RSRC2:TIDIG_COMP_CNT: 0
; COMPUTE_PGM_RSRC3_GFX90A:ACCUM_OFFSET: 0
; COMPUTE_PGM_RSRC3_GFX90A:TG_SPLIT: 0
	.section	.text._ZN7rocprim17ROCPRIM_400000_NS6detail44device_merge_sort_compile_time_verifier_archINS1_11comp_targetILNS1_3genE0ELNS1_11target_archE4294967295ELNS1_3gpuE0ELNS1_3repE0EEES8_NS0_14default_configES9_NS1_37merge_sort_block_sort_config_selectorIhNS0_10empty_typeEEENS1_38merge_sort_block_merge_config_selectorIhSB_EEEEvv,"axG",@progbits,_ZN7rocprim17ROCPRIM_400000_NS6detail44device_merge_sort_compile_time_verifier_archINS1_11comp_targetILNS1_3genE0ELNS1_11target_archE4294967295ELNS1_3gpuE0ELNS1_3repE0EEES8_NS0_14default_configES9_NS1_37merge_sort_block_sort_config_selectorIhNS0_10empty_typeEEENS1_38merge_sort_block_merge_config_selectorIhSB_EEEEvv,comdat
	.protected	_ZN7rocprim17ROCPRIM_400000_NS6detail44device_merge_sort_compile_time_verifier_archINS1_11comp_targetILNS1_3genE0ELNS1_11target_archE4294967295ELNS1_3gpuE0ELNS1_3repE0EEES8_NS0_14default_configES9_NS1_37merge_sort_block_sort_config_selectorIhNS0_10empty_typeEEENS1_38merge_sort_block_merge_config_selectorIhSB_EEEEvv ; -- Begin function _ZN7rocprim17ROCPRIM_400000_NS6detail44device_merge_sort_compile_time_verifier_archINS1_11comp_targetILNS1_3genE0ELNS1_11target_archE4294967295ELNS1_3gpuE0ELNS1_3repE0EEES8_NS0_14default_configES9_NS1_37merge_sort_block_sort_config_selectorIhNS0_10empty_typeEEENS1_38merge_sort_block_merge_config_selectorIhSB_EEEEvv
	.globl	_ZN7rocprim17ROCPRIM_400000_NS6detail44device_merge_sort_compile_time_verifier_archINS1_11comp_targetILNS1_3genE0ELNS1_11target_archE4294967295ELNS1_3gpuE0ELNS1_3repE0EEES8_NS0_14default_configES9_NS1_37merge_sort_block_sort_config_selectorIhNS0_10empty_typeEEENS1_38merge_sort_block_merge_config_selectorIhSB_EEEEvv
	.p2align	8
	.type	_ZN7rocprim17ROCPRIM_400000_NS6detail44device_merge_sort_compile_time_verifier_archINS1_11comp_targetILNS1_3genE0ELNS1_11target_archE4294967295ELNS1_3gpuE0ELNS1_3repE0EEES8_NS0_14default_configES9_NS1_37merge_sort_block_sort_config_selectorIhNS0_10empty_typeEEENS1_38merge_sort_block_merge_config_selectorIhSB_EEEEvv,@function
_ZN7rocprim17ROCPRIM_400000_NS6detail44device_merge_sort_compile_time_verifier_archINS1_11comp_targetILNS1_3genE0ELNS1_11target_archE4294967295ELNS1_3gpuE0ELNS1_3repE0EEES8_NS0_14default_configES9_NS1_37merge_sort_block_sort_config_selectorIhNS0_10empty_typeEEENS1_38merge_sort_block_merge_config_selectorIhSB_EEEEvv: ; @_ZN7rocprim17ROCPRIM_400000_NS6detail44device_merge_sort_compile_time_verifier_archINS1_11comp_targetILNS1_3genE0ELNS1_11target_archE4294967295ELNS1_3gpuE0ELNS1_3repE0EEES8_NS0_14default_configES9_NS1_37merge_sort_block_sort_config_selectorIhNS0_10empty_typeEEENS1_38merge_sort_block_merge_config_selectorIhSB_EEEEvv
; %bb.0:
	s_endpgm
	.section	.rodata,"a",@progbits
	.p2align	6, 0x0
	.amdhsa_kernel _ZN7rocprim17ROCPRIM_400000_NS6detail44device_merge_sort_compile_time_verifier_archINS1_11comp_targetILNS1_3genE0ELNS1_11target_archE4294967295ELNS1_3gpuE0ELNS1_3repE0EEES8_NS0_14default_configES9_NS1_37merge_sort_block_sort_config_selectorIhNS0_10empty_typeEEENS1_38merge_sort_block_merge_config_selectorIhSB_EEEEvv
		.amdhsa_group_segment_fixed_size 0
		.amdhsa_private_segment_fixed_size 0
		.amdhsa_kernarg_size 0
		.amdhsa_user_sgpr_count 4
		.amdhsa_user_sgpr_private_segment_buffer 1
		.amdhsa_user_sgpr_dispatch_ptr 0
		.amdhsa_user_sgpr_queue_ptr 0
		.amdhsa_user_sgpr_kernarg_segment_ptr 0
		.amdhsa_user_sgpr_dispatch_id 0
		.amdhsa_user_sgpr_flat_scratch_init 0
		.amdhsa_user_sgpr_kernarg_preload_length 0
		.amdhsa_user_sgpr_kernarg_preload_offset 0
		.amdhsa_user_sgpr_private_segment_size 0
		.amdhsa_uses_dynamic_stack 0
		.amdhsa_system_sgpr_private_segment_wavefront_offset 0
		.amdhsa_system_sgpr_workgroup_id_x 1
		.amdhsa_system_sgpr_workgroup_id_y 0
		.amdhsa_system_sgpr_workgroup_id_z 0
		.amdhsa_system_sgpr_workgroup_info 0
		.amdhsa_system_vgpr_workitem_id 0
		.amdhsa_next_free_vgpr 1
		.amdhsa_next_free_sgpr 0
		.amdhsa_accum_offset 4
		.amdhsa_reserve_vcc 0
		.amdhsa_reserve_flat_scratch 0
		.amdhsa_float_round_mode_32 0
		.amdhsa_float_round_mode_16_64 0
		.amdhsa_float_denorm_mode_32 3
		.amdhsa_float_denorm_mode_16_64 3
		.amdhsa_dx10_clamp 1
		.amdhsa_ieee_mode 1
		.amdhsa_fp16_overflow 0
		.amdhsa_tg_split 0
		.amdhsa_exception_fp_ieee_invalid_op 0
		.amdhsa_exception_fp_denorm_src 0
		.amdhsa_exception_fp_ieee_div_zero 0
		.amdhsa_exception_fp_ieee_overflow 0
		.amdhsa_exception_fp_ieee_underflow 0
		.amdhsa_exception_fp_ieee_inexact 0
		.amdhsa_exception_int_div_zero 0
	.end_amdhsa_kernel
	.section	.text._ZN7rocprim17ROCPRIM_400000_NS6detail44device_merge_sort_compile_time_verifier_archINS1_11comp_targetILNS1_3genE0ELNS1_11target_archE4294967295ELNS1_3gpuE0ELNS1_3repE0EEES8_NS0_14default_configES9_NS1_37merge_sort_block_sort_config_selectorIhNS0_10empty_typeEEENS1_38merge_sort_block_merge_config_selectorIhSB_EEEEvv,"axG",@progbits,_ZN7rocprim17ROCPRIM_400000_NS6detail44device_merge_sort_compile_time_verifier_archINS1_11comp_targetILNS1_3genE0ELNS1_11target_archE4294967295ELNS1_3gpuE0ELNS1_3repE0EEES8_NS0_14default_configES9_NS1_37merge_sort_block_sort_config_selectorIhNS0_10empty_typeEEENS1_38merge_sort_block_merge_config_selectorIhSB_EEEEvv,comdat
.Lfunc_end2842:
	.size	_ZN7rocprim17ROCPRIM_400000_NS6detail44device_merge_sort_compile_time_verifier_archINS1_11comp_targetILNS1_3genE0ELNS1_11target_archE4294967295ELNS1_3gpuE0ELNS1_3repE0EEES8_NS0_14default_configES9_NS1_37merge_sort_block_sort_config_selectorIhNS0_10empty_typeEEENS1_38merge_sort_block_merge_config_selectorIhSB_EEEEvv, .Lfunc_end2842-_ZN7rocprim17ROCPRIM_400000_NS6detail44device_merge_sort_compile_time_verifier_archINS1_11comp_targetILNS1_3genE0ELNS1_11target_archE4294967295ELNS1_3gpuE0ELNS1_3repE0EEES8_NS0_14default_configES9_NS1_37merge_sort_block_sort_config_selectorIhNS0_10empty_typeEEENS1_38merge_sort_block_merge_config_selectorIhSB_EEEEvv
                                        ; -- End function
	.section	.AMDGPU.csdata,"",@progbits
; Kernel info:
; codeLenInByte = 4
; NumSgprs: 4
; NumVgprs: 0
; NumAgprs: 0
; TotalNumVgprs: 0
; ScratchSize: 0
; MemoryBound: 0
; FloatMode: 240
; IeeeMode: 1
; LDSByteSize: 0 bytes/workgroup (compile time only)
; SGPRBlocks: 0
; VGPRBlocks: 0
; NumSGPRsForWavesPerEU: 4
; NumVGPRsForWavesPerEU: 1
; AccumOffset: 4
; Occupancy: 8
; WaveLimiterHint : 0
; COMPUTE_PGM_RSRC2:SCRATCH_EN: 0
; COMPUTE_PGM_RSRC2:USER_SGPR: 4
; COMPUTE_PGM_RSRC2:TRAP_HANDLER: 0
; COMPUTE_PGM_RSRC2:TGID_X_EN: 1
; COMPUTE_PGM_RSRC2:TGID_Y_EN: 0
; COMPUTE_PGM_RSRC2:TGID_Z_EN: 0
; COMPUTE_PGM_RSRC2:TIDIG_COMP_CNT: 0
; COMPUTE_PGM_RSRC3_GFX90A:ACCUM_OFFSET: 0
; COMPUTE_PGM_RSRC3_GFX90A:TG_SPLIT: 0
	.section	.text._ZN7rocprim17ROCPRIM_400000_NS6detail44device_merge_sort_compile_time_verifier_archINS1_11comp_targetILNS1_3genE5ELNS1_11target_archE942ELNS1_3gpuE9ELNS1_3repE0EEES8_NS0_14default_configES9_NS1_37merge_sort_block_sort_config_selectorIhNS0_10empty_typeEEENS1_38merge_sort_block_merge_config_selectorIhSB_EEEEvv,"axG",@progbits,_ZN7rocprim17ROCPRIM_400000_NS6detail44device_merge_sort_compile_time_verifier_archINS1_11comp_targetILNS1_3genE5ELNS1_11target_archE942ELNS1_3gpuE9ELNS1_3repE0EEES8_NS0_14default_configES9_NS1_37merge_sort_block_sort_config_selectorIhNS0_10empty_typeEEENS1_38merge_sort_block_merge_config_selectorIhSB_EEEEvv,comdat
	.protected	_ZN7rocprim17ROCPRIM_400000_NS6detail44device_merge_sort_compile_time_verifier_archINS1_11comp_targetILNS1_3genE5ELNS1_11target_archE942ELNS1_3gpuE9ELNS1_3repE0EEES8_NS0_14default_configES9_NS1_37merge_sort_block_sort_config_selectorIhNS0_10empty_typeEEENS1_38merge_sort_block_merge_config_selectorIhSB_EEEEvv ; -- Begin function _ZN7rocprim17ROCPRIM_400000_NS6detail44device_merge_sort_compile_time_verifier_archINS1_11comp_targetILNS1_3genE5ELNS1_11target_archE942ELNS1_3gpuE9ELNS1_3repE0EEES8_NS0_14default_configES9_NS1_37merge_sort_block_sort_config_selectorIhNS0_10empty_typeEEENS1_38merge_sort_block_merge_config_selectorIhSB_EEEEvv
	.globl	_ZN7rocprim17ROCPRIM_400000_NS6detail44device_merge_sort_compile_time_verifier_archINS1_11comp_targetILNS1_3genE5ELNS1_11target_archE942ELNS1_3gpuE9ELNS1_3repE0EEES8_NS0_14default_configES9_NS1_37merge_sort_block_sort_config_selectorIhNS0_10empty_typeEEENS1_38merge_sort_block_merge_config_selectorIhSB_EEEEvv
	.p2align	8
	.type	_ZN7rocprim17ROCPRIM_400000_NS6detail44device_merge_sort_compile_time_verifier_archINS1_11comp_targetILNS1_3genE5ELNS1_11target_archE942ELNS1_3gpuE9ELNS1_3repE0EEES8_NS0_14default_configES9_NS1_37merge_sort_block_sort_config_selectorIhNS0_10empty_typeEEENS1_38merge_sort_block_merge_config_selectorIhSB_EEEEvv,@function
_ZN7rocprim17ROCPRIM_400000_NS6detail44device_merge_sort_compile_time_verifier_archINS1_11comp_targetILNS1_3genE5ELNS1_11target_archE942ELNS1_3gpuE9ELNS1_3repE0EEES8_NS0_14default_configES9_NS1_37merge_sort_block_sort_config_selectorIhNS0_10empty_typeEEENS1_38merge_sort_block_merge_config_selectorIhSB_EEEEvv: ; @_ZN7rocprim17ROCPRIM_400000_NS6detail44device_merge_sort_compile_time_verifier_archINS1_11comp_targetILNS1_3genE5ELNS1_11target_archE942ELNS1_3gpuE9ELNS1_3repE0EEES8_NS0_14default_configES9_NS1_37merge_sort_block_sort_config_selectorIhNS0_10empty_typeEEENS1_38merge_sort_block_merge_config_selectorIhSB_EEEEvv
; %bb.0:
	s_endpgm
	.section	.rodata,"a",@progbits
	.p2align	6, 0x0
	.amdhsa_kernel _ZN7rocprim17ROCPRIM_400000_NS6detail44device_merge_sort_compile_time_verifier_archINS1_11comp_targetILNS1_3genE5ELNS1_11target_archE942ELNS1_3gpuE9ELNS1_3repE0EEES8_NS0_14default_configES9_NS1_37merge_sort_block_sort_config_selectorIhNS0_10empty_typeEEENS1_38merge_sort_block_merge_config_selectorIhSB_EEEEvv
		.amdhsa_group_segment_fixed_size 0
		.amdhsa_private_segment_fixed_size 0
		.amdhsa_kernarg_size 0
		.amdhsa_user_sgpr_count 4
		.amdhsa_user_sgpr_private_segment_buffer 1
		.amdhsa_user_sgpr_dispatch_ptr 0
		.amdhsa_user_sgpr_queue_ptr 0
		.amdhsa_user_sgpr_kernarg_segment_ptr 0
		.amdhsa_user_sgpr_dispatch_id 0
		.amdhsa_user_sgpr_flat_scratch_init 0
		.amdhsa_user_sgpr_kernarg_preload_length 0
		.amdhsa_user_sgpr_kernarg_preload_offset 0
		.amdhsa_user_sgpr_private_segment_size 0
		.amdhsa_uses_dynamic_stack 0
		.amdhsa_system_sgpr_private_segment_wavefront_offset 0
		.amdhsa_system_sgpr_workgroup_id_x 1
		.amdhsa_system_sgpr_workgroup_id_y 0
		.amdhsa_system_sgpr_workgroup_id_z 0
		.amdhsa_system_sgpr_workgroup_info 0
		.amdhsa_system_vgpr_workitem_id 0
		.amdhsa_next_free_vgpr 1
		.amdhsa_next_free_sgpr 0
		.amdhsa_accum_offset 4
		.amdhsa_reserve_vcc 0
		.amdhsa_reserve_flat_scratch 0
		.amdhsa_float_round_mode_32 0
		.amdhsa_float_round_mode_16_64 0
		.amdhsa_float_denorm_mode_32 3
		.amdhsa_float_denorm_mode_16_64 3
		.amdhsa_dx10_clamp 1
		.amdhsa_ieee_mode 1
		.amdhsa_fp16_overflow 0
		.amdhsa_tg_split 0
		.amdhsa_exception_fp_ieee_invalid_op 0
		.amdhsa_exception_fp_denorm_src 0
		.amdhsa_exception_fp_ieee_div_zero 0
		.amdhsa_exception_fp_ieee_overflow 0
		.amdhsa_exception_fp_ieee_underflow 0
		.amdhsa_exception_fp_ieee_inexact 0
		.amdhsa_exception_int_div_zero 0
	.end_amdhsa_kernel
	.section	.text._ZN7rocprim17ROCPRIM_400000_NS6detail44device_merge_sort_compile_time_verifier_archINS1_11comp_targetILNS1_3genE5ELNS1_11target_archE942ELNS1_3gpuE9ELNS1_3repE0EEES8_NS0_14default_configES9_NS1_37merge_sort_block_sort_config_selectorIhNS0_10empty_typeEEENS1_38merge_sort_block_merge_config_selectorIhSB_EEEEvv,"axG",@progbits,_ZN7rocprim17ROCPRIM_400000_NS6detail44device_merge_sort_compile_time_verifier_archINS1_11comp_targetILNS1_3genE5ELNS1_11target_archE942ELNS1_3gpuE9ELNS1_3repE0EEES8_NS0_14default_configES9_NS1_37merge_sort_block_sort_config_selectorIhNS0_10empty_typeEEENS1_38merge_sort_block_merge_config_selectorIhSB_EEEEvv,comdat
.Lfunc_end2843:
	.size	_ZN7rocprim17ROCPRIM_400000_NS6detail44device_merge_sort_compile_time_verifier_archINS1_11comp_targetILNS1_3genE5ELNS1_11target_archE942ELNS1_3gpuE9ELNS1_3repE0EEES8_NS0_14default_configES9_NS1_37merge_sort_block_sort_config_selectorIhNS0_10empty_typeEEENS1_38merge_sort_block_merge_config_selectorIhSB_EEEEvv, .Lfunc_end2843-_ZN7rocprim17ROCPRIM_400000_NS6detail44device_merge_sort_compile_time_verifier_archINS1_11comp_targetILNS1_3genE5ELNS1_11target_archE942ELNS1_3gpuE9ELNS1_3repE0EEES8_NS0_14default_configES9_NS1_37merge_sort_block_sort_config_selectorIhNS0_10empty_typeEEENS1_38merge_sort_block_merge_config_selectorIhSB_EEEEvv
                                        ; -- End function
	.section	.AMDGPU.csdata,"",@progbits
; Kernel info:
; codeLenInByte = 4
; NumSgprs: 4
; NumVgprs: 0
; NumAgprs: 0
; TotalNumVgprs: 0
; ScratchSize: 0
; MemoryBound: 0
; FloatMode: 240
; IeeeMode: 1
; LDSByteSize: 0 bytes/workgroup (compile time only)
; SGPRBlocks: 0
; VGPRBlocks: 0
; NumSGPRsForWavesPerEU: 4
; NumVGPRsForWavesPerEU: 1
; AccumOffset: 4
; Occupancy: 8
; WaveLimiterHint : 0
; COMPUTE_PGM_RSRC2:SCRATCH_EN: 0
; COMPUTE_PGM_RSRC2:USER_SGPR: 4
; COMPUTE_PGM_RSRC2:TRAP_HANDLER: 0
; COMPUTE_PGM_RSRC2:TGID_X_EN: 1
; COMPUTE_PGM_RSRC2:TGID_Y_EN: 0
; COMPUTE_PGM_RSRC2:TGID_Z_EN: 0
; COMPUTE_PGM_RSRC2:TIDIG_COMP_CNT: 0
; COMPUTE_PGM_RSRC3_GFX90A:ACCUM_OFFSET: 0
; COMPUTE_PGM_RSRC3_GFX90A:TG_SPLIT: 0
	.section	.text._ZN7rocprim17ROCPRIM_400000_NS6detail44device_merge_sort_compile_time_verifier_archINS1_11comp_targetILNS1_3genE4ELNS1_11target_archE910ELNS1_3gpuE8ELNS1_3repE0EEES8_NS0_14default_configES9_NS1_37merge_sort_block_sort_config_selectorIhNS0_10empty_typeEEENS1_38merge_sort_block_merge_config_selectorIhSB_EEEEvv,"axG",@progbits,_ZN7rocprim17ROCPRIM_400000_NS6detail44device_merge_sort_compile_time_verifier_archINS1_11comp_targetILNS1_3genE4ELNS1_11target_archE910ELNS1_3gpuE8ELNS1_3repE0EEES8_NS0_14default_configES9_NS1_37merge_sort_block_sort_config_selectorIhNS0_10empty_typeEEENS1_38merge_sort_block_merge_config_selectorIhSB_EEEEvv,comdat
	.protected	_ZN7rocprim17ROCPRIM_400000_NS6detail44device_merge_sort_compile_time_verifier_archINS1_11comp_targetILNS1_3genE4ELNS1_11target_archE910ELNS1_3gpuE8ELNS1_3repE0EEES8_NS0_14default_configES9_NS1_37merge_sort_block_sort_config_selectorIhNS0_10empty_typeEEENS1_38merge_sort_block_merge_config_selectorIhSB_EEEEvv ; -- Begin function _ZN7rocprim17ROCPRIM_400000_NS6detail44device_merge_sort_compile_time_verifier_archINS1_11comp_targetILNS1_3genE4ELNS1_11target_archE910ELNS1_3gpuE8ELNS1_3repE0EEES8_NS0_14default_configES9_NS1_37merge_sort_block_sort_config_selectorIhNS0_10empty_typeEEENS1_38merge_sort_block_merge_config_selectorIhSB_EEEEvv
	.globl	_ZN7rocprim17ROCPRIM_400000_NS6detail44device_merge_sort_compile_time_verifier_archINS1_11comp_targetILNS1_3genE4ELNS1_11target_archE910ELNS1_3gpuE8ELNS1_3repE0EEES8_NS0_14default_configES9_NS1_37merge_sort_block_sort_config_selectorIhNS0_10empty_typeEEENS1_38merge_sort_block_merge_config_selectorIhSB_EEEEvv
	.p2align	8
	.type	_ZN7rocprim17ROCPRIM_400000_NS6detail44device_merge_sort_compile_time_verifier_archINS1_11comp_targetILNS1_3genE4ELNS1_11target_archE910ELNS1_3gpuE8ELNS1_3repE0EEES8_NS0_14default_configES9_NS1_37merge_sort_block_sort_config_selectorIhNS0_10empty_typeEEENS1_38merge_sort_block_merge_config_selectorIhSB_EEEEvv,@function
_ZN7rocprim17ROCPRIM_400000_NS6detail44device_merge_sort_compile_time_verifier_archINS1_11comp_targetILNS1_3genE4ELNS1_11target_archE910ELNS1_3gpuE8ELNS1_3repE0EEES8_NS0_14default_configES9_NS1_37merge_sort_block_sort_config_selectorIhNS0_10empty_typeEEENS1_38merge_sort_block_merge_config_selectorIhSB_EEEEvv: ; @_ZN7rocprim17ROCPRIM_400000_NS6detail44device_merge_sort_compile_time_verifier_archINS1_11comp_targetILNS1_3genE4ELNS1_11target_archE910ELNS1_3gpuE8ELNS1_3repE0EEES8_NS0_14default_configES9_NS1_37merge_sort_block_sort_config_selectorIhNS0_10empty_typeEEENS1_38merge_sort_block_merge_config_selectorIhSB_EEEEvv
; %bb.0:
	s_endpgm
	.section	.rodata,"a",@progbits
	.p2align	6, 0x0
	.amdhsa_kernel _ZN7rocprim17ROCPRIM_400000_NS6detail44device_merge_sort_compile_time_verifier_archINS1_11comp_targetILNS1_3genE4ELNS1_11target_archE910ELNS1_3gpuE8ELNS1_3repE0EEES8_NS0_14default_configES9_NS1_37merge_sort_block_sort_config_selectorIhNS0_10empty_typeEEENS1_38merge_sort_block_merge_config_selectorIhSB_EEEEvv
		.amdhsa_group_segment_fixed_size 0
		.amdhsa_private_segment_fixed_size 0
		.amdhsa_kernarg_size 0
		.amdhsa_user_sgpr_count 4
		.amdhsa_user_sgpr_private_segment_buffer 1
		.amdhsa_user_sgpr_dispatch_ptr 0
		.amdhsa_user_sgpr_queue_ptr 0
		.amdhsa_user_sgpr_kernarg_segment_ptr 0
		.amdhsa_user_sgpr_dispatch_id 0
		.amdhsa_user_sgpr_flat_scratch_init 0
		.amdhsa_user_sgpr_kernarg_preload_length 0
		.amdhsa_user_sgpr_kernarg_preload_offset 0
		.amdhsa_user_sgpr_private_segment_size 0
		.amdhsa_uses_dynamic_stack 0
		.amdhsa_system_sgpr_private_segment_wavefront_offset 0
		.amdhsa_system_sgpr_workgroup_id_x 1
		.amdhsa_system_sgpr_workgroup_id_y 0
		.amdhsa_system_sgpr_workgroup_id_z 0
		.amdhsa_system_sgpr_workgroup_info 0
		.amdhsa_system_vgpr_workitem_id 0
		.amdhsa_next_free_vgpr 1
		.amdhsa_next_free_sgpr 0
		.amdhsa_accum_offset 4
		.amdhsa_reserve_vcc 0
		.amdhsa_reserve_flat_scratch 0
		.amdhsa_float_round_mode_32 0
		.amdhsa_float_round_mode_16_64 0
		.amdhsa_float_denorm_mode_32 3
		.amdhsa_float_denorm_mode_16_64 3
		.amdhsa_dx10_clamp 1
		.amdhsa_ieee_mode 1
		.amdhsa_fp16_overflow 0
		.amdhsa_tg_split 0
		.amdhsa_exception_fp_ieee_invalid_op 0
		.amdhsa_exception_fp_denorm_src 0
		.amdhsa_exception_fp_ieee_div_zero 0
		.amdhsa_exception_fp_ieee_overflow 0
		.amdhsa_exception_fp_ieee_underflow 0
		.amdhsa_exception_fp_ieee_inexact 0
		.amdhsa_exception_int_div_zero 0
	.end_amdhsa_kernel
	.section	.text._ZN7rocprim17ROCPRIM_400000_NS6detail44device_merge_sort_compile_time_verifier_archINS1_11comp_targetILNS1_3genE4ELNS1_11target_archE910ELNS1_3gpuE8ELNS1_3repE0EEES8_NS0_14default_configES9_NS1_37merge_sort_block_sort_config_selectorIhNS0_10empty_typeEEENS1_38merge_sort_block_merge_config_selectorIhSB_EEEEvv,"axG",@progbits,_ZN7rocprim17ROCPRIM_400000_NS6detail44device_merge_sort_compile_time_verifier_archINS1_11comp_targetILNS1_3genE4ELNS1_11target_archE910ELNS1_3gpuE8ELNS1_3repE0EEES8_NS0_14default_configES9_NS1_37merge_sort_block_sort_config_selectorIhNS0_10empty_typeEEENS1_38merge_sort_block_merge_config_selectorIhSB_EEEEvv,comdat
.Lfunc_end2844:
	.size	_ZN7rocprim17ROCPRIM_400000_NS6detail44device_merge_sort_compile_time_verifier_archINS1_11comp_targetILNS1_3genE4ELNS1_11target_archE910ELNS1_3gpuE8ELNS1_3repE0EEES8_NS0_14default_configES9_NS1_37merge_sort_block_sort_config_selectorIhNS0_10empty_typeEEENS1_38merge_sort_block_merge_config_selectorIhSB_EEEEvv, .Lfunc_end2844-_ZN7rocprim17ROCPRIM_400000_NS6detail44device_merge_sort_compile_time_verifier_archINS1_11comp_targetILNS1_3genE4ELNS1_11target_archE910ELNS1_3gpuE8ELNS1_3repE0EEES8_NS0_14default_configES9_NS1_37merge_sort_block_sort_config_selectorIhNS0_10empty_typeEEENS1_38merge_sort_block_merge_config_selectorIhSB_EEEEvv
                                        ; -- End function
	.section	.AMDGPU.csdata,"",@progbits
; Kernel info:
; codeLenInByte = 4
; NumSgprs: 4
; NumVgprs: 0
; NumAgprs: 0
; TotalNumVgprs: 0
; ScratchSize: 0
; MemoryBound: 0
; FloatMode: 240
; IeeeMode: 1
; LDSByteSize: 0 bytes/workgroup (compile time only)
; SGPRBlocks: 0
; VGPRBlocks: 0
; NumSGPRsForWavesPerEU: 4
; NumVGPRsForWavesPerEU: 1
; AccumOffset: 4
; Occupancy: 8
; WaveLimiterHint : 0
; COMPUTE_PGM_RSRC2:SCRATCH_EN: 0
; COMPUTE_PGM_RSRC2:USER_SGPR: 4
; COMPUTE_PGM_RSRC2:TRAP_HANDLER: 0
; COMPUTE_PGM_RSRC2:TGID_X_EN: 1
; COMPUTE_PGM_RSRC2:TGID_Y_EN: 0
; COMPUTE_PGM_RSRC2:TGID_Z_EN: 0
; COMPUTE_PGM_RSRC2:TIDIG_COMP_CNT: 0
; COMPUTE_PGM_RSRC3_GFX90A:ACCUM_OFFSET: 0
; COMPUTE_PGM_RSRC3_GFX90A:TG_SPLIT: 0
	.section	.text._ZN7rocprim17ROCPRIM_400000_NS6detail44device_merge_sort_compile_time_verifier_archINS1_11comp_targetILNS1_3genE3ELNS1_11target_archE908ELNS1_3gpuE7ELNS1_3repE0EEES8_NS0_14default_configES9_NS1_37merge_sort_block_sort_config_selectorIhNS0_10empty_typeEEENS1_38merge_sort_block_merge_config_selectorIhSB_EEEEvv,"axG",@progbits,_ZN7rocprim17ROCPRIM_400000_NS6detail44device_merge_sort_compile_time_verifier_archINS1_11comp_targetILNS1_3genE3ELNS1_11target_archE908ELNS1_3gpuE7ELNS1_3repE0EEES8_NS0_14default_configES9_NS1_37merge_sort_block_sort_config_selectorIhNS0_10empty_typeEEENS1_38merge_sort_block_merge_config_selectorIhSB_EEEEvv,comdat
	.protected	_ZN7rocprim17ROCPRIM_400000_NS6detail44device_merge_sort_compile_time_verifier_archINS1_11comp_targetILNS1_3genE3ELNS1_11target_archE908ELNS1_3gpuE7ELNS1_3repE0EEES8_NS0_14default_configES9_NS1_37merge_sort_block_sort_config_selectorIhNS0_10empty_typeEEENS1_38merge_sort_block_merge_config_selectorIhSB_EEEEvv ; -- Begin function _ZN7rocprim17ROCPRIM_400000_NS6detail44device_merge_sort_compile_time_verifier_archINS1_11comp_targetILNS1_3genE3ELNS1_11target_archE908ELNS1_3gpuE7ELNS1_3repE0EEES8_NS0_14default_configES9_NS1_37merge_sort_block_sort_config_selectorIhNS0_10empty_typeEEENS1_38merge_sort_block_merge_config_selectorIhSB_EEEEvv
	.globl	_ZN7rocprim17ROCPRIM_400000_NS6detail44device_merge_sort_compile_time_verifier_archINS1_11comp_targetILNS1_3genE3ELNS1_11target_archE908ELNS1_3gpuE7ELNS1_3repE0EEES8_NS0_14default_configES9_NS1_37merge_sort_block_sort_config_selectorIhNS0_10empty_typeEEENS1_38merge_sort_block_merge_config_selectorIhSB_EEEEvv
	.p2align	8
	.type	_ZN7rocprim17ROCPRIM_400000_NS6detail44device_merge_sort_compile_time_verifier_archINS1_11comp_targetILNS1_3genE3ELNS1_11target_archE908ELNS1_3gpuE7ELNS1_3repE0EEES8_NS0_14default_configES9_NS1_37merge_sort_block_sort_config_selectorIhNS0_10empty_typeEEENS1_38merge_sort_block_merge_config_selectorIhSB_EEEEvv,@function
_ZN7rocprim17ROCPRIM_400000_NS6detail44device_merge_sort_compile_time_verifier_archINS1_11comp_targetILNS1_3genE3ELNS1_11target_archE908ELNS1_3gpuE7ELNS1_3repE0EEES8_NS0_14default_configES9_NS1_37merge_sort_block_sort_config_selectorIhNS0_10empty_typeEEENS1_38merge_sort_block_merge_config_selectorIhSB_EEEEvv: ; @_ZN7rocprim17ROCPRIM_400000_NS6detail44device_merge_sort_compile_time_verifier_archINS1_11comp_targetILNS1_3genE3ELNS1_11target_archE908ELNS1_3gpuE7ELNS1_3repE0EEES8_NS0_14default_configES9_NS1_37merge_sort_block_sort_config_selectorIhNS0_10empty_typeEEENS1_38merge_sort_block_merge_config_selectorIhSB_EEEEvv
; %bb.0:
	s_endpgm
	.section	.rodata,"a",@progbits
	.p2align	6, 0x0
	.amdhsa_kernel _ZN7rocprim17ROCPRIM_400000_NS6detail44device_merge_sort_compile_time_verifier_archINS1_11comp_targetILNS1_3genE3ELNS1_11target_archE908ELNS1_3gpuE7ELNS1_3repE0EEES8_NS0_14default_configES9_NS1_37merge_sort_block_sort_config_selectorIhNS0_10empty_typeEEENS1_38merge_sort_block_merge_config_selectorIhSB_EEEEvv
		.amdhsa_group_segment_fixed_size 0
		.amdhsa_private_segment_fixed_size 0
		.amdhsa_kernarg_size 0
		.amdhsa_user_sgpr_count 4
		.amdhsa_user_sgpr_private_segment_buffer 1
		.amdhsa_user_sgpr_dispatch_ptr 0
		.amdhsa_user_sgpr_queue_ptr 0
		.amdhsa_user_sgpr_kernarg_segment_ptr 0
		.amdhsa_user_sgpr_dispatch_id 0
		.amdhsa_user_sgpr_flat_scratch_init 0
		.amdhsa_user_sgpr_kernarg_preload_length 0
		.amdhsa_user_sgpr_kernarg_preload_offset 0
		.amdhsa_user_sgpr_private_segment_size 0
		.amdhsa_uses_dynamic_stack 0
		.amdhsa_system_sgpr_private_segment_wavefront_offset 0
		.amdhsa_system_sgpr_workgroup_id_x 1
		.amdhsa_system_sgpr_workgroup_id_y 0
		.amdhsa_system_sgpr_workgroup_id_z 0
		.amdhsa_system_sgpr_workgroup_info 0
		.amdhsa_system_vgpr_workitem_id 0
		.amdhsa_next_free_vgpr 1
		.amdhsa_next_free_sgpr 0
		.amdhsa_accum_offset 4
		.amdhsa_reserve_vcc 0
		.amdhsa_reserve_flat_scratch 0
		.amdhsa_float_round_mode_32 0
		.amdhsa_float_round_mode_16_64 0
		.amdhsa_float_denorm_mode_32 3
		.amdhsa_float_denorm_mode_16_64 3
		.amdhsa_dx10_clamp 1
		.amdhsa_ieee_mode 1
		.amdhsa_fp16_overflow 0
		.amdhsa_tg_split 0
		.amdhsa_exception_fp_ieee_invalid_op 0
		.amdhsa_exception_fp_denorm_src 0
		.amdhsa_exception_fp_ieee_div_zero 0
		.amdhsa_exception_fp_ieee_overflow 0
		.amdhsa_exception_fp_ieee_underflow 0
		.amdhsa_exception_fp_ieee_inexact 0
		.amdhsa_exception_int_div_zero 0
	.end_amdhsa_kernel
	.section	.text._ZN7rocprim17ROCPRIM_400000_NS6detail44device_merge_sort_compile_time_verifier_archINS1_11comp_targetILNS1_3genE3ELNS1_11target_archE908ELNS1_3gpuE7ELNS1_3repE0EEES8_NS0_14default_configES9_NS1_37merge_sort_block_sort_config_selectorIhNS0_10empty_typeEEENS1_38merge_sort_block_merge_config_selectorIhSB_EEEEvv,"axG",@progbits,_ZN7rocprim17ROCPRIM_400000_NS6detail44device_merge_sort_compile_time_verifier_archINS1_11comp_targetILNS1_3genE3ELNS1_11target_archE908ELNS1_3gpuE7ELNS1_3repE0EEES8_NS0_14default_configES9_NS1_37merge_sort_block_sort_config_selectorIhNS0_10empty_typeEEENS1_38merge_sort_block_merge_config_selectorIhSB_EEEEvv,comdat
.Lfunc_end2845:
	.size	_ZN7rocprim17ROCPRIM_400000_NS6detail44device_merge_sort_compile_time_verifier_archINS1_11comp_targetILNS1_3genE3ELNS1_11target_archE908ELNS1_3gpuE7ELNS1_3repE0EEES8_NS0_14default_configES9_NS1_37merge_sort_block_sort_config_selectorIhNS0_10empty_typeEEENS1_38merge_sort_block_merge_config_selectorIhSB_EEEEvv, .Lfunc_end2845-_ZN7rocprim17ROCPRIM_400000_NS6detail44device_merge_sort_compile_time_verifier_archINS1_11comp_targetILNS1_3genE3ELNS1_11target_archE908ELNS1_3gpuE7ELNS1_3repE0EEES8_NS0_14default_configES9_NS1_37merge_sort_block_sort_config_selectorIhNS0_10empty_typeEEENS1_38merge_sort_block_merge_config_selectorIhSB_EEEEvv
                                        ; -- End function
	.section	.AMDGPU.csdata,"",@progbits
; Kernel info:
; codeLenInByte = 4
; NumSgprs: 4
; NumVgprs: 0
; NumAgprs: 0
; TotalNumVgprs: 0
; ScratchSize: 0
; MemoryBound: 0
; FloatMode: 240
; IeeeMode: 1
; LDSByteSize: 0 bytes/workgroup (compile time only)
; SGPRBlocks: 0
; VGPRBlocks: 0
; NumSGPRsForWavesPerEU: 4
; NumVGPRsForWavesPerEU: 1
; AccumOffset: 4
; Occupancy: 8
; WaveLimiterHint : 0
; COMPUTE_PGM_RSRC2:SCRATCH_EN: 0
; COMPUTE_PGM_RSRC2:USER_SGPR: 4
; COMPUTE_PGM_RSRC2:TRAP_HANDLER: 0
; COMPUTE_PGM_RSRC2:TGID_X_EN: 1
; COMPUTE_PGM_RSRC2:TGID_Y_EN: 0
; COMPUTE_PGM_RSRC2:TGID_Z_EN: 0
; COMPUTE_PGM_RSRC2:TIDIG_COMP_CNT: 0
; COMPUTE_PGM_RSRC3_GFX90A:ACCUM_OFFSET: 0
; COMPUTE_PGM_RSRC3_GFX90A:TG_SPLIT: 0
	.section	.text._ZN7rocprim17ROCPRIM_400000_NS6detail44device_merge_sort_compile_time_verifier_archINS1_11comp_targetILNS1_3genE2ELNS1_11target_archE906ELNS1_3gpuE6ELNS1_3repE0EEES8_NS0_14default_configES9_NS1_37merge_sort_block_sort_config_selectorIhNS0_10empty_typeEEENS1_38merge_sort_block_merge_config_selectorIhSB_EEEEvv,"axG",@progbits,_ZN7rocprim17ROCPRIM_400000_NS6detail44device_merge_sort_compile_time_verifier_archINS1_11comp_targetILNS1_3genE2ELNS1_11target_archE906ELNS1_3gpuE6ELNS1_3repE0EEES8_NS0_14default_configES9_NS1_37merge_sort_block_sort_config_selectorIhNS0_10empty_typeEEENS1_38merge_sort_block_merge_config_selectorIhSB_EEEEvv,comdat
	.protected	_ZN7rocprim17ROCPRIM_400000_NS6detail44device_merge_sort_compile_time_verifier_archINS1_11comp_targetILNS1_3genE2ELNS1_11target_archE906ELNS1_3gpuE6ELNS1_3repE0EEES8_NS0_14default_configES9_NS1_37merge_sort_block_sort_config_selectorIhNS0_10empty_typeEEENS1_38merge_sort_block_merge_config_selectorIhSB_EEEEvv ; -- Begin function _ZN7rocprim17ROCPRIM_400000_NS6detail44device_merge_sort_compile_time_verifier_archINS1_11comp_targetILNS1_3genE2ELNS1_11target_archE906ELNS1_3gpuE6ELNS1_3repE0EEES8_NS0_14default_configES9_NS1_37merge_sort_block_sort_config_selectorIhNS0_10empty_typeEEENS1_38merge_sort_block_merge_config_selectorIhSB_EEEEvv
	.globl	_ZN7rocprim17ROCPRIM_400000_NS6detail44device_merge_sort_compile_time_verifier_archINS1_11comp_targetILNS1_3genE2ELNS1_11target_archE906ELNS1_3gpuE6ELNS1_3repE0EEES8_NS0_14default_configES9_NS1_37merge_sort_block_sort_config_selectorIhNS0_10empty_typeEEENS1_38merge_sort_block_merge_config_selectorIhSB_EEEEvv
	.p2align	8
	.type	_ZN7rocprim17ROCPRIM_400000_NS6detail44device_merge_sort_compile_time_verifier_archINS1_11comp_targetILNS1_3genE2ELNS1_11target_archE906ELNS1_3gpuE6ELNS1_3repE0EEES8_NS0_14default_configES9_NS1_37merge_sort_block_sort_config_selectorIhNS0_10empty_typeEEENS1_38merge_sort_block_merge_config_selectorIhSB_EEEEvv,@function
_ZN7rocprim17ROCPRIM_400000_NS6detail44device_merge_sort_compile_time_verifier_archINS1_11comp_targetILNS1_3genE2ELNS1_11target_archE906ELNS1_3gpuE6ELNS1_3repE0EEES8_NS0_14default_configES9_NS1_37merge_sort_block_sort_config_selectorIhNS0_10empty_typeEEENS1_38merge_sort_block_merge_config_selectorIhSB_EEEEvv: ; @_ZN7rocprim17ROCPRIM_400000_NS6detail44device_merge_sort_compile_time_verifier_archINS1_11comp_targetILNS1_3genE2ELNS1_11target_archE906ELNS1_3gpuE6ELNS1_3repE0EEES8_NS0_14default_configES9_NS1_37merge_sort_block_sort_config_selectorIhNS0_10empty_typeEEENS1_38merge_sort_block_merge_config_selectorIhSB_EEEEvv
; %bb.0:
	s_endpgm
	.section	.rodata,"a",@progbits
	.p2align	6, 0x0
	.amdhsa_kernel _ZN7rocprim17ROCPRIM_400000_NS6detail44device_merge_sort_compile_time_verifier_archINS1_11comp_targetILNS1_3genE2ELNS1_11target_archE906ELNS1_3gpuE6ELNS1_3repE0EEES8_NS0_14default_configES9_NS1_37merge_sort_block_sort_config_selectorIhNS0_10empty_typeEEENS1_38merge_sort_block_merge_config_selectorIhSB_EEEEvv
		.amdhsa_group_segment_fixed_size 0
		.amdhsa_private_segment_fixed_size 0
		.amdhsa_kernarg_size 0
		.amdhsa_user_sgpr_count 4
		.amdhsa_user_sgpr_private_segment_buffer 1
		.amdhsa_user_sgpr_dispatch_ptr 0
		.amdhsa_user_sgpr_queue_ptr 0
		.amdhsa_user_sgpr_kernarg_segment_ptr 0
		.amdhsa_user_sgpr_dispatch_id 0
		.amdhsa_user_sgpr_flat_scratch_init 0
		.amdhsa_user_sgpr_kernarg_preload_length 0
		.amdhsa_user_sgpr_kernarg_preload_offset 0
		.amdhsa_user_sgpr_private_segment_size 0
		.amdhsa_uses_dynamic_stack 0
		.amdhsa_system_sgpr_private_segment_wavefront_offset 0
		.amdhsa_system_sgpr_workgroup_id_x 1
		.amdhsa_system_sgpr_workgroup_id_y 0
		.amdhsa_system_sgpr_workgroup_id_z 0
		.amdhsa_system_sgpr_workgroup_info 0
		.amdhsa_system_vgpr_workitem_id 0
		.amdhsa_next_free_vgpr 1
		.amdhsa_next_free_sgpr 0
		.amdhsa_accum_offset 4
		.amdhsa_reserve_vcc 0
		.amdhsa_reserve_flat_scratch 0
		.amdhsa_float_round_mode_32 0
		.amdhsa_float_round_mode_16_64 0
		.amdhsa_float_denorm_mode_32 3
		.amdhsa_float_denorm_mode_16_64 3
		.amdhsa_dx10_clamp 1
		.amdhsa_ieee_mode 1
		.amdhsa_fp16_overflow 0
		.amdhsa_tg_split 0
		.amdhsa_exception_fp_ieee_invalid_op 0
		.amdhsa_exception_fp_denorm_src 0
		.amdhsa_exception_fp_ieee_div_zero 0
		.amdhsa_exception_fp_ieee_overflow 0
		.amdhsa_exception_fp_ieee_underflow 0
		.amdhsa_exception_fp_ieee_inexact 0
		.amdhsa_exception_int_div_zero 0
	.end_amdhsa_kernel
	.section	.text._ZN7rocprim17ROCPRIM_400000_NS6detail44device_merge_sort_compile_time_verifier_archINS1_11comp_targetILNS1_3genE2ELNS1_11target_archE906ELNS1_3gpuE6ELNS1_3repE0EEES8_NS0_14default_configES9_NS1_37merge_sort_block_sort_config_selectorIhNS0_10empty_typeEEENS1_38merge_sort_block_merge_config_selectorIhSB_EEEEvv,"axG",@progbits,_ZN7rocprim17ROCPRIM_400000_NS6detail44device_merge_sort_compile_time_verifier_archINS1_11comp_targetILNS1_3genE2ELNS1_11target_archE906ELNS1_3gpuE6ELNS1_3repE0EEES8_NS0_14default_configES9_NS1_37merge_sort_block_sort_config_selectorIhNS0_10empty_typeEEENS1_38merge_sort_block_merge_config_selectorIhSB_EEEEvv,comdat
.Lfunc_end2846:
	.size	_ZN7rocprim17ROCPRIM_400000_NS6detail44device_merge_sort_compile_time_verifier_archINS1_11comp_targetILNS1_3genE2ELNS1_11target_archE906ELNS1_3gpuE6ELNS1_3repE0EEES8_NS0_14default_configES9_NS1_37merge_sort_block_sort_config_selectorIhNS0_10empty_typeEEENS1_38merge_sort_block_merge_config_selectorIhSB_EEEEvv, .Lfunc_end2846-_ZN7rocprim17ROCPRIM_400000_NS6detail44device_merge_sort_compile_time_verifier_archINS1_11comp_targetILNS1_3genE2ELNS1_11target_archE906ELNS1_3gpuE6ELNS1_3repE0EEES8_NS0_14default_configES9_NS1_37merge_sort_block_sort_config_selectorIhNS0_10empty_typeEEENS1_38merge_sort_block_merge_config_selectorIhSB_EEEEvv
                                        ; -- End function
	.section	.AMDGPU.csdata,"",@progbits
; Kernel info:
; codeLenInByte = 4
; NumSgprs: 4
; NumVgprs: 0
; NumAgprs: 0
; TotalNumVgprs: 0
; ScratchSize: 0
; MemoryBound: 0
; FloatMode: 240
; IeeeMode: 1
; LDSByteSize: 0 bytes/workgroup (compile time only)
; SGPRBlocks: 0
; VGPRBlocks: 0
; NumSGPRsForWavesPerEU: 4
; NumVGPRsForWavesPerEU: 1
; AccumOffset: 4
; Occupancy: 8
; WaveLimiterHint : 0
; COMPUTE_PGM_RSRC2:SCRATCH_EN: 0
; COMPUTE_PGM_RSRC2:USER_SGPR: 4
; COMPUTE_PGM_RSRC2:TRAP_HANDLER: 0
; COMPUTE_PGM_RSRC2:TGID_X_EN: 1
; COMPUTE_PGM_RSRC2:TGID_Y_EN: 0
; COMPUTE_PGM_RSRC2:TGID_Z_EN: 0
; COMPUTE_PGM_RSRC2:TIDIG_COMP_CNT: 0
; COMPUTE_PGM_RSRC3_GFX90A:ACCUM_OFFSET: 0
; COMPUTE_PGM_RSRC3_GFX90A:TG_SPLIT: 0
	.section	.text._ZN7rocprim17ROCPRIM_400000_NS6detail44device_merge_sort_compile_time_verifier_archINS1_11comp_targetILNS1_3genE10ELNS1_11target_archE1201ELNS1_3gpuE5ELNS1_3repE0EEES8_NS0_14default_configES9_NS1_37merge_sort_block_sort_config_selectorIhNS0_10empty_typeEEENS1_38merge_sort_block_merge_config_selectorIhSB_EEEEvv,"axG",@progbits,_ZN7rocprim17ROCPRIM_400000_NS6detail44device_merge_sort_compile_time_verifier_archINS1_11comp_targetILNS1_3genE10ELNS1_11target_archE1201ELNS1_3gpuE5ELNS1_3repE0EEES8_NS0_14default_configES9_NS1_37merge_sort_block_sort_config_selectorIhNS0_10empty_typeEEENS1_38merge_sort_block_merge_config_selectorIhSB_EEEEvv,comdat
	.protected	_ZN7rocprim17ROCPRIM_400000_NS6detail44device_merge_sort_compile_time_verifier_archINS1_11comp_targetILNS1_3genE10ELNS1_11target_archE1201ELNS1_3gpuE5ELNS1_3repE0EEES8_NS0_14default_configES9_NS1_37merge_sort_block_sort_config_selectorIhNS0_10empty_typeEEENS1_38merge_sort_block_merge_config_selectorIhSB_EEEEvv ; -- Begin function _ZN7rocprim17ROCPRIM_400000_NS6detail44device_merge_sort_compile_time_verifier_archINS1_11comp_targetILNS1_3genE10ELNS1_11target_archE1201ELNS1_3gpuE5ELNS1_3repE0EEES8_NS0_14default_configES9_NS1_37merge_sort_block_sort_config_selectorIhNS0_10empty_typeEEENS1_38merge_sort_block_merge_config_selectorIhSB_EEEEvv
	.globl	_ZN7rocprim17ROCPRIM_400000_NS6detail44device_merge_sort_compile_time_verifier_archINS1_11comp_targetILNS1_3genE10ELNS1_11target_archE1201ELNS1_3gpuE5ELNS1_3repE0EEES8_NS0_14default_configES9_NS1_37merge_sort_block_sort_config_selectorIhNS0_10empty_typeEEENS1_38merge_sort_block_merge_config_selectorIhSB_EEEEvv
	.p2align	8
	.type	_ZN7rocprim17ROCPRIM_400000_NS6detail44device_merge_sort_compile_time_verifier_archINS1_11comp_targetILNS1_3genE10ELNS1_11target_archE1201ELNS1_3gpuE5ELNS1_3repE0EEES8_NS0_14default_configES9_NS1_37merge_sort_block_sort_config_selectorIhNS0_10empty_typeEEENS1_38merge_sort_block_merge_config_selectorIhSB_EEEEvv,@function
_ZN7rocprim17ROCPRIM_400000_NS6detail44device_merge_sort_compile_time_verifier_archINS1_11comp_targetILNS1_3genE10ELNS1_11target_archE1201ELNS1_3gpuE5ELNS1_3repE0EEES8_NS0_14default_configES9_NS1_37merge_sort_block_sort_config_selectorIhNS0_10empty_typeEEENS1_38merge_sort_block_merge_config_selectorIhSB_EEEEvv: ; @_ZN7rocprim17ROCPRIM_400000_NS6detail44device_merge_sort_compile_time_verifier_archINS1_11comp_targetILNS1_3genE10ELNS1_11target_archE1201ELNS1_3gpuE5ELNS1_3repE0EEES8_NS0_14default_configES9_NS1_37merge_sort_block_sort_config_selectorIhNS0_10empty_typeEEENS1_38merge_sort_block_merge_config_selectorIhSB_EEEEvv
; %bb.0:
	s_endpgm
	.section	.rodata,"a",@progbits
	.p2align	6, 0x0
	.amdhsa_kernel _ZN7rocprim17ROCPRIM_400000_NS6detail44device_merge_sort_compile_time_verifier_archINS1_11comp_targetILNS1_3genE10ELNS1_11target_archE1201ELNS1_3gpuE5ELNS1_3repE0EEES8_NS0_14default_configES9_NS1_37merge_sort_block_sort_config_selectorIhNS0_10empty_typeEEENS1_38merge_sort_block_merge_config_selectorIhSB_EEEEvv
		.amdhsa_group_segment_fixed_size 0
		.amdhsa_private_segment_fixed_size 0
		.amdhsa_kernarg_size 0
		.amdhsa_user_sgpr_count 4
		.amdhsa_user_sgpr_private_segment_buffer 1
		.amdhsa_user_sgpr_dispatch_ptr 0
		.amdhsa_user_sgpr_queue_ptr 0
		.amdhsa_user_sgpr_kernarg_segment_ptr 0
		.amdhsa_user_sgpr_dispatch_id 0
		.amdhsa_user_sgpr_flat_scratch_init 0
		.amdhsa_user_sgpr_kernarg_preload_length 0
		.amdhsa_user_sgpr_kernarg_preload_offset 0
		.amdhsa_user_sgpr_private_segment_size 0
		.amdhsa_uses_dynamic_stack 0
		.amdhsa_system_sgpr_private_segment_wavefront_offset 0
		.amdhsa_system_sgpr_workgroup_id_x 1
		.amdhsa_system_sgpr_workgroup_id_y 0
		.amdhsa_system_sgpr_workgroup_id_z 0
		.amdhsa_system_sgpr_workgroup_info 0
		.amdhsa_system_vgpr_workitem_id 0
		.amdhsa_next_free_vgpr 1
		.amdhsa_next_free_sgpr 0
		.amdhsa_accum_offset 4
		.amdhsa_reserve_vcc 0
		.amdhsa_reserve_flat_scratch 0
		.amdhsa_float_round_mode_32 0
		.amdhsa_float_round_mode_16_64 0
		.amdhsa_float_denorm_mode_32 3
		.amdhsa_float_denorm_mode_16_64 3
		.amdhsa_dx10_clamp 1
		.amdhsa_ieee_mode 1
		.amdhsa_fp16_overflow 0
		.amdhsa_tg_split 0
		.amdhsa_exception_fp_ieee_invalid_op 0
		.amdhsa_exception_fp_denorm_src 0
		.amdhsa_exception_fp_ieee_div_zero 0
		.amdhsa_exception_fp_ieee_overflow 0
		.amdhsa_exception_fp_ieee_underflow 0
		.amdhsa_exception_fp_ieee_inexact 0
		.amdhsa_exception_int_div_zero 0
	.end_amdhsa_kernel
	.section	.text._ZN7rocprim17ROCPRIM_400000_NS6detail44device_merge_sort_compile_time_verifier_archINS1_11comp_targetILNS1_3genE10ELNS1_11target_archE1201ELNS1_3gpuE5ELNS1_3repE0EEES8_NS0_14default_configES9_NS1_37merge_sort_block_sort_config_selectorIhNS0_10empty_typeEEENS1_38merge_sort_block_merge_config_selectorIhSB_EEEEvv,"axG",@progbits,_ZN7rocprim17ROCPRIM_400000_NS6detail44device_merge_sort_compile_time_verifier_archINS1_11comp_targetILNS1_3genE10ELNS1_11target_archE1201ELNS1_3gpuE5ELNS1_3repE0EEES8_NS0_14default_configES9_NS1_37merge_sort_block_sort_config_selectorIhNS0_10empty_typeEEENS1_38merge_sort_block_merge_config_selectorIhSB_EEEEvv,comdat
.Lfunc_end2847:
	.size	_ZN7rocprim17ROCPRIM_400000_NS6detail44device_merge_sort_compile_time_verifier_archINS1_11comp_targetILNS1_3genE10ELNS1_11target_archE1201ELNS1_3gpuE5ELNS1_3repE0EEES8_NS0_14default_configES9_NS1_37merge_sort_block_sort_config_selectorIhNS0_10empty_typeEEENS1_38merge_sort_block_merge_config_selectorIhSB_EEEEvv, .Lfunc_end2847-_ZN7rocprim17ROCPRIM_400000_NS6detail44device_merge_sort_compile_time_verifier_archINS1_11comp_targetILNS1_3genE10ELNS1_11target_archE1201ELNS1_3gpuE5ELNS1_3repE0EEES8_NS0_14default_configES9_NS1_37merge_sort_block_sort_config_selectorIhNS0_10empty_typeEEENS1_38merge_sort_block_merge_config_selectorIhSB_EEEEvv
                                        ; -- End function
	.section	.AMDGPU.csdata,"",@progbits
; Kernel info:
; codeLenInByte = 4
; NumSgprs: 4
; NumVgprs: 0
; NumAgprs: 0
; TotalNumVgprs: 0
; ScratchSize: 0
; MemoryBound: 0
; FloatMode: 240
; IeeeMode: 1
; LDSByteSize: 0 bytes/workgroup (compile time only)
; SGPRBlocks: 0
; VGPRBlocks: 0
; NumSGPRsForWavesPerEU: 4
; NumVGPRsForWavesPerEU: 1
; AccumOffset: 4
; Occupancy: 8
; WaveLimiterHint : 0
; COMPUTE_PGM_RSRC2:SCRATCH_EN: 0
; COMPUTE_PGM_RSRC2:USER_SGPR: 4
; COMPUTE_PGM_RSRC2:TRAP_HANDLER: 0
; COMPUTE_PGM_RSRC2:TGID_X_EN: 1
; COMPUTE_PGM_RSRC2:TGID_Y_EN: 0
; COMPUTE_PGM_RSRC2:TGID_Z_EN: 0
; COMPUTE_PGM_RSRC2:TIDIG_COMP_CNT: 0
; COMPUTE_PGM_RSRC3_GFX90A:ACCUM_OFFSET: 0
; COMPUTE_PGM_RSRC3_GFX90A:TG_SPLIT: 0
	.section	.text._ZN7rocprim17ROCPRIM_400000_NS6detail44device_merge_sort_compile_time_verifier_archINS1_11comp_targetILNS1_3genE10ELNS1_11target_archE1200ELNS1_3gpuE4ELNS1_3repE0EEENS3_ILS4_10ELS5_1201ELS6_5ELS7_0EEENS0_14default_configESA_NS1_37merge_sort_block_sort_config_selectorIhNS0_10empty_typeEEENS1_38merge_sort_block_merge_config_selectorIhSC_EEEEvv,"axG",@progbits,_ZN7rocprim17ROCPRIM_400000_NS6detail44device_merge_sort_compile_time_verifier_archINS1_11comp_targetILNS1_3genE10ELNS1_11target_archE1200ELNS1_3gpuE4ELNS1_3repE0EEENS3_ILS4_10ELS5_1201ELS6_5ELS7_0EEENS0_14default_configESA_NS1_37merge_sort_block_sort_config_selectorIhNS0_10empty_typeEEENS1_38merge_sort_block_merge_config_selectorIhSC_EEEEvv,comdat
	.protected	_ZN7rocprim17ROCPRIM_400000_NS6detail44device_merge_sort_compile_time_verifier_archINS1_11comp_targetILNS1_3genE10ELNS1_11target_archE1200ELNS1_3gpuE4ELNS1_3repE0EEENS3_ILS4_10ELS5_1201ELS6_5ELS7_0EEENS0_14default_configESA_NS1_37merge_sort_block_sort_config_selectorIhNS0_10empty_typeEEENS1_38merge_sort_block_merge_config_selectorIhSC_EEEEvv ; -- Begin function _ZN7rocprim17ROCPRIM_400000_NS6detail44device_merge_sort_compile_time_verifier_archINS1_11comp_targetILNS1_3genE10ELNS1_11target_archE1200ELNS1_3gpuE4ELNS1_3repE0EEENS3_ILS4_10ELS5_1201ELS6_5ELS7_0EEENS0_14default_configESA_NS1_37merge_sort_block_sort_config_selectorIhNS0_10empty_typeEEENS1_38merge_sort_block_merge_config_selectorIhSC_EEEEvv
	.globl	_ZN7rocprim17ROCPRIM_400000_NS6detail44device_merge_sort_compile_time_verifier_archINS1_11comp_targetILNS1_3genE10ELNS1_11target_archE1200ELNS1_3gpuE4ELNS1_3repE0EEENS3_ILS4_10ELS5_1201ELS6_5ELS7_0EEENS0_14default_configESA_NS1_37merge_sort_block_sort_config_selectorIhNS0_10empty_typeEEENS1_38merge_sort_block_merge_config_selectorIhSC_EEEEvv
	.p2align	8
	.type	_ZN7rocprim17ROCPRIM_400000_NS6detail44device_merge_sort_compile_time_verifier_archINS1_11comp_targetILNS1_3genE10ELNS1_11target_archE1200ELNS1_3gpuE4ELNS1_3repE0EEENS3_ILS4_10ELS5_1201ELS6_5ELS7_0EEENS0_14default_configESA_NS1_37merge_sort_block_sort_config_selectorIhNS0_10empty_typeEEENS1_38merge_sort_block_merge_config_selectorIhSC_EEEEvv,@function
_ZN7rocprim17ROCPRIM_400000_NS6detail44device_merge_sort_compile_time_verifier_archINS1_11comp_targetILNS1_3genE10ELNS1_11target_archE1200ELNS1_3gpuE4ELNS1_3repE0EEENS3_ILS4_10ELS5_1201ELS6_5ELS7_0EEENS0_14default_configESA_NS1_37merge_sort_block_sort_config_selectorIhNS0_10empty_typeEEENS1_38merge_sort_block_merge_config_selectorIhSC_EEEEvv: ; @_ZN7rocprim17ROCPRIM_400000_NS6detail44device_merge_sort_compile_time_verifier_archINS1_11comp_targetILNS1_3genE10ELNS1_11target_archE1200ELNS1_3gpuE4ELNS1_3repE0EEENS3_ILS4_10ELS5_1201ELS6_5ELS7_0EEENS0_14default_configESA_NS1_37merge_sort_block_sort_config_selectorIhNS0_10empty_typeEEENS1_38merge_sort_block_merge_config_selectorIhSC_EEEEvv
; %bb.0:
	s_endpgm
	.section	.rodata,"a",@progbits
	.p2align	6, 0x0
	.amdhsa_kernel _ZN7rocprim17ROCPRIM_400000_NS6detail44device_merge_sort_compile_time_verifier_archINS1_11comp_targetILNS1_3genE10ELNS1_11target_archE1200ELNS1_3gpuE4ELNS1_3repE0EEENS3_ILS4_10ELS5_1201ELS6_5ELS7_0EEENS0_14default_configESA_NS1_37merge_sort_block_sort_config_selectorIhNS0_10empty_typeEEENS1_38merge_sort_block_merge_config_selectorIhSC_EEEEvv
		.amdhsa_group_segment_fixed_size 0
		.amdhsa_private_segment_fixed_size 0
		.amdhsa_kernarg_size 0
		.amdhsa_user_sgpr_count 4
		.amdhsa_user_sgpr_private_segment_buffer 1
		.amdhsa_user_sgpr_dispatch_ptr 0
		.amdhsa_user_sgpr_queue_ptr 0
		.amdhsa_user_sgpr_kernarg_segment_ptr 0
		.amdhsa_user_sgpr_dispatch_id 0
		.amdhsa_user_sgpr_flat_scratch_init 0
		.amdhsa_user_sgpr_kernarg_preload_length 0
		.amdhsa_user_sgpr_kernarg_preload_offset 0
		.amdhsa_user_sgpr_private_segment_size 0
		.amdhsa_uses_dynamic_stack 0
		.amdhsa_system_sgpr_private_segment_wavefront_offset 0
		.amdhsa_system_sgpr_workgroup_id_x 1
		.amdhsa_system_sgpr_workgroup_id_y 0
		.amdhsa_system_sgpr_workgroup_id_z 0
		.amdhsa_system_sgpr_workgroup_info 0
		.amdhsa_system_vgpr_workitem_id 0
		.amdhsa_next_free_vgpr 1
		.amdhsa_next_free_sgpr 0
		.amdhsa_accum_offset 4
		.amdhsa_reserve_vcc 0
		.amdhsa_reserve_flat_scratch 0
		.amdhsa_float_round_mode_32 0
		.amdhsa_float_round_mode_16_64 0
		.amdhsa_float_denorm_mode_32 3
		.amdhsa_float_denorm_mode_16_64 3
		.amdhsa_dx10_clamp 1
		.amdhsa_ieee_mode 1
		.amdhsa_fp16_overflow 0
		.amdhsa_tg_split 0
		.amdhsa_exception_fp_ieee_invalid_op 0
		.amdhsa_exception_fp_denorm_src 0
		.amdhsa_exception_fp_ieee_div_zero 0
		.amdhsa_exception_fp_ieee_overflow 0
		.amdhsa_exception_fp_ieee_underflow 0
		.amdhsa_exception_fp_ieee_inexact 0
		.amdhsa_exception_int_div_zero 0
	.end_amdhsa_kernel
	.section	.text._ZN7rocprim17ROCPRIM_400000_NS6detail44device_merge_sort_compile_time_verifier_archINS1_11comp_targetILNS1_3genE10ELNS1_11target_archE1200ELNS1_3gpuE4ELNS1_3repE0EEENS3_ILS4_10ELS5_1201ELS6_5ELS7_0EEENS0_14default_configESA_NS1_37merge_sort_block_sort_config_selectorIhNS0_10empty_typeEEENS1_38merge_sort_block_merge_config_selectorIhSC_EEEEvv,"axG",@progbits,_ZN7rocprim17ROCPRIM_400000_NS6detail44device_merge_sort_compile_time_verifier_archINS1_11comp_targetILNS1_3genE10ELNS1_11target_archE1200ELNS1_3gpuE4ELNS1_3repE0EEENS3_ILS4_10ELS5_1201ELS6_5ELS7_0EEENS0_14default_configESA_NS1_37merge_sort_block_sort_config_selectorIhNS0_10empty_typeEEENS1_38merge_sort_block_merge_config_selectorIhSC_EEEEvv,comdat
.Lfunc_end2848:
	.size	_ZN7rocprim17ROCPRIM_400000_NS6detail44device_merge_sort_compile_time_verifier_archINS1_11comp_targetILNS1_3genE10ELNS1_11target_archE1200ELNS1_3gpuE4ELNS1_3repE0EEENS3_ILS4_10ELS5_1201ELS6_5ELS7_0EEENS0_14default_configESA_NS1_37merge_sort_block_sort_config_selectorIhNS0_10empty_typeEEENS1_38merge_sort_block_merge_config_selectorIhSC_EEEEvv, .Lfunc_end2848-_ZN7rocprim17ROCPRIM_400000_NS6detail44device_merge_sort_compile_time_verifier_archINS1_11comp_targetILNS1_3genE10ELNS1_11target_archE1200ELNS1_3gpuE4ELNS1_3repE0EEENS3_ILS4_10ELS5_1201ELS6_5ELS7_0EEENS0_14default_configESA_NS1_37merge_sort_block_sort_config_selectorIhNS0_10empty_typeEEENS1_38merge_sort_block_merge_config_selectorIhSC_EEEEvv
                                        ; -- End function
	.section	.AMDGPU.csdata,"",@progbits
; Kernel info:
; codeLenInByte = 4
; NumSgprs: 4
; NumVgprs: 0
; NumAgprs: 0
; TotalNumVgprs: 0
; ScratchSize: 0
; MemoryBound: 0
; FloatMode: 240
; IeeeMode: 1
; LDSByteSize: 0 bytes/workgroup (compile time only)
; SGPRBlocks: 0
; VGPRBlocks: 0
; NumSGPRsForWavesPerEU: 4
; NumVGPRsForWavesPerEU: 1
; AccumOffset: 4
; Occupancy: 8
; WaveLimiterHint : 0
; COMPUTE_PGM_RSRC2:SCRATCH_EN: 0
; COMPUTE_PGM_RSRC2:USER_SGPR: 4
; COMPUTE_PGM_RSRC2:TRAP_HANDLER: 0
; COMPUTE_PGM_RSRC2:TGID_X_EN: 1
; COMPUTE_PGM_RSRC2:TGID_Y_EN: 0
; COMPUTE_PGM_RSRC2:TGID_Z_EN: 0
; COMPUTE_PGM_RSRC2:TIDIG_COMP_CNT: 0
; COMPUTE_PGM_RSRC3_GFX90A:ACCUM_OFFSET: 0
; COMPUTE_PGM_RSRC3_GFX90A:TG_SPLIT: 0
	.section	.text._ZN7rocprim17ROCPRIM_400000_NS6detail44device_merge_sort_compile_time_verifier_archINS1_11comp_targetILNS1_3genE9ELNS1_11target_archE1100ELNS1_3gpuE3ELNS1_3repE0EEES8_NS0_14default_configES9_NS1_37merge_sort_block_sort_config_selectorIhNS0_10empty_typeEEENS1_38merge_sort_block_merge_config_selectorIhSB_EEEEvv,"axG",@progbits,_ZN7rocprim17ROCPRIM_400000_NS6detail44device_merge_sort_compile_time_verifier_archINS1_11comp_targetILNS1_3genE9ELNS1_11target_archE1100ELNS1_3gpuE3ELNS1_3repE0EEES8_NS0_14default_configES9_NS1_37merge_sort_block_sort_config_selectorIhNS0_10empty_typeEEENS1_38merge_sort_block_merge_config_selectorIhSB_EEEEvv,comdat
	.protected	_ZN7rocprim17ROCPRIM_400000_NS6detail44device_merge_sort_compile_time_verifier_archINS1_11comp_targetILNS1_3genE9ELNS1_11target_archE1100ELNS1_3gpuE3ELNS1_3repE0EEES8_NS0_14default_configES9_NS1_37merge_sort_block_sort_config_selectorIhNS0_10empty_typeEEENS1_38merge_sort_block_merge_config_selectorIhSB_EEEEvv ; -- Begin function _ZN7rocprim17ROCPRIM_400000_NS6detail44device_merge_sort_compile_time_verifier_archINS1_11comp_targetILNS1_3genE9ELNS1_11target_archE1100ELNS1_3gpuE3ELNS1_3repE0EEES8_NS0_14default_configES9_NS1_37merge_sort_block_sort_config_selectorIhNS0_10empty_typeEEENS1_38merge_sort_block_merge_config_selectorIhSB_EEEEvv
	.globl	_ZN7rocprim17ROCPRIM_400000_NS6detail44device_merge_sort_compile_time_verifier_archINS1_11comp_targetILNS1_3genE9ELNS1_11target_archE1100ELNS1_3gpuE3ELNS1_3repE0EEES8_NS0_14default_configES9_NS1_37merge_sort_block_sort_config_selectorIhNS0_10empty_typeEEENS1_38merge_sort_block_merge_config_selectorIhSB_EEEEvv
	.p2align	8
	.type	_ZN7rocprim17ROCPRIM_400000_NS6detail44device_merge_sort_compile_time_verifier_archINS1_11comp_targetILNS1_3genE9ELNS1_11target_archE1100ELNS1_3gpuE3ELNS1_3repE0EEES8_NS0_14default_configES9_NS1_37merge_sort_block_sort_config_selectorIhNS0_10empty_typeEEENS1_38merge_sort_block_merge_config_selectorIhSB_EEEEvv,@function
_ZN7rocprim17ROCPRIM_400000_NS6detail44device_merge_sort_compile_time_verifier_archINS1_11comp_targetILNS1_3genE9ELNS1_11target_archE1100ELNS1_3gpuE3ELNS1_3repE0EEES8_NS0_14default_configES9_NS1_37merge_sort_block_sort_config_selectorIhNS0_10empty_typeEEENS1_38merge_sort_block_merge_config_selectorIhSB_EEEEvv: ; @_ZN7rocprim17ROCPRIM_400000_NS6detail44device_merge_sort_compile_time_verifier_archINS1_11comp_targetILNS1_3genE9ELNS1_11target_archE1100ELNS1_3gpuE3ELNS1_3repE0EEES8_NS0_14default_configES9_NS1_37merge_sort_block_sort_config_selectorIhNS0_10empty_typeEEENS1_38merge_sort_block_merge_config_selectorIhSB_EEEEvv
; %bb.0:
	s_endpgm
	.section	.rodata,"a",@progbits
	.p2align	6, 0x0
	.amdhsa_kernel _ZN7rocprim17ROCPRIM_400000_NS6detail44device_merge_sort_compile_time_verifier_archINS1_11comp_targetILNS1_3genE9ELNS1_11target_archE1100ELNS1_3gpuE3ELNS1_3repE0EEES8_NS0_14default_configES9_NS1_37merge_sort_block_sort_config_selectorIhNS0_10empty_typeEEENS1_38merge_sort_block_merge_config_selectorIhSB_EEEEvv
		.amdhsa_group_segment_fixed_size 0
		.amdhsa_private_segment_fixed_size 0
		.amdhsa_kernarg_size 0
		.amdhsa_user_sgpr_count 4
		.amdhsa_user_sgpr_private_segment_buffer 1
		.amdhsa_user_sgpr_dispatch_ptr 0
		.amdhsa_user_sgpr_queue_ptr 0
		.amdhsa_user_sgpr_kernarg_segment_ptr 0
		.amdhsa_user_sgpr_dispatch_id 0
		.amdhsa_user_sgpr_flat_scratch_init 0
		.amdhsa_user_sgpr_kernarg_preload_length 0
		.amdhsa_user_sgpr_kernarg_preload_offset 0
		.amdhsa_user_sgpr_private_segment_size 0
		.amdhsa_uses_dynamic_stack 0
		.amdhsa_system_sgpr_private_segment_wavefront_offset 0
		.amdhsa_system_sgpr_workgroup_id_x 1
		.amdhsa_system_sgpr_workgroup_id_y 0
		.amdhsa_system_sgpr_workgroup_id_z 0
		.amdhsa_system_sgpr_workgroup_info 0
		.amdhsa_system_vgpr_workitem_id 0
		.amdhsa_next_free_vgpr 1
		.amdhsa_next_free_sgpr 0
		.amdhsa_accum_offset 4
		.amdhsa_reserve_vcc 0
		.amdhsa_reserve_flat_scratch 0
		.amdhsa_float_round_mode_32 0
		.amdhsa_float_round_mode_16_64 0
		.amdhsa_float_denorm_mode_32 3
		.amdhsa_float_denorm_mode_16_64 3
		.amdhsa_dx10_clamp 1
		.amdhsa_ieee_mode 1
		.amdhsa_fp16_overflow 0
		.amdhsa_tg_split 0
		.amdhsa_exception_fp_ieee_invalid_op 0
		.amdhsa_exception_fp_denorm_src 0
		.amdhsa_exception_fp_ieee_div_zero 0
		.amdhsa_exception_fp_ieee_overflow 0
		.amdhsa_exception_fp_ieee_underflow 0
		.amdhsa_exception_fp_ieee_inexact 0
		.amdhsa_exception_int_div_zero 0
	.end_amdhsa_kernel
	.section	.text._ZN7rocprim17ROCPRIM_400000_NS6detail44device_merge_sort_compile_time_verifier_archINS1_11comp_targetILNS1_3genE9ELNS1_11target_archE1100ELNS1_3gpuE3ELNS1_3repE0EEES8_NS0_14default_configES9_NS1_37merge_sort_block_sort_config_selectorIhNS0_10empty_typeEEENS1_38merge_sort_block_merge_config_selectorIhSB_EEEEvv,"axG",@progbits,_ZN7rocprim17ROCPRIM_400000_NS6detail44device_merge_sort_compile_time_verifier_archINS1_11comp_targetILNS1_3genE9ELNS1_11target_archE1100ELNS1_3gpuE3ELNS1_3repE0EEES8_NS0_14default_configES9_NS1_37merge_sort_block_sort_config_selectorIhNS0_10empty_typeEEENS1_38merge_sort_block_merge_config_selectorIhSB_EEEEvv,comdat
.Lfunc_end2849:
	.size	_ZN7rocprim17ROCPRIM_400000_NS6detail44device_merge_sort_compile_time_verifier_archINS1_11comp_targetILNS1_3genE9ELNS1_11target_archE1100ELNS1_3gpuE3ELNS1_3repE0EEES8_NS0_14default_configES9_NS1_37merge_sort_block_sort_config_selectorIhNS0_10empty_typeEEENS1_38merge_sort_block_merge_config_selectorIhSB_EEEEvv, .Lfunc_end2849-_ZN7rocprim17ROCPRIM_400000_NS6detail44device_merge_sort_compile_time_verifier_archINS1_11comp_targetILNS1_3genE9ELNS1_11target_archE1100ELNS1_3gpuE3ELNS1_3repE0EEES8_NS0_14default_configES9_NS1_37merge_sort_block_sort_config_selectorIhNS0_10empty_typeEEENS1_38merge_sort_block_merge_config_selectorIhSB_EEEEvv
                                        ; -- End function
	.section	.AMDGPU.csdata,"",@progbits
; Kernel info:
; codeLenInByte = 4
; NumSgprs: 4
; NumVgprs: 0
; NumAgprs: 0
; TotalNumVgprs: 0
; ScratchSize: 0
; MemoryBound: 0
; FloatMode: 240
; IeeeMode: 1
; LDSByteSize: 0 bytes/workgroup (compile time only)
; SGPRBlocks: 0
; VGPRBlocks: 0
; NumSGPRsForWavesPerEU: 4
; NumVGPRsForWavesPerEU: 1
; AccumOffset: 4
; Occupancy: 8
; WaveLimiterHint : 0
; COMPUTE_PGM_RSRC2:SCRATCH_EN: 0
; COMPUTE_PGM_RSRC2:USER_SGPR: 4
; COMPUTE_PGM_RSRC2:TRAP_HANDLER: 0
; COMPUTE_PGM_RSRC2:TGID_X_EN: 1
; COMPUTE_PGM_RSRC2:TGID_Y_EN: 0
; COMPUTE_PGM_RSRC2:TGID_Z_EN: 0
; COMPUTE_PGM_RSRC2:TIDIG_COMP_CNT: 0
; COMPUTE_PGM_RSRC3_GFX90A:ACCUM_OFFSET: 0
; COMPUTE_PGM_RSRC3_GFX90A:TG_SPLIT: 0
	.section	.text._ZN7rocprim17ROCPRIM_400000_NS6detail44device_merge_sort_compile_time_verifier_archINS1_11comp_targetILNS1_3genE8ELNS1_11target_archE1030ELNS1_3gpuE2ELNS1_3repE0EEES8_NS0_14default_configES9_NS1_37merge_sort_block_sort_config_selectorIhNS0_10empty_typeEEENS1_38merge_sort_block_merge_config_selectorIhSB_EEEEvv,"axG",@progbits,_ZN7rocprim17ROCPRIM_400000_NS6detail44device_merge_sort_compile_time_verifier_archINS1_11comp_targetILNS1_3genE8ELNS1_11target_archE1030ELNS1_3gpuE2ELNS1_3repE0EEES8_NS0_14default_configES9_NS1_37merge_sort_block_sort_config_selectorIhNS0_10empty_typeEEENS1_38merge_sort_block_merge_config_selectorIhSB_EEEEvv,comdat
	.protected	_ZN7rocprim17ROCPRIM_400000_NS6detail44device_merge_sort_compile_time_verifier_archINS1_11comp_targetILNS1_3genE8ELNS1_11target_archE1030ELNS1_3gpuE2ELNS1_3repE0EEES8_NS0_14default_configES9_NS1_37merge_sort_block_sort_config_selectorIhNS0_10empty_typeEEENS1_38merge_sort_block_merge_config_selectorIhSB_EEEEvv ; -- Begin function _ZN7rocprim17ROCPRIM_400000_NS6detail44device_merge_sort_compile_time_verifier_archINS1_11comp_targetILNS1_3genE8ELNS1_11target_archE1030ELNS1_3gpuE2ELNS1_3repE0EEES8_NS0_14default_configES9_NS1_37merge_sort_block_sort_config_selectorIhNS0_10empty_typeEEENS1_38merge_sort_block_merge_config_selectorIhSB_EEEEvv
	.globl	_ZN7rocprim17ROCPRIM_400000_NS6detail44device_merge_sort_compile_time_verifier_archINS1_11comp_targetILNS1_3genE8ELNS1_11target_archE1030ELNS1_3gpuE2ELNS1_3repE0EEES8_NS0_14default_configES9_NS1_37merge_sort_block_sort_config_selectorIhNS0_10empty_typeEEENS1_38merge_sort_block_merge_config_selectorIhSB_EEEEvv
	.p2align	8
	.type	_ZN7rocprim17ROCPRIM_400000_NS6detail44device_merge_sort_compile_time_verifier_archINS1_11comp_targetILNS1_3genE8ELNS1_11target_archE1030ELNS1_3gpuE2ELNS1_3repE0EEES8_NS0_14default_configES9_NS1_37merge_sort_block_sort_config_selectorIhNS0_10empty_typeEEENS1_38merge_sort_block_merge_config_selectorIhSB_EEEEvv,@function
_ZN7rocprim17ROCPRIM_400000_NS6detail44device_merge_sort_compile_time_verifier_archINS1_11comp_targetILNS1_3genE8ELNS1_11target_archE1030ELNS1_3gpuE2ELNS1_3repE0EEES8_NS0_14default_configES9_NS1_37merge_sort_block_sort_config_selectorIhNS0_10empty_typeEEENS1_38merge_sort_block_merge_config_selectorIhSB_EEEEvv: ; @_ZN7rocprim17ROCPRIM_400000_NS6detail44device_merge_sort_compile_time_verifier_archINS1_11comp_targetILNS1_3genE8ELNS1_11target_archE1030ELNS1_3gpuE2ELNS1_3repE0EEES8_NS0_14default_configES9_NS1_37merge_sort_block_sort_config_selectorIhNS0_10empty_typeEEENS1_38merge_sort_block_merge_config_selectorIhSB_EEEEvv
; %bb.0:
	s_endpgm
	.section	.rodata,"a",@progbits
	.p2align	6, 0x0
	.amdhsa_kernel _ZN7rocprim17ROCPRIM_400000_NS6detail44device_merge_sort_compile_time_verifier_archINS1_11comp_targetILNS1_3genE8ELNS1_11target_archE1030ELNS1_3gpuE2ELNS1_3repE0EEES8_NS0_14default_configES9_NS1_37merge_sort_block_sort_config_selectorIhNS0_10empty_typeEEENS1_38merge_sort_block_merge_config_selectorIhSB_EEEEvv
		.amdhsa_group_segment_fixed_size 0
		.amdhsa_private_segment_fixed_size 0
		.amdhsa_kernarg_size 0
		.amdhsa_user_sgpr_count 4
		.amdhsa_user_sgpr_private_segment_buffer 1
		.amdhsa_user_sgpr_dispatch_ptr 0
		.amdhsa_user_sgpr_queue_ptr 0
		.amdhsa_user_sgpr_kernarg_segment_ptr 0
		.amdhsa_user_sgpr_dispatch_id 0
		.amdhsa_user_sgpr_flat_scratch_init 0
		.amdhsa_user_sgpr_kernarg_preload_length 0
		.amdhsa_user_sgpr_kernarg_preload_offset 0
		.amdhsa_user_sgpr_private_segment_size 0
		.amdhsa_uses_dynamic_stack 0
		.amdhsa_system_sgpr_private_segment_wavefront_offset 0
		.amdhsa_system_sgpr_workgroup_id_x 1
		.amdhsa_system_sgpr_workgroup_id_y 0
		.amdhsa_system_sgpr_workgroup_id_z 0
		.amdhsa_system_sgpr_workgroup_info 0
		.amdhsa_system_vgpr_workitem_id 0
		.amdhsa_next_free_vgpr 1
		.amdhsa_next_free_sgpr 0
		.amdhsa_accum_offset 4
		.amdhsa_reserve_vcc 0
		.amdhsa_reserve_flat_scratch 0
		.amdhsa_float_round_mode_32 0
		.amdhsa_float_round_mode_16_64 0
		.amdhsa_float_denorm_mode_32 3
		.amdhsa_float_denorm_mode_16_64 3
		.amdhsa_dx10_clamp 1
		.amdhsa_ieee_mode 1
		.amdhsa_fp16_overflow 0
		.amdhsa_tg_split 0
		.amdhsa_exception_fp_ieee_invalid_op 0
		.amdhsa_exception_fp_denorm_src 0
		.amdhsa_exception_fp_ieee_div_zero 0
		.amdhsa_exception_fp_ieee_overflow 0
		.amdhsa_exception_fp_ieee_underflow 0
		.amdhsa_exception_fp_ieee_inexact 0
		.amdhsa_exception_int_div_zero 0
	.end_amdhsa_kernel
	.section	.text._ZN7rocprim17ROCPRIM_400000_NS6detail44device_merge_sort_compile_time_verifier_archINS1_11comp_targetILNS1_3genE8ELNS1_11target_archE1030ELNS1_3gpuE2ELNS1_3repE0EEES8_NS0_14default_configES9_NS1_37merge_sort_block_sort_config_selectorIhNS0_10empty_typeEEENS1_38merge_sort_block_merge_config_selectorIhSB_EEEEvv,"axG",@progbits,_ZN7rocprim17ROCPRIM_400000_NS6detail44device_merge_sort_compile_time_verifier_archINS1_11comp_targetILNS1_3genE8ELNS1_11target_archE1030ELNS1_3gpuE2ELNS1_3repE0EEES8_NS0_14default_configES9_NS1_37merge_sort_block_sort_config_selectorIhNS0_10empty_typeEEENS1_38merge_sort_block_merge_config_selectorIhSB_EEEEvv,comdat
.Lfunc_end2850:
	.size	_ZN7rocprim17ROCPRIM_400000_NS6detail44device_merge_sort_compile_time_verifier_archINS1_11comp_targetILNS1_3genE8ELNS1_11target_archE1030ELNS1_3gpuE2ELNS1_3repE0EEES8_NS0_14default_configES9_NS1_37merge_sort_block_sort_config_selectorIhNS0_10empty_typeEEENS1_38merge_sort_block_merge_config_selectorIhSB_EEEEvv, .Lfunc_end2850-_ZN7rocprim17ROCPRIM_400000_NS6detail44device_merge_sort_compile_time_verifier_archINS1_11comp_targetILNS1_3genE8ELNS1_11target_archE1030ELNS1_3gpuE2ELNS1_3repE0EEES8_NS0_14default_configES9_NS1_37merge_sort_block_sort_config_selectorIhNS0_10empty_typeEEENS1_38merge_sort_block_merge_config_selectorIhSB_EEEEvv
                                        ; -- End function
	.section	.AMDGPU.csdata,"",@progbits
; Kernel info:
; codeLenInByte = 4
; NumSgprs: 4
; NumVgprs: 0
; NumAgprs: 0
; TotalNumVgprs: 0
; ScratchSize: 0
; MemoryBound: 0
; FloatMode: 240
; IeeeMode: 1
; LDSByteSize: 0 bytes/workgroup (compile time only)
; SGPRBlocks: 0
; VGPRBlocks: 0
; NumSGPRsForWavesPerEU: 4
; NumVGPRsForWavesPerEU: 1
; AccumOffset: 4
; Occupancy: 8
; WaveLimiterHint : 0
; COMPUTE_PGM_RSRC2:SCRATCH_EN: 0
; COMPUTE_PGM_RSRC2:USER_SGPR: 4
; COMPUTE_PGM_RSRC2:TRAP_HANDLER: 0
; COMPUTE_PGM_RSRC2:TGID_X_EN: 1
; COMPUTE_PGM_RSRC2:TGID_Y_EN: 0
; COMPUTE_PGM_RSRC2:TGID_Z_EN: 0
; COMPUTE_PGM_RSRC2:TIDIG_COMP_CNT: 0
; COMPUTE_PGM_RSRC3_GFX90A:ACCUM_OFFSET: 0
; COMPUTE_PGM_RSRC3_GFX90A:TG_SPLIT: 0
	.section	.text._ZN7rocprim17ROCPRIM_400000_NS6detail17trampoline_kernelINS0_14default_configENS1_37merge_sort_block_sort_config_selectorIhNS0_10empty_typeEEEZNS1_21merge_sort_block_sortIS3_N6thrust23THRUST_200600_302600_NS6detail15normal_iteratorINS9_10device_ptrIhEEEESE_PS5_SF_14custom_greaterIhEEE10hipError_tT0_T1_T2_T3_mRjT4_P12ihipStream_tbNS1_7vsmem_tEEUlT_E_NS1_11comp_targetILNS1_3genE0ELNS1_11target_archE4294967295ELNS1_3gpuE0ELNS1_3repE0EEENS1_30default_config_static_selectorELNS0_4arch9wavefront6targetE1EEEvSK_,"axG",@progbits,_ZN7rocprim17ROCPRIM_400000_NS6detail17trampoline_kernelINS0_14default_configENS1_37merge_sort_block_sort_config_selectorIhNS0_10empty_typeEEEZNS1_21merge_sort_block_sortIS3_N6thrust23THRUST_200600_302600_NS6detail15normal_iteratorINS9_10device_ptrIhEEEESE_PS5_SF_14custom_greaterIhEEE10hipError_tT0_T1_T2_T3_mRjT4_P12ihipStream_tbNS1_7vsmem_tEEUlT_E_NS1_11comp_targetILNS1_3genE0ELNS1_11target_archE4294967295ELNS1_3gpuE0ELNS1_3repE0EEENS1_30default_config_static_selectorELNS0_4arch9wavefront6targetE1EEEvSK_,comdat
	.protected	_ZN7rocprim17ROCPRIM_400000_NS6detail17trampoline_kernelINS0_14default_configENS1_37merge_sort_block_sort_config_selectorIhNS0_10empty_typeEEEZNS1_21merge_sort_block_sortIS3_N6thrust23THRUST_200600_302600_NS6detail15normal_iteratorINS9_10device_ptrIhEEEESE_PS5_SF_14custom_greaterIhEEE10hipError_tT0_T1_T2_T3_mRjT4_P12ihipStream_tbNS1_7vsmem_tEEUlT_E_NS1_11comp_targetILNS1_3genE0ELNS1_11target_archE4294967295ELNS1_3gpuE0ELNS1_3repE0EEENS1_30default_config_static_selectorELNS0_4arch9wavefront6targetE1EEEvSK_ ; -- Begin function _ZN7rocprim17ROCPRIM_400000_NS6detail17trampoline_kernelINS0_14default_configENS1_37merge_sort_block_sort_config_selectorIhNS0_10empty_typeEEEZNS1_21merge_sort_block_sortIS3_N6thrust23THRUST_200600_302600_NS6detail15normal_iteratorINS9_10device_ptrIhEEEESE_PS5_SF_14custom_greaterIhEEE10hipError_tT0_T1_T2_T3_mRjT4_P12ihipStream_tbNS1_7vsmem_tEEUlT_E_NS1_11comp_targetILNS1_3genE0ELNS1_11target_archE4294967295ELNS1_3gpuE0ELNS1_3repE0EEENS1_30default_config_static_selectorELNS0_4arch9wavefront6targetE1EEEvSK_
	.globl	_ZN7rocprim17ROCPRIM_400000_NS6detail17trampoline_kernelINS0_14default_configENS1_37merge_sort_block_sort_config_selectorIhNS0_10empty_typeEEEZNS1_21merge_sort_block_sortIS3_N6thrust23THRUST_200600_302600_NS6detail15normal_iteratorINS9_10device_ptrIhEEEESE_PS5_SF_14custom_greaterIhEEE10hipError_tT0_T1_T2_T3_mRjT4_P12ihipStream_tbNS1_7vsmem_tEEUlT_E_NS1_11comp_targetILNS1_3genE0ELNS1_11target_archE4294967295ELNS1_3gpuE0ELNS1_3repE0EEENS1_30default_config_static_selectorELNS0_4arch9wavefront6targetE1EEEvSK_
	.p2align	8
	.type	_ZN7rocprim17ROCPRIM_400000_NS6detail17trampoline_kernelINS0_14default_configENS1_37merge_sort_block_sort_config_selectorIhNS0_10empty_typeEEEZNS1_21merge_sort_block_sortIS3_N6thrust23THRUST_200600_302600_NS6detail15normal_iteratorINS9_10device_ptrIhEEEESE_PS5_SF_14custom_greaterIhEEE10hipError_tT0_T1_T2_T3_mRjT4_P12ihipStream_tbNS1_7vsmem_tEEUlT_E_NS1_11comp_targetILNS1_3genE0ELNS1_11target_archE4294967295ELNS1_3gpuE0ELNS1_3repE0EEENS1_30default_config_static_selectorELNS0_4arch9wavefront6targetE1EEEvSK_,@function
_ZN7rocprim17ROCPRIM_400000_NS6detail17trampoline_kernelINS0_14default_configENS1_37merge_sort_block_sort_config_selectorIhNS0_10empty_typeEEEZNS1_21merge_sort_block_sortIS3_N6thrust23THRUST_200600_302600_NS6detail15normal_iteratorINS9_10device_ptrIhEEEESE_PS5_SF_14custom_greaterIhEEE10hipError_tT0_T1_T2_T3_mRjT4_P12ihipStream_tbNS1_7vsmem_tEEUlT_E_NS1_11comp_targetILNS1_3genE0ELNS1_11target_archE4294967295ELNS1_3gpuE0ELNS1_3repE0EEENS1_30default_config_static_selectorELNS0_4arch9wavefront6targetE1EEEvSK_: ; @_ZN7rocprim17ROCPRIM_400000_NS6detail17trampoline_kernelINS0_14default_configENS1_37merge_sort_block_sort_config_selectorIhNS0_10empty_typeEEEZNS1_21merge_sort_block_sortIS3_N6thrust23THRUST_200600_302600_NS6detail15normal_iteratorINS9_10device_ptrIhEEEESE_PS5_SF_14custom_greaterIhEEE10hipError_tT0_T1_T2_T3_mRjT4_P12ihipStream_tbNS1_7vsmem_tEEUlT_E_NS1_11comp_targetILNS1_3genE0ELNS1_11target_archE4294967295ELNS1_3gpuE0ELNS1_3repE0EEENS1_30default_config_static_selectorELNS0_4arch9wavefront6targetE1EEEvSK_
; %bb.0:
	.section	.rodata,"a",@progbits
	.p2align	6, 0x0
	.amdhsa_kernel _ZN7rocprim17ROCPRIM_400000_NS6detail17trampoline_kernelINS0_14default_configENS1_37merge_sort_block_sort_config_selectorIhNS0_10empty_typeEEEZNS1_21merge_sort_block_sortIS3_N6thrust23THRUST_200600_302600_NS6detail15normal_iteratorINS9_10device_ptrIhEEEESE_PS5_SF_14custom_greaterIhEEE10hipError_tT0_T1_T2_T3_mRjT4_P12ihipStream_tbNS1_7vsmem_tEEUlT_E_NS1_11comp_targetILNS1_3genE0ELNS1_11target_archE4294967295ELNS1_3gpuE0ELNS1_3repE0EEENS1_30default_config_static_selectorELNS0_4arch9wavefront6targetE1EEEvSK_
		.amdhsa_group_segment_fixed_size 0
		.amdhsa_private_segment_fixed_size 0
		.amdhsa_kernarg_size 64
		.amdhsa_user_sgpr_count 6
		.amdhsa_user_sgpr_private_segment_buffer 1
		.amdhsa_user_sgpr_dispatch_ptr 0
		.amdhsa_user_sgpr_queue_ptr 0
		.amdhsa_user_sgpr_kernarg_segment_ptr 1
		.amdhsa_user_sgpr_dispatch_id 0
		.amdhsa_user_sgpr_flat_scratch_init 0
		.amdhsa_user_sgpr_kernarg_preload_length 0
		.amdhsa_user_sgpr_kernarg_preload_offset 0
		.amdhsa_user_sgpr_private_segment_size 0
		.amdhsa_uses_dynamic_stack 0
		.amdhsa_system_sgpr_private_segment_wavefront_offset 0
		.amdhsa_system_sgpr_workgroup_id_x 1
		.amdhsa_system_sgpr_workgroup_id_y 0
		.amdhsa_system_sgpr_workgroup_id_z 0
		.amdhsa_system_sgpr_workgroup_info 0
		.amdhsa_system_vgpr_workitem_id 0
		.amdhsa_next_free_vgpr 1
		.amdhsa_next_free_sgpr 0
		.amdhsa_accum_offset 4
		.amdhsa_reserve_vcc 0
		.amdhsa_reserve_flat_scratch 0
		.amdhsa_float_round_mode_32 0
		.amdhsa_float_round_mode_16_64 0
		.amdhsa_float_denorm_mode_32 3
		.amdhsa_float_denorm_mode_16_64 3
		.amdhsa_dx10_clamp 1
		.amdhsa_ieee_mode 1
		.amdhsa_fp16_overflow 0
		.amdhsa_tg_split 0
		.amdhsa_exception_fp_ieee_invalid_op 0
		.amdhsa_exception_fp_denorm_src 0
		.amdhsa_exception_fp_ieee_div_zero 0
		.amdhsa_exception_fp_ieee_overflow 0
		.amdhsa_exception_fp_ieee_underflow 0
		.amdhsa_exception_fp_ieee_inexact 0
		.amdhsa_exception_int_div_zero 0
	.end_amdhsa_kernel
	.section	.text._ZN7rocprim17ROCPRIM_400000_NS6detail17trampoline_kernelINS0_14default_configENS1_37merge_sort_block_sort_config_selectorIhNS0_10empty_typeEEEZNS1_21merge_sort_block_sortIS3_N6thrust23THRUST_200600_302600_NS6detail15normal_iteratorINS9_10device_ptrIhEEEESE_PS5_SF_14custom_greaterIhEEE10hipError_tT0_T1_T2_T3_mRjT4_P12ihipStream_tbNS1_7vsmem_tEEUlT_E_NS1_11comp_targetILNS1_3genE0ELNS1_11target_archE4294967295ELNS1_3gpuE0ELNS1_3repE0EEENS1_30default_config_static_selectorELNS0_4arch9wavefront6targetE1EEEvSK_,"axG",@progbits,_ZN7rocprim17ROCPRIM_400000_NS6detail17trampoline_kernelINS0_14default_configENS1_37merge_sort_block_sort_config_selectorIhNS0_10empty_typeEEEZNS1_21merge_sort_block_sortIS3_N6thrust23THRUST_200600_302600_NS6detail15normal_iteratorINS9_10device_ptrIhEEEESE_PS5_SF_14custom_greaterIhEEE10hipError_tT0_T1_T2_T3_mRjT4_P12ihipStream_tbNS1_7vsmem_tEEUlT_E_NS1_11comp_targetILNS1_3genE0ELNS1_11target_archE4294967295ELNS1_3gpuE0ELNS1_3repE0EEENS1_30default_config_static_selectorELNS0_4arch9wavefront6targetE1EEEvSK_,comdat
.Lfunc_end2851:
	.size	_ZN7rocprim17ROCPRIM_400000_NS6detail17trampoline_kernelINS0_14default_configENS1_37merge_sort_block_sort_config_selectorIhNS0_10empty_typeEEEZNS1_21merge_sort_block_sortIS3_N6thrust23THRUST_200600_302600_NS6detail15normal_iteratorINS9_10device_ptrIhEEEESE_PS5_SF_14custom_greaterIhEEE10hipError_tT0_T1_T2_T3_mRjT4_P12ihipStream_tbNS1_7vsmem_tEEUlT_E_NS1_11comp_targetILNS1_3genE0ELNS1_11target_archE4294967295ELNS1_3gpuE0ELNS1_3repE0EEENS1_30default_config_static_selectorELNS0_4arch9wavefront6targetE1EEEvSK_, .Lfunc_end2851-_ZN7rocprim17ROCPRIM_400000_NS6detail17trampoline_kernelINS0_14default_configENS1_37merge_sort_block_sort_config_selectorIhNS0_10empty_typeEEEZNS1_21merge_sort_block_sortIS3_N6thrust23THRUST_200600_302600_NS6detail15normal_iteratorINS9_10device_ptrIhEEEESE_PS5_SF_14custom_greaterIhEEE10hipError_tT0_T1_T2_T3_mRjT4_P12ihipStream_tbNS1_7vsmem_tEEUlT_E_NS1_11comp_targetILNS1_3genE0ELNS1_11target_archE4294967295ELNS1_3gpuE0ELNS1_3repE0EEENS1_30default_config_static_selectorELNS0_4arch9wavefront6targetE1EEEvSK_
                                        ; -- End function
	.section	.AMDGPU.csdata,"",@progbits
; Kernel info:
; codeLenInByte = 0
; NumSgprs: 4
; NumVgprs: 0
; NumAgprs: 0
; TotalNumVgprs: 0
; ScratchSize: 0
; MemoryBound: 0
; FloatMode: 240
; IeeeMode: 1
; LDSByteSize: 0 bytes/workgroup (compile time only)
; SGPRBlocks: 0
; VGPRBlocks: 0
; NumSGPRsForWavesPerEU: 4
; NumVGPRsForWavesPerEU: 1
; AccumOffset: 4
; Occupancy: 8
; WaveLimiterHint : 0
; COMPUTE_PGM_RSRC2:SCRATCH_EN: 0
; COMPUTE_PGM_RSRC2:USER_SGPR: 6
; COMPUTE_PGM_RSRC2:TRAP_HANDLER: 0
; COMPUTE_PGM_RSRC2:TGID_X_EN: 1
; COMPUTE_PGM_RSRC2:TGID_Y_EN: 0
; COMPUTE_PGM_RSRC2:TGID_Z_EN: 0
; COMPUTE_PGM_RSRC2:TIDIG_COMP_CNT: 0
; COMPUTE_PGM_RSRC3_GFX90A:ACCUM_OFFSET: 0
; COMPUTE_PGM_RSRC3_GFX90A:TG_SPLIT: 0
	.section	.text._ZN7rocprim17ROCPRIM_400000_NS6detail17trampoline_kernelINS0_14default_configENS1_37merge_sort_block_sort_config_selectorIhNS0_10empty_typeEEEZNS1_21merge_sort_block_sortIS3_N6thrust23THRUST_200600_302600_NS6detail15normal_iteratorINS9_10device_ptrIhEEEESE_PS5_SF_14custom_greaterIhEEE10hipError_tT0_T1_T2_T3_mRjT4_P12ihipStream_tbNS1_7vsmem_tEEUlT_E_NS1_11comp_targetILNS1_3genE5ELNS1_11target_archE942ELNS1_3gpuE9ELNS1_3repE0EEENS1_30default_config_static_selectorELNS0_4arch9wavefront6targetE1EEEvSK_,"axG",@progbits,_ZN7rocprim17ROCPRIM_400000_NS6detail17trampoline_kernelINS0_14default_configENS1_37merge_sort_block_sort_config_selectorIhNS0_10empty_typeEEEZNS1_21merge_sort_block_sortIS3_N6thrust23THRUST_200600_302600_NS6detail15normal_iteratorINS9_10device_ptrIhEEEESE_PS5_SF_14custom_greaterIhEEE10hipError_tT0_T1_T2_T3_mRjT4_P12ihipStream_tbNS1_7vsmem_tEEUlT_E_NS1_11comp_targetILNS1_3genE5ELNS1_11target_archE942ELNS1_3gpuE9ELNS1_3repE0EEENS1_30default_config_static_selectorELNS0_4arch9wavefront6targetE1EEEvSK_,comdat
	.protected	_ZN7rocprim17ROCPRIM_400000_NS6detail17trampoline_kernelINS0_14default_configENS1_37merge_sort_block_sort_config_selectorIhNS0_10empty_typeEEEZNS1_21merge_sort_block_sortIS3_N6thrust23THRUST_200600_302600_NS6detail15normal_iteratorINS9_10device_ptrIhEEEESE_PS5_SF_14custom_greaterIhEEE10hipError_tT0_T1_T2_T3_mRjT4_P12ihipStream_tbNS1_7vsmem_tEEUlT_E_NS1_11comp_targetILNS1_3genE5ELNS1_11target_archE942ELNS1_3gpuE9ELNS1_3repE0EEENS1_30default_config_static_selectorELNS0_4arch9wavefront6targetE1EEEvSK_ ; -- Begin function _ZN7rocprim17ROCPRIM_400000_NS6detail17trampoline_kernelINS0_14default_configENS1_37merge_sort_block_sort_config_selectorIhNS0_10empty_typeEEEZNS1_21merge_sort_block_sortIS3_N6thrust23THRUST_200600_302600_NS6detail15normal_iteratorINS9_10device_ptrIhEEEESE_PS5_SF_14custom_greaterIhEEE10hipError_tT0_T1_T2_T3_mRjT4_P12ihipStream_tbNS1_7vsmem_tEEUlT_E_NS1_11comp_targetILNS1_3genE5ELNS1_11target_archE942ELNS1_3gpuE9ELNS1_3repE0EEENS1_30default_config_static_selectorELNS0_4arch9wavefront6targetE1EEEvSK_
	.globl	_ZN7rocprim17ROCPRIM_400000_NS6detail17trampoline_kernelINS0_14default_configENS1_37merge_sort_block_sort_config_selectorIhNS0_10empty_typeEEEZNS1_21merge_sort_block_sortIS3_N6thrust23THRUST_200600_302600_NS6detail15normal_iteratorINS9_10device_ptrIhEEEESE_PS5_SF_14custom_greaterIhEEE10hipError_tT0_T1_T2_T3_mRjT4_P12ihipStream_tbNS1_7vsmem_tEEUlT_E_NS1_11comp_targetILNS1_3genE5ELNS1_11target_archE942ELNS1_3gpuE9ELNS1_3repE0EEENS1_30default_config_static_selectorELNS0_4arch9wavefront6targetE1EEEvSK_
	.p2align	8
	.type	_ZN7rocprim17ROCPRIM_400000_NS6detail17trampoline_kernelINS0_14default_configENS1_37merge_sort_block_sort_config_selectorIhNS0_10empty_typeEEEZNS1_21merge_sort_block_sortIS3_N6thrust23THRUST_200600_302600_NS6detail15normal_iteratorINS9_10device_ptrIhEEEESE_PS5_SF_14custom_greaterIhEEE10hipError_tT0_T1_T2_T3_mRjT4_P12ihipStream_tbNS1_7vsmem_tEEUlT_E_NS1_11comp_targetILNS1_3genE5ELNS1_11target_archE942ELNS1_3gpuE9ELNS1_3repE0EEENS1_30default_config_static_selectorELNS0_4arch9wavefront6targetE1EEEvSK_,@function
_ZN7rocprim17ROCPRIM_400000_NS6detail17trampoline_kernelINS0_14default_configENS1_37merge_sort_block_sort_config_selectorIhNS0_10empty_typeEEEZNS1_21merge_sort_block_sortIS3_N6thrust23THRUST_200600_302600_NS6detail15normal_iteratorINS9_10device_ptrIhEEEESE_PS5_SF_14custom_greaterIhEEE10hipError_tT0_T1_T2_T3_mRjT4_P12ihipStream_tbNS1_7vsmem_tEEUlT_E_NS1_11comp_targetILNS1_3genE5ELNS1_11target_archE942ELNS1_3gpuE9ELNS1_3repE0EEENS1_30default_config_static_selectorELNS0_4arch9wavefront6targetE1EEEvSK_: ; @_ZN7rocprim17ROCPRIM_400000_NS6detail17trampoline_kernelINS0_14default_configENS1_37merge_sort_block_sort_config_selectorIhNS0_10empty_typeEEEZNS1_21merge_sort_block_sortIS3_N6thrust23THRUST_200600_302600_NS6detail15normal_iteratorINS9_10device_ptrIhEEEESE_PS5_SF_14custom_greaterIhEEE10hipError_tT0_T1_T2_T3_mRjT4_P12ihipStream_tbNS1_7vsmem_tEEUlT_E_NS1_11comp_targetILNS1_3genE5ELNS1_11target_archE942ELNS1_3gpuE9ELNS1_3repE0EEENS1_30default_config_static_selectorELNS0_4arch9wavefront6targetE1EEEvSK_
; %bb.0:
	.section	.rodata,"a",@progbits
	.p2align	6, 0x0
	.amdhsa_kernel _ZN7rocprim17ROCPRIM_400000_NS6detail17trampoline_kernelINS0_14default_configENS1_37merge_sort_block_sort_config_selectorIhNS0_10empty_typeEEEZNS1_21merge_sort_block_sortIS3_N6thrust23THRUST_200600_302600_NS6detail15normal_iteratorINS9_10device_ptrIhEEEESE_PS5_SF_14custom_greaterIhEEE10hipError_tT0_T1_T2_T3_mRjT4_P12ihipStream_tbNS1_7vsmem_tEEUlT_E_NS1_11comp_targetILNS1_3genE5ELNS1_11target_archE942ELNS1_3gpuE9ELNS1_3repE0EEENS1_30default_config_static_selectorELNS0_4arch9wavefront6targetE1EEEvSK_
		.amdhsa_group_segment_fixed_size 0
		.amdhsa_private_segment_fixed_size 0
		.amdhsa_kernarg_size 64
		.amdhsa_user_sgpr_count 6
		.amdhsa_user_sgpr_private_segment_buffer 1
		.amdhsa_user_sgpr_dispatch_ptr 0
		.amdhsa_user_sgpr_queue_ptr 0
		.amdhsa_user_sgpr_kernarg_segment_ptr 1
		.amdhsa_user_sgpr_dispatch_id 0
		.amdhsa_user_sgpr_flat_scratch_init 0
		.amdhsa_user_sgpr_kernarg_preload_length 0
		.amdhsa_user_sgpr_kernarg_preload_offset 0
		.amdhsa_user_sgpr_private_segment_size 0
		.amdhsa_uses_dynamic_stack 0
		.amdhsa_system_sgpr_private_segment_wavefront_offset 0
		.amdhsa_system_sgpr_workgroup_id_x 1
		.amdhsa_system_sgpr_workgroup_id_y 0
		.amdhsa_system_sgpr_workgroup_id_z 0
		.amdhsa_system_sgpr_workgroup_info 0
		.amdhsa_system_vgpr_workitem_id 0
		.amdhsa_next_free_vgpr 1
		.amdhsa_next_free_sgpr 0
		.amdhsa_accum_offset 4
		.amdhsa_reserve_vcc 0
		.amdhsa_reserve_flat_scratch 0
		.amdhsa_float_round_mode_32 0
		.amdhsa_float_round_mode_16_64 0
		.amdhsa_float_denorm_mode_32 3
		.amdhsa_float_denorm_mode_16_64 3
		.amdhsa_dx10_clamp 1
		.amdhsa_ieee_mode 1
		.amdhsa_fp16_overflow 0
		.amdhsa_tg_split 0
		.amdhsa_exception_fp_ieee_invalid_op 0
		.amdhsa_exception_fp_denorm_src 0
		.amdhsa_exception_fp_ieee_div_zero 0
		.amdhsa_exception_fp_ieee_overflow 0
		.amdhsa_exception_fp_ieee_underflow 0
		.amdhsa_exception_fp_ieee_inexact 0
		.amdhsa_exception_int_div_zero 0
	.end_amdhsa_kernel
	.section	.text._ZN7rocprim17ROCPRIM_400000_NS6detail17trampoline_kernelINS0_14default_configENS1_37merge_sort_block_sort_config_selectorIhNS0_10empty_typeEEEZNS1_21merge_sort_block_sortIS3_N6thrust23THRUST_200600_302600_NS6detail15normal_iteratorINS9_10device_ptrIhEEEESE_PS5_SF_14custom_greaterIhEEE10hipError_tT0_T1_T2_T3_mRjT4_P12ihipStream_tbNS1_7vsmem_tEEUlT_E_NS1_11comp_targetILNS1_3genE5ELNS1_11target_archE942ELNS1_3gpuE9ELNS1_3repE0EEENS1_30default_config_static_selectorELNS0_4arch9wavefront6targetE1EEEvSK_,"axG",@progbits,_ZN7rocprim17ROCPRIM_400000_NS6detail17trampoline_kernelINS0_14default_configENS1_37merge_sort_block_sort_config_selectorIhNS0_10empty_typeEEEZNS1_21merge_sort_block_sortIS3_N6thrust23THRUST_200600_302600_NS6detail15normal_iteratorINS9_10device_ptrIhEEEESE_PS5_SF_14custom_greaterIhEEE10hipError_tT0_T1_T2_T3_mRjT4_P12ihipStream_tbNS1_7vsmem_tEEUlT_E_NS1_11comp_targetILNS1_3genE5ELNS1_11target_archE942ELNS1_3gpuE9ELNS1_3repE0EEENS1_30default_config_static_selectorELNS0_4arch9wavefront6targetE1EEEvSK_,comdat
.Lfunc_end2852:
	.size	_ZN7rocprim17ROCPRIM_400000_NS6detail17trampoline_kernelINS0_14default_configENS1_37merge_sort_block_sort_config_selectorIhNS0_10empty_typeEEEZNS1_21merge_sort_block_sortIS3_N6thrust23THRUST_200600_302600_NS6detail15normal_iteratorINS9_10device_ptrIhEEEESE_PS5_SF_14custom_greaterIhEEE10hipError_tT0_T1_T2_T3_mRjT4_P12ihipStream_tbNS1_7vsmem_tEEUlT_E_NS1_11comp_targetILNS1_3genE5ELNS1_11target_archE942ELNS1_3gpuE9ELNS1_3repE0EEENS1_30default_config_static_selectorELNS0_4arch9wavefront6targetE1EEEvSK_, .Lfunc_end2852-_ZN7rocprim17ROCPRIM_400000_NS6detail17trampoline_kernelINS0_14default_configENS1_37merge_sort_block_sort_config_selectorIhNS0_10empty_typeEEEZNS1_21merge_sort_block_sortIS3_N6thrust23THRUST_200600_302600_NS6detail15normal_iteratorINS9_10device_ptrIhEEEESE_PS5_SF_14custom_greaterIhEEE10hipError_tT0_T1_T2_T3_mRjT4_P12ihipStream_tbNS1_7vsmem_tEEUlT_E_NS1_11comp_targetILNS1_3genE5ELNS1_11target_archE942ELNS1_3gpuE9ELNS1_3repE0EEENS1_30default_config_static_selectorELNS0_4arch9wavefront6targetE1EEEvSK_
                                        ; -- End function
	.section	.AMDGPU.csdata,"",@progbits
; Kernel info:
; codeLenInByte = 0
; NumSgprs: 4
; NumVgprs: 0
; NumAgprs: 0
; TotalNumVgprs: 0
; ScratchSize: 0
; MemoryBound: 0
; FloatMode: 240
; IeeeMode: 1
; LDSByteSize: 0 bytes/workgroup (compile time only)
; SGPRBlocks: 0
; VGPRBlocks: 0
; NumSGPRsForWavesPerEU: 4
; NumVGPRsForWavesPerEU: 1
; AccumOffset: 4
; Occupancy: 8
; WaveLimiterHint : 0
; COMPUTE_PGM_RSRC2:SCRATCH_EN: 0
; COMPUTE_PGM_RSRC2:USER_SGPR: 6
; COMPUTE_PGM_RSRC2:TRAP_HANDLER: 0
; COMPUTE_PGM_RSRC2:TGID_X_EN: 1
; COMPUTE_PGM_RSRC2:TGID_Y_EN: 0
; COMPUTE_PGM_RSRC2:TGID_Z_EN: 0
; COMPUTE_PGM_RSRC2:TIDIG_COMP_CNT: 0
; COMPUTE_PGM_RSRC3_GFX90A:ACCUM_OFFSET: 0
; COMPUTE_PGM_RSRC3_GFX90A:TG_SPLIT: 0
	.text
	.p2align	2                               ; -- Begin function _ZN7rocprim17ROCPRIM_400000_NS6detail15block_sort_implIhNS0_10empty_typeELj256ELj32ELNS0_4arch9wavefront6targetE1EvE4sortIN6thrust23THRUST_200600_302600_NS6detail15normal_iteratorINSA_10device_ptrIhEEEESF_PS3_SG_14custom_greaterIhEEEvjbT_T0_T1_T2_T3_RNS7_12storage_typeE
	.type	_ZN7rocprim17ROCPRIM_400000_NS6detail15block_sort_implIhNS0_10empty_typeELj256ELj32ELNS0_4arch9wavefront6targetE1EvE4sortIN6thrust23THRUST_200600_302600_NS6detail15normal_iteratorINSA_10device_ptrIhEEEESF_PS3_SG_14custom_greaterIhEEEvjbT_T0_T1_T2_T3_RNS7_12storage_typeE,@function
_ZN7rocprim17ROCPRIM_400000_NS6detail15block_sort_implIhNS0_10empty_typeELj256ELj32ELNS0_4arch9wavefront6targetE1EvE4sortIN6thrust23THRUST_200600_302600_NS6detail15normal_iteratorINSA_10device_ptrIhEEEESF_PS3_SG_14custom_greaterIhEEEvjbT_T0_T1_T2_T3_RNS7_12storage_typeE: ; @_ZN7rocprim17ROCPRIM_400000_NS6detail15block_sort_implIhNS0_10empty_typeELj256ELj32ELNS0_4arch9wavefront6targetE1EvE4sortIN6thrust23THRUST_200600_302600_NS6detail15normal_iteratorINSA_10device_ptrIhEEEESF_PS3_SG_14custom_greaterIhEEEvjbT_T0_T1_T2_T3_RNS7_12storage_typeE
; %bb.0:
	s_waitcnt vmcnt(0) expcnt(0) lgkmcnt(0)
	s_or_saveexec_b64 s[4:5], -1
	buffer_store_dword v40, off, s[0:3], s32 ; 4-byte Folded Spill
	buffer_store_dword v41, off, s[0:3], s32 offset:4 ; 4-byte Folded Spill
	buffer_store_dword v42, off, s[0:3], s32 offset:8 ; 4-byte Folded Spill
	s_mov_b64 exec, s[4:5]
	v_writelane_b32 v40, s34, 0
	v_writelane_b32 v40, s35, 1
	;; [unrolled: 1-line block ×68, first 2 shown]
	v_and_b32_e32 v1, 1, v1
	v_cmp_eq_u32_e32 vcc, 1, v1
	v_and_b32_e32 v6, 0x3ff, v31
	s_xor_b64 s[4:5], vcc, -1
	s_mov_b64 s[36:37], 0
	v_bfe_u32 v81, v31, 10, 10
	v_bfe_u32 v65, v31, 20, 10
	v_lshrrev_b32_e32 v1, 5, v6
	v_lshlrev_b32_e32 v7, 5, v6
                                        ; implicit-def: $vgpr10
	s_and_saveexec_b64 s[6:7], s[4:5]
	s_xor_b64 s[58:59], exec, s[6:7]
                                        ; implicit-def: $vgpr8_vgpr9
	s_cbranch_execnz .LBB2853_5
; %bb.1:
	s_andn2_saveexec_b64 s[38:39], s[58:59]
	s_cbranch_execnz .LBB2853_61
.LBB2853_2:
	s_or_b64 exec, exec, s[38:39]
	s_and_saveexec_b64 s[4:5], s[36:37]
	s_cbranch_execz .LBB2853_4
.LBB2853_3:
	v_add_co_u32_e32 v0, vcc, v4, v6
	v_addc_co_u32_e32 v1, vcc, v5, v9, vcc
	v_add_co_u32_e32 v0, vcc, 0x1000, v0
	v_addc_co_u32_e32 v1, vcc, 0, v1, vcc
	s_waitcnt lgkmcnt(0)
	flat_store_byte v[0:1], v10 offset:3840
.LBB2853_4:
	s_or_b64 exec, exec, s[4:5]
	v_readlane_b32 s30, v41, 2
	v_readlane_b32 s31, v41, 3
	;; [unrolled: 1-line block ×68, first 2 shown]
	s_or_saveexec_b64 s[4:5], -1
	buffer_load_dword v40, off, s[0:3], s32 ; 4-byte Folded Reload
	buffer_load_dword v41, off, s[0:3], s32 offset:4 ; 4-byte Folded Reload
	buffer_load_dword v42, off, s[0:3], s32 offset:8 ; 4-byte Folded Reload
	s_mov_b64 exec, s[4:5]
	s_waitcnt vmcnt(0) lgkmcnt(0)
	s_setpc_b64 s[30:31]
.LBB2853_5:
	v_add_co_u32_e32 v2, vcc, v2, v6
	v_addc_co_u32_e32 v3, vcc, 0, v3, vcc
	flat_load_ubyte v9, v[2:3]
	flat_load_ubyte v10, v[2:3] offset:256
	flat_load_ubyte v11, v[2:3] offset:512
	;; [unrolled: 1-line block ×15, first 2 shown]
	s_movk_i32 s4, 0x1000
	v_add_co_u32_e32 v0, vcc, s4, v2
	v_and_b32_e32 v8, 28, v1
	v_addc_co_u32_e32 v1, vcc, 0, v3, vcc
	flat_load_ubyte v33, v[0:1]
	flat_load_ubyte v34, v[0:1] offset:256
	flat_load_ubyte v35, v[0:1] offset:512
	;; [unrolled: 1-line block ×14, first 2 shown]
	s_nop 0
	flat_load_ubyte v0, v[0:1] offset:3840
	v_add_u32_e32 v14, 0x100, v6
	v_add_u32_e32 v15, 0x200, v6
	;; [unrolled: 1-line block ×3, first 2 shown]
	v_lshrrev_b32_e32 v2, 5, v14
	v_lshrrev_b32_e32 v3, 5, v15
	;; [unrolled: 1-line block ×3, first 2 shown]
	v_and_b32_e32 v1, 60, v2
	v_or_b32_e32 v17, 0x400, v6
	v_add_u32_e32 v18, 0x500, v6
	v_add_u32_e32 v19, 0x600, v6
	;; [unrolled: 1-line block ×3, first 2 shown]
	v_and_b32_e32 v2, 60, v3
	v_and_b32_e32 v3, 60, v14
	v_add_u32_e32 v14, v1, v6
	v_add_u32_e32 v1, 0x900, v6
	v_or_b32_e32 v29, 0x800, v6
	v_lshrrev_b32_e32 v15, 5, v17
	v_lshrrev_b32_e32 v16, 5, v18
	;; [unrolled: 1-line block ×5, first 2 shown]
	v_add_u32_e32 v8, v8, v6
	v_lshrrev_b32_e32 v19, 5, v29
	v_and_b32_e32 v20, 60, v15
	v_and_b32_e32 v29, 0x7c, v16
	;; [unrolled: 1-line block ×6, first 2 shown]
	v_add_u32_e32 v15, v2, v6
	v_add_u32_e32 v16, v3, v6
	;; [unrolled: 1-line block ×6, first 2 shown]
	s_waitcnt vmcnt(0) lgkmcnt(0)
	ds_write_b8 v8, v9
	ds_write_b8 v14, v10 offset:256
	ds_write_b8 v15, v11 offset:512
	;; [unrolled: 1-line block ×7, first 2 shown]
	v_add_u32_e32 v22, v1, v6
	v_add_u32_e32 v1, 0xa00, v6
	v_lshrrev_b32_e32 v1, 5, v1
	v_and_b32_e32 v1, 0x7c, v1
	v_add_u32_e32 v23, v1, v6
	v_add_u32_e32 v1, 0xb00, v6
	v_lshrrev_b32_e32 v1, 5, v1
	v_add_u32_e32 v21, v67, v6
	v_and_b32_e32 v1, 0x7c, v1
	ds_write_b8 v21, v24 offset:2048
	v_add_u32_e32 v24, v1, v6
	v_or_b32_e32 v1, 0xc00, v6
	v_lshrrev_b32_e32 v1, 5, v1
	v_and_b32_e32 v1, 0x7c, v1
	ds_write_b8 v22, v25 offset:2304
	v_add_u32_e32 v25, v1, v6
	v_add_u32_e32 v1, 0xd00, v6
	v_lshrrev_b32_e32 v1, 5, v1
	v_and_b32_e32 v1, 0xfc, v1
	ds_write_b8 v23, v26 offset:2560
	v_add_u32_e32 v26, v1, v6
	v_add_u32_e32 v1, 0xe00, v6
	;; [unrolled: 5-line block ×3, first 2 shown]
	v_lshrrev_b32_e32 v1, 5, v1
	v_and_b32_e32 v1, 0xfc, v1
	ds_write_b8 v25, v28 offset:3072
	v_add_u32_e32 v28, v1, v6
	v_or_b32_e32 v1, 0x1000, v6
	v_lshrrev_b32_e32 v1, 5, v1
	v_and_b32_e32 v1, 0x9c, v1
	v_add_u32_e32 v29, v1, v6
	v_add_u32_e32 v1, 0x1100, v6
	v_lshrrev_b32_e32 v1, 5, v1
	v_and_b32_e32 v1, 0xbc, v1
	ds_write_b8 v26, v30 offset:3328
	v_add_u32_e32 v30, v1, v6
	v_add_u32_e32 v1, 0x1200, v6
	v_lshrrev_b32_e32 v1, 5, v1
	v_and_b32_e32 v1, 0xbc, v1
	ds_write_b8 v27, v31 offset:3584
	v_add_u32_e32 v31, v1, v6
	v_add_u32_e32 v1, 0x1300, v6
	v_lshrrev_b32_e32 v1, 5, v1
	v_and_b32_e32 v1, 0xbc, v1
	ds_write_b8 v28, v32 offset:3840
	v_add_u32_e32 v32, v1, v6
	v_or_b32_e32 v1, 0x1400, v6
	v_lshrrev_b32_e32 v1, 5, v1
	v_and_b32_e32 v1, 0xbc, v1
	ds_write_b8 v29, v33 offset:4096
	v_add_u32_e32 v33, v1, v6
	v_add_u32_e32 v1, 0x1500, v6
	v_lshrrev_b32_e32 v1, 5, v1
	v_and_b32_e32 v1, 0xfc, v1
	ds_write_b8 v30, v34 offset:4352
	v_add_u32_e32 v34, v1, v6
	v_add_u32_e32 v1, 0x1600, v6
	v_lshrrev_b32_e32 v1, 5, v1
	v_and_b32_e32 v1, 0xfc, v1
	ds_write_b8 v31, v35 offset:4608
	v_add_u32_e32 v35, v1, v6
	v_add_u32_e32 v1, 0x1700, v6
	v_lshrrev_b32_e32 v1, 5, v1
	v_and_b32_e32 v1, 0xfc, v1
	ds_write_b8 v32, v36 offset:4864
	v_add_u32_e32 v36, v1, v6
	v_or_b32_e32 v1, 0x1800, v6
	v_lshrrev_b32_e32 v1, 5, v1
	v_and_b32_e32 v1, 0xdc, v1
	ds_write_b8 v33, v37 offset:5120
	v_add_u32_e32 v37, v1, v6
	v_add_u32_e32 v1, 0x1900, v6
	v_lshrrev_b32_e32 v1, 5, v1
	v_and_b32_e32 v1, 0xfc, v1
	ds_write_b8 v34, v38 offset:5376
	v_add_u32_e32 v38, v1, v6
	v_add_u32_e32 v1, 0x1a00, v6
	v_lshrrev_b32_e32 v1, 5, v1
	v_and_b32_e32 v1, 0xfc, v1
	ds_write_b8 v35, v39 offset:5632
	v_add_u32_e32 v39, v1, v6
	v_add_u32_e32 v1, 0x1b00, v6
	v_lshrrev_b32_e32 v1, 5, v1
	v_and_b32_e32 v1, 0xfc, v1
	ds_write_b8 v36, v48 offset:5888
	v_add_u32_e32 v48, v1, v6
	v_or_b32_e32 v1, 0x1c00, v6
	v_lshrrev_b32_e32 v1, 5, v1
	v_and_b32_e32 v1, 0xfc, v1
	ds_write_b8 v37, v49 offset:6144
	v_add_u32_e32 v49, v1, v6
	v_add_u32_e32 v1, 0x1d00, v6
	v_lshrrev_b32_e32 v1, 5, v1
	v_and_b32_e32 v1, 0x1fc, v1
	ds_write_b8 v38, v50 offset:6400
	v_add_u32_e32 v50, v1, v6
	v_add_u32_e32 v1, 0x1e00, v6
	v_lshrrev_b32_e32 v1, 5, v1
	v_and_b32_e32 v1, 0x1fc, v1
	ds_write_b8 v39, v51 offset:6656
	;; [unrolled: 5-line block ×3, first 2 shown]
	v_add_u32_e32 v52, v1, v6
	ds_write_b8 v50, v54 offset:7424
	ds_write_b8 v51, v55 offset:7680
	;; [unrolled: 1-line block ×3, first 2 shown]
	v_and_b32_e32 v0, 0x3fc, v6
	ds_write_b8 v49, v53 offset:7168
	v_add_u32_e32 v53, v0, v7
	s_waitcnt lgkmcnt(0)
	s_barrier
	ds_read2_b32 v[0:1], v53 offset1:1
	ds_read2_b32 v[2:3], v53 offset0:2 offset1:3
	ds_read2_b32 v[10:11], v53 offset0:4 offset1:5
	;; [unrolled: 1-line block ×3, first 2 shown]
	s_waitcnt lgkmcnt(0)
	s_barrier
	s_load_dwordx2 s[4:5], s[8:9], 0x0
	v_mov_b32_e32 v9, 0
	v_lshrrev_b32_e32 v54, 8, v0
	v_lshrrev_b32_e32 v55, 16, v0
	;; [unrolled: 1-line block ×3, first 2 shown]
	s_waitcnt lgkmcnt(0)
	s_cmp_lt_u32 s12, s4
	s_cselect_b32 s6, 12, 18
	s_cmp_lt_u32 s13, s5
	s_cselect_b32 s4, 14, 20
	s_add_u32 s4, s8, s4
	s_addc_u32 s5, s9, 0
	s_add_u32 s6, s8, s6
	s_addc_u32 s7, s9, 0
	global_load_ushort v82, v9, s[4:5]
	global_load_ushort v84, v9, s[6:7]
	s_movk_i32 s6, 0x2000
	v_lshrrev_b32_e32 v66, 8, v1
	v_lshrrev_b32_e32 v67, 16, v1
	;; [unrolled: 1-line block ×21, first 2 shown]
	s_waitcnt vmcnt(1)
	v_mad_u32_u24 v65, v65, v82, v81
	s_waitcnt vmcnt(0)
	v_mul_lo_u32 v65, v65, v84
	v_add_lshl_u32 v65, v65, v6, 5
	v_cmp_gt_u32_e32 vcc, s6, v65
	s_and_saveexec_b64 s[4:5], vcc
	s_cbranch_execz .LBB2853_7
; %bb.6:
	v_max_u16_sdwa v81, v0, v54 dst_sel:DWORD dst_unused:UNUSED_PAD src0_sel:BYTE_0 src1_sel:BYTE_0
	v_min_u16_sdwa v0, v0, v54 dst_sel:DWORD dst_unused:UNUSED_PAD src0_sel:BYTE_0 src1_sel:BYTE_0
	v_max_u16_sdwa v54, v55, v64 dst_sel:DWORD dst_unused:UNUSED_PAD src0_sel:BYTE_0 src1_sel:DWORD
	v_min_u16_sdwa v55, v55, v64 dst_sel:DWORD dst_unused:UNUSED_PAD src0_sel:BYTE_0 src1_sel:DWORD
	v_max_u16_sdwa v64, v1, v66 dst_sel:DWORD dst_unused:UNUSED_PAD src0_sel:BYTE_0 src1_sel:BYTE_0
	v_min_u16_sdwa v1, v1, v66 dst_sel:DWORD dst_unused:UNUSED_PAD src0_sel:BYTE_0 src1_sel:BYTE_0
	v_max_u16_sdwa v66, v67, v68 dst_sel:DWORD dst_unused:UNUSED_PAD src0_sel:BYTE_0 src1_sel:DWORD
	v_min_u16_sdwa v67, v67, v68 dst_sel:DWORD dst_unused:UNUSED_PAD src0_sel:BYTE_0 src1_sel:DWORD
	;; [unrolled: 4-line block ×4, first 2 shown]
	v_max_u16_sdwa v83, v10, v86 dst_sel:DWORD dst_unused:UNUSED_PAD src0_sel:BYTE_0 src1_sel:BYTE_0
	v_min_u16_sdwa v10, v10, v86 dst_sel:DWORD dst_unused:UNUSED_PAD src0_sel:BYTE_0 src1_sel:BYTE_0
	v_min_u16_sdwa v85, v87, v96 dst_sel:DWORD dst_unused:UNUSED_PAD src0_sel:BYTE_0 src1_sel:DWORD
	v_max_u16_sdwa v84, v87, v96 dst_sel:DWORD dst_unused:UNUSED_PAD src0_sel:BYTE_0 src1_sel:DWORD
	v_max_u16_sdwa v86, v11, v97 dst_sel:DWORD dst_unused:UNUSED_PAD src0_sel:BYTE_0 src1_sel:BYTE_0
	v_min_u16_sdwa v11, v11, v97 dst_sel:DWORD dst_unused:UNUSED_PAD src0_sel:BYTE_0 src1_sel:BYTE_0
	v_max_u16_sdwa v87, v98, v99 dst_sel:DWORD dst_unused:UNUSED_PAD src0_sel:BYTE_0 src1_sel:DWORD
	v_min_u16_sdwa v96, v98, v99 dst_sel:DWORD dst_unused:UNUSED_PAD src0_sel:BYTE_0 src1_sel:DWORD
	v_max_u16_sdwa v97, v12, v100 dst_sel:DWORD dst_unused:UNUSED_PAD src0_sel:BYTE_0 src1_sel:BYTE_0
	v_min_u16_sdwa v12, v12, v100 dst_sel:DWORD dst_unused:UNUSED_PAD src0_sel:BYTE_0 src1_sel:BYTE_0
	v_min_u16_sdwa v98, v101, v102 dst_sel:DWORD dst_unused:UNUSED_PAD src0_sel:BYTE_0 src1_sel:DWORD
	v_max_u16_sdwa v99, v101, v102 dst_sel:DWORD dst_unused:UNUSED_PAD src0_sel:BYTE_0 src1_sel:DWORD
	v_min_u16_sdwa v100, v13, v103 dst_sel:DWORD dst_unused:UNUSED_PAD src0_sel:BYTE_0 src1_sel:BYTE_0
	v_max_u16_sdwa v13, v13, v103 dst_sel:DWORD dst_unused:UNUSED_PAD src0_sel:BYTE_0 src1_sel:BYTE_0
	v_min_u16_sdwa v101, v112, v113 dst_sel:DWORD dst_unused:UNUSED_PAD src0_sel:BYTE_0 src1_sel:DWORD
	v_max_u16_sdwa v102, v112, v113 dst_sel:DWORD dst_unused:UNUSED_PAD src0_sel:BYTE_0 src1_sel:DWORD
	v_max_u16_e32 v103, v81, v55
	v_min_u16_e32 v81, v81, v55
	v_max_u16_e32 v112, v54, v1
	v_min_u16_e32 v1, v54, v1
	;; [unrolled: 2-line block ×9, first 2 shown]
	v_cmp_lt_u16_e32 vcc, v55, v0
	v_max_u16_e32 v85, v84, v11
	v_min_u16_e32 v11, v84, v11
	v_max_u16_e32 v84, v86, v96
	v_min_u16_e32 v86, v86, v96
	;; [unrolled: 2-line block ×3, first 2 shown]
	v_min_u16_e32 v87, v97, v98
	v_max_u16_e32 v97, v97, v98
	v_min_u16_e32 v98, v99, v100
	v_max_u16_e32 v99, v99, v100
	;; [unrolled: 2-line block ×3, first 2 shown]
	v_cndmask_b32_e32 v55, v81, v0, vcc
	v_cndmask_b32_e32 v0, v0, v81, vcc
	v_max_u16_e32 v81, v103, v1
	v_min_u16_e32 v1, v103, v1
	v_max_u16_e32 v103, v112, v64
	v_min_u16_e32 v64, v112, v64
	;; [unrolled: 2-line block ×8, first 2 shown]
	v_cmp_gt_u16_e32 vcc, v13, v102
	v_max_u16_e32 v83, v80, v11
	v_min_u16_e32 v11, v80, v11
	v_max_u16_e32 v80, v85, v86
	v_min_u16_e32 v85, v85, v86
	;; [unrolled: 2-line block ×4, first 2 shown]
	v_min_u16_e32 v96, v97, v98
	v_max_u16_e32 v97, v97, v98
	v_min_u16_e32 v98, v99, v100
	v_max_u16_e32 v99, v99, v100
	v_cndmask_b32_e32 v13, v101, v102, vcc
	v_cndmask_b32_e32 v100, v102, v101, vcc
	v_max_u16_e32 v101, v55, v1
	v_min_u16_e32 v1, v55, v1
	v_max_u16_e32 v55, v81, v64
	v_min_u16_e32 v64, v81, v64
	;; [unrolled: 2-line block ×12, first 2 shown]
	v_min_u16_e32 v87, v84, v96
	v_max_u16_e32 v84, v84, v96
	v_min_u16_e32 v96, v97, v98
	v_max_u16_e32 v97, v97, v98
	v_min_u16_e32 v98, v99, v13
	v_max_u16_e32 v13, v99, v13
	v_max_u16_e32 v99, v0, v1
	v_max_u16_e32 v113, v101, v64
	v_min_u16_e32 v64, v101, v64
	v_max_u16_e32 v101, v55, v2
	v_min_u16_e32 v2, v55, v2
	;; [unrolled: 2-line block ×7, first 2 shown]
	v_min_u16_e32 v112, v0, v1
	v_max_u16_e32 v71, v66, v11
	v_min_u16_e32 v11, v66, v11
	v_max_u16_e32 v66, v82, v83
	v_min_u16_e32 v82, v82, v83
	v_max_u16_e32 v83, v69, v12
	v_min_u16_e32 v12, v69, v12
	v_max_u16_e32 v69, v85, v86
	v_min_u16_e32 v85, v85, v86
	v_max_u16_e32 v86, v80, v87
	v_min_u16_e32 v80, v80, v87
	v_min_u16_e32 v87, v84, v96
	v_max_u16_e32 v84, v84, v96
	v_min_u16_e32 v96, v97, v98
	v_max_u16_e32 v97, v97, v98
	;; [unrolled: 2-line block ×10, first 2 shown]
	v_max_u16_e32 v103, v54, v11
	v_min_u16_e32 v11, v54, v11
	v_max_u16_e32 v54, v71, v82
	v_min_u16_e32 v71, v71, v82
	;; [unrolled: 2-line block ×5, first 2 shown]
	v_min_u16_e32 v80, v86, v87
	v_max_u16_e32 v86, v86, v87
	v_min_u16_e32 v87, v84, v96
	v_max_u16_e32 v84, v84, v96
	;; [unrolled: 2-line block ×3, first 2 shown]
	v_med3_u16 v0, v0, v1, v64
	v_min_u16_e32 v1, v112, v99
	v_max_u16_e32 v64, v115, v2
	v_min_u16_e32 v2, v115, v2
	v_max_u16_e32 v99, v116, v67
	;; [unrolled: 2-line block ×12, first 2 shown]
	v_min_u16_e32 v80, v85, v80
	v_min_u16_e32 v85, v86, v87
	v_max_u16_e32 v86, v86, v87
	v_min_u16_e32 v87, v84, v96
	v_max_u16_e32 v84, v84, v96
	v_med3_u16 v13, v13, v100, v97
	v_max_u16_e32 v96, v98, v114
	v_max_u16_e32 v97, v0, v2
	v_min_u16_e32 v0, v0, v2
	v_max_u16_e32 v98, v64, v67
	v_min_u16_e32 v64, v64, v67
	;; [unrolled: 2-line block ×6, first 2 shown]
	v_cmp_lt_u16_e32 vcc, v2, v1
	v_max_u16_e32 v101, v55, v11
	v_min_u16_e32 v11, v55, v11
	v_max_u16_e32 v55, v81, v71
	v_min_u16_e32 v71, v81, v71
	;; [unrolled: 2-line block ×6, first 2 shown]
	v_min_u16_e32 v83, v69, v85
	v_max_u16_e32 v69, v69, v85
	v_min_u16_e32 v85, v86, v87
	v_max_u16_e32 v86, v86, v87
	;; [unrolled: 2-line block ×3, first 2 shown]
	v_cndmask_b32_e32 v2, v0, v1, vcc
	v_cndmask_b32_e32 v0, v1, v0, vcc
	v_max_u16_e32 v1, v97, v64
	v_min_u16_e32 v64, v97, v64
	v_max_u16_e32 v97, v98, v3
	v_min_u16_e32 v3, v98, v3
	;; [unrolled: 2-line block ×5, first 2 shown]
	v_cmp_gt_u16_e32 vcc, v84, v96
	v_max_u16_e32 v100, v112, v11
	v_min_u16_e32 v11, v112, v11
	v_max_u16_e32 v112, v101, v71
	v_min_u16_e32 v71, v101, v71
	;; [unrolled: 2-line block ×7, first 2 shown]
	v_min_u16_e32 v83, v69, v85
	v_max_u16_e32 v69, v69, v85
	v_min_u16_e32 v85, v86, v87
	v_max_u16_e32 v86, v86, v87
	v_cndmask_b32_e32 v84, v13, v96, vcc
	v_cndmask_b32_e32 v13, v96, v13, vcc
	v_max_u16_e32 v87, v2, v64
	v_min_u16_e32 v2, v2, v64
	v_max_u16_e32 v64, v1, v3
	v_min_u16_e32 v1, v1, v3
	v_max_u16_e32 v3, v97, v67
	v_min_u16_e32 v67, v97, v67
	v_max_u16_e32 v96, v98, v10
	v_min_u16_e32 v10, v98, v10
	v_max_u16_e32 v97, v68, v70
	v_min_u16_e32 v68, v68, v70
	v_max_u16_e32 v70, v99, v11
	v_min_u16_e32 v11, v99, v11
	v_max_u16_e32 v98, v100, v71
	v_min_u16_e32 v71, v100, v71
	v_max_u16_e32 v99, v112, v12
	v_min_u16_e32 v12, v112, v12
	v_max_u16_e32 v100, v101, v81
	v_min_u16_e32 v81, v101, v81
	v_max_u16_e32 v101, v55, v54
	v_min_u16_e32 v54, v55, v54
	v_max_u16_e32 v55, v82, v80
	v_min_u16_e32 v80, v82, v80
	v_max_u16_e32 v82, v102, v66
	v_min_u16_e32 v66, v102, v66
	v_min_u16_e32 v102, v103, v83
	v_max_u16_e32 v83, v103, v83
	v_min_u16_e32 v103, v69, v85
	v_max_u16_e32 v69, v69, v85
	;; [unrolled: 2-line block ×3, first 2 shown]
	v_max_u16_e32 v86, v0, v2
	v_min_u16_e32 v0, v0, v2
	v_max_u16_e32 v2, v87, v1
	v_min_u16_e32 v1, v87, v1
	;; [unrolled: 2-line block ×13, first 2 shown]
	v_min_u16_e32 v102, v83, v103
	v_max_u16_e32 v83, v83, v103
	v_min_u16_e32 v103, v69, v85
	v_max_u16_e32 v69, v69, v85
	;; [unrolled: 2-line block ×3, first 2 shown]
	v_max_u16_e32 v84, v86, v1
	v_min_u16_e32 v86, v86, v1
	v_max_u16_e32 v112, v2, v64
	v_min_u16_e32 v2, v2, v64
	;; [unrolled: 2-line block ×4, first 2 shown]
	v_cmp_lt_u16_e32 vcc, v1, v0
	v_max_u16_e32 v68, v10, v11
	v_min_u16_e32 v10, v10, v11
	v_max_u16_e32 v11, v96, v70
	v_min_u16_e32 v70, v96, v70
	;; [unrolled: 2-line block ×8, first 2 shown]
	v_min_u16_e32 v101, v66, v102
	v_max_u16_e32 v66, v66, v102
	v_min_u16_e32 v102, v83, v103
	v_max_u16_e32 v83, v83, v103
	;; [unrolled: 2-line block ×3, first 2 shown]
	v_cndmask_b32_e32 v1, v86, v0, vcc
	v_cndmask_b32_e32 v0, v0, v86, vcc
	v_max_u16_e32 v86, v84, v2
	v_min_u16_e32 v2, v84, v2
	v_max_u16_e32 v84, v112, v3
	v_min_u16_e32 v3, v112, v3
	;; [unrolled: 2-line block ×3, first 2 shown]
	v_cmp_gt_u16_e32 vcc, v69, v13
	v_max_u16_e32 v67, v87, v10
	v_min_u16_e32 v10, v87, v10
	v_max_u16_e32 v87, v68, v70
	v_min_u16_e32 v68, v68, v70
	;; [unrolled: 2-line block ×9, first 2 shown]
	v_min_u16_e32 v101, v66, v102
	v_max_u16_e32 v66, v66, v102
	v_min_u16_e32 v102, v83, v103
	v_max_u16_e32 v83, v83, v103
	v_cndmask_b32_e32 v69, v85, v13, vcc
	v_cndmask_b32_e32 v13, v13, v85, vcc
	v_max_u16_e32 v85, v1, v2
	v_min_u16_e32 v1, v1, v2
	v_max_u16_e32 v2, v86, v3
	v_min_u16_e32 v3, v86, v3
	;; [unrolled: 2-line block ×12, first 2 shown]
	v_min_u16_e32 v100, v99, v101
	v_max_u16_e32 v99, v99, v101
	v_min_u16_e32 v101, v66, v102
	v_max_u16_e32 v66, v66, v102
	v_min_u16_e32 v102, v83, v69
	v_max_u16_e32 v69, v83, v69
	v_max_u16_e32 v83, v0, v1
	v_min_u16_e32 v0, v0, v1
	v_max_u16_e32 v1, v85, v3
	v_min_u16_e32 v3, v85, v3
	;; [unrolled: 2-line block ×13, first 2 shown]
	v_min_u16_e32 v100, v99, v101
	v_max_u16_e32 v99, v99, v101
	v_min_u16_e32 v101, v66, v102
	v_max_u16_e32 v66, v66, v102
	;; [unrolled: 2-line block ×3, first 2 shown]
	v_max_u16_e32 v69, v83, v3
	v_min_u16_e32 v83, v83, v3
	v_max_u16_e32 v112, v1, v2
	v_min_u16_e32 v1, v1, v2
	v_cmp_lt_u16_e32 vcc, v3, v0
	v_max_u16_e32 v2, v85, v10
	v_min_u16_e32 v10, v85, v10
	v_max_u16_e32 v85, v64, v67
	v_min_u16_e32 v64, v64, v67
	;; [unrolled: 2-line block ×10, first 2 shown]
	v_min_u16_e32 v96, v98, v100
	v_max_u16_e32 v98, v98, v100
	v_min_u16_e32 v100, v99, v101
	v_max_u16_e32 v99, v99, v101
	;; [unrolled: 2-line block ×3, first 2 shown]
	v_cndmask_b32_e32 v3, v83, v0, vcc
	v_cndmask_b32_e32 v0, v0, v83, vcc
	v_max_u16_e32 v83, v69, v1
	v_min_u16_e32 v1, v69, v1
	v_cmp_gt_u16_e32 vcc, v66, v13
	v_max_u16_e32 v69, v112, v10
	v_min_u16_e32 v10, v112, v10
	v_max_u16_e32 v112, v2, v64
	v_min_u16_e32 v2, v2, v64
	;; [unrolled: 2-line block ×11, first 2 shown]
	v_min_u16_e32 v97, v98, v100
	v_max_u16_e32 v98, v98, v100
	v_min_u16_e32 v100, v99, v101
	v_max_u16_e32 v99, v99, v101
	v_cndmask_b32_e32 v66, v102, v13, vcc
	v_max_u16_e32 v101, v3, v1
	v_min_u16_e32 v1, v3, v1
	v_cndmask_b32_e32 v13, v13, v102, vcc
	v_max_u16_e32 v3, v83, v10
	v_min_u16_e32 v10, v83, v10
	v_max_u16_e32 v102, v64, v67
	v_min_u16_e32 v64, v64, v67
	;; [unrolled: 2-line block ×9, first 2 shown]
	v_min_u16_e32 v96, v82, v97
	v_max_u16_e32 v82, v82, v97
	v_min_u16_e32 v97, v98, v100
	v_max_u16_e32 v98, v98, v100
	v_min_u16_e32 v100, v99, v66
	v_max_u16_e32 v66, v99, v66
	v_cmp_gt_u16_e32 vcc, v0, v1
	v_max_u16_e32 v83, v69, v2
	v_min_u16_e32 v2, v69, v2
	v_max_u16_e32 v69, v112, v11
	v_min_u16_e32 v11, v112, v11
	v_cndmask_b32_e32 v99, v1, v0, vcc
	v_min_u16_e32 v112, v0, v1
	v_max_u16_e32 v0, v0, v1
	v_max_u16_e32 v1, v101, v10
	v_min_u16_e32 v10, v101, v10
	v_cmp_gt_u16_e32 vcc, v66, v13
	v_max_u16_e32 v101, v3, v2
	v_min_u16_e32 v2, v3, v2
	v_max_u16_e32 v3, v83, v11
	v_min_u16_e32 v11, v83, v11
	;; [unrolled: 2-line block ×11, first 2 shown]
	v_min_u16_e32 v96, v82, v97
	v_max_u16_e32 v82, v82, v97
	v_min_u16_e32 v97, v98, v100
	v_max_u16_e32 v98, v98, v100
	v_cndmask_b32_e32 v100, v66, v13, vcc
	v_max_u16_e32 v113, v66, v13
	v_min_u16_e32 v13, v66, v13
	v_cmp_gt_u16_e32 vcc, v0, v10
	v_cndmask_b32_e32 v99, v99, v10, vcc
	v_cmp_gt_u16_e32 vcc, v98, v13
	v_max_u16_e32 v66, v0, v10
	v_max_u16_e32 v114, v1, v2
	v_min_u16_e32 v1, v1, v2
	v_max_u16_e32 v2, v101, v11
	v_min_u16_e32 v11, v101, v11
	;; [unrolled: 2-line block ×3, first 2 shown]
	v_cndmask_b32_e32 v100, v100, v98, vcc
	v_cmp_lt_u16_e32 vcc, v10, v112
	v_max_u16_e32 v64, v83, v12
	v_min_u16_e32 v12, v83, v12
	v_max_u16_e32 v83, v69, v67
	v_min_u16_e32 v67, v69, v67
	;; [unrolled: 2-line block ×8, first 2 shown]
	v_min_u16_e32 v84, v103, v96
	v_max_u16_e32 v96, v103, v96
	v_min_u16_e32 v103, v82, v97
	v_max_u16_e32 v82, v82, v97
	v_min_u16_e32 v97, v98, v13
	v_cndmask_b32_e32 v99, v99, v112, vcc
	v_min3_u16 v0, v112, v0, v10
	v_max_u16_e32 v10, v66, v1
	v_min_u16_e32 v1, v66, v1
	v_max_u16_e32 v66, v114, v11
	v_min_u16_e32 v11, v114, v11
	;; [unrolled: 2-line block ×3, first 2 shown]
	v_cmp_gt_u16_e32 vcc, v98, v113
	v_max_u16_e32 v3, v101, v12
	v_min_u16_e32 v12, v101, v12
	v_max_u16_e32 v101, v64, v67
	v_min_u16_e32 v64, v64, v67
	;; [unrolled: 2-line block ×9, first 2 shown]
	v_min_u16_e32 v87, v96, v103
	v_max_u16_e32 v96, v96, v103
	v_min_u16_e32 v103, v82, v97
	v_max_u16_e32 v82, v82, v97
	v_cndmask_b32_e32 v97, v100, v113, vcc
	v_max3_u16 v13, v98, v13, v113
	v_max_u16_e32 v98, v99, v1
	v_min_u16_e32 v1, v99, v1
	v_max_u16_e32 v99, v10, v11
	v_min_u16_e32 v10, v10, v11
	;; [unrolled: 2-line block ×12, first 2 shown]
	v_min_u16_e32 v86, v81, v87
	v_max_u16_e32 v81, v81, v87
	v_min_u16_e32 v87, v96, v103
	v_max_u16_e32 v96, v96, v103
	v_min_u16_e32 v103, v82, v97
	v_max_u16_e32 v82, v82, v97
	v_max_u16_e32 v97, v0, v1
	v_min_u16_e32 v112, v0, v1
	v_max_u16_e32 v113, v98, v10
	v_min_u16_e32 v10, v98, v10
	v_max_u16_e32 v98, v99, v2
	v_min_u16_e32 v2, v99, v2
	v_max_u16_e32 v99, v11, v12
	v_min_u16_e32 v11, v11, v12
	v_max_u16_e32 v12, v66, v3
	v_min_u16_e32 v3, v66, v3
	v_max_u16_e32 v66, v100, v54
	v_min_u16_e32 v54, v100, v54
	v_max_u16_e32 v100, v64, v67
	v_min_u16_e32 v64, v64, v67
	v_max_u16_e32 v67, v101, v55
	v_min_u16_e32 v55, v101, v55
	v_max_u16_e32 v101, v68, v69
	v_min_u16_e32 v68, v68, v69
	v_max_u16_e32 v69, v83, v85
	v_min_u16_e32 v83, v83, v85
	v_max_u16_e32 v85, v70, v71
	v_min_u16_e32 v70, v70, v71
	v_max_u16_e32 v71, v102, v84
	v_min_u16_e32 v84, v102, v84
	v_max_u16_e32 v102, v80, v86
	v_min_u16_e32 v80, v80, v86
	v_min_u16_e32 v86, v81, v87
	v_max_u16_e32 v81, v81, v87
	v_min_u16_e32 v87, v96, v103
	v_max_u16_e32 v96, v96, v103
	;; [unrolled: 2-line block ×3, first 2 shown]
	v_max_u16_e32 v115, v97, v10
	v_min_u16_e32 v97, v97, v10
	v_max_u16_e32 v116, v113, v2
	v_min_u16_e32 v2, v113, v2
	v_cmp_lt_u16_e32 vcc, v10, v112
	v_max_u16_e32 v113, v98, v11
	v_min_u16_e32 v11, v98, v11
	v_max_u16_e32 v98, v99, v3
	v_min_u16_e32 v3, v99, v3
	;; [unrolled: 2-line block ×10, first 2 shown]
	v_min_u16_e32 v80, v102, v86
	v_max_u16_e32 v86, v102, v86
	v_min_u16_e32 v102, v81, v87
	v_max_u16_e32 v81, v81, v87
	;; [unrolled: 2-line block ×3, first 2 shown]
	v_cndmask_b32_e32 v117, v97, v112, vcc
	v_med3_u16 v0, v0, v1, v10
	v_max_u16_e32 v1, v115, v2
	v_min_u16_e32 v2, v115, v2
	v_cmp_gt_u16_e32 vcc, v96, v114
	v_min_u16_e32 v97, v112, v97
	v_max_u16_e32 v112, v113, v3
	v_min_u16_e32 v3, v113, v3
	v_max_u16_e32 v113, v98, v12
	;; [unrolled: 2-line block ×10, first 2 shown]
	v_min_u16_e32 v80, v85, v80
	v_min_u16_e32 v85, v86, v102
	v_max_u16_e32 v86, v86, v102
	v_min_u16_e32 v102, v81, v87
	v_max_u16_e32 v81, v81, v87
	v_cndmask_b32_e32 v87, v103, v114, vcc
	v_med3_u16 v13, v82, v13, v96
	v_cmp_gt_u16_e32 vcc, v0, v2
	v_max_u16_e32 v10, v116, v11
	v_min_u16_e32 v11, v116, v11
	v_cndmask_b32_e32 v96, v117, v2, vcc
	v_cmp_gt_u16_e32 vcc, v81, v13
	v_max_u16_e32 v103, v103, v114
	v_max_u16_e32 v82, v0, v2
	v_min_u16_e32 v0, v0, v2
	v_max_u16_e32 v114, v1, v11
	v_min_u16_e32 v1, v1, v11
	v_cndmask_b32_e32 v87, v87, v81, vcc
	v_cmp_lt_u16_e32 vcc, v2, v97
	v_max_u16_e32 v11, v10, v3
	v_min_u16_e32 v3, v10, v3
	v_max_u16_e32 v10, v112, v12
	v_min_u16_e32 v12, v112, v12
	;; [unrolled: 2-line block ×10, first 2 shown]
	v_min_u16_e32 v101, v71, v85
	v_max_u16_e32 v71, v71, v85
	v_min_u16_e32 v85, v86, v102
	v_max_u16_e32 v86, v86, v102
	;; [unrolled: 2-line block ×3, first 2 shown]
	v_cndmask_b32_e32 v2, v96, v97, vcc
	v_cndmask_b32_e32 v96, v97, v0, vcc
	;; [unrolled: 1-line block ×3, first 2 shown]
	v_max_u16_e32 v97, v82, v1
	v_min_u16_e32 v1, v82, v1
	v_cmp_gt_u16_e32 vcc, v81, v103
	v_max_u16_e32 v82, v114, v3
	v_min_u16_e32 v3, v114, v3
	v_max_u16_e32 v114, v11, v12
	v_min_u16_e32 v11, v11, v12
	;; [unrolled: 2-line block ×11, first 2 shown]
	v_min_u16_e32 v101, v71, v85
	v_max_u16_e32 v71, v71, v85
	v_min_u16_e32 v85, v86, v102
	v_max_u16_e32 v86, v86, v102
	v_cndmask_b32_e32 v81, v87, v103, vcc
	v_cndmask_b32_e32 v87, v103, v13, vcc
	;; [unrolled: 1-line block ×3, first 2 shown]
	v_cmp_gt_u16_e32 vcc, v0, v1
	v_max_u16_e32 v102, v0, v1
	v_cndmask_b32_e32 v0, v2, v1, vcc
	v_cmp_gt_u16_e32 vcc, v86, v13
	v_max_u16_e32 v1, v97, v3
	v_min_u16_e32 v2, v97, v3
	v_max_u16_e32 v3, v82, v11
	v_min_u16_e32 v11, v82, v11
	;; [unrolled: 2-line block ×11, first 2 shown]
	v_min_u16_e32 v70, v100, v101
	v_max_u16_e32 v100, v100, v101
	v_min_u16_e32 v101, v71, v85
	v_max_u16_e32 v71, v71, v85
	v_min_u16_e32 v85, v86, v13
	v_cndmask_b32_e32 v13, v81, v86, vcc
	v_max_u16_e32 v81, v96, v0
	v_max_u16_e32 v113, v102, v2
	v_min_u16_e32 v2, v102, v2
	v_max_u16_e32 v102, v1, v11
	v_min_u16_e32 v1, v1, v11
	;; [unrolled: 2-line block ×12, first 2 shown]
	v_min_u16_e32 v84, v100, v101
	v_max_u16_e32 v100, v100, v101
	v_min_u16_e32 v101, v71, v85
	v_max_u16_e32 v71, v71, v85
	v_min_u16_e32 v85, v13, v87
	v_min_u16_e32 v86, v96, v0
	v_max_u16_e32 v115, v81, v2
	v_min_u16_e32 v81, v81, v2
	v_max_u16_e32 v116, v113, v1
	;; [unrolled: 2-line block ×12, first 2 shown]
	v_min_u16_e32 v70, v98, v70
	v_min_u16_e32 v98, v99, v84
	v_max_u16_e32 v84, v99, v84
	v_min_u16_e32 v99, v100, v101
	v_max_u16_e32 v100, v100, v101
	;; [unrolled: 2-line block ×3, first 2 shown]
	v_max_u16_e32 v85, v71, v85
	v_med3_u16 v2, v96, v0, v2
	v_min_u16_e32 v0, v86, v81
	v_max_u16_e32 v81, v115, v1
	v_min_u16_e32 v1, v115, v1
	v_max_u16_e32 v86, v116, v3
	;; [unrolled: 2-line block ×12, first 2 shown]
	v_min_u16_e32 v112, v112, v98
	v_min_u16_e32 v134, v84, v99
	v_max_u16_e32 v84, v84, v99
	v_min_u16_e32 v135, v100, v101
	v_max_u16_e32 v144, v100, v101
	v_med3_u16 v145, v13, v87, v71
	v_max_u16_e32 v113, v85, v114
	v_max_u16_e32 v55, v2, v1
	v_min_u16_e32 v54, v2, v1
	v_max_u16_e32 v1, v81, v3
	v_min_u16_e32 v64, v81, v3
	;; [unrolled: 2-line block ×12, first 2 shown]
	v_min_u16_e32 v100, v133, v134
	v_max_u16_e32 v101, v133, v134
	v_min_u16_e32 v102, v84, v135
	v_max_u16_e32 v13, v84, v135
	;; [unrolled: 2-line block ×3, first 2 shown]
.LBB2853_7:
	s_or_b64 exec, exec, s[4:5]
	v_lshlrev_b16_e32 v114, 8, v80
	v_lshlrev_b16_e32 v115, 8, v85
	v_or_b32_sdwa v114, v3, v114 dst_sel:DWORD dst_unused:UNUSED_PAD src0_sel:BYTE_0 src1_sel:DWORD
	v_or_b32_sdwa v115, v83, v115 dst_sel:WORD_1 dst_unused:UNUSED_PAD src0_sel:BYTE_0 src1_sel:DWORD
	v_or_b32_sdwa v117, v114, v115 dst_sel:DWORD dst_unused:UNUSED_PAD src0_sel:WORD_0 src1_sel:DWORD
	v_lshlrev_b16_e32 v114, 8, v69
	v_lshlrev_b16_e32 v115, 8, v71
	v_or_b32_sdwa v114, v2, v114 dst_sel:DWORD dst_unused:UNUSED_PAD src0_sel:BYTE_0 src1_sel:DWORD
	v_or_b32_sdwa v115, v70, v115 dst_sel:WORD_1 dst_unused:UNUSED_PAD src0_sel:BYTE_0 src1_sel:DWORD
	v_or_b32_sdwa v116, v114, v115 dst_sel:DWORD dst_unused:UNUSED_PAD src0_sel:WORD_0 src1_sel:DWORD
	v_lshlrev_b16_e32 v114, 8, v66
	v_lshlrev_b16_e32 v115, 8, v68
	v_mbcnt_lo_u32_b32 v81, -1, 0
	v_or_b32_sdwa v114, v1, v114 dst_sel:DWORD dst_unused:UNUSED_PAD src0_sel:BYTE_0 src1_sel:DWORD
	v_or_b32_sdwa v115, v67, v115 dst_sel:WORD_1 dst_unused:UNUSED_PAD src0_sel:BYTE_0 src1_sel:DWORD
	v_mbcnt_hi_u32_b32 v82, -1, v81
	v_or_b32_sdwa v115, v114, v115 dst_sel:DWORD dst_unused:UNUSED_PAD src0_sel:WORD_0 src1_sel:DWORD
	v_lshlrev_b16_e32 v114, 8, v54
	v_lshlrev_b16_e32 v118, 8, v64
	v_and_b32_e32 v65, 0xfffff800, v65
	v_lshlrev_b32_e32 v82, 5, v82
	v_or_b32_sdwa v114, v0, v114 dst_sel:DWORD dst_unused:UNUSED_PAD src0_sel:BYTE_0 src1_sel:DWORD
	v_or_b32_sdwa v118, v55, v118 dst_sel:WORD_1 dst_unused:UNUSED_PAD src0_sel:BYTE_0 src1_sel:DWORD
	v_add_u32_e32 v84, v65, v82
	v_or_b32_sdwa v114, v114, v118 dst_sel:DWORD dst_unused:UNUSED_PAD src0_sel:WORD_0 src1_sel:DWORD
	ds_write_b128 v84, v[114:117]
	v_lshlrev_b16_e32 v114, 8, v103
	v_lshlrev_b16_e32 v115, 8, v113
	v_or_b32_sdwa v114, v13, v114 dst_sel:DWORD dst_unused:UNUSED_PAD src0_sel:BYTE_0 src1_sel:DWORD
	v_or_b32_sdwa v115, v112, v115 dst_sel:WORD_1 dst_unused:UNUSED_PAD src0_sel:BYTE_0 src1_sel:DWORD
	v_or_b32_sdwa v117, v114, v115 dst_sel:DWORD dst_unused:UNUSED_PAD src0_sel:WORD_0 src1_sel:DWORD
	v_lshlrev_b16_e32 v114, 8, v100
	v_lshlrev_b16_e32 v115, 8, v102
	v_or_b32_sdwa v114, v12, v114 dst_sel:DWORD dst_unused:UNUSED_PAD src0_sel:BYTE_0 src1_sel:DWORD
	v_or_b32_sdwa v115, v101, v115 dst_sel:WORD_1 dst_unused:UNUSED_PAD src0_sel:BYTE_0 src1_sel:DWORD
	v_or_b32_sdwa v116, v114, v115 dst_sel:DWORD dst_unused:UNUSED_PAD src0_sel:WORD_0 src1_sel:DWORD
	;; [unrolled: 5-line block ×4, first 2 shown]
	v_sub_u32_e64 v81, s6, v65 clamp
	ds_write_b128 v84, v[114:117] offset:16
	v_or_b32_e32 v114, 32, v82
	v_min_u32_e32 v114, v81, v114
	v_add_u32_e32 v115, 32, v114
	v_and_b32_e32 v116, 0xfc0, v82
	v_min_u32_e32 v115, v81, v115
	v_and_b32_e32 v117, 32, v82
	v_min_u32_e32 v117, v81, v117
	v_sub_u32_e32 v119, v114, v116
	v_sub_u32_e32 v118, v115, v114
	v_sub_u32_e64 v118, v117, v118 clamp
	v_min_u32_e32 v119, v117, v119
	v_cmp_lt_u32_e32 vcc, v118, v119
	; wave barrier
	s_and_saveexec_b64 s[4:5], vcc
	s_cbranch_execz .LBB2853_11
; %bb.8:
	v_add_u32_e32 v128, v65, v116
	v_add3_u32 v129, v65, v114, v117
	s_mov_b64 s[6:7], 0
.LBB2853_9:                             ; =>This Inner Loop Header: Depth=1
	v_add_u32_e32 v130, v119, v118
	v_lshrrev_b32_e32 v130, 1, v130
	v_add_u32_e32 v131, v128, v130
	v_xad_u32 v132, v130, -1, v129
	ds_read_u8 v131, v131
	ds_read_u8 v132, v132
	v_add_u32_e32 v133, 1, v130
	s_waitcnt lgkmcnt(0)
	v_cmp_gt_u16_e32 vcc, v131, v132
	v_cndmask_b32_e32 v119, v119, v130, vcc
	v_cndmask_b32_e32 v118, v133, v118, vcc
	v_cmp_ge_u32_e32 vcc, v118, v119
	s_or_b64 s[6:7], vcc, s[6:7]
	s_andn2_b64 exec, exec, s[6:7]
	s_cbranch_execnz .LBB2853_9
; %bb.10:
	s_or_b64 exec, exec, s[6:7]
.LBB2853_11:
	s_or_b64 exec, exec, s[4:5]
	v_add_u32_e32 v117, v114, v117
	v_add_u32_e32 v116, v118, v116
	v_sub_u32_e32 v117, v117, v118
	v_cmp_le_u32_e32 vcc, v116, v114
	v_cmp_le_u32_e64 s[4:5], v117, v115
	s_or_b64 s[4:5], vcc, s[4:5]
	s_and_saveexec_b64 s[10:11], s[4:5]
	s_cbranch_execz .LBB2853_17
; %bb.12:
	v_cmp_lt_u32_e32 vcc, v116, v114
                                        ; implicit-def: $vgpr1
	s_and_saveexec_b64 s[4:5], vcc
	s_cbranch_execz .LBB2853_14
; %bb.13:
	v_add_u32_e32 v0, v65, v116
	ds_read_u8 v1, v0
.LBB2853_14:
	s_or_b64 exec, exec, s[4:5]
	v_cmp_ge_u32_e64 s[4:5], v117, v115
	v_cmp_lt_u32_e64 s[6:7], v117, v115
                                        ; implicit-def: $vgpr2
	s_and_saveexec_b64 s[14:15], s[6:7]
	s_cbranch_execz .LBB2853_16
; %bb.15:
	v_add_u32_e32 v0, v65, v117
	ds_read_u8 v2, v0
.LBB2853_16:
	s_or_b64 exec, exec, s[14:15]
	s_waitcnt lgkmcnt(0)
	v_cmp_le_u16_sdwa s[6:7], v1, v2 src0_sel:BYTE_0 src1_sel:BYTE_0
	s_and_b64 s[6:7], vcc, s[6:7]
	s_or_b64 vcc, s[4:5], s[6:7]
	v_cndmask_b32_e32 v3, v117, v116, vcc
	v_cndmask_b32_e32 v10, v115, v114, vcc
	v_add_u32_e32 v3, 1, v3
	v_add_u32_e32 v10, -1, v10
	v_min_u32_e32 v10, v3, v10
	v_add_u32_e32 v10, v65, v10
	ds_read_u8 v10, v10
	v_cndmask_b32_e32 v0, v2, v1, vcc
	s_waitcnt lgkmcnt(0)
	v_cndmask_b32_e32 v2, v10, v2, vcc
	v_cndmask_b32_e32 v1, v1, v10, vcc
	;; [unrolled: 1-line block ×4, first 2 shown]
	v_cmp_lt_u32_e64 s[4:5], v3, v114
	v_cmp_le_u16_sdwa s[6:7], v1, v2 src0_sel:BYTE_0 src1_sel:BYTE_0
	v_cmp_ge_u32_e32 vcc, v10, v115
	s_and_b64 s[4:5], s[4:5], s[6:7]
	s_or_b64 vcc, vcc, s[4:5]
	v_cndmask_b32_e32 v11, v10, v3, vcc
	v_cndmask_b32_e32 v12, v115, v114, vcc
	v_add_u32_e32 v11, 1, v11
	v_add_u32_e32 v12, -1, v12
	v_min_u32_e32 v12, v11, v12
	v_add_u32_e32 v12, v65, v12
	ds_read_u8 v12, v12
	v_cndmask_b32_e32 v54, v2, v1, vcc
	v_cndmask_b32_e32 v3, v3, v11, vcc
	v_cndmask_b32_e32 v10, v11, v10, vcc
	v_cmp_lt_u32_e64 s[4:5], v3, v114
	s_waitcnt lgkmcnt(0)
	v_cndmask_b32_e32 v2, v12, v2, vcc
	v_cndmask_b32_e32 v1, v1, v12, vcc
	v_cmp_le_u16_sdwa s[6:7], v1, v2 src0_sel:BYTE_0 src1_sel:BYTE_0
	v_cmp_ge_u32_e32 vcc, v10, v115
	s_and_b64 s[4:5], s[4:5], s[6:7]
	s_or_b64 vcc, vcc, s[4:5]
	v_cndmask_b32_e32 v11, v10, v3, vcc
	v_cndmask_b32_e32 v12, v115, v114, vcc
	v_add_u32_e32 v11, 1, v11
	v_add_u32_e32 v12, -1, v12
	v_min_u32_e32 v12, v11, v12
	v_add_u32_e32 v12, v65, v12
	ds_read_u8 v12, v12
	v_cndmask_b32_e32 v55, v2, v1, vcc
	v_cndmask_b32_e32 v3, v3, v11, vcc
	v_cndmask_b32_e32 v10, v11, v10, vcc
	v_cmp_lt_u32_e64 s[4:5], v3, v114
	s_waitcnt lgkmcnt(0)
	v_cndmask_b32_e32 v2, v12, v2, vcc
	v_cndmask_b32_e32 v1, v1, v12, vcc
	;; [unrolled: 18-line block ×14, first 2 shown]
	v_cmp_le_u16_sdwa s[6:7], v12, v87 src0_sel:BYTE_0 src1_sel:BYTE_0
	v_cmp_ge_u32_e32 vcc, v10, v115
	s_and_b64 s[4:5], s[4:5], s[6:7]
	s_or_b64 vcc, vcc, s[4:5]
	v_cndmask_b32_e32 v13, v10, v11, vcc
	v_cndmask_b32_e32 v86, v115, v114, vcc
	v_add_u32_e32 v13, 1, v13
	v_add_u32_e32 v86, -1, v86
	v_min_u32_e32 v86, v13, v86
	v_add_u32_e32 v86, v65, v86
	ds_read_u8 v86, v86
	v_cndmask_b32_e32 v85, v87, v12, vcc
	v_cndmask_b32_e32 v11, v11, v13, vcc
	v_cmp_lt_u32_e64 s[4:5], v11, v114
	s_waitcnt lgkmcnt(0)
	v_cndmask_b32_e32 v87, v86, v87, vcc
	v_cndmask_b32_e32 v12, v12, v86, vcc
	;; [unrolled: 1-line block ×3, first 2 shown]
	v_cmp_le_u16_sdwa s[6:7], v12, v87 src0_sel:BYTE_0 src1_sel:BYTE_0
	v_cmp_ge_u32_e32 vcc, v86, v115
	s_and_b64 s[4:5], s[4:5], s[6:7]
	s_or_b64 vcc, vcc, s[4:5]
	v_cndmask_b32_e32 v13, v86, v11, vcc
	v_cndmask_b32_e32 v96, v115, v114, vcc
	v_add_u32_e32 v13, 1, v13
	v_add_u32_e32 v96, -1, v96
	v_min_u32_e32 v96, v13, v96
	v_add_u32_e32 v96, v65, v96
	ds_read_u8 v96, v96
	v_cndmask_b32_e32 v10, v87, v12, vcc
	v_cndmask_b32_e32 v11, v11, v13, vcc
	v_cmp_lt_u32_e64 s[4:5], v11, v114
	s_waitcnt lgkmcnt(0)
	v_cndmask_b32_e32 v87, v96, v87, vcc
	v_cndmask_b32_e32 v12, v12, v96, vcc
	v_cndmask_b32_e32 v96, v13, v86, vcc
	v_cmp_le_u16_sdwa s[6:7], v12, v87 src0_sel:BYTE_0 src1_sel:BYTE_0
	v_cmp_ge_u32_e32 vcc, v96, v115
	s_and_b64 s[4:5], s[4:5], s[6:7]
	s_or_b64 vcc, vcc, s[4:5]
	v_cndmask_b32_e32 v13, v96, v11, vcc
	v_cndmask_b32_e32 v97, v115, v114, vcc
	v_add_u32_e32 v13, 1, v13
	v_add_u32_e32 v97, -1, v97
	v_min_u32_e32 v97, v13, v97
	v_add_u32_e32 v97, v65, v97
	ds_read_u8 v97, v97
	v_cndmask_b32_e32 v86, v87, v12, vcc
	v_cndmask_b32_e32 v11, v11, v13, vcc
	v_cndmask_b32_e32 v96, v13, v96, vcc
	v_cmp_lt_u32_e64 s[4:5], v11, v114
	s_waitcnt lgkmcnt(0)
	v_cndmask_b32_e32 v98, v97, v87, vcc
	v_cndmask_b32_e32 v12, v12, v97, vcc
	v_cmp_le_u16_sdwa s[6:7], v12, v98 src0_sel:BYTE_0 src1_sel:BYTE_0
	v_cmp_ge_u32_e32 vcc, v96, v115
	s_and_b64 s[4:5], s[4:5], s[6:7]
	s_or_b64 vcc, vcc, s[4:5]
	v_cndmask_b32_e32 v13, v96, v11, vcc
	v_cndmask_b32_e32 v97, v115, v114, vcc
	v_add_u32_e32 v13, 1, v13
	v_add_u32_e32 v97, -1, v97
	v_min_u32_e32 v97, v13, v97
	v_add_u32_e32 v97, v65, v97
	ds_read_u8 v97, v97
	v_cndmask_b32_e32 v87, v98, v12, vcc
	v_cndmask_b32_e32 v11, v11, v13, vcc
	v_cmp_lt_u32_e64 s[4:5], v11, v114
	s_waitcnt lgkmcnt(0)
	v_cndmask_b32_e32 v98, v97, v98, vcc
	v_cndmask_b32_e32 v12, v12, v97, vcc
	v_cndmask_b32_e32 v97, v13, v96, vcc
	v_cmp_le_u16_sdwa s[6:7], v12, v98 src0_sel:BYTE_0 src1_sel:BYTE_0
	v_cmp_ge_u32_e32 vcc, v97, v115
	s_and_b64 s[4:5], s[4:5], s[6:7]
	s_or_b64 vcc, vcc, s[4:5]
	v_cndmask_b32_e32 v13, v97, v11, vcc
	v_cndmask_b32_e32 v99, v115, v114, vcc
	v_add_u32_e32 v13, 1, v13
	v_add_u32_e32 v99, -1, v99
	v_min_u32_e32 v99, v13, v99
	v_add_u32_e32 v99, v65, v99
	ds_read_u8 v99, v99
	v_cndmask_b32_e32 v96, v98, v12, vcc
	v_cndmask_b32_e32 v97, v13, v97, vcc
	v_cndmask_b32_e32 v13, v11, v13, vcc
	v_cmp_lt_u32_e64 s[4:5], v13, v114
	s_waitcnt lgkmcnt(0)
	v_cndmask_b32_e32 v98, v99, v98, vcc
	v_cndmask_b32_e32 v12, v12, v99, vcc
	;; [unrolled: 36-line block ×3, first 2 shown]
	v_cmp_le_u16_sdwa s[6:7], v12, v102 src0_sel:BYTE_0 src1_sel:BYTE_0
	v_cmp_ge_u32_e32 vcc, v100, v115
	s_and_b64 s[4:5], s[4:5], s[6:7]
	s_or_b64 vcc, vcc, s[4:5]
	v_cndmask_b32_e32 v99, v100, v13, vcc
	v_cndmask_b32_e32 v101, v115, v114, vcc
	v_add_u32_e32 v99, 1, v99
	v_add_u32_e32 v101, -1, v101
	v_min_u32_e32 v101, v99, v101
	v_add_u32_e32 v101, v65, v101
	ds_read_u8 v101, v101
	v_cndmask_b32_e32 v98, v102, v12, vcc
	v_cndmask_b32_e32 v13, v13, v99, vcc
	;; [unrolled: 1-line block ×3, first 2 shown]
	v_cmp_lt_u32_e64 s[4:5], v13, v114
	s_waitcnt lgkmcnt(0)
	v_cndmask_b32_e32 v102, v101, v102, vcc
	v_cndmask_b32_e32 v12, v12, v101, vcc
	v_cmp_le_u16_sdwa s[6:7], v12, v102 src0_sel:BYTE_0 src1_sel:BYTE_0
	v_cmp_ge_u32_e32 vcc, v100, v115
	s_and_b64 s[4:5], s[4:5], s[6:7]
	s_or_b64 vcc, vcc, s[4:5]
	v_cndmask_b32_e32 v101, v100, v13, vcc
	v_cndmask_b32_e32 v103, v115, v114, vcc
	v_add_u32_e32 v101, 1, v101
	v_add_u32_e32 v103, -1, v103
	v_min_u32_e32 v103, v101, v103
	v_add_u32_e32 v103, v65, v103
	ds_read_u8 v103, v103
	v_cndmask_b32_e32 v99, v102, v12, vcc
	v_cndmask_b32_e32 v13, v13, v101, vcc
	;; [unrolled: 1-line block ×3, first 2 shown]
	v_cmp_lt_u32_e64 s[4:5], v13, v114
	s_waitcnt lgkmcnt(0)
	v_cndmask_b32_e32 v102, v103, v102, vcc
	v_cndmask_b32_e32 v103, v12, v103, vcc
	v_cmp_le_u16_sdwa s[6:7], v103, v102 src0_sel:BYTE_0 src1_sel:BYTE_0
	v_cmp_ge_u32_e32 vcc, v100, v115
	s_and_b64 s[4:5], s[4:5], s[6:7]
	s_or_b64 vcc, vcc, s[4:5]
	v_cndmask_b32_e32 v101, v100, v13, vcc
	v_cndmask_b32_e32 v112, v115, v114, vcc
	v_add_u32_e32 v101, 1, v101
	v_add_u32_e32 v112, -1, v112
	v_min_u32_e32 v112, v101, v112
	v_add_u32_e32 v112, v65, v112
	ds_read_u8 v112, v112
	v_cndmask_b32_e32 v12, v102, v103, vcc
	v_cndmask_b32_e32 v13, v13, v101, vcc
	v_cmp_lt_u32_e64 s[4:5], v13, v114
	s_waitcnt lgkmcnt(0)
	v_cndmask_b32_e32 v102, v112, v102, vcc
	v_cndmask_b32_e32 v103, v103, v112, vcc
	;; [unrolled: 1-line block ×3, first 2 shown]
	v_cmp_le_u16_sdwa s[6:7], v103, v102 src0_sel:BYTE_0 src1_sel:BYTE_0
	v_cmp_ge_u32_e32 vcc, v112, v115
	s_and_b64 s[4:5], s[4:5], s[6:7]
	s_or_b64 vcc, vcc, s[4:5]
	v_cndmask_b32_e32 v101, v112, v13, vcc
	v_cndmask_b32_e32 v113, v115, v114, vcc
	v_add_u32_e32 v101, 1, v101
	v_add_u32_e32 v113, -1, v113
	v_min_u32_e32 v113, v101, v113
	v_add_u32_e32 v113, v65, v113
	ds_read_u8 v113, v113
	v_cndmask_b32_e32 v100, v102, v103, vcc
	v_cndmask_b32_e32 v13, v13, v101, vcc
	v_cndmask_b32_e32 v112, v101, v112, vcc
	v_cmp_lt_u32_e64 s[4:5], v13, v114
	s_waitcnt lgkmcnt(0)
	v_cndmask_b32_e32 v102, v113, v102, vcc
	v_cndmask_b32_e32 v103, v103, v113, vcc
	v_cmp_le_u16_sdwa s[6:7], v103, v102 src0_sel:BYTE_0 src1_sel:BYTE_0
	v_cmp_ge_u32_e32 vcc, v112, v115
	s_and_b64 s[4:5], s[4:5], s[6:7]
	s_or_b64 vcc, vcc, s[4:5]
	v_cndmask_b32_e32 v113, v112, v13, vcc
	v_cndmask_b32_e32 v116, v115, v114, vcc
	v_add_u32_e32 v113, 1, v113
	v_add_u32_e32 v116, -1, v116
	v_min_u32_e32 v116, v113, v116
	v_add_u32_e32 v116, v65, v116
	ds_read_u8 v116, v116
	v_cndmask_b32_e32 v101, v102, v103, vcc
	v_cndmask_b32_e32 v13, v13, v113, vcc
	v_cndmask_b32_e32 v112, v113, v112, vcc
	v_cmp_lt_u32_e64 s[4:5], v13, v114
	s_waitcnt lgkmcnt(0)
	v_cndmask_b32_e32 v117, v116, v102, vcc
	v_cndmask_b32_e32 v103, v103, v116, vcc
	;; [unrolled: 18-line block ×4, first 2 shown]
	v_cmp_le_u16_sdwa s[6:7], v118, v117 src0_sel:BYTE_0 src1_sel:BYTE_0
	v_cmp_ge_u32_e32 vcc, v112, v115
	s_and_b64 s[4:5], s[4:5], s[6:7]
	s_or_b64 vcc, vcc, s[4:5]
	v_cndmask_b32_e32 v116, v112, v113, vcc
	v_cndmask_b32_e32 v119, v115, v114, vcc
	v_add_u32_e32 v116, 1, v116
	v_add_u32_e32 v119, -1, v119
	v_min_u32_e32 v119, v116, v119
	v_add_u32_e32 v119, v65, v119
	ds_read_u8 v119, v119
	v_cndmask_b32_e32 v103, v117, v118, vcc
	v_cndmask_b32_e32 v113, v113, v116, vcc
	v_cmp_lt_u32_e64 s[4:5], v113, v114
	s_waitcnt lgkmcnt(0)
	v_cndmask_b32_e32 v117, v119, v117, vcc
	v_cndmask_b32_e32 v118, v118, v119, vcc
	;; [unrolled: 1-line block ×3, first 2 shown]
	v_cmp_le_u16_sdwa s[6:7], v118, v117 src0_sel:BYTE_0 src1_sel:BYTE_0
	v_cmp_ge_u32_e32 vcc, v119, v115
	s_and_b64 s[4:5], s[4:5], s[6:7]
	s_or_b64 vcc, vcc, s[4:5]
	v_cndmask_b32_e32 v116, v119, v113, vcc
	v_cndmask_b32_e32 v128, v115, v114, vcc
	v_add_u32_e32 v116, 1, v116
	v_add_u32_e32 v128, -1, v128
	v_min_u32_e32 v128, v116, v128
	v_add_u32_e32 v128, v65, v128
	ds_read_u8 v128, v128
	v_cndmask_b32_e32 v119, v116, v119, vcc
	v_cndmask_b32_e32 v112, v117, v118, vcc
	v_cmp_lt_u32_e64 s[4:5], v119, v115
	v_cndmask_b32_e32 v113, v113, v116, vcc
	s_waitcnt lgkmcnt(0)
	v_cndmask_b32_e32 v118, v118, v128, vcc
	v_cndmask_b32_e32 v115, v128, v117, vcc
	v_cmp_lt_u32_e32 vcc, v113, v114
	v_min_u16_sdwa v113, v118, v115 dst_sel:DWORD dst_unused:UNUSED_PAD src0_sel:BYTE_0 src1_sel:BYTE_0
	v_cndmask_b32_e32 v113, v115, v113, vcc
	v_cndmask_b32_e64 v113, v118, v113, s[4:5]
.LBB2853_17:
	s_or_b64 exec, exec, s[10:11]
	v_lshlrev_b16_e32 v114, 8, v80
	v_lshlrev_b16_e32 v115, 8, v85
	v_or_b32_sdwa v114, v3, v114 dst_sel:DWORD dst_unused:UNUSED_PAD src0_sel:BYTE_0 src1_sel:DWORD
	v_or_b32_sdwa v115, v83, v115 dst_sel:WORD_1 dst_unused:UNUSED_PAD src0_sel:BYTE_0 src1_sel:DWORD
	v_or_b32_sdwa v117, v114, v115 dst_sel:DWORD dst_unused:UNUSED_PAD src0_sel:WORD_0 src1_sel:DWORD
	v_lshlrev_b16_e32 v114, 8, v69
	v_lshlrev_b16_e32 v115, 8, v71
	v_or_b32_sdwa v114, v2, v114 dst_sel:DWORD dst_unused:UNUSED_PAD src0_sel:BYTE_0 src1_sel:DWORD
	v_or_b32_sdwa v115, v70, v115 dst_sel:WORD_1 dst_unused:UNUSED_PAD src0_sel:BYTE_0 src1_sel:DWORD
	v_or_b32_sdwa v116, v114, v115 dst_sel:DWORD dst_unused:UNUSED_PAD src0_sel:WORD_0 src1_sel:DWORD
	;; [unrolled: 5-line block ×4, first 2 shown]
	; wave barrier
	ds_write_b128 v84, v[114:117]
	v_lshlrev_b16_e32 v114, 8, v103
	v_lshlrev_b16_e32 v115, 8, v113
	v_or_b32_sdwa v114, v13, v114 dst_sel:DWORD dst_unused:UNUSED_PAD src0_sel:BYTE_0 src1_sel:DWORD
	v_or_b32_sdwa v115, v112, v115 dst_sel:WORD_1 dst_unused:UNUSED_PAD src0_sel:BYTE_0 src1_sel:DWORD
	v_or_b32_sdwa v117, v114, v115 dst_sel:DWORD dst_unused:UNUSED_PAD src0_sel:WORD_0 src1_sel:DWORD
	v_lshlrev_b16_e32 v114, 8, v100
	v_lshlrev_b16_e32 v115, 8, v102
	v_or_b32_sdwa v114, v12, v114 dst_sel:DWORD dst_unused:UNUSED_PAD src0_sel:BYTE_0 src1_sel:DWORD
	v_or_b32_sdwa v115, v101, v115 dst_sel:WORD_1 dst_unused:UNUSED_PAD src0_sel:BYTE_0 src1_sel:DWORD
	v_or_b32_sdwa v116, v114, v115 dst_sel:DWORD dst_unused:UNUSED_PAD src0_sel:WORD_0 src1_sel:DWORD
	;; [unrolled: 5-line block ×4, first 2 shown]
	ds_write_b128 v84, v[114:117] offset:16
	v_and_b32_e32 v116, 0xf80, v82
	v_or_b32_e32 v114, 64, v116
	v_min_u32_e32 v114, v81, v114
	v_add_u32_e32 v115, 64, v114
	v_min_u32_e32 v115, v81, v115
	v_and_b32_e32 v117, 0x60, v82
	v_min_u32_e32 v117, v81, v117
	v_sub_u32_e32 v119, v114, v116
	v_sub_u32_e32 v118, v115, v114
	v_sub_u32_e64 v118, v117, v118 clamp
	v_min_u32_e32 v119, v117, v119
	v_cmp_lt_u32_e32 vcc, v118, v119
	; wave barrier
	s_and_saveexec_b64 s[4:5], vcc
	s_cbranch_execz .LBB2853_21
; %bb.18:
	v_add_u32_e32 v128, v65, v116
	v_add3_u32 v129, v65, v114, v117
	s_mov_b64 s[6:7], 0
.LBB2853_19:                            ; =>This Inner Loop Header: Depth=1
	v_add_u32_e32 v130, v119, v118
	v_lshrrev_b32_e32 v130, 1, v130
	v_add_u32_e32 v131, v128, v130
	v_xad_u32 v132, v130, -1, v129
	ds_read_u8 v131, v131
	ds_read_u8 v132, v132
	v_add_u32_e32 v133, 1, v130
	s_waitcnt lgkmcnt(0)
	v_cmp_gt_u16_e32 vcc, v131, v132
	v_cndmask_b32_e32 v119, v119, v130, vcc
	v_cndmask_b32_e32 v118, v133, v118, vcc
	v_cmp_ge_u32_e32 vcc, v118, v119
	s_or_b64 s[6:7], vcc, s[6:7]
	s_andn2_b64 exec, exec, s[6:7]
	s_cbranch_execnz .LBB2853_19
; %bb.20:
	s_or_b64 exec, exec, s[6:7]
.LBB2853_21:
	s_or_b64 exec, exec, s[4:5]
	v_add_u32_e32 v117, v114, v117
	v_add_u32_e32 v116, v118, v116
	v_sub_u32_e32 v117, v117, v118
	v_cmp_le_u32_e32 vcc, v116, v114
	v_cmp_le_u32_e64 s[4:5], v117, v115
	s_or_b64 s[4:5], vcc, s[4:5]
	s_and_saveexec_b64 s[10:11], s[4:5]
	s_cbranch_execz .LBB2853_27
; %bb.22:
	v_cmp_lt_u32_e32 vcc, v116, v114
                                        ; implicit-def: $vgpr1
	s_and_saveexec_b64 s[4:5], vcc
	s_cbranch_execz .LBB2853_24
; %bb.23:
	v_add_u32_e32 v0, v65, v116
	ds_read_u8 v1, v0
.LBB2853_24:
	s_or_b64 exec, exec, s[4:5]
	v_cmp_ge_u32_e64 s[4:5], v117, v115
	v_cmp_lt_u32_e64 s[6:7], v117, v115
                                        ; implicit-def: $vgpr2
	s_and_saveexec_b64 s[14:15], s[6:7]
	s_cbranch_execz .LBB2853_26
; %bb.25:
	v_add_u32_e32 v0, v65, v117
	ds_read_u8 v2, v0
.LBB2853_26:
	s_or_b64 exec, exec, s[14:15]
	s_waitcnt lgkmcnt(0)
	v_cmp_le_u16_sdwa s[6:7], v1, v2 src0_sel:BYTE_0 src1_sel:BYTE_0
	s_and_b64 s[6:7], vcc, s[6:7]
	s_or_b64 vcc, s[4:5], s[6:7]
	v_cndmask_b32_e32 v3, v117, v116, vcc
	v_cndmask_b32_e32 v10, v115, v114, vcc
	v_add_u32_e32 v3, 1, v3
	v_add_u32_e32 v10, -1, v10
	v_min_u32_e32 v10, v3, v10
	v_add_u32_e32 v10, v65, v10
	ds_read_u8 v10, v10
	v_cndmask_b32_e32 v0, v2, v1, vcc
	s_waitcnt lgkmcnt(0)
	v_cndmask_b32_e32 v2, v10, v2, vcc
	v_cndmask_b32_e32 v1, v1, v10, vcc
	;; [unrolled: 1-line block ×4, first 2 shown]
	v_cmp_lt_u32_e64 s[4:5], v3, v114
	v_cmp_le_u16_sdwa s[6:7], v1, v2 src0_sel:BYTE_0 src1_sel:BYTE_0
	v_cmp_ge_u32_e32 vcc, v10, v115
	s_and_b64 s[4:5], s[4:5], s[6:7]
	s_or_b64 vcc, vcc, s[4:5]
	v_cndmask_b32_e32 v11, v10, v3, vcc
	v_cndmask_b32_e32 v12, v115, v114, vcc
	v_add_u32_e32 v11, 1, v11
	v_add_u32_e32 v12, -1, v12
	v_min_u32_e32 v12, v11, v12
	v_add_u32_e32 v12, v65, v12
	ds_read_u8 v12, v12
	v_cndmask_b32_e32 v54, v2, v1, vcc
	v_cndmask_b32_e32 v3, v3, v11, vcc
	v_cndmask_b32_e32 v10, v11, v10, vcc
	v_cmp_lt_u32_e64 s[4:5], v3, v114
	s_waitcnt lgkmcnt(0)
	v_cndmask_b32_e32 v2, v12, v2, vcc
	v_cndmask_b32_e32 v1, v1, v12, vcc
	v_cmp_le_u16_sdwa s[6:7], v1, v2 src0_sel:BYTE_0 src1_sel:BYTE_0
	v_cmp_ge_u32_e32 vcc, v10, v115
	s_and_b64 s[4:5], s[4:5], s[6:7]
	s_or_b64 vcc, vcc, s[4:5]
	v_cndmask_b32_e32 v11, v10, v3, vcc
	v_cndmask_b32_e32 v12, v115, v114, vcc
	v_add_u32_e32 v11, 1, v11
	v_add_u32_e32 v12, -1, v12
	v_min_u32_e32 v12, v11, v12
	v_add_u32_e32 v12, v65, v12
	ds_read_u8 v12, v12
	v_cndmask_b32_e32 v55, v2, v1, vcc
	v_cndmask_b32_e32 v3, v3, v11, vcc
	v_cndmask_b32_e32 v10, v11, v10, vcc
	v_cmp_lt_u32_e64 s[4:5], v3, v114
	s_waitcnt lgkmcnt(0)
	v_cndmask_b32_e32 v2, v12, v2, vcc
	v_cndmask_b32_e32 v1, v1, v12, vcc
	;; [unrolled: 18-line block ×14, first 2 shown]
	v_cmp_le_u16_sdwa s[6:7], v12, v87 src0_sel:BYTE_0 src1_sel:BYTE_0
	v_cmp_ge_u32_e32 vcc, v10, v115
	s_and_b64 s[4:5], s[4:5], s[6:7]
	s_or_b64 vcc, vcc, s[4:5]
	v_cndmask_b32_e32 v13, v10, v11, vcc
	v_cndmask_b32_e32 v86, v115, v114, vcc
	v_add_u32_e32 v13, 1, v13
	v_add_u32_e32 v86, -1, v86
	v_min_u32_e32 v86, v13, v86
	v_add_u32_e32 v86, v65, v86
	ds_read_u8 v86, v86
	v_cndmask_b32_e32 v85, v87, v12, vcc
	v_cndmask_b32_e32 v11, v11, v13, vcc
	v_cmp_lt_u32_e64 s[4:5], v11, v114
	s_waitcnt lgkmcnt(0)
	v_cndmask_b32_e32 v87, v86, v87, vcc
	v_cndmask_b32_e32 v12, v12, v86, vcc
	;; [unrolled: 1-line block ×3, first 2 shown]
	v_cmp_le_u16_sdwa s[6:7], v12, v87 src0_sel:BYTE_0 src1_sel:BYTE_0
	v_cmp_ge_u32_e32 vcc, v86, v115
	s_and_b64 s[4:5], s[4:5], s[6:7]
	s_or_b64 vcc, vcc, s[4:5]
	v_cndmask_b32_e32 v13, v86, v11, vcc
	v_cndmask_b32_e32 v96, v115, v114, vcc
	v_add_u32_e32 v13, 1, v13
	v_add_u32_e32 v96, -1, v96
	v_min_u32_e32 v96, v13, v96
	v_add_u32_e32 v96, v65, v96
	ds_read_u8 v96, v96
	v_cndmask_b32_e32 v10, v87, v12, vcc
	v_cndmask_b32_e32 v11, v11, v13, vcc
	v_cmp_lt_u32_e64 s[4:5], v11, v114
	s_waitcnt lgkmcnt(0)
	v_cndmask_b32_e32 v87, v96, v87, vcc
	v_cndmask_b32_e32 v12, v12, v96, vcc
	v_cndmask_b32_e32 v96, v13, v86, vcc
	v_cmp_le_u16_sdwa s[6:7], v12, v87 src0_sel:BYTE_0 src1_sel:BYTE_0
	v_cmp_ge_u32_e32 vcc, v96, v115
	s_and_b64 s[4:5], s[4:5], s[6:7]
	s_or_b64 vcc, vcc, s[4:5]
	v_cndmask_b32_e32 v13, v96, v11, vcc
	v_cndmask_b32_e32 v97, v115, v114, vcc
	v_add_u32_e32 v13, 1, v13
	v_add_u32_e32 v97, -1, v97
	v_min_u32_e32 v97, v13, v97
	v_add_u32_e32 v97, v65, v97
	ds_read_u8 v97, v97
	v_cndmask_b32_e32 v86, v87, v12, vcc
	v_cndmask_b32_e32 v11, v11, v13, vcc
	v_cndmask_b32_e32 v96, v13, v96, vcc
	v_cmp_lt_u32_e64 s[4:5], v11, v114
	s_waitcnt lgkmcnt(0)
	v_cndmask_b32_e32 v98, v97, v87, vcc
	v_cndmask_b32_e32 v12, v12, v97, vcc
	v_cmp_le_u16_sdwa s[6:7], v12, v98 src0_sel:BYTE_0 src1_sel:BYTE_0
	v_cmp_ge_u32_e32 vcc, v96, v115
	s_and_b64 s[4:5], s[4:5], s[6:7]
	s_or_b64 vcc, vcc, s[4:5]
	v_cndmask_b32_e32 v13, v96, v11, vcc
	v_cndmask_b32_e32 v97, v115, v114, vcc
	v_add_u32_e32 v13, 1, v13
	v_add_u32_e32 v97, -1, v97
	v_min_u32_e32 v97, v13, v97
	v_add_u32_e32 v97, v65, v97
	ds_read_u8 v97, v97
	v_cndmask_b32_e32 v87, v98, v12, vcc
	v_cndmask_b32_e32 v11, v11, v13, vcc
	v_cmp_lt_u32_e64 s[4:5], v11, v114
	s_waitcnt lgkmcnt(0)
	v_cndmask_b32_e32 v98, v97, v98, vcc
	v_cndmask_b32_e32 v12, v12, v97, vcc
	v_cndmask_b32_e32 v97, v13, v96, vcc
	v_cmp_le_u16_sdwa s[6:7], v12, v98 src0_sel:BYTE_0 src1_sel:BYTE_0
	v_cmp_ge_u32_e32 vcc, v97, v115
	s_and_b64 s[4:5], s[4:5], s[6:7]
	s_or_b64 vcc, vcc, s[4:5]
	v_cndmask_b32_e32 v13, v97, v11, vcc
	v_cndmask_b32_e32 v99, v115, v114, vcc
	v_add_u32_e32 v13, 1, v13
	v_add_u32_e32 v99, -1, v99
	v_min_u32_e32 v99, v13, v99
	v_add_u32_e32 v99, v65, v99
	ds_read_u8 v99, v99
	v_cndmask_b32_e32 v96, v98, v12, vcc
	v_cndmask_b32_e32 v97, v13, v97, vcc
	v_cndmask_b32_e32 v13, v11, v13, vcc
	v_cmp_lt_u32_e64 s[4:5], v13, v114
	s_waitcnt lgkmcnt(0)
	v_cndmask_b32_e32 v98, v99, v98, vcc
	v_cndmask_b32_e32 v12, v12, v99, vcc
	;; [unrolled: 36-line block ×3, first 2 shown]
	v_cmp_le_u16_sdwa s[6:7], v12, v102 src0_sel:BYTE_0 src1_sel:BYTE_0
	v_cmp_ge_u32_e32 vcc, v100, v115
	s_and_b64 s[4:5], s[4:5], s[6:7]
	s_or_b64 vcc, vcc, s[4:5]
	v_cndmask_b32_e32 v99, v100, v13, vcc
	v_cndmask_b32_e32 v101, v115, v114, vcc
	v_add_u32_e32 v99, 1, v99
	v_add_u32_e32 v101, -1, v101
	v_min_u32_e32 v101, v99, v101
	v_add_u32_e32 v101, v65, v101
	ds_read_u8 v101, v101
	v_cndmask_b32_e32 v98, v102, v12, vcc
	v_cndmask_b32_e32 v13, v13, v99, vcc
	;; [unrolled: 1-line block ×3, first 2 shown]
	v_cmp_lt_u32_e64 s[4:5], v13, v114
	s_waitcnt lgkmcnt(0)
	v_cndmask_b32_e32 v102, v101, v102, vcc
	v_cndmask_b32_e32 v12, v12, v101, vcc
	v_cmp_le_u16_sdwa s[6:7], v12, v102 src0_sel:BYTE_0 src1_sel:BYTE_0
	v_cmp_ge_u32_e32 vcc, v100, v115
	s_and_b64 s[4:5], s[4:5], s[6:7]
	s_or_b64 vcc, vcc, s[4:5]
	v_cndmask_b32_e32 v101, v100, v13, vcc
	v_cndmask_b32_e32 v103, v115, v114, vcc
	v_add_u32_e32 v101, 1, v101
	v_add_u32_e32 v103, -1, v103
	v_min_u32_e32 v103, v101, v103
	v_add_u32_e32 v103, v65, v103
	ds_read_u8 v103, v103
	v_cndmask_b32_e32 v99, v102, v12, vcc
	v_cndmask_b32_e32 v13, v13, v101, vcc
	;; [unrolled: 1-line block ×3, first 2 shown]
	v_cmp_lt_u32_e64 s[4:5], v13, v114
	s_waitcnt lgkmcnt(0)
	v_cndmask_b32_e32 v102, v103, v102, vcc
	v_cndmask_b32_e32 v103, v12, v103, vcc
	v_cmp_le_u16_sdwa s[6:7], v103, v102 src0_sel:BYTE_0 src1_sel:BYTE_0
	v_cmp_ge_u32_e32 vcc, v100, v115
	s_and_b64 s[4:5], s[4:5], s[6:7]
	s_or_b64 vcc, vcc, s[4:5]
	v_cndmask_b32_e32 v101, v100, v13, vcc
	v_cndmask_b32_e32 v112, v115, v114, vcc
	v_add_u32_e32 v101, 1, v101
	v_add_u32_e32 v112, -1, v112
	v_min_u32_e32 v112, v101, v112
	v_add_u32_e32 v112, v65, v112
	ds_read_u8 v112, v112
	v_cndmask_b32_e32 v12, v102, v103, vcc
	v_cndmask_b32_e32 v13, v13, v101, vcc
	v_cmp_lt_u32_e64 s[4:5], v13, v114
	s_waitcnt lgkmcnt(0)
	v_cndmask_b32_e32 v102, v112, v102, vcc
	v_cndmask_b32_e32 v103, v103, v112, vcc
	;; [unrolled: 1-line block ×3, first 2 shown]
	v_cmp_le_u16_sdwa s[6:7], v103, v102 src0_sel:BYTE_0 src1_sel:BYTE_0
	v_cmp_ge_u32_e32 vcc, v112, v115
	s_and_b64 s[4:5], s[4:5], s[6:7]
	s_or_b64 vcc, vcc, s[4:5]
	v_cndmask_b32_e32 v101, v112, v13, vcc
	v_cndmask_b32_e32 v113, v115, v114, vcc
	v_add_u32_e32 v101, 1, v101
	v_add_u32_e32 v113, -1, v113
	v_min_u32_e32 v113, v101, v113
	v_add_u32_e32 v113, v65, v113
	ds_read_u8 v113, v113
	v_cndmask_b32_e32 v100, v102, v103, vcc
	v_cndmask_b32_e32 v13, v13, v101, vcc
	v_cndmask_b32_e32 v112, v101, v112, vcc
	v_cmp_lt_u32_e64 s[4:5], v13, v114
	s_waitcnt lgkmcnt(0)
	v_cndmask_b32_e32 v102, v113, v102, vcc
	v_cndmask_b32_e32 v103, v103, v113, vcc
	v_cmp_le_u16_sdwa s[6:7], v103, v102 src0_sel:BYTE_0 src1_sel:BYTE_0
	v_cmp_ge_u32_e32 vcc, v112, v115
	s_and_b64 s[4:5], s[4:5], s[6:7]
	s_or_b64 vcc, vcc, s[4:5]
	v_cndmask_b32_e32 v113, v112, v13, vcc
	v_cndmask_b32_e32 v116, v115, v114, vcc
	v_add_u32_e32 v113, 1, v113
	v_add_u32_e32 v116, -1, v116
	v_min_u32_e32 v116, v113, v116
	v_add_u32_e32 v116, v65, v116
	ds_read_u8 v116, v116
	v_cndmask_b32_e32 v101, v102, v103, vcc
	v_cndmask_b32_e32 v13, v13, v113, vcc
	v_cndmask_b32_e32 v112, v113, v112, vcc
	v_cmp_lt_u32_e64 s[4:5], v13, v114
	s_waitcnt lgkmcnt(0)
	v_cndmask_b32_e32 v117, v116, v102, vcc
	v_cndmask_b32_e32 v103, v103, v116, vcc
	;; [unrolled: 18-line block ×4, first 2 shown]
	v_cmp_le_u16_sdwa s[6:7], v118, v117 src0_sel:BYTE_0 src1_sel:BYTE_0
	v_cmp_ge_u32_e32 vcc, v112, v115
	s_and_b64 s[4:5], s[4:5], s[6:7]
	s_or_b64 vcc, vcc, s[4:5]
	v_cndmask_b32_e32 v116, v112, v113, vcc
	v_cndmask_b32_e32 v119, v115, v114, vcc
	v_add_u32_e32 v116, 1, v116
	v_add_u32_e32 v119, -1, v119
	v_min_u32_e32 v119, v116, v119
	v_add_u32_e32 v119, v65, v119
	ds_read_u8 v119, v119
	v_cndmask_b32_e32 v103, v117, v118, vcc
	v_cndmask_b32_e32 v113, v113, v116, vcc
	v_cmp_lt_u32_e64 s[4:5], v113, v114
	s_waitcnt lgkmcnt(0)
	v_cndmask_b32_e32 v117, v119, v117, vcc
	v_cndmask_b32_e32 v118, v118, v119, vcc
	;; [unrolled: 1-line block ×3, first 2 shown]
	v_cmp_le_u16_sdwa s[6:7], v118, v117 src0_sel:BYTE_0 src1_sel:BYTE_0
	v_cmp_ge_u32_e32 vcc, v119, v115
	s_and_b64 s[4:5], s[4:5], s[6:7]
	s_or_b64 vcc, vcc, s[4:5]
	v_cndmask_b32_e32 v116, v119, v113, vcc
	v_cndmask_b32_e32 v128, v115, v114, vcc
	v_add_u32_e32 v116, 1, v116
	v_add_u32_e32 v128, -1, v128
	v_min_u32_e32 v128, v116, v128
	v_add_u32_e32 v128, v65, v128
	ds_read_u8 v128, v128
	v_cndmask_b32_e32 v119, v116, v119, vcc
	v_cndmask_b32_e32 v112, v117, v118, vcc
	v_cmp_lt_u32_e64 s[4:5], v119, v115
	v_cndmask_b32_e32 v113, v113, v116, vcc
	s_waitcnt lgkmcnt(0)
	v_cndmask_b32_e32 v118, v118, v128, vcc
	v_cndmask_b32_e32 v115, v128, v117, vcc
	v_cmp_lt_u32_e32 vcc, v113, v114
	v_min_u16_sdwa v113, v118, v115 dst_sel:DWORD dst_unused:UNUSED_PAD src0_sel:BYTE_0 src1_sel:BYTE_0
	v_cndmask_b32_e32 v113, v115, v113, vcc
	v_cndmask_b32_e64 v113, v118, v113, s[4:5]
.LBB2853_27:
	s_or_b64 exec, exec, s[10:11]
	v_lshlrev_b16_e32 v114, 8, v80
	v_lshlrev_b16_e32 v115, 8, v85
	v_or_b32_sdwa v114, v3, v114 dst_sel:DWORD dst_unused:UNUSED_PAD src0_sel:BYTE_0 src1_sel:DWORD
	v_or_b32_sdwa v115, v83, v115 dst_sel:WORD_1 dst_unused:UNUSED_PAD src0_sel:BYTE_0 src1_sel:DWORD
	v_or_b32_sdwa v117, v114, v115 dst_sel:DWORD dst_unused:UNUSED_PAD src0_sel:WORD_0 src1_sel:DWORD
	v_lshlrev_b16_e32 v114, 8, v69
	v_lshlrev_b16_e32 v115, 8, v71
	v_or_b32_sdwa v114, v2, v114 dst_sel:DWORD dst_unused:UNUSED_PAD src0_sel:BYTE_0 src1_sel:DWORD
	v_or_b32_sdwa v115, v70, v115 dst_sel:WORD_1 dst_unused:UNUSED_PAD src0_sel:BYTE_0 src1_sel:DWORD
	v_or_b32_sdwa v116, v114, v115 dst_sel:DWORD dst_unused:UNUSED_PAD src0_sel:WORD_0 src1_sel:DWORD
	;; [unrolled: 5-line block ×4, first 2 shown]
	; wave barrier
	ds_write_b128 v84, v[114:117]
	v_lshlrev_b16_e32 v114, 8, v103
	v_lshlrev_b16_e32 v115, 8, v113
	v_or_b32_sdwa v114, v13, v114 dst_sel:DWORD dst_unused:UNUSED_PAD src0_sel:BYTE_0 src1_sel:DWORD
	v_or_b32_sdwa v115, v112, v115 dst_sel:WORD_1 dst_unused:UNUSED_PAD src0_sel:BYTE_0 src1_sel:DWORD
	v_or_b32_sdwa v117, v114, v115 dst_sel:DWORD dst_unused:UNUSED_PAD src0_sel:WORD_0 src1_sel:DWORD
	v_lshlrev_b16_e32 v114, 8, v100
	v_lshlrev_b16_e32 v115, 8, v102
	v_or_b32_sdwa v114, v12, v114 dst_sel:DWORD dst_unused:UNUSED_PAD src0_sel:BYTE_0 src1_sel:DWORD
	v_or_b32_sdwa v115, v101, v115 dst_sel:WORD_1 dst_unused:UNUSED_PAD src0_sel:BYTE_0 src1_sel:DWORD
	v_or_b32_sdwa v116, v114, v115 dst_sel:DWORD dst_unused:UNUSED_PAD src0_sel:WORD_0 src1_sel:DWORD
	v_lshlrev_b16_e32 v114, 8, v97
	v_lshlrev_b16_e32 v115, 8, v99
	v_or_b32_sdwa v114, v11, v114 dst_sel:DWORD dst_unused:UNUSED_PAD src0_sel:BYTE_0 src1_sel:DWORD
	v_or_b32_sdwa v115, v98, v115 dst_sel:WORD_1 dst_unused:UNUSED_PAD src0_sel:BYTE_0 src1_sel:DWORD
	v_or_b32_sdwa v115, v114, v115 dst_sel:DWORD dst_unused:UNUSED_PAD src0_sel:WORD_0 src1_sel:DWORD
	v_lshlrev_b16_e32 v114, 8, v86
	v_lshlrev_b16_e32 v118, 8, v96
	v_or_b32_sdwa v114, v10, v114 dst_sel:DWORD dst_unused:UNUSED_PAD src0_sel:BYTE_0 src1_sel:DWORD
	v_or_b32_sdwa v118, v87, v118 dst_sel:WORD_1 dst_unused:UNUSED_PAD src0_sel:BYTE_0 src1_sel:DWORD
	v_or_b32_sdwa v114, v114, v118 dst_sel:DWORD dst_unused:UNUSED_PAD src0_sel:WORD_0 src1_sel:DWORD
	ds_write_b128 v84, v[114:117] offset:16
	v_and_b32_e32 v116, 0xf00, v82
	v_or_b32_e32 v114, 0x80, v116
	v_min_u32_e32 v114, v81, v114
	v_add_u32_e32 v115, 0x80, v114
	v_min_u32_e32 v115, v81, v115
	v_and_b32_e32 v117, 0xe0, v82
	v_min_u32_e32 v117, v81, v117
	v_sub_u32_e32 v119, v114, v116
	v_sub_u32_e32 v118, v115, v114
	v_sub_u32_e64 v118, v117, v118 clamp
	v_min_u32_e32 v119, v117, v119
	v_cmp_lt_u32_e32 vcc, v118, v119
	; wave barrier
	s_and_saveexec_b64 s[4:5], vcc
	s_cbranch_execz .LBB2853_31
; %bb.28:
	v_add_u32_e32 v128, v65, v116
	v_add3_u32 v129, v65, v114, v117
	s_mov_b64 s[6:7], 0
.LBB2853_29:                            ; =>This Inner Loop Header: Depth=1
	v_add_u32_e32 v130, v119, v118
	v_lshrrev_b32_e32 v130, 1, v130
	v_add_u32_e32 v131, v128, v130
	v_xad_u32 v132, v130, -1, v129
	ds_read_u8 v131, v131
	ds_read_u8 v132, v132
	v_add_u32_e32 v133, 1, v130
	s_waitcnt lgkmcnt(0)
	v_cmp_gt_u16_e32 vcc, v131, v132
	v_cndmask_b32_e32 v119, v119, v130, vcc
	v_cndmask_b32_e32 v118, v133, v118, vcc
	v_cmp_ge_u32_e32 vcc, v118, v119
	s_or_b64 s[6:7], vcc, s[6:7]
	s_andn2_b64 exec, exec, s[6:7]
	s_cbranch_execnz .LBB2853_29
; %bb.30:
	s_or_b64 exec, exec, s[6:7]
.LBB2853_31:
	s_or_b64 exec, exec, s[4:5]
	v_add_u32_e32 v117, v114, v117
	v_add_u32_e32 v116, v118, v116
	v_sub_u32_e32 v117, v117, v118
	v_cmp_le_u32_e32 vcc, v116, v114
	v_cmp_le_u32_e64 s[4:5], v117, v115
	s_or_b64 s[4:5], vcc, s[4:5]
	s_and_saveexec_b64 s[10:11], s[4:5]
	s_cbranch_execz .LBB2853_37
; %bb.32:
	v_cmp_lt_u32_e32 vcc, v116, v114
                                        ; implicit-def: $vgpr1
	s_and_saveexec_b64 s[4:5], vcc
	s_cbranch_execz .LBB2853_34
; %bb.33:
	v_add_u32_e32 v0, v65, v116
	ds_read_u8 v1, v0
.LBB2853_34:
	s_or_b64 exec, exec, s[4:5]
	v_cmp_ge_u32_e64 s[4:5], v117, v115
	v_cmp_lt_u32_e64 s[6:7], v117, v115
                                        ; implicit-def: $vgpr2
	s_and_saveexec_b64 s[14:15], s[6:7]
	s_cbranch_execz .LBB2853_36
; %bb.35:
	v_add_u32_e32 v0, v65, v117
	ds_read_u8 v2, v0
.LBB2853_36:
	s_or_b64 exec, exec, s[14:15]
	s_waitcnt lgkmcnt(0)
	v_cmp_le_u16_sdwa s[6:7], v1, v2 src0_sel:BYTE_0 src1_sel:BYTE_0
	s_and_b64 s[6:7], vcc, s[6:7]
	s_or_b64 vcc, s[4:5], s[6:7]
	v_cndmask_b32_e32 v3, v117, v116, vcc
	v_cndmask_b32_e32 v10, v115, v114, vcc
	v_add_u32_e32 v3, 1, v3
	v_add_u32_e32 v10, -1, v10
	v_min_u32_e32 v10, v3, v10
	v_add_u32_e32 v10, v65, v10
	ds_read_u8 v10, v10
	v_cndmask_b32_e32 v0, v2, v1, vcc
	s_waitcnt lgkmcnt(0)
	v_cndmask_b32_e32 v2, v10, v2, vcc
	v_cndmask_b32_e32 v1, v1, v10, vcc
	;; [unrolled: 1-line block ×4, first 2 shown]
	v_cmp_lt_u32_e64 s[4:5], v3, v114
	v_cmp_le_u16_sdwa s[6:7], v1, v2 src0_sel:BYTE_0 src1_sel:BYTE_0
	v_cmp_ge_u32_e32 vcc, v10, v115
	s_and_b64 s[4:5], s[4:5], s[6:7]
	s_or_b64 vcc, vcc, s[4:5]
	v_cndmask_b32_e32 v11, v10, v3, vcc
	v_cndmask_b32_e32 v12, v115, v114, vcc
	v_add_u32_e32 v11, 1, v11
	v_add_u32_e32 v12, -1, v12
	v_min_u32_e32 v12, v11, v12
	v_add_u32_e32 v12, v65, v12
	ds_read_u8 v12, v12
	v_cndmask_b32_e32 v54, v2, v1, vcc
	v_cndmask_b32_e32 v3, v3, v11, vcc
	v_cndmask_b32_e32 v10, v11, v10, vcc
	v_cmp_lt_u32_e64 s[4:5], v3, v114
	s_waitcnt lgkmcnt(0)
	v_cndmask_b32_e32 v2, v12, v2, vcc
	v_cndmask_b32_e32 v1, v1, v12, vcc
	v_cmp_le_u16_sdwa s[6:7], v1, v2 src0_sel:BYTE_0 src1_sel:BYTE_0
	v_cmp_ge_u32_e32 vcc, v10, v115
	s_and_b64 s[4:5], s[4:5], s[6:7]
	s_or_b64 vcc, vcc, s[4:5]
	v_cndmask_b32_e32 v11, v10, v3, vcc
	v_cndmask_b32_e32 v12, v115, v114, vcc
	v_add_u32_e32 v11, 1, v11
	v_add_u32_e32 v12, -1, v12
	v_min_u32_e32 v12, v11, v12
	v_add_u32_e32 v12, v65, v12
	ds_read_u8 v12, v12
	v_cndmask_b32_e32 v55, v2, v1, vcc
	v_cndmask_b32_e32 v3, v3, v11, vcc
	v_cndmask_b32_e32 v10, v11, v10, vcc
	v_cmp_lt_u32_e64 s[4:5], v3, v114
	s_waitcnt lgkmcnt(0)
	v_cndmask_b32_e32 v2, v12, v2, vcc
	v_cndmask_b32_e32 v1, v1, v12, vcc
	;; [unrolled: 18-line block ×14, first 2 shown]
	v_cmp_le_u16_sdwa s[6:7], v12, v87 src0_sel:BYTE_0 src1_sel:BYTE_0
	v_cmp_ge_u32_e32 vcc, v10, v115
	s_and_b64 s[4:5], s[4:5], s[6:7]
	s_or_b64 vcc, vcc, s[4:5]
	v_cndmask_b32_e32 v13, v10, v11, vcc
	v_cndmask_b32_e32 v86, v115, v114, vcc
	v_add_u32_e32 v13, 1, v13
	v_add_u32_e32 v86, -1, v86
	v_min_u32_e32 v86, v13, v86
	v_add_u32_e32 v86, v65, v86
	ds_read_u8 v86, v86
	v_cndmask_b32_e32 v85, v87, v12, vcc
	v_cndmask_b32_e32 v11, v11, v13, vcc
	v_cmp_lt_u32_e64 s[4:5], v11, v114
	s_waitcnt lgkmcnt(0)
	v_cndmask_b32_e32 v87, v86, v87, vcc
	v_cndmask_b32_e32 v12, v12, v86, vcc
	;; [unrolled: 1-line block ×3, first 2 shown]
	v_cmp_le_u16_sdwa s[6:7], v12, v87 src0_sel:BYTE_0 src1_sel:BYTE_0
	v_cmp_ge_u32_e32 vcc, v86, v115
	s_and_b64 s[4:5], s[4:5], s[6:7]
	s_or_b64 vcc, vcc, s[4:5]
	v_cndmask_b32_e32 v13, v86, v11, vcc
	v_cndmask_b32_e32 v96, v115, v114, vcc
	v_add_u32_e32 v13, 1, v13
	v_add_u32_e32 v96, -1, v96
	v_min_u32_e32 v96, v13, v96
	v_add_u32_e32 v96, v65, v96
	ds_read_u8 v96, v96
	v_cndmask_b32_e32 v10, v87, v12, vcc
	v_cndmask_b32_e32 v11, v11, v13, vcc
	v_cmp_lt_u32_e64 s[4:5], v11, v114
	s_waitcnt lgkmcnt(0)
	v_cndmask_b32_e32 v87, v96, v87, vcc
	v_cndmask_b32_e32 v12, v12, v96, vcc
	v_cndmask_b32_e32 v96, v13, v86, vcc
	v_cmp_le_u16_sdwa s[6:7], v12, v87 src0_sel:BYTE_0 src1_sel:BYTE_0
	v_cmp_ge_u32_e32 vcc, v96, v115
	s_and_b64 s[4:5], s[4:5], s[6:7]
	s_or_b64 vcc, vcc, s[4:5]
	v_cndmask_b32_e32 v13, v96, v11, vcc
	v_cndmask_b32_e32 v97, v115, v114, vcc
	v_add_u32_e32 v13, 1, v13
	v_add_u32_e32 v97, -1, v97
	v_min_u32_e32 v97, v13, v97
	v_add_u32_e32 v97, v65, v97
	ds_read_u8 v97, v97
	v_cndmask_b32_e32 v86, v87, v12, vcc
	v_cndmask_b32_e32 v11, v11, v13, vcc
	v_cndmask_b32_e32 v96, v13, v96, vcc
	v_cmp_lt_u32_e64 s[4:5], v11, v114
	s_waitcnt lgkmcnt(0)
	v_cndmask_b32_e32 v98, v97, v87, vcc
	v_cndmask_b32_e32 v12, v12, v97, vcc
	v_cmp_le_u16_sdwa s[6:7], v12, v98 src0_sel:BYTE_0 src1_sel:BYTE_0
	v_cmp_ge_u32_e32 vcc, v96, v115
	s_and_b64 s[4:5], s[4:5], s[6:7]
	s_or_b64 vcc, vcc, s[4:5]
	v_cndmask_b32_e32 v13, v96, v11, vcc
	v_cndmask_b32_e32 v97, v115, v114, vcc
	v_add_u32_e32 v13, 1, v13
	v_add_u32_e32 v97, -1, v97
	v_min_u32_e32 v97, v13, v97
	v_add_u32_e32 v97, v65, v97
	ds_read_u8 v97, v97
	v_cndmask_b32_e32 v87, v98, v12, vcc
	v_cndmask_b32_e32 v11, v11, v13, vcc
	v_cmp_lt_u32_e64 s[4:5], v11, v114
	s_waitcnt lgkmcnt(0)
	v_cndmask_b32_e32 v98, v97, v98, vcc
	v_cndmask_b32_e32 v12, v12, v97, vcc
	v_cndmask_b32_e32 v97, v13, v96, vcc
	v_cmp_le_u16_sdwa s[6:7], v12, v98 src0_sel:BYTE_0 src1_sel:BYTE_0
	v_cmp_ge_u32_e32 vcc, v97, v115
	s_and_b64 s[4:5], s[4:5], s[6:7]
	s_or_b64 vcc, vcc, s[4:5]
	v_cndmask_b32_e32 v13, v97, v11, vcc
	v_cndmask_b32_e32 v99, v115, v114, vcc
	v_add_u32_e32 v13, 1, v13
	v_add_u32_e32 v99, -1, v99
	v_min_u32_e32 v99, v13, v99
	v_add_u32_e32 v99, v65, v99
	ds_read_u8 v99, v99
	v_cndmask_b32_e32 v96, v98, v12, vcc
	v_cndmask_b32_e32 v97, v13, v97, vcc
	v_cndmask_b32_e32 v13, v11, v13, vcc
	v_cmp_lt_u32_e64 s[4:5], v13, v114
	s_waitcnt lgkmcnt(0)
	v_cndmask_b32_e32 v98, v99, v98, vcc
	v_cndmask_b32_e32 v12, v12, v99, vcc
	;; [unrolled: 36-line block ×3, first 2 shown]
	v_cmp_le_u16_sdwa s[6:7], v12, v102 src0_sel:BYTE_0 src1_sel:BYTE_0
	v_cmp_ge_u32_e32 vcc, v100, v115
	s_and_b64 s[4:5], s[4:5], s[6:7]
	s_or_b64 vcc, vcc, s[4:5]
	v_cndmask_b32_e32 v99, v100, v13, vcc
	v_cndmask_b32_e32 v101, v115, v114, vcc
	v_add_u32_e32 v99, 1, v99
	v_add_u32_e32 v101, -1, v101
	v_min_u32_e32 v101, v99, v101
	v_add_u32_e32 v101, v65, v101
	ds_read_u8 v101, v101
	v_cndmask_b32_e32 v98, v102, v12, vcc
	v_cndmask_b32_e32 v13, v13, v99, vcc
	;; [unrolled: 1-line block ×3, first 2 shown]
	v_cmp_lt_u32_e64 s[4:5], v13, v114
	s_waitcnt lgkmcnt(0)
	v_cndmask_b32_e32 v102, v101, v102, vcc
	v_cndmask_b32_e32 v12, v12, v101, vcc
	v_cmp_le_u16_sdwa s[6:7], v12, v102 src0_sel:BYTE_0 src1_sel:BYTE_0
	v_cmp_ge_u32_e32 vcc, v100, v115
	s_and_b64 s[4:5], s[4:5], s[6:7]
	s_or_b64 vcc, vcc, s[4:5]
	v_cndmask_b32_e32 v101, v100, v13, vcc
	v_cndmask_b32_e32 v103, v115, v114, vcc
	v_add_u32_e32 v101, 1, v101
	v_add_u32_e32 v103, -1, v103
	v_min_u32_e32 v103, v101, v103
	v_add_u32_e32 v103, v65, v103
	ds_read_u8 v103, v103
	v_cndmask_b32_e32 v99, v102, v12, vcc
	v_cndmask_b32_e32 v13, v13, v101, vcc
	;; [unrolled: 1-line block ×3, first 2 shown]
	v_cmp_lt_u32_e64 s[4:5], v13, v114
	s_waitcnt lgkmcnt(0)
	v_cndmask_b32_e32 v102, v103, v102, vcc
	v_cndmask_b32_e32 v103, v12, v103, vcc
	v_cmp_le_u16_sdwa s[6:7], v103, v102 src0_sel:BYTE_0 src1_sel:BYTE_0
	v_cmp_ge_u32_e32 vcc, v100, v115
	s_and_b64 s[4:5], s[4:5], s[6:7]
	s_or_b64 vcc, vcc, s[4:5]
	v_cndmask_b32_e32 v101, v100, v13, vcc
	v_cndmask_b32_e32 v112, v115, v114, vcc
	v_add_u32_e32 v101, 1, v101
	v_add_u32_e32 v112, -1, v112
	v_min_u32_e32 v112, v101, v112
	v_add_u32_e32 v112, v65, v112
	ds_read_u8 v112, v112
	v_cndmask_b32_e32 v12, v102, v103, vcc
	v_cndmask_b32_e32 v13, v13, v101, vcc
	v_cmp_lt_u32_e64 s[4:5], v13, v114
	s_waitcnt lgkmcnt(0)
	v_cndmask_b32_e32 v102, v112, v102, vcc
	v_cndmask_b32_e32 v103, v103, v112, vcc
	;; [unrolled: 1-line block ×3, first 2 shown]
	v_cmp_le_u16_sdwa s[6:7], v103, v102 src0_sel:BYTE_0 src1_sel:BYTE_0
	v_cmp_ge_u32_e32 vcc, v112, v115
	s_and_b64 s[4:5], s[4:5], s[6:7]
	s_or_b64 vcc, vcc, s[4:5]
	v_cndmask_b32_e32 v101, v112, v13, vcc
	v_cndmask_b32_e32 v113, v115, v114, vcc
	v_add_u32_e32 v101, 1, v101
	v_add_u32_e32 v113, -1, v113
	v_min_u32_e32 v113, v101, v113
	v_add_u32_e32 v113, v65, v113
	ds_read_u8 v113, v113
	v_cndmask_b32_e32 v100, v102, v103, vcc
	v_cndmask_b32_e32 v13, v13, v101, vcc
	v_cndmask_b32_e32 v112, v101, v112, vcc
	v_cmp_lt_u32_e64 s[4:5], v13, v114
	s_waitcnt lgkmcnt(0)
	v_cndmask_b32_e32 v102, v113, v102, vcc
	v_cndmask_b32_e32 v103, v103, v113, vcc
	v_cmp_le_u16_sdwa s[6:7], v103, v102 src0_sel:BYTE_0 src1_sel:BYTE_0
	v_cmp_ge_u32_e32 vcc, v112, v115
	s_and_b64 s[4:5], s[4:5], s[6:7]
	s_or_b64 vcc, vcc, s[4:5]
	v_cndmask_b32_e32 v113, v112, v13, vcc
	v_cndmask_b32_e32 v116, v115, v114, vcc
	v_add_u32_e32 v113, 1, v113
	v_add_u32_e32 v116, -1, v116
	v_min_u32_e32 v116, v113, v116
	v_add_u32_e32 v116, v65, v116
	ds_read_u8 v116, v116
	v_cndmask_b32_e32 v101, v102, v103, vcc
	v_cndmask_b32_e32 v13, v13, v113, vcc
	v_cndmask_b32_e32 v112, v113, v112, vcc
	v_cmp_lt_u32_e64 s[4:5], v13, v114
	s_waitcnt lgkmcnt(0)
	v_cndmask_b32_e32 v117, v116, v102, vcc
	v_cndmask_b32_e32 v103, v103, v116, vcc
	;; [unrolled: 18-line block ×4, first 2 shown]
	v_cmp_le_u16_sdwa s[6:7], v118, v117 src0_sel:BYTE_0 src1_sel:BYTE_0
	v_cmp_ge_u32_e32 vcc, v112, v115
	s_and_b64 s[4:5], s[4:5], s[6:7]
	s_or_b64 vcc, vcc, s[4:5]
	v_cndmask_b32_e32 v116, v112, v113, vcc
	v_cndmask_b32_e32 v119, v115, v114, vcc
	v_add_u32_e32 v116, 1, v116
	v_add_u32_e32 v119, -1, v119
	v_min_u32_e32 v119, v116, v119
	v_add_u32_e32 v119, v65, v119
	ds_read_u8 v119, v119
	v_cndmask_b32_e32 v103, v117, v118, vcc
	v_cndmask_b32_e32 v113, v113, v116, vcc
	v_cmp_lt_u32_e64 s[4:5], v113, v114
	s_waitcnt lgkmcnt(0)
	v_cndmask_b32_e32 v117, v119, v117, vcc
	v_cndmask_b32_e32 v118, v118, v119, vcc
	;; [unrolled: 1-line block ×3, first 2 shown]
	v_cmp_le_u16_sdwa s[6:7], v118, v117 src0_sel:BYTE_0 src1_sel:BYTE_0
	v_cmp_ge_u32_e32 vcc, v119, v115
	s_and_b64 s[4:5], s[4:5], s[6:7]
	s_or_b64 vcc, vcc, s[4:5]
	v_cndmask_b32_e32 v116, v119, v113, vcc
	v_cndmask_b32_e32 v128, v115, v114, vcc
	v_add_u32_e32 v116, 1, v116
	v_add_u32_e32 v128, -1, v128
	v_min_u32_e32 v128, v116, v128
	v_add_u32_e32 v128, v65, v128
	ds_read_u8 v128, v128
	v_cndmask_b32_e32 v119, v116, v119, vcc
	v_cndmask_b32_e32 v112, v117, v118, vcc
	v_cmp_lt_u32_e64 s[4:5], v119, v115
	v_cndmask_b32_e32 v113, v113, v116, vcc
	s_waitcnt lgkmcnt(0)
	v_cndmask_b32_e32 v118, v118, v128, vcc
	v_cndmask_b32_e32 v115, v128, v117, vcc
	v_cmp_lt_u32_e32 vcc, v113, v114
	v_min_u16_sdwa v113, v118, v115 dst_sel:DWORD dst_unused:UNUSED_PAD src0_sel:BYTE_0 src1_sel:BYTE_0
	v_cndmask_b32_e32 v113, v115, v113, vcc
	v_cndmask_b32_e64 v113, v118, v113, s[4:5]
.LBB2853_37:
	s_or_b64 exec, exec, s[10:11]
	v_lshlrev_b16_e32 v114, 8, v80
	v_lshlrev_b16_e32 v115, 8, v85
	v_or_b32_sdwa v114, v3, v114 dst_sel:DWORD dst_unused:UNUSED_PAD src0_sel:BYTE_0 src1_sel:DWORD
	v_or_b32_sdwa v115, v83, v115 dst_sel:WORD_1 dst_unused:UNUSED_PAD src0_sel:BYTE_0 src1_sel:DWORD
	v_or_b32_sdwa v117, v114, v115 dst_sel:DWORD dst_unused:UNUSED_PAD src0_sel:WORD_0 src1_sel:DWORD
	v_lshlrev_b16_e32 v114, 8, v69
	v_lshlrev_b16_e32 v115, 8, v71
	v_or_b32_sdwa v114, v2, v114 dst_sel:DWORD dst_unused:UNUSED_PAD src0_sel:BYTE_0 src1_sel:DWORD
	v_or_b32_sdwa v115, v70, v115 dst_sel:WORD_1 dst_unused:UNUSED_PAD src0_sel:BYTE_0 src1_sel:DWORD
	v_or_b32_sdwa v116, v114, v115 dst_sel:DWORD dst_unused:UNUSED_PAD src0_sel:WORD_0 src1_sel:DWORD
	;; [unrolled: 5-line block ×4, first 2 shown]
	; wave barrier
	ds_write_b128 v84, v[114:117]
	v_lshlrev_b16_e32 v114, 8, v103
	v_lshlrev_b16_e32 v115, 8, v113
	v_or_b32_sdwa v114, v13, v114 dst_sel:DWORD dst_unused:UNUSED_PAD src0_sel:BYTE_0 src1_sel:DWORD
	v_or_b32_sdwa v115, v112, v115 dst_sel:WORD_1 dst_unused:UNUSED_PAD src0_sel:BYTE_0 src1_sel:DWORD
	v_or_b32_sdwa v117, v114, v115 dst_sel:DWORD dst_unused:UNUSED_PAD src0_sel:WORD_0 src1_sel:DWORD
	v_lshlrev_b16_e32 v114, 8, v100
	v_lshlrev_b16_e32 v115, 8, v102
	v_or_b32_sdwa v114, v12, v114 dst_sel:DWORD dst_unused:UNUSED_PAD src0_sel:BYTE_0 src1_sel:DWORD
	v_or_b32_sdwa v115, v101, v115 dst_sel:WORD_1 dst_unused:UNUSED_PAD src0_sel:BYTE_0 src1_sel:DWORD
	v_or_b32_sdwa v116, v114, v115 dst_sel:DWORD dst_unused:UNUSED_PAD src0_sel:WORD_0 src1_sel:DWORD
	;; [unrolled: 5-line block ×4, first 2 shown]
	ds_write_b128 v84, v[114:117] offset:16
	v_and_b32_e32 v115, 0xe00, v82
	v_or_b32_e32 v84, 0x100, v115
	v_min_u32_e32 v84, v81, v84
	v_add_u32_e32 v114, 0x100, v84
	v_min_u32_e32 v114, v81, v114
	v_and_b32_e32 v82, 0x1e0, v82
	v_min_u32_e32 v82, v81, v82
	v_sub_u32_e32 v81, v84, v115
	v_sub_u32_e32 v116, v114, v84
	v_sub_u32_e64 v116, v82, v116 clamp
	v_min_u32_e32 v81, v82, v81
	v_cmp_lt_u32_e32 vcc, v116, v81
	; wave barrier
	s_and_saveexec_b64 s[4:5], vcc
	s_cbranch_execz .LBB2853_41
; %bb.38:
	v_add_u32_e32 v117, v65, v115
	v_add3_u32 v118, v65, v84, v82
	s_mov_b64 s[6:7], 0
.LBB2853_39:                            ; =>This Inner Loop Header: Depth=1
	v_add_u32_e32 v119, v81, v116
	v_lshrrev_b32_e32 v119, 1, v119
	v_add_u32_e32 v128, v117, v119
	v_xad_u32 v129, v119, -1, v118
	ds_read_u8 v128, v128
	ds_read_u8 v129, v129
	v_add_u32_e32 v130, 1, v119
	s_waitcnt lgkmcnt(0)
	v_cmp_gt_u16_e32 vcc, v128, v129
	v_cndmask_b32_e32 v81, v81, v119, vcc
	v_cndmask_b32_e32 v116, v130, v116, vcc
	v_cmp_ge_u32_e32 vcc, v116, v81
	s_or_b64 s[6:7], vcc, s[6:7]
	s_andn2_b64 exec, exec, s[6:7]
	s_cbranch_execnz .LBB2853_39
; %bb.40:
	s_or_b64 exec, exec, s[6:7]
.LBB2853_41:
	s_or_b64 exec, exec, s[4:5]
	v_add_u32_e32 v82, v84, v82
	v_add_u32_e32 v81, v116, v115
	v_sub_u32_e32 v82, v82, v116
	v_cmp_le_u32_e32 vcc, v81, v84
	v_cmp_le_u32_e64 s[4:5], v82, v114
	s_or_b64 s[4:5], vcc, s[4:5]
	s_and_saveexec_b64 s[60:61], s[4:5]
	s_cbranch_execz .LBB2853_47
; %bb.42:
	v_cmp_lt_u32_e32 vcc, v81, v84
                                        ; implicit-def: $vgpr0
	s_and_saveexec_b64 s[4:5], vcc
	s_cbranch_execz .LBB2853_44
; %bb.43:
	v_add_u32_e32 v0, v65, v81
	ds_read_u8 v0, v0
.LBB2853_44:
	s_or_b64 exec, exec, s[4:5]
	v_cmp_ge_u32_e64 s[4:5], v82, v114
	v_cmp_lt_u32_e64 s[6:7], v82, v114
                                        ; implicit-def: $vgpr1
	s_and_saveexec_b64 s[10:11], s[6:7]
	s_cbranch_execz .LBB2853_46
; %bb.45:
	v_add_u32_e32 v1, v65, v82
	ds_read_u8 v1, v1
.LBB2853_46:
	s_or_b64 exec, exec, s[10:11]
	s_waitcnt lgkmcnt(0)
	v_cmp_le_u16_sdwa s[6:7], v0, v1 src0_sel:BYTE_0 src1_sel:BYTE_0
	s_and_b64 s[6:7], vcc, s[6:7]
	s_or_b64 vcc, s[4:5], s[6:7]
	v_cndmask_b32_e32 v2, v82, v81, vcc
	v_cndmask_b32_e32 v3, v114, v84, vcc
	v_add_u32_e32 v2, 1, v2
	v_add_u32_e32 v3, -1, v3
	v_min_u32_e32 v3, v2, v3
	v_add_u32_e32 v3, v65, v3
	ds_read_u8 v3, v3
	v_cndmask_b32_e32 v10, v2, v82, vcc
	v_cndmask_b32_e32 v2, v81, v2, vcc
	v_cmp_lt_u32_e64 s[6:7], v2, v84
	v_cmp_ge_u32_e64 s[4:5], v10, v114
	s_waitcnt lgkmcnt(0)
	v_cndmask_b32_e32 v11, v3, v1, vcc
	v_cndmask_b32_e32 v3, v0, v3, vcc
	v_cmp_le_u16_sdwa s[10:11], v3, v11 src0_sel:BYTE_0 src1_sel:BYTE_0
	s_and_b64 s[6:7], s[6:7], s[10:11]
	s_or_b64 s[4:5], s[4:5], s[6:7]
	v_cndmask_b32_e64 v12, v10, v2, s[4:5]
	v_cndmask_b32_e64 v13, v114, v84, s[4:5]
	v_add_u32_e32 v12, 1, v12
	v_add_u32_e32 v13, -1, v13
	v_min_u32_e32 v13, v12, v13
	v_add_u32_e32 v13, v65, v13
	ds_read_u8 v13, v13
	v_cndmask_b32_e64 v2, v2, v12, s[4:5]
	v_cndmask_b32_e64 v10, v12, v10, s[4:5]
	v_cmp_lt_u32_e64 s[10:11], v2, v84
	v_cmp_ge_u32_e64 s[6:7], v10, v114
	s_waitcnt lgkmcnt(0)
	v_cndmask_b32_e64 v55, v13, v11, s[4:5]
	v_cndmask_b32_e64 v13, v3, v13, s[4:5]
	v_cmp_le_u16_sdwa s[14:15], v13, v55 src0_sel:BYTE_0 src1_sel:BYTE_0
	s_and_b64 s[10:11], s[10:11], s[14:15]
	s_or_b64 s[10:11], s[6:7], s[10:11]
	v_cndmask_b32_e64 v12, v10, v2, s[10:11]
	v_cndmask_b32_e64 v54, v114, v84, s[10:11]
	v_add_u32_e32 v12, 1, v12
	v_add_u32_e32 v54, -1, v54
	v_min_u32_e32 v54, v12, v54
	v_add_u32_e32 v54, v65, v54
	ds_read_u8 v54, v54
	v_cndmask_b32_e64 v2, v2, v12, s[10:11]
	v_cndmask_b32_e64 v10, v12, v10, s[10:11]
	v_cmp_lt_u32_e64 s[14:15], v2, v84
	v_cmp_ge_u32_e64 s[6:7], v10, v114
	s_waitcnt lgkmcnt(0)
	v_cndmask_b32_e64 v64, v54, v55, s[10:11]
	v_cndmask_b32_e64 v66, v13, v54, s[10:11]
	;; [unrolled: 17-line block ×22, first 2 shown]
	v_cmp_le_u16_sdwa s[62:63], v148, v147 src0_sel:BYTE_0 src1_sel:BYTE_0
	s_and_b64 s[56:57], s[56:57], s[62:63]
	s_or_b64 s[50:51], s[50:51], s[56:57]
	v_cndmask_b32_e64 v12, v10, v2, s[50:51]
	v_cndmask_b32_e64 v54, v114, v84, s[50:51]
	v_add_u32_e32 v12, 1, v12
	v_add_u32_e32 v54, -1, v54
	v_min_u32_e32 v54, v12, v54
	v_add_u32_e32 v54, v65, v54
	ds_read_u8 v149, v54
	v_cndmask_b32_e64 v55, v55, v13, s[10:11]
	v_cndmask_b32_e64 v2, v2, v12, s[50:51]
	;; [unrolled: 1-line block ×4, first 2 shown]
	s_waitcnt lgkmcnt(0)
	v_cndmask_b32_e64 v13, v149, v147, s[50:51]
	v_cndmask_b32_e64 v149, v148, v149, s[50:51]
	v_cmp_lt_u32_e64 s[4:5], v2, v84
	v_cmp_le_u16_sdwa s[10:11], v149, v13 src0_sel:BYTE_0 src1_sel:BYTE_0
	v_cndmask_b32_e32 v0, v1, v0, vcc
	v_cmp_ge_u32_e32 vcc, v3, v114
	s_and_b64 s[4:5], s[4:5], s[10:11]
	s_or_b64 vcc, vcc, s[4:5]
	v_cndmask_b32_e32 v1, v3, v2, vcc
	v_cndmask_b32_e32 v10, v114, v84, vcc
	v_add_u32_e32 v11, 1, v1
	v_add_u32_e32 v1, -1, v10
	v_min_u32_e32 v1, v11, v1
	v_add_u32_e32 v1, v65, v1
	ds_read_u8 v10, v1
	v_cndmask_b32_e64 v64, v64, v66, s[6:7]
	v_cndmask_b32_e32 v3, v11, v3, vcc
	v_cmp_ge_u32_e64 s[4:5], v3, v114
	v_cndmask_b32_e64 v1, v67, v68, s[54:55]
	s_waitcnt lgkmcnt(0)
	v_cndmask_b32_e32 v150, v10, v13, vcc
	v_cndmask_b32_e32 v151, v149, v10, vcc
	;; [unrolled: 1-line block ×3, first 2 shown]
	v_cmp_lt_u32_e64 s[6:7], v10, v84
	v_cmp_le_u16_sdwa s[10:11], v151, v150 src0_sel:BYTE_0 src1_sel:BYTE_0
	s_and_b64 s[6:7], s[6:7], s[10:11]
	s_or_b64 s[4:5], s[4:5], s[6:7]
	v_cndmask_b32_e64 v2, v3, v10, s[4:5]
	v_cndmask_b32_e64 v11, v114, v84, s[4:5]
	v_add_u32_e32 v12, 1, v2
	v_add_u32_e32 v2, -1, v11
	v_min_u32_e32 v2, v12, v2
	v_add_u32_e32 v2, v65, v2
	ds_read_u8 v11, v2
	v_cndmask_b32_e64 v68, v81, v82, s[16:17]
	v_cndmask_b32_e64 v10, v10, v12, s[4:5]
	;; [unrolled: 1-line block ×3, first 2 shown]
	v_cmp_lt_u32_e64 s[10:11], v10, v84
	s_waitcnt lgkmcnt(0)
	v_cndmask_b32_e64 v81, v11, v150, s[4:5]
	v_cndmask_b32_e64 v82, v151, v11, s[4:5]
	;; [unrolled: 1-line block ×3, first 2 shown]
	v_cmp_le_u16_sdwa s[14:15], v82, v81 src0_sel:BYTE_0 src1_sel:BYTE_0
	v_cmp_ge_u32_e64 s[6:7], v11, v114
	s_and_b64 s[10:11], s[10:11], s[14:15]
	s_or_b64 s[6:7], s[6:7], s[10:11]
	v_cndmask_b32_e64 v3, v11, v10, s[6:7]
	v_cndmask_b32_e64 v12, v114, v84, s[6:7]
	v_cndmask_b32_e64 v2, v83, v85, s[20:21]
	v_add_u32_e32 v85, 1, v3
	v_add_u32_e32 v3, -1, v12
	v_min_u32_e32 v3, v85, v3
	v_add_u32_e32 v3, v65, v3
	ds_read_u8 v12, v3
	v_cndmask_b32_e64 v67, v71, v80, s[18:19]
	v_cndmask_b32_e64 v80, v102, v103, s[30:31]
	;; [unrolled: 1-line block ×3, first 2 shown]
	v_cmp_ge_u32_e64 s[10:11], v11, v114
	s_waitcnt lgkmcnt(0)
	v_cndmask_b32_e64 v102, v12, v81, s[6:7]
	v_cndmask_b32_e64 v103, v82, v12, s[6:7]
	;; [unrolled: 1-line block ×3, first 2 shown]
	v_cmp_lt_u32_e64 s[14:15], v12, v84
	v_cmp_le_u16_sdwa s[16:17], v103, v102 src0_sel:BYTE_0 src1_sel:BYTE_0
	s_and_b64 s[14:15], s[14:15], s[16:17]
	s_or_b64 s[10:11], s[10:11], s[14:15]
	v_cndmask_b32_e64 v10, v11, v12, s[10:11]
	v_cndmask_b32_e64 v85, v114, v84, s[10:11]
	;; [unrolled: 1-line block ×3, first 2 shown]
	v_add_u32_e32 v96, 1, v10
	v_add_u32_e32 v10, -1, v85
	v_min_u32_e32 v10, v96, v10
	v_add_u32_e32 v10, v65, v10
	ds_read_u8 v97, v10
	v_cndmask_b32_e64 v83, v112, v113, s[36:37]
	v_cndmask_b32_e64 v12, v12, v96, s[10:11]
	;; [unrolled: 1-line block ×4, first 2 shown]
	s_waitcnt lgkmcnt(0)
	v_cndmask_b32_e64 v112, v97, v102, s[10:11]
	v_cndmask_b32_e64 v113, v103, v97, s[10:11]
	v_cmp_lt_u32_e64 s[16:17], v12, v84
	v_cmp_le_u16_sdwa s[18:19], v113, v112 src0_sel:BYTE_0 src1_sel:BYTE_0
	v_cmp_ge_u32_e64 s[14:15], v99, v114
	s_and_b64 s[16:17], s[16:17], s[18:19]
	s_or_b64 s[14:15], s[14:15], s[16:17]
	v_cndmask_b32_e64 v11, v99, v12, s[14:15]
	v_cndmask_b32_e64 v96, v114, v84, s[14:15]
	;; [unrolled: 1-line block ×3, first 2 shown]
	v_add_u32_e32 v100, 1, v11
	v_add_u32_e32 v11, -1, v96
	v_min_u32_e32 v11, v100, v11
	v_add_u32_e32 v11, v65, v11
	ds_read_u8 v101, v11
	v_cndmask_b32_e64 v85, v115, v116, s[34:35]
	v_cndmask_b32_e64 v10, v117, v118, s[38:39]
	v_cndmask_b32_e64 v118, v12, v100, s[14:15]
	v_cndmask_b32_e64 v117, v100, v99, s[14:15]
	s_waitcnt lgkmcnt(0)
	v_cndmask_b32_e64 v115, v101, v112, s[14:15]
	v_cndmask_b32_e64 v116, v113, v101, s[14:15]
	v_cmp_lt_u32_e64 s[18:19], v118, v84
	v_cmp_le_u16_sdwa s[20:21], v116, v115 src0_sel:BYTE_0 src1_sel:BYTE_0
	v_cmp_ge_u32_e64 s[16:17], v117, v114
	s_and_b64 s[18:19], s[18:19], s[20:21]
	s_or_b64 s[16:17], s[16:17], s[18:19]
	v_cndmask_b32_e64 v12, v117, v118, s[16:17]
	v_cndmask_b32_e64 v99, v114, v84, s[16:17]
	;; [unrolled: 1-line block ×4, first 2 shown]
	v_add_u32_e32 v119, 1, v12
	v_add_u32_e32 v12, -1, v99
	v_min_u32_e32 v12, v119, v12
	v_add_u32_e32 v12, v65, v12
	ds_read_u8 v128, v12
	v_cndmask_b32_e64 v101, v81, v82, s[6:7]
	v_cndmask_b32_e64 v118, v118, v119, s[16:17]
	v_cndmask_b32_e64 v100, v150, v151, s[4:5]
	v_cndmask_b32_e64 v117, v119, v117, s[16:17]
	s_waitcnt lgkmcnt(0)
	v_cndmask_b32_e64 v81, v128, v115, s[16:17]
	v_cndmask_b32_e64 v82, v116, v128, s[16:17]
	v_cmp_lt_u32_e64 s[4:5], v118, v84
	v_cmp_le_u16_sdwa s[6:7], v82, v81 src0_sel:BYTE_0 src1_sel:BYTE_0
	v_cndmask_b32_e32 v12, v13, v149, vcc
	v_cmp_ge_u32_e32 vcc, v117, v114
	s_and_b64 s[4:5], s[4:5], s[6:7]
	s_or_b64 vcc, vcc, s[4:5]
	v_cndmask_b32_e32 v13, v117, v118, vcc
	v_cndmask_b32_e32 v119, v114, v84, vcc
	v_add_u32_e32 v128, 1, v13
	v_add_u32_e32 v13, -1, v119
	v_min_u32_e32 v13, v128, v13
	v_add_u32_e32 v13, v65, v13
	ds_read_u8 v65, v13
	v_cndmask_b32_e64 v13, v112, v113, s[14:15]
	v_cndmask_b32_e32 v112, v81, v82, vcc
	v_cndmask_b32_e64 v102, v102, v103, s[10:11]
	v_cndmask_b32_e64 v103, v115, v116, s[16:17]
	s_waitcnt lgkmcnt(0)
	v_cndmask_b32_e32 v82, v82, v65, vcc
	v_cndmask_b32_e32 v65, v65, v81, vcc
	;; [unrolled: 1-line block ×4, first 2 shown]
	v_min_u16_sdwa v115, v82, v65 dst_sel:DWORD dst_unused:UNUSED_PAD src0_sel:BYTE_0 src1_sel:BYTE_0
	v_cmp_lt_u32_e32 vcc, v81, v84
	v_cndmask_b32_e32 v65, v65, v115, vcc
	v_cmp_lt_u32_e32 vcc, v113, v114
	v_cndmask_b32_e64 v87, v129, v130, s[44:45]
	v_cndmask_b32_e64 v96, v131, v132, s[42:43]
	;; [unrolled: 1-line block ×6, first 2 shown]
	v_cndmask_b32_e32 v113, v82, v65, vcc
.LBB2853_47:
	s_or_b64 exec, exec, s[60:61]
	s_movk_i32 s62, 0x200
	; wave barrier
	s_waitcnt lgkmcnt(0)
	s_barrier
.LBB2853_48:                            ; =>This Loop Header: Depth=1
                                        ;     Child Loop BB2853_50 Depth 2
	v_lshlrev_b16_e32 v65, 8, v80
	v_lshlrev_b16_e32 v81, 8, v85
	v_or_b32_sdwa v65, v3, v65 dst_sel:DWORD dst_unused:UNUSED_PAD src0_sel:BYTE_0 src1_sel:DWORD
	v_or_b32_sdwa v81, v83, v81 dst_sel:WORD_1 dst_unused:UNUSED_PAD src0_sel:BYTE_0 src1_sel:DWORD
	v_or_b32_sdwa v117, v65, v81 dst_sel:DWORD dst_unused:UNUSED_PAD src0_sel:WORD_0 src1_sel:DWORD
	v_lshlrev_b16_e32 v65, 8, v69
	v_lshlrev_b16_e32 v81, 8, v71
	v_or_b32_sdwa v65, v2, v65 dst_sel:DWORD dst_unused:UNUSED_PAD src0_sel:BYTE_0 src1_sel:DWORD
	v_or_b32_sdwa v81, v70, v81 dst_sel:WORD_1 dst_unused:UNUSED_PAD src0_sel:BYTE_0 src1_sel:DWORD
	v_or_b32_sdwa v116, v65, v81 dst_sel:DWORD dst_unused:UNUSED_PAD src0_sel:WORD_0 src1_sel:DWORD
	;; [unrolled: 5-line block ×4, first 2 shown]
	v_lshlrev_b16_e32 v65, 8, v103
	v_lshlrev_b16_e32 v81, 8, v113
	v_or_b32_sdwa v65, v13, v65 dst_sel:DWORD dst_unused:UNUSED_PAD src0_sel:BYTE_0 src1_sel:DWORD
	v_or_b32_sdwa v81, v112, v81 dst_sel:WORD_1 dst_unused:UNUSED_PAD src0_sel:BYTE_0 src1_sel:DWORD
	ds_write_b128 v7, v[114:117]
	v_or_b32_sdwa v117, v65, v81 dst_sel:DWORD dst_unused:UNUSED_PAD src0_sel:WORD_0 src1_sel:DWORD
	v_lshlrev_b16_e32 v65, 8, v100
	v_lshlrev_b16_e32 v81, 8, v102
	v_or_b32_sdwa v65, v12, v65 dst_sel:DWORD dst_unused:UNUSED_PAD src0_sel:BYTE_0 src1_sel:DWORD
	v_or_b32_sdwa v81, v101, v81 dst_sel:WORD_1 dst_unused:UNUSED_PAD src0_sel:BYTE_0 src1_sel:DWORD
	v_or_b32_sdwa v116, v65, v81 dst_sel:DWORD dst_unused:UNUSED_PAD src0_sel:WORD_0 src1_sel:DWORD
	v_lshlrev_b16_e32 v65, 8, v97
	v_lshlrev_b16_e32 v81, 8, v99
	v_or_b32_sdwa v65, v11, v65 dst_sel:DWORD dst_unused:UNUSED_PAD src0_sel:BYTE_0 src1_sel:DWORD
	v_or_b32_sdwa v81, v98, v81 dst_sel:WORD_1 dst_unused:UNUSED_PAD src0_sel:BYTE_0 src1_sel:DWORD
	s_lshl_b32 s63, s62, 1
	v_or_b32_sdwa v115, v65, v81 dst_sel:DWORD dst_unused:UNUSED_PAD src0_sel:WORD_0 src1_sel:DWORD
	v_lshlrev_b16_e32 v65, 8, v86
	v_lshlrev_b16_e32 v81, 8, v96
	s_sub_i32 s5, 0, s63
	v_or_b32_sdwa v65, v10, v65 dst_sel:DWORD dst_unused:UNUSED_PAD src0_sel:BYTE_0 src1_sel:DWORD
	v_or_b32_sdwa v81, v87, v81 dst_sel:WORD_1 dst_unused:UNUSED_PAD src0_sel:BYTE_0 src1_sel:DWORD
	v_and_b32_e32 v82, s5, v7
	v_or_b32_sdwa v114, v65, v81 dst_sel:DWORD dst_unused:UNUSED_PAD src0_sel:WORD_0 src1_sel:DWORD
	v_add_u32_e32 v65, s62, v82
	v_min_u32_e32 v65, 0x2000, v65
	s_add_i32 s4, s63, -1
	v_add_u32_e32 v81, s62, v65
	v_min_u32_e32 v81, 0x2000, v81
	v_and_b32_e32 v84, s4, v7
	ds_write_b128 v7, v[114:117] offset:16
	v_min_u32_e32 v84, 0x2000, v84
	v_sub_u32_e32 v115, v65, v82
	v_sub_u32_e32 v114, v81, v65
	v_sub_u32_e64 v114, v84, v114 clamp
	v_min_u32_e32 v115, v84, v115
	v_cmp_lt_u32_e32 vcc, v114, v115
	s_waitcnt lgkmcnt(0)
	s_barrier
	s_and_saveexec_b64 s[4:5], vcc
	s_cbranch_execz .LBB2853_52
; %bb.49:                               ;   in Loop: Header=BB2853_48 Depth=1
	v_add_u32_e32 v116, v65, v84
	s_mov_b64 s[6:7], 0
.LBB2853_50:                            ;   Parent Loop BB2853_48 Depth=1
                                        ; =>  This Inner Loop Header: Depth=2
	v_add_u32_e32 v117, v115, v114
	v_lshrrev_b32_e32 v117, 1, v117
	v_add_u32_e32 v118, v82, v117
	v_xad_u32 v119, v117, -1, v116
	ds_read_u8 v118, v118
	ds_read_u8 v119, v119
	v_add_u32_e32 v128, 1, v117
	s_waitcnt lgkmcnt(0)
	v_cmp_gt_u16_e32 vcc, v118, v119
	v_cndmask_b32_e32 v115, v115, v117, vcc
	v_cndmask_b32_e32 v114, v128, v114, vcc
	v_cmp_ge_u32_e32 vcc, v114, v115
	s_or_b64 s[6:7], vcc, s[6:7]
	s_andn2_b64 exec, exec, s[6:7]
	s_cbranch_execnz .LBB2853_50
; %bb.51:                               ;   in Loop: Header=BB2853_48 Depth=1
	s_or_b64 exec, exec, s[6:7]
.LBB2853_52:                            ;   in Loop: Header=BB2853_48 Depth=1
	s_or_b64 exec, exec, s[4:5]
	v_sub_u32_e32 v84, v84, v114
	v_add_u32_e32 v82, v114, v82
	v_add_u32_e32 v84, v84, v65
	v_cmp_le_u32_e32 vcc, v82, v65
	v_cmp_le_u32_e64 s[4:5], v84, v81
	s_or_b64 s[4:5], vcc, s[4:5]
	s_and_saveexec_b64 s[60:61], s[4:5]
	s_cbranch_execz .LBB2853_58
; %bb.53:                               ;   in Loop: Header=BB2853_48 Depth=1
	v_cmp_lt_u32_e32 vcc, v82, v65
                                        ; implicit-def: $vgpr0
	s_and_saveexec_b64 s[4:5], vcc
	s_cbranch_execz .LBB2853_55
; %bb.54:                               ;   in Loop: Header=BB2853_48 Depth=1
	ds_read_u8 v0, v82
.LBB2853_55:                            ;   in Loop: Header=BB2853_48 Depth=1
	s_or_b64 exec, exec, s[4:5]
	v_cmp_ge_u32_e64 s[4:5], v84, v81
	v_cmp_lt_u32_e64 s[6:7], v84, v81
                                        ; implicit-def: $vgpr1
	s_and_saveexec_b64 s[10:11], s[6:7]
	s_cbranch_execz .LBB2853_57
; %bb.56:                               ;   in Loop: Header=BB2853_48 Depth=1
	ds_read_u8 v1, v84
.LBB2853_57:                            ;   in Loop: Header=BB2853_48 Depth=1
	s_or_b64 exec, exec, s[10:11]
	s_waitcnt lgkmcnt(0)
	v_cmp_le_u16_sdwa s[6:7], v0, v1 src0_sel:BYTE_0 src1_sel:BYTE_0
	s_and_b64 s[6:7], vcc, s[6:7]
	s_or_b64 vcc, s[4:5], s[6:7]
	v_cndmask_b32_e32 v2, v84, v82, vcc
	v_cndmask_b32_e32 v3, v81, v65, vcc
	v_add_u32_e32 v2, 1, v2
	v_add_u32_e32 v3, -1, v3
	v_min_u32_e32 v3, v2, v3
	ds_read_u8 v3, v3
	v_cndmask_b32_e32 v10, v2, v84, vcc
	v_cndmask_b32_e32 v2, v82, v2, vcc
	v_cmp_lt_u32_e64 s[6:7], v2, v65
	v_cmp_ge_u32_e64 s[4:5], v10, v81
	s_waitcnt lgkmcnt(0)
	v_cndmask_b32_e32 v11, v3, v1, vcc
	v_cndmask_b32_e32 v3, v0, v3, vcc
	v_cmp_le_u16_sdwa s[10:11], v3, v11 src0_sel:BYTE_0 src1_sel:BYTE_0
	s_and_b64 s[6:7], s[6:7], s[10:11]
	s_or_b64 s[4:5], s[4:5], s[6:7]
	v_cndmask_b32_e64 v12, v10, v2, s[4:5]
	v_cndmask_b32_e64 v13, v81, v65, s[4:5]
	v_add_u32_e32 v12, 1, v12
	v_add_u32_e32 v13, -1, v13
	v_min_u32_e32 v13, v12, v13
	ds_read_u8 v13, v13
	v_cndmask_b32_e64 v2, v2, v12, s[4:5]
	v_cndmask_b32_e64 v10, v12, v10, s[4:5]
	v_cmp_lt_u32_e64 s[10:11], v2, v65
	v_cmp_ge_u32_e64 s[6:7], v10, v81
	s_waitcnt lgkmcnt(0)
	v_cndmask_b32_e64 v55, v13, v11, s[4:5]
	v_cndmask_b32_e64 v13, v3, v13, s[4:5]
	v_cmp_le_u16_sdwa s[14:15], v13, v55 src0_sel:BYTE_0 src1_sel:BYTE_0
	s_and_b64 s[10:11], s[10:11], s[14:15]
	s_or_b64 s[10:11], s[6:7], s[10:11]
	v_cndmask_b32_e64 v12, v10, v2, s[10:11]
	v_cndmask_b32_e64 v54, v81, v65, s[10:11]
	v_add_u32_e32 v12, 1, v12
	v_add_u32_e32 v54, -1, v54
	v_min_u32_e32 v54, v12, v54
	ds_read_u8 v54, v54
	v_cndmask_b32_e64 v2, v2, v12, s[10:11]
	v_cndmask_b32_e64 v10, v12, v10, s[10:11]
	v_cmp_lt_u32_e64 s[14:15], v2, v65
	v_cmp_ge_u32_e64 s[6:7], v10, v81
	s_waitcnt lgkmcnt(0)
	v_cndmask_b32_e64 v64, v54, v55, s[10:11]
	v_cndmask_b32_e64 v66, v13, v54, s[10:11]
	v_cmp_le_u16_sdwa s[16:17], v66, v64 src0_sel:BYTE_0 src1_sel:BYTE_0
	s_and_b64 s[14:15], s[14:15], s[16:17]
	s_or_b64 s[6:7], s[6:7], s[14:15]
	v_cndmask_b32_e64 v12, v10, v2, s[6:7]
	v_cndmask_b32_e64 v54, v81, v65, s[6:7]
	v_add_u32_e32 v12, 1, v12
	v_add_u32_e32 v54, -1, v54
	v_min_u32_e32 v54, v12, v54
	ds_read_u8 v54, v54
	v_cndmask_b32_e64 v2, v2, v12, s[6:7]
	v_cndmask_b32_e64 v10, v12, v10, s[6:7]
	v_cmp_lt_u32_e64 s[16:17], v2, v65
	v_cmp_ge_u32_e64 s[14:15], v10, v81
	s_waitcnt lgkmcnt(0)
	v_cndmask_b32_e64 v67, v54, v64, s[6:7]
	v_cndmask_b32_e64 v68, v66, v54, s[6:7]
	v_cmp_le_u16_sdwa s[18:19], v68, v67 src0_sel:BYTE_0 src1_sel:BYTE_0
	s_and_b64 s[16:17], s[16:17], s[18:19]
	s_or_b64 s[54:55], s[14:15], s[16:17]
	v_cndmask_b32_e64 v12, v10, v2, s[54:55]
	v_cndmask_b32_e64 v54, v81, v65, s[54:55]
	v_add_u32_e32 v12, 1, v12
	v_add_u32_e32 v54, -1, v54
	v_min_u32_e32 v54, v12, v54
	ds_read_u8 v54, v54
	v_cndmask_b32_e64 v2, v2, v12, s[54:55]
	v_cndmask_b32_e64 v10, v12, v10, s[54:55]
	v_cmp_lt_u32_e64 s[16:17], v2, v65
	v_cmp_ge_u32_e64 s[14:15], v10, v81
	s_waitcnt lgkmcnt(0)
	v_cndmask_b32_e64 v69, v54, v67, s[54:55]
	v_cndmask_b32_e64 v70, v68, v54, s[54:55]
	v_cmp_le_u16_sdwa s[18:19], v70, v69 src0_sel:BYTE_0 src1_sel:BYTE_0
	s_and_b64 s[16:17], s[16:17], s[18:19]
	s_or_b64 s[14:15], s[14:15], s[16:17]
	v_cndmask_b32_e64 v12, v10, v2, s[14:15]
	v_cndmask_b32_e64 v54, v81, v65, s[14:15]
	v_add_u32_e32 v12, 1, v12
	v_add_u32_e32 v54, -1, v54
	v_min_u32_e32 v54, v12, v54
	ds_read_u8 v54, v54
	v_cndmask_b32_e64 v2, v2, v12, s[14:15]
	v_cndmask_b32_e64 v10, v12, v10, s[14:15]
	v_cmp_lt_u32_e64 s[18:19], v2, v65
	v_cmp_ge_u32_e64 s[16:17], v10, v81
	s_waitcnt lgkmcnt(0)
	v_cndmask_b32_e64 v71, v54, v69, s[14:15]
	v_cndmask_b32_e64 v80, v70, v54, s[14:15]
	v_cmp_le_u16_sdwa s[20:21], v80, v71 src0_sel:BYTE_0 src1_sel:BYTE_0
	s_and_b64 s[18:19], s[18:19], s[20:21]
	s_or_b64 s[18:19], s[16:17], s[18:19]
	v_cndmask_b32_e64 v12, v10, v2, s[18:19]
	v_cndmask_b32_e64 v54, v81, v65, s[18:19]
	v_add_u32_e32 v12, 1, v12
	v_add_u32_e32 v54, -1, v54
	v_min_u32_e32 v54, v12, v54
	ds_read_u8 v54, v54
	v_cndmask_b32_e64 v2, v2, v12, s[18:19]
	v_cndmask_b32_e64 v10, v12, v10, s[18:19]
	v_cmp_lt_u32_e64 s[20:21], v2, v65
	v_cmp_ge_u32_e64 s[16:17], v10, v81
	s_waitcnt lgkmcnt(0)
	v_cndmask_b32_e64 v82, v54, v71, s[18:19]
	v_cndmask_b32_e64 v83, v80, v54, s[18:19]
	v_cmp_le_u16_sdwa s[22:23], v83, v82 src0_sel:BYTE_0 src1_sel:BYTE_0
	s_and_b64 s[20:21], s[20:21], s[22:23]
	s_or_b64 s[16:17], s[16:17], s[20:21]
	v_cndmask_b32_e64 v12, v10, v2, s[16:17]
	v_cndmask_b32_e64 v54, v81, v65, s[16:17]
	v_add_u32_e32 v12, 1, v12
	v_add_u32_e32 v54, -1, v54
	v_min_u32_e32 v54, v12, v54
	ds_read_u8 v54, v54
	v_cndmask_b32_e64 v2, v2, v12, s[16:17]
	v_cndmask_b32_e64 v10, v12, v10, s[16:17]
	v_cmp_lt_u32_e64 s[22:23], v2, v65
	v_cmp_ge_u32_e64 s[20:21], v10, v81
	s_waitcnt lgkmcnt(0)
	v_cndmask_b32_e64 v84, v54, v82, s[16:17]
	v_cndmask_b32_e64 v85, v83, v54, s[16:17]
	v_cmp_le_u16_sdwa s[24:25], v85, v84 src0_sel:BYTE_0 src1_sel:BYTE_0
	s_and_b64 s[22:23], s[22:23], s[24:25]
	s_or_b64 s[20:21], s[20:21], s[22:23]
	v_cndmask_b32_e64 v12, v10, v2, s[20:21]
	v_cndmask_b32_e64 v54, v81, v65, s[20:21]
	v_add_u32_e32 v12, 1, v12
	v_add_u32_e32 v54, -1, v54
	v_min_u32_e32 v54, v12, v54
	ds_read_u8 v54, v54
	v_cndmask_b32_e64 v2, v2, v12, s[20:21]
	v_cndmask_b32_e64 v10, v12, v10, s[20:21]
	v_cmp_lt_u32_e64 s[24:25], v2, v65
	v_cmp_ge_u32_e64 s[22:23], v10, v81
	s_waitcnt lgkmcnt(0)
	v_cndmask_b32_e64 v86, v54, v84, s[20:21]
	v_cndmask_b32_e64 v87, v85, v54, s[20:21]
	v_cmp_le_u16_sdwa s[26:27], v87, v86 src0_sel:BYTE_0 src1_sel:BYTE_0
	s_and_b64 s[24:25], s[24:25], s[26:27]
	s_or_b64 s[22:23], s[22:23], s[24:25]
	v_cndmask_b32_e64 v12, v10, v2, s[22:23]
	v_cndmask_b32_e64 v54, v81, v65, s[22:23]
	v_add_u32_e32 v12, 1, v12
	v_add_u32_e32 v54, -1, v54
	v_min_u32_e32 v54, v12, v54
	ds_read_u8 v54, v54
	v_cndmask_b32_e64 v2, v2, v12, s[22:23]
	v_cndmask_b32_e64 v10, v12, v10, s[22:23]
	v_cmp_lt_u32_e64 s[26:27], v2, v65
	v_cmp_ge_u32_e64 s[24:25], v10, v81
	s_waitcnt lgkmcnt(0)
	v_cndmask_b32_e64 v96, v54, v86, s[22:23]
	v_cndmask_b32_e64 v97, v87, v54, s[22:23]
	v_cmp_le_u16_sdwa s[28:29], v97, v96 src0_sel:BYTE_0 src1_sel:BYTE_0
	s_and_b64 s[26:27], s[26:27], s[28:29]
	s_or_b64 s[26:27], s[24:25], s[26:27]
	v_cndmask_b32_e64 v12, v10, v2, s[26:27]
	v_cndmask_b32_e64 v54, v81, v65, s[26:27]
	v_add_u32_e32 v12, 1, v12
	v_add_u32_e32 v54, -1, v54
	v_min_u32_e32 v54, v12, v54
	ds_read_u8 v54, v54
	v_cndmask_b32_e64 v2, v2, v12, s[26:27]
	v_cndmask_b32_e64 v10, v12, v10, s[26:27]
	v_cmp_lt_u32_e64 s[28:29], v2, v65
	v_cmp_ge_u32_e64 s[24:25], v10, v81
	s_waitcnt lgkmcnt(0)
	v_cndmask_b32_e64 v98, v54, v96, s[26:27]
	v_cndmask_b32_e64 v99, v97, v54, s[26:27]
	v_cmp_le_u16_sdwa s[30:31], v99, v98 src0_sel:BYTE_0 src1_sel:BYTE_0
	s_and_b64 s[28:29], s[28:29], s[30:31]
	s_or_b64 s[24:25], s[24:25], s[28:29]
	v_cndmask_b32_e64 v12, v10, v2, s[24:25]
	v_cndmask_b32_e64 v54, v81, v65, s[24:25]
	v_add_u32_e32 v12, 1, v12
	v_add_u32_e32 v54, -1, v54
	v_min_u32_e32 v54, v12, v54
	ds_read_u8 v54, v54
	v_cndmask_b32_e64 v2, v2, v12, s[24:25]
	v_cndmask_b32_e64 v10, v12, v10, s[24:25]
	v_cmp_lt_u32_e64 s[30:31], v2, v65
	v_cmp_ge_u32_e64 s[28:29], v10, v81
	s_waitcnt lgkmcnt(0)
	v_cndmask_b32_e64 v100, v54, v98, s[24:25]
	v_cndmask_b32_e64 v101, v99, v54, s[24:25]
	v_cmp_le_u16_sdwa s[34:35], v101, v100 src0_sel:BYTE_0 src1_sel:BYTE_0
	s_and_b64 s[30:31], s[30:31], s[34:35]
	s_or_b64 s[28:29], s[28:29], s[30:31]
	v_cndmask_b32_e64 v12, v10, v2, s[28:29]
	v_cndmask_b32_e64 v54, v81, v65, s[28:29]
	v_add_u32_e32 v12, 1, v12
	v_add_u32_e32 v54, -1, v54
	v_min_u32_e32 v54, v12, v54
	ds_read_u8 v54, v54
	v_cndmask_b32_e64 v2, v2, v12, s[28:29]
	v_cndmask_b32_e64 v10, v12, v10, s[28:29]
	v_cmp_lt_u32_e64 s[34:35], v2, v65
	v_cmp_ge_u32_e64 s[30:31], v10, v81
	s_waitcnt lgkmcnt(0)
	v_cndmask_b32_e64 v102, v54, v100, s[28:29]
	v_cndmask_b32_e64 v103, v101, v54, s[28:29]
	v_cmp_le_u16_sdwa s[36:37], v103, v102 src0_sel:BYTE_0 src1_sel:BYTE_0
	s_and_b64 s[34:35], s[34:35], s[36:37]
	s_or_b64 s[30:31], s[30:31], s[34:35]
	v_cndmask_b32_e64 v12, v10, v2, s[30:31]
	v_cndmask_b32_e64 v54, v81, v65, s[30:31]
	v_add_u32_e32 v12, 1, v12
	v_add_u32_e32 v54, -1, v54
	v_min_u32_e32 v54, v12, v54
	ds_read_u8 v54, v54
	v_cndmask_b32_e64 v2, v2, v12, s[30:31]
	v_cndmask_b32_e64 v10, v12, v10, s[30:31]
	v_cmp_lt_u32_e64 s[36:37], v2, v65
	v_cmp_ge_u32_e64 s[34:35], v10, v81
	s_waitcnt lgkmcnt(0)
	v_cndmask_b32_e64 v112, v54, v102, s[30:31]
	v_cndmask_b32_e64 v113, v103, v54, s[30:31]
	v_cmp_le_u16_sdwa s[38:39], v113, v112 src0_sel:BYTE_0 src1_sel:BYTE_0
	s_and_b64 s[36:37], s[36:37], s[38:39]
	s_or_b64 s[36:37], s[34:35], s[36:37]
	v_cndmask_b32_e64 v12, v10, v2, s[36:37]
	v_cndmask_b32_e64 v54, v81, v65, s[36:37]
	v_add_u32_e32 v12, 1, v12
	v_add_u32_e32 v54, -1, v54
	v_min_u32_e32 v54, v12, v54
	ds_read_u8 v54, v54
	v_cndmask_b32_e64 v2, v2, v12, s[36:37]
	v_cndmask_b32_e64 v10, v12, v10, s[36:37]
	v_cmp_lt_u32_e64 s[38:39], v2, v65
	v_cmp_ge_u32_e64 s[34:35], v10, v81
	s_waitcnt lgkmcnt(0)
	v_cndmask_b32_e64 v114, v54, v112, s[36:37]
	v_cndmask_b32_e64 v115, v113, v54, s[36:37]
	v_cmp_le_u16_sdwa s[40:41], v115, v114 src0_sel:BYTE_0 src1_sel:BYTE_0
	s_and_b64 s[38:39], s[38:39], s[40:41]
	s_or_b64 s[34:35], s[34:35], s[38:39]
	v_cndmask_b32_e64 v12, v10, v2, s[34:35]
	v_cndmask_b32_e64 v54, v81, v65, s[34:35]
	v_add_u32_e32 v12, 1, v12
	v_add_u32_e32 v54, -1, v54
	v_min_u32_e32 v54, v12, v54
	ds_read_u8 v54, v54
	v_cndmask_b32_e64 v2, v2, v12, s[34:35]
	v_cndmask_b32_e64 v10, v12, v10, s[34:35]
	v_cmp_lt_u32_e64 s[40:41], v2, v65
	v_cmp_ge_u32_e64 s[38:39], v10, v81
	s_waitcnt lgkmcnt(0)
	v_cndmask_b32_e64 v116, v54, v114, s[34:35]
	v_cndmask_b32_e64 v117, v115, v54, s[34:35]
	v_cmp_le_u16_sdwa s[42:43], v117, v116 src0_sel:BYTE_0 src1_sel:BYTE_0
	s_and_b64 s[40:41], s[40:41], s[42:43]
	s_or_b64 s[38:39], s[38:39], s[40:41]
	v_cndmask_b32_e64 v12, v10, v2, s[38:39]
	v_cndmask_b32_e64 v54, v81, v65, s[38:39]
	v_add_u32_e32 v12, 1, v12
	v_add_u32_e32 v54, -1, v54
	v_min_u32_e32 v54, v12, v54
	ds_read_u8 v54, v54
	v_cndmask_b32_e64 v2, v2, v12, s[38:39]
	v_cndmask_b32_e64 v10, v12, v10, s[38:39]
	v_cmp_lt_u32_e64 s[42:43], v2, v65
	v_cmp_ge_u32_e64 s[40:41], v10, v81
	s_waitcnt lgkmcnt(0)
	v_cndmask_b32_e64 v118, v54, v116, s[38:39]
	v_cndmask_b32_e64 v119, v117, v54, s[38:39]
	v_cmp_le_u16_sdwa s[44:45], v119, v118 src0_sel:BYTE_0 src1_sel:BYTE_0
	s_and_b64 s[42:43], s[42:43], s[44:45]
	s_or_b64 s[40:41], s[40:41], s[42:43]
	v_cndmask_b32_e64 v12, v10, v2, s[40:41]
	v_cndmask_b32_e64 v54, v81, v65, s[40:41]
	v_add_u32_e32 v12, 1, v12
	v_add_u32_e32 v54, -1, v54
	v_min_u32_e32 v54, v12, v54
	ds_read_u8 v54, v54
	v_cndmask_b32_e64 v2, v2, v12, s[40:41]
	v_cndmask_b32_e64 v10, v12, v10, s[40:41]
	v_cmp_lt_u32_e64 s[44:45], v2, v65
	v_cmp_ge_u32_e64 s[42:43], v10, v81
	s_waitcnt lgkmcnt(0)
	v_cndmask_b32_e64 v128, v54, v118, s[40:41]
	v_cndmask_b32_e64 v129, v119, v54, s[40:41]
	v_cmp_le_u16_sdwa s[46:47], v129, v128 src0_sel:BYTE_0 src1_sel:BYTE_0
	s_and_b64 s[44:45], s[44:45], s[46:47]
	s_or_b64 s[44:45], s[42:43], s[44:45]
	v_cndmask_b32_e64 v12, v10, v2, s[44:45]
	v_cndmask_b32_e64 v54, v81, v65, s[44:45]
	v_add_u32_e32 v12, 1, v12
	v_add_u32_e32 v54, -1, v54
	v_min_u32_e32 v54, v12, v54
	ds_read_u8 v54, v54
	v_cndmask_b32_e64 v2, v2, v12, s[44:45]
	v_cndmask_b32_e64 v10, v12, v10, s[44:45]
	v_cmp_lt_u32_e64 s[46:47], v2, v65
	v_cmp_ge_u32_e64 s[42:43], v10, v81
	s_waitcnt lgkmcnt(0)
	v_cndmask_b32_e64 v130, v54, v128, s[44:45]
	v_cndmask_b32_e64 v131, v129, v54, s[44:45]
	v_cmp_le_u16_sdwa s[48:49], v131, v130 src0_sel:BYTE_0 src1_sel:BYTE_0
	s_and_b64 s[46:47], s[46:47], s[48:49]
	s_or_b64 s[42:43], s[42:43], s[46:47]
	v_cndmask_b32_e64 v12, v10, v2, s[42:43]
	v_cndmask_b32_e64 v54, v81, v65, s[42:43]
	v_add_u32_e32 v12, 1, v12
	v_add_u32_e32 v54, -1, v54
	v_min_u32_e32 v54, v12, v54
	ds_read_u8 v54, v54
	v_cndmask_b32_e64 v2, v2, v12, s[42:43]
	v_cndmask_b32_e64 v10, v12, v10, s[42:43]
	v_cmp_lt_u32_e64 s[48:49], v2, v65
	v_cmp_ge_u32_e64 s[46:47], v10, v81
	s_waitcnt lgkmcnt(0)
	v_cndmask_b32_e64 v132, v54, v130, s[42:43]
	v_cndmask_b32_e64 v133, v131, v54, s[42:43]
	v_cmp_le_u16_sdwa s[50:51], v133, v132 src0_sel:BYTE_0 src1_sel:BYTE_0
	s_and_b64 s[48:49], s[48:49], s[50:51]
	s_or_b64 s[46:47], s[46:47], s[48:49]
	v_cndmask_b32_e64 v12, v10, v2, s[46:47]
	v_cndmask_b32_e64 v54, v81, v65, s[46:47]
	v_add_u32_e32 v12, 1, v12
	v_add_u32_e32 v54, -1, v54
	v_min_u32_e32 v54, v12, v54
	ds_read_u8 v54, v54
	v_cndmask_b32_e64 v2, v2, v12, s[46:47]
	v_cndmask_b32_e64 v10, v12, v10, s[46:47]
	v_cmp_lt_u32_e64 s[50:51], v2, v65
	v_cmp_ge_u32_e64 s[48:49], v10, v81
	s_waitcnt lgkmcnt(0)
	v_cndmask_b32_e64 v134, v54, v132, s[46:47]
	v_cndmask_b32_e64 v135, v133, v54, s[46:47]
	v_cmp_le_u16_sdwa s[52:53], v135, v134 src0_sel:BYTE_0 src1_sel:BYTE_0
	s_and_b64 s[50:51], s[50:51], s[52:53]
	s_or_b64 s[48:49], s[48:49], s[50:51]
	v_cndmask_b32_e64 v12, v10, v2, s[48:49]
	v_cndmask_b32_e64 v54, v81, v65, s[48:49]
	v_add_u32_e32 v12, 1, v12
	v_add_u32_e32 v54, -1, v54
	v_min_u32_e32 v54, v12, v54
	ds_read_u8 v54, v54
	v_cndmask_b32_e64 v2, v2, v12, s[48:49]
	v_cndmask_b32_e64 v10, v12, v10, s[48:49]
	v_cmp_lt_u32_e64 s[52:53], v2, v65
	v_cmp_ge_u32_e64 s[50:51], v10, v81
	s_waitcnt lgkmcnt(0)
	v_cndmask_b32_e64 v144, v54, v134, s[48:49]
	v_cndmask_b32_e64 v145, v135, v54, s[48:49]
	v_cmp_le_u16_sdwa s[56:57], v145, v144 src0_sel:BYTE_0 src1_sel:BYTE_0
	s_and_b64 s[52:53], s[52:53], s[56:57]
	s_or_b64 s[52:53], s[50:51], s[52:53]
	v_cndmask_b32_e64 v12, v10, v2, s[52:53]
	v_cndmask_b32_e64 v54, v81, v65, s[52:53]
	v_add_u32_e32 v12, 1, v12
	v_add_u32_e32 v54, -1, v54
	v_min_u32_e32 v54, v12, v54
	ds_read_u8 v54, v54
	v_cndmask_b32_e64 v2, v2, v12, s[52:53]
	v_cndmask_b32_e64 v10, v12, v10, s[52:53]
	v_cmp_lt_u32_e64 s[56:57], v2, v65
	v_cmp_ge_u32_e64 s[50:51], v10, v81
	s_waitcnt lgkmcnt(0)
	v_cndmask_b32_e64 v146, v54, v144, s[52:53]
	v_cndmask_b32_e64 v147, v145, v54, s[52:53]
	v_cmp_le_u16_sdwa s[64:65], v147, v146 src0_sel:BYTE_0 src1_sel:BYTE_0
	s_and_b64 s[56:57], s[56:57], s[64:65]
	s_or_b64 s[50:51], s[50:51], s[56:57]
	v_cndmask_b32_e64 v12, v10, v2, s[50:51]
	v_cndmask_b32_e64 v54, v81, v65, s[50:51]
	v_add_u32_e32 v12, 1, v12
	v_add_u32_e32 v54, -1, v54
	v_min_u32_e32 v54, v12, v54
	ds_read_u8 v148, v54
	v_cndmask_b32_e64 v55, v55, v13, s[10:11]
	v_cndmask_b32_e64 v2, v2, v12, s[50:51]
	;; [unrolled: 1-line block ×4, first 2 shown]
	s_waitcnt lgkmcnt(0)
	v_cndmask_b32_e64 v13, v148, v146, s[50:51]
	v_cndmask_b32_e64 v148, v147, v148, s[50:51]
	v_cmp_lt_u32_e64 s[4:5], v2, v65
	v_cmp_le_u16_sdwa s[10:11], v148, v13 src0_sel:BYTE_0 src1_sel:BYTE_0
	v_cndmask_b32_e32 v0, v1, v0, vcc
	v_cmp_ge_u32_e32 vcc, v3, v81
	s_and_b64 s[4:5], s[4:5], s[10:11]
	s_or_b64 vcc, vcc, s[4:5]
	v_cndmask_b32_e32 v1, v3, v2, vcc
	v_cndmask_b32_e32 v10, v81, v65, vcc
	v_add_u32_e32 v11, 1, v1
	v_add_u32_e32 v1, -1, v10
	v_min_u32_e32 v1, v11, v1
	ds_read_u8 v10, v1
	v_cndmask_b32_e64 v64, v64, v66, s[6:7]
	v_cndmask_b32_e32 v3, v11, v3, vcc
	v_cmp_ge_u32_e64 s[4:5], v3, v81
	v_cndmask_b32_e64 v1, v67, v68, s[54:55]
	s_waitcnt lgkmcnt(0)
	v_cndmask_b32_e32 v149, v10, v13, vcc
	v_cndmask_b32_e32 v150, v148, v10, vcc
	;; [unrolled: 1-line block ×3, first 2 shown]
	v_cmp_lt_u32_e64 s[6:7], v10, v65
	v_cmp_le_u16_sdwa s[10:11], v150, v149 src0_sel:BYTE_0 src1_sel:BYTE_0
	s_and_b64 s[6:7], s[6:7], s[10:11]
	s_or_b64 s[4:5], s[4:5], s[6:7]
	v_cndmask_b32_e64 v2, v3, v10, s[4:5]
	v_cndmask_b32_e64 v11, v81, v65, s[4:5]
	v_add_u32_e32 v12, 1, v2
	v_add_u32_e32 v2, -1, v11
	v_min_u32_e32 v2, v12, v2
	ds_read_u8 v11, v2
	v_cndmask_b32_e64 v68, v82, v83, s[16:17]
	v_cndmask_b32_e64 v2, v84, v85, s[20:21]
	;; [unrolled: 1-line block ×4, first 2 shown]
	s_waitcnt lgkmcnt(0)
	v_cndmask_b32_e64 v82, v11, v149, s[4:5]
	v_cndmask_b32_e64 v84, v150, v11, s[4:5]
	;; [unrolled: 1-line block ×3, first 2 shown]
	v_cmp_lt_u32_e64 s[10:11], v10, v65
	v_cmp_le_u16_sdwa s[14:15], v84, v82 src0_sel:BYTE_0 src1_sel:BYTE_0
	v_cmp_ge_u32_e64 s[6:7], v11, v81
	s_and_b64 s[10:11], s[10:11], s[14:15]
	s_or_b64 s[6:7], s[6:7], s[10:11]
	v_cndmask_b32_e64 v3, v11, v10, s[6:7]
	v_cndmask_b32_e64 v12, v81, v65, s[6:7]
	v_add_u32_e32 v85, 1, v3
	v_add_u32_e32 v3, -1, v12
	v_min_u32_e32 v3, v85, v3
	ds_read_u8 v12, v3
	v_cndmask_b32_e64 v67, v71, v80, s[18:19]
	v_cndmask_b32_e64 v80, v102, v103, s[30:31]
	;; [unrolled: 1-line block ×3, first 2 shown]
	v_cmp_ge_u32_e64 s[10:11], v11, v81
	s_waitcnt lgkmcnt(0)
	v_cndmask_b32_e64 v102, v12, v82, s[6:7]
	v_cndmask_b32_e64 v103, v84, v12, s[6:7]
	;; [unrolled: 1-line block ×3, first 2 shown]
	v_cmp_lt_u32_e64 s[14:15], v12, v65
	v_cmp_le_u16_sdwa s[16:17], v103, v102 src0_sel:BYTE_0 src1_sel:BYTE_0
	s_and_b64 s[14:15], s[14:15], s[16:17]
	s_or_b64 s[10:11], s[10:11], s[14:15]
	v_cndmask_b32_e64 v10, v11, v12, s[10:11]
	v_cndmask_b32_e64 v85, v81, v65, s[10:11]
	;; [unrolled: 1-line block ×3, first 2 shown]
	v_add_u32_e32 v96, 1, v10
	v_add_u32_e32 v10, -1, v85
	v_min_u32_e32 v10, v96, v10
	ds_read_u8 v97, v10
	v_cndmask_b32_e64 v83, v112, v113, s[36:37]
	v_cndmask_b32_e64 v12, v12, v96, s[10:11]
	;; [unrolled: 1-line block ×4, first 2 shown]
	s_waitcnt lgkmcnt(0)
	v_cndmask_b32_e64 v112, v97, v102, s[10:11]
	v_cndmask_b32_e64 v113, v103, v97, s[10:11]
	v_cmp_lt_u32_e64 s[16:17], v12, v65
	v_cmp_le_u16_sdwa s[18:19], v113, v112 src0_sel:BYTE_0 src1_sel:BYTE_0
	v_cmp_ge_u32_e64 s[14:15], v99, v81
	s_and_b64 s[16:17], s[16:17], s[18:19]
	s_or_b64 s[14:15], s[14:15], s[16:17]
	v_cndmask_b32_e64 v11, v99, v12, s[14:15]
	v_cndmask_b32_e64 v96, v81, v65, s[14:15]
	;; [unrolled: 1-line block ×3, first 2 shown]
	v_add_u32_e32 v100, 1, v11
	v_add_u32_e32 v11, -1, v96
	v_min_u32_e32 v11, v100, v11
	ds_read_u8 v101, v11
	v_cndmask_b32_e64 v85, v114, v115, s[34:35]
	v_cndmask_b32_e64 v10, v116, v117, s[38:39]
	;; [unrolled: 1-line block ×4, first 2 shown]
	s_waitcnt lgkmcnt(0)
	v_cndmask_b32_e64 v114, v101, v112, s[14:15]
	v_cndmask_b32_e64 v115, v113, v101, s[14:15]
	v_cmp_lt_u32_e64 s[18:19], v117, v65
	v_cmp_le_u16_sdwa s[20:21], v115, v114 src0_sel:BYTE_0 src1_sel:BYTE_0
	v_cmp_ge_u32_e64 s[16:17], v116, v81
	s_and_b64 s[18:19], s[18:19], s[20:21]
	s_or_b64 s[16:17], s[16:17], s[18:19]
	v_cndmask_b32_e64 v12, v116, v117, s[16:17]
	v_cndmask_b32_e64 v99, v81, v65, s[16:17]
	;; [unrolled: 1-line block ×4, first 2 shown]
	v_add_u32_e32 v118, 1, v12
	v_add_u32_e32 v12, -1, v99
	v_min_u32_e32 v12, v118, v12
	ds_read_u8 v119, v12
	v_cndmask_b32_e64 v101, v82, v84, s[6:7]
	v_cndmask_b32_e64 v117, v117, v118, s[16:17]
	v_cndmask_b32_e64 v100, v149, v150, s[4:5]
	v_cndmask_b32_e64 v116, v118, v116, s[16:17]
	s_waitcnt lgkmcnt(0)
	v_cndmask_b32_e64 v82, v119, v114, s[16:17]
	v_cndmask_b32_e64 v84, v115, v119, s[16:17]
	v_cmp_lt_u32_e64 s[4:5], v117, v65
	v_cmp_le_u16_sdwa s[6:7], v84, v82 src0_sel:BYTE_0 src1_sel:BYTE_0
	v_cndmask_b32_e32 v12, v13, v148, vcc
	v_cmp_ge_u32_e32 vcc, v116, v81
	s_and_b64 s[4:5], s[4:5], s[6:7]
	s_or_b64 vcc, vcc, s[4:5]
	v_cndmask_b32_e32 v13, v116, v117, vcc
	v_cndmask_b32_e32 v118, v81, v65, vcc
	v_add_u32_e32 v119, 1, v13
	v_add_u32_e32 v13, -1, v118
	v_min_u32_e32 v13, v119, v13
	ds_read_u8 v118, v13
	v_cndmask_b32_e64 v102, v102, v103, s[10:11]
	v_cndmask_b32_e64 v13, v112, v113, s[14:15]
	v_cndmask_b32_e64 v103, v114, v115, s[16:17]
	v_cndmask_b32_e32 v112, v82, v84, vcc
	s_waitcnt lgkmcnt(0)
	v_cndmask_b32_e32 v84, v84, v118, vcc
	v_cndmask_b32_e32 v82, v118, v82, vcc
	;; [unrolled: 1-line block ×4, first 2 shown]
	v_min_u16_sdwa v115, v84, v82 dst_sel:DWORD dst_unused:UNUSED_PAD src0_sel:BYTE_0 src1_sel:BYTE_0
	v_cmp_lt_u32_e32 vcc, v114, v65
	v_cndmask_b32_e32 v65, v82, v115, vcc
	v_cmp_lt_u32_e32 vcc, v113, v81
	v_cndmask_b32_e64 v87, v128, v129, s[44:45]
	v_cndmask_b32_e64 v96, v130, v131, s[42:43]
	;; [unrolled: 1-line block ×6, first 2 shown]
	v_cndmask_b32_e32 v113, v84, v65, vcc
.LBB2853_58:                            ;   in Loop: Header=BB2853_48 Depth=1
	s_or_b64 exec, exec, s[60:61]
	s_cmpk_lt_u32 s62, 0x1000
	s_barrier
	s_cbranch_scc0 .LBB2853_60
; %bb.59:                               ;   in Loop: Header=BB2853_48 Depth=1
	s_mov_b32 s62, s63
	s_branch .LBB2853_48
.LBB2853_60:
	v_lshlrev_b16_e32 v7, 8, v66
	v_or_b32_sdwa v1, v1, v7 dst_sel:DWORD dst_unused:UNUSED_PAD src0_sel:BYTE_0 src1_sel:DWORD
	v_lshlrev_b16_e32 v7, 8, v68
	v_or_b32_sdwa v7, v67, v7 dst_sel:WORD_1 dst_unused:UNUSED_PAD src0_sel:BYTE_0 src1_sel:DWORD
	v_or_b32_sdwa v1, v1, v7 dst_sel:DWORD dst_unused:UNUSED_PAD src0_sel:WORD_0 src1_sel:DWORD
	v_lshlrev_b16_e32 v7, 8, v54
	v_or_b32_sdwa v0, v0, v7 dst_sel:DWORD dst_unused:UNUSED_PAD src0_sel:BYTE_0 src1_sel:DWORD
	v_lshlrev_b16_e32 v7, 8, v64
	v_or_b32_sdwa v7, v55, v7 dst_sel:WORD_1 dst_unused:UNUSED_PAD src0_sel:BYTE_0 src1_sel:DWORD
	v_or_b32_sdwa v0, v0, v7 dst_sel:DWORD dst_unused:UNUSED_PAD src0_sel:WORD_0 src1_sel:DWORD
	s_barrier
	ds_write2_b32 v53, v0, v1 offset1:1
	v_lshlrev_b16_e32 v0, 8, v80
	v_lshlrev_b16_e32 v1, 8, v85
	v_or_b32_sdwa v0, v3, v0 dst_sel:DWORD dst_unused:UNUSED_PAD src0_sel:BYTE_0 src1_sel:DWORD
	v_or_b32_sdwa v1, v83, v1 dst_sel:WORD_1 dst_unused:UNUSED_PAD src0_sel:BYTE_0 src1_sel:DWORD
	v_or_b32_sdwa v0, v0, v1 dst_sel:DWORD dst_unused:UNUSED_PAD src0_sel:WORD_0 src1_sel:DWORD
	v_lshlrev_b16_e32 v1, 8, v69
	v_or_b32_sdwa v1, v2, v1 dst_sel:DWORD dst_unused:UNUSED_PAD src0_sel:BYTE_0 src1_sel:DWORD
	v_lshlrev_b16_e32 v2, 8, v71
	v_or_b32_sdwa v2, v70, v2 dst_sel:WORD_1 dst_unused:UNUSED_PAD src0_sel:BYTE_0 src1_sel:DWORD
	v_or_b32_sdwa v1, v1, v2 dst_sel:DWORD dst_unused:UNUSED_PAD src0_sel:WORD_0 src1_sel:DWORD
	ds_write2_b32 v53, v1, v0 offset0:2 offset1:3
	v_lshlrev_b16_e32 v0, 8, v97
	v_lshlrev_b16_e32 v1, 8, v99
	v_or_b32_sdwa v0, v11, v0 dst_sel:DWORD dst_unused:UNUSED_PAD src0_sel:BYTE_0 src1_sel:DWORD
	v_or_b32_sdwa v1, v98, v1 dst_sel:WORD_1 dst_unused:UNUSED_PAD src0_sel:BYTE_0 src1_sel:DWORD
	v_or_b32_sdwa v0, v0, v1 dst_sel:DWORD dst_unused:UNUSED_PAD src0_sel:WORD_0 src1_sel:DWORD
	v_lshlrev_b16_e32 v1, 8, v86
	v_lshlrev_b16_e32 v2, 8, v96
	v_or_b32_sdwa v1, v10, v1 dst_sel:DWORD dst_unused:UNUSED_PAD src0_sel:BYTE_0 src1_sel:DWORD
	v_or_b32_sdwa v2, v87, v2 dst_sel:WORD_1 dst_unused:UNUSED_PAD src0_sel:BYTE_0 src1_sel:DWORD
	v_or_b32_sdwa v1, v1, v2 dst_sel:DWORD dst_unused:UNUSED_PAD src0_sel:WORD_0 src1_sel:DWORD
	ds_write2_b32 v53, v1, v0 offset0:4 offset1:5
	v_lshlrev_b16_e32 v0, 8, v103
	v_lshlrev_b16_e32 v1, 8, v113
	v_or_b32_sdwa v0, v13, v0 dst_sel:DWORD dst_unused:UNUSED_PAD src0_sel:BYTE_0 src1_sel:DWORD
	v_or_b32_sdwa v1, v112, v1 dst_sel:WORD_1 dst_unused:UNUSED_PAD src0_sel:BYTE_0 src1_sel:DWORD
	v_or_b32_sdwa v0, v0, v1 dst_sel:DWORD dst_unused:UNUSED_PAD src0_sel:WORD_0 src1_sel:DWORD
	v_lshlrev_b16_e32 v1, 8, v100
	v_lshlrev_b16_e32 v2, 8, v102
	v_or_b32_sdwa v1, v12, v1 dst_sel:DWORD dst_unused:UNUSED_PAD src0_sel:BYTE_0 src1_sel:DWORD
	v_or_b32_sdwa v2, v101, v2 dst_sel:WORD_1 dst_unused:UNUSED_PAD src0_sel:BYTE_0 src1_sel:DWORD
	v_or_b32_sdwa v1, v1, v2 dst_sel:DWORD dst_unused:UNUSED_PAD src0_sel:WORD_0 src1_sel:DWORD
	ds_write2_b32 v53, v1, v0 offset0:6 offset1:7
	s_waitcnt lgkmcnt(0)
	s_barrier
	ds_read_u8 v2, v8
	ds_read_u8 v3, v14 offset:256
	ds_read_u8 v7, v15 offset:512
	;; [unrolled: 1-line block ×31, first 2 shown]
	v_add_co_u32_e32 v0, vcc, v4, v6
	v_addc_co_u32_e32 v1, vcc, 0, v5, vcc
	s_movk_i32 s4, 0x1000
	s_waitcnt lgkmcnt(14)
	flat_store_byte v[0:1], v2
	flat_store_byte v[0:1], v3 offset:256
	flat_store_byte v[0:1], v7 offset:512
	;; [unrolled: 1-line block ×15, first 2 shown]
	v_add_co_u32_e32 v0, vcc, s4, v0
	s_mov_b64 s[36:37], exec
	v_addc_co_u32_e32 v1, vcc, 0, v1, vcc
	flat_store_byte v[0:1], v23
	flat_store_byte v[0:1], v24 offset:256
	s_waitcnt lgkmcnt(0)
	flat_store_byte v[0:1], v25 offset:512
	flat_store_byte v[0:1], v26 offset:768
	flat_store_byte v[0:1], v27 offset:1024
	flat_store_byte v[0:1], v28 offset:1280
	flat_store_byte v[0:1], v29 offset:1536
	flat_store_byte v[0:1], v30 offset:1792
	flat_store_byte v[0:1], v31 offset:2048
	flat_store_byte v[0:1], v32 offset:2304
	flat_store_byte v[0:1], v33 offset:2560
	flat_store_byte v[0:1], v34 offset:2816
	flat_store_byte v[0:1], v35 offset:3072
	flat_store_byte v[0:1], v36 offset:3328
	flat_store_byte v[0:1], v37 offset:3584
                                        ; implicit-def: $vgpr0
                                        ; implicit-def: $vgpr7
                                        ; implicit-def: $vgpr1
                                        ; implicit-def: $vgpr65
                                        ; implicit-def: $vgpr81
                                        ; implicit-def: $vgpr2
                                        ; implicit-def: $vgpr3
	s_andn2_saveexec_b64 s[38:39], s[58:59]
	s_cbranch_execz .LBB2853_2
.LBB2853_61:
	v_cmp_lt_u32_e64 s[6:7], v6, v0
                                        ; implicit-def: $vgpr8
	s_mov_b64 s[4:5], exec
                                        ; implicit-def: $vgpr42 : SGPR spill to VGPR lane
	v_writelane_b32 v42, s6, 0
	v_writelane_b32 v42, s7, 1
	s_and_b64 s[6:7], s[4:5], s[6:7]
	s_mov_b64 exec, s[6:7]
	s_cbranch_execz .LBB2853_63
; %bb.62:
	v_add_co_u32_e32 v8, vcc, v2, v6
	v_addc_co_u32_e32 v9, vcc, 0, v3, vcc
	flat_load_ubyte v8, v[8:9]
.LBB2853_63:
	s_or_b64 exec, exec, s[4:5]
	v_add_u32_e32 v9, 0x100, v6
	v_cmp_lt_u32_e64 s[6:7], v9, v0
                                        ; implicit-def: $vgpr10
	s_mov_b64 s[4:5], exec
	v_writelane_b32 v42, s6, 2
	v_writelane_b32 v42, s7, 3
	s_and_b64 s[6:7], s[4:5], s[6:7]
	s_mov_b64 exec, s[6:7]
	s_cbranch_execz .LBB2853_65
; %bb.64:
	v_add_co_u32_e32 v10, vcc, v2, v6
	v_addc_co_u32_e32 v11, vcc, 0, v3, vcc
	flat_load_ubyte v10, v[10:11] offset:256
.LBB2853_65:
	s_or_b64 exec, exec, s[4:5]
	v_add_u32_e32 v11, 0x200, v6
	v_cmp_lt_u32_e64 s[6:7], v11, v0
                                        ; implicit-def: $vgpr12
	s_mov_b64 s[4:5], exec
	v_writelane_b32 v42, s6, 4
	v_writelane_b32 v42, s7, 5
	s_and_b64 s[6:7], s[4:5], s[6:7]
	s_mov_b64 exec, s[6:7]
	s_cbranch_execz .LBB2853_67
; %bb.66:
	v_add_co_u32_e32 v12, vcc, v2, v6
	v_addc_co_u32_e32 v13, vcc, 0, v3, vcc
	flat_load_ubyte v12, v[12:13] offset:512
.LBB2853_67:
	s_or_b64 exec, exec, s[4:5]
	v_add_u32_e32 v13, 0x300, v6
	v_cmp_lt_u32_e64 s[6:7], v13, v0
                                        ; implicit-def: $vgpr14
	s_mov_b64 s[4:5], exec
	v_writelane_b32 v42, s6, 6
	v_writelane_b32 v42, s7, 7
	s_and_b64 s[6:7], s[4:5], s[6:7]
	s_mov_b64 exec, s[6:7]
	s_cbranch_execz .LBB2853_69
; %bb.68:
	v_add_co_u32_e32 v14, vcc, v2, v6
	v_addc_co_u32_e32 v15, vcc, 0, v3, vcc
	flat_load_ubyte v14, v[14:15] offset:768
.LBB2853_69:
	s_or_b64 exec, exec, s[4:5]
	v_or_b32_e32 v15, 0x400, v6
	v_cmp_lt_u32_e64 s[6:7], v15, v0
                                        ; implicit-def: $vgpr16
	s_mov_b64 s[4:5], exec
	v_writelane_b32 v42, s6, 8
	v_writelane_b32 v42, s7, 9
	s_and_b64 s[6:7], s[4:5], s[6:7]
	s_mov_b64 exec, s[6:7]
	s_cbranch_execz .LBB2853_71
; %bb.70:
	v_add_co_u32_e32 v16, vcc, v2, v6
	v_addc_co_u32_e32 v17, vcc, 0, v3, vcc
	flat_load_ubyte v16, v[16:17] offset:1024
.LBB2853_71:
	s_or_b64 exec, exec, s[4:5]
	v_add_u32_e32 v17, 0x500, v6
	v_cmp_lt_u32_e64 s[6:7], v17, v0
                                        ; implicit-def: $vgpr18
	s_mov_b64 s[4:5], exec
	v_writelane_b32 v42, s6, 10
	v_writelane_b32 v42, s7, 11
	s_and_b64 s[6:7], s[4:5], s[6:7]
	s_mov_b64 exec, s[6:7]
	s_cbranch_execz .LBB2853_73
; %bb.72:
	v_add_co_u32_e32 v18, vcc, v2, v6
	v_addc_co_u32_e32 v19, vcc, 0, v3, vcc
	flat_load_ubyte v18, v[18:19] offset:1280
.LBB2853_73:
	s_or_b64 exec, exec, s[4:5]
	v_add_u32_e32 v19, 0x600, v6
	v_cmp_lt_u32_e64 s[6:7], v19, v0
                                        ; implicit-def: $vgpr20
	s_mov_b64 s[4:5], exec
	v_writelane_b32 v42, s6, 12
	v_writelane_b32 v42, s7, 13
	s_and_b64 s[6:7], s[4:5], s[6:7]
	s_mov_b64 exec, s[6:7]
	s_cbranch_execz .LBB2853_75
; %bb.74:
	v_add_co_u32_e32 v20, vcc, v2, v6
	v_addc_co_u32_e32 v21, vcc, 0, v3, vcc
	flat_load_ubyte v20, v[20:21] offset:1536
.LBB2853_75:
	s_or_b64 exec, exec, s[4:5]
	v_add_u32_e32 v21, 0x700, v6
	v_cmp_lt_u32_e64 s[6:7], v21, v0
                                        ; implicit-def: $vgpr22
	s_mov_b64 s[4:5], exec
	v_writelane_b32 v42, s6, 14
	v_writelane_b32 v42, s7, 15
	s_and_b64 s[6:7], s[4:5], s[6:7]
	s_mov_b64 exec, s[6:7]
	s_cbranch_execz .LBB2853_77
; %bb.76:
	v_add_co_u32_e32 v22, vcc, v2, v6
	v_addc_co_u32_e32 v23, vcc, 0, v3, vcc
	flat_load_ubyte v22, v[22:23] offset:1792
.LBB2853_77:
	s_or_b64 exec, exec, s[4:5]
	v_or_b32_e32 v23, 0x800, v6
	v_cmp_lt_u32_e64 s[6:7], v23, v0
                                        ; implicit-def: $vgpr24
	s_mov_b64 s[4:5], exec
	v_writelane_b32 v42, s6, 16
	v_writelane_b32 v42, s7, 17
	s_and_b64 s[6:7], s[4:5], s[6:7]
	s_mov_b64 exec, s[6:7]
	s_cbranch_execz .LBB2853_79
; %bb.78:
	v_add_co_u32_e32 v24, vcc, v2, v6
	v_addc_co_u32_e32 v25, vcc, 0, v3, vcc
	flat_load_ubyte v24, v[24:25] offset:2048
.LBB2853_79:
	s_or_b64 exec, exec, s[4:5]
	v_add_u32_e32 v25, 0x900, v6
	v_cmp_lt_u32_e64 s[6:7], v25, v0
                                        ; implicit-def: $vgpr26
	s_mov_b64 s[4:5], exec
	v_writelane_b32 v42, s6, 18
	v_writelane_b32 v42, s7, 19
	s_and_b64 s[6:7], s[4:5], s[6:7]
	s_mov_b64 exec, s[6:7]
	s_cbranch_execz .LBB2853_81
; %bb.80:
	v_add_co_u32_e32 v26, vcc, v2, v6
	v_addc_co_u32_e32 v27, vcc, 0, v3, vcc
	flat_load_ubyte v26, v[26:27] offset:2304
.LBB2853_81:
	s_or_b64 exec, exec, s[4:5]
	v_add_u32_e32 v27, 0xa00, v6
	v_cmp_lt_u32_e64 s[6:7], v27, v0
                                        ; implicit-def: $vgpr28
	s_mov_b64 s[4:5], exec
	v_writelane_b32 v42, s6, 20
	v_writelane_b32 v42, s7, 21
	s_and_b64 s[6:7], s[4:5], s[6:7]
	s_mov_b64 exec, s[6:7]
	s_cbranch_execz .LBB2853_83
; %bb.82:
	v_add_co_u32_e32 v28, vcc, v2, v6
	v_addc_co_u32_e32 v29, vcc, 0, v3, vcc
	flat_load_ubyte v28, v[28:29] offset:2560
.LBB2853_83:
	s_or_b64 exec, exec, s[4:5]
	v_add_u32_e32 v29, 0xb00, v6
	v_cmp_lt_u32_e64 s[6:7], v29, v0
                                        ; implicit-def: $vgpr30
	s_mov_b64 s[4:5], exec
	v_writelane_b32 v42, s6, 22
	v_writelane_b32 v42, s7, 23
	s_and_b64 s[6:7], s[4:5], s[6:7]
	s_mov_b64 exec, s[6:7]
	s_cbranch_execz .LBB2853_85
; %bb.84:
	v_add_co_u32_e32 v30, vcc, v2, v6
	v_addc_co_u32_e32 v31, vcc, 0, v3, vcc
	flat_load_ubyte v30, v[30:31] offset:2816
.LBB2853_85:
	s_or_b64 exec, exec, s[4:5]
	v_or_b32_e32 v31, 0xc00, v6
	v_cmp_lt_u32_e64 s[6:7], v31, v0
                                        ; implicit-def: $vgpr32
	s_mov_b64 s[4:5], exec
	v_writelane_b32 v42, s6, 24
	v_writelane_b32 v42, s7, 25
	s_and_b64 s[6:7], s[4:5], s[6:7]
	s_mov_b64 exec, s[6:7]
	s_cbranch_execz .LBB2853_87
; %bb.86:
	v_add_co_u32_e32 v32, vcc, v2, v6
	v_addc_co_u32_e32 v33, vcc, 0, v3, vcc
	flat_load_ubyte v32, v[32:33] offset:3072
.LBB2853_87:
	s_or_b64 exec, exec, s[4:5]
	v_add_u32_e32 v33, 0xd00, v6
	v_cmp_lt_u32_e64 s[6:7], v33, v0
                                        ; implicit-def: $vgpr34
	s_mov_b64 s[4:5], exec
	v_writelane_b32 v42, s6, 26
	v_writelane_b32 v42, s7, 27
	s_and_b64 s[6:7], s[4:5], s[6:7]
	s_mov_b64 exec, s[6:7]
	s_cbranch_execz .LBB2853_89
; %bb.88:
	v_add_co_u32_e32 v34, vcc, v2, v6
	v_addc_co_u32_e32 v35, vcc, 0, v3, vcc
	flat_load_ubyte v34, v[34:35] offset:3328
.LBB2853_89:
	s_or_b64 exec, exec, s[4:5]
	v_add_u32_e32 v35, 0xe00, v6
	v_cmp_lt_u32_e64 s[6:7], v35, v0
                                        ; implicit-def: $vgpr36
	s_mov_b64 s[4:5], exec
	v_writelane_b32 v42, s6, 28
	v_writelane_b32 v42, s7, 29
	s_and_b64 s[6:7], s[4:5], s[6:7]
	s_mov_b64 exec, s[6:7]
	s_cbranch_execz .LBB2853_91
; %bb.90:
	v_add_co_u32_e32 v36, vcc, v2, v6
	v_addc_co_u32_e32 v37, vcc, 0, v3, vcc
	flat_load_ubyte v36, v[36:37] offset:3584
.LBB2853_91:
	s_or_b64 exec, exec, s[4:5]
	v_add_u32_e32 v37, 0xf00, v6
	v_cmp_lt_u32_e64 s[6:7], v37, v0
                                        ; implicit-def: $vgpr38
	s_mov_b64 s[4:5], exec
	v_writelane_b32 v42, s6, 30
	v_writelane_b32 v42, s7, 31
	s_and_b64 s[6:7], s[4:5], s[6:7]
	s_mov_b64 exec, s[6:7]
	s_cbranch_execz .LBB2853_93
; %bb.92:
	v_add_co_u32_e32 v38, vcc, v2, v6
	v_addc_co_u32_e32 v39, vcc, 0, v3, vcc
	flat_load_ubyte v38, v[38:39] offset:3840
.LBB2853_93:
	s_or_b64 exec, exec, s[4:5]
	v_or_b32_e32 v39, 0x1000, v6
	v_cmp_lt_u32_e64 s[6:7], v39, v0
                                        ; implicit-def: $vgpr48
	s_mov_b64 s[4:5], exec
	v_writelane_b32 v42, s6, 32
	v_writelane_b32 v42, s7, 33
	s_and_b64 s[6:7], s[4:5], s[6:7]
	s_mov_b64 exec, s[6:7]
	s_cbranch_execz .LBB2853_95
; %bb.94:
	v_add_co_u32_e32 v48, vcc, v2, v39
	v_addc_co_u32_e32 v49, vcc, 0, v3, vcc
	flat_load_ubyte v48, v[48:49]
.LBB2853_95:
	s_or_b64 exec, exec, s[4:5]
	v_add_u32_e32 v49, 0x1100, v6
	v_cmp_lt_u32_e64 s[6:7], v49, v0
                                        ; implicit-def: $vgpr50
	s_mov_b64 s[4:5], exec
	v_writelane_b32 v42, s6, 34
	v_writelane_b32 v42, s7, 35
	s_and_b64 s[6:7], s[4:5], s[6:7]
	s_mov_b64 exec, s[6:7]
	s_cbranch_execz .LBB2853_97
; %bb.96:
	v_add_co_u32_e32 v50, vcc, v2, v49
	v_addc_co_u32_e32 v51, vcc, 0, v3, vcc
	flat_load_ubyte v50, v[50:51]
.LBB2853_97:
	s_or_b64 exec, exec, s[4:5]
	v_add_u32_e32 v51, 0x1200, v6
	v_cmp_lt_u32_e64 s[6:7], v51, v0
                                        ; implicit-def: $vgpr52
	s_mov_b64 s[4:5], exec
	v_writelane_b32 v42, s6, 36
	v_writelane_b32 v42, s7, 37
	s_and_b64 s[6:7], s[4:5], s[6:7]
	s_mov_b64 exec, s[6:7]
	s_cbranch_execz .LBB2853_99
; %bb.98:
	v_add_co_u32_e32 v52, vcc, v2, v51
	v_addc_co_u32_e32 v53, vcc, 0, v3, vcc
	flat_load_ubyte v52, v[52:53]
.LBB2853_99:
	s_or_b64 exec, exec, s[4:5]
	v_add_u32_e32 v53, 0x1300, v6
	v_cmp_lt_u32_e64 s[42:43], v53, v0
                                        ; implicit-def: $vgpr54
	s_and_saveexec_b64 s[4:5], s[42:43]
	s_cbranch_execz .LBB2853_101
; %bb.100:
	v_add_co_u32_e32 v54, vcc, v2, v53
	v_addc_co_u32_e32 v55, vcc, 0, v3, vcc
	flat_load_ubyte v54, v[54:55]
.LBB2853_101:
	s_or_b64 exec, exec, s[4:5]
	v_or_b32_e32 v55, 0x1400, v6
	v_cmp_lt_u32_e64 s[44:45], v55, v0
                                        ; implicit-def: $vgpr64
	s_and_saveexec_b64 s[4:5], s[44:45]
	s_cbranch_execz .LBB2853_103
; %bb.102:
	v_add_co_u32_e32 v66, vcc, v2, v55
	v_addc_co_u32_e32 v67, vcc, 0, v3, vcc
	flat_load_ubyte v64, v[66:67]
.LBB2853_103:
	s_or_b64 exec, exec, s[4:5]
	v_add_u32_e32 v66, 0x1500, v6
	v_cmp_lt_u32_e64 s[46:47], v66, v0
                                        ; implicit-def: $vgpr67
	s_and_saveexec_b64 s[4:5], s[46:47]
	s_cbranch_execz .LBB2853_105
; %bb.104:
	v_add_co_u32_e32 v68, vcc, v2, v66
	v_addc_co_u32_e32 v69, vcc, 0, v3, vcc
	flat_load_ubyte v67, v[68:69]
.LBB2853_105:
	s_or_b64 exec, exec, s[4:5]
	v_add_u32_e32 v68, 0x1600, v6
	v_cmp_lt_u32_e64 s[48:49], v68, v0
                                        ; implicit-def: $vgpr69
	s_and_saveexec_b64 s[4:5], s[48:49]
	s_cbranch_execz .LBB2853_107
; %bb.106:
	v_add_co_u32_e32 v70, vcc, v2, v68
	v_addc_co_u32_e32 v71, vcc, 0, v3, vcc
	flat_load_ubyte v69, v[70:71]
.LBB2853_107:
	s_or_b64 exec, exec, s[4:5]
	v_add_u32_e32 v70, 0x1700, v6
	v_cmp_lt_u32_e64 s[50:51], v70, v0
                                        ; implicit-def: $vgpr71
	s_and_saveexec_b64 s[4:5], s[50:51]
	s_cbranch_execz .LBB2853_109
; %bb.108:
	v_add_co_u32_e32 v82, vcc, v2, v70
	v_addc_co_u32_e32 v83, vcc, 0, v3, vcc
	flat_load_ubyte v71, v[82:83]
.LBB2853_109:
	s_or_b64 exec, exec, s[4:5]
	v_or_b32_e32 v80, 0x1800, v6
	v_cmp_lt_u32_e64 s[52:53], v80, v0
                                        ; implicit-def: $vgpr82
	s_and_saveexec_b64 s[4:5], s[52:53]
	s_cbranch_execz .LBB2853_111
; %bb.110:
	v_add_co_u32_e32 v82, vcc, v2, v80
	v_addc_co_u32_e32 v83, vcc, 0, v3, vcc
	flat_load_ubyte v82, v[82:83]
.LBB2853_111:
	s_or_b64 exec, exec, s[4:5]
	v_add_u32_e32 v83, 0x1900, v6
	v_cmp_lt_u32_e64 s[54:55], v83, v0
                                        ; implicit-def: $vgpr84
	s_and_saveexec_b64 s[4:5], s[54:55]
	s_cbranch_execz .LBB2853_113
; %bb.112:
	v_add_co_u32_e32 v84, vcc, v2, v83
	v_addc_co_u32_e32 v85, vcc, 0, v3, vcc
	flat_load_ubyte v84, v[84:85]
.LBB2853_113:
	s_or_b64 exec, exec, s[4:5]
	v_add_u32_e32 v85, 0x1a00, v6
	v_cmp_lt_u32_e64 s[56:57], v85, v0
                                        ; implicit-def: $vgpr86
	s_and_saveexec_b64 s[4:5], s[56:57]
	s_cbranch_execz .LBB2853_115
; %bb.114:
	v_add_co_u32_e32 v86, vcc, v2, v85
	v_addc_co_u32_e32 v87, vcc, 0, v3, vcc
	flat_load_ubyte v86, v[86:87]
.LBB2853_115:
	s_or_b64 exec, exec, s[4:5]
	v_add_u32_e32 v87, 0x1b00, v6
	v_cmp_lt_u32_e64 s[58:59], v87, v0
                                        ; implicit-def: $vgpr96
	s_and_saveexec_b64 s[4:5], s[58:59]
	s_cbranch_execz .LBB2853_117
; %bb.116:
	v_add_co_u32_e32 v96, vcc, v2, v87
	v_addc_co_u32_e32 v97, vcc, 0, v3, vcc
	flat_load_ubyte v96, v[96:97]
.LBB2853_117:
	s_or_b64 exec, exec, s[4:5]
	v_or_b32_e32 v97, 0x1c00, v6
	v_cmp_lt_u32_e64 s[60:61], v97, v0
                                        ; implicit-def: $vgpr98
	s_and_saveexec_b64 s[4:5], s[60:61]
	s_cbranch_execz .LBB2853_119
; %bb.118:
	v_add_co_u32_e32 v98, vcc, v2, v97
	v_addc_co_u32_e32 v99, vcc, 0, v3, vcc
	flat_load_ubyte v98, v[98:99]
.LBB2853_119:
	s_or_b64 exec, exec, s[4:5]
	v_add_u32_e32 v99, 0x1d00, v6
	v_cmp_lt_u32_e64 s[62:63], v99, v0
                                        ; implicit-def: $vgpr100
	s_and_saveexec_b64 s[4:5], s[62:63]
	s_cbranch_execz .LBB2853_121
; %bb.120:
	v_add_co_u32_e32 v100, vcc, v2, v99
	v_addc_co_u32_e32 v101, vcc, 0, v3, vcc
	flat_load_ubyte v100, v[100:101]
.LBB2853_121:
	s_or_b64 exec, exec, s[4:5]
	v_add_u32_e32 v101, 0x1e00, v6
	v_cmp_lt_u32_e64 s[64:65], v101, v0
                                        ; implicit-def: $vgpr102
	s_and_saveexec_b64 s[4:5], s[64:65]
	s_cbranch_execz .LBB2853_123
; %bb.122:
	v_add_co_u32_e32 v102, vcc, v2, v101
	v_addc_co_u32_e32 v103, vcc, 0, v3, vcc
	flat_load_ubyte v102, v[102:103]
.LBB2853_123:
	s_or_b64 exec, exec, s[4:5]
	v_add_u32_e32 v103, 0x1f00, v6
	v_cmp_lt_u32_e64 s[66:67], v103, v0
                                        ; implicit-def: $vgpr112
	s_and_saveexec_b64 s[4:5], s[66:67]
	s_cbranch_execz .LBB2853_125
; %bb.124:
	v_add_co_u32_e32 v2, vcc, v2, v103
	v_addc_co_u32_e32 v3, vcc, 0, v3, vcc
	flat_load_ubyte v112, v[2:3]
.LBB2853_125:
	s_or_b64 exec, exec, s[4:5]
	v_and_b32_e32 v1, 28, v1
	v_add_u32_e32 v2, v1, v6
	v_lshrrev_b32_e32 v1, 5, v9
	v_and_b32_e32 v1, 60, v1
	v_add_u32_e32 v1, v1, v6
	s_waitcnt vmcnt(0) lgkmcnt(0)
	ds_write_b8 v2, v8
	ds_write_b8 v1, v10 offset:256
	v_lshrrev_b32_e32 v3, 5, v11
	v_lshrrev_b32_e32 v8, 5, v13
	;; [unrolled: 1-line block ×4, first 2 shown]
	v_and_b32_e32 v3, 60, v3
	v_and_b32_e32 v8, 60, v8
	;; [unrolled: 1-line block ×4, first 2 shown]
	v_add_u32_e32 v3, v3, v6
	v_add_u32_e32 v8, v8, v6
	;; [unrolled: 1-line block ×4, first 2 shown]
	ds_write_b8 v3, v12 offset:512
	ds_write_b8 v8, v14 offset:768
	;; [unrolled: 1-line block ×4, first 2 shown]
	v_lshrrev_b32_e32 v11, 5, v19
	v_lshrrev_b32_e32 v12, 5, v21
	;; [unrolled: 1-line block ×9, first 2 shown]
	v_and_b32_e32 v11, 0x7c, v11
	v_and_b32_e32 v12, 0x7c, v12
	;; [unrolled: 1-line block ×9, first 2 shown]
	v_add_u32_e32 v11, v11, v6
	v_add_u32_e32 v12, v12, v6
	;; [unrolled: 1-line block ×9, first 2 shown]
	ds_write_b8 v11, v20 offset:1536
	ds_write_b8 v12, v22 offset:1792
	;; [unrolled: 1-line block ×9, first 2 shown]
	v_lshrrev_b32_e32 v20, 5, v37
	v_lshrrev_b32_e32 v21, 5, v39
	v_lshrrev_b32_e32 v22, 5, v49
	v_lshrrev_b32_e32 v23, 5, v51
	v_lshrrev_b32_e32 v24, 5, v53
	v_lshrrev_b32_e32 v25, 5, v55
	v_lshrrev_b32_e32 v26, 5, v66
	v_lshrrev_b32_e32 v27, 5, v68
	v_lshrrev_b32_e32 v28, 5, v70
	v_lshrrev_b32_e32 v29, 5, v80
	v_lshrrev_b32_e32 v30, 5, v83
	v_lshrrev_b32_e32 v31, 5, v85
	v_lshrrev_b32_e32 v32, 5, v87
	v_lshrrev_b32_e32 v33, 5, v97
	v_lshrrev_b32_e32 v34, 5, v99
	v_lshrrev_b32_e32 v35, 5, v101
	v_lshrrev_b32_e32 v36, 5, v103
	v_and_b32_e32 v20, 0xfc, v20
	v_and_b32_e32 v21, 0x9c, v21
	;; [unrolled: 1-line block ×18, first 2 shown]
	v_add_u32_e32 v20, v20, v6
	v_add_u32_e32 v21, v21, v6
	v_add_u32_e32 v22, v22, v6
	v_add_u32_e32 v23, v23, v6
	v_add_u32_e32 v24, v24, v6
	v_add_u32_e32 v25, v25, v6
	v_add_u32_e32 v26, v26, v6
	v_add_u32_e32 v27, v27, v6
	v_add_u32_e32 v28, v28, v6
	v_add_u32_e32 v29, v29, v6
	v_add_u32_e32 v30, v30, v6
	v_add_u32_e32 v31, v31, v6
	v_add_u32_e32 v32, v32, v6
	v_add_u32_e32 v33, v33, v6
	v_add_u32_e32 v34, v34, v6
	v_add_u32_e32 v35, v35, v6
	v_add_u32_e32 v36, v36, v6
	v_add_u32_e32 v37, v37, v7
	ds_write_b8 v20, v38 offset:3840
	ds_write_b8 v21, v48 offset:4096
	;; [unrolled: 1-line block ×17, first 2 shown]
	s_waitcnt lgkmcnt(0)
	s_barrier
	ds_read2_b32 v[38:39], v37 offset1:1
	ds_read2_b32 v[48:49], v37 offset0:2 offset1:3
	ds_read2_b32 v[50:51], v37 offset0:4 offset1:5
	;; [unrolled: 1-line block ×3, first 2 shown]
	s_waitcnt lgkmcnt(0)
	s_barrier
	s_load_dwordx2 s[4:5], s[8:9], 0x0
	v_mov_b32_e32 v52, 0
	v_lshrrev_b32_e32 v80, 16, v38
	v_lshrrev_b64 v[66:67], 24, v[38:39]
	v_lshrrev_b32_e32 v64, 8, v38
	s_waitcnt lgkmcnt(0)
	s_cmp_lt_u32 s12, s4
	s_cselect_b32 s6, 12, 18
	s_cmp_lt_u32 s13, s5
	s_cselect_b32 s4, 14, 20
	s_add_u32 s4, s8, s4
	s_addc_u32 s5, s9, 0
	s_add_u32 s6, s8, s6
	global_load_ushort v53, v52, s[4:5]
	s_addc_u32 s7, s9, 0
	global_load_ushort v52, v52, s[6:7]
	v_cmp_gt_u16_sdwa s[6:7], v80, v66 src0_sel:BYTE_0 src1_sel:BYTE_0
	v_lshrrev_b32_e32 v67, 8, v39
	v_cmp_gt_u16_sdwa s[4:5], v38, v64 src0_sel:BYTE_0 src1_sel:BYTE_0
	v_lshrrev_b32_e32 v84, 16, v39
	v_lshrrev_b32_e32 v85, 24, v39
	v_lshrrev_b32_e32 v86, 8, v48
	v_lshrrev_b32_e32 v87, 16, v48
	v_lshrrev_b64 v[68:69], 24, v[48:49]
	v_lshrrev_b32_e32 v69, 8, v49
	v_lshrrev_b32_e32 v96, 16, v49
	;; [unrolled: 1-line block ×3, first 2 shown]
	v_cmp_gt_u16_sdwa s[8:9], v49, v69 src0_sel:BYTE_0 src1_sel:BYTE_0
	v_lshrrev_b32_e32 v98, 8, v50
	v_lshrrev_b32_e32 v99, 16, v50
	v_lshrrev_b64 v[70:71], 24, v[50:51]
	v_lshrrev_b32_e32 v71, 8, v51
	v_lshrrev_b32_e32 v100, 16, v51
	;; [unrolled: 1-line block ×5, first 2 shown]
	v_lshrrev_b64 v[82:83], 24, v[54:55]
	v_lshrrev_b32_e32 v83, 8, v55
	v_lshrrev_b32_e32 v112, 16, v55
	s_waitcnt vmcnt(1)
	v_mad_u32_u24 v53, v65, v53, v81
	v_lshrrev_b32_e32 v65, 24, v55
	s_waitcnt vmcnt(0)
	v_mul_lo_u32 v52, v53, v52
	v_add_lshl_u32 v52, v52, v6, 5
	v_sub_u32_e64 v53, v0, v52 clamp
	v_cmp_lt_u32_e64 s[14:15], 3, v53
	v_cmp_lt_u32_e64 s[12:13], 1, v53
	s_and_b64 vcc, s[14:15], s[6:7]
	v_cndmask_b32_e32 v81, v66, v80, vcc
	v_cndmask_b32_e32 v66, v80, v66, vcc
	s_and_b64 vcc, s[12:13], s[4:5]
	v_cmp_lt_u32_e64 s[16:17], 5, v53
	v_cmp_gt_u16_sdwa s[4:5], v39, v67 src0_sel:BYTE_0 src1_sel:BYTE_0
	v_cndmask_b32_e32 v80, v64, v38, vcc
	v_cndmask_b32_e32 v38, v38, v64, vcc
	s_and_b64 vcc, s[16:17], s[4:5]
	v_cmp_lt_u32_e64 s[18:19], 7, v53
	v_cmp_gt_u16_sdwa s[4:5], v84, v85 src0_sel:BYTE_0 src1_sel:DWORD
	v_cndmask_b32_e32 v64, v67, v39, vcc
	v_cndmask_b32_e32 v39, v39, v67, vcc
	s_and_b64 vcc, s[18:19], s[4:5]
	v_cmp_lt_u32_e64 s[98:99], 9, v53
	v_cmp_gt_u16_sdwa s[4:5], v48, v86 src0_sel:BYTE_0 src1_sel:BYTE_0
	v_cndmask_b32_e32 v67, v85, v84, vcc
	v_cndmask_b32_e32 v84, v84, v85, vcc
	s_and_b64 vcc, s[98:99], s[4:5]
	v_cmp_lt_u32_e64 s[4:5], 11, v53
	v_cmp_gt_u16_sdwa s[6:7], v87, v68 src0_sel:BYTE_0 src1_sel:BYTE_0
	v_cndmask_b32_e32 v85, v86, v48, vcc
	v_cndmask_b32_e32 v48, v48, v86, vcc
	s_and_b64 vcc, s[4:5], s[6:7]
	v_cmp_lt_u32_e64 s[6:7], 13, v53
	v_cndmask_b32_e32 v86, v68, v87, vcc
	v_cndmask_b32_e32 v68, v87, v68, vcc
	s_and_b64 vcc, s[6:7], s[8:9]
	v_cmp_lt_u32_e64 s[68:69], 15, v53
	v_cmp_gt_u16_sdwa s[8:9], v96, v97 src0_sel:BYTE_0 src1_sel:DWORD
	v_cndmask_b32_e32 v87, v69, v49, vcc
	v_cndmask_b32_e32 v49, v49, v69, vcc
	s_and_b64 vcc, s[68:69], s[8:9]
	v_cmp_lt_u32_e64 s[10:11], 17, v53
	v_cmp_gt_u16_sdwa s[8:9], v50, v98 src0_sel:BYTE_0 src1_sel:BYTE_0
	v_cndmask_b32_e32 v69, v97, v96, vcc
	v_cndmask_b32_e32 v96, v96, v97, vcc
	s_and_b64 vcc, s[10:11], s[8:9]
	v_cmp_lt_u32_e64 s[78:79], 19, v53
	v_cmp_gt_u16_sdwa s[8:9], v99, v70 src0_sel:BYTE_0 src1_sel:BYTE_0
	v_cndmask_b32_e32 v97, v98, v50, vcc
	v_cndmask_b32_e32 v50, v50, v98, vcc
	s_and_b64 vcc, s[78:79], s[8:9]
	v_cmp_lt_u32_e64 s[72:73], 21, v53
	v_cmp_gt_u16_sdwa s[8:9], v51, v71 src0_sel:BYTE_0 src1_sel:BYTE_0
	v_cndmask_b32_e32 v98, v70, v99, vcc
	v_cndmask_b32_e32 v70, v99, v70, vcc
	s_and_b64 vcc, s[72:73], s[8:9]
	v_cmp_lt_u32_e64 s[74:75], 23, v53
	v_cmp_gt_u16_sdwa s[8:9], v100, v101 src0_sel:BYTE_0 src1_sel:DWORD
	v_cndmask_b32_e32 v99, v71, v51, vcc
	v_cndmask_b32_e32 v51, v51, v71, vcc
	s_and_b64 vcc, s[74:75], s[8:9]
	v_cmp_lt_u32_e64 s[76:77], 25, v53
	v_cmp_gt_u16_sdwa s[8:9], v54, v102 src0_sel:BYTE_0 src1_sel:BYTE_0
	v_cndmask_b32_e32 v71, v101, v100, vcc
	v_cndmask_b32_e32 v100, v100, v101, vcc
	s_and_b64 vcc, s[76:77], s[8:9]
	v_cmp_lt_u32_e64 s[80:81], 27, v53
	v_cmp_gt_u16_sdwa s[8:9], v103, v82 src0_sel:BYTE_0 src1_sel:BYTE_0
	v_cndmask_b32_e32 v101, v102, v54, vcc
	v_cndmask_b32_e32 v54, v54, v102, vcc
	s_and_b64 vcc, s[80:81], s[8:9]
	v_cmp_lt_u32_e64 s[70:71], 29, v53
	v_cmp_gt_u16_sdwa s[8:9], v55, v83 src0_sel:BYTE_0 src1_sel:BYTE_0
	;; [unrolled: 20-line block ×3, first 2 shown]
	v_cndmask_b32_e32 v80, v39, v81, vcc
	v_cndmask_b32_e32 v39, v81, v39, vcc
	s_and_b64 vcc, s[30:31], s[20:21]
	v_cmp_lt_u32_e64 s[34:35], 8, v53
	v_cmp_gt_u16_sdwa s[20:21], v67, v48 src0_sel:BYTE_0 src1_sel:BYTE_0
	s_and_b64 s[20:21], s[34:35], s[20:21]
	v_cndmask_b32_e32 v81, v84, v64, vcc
	v_cndmask_b32_e32 v64, v64, v84, vcc
	v_cndmask_b32_e64 v84, v48, v67, s[20:21]
	v_cndmask_b32_e64 v48, v67, v48, s[20:21]
	v_cmp_lt_u32_e64 s[20:21], 10, v53
	v_cmp_gt_u16_sdwa s[22:23], v85, v68 src0_sel:BYTE_0 src1_sel:BYTE_0
	s_and_b64 s[22:23], s[20:21], s[22:23]
	v_cndmask_b32_e64 v67, v68, v85, s[22:23]
	v_cndmask_b32_e64 v68, v85, v68, s[22:23]
	v_cmp_lt_u32_e64 s[22:23], 12, v53
	v_cmp_gt_u16_sdwa s[24:25], v86, v49 src0_sel:BYTE_0 src1_sel:BYTE_0
	s_and_b64 s[24:25], s[22:23], s[24:25]
	v_cndmask_b32_e64 v85, v49, v86, s[24:25]
	v_cndmask_b32_e64 v49, v86, v49, s[24:25]
	v_cmp_lt_u32_e64 s[24:25], 14, v53
	v_cmp_gt_u16_sdwa vcc, v87, v96 src0_sel:BYTE_0 src1_sel:BYTE_0
	s_and_b64 s[82:83], s[24:25], vcc
	v_cmp_lt_u32_e64 s[96:97], 16, v53
	v_cmp_gt_u16_sdwa vcc, v69, v50 src0_sel:BYTE_0 src1_sel:BYTE_0
	v_cndmask_b32_e64 v86, v96, v87, s[82:83]
	v_cndmask_b32_e64 v87, v87, v96, s[82:83]
	s_and_b64 s[82:83], s[96:97], vcc
	v_cndmask_b32_e64 v96, v50, v69, s[82:83]
	v_cndmask_b32_e64 v50, v69, v50, s[82:83]
	v_cmp_lt_u32_e64 s[82:83], 18, v53
	v_cmp_gt_u16_sdwa vcc, v97, v70 src0_sel:BYTE_0 src1_sel:BYTE_0
	s_and_b64 s[84:85], s[82:83], vcc
	v_cmp_lt_u32_e64 s[86:87], 20, v53
	v_cmp_gt_u16_sdwa vcc, v98, v51 src0_sel:BYTE_0 src1_sel:BYTE_0
	v_cndmask_b32_e64 v69, v70, v97, s[84:85]
	v_cndmask_b32_e64 v70, v97, v70, s[84:85]
	s_and_b64 s[84:85], s[86:87], vcc
	v_cmp_lt_u32_e64 s[90:91], 22, v53
	v_cmp_gt_u16_sdwa vcc, v99, v100 src0_sel:BYTE_0 src1_sel:BYTE_0
	v_cndmask_b32_e64 v97, v51, v98, s[84:85]
	v_cndmask_b32_e64 v51, v98, v51, s[84:85]
	;; [unrolled: 5-line block ×5, first 2 shown]
	s_and_b64 s[84:85], s[88:89], vcc
	v_cndmask_b32_e64 v102, v82, v103, s[84:85]
	v_cndmask_b32_e64 v82, v103, v82, s[84:85]
	v_cmp_lt_u32_e64 s[84:85], 30, v53
	v_cmp_gt_u16_sdwa vcc, v55, v83 src0_sel:BYTE_0 src1_sel:BYTE_0
	s_and_b64 vcc, s[84:85], vcc
	v_cndmask_b32_e32 v53, v55, v83, vcc
	v_cndmask_b32_e32 v55, v83, v55, vcc
	v_cmp_gt_u16_sdwa vcc, v38, v66 src0_sel:BYTE_0 src1_sel:BYTE_0
	s_and_b64 vcc, s[12:13], vcc
	v_cndmask_b32_e32 v83, v66, v38, vcc
	v_cndmask_b32_e32 v38, v38, v66, vcc
	;; [unrolled: 4-line block ×428, first 2 shown]
	v_cmp_gt_u16_sdwa vcc, v38, v53 src0_sel:BYTE_0 src1_sel:BYTE_0
	s_and_b64 vcc, s[12:13], vcc
	v_cmp_gt_u16_sdwa s[12:13], v55, v39 src0_sel:BYTE_0 src1_sel:BYTE_0
	v_cndmask_b32_e32 v69, v53, v38, vcc
	v_cndmask_b32_e32 v38, v38, v53, vcc
	s_and_b64 vcc, s[14:15], s[12:13]
	v_cmp_gt_u16_sdwa s[12:13], v67, v64 src0_sel:BYTE_0 src1_sel:BYTE_0
	v_cndmask_b32_e32 v53, v39, v55, vcc
	v_cndmask_b32_e32 v39, v55, v39, vcc
	s_and_b64 vcc, s[16:17], s[12:13]
	;; [unrolled: 4-line block ×16, first 2 shown]
	v_cmp_gt_u16_sdwa s[4:5], v83, v98 src0_sel:BYTE_0 src1_sel:BYTE_0
	s_and_b64 s[4:5], s[86:87], s[4:5]
	v_cndmask_b32_e64 v101, v98, v83, s[4:5]
	v_cndmask_b32_e64 v83, v83, v98, s[4:5]
	v_cmp_gt_u16_sdwa s[4:5], v84, v99 src0_sel:BYTE_0 src1_sel:BYTE_0
	s_and_b64 s[4:5], s[90:91], s[4:5]
	v_cndmask_b32_e32 v80, v70, v116, vcc
	v_cndmask_b32_e64 v98, v99, v84, s[4:5]
	v_cndmask_b32_e64 v84, v84, v99, s[4:5]
	v_cmp_gt_u16_sdwa s[4:5], v85, v100 src0_sel:BYTE_0 src1_sel:BYTE_0
	v_cndmask_b32_e32 v81, v116, v70, vcc
	v_lshlrev_b16_e32 v70, 8, v68
	v_lshlrev_b16_e32 v71, 8, v80
	s_and_b64 s[4:5], s[92:93], s[4:5]
	v_or_b32_sdwa v70, v67, v70 dst_sel:DWORD dst_unused:UNUSED_PAD src0_sel:BYTE_0 src1_sel:DWORD
	v_or_b32_sdwa v71, v69, v71 dst_sel:WORD_1 dst_unused:UNUSED_PAD src0_sel:BYTE_0 src1_sel:DWORD
	v_cndmask_b32_e64 v99, v100, v85, s[4:5]
	v_cndmask_b32_e64 v85, v85, v100, s[4:5]
	v_cmp_gt_u16_sdwa s[4:5], v86, v96 src0_sel:BYTE_0 src1_sel:BYTE_0
	v_or_b32_sdwa v117, v70, v71 dst_sel:DWORD dst_unused:UNUSED_PAD src0_sel:WORD_0 src1_sel:DWORD
	v_lshlrev_b16_e32 v70, 8, v64
	v_lshlrev_b16_e32 v71, 8, v66
	s_and_b64 s[4:5], s[94:95], s[4:5]
	v_or_b32_sdwa v70, v55, v70 dst_sel:DWORD dst_unused:UNUSED_PAD src0_sel:BYTE_0 src1_sel:DWORD
	v_or_b32_sdwa v71, v65, v71 dst_sel:WORD_1 dst_unused:UNUSED_PAD src0_sel:BYTE_0 src1_sel:DWORD
	v_cndmask_b32_e64 v100, v86, v96, s[4:5]
	v_cndmask_b32_e64 v86, v96, v86, s[4:5]
	v_cmp_gt_u16_sdwa s[4:5], v87, v97 src0_sel:BYTE_0 src1_sel:BYTE_0
	v_cmp_gt_u16_sdwa s[10:11], v101, v84 src0_sel:BYTE_0 src1_sel:BYTE_0
	v_or_b32_sdwa v116, v70, v71 dst_sel:DWORD dst_unused:UNUSED_PAD src0_sel:WORD_0 src1_sel:DWORD
	v_lshlrev_b16_e32 v70, 8, v51
	v_lshlrev_b16_e32 v71, 8, v54
	s_and_b64 s[4:5], s[88:89], s[4:5]
	s_and_b64 s[10:11], s[72:73], s[10:11]
	v_or_b32_sdwa v70, v50, v70 dst_sel:DWORD dst_unused:UNUSED_PAD src0_sel:BYTE_0 src1_sel:DWORD
	v_or_b32_sdwa v71, v53, v71 dst_sel:WORD_1 dst_unused:UNUSED_PAD src0_sel:BYTE_0 src1_sel:DWORD
	v_cndmask_b32_e64 v96, v87, v97, s[4:5]
	v_cndmask_b32_e64 v118, v97, v87, s[4:5]
	;; [unrolled: 1-line block ×4, first 2 shown]
	v_cmp_gt_u16_sdwa s[10:11], v98, v85 src0_sel:BYTE_0 src1_sel:BYTE_0
	v_or_b32_sdwa v115, v70, v71 dst_sel:DWORD dst_unused:UNUSED_PAD src0_sel:WORD_0 src1_sel:DWORD
	v_lshlrev_b16_e32 v70, 8, v49
	v_lshlrev_b16_e32 v71, 8, v39
	s_and_b64 s[10:11], s[74:75], s[10:11]
	v_or_b32_sdwa v70, v48, v70 dst_sel:WORD_1 dst_unused:UNUSED_PAD src0_sel:BYTE_0 src1_sel:DWORD
	v_or_b32_sdwa v71, v38, v71 dst_sel:DWORD dst_unused:UNUSED_PAD src0_sel:BYTE_0 src1_sel:DWORD
	v_cndmask_b32_e64 v84, v85, v98, s[10:11]
	v_cndmask_b32_e64 v85, v98, v85, s[10:11]
	v_cmp_gt_u16_sdwa s[10:11], v99, v100 src0_sel:BYTE_0 src1_sel:BYTE_0
	v_or_b32_sdwa v114, v71, v70 dst_sel:DWORD dst_unused:UNUSED_PAD src0_sel:WORD_0 src1_sel:DWORD
	v_mbcnt_lo_u32_b32 v70, -1, 0
	s_and_b64 s[10:11], s[76:77], s[10:11]
	v_mbcnt_hi_u32_b32 v70, -1, v70
	v_cndmask_b32_e64 v101, v100, v99, s[10:11]
	v_cndmask_b32_e64 v97, v99, v100, s[10:11]
	v_cmp_gt_u16_sdwa s[10:11], v86, v96 src0_sel:BYTE_0 src1_sel:BYTE_0
	v_cmp_gt_u16_sdwa s[40:41], v102, v82 src0_sel:BYTE_0 src1_sel:BYTE_0
	v_and_b32_e32 v52, 0xfffff800, v52
	v_lshlrev_b32_e32 v70, 5, v70
	s_and_b64 s[10:11], s[80:81], s[10:11]
	v_add_u32_e32 v71, v52, v70
	s_and_b64 vcc, s[8:9], s[40:41]
	v_cndmask_b32_e64 v100, v86, v96, s[10:11]
	v_cndmask_b32_e64 v129, v96, v86, s[10:11]
	v_cmp_gt_u16_sdwa s[10:11], v87, v85 src0_sel:BYTE_0 src1_sel:BYTE_0
	ds_write_b128 v71, v[114:117]
	v_cndmask_b32_e32 v117, v102, v82, vcc
	s_and_b64 s[10:11], s[90:91], s[10:11]
	v_cmp_gt_u16_sdwa s[4:5], v103, v117 src0_sel:BYTE_0 src1_sel:BYTE_0
	v_cndmask_b32_e64 v96, v85, v87, s[10:11]
	v_cndmask_b32_e64 v87, v87, v85, s[10:11]
	v_cmp_gt_u16_sdwa s[10:11], v84, v97 src0_sel:BYTE_0 src1_sel:BYTE_0
	s_and_b64 s[4:5], s[84:85], s[4:5]
	s_and_b64 s[10:11], s[92:93], s[10:11]
	v_cndmask_b32_e64 v119, v103, v117, s[4:5]
	v_cndmask_b32_e64 v98, v97, v84, s[10:11]
	;; [unrolled: 1-line block ×3, first 2 shown]
	v_cmp_gt_u16_sdwa s[10:11], v101, v100 src0_sel:BYTE_0 src1_sel:BYTE_0
	v_cmp_gt_u16_sdwa s[12:13], v118, v119 src0_sel:BYTE_0 src1_sel:BYTE_0
	s_and_b64 s[10:11], s[94:95], s[10:11]
	v_cndmask_b32_e64 v99, v101, v100, s[10:11]
	v_cndmask_b32_e64 v100, v100, v101, s[10:11]
	s_and_b64 s[10:11], s[70:71], s[12:13]
	v_cndmask_b32_e64 v130, v118, v119, s[10:11]
	v_cmp_gt_u16_sdwa s[6:7], v112, v83 src0_sel:BYTE_0 src1_sel:BYTE_0
	v_cmp_gt_u16_sdwa s[12:13], v129, v130 src0_sel:BYTE_0 src1_sel:BYTE_0
	s_and_b64 s[6:7], s[78:79], s[6:7]
	s_and_b64 s[12:13], s[88:89], s[12:13]
	v_cndmask_b32_e64 v114, v83, v112, s[6:7]
	v_cndmask_b32_e64 v101, v129, v130, s[12:13]
	v_cndmask_b32_e64 v83, v112, v83, s[6:7]
	v_cmp_gt_u16_sdwa s[14:15], v114, v128 src0_sel:BYTE_0 src1_sel:BYTE_0
	v_lshlrev_b16_e32 v84, 8, v99
	v_lshlrev_b16_e32 v85, 8, v101
	v_cmp_gt_u16_sdwa s[6:7], v113, v83 src0_sel:BYTE_0 src1_sel:BYTE_0
	v_or_b32_sdwa v84, v98, v84 dst_sel:DWORD dst_unused:UNUSED_PAD src0_sel:BYTE_0 src1_sel:DWORD
	v_or_b32_sdwa v85, v100, v85 dst_sel:WORD_1 dst_unused:UNUSED_PAD src0_sel:BYTE_0 src1_sel:DWORD
	s_and_b64 s[14:15], s[86:87], s[14:15]
	v_lshlrev_b16_e32 v116, 8, v97
	s_and_b64 s[6:7], s[82:83], s[6:7]
	v_or_b32_sdwa v131, v96, v116 dst_sel:WORD_1 dst_unused:UNUSED_PAD src0_sel:BYTE_0 src1_sel:DWORD
	v_or_b32_sdwa v116, v84, v85 dst_sel:DWORD dst_unused:UNUSED_PAD src0_sel:WORD_0 src1_sel:DWORD
	v_cndmask_b32_e64 v84, v83, v113, s[6:7]
	v_cndmask_b32_e64 v83, v113, v83, s[6:7]
	;; [unrolled: 1-line block ×3, first 2 shown]
	v_cndmask_b32_e32 v82, v82, v102, vcc
	v_cndmask_b32_e64 v102, v117, v103, s[4:5]
	v_lshlrev_b16_e32 v112, 8, v83
	v_lshlrev_b16_e32 v113, 8, v85
	v_cmp_gt_u16_sdwa s[4:5], v102, v82 src0_sel:BYTE_0 src1_sel:BYTE_0
	v_or_b32_sdwa v112, v81, v112 dst_sel:DWORD dst_unused:UNUSED_PAD src0_sel:BYTE_0 src1_sel:DWORD
	v_or_b32_sdwa v113, v84, v113 dst_sel:WORD_1 dst_unused:UNUSED_PAD src0_sel:BYTE_0 src1_sel:DWORD
	s_and_b64 vcc, s[8:9], s[4:5]
	v_cndmask_b32_e64 v86, v128, v114, s[14:15]
	v_or_b32_sdwa v114, v112, v113 dst_sel:DWORD dst_unused:UNUSED_PAD src0_sel:WORD_0 src1_sel:DWORD
	v_cndmask_b32_e64 v112, v119, v118, s[10:11]
	v_cndmask_b32_e32 v117, v102, v82, vcc
	v_cmp_gt_u16_sdwa s[4:5], v112, v117 src0_sel:BYTE_0 src1_sel:BYTE_0
	v_cndmask_b32_e32 v113, v82, v102, vcc
	s_and_b64 vcc, s[84:85], s[4:5]
	v_cndmask_b32_e32 v103, v112, v117, vcc
	v_lshlrev_b16_e32 v115, 8, v87
	v_cndmask_b32_e64 v102, v130, v129, s[12:13]
	v_cndmask_b32_e32 v112, v117, v112, vcc
	v_lshlrev_b16_e32 v82, 8, v103
	v_lshlrev_b16_e32 v117, 8, v113
	v_or_b32_sdwa v115, v86, v115 dst_sel:DWORD dst_unused:UNUSED_PAD src0_sel:BYTE_0 src1_sel:DWORD
	v_or_b32_sdwa v82, v102, v82 dst_sel:DWORD dst_unused:UNUSED_PAD src0_sel:BYTE_0 src1_sel:DWORD
	v_or_b32_sdwa v117, v112, v117 dst_sel:WORD_1 dst_unused:UNUSED_PAD src0_sel:BYTE_0 src1_sel:DWORD
	v_or_b32_sdwa v115, v115, v131 dst_sel:DWORD dst_unused:UNUSED_PAD src0_sel:WORD_0 src1_sel:DWORD
	v_or_b32_sdwa v117, v82, v117 dst_sel:DWORD dst_unused:UNUSED_PAD src0_sel:WORD_0 src1_sel:DWORD
	ds_write_b128 v71, v[114:117] offset:16
	v_sub_u32_e64 v82, v0, v52 clamp
	v_or_b32_e32 v114, 32, v70
	v_min_u32_e32 v114, v82, v114
	v_add_u32_e32 v115, 32, v114
	v_min_u32_e32 v115, v82, v115
	v_and_b32_e32 v116, 32, v70
	v_min_u32_e32 v117, v82, v116
	v_sub_u32_e32 v116, v115, v114
	v_sub_u32_e64 v118, v117, v116 clamp
	v_and_b32_e32 v116, 0xfc0, v70
	v_sub_u32_e32 v119, v114, v116
	v_min_u32_e32 v119, v117, v119
	v_cmp_lt_u32_e32 vcc, v118, v119
	; wave barrier
	s_and_saveexec_b64 s[4:5], vcc
	s_cbranch_execz .LBB2853_129
; %bb.126:
	v_add_u32_e32 v128, v52, v116
	v_add3_u32 v129, v52, v114, v117
	s_mov_b64 s[6:7], 0
.LBB2853_127:                           ; =>This Inner Loop Header: Depth=1
	v_add_u32_e32 v130, v119, v118
	v_lshrrev_b32_e32 v130, 1, v130
	v_add_u32_e32 v131, v128, v130
	v_xad_u32 v132, v130, -1, v129
	ds_read_u8 v131, v131
	ds_read_u8 v132, v132
	v_add_u32_e32 v133, 1, v130
	s_waitcnt lgkmcnt(0)
	v_cmp_gt_u16_e32 vcc, v131, v132
	v_cndmask_b32_e32 v119, v119, v130, vcc
	v_cndmask_b32_e32 v118, v133, v118, vcc
	v_cmp_ge_u32_e32 vcc, v118, v119
	s_or_b64 s[6:7], vcc, s[6:7]
	s_andn2_b64 exec, exec, s[6:7]
	s_cbranch_execnz .LBB2853_127
; %bb.128:
	s_or_b64 exec, exec, s[6:7]
.LBB2853_129:
	s_or_b64 exec, exec, s[4:5]
	v_add_u32_e32 v117, v114, v117
	v_add_u32_e32 v116, v118, v116
	v_sub_u32_e32 v117, v117, v118
	v_cmp_le_u32_e32 vcc, v116, v114
	v_cmp_le_u32_e64 s[4:5], v117, v115
	s_or_b64 s[4:5], vcc, s[4:5]
	s_and_saveexec_b64 s[8:9], s[4:5]
	s_cbranch_execz .LBB2853_135
; %bb.130:
	v_cmp_lt_u32_e32 vcc, v116, v114
                                        ; implicit-def: $vgpr39
	s_and_saveexec_b64 s[4:5], vcc
	s_cbranch_execz .LBB2853_132
; %bb.131:
	v_add_u32_e32 v38, v52, v116
	ds_read_u8 v39, v38
.LBB2853_132:
	s_or_b64 exec, exec, s[4:5]
	v_cmp_ge_u32_e64 s[4:5], v117, v115
	v_cmp_lt_u32_e64 s[6:7], v117, v115
                                        ; implicit-def: $vgpr48
	s_and_saveexec_b64 s[10:11], s[6:7]
	s_cbranch_execz .LBB2853_134
; %bb.133:
	v_add_u32_e32 v38, v52, v117
	ds_read_u8 v48, v38
.LBB2853_134:
	s_or_b64 exec, exec, s[10:11]
	s_waitcnt lgkmcnt(0)
	v_cmp_le_u16_sdwa s[6:7], v39, v48 src0_sel:BYTE_0 src1_sel:BYTE_0
	s_and_b64 s[6:7], vcc, s[6:7]
	s_or_b64 vcc, s[4:5], s[6:7]
	v_cndmask_b32_e32 v49, v117, v116, vcc
	v_cndmask_b32_e32 v50, v115, v114, vcc
	v_add_u32_e32 v49, 1, v49
	v_add_u32_e32 v50, -1, v50
	v_min_u32_e32 v50, v49, v50
	v_add_u32_e32 v50, v52, v50
	ds_read_u8 v50, v50
	v_cndmask_b32_e32 v38, v48, v39, vcc
	v_cndmask_b32_e32 v51, v49, v117, vcc
	v_cndmask_b32_e32 v49, v116, v49, vcc
	v_cmp_lt_u32_e64 s[4:5], v49, v114
	s_waitcnt lgkmcnt(0)
	v_cndmask_b32_e32 v48, v50, v48, vcc
	v_cndmask_b32_e32 v50, v39, v50, vcc
	v_cmp_le_u16_sdwa s[6:7], v50, v48 src0_sel:BYTE_0 src1_sel:BYTE_0
	v_cmp_ge_u32_e32 vcc, v51, v115
	s_and_b64 s[4:5], s[4:5], s[6:7]
	s_or_b64 vcc, vcc, s[4:5]
	v_cndmask_b32_e32 v53, v51, v49, vcc
	v_cndmask_b32_e32 v54, v115, v114, vcc
	v_add_u32_e32 v53, 1, v53
	v_add_u32_e32 v54, -1, v54
	v_min_u32_e32 v54, v53, v54
	v_add_u32_e32 v54, v52, v54
	ds_read_u8 v54, v54
	v_cndmask_b32_e32 v39, v48, v50, vcc
	v_cndmask_b32_e32 v49, v49, v53, vcc
	v_cndmask_b32_e32 v51, v53, v51, vcc
	v_cmp_lt_u32_e64 s[4:5], v49, v114
	s_waitcnt lgkmcnt(0)
	v_cndmask_b32_e32 v55, v54, v48, vcc
	v_cndmask_b32_e32 v50, v50, v54, vcc
	v_cmp_le_u16_sdwa s[6:7], v50, v55 src0_sel:BYTE_0 src1_sel:BYTE_0
	v_cmp_ge_u32_e32 vcc, v51, v115
	s_and_b64 s[4:5], s[4:5], s[6:7]
	s_or_b64 vcc, vcc, s[4:5]
	;; [unrolled: 18-line block ×4, first 2 shown]
	v_cndmask_b32_e32 v54, v51, v53, vcc
	v_cndmask_b32_e32 v65, v115, v114, vcc
	v_add_u32_e32 v54, 1, v54
	v_add_u32_e32 v65, -1, v65
	v_min_u32_e32 v65, v54, v65
	v_add_u32_e32 v65, v52, v65
	ds_read_u8 v65, v65
	v_cndmask_b32_e32 v50, v55, v64, vcc
	v_cndmask_b32_e32 v53, v53, v54, vcc
	v_cmp_lt_u32_e64 s[4:5], v53, v114
	s_waitcnt lgkmcnt(0)
	v_cndmask_b32_e32 v55, v65, v55, vcc
	v_cndmask_b32_e32 v64, v64, v65, vcc
	;; [unrolled: 1-line block ×3, first 2 shown]
	v_cmp_le_u16_sdwa s[6:7], v64, v55 src0_sel:BYTE_0 src1_sel:BYTE_0
	v_cmp_ge_u32_e32 vcc, v65, v115
	s_and_b64 s[4:5], s[4:5], s[6:7]
	s_or_b64 vcc, vcc, s[4:5]
	v_cndmask_b32_e32 v54, v65, v53, vcc
	v_cndmask_b32_e32 v66, v115, v114, vcc
	v_add_u32_e32 v54, 1, v54
	v_add_u32_e32 v66, -1, v66
	v_min_u32_e32 v66, v54, v66
	v_add_u32_e32 v66, v52, v66
	ds_read_u8 v66, v66
	v_cndmask_b32_e32 v51, v55, v64, vcc
	v_cndmask_b32_e32 v65, v54, v65, vcc
	v_cndmask_b32_e32 v54, v53, v54, vcc
	v_cmp_lt_u32_e64 s[4:5], v54, v114
	s_waitcnt lgkmcnt(0)
	v_cndmask_b32_e32 v55, v66, v55, vcc
	v_cndmask_b32_e32 v64, v64, v66, vcc
	v_cmp_le_u16_sdwa s[6:7], v64, v55 src0_sel:BYTE_0 src1_sel:BYTE_0
	v_cmp_ge_u32_e32 vcc, v65, v115
	s_and_b64 s[4:5], s[4:5], s[6:7]
	s_or_b64 vcc, vcc, s[4:5]
	v_cndmask_b32_e32 v66, v65, v54, vcc
	v_cndmask_b32_e32 v67, v115, v114, vcc
	v_add_u32_e32 v66, 1, v66
	v_add_u32_e32 v67, -1, v67
	v_min_u32_e32 v67, v66, v67
	v_add_u32_e32 v67, v52, v67
	ds_read_u8 v67, v67
	v_cndmask_b32_e32 v53, v55, v64, vcc
	v_cndmask_b32_e32 v65, v66, v65, vcc
	v_cndmask_b32_e32 v66, v54, v66, vcc
	v_cmp_lt_u32_e64 s[4:5], v66, v114
	s_waitcnt lgkmcnt(0)
	v_cndmask_b32_e32 v55, v67, v55, vcc
	v_cndmask_b32_e32 v64, v64, v67, vcc
	;; [unrolled: 18-line block ×4, first 2 shown]
	v_cmp_le_u16_sdwa s[6:7], v68, v69 src0_sel:BYTE_0 src1_sel:BYTE_0
	v_cmp_ge_u32_e32 vcc, v65, v115
	s_and_b64 s[4:5], s[4:5], s[6:7]
	s_or_b64 vcc, vcc, s[4:5]
	v_cndmask_b32_e32 v67, v65, v66, vcc
	v_cndmask_b32_e32 v80, v115, v114, vcc
	v_add_u32_e32 v67, 1, v67
	v_add_u32_e32 v80, -1, v80
	v_min_u32_e32 v80, v67, v80
	v_add_u32_e32 v80, v52, v80
	ds_read_u8 v80, v80
	v_cndmask_b32_e32 v64, v69, v68, vcc
	v_cndmask_b32_e32 v66, v66, v67, vcc
	v_cmp_lt_u32_e64 s[4:5], v66, v114
	s_waitcnt lgkmcnt(0)
	v_cndmask_b32_e32 v69, v80, v69, vcc
	v_cndmask_b32_e32 v68, v68, v80, vcc
	;; [unrolled: 1-line block ×3, first 2 shown]
	v_cmp_le_u16_sdwa s[6:7], v68, v69 src0_sel:BYTE_0 src1_sel:BYTE_0
	v_cmp_ge_u32_e32 vcc, v80, v115
	s_and_b64 s[4:5], s[4:5], s[6:7]
	s_or_b64 vcc, vcc, s[4:5]
	v_cndmask_b32_e32 v67, v80, v66, vcc
	v_cndmask_b32_e32 v81, v115, v114, vcc
	v_add_u32_e32 v67, 1, v67
	v_add_u32_e32 v81, -1, v81
	v_min_u32_e32 v81, v67, v81
	v_add_u32_e32 v81, v52, v81
	ds_read_u8 v81, v81
	v_cndmask_b32_e32 v65, v69, v68, vcc
	v_cndmask_b32_e32 v80, v67, v80, vcc
	v_cndmask_b32_e32 v67, v66, v67, vcc
	v_cmp_lt_u32_e64 s[4:5], v67, v114
	s_waitcnt lgkmcnt(0)
	v_cndmask_b32_e32 v69, v81, v69, vcc
	v_cndmask_b32_e32 v68, v68, v81, vcc
	v_cmp_le_u16_sdwa s[6:7], v68, v69 src0_sel:BYTE_0 src1_sel:BYTE_0
	v_cmp_ge_u32_e32 vcc, v80, v115
	s_and_b64 s[4:5], s[4:5], s[6:7]
	s_or_b64 vcc, vcc, s[4:5]
	v_cndmask_b32_e32 v81, v80, v67, vcc
	v_cndmask_b32_e32 v83, v115, v114, vcc
	v_add_u32_e32 v81, 1, v81
	v_add_u32_e32 v83, -1, v83
	v_min_u32_e32 v83, v81, v83
	v_add_u32_e32 v83, v52, v83
	ds_read_u8 v83, v83
	v_cndmask_b32_e32 v66, v69, v68, vcc
	v_cndmask_b32_e32 v80, v81, v80, vcc
	v_cndmask_b32_e32 v81, v67, v81, vcc
	v_cmp_lt_u32_e64 s[4:5], v81, v114
	s_waitcnt lgkmcnt(0)
	v_cndmask_b32_e32 v69, v83, v69, vcc
	v_cndmask_b32_e32 v68, v68, v83, vcc
	;; [unrolled: 18-line block ×4, first 2 shown]
	v_cmp_le_u16_sdwa s[6:7], v84, v86 src0_sel:BYTE_0 src1_sel:BYTE_0
	v_cmp_ge_u32_e32 vcc, v80, v115
	s_and_b64 s[4:5], s[4:5], s[6:7]
	s_or_b64 vcc, vcc, s[4:5]
	v_cndmask_b32_e32 v83, v80, v81, vcc
	v_cndmask_b32_e32 v85, v115, v114, vcc
	v_add_u32_e32 v83, 1, v83
	v_add_u32_e32 v85, -1, v85
	v_min_u32_e32 v85, v83, v85
	v_add_u32_e32 v85, v52, v85
	ds_read_u8 v85, v85
	v_cndmask_b32_e32 v69, v86, v84, vcc
	v_cndmask_b32_e32 v81, v81, v83, vcc
	v_cmp_lt_u32_e64 s[4:5], v81, v114
	s_waitcnt lgkmcnt(0)
	v_cndmask_b32_e32 v86, v85, v86, vcc
	v_cndmask_b32_e32 v84, v84, v85, vcc
	;; [unrolled: 1-line block ×3, first 2 shown]
	v_cmp_le_u16_sdwa s[6:7], v84, v86 src0_sel:BYTE_0 src1_sel:BYTE_0
	v_cmp_ge_u32_e32 vcc, v85, v115
	s_and_b64 s[4:5], s[4:5], s[6:7]
	s_or_b64 vcc, vcc, s[4:5]
	v_cndmask_b32_e32 v83, v85, v81, vcc
	v_cndmask_b32_e32 v87, v115, v114, vcc
	v_add_u32_e32 v83, 1, v83
	v_add_u32_e32 v87, -1, v87
	v_min_u32_e32 v87, v83, v87
	v_add_u32_e32 v87, v52, v87
	ds_read_u8 v87, v87
	v_cndmask_b32_e32 v80, v86, v84, vcc
	v_cndmask_b32_e32 v85, v83, v85, vcc
	v_cndmask_b32_e32 v83, v81, v83, vcc
	v_cmp_lt_u32_e64 s[4:5], v83, v114
	s_waitcnt lgkmcnt(0)
	v_cndmask_b32_e32 v86, v87, v86, vcc
	v_cndmask_b32_e32 v84, v84, v87, vcc
	v_cmp_le_u16_sdwa s[6:7], v84, v86 src0_sel:BYTE_0 src1_sel:BYTE_0
	v_cmp_ge_u32_e32 vcc, v85, v115
	s_and_b64 s[4:5], s[4:5], s[6:7]
	s_or_b64 vcc, vcc, s[4:5]
	v_cndmask_b32_e32 v87, v85, v83, vcc
	v_cndmask_b32_e32 v96, v115, v114, vcc
	v_add_u32_e32 v87, 1, v87
	v_add_u32_e32 v96, -1, v96
	v_min_u32_e32 v96, v87, v96
	v_add_u32_e32 v96, v52, v96
	ds_read_u8 v96, v96
	v_cndmask_b32_e32 v81, v86, v84, vcc
	v_cndmask_b32_e32 v85, v87, v85, vcc
	v_cndmask_b32_e32 v87, v83, v87, vcc
	v_cmp_lt_u32_e64 s[4:5], v87, v114
	s_waitcnt lgkmcnt(0)
	v_cndmask_b32_e32 v86, v96, v86, vcc
	v_cndmask_b32_e32 v84, v84, v96, vcc
	;; [unrolled: 18-line block ×3, first 2 shown]
	v_cmp_le_u16_sdwa s[6:7], v97, v86 src0_sel:BYTE_0 src1_sel:BYTE_0
	v_cmp_ge_u32_e32 vcc, v85, v115
	s_and_b64 s[4:5], s[4:5], s[6:7]
	s_or_b64 vcc, vcc, s[4:5]
	v_cndmask_b32_e32 v96, v85, v87, vcc
	v_cndmask_b32_e32 v98, v115, v114, vcc
	v_add_u32_e32 v96, 1, v96
	v_add_u32_e32 v98, -1, v98
	v_min_u32_e32 v98, v96, v98
	v_add_u32_e32 v98, v52, v98
	ds_read_u8 v98, v98
	v_cndmask_b32_e32 v84, v86, v97, vcc
	v_cndmask_b32_e32 v87, v87, v96, vcc
	v_cmp_lt_u32_e64 s[4:5], v87, v114
	s_waitcnt lgkmcnt(0)
	v_cndmask_b32_e32 v86, v98, v86, vcc
	v_cndmask_b32_e32 v97, v97, v98, vcc
	;; [unrolled: 1-line block ×3, first 2 shown]
	v_cmp_le_u16_sdwa s[6:7], v97, v86 src0_sel:BYTE_0 src1_sel:BYTE_0
	v_cmp_ge_u32_e32 vcc, v98, v115
	s_and_b64 s[4:5], s[4:5], s[6:7]
	s_or_b64 vcc, vcc, s[4:5]
	v_cndmask_b32_e32 v96, v98, v87, vcc
	v_cndmask_b32_e32 v99, v115, v114, vcc
	v_add_u32_e32 v96, 1, v96
	v_add_u32_e32 v99, -1, v99
	v_min_u32_e32 v99, v96, v99
	v_add_u32_e32 v99, v52, v99
	ds_read_u8 v99, v99
	v_cndmask_b32_e32 v85, v86, v97, vcc
	v_cndmask_b32_e32 v87, v87, v96, vcc
	v_cndmask_b32_e32 v98, v96, v98, vcc
	v_cmp_lt_u32_e64 s[4:5], v87, v114
	s_waitcnt lgkmcnt(0)
	v_cndmask_b32_e32 v100, v99, v86, vcc
	v_cndmask_b32_e32 v97, v97, v99, vcc
	v_cmp_le_u16_sdwa s[6:7], v97, v100 src0_sel:BYTE_0 src1_sel:BYTE_0
	v_cmp_ge_u32_e32 vcc, v98, v115
	s_and_b64 s[4:5], s[4:5], s[6:7]
	s_or_b64 vcc, vcc, s[4:5]
	v_cndmask_b32_e32 v96, v98, v87, vcc
	v_cndmask_b32_e32 v99, v115, v114, vcc
	v_add_u32_e32 v96, 1, v96
	v_add_u32_e32 v99, -1, v99
	v_min_u32_e32 v99, v96, v99
	v_add_u32_e32 v99, v52, v99
	ds_read_u8 v99, v99
	v_cndmask_b32_e32 v86, v100, v97, vcc
	v_cndmask_b32_e32 v98, v96, v98, vcc
	v_cndmask_b32_e32 v96, v87, v96, vcc
	v_cmp_lt_u32_e64 s[4:5], v96, v114
	s_waitcnt lgkmcnt(0)
	v_cndmask_b32_e32 v100, v99, v100, vcc
	v_cndmask_b32_e32 v97, v97, v99, vcc
	;; [unrolled: 18-line block ×4, first 2 shown]
	v_cmp_le_u16_sdwa s[6:7], v102, v100 src0_sel:BYTE_0 src1_sel:BYTE_0
	v_cmp_ge_u32_e32 vcc, v98, v115
	s_and_b64 s[4:5], s[4:5], s[6:7]
	s_or_b64 vcc, vcc, s[4:5]
	v_cndmask_b32_e32 v101, v98, v99, vcc
	v_cndmask_b32_e32 v103, v115, v114, vcc
	v_add_u32_e32 v101, 1, v101
	v_add_u32_e32 v103, -1, v103
	v_min_u32_e32 v103, v101, v103
	v_add_u32_e32 v103, v52, v103
	ds_read_u8 v103, v103
	v_cndmask_b32_e32 v97, v100, v102, vcc
	v_cndmask_b32_e32 v99, v99, v101, vcc
	v_cmp_lt_u32_e64 s[4:5], v99, v114
	s_waitcnt lgkmcnt(0)
	v_cndmask_b32_e32 v100, v103, v100, vcc
	v_cndmask_b32_e32 v102, v102, v103, vcc
	;; [unrolled: 1-line block ×3, first 2 shown]
	v_cmp_le_u16_sdwa s[6:7], v102, v100 src0_sel:BYTE_0 src1_sel:BYTE_0
	v_cmp_ge_u32_e32 vcc, v103, v115
	s_and_b64 s[4:5], s[4:5], s[6:7]
	s_or_b64 vcc, vcc, s[4:5]
	v_cndmask_b32_e32 v101, v103, v99, vcc
	v_cndmask_b32_e32 v112, v115, v114, vcc
	v_add_u32_e32 v101, 1, v101
	v_add_u32_e32 v112, -1, v112
	v_min_u32_e32 v112, v101, v112
	v_add_u32_e32 v112, v52, v112
	ds_read_u8 v112, v112
	v_cndmask_b32_e32 v98, v100, v102, vcc
	v_cndmask_b32_e32 v103, v101, v103, vcc
	v_cndmask_b32_e32 v101, v99, v101, vcc
	v_cmp_lt_u32_e64 s[4:5], v101, v114
	s_waitcnt lgkmcnt(0)
	v_cndmask_b32_e32 v100, v112, v100, vcc
	v_cndmask_b32_e32 v102, v102, v112, vcc
	v_cmp_le_u16_sdwa s[6:7], v102, v100 src0_sel:BYTE_0 src1_sel:BYTE_0
	v_cmp_ge_u32_e32 vcc, v103, v115
	s_and_b64 s[4:5], s[4:5], s[6:7]
	s_or_b64 vcc, vcc, s[4:5]
	v_cndmask_b32_e32 v112, v103, v101, vcc
	v_cndmask_b32_e32 v113, v115, v114, vcc
	v_add_u32_e32 v112, 1, v112
	v_add_u32_e32 v113, -1, v113
	v_min_u32_e32 v113, v112, v113
	v_add_u32_e32 v113, v52, v113
	ds_read_u8 v113, v113
	v_cndmask_b32_e32 v99, v100, v102, vcc
	v_cndmask_b32_e32 v101, v101, v112, vcc
	v_cndmask_b32_e32 v103, v112, v103, vcc
	v_cmp_lt_u32_e64 s[4:5], v101, v114
	s_waitcnt lgkmcnt(0)
	v_cndmask_b32_e32 v116, v113, v100, vcc
	v_cndmask_b32_e32 v102, v102, v113, vcc
	;; [unrolled: 18-line block ×4, first 2 shown]
	v_cmp_le_u16_sdwa s[6:7], v117, v116 src0_sel:BYTE_0 src1_sel:BYTE_0
	v_cmp_ge_u32_e32 vcc, v103, v115
	s_and_b64 s[4:5], s[4:5], s[6:7]
	s_or_b64 vcc, vcc, s[4:5]
	v_cndmask_b32_e32 v113, v103, v112, vcc
	v_cndmask_b32_e32 v118, v115, v114, vcc
	v_add_u32_e32 v113, 1, v113
	v_add_u32_e32 v118, -1, v118
	v_min_u32_e32 v118, v113, v118
	v_add_u32_e32 v118, v52, v118
	ds_read_u8 v118, v118
	v_cndmask_b32_e32 v102, v116, v117, vcc
	v_cndmask_b32_e32 v112, v112, v113, vcc
	v_cmp_lt_u32_e64 s[4:5], v112, v114
	s_waitcnt lgkmcnt(0)
	v_cndmask_b32_e32 v116, v118, v116, vcc
	v_cndmask_b32_e32 v117, v117, v118, vcc
	;; [unrolled: 1-line block ×3, first 2 shown]
	v_cmp_le_u16_sdwa s[6:7], v117, v116 src0_sel:BYTE_0 src1_sel:BYTE_0
	v_cmp_ge_u32_e32 vcc, v118, v115
	s_and_b64 s[4:5], s[4:5], s[6:7]
	s_or_b64 vcc, vcc, s[4:5]
	v_cndmask_b32_e32 v113, v118, v112, vcc
	v_cndmask_b32_e32 v119, v115, v114, vcc
	v_add_u32_e32 v113, 1, v113
	v_add_u32_e32 v119, -1, v119
	v_min_u32_e32 v119, v113, v119
	v_add_u32_e32 v119, v52, v119
	ds_read_u8 v119, v119
	v_cndmask_b32_e32 v103, v116, v117, vcc
	v_cndmask_b32_e32 v118, v113, v118, vcc
	;; [unrolled: 1-line block ×3, first 2 shown]
	v_cmp_lt_u32_e64 s[4:5], v113, v114
	s_waitcnt lgkmcnt(0)
	v_cndmask_b32_e32 v116, v119, v116, vcc
	v_cndmask_b32_e32 v117, v117, v119, vcc
	v_cmp_le_u16_sdwa s[6:7], v117, v116 src0_sel:BYTE_0 src1_sel:BYTE_0
	v_cmp_ge_u32_e32 vcc, v118, v115
	s_and_b64 s[4:5], s[4:5], s[6:7]
	s_or_b64 vcc, vcc, s[4:5]
	v_cndmask_b32_e32 v119, v118, v113, vcc
	v_cndmask_b32_e32 v128, v115, v114, vcc
	v_add_u32_e32 v119, 1, v119
	v_add_u32_e32 v128, -1, v128
	v_min_u32_e32 v128, v119, v128
	v_add_u32_e32 v128, v52, v128
	ds_read_u8 v128, v128
	v_cndmask_b32_e32 v118, v119, v118, vcc
	v_cndmask_b32_e32 v112, v116, v117, vcc
	v_cmp_lt_u32_e64 s[4:5], v118, v115
	v_cndmask_b32_e32 v113, v113, v119, vcc
	s_waitcnt lgkmcnt(0)
	v_cndmask_b32_e32 v117, v117, v128, vcc
	v_cndmask_b32_e32 v115, v128, v116, vcc
	v_cmp_lt_u32_e32 vcc, v113, v114
	v_min_u16_sdwa v113, v117, v115 dst_sel:DWORD dst_unused:UNUSED_PAD src0_sel:BYTE_0 src1_sel:BYTE_0
	v_cndmask_b32_e32 v113, v115, v113, vcc
	v_cndmask_b32_e64 v113, v117, v113, s[4:5]
.LBB2853_135:
	s_or_b64 exec, exec, s[8:9]
	v_lshlrev_b16_e32 v114, 8, v68
	v_lshlrev_b16_e32 v115, 8, v80
	v_or_b32_sdwa v114, v67, v114 dst_sel:DWORD dst_unused:UNUSED_PAD src0_sel:BYTE_0 src1_sel:DWORD
	v_or_b32_sdwa v115, v69, v115 dst_sel:WORD_1 dst_unused:UNUSED_PAD src0_sel:BYTE_0 src1_sel:DWORD
	v_or_b32_sdwa v117, v114, v115 dst_sel:DWORD dst_unused:UNUSED_PAD src0_sel:WORD_0 src1_sel:DWORD
	v_lshlrev_b16_e32 v114, 8, v64
	v_lshlrev_b16_e32 v115, 8, v66
	v_or_b32_sdwa v114, v55, v114 dst_sel:DWORD dst_unused:UNUSED_PAD src0_sel:BYTE_0 src1_sel:DWORD
	v_or_b32_sdwa v115, v65, v115 dst_sel:WORD_1 dst_unused:UNUSED_PAD src0_sel:BYTE_0 src1_sel:DWORD
	v_or_b32_sdwa v116, v114, v115 dst_sel:DWORD dst_unused:UNUSED_PAD src0_sel:WORD_0 src1_sel:DWORD
	;; [unrolled: 5-line block ×4, first 2 shown]
	; wave barrier
	ds_write_b128 v71, v[114:117]
	v_lshlrev_b16_e32 v114, 8, v103
	v_lshlrev_b16_e32 v115, 8, v113
	v_or_b32_sdwa v114, v102, v114 dst_sel:DWORD dst_unused:UNUSED_PAD src0_sel:BYTE_0 src1_sel:DWORD
	v_or_b32_sdwa v115, v112, v115 dst_sel:WORD_1 dst_unused:UNUSED_PAD src0_sel:BYTE_0 src1_sel:DWORD
	v_or_b32_sdwa v117, v114, v115 dst_sel:DWORD dst_unused:UNUSED_PAD src0_sel:WORD_0 src1_sel:DWORD
	v_lshlrev_b16_e32 v114, 8, v99
	v_lshlrev_b16_e32 v115, 8, v101
	v_or_b32_sdwa v114, v98, v114 dst_sel:DWORD dst_unused:UNUSED_PAD src0_sel:BYTE_0 src1_sel:DWORD
	v_or_b32_sdwa v115, v100, v115 dst_sel:WORD_1 dst_unused:UNUSED_PAD src0_sel:BYTE_0 src1_sel:DWORD
	v_or_b32_sdwa v116, v114, v115 dst_sel:DWORD dst_unused:UNUSED_PAD src0_sel:WORD_0 src1_sel:DWORD
	;; [unrolled: 5-line block ×4, first 2 shown]
	ds_write_b128 v71, v[114:117] offset:16
	v_and_b32_e32 v116, 0xf80, v70
	v_or_b32_e32 v114, 64, v116
	v_min_u32_e32 v114, v82, v114
	v_add_u32_e32 v115, 64, v114
	v_min_u32_e32 v115, v82, v115
	v_and_b32_e32 v117, 0x60, v70
	v_min_u32_e32 v117, v82, v117
	v_sub_u32_e32 v119, v114, v116
	v_sub_u32_e32 v118, v115, v114
	v_sub_u32_e64 v118, v117, v118 clamp
	v_min_u32_e32 v119, v117, v119
	v_cmp_lt_u32_e32 vcc, v118, v119
	; wave barrier
	s_and_saveexec_b64 s[4:5], vcc
	s_cbranch_execz .LBB2853_139
; %bb.136:
	v_add_u32_e32 v128, v52, v116
	v_add3_u32 v129, v52, v114, v117
	s_mov_b64 s[6:7], 0
.LBB2853_137:                           ; =>This Inner Loop Header: Depth=1
	v_add_u32_e32 v130, v119, v118
	v_lshrrev_b32_e32 v130, 1, v130
	v_add_u32_e32 v131, v128, v130
	v_xad_u32 v132, v130, -1, v129
	ds_read_u8 v131, v131
	ds_read_u8 v132, v132
	v_add_u32_e32 v133, 1, v130
	s_waitcnt lgkmcnt(0)
	v_cmp_gt_u16_e32 vcc, v131, v132
	v_cndmask_b32_e32 v119, v119, v130, vcc
	v_cndmask_b32_e32 v118, v133, v118, vcc
	v_cmp_ge_u32_e32 vcc, v118, v119
	s_or_b64 s[6:7], vcc, s[6:7]
	s_andn2_b64 exec, exec, s[6:7]
	s_cbranch_execnz .LBB2853_137
; %bb.138:
	s_or_b64 exec, exec, s[6:7]
.LBB2853_139:
	s_or_b64 exec, exec, s[4:5]
	v_add_u32_e32 v117, v114, v117
	v_add_u32_e32 v116, v118, v116
	v_sub_u32_e32 v117, v117, v118
	v_cmp_le_u32_e32 vcc, v116, v114
	v_cmp_le_u32_e64 s[4:5], v117, v115
	s_or_b64 s[4:5], vcc, s[4:5]
	s_and_saveexec_b64 s[8:9], s[4:5]
	s_cbranch_execz .LBB2853_145
; %bb.140:
	v_cmp_lt_u32_e32 vcc, v116, v114
                                        ; implicit-def: $vgpr39
	s_and_saveexec_b64 s[4:5], vcc
	s_cbranch_execz .LBB2853_142
; %bb.141:
	v_add_u32_e32 v38, v52, v116
	ds_read_u8 v39, v38
.LBB2853_142:
	s_or_b64 exec, exec, s[4:5]
	v_cmp_ge_u32_e64 s[4:5], v117, v115
	v_cmp_lt_u32_e64 s[6:7], v117, v115
                                        ; implicit-def: $vgpr48
	s_and_saveexec_b64 s[10:11], s[6:7]
	s_cbranch_execz .LBB2853_144
; %bb.143:
	v_add_u32_e32 v38, v52, v117
	ds_read_u8 v48, v38
.LBB2853_144:
	s_or_b64 exec, exec, s[10:11]
	s_waitcnt lgkmcnt(0)
	v_cmp_le_u16_sdwa s[6:7], v39, v48 src0_sel:BYTE_0 src1_sel:BYTE_0
	s_and_b64 s[6:7], vcc, s[6:7]
	s_or_b64 vcc, s[4:5], s[6:7]
	v_cndmask_b32_e32 v49, v117, v116, vcc
	v_cndmask_b32_e32 v50, v115, v114, vcc
	v_add_u32_e32 v49, 1, v49
	v_add_u32_e32 v50, -1, v50
	v_min_u32_e32 v50, v49, v50
	v_add_u32_e32 v50, v52, v50
	ds_read_u8 v50, v50
	v_cndmask_b32_e32 v38, v48, v39, vcc
	v_cndmask_b32_e32 v51, v49, v117, vcc
	v_cndmask_b32_e32 v49, v116, v49, vcc
	v_cmp_lt_u32_e64 s[4:5], v49, v114
	s_waitcnt lgkmcnt(0)
	v_cndmask_b32_e32 v48, v50, v48, vcc
	v_cndmask_b32_e32 v50, v39, v50, vcc
	v_cmp_le_u16_sdwa s[6:7], v50, v48 src0_sel:BYTE_0 src1_sel:BYTE_0
	v_cmp_ge_u32_e32 vcc, v51, v115
	s_and_b64 s[4:5], s[4:5], s[6:7]
	s_or_b64 vcc, vcc, s[4:5]
	v_cndmask_b32_e32 v53, v51, v49, vcc
	v_cndmask_b32_e32 v54, v115, v114, vcc
	v_add_u32_e32 v53, 1, v53
	v_add_u32_e32 v54, -1, v54
	v_min_u32_e32 v54, v53, v54
	v_add_u32_e32 v54, v52, v54
	ds_read_u8 v54, v54
	v_cndmask_b32_e32 v39, v48, v50, vcc
	v_cndmask_b32_e32 v49, v49, v53, vcc
	v_cndmask_b32_e32 v51, v53, v51, vcc
	v_cmp_lt_u32_e64 s[4:5], v49, v114
	s_waitcnt lgkmcnt(0)
	v_cndmask_b32_e32 v55, v54, v48, vcc
	v_cndmask_b32_e32 v50, v50, v54, vcc
	v_cmp_le_u16_sdwa s[6:7], v50, v55 src0_sel:BYTE_0 src1_sel:BYTE_0
	v_cmp_ge_u32_e32 vcc, v51, v115
	s_and_b64 s[4:5], s[4:5], s[6:7]
	s_or_b64 vcc, vcc, s[4:5]
	v_cndmask_b32_e32 v53, v51, v49, vcc
	v_cndmask_b32_e32 v54, v115, v114, vcc
	v_add_u32_e32 v53, 1, v53
	v_add_u32_e32 v54, -1, v54
	v_min_u32_e32 v54, v53, v54
	v_add_u32_e32 v54, v52, v54
	ds_read_u8 v54, v54
	v_cndmask_b32_e32 v48, v55, v50, vcc
	v_cndmask_b32_e32 v51, v53, v51, vcc
	v_cndmask_b32_e32 v53, v49, v53, vcc
	v_cmp_lt_u32_e64 s[4:5], v53, v114
	s_waitcnt lgkmcnt(0)
	v_cndmask_b32_e32 v55, v54, v55, vcc
	v_cndmask_b32_e32 v50, v50, v54, vcc
	v_cmp_le_u16_sdwa s[6:7], v50, v55 src0_sel:BYTE_0 src1_sel:BYTE_0
	v_cmp_ge_u32_e32 vcc, v51, v115
	s_and_b64 s[4:5], s[4:5], s[6:7]
	s_or_b64 vcc, vcc, s[4:5]
	v_cndmask_b32_e32 v54, v51, v53, vcc
	v_cndmask_b32_e32 v64, v115, v114, vcc
	v_add_u32_e32 v54, 1, v54
	v_add_u32_e32 v64, -1, v64
	v_min_u32_e32 v64, v54, v64
	v_add_u32_e32 v64, v52, v64
	ds_read_u8 v64, v64
	v_cndmask_b32_e32 v49, v55, v50, vcc
	v_cndmask_b32_e32 v53, v53, v54, vcc
	v_cndmask_b32_e32 v51, v54, v51, vcc
	v_cmp_lt_u32_e64 s[4:5], v53, v114
	s_waitcnt lgkmcnt(0)
	v_cndmask_b32_e32 v55, v64, v55, vcc
	v_cndmask_b32_e32 v64, v50, v64, vcc
	v_cmp_le_u16_sdwa s[6:7], v64, v55 src0_sel:BYTE_0 src1_sel:BYTE_0
	v_cmp_ge_u32_e32 vcc, v51, v115
	s_and_b64 s[4:5], s[4:5], s[6:7]
	s_or_b64 vcc, vcc, s[4:5]
	v_cndmask_b32_e32 v54, v51, v53, vcc
	v_cndmask_b32_e32 v65, v115, v114, vcc
	v_add_u32_e32 v54, 1, v54
	v_add_u32_e32 v65, -1, v65
	v_min_u32_e32 v65, v54, v65
	v_add_u32_e32 v65, v52, v65
	ds_read_u8 v65, v65
	v_cndmask_b32_e32 v50, v55, v64, vcc
	v_cndmask_b32_e32 v53, v53, v54, vcc
	v_cmp_lt_u32_e64 s[4:5], v53, v114
	s_waitcnt lgkmcnt(0)
	v_cndmask_b32_e32 v55, v65, v55, vcc
	v_cndmask_b32_e32 v64, v64, v65, vcc
	;; [unrolled: 1-line block ×3, first 2 shown]
	v_cmp_le_u16_sdwa s[6:7], v64, v55 src0_sel:BYTE_0 src1_sel:BYTE_0
	v_cmp_ge_u32_e32 vcc, v65, v115
	s_and_b64 s[4:5], s[4:5], s[6:7]
	s_or_b64 vcc, vcc, s[4:5]
	v_cndmask_b32_e32 v54, v65, v53, vcc
	v_cndmask_b32_e32 v66, v115, v114, vcc
	v_add_u32_e32 v54, 1, v54
	v_add_u32_e32 v66, -1, v66
	v_min_u32_e32 v66, v54, v66
	v_add_u32_e32 v66, v52, v66
	ds_read_u8 v66, v66
	v_cndmask_b32_e32 v51, v55, v64, vcc
	v_cndmask_b32_e32 v65, v54, v65, vcc
	v_cndmask_b32_e32 v54, v53, v54, vcc
	v_cmp_lt_u32_e64 s[4:5], v54, v114
	s_waitcnt lgkmcnt(0)
	v_cndmask_b32_e32 v55, v66, v55, vcc
	v_cndmask_b32_e32 v64, v64, v66, vcc
	v_cmp_le_u16_sdwa s[6:7], v64, v55 src0_sel:BYTE_0 src1_sel:BYTE_0
	v_cmp_ge_u32_e32 vcc, v65, v115
	s_and_b64 s[4:5], s[4:5], s[6:7]
	s_or_b64 vcc, vcc, s[4:5]
	v_cndmask_b32_e32 v66, v65, v54, vcc
	v_cndmask_b32_e32 v67, v115, v114, vcc
	v_add_u32_e32 v66, 1, v66
	v_add_u32_e32 v67, -1, v67
	v_min_u32_e32 v67, v66, v67
	v_add_u32_e32 v67, v52, v67
	ds_read_u8 v67, v67
	v_cndmask_b32_e32 v53, v55, v64, vcc
	v_cndmask_b32_e32 v65, v66, v65, vcc
	v_cndmask_b32_e32 v66, v54, v66, vcc
	v_cmp_lt_u32_e64 s[4:5], v66, v114
	s_waitcnt lgkmcnt(0)
	v_cndmask_b32_e32 v55, v67, v55, vcc
	v_cndmask_b32_e32 v64, v64, v67, vcc
	v_cmp_le_u16_sdwa s[6:7], v64, v55 src0_sel:BYTE_0 src1_sel:BYTE_0
	v_cmp_ge_u32_e32 vcc, v65, v115
	s_and_b64 s[4:5], s[4:5], s[6:7]
	s_or_b64 vcc, vcc, s[4:5]
	v_cndmask_b32_e32 v67, v65, v66, vcc
	v_cndmask_b32_e32 v68, v115, v114, vcc
	v_add_u32_e32 v67, 1, v67
	v_add_u32_e32 v68, -1, v68
	v_min_u32_e32 v68, v67, v68
	v_add_u32_e32 v68, v52, v68
	ds_read_u8 v68, v68
	v_cndmask_b32_e32 v54, v55, v64, vcc
	v_cndmask_b32_e32 v66, v66, v67, vcc
	v_cndmask_b32_e32 v65, v67, v65, vcc
	v_cmp_lt_u32_e64 s[4:5], v66, v114
	s_waitcnt lgkmcnt(0)
	v_cndmask_b32_e32 v69, v68, v55, vcc
	v_cndmask_b32_e32 v64, v64, v68, vcc
	v_cmp_le_u16_sdwa s[6:7], v64, v69 src0_sel:BYTE_0 src1_sel:BYTE_0
	v_cmp_ge_u32_e32 vcc, v65, v115
	s_and_b64 s[4:5], s[4:5], s[6:7]
	s_or_b64 vcc, vcc, s[4:5]
	v_cndmask_b32_e32 v67, v65, v66, vcc
	v_cndmask_b32_e32 v68, v115, v114, vcc
	v_add_u32_e32 v67, 1, v67
	v_add_u32_e32 v68, -1, v68
	v_min_u32_e32 v68, v67, v68
	v_add_u32_e32 v68, v52, v68
	ds_read_u8 v68, v68
	v_cndmask_b32_e32 v55, v69, v64, vcc
	v_cndmask_b32_e32 v66, v66, v67, vcc
	v_cndmask_b32_e32 v65, v67, v65, vcc
	v_cmp_lt_u32_e64 s[4:5], v66, v114
	s_waitcnt lgkmcnt(0)
	v_cndmask_b32_e32 v69, v68, v69, vcc
	v_cndmask_b32_e32 v68, v64, v68, vcc
	v_cmp_le_u16_sdwa s[6:7], v68, v69 src0_sel:BYTE_0 src1_sel:BYTE_0
	v_cmp_ge_u32_e32 vcc, v65, v115
	s_and_b64 s[4:5], s[4:5], s[6:7]
	s_or_b64 vcc, vcc, s[4:5]
	v_cndmask_b32_e32 v67, v65, v66, vcc
	v_cndmask_b32_e32 v80, v115, v114, vcc
	v_add_u32_e32 v67, 1, v67
	v_add_u32_e32 v80, -1, v80
	v_min_u32_e32 v80, v67, v80
	v_add_u32_e32 v80, v52, v80
	ds_read_u8 v80, v80
	v_cndmask_b32_e32 v64, v69, v68, vcc
	v_cndmask_b32_e32 v66, v66, v67, vcc
	v_cmp_lt_u32_e64 s[4:5], v66, v114
	s_waitcnt lgkmcnt(0)
	v_cndmask_b32_e32 v69, v80, v69, vcc
	v_cndmask_b32_e32 v68, v68, v80, vcc
	;; [unrolled: 1-line block ×3, first 2 shown]
	v_cmp_le_u16_sdwa s[6:7], v68, v69 src0_sel:BYTE_0 src1_sel:BYTE_0
	v_cmp_ge_u32_e32 vcc, v80, v115
	s_and_b64 s[4:5], s[4:5], s[6:7]
	s_or_b64 vcc, vcc, s[4:5]
	v_cndmask_b32_e32 v67, v80, v66, vcc
	v_cndmask_b32_e32 v81, v115, v114, vcc
	v_add_u32_e32 v67, 1, v67
	v_add_u32_e32 v81, -1, v81
	v_min_u32_e32 v81, v67, v81
	v_add_u32_e32 v81, v52, v81
	ds_read_u8 v81, v81
	v_cndmask_b32_e32 v65, v69, v68, vcc
	v_cndmask_b32_e32 v80, v67, v80, vcc
	v_cndmask_b32_e32 v67, v66, v67, vcc
	v_cmp_lt_u32_e64 s[4:5], v67, v114
	s_waitcnt lgkmcnt(0)
	v_cndmask_b32_e32 v69, v81, v69, vcc
	v_cndmask_b32_e32 v68, v68, v81, vcc
	v_cmp_le_u16_sdwa s[6:7], v68, v69 src0_sel:BYTE_0 src1_sel:BYTE_0
	v_cmp_ge_u32_e32 vcc, v80, v115
	s_and_b64 s[4:5], s[4:5], s[6:7]
	s_or_b64 vcc, vcc, s[4:5]
	v_cndmask_b32_e32 v81, v80, v67, vcc
	v_cndmask_b32_e32 v83, v115, v114, vcc
	v_add_u32_e32 v81, 1, v81
	v_add_u32_e32 v83, -1, v83
	v_min_u32_e32 v83, v81, v83
	v_add_u32_e32 v83, v52, v83
	ds_read_u8 v83, v83
	v_cndmask_b32_e32 v66, v69, v68, vcc
	v_cndmask_b32_e32 v80, v81, v80, vcc
	v_cndmask_b32_e32 v81, v67, v81, vcc
	v_cmp_lt_u32_e64 s[4:5], v81, v114
	s_waitcnt lgkmcnt(0)
	v_cndmask_b32_e32 v69, v83, v69, vcc
	v_cndmask_b32_e32 v68, v68, v83, vcc
	;; [unrolled: 18-line block ×4, first 2 shown]
	v_cmp_le_u16_sdwa s[6:7], v84, v86 src0_sel:BYTE_0 src1_sel:BYTE_0
	v_cmp_ge_u32_e32 vcc, v80, v115
	s_and_b64 s[4:5], s[4:5], s[6:7]
	s_or_b64 vcc, vcc, s[4:5]
	v_cndmask_b32_e32 v83, v80, v81, vcc
	v_cndmask_b32_e32 v85, v115, v114, vcc
	v_add_u32_e32 v83, 1, v83
	v_add_u32_e32 v85, -1, v85
	v_min_u32_e32 v85, v83, v85
	v_add_u32_e32 v85, v52, v85
	ds_read_u8 v85, v85
	v_cndmask_b32_e32 v69, v86, v84, vcc
	v_cndmask_b32_e32 v81, v81, v83, vcc
	v_cmp_lt_u32_e64 s[4:5], v81, v114
	s_waitcnt lgkmcnt(0)
	v_cndmask_b32_e32 v86, v85, v86, vcc
	v_cndmask_b32_e32 v84, v84, v85, vcc
	v_cndmask_b32_e32 v85, v83, v80, vcc
	v_cmp_le_u16_sdwa s[6:7], v84, v86 src0_sel:BYTE_0 src1_sel:BYTE_0
	v_cmp_ge_u32_e32 vcc, v85, v115
	s_and_b64 s[4:5], s[4:5], s[6:7]
	s_or_b64 vcc, vcc, s[4:5]
	v_cndmask_b32_e32 v83, v85, v81, vcc
	v_cndmask_b32_e32 v87, v115, v114, vcc
	v_add_u32_e32 v83, 1, v83
	v_add_u32_e32 v87, -1, v87
	v_min_u32_e32 v87, v83, v87
	v_add_u32_e32 v87, v52, v87
	ds_read_u8 v87, v87
	v_cndmask_b32_e32 v80, v86, v84, vcc
	v_cndmask_b32_e32 v85, v83, v85, vcc
	v_cndmask_b32_e32 v83, v81, v83, vcc
	v_cmp_lt_u32_e64 s[4:5], v83, v114
	s_waitcnt lgkmcnt(0)
	v_cndmask_b32_e32 v86, v87, v86, vcc
	v_cndmask_b32_e32 v84, v84, v87, vcc
	v_cmp_le_u16_sdwa s[6:7], v84, v86 src0_sel:BYTE_0 src1_sel:BYTE_0
	v_cmp_ge_u32_e32 vcc, v85, v115
	s_and_b64 s[4:5], s[4:5], s[6:7]
	s_or_b64 vcc, vcc, s[4:5]
	v_cndmask_b32_e32 v87, v85, v83, vcc
	v_cndmask_b32_e32 v96, v115, v114, vcc
	v_add_u32_e32 v87, 1, v87
	v_add_u32_e32 v96, -1, v96
	v_min_u32_e32 v96, v87, v96
	v_add_u32_e32 v96, v52, v96
	ds_read_u8 v96, v96
	v_cndmask_b32_e32 v81, v86, v84, vcc
	v_cndmask_b32_e32 v85, v87, v85, vcc
	v_cndmask_b32_e32 v87, v83, v87, vcc
	v_cmp_lt_u32_e64 s[4:5], v87, v114
	s_waitcnt lgkmcnt(0)
	v_cndmask_b32_e32 v86, v96, v86, vcc
	v_cndmask_b32_e32 v84, v84, v96, vcc
	v_cmp_le_u16_sdwa s[6:7], v84, v86 src0_sel:BYTE_0 src1_sel:BYTE_0
	v_cmp_ge_u32_e32 vcc, v85, v115
	s_and_b64 s[4:5], s[4:5], s[6:7]
	s_or_b64 vcc, vcc, s[4:5]
	v_cndmask_b32_e32 v96, v85, v87, vcc
	v_cndmask_b32_e32 v97, v115, v114, vcc
	v_add_u32_e32 v96, 1, v96
	v_add_u32_e32 v97, -1, v97
	v_min_u32_e32 v97, v96, v97
	v_add_u32_e32 v97, v52, v97
	ds_read_u8 v97, v97
	v_cndmask_b32_e32 v83, v86, v84, vcc
	v_cndmask_b32_e32 v87, v87, v96, vcc
	v_cndmask_b32_e32 v85, v96, v85, vcc
	v_cmp_lt_u32_e64 s[4:5], v87, v114
	s_waitcnt lgkmcnt(0)
	v_cndmask_b32_e32 v86, v97, v86, vcc
	v_cndmask_b32_e32 v97, v84, v97, vcc
	v_cmp_le_u16_sdwa s[6:7], v97, v86 src0_sel:BYTE_0 src1_sel:BYTE_0
	v_cmp_ge_u32_e32 vcc, v85, v115
	s_and_b64 s[4:5], s[4:5], s[6:7]
	s_or_b64 vcc, vcc, s[4:5]
	v_cndmask_b32_e32 v96, v85, v87, vcc
	v_cndmask_b32_e32 v98, v115, v114, vcc
	v_add_u32_e32 v96, 1, v96
	v_add_u32_e32 v98, -1, v98
	v_min_u32_e32 v98, v96, v98
	v_add_u32_e32 v98, v52, v98
	ds_read_u8 v98, v98
	v_cndmask_b32_e32 v84, v86, v97, vcc
	v_cndmask_b32_e32 v87, v87, v96, vcc
	v_cmp_lt_u32_e64 s[4:5], v87, v114
	s_waitcnt lgkmcnt(0)
	v_cndmask_b32_e32 v86, v98, v86, vcc
	v_cndmask_b32_e32 v97, v97, v98, vcc
	;; [unrolled: 1-line block ×3, first 2 shown]
	v_cmp_le_u16_sdwa s[6:7], v97, v86 src0_sel:BYTE_0 src1_sel:BYTE_0
	v_cmp_ge_u32_e32 vcc, v98, v115
	s_and_b64 s[4:5], s[4:5], s[6:7]
	s_or_b64 vcc, vcc, s[4:5]
	v_cndmask_b32_e32 v96, v98, v87, vcc
	v_cndmask_b32_e32 v99, v115, v114, vcc
	v_add_u32_e32 v96, 1, v96
	v_add_u32_e32 v99, -1, v99
	v_min_u32_e32 v99, v96, v99
	v_add_u32_e32 v99, v52, v99
	ds_read_u8 v99, v99
	v_cndmask_b32_e32 v85, v86, v97, vcc
	v_cndmask_b32_e32 v87, v87, v96, vcc
	v_cndmask_b32_e32 v98, v96, v98, vcc
	v_cmp_lt_u32_e64 s[4:5], v87, v114
	s_waitcnt lgkmcnt(0)
	v_cndmask_b32_e32 v100, v99, v86, vcc
	v_cndmask_b32_e32 v97, v97, v99, vcc
	v_cmp_le_u16_sdwa s[6:7], v97, v100 src0_sel:BYTE_0 src1_sel:BYTE_0
	v_cmp_ge_u32_e32 vcc, v98, v115
	s_and_b64 s[4:5], s[4:5], s[6:7]
	s_or_b64 vcc, vcc, s[4:5]
	v_cndmask_b32_e32 v96, v98, v87, vcc
	v_cndmask_b32_e32 v99, v115, v114, vcc
	v_add_u32_e32 v96, 1, v96
	v_add_u32_e32 v99, -1, v99
	v_min_u32_e32 v99, v96, v99
	v_add_u32_e32 v99, v52, v99
	ds_read_u8 v99, v99
	v_cndmask_b32_e32 v86, v100, v97, vcc
	v_cndmask_b32_e32 v98, v96, v98, vcc
	v_cndmask_b32_e32 v96, v87, v96, vcc
	v_cmp_lt_u32_e64 s[4:5], v96, v114
	s_waitcnt lgkmcnt(0)
	v_cndmask_b32_e32 v100, v99, v100, vcc
	v_cndmask_b32_e32 v97, v97, v99, vcc
	v_cmp_le_u16_sdwa s[6:7], v97, v100 src0_sel:BYTE_0 src1_sel:BYTE_0
	v_cmp_ge_u32_e32 vcc, v98, v115
	s_and_b64 s[4:5], s[4:5], s[6:7]
	s_or_b64 vcc, vcc, s[4:5]
	v_cndmask_b32_e32 v99, v98, v96, vcc
	v_cndmask_b32_e32 v101, v115, v114, vcc
	v_add_u32_e32 v99, 1, v99
	v_add_u32_e32 v101, -1, v101
	v_min_u32_e32 v101, v99, v101
	v_add_u32_e32 v101, v52, v101
	ds_read_u8 v101, v101
	v_cndmask_b32_e32 v87, v100, v97, vcc
	v_cndmask_b32_e32 v98, v99, v98, vcc
	v_cndmask_b32_e32 v99, v96, v99, vcc
	v_cmp_lt_u32_e64 s[4:5], v99, v114
	s_waitcnt lgkmcnt(0)
	v_cndmask_b32_e32 v100, v101, v100, vcc
	v_cndmask_b32_e32 v97, v97, v101, vcc
	v_cmp_le_u16_sdwa s[6:7], v97, v100 src0_sel:BYTE_0 src1_sel:BYTE_0
	v_cmp_ge_u32_e32 vcc, v98, v115
	s_and_b64 s[4:5], s[4:5], s[6:7]
	s_or_b64 vcc, vcc, s[4:5]
	v_cndmask_b32_e32 v101, v98, v99, vcc
	v_cndmask_b32_e32 v102, v115, v114, vcc
	v_add_u32_e32 v101, 1, v101
	v_add_u32_e32 v102, -1, v102
	v_min_u32_e32 v102, v101, v102
	v_add_u32_e32 v102, v52, v102
	ds_read_u8 v102, v102
	v_cndmask_b32_e32 v96, v100, v97, vcc
	v_cndmask_b32_e32 v99, v99, v101, vcc
	v_cndmask_b32_e32 v98, v101, v98, vcc
	v_cmp_lt_u32_e64 s[4:5], v99, v114
	s_waitcnt lgkmcnt(0)
	v_cndmask_b32_e32 v100, v102, v100, vcc
	v_cndmask_b32_e32 v102, v97, v102, vcc
	v_cmp_le_u16_sdwa s[6:7], v102, v100 src0_sel:BYTE_0 src1_sel:BYTE_0
	v_cmp_ge_u32_e32 vcc, v98, v115
	s_and_b64 s[4:5], s[4:5], s[6:7]
	s_or_b64 vcc, vcc, s[4:5]
	v_cndmask_b32_e32 v101, v98, v99, vcc
	v_cndmask_b32_e32 v103, v115, v114, vcc
	v_add_u32_e32 v101, 1, v101
	v_add_u32_e32 v103, -1, v103
	v_min_u32_e32 v103, v101, v103
	v_add_u32_e32 v103, v52, v103
	ds_read_u8 v103, v103
	v_cndmask_b32_e32 v97, v100, v102, vcc
	v_cndmask_b32_e32 v99, v99, v101, vcc
	v_cmp_lt_u32_e64 s[4:5], v99, v114
	s_waitcnt lgkmcnt(0)
	v_cndmask_b32_e32 v100, v103, v100, vcc
	v_cndmask_b32_e32 v102, v102, v103, vcc
	;; [unrolled: 1-line block ×3, first 2 shown]
	v_cmp_le_u16_sdwa s[6:7], v102, v100 src0_sel:BYTE_0 src1_sel:BYTE_0
	v_cmp_ge_u32_e32 vcc, v103, v115
	s_and_b64 s[4:5], s[4:5], s[6:7]
	s_or_b64 vcc, vcc, s[4:5]
	v_cndmask_b32_e32 v101, v103, v99, vcc
	v_cndmask_b32_e32 v112, v115, v114, vcc
	v_add_u32_e32 v101, 1, v101
	v_add_u32_e32 v112, -1, v112
	v_min_u32_e32 v112, v101, v112
	v_add_u32_e32 v112, v52, v112
	ds_read_u8 v112, v112
	v_cndmask_b32_e32 v98, v100, v102, vcc
	v_cndmask_b32_e32 v103, v101, v103, vcc
	v_cndmask_b32_e32 v101, v99, v101, vcc
	v_cmp_lt_u32_e64 s[4:5], v101, v114
	s_waitcnt lgkmcnt(0)
	v_cndmask_b32_e32 v100, v112, v100, vcc
	v_cndmask_b32_e32 v102, v102, v112, vcc
	v_cmp_le_u16_sdwa s[6:7], v102, v100 src0_sel:BYTE_0 src1_sel:BYTE_0
	v_cmp_ge_u32_e32 vcc, v103, v115
	s_and_b64 s[4:5], s[4:5], s[6:7]
	s_or_b64 vcc, vcc, s[4:5]
	v_cndmask_b32_e32 v112, v103, v101, vcc
	v_cndmask_b32_e32 v113, v115, v114, vcc
	v_add_u32_e32 v112, 1, v112
	v_add_u32_e32 v113, -1, v113
	v_min_u32_e32 v113, v112, v113
	v_add_u32_e32 v113, v52, v113
	ds_read_u8 v113, v113
	v_cndmask_b32_e32 v99, v100, v102, vcc
	v_cndmask_b32_e32 v101, v101, v112, vcc
	v_cndmask_b32_e32 v103, v112, v103, vcc
	v_cmp_lt_u32_e64 s[4:5], v101, v114
	s_waitcnt lgkmcnt(0)
	v_cndmask_b32_e32 v116, v113, v100, vcc
	v_cndmask_b32_e32 v102, v102, v113, vcc
	;; [unrolled: 18-line block ×4, first 2 shown]
	v_cmp_le_u16_sdwa s[6:7], v117, v116 src0_sel:BYTE_0 src1_sel:BYTE_0
	v_cmp_ge_u32_e32 vcc, v103, v115
	s_and_b64 s[4:5], s[4:5], s[6:7]
	s_or_b64 vcc, vcc, s[4:5]
	v_cndmask_b32_e32 v113, v103, v112, vcc
	v_cndmask_b32_e32 v118, v115, v114, vcc
	v_add_u32_e32 v113, 1, v113
	v_add_u32_e32 v118, -1, v118
	v_min_u32_e32 v118, v113, v118
	v_add_u32_e32 v118, v52, v118
	ds_read_u8 v118, v118
	v_cndmask_b32_e32 v102, v116, v117, vcc
	v_cndmask_b32_e32 v112, v112, v113, vcc
	v_cmp_lt_u32_e64 s[4:5], v112, v114
	s_waitcnt lgkmcnt(0)
	v_cndmask_b32_e32 v116, v118, v116, vcc
	v_cndmask_b32_e32 v117, v117, v118, vcc
	;; [unrolled: 1-line block ×3, first 2 shown]
	v_cmp_le_u16_sdwa s[6:7], v117, v116 src0_sel:BYTE_0 src1_sel:BYTE_0
	v_cmp_ge_u32_e32 vcc, v118, v115
	s_and_b64 s[4:5], s[4:5], s[6:7]
	s_or_b64 vcc, vcc, s[4:5]
	v_cndmask_b32_e32 v113, v118, v112, vcc
	v_cndmask_b32_e32 v119, v115, v114, vcc
	v_add_u32_e32 v113, 1, v113
	v_add_u32_e32 v119, -1, v119
	v_min_u32_e32 v119, v113, v119
	v_add_u32_e32 v119, v52, v119
	ds_read_u8 v119, v119
	v_cndmask_b32_e32 v103, v116, v117, vcc
	v_cndmask_b32_e32 v118, v113, v118, vcc
	;; [unrolled: 1-line block ×3, first 2 shown]
	v_cmp_lt_u32_e64 s[4:5], v113, v114
	s_waitcnt lgkmcnt(0)
	v_cndmask_b32_e32 v116, v119, v116, vcc
	v_cndmask_b32_e32 v117, v117, v119, vcc
	v_cmp_le_u16_sdwa s[6:7], v117, v116 src0_sel:BYTE_0 src1_sel:BYTE_0
	v_cmp_ge_u32_e32 vcc, v118, v115
	s_and_b64 s[4:5], s[4:5], s[6:7]
	s_or_b64 vcc, vcc, s[4:5]
	v_cndmask_b32_e32 v119, v118, v113, vcc
	v_cndmask_b32_e32 v128, v115, v114, vcc
	v_add_u32_e32 v119, 1, v119
	v_add_u32_e32 v128, -1, v128
	v_min_u32_e32 v128, v119, v128
	v_add_u32_e32 v128, v52, v128
	ds_read_u8 v128, v128
	v_cndmask_b32_e32 v118, v119, v118, vcc
	v_cndmask_b32_e32 v112, v116, v117, vcc
	v_cmp_lt_u32_e64 s[4:5], v118, v115
	v_cndmask_b32_e32 v113, v113, v119, vcc
	s_waitcnt lgkmcnt(0)
	v_cndmask_b32_e32 v117, v117, v128, vcc
	v_cndmask_b32_e32 v115, v128, v116, vcc
	v_cmp_lt_u32_e32 vcc, v113, v114
	v_min_u16_sdwa v113, v117, v115 dst_sel:DWORD dst_unused:UNUSED_PAD src0_sel:BYTE_0 src1_sel:BYTE_0
	v_cndmask_b32_e32 v113, v115, v113, vcc
	v_cndmask_b32_e64 v113, v117, v113, s[4:5]
.LBB2853_145:
	s_or_b64 exec, exec, s[8:9]
	v_lshlrev_b16_e32 v114, 8, v68
	v_lshlrev_b16_e32 v115, 8, v80
	v_or_b32_sdwa v114, v67, v114 dst_sel:DWORD dst_unused:UNUSED_PAD src0_sel:BYTE_0 src1_sel:DWORD
	v_or_b32_sdwa v115, v69, v115 dst_sel:WORD_1 dst_unused:UNUSED_PAD src0_sel:BYTE_0 src1_sel:DWORD
	v_or_b32_sdwa v117, v114, v115 dst_sel:DWORD dst_unused:UNUSED_PAD src0_sel:WORD_0 src1_sel:DWORD
	v_lshlrev_b16_e32 v114, 8, v64
	v_lshlrev_b16_e32 v115, 8, v66
	v_or_b32_sdwa v114, v55, v114 dst_sel:DWORD dst_unused:UNUSED_PAD src0_sel:BYTE_0 src1_sel:DWORD
	v_or_b32_sdwa v115, v65, v115 dst_sel:WORD_1 dst_unused:UNUSED_PAD src0_sel:BYTE_0 src1_sel:DWORD
	v_or_b32_sdwa v116, v114, v115 dst_sel:DWORD dst_unused:UNUSED_PAD src0_sel:WORD_0 src1_sel:DWORD
	;; [unrolled: 5-line block ×4, first 2 shown]
	; wave barrier
	ds_write_b128 v71, v[114:117]
	v_lshlrev_b16_e32 v114, 8, v103
	v_lshlrev_b16_e32 v115, 8, v113
	v_or_b32_sdwa v114, v102, v114 dst_sel:DWORD dst_unused:UNUSED_PAD src0_sel:BYTE_0 src1_sel:DWORD
	v_or_b32_sdwa v115, v112, v115 dst_sel:WORD_1 dst_unused:UNUSED_PAD src0_sel:BYTE_0 src1_sel:DWORD
	v_or_b32_sdwa v117, v114, v115 dst_sel:DWORD dst_unused:UNUSED_PAD src0_sel:WORD_0 src1_sel:DWORD
	v_lshlrev_b16_e32 v114, 8, v99
	v_lshlrev_b16_e32 v115, 8, v101
	v_or_b32_sdwa v114, v98, v114 dst_sel:DWORD dst_unused:UNUSED_PAD src0_sel:BYTE_0 src1_sel:DWORD
	v_or_b32_sdwa v115, v100, v115 dst_sel:WORD_1 dst_unused:UNUSED_PAD src0_sel:BYTE_0 src1_sel:DWORD
	v_or_b32_sdwa v116, v114, v115 dst_sel:DWORD dst_unused:UNUSED_PAD src0_sel:WORD_0 src1_sel:DWORD
	;; [unrolled: 5-line block ×4, first 2 shown]
	ds_write_b128 v71, v[114:117] offset:16
	v_and_b32_e32 v116, 0xf00, v70
	v_or_b32_e32 v114, 0x80, v116
	v_min_u32_e32 v114, v82, v114
	v_add_u32_e32 v115, 0x80, v114
	v_min_u32_e32 v115, v82, v115
	v_and_b32_e32 v117, 0xe0, v70
	v_min_u32_e32 v117, v82, v117
	v_sub_u32_e32 v119, v114, v116
	v_sub_u32_e32 v118, v115, v114
	v_sub_u32_e64 v118, v117, v118 clamp
	v_min_u32_e32 v119, v117, v119
	v_cmp_lt_u32_e32 vcc, v118, v119
	; wave barrier
	s_and_saveexec_b64 s[4:5], vcc
	s_cbranch_execz .LBB2853_149
; %bb.146:
	v_add_u32_e32 v128, v52, v116
	v_add3_u32 v129, v52, v114, v117
	s_mov_b64 s[6:7], 0
.LBB2853_147:                           ; =>This Inner Loop Header: Depth=1
	v_add_u32_e32 v130, v119, v118
	v_lshrrev_b32_e32 v130, 1, v130
	v_add_u32_e32 v131, v128, v130
	v_xad_u32 v132, v130, -1, v129
	ds_read_u8 v131, v131
	ds_read_u8 v132, v132
	v_add_u32_e32 v133, 1, v130
	s_waitcnt lgkmcnt(0)
	v_cmp_gt_u16_e32 vcc, v131, v132
	v_cndmask_b32_e32 v119, v119, v130, vcc
	v_cndmask_b32_e32 v118, v133, v118, vcc
	v_cmp_ge_u32_e32 vcc, v118, v119
	s_or_b64 s[6:7], vcc, s[6:7]
	s_andn2_b64 exec, exec, s[6:7]
	s_cbranch_execnz .LBB2853_147
; %bb.148:
	s_or_b64 exec, exec, s[6:7]
.LBB2853_149:
	s_or_b64 exec, exec, s[4:5]
	v_add_u32_e32 v117, v114, v117
	v_add_u32_e32 v116, v118, v116
	v_sub_u32_e32 v117, v117, v118
	v_cmp_le_u32_e32 vcc, v116, v114
	v_cmp_le_u32_e64 s[4:5], v117, v115
	s_or_b64 s[4:5], vcc, s[4:5]
	s_and_saveexec_b64 s[8:9], s[4:5]
	s_cbranch_execz .LBB2853_155
; %bb.150:
	v_cmp_lt_u32_e32 vcc, v116, v114
                                        ; implicit-def: $vgpr39
	s_and_saveexec_b64 s[4:5], vcc
	s_cbranch_execz .LBB2853_152
; %bb.151:
	v_add_u32_e32 v38, v52, v116
	ds_read_u8 v39, v38
.LBB2853_152:
	s_or_b64 exec, exec, s[4:5]
	v_cmp_ge_u32_e64 s[4:5], v117, v115
	v_cmp_lt_u32_e64 s[6:7], v117, v115
                                        ; implicit-def: $vgpr48
	s_and_saveexec_b64 s[10:11], s[6:7]
	s_cbranch_execz .LBB2853_154
; %bb.153:
	v_add_u32_e32 v38, v52, v117
	ds_read_u8 v48, v38
.LBB2853_154:
	s_or_b64 exec, exec, s[10:11]
	s_waitcnt lgkmcnt(0)
	v_cmp_le_u16_sdwa s[6:7], v39, v48 src0_sel:BYTE_0 src1_sel:BYTE_0
	s_and_b64 s[6:7], vcc, s[6:7]
	s_or_b64 vcc, s[4:5], s[6:7]
	v_cndmask_b32_e32 v49, v117, v116, vcc
	v_cndmask_b32_e32 v50, v115, v114, vcc
	v_add_u32_e32 v49, 1, v49
	v_add_u32_e32 v50, -1, v50
	v_min_u32_e32 v50, v49, v50
	v_add_u32_e32 v50, v52, v50
	ds_read_u8 v50, v50
	v_cndmask_b32_e32 v38, v48, v39, vcc
	v_cndmask_b32_e32 v51, v49, v117, vcc
	v_cndmask_b32_e32 v49, v116, v49, vcc
	v_cmp_lt_u32_e64 s[4:5], v49, v114
	s_waitcnt lgkmcnt(0)
	v_cndmask_b32_e32 v48, v50, v48, vcc
	v_cndmask_b32_e32 v50, v39, v50, vcc
	v_cmp_le_u16_sdwa s[6:7], v50, v48 src0_sel:BYTE_0 src1_sel:BYTE_0
	v_cmp_ge_u32_e32 vcc, v51, v115
	s_and_b64 s[4:5], s[4:5], s[6:7]
	s_or_b64 vcc, vcc, s[4:5]
	v_cndmask_b32_e32 v53, v51, v49, vcc
	v_cndmask_b32_e32 v54, v115, v114, vcc
	v_add_u32_e32 v53, 1, v53
	v_add_u32_e32 v54, -1, v54
	v_min_u32_e32 v54, v53, v54
	v_add_u32_e32 v54, v52, v54
	ds_read_u8 v54, v54
	v_cndmask_b32_e32 v39, v48, v50, vcc
	v_cndmask_b32_e32 v49, v49, v53, vcc
	v_cndmask_b32_e32 v51, v53, v51, vcc
	v_cmp_lt_u32_e64 s[4:5], v49, v114
	s_waitcnt lgkmcnt(0)
	v_cndmask_b32_e32 v55, v54, v48, vcc
	v_cndmask_b32_e32 v50, v50, v54, vcc
	v_cmp_le_u16_sdwa s[6:7], v50, v55 src0_sel:BYTE_0 src1_sel:BYTE_0
	v_cmp_ge_u32_e32 vcc, v51, v115
	s_and_b64 s[4:5], s[4:5], s[6:7]
	s_or_b64 vcc, vcc, s[4:5]
	;; [unrolled: 18-line block ×4, first 2 shown]
	v_cndmask_b32_e32 v54, v51, v53, vcc
	v_cndmask_b32_e32 v65, v115, v114, vcc
	v_add_u32_e32 v54, 1, v54
	v_add_u32_e32 v65, -1, v65
	v_min_u32_e32 v65, v54, v65
	v_add_u32_e32 v65, v52, v65
	ds_read_u8 v65, v65
	v_cndmask_b32_e32 v50, v55, v64, vcc
	v_cndmask_b32_e32 v53, v53, v54, vcc
	v_cmp_lt_u32_e64 s[4:5], v53, v114
	s_waitcnt lgkmcnt(0)
	v_cndmask_b32_e32 v55, v65, v55, vcc
	v_cndmask_b32_e32 v64, v64, v65, vcc
	;; [unrolled: 1-line block ×3, first 2 shown]
	v_cmp_le_u16_sdwa s[6:7], v64, v55 src0_sel:BYTE_0 src1_sel:BYTE_0
	v_cmp_ge_u32_e32 vcc, v65, v115
	s_and_b64 s[4:5], s[4:5], s[6:7]
	s_or_b64 vcc, vcc, s[4:5]
	v_cndmask_b32_e32 v54, v65, v53, vcc
	v_cndmask_b32_e32 v66, v115, v114, vcc
	v_add_u32_e32 v54, 1, v54
	v_add_u32_e32 v66, -1, v66
	v_min_u32_e32 v66, v54, v66
	v_add_u32_e32 v66, v52, v66
	ds_read_u8 v66, v66
	v_cndmask_b32_e32 v51, v55, v64, vcc
	v_cndmask_b32_e32 v65, v54, v65, vcc
	v_cndmask_b32_e32 v54, v53, v54, vcc
	v_cmp_lt_u32_e64 s[4:5], v54, v114
	s_waitcnt lgkmcnt(0)
	v_cndmask_b32_e32 v55, v66, v55, vcc
	v_cndmask_b32_e32 v64, v64, v66, vcc
	v_cmp_le_u16_sdwa s[6:7], v64, v55 src0_sel:BYTE_0 src1_sel:BYTE_0
	v_cmp_ge_u32_e32 vcc, v65, v115
	s_and_b64 s[4:5], s[4:5], s[6:7]
	s_or_b64 vcc, vcc, s[4:5]
	v_cndmask_b32_e32 v66, v65, v54, vcc
	v_cndmask_b32_e32 v67, v115, v114, vcc
	v_add_u32_e32 v66, 1, v66
	v_add_u32_e32 v67, -1, v67
	v_min_u32_e32 v67, v66, v67
	v_add_u32_e32 v67, v52, v67
	ds_read_u8 v67, v67
	v_cndmask_b32_e32 v53, v55, v64, vcc
	v_cndmask_b32_e32 v65, v66, v65, vcc
	v_cndmask_b32_e32 v66, v54, v66, vcc
	v_cmp_lt_u32_e64 s[4:5], v66, v114
	s_waitcnt lgkmcnt(0)
	v_cndmask_b32_e32 v55, v67, v55, vcc
	v_cndmask_b32_e32 v64, v64, v67, vcc
	;; [unrolled: 18-line block ×4, first 2 shown]
	v_cmp_le_u16_sdwa s[6:7], v68, v69 src0_sel:BYTE_0 src1_sel:BYTE_0
	v_cmp_ge_u32_e32 vcc, v65, v115
	s_and_b64 s[4:5], s[4:5], s[6:7]
	s_or_b64 vcc, vcc, s[4:5]
	v_cndmask_b32_e32 v67, v65, v66, vcc
	v_cndmask_b32_e32 v80, v115, v114, vcc
	v_add_u32_e32 v67, 1, v67
	v_add_u32_e32 v80, -1, v80
	v_min_u32_e32 v80, v67, v80
	v_add_u32_e32 v80, v52, v80
	ds_read_u8 v80, v80
	v_cndmask_b32_e32 v64, v69, v68, vcc
	v_cndmask_b32_e32 v66, v66, v67, vcc
	v_cmp_lt_u32_e64 s[4:5], v66, v114
	s_waitcnt lgkmcnt(0)
	v_cndmask_b32_e32 v69, v80, v69, vcc
	v_cndmask_b32_e32 v68, v68, v80, vcc
	;; [unrolled: 1-line block ×3, first 2 shown]
	v_cmp_le_u16_sdwa s[6:7], v68, v69 src0_sel:BYTE_0 src1_sel:BYTE_0
	v_cmp_ge_u32_e32 vcc, v80, v115
	s_and_b64 s[4:5], s[4:5], s[6:7]
	s_or_b64 vcc, vcc, s[4:5]
	v_cndmask_b32_e32 v67, v80, v66, vcc
	v_cndmask_b32_e32 v81, v115, v114, vcc
	v_add_u32_e32 v67, 1, v67
	v_add_u32_e32 v81, -1, v81
	v_min_u32_e32 v81, v67, v81
	v_add_u32_e32 v81, v52, v81
	ds_read_u8 v81, v81
	v_cndmask_b32_e32 v65, v69, v68, vcc
	v_cndmask_b32_e32 v80, v67, v80, vcc
	v_cndmask_b32_e32 v67, v66, v67, vcc
	v_cmp_lt_u32_e64 s[4:5], v67, v114
	s_waitcnt lgkmcnt(0)
	v_cndmask_b32_e32 v69, v81, v69, vcc
	v_cndmask_b32_e32 v68, v68, v81, vcc
	v_cmp_le_u16_sdwa s[6:7], v68, v69 src0_sel:BYTE_0 src1_sel:BYTE_0
	v_cmp_ge_u32_e32 vcc, v80, v115
	s_and_b64 s[4:5], s[4:5], s[6:7]
	s_or_b64 vcc, vcc, s[4:5]
	v_cndmask_b32_e32 v81, v80, v67, vcc
	v_cndmask_b32_e32 v83, v115, v114, vcc
	v_add_u32_e32 v81, 1, v81
	v_add_u32_e32 v83, -1, v83
	v_min_u32_e32 v83, v81, v83
	v_add_u32_e32 v83, v52, v83
	ds_read_u8 v83, v83
	v_cndmask_b32_e32 v66, v69, v68, vcc
	v_cndmask_b32_e32 v80, v81, v80, vcc
	v_cndmask_b32_e32 v81, v67, v81, vcc
	v_cmp_lt_u32_e64 s[4:5], v81, v114
	s_waitcnt lgkmcnt(0)
	v_cndmask_b32_e32 v69, v83, v69, vcc
	v_cndmask_b32_e32 v68, v68, v83, vcc
	;; [unrolled: 18-line block ×4, first 2 shown]
	v_cmp_le_u16_sdwa s[6:7], v84, v86 src0_sel:BYTE_0 src1_sel:BYTE_0
	v_cmp_ge_u32_e32 vcc, v80, v115
	s_and_b64 s[4:5], s[4:5], s[6:7]
	s_or_b64 vcc, vcc, s[4:5]
	v_cndmask_b32_e32 v83, v80, v81, vcc
	v_cndmask_b32_e32 v85, v115, v114, vcc
	v_add_u32_e32 v83, 1, v83
	v_add_u32_e32 v85, -1, v85
	v_min_u32_e32 v85, v83, v85
	v_add_u32_e32 v85, v52, v85
	ds_read_u8 v85, v85
	v_cndmask_b32_e32 v69, v86, v84, vcc
	v_cndmask_b32_e32 v81, v81, v83, vcc
	v_cmp_lt_u32_e64 s[4:5], v81, v114
	s_waitcnt lgkmcnt(0)
	v_cndmask_b32_e32 v86, v85, v86, vcc
	v_cndmask_b32_e32 v84, v84, v85, vcc
	;; [unrolled: 1-line block ×3, first 2 shown]
	v_cmp_le_u16_sdwa s[6:7], v84, v86 src0_sel:BYTE_0 src1_sel:BYTE_0
	v_cmp_ge_u32_e32 vcc, v85, v115
	s_and_b64 s[4:5], s[4:5], s[6:7]
	s_or_b64 vcc, vcc, s[4:5]
	v_cndmask_b32_e32 v83, v85, v81, vcc
	v_cndmask_b32_e32 v87, v115, v114, vcc
	v_add_u32_e32 v83, 1, v83
	v_add_u32_e32 v87, -1, v87
	v_min_u32_e32 v87, v83, v87
	v_add_u32_e32 v87, v52, v87
	ds_read_u8 v87, v87
	v_cndmask_b32_e32 v80, v86, v84, vcc
	v_cndmask_b32_e32 v85, v83, v85, vcc
	v_cndmask_b32_e32 v83, v81, v83, vcc
	v_cmp_lt_u32_e64 s[4:5], v83, v114
	s_waitcnt lgkmcnt(0)
	v_cndmask_b32_e32 v86, v87, v86, vcc
	v_cndmask_b32_e32 v84, v84, v87, vcc
	v_cmp_le_u16_sdwa s[6:7], v84, v86 src0_sel:BYTE_0 src1_sel:BYTE_0
	v_cmp_ge_u32_e32 vcc, v85, v115
	s_and_b64 s[4:5], s[4:5], s[6:7]
	s_or_b64 vcc, vcc, s[4:5]
	v_cndmask_b32_e32 v87, v85, v83, vcc
	v_cndmask_b32_e32 v96, v115, v114, vcc
	v_add_u32_e32 v87, 1, v87
	v_add_u32_e32 v96, -1, v96
	v_min_u32_e32 v96, v87, v96
	v_add_u32_e32 v96, v52, v96
	ds_read_u8 v96, v96
	v_cndmask_b32_e32 v81, v86, v84, vcc
	v_cndmask_b32_e32 v85, v87, v85, vcc
	v_cndmask_b32_e32 v87, v83, v87, vcc
	v_cmp_lt_u32_e64 s[4:5], v87, v114
	s_waitcnt lgkmcnt(0)
	v_cndmask_b32_e32 v86, v96, v86, vcc
	v_cndmask_b32_e32 v84, v84, v96, vcc
	;; [unrolled: 18-line block ×3, first 2 shown]
	v_cmp_le_u16_sdwa s[6:7], v97, v86 src0_sel:BYTE_0 src1_sel:BYTE_0
	v_cmp_ge_u32_e32 vcc, v85, v115
	s_and_b64 s[4:5], s[4:5], s[6:7]
	s_or_b64 vcc, vcc, s[4:5]
	v_cndmask_b32_e32 v96, v85, v87, vcc
	v_cndmask_b32_e32 v98, v115, v114, vcc
	v_add_u32_e32 v96, 1, v96
	v_add_u32_e32 v98, -1, v98
	v_min_u32_e32 v98, v96, v98
	v_add_u32_e32 v98, v52, v98
	ds_read_u8 v98, v98
	v_cndmask_b32_e32 v84, v86, v97, vcc
	v_cndmask_b32_e32 v87, v87, v96, vcc
	v_cmp_lt_u32_e64 s[4:5], v87, v114
	s_waitcnt lgkmcnt(0)
	v_cndmask_b32_e32 v86, v98, v86, vcc
	v_cndmask_b32_e32 v97, v97, v98, vcc
	;; [unrolled: 1-line block ×3, first 2 shown]
	v_cmp_le_u16_sdwa s[6:7], v97, v86 src0_sel:BYTE_0 src1_sel:BYTE_0
	v_cmp_ge_u32_e32 vcc, v98, v115
	s_and_b64 s[4:5], s[4:5], s[6:7]
	s_or_b64 vcc, vcc, s[4:5]
	v_cndmask_b32_e32 v96, v98, v87, vcc
	v_cndmask_b32_e32 v99, v115, v114, vcc
	v_add_u32_e32 v96, 1, v96
	v_add_u32_e32 v99, -1, v99
	v_min_u32_e32 v99, v96, v99
	v_add_u32_e32 v99, v52, v99
	ds_read_u8 v99, v99
	v_cndmask_b32_e32 v85, v86, v97, vcc
	v_cndmask_b32_e32 v87, v87, v96, vcc
	v_cndmask_b32_e32 v98, v96, v98, vcc
	v_cmp_lt_u32_e64 s[4:5], v87, v114
	s_waitcnt lgkmcnt(0)
	v_cndmask_b32_e32 v100, v99, v86, vcc
	v_cndmask_b32_e32 v97, v97, v99, vcc
	v_cmp_le_u16_sdwa s[6:7], v97, v100 src0_sel:BYTE_0 src1_sel:BYTE_0
	v_cmp_ge_u32_e32 vcc, v98, v115
	s_and_b64 s[4:5], s[4:5], s[6:7]
	s_or_b64 vcc, vcc, s[4:5]
	v_cndmask_b32_e32 v96, v98, v87, vcc
	v_cndmask_b32_e32 v99, v115, v114, vcc
	v_add_u32_e32 v96, 1, v96
	v_add_u32_e32 v99, -1, v99
	v_min_u32_e32 v99, v96, v99
	v_add_u32_e32 v99, v52, v99
	ds_read_u8 v99, v99
	v_cndmask_b32_e32 v86, v100, v97, vcc
	v_cndmask_b32_e32 v98, v96, v98, vcc
	v_cndmask_b32_e32 v96, v87, v96, vcc
	v_cmp_lt_u32_e64 s[4:5], v96, v114
	s_waitcnt lgkmcnt(0)
	v_cndmask_b32_e32 v100, v99, v100, vcc
	v_cndmask_b32_e32 v97, v97, v99, vcc
	;; [unrolled: 18-line block ×4, first 2 shown]
	v_cmp_le_u16_sdwa s[6:7], v102, v100 src0_sel:BYTE_0 src1_sel:BYTE_0
	v_cmp_ge_u32_e32 vcc, v98, v115
	s_and_b64 s[4:5], s[4:5], s[6:7]
	s_or_b64 vcc, vcc, s[4:5]
	v_cndmask_b32_e32 v101, v98, v99, vcc
	v_cndmask_b32_e32 v103, v115, v114, vcc
	v_add_u32_e32 v101, 1, v101
	v_add_u32_e32 v103, -1, v103
	v_min_u32_e32 v103, v101, v103
	v_add_u32_e32 v103, v52, v103
	ds_read_u8 v103, v103
	v_cndmask_b32_e32 v97, v100, v102, vcc
	v_cndmask_b32_e32 v99, v99, v101, vcc
	v_cmp_lt_u32_e64 s[4:5], v99, v114
	s_waitcnt lgkmcnt(0)
	v_cndmask_b32_e32 v100, v103, v100, vcc
	v_cndmask_b32_e32 v102, v102, v103, vcc
	;; [unrolled: 1-line block ×3, first 2 shown]
	v_cmp_le_u16_sdwa s[6:7], v102, v100 src0_sel:BYTE_0 src1_sel:BYTE_0
	v_cmp_ge_u32_e32 vcc, v103, v115
	s_and_b64 s[4:5], s[4:5], s[6:7]
	s_or_b64 vcc, vcc, s[4:5]
	v_cndmask_b32_e32 v101, v103, v99, vcc
	v_cndmask_b32_e32 v112, v115, v114, vcc
	v_add_u32_e32 v101, 1, v101
	v_add_u32_e32 v112, -1, v112
	v_min_u32_e32 v112, v101, v112
	v_add_u32_e32 v112, v52, v112
	ds_read_u8 v112, v112
	v_cndmask_b32_e32 v98, v100, v102, vcc
	v_cndmask_b32_e32 v103, v101, v103, vcc
	v_cndmask_b32_e32 v101, v99, v101, vcc
	v_cmp_lt_u32_e64 s[4:5], v101, v114
	s_waitcnt lgkmcnt(0)
	v_cndmask_b32_e32 v100, v112, v100, vcc
	v_cndmask_b32_e32 v102, v102, v112, vcc
	v_cmp_le_u16_sdwa s[6:7], v102, v100 src0_sel:BYTE_0 src1_sel:BYTE_0
	v_cmp_ge_u32_e32 vcc, v103, v115
	s_and_b64 s[4:5], s[4:5], s[6:7]
	s_or_b64 vcc, vcc, s[4:5]
	v_cndmask_b32_e32 v112, v103, v101, vcc
	v_cndmask_b32_e32 v113, v115, v114, vcc
	v_add_u32_e32 v112, 1, v112
	v_add_u32_e32 v113, -1, v113
	v_min_u32_e32 v113, v112, v113
	v_add_u32_e32 v113, v52, v113
	ds_read_u8 v113, v113
	v_cndmask_b32_e32 v99, v100, v102, vcc
	v_cndmask_b32_e32 v101, v101, v112, vcc
	v_cndmask_b32_e32 v103, v112, v103, vcc
	v_cmp_lt_u32_e64 s[4:5], v101, v114
	s_waitcnt lgkmcnt(0)
	v_cndmask_b32_e32 v116, v113, v100, vcc
	v_cndmask_b32_e32 v102, v102, v113, vcc
	;; [unrolled: 18-line block ×4, first 2 shown]
	v_cmp_le_u16_sdwa s[6:7], v117, v116 src0_sel:BYTE_0 src1_sel:BYTE_0
	v_cmp_ge_u32_e32 vcc, v103, v115
	s_and_b64 s[4:5], s[4:5], s[6:7]
	s_or_b64 vcc, vcc, s[4:5]
	v_cndmask_b32_e32 v113, v103, v112, vcc
	v_cndmask_b32_e32 v118, v115, v114, vcc
	v_add_u32_e32 v113, 1, v113
	v_add_u32_e32 v118, -1, v118
	v_min_u32_e32 v118, v113, v118
	v_add_u32_e32 v118, v52, v118
	ds_read_u8 v118, v118
	v_cndmask_b32_e32 v102, v116, v117, vcc
	v_cndmask_b32_e32 v112, v112, v113, vcc
	v_cmp_lt_u32_e64 s[4:5], v112, v114
	s_waitcnt lgkmcnt(0)
	v_cndmask_b32_e32 v116, v118, v116, vcc
	v_cndmask_b32_e32 v117, v117, v118, vcc
	v_cndmask_b32_e32 v118, v113, v103, vcc
	v_cmp_le_u16_sdwa s[6:7], v117, v116 src0_sel:BYTE_0 src1_sel:BYTE_0
	v_cmp_ge_u32_e32 vcc, v118, v115
	s_and_b64 s[4:5], s[4:5], s[6:7]
	s_or_b64 vcc, vcc, s[4:5]
	v_cndmask_b32_e32 v113, v118, v112, vcc
	v_cndmask_b32_e32 v119, v115, v114, vcc
	v_add_u32_e32 v113, 1, v113
	v_add_u32_e32 v119, -1, v119
	v_min_u32_e32 v119, v113, v119
	v_add_u32_e32 v119, v52, v119
	ds_read_u8 v119, v119
	v_cndmask_b32_e32 v103, v116, v117, vcc
	v_cndmask_b32_e32 v118, v113, v118, vcc
	;; [unrolled: 1-line block ×3, first 2 shown]
	v_cmp_lt_u32_e64 s[4:5], v113, v114
	s_waitcnt lgkmcnt(0)
	v_cndmask_b32_e32 v116, v119, v116, vcc
	v_cndmask_b32_e32 v117, v117, v119, vcc
	v_cmp_le_u16_sdwa s[6:7], v117, v116 src0_sel:BYTE_0 src1_sel:BYTE_0
	v_cmp_ge_u32_e32 vcc, v118, v115
	s_and_b64 s[4:5], s[4:5], s[6:7]
	s_or_b64 vcc, vcc, s[4:5]
	v_cndmask_b32_e32 v119, v118, v113, vcc
	v_cndmask_b32_e32 v128, v115, v114, vcc
	v_add_u32_e32 v119, 1, v119
	v_add_u32_e32 v128, -1, v128
	v_min_u32_e32 v128, v119, v128
	v_add_u32_e32 v128, v52, v128
	ds_read_u8 v128, v128
	v_cndmask_b32_e32 v118, v119, v118, vcc
	v_cndmask_b32_e32 v112, v116, v117, vcc
	v_cmp_lt_u32_e64 s[4:5], v118, v115
	v_cndmask_b32_e32 v113, v113, v119, vcc
	s_waitcnt lgkmcnt(0)
	v_cndmask_b32_e32 v117, v117, v128, vcc
	v_cndmask_b32_e32 v115, v128, v116, vcc
	v_cmp_lt_u32_e32 vcc, v113, v114
	v_min_u16_sdwa v113, v117, v115 dst_sel:DWORD dst_unused:UNUSED_PAD src0_sel:BYTE_0 src1_sel:BYTE_0
	v_cndmask_b32_e32 v113, v115, v113, vcc
	v_cndmask_b32_e64 v113, v117, v113, s[4:5]
.LBB2853_155:
	s_or_b64 exec, exec, s[8:9]
	v_lshlrev_b16_e32 v114, 8, v68
	v_lshlrev_b16_e32 v115, 8, v80
	v_or_b32_sdwa v114, v67, v114 dst_sel:DWORD dst_unused:UNUSED_PAD src0_sel:BYTE_0 src1_sel:DWORD
	v_or_b32_sdwa v115, v69, v115 dst_sel:WORD_1 dst_unused:UNUSED_PAD src0_sel:BYTE_0 src1_sel:DWORD
	v_or_b32_sdwa v117, v114, v115 dst_sel:DWORD dst_unused:UNUSED_PAD src0_sel:WORD_0 src1_sel:DWORD
	v_lshlrev_b16_e32 v114, 8, v64
	v_lshlrev_b16_e32 v115, 8, v66
	v_or_b32_sdwa v114, v55, v114 dst_sel:DWORD dst_unused:UNUSED_PAD src0_sel:BYTE_0 src1_sel:DWORD
	v_or_b32_sdwa v115, v65, v115 dst_sel:WORD_1 dst_unused:UNUSED_PAD src0_sel:BYTE_0 src1_sel:DWORD
	v_or_b32_sdwa v116, v114, v115 dst_sel:DWORD dst_unused:UNUSED_PAD src0_sel:WORD_0 src1_sel:DWORD
	v_lshlrev_b16_e32 v114, 8, v51
	v_lshlrev_b16_e32 v115, 8, v54
	v_or_b32_sdwa v114, v50, v114 dst_sel:DWORD dst_unused:UNUSED_PAD src0_sel:BYTE_0 src1_sel:DWORD
	v_or_b32_sdwa v115, v53, v115 dst_sel:WORD_1 dst_unused:UNUSED_PAD src0_sel:BYTE_0 src1_sel:DWORD
	v_or_b32_sdwa v115, v114, v115 dst_sel:DWORD dst_unused:UNUSED_PAD src0_sel:WORD_0 src1_sel:DWORD
	v_lshlrev_b16_e32 v114, 8, v39
	v_lshlrev_b16_e32 v118, 8, v49
	v_or_b32_sdwa v114, v38, v114 dst_sel:DWORD dst_unused:UNUSED_PAD src0_sel:BYTE_0 src1_sel:DWORD
	v_or_b32_sdwa v118, v48, v118 dst_sel:WORD_1 dst_unused:UNUSED_PAD src0_sel:BYTE_0 src1_sel:DWORD
	v_or_b32_sdwa v114, v114, v118 dst_sel:DWORD dst_unused:UNUSED_PAD src0_sel:WORD_0 src1_sel:DWORD
	; wave barrier
	ds_write_b128 v71, v[114:117]
	v_lshlrev_b16_e32 v114, 8, v103
	v_lshlrev_b16_e32 v115, 8, v113
	v_or_b32_sdwa v114, v102, v114 dst_sel:DWORD dst_unused:UNUSED_PAD src0_sel:BYTE_0 src1_sel:DWORD
	v_or_b32_sdwa v115, v112, v115 dst_sel:WORD_1 dst_unused:UNUSED_PAD src0_sel:BYTE_0 src1_sel:DWORD
	v_or_b32_sdwa v117, v114, v115 dst_sel:DWORD dst_unused:UNUSED_PAD src0_sel:WORD_0 src1_sel:DWORD
	v_lshlrev_b16_e32 v114, 8, v99
	v_lshlrev_b16_e32 v115, 8, v101
	v_or_b32_sdwa v114, v98, v114 dst_sel:DWORD dst_unused:UNUSED_PAD src0_sel:BYTE_0 src1_sel:DWORD
	v_or_b32_sdwa v115, v100, v115 dst_sel:WORD_1 dst_unused:UNUSED_PAD src0_sel:BYTE_0 src1_sel:DWORD
	v_or_b32_sdwa v116, v114, v115 dst_sel:DWORD dst_unused:UNUSED_PAD src0_sel:WORD_0 src1_sel:DWORD
	;; [unrolled: 5-line block ×4, first 2 shown]
	ds_write_b128 v71, v[114:117] offset:16
	v_and_b32_e32 v115, 0xe00, v70
	v_or_b32_e32 v71, 0x100, v115
	v_min_u32_e32 v71, v82, v71
	v_add_u32_e32 v114, 0x100, v71
	v_min_u32_e32 v114, v82, v114
	v_and_b32_e32 v70, 0x1e0, v70
	v_min_u32_e32 v82, v82, v70
	v_sub_u32_e32 v70, v71, v115
	v_sub_u32_e32 v116, v114, v71
	v_sub_u32_e64 v116, v82, v116 clamp
	v_min_u32_e32 v70, v82, v70
	v_cmp_lt_u32_e32 vcc, v116, v70
	; wave barrier
	s_and_saveexec_b64 s[4:5], vcc
	s_cbranch_execz .LBB2853_159
; %bb.156:
	v_add_u32_e32 v117, v52, v115
	v_add3_u32 v118, v52, v71, v82
	s_mov_b64 s[6:7], 0
.LBB2853_157:                           ; =>This Inner Loop Header: Depth=1
	v_add_u32_e32 v119, v70, v116
	v_lshrrev_b32_e32 v119, 1, v119
	v_add_u32_e32 v128, v117, v119
	v_xad_u32 v129, v119, -1, v118
	ds_read_u8 v128, v128
	ds_read_u8 v129, v129
	v_add_u32_e32 v130, 1, v119
	s_waitcnt lgkmcnt(0)
	v_cmp_gt_u16_e32 vcc, v128, v129
	v_cndmask_b32_e32 v70, v70, v119, vcc
	v_cndmask_b32_e32 v116, v130, v116, vcc
	v_cmp_ge_u32_e32 vcc, v116, v70
	s_or_b64 s[6:7], vcc, s[6:7]
	s_andn2_b64 exec, exec, s[6:7]
	s_cbranch_execnz .LBB2853_157
; %bb.158:
	s_or_b64 exec, exec, s[6:7]
.LBB2853_159:
	s_or_b64 exec, exec, s[4:5]
	v_add_u32_e32 v82, v71, v82
	v_add_u32_e32 v70, v116, v115
	v_sub_u32_e32 v82, v82, v116
	v_cmp_le_u32_e32 vcc, v70, v71
	v_cmp_le_u32_e64 s[4:5], v82, v114
	s_or_b64 s[4:5], vcc, s[4:5]
	s_and_saveexec_b64 s[86:87], s[4:5]
	s_cbranch_execz .LBB2853_165
; %bb.160:
	v_cmp_lt_u32_e32 vcc, v70, v71
                                        ; implicit-def: $vgpr38
	s_and_saveexec_b64 s[4:5], vcc
	s_cbranch_execz .LBB2853_162
; %bb.161:
	v_add_u32_e32 v38, v52, v70
	ds_read_u8 v38, v38
.LBB2853_162:
	s_or_b64 exec, exec, s[4:5]
	v_cmp_ge_u32_e64 s[4:5], v82, v114
	v_cmp_lt_u32_e64 s[6:7], v82, v114
                                        ; implicit-def: $vgpr39
	s_and_saveexec_b64 s[8:9], s[6:7]
	s_cbranch_execz .LBB2853_164
; %bb.163:
	v_add_u32_e32 v39, v52, v82
	ds_read_u8 v39, v39
.LBB2853_164:
	s_or_b64 exec, exec, s[8:9]
	s_waitcnt lgkmcnt(0)
	v_cmp_le_u16_sdwa s[6:7], v38, v39 src0_sel:BYTE_0 src1_sel:BYTE_0
	s_and_b64 s[6:7], vcc, s[6:7]
	s_or_b64 vcc, s[4:5], s[6:7]
	v_cndmask_b32_e32 v48, v82, v70, vcc
	v_cndmask_b32_e32 v49, v114, v71, vcc
	v_add_u32_e32 v48, 1, v48
	v_add_u32_e32 v49, -1, v49
	v_min_u32_e32 v49, v48, v49
	v_add_u32_e32 v49, v52, v49
	ds_read_u8 v49, v49
	v_cndmask_b32_e32 v50, v48, v82, vcc
	v_cndmask_b32_e32 v48, v70, v48, vcc
	v_cmp_lt_u32_e64 s[6:7], v48, v71
	v_cmp_ge_u32_e64 s[4:5], v50, v114
	s_waitcnt lgkmcnt(0)
	v_cndmask_b32_e32 v51, v49, v39, vcc
	v_cndmask_b32_e32 v49, v38, v49, vcc
	v_cmp_le_u16_sdwa s[8:9], v49, v51 src0_sel:BYTE_0 src1_sel:BYTE_0
	s_and_b64 s[6:7], s[6:7], s[8:9]
	s_or_b64 s[4:5], s[4:5], s[6:7]
	v_cndmask_b32_e64 v53, v50, v48, s[4:5]
	v_cndmask_b32_e64 v54, v114, v71, s[4:5]
	v_add_u32_e32 v53, 1, v53
	v_add_u32_e32 v54, -1, v54
	v_min_u32_e32 v54, v53, v54
	v_add_u32_e32 v54, v52, v54
	ds_read_u8 v54, v54
	v_cndmask_b32_e64 v48, v48, v53, s[4:5]
	v_cndmask_b32_e64 v50, v53, v50, s[4:5]
	v_cmp_lt_u32_e64 s[8:9], v48, v71
	v_cmp_ge_u32_e64 s[6:7], v50, v114
	s_waitcnt lgkmcnt(0)
	v_cndmask_b32_e64 v55, v54, v51, s[4:5]
	v_cndmask_b32_e64 v54, v49, v54, s[4:5]
	v_cmp_le_u16_sdwa s[10:11], v54, v55 src0_sel:BYTE_0 src1_sel:BYTE_0
	s_and_b64 s[8:9], s[8:9], s[10:11]
	s_or_b64 s[8:9], s[6:7], s[8:9]
	v_cndmask_b32_e64 v53, v50, v48, s[8:9]
	v_cndmask_b32_e64 v64, v114, v71, s[8:9]
	v_add_u32_e32 v53, 1, v53
	v_add_u32_e32 v64, -1, v64
	v_min_u32_e32 v64, v53, v64
	v_add_u32_e32 v64, v52, v64
	ds_read_u8 v64, v64
	v_cndmask_b32_e64 v48, v48, v53, s[8:9]
	v_cndmask_b32_e64 v50, v53, v50, s[8:9]
	v_cmp_lt_u32_e64 s[10:11], v48, v71
	v_cmp_ge_u32_e64 s[6:7], v50, v114
	s_waitcnt lgkmcnt(0)
	v_cndmask_b32_e64 v65, v64, v55, s[8:9]
	v_cndmask_b32_e64 v64, v54, v64, s[8:9]
	;; [unrolled: 17-line block ×22, first 2 shown]
	v_cmp_le_u16_sdwa s[40:41], v146, v147 src0_sel:BYTE_0 src1_sel:BYTE_0
	s_and_b64 s[40:41], s[82:83], s[40:41]
	s_or_b64 s[82:83], s[34:35], s[40:41]
	v_cndmask_b32_e64 v48, v50, v53, s[82:83]
	v_cndmask_b32_e64 v148, v114, v71, s[82:83]
	v_add_u32_e32 v149, 1, v48
	v_add_u32_e32 v48, -1, v148
	v_min_u32_e32 v48, v149, v48
	v_add_u32_e32 v48, v52, v48
	ds_read_u8 v148, v48
	v_cndmask_b32_e64 v48, v55, v54, s[8:9]
	v_cndmask_b32_e64 v55, v53, v149, s[82:83]
	v_cndmask_b32_e32 v38, v39, v38, vcc
	v_cndmask_b32_e64 v39, v51, v49, s[4:5]
	s_waitcnt lgkmcnt(0)
	v_cndmask_b32_e64 v150, v148, v147, s[82:83]
	v_cndmask_b32_e64 v148, v146, v148, s[82:83]
	;; [unrolled: 1-line block ×3, first 2 shown]
	v_cmp_lt_u32_e64 s[4:5], v55, v71
	v_cmp_le_u16_sdwa s[8:9], v148, v150 src0_sel:BYTE_0 src1_sel:BYTE_0
	v_cmp_ge_u32_e32 vcc, v54, v114
	s_and_b64 s[4:5], s[4:5], s[8:9]
	s_or_b64 vcc, vcc, s[4:5]
	v_cndmask_b32_e32 v49, v54, v55, vcc
	v_cndmask_b32_e32 v50, v114, v71, vcc
	v_add_u32_e32 v149, 1, v49
	v_add_u32_e32 v49, -1, v50
	v_min_u32_e32 v49, v149, v49
	v_add_u32_e32 v49, v52, v49
	ds_read_u8 v151, v49
	v_cndmask_b32_e64 v50, v67, v66, s[10:11]
	v_cndmask_b32_e64 v53, v80, v70, s[16:17]
	v_cndmask_b32_e32 v67, v55, v149, vcc
	v_cndmask_b32_e64 v49, v65, v64, s[6:7]
	s_waitcnt lgkmcnt(0)
	v_cndmask_b32_e32 v70, v151, v150, vcc
	v_cndmask_b32_e32 v151, v148, v151, vcc
	v_cndmask_b32_e32 v66, v149, v54, vcc
	v_cmp_lt_u32_e64 s[6:7], v67, v71
	v_cmp_le_u16_sdwa s[8:9], v151, v70 src0_sel:BYTE_0 src1_sel:BYTE_0
	v_cmp_ge_u32_e64 s[4:5], v66, v114
	s_and_b64 s[6:7], s[6:7], s[8:9]
	s_or_b64 s[4:5], s[4:5], s[6:7]
	v_cndmask_b32_e64 v54, v66, v67, s[4:5]
	v_cndmask_b32_e64 v55, v114, v71, s[4:5]
	v_cndmask_b32_e64 v51, v69, v68, s[12:13]
	v_add_u32_e32 v68, 1, v54
	v_add_u32_e32 v54, -1, v55
	v_min_u32_e32 v54, v68, v54
	v_add_u32_e32 v54, v52, v54
	ds_read_u8 v69, v54
	v_cndmask_b32_e64 v54, v82, v81, s[14:15]
	v_cndmask_b32_e64 v81, v67, v68, s[4:5]
	;; [unrolled: 1-line block ×3, first 2 shown]
	v_cmp_lt_u32_e64 s[8:9], v81, v71
	s_waitcnt lgkmcnt(0)
	v_cndmask_b32_e64 v82, v69, v70, s[4:5]
	v_cndmask_b32_e64 v149, v151, v69, s[4:5]
	v_cmp_le_u16_sdwa s[10:11], v149, v82 src0_sel:BYTE_0 src1_sel:BYTE_0
	v_cmp_ge_u32_e64 s[6:7], v80, v114
	s_and_b64 s[8:9], s[8:9], s[10:11]
	s_or_b64 s[6:7], s[6:7], s[8:9]
	v_cndmask_b32_e64 v66, v80, v81, s[6:7]
	v_cndmask_b32_e64 v67, v114, v71, s[6:7]
	v_cndmask_b32_e64 v55, v84, v83, s[18:19]
	v_add_u32_e32 v83, 1, v66
	v_add_u32_e32 v66, -1, v67
	v_min_u32_e32 v66, v83, v66
	v_add_u32_e32 v66, v52, v66
	ds_read_u8 v84, v66
	v_cndmask_b32_e64 v64, v86, v85, s[20:21]
	v_cndmask_b32_e64 v68, v102, v101, s[28:29]
	v_cndmask_b32_e64 v86, v81, v83, s[6:7]
	v_cndmask_b32_e64 v85, v83, v80, s[6:7]
	s_waitcnt lgkmcnt(0)
	v_cndmask_b32_e64 v101, v84, v82, s[6:7]
	v_cndmask_b32_e64 v102, v149, v84, s[6:7]
	v_cmp_lt_u32_e64 s[10:11], v86, v71
	v_cmp_le_u16_sdwa s[12:13], v102, v101 src0_sel:BYTE_0 src1_sel:BYTE_0
	v_cmp_ge_u32_e64 s[8:9], v85, v114
	s_and_b64 s[10:11], s[10:11], s[12:13]
	s_or_b64 s[8:9], s[8:9], s[10:11]
	v_cndmask_b32_e64 v80, v85, v86, s[8:9]
	v_cndmask_b32_e64 v81, v114, v71, s[8:9]
	v_cndmask_b32_e64 v65, v96, v87, s[24:25]
	v_add_u32_e32 v87, 1, v80
	v_add_u32_e32 v80, -1, v81
	v_min_u32_e32 v80, v87, v80
	v_add_u32_e32 v80, v52, v80
	ds_read_u8 v96, v80
	v_cndmask_b32_e64 v66, v98, v97, s[22:23]
	v_cndmask_b32_e64 v69, v112, v103, s[68:69]
	v_cndmask_b32_e64 v98, v86, v87, s[8:9]
	v_cndmask_b32_e64 v97, v87, v85, s[8:9]
	s_waitcnt lgkmcnt(0)
	v_cndmask_b32_e64 v103, v96, v101, s[8:9]
	v_cndmask_b32_e64 v112, v102, v96, s[8:9]
	v_cmp_lt_u32_e64 s[12:13], v98, v71
	;; [unrolled: 20-line block ×4, first 2 shown]
	v_cmp_le_u16_sdwa s[6:7], v82, v70 src0_sel:BYTE_0 src1_sel:BYTE_0
	v_cndmask_b32_e32 v98, v150, v148, vcc
	v_cmp_ge_u32_e32 vcc, v116, v114
	s_and_b64 s[4:5], s[4:5], s[6:7]
	s_or_b64 vcc, vcc, s[4:5]
	v_cndmask_b32_e32 v118, v116, v117, vcc
	v_cndmask_b32_e32 v119, v114, v71, vcc
	v_add_u32_e32 v118, 1, v118
	v_add_u32_e32 v119, -1, v119
	v_min_u32_e32 v119, v118, v119
	v_add_u32_e32 v52, v52, v119
	ds_read_u8 v52, v52
	v_cndmask_b32_e64 v101, v101, v102, s[8:9]
	v_cndmask_b32_e64 v102, v103, v112, s[10:11]
	v_cndmask_b32_e32 v112, v70, v82, vcc
	v_cndmask_b32_e64 v103, v113, v115, s[12:13]
	s_waitcnt lgkmcnt(0)
	v_cndmask_b32_e32 v82, v82, v52, vcc
	v_cndmask_b32_e32 v52, v52, v70, vcc
	v_cndmask_b32_e32 v70, v117, v118, vcc
	v_cndmask_b32_e32 v113, v118, v116, vcc
	v_min_u16_sdwa v115, v82, v52 dst_sel:DWORD dst_unused:UNUSED_PAD src0_sel:BYTE_0 src1_sel:BYTE_0
	v_cmp_lt_u32_e32 vcc, v70, v71
	v_cndmask_b32_e32 v52, v52, v115, vcc
	v_cmp_lt_u32_e32 vcc, v113, v114
	v_cndmask_b32_e64 v84, v129, v128, s[76:77]
	v_cndmask_b32_e64 v85, v131, v130, s[74:75]
	;; [unrolled: 1-line block ×6, first 2 shown]
	v_cndmask_b32_e32 v113, v82, v52, vcc
.LBB2853_165:
	s_or_b64 exec, exec, s[86:87]
	s_movk_i32 s40, 0x200
	v_cmp_lt_u32_e32 vcc, s40, v0
	; wave barrier
	s_waitcnt lgkmcnt(0)
	s_barrier
	s_and_saveexec_b64 s[86:87], vcc
	s_cbranch_execz .LBB2853_179
; %bb.166:
	s_mov_b64 s[88:89], 0
	s_branch .LBB2853_169
.LBB2853_167:                           ;   in Loop: Header=BB2853_169 Depth=1
	s_or_b64 exec, exec, s[8:9]
	s_waitcnt lgkmcnt(0)
	v_cmp_le_u16_sdwa s[6:7], v38, v39 src0_sel:BYTE_0 src1_sel:BYTE_0
	s_and_b64 s[6:7], vcc, s[6:7]
	s_or_b64 vcc, s[4:5], s[6:7]
	v_cndmask_b32_e32 v48, v82, v71, vcc
	v_cndmask_b32_e32 v49, v70, v52, vcc
	v_add_u32_e32 v48, 1, v48
	v_add_u32_e32 v49, -1, v49
	v_min_u32_e32 v49, v48, v49
	ds_read_u8 v49, v49
	v_cndmask_b32_e32 v50, v48, v82, vcc
	v_cndmask_b32_e32 v48, v71, v48, vcc
	v_cmp_lt_u32_e64 s[6:7], v48, v52
	v_cmp_ge_u32_e64 s[4:5], v50, v70
	s_waitcnt lgkmcnt(0)
	v_cndmask_b32_e32 v51, v49, v39, vcc
	v_cndmask_b32_e32 v49, v38, v49, vcc
	v_cmp_le_u16_sdwa s[8:9], v49, v51 src0_sel:BYTE_0 src1_sel:BYTE_0
	s_and_b64 s[6:7], s[6:7], s[8:9]
	s_or_b64 s[4:5], s[4:5], s[6:7]
	v_cndmask_b32_e64 v53, v50, v48, s[4:5]
	v_cndmask_b32_e64 v54, v70, v52, s[4:5]
	v_add_u32_e32 v53, 1, v53
	v_add_u32_e32 v54, -1, v54
	v_min_u32_e32 v54, v53, v54
	ds_read_u8 v54, v54
	v_cndmask_b32_e64 v48, v48, v53, s[4:5]
	v_cndmask_b32_e64 v50, v53, v50, s[4:5]
	v_cmp_lt_u32_e64 s[8:9], v48, v52
	v_cmp_ge_u32_e64 s[6:7], v50, v70
	s_waitcnt lgkmcnt(0)
	v_cndmask_b32_e64 v55, v54, v51, s[4:5]
	v_cndmask_b32_e64 v54, v49, v54, s[4:5]
	v_cmp_le_u16_sdwa s[10:11], v54, v55 src0_sel:BYTE_0 src1_sel:BYTE_0
	s_and_b64 s[8:9], s[8:9], s[10:11]
	s_or_b64 s[8:9], s[6:7], s[8:9]
	v_cndmask_b32_e64 v53, v50, v48, s[8:9]
	v_cndmask_b32_e64 v64, v70, v52, s[8:9]
	v_add_u32_e32 v53, 1, v53
	v_add_u32_e32 v64, -1, v64
	v_min_u32_e32 v64, v53, v64
	ds_read_u8 v64, v64
	v_cndmask_b32_e64 v48, v48, v53, s[8:9]
	v_cndmask_b32_e64 v50, v53, v50, s[8:9]
	v_cmp_lt_u32_e64 s[10:11], v48, v52
	v_cmp_ge_u32_e64 s[6:7], v50, v70
	s_waitcnt lgkmcnt(0)
	v_cndmask_b32_e64 v65, v64, v55, s[8:9]
	v_cndmask_b32_e64 v64, v54, v64, s[8:9]
	;; [unrolled: 16-line block ×22, first 2 shown]
	v_cmp_le_u16_sdwa s[92:93], v145, v146 src0_sel:BYTE_0 src1_sel:BYTE_0
	s_and_b64 s[82:83], s[82:83], s[92:93]
	s_or_b64 s[82:83], s[34:35], s[82:83]
	v_cndmask_b32_e64 v48, v50, v53, s[82:83]
	v_cndmask_b32_e64 v147, v70, v52, s[82:83]
	v_add_u32_e32 v148, 1, v48
	v_add_u32_e32 v48, -1, v147
	v_min_u32_e32 v48, v148, v48
	ds_read_u8 v147, v48
	v_cndmask_b32_e64 v48, v55, v54, s[8:9]
	v_cndmask_b32_e64 v55, v53, v148, s[82:83]
	v_cndmask_b32_e32 v38, v39, v38, vcc
	v_cndmask_b32_e64 v39, v51, v49, s[4:5]
	s_waitcnt lgkmcnt(0)
	v_cndmask_b32_e64 v149, v147, v146, s[82:83]
	v_cndmask_b32_e64 v147, v145, v147, s[82:83]
	;; [unrolled: 1-line block ×3, first 2 shown]
	v_cmp_lt_u32_e64 s[4:5], v55, v52
	v_cmp_le_u16_sdwa s[8:9], v147, v149 src0_sel:BYTE_0 src1_sel:BYTE_0
	v_cmp_ge_u32_e32 vcc, v54, v70
	s_and_b64 s[4:5], s[4:5], s[8:9]
	s_or_b64 vcc, vcc, s[4:5]
	v_cndmask_b32_e32 v49, v54, v55, vcc
	v_cndmask_b32_e32 v50, v70, v52, vcc
	v_add_u32_e32 v148, 1, v49
	v_add_u32_e32 v49, -1, v50
	v_min_u32_e32 v49, v148, v49
	ds_read_u8 v150, v49
	v_cndmask_b32_e64 v50, v67, v66, s[10:11]
	v_cndmask_b32_e64 v53, v80, v71, s[16:17]
	v_cndmask_b32_e32 v67, v55, v148, vcc
	v_cndmask_b32_e64 v49, v65, v64, s[6:7]
	s_waitcnt lgkmcnt(0)
	v_cndmask_b32_e32 v71, v150, v149, vcc
	v_cndmask_b32_e32 v150, v147, v150, vcc
	;; [unrolled: 1-line block ×3, first 2 shown]
	v_cmp_lt_u32_e64 s[6:7], v67, v52
	v_cmp_le_u16_sdwa s[8:9], v150, v71 src0_sel:BYTE_0 src1_sel:BYTE_0
	v_cmp_ge_u32_e64 s[4:5], v66, v70
	s_and_b64 s[6:7], s[6:7], s[8:9]
	s_or_b64 s[4:5], s[4:5], s[6:7]
	v_cndmask_b32_e64 v54, v66, v67, s[4:5]
	v_cndmask_b32_e64 v55, v70, v52, s[4:5]
	;; [unrolled: 1-line block ×3, first 2 shown]
	v_add_u32_e32 v68, 1, v54
	v_add_u32_e32 v54, -1, v55
	v_min_u32_e32 v54, v68, v54
	ds_read_u8 v69, v54
	v_cndmask_b32_e64 v54, v82, v81, s[14:15]
	v_cndmask_b32_e64 v81, v67, v68, s[4:5]
	;; [unrolled: 1-line block ×3, first 2 shown]
	v_cmp_lt_u32_e64 s[8:9], v81, v52
	s_waitcnt lgkmcnt(0)
	v_cndmask_b32_e64 v82, v69, v71, s[4:5]
	v_cndmask_b32_e64 v148, v150, v69, s[4:5]
	v_cmp_le_u16_sdwa s[10:11], v148, v82 src0_sel:BYTE_0 src1_sel:BYTE_0
	v_cmp_ge_u32_e64 s[6:7], v80, v70
	s_and_b64 s[8:9], s[8:9], s[10:11]
	s_or_b64 s[6:7], s[6:7], s[8:9]
	v_cndmask_b32_e64 v66, v80, v81, s[6:7]
	v_cndmask_b32_e64 v67, v70, v52, s[6:7]
	v_cndmask_b32_e64 v55, v84, v83, s[18:19]
	v_add_u32_e32 v83, 1, v66
	v_add_u32_e32 v66, -1, v67
	v_min_u32_e32 v66, v83, v66
	ds_read_u8 v84, v66
	v_cndmask_b32_e64 v64, v86, v85, s[20:21]
	v_cndmask_b32_e64 v68, v102, v101, s[28:29]
	v_cndmask_b32_e64 v86, v81, v83, s[6:7]
	v_cndmask_b32_e64 v85, v83, v80, s[6:7]
	s_waitcnt lgkmcnt(0)
	v_cndmask_b32_e64 v101, v84, v82, s[6:7]
	v_cndmask_b32_e64 v102, v148, v84, s[6:7]
	v_cmp_lt_u32_e64 s[10:11], v86, v52
	v_cmp_le_u16_sdwa s[12:13], v102, v101 src0_sel:BYTE_0 src1_sel:BYTE_0
	v_cmp_ge_u32_e64 s[8:9], v85, v70
	s_and_b64 s[10:11], s[10:11], s[12:13]
	s_or_b64 s[8:9], s[8:9], s[10:11]
	v_cndmask_b32_e64 v80, v85, v86, s[8:9]
	v_cndmask_b32_e64 v81, v70, v52, s[8:9]
	v_cndmask_b32_e64 v65, v96, v87, s[24:25]
	v_add_u32_e32 v87, 1, v80
	v_add_u32_e32 v80, -1, v81
	v_min_u32_e32 v80, v87, v80
	ds_read_u8 v96, v80
	v_cndmask_b32_e64 v66, v98, v97, s[22:23]
	v_cndmask_b32_e64 v69, v112, v103, s[68:69]
	v_cndmask_b32_e64 v98, v86, v87, s[8:9]
	v_cndmask_b32_e64 v97, v87, v85, s[8:9]
	s_waitcnt lgkmcnt(0)
	v_cndmask_b32_e64 v103, v96, v101, s[8:9]
	v_cndmask_b32_e64 v112, v102, v96, s[8:9]
	v_cmp_lt_u32_e64 s[12:13], v98, v52
	;; [unrolled: 19-line block ×4, first 2 shown]
	v_cmp_le_u16_sdwa s[6:7], v82, v71 src0_sel:BYTE_0 src1_sel:BYTE_0
	v_cndmask_b32_e32 v98, v149, v147, vcc
	v_cmp_ge_u32_e32 vcc, v115, v70
	s_and_b64 s[4:5], s[4:5], s[6:7]
	s_or_b64 vcc, vcc, s[4:5]
	v_cndmask_b32_e32 v117, v115, v116, vcc
	v_cndmask_b32_e32 v118, v70, v52, vcc
	v_add_u32_e32 v117, 1, v117
	v_add_u32_e32 v118, -1, v118
	v_min_u32_e32 v118, v117, v118
	ds_read_u8 v118, v118
	v_cndmask_b32_e64 v101, v101, v102, s[8:9]
	v_cndmask_b32_e64 v102, v103, v112, s[10:11]
	;; [unrolled: 1-line block ×3, first 2 shown]
	v_cndmask_b32_e32 v112, v71, v82, vcc
	s_waitcnt lgkmcnt(0)
	v_cndmask_b32_e32 v82, v82, v118, vcc
	v_cndmask_b32_e32 v71, v118, v71, vcc
	;; [unrolled: 1-line block ×4, first 2 shown]
	v_min_u16_sdwa v115, v82, v71 dst_sel:DWORD dst_unused:UNUSED_PAD src0_sel:BYTE_0 src1_sel:BYTE_0
	v_cmp_lt_u32_e32 vcc, v114, v52
	v_cndmask_b32_e32 v52, v71, v115, vcc
	v_cmp_lt_u32_e32 vcc, v113, v70
	v_cndmask_b32_e64 v84, v128, v119, s[76:77]
	v_cndmask_b32_e64 v85, v130, v129, s[74:75]
	;; [unrolled: 1-line block ×6, first 2 shown]
	v_cndmask_b32_e32 v113, v82, v52, vcc
.LBB2853_168:                           ;   in Loop: Header=BB2853_169 Depth=1
	s_or_b64 exec, exec, s[90:91]
	v_cmp_ge_u32_e32 vcc, s40, v0
	s_or_b64 s[88:89], vcc, s[88:89]
	s_barrier
	s_andn2_b64 exec, exec, s[88:89]
	s_cbranch_execz .LBB2853_178
.LBB2853_169:                           ; =>This Loop Header: Depth=1
                                        ;     Child Loop BB2853_171 Depth 2
	v_lshlrev_b16_e32 v52, 8, v68
	v_lshlrev_b16_e32 v70, 8, v80
	v_or_b32_sdwa v52, v67, v52 dst_sel:DWORD dst_unused:UNUSED_PAD src0_sel:BYTE_0 src1_sel:DWORD
	v_or_b32_sdwa v70, v69, v70 dst_sel:WORD_1 dst_unused:UNUSED_PAD src0_sel:BYTE_0 src1_sel:DWORD
	v_or_b32_sdwa v117, v52, v70 dst_sel:DWORD dst_unused:UNUSED_PAD src0_sel:WORD_0 src1_sel:DWORD
	v_lshlrev_b16_e32 v52, 8, v64
	v_lshlrev_b16_e32 v70, 8, v66
	v_or_b32_sdwa v52, v55, v52 dst_sel:DWORD dst_unused:UNUSED_PAD src0_sel:BYTE_0 src1_sel:DWORD
	v_or_b32_sdwa v70, v65, v70 dst_sel:WORD_1 dst_unused:UNUSED_PAD src0_sel:BYTE_0 src1_sel:DWORD
	v_or_b32_sdwa v116, v52, v70 dst_sel:DWORD dst_unused:UNUSED_PAD src0_sel:WORD_0 src1_sel:DWORD
	;; [unrolled: 5-line block ×4, first 2 shown]
	v_lshlrev_b16_e32 v52, 8, v103
	v_lshlrev_b16_e32 v70, 8, v113
	v_or_b32_sdwa v52, v102, v52 dst_sel:DWORD dst_unused:UNUSED_PAD src0_sel:BYTE_0 src1_sel:DWORD
	v_or_b32_sdwa v70, v112, v70 dst_sel:WORD_1 dst_unused:UNUSED_PAD src0_sel:BYTE_0 src1_sel:DWORD
	ds_write_b128 v7, v[114:117]
	v_or_b32_sdwa v117, v52, v70 dst_sel:DWORD dst_unused:UNUSED_PAD src0_sel:WORD_0 src1_sel:DWORD
	v_lshlrev_b16_e32 v52, 8, v99
	v_lshlrev_b16_e32 v70, 8, v101
	v_or_b32_sdwa v52, v98, v52 dst_sel:DWORD dst_unused:UNUSED_PAD src0_sel:BYTE_0 src1_sel:DWORD
	v_or_b32_sdwa v70, v100, v70 dst_sel:WORD_1 dst_unused:UNUSED_PAD src0_sel:BYTE_0 src1_sel:DWORD
	v_or_b32_sdwa v116, v52, v70 dst_sel:DWORD dst_unused:UNUSED_PAD src0_sel:WORD_0 src1_sel:DWORD
	v_lshlrev_b16_e32 v52, 8, v87
	v_lshlrev_b16_e32 v70, 8, v97
	v_or_b32_sdwa v52, v86, v52 dst_sel:DWORD dst_unused:UNUSED_PAD src0_sel:BYTE_0 src1_sel:DWORD
	v_or_b32_sdwa v70, v96, v70 dst_sel:WORD_1 dst_unused:UNUSED_PAD src0_sel:BYTE_0 src1_sel:DWORD
	s_mov_b32 s4, s40
	s_lshl_b32 s40, s40, 1
	v_or_b32_sdwa v115, v52, v70 dst_sel:DWORD dst_unused:UNUSED_PAD src0_sel:WORD_0 src1_sel:DWORD
	v_lshlrev_b16_e32 v52, 8, v83
	v_lshlrev_b16_e32 v70, 8, v85
	s_sub_i32 s6, 0, s40
	v_or_b32_sdwa v52, v81, v52 dst_sel:DWORD dst_unused:UNUSED_PAD src0_sel:BYTE_0 src1_sel:DWORD
	v_or_b32_sdwa v70, v84, v70 dst_sel:WORD_1 dst_unused:UNUSED_PAD src0_sel:BYTE_0 src1_sel:DWORD
	v_and_b32_e32 v71, s6, v7
	v_or_b32_sdwa v114, v52, v70 dst_sel:DWORD dst_unused:UNUSED_PAD src0_sel:WORD_0 src1_sel:DWORD
	v_add_u32_e32 v52, s4, v71
	v_min_u32_e32 v52, v52, v0
	s_add_i32 s5, s40, -1
	v_add_u32_e32 v70, s4, v52
	v_min_u32_e32 v70, v70, v0
	v_and_b32_e32 v82, s5, v7
	ds_write_b128 v7, v[114:117] offset:16
	v_min_u32_e32 v82, v82, v0
	v_sub_u32_e32 v115, v52, v71
	v_sub_u32_e32 v114, v70, v52
	v_sub_u32_e64 v114, v82, v114 clamp
	v_min_u32_e32 v115, v82, v115
	v_cmp_lt_u32_e32 vcc, v114, v115
	s_waitcnt lgkmcnt(0)
	s_barrier
	s_and_saveexec_b64 s[4:5], vcc
	s_cbranch_execz .LBB2853_173
; %bb.170:                              ;   in Loop: Header=BB2853_169 Depth=1
	v_add_u32_e32 v116, v52, v82
	s_mov_b64 s[6:7], 0
.LBB2853_171:                           ;   Parent Loop BB2853_169 Depth=1
                                        ; =>  This Inner Loop Header: Depth=2
	v_add_u32_e32 v117, v115, v114
	v_lshrrev_b32_e32 v117, 1, v117
	v_add_u32_e32 v118, v71, v117
	v_xad_u32 v119, v117, -1, v116
	ds_read_u8 v118, v118
	ds_read_u8 v119, v119
	v_add_u32_e32 v128, 1, v117
	s_waitcnt lgkmcnt(0)
	v_cmp_gt_u16_e32 vcc, v118, v119
	v_cndmask_b32_e32 v115, v115, v117, vcc
	v_cndmask_b32_e32 v114, v128, v114, vcc
	v_cmp_ge_u32_e32 vcc, v114, v115
	s_or_b64 s[6:7], vcc, s[6:7]
	s_andn2_b64 exec, exec, s[6:7]
	s_cbranch_execnz .LBB2853_171
; %bb.172:                              ;   in Loop: Header=BB2853_169 Depth=1
	s_or_b64 exec, exec, s[6:7]
.LBB2853_173:                           ;   in Loop: Header=BB2853_169 Depth=1
	s_or_b64 exec, exec, s[4:5]
	v_sub_u32_e32 v82, v82, v114
	v_add_u32_e32 v71, v114, v71
	v_add_u32_e32 v82, v82, v52
	v_cmp_le_u32_e32 vcc, v71, v52
	v_cmp_le_u32_e64 s[4:5], v82, v70
	s_or_b64 s[4:5], vcc, s[4:5]
	s_and_saveexec_b64 s[90:91], s[4:5]
	s_cbranch_execz .LBB2853_168
; %bb.174:                              ;   in Loop: Header=BB2853_169 Depth=1
	v_cmp_lt_u32_e32 vcc, v71, v52
                                        ; implicit-def: $vgpr38
	s_and_saveexec_b64 s[4:5], vcc
	s_cbranch_execz .LBB2853_176
; %bb.175:                              ;   in Loop: Header=BB2853_169 Depth=1
	ds_read_u8 v38, v71
.LBB2853_176:                           ;   in Loop: Header=BB2853_169 Depth=1
	s_or_b64 exec, exec, s[4:5]
	v_cmp_ge_u32_e64 s[4:5], v82, v70
	v_cmp_lt_u32_e64 s[6:7], v82, v70
                                        ; implicit-def: $vgpr39
	s_and_saveexec_b64 s[8:9], s[6:7]
	s_cbranch_execz .LBB2853_167
; %bb.177:                              ;   in Loop: Header=BB2853_169 Depth=1
	ds_read_u8 v39, v82
	s_branch .LBB2853_167
.LBB2853_178:
	s_or_b64 exec, exec, s[88:89]
.LBB2853_179:
	s_or_b64 exec, exec, s[86:87]
	v_lshlrev_b16_e32 v0, 8, v51
	v_lshlrev_b16_e32 v7, 8, v54
	v_or_b32_sdwa v0, v50, v0 dst_sel:DWORD dst_unused:UNUSED_PAD src0_sel:BYTE_0 src1_sel:DWORD
	v_or_b32_sdwa v7, v53, v7 dst_sel:WORD_1 dst_unused:UNUSED_PAD src0_sel:BYTE_0 src1_sel:DWORD
	v_or_b32_sdwa v0, v0, v7 dst_sel:DWORD dst_unused:UNUSED_PAD src0_sel:WORD_0 src1_sel:DWORD
	v_lshlrev_b16_e32 v7, 8, v39
	v_or_b32_sdwa v7, v38, v7 dst_sel:DWORD dst_unused:UNUSED_PAD src0_sel:BYTE_0 src1_sel:DWORD
	v_lshlrev_b16_e32 v38, 8, v49
	v_or_b32_sdwa v38, v48, v38 dst_sel:WORD_1 dst_unused:UNUSED_PAD src0_sel:BYTE_0 src1_sel:DWORD
	v_or_b32_sdwa v7, v7, v38 dst_sel:DWORD dst_unused:UNUSED_PAD src0_sel:WORD_0 src1_sel:DWORD
	s_barrier
	ds_write2_b32 v37, v7, v0 offset1:1
	v_lshlrev_b16_e32 v0, 8, v68
	v_lshlrev_b16_e32 v7, 8, v80
	v_or_b32_sdwa v0, v67, v0 dst_sel:DWORD dst_unused:UNUSED_PAD src0_sel:BYTE_0 src1_sel:DWORD
	v_or_b32_sdwa v7, v69, v7 dst_sel:WORD_1 dst_unused:UNUSED_PAD src0_sel:BYTE_0 src1_sel:DWORD
	v_or_b32_sdwa v0, v0, v7 dst_sel:DWORD dst_unused:UNUSED_PAD src0_sel:WORD_0 src1_sel:DWORD
	v_lshlrev_b16_e32 v7, 8, v64
	v_lshlrev_b16_e32 v38, 8, v66
	v_or_b32_sdwa v7, v55, v7 dst_sel:DWORD dst_unused:UNUSED_PAD src0_sel:BYTE_0 src1_sel:DWORD
	v_or_b32_sdwa v38, v65, v38 dst_sel:WORD_1 dst_unused:UNUSED_PAD src0_sel:BYTE_0 src1_sel:DWORD
	v_or_b32_sdwa v7, v7, v38 dst_sel:DWORD dst_unused:UNUSED_PAD src0_sel:WORD_0 src1_sel:DWORD
	ds_write2_b32 v37, v7, v0 offset0:2 offset1:3
	v_lshlrev_b16_e32 v0, 8, v87
	v_lshlrev_b16_e32 v7, 8, v97
	v_or_b32_sdwa v0, v86, v0 dst_sel:DWORD dst_unused:UNUSED_PAD src0_sel:BYTE_0 src1_sel:DWORD
	v_or_b32_sdwa v7, v96, v7 dst_sel:WORD_1 dst_unused:UNUSED_PAD src0_sel:BYTE_0 src1_sel:DWORD
	v_or_b32_sdwa v0, v0, v7 dst_sel:DWORD dst_unused:UNUSED_PAD src0_sel:WORD_0 src1_sel:DWORD
	v_lshlrev_b16_e32 v7, 8, v83
	v_lshlrev_b16_e32 v38, 8, v85
	v_or_b32_sdwa v7, v81, v7 dst_sel:DWORD dst_unused:UNUSED_PAD src0_sel:BYTE_0 src1_sel:DWORD
	v_or_b32_sdwa v38, v84, v38 dst_sel:WORD_1 dst_unused:UNUSED_PAD src0_sel:BYTE_0 src1_sel:DWORD
	v_or_b32_sdwa v7, v7, v38 dst_sel:DWORD dst_unused:UNUSED_PAD src0_sel:WORD_0 src1_sel:DWORD
	ds_write2_b32 v37, v7, v0 offset0:4 offset1:5
	;; [unrolled: 11-line block ×3, first 2 shown]
	s_waitcnt lgkmcnt(0)
	s_barrier
	ds_read_u8 v68, v1 offset:256
	ds_read_u8 v67, v3 offset:512
	;; [unrolled: 1-line block ×31, first 2 shown]
	v_add_co_u32_e32 v0, vcc, v4, v6
	v_mov_b32_e32 v9, 0
	v_addc_co_u32_e32 v1, vcc, 0, v5, vcc
	s_mov_b64 s[4:5], exec
	v_readlane_b32 s6, v42, 0
	v_readlane_b32 s7, v42, 1
	s_and_b64 s[6:7], s[4:5], s[6:7]
	s_mov_b64 exec, s[6:7]
	s_cbranch_execz .LBB2853_181
; %bb.180:
	ds_read_u8 v2, v2
	s_waitcnt lgkmcnt(0)
	flat_store_byte v[0:1], v2
.LBB2853_181:
	s_or_b64 exec, exec, s[4:5]
	s_mov_b64 s[4:5], exec
	v_readlane_b32 s6, v42, 2
	v_readlane_b32 s7, v42, 3
	s_and_b64 s[6:7], s[4:5], s[6:7]
	s_mov_b64 exec, s[6:7]
	s_cbranch_execz .LBB2853_183
; %bb.182:
	s_waitcnt lgkmcnt(0)
	flat_store_byte v[0:1], v68 offset:256
.LBB2853_183:
	s_or_b64 exec, exec, s[4:5]
	s_mov_b64 s[4:5], exec
	v_readlane_b32 s6, v42, 4
	v_readlane_b32 s7, v42, 5
	s_and_b64 s[6:7], s[4:5], s[6:7]
	s_mov_b64 exec, s[6:7]
	s_cbranch_execz .LBB2853_185
; %bb.184:
	s_waitcnt lgkmcnt(0)
	flat_store_byte v[0:1], v67 offset:512
.LBB2853_185:
	;; [unrolled: 11-line block ×15, first 2 shown]
	s_or_b64 exec, exec, s[4:5]
	s_mov_b64 s[4:5], exec
	v_readlane_b32 s6, v42, 32
	v_readlane_b32 s7, v42, 33
	s_and_b64 s[6:7], s[4:5], s[6:7]
	s_mov_b64 exec, s[6:7]
	s_cbranch_execz .LBB2853_213
; %bb.212:
	v_add_co_u32_e32 v22, vcc, 0x1000, v0
	v_addc_co_u32_e32 v23, vcc, 0, v1, vcc
	s_waitcnt lgkmcnt(0)
	flat_store_byte v[22:23], v37
.LBB2853_213:
	s_or_b64 exec, exec, s[4:5]
	s_mov_b64 s[4:5], exec
	v_readlane_b32 s6, v42, 34
	v_readlane_b32 s7, v42, 35
	s_and_b64 s[6:7], s[4:5], s[6:7]
	s_mov_b64 exec, s[6:7]
	s_cbranch_execz .LBB2853_215
; %bb.214:
	v_add_co_u32_e32 v22, vcc, 0x1000, v0
	v_addc_co_u32_e32 v23, vcc, 0, v1, vcc
	s_waitcnt lgkmcnt(0)
	flat_store_byte v[22:23], v21 offset:256
.LBB2853_215:
	s_or_b64 exec, exec, s[4:5]
	s_mov_b64 s[4:5], exec
	v_readlane_b32 s6, v42, 36
	v_readlane_b32 s7, v42, 37
	s_and_b64 s[6:7], s[4:5], s[6:7]
	s_mov_b64 exec, s[6:7]
	s_cbranch_execnz .LBB2853_230
; %bb.216:
	s_or_b64 exec, exec, s[4:5]
	s_and_saveexec_b64 s[4:5], s[42:43]
	s_cbranch_execnz .LBB2853_231
.LBB2853_217:
	s_or_b64 exec, exec, s[4:5]
	s_and_saveexec_b64 s[4:5], s[44:45]
	s_cbranch_execnz .LBB2853_232
.LBB2853_218:
	s_or_b64 exec, exec, s[4:5]
	s_and_saveexec_b64 s[4:5], s[46:47]
	s_cbranch_execnz .LBB2853_233
.LBB2853_219:
	s_or_b64 exec, exec, s[4:5]
	s_and_saveexec_b64 s[4:5], s[48:49]
	s_cbranch_execnz .LBB2853_234
.LBB2853_220:
	s_or_b64 exec, exec, s[4:5]
	s_and_saveexec_b64 s[4:5], s[50:51]
	s_cbranch_execnz .LBB2853_235
.LBB2853_221:
	s_or_b64 exec, exec, s[4:5]
	s_and_saveexec_b64 s[4:5], s[52:53]
	s_cbranch_execnz .LBB2853_236
.LBB2853_222:
	s_or_b64 exec, exec, s[4:5]
	s_and_saveexec_b64 s[4:5], s[54:55]
	s_cbranch_execnz .LBB2853_237
.LBB2853_223:
	s_or_b64 exec, exec, s[4:5]
	s_and_saveexec_b64 s[4:5], s[56:57]
	s_cbranch_execnz .LBB2853_238
.LBB2853_224:
	s_or_b64 exec, exec, s[4:5]
	s_and_saveexec_b64 s[4:5], s[58:59]
	s_cbranch_execnz .LBB2853_239
.LBB2853_225:
	s_or_b64 exec, exec, s[4:5]
	s_and_saveexec_b64 s[4:5], s[60:61]
	s_cbranch_execnz .LBB2853_240
.LBB2853_226:
	s_or_b64 exec, exec, s[4:5]
	s_and_saveexec_b64 s[4:5], s[62:63]
	s_cbranch_execnz .LBB2853_241
.LBB2853_227:
	s_or_b64 exec, exec, s[4:5]
	s_and_saveexec_b64 s[4:5], s[64:65]
	s_cbranch_execz .LBB2853_229
.LBB2853_228:
	v_add_co_u32_e32 v0, vcc, 0x1000, v0
	v_addc_co_u32_e32 v1, vcc, 0, v1, vcc
	s_waitcnt lgkmcnt(0)
	flat_store_byte v[0:1], v3 offset:3584
.LBB2853_229:
	s_or_b64 exec, exec, s[4:5]
	s_andn2_b64 s[4:5], s[36:37], exec
	s_and_b64 s[6:7], s[66:67], exec
	s_or_b64 s[36:37], s[4:5], s[6:7]
	s_or_b64 exec, exec, s[38:39]
	s_and_saveexec_b64 s[4:5], s[36:37]
	s_cbranch_execnz .LBB2853_3
	s_branch .LBB2853_4
.LBB2853_230:
	v_add_co_u32_e32 v22, vcc, 0x1000, v0
	v_addc_co_u32_e32 v23, vcc, 0, v1, vcc
	s_waitcnt lgkmcnt(0)
	flat_store_byte v[22:23], v20 offset:512
	s_or_b64 exec, exec, s[4:5]
	s_and_saveexec_b64 s[4:5], s[42:43]
	s_cbranch_execz .LBB2853_217
.LBB2853_231:
	s_waitcnt lgkmcnt(0)
	v_add_co_u32_e32 v20, vcc, 0x1000, v0
	v_addc_co_u32_e32 v21, vcc, 0, v1, vcc
	flat_store_byte v[20:21], v19 offset:768
	s_or_b64 exec, exec, s[4:5]
	s_and_saveexec_b64 s[4:5], s[44:45]
	s_cbranch_execz .LBB2853_218
.LBB2853_232:
	s_waitcnt lgkmcnt(0)
	v_add_co_u32_e32 v20, vcc, 0x1000, v0
	v_addc_co_u32_e32 v21, vcc, 0, v1, vcc
	flat_store_byte v[20:21], v18 offset:1024
	s_or_b64 exec, exec, s[4:5]
	s_and_saveexec_b64 s[4:5], s[46:47]
	s_cbranch_execz .LBB2853_219
.LBB2853_233:
	s_waitcnt lgkmcnt(0)
	v_add_co_u32_e32 v18, vcc, 0x1000, v0
	v_addc_co_u32_e32 v19, vcc, 0, v1, vcc
	flat_store_byte v[18:19], v17 offset:1280
	s_or_b64 exec, exec, s[4:5]
	s_and_saveexec_b64 s[4:5], s[48:49]
	s_cbranch_execz .LBB2853_220
.LBB2853_234:
	s_waitcnt lgkmcnt(0)
	v_add_co_u32_e32 v18, vcc, 0x1000, v0
	v_addc_co_u32_e32 v19, vcc, 0, v1, vcc
	flat_store_byte v[18:19], v16 offset:1536
	s_or_b64 exec, exec, s[4:5]
	s_and_saveexec_b64 s[4:5], s[50:51]
	s_cbranch_execz .LBB2853_221
.LBB2853_235:
	s_waitcnt lgkmcnt(0)
	v_add_co_u32_e32 v16, vcc, 0x1000, v0
	v_addc_co_u32_e32 v17, vcc, 0, v1, vcc
	flat_store_byte v[16:17], v15 offset:1792
	s_or_b64 exec, exec, s[4:5]
	s_and_saveexec_b64 s[4:5], s[52:53]
	s_cbranch_execz .LBB2853_222
.LBB2853_236:
	s_waitcnt lgkmcnt(0)
	v_add_co_u32_e32 v16, vcc, 0x1000, v0
	v_addc_co_u32_e32 v17, vcc, 0, v1, vcc
	flat_store_byte v[16:17], v14 offset:2048
	s_or_b64 exec, exec, s[4:5]
	s_and_saveexec_b64 s[4:5], s[54:55]
	s_cbranch_execz .LBB2853_223
.LBB2853_237:
	s_waitcnt lgkmcnt(0)
	v_add_co_u32_e32 v14, vcc, 0x1000, v0
	v_addc_co_u32_e32 v15, vcc, 0, v1, vcc
	flat_store_byte v[14:15], v13 offset:2304
	s_or_b64 exec, exec, s[4:5]
	s_and_saveexec_b64 s[4:5], s[56:57]
	s_cbranch_execz .LBB2853_224
.LBB2853_238:
	s_waitcnt lgkmcnt(0)
	v_add_co_u32_e32 v14, vcc, 0x1000, v0
	v_addc_co_u32_e32 v15, vcc, 0, v1, vcc
	flat_store_byte v[14:15], v12 offset:2560
	s_or_b64 exec, exec, s[4:5]
	s_and_saveexec_b64 s[4:5], s[58:59]
	s_cbranch_execz .LBB2853_225
.LBB2853_239:
	s_waitcnt lgkmcnt(0)
	v_add_co_u32_e32 v12, vcc, 0x1000, v0
	v_addc_co_u32_e32 v13, vcc, 0, v1, vcc
	flat_store_byte v[12:13], v11 offset:2816
	s_or_b64 exec, exec, s[4:5]
	s_and_saveexec_b64 s[4:5], s[60:61]
	s_cbranch_execz .LBB2853_226
.LBB2853_240:
	s_waitcnt lgkmcnt(0)
	v_add_co_u32_e32 v12, vcc, 0x1000, v0
	v_addc_co_u32_e32 v13, vcc, 0, v1, vcc
	flat_store_byte v[12:13], v8 offset:3072
	s_or_b64 exec, exec, s[4:5]
	s_and_saveexec_b64 s[4:5], s[62:63]
	s_cbranch_execz .LBB2853_227
.LBB2853_241:
	s_waitcnt lgkmcnt(0)
	v_add_co_u32_e32 v12, vcc, 0x1000, v0
	v_addc_co_u32_e32 v13, vcc, 0, v1, vcc
	flat_store_byte v[12:13], v7 offset:3328
	s_or_b64 exec, exec, s[4:5]
	s_and_saveexec_b64 s[4:5], s[64:65]
	s_cbranch_execnz .LBB2853_228
	s_branch .LBB2853_229
.Lfunc_end2853:
	.size	_ZN7rocprim17ROCPRIM_400000_NS6detail15block_sort_implIhNS0_10empty_typeELj256ELj32ELNS0_4arch9wavefront6targetE1EvE4sortIN6thrust23THRUST_200600_302600_NS6detail15normal_iteratorINSA_10device_ptrIhEEEESF_PS3_SG_14custom_greaterIhEEEvjbT_T0_T1_T2_T3_RNS7_12storage_typeE, .Lfunc_end2853-_ZN7rocprim17ROCPRIM_400000_NS6detail15block_sort_implIhNS0_10empty_typeELj256ELj32ELNS0_4arch9wavefront6targetE1EvE4sortIN6thrust23THRUST_200600_302600_NS6detail15normal_iteratorINSA_10device_ptrIhEEEESF_PS3_SG_14custom_greaterIhEEEvjbT_T0_T1_T2_T3_RNS7_12storage_typeE
                                        ; -- End function
	.section	.AMDGPU.csdata,"",@progbits
; Function info:
; codeLenInByte = 58556
; NumSgprs: 104
; NumVgprs: 152
; NumAgprs: 0
; TotalNumVgprs: 152
; ScratchSize: 16
; MemoryBound: 0
	.section	.text._ZN7rocprim17ROCPRIM_400000_NS6detail17trampoline_kernelINS0_14default_configENS1_37merge_sort_block_sort_config_selectorIhNS0_10empty_typeEEEZNS1_21merge_sort_block_sortIS3_N6thrust23THRUST_200600_302600_NS6detail15normal_iteratorINS9_10device_ptrIhEEEESE_PS5_SF_14custom_greaterIhEEE10hipError_tT0_T1_T2_T3_mRjT4_P12ihipStream_tbNS1_7vsmem_tEEUlT_E_NS1_11comp_targetILNS1_3genE4ELNS1_11target_archE910ELNS1_3gpuE8ELNS1_3repE0EEENS1_30default_config_static_selectorELNS0_4arch9wavefront6targetE1EEEvSK_,"axG",@progbits,_ZN7rocprim17ROCPRIM_400000_NS6detail17trampoline_kernelINS0_14default_configENS1_37merge_sort_block_sort_config_selectorIhNS0_10empty_typeEEEZNS1_21merge_sort_block_sortIS3_N6thrust23THRUST_200600_302600_NS6detail15normal_iteratorINS9_10device_ptrIhEEEESE_PS5_SF_14custom_greaterIhEEE10hipError_tT0_T1_T2_T3_mRjT4_P12ihipStream_tbNS1_7vsmem_tEEUlT_E_NS1_11comp_targetILNS1_3genE4ELNS1_11target_archE910ELNS1_3gpuE8ELNS1_3repE0EEENS1_30default_config_static_selectorELNS0_4arch9wavefront6targetE1EEEvSK_,comdat
	.protected	_ZN7rocprim17ROCPRIM_400000_NS6detail17trampoline_kernelINS0_14default_configENS1_37merge_sort_block_sort_config_selectorIhNS0_10empty_typeEEEZNS1_21merge_sort_block_sortIS3_N6thrust23THRUST_200600_302600_NS6detail15normal_iteratorINS9_10device_ptrIhEEEESE_PS5_SF_14custom_greaterIhEEE10hipError_tT0_T1_T2_T3_mRjT4_P12ihipStream_tbNS1_7vsmem_tEEUlT_E_NS1_11comp_targetILNS1_3genE4ELNS1_11target_archE910ELNS1_3gpuE8ELNS1_3repE0EEENS1_30default_config_static_selectorELNS0_4arch9wavefront6targetE1EEEvSK_ ; -- Begin function _ZN7rocprim17ROCPRIM_400000_NS6detail17trampoline_kernelINS0_14default_configENS1_37merge_sort_block_sort_config_selectorIhNS0_10empty_typeEEEZNS1_21merge_sort_block_sortIS3_N6thrust23THRUST_200600_302600_NS6detail15normal_iteratorINS9_10device_ptrIhEEEESE_PS5_SF_14custom_greaterIhEEE10hipError_tT0_T1_T2_T3_mRjT4_P12ihipStream_tbNS1_7vsmem_tEEUlT_E_NS1_11comp_targetILNS1_3genE4ELNS1_11target_archE910ELNS1_3gpuE8ELNS1_3repE0EEENS1_30default_config_static_selectorELNS0_4arch9wavefront6targetE1EEEvSK_
	.globl	_ZN7rocprim17ROCPRIM_400000_NS6detail17trampoline_kernelINS0_14default_configENS1_37merge_sort_block_sort_config_selectorIhNS0_10empty_typeEEEZNS1_21merge_sort_block_sortIS3_N6thrust23THRUST_200600_302600_NS6detail15normal_iteratorINS9_10device_ptrIhEEEESE_PS5_SF_14custom_greaterIhEEE10hipError_tT0_T1_T2_T3_mRjT4_P12ihipStream_tbNS1_7vsmem_tEEUlT_E_NS1_11comp_targetILNS1_3genE4ELNS1_11target_archE910ELNS1_3gpuE8ELNS1_3repE0EEENS1_30default_config_static_selectorELNS0_4arch9wavefront6targetE1EEEvSK_
	.p2align	8
	.type	_ZN7rocprim17ROCPRIM_400000_NS6detail17trampoline_kernelINS0_14default_configENS1_37merge_sort_block_sort_config_selectorIhNS0_10empty_typeEEEZNS1_21merge_sort_block_sortIS3_N6thrust23THRUST_200600_302600_NS6detail15normal_iteratorINS9_10device_ptrIhEEEESE_PS5_SF_14custom_greaterIhEEE10hipError_tT0_T1_T2_T3_mRjT4_P12ihipStream_tbNS1_7vsmem_tEEUlT_E_NS1_11comp_targetILNS1_3genE4ELNS1_11target_archE910ELNS1_3gpuE8ELNS1_3repE0EEENS1_30default_config_static_selectorELNS0_4arch9wavefront6targetE1EEEvSK_,@function
_ZN7rocprim17ROCPRIM_400000_NS6detail17trampoline_kernelINS0_14default_configENS1_37merge_sort_block_sort_config_selectorIhNS0_10empty_typeEEEZNS1_21merge_sort_block_sortIS3_N6thrust23THRUST_200600_302600_NS6detail15normal_iteratorINS9_10device_ptrIhEEEESE_PS5_SF_14custom_greaterIhEEE10hipError_tT0_T1_T2_T3_mRjT4_P12ihipStream_tbNS1_7vsmem_tEEUlT_E_NS1_11comp_targetILNS1_3genE4ELNS1_11target_archE910ELNS1_3gpuE8ELNS1_3repE0EEENS1_30default_config_static_selectorELNS0_4arch9wavefront6targetE1EEEvSK_: ; @_ZN7rocprim17ROCPRIM_400000_NS6detail17trampoline_kernelINS0_14default_configENS1_37merge_sort_block_sort_config_selectorIhNS0_10empty_typeEEEZNS1_21merge_sort_block_sortIS3_N6thrust23THRUST_200600_302600_NS6detail15normal_iteratorINS9_10device_ptrIhEEEESE_PS5_SF_14custom_greaterIhEEE10hipError_tT0_T1_T2_T3_mRjT4_P12ihipStream_tbNS1_7vsmem_tEEUlT_E_NS1_11comp_targetILNS1_3genE4ELNS1_11target_archE910ELNS1_3gpuE8ELNS1_3repE0EEENS1_30default_config_static_selectorELNS0_4arch9wavefront6targetE1EEEvSK_
; %bb.0:
	s_add_u32 flat_scratch_lo, s6, s11
	s_addc_u32 flat_scratch_hi, s7, 0
	s_mov_b32 s12, s8
	s_load_dwordx2 s[6:7], s[4:5], 0x40
	s_load_dword s8, s[4:5], 0x0
	s_add_u32 s0, s0, s11
	s_addc_u32 s1, s1, 0
	s_mov_b32 s32, 0
	s_waitcnt lgkmcnt(0)
	s_mul_i32 s7, s7, s10
	s_add_i32 s7, s7, s9
	s_mul_i32 s6, s7, s6
	s_add_i32 s6, s6, s12
	s_cmp_ge_u32 s6, s8
	s_cbranch_scc1 .LBB2854_2
; %bb.1:
	s_mov_b32 s13, s9
	s_load_dwordx4 s[8:11], s[4:5], 0x18
	s_load_dwordx2 s[14:15], s[4:5], 0x8
	s_mov_b32 s7, 0
	s_lshl_b64 s[16:17], s[6:7], 13
	v_mov_b32_e32 v31, v0
	s_waitcnt lgkmcnt(0)
	s_add_u32 s10, s10, s16
	s_addc_u32 s11, s11, s17
	s_add_u32 s18, s8, s16
	s_addc_u32 s17, s9, s17
	s_lshr_b64 s[8:9], s[14:15], 13
	s_cmp_eq_u64 s[8:9], s[6:7]
	s_cselect_b64 s[6:7], -1, 0
	s_sub_i32 s14, s14, s16
	s_add_u32 s8, s4, 64
	v_cndmask_b32_e64 v1, 0, 1, s[6:7]
	s_addc_u32 s9, s5, 0
	v_mov_b32_e32 v0, s14
	v_mov_b32_e32 v2, s18
	;; [unrolled: 1-line block ×5, first 2 shown]
	s_getpc_b64 s[4:5]
	s_add_u32 s4, s4, _ZN7rocprim17ROCPRIM_400000_NS6detail15block_sort_implIhNS0_10empty_typeELj256ELj32ELNS0_4arch9wavefront6targetE1EvE4sortIN6thrust23THRUST_200600_302600_NS6detail15normal_iteratorINSA_10device_ptrIhEEEESF_PS3_SG_14custom_greaterIhEEEvjbT_T0_T1_T2_T3_RNS7_12storage_typeE@rel32@lo+4
	s_addc_u32 s5, s5, _ZN7rocprim17ROCPRIM_400000_NS6detail15block_sort_implIhNS0_10empty_typeELj256ELj32ELNS0_4arch9wavefront6targetE1EvE4sortIN6thrust23THRUST_200600_302600_NS6detail15normal_iteratorINSA_10device_ptrIhEEEESF_PS3_SG_14custom_greaterIhEEEvjbT_T0_T1_T2_T3_RNS7_12storage_typeE@rel32@hi+12
	s_swappc_b64 s[30:31], s[4:5]
.LBB2854_2:
	s_endpgm
	.section	.rodata,"a",@progbits
	.p2align	6, 0x0
	.amdhsa_kernel _ZN7rocprim17ROCPRIM_400000_NS6detail17trampoline_kernelINS0_14default_configENS1_37merge_sort_block_sort_config_selectorIhNS0_10empty_typeEEEZNS1_21merge_sort_block_sortIS3_N6thrust23THRUST_200600_302600_NS6detail15normal_iteratorINS9_10device_ptrIhEEEESE_PS5_SF_14custom_greaterIhEEE10hipError_tT0_T1_T2_T3_mRjT4_P12ihipStream_tbNS1_7vsmem_tEEUlT_E_NS1_11comp_targetILNS1_3genE4ELNS1_11target_archE910ELNS1_3gpuE8ELNS1_3repE0EEENS1_30default_config_static_selectorELNS0_4arch9wavefront6targetE1EEEvSK_
		.amdhsa_group_segment_fixed_size 8448
		.amdhsa_private_segment_fixed_size 16
		.amdhsa_kernarg_size 320
		.amdhsa_user_sgpr_count 8
		.amdhsa_user_sgpr_private_segment_buffer 1
		.amdhsa_user_sgpr_dispatch_ptr 0
		.amdhsa_user_sgpr_queue_ptr 0
		.amdhsa_user_sgpr_kernarg_segment_ptr 1
		.amdhsa_user_sgpr_dispatch_id 0
		.amdhsa_user_sgpr_flat_scratch_init 1
		.amdhsa_user_sgpr_kernarg_preload_length 0
		.amdhsa_user_sgpr_kernarg_preload_offset 0
		.amdhsa_user_sgpr_private_segment_size 0
		.amdhsa_uses_dynamic_stack 0
		.amdhsa_system_sgpr_private_segment_wavefront_offset 1
		.amdhsa_system_sgpr_workgroup_id_x 1
		.amdhsa_system_sgpr_workgroup_id_y 1
		.amdhsa_system_sgpr_workgroup_id_z 1
		.amdhsa_system_sgpr_workgroup_info 0
		.amdhsa_system_vgpr_workitem_id 2
		.amdhsa_next_free_vgpr 152
		.amdhsa_next_free_sgpr 100
		.amdhsa_accum_offset 152
		.amdhsa_reserve_vcc 1
		.amdhsa_reserve_flat_scratch 1
		.amdhsa_float_round_mode_32 0
		.amdhsa_float_round_mode_16_64 0
		.amdhsa_float_denorm_mode_32 3
		.amdhsa_float_denorm_mode_16_64 3
		.amdhsa_dx10_clamp 1
		.amdhsa_ieee_mode 1
		.amdhsa_fp16_overflow 0
		.amdhsa_tg_split 0
		.amdhsa_exception_fp_ieee_invalid_op 0
		.amdhsa_exception_fp_denorm_src 0
		.amdhsa_exception_fp_ieee_div_zero 0
		.amdhsa_exception_fp_ieee_overflow 0
		.amdhsa_exception_fp_ieee_underflow 0
		.amdhsa_exception_fp_ieee_inexact 0
		.amdhsa_exception_int_div_zero 0
	.end_amdhsa_kernel
	.section	.text._ZN7rocprim17ROCPRIM_400000_NS6detail17trampoline_kernelINS0_14default_configENS1_37merge_sort_block_sort_config_selectorIhNS0_10empty_typeEEEZNS1_21merge_sort_block_sortIS3_N6thrust23THRUST_200600_302600_NS6detail15normal_iteratorINS9_10device_ptrIhEEEESE_PS5_SF_14custom_greaterIhEEE10hipError_tT0_T1_T2_T3_mRjT4_P12ihipStream_tbNS1_7vsmem_tEEUlT_E_NS1_11comp_targetILNS1_3genE4ELNS1_11target_archE910ELNS1_3gpuE8ELNS1_3repE0EEENS1_30default_config_static_selectorELNS0_4arch9wavefront6targetE1EEEvSK_,"axG",@progbits,_ZN7rocprim17ROCPRIM_400000_NS6detail17trampoline_kernelINS0_14default_configENS1_37merge_sort_block_sort_config_selectorIhNS0_10empty_typeEEEZNS1_21merge_sort_block_sortIS3_N6thrust23THRUST_200600_302600_NS6detail15normal_iteratorINS9_10device_ptrIhEEEESE_PS5_SF_14custom_greaterIhEEE10hipError_tT0_T1_T2_T3_mRjT4_P12ihipStream_tbNS1_7vsmem_tEEUlT_E_NS1_11comp_targetILNS1_3genE4ELNS1_11target_archE910ELNS1_3gpuE8ELNS1_3repE0EEENS1_30default_config_static_selectorELNS0_4arch9wavefront6targetE1EEEvSK_,comdat
.Lfunc_end2854:
	.size	_ZN7rocprim17ROCPRIM_400000_NS6detail17trampoline_kernelINS0_14default_configENS1_37merge_sort_block_sort_config_selectorIhNS0_10empty_typeEEEZNS1_21merge_sort_block_sortIS3_N6thrust23THRUST_200600_302600_NS6detail15normal_iteratorINS9_10device_ptrIhEEEESE_PS5_SF_14custom_greaterIhEEE10hipError_tT0_T1_T2_T3_mRjT4_P12ihipStream_tbNS1_7vsmem_tEEUlT_E_NS1_11comp_targetILNS1_3genE4ELNS1_11target_archE910ELNS1_3gpuE8ELNS1_3repE0EEENS1_30default_config_static_selectorELNS0_4arch9wavefront6targetE1EEEvSK_, .Lfunc_end2854-_ZN7rocprim17ROCPRIM_400000_NS6detail17trampoline_kernelINS0_14default_configENS1_37merge_sort_block_sort_config_selectorIhNS0_10empty_typeEEEZNS1_21merge_sort_block_sortIS3_N6thrust23THRUST_200600_302600_NS6detail15normal_iteratorINS9_10device_ptrIhEEEESE_PS5_SF_14custom_greaterIhEEE10hipError_tT0_T1_T2_T3_mRjT4_P12ihipStream_tbNS1_7vsmem_tEEUlT_E_NS1_11comp_targetILNS1_3genE4ELNS1_11target_archE910ELNS1_3gpuE8ELNS1_3repE0EEENS1_30default_config_static_selectorELNS0_4arch9wavefront6targetE1EEEvSK_
                                        ; -- End function
	.section	.AMDGPU.csdata,"",@progbits
; Kernel info:
; codeLenInByte = 200
; NumSgprs: 106
; NumVgprs: 152
; NumAgprs: 0
; TotalNumVgprs: 152
; ScratchSize: 16
; MemoryBound: 0
; FloatMode: 240
; IeeeMode: 1
; LDSByteSize: 8448 bytes/workgroup (compile time only)
; SGPRBlocks: 13
; VGPRBlocks: 18
; NumSGPRsForWavesPerEU: 106
; NumVGPRsForWavesPerEU: 152
; AccumOffset: 152
; Occupancy: 3
; WaveLimiterHint : 1
; COMPUTE_PGM_RSRC2:SCRATCH_EN: 1
; COMPUTE_PGM_RSRC2:USER_SGPR: 8
; COMPUTE_PGM_RSRC2:TRAP_HANDLER: 0
; COMPUTE_PGM_RSRC2:TGID_X_EN: 1
; COMPUTE_PGM_RSRC2:TGID_Y_EN: 1
; COMPUTE_PGM_RSRC2:TGID_Z_EN: 1
; COMPUTE_PGM_RSRC2:TIDIG_COMP_CNT: 2
; COMPUTE_PGM_RSRC3_GFX90A:ACCUM_OFFSET: 37
; COMPUTE_PGM_RSRC3_GFX90A:TG_SPLIT: 0
	.section	.text._ZN7rocprim17ROCPRIM_400000_NS6detail17trampoline_kernelINS0_14default_configENS1_37merge_sort_block_sort_config_selectorIhNS0_10empty_typeEEEZNS1_21merge_sort_block_sortIS3_N6thrust23THRUST_200600_302600_NS6detail15normal_iteratorINS9_10device_ptrIhEEEESE_PS5_SF_14custom_greaterIhEEE10hipError_tT0_T1_T2_T3_mRjT4_P12ihipStream_tbNS1_7vsmem_tEEUlT_E_NS1_11comp_targetILNS1_3genE3ELNS1_11target_archE908ELNS1_3gpuE7ELNS1_3repE0EEENS1_30default_config_static_selectorELNS0_4arch9wavefront6targetE1EEEvSK_,"axG",@progbits,_ZN7rocprim17ROCPRIM_400000_NS6detail17trampoline_kernelINS0_14default_configENS1_37merge_sort_block_sort_config_selectorIhNS0_10empty_typeEEEZNS1_21merge_sort_block_sortIS3_N6thrust23THRUST_200600_302600_NS6detail15normal_iteratorINS9_10device_ptrIhEEEESE_PS5_SF_14custom_greaterIhEEE10hipError_tT0_T1_T2_T3_mRjT4_P12ihipStream_tbNS1_7vsmem_tEEUlT_E_NS1_11comp_targetILNS1_3genE3ELNS1_11target_archE908ELNS1_3gpuE7ELNS1_3repE0EEENS1_30default_config_static_selectorELNS0_4arch9wavefront6targetE1EEEvSK_,comdat
	.protected	_ZN7rocprim17ROCPRIM_400000_NS6detail17trampoline_kernelINS0_14default_configENS1_37merge_sort_block_sort_config_selectorIhNS0_10empty_typeEEEZNS1_21merge_sort_block_sortIS3_N6thrust23THRUST_200600_302600_NS6detail15normal_iteratorINS9_10device_ptrIhEEEESE_PS5_SF_14custom_greaterIhEEE10hipError_tT0_T1_T2_T3_mRjT4_P12ihipStream_tbNS1_7vsmem_tEEUlT_E_NS1_11comp_targetILNS1_3genE3ELNS1_11target_archE908ELNS1_3gpuE7ELNS1_3repE0EEENS1_30default_config_static_selectorELNS0_4arch9wavefront6targetE1EEEvSK_ ; -- Begin function _ZN7rocprim17ROCPRIM_400000_NS6detail17trampoline_kernelINS0_14default_configENS1_37merge_sort_block_sort_config_selectorIhNS0_10empty_typeEEEZNS1_21merge_sort_block_sortIS3_N6thrust23THRUST_200600_302600_NS6detail15normal_iteratorINS9_10device_ptrIhEEEESE_PS5_SF_14custom_greaterIhEEE10hipError_tT0_T1_T2_T3_mRjT4_P12ihipStream_tbNS1_7vsmem_tEEUlT_E_NS1_11comp_targetILNS1_3genE3ELNS1_11target_archE908ELNS1_3gpuE7ELNS1_3repE0EEENS1_30default_config_static_selectorELNS0_4arch9wavefront6targetE1EEEvSK_
	.globl	_ZN7rocprim17ROCPRIM_400000_NS6detail17trampoline_kernelINS0_14default_configENS1_37merge_sort_block_sort_config_selectorIhNS0_10empty_typeEEEZNS1_21merge_sort_block_sortIS3_N6thrust23THRUST_200600_302600_NS6detail15normal_iteratorINS9_10device_ptrIhEEEESE_PS5_SF_14custom_greaterIhEEE10hipError_tT0_T1_T2_T3_mRjT4_P12ihipStream_tbNS1_7vsmem_tEEUlT_E_NS1_11comp_targetILNS1_3genE3ELNS1_11target_archE908ELNS1_3gpuE7ELNS1_3repE0EEENS1_30default_config_static_selectorELNS0_4arch9wavefront6targetE1EEEvSK_
	.p2align	8
	.type	_ZN7rocprim17ROCPRIM_400000_NS6detail17trampoline_kernelINS0_14default_configENS1_37merge_sort_block_sort_config_selectorIhNS0_10empty_typeEEEZNS1_21merge_sort_block_sortIS3_N6thrust23THRUST_200600_302600_NS6detail15normal_iteratorINS9_10device_ptrIhEEEESE_PS5_SF_14custom_greaterIhEEE10hipError_tT0_T1_T2_T3_mRjT4_P12ihipStream_tbNS1_7vsmem_tEEUlT_E_NS1_11comp_targetILNS1_3genE3ELNS1_11target_archE908ELNS1_3gpuE7ELNS1_3repE0EEENS1_30default_config_static_selectorELNS0_4arch9wavefront6targetE1EEEvSK_,@function
_ZN7rocprim17ROCPRIM_400000_NS6detail17trampoline_kernelINS0_14default_configENS1_37merge_sort_block_sort_config_selectorIhNS0_10empty_typeEEEZNS1_21merge_sort_block_sortIS3_N6thrust23THRUST_200600_302600_NS6detail15normal_iteratorINS9_10device_ptrIhEEEESE_PS5_SF_14custom_greaterIhEEE10hipError_tT0_T1_T2_T3_mRjT4_P12ihipStream_tbNS1_7vsmem_tEEUlT_E_NS1_11comp_targetILNS1_3genE3ELNS1_11target_archE908ELNS1_3gpuE7ELNS1_3repE0EEENS1_30default_config_static_selectorELNS0_4arch9wavefront6targetE1EEEvSK_: ; @_ZN7rocprim17ROCPRIM_400000_NS6detail17trampoline_kernelINS0_14default_configENS1_37merge_sort_block_sort_config_selectorIhNS0_10empty_typeEEEZNS1_21merge_sort_block_sortIS3_N6thrust23THRUST_200600_302600_NS6detail15normal_iteratorINS9_10device_ptrIhEEEESE_PS5_SF_14custom_greaterIhEEE10hipError_tT0_T1_T2_T3_mRjT4_P12ihipStream_tbNS1_7vsmem_tEEUlT_E_NS1_11comp_targetILNS1_3genE3ELNS1_11target_archE908ELNS1_3gpuE7ELNS1_3repE0EEENS1_30default_config_static_selectorELNS0_4arch9wavefront6targetE1EEEvSK_
; %bb.0:
	.section	.rodata,"a",@progbits
	.p2align	6, 0x0
	.amdhsa_kernel _ZN7rocprim17ROCPRIM_400000_NS6detail17trampoline_kernelINS0_14default_configENS1_37merge_sort_block_sort_config_selectorIhNS0_10empty_typeEEEZNS1_21merge_sort_block_sortIS3_N6thrust23THRUST_200600_302600_NS6detail15normal_iteratorINS9_10device_ptrIhEEEESE_PS5_SF_14custom_greaterIhEEE10hipError_tT0_T1_T2_T3_mRjT4_P12ihipStream_tbNS1_7vsmem_tEEUlT_E_NS1_11comp_targetILNS1_3genE3ELNS1_11target_archE908ELNS1_3gpuE7ELNS1_3repE0EEENS1_30default_config_static_selectorELNS0_4arch9wavefront6targetE1EEEvSK_
		.amdhsa_group_segment_fixed_size 0
		.amdhsa_private_segment_fixed_size 0
		.amdhsa_kernarg_size 64
		.amdhsa_user_sgpr_count 6
		.amdhsa_user_sgpr_private_segment_buffer 1
		.amdhsa_user_sgpr_dispatch_ptr 0
		.amdhsa_user_sgpr_queue_ptr 0
		.amdhsa_user_sgpr_kernarg_segment_ptr 1
		.amdhsa_user_sgpr_dispatch_id 0
		.amdhsa_user_sgpr_flat_scratch_init 0
		.amdhsa_user_sgpr_kernarg_preload_length 0
		.amdhsa_user_sgpr_kernarg_preload_offset 0
		.amdhsa_user_sgpr_private_segment_size 0
		.amdhsa_uses_dynamic_stack 0
		.amdhsa_system_sgpr_private_segment_wavefront_offset 0
		.amdhsa_system_sgpr_workgroup_id_x 1
		.amdhsa_system_sgpr_workgroup_id_y 0
		.amdhsa_system_sgpr_workgroup_id_z 0
		.amdhsa_system_sgpr_workgroup_info 0
		.amdhsa_system_vgpr_workitem_id 0
		.amdhsa_next_free_vgpr 1
		.amdhsa_next_free_sgpr 0
		.amdhsa_accum_offset 4
		.amdhsa_reserve_vcc 0
		.amdhsa_reserve_flat_scratch 0
		.amdhsa_float_round_mode_32 0
		.amdhsa_float_round_mode_16_64 0
		.amdhsa_float_denorm_mode_32 3
		.amdhsa_float_denorm_mode_16_64 3
		.amdhsa_dx10_clamp 1
		.amdhsa_ieee_mode 1
		.amdhsa_fp16_overflow 0
		.amdhsa_tg_split 0
		.amdhsa_exception_fp_ieee_invalid_op 0
		.amdhsa_exception_fp_denorm_src 0
		.amdhsa_exception_fp_ieee_div_zero 0
		.amdhsa_exception_fp_ieee_overflow 0
		.amdhsa_exception_fp_ieee_underflow 0
		.amdhsa_exception_fp_ieee_inexact 0
		.amdhsa_exception_int_div_zero 0
	.end_amdhsa_kernel
	.section	.text._ZN7rocprim17ROCPRIM_400000_NS6detail17trampoline_kernelINS0_14default_configENS1_37merge_sort_block_sort_config_selectorIhNS0_10empty_typeEEEZNS1_21merge_sort_block_sortIS3_N6thrust23THRUST_200600_302600_NS6detail15normal_iteratorINS9_10device_ptrIhEEEESE_PS5_SF_14custom_greaterIhEEE10hipError_tT0_T1_T2_T3_mRjT4_P12ihipStream_tbNS1_7vsmem_tEEUlT_E_NS1_11comp_targetILNS1_3genE3ELNS1_11target_archE908ELNS1_3gpuE7ELNS1_3repE0EEENS1_30default_config_static_selectorELNS0_4arch9wavefront6targetE1EEEvSK_,"axG",@progbits,_ZN7rocprim17ROCPRIM_400000_NS6detail17trampoline_kernelINS0_14default_configENS1_37merge_sort_block_sort_config_selectorIhNS0_10empty_typeEEEZNS1_21merge_sort_block_sortIS3_N6thrust23THRUST_200600_302600_NS6detail15normal_iteratorINS9_10device_ptrIhEEEESE_PS5_SF_14custom_greaterIhEEE10hipError_tT0_T1_T2_T3_mRjT4_P12ihipStream_tbNS1_7vsmem_tEEUlT_E_NS1_11comp_targetILNS1_3genE3ELNS1_11target_archE908ELNS1_3gpuE7ELNS1_3repE0EEENS1_30default_config_static_selectorELNS0_4arch9wavefront6targetE1EEEvSK_,comdat
.Lfunc_end2855:
	.size	_ZN7rocprim17ROCPRIM_400000_NS6detail17trampoline_kernelINS0_14default_configENS1_37merge_sort_block_sort_config_selectorIhNS0_10empty_typeEEEZNS1_21merge_sort_block_sortIS3_N6thrust23THRUST_200600_302600_NS6detail15normal_iteratorINS9_10device_ptrIhEEEESE_PS5_SF_14custom_greaterIhEEE10hipError_tT0_T1_T2_T3_mRjT4_P12ihipStream_tbNS1_7vsmem_tEEUlT_E_NS1_11comp_targetILNS1_3genE3ELNS1_11target_archE908ELNS1_3gpuE7ELNS1_3repE0EEENS1_30default_config_static_selectorELNS0_4arch9wavefront6targetE1EEEvSK_, .Lfunc_end2855-_ZN7rocprim17ROCPRIM_400000_NS6detail17trampoline_kernelINS0_14default_configENS1_37merge_sort_block_sort_config_selectorIhNS0_10empty_typeEEEZNS1_21merge_sort_block_sortIS3_N6thrust23THRUST_200600_302600_NS6detail15normal_iteratorINS9_10device_ptrIhEEEESE_PS5_SF_14custom_greaterIhEEE10hipError_tT0_T1_T2_T3_mRjT4_P12ihipStream_tbNS1_7vsmem_tEEUlT_E_NS1_11comp_targetILNS1_3genE3ELNS1_11target_archE908ELNS1_3gpuE7ELNS1_3repE0EEENS1_30default_config_static_selectorELNS0_4arch9wavefront6targetE1EEEvSK_
                                        ; -- End function
	.section	.AMDGPU.csdata,"",@progbits
; Kernel info:
; codeLenInByte = 0
; NumSgprs: 4
; NumVgprs: 0
; NumAgprs: 0
; TotalNumVgprs: 0
; ScratchSize: 0
; MemoryBound: 0
; FloatMode: 240
; IeeeMode: 1
; LDSByteSize: 0 bytes/workgroup (compile time only)
; SGPRBlocks: 0
; VGPRBlocks: 0
; NumSGPRsForWavesPerEU: 4
; NumVGPRsForWavesPerEU: 1
; AccumOffset: 4
; Occupancy: 8
; WaveLimiterHint : 0
; COMPUTE_PGM_RSRC2:SCRATCH_EN: 0
; COMPUTE_PGM_RSRC2:USER_SGPR: 6
; COMPUTE_PGM_RSRC2:TRAP_HANDLER: 0
; COMPUTE_PGM_RSRC2:TGID_X_EN: 1
; COMPUTE_PGM_RSRC2:TGID_Y_EN: 0
; COMPUTE_PGM_RSRC2:TGID_Z_EN: 0
; COMPUTE_PGM_RSRC2:TIDIG_COMP_CNT: 0
; COMPUTE_PGM_RSRC3_GFX90A:ACCUM_OFFSET: 0
; COMPUTE_PGM_RSRC3_GFX90A:TG_SPLIT: 0
	.section	.text._ZN7rocprim17ROCPRIM_400000_NS6detail17trampoline_kernelINS0_14default_configENS1_37merge_sort_block_sort_config_selectorIhNS0_10empty_typeEEEZNS1_21merge_sort_block_sortIS3_N6thrust23THRUST_200600_302600_NS6detail15normal_iteratorINS9_10device_ptrIhEEEESE_PS5_SF_14custom_greaterIhEEE10hipError_tT0_T1_T2_T3_mRjT4_P12ihipStream_tbNS1_7vsmem_tEEUlT_E_NS1_11comp_targetILNS1_3genE2ELNS1_11target_archE906ELNS1_3gpuE6ELNS1_3repE0EEENS1_30default_config_static_selectorELNS0_4arch9wavefront6targetE1EEEvSK_,"axG",@progbits,_ZN7rocprim17ROCPRIM_400000_NS6detail17trampoline_kernelINS0_14default_configENS1_37merge_sort_block_sort_config_selectorIhNS0_10empty_typeEEEZNS1_21merge_sort_block_sortIS3_N6thrust23THRUST_200600_302600_NS6detail15normal_iteratorINS9_10device_ptrIhEEEESE_PS5_SF_14custom_greaterIhEEE10hipError_tT0_T1_T2_T3_mRjT4_P12ihipStream_tbNS1_7vsmem_tEEUlT_E_NS1_11comp_targetILNS1_3genE2ELNS1_11target_archE906ELNS1_3gpuE6ELNS1_3repE0EEENS1_30default_config_static_selectorELNS0_4arch9wavefront6targetE1EEEvSK_,comdat
	.protected	_ZN7rocprim17ROCPRIM_400000_NS6detail17trampoline_kernelINS0_14default_configENS1_37merge_sort_block_sort_config_selectorIhNS0_10empty_typeEEEZNS1_21merge_sort_block_sortIS3_N6thrust23THRUST_200600_302600_NS6detail15normal_iteratorINS9_10device_ptrIhEEEESE_PS5_SF_14custom_greaterIhEEE10hipError_tT0_T1_T2_T3_mRjT4_P12ihipStream_tbNS1_7vsmem_tEEUlT_E_NS1_11comp_targetILNS1_3genE2ELNS1_11target_archE906ELNS1_3gpuE6ELNS1_3repE0EEENS1_30default_config_static_selectorELNS0_4arch9wavefront6targetE1EEEvSK_ ; -- Begin function _ZN7rocprim17ROCPRIM_400000_NS6detail17trampoline_kernelINS0_14default_configENS1_37merge_sort_block_sort_config_selectorIhNS0_10empty_typeEEEZNS1_21merge_sort_block_sortIS3_N6thrust23THRUST_200600_302600_NS6detail15normal_iteratorINS9_10device_ptrIhEEEESE_PS5_SF_14custom_greaterIhEEE10hipError_tT0_T1_T2_T3_mRjT4_P12ihipStream_tbNS1_7vsmem_tEEUlT_E_NS1_11comp_targetILNS1_3genE2ELNS1_11target_archE906ELNS1_3gpuE6ELNS1_3repE0EEENS1_30default_config_static_selectorELNS0_4arch9wavefront6targetE1EEEvSK_
	.globl	_ZN7rocprim17ROCPRIM_400000_NS6detail17trampoline_kernelINS0_14default_configENS1_37merge_sort_block_sort_config_selectorIhNS0_10empty_typeEEEZNS1_21merge_sort_block_sortIS3_N6thrust23THRUST_200600_302600_NS6detail15normal_iteratorINS9_10device_ptrIhEEEESE_PS5_SF_14custom_greaterIhEEE10hipError_tT0_T1_T2_T3_mRjT4_P12ihipStream_tbNS1_7vsmem_tEEUlT_E_NS1_11comp_targetILNS1_3genE2ELNS1_11target_archE906ELNS1_3gpuE6ELNS1_3repE0EEENS1_30default_config_static_selectorELNS0_4arch9wavefront6targetE1EEEvSK_
	.p2align	8
	.type	_ZN7rocprim17ROCPRIM_400000_NS6detail17trampoline_kernelINS0_14default_configENS1_37merge_sort_block_sort_config_selectorIhNS0_10empty_typeEEEZNS1_21merge_sort_block_sortIS3_N6thrust23THRUST_200600_302600_NS6detail15normal_iteratorINS9_10device_ptrIhEEEESE_PS5_SF_14custom_greaterIhEEE10hipError_tT0_T1_T2_T3_mRjT4_P12ihipStream_tbNS1_7vsmem_tEEUlT_E_NS1_11comp_targetILNS1_3genE2ELNS1_11target_archE906ELNS1_3gpuE6ELNS1_3repE0EEENS1_30default_config_static_selectorELNS0_4arch9wavefront6targetE1EEEvSK_,@function
_ZN7rocprim17ROCPRIM_400000_NS6detail17trampoline_kernelINS0_14default_configENS1_37merge_sort_block_sort_config_selectorIhNS0_10empty_typeEEEZNS1_21merge_sort_block_sortIS3_N6thrust23THRUST_200600_302600_NS6detail15normal_iteratorINS9_10device_ptrIhEEEESE_PS5_SF_14custom_greaterIhEEE10hipError_tT0_T1_T2_T3_mRjT4_P12ihipStream_tbNS1_7vsmem_tEEUlT_E_NS1_11comp_targetILNS1_3genE2ELNS1_11target_archE906ELNS1_3gpuE6ELNS1_3repE0EEENS1_30default_config_static_selectorELNS0_4arch9wavefront6targetE1EEEvSK_: ; @_ZN7rocprim17ROCPRIM_400000_NS6detail17trampoline_kernelINS0_14default_configENS1_37merge_sort_block_sort_config_selectorIhNS0_10empty_typeEEEZNS1_21merge_sort_block_sortIS3_N6thrust23THRUST_200600_302600_NS6detail15normal_iteratorINS9_10device_ptrIhEEEESE_PS5_SF_14custom_greaterIhEEE10hipError_tT0_T1_T2_T3_mRjT4_P12ihipStream_tbNS1_7vsmem_tEEUlT_E_NS1_11comp_targetILNS1_3genE2ELNS1_11target_archE906ELNS1_3gpuE6ELNS1_3repE0EEENS1_30default_config_static_selectorELNS0_4arch9wavefront6targetE1EEEvSK_
; %bb.0:
	.section	.rodata,"a",@progbits
	.p2align	6, 0x0
	.amdhsa_kernel _ZN7rocprim17ROCPRIM_400000_NS6detail17trampoline_kernelINS0_14default_configENS1_37merge_sort_block_sort_config_selectorIhNS0_10empty_typeEEEZNS1_21merge_sort_block_sortIS3_N6thrust23THRUST_200600_302600_NS6detail15normal_iteratorINS9_10device_ptrIhEEEESE_PS5_SF_14custom_greaterIhEEE10hipError_tT0_T1_T2_T3_mRjT4_P12ihipStream_tbNS1_7vsmem_tEEUlT_E_NS1_11comp_targetILNS1_3genE2ELNS1_11target_archE906ELNS1_3gpuE6ELNS1_3repE0EEENS1_30default_config_static_selectorELNS0_4arch9wavefront6targetE1EEEvSK_
		.amdhsa_group_segment_fixed_size 0
		.amdhsa_private_segment_fixed_size 0
		.amdhsa_kernarg_size 64
		.amdhsa_user_sgpr_count 6
		.amdhsa_user_sgpr_private_segment_buffer 1
		.amdhsa_user_sgpr_dispatch_ptr 0
		.amdhsa_user_sgpr_queue_ptr 0
		.amdhsa_user_sgpr_kernarg_segment_ptr 1
		.amdhsa_user_sgpr_dispatch_id 0
		.amdhsa_user_sgpr_flat_scratch_init 0
		.amdhsa_user_sgpr_kernarg_preload_length 0
		.amdhsa_user_sgpr_kernarg_preload_offset 0
		.amdhsa_user_sgpr_private_segment_size 0
		.amdhsa_uses_dynamic_stack 0
		.amdhsa_system_sgpr_private_segment_wavefront_offset 0
		.amdhsa_system_sgpr_workgroup_id_x 1
		.amdhsa_system_sgpr_workgroup_id_y 0
		.amdhsa_system_sgpr_workgroup_id_z 0
		.amdhsa_system_sgpr_workgroup_info 0
		.amdhsa_system_vgpr_workitem_id 0
		.amdhsa_next_free_vgpr 1
		.amdhsa_next_free_sgpr 0
		.amdhsa_accum_offset 4
		.amdhsa_reserve_vcc 0
		.amdhsa_reserve_flat_scratch 0
		.amdhsa_float_round_mode_32 0
		.amdhsa_float_round_mode_16_64 0
		.amdhsa_float_denorm_mode_32 3
		.amdhsa_float_denorm_mode_16_64 3
		.amdhsa_dx10_clamp 1
		.amdhsa_ieee_mode 1
		.amdhsa_fp16_overflow 0
		.amdhsa_tg_split 0
		.amdhsa_exception_fp_ieee_invalid_op 0
		.amdhsa_exception_fp_denorm_src 0
		.amdhsa_exception_fp_ieee_div_zero 0
		.amdhsa_exception_fp_ieee_overflow 0
		.amdhsa_exception_fp_ieee_underflow 0
		.amdhsa_exception_fp_ieee_inexact 0
		.amdhsa_exception_int_div_zero 0
	.end_amdhsa_kernel
	.section	.text._ZN7rocprim17ROCPRIM_400000_NS6detail17trampoline_kernelINS0_14default_configENS1_37merge_sort_block_sort_config_selectorIhNS0_10empty_typeEEEZNS1_21merge_sort_block_sortIS3_N6thrust23THRUST_200600_302600_NS6detail15normal_iteratorINS9_10device_ptrIhEEEESE_PS5_SF_14custom_greaterIhEEE10hipError_tT0_T1_T2_T3_mRjT4_P12ihipStream_tbNS1_7vsmem_tEEUlT_E_NS1_11comp_targetILNS1_3genE2ELNS1_11target_archE906ELNS1_3gpuE6ELNS1_3repE0EEENS1_30default_config_static_selectorELNS0_4arch9wavefront6targetE1EEEvSK_,"axG",@progbits,_ZN7rocprim17ROCPRIM_400000_NS6detail17trampoline_kernelINS0_14default_configENS1_37merge_sort_block_sort_config_selectorIhNS0_10empty_typeEEEZNS1_21merge_sort_block_sortIS3_N6thrust23THRUST_200600_302600_NS6detail15normal_iteratorINS9_10device_ptrIhEEEESE_PS5_SF_14custom_greaterIhEEE10hipError_tT0_T1_T2_T3_mRjT4_P12ihipStream_tbNS1_7vsmem_tEEUlT_E_NS1_11comp_targetILNS1_3genE2ELNS1_11target_archE906ELNS1_3gpuE6ELNS1_3repE0EEENS1_30default_config_static_selectorELNS0_4arch9wavefront6targetE1EEEvSK_,comdat
.Lfunc_end2856:
	.size	_ZN7rocprim17ROCPRIM_400000_NS6detail17trampoline_kernelINS0_14default_configENS1_37merge_sort_block_sort_config_selectorIhNS0_10empty_typeEEEZNS1_21merge_sort_block_sortIS3_N6thrust23THRUST_200600_302600_NS6detail15normal_iteratorINS9_10device_ptrIhEEEESE_PS5_SF_14custom_greaterIhEEE10hipError_tT0_T1_T2_T3_mRjT4_P12ihipStream_tbNS1_7vsmem_tEEUlT_E_NS1_11comp_targetILNS1_3genE2ELNS1_11target_archE906ELNS1_3gpuE6ELNS1_3repE0EEENS1_30default_config_static_selectorELNS0_4arch9wavefront6targetE1EEEvSK_, .Lfunc_end2856-_ZN7rocprim17ROCPRIM_400000_NS6detail17trampoline_kernelINS0_14default_configENS1_37merge_sort_block_sort_config_selectorIhNS0_10empty_typeEEEZNS1_21merge_sort_block_sortIS3_N6thrust23THRUST_200600_302600_NS6detail15normal_iteratorINS9_10device_ptrIhEEEESE_PS5_SF_14custom_greaterIhEEE10hipError_tT0_T1_T2_T3_mRjT4_P12ihipStream_tbNS1_7vsmem_tEEUlT_E_NS1_11comp_targetILNS1_3genE2ELNS1_11target_archE906ELNS1_3gpuE6ELNS1_3repE0EEENS1_30default_config_static_selectorELNS0_4arch9wavefront6targetE1EEEvSK_
                                        ; -- End function
	.section	.AMDGPU.csdata,"",@progbits
; Kernel info:
; codeLenInByte = 0
; NumSgprs: 4
; NumVgprs: 0
; NumAgprs: 0
; TotalNumVgprs: 0
; ScratchSize: 0
; MemoryBound: 0
; FloatMode: 240
; IeeeMode: 1
; LDSByteSize: 0 bytes/workgroup (compile time only)
; SGPRBlocks: 0
; VGPRBlocks: 0
; NumSGPRsForWavesPerEU: 4
; NumVGPRsForWavesPerEU: 1
; AccumOffset: 4
; Occupancy: 8
; WaveLimiterHint : 0
; COMPUTE_PGM_RSRC2:SCRATCH_EN: 0
; COMPUTE_PGM_RSRC2:USER_SGPR: 6
; COMPUTE_PGM_RSRC2:TRAP_HANDLER: 0
; COMPUTE_PGM_RSRC2:TGID_X_EN: 1
; COMPUTE_PGM_RSRC2:TGID_Y_EN: 0
; COMPUTE_PGM_RSRC2:TGID_Z_EN: 0
; COMPUTE_PGM_RSRC2:TIDIG_COMP_CNT: 0
; COMPUTE_PGM_RSRC3_GFX90A:ACCUM_OFFSET: 0
; COMPUTE_PGM_RSRC3_GFX90A:TG_SPLIT: 0
	.section	.text._ZN7rocprim17ROCPRIM_400000_NS6detail17trampoline_kernelINS0_14default_configENS1_37merge_sort_block_sort_config_selectorIhNS0_10empty_typeEEEZNS1_21merge_sort_block_sortIS3_N6thrust23THRUST_200600_302600_NS6detail15normal_iteratorINS9_10device_ptrIhEEEESE_PS5_SF_14custom_greaterIhEEE10hipError_tT0_T1_T2_T3_mRjT4_P12ihipStream_tbNS1_7vsmem_tEEUlT_E_NS1_11comp_targetILNS1_3genE10ELNS1_11target_archE1201ELNS1_3gpuE5ELNS1_3repE0EEENS1_30default_config_static_selectorELNS0_4arch9wavefront6targetE1EEEvSK_,"axG",@progbits,_ZN7rocprim17ROCPRIM_400000_NS6detail17trampoline_kernelINS0_14default_configENS1_37merge_sort_block_sort_config_selectorIhNS0_10empty_typeEEEZNS1_21merge_sort_block_sortIS3_N6thrust23THRUST_200600_302600_NS6detail15normal_iteratorINS9_10device_ptrIhEEEESE_PS5_SF_14custom_greaterIhEEE10hipError_tT0_T1_T2_T3_mRjT4_P12ihipStream_tbNS1_7vsmem_tEEUlT_E_NS1_11comp_targetILNS1_3genE10ELNS1_11target_archE1201ELNS1_3gpuE5ELNS1_3repE0EEENS1_30default_config_static_selectorELNS0_4arch9wavefront6targetE1EEEvSK_,comdat
	.protected	_ZN7rocprim17ROCPRIM_400000_NS6detail17trampoline_kernelINS0_14default_configENS1_37merge_sort_block_sort_config_selectorIhNS0_10empty_typeEEEZNS1_21merge_sort_block_sortIS3_N6thrust23THRUST_200600_302600_NS6detail15normal_iteratorINS9_10device_ptrIhEEEESE_PS5_SF_14custom_greaterIhEEE10hipError_tT0_T1_T2_T3_mRjT4_P12ihipStream_tbNS1_7vsmem_tEEUlT_E_NS1_11comp_targetILNS1_3genE10ELNS1_11target_archE1201ELNS1_3gpuE5ELNS1_3repE0EEENS1_30default_config_static_selectorELNS0_4arch9wavefront6targetE1EEEvSK_ ; -- Begin function _ZN7rocprim17ROCPRIM_400000_NS6detail17trampoline_kernelINS0_14default_configENS1_37merge_sort_block_sort_config_selectorIhNS0_10empty_typeEEEZNS1_21merge_sort_block_sortIS3_N6thrust23THRUST_200600_302600_NS6detail15normal_iteratorINS9_10device_ptrIhEEEESE_PS5_SF_14custom_greaterIhEEE10hipError_tT0_T1_T2_T3_mRjT4_P12ihipStream_tbNS1_7vsmem_tEEUlT_E_NS1_11comp_targetILNS1_3genE10ELNS1_11target_archE1201ELNS1_3gpuE5ELNS1_3repE0EEENS1_30default_config_static_selectorELNS0_4arch9wavefront6targetE1EEEvSK_
	.globl	_ZN7rocprim17ROCPRIM_400000_NS6detail17trampoline_kernelINS0_14default_configENS1_37merge_sort_block_sort_config_selectorIhNS0_10empty_typeEEEZNS1_21merge_sort_block_sortIS3_N6thrust23THRUST_200600_302600_NS6detail15normal_iteratorINS9_10device_ptrIhEEEESE_PS5_SF_14custom_greaterIhEEE10hipError_tT0_T1_T2_T3_mRjT4_P12ihipStream_tbNS1_7vsmem_tEEUlT_E_NS1_11comp_targetILNS1_3genE10ELNS1_11target_archE1201ELNS1_3gpuE5ELNS1_3repE0EEENS1_30default_config_static_selectorELNS0_4arch9wavefront6targetE1EEEvSK_
	.p2align	8
	.type	_ZN7rocprim17ROCPRIM_400000_NS6detail17trampoline_kernelINS0_14default_configENS1_37merge_sort_block_sort_config_selectorIhNS0_10empty_typeEEEZNS1_21merge_sort_block_sortIS3_N6thrust23THRUST_200600_302600_NS6detail15normal_iteratorINS9_10device_ptrIhEEEESE_PS5_SF_14custom_greaterIhEEE10hipError_tT0_T1_T2_T3_mRjT4_P12ihipStream_tbNS1_7vsmem_tEEUlT_E_NS1_11comp_targetILNS1_3genE10ELNS1_11target_archE1201ELNS1_3gpuE5ELNS1_3repE0EEENS1_30default_config_static_selectorELNS0_4arch9wavefront6targetE1EEEvSK_,@function
_ZN7rocprim17ROCPRIM_400000_NS6detail17trampoline_kernelINS0_14default_configENS1_37merge_sort_block_sort_config_selectorIhNS0_10empty_typeEEEZNS1_21merge_sort_block_sortIS3_N6thrust23THRUST_200600_302600_NS6detail15normal_iteratorINS9_10device_ptrIhEEEESE_PS5_SF_14custom_greaterIhEEE10hipError_tT0_T1_T2_T3_mRjT4_P12ihipStream_tbNS1_7vsmem_tEEUlT_E_NS1_11comp_targetILNS1_3genE10ELNS1_11target_archE1201ELNS1_3gpuE5ELNS1_3repE0EEENS1_30default_config_static_selectorELNS0_4arch9wavefront6targetE1EEEvSK_: ; @_ZN7rocprim17ROCPRIM_400000_NS6detail17trampoline_kernelINS0_14default_configENS1_37merge_sort_block_sort_config_selectorIhNS0_10empty_typeEEEZNS1_21merge_sort_block_sortIS3_N6thrust23THRUST_200600_302600_NS6detail15normal_iteratorINS9_10device_ptrIhEEEESE_PS5_SF_14custom_greaterIhEEE10hipError_tT0_T1_T2_T3_mRjT4_P12ihipStream_tbNS1_7vsmem_tEEUlT_E_NS1_11comp_targetILNS1_3genE10ELNS1_11target_archE1201ELNS1_3gpuE5ELNS1_3repE0EEENS1_30default_config_static_selectorELNS0_4arch9wavefront6targetE1EEEvSK_
; %bb.0:
	.section	.rodata,"a",@progbits
	.p2align	6, 0x0
	.amdhsa_kernel _ZN7rocprim17ROCPRIM_400000_NS6detail17trampoline_kernelINS0_14default_configENS1_37merge_sort_block_sort_config_selectorIhNS0_10empty_typeEEEZNS1_21merge_sort_block_sortIS3_N6thrust23THRUST_200600_302600_NS6detail15normal_iteratorINS9_10device_ptrIhEEEESE_PS5_SF_14custom_greaterIhEEE10hipError_tT0_T1_T2_T3_mRjT4_P12ihipStream_tbNS1_7vsmem_tEEUlT_E_NS1_11comp_targetILNS1_3genE10ELNS1_11target_archE1201ELNS1_3gpuE5ELNS1_3repE0EEENS1_30default_config_static_selectorELNS0_4arch9wavefront6targetE1EEEvSK_
		.amdhsa_group_segment_fixed_size 0
		.amdhsa_private_segment_fixed_size 0
		.amdhsa_kernarg_size 64
		.amdhsa_user_sgpr_count 6
		.amdhsa_user_sgpr_private_segment_buffer 1
		.amdhsa_user_sgpr_dispatch_ptr 0
		.amdhsa_user_sgpr_queue_ptr 0
		.amdhsa_user_sgpr_kernarg_segment_ptr 1
		.amdhsa_user_sgpr_dispatch_id 0
		.amdhsa_user_sgpr_flat_scratch_init 0
		.amdhsa_user_sgpr_kernarg_preload_length 0
		.amdhsa_user_sgpr_kernarg_preload_offset 0
		.amdhsa_user_sgpr_private_segment_size 0
		.amdhsa_uses_dynamic_stack 0
		.amdhsa_system_sgpr_private_segment_wavefront_offset 0
		.amdhsa_system_sgpr_workgroup_id_x 1
		.amdhsa_system_sgpr_workgroup_id_y 0
		.amdhsa_system_sgpr_workgroup_id_z 0
		.amdhsa_system_sgpr_workgroup_info 0
		.amdhsa_system_vgpr_workitem_id 0
		.amdhsa_next_free_vgpr 1
		.amdhsa_next_free_sgpr 0
		.amdhsa_accum_offset 4
		.amdhsa_reserve_vcc 0
		.amdhsa_reserve_flat_scratch 0
		.amdhsa_float_round_mode_32 0
		.amdhsa_float_round_mode_16_64 0
		.amdhsa_float_denorm_mode_32 3
		.amdhsa_float_denorm_mode_16_64 3
		.amdhsa_dx10_clamp 1
		.amdhsa_ieee_mode 1
		.amdhsa_fp16_overflow 0
		.amdhsa_tg_split 0
		.amdhsa_exception_fp_ieee_invalid_op 0
		.amdhsa_exception_fp_denorm_src 0
		.amdhsa_exception_fp_ieee_div_zero 0
		.amdhsa_exception_fp_ieee_overflow 0
		.amdhsa_exception_fp_ieee_underflow 0
		.amdhsa_exception_fp_ieee_inexact 0
		.amdhsa_exception_int_div_zero 0
	.end_amdhsa_kernel
	.section	.text._ZN7rocprim17ROCPRIM_400000_NS6detail17trampoline_kernelINS0_14default_configENS1_37merge_sort_block_sort_config_selectorIhNS0_10empty_typeEEEZNS1_21merge_sort_block_sortIS3_N6thrust23THRUST_200600_302600_NS6detail15normal_iteratorINS9_10device_ptrIhEEEESE_PS5_SF_14custom_greaterIhEEE10hipError_tT0_T1_T2_T3_mRjT4_P12ihipStream_tbNS1_7vsmem_tEEUlT_E_NS1_11comp_targetILNS1_3genE10ELNS1_11target_archE1201ELNS1_3gpuE5ELNS1_3repE0EEENS1_30default_config_static_selectorELNS0_4arch9wavefront6targetE1EEEvSK_,"axG",@progbits,_ZN7rocprim17ROCPRIM_400000_NS6detail17trampoline_kernelINS0_14default_configENS1_37merge_sort_block_sort_config_selectorIhNS0_10empty_typeEEEZNS1_21merge_sort_block_sortIS3_N6thrust23THRUST_200600_302600_NS6detail15normal_iteratorINS9_10device_ptrIhEEEESE_PS5_SF_14custom_greaterIhEEE10hipError_tT0_T1_T2_T3_mRjT4_P12ihipStream_tbNS1_7vsmem_tEEUlT_E_NS1_11comp_targetILNS1_3genE10ELNS1_11target_archE1201ELNS1_3gpuE5ELNS1_3repE0EEENS1_30default_config_static_selectorELNS0_4arch9wavefront6targetE1EEEvSK_,comdat
.Lfunc_end2857:
	.size	_ZN7rocprim17ROCPRIM_400000_NS6detail17trampoline_kernelINS0_14default_configENS1_37merge_sort_block_sort_config_selectorIhNS0_10empty_typeEEEZNS1_21merge_sort_block_sortIS3_N6thrust23THRUST_200600_302600_NS6detail15normal_iteratorINS9_10device_ptrIhEEEESE_PS5_SF_14custom_greaterIhEEE10hipError_tT0_T1_T2_T3_mRjT4_P12ihipStream_tbNS1_7vsmem_tEEUlT_E_NS1_11comp_targetILNS1_3genE10ELNS1_11target_archE1201ELNS1_3gpuE5ELNS1_3repE0EEENS1_30default_config_static_selectorELNS0_4arch9wavefront6targetE1EEEvSK_, .Lfunc_end2857-_ZN7rocprim17ROCPRIM_400000_NS6detail17trampoline_kernelINS0_14default_configENS1_37merge_sort_block_sort_config_selectorIhNS0_10empty_typeEEEZNS1_21merge_sort_block_sortIS3_N6thrust23THRUST_200600_302600_NS6detail15normal_iteratorINS9_10device_ptrIhEEEESE_PS5_SF_14custom_greaterIhEEE10hipError_tT0_T1_T2_T3_mRjT4_P12ihipStream_tbNS1_7vsmem_tEEUlT_E_NS1_11comp_targetILNS1_3genE10ELNS1_11target_archE1201ELNS1_3gpuE5ELNS1_3repE0EEENS1_30default_config_static_selectorELNS0_4arch9wavefront6targetE1EEEvSK_
                                        ; -- End function
	.section	.AMDGPU.csdata,"",@progbits
; Kernel info:
; codeLenInByte = 0
; NumSgprs: 4
; NumVgprs: 0
; NumAgprs: 0
; TotalNumVgprs: 0
; ScratchSize: 0
; MemoryBound: 0
; FloatMode: 240
; IeeeMode: 1
; LDSByteSize: 0 bytes/workgroup (compile time only)
; SGPRBlocks: 0
; VGPRBlocks: 0
; NumSGPRsForWavesPerEU: 4
; NumVGPRsForWavesPerEU: 1
; AccumOffset: 4
; Occupancy: 8
; WaveLimiterHint : 0
; COMPUTE_PGM_RSRC2:SCRATCH_EN: 0
; COMPUTE_PGM_RSRC2:USER_SGPR: 6
; COMPUTE_PGM_RSRC2:TRAP_HANDLER: 0
; COMPUTE_PGM_RSRC2:TGID_X_EN: 1
; COMPUTE_PGM_RSRC2:TGID_Y_EN: 0
; COMPUTE_PGM_RSRC2:TGID_Z_EN: 0
; COMPUTE_PGM_RSRC2:TIDIG_COMP_CNT: 0
; COMPUTE_PGM_RSRC3_GFX90A:ACCUM_OFFSET: 0
; COMPUTE_PGM_RSRC3_GFX90A:TG_SPLIT: 0
	.section	.text._ZN7rocprim17ROCPRIM_400000_NS6detail17trampoline_kernelINS0_14default_configENS1_37merge_sort_block_sort_config_selectorIhNS0_10empty_typeEEEZNS1_21merge_sort_block_sortIS3_N6thrust23THRUST_200600_302600_NS6detail15normal_iteratorINS9_10device_ptrIhEEEESE_PS5_SF_14custom_greaterIhEEE10hipError_tT0_T1_T2_T3_mRjT4_P12ihipStream_tbNS1_7vsmem_tEEUlT_E_NS1_11comp_targetILNS1_3genE10ELNS1_11target_archE1200ELNS1_3gpuE4ELNS1_3repE0EEENS1_30default_config_static_selectorELNS0_4arch9wavefront6targetE1EEEvSK_,"axG",@progbits,_ZN7rocprim17ROCPRIM_400000_NS6detail17trampoline_kernelINS0_14default_configENS1_37merge_sort_block_sort_config_selectorIhNS0_10empty_typeEEEZNS1_21merge_sort_block_sortIS3_N6thrust23THRUST_200600_302600_NS6detail15normal_iteratorINS9_10device_ptrIhEEEESE_PS5_SF_14custom_greaterIhEEE10hipError_tT0_T1_T2_T3_mRjT4_P12ihipStream_tbNS1_7vsmem_tEEUlT_E_NS1_11comp_targetILNS1_3genE10ELNS1_11target_archE1200ELNS1_3gpuE4ELNS1_3repE0EEENS1_30default_config_static_selectorELNS0_4arch9wavefront6targetE1EEEvSK_,comdat
	.protected	_ZN7rocprim17ROCPRIM_400000_NS6detail17trampoline_kernelINS0_14default_configENS1_37merge_sort_block_sort_config_selectorIhNS0_10empty_typeEEEZNS1_21merge_sort_block_sortIS3_N6thrust23THRUST_200600_302600_NS6detail15normal_iteratorINS9_10device_ptrIhEEEESE_PS5_SF_14custom_greaterIhEEE10hipError_tT0_T1_T2_T3_mRjT4_P12ihipStream_tbNS1_7vsmem_tEEUlT_E_NS1_11comp_targetILNS1_3genE10ELNS1_11target_archE1200ELNS1_3gpuE4ELNS1_3repE0EEENS1_30default_config_static_selectorELNS0_4arch9wavefront6targetE1EEEvSK_ ; -- Begin function _ZN7rocprim17ROCPRIM_400000_NS6detail17trampoline_kernelINS0_14default_configENS1_37merge_sort_block_sort_config_selectorIhNS0_10empty_typeEEEZNS1_21merge_sort_block_sortIS3_N6thrust23THRUST_200600_302600_NS6detail15normal_iteratorINS9_10device_ptrIhEEEESE_PS5_SF_14custom_greaterIhEEE10hipError_tT0_T1_T2_T3_mRjT4_P12ihipStream_tbNS1_7vsmem_tEEUlT_E_NS1_11comp_targetILNS1_3genE10ELNS1_11target_archE1200ELNS1_3gpuE4ELNS1_3repE0EEENS1_30default_config_static_selectorELNS0_4arch9wavefront6targetE1EEEvSK_
	.globl	_ZN7rocprim17ROCPRIM_400000_NS6detail17trampoline_kernelINS0_14default_configENS1_37merge_sort_block_sort_config_selectorIhNS0_10empty_typeEEEZNS1_21merge_sort_block_sortIS3_N6thrust23THRUST_200600_302600_NS6detail15normal_iteratorINS9_10device_ptrIhEEEESE_PS5_SF_14custom_greaterIhEEE10hipError_tT0_T1_T2_T3_mRjT4_P12ihipStream_tbNS1_7vsmem_tEEUlT_E_NS1_11comp_targetILNS1_3genE10ELNS1_11target_archE1200ELNS1_3gpuE4ELNS1_3repE0EEENS1_30default_config_static_selectorELNS0_4arch9wavefront6targetE1EEEvSK_
	.p2align	8
	.type	_ZN7rocprim17ROCPRIM_400000_NS6detail17trampoline_kernelINS0_14default_configENS1_37merge_sort_block_sort_config_selectorIhNS0_10empty_typeEEEZNS1_21merge_sort_block_sortIS3_N6thrust23THRUST_200600_302600_NS6detail15normal_iteratorINS9_10device_ptrIhEEEESE_PS5_SF_14custom_greaterIhEEE10hipError_tT0_T1_T2_T3_mRjT4_P12ihipStream_tbNS1_7vsmem_tEEUlT_E_NS1_11comp_targetILNS1_3genE10ELNS1_11target_archE1200ELNS1_3gpuE4ELNS1_3repE0EEENS1_30default_config_static_selectorELNS0_4arch9wavefront6targetE1EEEvSK_,@function
_ZN7rocprim17ROCPRIM_400000_NS6detail17trampoline_kernelINS0_14default_configENS1_37merge_sort_block_sort_config_selectorIhNS0_10empty_typeEEEZNS1_21merge_sort_block_sortIS3_N6thrust23THRUST_200600_302600_NS6detail15normal_iteratorINS9_10device_ptrIhEEEESE_PS5_SF_14custom_greaterIhEEE10hipError_tT0_T1_T2_T3_mRjT4_P12ihipStream_tbNS1_7vsmem_tEEUlT_E_NS1_11comp_targetILNS1_3genE10ELNS1_11target_archE1200ELNS1_3gpuE4ELNS1_3repE0EEENS1_30default_config_static_selectorELNS0_4arch9wavefront6targetE1EEEvSK_: ; @_ZN7rocprim17ROCPRIM_400000_NS6detail17trampoline_kernelINS0_14default_configENS1_37merge_sort_block_sort_config_selectorIhNS0_10empty_typeEEEZNS1_21merge_sort_block_sortIS3_N6thrust23THRUST_200600_302600_NS6detail15normal_iteratorINS9_10device_ptrIhEEEESE_PS5_SF_14custom_greaterIhEEE10hipError_tT0_T1_T2_T3_mRjT4_P12ihipStream_tbNS1_7vsmem_tEEUlT_E_NS1_11comp_targetILNS1_3genE10ELNS1_11target_archE1200ELNS1_3gpuE4ELNS1_3repE0EEENS1_30default_config_static_selectorELNS0_4arch9wavefront6targetE1EEEvSK_
; %bb.0:
	.section	.rodata,"a",@progbits
	.p2align	6, 0x0
	.amdhsa_kernel _ZN7rocprim17ROCPRIM_400000_NS6detail17trampoline_kernelINS0_14default_configENS1_37merge_sort_block_sort_config_selectorIhNS0_10empty_typeEEEZNS1_21merge_sort_block_sortIS3_N6thrust23THRUST_200600_302600_NS6detail15normal_iteratorINS9_10device_ptrIhEEEESE_PS5_SF_14custom_greaterIhEEE10hipError_tT0_T1_T2_T3_mRjT4_P12ihipStream_tbNS1_7vsmem_tEEUlT_E_NS1_11comp_targetILNS1_3genE10ELNS1_11target_archE1200ELNS1_3gpuE4ELNS1_3repE0EEENS1_30default_config_static_selectorELNS0_4arch9wavefront6targetE1EEEvSK_
		.amdhsa_group_segment_fixed_size 0
		.amdhsa_private_segment_fixed_size 0
		.amdhsa_kernarg_size 64
		.amdhsa_user_sgpr_count 6
		.amdhsa_user_sgpr_private_segment_buffer 1
		.amdhsa_user_sgpr_dispatch_ptr 0
		.amdhsa_user_sgpr_queue_ptr 0
		.amdhsa_user_sgpr_kernarg_segment_ptr 1
		.amdhsa_user_sgpr_dispatch_id 0
		.amdhsa_user_sgpr_flat_scratch_init 0
		.amdhsa_user_sgpr_kernarg_preload_length 0
		.amdhsa_user_sgpr_kernarg_preload_offset 0
		.amdhsa_user_sgpr_private_segment_size 0
		.amdhsa_uses_dynamic_stack 0
		.amdhsa_system_sgpr_private_segment_wavefront_offset 0
		.amdhsa_system_sgpr_workgroup_id_x 1
		.amdhsa_system_sgpr_workgroup_id_y 0
		.amdhsa_system_sgpr_workgroup_id_z 0
		.amdhsa_system_sgpr_workgroup_info 0
		.amdhsa_system_vgpr_workitem_id 0
		.amdhsa_next_free_vgpr 1
		.amdhsa_next_free_sgpr 0
		.amdhsa_accum_offset 4
		.amdhsa_reserve_vcc 0
		.amdhsa_reserve_flat_scratch 0
		.amdhsa_float_round_mode_32 0
		.amdhsa_float_round_mode_16_64 0
		.amdhsa_float_denorm_mode_32 3
		.amdhsa_float_denorm_mode_16_64 3
		.amdhsa_dx10_clamp 1
		.amdhsa_ieee_mode 1
		.amdhsa_fp16_overflow 0
		.amdhsa_tg_split 0
		.amdhsa_exception_fp_ieee_invalid_op 0
		.amdhsa_exception_fp_denorm_src 0
		.amdhsa_exception_fp_ieee_div_zero 0
		.amdhsa_exception_fp_ieee_overflow 0
		.amdhsa_exception_fp_ieee_underflow 0
		.amdhsa_exception_fp_ieee_inexact 0
		.amdhsa_exception_int_div_zero 0
	.end_amdhsa_kernel
	.section	.text._ZN7rocprim17ROCPRIM_400000_NS6detail17trampoline_kernelINS0_14default_configENS1_37merge_sort_block_sort_config_selectorIhNS0_10empty_typeEEEZNS1_21merge_sort_block_sortIS3_N6thrust23THRUST_200600_302600_NS6detail15normal_iteratorINS9_10device_ptrIhEEEESE_PS5_SF_14custom_greaterIhEEE10hipError_tT0_T1_T2_T3_mRjT4_P12ihipStream_tbNS1_7vsmem_tEEUlT_E_NS1_11comp_targetILNS1_3genE10ELNS1_11target_archE1200ELNS1_3gpuE4ELNS1_3repE0EEENS1_30default_config_static_selectorELNS0_4arch9wavefront6targetE1EEEvSK_,"axG",@progbits,_ZN7rocprim17ROCPRIM_400000_NS6detail17trampoline_kernelINS0_14default_configENS1_37merge_sort_block_sort_config_selectorIhNS0_10empty_typeEEEZNS1_21merge_sort_block_sortIS3_N6thrust23THRUST_200600_302600_NS6detail15normal_iteratorINS9_10device_ptrIhEEEESE_PS5_SF_14custom_greaterIhEEE10hipError_tT0_T1_T2_T3_mRjT4_P12ihipStream_tbNS1_7vsmem_tEEUlT_E_NS1_11comp_targetILNS1_3genE10ELNS1_11target_archE1200ELNS1_3gpuE4ELNS1_3repE0EEENS1_30default_config_static_selectorELNS0_4arch9wavefront6targetE1EEEvSK_,comdat
.Lfunc_end2858:
	.size	_ZN7rocprim17ROCPRIM_400000_NS6detail17trampoline_kernelINS0_14default_configENS1_37merge_sort_block_sort_config_selectorIhNS0_10empty_typeEEEZNS1_21merge_sort_block_sortIS3_N6thrust23THRUST_200600_302600_NS6detail15normal_iteratorINS9_10device_ptrIhEEEESE_PS5_SF_14custom_greaterIhEEE10hipError_tT0_T1_T2_T3_mRjT4_P12ihipStream_tbNS1_7vsmem_tEEUlT_E_NS1_11comp_targetILNS1_3genE10ELNS1_11target_archE1200ELNS1_3gpuE4ELNS1_3repE0EEENS1_30default_config_static_selectorELNS0_4arch9wavefront6targetE1EEEvSK_, .Lfunc_end2858-_ZN7rocprim17ROCPRIM_400000_NS6detail17trampoline_kernelINS0_14default_configENS1_37merge_sort_block_sort_config_selectorIhNS0_10empty_typeEEEZNS1_21merge_sort_block_sortIS3_N6thrust23THRUST_200600_302600_NS6detail15normal_iteratorINS9_10device_ptrIhEEEESE_PS5_SF_14custom_greaterIhEEE10hipError_tT0_T1_T2_T3_mRjT4_P12ihipStream_tbNS1_7vsmem_tEEUlT_E_NS1_11comp_targetILNS1_3genE10ELNS1_11target_archE1200ELNS1_3gpuE4ELNS1_3repE0EEENS1_30default_config_static_selectorELNS0_4arch9wavefront6targetE1EEEvSK_
                                        ; -- End function
	.section	.AMDGPU.csdata,"",@progbits
; Kernel info:
; codeLenInByte = 0
; NumSgprs: 4
; NumVgprs: 0
; NumAgprs: 0
; TotalNumVgprs: 0
; ScratchSize: 0
; MemoryBound: 0
; FloatMode: 240
; IeeeMode: 1
; LDSByteSize: 0 bytes/workgroup (compile time only)
; SGPRBlocks: 0
; VGPRBlocks: 0
; NumSGPRsForWavesPerEU: 4
; NumVGPRsForWavesPerEU: 1
; AccumOffset: 4
; Occupancy: 8
; WaveLimiterHint : 0
; COMPUTE_PGM_RSRC2:SCRATCH_EN: 0
; COMPUTE_PGM_RSRC2:USER_SGPR: 6
; COMPUTE_PGM_RSRC2:TRAP_HANDLER: 0
; COMPUTE_PGM_RSRC2:TGID_X_EN: 1
; COMPUTE_PGM_RSRC2:TGID_Y_EN: 0
; COMPUTE_PGM_RSRC2:TGID_Z_EN: 0
; COMPUTE_PGM_RSRC2:TIDIG_COMP_CNT: 0
; COMPUTE_PGM_RSRC3_GFX90A:ACCUM_OFFSET: 0
; COMPUTE_PGM_RSRC3_GFX90A:TG_SPLIT: 0
	.section	.text._ZN7rocprim17ROCPRIM_400000_NS6detail17trampoline_kernelINS0_14default_configENS1_37merge_sort_block_sort_config_selectorIhNS0_10empty_typeEEEZNS1_21merge_sort_block_sortIS3_N6thrust23THRUST_200600_302600_NS6detail15normal_iteratorINS9_10device_ptrIhEEEESE_PS5_SF_14custom_greaterIhEEE10hipError_tT0_T1_T2_T3_mRjT4_P12ihipStream_tbNS1_7vsmem_tEEUlT_E_NS1_11comp_targetILNS1_3genE9ELNS1_11target_archE1100ELNS1_3gpuE3ELNS1_3repE0EEENS1_30default_config_static_selectorELNS0_4arch9wavefront6targetE1EEEvSK_,"axG",@progbits,_ZN7rocprim17ROCPRIM_400000_NS6detail17trampoline_kernelINS0_14default_configENS1_37merge_sort_block_sort_config_selectorIhNS0_10empty_typeEEEZNS1_21merge_sort_block_sortIS3_N6thrust23THRUST_200600_302600_NS6detail15normal_iteratorINS9_10device_ptrIhEEEESE_PS5_SF_14custom_greaterIhEEE10hipError_tT0_T1_T2_T3_mRjT4_P12ihipStream_tbNS1_7vsmem_tEEUlT_E_NS1_11comp_targetILNS1_3genE9ELNS1_11target_archE1100ELNS1_3gpuE3ELNS1_3repE0EEENS1_30default_config_static_selectorELNS0_4arch9wavefront6targetE1EEEvSK_,comdat
	.protected	_ZN7rocprim17ROCPRIM_400000_NS6detail17trampoline_kernelINS0_14default_configENS1_37merge_sort_block_sort_config_selectorIhNS0_10empty_typeEEEZNS1_21merge_sort_block_sortIS3_N6thrust23THRUST_200600_302600_NS6detail15normal_iteratorINS9_10device_ptrIhEEEESE_PS5_SF_14custom_greaterIhEEE10hipError_tT0_T1_T2_T3_mRjT4_P12ihipStream_tbNS1_7vsmem_tEEUlT_E_NS1_11comp_targetILNS1_3genE9ELNS1_11target_archE1100ELNS1_3gpuE3ELNS1_3repE0EEENS1_30default_config_static_selectorELNS0_4arch9wavefront6targetE1EEEvSK_ ; -- Begin function _ZN7rocprim17ROCPRIM_400000_NS6detail17trampoline_kernelINS0_14default_configENS1_37merge_sort_block_sort_config_selectorIhNS0_10empty_typeEEEZNS1_21merge_sort_block_sortIS3_N6thrust23THRUST_200600_302600_NS6detail15normal_iteratorINS9_10device_ptrIhEEEESE_PS5_SF_14custom_greaterIhEEE10hipError_tT0_T1_T2_T3_mRjT4_P12ihipStream_tbNS1_7vsmem_tEEUlT_E_NS1_11comp_targetILNS1_3genE9ELNS1_11target_archE1100ELNS1_3gpuE3ELNS1_3repE0EEENS1_30default_config_static_selectorELNS0_4arch9wavefront6targetE1EEEvSK_
	.globl	_ZN7rocprim17ROCPRIM_400000_NS6detail17trampoline_kernelINS0_14default_configENS1_37merge_sort_block_sort_config_selectorIhNS0_10empty_typeEEEZNS1_21merge_sort_block_sortIS3_N6thrust23THRUST_200600_302600_NS6detail15normal_iteratorINS9_10device_ptrIhEEEESE_PS5_SF_14custom_greaterIhEEE10hipError_tT0_T1_T2_T3_mRjT4_P12ihipStream_tbNS1_7vsmem_tEEUlT_E_NS1_11comp_targetILNS1_3genE9ELNS1_11target_archE1100ELNS1_3gpuE3ELNS1_3repE0EEENS1_30default_config_static_selectorELNS0_4arch9wavefront6targetE1EEEvSK_
	.p2align	8
	.type	_ZN7rocprim17ROCPRIM_400000_NS6detail17trampoline_kernelINS0_14default_configENS1_37merge_sort_block_sort_config_selectorIhNS0_10empty_typeEEEZNS1_21merge_sort_block_sortIS3_N6thrust23THRUST_200600_302600_NS6detail15normal_iteratorINS9_10device_ptrIhEEEESE_PS5_SF_14custom_greaterIhEEE10hipError_tT0_T1_T2_T3_mRjT4_P12ihipStream_tbNS1_7vsmem_tEEUlT_E_NS1_11comp_targetILNS1_3genE9ELNS1_11target_archE1100ELNS1_3gpuE3ELNS1_3repE0EEENS1_30default_config_static_selectorELNS0_4arch9wavefront6targetE1EEEvSK_,@function
_ZN7rocprim17ROCPRIM_400000_NS6detail17trampoline_kernelINS0_14default_configENS1_37merge_sort_block_sort_config_selectorIhNS0_10empty_typeEEEZNS1_21merge_sort_block_sortIS3_N6thrust23THRUST_200600_302600_NS6detail15normal_iteratorINS9_10device_ptrIhEEEESE_PS5_SF_14custom_greaterIhEEE10hipError_tT0_T1_T2_T3_mRjT4_P12ihipStream_tbNS1_7vsmem_tEEUlT_E_NS1_11comp_targetILNS1_3genE9ELNS1_11target_archE1100ELNS1_3gpuE3ELNS1_3repE0EEENS1_30default_config_static_selectorELNS0_4arch9wavefront6targetE1EEEvSK_: ; @_ZN7rocprim17ROCPRIM_400000_NS6detail17trampoline_kernelINS0_14default_configENS1_37merge_sort_block_sort_config_selectorIhNS0_10empty_typeEEEZNS1_21merge_sort_block_sortIS3_N6thrust23THRUST_200600_302600_NS6detail15normal_iteratorINS9_10device_ptrIhEEEESE_PS5_SF_14custom_greaterIhEEE10hipError_tT0_T1_T2_T3_mRjT4_P12ihipStream_tbNS1_7vsmem_tEEUlT_E_NS1_11comp_targetILNS1_3genE9ELNS1_11target_archE1100ELNS1_3gpuE3ELNS1_3repE0EEENS1_30default_config_static_selectorELNS0_4arch9wavefront6targetE1EEEvSK_
; %bb.0:
	.section	.rodata,"a",@progbits
	.p2align	6, 0x0
	.amdhsa_kernel _ZN7rocprim17ROCPRIM_400000_NS6detail17trampoline_kernelINS0_14default_configENS1_37merge_sort_block_sort_config_selectorIhNS0_10empty_typeEEEZNS1_21merge_sort_block_sortIS3_N6thrust23THRUST_200600_302600_NS6detail15normal_iteratorINS9_10device_ptrIhEEEESE_PS5_SF_14custom_greaterIhEEE10hipError_tT0_T1_T2_T3_mRjT4_P12ihipStream_tbNS1_7vsmem_tEEUlT_E_NS1_11comp_targetILNS1_3genE9ELNS1_11target_archE1100ELNS1_3gpuE3ELNS1_3repE0EEENS1_30default_config_static_selectorELNS0_4arch9wavefront6targetE1EEEvSK_
		.amdhsa_group_segment_fixed_size 0
		.amdhsa_private_segment_fixed_size 0
		.amdhsa_kernarg_size 64
		.amdhsa_user_sgpr_count 6
		.amdhsa_user_sgpr_private_segment_buffer 1
		.amdhsa_user_sgpr_dispatch_ptr 0
		.amdhsa_user_sgpr_queue_ptr 0
		.amdhsa_user_sgpr_kernarg_segment_ptr 1
		.amdhsa_user_sgpr_dispatch_id 0
		.amdhsa_user_sgpr_flat_scratch_init 0
		.amdhsa_user_sgpr_kernarg_preload_length 0
		.amdhsa_user_sgpr_kernarg_preload_offset 0
		.amdhsa_user_sgpr_private_segment_size 0
		.amdhsa_uses_dynamic_stack 0
		.amdhsa_system_sgpr_private_segment_wavefront_offset 0
		.amdhsa_system_sgpr_workgroup_id_x 1
		.amdhsa_system_sgpr_workgroup_id_y 0
		.amdhsa_system_sgpr_workgroup_id_z 0
		.amdhsa_system_sgpr_workgroup_info 0
		.amdhsa_system_vgpr_workitem_id 0
		.amdhsa_next_free_vgpr 1
		.amdhsa_next_free_sgpr 0
		.amdhsa_accum_offset 4
		.amdhsa_reserve_vcc 0
		.amdhsa_reserve_flat_scratch 0
		.amdhsa_float_round_mode_32 0
		.amdhsa_float_round_mode_16_64 0
		.amdhsa_float_denorm_mode_32 3
		.amdhsa_float_denorm_mode_16_64 3
		.amdhsa_dx10_clamp 1
		.amdhsa_ieee_mode 1
		.amdhsa_fp16_overflow 0
		.amdhsa_tg_split 0
		.amdhsa_exception_fp_ieee_invalid_op 0
		.amdhsa_exception_fp_denorm_src 0
		.amdhsa_exception_fp_ieee_div_zero 0
		.amdhsa_exception_fp_ieee_overflow 0
		.amdhsa_exception_fp_ieee_underflow 0
		.amdhsa_exception_fp_ieee_inexact 0
		.amdhsa_exception_int_div_zero 0
	.end_amdhsa_kernel
	.section	.text._ZN7rocprim17ROCPRIM_400000_NS6detail17trampoline_kernelINS0_14default_configENS1_37merge_sort_block_sort_config_selectorIhNS0_10empty_typeEEEZNS1_21merge_sort_block_sortIS3_N6thrust23THRUST_200600_302600_NS6detail15normal_iteratorINS9_10device_ptrIhEEEESE_PS5_SF_14custom_greaterIhEEE10hipError_tT0_T1_T2_T3_mRjT4_P12ihipStream_tbNS1_7vsmem_tEEUlT_E_NS1_11comp_targetILNS1_3genE9ELNS1_11target_archE1100ELNS1_3gpuE3ELNS1_3repE0EEENS1_30default_config_static_selectorELNS0_4arch9wavefront6targetE1EEEvSK_,"axG",@progbits,_ZN7rocprim17ROCPRIM_400000_NS6detail17trampoline_kernelINS0_14default_configENS1_37merge_sort_block_sort_config_selectorIhNS0_10empty_typeEEEZNS1_21merge_sort_block_sortIS3_N6thrust23THRUST_200600_302600_NS6detail15normal_iteratorINS9_10device_ptrIhEEEESE_PS5_SF_14custom_greaterIhEEE10hipError_tT0_T1_T2_T3_mRjT4_P12ihipStream_tbNS1_7vsmem_tEEUlT_E_NS1_11comp_targetILNS1_3genE9ELNS1_11target_archE1100ELNS1_3gpuE3ELNS1_3repE0EEENS1_30default_config_static_selectorELNS0_4arch9wavefront6targetE1EEEvSK_,comdat
.Lfunc_end2859:
	.size	_ZN7rocprim17ROCPRIM_400000_NS6detail17trampoline_kernelINS0_14default_configENS1_37merge_sort_block_sort_config_selectorIhNS0_10empty_typeEEEZNS1_21merge_sort_block_sortIS3_N6thrust23THRUST_200600_302600_NS6detail15normal_iteratorINS9_10device_ptrIhEEEESE_PS5_SF_14custom_greaterIhEEE10hipError_tT0_T1_T2_T3_mRjT4_P12ihipStream_tbNS1_7vsmem_tEEUlT_E_NS1_11comp_targetILNS1_3genE9ELNS1_11target_archE1100ELNS1_3gpuE3ELNS1_3repE0EEENS1_30default_config_static_selectorELNS0_4arch9wavefront6targetE1EEEvSK_, .Lfunc_end2859-_ZN7rocprim17ROCPRIM_400000_NS6detail17trampoline_kernelINS0_14default_configENS1_37merge_sort_block_sort_config_selectorIhNS0_10empty_typeEEEZNS1_21merge_sort_block_sortIS3_N6thrust23THRUST_200600_302600_NS6detail15normal_iteratorINS9_10device_ptrIhEEEESE_PS5_SF_14custom_greaterIhEEE10hipError_tT0_T1_T2_T3_mRjT4_P12ihipStream_tbNS1_7vsmem_tEEUlT_E_NS1_11comp_targetILNS1_3genE9ELNS1_11target_archE1100ELNS1_3gpuE3ELNS1_3repE0EEENS1_30default_config_static_selectorELNS0_4arch9wavefront6targetE1EEEvSK_
                                        ; -- End function
	.section	.AMDGPU.csdata,"",@progbits
; Kernel info:
; codeLenInByte = 0
; NumSgprs: 4
; NumVgprs: 0
; NumAgprs: 0
; TotalNumVgprs: 0
; ScratchSize: 0
; MemoryBound: 0
; FloatMode: 240
; IeeeMode: 1
; LDSByteSize: 0 bytes/workgroup (compile time only)
; SGPRBlocks: 0
; VGPRBlocks: 0
; NumSGPRsForWavesPerEU: 4
; NumVGPRsForWavesPerEU: 1
; AccumOffset: 4
; Occupancy: 8
; WaveLimiterHint : 0
; COMPUTE_PGM_RSRC2:SCRATCH_EN: 0
; COMPUTE_PGM_RSRC2:USER_SGPR: 6
; COMPUTE_PGM_RSRC2:TRAP_HANDLER: 0
; COMPUTE_PGM_RSRC2:TGID_X_EN: 1
; COMPUTE_PGM_RSRC2:TGID_Y_EN: 0
; COMPUTE_PGM_RSRC2:TGID_Z_EN: 0
; COMPUTE_PGM_RSRC2:TIDIG_COMP_CNT: 0
; COMPUTE_PGM_RSRC3_GFX90A:ACCUM_OFFSET: 0
; COMPUTE_PGM_RSRC3_GFX90A:TG_SPLIT: 0
	.section	.text._ZN7rocprim17ROCPRIM_400000_NS6detail17trampoline_kernelINS0_14default_configENS1_37merge_sort_block_sort_config_selectorIhNS0_10empty_typeEEEZNS1_21merge_sort_block_sortIS3_N6thrust23THRUST_200600_302600_NS6detail15normal_iteratorINS9_10device_ptrIhEEEESE_PS5_SF_14custom_greaterIhEEE10hipError_tT0_T1_T2_T3_mRjT4_P12ihipStream_tbNS1_7vsmem_tEEUlT_E_NS1_11comp_targetILNS1_3genE8ELNS1_11target_archE1030ELNS1_3gpuE2ELNS1_3repE0EEENS1_30default_config_static_selectorELNS0_4arch9wavefront6targetE1EEEvSK_,"axG",@progbits,_ZN7rocprim17ROCPRIM_400000_NS6detail17trampoline_kernelINS0_14default_configENS1_37merge_sort_block_sort_config_selectorIhNS0_10empty_typeEEEZNS1_21merge_sort_block_sortIS3_N6thrust23THRUST_200600_302600_NS6detail15normal_iteratorINS9_10device_ptrIhEEEESE_PS5_SF_14custom_greaterIhEEE10hipError_tT0_T1_T2_T3_mRjT4_P12ihipStream_tbNS1_7vsmem_tEEUlT_E_NS1_11comp_targetILNS1_3genE8ELNS1_11target_archE1030ELNS1_3gpuE2ELNS1_3repE0EEENS1_30default_config_static_selectorELNS0_4arch9wavefront6targetE1EEEvSK_,comdat
	.protected	_ZN7rocprim17ROCPRIM_400000_NS6detail17trampoline_kernelINS0_14default_configENS1_37merge_sort_block_sort_config_selectorIhNS0_10empty_typeEEEZNS1_21merge_sort_block_sortIS3_N6thrust23THRUST_200600_302600_NS6detail15normal_iteratorINS9_10device_ptrIhEEEESE_PS5_SF_14custom_greaterIhEEE10hipError_tT0_T1_T2_T3_mRjT4_P12ihipStream_tbNS1_7vsmem_tEEUlT_E_NS1_11comp_targetILNS1_3genE8ELNS1_11target_archE1030ELNS1_3gpuE2ELNS1_3repE0EEENS1_30default_config_static_selectorELNS0_4arch9wavefront6targetE1EEEvSK_ ; -- Begin function _ZN7rocprim17ROCPRIM_400000_NS6detail17trampoline_kernelINS0_14default_configENS1_37merge_sort_block_sort_config_selectorIhNS0_10empty_typeEEEZNS1_21merge_sort_block_sortIS3_N6thrust23THRUST_200600_302600_NS6detail15normal_iteratorINS9_10device_ptrIhEEEESE_PS5_SF_14custom_greaterIhEEE10hipError_tT0_T1_T2_T3_mRjT4_P12ihipStream_tbNS1_7vsmem_tEEUlT_E_NS1_11comp_targetILNS1_3genE8ELNS1_11target_archE1030ELNS1_3gpuE2ELNS1_3repE0EEENS1_30default_config_static_selectorELNS0_4arch9wavefront6targetE1EEEvSK_
	.globl	_ZN7rocprim17ROCPRIM_400000_NS6detail17trampoline_kernelINS0_14default_configENS1_37merge_sort_block_sort_config_selectorIhNS0_10empty_typeEEEZNS1_21merge_sort_block_sortIS3_N6thrust23THRUST_200600_302600_NS6detail15normal_iteratorINS9_10device_ptrIhEEEESE_PS5_SF_14custom_greaterIhEEE10hipError_tT0_T1_T2_T3_mRjT4_P12ihipStream_tbNS1_7vsmem_tEEUlT_E_NS1_11comp_targetILNS1_3genE8ELNS1_11target_archE1030ELNS1_3gpuE2ELNS1_3repE0EEENS1_30default_config_static_selectorELNS0_4arch9wavefront6targetE1EEEvSK_
	.p2align	8
	.type	_ZN7rocprim17ROCPRIM_400000_NS6detail17trampoline_kernelINS0_14default_configENS1_37merge_sort_block_sort_config_selectorIhNS0_10empty_typeEEEZNS1_21merge_sort_block_sortIS3_N6thrust23THRUST_200600_302600_NS6detail15normal_iteratorINS9_10device_ptrIhEEEESE_PS5_SF_14custom_greaterIhEEE10hipError_tT0_T1_T2_T3_mRjT4_P12ihipStream_tbNS1_7vsmem_tEEUlT_E_NS1_11comp_targetILNS1_3genE8ELNS1_11target_archE1030ELNS1_3gpuE2ELNS1_3repE0EEENS1_30default_config_static_selectorELNS0_4arch9wavefront6targetE1EEEvSK_,@function
_ZN7rocprim17ROCPRIM_400000_NS6detail17trampoline_kernelINS0_14default_configENS1_37merge_sort_block_sort_config_selectorIhNS0_10empty_typeEEEZNS1_21merge_sort_block_sortIS3_N6thrust23THRUST_200600_302600_NS6detail15normal_iteratorINS9_10device_ptrIhEEEESE_PS5_SF_14custom_greaterIhEEE10hipError_tT0_T1_T2_T3_mRjT4_P12ihipStream_tbNS1_7vsmem_tEEUlT_E_NS1_11comp_targetILNS1_3genE8ELNS1_11target_archE1030ELNS1_3gpuE2ELNS1_3repE0EEENS1_30default_config_static_selectorELNS0_4arch9wavefront6targetE1EEEvSK_: ; @_ZN7rocprim17ROCPRIM_400000_NS6detail17trampoline_kernelINS0_14default_configENS1_37merge_sort_block_sort_config_selectorIhNS0_10empty_typeEEEZNS1_21merge_sort_block_sortIS3_N6thrust23THRUST_200600_302600_NS6detail15normal_iteratorINS9_10device_ptrIhEEEESE_PS5_SF_14custom_greaterIhEEE10hipError_tT0_T1_T2_T3_mRjT4_P12ihipStream_tbNS1_7vsmem_tEEUlT_E_NS1_11comp_targetILNS1_3genE8ELNS1_11target_archE1030ELNS1_3gpuE2ELNS1_3repE0EEENS1_30default_config_static_selectorELNS0_4arch9wavefront6targetE1EEEvSK_
; %bb.0:
	.section	.rodata,"a",@progbits
	.p2align	6, 0x0
	.amdhsa_kernel _ZN7rocprim17ROCPRIM_400000_NS6detail17trampoline_kernelINS0_14default_configENS1_37merge_sort_block_sort_config_selectorIhNS0_10empty_typeEEEZNS1_21merge_sort_block_sortIS3_N6thrust23THRUST_200600_302600_NS6detail15normal_iteratorINS9_10device_ptrIhEEEESE_PS5_SF_14custom_greaterIhEEE10hipError_tT0_T1_T2_T3_mRjT4_P12ihipStream_tbNS1_7vsmem_tEEUlT_E_NS1_11comp_targetILNS1_3genE8ELNS1_11target_archE1030ELNS1_3gpuE2ELNS1_3repE0EEENS1_30default_config_static_selectorELNS0_4arch9wavefront6targetE1EEEvSK_
		.amdhsa_group_segment_fixed_size 0
		.amdhsa_private_segment_fixed_size 0
		.amdhsa_kernarg_size 64
		.amdhsa_user_sgpr_count 6
		.amdhsa_user_sgpr_private_segment_buffer 1
		.amdhsa_user_sgpr_dispatch_ptr 0
		.amdhsa_user_sgpr_queue_ptr 0
		.amdhsa_user_sgpr_kernarg_segment_ptr 1
		.amdhsa_user_sgpr_dispatch_id 0
		.amdhsa_user_sgpr_flat_scratch_init 0
		.amdhsa_user_sgpr_kernarg_preload_length 0
		.amdhsa_user_sgpr_kernarg_preload_offset 0
		.amdhsa_user_sgpr_private_segment_size 0
		.amdhsa_uses_dynamic_stack 0
		.amdhsa_system_sgpr_private_segment_wavefront_offset 0
		.amdhsa_system_sgpr_workgroup_id_x 1
		.amdhsa_system_sgpr_workgroup_id_y 0
		.amdhsa_system_sgpr_workgroup_id_z 0
		.amdhsa_system_sgpr_workgroup_info 0
		.amdhsa_system_vgpr_workitem_id 0
		.amdhsa_next_free_vgpr 1
		.amdhsa_next_free_sgpr 0
		.amdhsa_accum_offset 4
		.amdhsa_reserve_vcc 0
		.amdhsa_reserve_flat_scratch 0
		.amdhsa_float_round_mode_32 0
		.amdhsa_float_round_mode_16_64 0
		.amdhsa_float_denorm_mode_32 3
		.amdhsa_float_denorm_mode_16_64 3
		.amdhsa_dx10_clamp 1
		.amdhsa_ieee_mode 1
		.amdhsa_fp16_overflow 0
		.amdhsa_tg_split 0
		.amdhsa_exception_fp_ieee_invalid_op 0
		.amdhsa_exception_fp_denorm_src 0
		.amdhsa_exception_fp_ieee_div_zero 0
		.amdhsa_exception_fp_ieee_overflow 0
		.amdhsa_exception_fp_ieee_underflow 0
		.amdhsa_exception_fp_ieee_inexact 0
		.amdhsa_exception_int_div_zero 0
	.end_amdhsa_kernel
	.section	.text._ZN7rocprim17ROCPRIM_400000_NS6detail17trampoline_kernelINS0_14default_configENS1_37merge_sort_block_sort_config_selectorIhNS0_10empty_typeEEEZNS1_21merge_sort_block_sortIS3_N6thrust23THRUST_200600_302600_NS6detail15normal_iteratorINS9_10device_ptrIhEEEESE_PS5_SF_14custom_greaterIhEEE10hipError_tT0_T1_T2_T3_mRjT4_P12ihipStream_tbNS1_7vsmem_tEEUlT_E_NS1_11comp_targetILNS1_3genE8ELNS1_11target_archE1030ELNS1_3gpuE2ELNS1_3repE0EEENS1_30default_config_static_selectorELNS0_4arch9wavefront6targetE1EEEvSK_,"axG",@progbits,_ZN7rocprim17ROCPRIM_400000_NS6detail17trampoline_kernelINS0_14default_configENS1_37merge_sort_block_sort_config_selectorIhNS0_10empty_typeEEEZNS1_21merge_sort_block_sortIS3_N6thrust23THRUST_200600_302600_NS6detail15normal_iteratorINS9_10device_ptrIhEEEESE_PS5_SF_14custom_greaterIhEEE10hipError_tT0_T1_T2_T3_mRjT4_P12ihipStream_tbNS1_7vsmem_tEEUlT_E_NS1_11comp_targetILNS1_3genE8ELNS1_11target_archE1030ELNS1_3gpuE2ELNS1_3repE0EEENS1_30default_config_static_selectorELNS0_4arch9wavefront6targetE1EEEvSK_,comdat
.Lfunc_end2860:
	.size	_ZN7rocprim17ROCPRIM_400000_NS6detail17trampoline_kernelINS0_14default_configENS1_37merge_sort_block_sort_config_selectorIhNS0_10empty_typeEEEZNS1_21merge_sort_block_sortIS3_N6thrust23THRUST_200600_302600_NS6detail15normal_iteratorINS9_10device_ptrIhEEEESE_PS5_SF_14custom_greaterIhEEE10hipError_tT0_T1_T2_T3_mRjT4_P12ihipStream_tbNS1_7vsmem_tEEUlT_E_NS1_11comp_targetILNS1_3genE8ELNS1_11target_archE1030ELNS1_3gpuE2ELNS1_3repE0EEENS1_30default_config_static_selectorELNS0_4arch9wavefront6targetE1EEEvSK_, .Lfunc_end2860-_ZN7rocprim17ROCPRIM_400000_NS6detail17trampoline_kernelINS0_14default_configENS1_37merge_sort_block_sort_config_selectorIhNS0_10empty_typeEEEZNS1_21merge_sort_block_sortIS3_N6thrust23THRUST_200600_302600_NS6detail15normal_iteratorINS9_10device_ptrIhEEEESE_PS5_SF_14custom_greaterIhEEE10hipError_tT0_T1_T2_T3_mRjT4_P12ihipStream_tbNS1_7vsmem_tEEUlT_E_NS1_11comp_targetILNS1_3genE8ELNS1_11target_archE1030ELNS1_3gpuE2ELNS1_3repE0EEENS1_30default_config_static_selectorELNS0_4arch9wavefront6targetE1EEEvSK_
                                        ; -- End function
	.section	.AMDGPU.csdata,"",@progbits
; Kernel info:
; codeLenInByte = 0
; NumSgprs: 4
; NumVgprs: 0
; NumAgprs: 0
; TotalNumVgprs: 0
; ScratchSize: 0
; MemoryBound: 0
; FloatMode: 240
; IeeeMode: 1
; LDSByteSize: 0 bytes/workgroup (compile time only)
; SGPRBlocks: 0
; VGPRBlocks: 0
; NumSGPRsForWavesPerEU: 4
; NumVGPRsForWavesPerEU: 1
; AccumOffset: 4
; Occupancy: 8
; WaveLimiterHint : 0
; COMPUTE_PGM_RSRC2:SCRATCH_EN: 0
; COMPUTE_PGM_RSRC2:USER_SGPR: 6
; COMPUTE_PGM_RSRC2:TRAP_HANDLER: 0
; COMPUTE_PGM_RSRC2:TGID_X_EN: 1
; COMPUTE_PGM_RSRC2:TGID_Y_EN: 0
; COMPUTE_PGM_RSRC2:TGID_Z_EN: 0
; COMPUTE_PGM_RSRC2:TIDIG_COMP_CNT: 0
; COMPUTE_PGM_RSRC3_GFX90A:ACCUM_OFFSET: 0
; COMPUTE_PGM_RSRC3_GFX90A:TG_SPLIT: 0
	.section	.text._ZN7rocprim17ROCPRIM_400000_NS6detail17trampoline_kernelINS0_14default_configENS1_38merge_sort_block_merge_config_selectorIhNS0_10empty_typeEEEZZNS1_27merge_sort_block_merge_implIS3_N6thrust23THRUST_200600_302600_NS6detail15normal_iteratorINS9_10device_ptrIhEEEEPS5_m14custom_greaterIhEEE10hipError_tT0_T1_T2_jT3_P12ihipStream_tbPNSt15iterator_traitsISJ_E10value_typeEPNSP_ISK_E10value_typeEPSL_NS1_7vsmem_tEENKUlT_SJ_SK_SL_E_clIPhSE_SF_SF_EESI_SY_SJ_SK_SL_EUlSY_E_NS1_11comp_targetILNS1_3genE0ELNS1_11target_archE4294967295ELNS1_3gpuE0ELNS1_3repE0EEENS1_48merge_mergepath_partition_config_static_selectorELNS0_4arch9wavefront6targetE1EEEvSK_,"axG",@progbits,_ZN7rocprim17ROCPRIM_400000_NS6detail17trampoline_kernelINS0_14default_configENS1_38merge_sort_block_merge_config_selectorIhNS0_10empty_typeEEEZZNS1_27merge_sort_block_merge_implIS3_N6thrust23THRUST_200600_302600_NS6detail15normal_iteratorINS9_10device_ptrIhEEEEPS5_m14custom_greaterIhEEE10hipError_tT0_T1_T2_jT3_P12ihipStream_tbPNSt15iterator_traitsISJ_E10value_typeEPNSP_ISK_E10value_typeEPSL_NS1_7vsmem_tEENKUlT_SJ_SK_SL_E_clIPhSE_SF_SF_EESI_SY_SJ_SK_SL_EUlSY_E_NS1_11comp_targetILNS1_3genE0ELNS1_11target_archE4294967295ELNS1_3gpuE0ELNS1_3repE0EEENS1_48merge_mergepath_partition_config_static_selectorELNS0_4arch9wavefront6targetE1EEEvSK_,comdat
	.protected	_ZN7rocprim17ROCPRIM_400000_NS6detail17trampoline_kernelINS0_14default_configENS1_38merge_sort_block_merge_config_selectorIhNS0_10empty_typeEEEZZNS1_27merge_sort_block_merge_implIS3_N6thrust23THRUST_200600_302600_NS6detail15normal_iteratorINS9_10device_ptrIhEEEEPS5_m14custom_greaterIhEEE10hipError_tT0_T1_T2_jT3_P12ihipStream_tbPNSt15iterator_traitsISJ_E10value_typeEPNSP_ISK_E10value_typeEPSL_NS1_7vsmem_tEENKUlT_SJ_SK_SL_E_clIPhSE_SF_SF_EESI_SY_SJ_SK_SL_EUlSY_E_NS1_11comp_targetILNS1_3genE0ELNS1_11target_archE4294967295ELNS1_3gpuE0ELNS1_3repE0EEENS1_48merge_mergepath_partition_config_static_selectorELNS0_4arch9wavefront6targetE1EEEvSK_ ; -- Begin function _ZN7rocprim17ROCPRIM_400000_NS6detail17trampoline_kernelINS0_14default_configENS1_38merge_sort_block_merge_config_selectorIhNS0_10empty_typeEEEZZNS1_27merge_sort_block_merge_implIS3_N6thrust23THRUST_200600_302600_NS6detail15normal_iteratorINS9_10device_ptrIhEEEEPS5_m14custom_greaterIhEEE10hipError_tT0_T1_T2_jT3_P12ihipStream_tbPNSt15iterator_traitsISJ_E10value_typeEPNSP_ISK_E10value_typeEPSL_NS1_7vsmem_tEENKUlT_SJ_SK_SL_E_clIPhSE_SF_SF_EESI_SY_SJ_SK_SL_EUlSY_E_NS1_11comp_targetILNS1_3genE0ELNS1_11target_archE4294967295ELNS1_3gpuE0ELNS1_3repE0EEENS1_48merge_mergepath_partition_config_static_selectorELNS0_4arch9wavefront6targetE1EEEvSK_
	.globl	_ZN7rocprim17ROCPRIM_400000_NS6detail17trampoline_kernelINS0_14default_configENS1_38merge_sort_block_merge_config_selectorIhNS0_10empty_typeEEEZZNS1_27merge_sort_block_merge_implIS3_N6thrust23THRUST_200600_302600_NS6detail15normal_iteratorINS9_10device_ptrIhEEEEPS5_m14custom_greaterIhEEE10hipError_tT0_T1_T2_jT3_P12ihipStream_tbPNSt15iterator_traitsISJ_E10value_typeEPNSP_ISK_E10value_typeEPSL_NS1_7vsmem_tEENKUlT_SJ_SK_SL_E_clIPhSE_SF_SF_EESI_SY_SJ_SK_SL_EUlSY_E_NS1_11comp_targetILNS1_3genE0ELNS1_11target_archE4294967295ELNS1_3gpuE0ELNS1_3repE0EEENS1_48merge_mergepath_partition_config_static_selectorELNS0_4arch9wavefront6targetE1EEEvSK_
	.p2align	8
	.type	_ZN7rocprim17ROCPRIM_400000_NS6detail17trampoline_kernelINS0_14default_configENS1_38merge_sort_block_merge_config_selectorIhNS0_10empty_typeEEEZZNS1_27merge_sort_block_merge_implIS3_N6thrust23THRUST_200600_302600_NS6detail15normal_iteratorINS9_10device_ptrIhEEEEPS5_m14custom_greaterIhEEE10hipError_tT0_T1_T2_jT3_P12ihipStream_tbPNSt15iterator_traitsISJ_E10value_typeEPNSP_ISK_E10value_typeEPSL_NS1_7vsmem_tEENKUlT_SJ_SK_SL_E_clIPhSE_SF_SF_EESI_SY_SJ_SK_SL_EUlSY_E_NS1_11comp_targetILNS1_3genE0ELNS1_11target_archE4294967295ELNS1_3gpuE0ELNS1_3repE0EEENS1_48merge_mergepath_partition_config_static_selectorELNS0_4arch9wavefront6targetE1EEEvSK_,@function
_ZN7rocprim17ROCPRIM_400000_NS6detail17trampoline_kernelINS0_14default_configENS1_38merge_sort_block_merge_config_selectorIhNS0_10empty_typeEEEZZNS1_27merge_sort_block_merge_implIS3_N6thrust23THRUST_200600_302600_NS6detail15normal_iteratorINS9_10device_ptrIhEEEEPS5_m14custom_greaterIhEEE10hipError_tT0_T1_T2_jT3_P12ihipStream_tbPNSt15iterator_traitsISJ_E10value_typeEPNSP_ISK_E10value_typeEPSL_NS1_7vsmem_tEENKUlT_SJ_SK_SL_E_clIPhSE_SF_SF_EESI_SY_SJ_SK_SL_EUlSY_E_NS1_11comp_targetILNS1_3genE0ELNS1_11target_archE4294967295ELNS1_3gpuE0ELNS1_3repE0EEENS1_48merge_mergepath_partition_config_static_selectorELNS0_4arch9wavefront6targetE1EEEvSK_: ; @_ZN7rocprim17ROCPRIM_400000_NS6detail17trampoline_kernelINS0_14default_configENS1_38merge_sort_block_merge_config_selectorIhNS0_10empty_typeEEEZZNS1_27merge_sort_block_merge_implIS3_N6thrust23THRUST_200600_302600_NS6detail15normal_iteratorINS9_10device_ptrIhEEEEPS5_m14custom_greaterIhEEE10hipError_tT0_T1_T2_jT3_P12ihipStream_tbPNSt15iterator_traitsISJ_E10value_typeEPNSP_ISK_E10value_typeEPSL_NS1_7vsmem_tEENKUlT_SJ_SK_SL_E_clIPhSE_SF_SF_EESI_SY_SJ_SK_SL_EUlSY_E_NS1_11comp_targetILNS1_3genE0ELNS1_11target_archE4294967295ELNS1_3gpuE0ELNS1_3repE0EEENS1_48merge_mergepath_partition_config_static_selectorELNS0_4arch9wavefront6targetE1EEEvSK_
; %bb.0:
	.section	.rodata,"a",@progbits
	.p2align	6, 0x0
	.amdhsa_kernel _ZN7rocprim17ROCPRIM_400000_NS6detail17trampoline_kernelINS0_14default_configENS1_38merge_sort_block_merge_config_selectorIhNS0_10empty_typeEEEZZNS1_27merge_sort_block_merge_implIS3_N6thrust23THRUST_200600_302600_NS6detail15normal_iteratorINS9_10device_ptrIhEEEEPS5_m14custom_greaterIhEEE10hipError_tT0_T1_T2_jT3_P12ihipStream_tbPNSt15iterator_traitsISJ_E10value_typeEPNSP_ISK_E10value_typeEPSL_NS1_7vsmem_tEENKUlT_SJ_SK_SL_E_clIPhSE_SF_SF_EESI_SY_SJ_SK_SL_EUlSY_E_NS1_11comp_targetILNS1_3genE0ELNS1_11target_archE4294967295ELNS1_3gpuE0ELNS1_3repE0EEENS1_48merge_mergepath_partition_config_static_selectorELNS0_4arch9wavefront6targetE1EEEvSK_
		.amdhsa_group_segment_fixed_size 0
		.amdhsa_private_segment_fixed_size 0
		.amdhsa_kernarg_size 48
		.amdhsa_user_sgpr_count 6
		.amdhsa_user_sgpr_private_segment_buffer 1
		.amdhsa_user_sgpr_dispatch_ptr 0
		.amdhsa_user_sgpr_queue_ptr 0
		.amdhsa_user_sgpr_kernarg_segment_ptr 1
		.amdhsa_user_sgpr_dispatch_id 0
		.amdhsa_user_sgpr_flat_scratch_init 0
		.amdhsa_user_sgpr_kernarg_preload_length 0
		.amdhsa_user_sgpr_kernarg_preload_offset 0
		.amdhsa_user_sgpr_private_segment_size 0
		.amdhsa_uses_dynamic_stack 0
		.amdhsa_system_sgpr_private_segment_wavefront_offset 0
		.amdhsa_system_sgpr_workgroup_id_x 1
		.amdhsa_system_sgpr_workgroup_id_y 0
		.amdhsa_system_sgpr_workgroup_id_z 0
		.amdhsa_system_sgpr_workgroup_info 0
		.amdhsa_system_vgpr_workitem_id 0
		.amdhsa_next_free_vgpr 1
		.amdhsa_next_free_sgpr 0
		.amdhsa_accum_offset 4
		.amdhsa_reserve_vcc 0
		.amdhsa_reserve_flat_scratch 0
		.amdhsa_float_round_mode_32 0
		.amdhsa_float_round_mode_16_64 0
		.amdhsa_float_denorm_mode_32 3
		.amdhsa_float_denorm_mode_16_64 3
		.amdhsa_dx10_clamp 1
		.amdhsa_ieee_mode 1
		.amdhsa_fp16_overflow 0
		.amdhsa_tg_split 0
		.amdhsa_exception_fp_ieee_invalid_op 0
		.amdhsa_exception_fp_denorm_src 0
		.amdhsa_exception_fp_ieee_div_zero 0
		.amdhsa_exception_fp_ieee_overflow 0
		.amdhsa_exception_fp_ieee_underflow 0
		.amdhsa_exception_fp_ieee_inexact 0
		.amdhsa_exception_int_div_zero 0
	.end_amdhsa_kernel
	.section	.text._ZN7rocprim17ROCPRIM_400000_NS6detail17trampoline_kernelINS0_14default_configENS1_38merge_sort_block_merge_config_selectorIhNS0_10empty_typeEEEZZNS1_27merge_sort_block_merge_implIS3_N6thrust23THRUST_200600_302600_NS6detail15normal_iteratorINS9_10device_ptrIhEEEEPS5_m14custom_greaterIhEEE10hipError_tT0_T1_T2_jT3_P12ihipStream_tbPNSt15iterator_traitsISJ_E10value_typeEPNSP_ISK_E10value_typeEPSL_NS1_7vsmem_tEENKUlT_SJ_SK_SL_E_clIPhSE_SF_SF_EESI_SY_SJ_SK_SL_EUlSY_E_NS1_11comp_targetILNS1_3genE0ELNS1_11target_archE4294967295ELNS1_3gpuE0ELNS1_3repE0EEENS1_48merge_mergepath_partition_config_static_selectorELNS0_4arch9wavefront6targetE1EEEvSK_,"axG",@progbits,_ZN7rocprim17ROCPRIM_400000_NS6detail17trampoline_kernelINS0_14default_configENS1_38merge_sort_block_merge_config_selectorIhNS0_10empty_typeEEEZZNS1_27merge_sort_block_merge_implIS3_N6thrust23THRUST_200600_302600_NS6detail15normal_iteratorINS9_10device_ptrIhEEEEPS5_m14custom_greaterIhEEE10hipError_tT0_T1_T2_jT3_P12ihipStream_tbPNSt15iterator_traitsISJ_E10value_typeEPNSP_ISK_E10value_typeEPSL_NS1_7vsmem_tEENKUlT_SJ_SK_SL_E_clIPhSE_SF_SF_EESI_SY_SJ_SK_SL_EUlSY_E_NS1_11comp_targetILNS1_3genE0ELNS1_11target_archE4294967295ELNS1_3gpuE0ELNS1_3repE0EEENS1_48merge_mergepath_partition_config_static_selectorELNS0_4arch9wavefront6targetE1EEEvSK_,comdat
.Lfunc_end2861:
	.size	_ZN7rocprim17ROCPRIM_400000_NS6detail17trampoline_kernelINS0_14default_configENS1_38merge_sort_block_merge_config_selectorIhNS0_10empty_typeEEEZZNS1_27merge_sort_block_merge_implIS3_N6thrust23THRUST_200600_302600_NS6detail15normal_iteratorINS9_10device_ptrIhEEEEPS5_m14custom_greaterIhEEE10hipError_tT0_T1_T2_jT3_P12ihipStream_tbPNSt15iterator_traitsISJ_E10value_typeEPNSP_ISK_E10value_typeEPSL_NS1_7vsmem_tEENKUlT_SJ_SK_SL_E_clIPhSE_SF_SF_EESI_SY_SJ_SK_SL_EUlSY_E_NS1_11comp_targetILNS1_3genE0ELNS1_11target_archE4294967295ELNS1_3gpuE0ELNS1_3repE0EEENS1_48merge_mergepath_partition_config_static_selectorELNS0_4arch9wavefront6targetE1EEEvSK_, .Lfunc_end2861-_ZN7rocprim17ROCPRIM_400000_NS6detail17trampoline_kernelINS0_14default_configENS1_38merge_sort_block_merge_config_selectorIhNS0_10empty_typeEEEZZNS1_27merge_sort_block_merge_implIS3_N6thrust23THRUST_200600_302600_NS6detail15normal_iteratorINS9_10device_ptrIhEEEEPS5_m14custom_greaterIhEEE10hipError_tT0_T1_T2_jT3_P12ihipStream_tbPNSt15iterator_traitsISJ_E10value_typeEPNSP_ISK_E10value_typeEPSL_NS1_7vsmem_tEENKUlT_SJ_SK_SL_E_clIPhSE_SF_SF_EESI_SY_SJ_SK_SL_EUlSY_E_NS1_11comp_targetILNS1_3genE0ELNS1_11target_archE4294967295ELNS1_3gpuE0ELNS1_3repE0EEENS1_48merge_mergepath_partition_config_static_selectorELNS0_4arch9wavefront6targetE1EEEvSK_
                                        ; -- End function
	.section	.AMDGPU.csdata,"",@progbits
; Kernel info:
; codeLenInByte = 0
; NumSgprs: 4
; NumVgprs: 0
; NumAgprs: 0
; TotalNumVgprs: 0
; ScratchSize: 0
; MemoryBound: 0
; FloatMode: 240
; IeeeMode: 1
; LDSByteSize: 0 bytes/workgroup (compile time only)
; SGPRBlocks: 0
; VGPRBlocks: 0
; NumSGPRsForWavesPerEU: 4
; NumVGPRsForWavesPerEU: 1
; AccumOffset: 4
; Occupancy: 8
; WaveLimiterHint : 0
; COMPUTE_PGM_RSRC2:SCRATCH_EN: 0
; COMPUTE_PGM_RSRC2:USER_SGPR: 6
; COMPUTE_PGM_RSRC2:TRAP_HANDLER: 0
; COMPUTE_PGM_RSRC2:TGID_X_EN: 1
; COMPUTE_PGM_RSRC2:TGID_Y_EN: 0
; COMPUTE_PGM_RSRC2:TGID_Z_EN: 0
; COMPUTE_PGM_RSRC2:TIDIG_COMP_CNT: 0
; COMPUTE_PGM_RSRC3_GFX90A:ACCUM_OFFSET: 0
; COMPUTE_PGM_RSRC3_GFX90A:TG_SPLIT: 0
	.section	.text._ZN7rocprim17ROCPRIM_400000_NS6detail17trampoline_kernelINS0_14default_configENS1_38merge_sort_block_merge_config_selectorIhNS0_10empty_typeEEEZZNS1_27merge_sort_block_merge_implIS3_N6thrust23THRUST_200600_302600_NS6detail15normal_iteratorINS9_10device_ptrIhEEEEPS5_m14custom_greaterIhEEE10hipError_tT0_T1_T2_jT3_P12ihipStream_tbPNSt15iterator_traitsISJ_E10value_typeEPNSP_ISK_E10value_typeEPSL_NS1_7vsmem_tEENKUlT_SJ_SK_SL_E_clIPhSE_SF_SF_EESI_SY_SJ_SK_SL_EUlSY_E_NS1_11comp_targetILNS1_3genE10ELNS1_11target_archE1201ELNS1_3gpuE5ELNS1_3repE0EEENS1_48merge_mergepath_partition_config_static_selectorELNS0_4arch9wavefront6targetE1EEEvSK_,"axG",@progbits,_ZN7rocprim17ROCPRIM_400000_NS6detail17trampoline_kernelINS0_14default_configENS1_38merge_sort_block_merge_config_selectorIhNS0_10empty_typeEEEZZNS1_27merge_sort_block_merge_implIS3_N6thrust23THRUST_200600_302600_NS6detail15normal_iteratorINS9_10device_ptrIhEEEEPS5_m14custom_greaterIhEEE10hipError_tT0_T1_T2_jT3_P12ihipStream_tbPNSt15iterator_traitsISJ_E10value_typeEPNSP_ISK_E10value_typeEPSL_NS1_7vsmem_tEENKUlT_SJ_SK_SL_E_clIPhSE_SF_SF_EESI_SY_SJ_SK_SL_EUlSY_E_NS1_11comp_targetILNS1_3genE10ELNS1_11target_archE1201ELNS1_3gpuE5ELNS1_3repE0EEENS1_48merge_mergepath_partition_config_static_selectorELNS0_4arch9wavefront6targetE1EEEvSK_,comdat
	.protected	_ZN7rocprim17ROCPRIM_400000_NS6detail17trampoline_kernelINS0_14default_configENS1_38merge_sort_block_merge_config_selectorIhNS0_10empty_typeEEEZZNS1_27merge_sort_block_merge_implIS3_N6thrust23THRUST_200600_302600_NS6detail15normal_iteratorINS9_10device_ptrIhEEEEPS5_m14custom_greaterIhEEE10hipError_tT0_T1_T2_jT3_P12ihipStream_tbPNSt15iterator_traitsISJ_E10value_typeEPNSP_ISK_E10value_typeEPSL_NS1_7vsmem_tEENKUlT_SJ_SK_SL_E_clIPhSE_SF_SF_EESI_SY_SJ_SK_SL_EUlSY_E_NS1_11comp_targetILNS1_3genE10ELNS1_11target_archE1201ELNS1_3gpuE5ELNS1_3repE0EEENS1_48merge_mergepath_partition_config_static_selectorELNS0_4arch9wavefront6targetE1EEEvSK_ ; -- Begin function _ZN7rocprim17ROCPRIM_400000_NS6detail17trampoline_kernelINS0_14default_configENS1_38merge_sort_block_merge_config_selectorIhNS0_10empty_typeEEEZZNS1_27merge_sort_block_merge_implIS3_N6thrust23THRUST_200600_302600_NS6detail15normal_iteratorINS9_10device_ptrIhEEEEPS5_m14custom_greaterIhEEE10hipError_tT0_T1_T2_jT3_P12ihipStream_tbPNSt15iterator_traitsISJ_E10value_typeEPNSP_ISK_E10value_typeEPSL_NS1_7vsmem_tEENKUlT_SJ_SK_SL_E_clIPhSE_SF_SF_EESI_SY_SJ_SK_SL_EUlSY_E_NS1_11comp_targetILNS1_3genE10ELNS1_11target_archE1201ELNS1_3gpuE5ELNS1_3repE0EEENS1_48merge_mergepath_partition_config_static_selectorELNS0_4arch9wavefront6targetE1EEEvSK_
	.globl	_ZN7rocprim17ROCPRIM_400000_NS6detail17trampoline_kernelINS0_14default_configENS1_38merge_sort_block_merge_config_selectorIhNS0_10empty_typeEEEZZNS1_27merge_sort_block_merge_implIS3_N6thrust23THRUST_200600_302600_NS6detail15normal_iteratorINS9_10device_ptrIhEEEEPS5_m14custom_greaterIhEEE10hipError_tT0_T1_T2_jT3_P12ihipStream_tbPNSt15iterator_traitsISJ_E10value_typeEPNSP_ISK_E10value_typeEPSL_NS1_7vsmem_tEENKUlT_SJ_SK_SL_E_clIPhSE_SF_SF_EESI_SY_SJ_SK_SL_EUlSY_E_NS1_11comp_targetILNS1_3genE10ELNS1_11target_archE1201ELNS1_3gpuE5ELNS1_3repE0EEENS1_48merge_mergepath_partition_config_static_selectorELNS0_4arch9wavefront6targetE1EEEvSK_
	.p2align	8
	.type	_ZN7rocprim17ROCPRIM_400000_NS6detail17trampoline_kernelINS0_14default_configENS1_38merge_sort_block_merge_config_selectorIhNS0_10empty_typeEEEZZNS1_27merge_sort_block_merge_implIS3_N6thrust23THRUST_200600_302600_NS6detail15normal_iteratorINS9_10device_ptrIhEEEEPS5_m14custom_greaterIhEEE10hipError_tT0_T1_T2_jT3_P12ihipStream_tbPNSt15iterator_traitsISJ_E10value_typeEPNSP_ISK_E10value_typeEPSL_NS1_7vsmem_tEENKUlT_SJ_SK_SL_E_clIPhSE_SF_SF_EESI_SY_SJ_SK_SL_EUlSY_E_NS1_11comp_targetILNS1_3genE10ELNS1_11target_archE1201ELNS1_3gpuE5ELNS1_3repE0EEENS1_48merge_mergepath_partition_config_static_selectorELNS0_4arch9wavefront6targetE1EEEvSK_,@function
_ZN7rocprim17ROCPRIM_400000_NS6detail17trampoline_kernelINS0_14default_configENS1_38merge_sort_block_merge_config_selectorIhNS0_10empty_typeEEEZZNS1_27merge_sort_block_merge_implIS3_N6thrust23THRUST_200600_302600_NS6detail15normal_iteratorINS9_10device_ptrIhEEEEPS5_m14custom_greaterIhEEE10hipError_tT0_T1_T2_jT3_P12ihipStream_tbPNSt15iterator_traitsISJ_E10value_typeEPNSP_ISK_E10value_typeEPSL_NS1_7vsmem_tEENKUlT_SJ_SK_SL_E_clIPhSE_SF_SF_EESI_SY_SJ_SK_SL_EUlSY_E_NS1_11comp_targetILNS1_3genE10ELNS1_11target_archE1201ELNS1_3gpuE5ELNS1_3repE0EEENS1_48merge_mergepath_partition_config_static_selectorELNS0_4arch9wavefront6targetE1EEEvSK_: ; @_ZN7rocprim17ROCPRIM_400000_NS6detail17trampoline_kernelINS0_14default_configENS1_38merge_sort_block_merge_config_selectorIhNS0_10empty_typeEEEZZNS1_27merge_sort_block_merge_implIS3_N6thrust23THRUST_200600_302600_NS6detail15normal_iteratorINS9_10device_ptrIhEEEEPS5_m14custom_greaterIhEEE10hipError_tT0_T1_T2_jT3_P12ihipStream_tbPNSt15iterator_traitsISJ_E10value_typeEPNSP_ISK_E10value_typeEPSL_NS1_7vsmem_tEENKUlT_SJ_SK_SL_E_clIPhSE_SF_SF_EESI_SY_SJ_SK_SL_EUlSY_E_NS1_11comp_targetILNS1_3genE10ELNS1_11target_archE1201ELNS1_3gpuE5ELNS1_3repE0EEENS1_48merge_mergepath_partition_config_static_selectorELNS0_4arch9wavefront6targetE1EEEvSK_
; %bb.0:
	.section	.rodata,"a",@progbits
	.p2align	6, 0x0
	.amdhsa_kernel _ZN7rocprim17ROCPRIM_400000_NS6detail17trampoline_kernelINS0_14default_configENS1_38merge_sort_block_merge_config_selectorIhNS0_10empty_typeEEEZZNS1_27merge_sort_block_merge_implIS3_N6thrust23THRUST_200600_302600_NS6detail15normal_iteratorINS9_10device_ptrIhEEEEPS5_m14custom_greaterIhEEE10hipError_tT0_T1_T2_jT3_P12ihipStream_tbPNSt15iterator_traitsISJ_E10value_typeEPNSP_ISK_E10value_typeEPSL_NS1_7vsmem_tEENKUlT_SJ_SK_SL_E_clIPhSE_SF_SF_EESI_SY_SJ_SK_SL_EUlSY_E_NS1_11comp_targetILNS1_3genE10ELNS1_11target_archE1201ELNS1_3gpuE5ELNS1_3repE0EEENS1_48merge_mergepath_partition_config_static_selectorELNS0_4arch9wavefront6targetE1EEEvSK_
		.amdhsa_group_segment_fixed_size 0
		.amdhsa_private_segment_fixed_size 0
		.amdhsa_kernarg_size 48
		.amdhsa_user_sgpr_count 6
		.amdhsa_user_sgpr_private_segment_buffer 1
		.amdhsa_user_sgpr_dispatch_ptr 0
		.amdhsa_user_sgpr_queue_ptr 0
		.amdhsa_user_sgpr_kernarg_segment_ptr 1
		.amdhsa_user_sgpr_dispatch_id 0
		.amdhsa_user_sgpr_flat_scratch_init 0
		.amdhsa_user_sgpr_kernarg_preload_length 0
		.amdhsa_user_sgpr_kernarg_preload_offset 0
		.amdhsa_user_sgpr_private_segment_size 0
		.amdhsa_uses_dynamic_stack 0
		.amdhsa_system_sgpr_private_segment_wavefront_offset 0
		.amdhsa_system_sgpr_workgroup_id_x 1
		.amdhsa_system_sgpr_workgroup_id_y 0
		.amdhsa_system_sgpr_workgroup_id_z 0
		.amdhsa_system_sgpr_workgroup_info 0
		.amdhsa_system_vgpr_workitem_id 0
		.amdhsa_next_free_vgpr 1
		.amdhsa_next_free_sgpr 0
		.amdhsa_accum_offset 4
		.amdhsa_reserve_vcc 0
		.amdhsa_reserve_flat_scratch 0
		.amdhsa_float_round_mode_32 0
		.amdhsa_float_round_mode_16_64 0
		.amdhsa_float_denorm_mode_32 3
		.amdhsa_float_denorm_mode_16_64 3
		.amdhsa_dx10_clamp 1
		.amdhsa_ieee_mode 1
		.amdhsa_fp16_overflow 0
		.amdhsa_tg_split 0
		.amdhsa_exception_fp_ieee_invalid_op 0
		.amdhsa_exception_fp_denorm_src 0
		.amdhsa_exception_fp_ieee_div_zero 0
		.amdhsa_exception_fp_ieee_overflow 0
		.amdhsa_exception_fp_ieee_underflow 0
		.amdhsa_exception_fp_ieee_inexact 0
		.amdhsa_exception_int_div_zero 0
	.end_amdhsa_kernel
	.section	.text._ZN7rocprim17ROCPRIM_400000_NS6detail17trampoline_kernelINS0_14default_configENS1_38merge_sort_block_merge_config_selectorIhNS0_10empty_typeEEEZZNS1_27merge_sort_block_merge_implIS3_N6thrust23THRUST_200600_302600_NS6detail15normal_iteratorINS9_10device_ptrIhEEEEPS5_m14custom_greaterIhEEE10hipError_tT0_T1_T2_jT3_P12ihipStream_tbPNSt15iterator_traitsISJ_E10value_typeEPNSP_ISK_E10value_typeEPSL_NS1_7vsmem_tEENKUlT_SJ_SK_SL_E_clIPhSE_SF_SF_EESI_SY_SJ_SK_SL_EUlSY_E_NS1_11comp_targetILNS1_3genE10ELNS1_11target_archE1201ELNS1_3gpuE5ELNS1_3repE0EEENS1_48merge_mergepath_partition_config_static_selectorELNS0_4arch9wavefront6targetE1EEEvSK_,"axG",@progbits,_ZN7rocprim17ROCPRIM_400000_NS6detail17trampoline_kernelINS0_14default_configENS1_38merge_sort_block_merge_config_selectorIhNS0_10empty_typeEEEZZNS1_27merge_sort_block_merge_implIS3_N6thrust23THRUST_200600_302600_NS6detail15normal_iteratorINS9_10device_ptrIhEEEEPS5_m14custom_greaterIhEEE10hipError_tT0_T1_T2_jT3_P12ihipStream_tbPNSt15iterator_traitsISJ_E10value_typeEPNSP_ISK_E10value_typeEPSL_NS1_7vsmem_tEENKUlT_SJ_SK_SL_E_clIPhSE_SF_SF_EESI_SY_SJ_SK_SL_EUlSY_E_NS1_11comp_targetILNS1_3genE10ELNS1_11target_archE1201ELNS1_3gpuE5ELNS1_3repE0EEENS1_48merge_mergepath_partition_config_static_selectorELNS0_4arch9wavefront6targetE1EEEvSK_,comdat
.Lfunc_end2862:
	.size	_ZN7rocprim17ROCPRIM_400000_NS6detail17trampoline_kernelINS0_14default_configENS1_38merge_sort_block_merge_config_selectorIhNS0_10empty_typeEEEZZNS1_27merge_sort_block_merge_implIS3_N6thrust23THRUST_200600_302600_NS6detail15normal_iteratorINS9_10device_ptrIhEEEEPS5_m14custom_greaterIhEEE10hipError_tT0_T1_T2_jT3_P12ihipStream_tbPNSt15iterator_traitsISJ_E10value_typeEPNSP_ISK_E10value_typeEPSL_NS1_7vsmem_tEENKUlT_SJ_SK_SL_E_clIPhSE_SF_SF_EESI_SY_SJ_SK_SL_EUlSY_E_NS1_11comp_targetILNS1_3genE10ELNS1_11target_archE1201ELNS1_3gpuE5ELNS1_3repE0EEENS1_48merge_mergepath_partition_config_static_selectorELNS0_4arch9wavefront6targetE1EEEvSK_, .Lfunc_end2862-_ZN7rocprim17ROCPRIM_400000_NS6detail17trampoline_kernelINS0_14default_configENS1_38merge_sort_block_merge_config_selectorIhNS0_10empty_typeEEEZZNS1_27merge_sort_block_merge_implIS3_N6thrust23THRUST_200600_302600_NS6detail15normal_iteratorINS9_10device_ptrIhEEEEPS5_m14custom_greaterIhEEE10hipError_tT0_T1_T2_jT3_P12ihipStream_tbPNSt15iterator_traitsISJ_E10value_typeEPNSP_ISK_E10value_typeEPSL_NS1_7vsmem_tEENKUlT_SJ_SK_SL_E_clIPhSE_SF_SF_EESI_SY_SJ_SK_SL_EUlSY_E_NS1_11comp_targetILNS1_3genE10ELNS1_11target_archE1201ELNS1_3gpuE5ELNS1_3repE0EEENS1_48merge_mergepath_partition_config_static_selectorELNS0_4arch9wavefront6targetE1EEEvSK_
                                        ; -- End function
	.section	.AMDGPU.csdata,"",@progbits
; Kernel info:
; codeLenInByte = 0
; NumSgprs: 4
; NumVgprs: 0
; NumAgprs: 0
; TotalNumVgprs: 0
; ScratchSize: 0
; MemoryBound: 0
; FloatMode: 240
; IeeeMode: 1
; LDSByteSize: 0 bytes/workgroup (compile time only)
; SGPRBlocks: 0
; VGPRBlocks: 0
; NumSGPRsForWavesPerEU: 4
; NumVGPRsForWavesPerEU: 1
; AccumOffset: 4
; Occupancy: 8
; WaveLimiterHint : 0
; COMPUTE_PGM_RSRC2:SCRATCH_EN: 0
; COMPUTE_PGM_RSRC2:USER_SGPR: 6
; COMPUTE_PGM_RSRC2:TRAP_HANDLER: 0
; COMPUTE_PGM_RSRC2:TGID_X_EN: 1
; COMPUTE_PGM_RSRC2:TGID_Y_EN: 0
; COMPUTE_PGM_RSRC2:TGID_Z_EN: 0
; COMPUTE_PGM_RSRC2:TIDIG_COMP_CNT: 0
; COMPUTE_PGM_RSRC3_GFX90A:ACCUM_OFFSET: 0
; COMPUTE_PGM_RSRC3_GFX90A:TG_SPLIT: 0
	.section	.text._ZN7rocprim17ROCPRIM_400000_NS6detail17trampoline_kernelINS0_14default_configENS1_38merge_sort_block_merge_config_selectorIhNS0_10empty_typeEEEZZNS1_27merge_sort_block_merge_implIS3_N6thrust23THRUST_200600_302600_NS6detail15normal_iteratorINS9_10device_ptrIhEEEEPS5_m14custom_greaterIhEEE10hipError_tT0_T1_T2_jT3_P12ihipStream_tbPNSt15iterator_traitsISJ_E10value_typeEPNSP_ISK_E10value_typeEPSL_NS1_7vsmem_tEENKUlT_SJ_SK_SL_E_clIPhSE_SF_SF_EESI_SY_SJ_SK_SL_EUlSY_E_NS1_11comp_targetILNS1_3genE5ELNS1_11target_archE942ELNS1_3gpuE9ELNS1_3repE0EEENS1_48merge_mergepath_partition_config_static_selectorELNS0_4arch9wavefront6targetE1EEEvSK_,"axG",@progbits,_ZN7rocprim17ROCPRIM_400000_NS6detail17trampoline_kernelINS0_14default_configENS1_38merge_sort_block_merge_config_selectorIhNS0_10empty_typeEEEZZNS1_27merge_sort_block_merge_implIS3_N6thrust23THRUST_200600_302600_NS6detail15normal_iteratorINS9_10device_ptrIhEEEEPS5_m14custom_greaterIhEEE10hipError_tT0_T1_T2_jT3_P12ihipStream_tbPNSt15iterator_traitsISJ_E10value_typeEPNSP_ISK_E10value_typeEPSL_NS1_7vsmem_tEENKUlT_SJ_SK_SL_E_clIPhSE_SF_SF_EESI_SY_SJ_SK_SL_EUlSY_E_NS1_11comp_targetILNS1_3genE5ELNS1_11target_archE942ELNS1_3gpuE9ELNS1_3repE0EEENS1_48merge_mergepath_partition_config_static_selectorELNS0_4arch9wavefront6targetE1EEEvSK_,comdat
	.protected	_ZN7rocprim17ROCPRIM_400000_NS6detail17trampoline_kernelINS0_14default_configENS1_38merge_sort_block_merge_config_selectorIhNS0_10empty_typeEEEZZNS1_27merge_sort_block_merge_implIS3_N6thrust23THRUST_200600_302600_NS6detail15normal_iteratorINS9_10device_ptrIhEEEEPS5_m14custom_greaterIhEEE10hipError_tT0_T1_T2_jT3_P12ihipStream_tbPNSt15iterator_traitsISJ_E10value_typeEPNSP_ISK_E10value_typeEPSL_NS1_7vsmem_tEENKUlT_SJ_SK_SL_E_clIPhSE_SF_SF_EESI_SY_SJ_SK_SL_EUlSY_E_NS1_11comp_targetILNS1_3genE5ELNS1_11target_archE942ELNS1_3gpuE9ELNS1_3repE0EEENS1_48merge_mergepath_partition_config_static_selectorELNS0_4arch9wavefront6targetE1EEEvSK_ ; -- Begin function _ZN7rocprim17ROCPRIM_400000_NS6detail17trampoline_kernelINS0_14default_configENS1_38merge_sort_block_merge_config_selectorIhNS0_10empty_typeEEEZZNS1_27merge_sort_block_merge_implIS3_N6thrust23THRUST_200600_302600_NS6detail15normal_iteratorINS9_10device_ptrIhEEEEPS5_m14custom_greaterIhEEE10hipError_tT0_T1_T2_jT3_P12ihipStream_tbPNSt15iterator_traitsISJ_E10value_typeEPNSP_ISK_E10value_typeEPSL_NS1_7vsmem_tEENKUlT_SJ_SK_SL_E_clIPhSE_SF_SF_EESI_SY_SJ_SK_SL_EUlSY_E_NS1_11comp_targetILNS1_3genE5ELNS1_11target_archE942ELNS1_3gpuE9ELNS1_3repE0EEENS1_48merge_mergepath_partition_config_static_selectorELNS0_4arch9wavefront6targetE1EEEvSK_
	.globl	_ZN7rocprim17ROCPRIM_400000_NS6detail17trampoline_kernelINS0_14default_configENS1_38merge_sort_block_merge_config_selectorIhNS0_10empty_typeEEEZZNS1_27merge_sort_block_merge_implIS3_N6thrust23THRUST_200600_302600_NS6detail15normal_iteratorINS9_10device_ptrIhEEEEPS5_m14custom_greaterIhEEE10hipError_tT0_T1_T2_jT3_P12ihipStream_tbPNSt15iterator_traitsISJ_E10value_typeEPNSP_ISK_E10value_typeEPSL_NS1_7vsmem_tEENKUlT_SJ_SK_SL_E_clIPhSE_SF_SF_EESI_SY_SJ_SK_SL_EUlSY_E_NS1_11comp_targetILNS1_3genE5ELNS1_11target_archE942ELNS1_3gpuE9ELNS1_3repE0EEENS1_48merge_mergepath_partition_config_static_selectorELNS0_4arch9wavefront6targetE1EEEvSK_
	.p2align	8
	.type	_ZN7rocprim17ROCPRIM_400000_NS6detail17trampoline_kernelINS0_14default_configENS1_38merge_sort_block_merge_config_selectorIhNS0_10empty_typeEEEZZNS1_27merge_sort_block_merge_implIS3_N6thrust23THRUST_200600_302600_NS6detail15normal_iteratorINS9_10device_ptrIhEEEEPS5_m14custom_greaterIhEEE10hipError_tT0_T1_T2_jT3_P12ihipStream_tbPNSt15iterator_traitsISJ_E10value_typeEPNSP_ISK_E10value_typeEPSL_NS1_7vsmem_tEENKUlT_SJ_SK_SL_E_clIPhSE_SF_SF_EESI_SY_SJ_SK_SL_EUlSY_E_NS1_11comp_targetILNS1_3genE5ELNS1_11target_archE942ELNS1_3gpuE9ELNS1_3repE0EEENS1_48merge_mergepath_partition_config_static_selectorELNS0_4arch9wavefront6targetE1EEEvSK_,@function
_ZN7rocprim17ROCPRIM_400000_NS6detail17trampoline_kernelINS0_14default_configENS1_38merge_sort_block_merge_config_selectorIhNS0_10empty_typeEEEZZNS1_27merge_sort_block_merge_implIS3_N6thrust23THRUST_200600_302600_NS6detail15normal_iteratorINS9_10device_ptrIhEEEEPS5_m14custom_greaterIhEEE10hipError_tT0_T1_T2_jT3_P12ihipStream_tbPNSt15iterator_traitsISJ_E10value_typeEPNSP_ISK_E10value_typeEPSL_NS1_7vsmem_tEENKUlT_SJ_SK_SL_E_clIPhSE_SF_SF_EESI_SY_SJ_SK_SL_EUlSY_E_NS1_11comp_targetILNS1_3genE5ELNS1_11target_archE942ELNS1_3gpuE9ELNS1_3repE0EEENS1_48merge_mergepath_partition_config_static_selectorELNS0_4arch9wavefront6targetE1EEEvSK_: ; @_ZN7rocprim17ROCPRIM_400000_NS6detail17trampoline_kernelINS0_14default_configENS1_38merge_sort_block_merge_config_selectorIhNS0_10empty_typeEEEZZNS1_27merge_sort_block_merge_implIS3_N6thrust23THRUST_200600_302600_NS6detail15normal_iteratorINS9_10device_ptrIhEEEEPS5_m14custom_greaterIhEEE10hipError_tT0_T1_T2_jT3_P12ihipStream_tbPNSt15iterator_traitsISJ_E10value_typeEPNSP_ISK_E10value_typeEPSL_NS1_7vsmem_tEENKUlT_SJ_SK_SL_E_clIPhSE_SF_SF_EESI_SY_SJ_SK_SL_EUlSY_E_NS1_11comp_targetILNS1_3genE5ELNS1_11target_archE942ELNS1_3gpuE9ELNS1_3repE0EEENS1_48merge_mergepath_partition_config_static_selectorELNS0_4arch9wavefront6targetE1EEEvSK_
; %bb.0:
	.section	.rodata,"a",@progbits
	.p2align	6, 0x0
	.amdhsa_kernel _ZN7rocprim17ROCPRIM_400000_NS6detail17trampoline_kernelINS0_14default_configENS1_38merge_sort_block_merge_config_selectorIhNS0_10empty_typeEEEZZNS1_27merge_sort_block_merge_implIS3_N6thrust23THRUST_200600_302600_NS6detail15normal_iteratorINS9_10device_ptrIhEEEEPS5_m14custom_greaterIhEEE10hipError_tT0_T1_T2_jT3_P12ihipStream_tbPNSt15iterator_traitsISJ_E10value_typeEPNSP_ISK_E10value_typeEPSL_NS1_7vsmem_tEENKUlT_SJ_SK_SL_E_clIPhSE_SF_SF_EESI_SY_SJ_SK_SL_EUlSY_E_NS1_11comp_targetILNS1_3genE5ELNS1_11target_archE942ELNS1_3gpuE9ELNS1_3repE0EEENS1_48merge_mergepath_partition_config_static_selectorELNS0_4arch9wavefront6targetE1EEEvSK_
		.amdhsa_group_segment_fixed_size 0
		.amdhsa_private_segment_fixed_size 0
		.amdhsa_kernarg_size 48
		.amdhsa_user_sgpr_count 6
		.amdhsa_user_sgpr_private_segment_buffer 1
		.amdhsa_user_sgpr_dispatch_ptr 0
		.amdhsa_user_sgpr_queue_ptr 0
		.amdhsa_user_sgpr_kernarg_segment_ptr 1
		.amdhsa_user_sgpr_dispatch_id 0
		.amdhsa_user_sgpr_flat_scratch_init 0
		.amdhsa_user_sgpr_kernarg_preload_length 0
		.amdhsa_user_sgpr_kernarg_preload_offset 0
		.amdhsa_user_sgpr_private_segment_size 0
		.amdhsa_uses_dynamic_stack 0
		.amdhsa_system_sgpr_private_segment_wavefront_offset 0
		.amdhsa_system_sgpr_workgroup_id_x 1
		.amdhsa_system_sgpr_workgroup_id_y 0
		.amdhsa_system_sgpr_workgroup_id_z 0
		.amdhsa_system_sgpr_workgroup_info 0
		.amdhsa_system_vgpr_workitem_id 0
		.amdhsa_next_free_vgpr 1
		.amdhsa_next_free_sgpr 0
		.amdhsa_accum_offset 4
		.amdhsa_reserve_vcc 0
		.amdhsa_reserve_flat_scratch 0
		.amdhsa_float_round_mode_32 0
		.amdhsa_float_round_mode_16_64 0
		.amdhsa_float_denorm_mode_32 3
		.amdhsa_float_denorm_mode_16_64 3
		.amdhsa_dx10_clamp 1
		.amdhsa_ieee_mode 1
		.amdhsa_fp16_overflow 0
		.amdhsa_tg_split 0
		.amdhsa_exception_fp_ieee_invalid_op 0
		.amdhsa_exception_fp_denorm_src 0
		.amdhsa_exception_fp_ieee_div_zero 0
		.amdhsa_exception_fp_ieee_overflow 0
		.amdhsa_exception_fp_ieee_underflow 0
		.amdhsa_exception_fp_ieee_inexact 0
		.amdhsa_exception_int_div_zero 0
	.end_amdhsa_kernel
	.section	.text._ZN7rocprim17ROCPRIM_400000_NS6detail17trampoline_kernelINS0_14default_configENS1_38merge_sort_block_merge_config_selectorIhNS0_10empty_typeEEEZZNS1_27merge_sort_block_merge_implIS3_N6thrust23THRUST_200600_302600_NS6detail15normal_iteratorINS9_10device_ptrIhEEEEPS5_m14custom_greaterIhEEE10hipError_tT0_T1_T2_jT3_P12ihipStream_tbPNSt15iterator_traitsISJ_E10value_typeEPNSP_ISK_E10value_typeEPSL_NS1_7vsmem_tEENKUlT_SJ_SK_SL_E_clIPhSE_SF_SF_EESI_SY_SJ_SK_SL_EUlSY_E_NS1_11comp_targetILNS1_3genE5ELNS1_11target_archE942ELNS1_3gpuE9ELNS1_3repE0EEENS1_48merge_mergepath_partition_config_static_selectorELNS0_4arch9wavefront6targetE1EEEvSK_,"axG",@progbits,_ZN7rocprim17ROCPRIM_400000_NS6detail17trampoline_kernelINS0_14default_configENS1_38merge_sort_block_merge_config_selectorIhNS0_10empty_typeEEEZZNS1_27merge_sort_block_merge_implIS3_N6thrust23THRUST_200600_302600_NS6detail15normal_iteratorINS9_10device_ptrIhEEEEPS5_m14custom_greaterIhEEE10hipError_tT0_T1_T2_jT3_P12ihipStream_tbPNSt15iterator_traitsISJ_E10value_typeEPNSP_ISK_E10value_typeEPSL_NS1_7vsmem_tEENKUlT_SJ_SK_SL_E_clIPhSE_SF_SF_EESI_SY_SJ_SK_SL_EUlSY_E_NS1_11comp_targetILNS1_3genE5ELNS1_11target_archE942ELNS1_3gpuE9ELNS1_3repE0EEENS1_48merge_mergepath_partition_config_static_selectorELNS0_4arch9wavefront6targetE1EEEvSK_,comdat
.Lfunc_end2863:
	.size	_ZN7rocprim17ROCPRIM_400000_NS6detail17trampoline_kernelINS0_14default_configENS1_38merge_sort_block_merge_config_selectorIhNS0_10empty_typeEEEZZNS1_27merge_sort_block_merge_implIS3_N6thrust23THRUST_200600_302600_NS6detail15normal_iteratorINS9_10device_ptrIhEEEEPS5_m14custom_greaterIhEEE10hipError_tT0_T1_T2_jT3_P12ihipStream_tbPNSt15iterator_traitsISJ_E10value_typeEPNSP_ISK_E10value_typeEPSL_NS1_7vsmem_tEENKUlT_SJ_SK_SL_E_clIPhSE_SF_SF_EESI_SY_SJ_SK_SL_EUlSY_E_NS1_11comp_targetILNS1_3genE5ELNS1_11target_archE942ELNS1_3gpuE9ELNS1_3repE0EEENS1_48merge_mergepath_partition_config_static_selectorELNS0_4arch9wavefront6targetE1EEEvSK_, .Lfunc_end2863-_ZN7rocprim17ROCPRIM_400000_NS6detail17trampoline_kernelINS0_14default_configENS1_38merge_sort_block_merge_config_selectorIhNS0_10empty_typeEEEZZNS1_27merge_sort_block_merge_implIS3_N6thrust23THRUST_200600_302600_NS6detail15normal_iteratorINS9_10device_ptrIhEEEEPS5_m14custom_greaterIhEEE10hipError_tT0_T1_T2_jT3_P12ihipStream_tbPNSt15iterator_traitsISJ_E10value_typeEPNSP_ISK_E10value_typeEPSL_NS1_7vsmem_tEENKUlT_SJ_SK_SL_E_clIPhSE_SF_SF_EESI_SY_SJ_SK_SL_EUlSY_E_NS1_11comp_targetILNS1_3genE5ELNS1_11target_archE942ELNS1_3gpuE9ELNS1_3repE0EEENS1_48merge_mergepath_partition_config_static_selectorELNS0_4arch9wavefront6targetE1EEEvSK_
                                        ; -- End function
	.section	.AMDGPU.csdata,"",@progbits
; Kernel info:
; codeLenInByte = 0
; NumSgprs: 4
; NumVgprs: 0
; NumAgprs: 0
; TotalNumVgprs: 0
; ScratchSize: 0
; MemoryBound: 0
; FloatMode: 240
; IeeeMode: 1
; LDSByteSize: 0 bytes/workgroup (compile time only)
; SGPRBlocks: 0
; VGPRBlocks: 0
; NumSGPRsForWavesPerEU: 4
; NumVGPRsForWavesPerEU: 1
; AccumOffset: 4
; Occupancy: 8
; WaveLimiterHint : 0
; COMPUTE_PGM_RSRC2:SCRATCH_EN: 0
; COMPUTE_PGM_RSRC2:USER_SGPR: 6
; COMPUTE_PGM_RSRC2:TRAP_HANDLER: 0
; COMPUTE_PGM_RSRC2:TGID_X_EN: 1
; COMPUTE_PGM_RSRC2:TGID_Y_EN: 0
; COMPUTE_PGM_RSRC2:TGID_Z_EN: 0
; COMPUTE_PGM_RSRC2:TIDIG_COMP_CNT: 0
; COMPUTE_PGM_RSRC3_GFX90A:ACCUM_OFFSET: 0
; COMPUTE_PGM_RSRC3_GFX90A:TG_SPLIT: 0
	.section	.text._ZN7rocprim17ROCPRIM_400000_NS6detail17trampoline_kernelINS0_14default_configENS1_38merge_sort_block_merge_config_selectorIhNS0_10empty_typeEEEZZNS1_27merge_sort_block_merge_implIS3_N6thrust23THRUST_200600_302600_NS6detail15normal_iteratorINS9_10device_ptrIhEEEEPS5_m14custom_greaterIhEEE10hipError_tT0_T1_T2_jT3_P12ihipStream_tbPNSt15iterator_traitsISJ_E10value_typeEPNSP_ISK_E10value_typeEPSL_NS1_7vsmem_tEENKUlT_SJ_SK_SL_E_clIPhSE_SF_SF_EESI_SY_SJ_SK_SL_EUlSY_E_NS1_11comp_targetILNS1_3genE4ELNS1_11target_archE910ELNS1_3gpuE8ELNS1_3repE0EEENS1_48merge_mergepath_partition_config_static_selectorELNS0_4arch9wavefront6targetE1EEEvSK_,"axG",@progbits,_ZN7rocprim17ROCPRIM_400000_NS6detail17trampoline_kernelINS0_14default_configENS1_38merge_sort_block_merge_config_selectorIhNS0_10empty_typeEEEZZNS1_27merge_sort_block_merge_implIS3_N6thrust23THRUST_200600_302600_NS6detail15normal_iteratorINS9_10device_ptrIhEEEEPS5_m14custom_greaterIhEEE10hipError_tT0_T1_T2_jT3_P12ihipStream_tbPNSt15iterator_traitsISJ_E10value_typeEPNSP_ISK_E10value_typeEPSL_NS1_7vsmem_tEENKUlT_SJ_SK_SL_E_clIPhSE_SF_SF_EESI_SY_SJ_SK_SL_EUlSY_E_NS1_11comp_targetILNS1_3genE4ELNS1_11target_archE910ELNS1_3gpuE8ELNS1_3repE0EEENS1_48merge_mergepath_partition_config_static_selectorELNS0_4arch9wavefront6targetE1EEEvSK_,comdat
	.protected	_ZN7rocprim17ROCPRIM_400000_NS6detail17trampoline_kernelINS0_14default_configENS1_38merge_sort_block_merge_config_selectorIhNS0_10empty_typeEEEZZNS1_27merge_sort_block_merge_implIS3_N6thrust23THRUST_200600_302600_NS6detail15normal_iteratorINS9_10device_ptrIhEEEEPS5_m14custom_greaterIhEEE10hipError_tT0_T1_T2_jT3_P12ihipStream_tbPNSt15iterator_traitsISJ_E10value_typeEPNSP_ISK_E10value_typeEPSL_NS1_7vsmem_tEENKUlT_SJ_SK_SL_E_clIPhSE_SF_SF_EESI_SY_SJ_SK_SL_EUlSY_E_NS1_11comp_targetILNS1_3genE4ELNS1_11target_archE910ELNS1_3gpuE8ELNS1_3repE0EEENS1_48merge_mergepath_partition_config_static_selectorELNS0_4arch9wavefront6targetE1EEEvSK_ ; -- Begin function _ZN7rocprim17ROCPRIM_400000_NS6detail17trampoline_kernelINS0_14default_configENS1_38merge_sort_block_merge_config_selectorIhNS0_10empty_typeEEEZZNS1_27merge_sort_block_merge_implIS3_N6thrust23THRUST_200600_302600_NS6detail15normal_iteratorINS9_10device_ptrIhEEEEPS5_m14custom_greaterIhEEE10hipError_tT0_T1_T2_jT3_P12ihipStream_tbPNSt15iterator_traitsISJ_E10value_typeEPNSP_ISK_E10value_typeEPSL_NS1_7vsmem_tEENKUlT_SJ_SK_SL_E_clIPhSE_SF_SF_EESI_SY_SJ_SK_SL_EUlSY_E_NS1_11comp_targetILNS1_3genE4ELNS1_11target_archE910ELNS1_3gpuE8ELNS1_3repE0EEENS1_48merge_mergepath_partition_config_static_selectorELNS0_4arch9wavefront6targetE1EEEvSK_
	.globl	_ZN7rocprim17ROCPRIM_400000_NS6detail17trampoline_kernelINS0_14default_configENS1_38merge_sort_block_merge_config_selectorIhNS0_10empty_typeEEEZZNS1_27merge_sort_block_merge_implIS3_N6thrust23THRUST_200600_302600_NS6detail15normal_iteratorINS9_10device_ptrIhEEEEPS5_m14custom_greaterIhEEE10hipError_tT0_T1_T2_jT3_P12ihipStream_tbPNSt15iterator_traitsISJ_E10value_typeEPNSP_ISK_E10value_typeEPSL_NS1_7vsmem_tEENKUlT_SJ_SK_SL_E_clIPhSE_SF_SF_EESI_SY_SJ_SK_SL_EUlSY_E_NS1_11comp_targetILNS1_3genE4ELNS1_11target_archE910ELNS1_3gpuE8ELNS1_3repE0EEENS1_48merge_mergepath_partition_config_static_selectorELNS0_4arch9wavefront6targetE1EEEvSK_
	.p2align	8
	.type	_ZN7rocprim17ROCPRIM_400000_NS6detail17trampoline_kernelINS0_14default_configENS1_38merge_sort_block_merge_config_selectorIhNS0_10empty_typeEEEZZNS1_27merge_sort_block_merge_implIS3_N6thrust23THRUST_200600_302600_NS6detail15normal_iteratorINS9_10device_ptrIhEEEEPS5_m14custom_greaterIhEEE10hipError_tT0_T1_T2_jT3_P12ihipStream_tbPNSt15iterator_traitsISJ_E10value_typeEPNSP_ISK_E10value_typeEPSL_NS1_7vsmem_tEENKUlT_SJ_SK_SL_E_clIPhSE_SF_SF_EESI_SY_SJ_SK_SL_EUlSY_E_NS1_11comp_targetILNS1_3genE4ELNS1_11target_archE910ELNS1_3gpuE8ELNS1_3repE0EEENS1_48merge_mergepath_partition_config_static_selectorELNS0_4arch9wavefront6targetE1EEEvSK_,@function
_ZN7rocprim17ROCPRIM_400000_NS6detail17trampoline_kernelINS0_14default_configENS1_38merge_sort_block_merge_config_selectorIhNS0_10empty_typeEEEZZNS1_27merge_sort_block_merge_implIS3_N6thrust23THRUST_200600_302600_NS6detail15normal_iteratorINS9_10device_ptrIhEEEEPS5_m14custom_greaterIhEEE10hipError_tT0_T1_T2_jT3_P12ihipStream_tbPNSt15iterator_traitsISJ_E10value_typeEPNSP_ISK_E10value_typeEPSL_NS1_7vsmem_tEENKUlT_SJ_SK_SL_E_clIPhSE_SF_SF_EESI_SY_SJ_SK_SL_EUlSY_E_NS1_11comp_targetILNS1_3genE4ELNS1_11target_archE910ELNS1_3gpuE8ELNS1_3repE0EEENS1_48merge_mergepath_partition_config_static_selectorELNS0_4arch9wavefront6targetE1EEEvSK_: ; @_ZN7rocprim17ROCPRIM_400000_NS6detail17trampoline_kernelINS0_14default_configENS1_38merge_sort_block_merge_config_selectorIhNS0_10empty_typeEEEZZNS1_27merge_sort_block_merge_implIS3_N6thrust23THRUST_200600_302600_NS6detail15normal_iteratorINS9_10device_ptrIhEEEEPS5_m14custom_greaterIhEEE10hipError_tT0_T1_T2_jT3_P12ihipStream_tbPNSt15iterator_traitsISJ_E10value_typeEPNSP_ISK_E10value_typeEPSL_NS1_7vsmem_tEENKUlT_SJ_SK_SL_E_clIPhSE_SF_SF_EESI_SY_SJ_SK_SL_EUlSY_E_NS1_11comp_targetILNS1_3genE4ELNS1_11target_archE910ELNS1_3gpuE8ELNS1_3repE0EEENS1_48merge_mergepath_partition_config_static_selectorELNS0_4arch9wavefront6targetE1EEEvSK_
; %bb.0:
	s_load_dword s0, s[4:5], 0x0
	v_lshl_or_b32 v0, s6, 7, v0
	s_waitcnt lgkmcnt(0)
	v_cmp_gt_u32_e32 vcc, s0, v0
	s_and_saveexec_b64 s[0:1], vcc
	s_cbranch_execz .LBB2864_6
; %bb.1:
	s_load_dwordx4 s[0:3], s[4:5], 0x8
	s_load_dwordx2 s[6:7], s[4:5], 0x28
	v_mov_b32_e32 v5, 0
	s_waitcnt lgkmcnt(0)
	v_mov_b32_e32 v1, s0
	v_alignbit_b32 v1, s1, v1, 9
	v_and_b32_e32 v1, -2, v1
	v_add_u32_e32 v2, -1, v1
	v_sub_u32_e32 v1, 0, v1
	v_and_b32_e32 v4, v0, v1
	v_lshlrev_b64 v[8:9], 10, v[4:5]
	v_mov_b32_e32 v4, s3
	v_cmp_lt_u64_e32 vcc, s[2:3], v[8:9]
	v_mov_b32_e32 v7, s2
	v_and_b32_e32 v6, v2, v0
	v_cndmask_b32_e32 v1, v9, v4, vcc
	v_cndmask_b32_e32 v2, v8, v7, vcc
	v_mov_b32_e32 v3, s1
	v_add_co_u32_e32 v8, vcc, s0, v8
	v_addc_co_u32_e32 v9, vcc, v9, v3, vcc
	v_cmp_lt_u64_e32 vcc, s[2:3], v[8:9]
	v_cndmask_b32_e32 v8, v8, v7, vcc
	v_cndmask_b32_e32 v3, v9, v4, vcc
	v_mov_b32_e32 v9, s1
	v_add_co_u32_e32 v10, vcc, s0, v8
	v_addc_co_u32_e32 v11, vcc, v3, v9, vcc
	v_cmp_lt_u64_e32 vcc, s[2:3], v[10:11]
	v_cndmask_b32_e32 v12, v10, v7, vcc
	v_cndmask_b32_e32 v9, v11, v4, vcc
	v_sub_co_u32_e32 v10, vcc, v12, v2
	v_mov_b32_e32 v7, v5
	v_subb_co_u32_e32 v11, vcc, v9, v1, vcc
	v_lshlrev_b64 v[4:5], 10, v[6:7]
	v_cmp_lt_u64_e32 vcc, v[10:11], v[4:5]
	v_cndmask_b32_e32 v11, v5, v11, vcc
	v_cndmask_b32_e32 v10, v4, v10, vcc
	v_sub_co_u32_e32 v6, vcc, v8, v2
	v_subb_co_u32_e32 v7, vcc, v3, v1, vcc
	v_sub_co_u32_e32 v4, vcc, v8, v12
	v_subb_co_u32_e32 v5, vcc, v3, v9, vcc
	v_add_co_u32_e32 v4, vcc, v10, v4
	v_addc_co_u32_e32 v5, vcc, v11, v5, vcc
	v_cmp_gt_u64_e32 vcc, v[4:5], v[10:11]
	v_cndmask_b32_e64 v5, v5, 0, vcc
	v_cndmask_b32_e64 v4, v4, 0, vcc
	v_cmp_lt_u64_e32 vcc, v[10:11], v[6:7]
	v_cndmask_b32_e32 v7, v7, v11, vcc
	v_cndmask_b32_e32 v6, v6, v10, vcc
	v_cmp_lt_u64_e32 vcc, v[4:5], v[6:7]
	s_and_saveexec_b64 s[0:1], vcc
	s_cbranch_execz .LBB2864_5
; %bb.2:
	s_load_dwordx2 s[2:3], s[4:5], 0x18
	s_waitcnt lgkmcnt(0)
	v_mov_b32_e32 v13, s3
	v_add_co_u32_e32 v9, vcc, s2, v2
	v_addc_co_u32_e32 v12, vcc, v13, v1, vcc
	v_add_co_u32_e32 v8, vcc, s2, v8
	v_addc_co_u32_e32 v13, vcc, v13, v3, vcc
	;; [unrolled: 2-line block ×3, first 2 shown]
	s_mov_b64 s[2:3], 0
.LBB2864_3:                             ; =>This Inner Loop Header: Depth=1
	v_add_co_u32_e32 v10, vcc, v6, v4
	v_addc_co_u32_e32 v11, vcc, v7, v5, vcc
	v_lshrrev_b64 v[10:11], 1, v[10:11]
	v_add_co_u32_e32 v14, vcc, v9, v10
	v_not_b32_e32 v16, v10
	v_addc_co_u32_e32 v15, vcc, v12, v11, vcc
	v_not_b32_e32 v13, v11
	v_add_co_u32_e32 v16, vcc, v3, v16
	v_addc_co_u32_e32 v17, vcc, v8, v13, vcc
	global_load_ubyte v13, v[14:15], off
	global_load_ubyte v18, v[16:17], off
	v_add_co_u32_e32 v14, vcc, 1, v10
	v_addc_co_u32_e32 v15, vcc, 0, v11, vcc
	s_waitcnt vmcnt(0)
	v_cmp_gt_u16_e32 vcc, v13, v18
	v_cndmask_b32_e32 v7, v7, v11, vcc
	v_cndmask_b32_e32 v6, v6, v10, vcc
	;; [unrolled: 1-line block ×4, first 2 shown]
	v_cmp_ge_u64_e32 vcc, v[4:5], v[6:7]
	s_or_b64 s[2:3], vcc, s[2:3]
	s_andn2_b64 exec, exec, s[2:3]
	s_cbranch_execnz .LBB2864_3
; %bb.4:
	s_or_b64 exec, exec, s[2:3]
.LBB2864_5:
	s_or_b64 exec, exec, s[0:1]
	v_add_co_u32_e32 v2, vcc, v4, v2
	v_addc_co_u32_e32 v3, vcc, v5, v1, vcc
	v_mov_b32_e32 v1, 0
	v_lshlrev_b64 v[0:1], 3, v[0:1]
	v_mov_b32_e32 v4, s7
	v_add_co_u32_e32 v0, vcc, s6, v0
	v_addc_co_u32_e32 v1, vcc, v4, v1, vcc
	global_store_dwordx2 v[0:1], v[2:3], off
.LBB2864_6:
	s_endpgm
	.section	.rodata,"a",@progbits
	.p2align	6, 0x0
	.amdhsa_kernel _ZN7rocprim17ROCPRIM_400000_NS6detail17trampoline_kernelINS0_14default_configENS1_38merge_sort_block_merge_config_selectorIhNS0_10empty_typeEEEZZNS1_27merge_sort_block_merge_implIS3_N6thrust23THRUST_200600_302600_NS6detail15normal_iteratorINS9_10device_ptrIhEEEEPS5_m14custom_greaterIhEEE10hipError_tT0_T1_T2_jT3_P12ihipStream_tbPNSt15iterator_traitsISJ_E10value_typeEPNSP_ISK_E10value_typeEPSL_NS1_7vsmem_tEENKUlT_SJ_SK_SL_E_clIPhSE_SF_SF_EESI_SY_SJ_SK_SL_EUlSY_E_NS1_11comp_targetILNS1_3genE4ELNS1_11target_archE910ELNS1_3gpuE8ELNS1_3repE0EEENS1_48merge_mergepath_partition_config_static_selectorELNS0_4arch9wavefront6targetE1EEEvSK_
		.amdhsa_group_segment_fixed_size 0
		.amdhsa_private_segment_fixed_size 0
		.amdhsa_kernarg_size 48
		.amdhsa_user_sgpr_count 6
		.amdhsa_user_sgpr_private_segment_buffer 1
		.amdhsa_user_sgpr_dispatch_ptr 0
		.amdhsa_user_sgpr_queue_ptr 0
		.amdhsa_user_sgpr_kernarg_segment_ptr 1
		.amdhsa_user_sgpr_dispatch_id 0
		.amdhsa_user_sgpr_flat_scratch_init 0
		.amdhsa_user_sgpr_kernarg_preload_length 0
		.amdhsa_user_sgpr_kernarg_preload_offset 0
		.amdhsa_user_sgpr_private_segment_size 0
		.amdhsa_uses_dynamic_stack 0
		.amdhsa_system_sgpr_private_segment_wavefront_offset 0
		.amdhsa_system_sgpr_workgroup_id_x 1
		.amdhsa_system_sgpr_workgroup_id_y 0
		.amdhsa_system_sgpr_workgroup_id_z 0
		.amdhsa_system_sgpr_workgroup_info 0
		.amdhsa_system_vgpr_workitem_id 0
		.amdhsa_next_free_vgpr 19
		.amdhsa_next_free_sgpr 8
		.amdhsa_accum_offset 20
		.amdhsa_reserve_vcc 1
		.amdhsa_reserve_flat_scratch 0
		.amdhsa_float_round_mode_32 0
		.amdhsa_float_round_mode_16_64 0
		.amdhsa_float_denorm_mode_32 3
		.amdhsa_float_denorm_mode_16_64 3
		.amdhsa_dx10_clamp 1
		.amdhsa_ieee_mode 1
		.amdhsa_fp16_overflow 0
		.amdhsa_tg_split 0
		.amdhsa_exception_fp_ieee_invalid_op 0
		.amdhsa_exception_fp_denorm_src 0
		.amdhsa_exception_fp_ieee_div_zero 0
		.amdhsa_exception_fp_ieee_overflow 0
		.amdhsa_exception_fp_ieee_underflow 0
		.amdhsa_exception_fp_ieee_inexact 0
		.amdhsa_exception_int_div_zero 0
	.end_amdhsa_kernel
	.section	.text._ZN7rocprim17ROCPRIM_400000_NS6detail17trampoline_kernelINS0_14default_configENS1_38merge_sort_block_merge_config_selectorIhNS0_10empty_typeEEEZZNS1_27merge_sort_block_merge_implIS3_N6thrust23THRUST_200600_302600_NS6detail15normal_iteratorINS9_10device_ptrIhEEEEPS5_m14custom_greaterIhEEE10hipError_tT0_T1_T2_jT3_P12ihipStream_tbPNSt15iterator_traitsISJ_E10value_typeEPNSP_ISK_E10value_typeEPSL_NS1_7vsmem_tEENKUlT_SJ_SK_SL_E_clIPhSE_SF_SF_EESI_SY_SJ_SK_SL_EUlSY_E_NS1_11comp_targetILNS1_3genE4ELNS1_11target_archE910ELNS1_3gpuE8ELNS1_3repE0EEENS1_48merge_mergepath_partition_config_static_selectorELNS0_4arch9wavefront6targetE1EEEvSK_,"axG",@progbits,_ZN7rocprim17ROCPRIM_400000_NS6detail17trampoline_kernelINS0_14default_configENS1_38merge_sort_block_merge_config_selectorIhNS0_10empty_typeEEEZZNS1_27merge_sort_block_merge_implIS3_N6thrust23THRUST_200600_302600_NS6detail15normal_iteratorINS9_10device_ptrIhEEEEPS5_m14custom_greaterIhEEE10hipError_tT0_T1_T2_jT3_P12ihipStream_tbPNSt15iterator_traitsISJ_E10value_typeEPNSP_ISK_E10value_typeEPSL_NS1_7vsmem_tEENKUlT_SJ_SK_SL_E_clIPhSE_SF_SF_EESI_SY_SJ_SK_SL_EUlSY_E_NS1_11comp_targetILNS1_3genE4ELNS1_11target_archE910ELNS1_3gpuE8ELNS1_3repE0EEENS1_48merge_mergepath_partition_config_static_selectorELNS0_4arch9wavefront6targetE1EEEvSK_,comdat
.Lfunc_end2864:
	.size	_ZN7rocprim17ROCPRIM_400000_NS6detail17trampoline_kernelINS0_14default_configENS1_38merge_sort_block_merge_config_selectorIhNS0_10empty_typeEEEZZNS1_27merge_sort_block_merge_implIS3_N6thrust23THRUST_200600_302600_NS6detail15normal_iteratorINS9_10device_ptrIhEEEEPS5_m14custom_greaterIhEEE10hipError_tT0_T1_T2_jT3_P12ihipStream_tbPNSt15iterator_traitsISJ_E10value_typeEPNSP_ISK_E10value_typeEPSL_NS1_7vsmem_tEENKUlT_SJ_SK_SL_E_clIPhSE_SF_SF_EESI_SY_SJ_SK_SL_EUlSY_E_NS1_11comp_targetILNS1_3genE4ELNS1_11target_archE910ELNS1_3gpuE8ELNS1_3repE0EEENS1_48merge_mergepath_partition_config_static_selectorELNS0_4arch9wavefront6targetE1EEEvSK_, .Lfunc_end2864-_ZN7rocprim17ROCPRIM_400000_NS6detail17trampoline_kernelINS0_14default_configENS1_38merge_sort_block_merge_config_selectorIhNS0_10empty_typeEEEZZNS1_27merge_sort_block_merge_implIS3_N6thrust23THRUST_200600_302600_NS6detail15normal_iteratorINS9_10device_ptrIhEEEEPS5_m14custom_greaterIhEEE10hipError_tT0_T1_T2_jT3_P12ihipStream_tbPNSt15iterator_traitsISJ_E10value_typeEPNSP_ISK_E10value_typeEPSL_NS1_7vsmem_tEENKUlT_SJ_SK_SL_E_clIPhSE_SF_SF_EESI_SY_SJ_SK_SL_EUlSY_E_NS1_11comp_targetILNS1_3genE4ELNS1_11target_archE910ELNS1_3gpuE8ELNS1_3repE0EEENS1_48merge_mergepath_partition_config_static_selectorELNS0_4arch9wavefront6targetE1EEEvSK_
                                        ; -- End function
	.section	.AMDGPU.csdata,"",@progbits
; Kernel info:
; codeLenInByte = 464
; NumSgprs: 12
; NumVgprs: 19
; NumAgprs: 0
; TotalNumVgprs: 19
; ScratchSize: 0
; MemoryBound: 0
; FloatMode: 240
; IeeeMode: 1
; LDSByteSize: 0 bytes/workgroup (compile time only)
; SGPRBlocks: 1
; VGPRBlocks: 2
; NumSGPRsForWavesPerEU: 12
; NumVGPRsForWavesPerEU: 19
; AccumOffset: 20
; Occupancy: 8
; WaveLimiterHint : 0
; COMPUTE_PGM_RSRC2:SCRATCH_EN: 0
; COMPUTE_PGM_RSRC2:USER_SGPR: 6
; COMPUTE_PGM_RSRC2:TRAP_HANDLER: 0
; COMPUTE_PGM_RSRC2:TGID_X_EN: 1
; COMPUTE_PGM_RSRC2:TGID_Y_EN: 0
; COMPUTE_PGM_RSRC2:TGID_Z_EN: 0
; COMPUTE_PGM_RSRC2:TIDIG_COMP_CNT: 0
; COMPUTE_PGM_RSRC3_GFX90A:ACCUM_OFFSET: 4
; COMPUTE_PGM_RSRC3_GFX90A:TG_SPLIT: 0
	.section	.text._ZN7rocprim17ROCPRIM_400000_NS6detail17trampoline_kernelINS0_14default_configENS1_38merge_sort_block_merge_config_selectorIhNS0_10empty_typeEEEZZNS1_27merge_sort_block_merge_implIS3_N6thrust23THRUST_200600_302600_NS6detail15normal_iteratorINS9_10device_ptrIhEEEEPS5_m14custom_greaterIhEEE10hipError_tT0_T1_T2_jT3_P12ihipStream_tbPNSt15iterator_traitsISJ_E10value_typeEPNSP_ISK_E10value_typeEPSL_NS1_7vsmem_tEENKUlT_SJ_SK_SL_E_clIPhSE_SF_SF_EESI_SY_SJ_SK_SL_EUlSY_E_NS1_11comp_targetILNS1_3genE3ELNS1_11target_archE908ELNS1_3gpuE7ELNS1_3repE0EEENS1_48merge_mergepath_partition_config_static_selectorELNS0_4arch9wavefront6targetE1EEEvSK_,"axG",@progbits,_ZN7rocprim17ROCPRIM_400000_NS6detail17trampoline_kernelINS0_14default_configENS1_38merge_sort_block_merge_config_selectorIhNS0_10empty_typeEEEZZNS1_27merge_sort_block_merge_implIS3_N6thrust23THRUST_200600_302600_NS6detail15normal_iteratorINS9_10device_ptrIhEEEEPS5_m14custom_greaterIhEEE10hipError_tT0_T1_T2_jT3_P12ihipStream_tbPNSt15iterator_traitsISJ_E10value_typeEPNSP_ISK_E10value_typeEPSL_NS1_7vsmem_tEENKUlT_SJ_SK_SL_E_clIPhSE_SF_SF_EESI_SY_SJ_SK_SL_EUlSY_E_NS1_11comp_targetILNS1_3genE3ELNS1_11target_archE908ELNS1_3gpuE7ELNS1_3repE0EEENS1_48merge_mergepath_partition_config_static_selectorELNS0_4arch9wavefront6targetE1EEEvSK_,comdat
	.protected	_ZN7rocprim17ROCPRIM_400000_NS6detail17trampoline_kernelINS0_14default_configENS1_38merge_sort_block_merge_config_selectorIhNS0_10empty_typeEEEZZNS1_27merge_sort_block_merge_implIS3_N6thrust23THRUST_200600_302600_NS6detail15normal_iteratorINS9_10device_ptrIhEEEEPS5_m14custom_greaterIhEEE10hipError_tT0_T1_T2_jT3_P12ihipStream_tbPNSt15iterator_traitsISJ_E10value_typeEPNSP_ISK_E10value_typeEPSL_NS1_7vsmem_tEENKUlT_SJ_SK_SL_E_clIPhSE_SF_SF_EESI_SY_SJ_SK_SL_EUlSY_E_NS1_11comp_targetILNS1_3genE3ELNS1_11target_archE908ELNS1_3gpuE7ELNS1_3repE0EEENS1_48merge_mergepath_partition_config_static_selectorELNS0_4arch9wavefront6targetE1EEEvSK_ ; -- Begin function _ZN7rocprim17ROCPRIM_400000_NS6detail17trampoline_kernelINS0_14default_configENS1_38merge_sort_block_merge_config_selectorIhNS0_10empty_typeEEEZZNS1_27merge_sort_block_merge_implIS3_N6thrust23THRUST_200600_302600_NS6detail15normal_iteratorINS9_10device_ptrIhEEEEPS5_m14custom_greaterIhEEE10hipError_tT0_T1_T2_jT3_P12ihipStream_tbPNSt15iterator_traitsISJ_E10value_typeEPNSP_ISK_E10value_typeEPSL_NS1_7vsmem_tEENKUlT_SJ_SK_SL_E_clIPhSE_SF_SF_EESI_SY_SJ_SK_SL_EUlSY_E_NS1_11comp_targetILNS1_3genE3ELNS1_11target_archE908ELNS1_3gpuE7ELNS1_3repE0EEENS1_48merge_mergepath_partition_config_static_selectorELNS0_4arch9wavefront6targetE1EEEvSK_
	.globl	_ZN7rocprim17ROCPRIM_400000_NS6detail17trampoline_kernelINS0_14default_configENS1_38merge_sort_block_merge_config_selectorIhNS0_10empty_typeEEEZZNS1_27merge_sort_block_merge_implIS3_N6thrust23THRUST_200600_302600_NS6detail15normal_iteratorINS9_10device_ptrIhEEEEPS5_m14custom_greaterIhEEE10hipError_tT0_T1_T2_jT3_P12ihipStream_tbPNSt15iterator_traitsISJ_E10value_typeEPNSP_ISK_E10value_typeEPSL_NS1_7vsmem_tEENKUlT_SJ_SK_SL_E_clIPhSE_SF_SF_EESI_SY_SJ_SK_SL_EUlSY_E_NS1_11comp_targetILNS1_3genE3ELNS1_11target_archE908ELNS1_3gpuE7ELNS1_3repE0EEENS1_48merge_mergepath_partition_config_static_selectorELNS0_4arch9wavefront6targetE1EEEvSK_
	.p2align	8
	.type	_ZN7rocprim17ROCPRIM_400000_NS6detail17trampoline_kernelINS0_14default_configENS1_38merge_sort_block_merge_config_selectorIhNS0_10empty_typeEEEZZNS1_27merge_sort_block_merge_implIS3_N6thrust23THRUST_200600_302600_NS6detail15normal_iteratorINS9_10device_ptrIhEEEEPS5_m14custom_greaterIhEEE10hipError_tT0_T1_T2_jT3_P12ihipStream_tbPNSt15iterator_traitsISJ_E10value_typeEPNSP_ISK_E10value_typeEPSL_NS1_7vsmem_tEENKUlT_SJ_SK_SL_E_clIPhSE_SF_SF_EESI_SY_SJ_SK_SL_EUlSY_E_NS1_11comp_targetILNS1_3genE3ELNS1_11target_archE908ELNS1_3gpuE7ELNS1_3repE0EEENS1_48merge_mergepath_partition_config_static_selectorELNS0_4arch9wavefront6targetE1EEEvSK_,@function
_ZN7rocprim17ROCPRIM_400000_NS6detail17trampoline_kernelINS0_14default_configENS1_38merge_sort_block_merge_config_selectorIhNS0_10empty_typeEEEZZNS1_27merge_sort_block_merge_implIS3_N6thrust23THRUST_200600_302600_NS6detail15normal_iteratorINS9_10device_ptrIhEEEEPS5_m14custom_greaterIhEEE10hipError_tT0_T1_T2_jT3_P12ihipStream_tbPNSt15iterator_traitsISJ_E10value_typeEPNSP_ISK_E10value_typeEPSL_NS1_7vsmem_tEENKUlT_SJ_SK_SL_E_clIPhSE_SF_SF_EESI_SY_SJ_SK_SL_EUlSY_E_NS1_11comp_targetILNS1_3genE3ELNS1_11target_archE908ELNS1_3gpuE7ELNS1_3repE0EEENS1_48merge_mergepath_partition_config_static_selectorELNS0_4arch9wavefront6targetE1EEEvSK_: ; @_ZN7rocprim17ROCPRIM_400000_NS6detail17trampoline_kernelINS0_14default_configENS1_38merge_sort_block_merge_config_selectorIhNS0_10empty_typeEEEZZNS1_27merge_sort_block_merge_implIS3_N6thrust23THRUST_200600_302600_NS6detail15normal_iteratorINS9_10device_ptrIhEEEEPS5_m14custom_greaterIhEEE10hipError_tT0_T1_T2_jT3_P12ihipStream_tbPNSt15iterator_traitsISJ_E10value_typeEPNSP_ISK_E10value_typeEPSL_NS1_7vsmem_tEENKUlT_SJ_SK_SL_E_clIPhSE_SF_SF_EESI_SY_SJ_SK_SL_EUlSY_E_NS1_11comp_targetILNS1_3genE3ELNS1_11target_archE908ELNS1_3gpuE7ELNS1_3repE0EEENS1_48merge_mergepath_partition_config_static_selectorELNS0_4arch9wavefront6targetE1EEEvSK_
; %bb.0:
	.section	.rodata,"a",@progbits
	.p2align	6, 0x0
	.amdhsa_kernel _ZN7rocprim17ROCPRIM_400000_NS6detail17trampoline_kernelINS0_14default_configENS1_38merge_sort_block_merge_config_selectorIhNS0_10empty_typeEEEZZNS1_27merge_sort_block_merge_implIS3_N6thrust23THRUST_200600_302600_NS6detail15normal_iteratorINS9_10device_ptrIhEEEEPS5_m14custom_greaterIhEEE10hipError_tT0_T1_T2_jT3_P12ihipStream_tbPNSt15iterator_traitsISJ_E10value_typeEPNSP_ISK_E10value_typeEPSL_NS1_7vsmem_tEENKUlT_SJ_SK_SL_E_clIPhSE_SF_SF_EESI_SY_SJ_SK_SL_EUlSY_E_NS1_11comp_targetILNS1_3genE3ELNS1_11target_archE908ELNS1_3gpuE7ELNS1_3repE0EEENS1_48merge_mergepath_partition_config_static_selectorELNS0_4arch9wavefront6targetE1EEEvSK_
		.amdhsa_group_segment_fixed_size 0
		.amdhsa_private_segment_fixed_size 0
		.amdhsa_kernarg_size 48
		.amdhsa_user_sgpr_count 6
		.amdhsa_user_sgpr_private_segment_buffer 1
		.amdhsa_user_sgpr_dispatch_ptr 0
		.amdhsa_user_sgpr_queue_ptr 0
		.amdhsa_user_sgpr_kernarg_segment_ptr 1
		.amdhsa_user_sgpr_dispatch_id 0
		.amdhsa_user_sgpr_flat_scratch_init 0
		.amdhsa_user_sgpr_kernarg_preload_length 0
		.amdhsa_user_sgpr_kernarg_preload_offset 0
		.amdhsa_user_sgpr_private_segment_size 0
		.amdhsa_uses_dynamic_stack 0
		.amdhsa_system_sgpr_private_segment_wavefront_offset 0
		.amdhsa_system_sgpr_workgroup_id_x 1
		.amdhsa_system_sgpr_workgroup_id_y 0
		.amdhsa_system_sgpr_workgroup_id_z 0
		.amdhsa_system_sgpr_workgroup_info 0
		.amdhsa_system_vgpr_workitem_id 0
		.amdhsa_next_free_vgpr 1
		.amdhsa_next_free_sgpr 0
		.amdhsa_accum_offset 4
		.amdhsa_reserve_vcc 0
		.amdhsa_reserve_flat_scratch 0
		.amdhsa_float_round_mode_32 0
		.amdhsa_float_round_mode_16_64 0
		.amdhsa_float_denorm_mode_32 3
		.amdhsa_float_denorm_mode_16_64 3
		.amdhsa_dx10_clamp 1
		.amdhsa_ieee_mode 1
		.amdhsa_fp16_overflow 0
		.amdhsa_tg_split 0
		.amdhsa_exception_fp_ieee_invalid_op 0
		.amdhsa_exception_fp_denorm_src 0
		.amdhsa_exception_fp_ieee_div_zero 0
		.amdhsa_exception_fp_ieee_overflow 0
		.amdhsa_exception_fp_ieee_underflow 0
		.amdhsa_exception_fp_ieee_inexact 0
		.amdhsa_exception_int_div_zero 0
	.end_amdhsa_kernel
	.section	.text._ZN7rocprim17ROCPRIM_400000_NS6detail17trampoline_kernelINS0_14default_configENS1_38merge_sort_block_merge_config_selectorIhNS0_10empty_typeEEEZZNS1_27merge_sort_block_merge_implIS3_N6thrust23THRUST_200600_302600_NS6detail15normal_iteratorINS9_10device_ptrIhEEEEPS5_m14custom_greaterIhEEE10hipError_tT0_T1_T2_jT3_P12ihipStream_tbPNSt15iterator_traitsISJ_E10value_typeEPNSP_ISK_E10value_typeEPSL_NS1_7vsmem_tEENKUlT_SJ_SK_SL_E_clIPhSE_SF_SF_EESI_SY_SJ_SK_SL_EUlSY_E_NS1_11comp_targetILNS1_3genE3ELNS1_11target_archE908ELNS1_3gpuE7ELNS1_3repE0EEENS1_48merge_mergepath_partition_config_static_selectorELNS0_4arch9wavefront6targetE1EEEvSK_,"axG",@progbits,_ZN7rocprim17ROCPRIM_400000_NS6detail17trampoline_kernelINS0_14default_configENS1_38merge_sort_block_merge_config_selectorIhNS0_10empty_typeEEEZZNS1_27merge_sort_block_merge_implIS3_N6thrust23THRUST_200600_302600_NS6detail15normal_iteratorINS9_10device_ptrIhEEEEPS5_m14custom_greaterIhEEE10hipError_tT0_T1_T2_jT3_P12ihipStream_tbPNSt15iterator_traitsISJ_E10value_typeEPNSP_ISK_E10value_typeEPSL_NS1_7vsmem_tEENKUlT_SJ_SK_SL_E_clIPhSE_SF_SF_EESI_SY_SJ_SK_SL_EUlSY_E_NS1_11comp_targetILNS1_3genE3ELNS1_11target_archE908ELNS1_3gpuE7ELNS1_3repE0EEENS1_48merge_mergepath_partition_config_static_selectorELNS0_4arch9wavefront6targetE1EEEvSK_,comdat
.Lfunc_end2865:
	.size	_ZN7rocprim17ROCPRIM_400000_NS6detail17trampoline_kernelINS0_14default_configENS1_38merge_sort_block_merge_config_selectorIhNS0_10empty_typeEEEZZNS1_27merge_sort_block_merge_implIS3_N6thrust23THRUST_200600_302600_NS6detail15normal_iteratorINS9_10device_ptrIhEEEEPS5_m14custom_greaterIhEEE10hipError_tT0_T1_T2_jT3_P12ihipStream_tbPNSt15iterator_traitsISJ_E10value_typeEPNSP_ISK_E10value_typeEPSL_NS1_7vsmem_tEENKUlT_SJ_SK_SL_E_clIPhSE_SF_SF_EESI_SY_SJ_SK_SL_EUlSY_E_NS1_11comp_targetILNS1_3genE3ELNS1_11target_archE908ELNS1_3gpuE7ELNS1_3repE0EEENS1_48merge_mergepath_partition_config_static_selectorELNS0_4arch9wavefront6targetE1EEEvSK_, .Lfunc_end2865-_ZN7rocprim17ROCPRIM_400000_NS6detail17trampoline_kernelINS0_14default_configENS1_38merge_sort_block_merge_config_selectorIhNS0_10empty_typeEEEZZNS1_27merge_sort_block_merge_implIS3_N6thrust23THRUST_200600_302600_NS6detail15normal_iteratorINS9_10device_ptrIhEEEEPS5_m14custom_greaterIhEEE10hipError_tT0_T1_T2_jT3_P12ihipStream_tbPNSt15iterator_traitsISJ_E10value_typeEPNSP_ISK_E10value_typeEPSL_NS1_7vsmem_tEENKUlT_SJ_SK_SL_E_clIPhSE_SF_SF_EESI_SY_SJ_SK_SL_EUlSY_E_NS1_11comp_targetILNS1_3genE3ELNS1_11target_archE908ELNS1_3gpuE7ELNS1_3repE0EEENS1_48merge_mergepath_partition_config_static_selectorELNS0_4arch9wavefront6targetE1EEEvSK_
                                        ; -- End function
	.section	.AMDGPU.csdata,"",@progbits
; Kernel info:
; codeLenInByte = 0
; NumSgprs: 4
; NumVgprs: 0
; NumAgprs: 0
; TotalNumVgprs: 0
; ScratchSize: 0
; MemoryBound: 0
; FloatMode: 240
; IeeeMode: 1
; LDSByteSize: 0 bytes/workgroup (compile time only)
; SGPRBlocks: 0
; VGPRBlocks: 0
; NumSGPRsForWavesPerEU: 4
; NumVGPRsForWavesPerEU: 1
; AccumOffset: 4
; Occupancy: 8
; WaveLimiterHint : 0
; COMPUTE_PGM_RSRC2:SCRATCH_EN: 0
; COMPUTE_PGM_RSRC2:USER_SGPR: 6
; COMPUTE_PGM_RSRC2:TRAP_HANDLER: 0
; COMPUTE_PGM_RSRC2:TGID_X_EN: 1
; COMPUTE_PGM_RSRC2:TGID_Y_EN: 0
; COMPUTE_PGM_RSRC2:TGID_Z_EN: 0
; COMPUTE_PGM_RSRC2:TIDIG_COMP_CNT: 0
; COMPUTE_PGM_RSRC3_GFX90A:ACCUM_OFFSET: 0
; COMPUTE_PGM_RSRC3_GFX90A:TG_SPLIT: 0
	.section	.text._ZN7rocprim17ROCPRIM_400000_NS6detail17trampoline_kernelINS0_14default_configENS1_38merge_sort_block_merge_config_selectorIhNS0_10empty_typeEEEZZNS1_27merge_sort_block_merge_implIS3_N6thrust23THRUST_200600_302600_NS6detail15normal_iteratorINS9_10device_ptrIhEEEEPS5_m14custom_greaterIhEEE10hipError_tT0_T1_T2_jT3_P12ihipStream_tbPNSt15iterator_traitsISJ_E10value_typeEPNSP_ISK_E10value_typeEPSL_NS1_7vsmem_tEENKUlT_SJ_SK_SL_E_clIPhSE_SF_SF_EESI_SY_SJ_SK_SL_EUlSY_E_NS1_11comp_targetILNS1_3genE2ELNS1_11target_archE906ELNS1_3gpuE6ELNS1_3repE0EEENS1_48merge_mergepath_partition_config_static_selectorELNS0_4arch9wavefront6targetE1EEEvSK_,"axG",@progbits,_ZN7rocprim17ROCPRIM_400000_NS6detail17trampoline_kernelINS0_14default_configENS1_38merge_sort_block_merge_config_selectorIhNS0_10empty_typeEEEZZNS1_27merge_sort_block_merge_implIS3_N6thrust23THRUST_200600_302600_NS6detail15normal_iteratorINS9_10device_ptrIhEEEEPS5_m14custom_greaterIhEEE10hipError_tT0_T1_T2_jT3_P12ihipStream_tbPNSt15iterator_traitsISJ_E10value_typeEPNSP_ISK_E10value_typeEPSL_NS1_7vsmem_tEENKUlT_SJ_SK_SL_E_clIPhSE_SF_SF_EESI_SY_SJ_SK_SL_EUlSY_E_NS1_11comp_targetILNS1_3genE2ELNS1_11target_archE906ELNS1_3gpuE6ELNS1_3repE0EEENS1_48merge_mergepath_partition_config_static_selectorELNS0_4arch9wavefront6targetE1EEEvSK_,comdat
	.protected	_ZN7rocprim17ROCPRIM_400000_NS6detail17trampoline_kernelINS0_14default_configENS1_38merge_sort_block_merge_config_selectorIhNS0_10empty_typeEEEZZNS1_27merge_sort_block_merge_implIS3_N6thrust23THRUST_200600_302600_NS6detail15normal_iteratorINS9_10device_ptrIhEEEEPS5_m14custom_greaterIhEEE10hipError_tT0_T1_T2_jT3_P12ihipStream_tbPNSt15iterator_traitsISJ_E10value_typeEPNSP_ISK_E10value_typeEPSL_NS1_7vsmem_tEENKUlT_SJ_SK_SL_E_clIPhSE_SF_SF_EESI_SY_SJ_SK_SL_EUlSY_E_NS1_11comp_targetILNS1_3genE2ELNS1_11target_archE906ELNS1_3gpuE6ELNS1_3repE0EEENS1_48merge_mergepath_partition_config_static_selectorELNS0_4arch9wavefront6targetE1EEEvSK_ ; -- Begin function _ZN7rocprim17ROCPRIM_400000_NS6detail17trampoline_kernelINS0_14default_configENS1_38merge_sort_block_merge_config_selectorIhNS0_10empty_typeEEEZZNS1_27merge_sort_block_merge_implIS3_N6thrust23THRUST_200600_302600_NS6detail15normal_iteratorINS9_10device_ptrIhEEEEPS5_m14custom_greaterIhEEE10hipError_tT0_T1_T2_jT3_P12ihipStream_tbPNSt15iterator_traitsISJ_E10value_typeEPNSP_ISK_E10value_typeEPSL_NS1_7vsmem_tEENKUlT_SJ_SK_SL_E_clIPhSE_SF_SF_EESI_SY_SJ_SK_SL_EUlSY_E_NS1_11comp_targetILNS1_3genE2ELNS1_11target_archE906ELNS1_3gpuE6ELNS1_3repE0EEENS1_48merge_mergepath_partition_config_static_selectorELNS0_4arch9wavefront6targetE1EEEvSK_
	.globl	_ZN7rocprim17ROCPRIM_400000_NS6detail17trampoline_kernelINS0_14default_configENS1_38merge_sort_block_merge_config_selectorIhNS0_10empty_typeEEEZZNS1_27merge_sort_block_merge_implIS3_N6thrust23THRUST_200600_302600_NS6detail15normal_iteratorINS9_10device_ptrIhEEEEPS5_m14custom_greaterIhEEE10hipError_tT0_T1_T2_jT3_P12ihipStream_tbPNSt15iterator_traitsISJ_E10value_typeEPNSP_ISK_E10value_typeEPSL_NS1_7vsmem_tEENKUlT_SJ_SK_SL_E_clIPhSE_SF_SF_EESI_SY_SJ_SK_SL_EUlSY_E_NS1_11comp_targetILNS1_3genE2ELNS1_11target_archE906ELNS1_3gpuE6ELNS1_3repE0EEENS1_48merge_mergepath_partition_config_static_selectorELNS0_4arch9wavefront6targetE1EEEvSK_
	.p2align	8
	.type	_ZN7rocprim17ROCPRIM_400000_NS6detail17trampoline_kernelINS0_14default_configENS1_38merge_sort_block_merge_config_selectorIhNS0_10empty_typeEEEZZNS1_27merge_sort_block_merge_implIS3_N6thrust23THRUST_200600_302600_NS6detail15normal_iteratorINS9_10device_ptrIhEEEEPS5_m14custom_greaterIhEEE10hipError_tT0_T1_T2_jT3_P12ihipStream_tbPNSt15iterator_traitsISJ_E10value_typeEPNSP_ISK_E10value_typeEPSL_NS1_7vsmem_tEENKUlT_SJ_SK_SL_E_clIPhSE_SF_SF_EESI_SY_SJ_SK_SL_EUlSY_E_NS1_11comp_targetILNS1_3genE2ELNS1_11target_archE906ELNS1_3gpuE6ELNS1_3repE0EEENS1_48merge_mergepath_partition_config_static_selectorELNS0_4arch9wavefront6targetE1EEEvSK_,@function
_ZN7rocprim17ROCPRIM_400000_NS6detail17trampoline_kernelINS0_14default_configENS1_38merge_sort_block_merge_config_selectorIhNS0_10empty_typeEEEZZNS1_27merge_sort_block_merge_implIS3_N6thrust23THRUST_200600_302600_NS6detail15normal_iteratorINS9_10device_ptrIhEEEEPS5_m14custom_greaterIhEEE10hipError_tT0_T1_T2_jT3_P12ihipStream_tbPNSt15iterator_traitsISJ_E10value_typeEPNSP_ISK_E10value_typeEPSL_NS1_7vsmem_tEENKUlT_SJ_SK_SL_E_clIPhSE_SF_SF_EESI_SY_SJ_SK_SL_EUlSY_E_NS1_11comp_targetILNS1_3genE2ELNS1_11target_archE906ELNS1_3gpuE6ELNS1_3repE0EEENS1_48merge_mergepath_partition_config_static_selectorELNS0_4arch9wavefront6targetE1EEEvSK_: ; @_ZN7rocprim17ROCPRIM_400000_NS6detail17trampoline_kernelINS0_14default_configENS1_38merge_sort_block_merge_config_selectorIhNS0_10empty_typeEEEZZNS1_27merge_sort_block_merge_implIS3_N6thrust23THRUST_200600_302600_NS6detail15normal_iteratorINS9_10device_ptrIhEEEEPS5_m14custom_greaterIhEEE10hipError_tT0_T1_T2_jT3_P12ihipStream_tbPNSt15iterator_traitsISJ_E10value_typeEPNSP_ISK_E10value_typeEPSL_NS1_7vsmem_tEENKUlT_SJ_SK_SL_E_clIPhSE_SF_SF_EESI_SY_SJ_SK_SL_EUlSY_E_NS1_11comp_targetILNS1_3genE2ELNS1_11target_archE906ELNS1_3gpuE6ELNS1_3repE0EEENS1_48merge_mergepath_partition_config_static_selectorELNS0_4arch9wavefront6targetE1EEEvSK_
; %bb.0:
	.section	.rodata,"a",@progbits
	.p2align	6, 0x0
	.amdhsa_kernel _ZN7rocprim17ROCPRIM_400000_NS6detail17trampoline_kernelINS0_14default_configENS1_38merge_sort_block_merge_config_selectorIhNS0_10empty_typeEEEZZNS1_27merge_sort_block_merge_implIS3_N6thrust23THRUST_200600_302600_NS6detail15normal_iteratorINS9_10device_ptrIhEEEEPS5_m14custom_greaterIhEEE10hipError_tT0_T1_T2_jT3_P12ihipStream_tbPNSt15iterator_traitsISJ_E10value_typeEPNSP_ISK_E10value_typeEPSL_NS1_7vsmem_tEENKUlT_SJ_SK_SL_E_clIPhSE_SF_SF_EESI_SY_SJ_SK_SL_EUlSY_E_NS1_11comp_targetILNS1_3genE2ELNS1_11target_archE906ELNS1_3gpuE6ELNS1_3repE0EEENS1_48merge_mergepath_partition_config_static_selectorELNS0_4arch9wavefront6targetE1EEEvSK_
		.amdhsa_group_segment_fixed_size 0
		.amdhsa_private_segment_fixed_size 0
		.amdhsa_kernarg_size 48
		.amdhsa_user_sgpr_count 6
		.amdhsa_user_sgpr_private_segment_buffer 1
		.amdhsa_user_sgpr_dispatch_ptr 0
		.amdhsa_user_sgpr_queue_ptr 0
		.amdhsa_user_sgpr_kernarg_segment_ptr 1
		.amdhsa_user_sgpr_dispatch_id 0
		.amdhsa_user_sgpr_flat_scratch_init 0
		.amdhsa_user_sgpr_kernarg_preload_length 0
		.amdhsa_user_sgpr_kernarg_preload_offset 0
		.amdhsa_user_sgpr_private_segment_size 0
		.amdhsa_uses_dynamic_stack 0
		.amdhsa_system_sgpr_private_segment_wavefront_offset 0
		.amdhsa_system_sgpr_workgroup_id_x 1
		.amdhsa_system_sgpr_workgroup_id_y 0
		.amdhsa_system_sgpr_workgroup_id_z 0
		.amdhsa_system_sgpr_workgroup_info 0
		.amdhsa_system_vgpr_workitem_id 0
		.amdhsa_next_free_vgpr 1
		.amdhsa_next_free_sgpr 0
		.amdhsa_accum_offset 4
		.amdhsa_reserve_vcc 0
		.amdhsa_reserve_flat_scratch 0
		.amdhsa_float_round_mode_32 0
		.amdhsa_float_round_mode_16_64 0
		.amdhsa_float_denorm_mode_32 3
		.amdhsa_float_denorm_mode_16_64 3
		.amdhsa_dx10_clamp 1
		.amdhsa_ieee_mode 1
		.amdhsa_fp16_overflow 0
		.amdhsa_tg_split 0
		.amdhsa_exception_fp_ieee_invalid_op 0
		.amdhsa_exception_fp_denorm_src 0
		.amdhsa_exception_fp_ieee_div_zero 0
		.amdhsa_exception_fp_ieee_overflow 0
		.amdhsa_exception_fp_ieee_underflow 0
		.amdhsa_exception_fp_ieee_inexact 0
		.amdhsa_exception_int_div_zero 0
	.end_amdhsa_kernel
	.section	.text._ZN7rocprim17ROCPRIM_400000_NS6detail17trampoline_kernelINS0_14default_configENS1_38merge_sort_block_merge_config_selectorIhNS0_10empty_typeEEEZZNS1_27merge_sort_block_merge_implIS3_N6thrust23THRUST_200600_302600_NS6detail15normal_iteratorINS9_10device_ptrIhEEEEPS5_m14custom_greaterIhEEE10hipError_tT0_T1_T2_jT3_P12ihipStream_tbPNSt15iterator_traitsISJ_E10value_typeEPNSP_ISK_E10value_typeEPSL_NS1_7vsmem_tEENKUlT_SJ_SK_SL_E_clIPhSE_SF_SF_EESI_SY_SJ_SK_SL_EUlSY_E_NS1_11comp_targetILNS1_3genE2ELNS1_11target_archE906ELNS1_3gpuE6ELNS1_3repE0EEENS1_48merge_mergepath_partition_config_static_selectorELNS0_4arch9wavefront6targetE1EEEvSK_,"axG",@progbits,_ZN7rocprim17ROCPRIM_400000_NS6detail17trampoline_kernelINS0_14default_configENS1_38merge_sort_block_merge_config_selectorIhNS0_10empty_typeEEEZZNS1_27merge_sort_block_merge_implIS3_N6thrust23THRUST_200600_302600_NS6detail15normal_iteratorINS9_10device_ptrIhEEEEPS5_m14custom_greaterIhEEE10hipError_tT0_T1_T2_jT3_P12ihipStream_tbPNSt15iterator_traitsISJ_E10value_typeEPNSP_ISK_E10value_typeEPSL_NS1_7vsmem_tEENKUlT_SJ_SK_SL_E_clIPhSE_SF_SF_EESI_SY_SJ_SK_SL_EUlSY_E_NS1_11comp_targetILNS1_3genE2ELNS1_11target_archE906ELNS1_3gpuE6ELNS1_3repE0EEENS1_48merge_mergepath_partition_config_static_selectorELNS0_4arch9wavefront6targetE1EEEvSK_,comdat
.Lfunc_end2866:
	.size	_ZN7rocprim17ROCPRIM_400000_NS6detail17trampoline_kernelINS0_14default_configENS1_38merge_sort_block_merge_config_selectorIhNS0_10empty_typeEEEZZNS1_27merge_sort_block_merge_implIS3_N6thrust23THRUST_200600_302600_NS6detail15normal_iteratorINS9_10device_ptrIhEEEEPS5_m14custom_greaterIhEEE10hipError_tT0_T1_T2_jT3_P12ihipStream_tbPNSt15iterator_traitsISJ_E10value_typeEPNSP_ISK_E10value_typeEPSL_NS1_7vsmem_tEENKUlT_SJ_SK_SL_E_clIPhSE_SF_SF_EESI_SY_SJ_SK_SL_EUlSY_E_NS1_11comp_targetILNS1_3genE2ELNS1_11target_archE906ELNS1_3gpuE6ELNS1_3repE0EEENS1_48merge_mergepath_partition_config_static_selectorELNS0_4arch9wavefront6targetE1EEEvSK_, .Lfunc_end2866-_ZN7rocprim17ROCPRIM_400000_NS6detail17trampoline_kernelINS0_14default_configENS1_38merge_sort_block_merge_config_selectorIhNS0_10empty_typeEEEZZNS1_27merge_sort_block_merge_implIS3_N6thrust23THRUST_200600_302600_NS6detail15normal_iteratorINS9_10device_ptrIhEEEEPS5_m14custom_greaterIhEEE10hipError_tT0_T1_T2_jT3_P12ihipStream_tbPNSt15iterator_traitsISJ_E10value_typeEPNSP_ISK_E10value_typeEPSL_NS1_7vsmem_tEENKUlT_SJ_SK_SL_E_clIPhSE_SF_SF_EESI_SY_SJ_SK_SL_EUlSY_E_NS1_11comp_targetILNS1_3genE2ELNS1_11target_archE906ELNS1_3gpuE6ELNS1_3repE0EEENS1_48merge_mergepath_partition_config_static_selectorELNS0_4arch9wavefront6targetE1EEEvSK_
                                        ; -- End function
	.section	.AMDGPU.csdata,"",@progbits
; Kernel info:
; codeLenInByte = 0
; NumSgprs: 4
; NumVgprs: 0
; NumAgprs: 0
; TotalNumVgprs: 0
; ScratchSize: 0
; MemoryBound: 0
; FloatMode: 240
; IeeeMode: 1
; LDSByteSize: 0 bytes/workgroup (compile time only)
; SGPRBlocks: 0
; VGPRBlocks: 0
; NumSGPRsForWavesPerEU: 4
; NumVGPRsForWavesPerEU: 1
; AccumOffset: 4
; Occupancy: 8
; WaveLimiterHint : 0
; COMPUTE_PGM_RSRC2:SCRATCH_EN: 0
; COMPUTE_PGM_RSRC2:USER_SGPR: 6
; COMPUTE_PGM_RSRC2:TRAP_HANDLER: 0
; COMPUTE_PGM_RSRC2:TGID_X_EN: 1
; COMPUTE_PGM_RSRC2:TGID_Y_EN: 0
; COMPUTE_PGM_RSRC2:TGID_Z_EN: 0
; COMPUTE_PGM_RSRC2:TIDIG_COMP_CNT: 0
; COMPUTE_PGM_RSRC3_GFX90A:ACCUM_OFFSET: 0
; COMPUTE_PGM_RSRC3_GFX90A:TG_SPLIT: 0
	.section	.text._ZN7rocprim17ROCPRIM_400000_NS6detail17trampoline_kernelINS0_14default_configENS1_38merge_sort_block_merge_config_selectorIhNS0_10empty_typeEEEZZNS1_27merge_sort_block_merge_implIS3_N6thrust23THRUST_200600_302600_NS6detail15normal_iteratorINS9_10device_ptrIhEEEEPS5_m14custom_greaterIhEEE10hipError_tT0_T1_T2_jT3_P12ihipStream_tbPNSt15iterator_traitsISJ_E10value_typeEPNSP_ISK_E10value_typeEPSL_NS1_7vsmem_tEENKUlT_SJ_SK_SL_E_clIPhSE_SF_SF_EESI_SY_SJ_SK_SL_EUlSY_E_NS1_11comp_targetILNS1_3genE9ELNS1_11target_archE1100ELNS1_3gpuE3ELNS1_3repE0EEENS1_48merge_mergepath_partition_config_static_selectorELNS0_4arch9wavefront6targetE1EEEvSK_,"axG",@progbits,_ZN7rocprim17ROCPRIM_400000_NS6detail17trampoline_kernelINS0_14default_configENS1_38merge_sort_block_merge_config_selectorIhNS0_10empty_typeEEEZZNS1_27merge_sort_block_merge_implIS3_N6thrust23THRUST_200600_302600_NS6detail15normal_iteratorINS9_10device_ptrIhEEEEPS5_m14custom_greaterIhEEE10hipError_tT0_T1_T2_jT3_P12ihipStream_tbPNSt15iterator_traitsISJ_E10value_typeEPNSP_ISK_E10value_typeEPSL_NS1_7vsmem_tEENKUlT_SJ_SK_SL_E_clIPhSE_SF_SF_EESI_SY_SJ_SK_SL_EUlSY_E_NS1_11comp_targetILNS1_3genE9ELNS1_11target_archE1100ELNS1_3gpuE3ELNS1_3repE0EEENS1_48merge_mergepath_partition_config_static_selectorELNS0_4arch9wavefront6targetE1EEEvSK_,comdat
	.protected	_ZN7rocprim17ROCPRIM_400000_NS6detail17trampoline_kernelINS0_14default_configENS1_38merge_sort_block_merge_config_selectorIhNS0_10empty_typeEEEZZNS1_27merge_sort_block_merge_implIS3_N6thrust23THRUST_200600_302600_NS6detail15normal_iteratorINS9_10device_ptrIhEEEEPS5_m14custom_greaterIhEEE10hipError_tT0_T1_T2_jT3_P12ihipStream_tbPNSt15iterator_traitsISJ_E10value_typeEPNSP_ISK_E10value_typeEPSL_NS1_7vsmem_tEENKUlT_SJ_SK_SL_E_clIPhSE_SF_SF_EESI_SY_SJ_SK_SL_EUlSY_E_NS1_11comp_targetILNS1_3genE9ELNS1_11target_archE1100ELNS1_3gpuE3ELNS1_3repE0EEENS1_48merge_mergepath_partition_config_static_selectorELNS0_4arch9wavefront6targetE1EEEvSK_ ; -- Begin function _ZN7rocprim17ROCPRIM_400000_NS6detail17trampoline_kernelINS0_14default_configENS1_38merge_sort_block_merge_config_selectorIhNS0_10empty_typeEEEZZNS1_27merge_sort_block_merge_implIS3_N6thrust23THRUST_200600_302600_NS6detail15normal_iteratorINS9_10device_ptrIhEEEEPS5_m14custom_greaterIhEEE10hipError_tT0_T1_T2_jT3_P12ihipStream_tbPNSt15iterator_traitsISJ_E10value_typeEPNSP_ISK_E10value_typeEPSL_NS1_7vsmem_tEENKUlT_SJ_SK_SL_E_clIPhSE_SF_SF_EESI_SY_SJ_SK_SL_EUlSY_E_NS1_11comp_targetILNS1_3genE9ELNS1_11target_archE1100ELNS1_3gpuE3ELNS1_3repE0EEENS1_48merge_mergepath_partition_config_static_selectorELNS0_4arch9wavefront6targetE1EEEvSK_
	.globl	_ZN7rocprim17ROCPRIM_400000_NS6detail17trampoline_kernelINS0_14default_configENS1_38merge_sort_block_merge_config_selectorIhNS0_10empty_typeEEEZZNS1_27merge_sort_block_merge_implIS3_N6thrust23THRUST_200600_302600_NS6detail15normal_iteratorINS9_10device_ptrIhEEEEPS5_m14custom_greaterIhEEE10hipError_tT0_T1_T2_jT3_P12ihipStream_tbPNSt15iterator_traitsISJ_E10value_typeEPNSP_ISK_E10value_typeEPSL_NS1_7vsmem_tEENKUlT_SJ_SK_SL_E_clIPhSE_SF_SF_EESI_SY_SJ_SK_SL_EUlSY_E_NS1_11comp_targetILNS1_3genE9ELNS1_11target_archE1100ELNS1_3gpuE3ELNS1_3repE0EEENS1_48merge_mergepath_partition_config_static_selectorELNS0_4arch9wavefront6targetE1EEEvSK_
	.p2align	8
	.type	_ZN7rocprim17ROCPRIM_400000_NS6detail17trampoline_kernelINS0_14default_configENS1_38merge_sort_block_merge_config_selectorIhNS0_10empty_typeEEEZZNS1_27merge_sort_block_merge_implIS3_N6thrust23THRUST_200600_302600_NS6detail15normal_iteratorINS9_10device_ptrIhEEEEPS5_m14custom_greaterIhEEE10hipError_tT0_T1_T2_jT3_P12ihipStream_tbPNSt15iterator_traitsISJ_E10value_typeEPNSP_ISK_E10value_typeEPSL_NS1_7vsmem_tEENKUlT_SJ_SK_SL_E_clIPhSE_SF_SF_EESI_SY_SJ_SK_SL_EUlSY_E_NS1_11comp_targetILNS1_3genE9ELNS1_11target_archE1100ELNS1_3gpuE3ELNS1_3repE0EEENS1_48merge_mergepath_partition_config_static_selectorELNS0_4arch9wavefront6targetE1EEEvSK_,@function
_ZN7rocprim17ROCPRIM_400000_NS6detail17trampoline_kernelINS0_14default_configENS1_38merge_sort_block_merge_config_selectorIhNS0_10empty_typeEEEZZNS1_27merge_sort_block_merge_implIS3_N6thrust23THRUST_200600_302600_NS6detail15normal_iteratorINS9_10device_ptrIhEEEEPS5_m14custom_greaterIhEEE10hipError_tT0_T1_T2_jT3_P12ihipStream_tbPNSt15iterator_traitsISJ_E10value_typeEPNSP_ISK_E10value_typeEPSL_NS1_7vsmem_tEENKUlT_SJ_SK_SL_E_clIPhSE_SF_SF_EESI_SY_SJ_SK_SL_EUlSY_E_NS1_11comp_targetILNS1_3genE9ELNS1_11target_archE1100ELNS1_3gpuE3ELNS1_3repE0EEENS1_48merge_mergepath_partition_config_static_selectorELNS0_4arch9wavefront6targetE1EEEvSK_: ; @_ZN7rocprim17ROCPRIM_400000_NS6detail17trampoline_kernelINS0_14default_configENS1_38merge_sort_block_merge_config_selectorIhNS0_10empty_typeEEEZZNS1_27merge_sort_block_merge_implIS3_N6thrust23THRUST_200600_302600_NS6detail15normal_iteratorINS9_10device_ptrIhEEEEPS5_m14custom_greaterIhEEE10hipError_tT0_T1_T2_jT3_P12ihipStream_tbPNSt15iterator_traitsISJ_E10value_typeEPNSP_ISK_E10value_typeEPSL_NS1_7vsmem_tEENKUlT_SJ_SK_SL_E_clIPhSE_SF_SF_EESI_SY_SJ_SK_SL_EUlSY_E_NS1_11comp_targetILNS1_3genE9ELNS1_11target_archE1100ELNS1_3gpuE3ELNS1_3repE0EEENS1_48merge_mergepath_partition_config_static_selectorELNS0_4arch9wavefront6targetE1EEEvSK_
; %bb.0:
	.section	.rodata,"a",@progbits
	.p2align	6, 0x0
	.amdhsa_kernel _ZN7rocprim17ROCPRIM_400000_NS6detail17trampoline_kernelINS0_14default_configENS1_38merge_sort_block_merge_config_selectorIhNS0_10empty_typeEEEZZNS1_27merge_sort_block_merge_implIS3_N6thrust23THRUST_200600_302600_NS6detail15normal_iteratorINS9_10device_ptrIhEEEEPS5_m14custom_greaterIhEEE10hipError_tT0_T1_T2_jT3_P12ihipStream_tbPNSt15iterator_traitsISJ_E10value_typeEPNSP_ISK_E10value_typeEPSL_NS1_7vsmem_tEENKUlT_SJ_SK_SL_E_clIPhSE_SF_SF_EESI_SY_SJ_SK_SL_EUlSY_E_NS1_11comp_targetILNS1_3genE9ELNS1_11target_archE1100ELNS1_3gpuE3ELNS1_3repE0EEENS1_48merge_mergepath_partition_config_static_selectorELNS0_4arch9wavefront6targetE1EEEvSK_
		.amdhsa_group_segment_fixed_size 0
		.amdhsa_private_segment_fixed_size 0
		.amdhsa_kernarg_size 48
		.amdhsa_user_sgpr_count 6
		.amdhsa_user_sgpr_private_segment_buffer 1
		.amdhsa_user_sgpr_dispatch_ptr 0
		.amdhsa_user_sgpr_queue_ptr 0
		.amdhsa_user_sgpr_kernarg_segment_ptr 1
		.amdhsa_user_sgpr_dispatch_id 0
		.amdhsa_user_sgpr_flat_scratch_init 0
		.amdhsa_user_sgpr_kernarg_preload_length 0
		.amdhsa_user_sgpr_kernarg_preload_offset 0
		.amdhsa_user_sgpr_private_segment_size 0
		.amdhsa_uses_dynamic_stack 0
		.amdhsa_system_sgpr_private_segment_wavefront_offset 0
		.amdhsa_system_sgpr_workgroup_id_x 1
		.amdhsa_system_sgpr_workgroup_id_y 0
		.amdhsa_system_sgpr_workgroup_id_z 0
		.amdhsa_system_sgpr_workgroup_info 0
		.amdhsa_system_vgpr_workitem_id 0
		.amdhsa_next_free_vgpr 1
		.amdhsa_next_free_sgpr 0
		.amdhsa_accum_offset 4
		.amdhsa_reserve_vcc 0
		.amdhsa_reserve_flat_scratch 0
		.amdhsa_float_round_mode_32 0
		.amdhsa_float_round_mode_16_64 0
		.amdhsa_float_denorm_mode_32 3
		.amdhsa_float_denorm_mode_16_64 3
		.amdhsa_dx10_clamp 1
		.amdhsa_ieee_mode 1
		.amdhsa_fp16_overflow 0
		.amdhsa_tg_split 0
		.amdhsa_exception_fp_ieee_invalid_op 0
		.amdhsa_exception_fp_denorm_src 0
		.amdhsa_exception_fp_ieee_div_zero 0
		.amdhsa_exception_fp_ieee_overflow 0
		.amdhsa_exception_fp_ieee_underflow 0
		.amdhsa_exception_fp_ieee_inexact 0
		.amdhsa_exception_int_div_zero 0
	.end_amdhsa_kernel
	.section	.text._ZN7rocprim17ROCPRIM_400000_NS6detail17trampoline_kernelINS0_14default_configENS1_38merge_sort_block_merge_config_selectorIhNS0_10empty_typeEEEZZNS1_27merge_sort_block_merge_implIS3_N6thrust23THRUST_200600_302600_NS6detail15normal_iteratorINS9_10device_ptrIhEEEEPS5_m14custom_greaterIhEEE10hipError_tT0_T1_T2_jT3_P12ihipStream_tbPNSt15iterator_traitsISJ_E10value_typeEPNSP_ISK_E10value_typeEPSL_NS1_7vsmem_tEENKUlT_SJ_SK_SL_E_clIPhSE_SF_SF_EESI_SY_SJ_SK_SL_EUlSY_E_NS1_11comp_targetILNS1_3genE9ELNS1_11target_archE1100ELNS1_3gpuE3ELNS1_3repE0EEENS1_48merge_mergepath_partition_config_static_selectorELNS0_4arch9wavefront6targetE1EEEvSK_,"axG",@progbits,_ZN7rocprim17ROCPRIM_400000_NS6detail17trampoline_kernelINS0_14default_configENS1_38merge_sort_block_merge_config_selectorIhNS0_10empty_typeEEEZZNS1_27merge_sort_block_merge_implIS3_N6thrust23THRUST_200600_302600_NS6detail15normal_iteratorINS9_10device_ptrIhEEEEPS5_m14custom_greaterIhEEE10hipError_tT0_T1_T2_jT3_P12ihipStream_tbPNSt15iterator_traitsISJ_E10value_typeEPNSP_ISK_E10value_typeEPSL_NS1_7vsmem_tEENKUlT_SJ_SK_SL_E_clIPhSE_SF_SF_EESI_SY_SJ_SK_SL_EUlSY_E_NS1_11comp_targetILNS1_3genE9ELNS1_11target_archE1100ELNS1_3gpuE3ELNS1_3repE0EEENS1_48merge_mergepath_partition_config_static_selectorELNS0_4arch9wavefront6targetE1EEEvSK_,comdat
.Lfunc_end2867:
	.size	_ZN7rocprim17ROCPRIM_400000_NS6detail17trampoline_kernelINS0_14default_configENS1_38merge_sort_block_merge_config_selectorIhNS0_10empty_typeEEEZZNS1_27merge_sort_block_merge_implIS3_N6thrust23THRUST_200600_302600_NS6detail15normal_iteratorINS9_10device_ptrIhEEEEPS5_m14custom_greaterIhEEE10hipError_tT0_T1_T2_jT3_P12ihipStream_tbPNSt15iterator_traitsISJ_E10value_typeEPNSP_ISK_E10value_typeEPSL_NS1_7vsmem_tEENKUlT_SJ_SK_SL_E_clIPhSE_SF_SF_EESI_SY_SJ_SK_SL_EUlSY_E_NS1_11comp_targetILNS1_3genE9ELNS1_11target_archE1100ELNS1_3gpuE3ELNS1_3repE0EEENS1_48merge_mergepath_partition_config_static_selectorELNS0_4arch9wavefront6targetE1EEEvSK_, .Lfunc_end2867-_ZN7rocprim17ROCPRIM_400000_NS6detail17trampoline_kernelINS0_14default_configENS1_38merge_sort_block_merge_config_selectorIhNS0_10empty_typeEEEZZNS1_27merge_sort_block_merge_implIS3_N6thrust23THRUST_200600_302600_NS6detail15normal_iteratorINS9_10device_ptrIhEEEEPS5_m14custom_greaterIhEEE10hipError_tT0_T1_T2_jT3_P12ihipStream_tbPNSt15iterator_traitsISJ_E10value_typeEPNSP_ISK_E10value_typeEPSL_NS1_7vsmem_tEENKUlT_SJ_SK_SL_E_clIPhSE_SF_SF_EESI_SY_SJ_SK_SL_EUlSY_E_NS1_11comp_targetILNS1_3genE9ELNS1_11target_archE1100ELNS1_3gpuE3ELNS1_3repE0EEENS1_48merge_mergepath_partition_config_static_selectorELNS0_4arch9wavefront6targetE1EEEvSK_
                                        ; -- End function
	.section	.AMDGPU.csdata,"",@progbits
; Kernel info:
; codeLenInByte = 0
; NumSgprs: 4
; NumVgprs: 0
; NumAgprs: 0
; TotalNumVgprs: 0
; ScratchSize: 0
; MemoryBound: 0
; FloatMode: 240
; IeeeMode: 1
; LDSByteSize: 0 bytes/workgroup (compile time only)
; SGPRBlocks: 0
; VGPRBlocks: 0
; NumSGPRsForWavesPerEU: 4
; NumVGPRsForWavesPerEU: 1
; AccumOffset: 4
; Occupancy: 8
; WaveLimiterHint : 0
; COMPUTE_PGM_RSRC2:SCRATCH_EN: 0
; COMPUTE_PGM_RSRC2:USER_SGPR: 6
; COMPUTE_PGM_RSRC2:TRAP_HANDLER: 0
; COMPUTE_PGM_RSRC2:TGID_X_EN: 1
; COMPUTE_PGM_RSRC2:TGID_Y_EN: 0
; COMPUTE_PGM_RSRC2:TGID_Z_EN: 0
; COMPUTE_PGM_RSRC2:TIDIG_COMP_CNT: 0
; COMPUTE_PGM_RSRC3_GFX90A:ACCUM_OFFSET: 0
; COMPUTE_PGM_RSRC3_GFX90A:TG_SPLIT: 0
	.section	.text._ZN7rocprim17ROCPRIM_400000_NS6detail17trampoline_kernelINS0_14default_configENS1_38merge_sort_block_merge_config_selectorIhNS0_10empty_typeEEEZZNS1_27merge_sort_block_merge_implIS3_N6thrust23THRUST_200600_302600_NS6detail15normal_iteratorINS9_10device_ptrIhEEEEPS5_m14custom_greaterIhEEE10hipError_tT0_T1_T2_jT3_P12ihipStream_tbPNSt15iterator_traitsISJ_E10value_typeEPNSP_ISK_E10value_typeEPSL_NS1_7vsmem_tEENKUlT_SJ_SK_SL_E_clIPhSE_SF_SF_EESI_SY_SJ_SK_SL_EUlSY_E_NS1_11comp_targetILNS1_3genE8ELNS1_11target_archE1030ELNS1_3gpuE2ELNS1_3repE0EEENS1_48merge_mergepath_partition_config_static_selectorELNS0_4arch9wavefront6targetE1EEEvSK_,"axG",@progbits,_ZN7rocprim17ROCPRIM_400000_NS6detail17trampoline_kernelINS0_14default_configENS1_38merge_sort_block_merge_config_selectorIhNS0_10empty_typeEEEZZNS1_27merge_sort_block_merge_implIS3_N6thrust23THRUST_200600_302600_NS6detail15normal_iteratorINS9_10device_ptrIhEEEEPS5_m14custom_greaterIhEEE10hipError_tT0_T1_T2_jT3_P12ihipStream_tbPNSt15iterator_traitsISJ_E10value_typeEPNSP_ISK_E10value_typeEPSL_NS1_7vsmem_tEENKUlT_SJ_SK_SL_E_clIPhSE_SF_SF_EESI_SY_SJ_SK_SL_EUlSY_E_NS1_11comp_targetILNS1_3genE8ELNS1_11target_archE1030ELNS1_3gpuE2ELNS1_3repE0EEENS1_48merge_mergepath_partition_config_static_selectorELNS0_4arch9wavefront6targetE1EEEvSK_,comdat
	.protected	_ZN7rocprim17ROCPRIM_400000_NS6detail17trampoline_kernelINS0_14default_configENS1_38merge_sort_block_merge_config_selectorIhNS0_10empty_typeEEEZZNS1_27merge_sort_block_merge_implIS3_N6thrust23THRUST_200600_302600_NS6detail15normal_iteratorINS9_10device_ptrIhEEEEPS5_m14custom_greaterIhEEE10hipError_tT0_T1_T2_jT3_P12ihipStream_tbPNSt15iterator_traitsISJ_E10value_typeEPNSP_ISK_E10value_typeEPSL_NS1_7vsmem_tEENKUlT_SJ_SK_SL_E_clIPhSE_SF_SF_EESI_SY_SJ_SK_SL_EUlSY_E_NS1_11comp_targetILNS1_3genE8ELNS1_11target_archE1030ELNS1_3gpuE2ELNS1_3repE0EEENS1_48merge_mergepath_partition_config_static_selectorELNS0_4arch9wavefront6targetE1EEEvSK_ ; -- Begin function _ZN7rocprim17ROCPRIM_400000_NS6detail17trampoline_kernelINS0_14default_configENS1_38merge_sort_block_merge_config_selectorIhNS0_10empty_typeEEEZZNS1_27merge_sort_block_merge_implIS3_N6thrust23THRUST_200600_302600_NS6detail15normal_iteratorINS9_10device_ptrIhEEEEPS5_m14custom_greaterIhEEE10hipError_tT0_T1_T2_jT3_P12ihipStream_tbPNSt15iterator_traitsISJ_E10value_typeEPNSP_ISK_E10value_typeEPSL_NS1_7vsmem_tEENKUlT_SJ_SK_SL_E_clIPhSE_SF_SF_EESI_SY_SJ_SK_SL_EUlSY_E_NS1_11comp_targetILNS1_3genE8ELNS1_11target_archE1030ELNS1_3gpuE2ELNS1_3repE0EEENS1_48merge_mergepath_partition_config_static_selectorELNS0_4arch9wavefront6targetE1EEEvSK_
	.globl	_ZN7rocprim17ROCPRIM_400000_NS6detail17trampoline_kernelINS0_14default_configENS1_38merge_sort_block_merge_config_selectorIhNS0_10empty_typeEEEZZNS1_27merge_sort_block_merge_implIS3_N6thrust23THRUST_200600_302600_NS6detail15normal_iteratorINS9_10device_ptrIhEEEEPS5_m14custom_greaterIhEEE10hipError_tT0_T1_T2_jT3_P12ihipStream_tbPNSt15iterator_traitsISJ_E10value_typeEPNSP_ISK_E10value_typeEPSL_NS1_7vsmem_tEENKUlT_SJ_SK_SL_E_clIPhSE_SF_SF_EESI_SY_SJ_SK_SL_EUlSY_E_NS1_11comp_targetILNS1_3genE8ELNS1_11target_archE1030ELNS1_3gpuE2ELNS1_3repE0EEENS1_48merge_mergepath_partition_config_static_selectorELNS0_4arch9wavefront6targetE1EEEvSK_
	.p2align	8
	.type	_ZN7rocprim17ROCPRIM_400000_NS6detail17trampoline_kernelINS0_14default_configENS1_38merge_sort_block_merge_config_selectorIhNS0_10empty_typeEEEZZNS1_27merge_sort_block_merge_implIS3_N6thrust23THRUST_200600_302600_NS6detail15normal_iteratorINS9_10device_ptrIhEEEEPS5_m14custom_greaterIhEEE10hipError_tT0_T1_T2_jT3_P12ihipStream_tbPNSt15iterator_traitsISJ_E10value_typeEPNSP_ISK_E10value_typeEPSL_NS1_7vsmem_tEENKUlT_SJ_SK_SL_E_clIPhSE_SF_SF_EESI_SY_SJ_SK_SL_EUlSY_E_NS1_11comp_targetILNS1_3genE8ELNS1_11target_archE1030ELNS1_3gpuE2ELNS1_3repE0EEENS1_48merge_mergepath_partition_config_static_selectorELNS0_4arch9wavefront6targetE1EEEvSK_,@function
_ZN7rocprim17ROCPRIM_400000_NS6detail17trampoline_kernelINS0_14default_configENS1_38merge_sort_block_merge_config_selectorIhNS0_10empty_typeEEEZZNS1_27merge_sort_block_merge_implIS3_N6thrust23THRUST_200600_302600_NS6detail15normal_iteratorINS9_10device_ptrIhEEEEPS5_m14custom_greaterIhEEE10hipError_tT0_T1_T2_jT3_P12ihipStream_tbPNSt15iterator_traitsISJ_E10value_typeEPNSP_ISK_E10value_typeEPSL_NS1_7vsmem_tEENKUlT_SJ_SK_SL_E_clIPhSE_SF_SF_EESI_SY_SJ_SK_SL_EUlSY_E_NS1_11comp_targetILNS1_3genE8ELNS1_11target_archE1030ELNS1_3gpuE2ELNS1_3repE0EEENS1_48merge_mergepath_partition_config_static_selectorELNS0_4arch9wavefront6targetE1EEEvSK_: ; @_ZN7rocprim17ROCPRIM_400000_NS6detail17trampoline_kernelINS0_14default_configENS1_38merge_sort_block_merge_config_selectorIhNS0_10empty_typeEEEZZNS1_27merge_sort_block_merge_implIS3_N6thrust23THRUST_200600_302600_NS6detail15normal_iteratorINS9_10device_ptrIhEEEEPS5_m14custom_greaterIhEEE10hipError_tT0_T1_T2_jT3_P12ihipStream_tbPNSt15iterator_traitsISJ_E10value_typeEPNSP_ISK_E10value_typeEPSL_NS1_7vsmem_tEENKUlT_SJ_SK_SL_E_clIPhSE_SF_SF_EESI_SY_SJ_SK_SL_EUlSY_E_NS1_11comp_targetILNS1_3genE8ELNS1_11target_archE1030ELNS1_3gpuE2ELNS1_3repE0EEENS1_48merge_mergepath_partition_config_static_selectorELNS0_4arch9wavefront6targetE1EEEvSK_
; %bb.0:
	.section	.rodata,"a",@progbits
	.p2align	6, 0x0
	.amdhsa_kernel _ZN7rocprim17ROCPRIM_400000_NS6detail17trampoline_kernelINS0_14default_configENS1_38merge_sort_block_merge_config_selectorIhNS0_10empty_typeEEEZZNS1_27merge_sort_block_merge_implIS3_N6thrust23THRUST_200600_302600_NS6detail15normal_iteratorINS9_10device_ptrIhEEEEPS5_m14custom_greaterIhEEE10hipError_tT0_T1_T2_jT3_P12ihipStream_tbPNSt15iterator_traitsISJ_E10value_typeEPNSP_ISK_E10value_typeEPSL_NS1_7vsmem_tEENKUlT_SJ_SK_SL_E_clIPhSE_SF_SF_EESI_SY_SJ_SK_SL_EUlSY_E_NS1_11comp_targetILNS1_3genE8ELNS1_11target_archE1030ELNS1_3gpuE2ELNS1_3repE0EEENS1_48merge_mergepath_partition_config_static_selectorELNS0_4arch9wavefront6targetE1EEEvSK_
		.amdhsa_group_segment_fixed_size 0
		.amdhsa_private_segment_fixed_size 0
		.amdhsa_kernarg_size 48
		.amdhsa_user_sgpr_count 6
		.amdhsa_user_sgpr_private_segment_buffer 1
		.amdhsa_user_sgpr_dispatch_ptr 0
		.amdhsa_user_sgpr_queue_ptr 0
		.amdhsa_user_sgpr_kernarg_segment_ptr 1
		.amdhsa_user_sgpr_dispatch_id 0
		.amdhsa_user_sgpr_flat_scratch_init 0
		.amdhsa_user_sgpr_kernarg_preload_length 0
		.amdhsa_user_sgpr_kernarg_preload_offset 0
		.amdhsa_user_sgpr_private_segment_size 0
		.amdhsa_uses_dynamic_stack 0
		.amdhsa_system_sgpr_private_segment_wavefront_offset 0
		.amdhsa_system_sgpr_workgroup_id_x 1
		.amdhsa_system_sgpr_workgroup_id_y 0
		.amdhsa_system_sgpr_workgroup_id_z 0
		.amdhsa_system_sgpr_workgroup_info 0
		.amdhsa_system_vgpr_workitem_id 0
		.amdhsa_next_free_vgpr 1
		.amdhsa_next_free_sgpr 0
		.amdhsa_accum_offset 4
		.amdhsa_reserve_vcc 0
		.amdhsa_reserve_flat_scratch 0
		.amdhsa_float_round_mode_32 0
		.amdhsa_float_round_mode_16_64 0
		.amdhsa_float_denorm_mode_32 3
		.amdhsa_float_denorm_mode_16_64 3
		.amdhsa_dx10_clamp 1
		.amdhsa_ieee_mode 1
		.amdhsa_fp16_overflow 0
		.amdhsa_tg_split 0
		.amdhsa_exception_fp_ieee_invalid_op 0
		.amdhsa_exception_fp_denorm_src 0
		.amdhsa_exception_fp_ieee_div_zero 0
		.amdhsa_exception_fp_ieee_overflow 0
		.amdhsa_exception_fp_ieee_underflow 0
		.amdhsa_exception_fp_ieee_inexact 0
		.amdhsa_exception_int_div_zero 0
	.end_amdhsa_kernel
	.section	.text._ZN7rocprim17ROCPRIM_400000_NS6detail17trampoline_kernelINS0_14default_configENS1_38merge_sort_block_merge_config_selectorIhNS0_10empty_typeEEEZZNS1_27merge_sort_block_merge_implIS3_N6thrust23THRUST_200600_302600_NS6detail15normal_iteratorINS9_10device_ptrIhEEEEPS5_m14custom_greaterIhEEE10hipError_tT0_T1_T2_jT3_P12ihipStream_tbPNSt15iterator_traitsISJ_E10value_typeEPNSP_ISK_E10value_typeEPSL_NS1_7vsmem_tEENKUlT_SJ_SK_SL_E_clIPhSE_SF_SF_EESI_SY_SJ_SK_SL_EUlSY_E_NS1_11comp_targetILNS1_3genE8ELNS1_11target_archE1030ELNS1_3gpuE2ELNS1_3repE0EEENS1_48merge_mergepath_partition_config_static_selectorELNS0_4arch9wavefront6targetE1EEEvSK_,"axG",@progbits,_ZN7rocprim17ROCPRIM_400000_NS6detail17trampoline_kernelINS0_14default_configENS1_38merge_sort_block_merge_config_selectorIhNS0_10empty_typeEEEZZNS1_27merge_sort_block_merge_implIS3_N6thrust23THRUST_200600_302600_NS6detail15normal_iteratorINS9_10device_ptrIhEEEEPS5_m14custom_greaterIhEEE10hipError_tT0_T1_T2_jT3_P12ihipStream_tbPNSt15iterator_traitsISJ_E10value_typeEPNSP_ISK_E10value_typeEPSL_NS1_7vsmem_tEENKUlT_SJ_SK_SL_E_clIPhSE_SF_SF_EESI_SY_SJ_SK_SL_EUlSY_E_NS1_11comp_targetILNS1_3genE8ELNS1_11target_archE1030ELNS1_3gpuE2ELNS1_3repE0EEENS1_48merge_mergepath_partition_config_static_selectorELNS0_4arch9wavefront6targetE1EEEvSK_,comdat
.Lfunc_end2868:
	.size	_ZN7rocprim17ROCPRIM_400000_NS6detail17trampoline_kernelINS0_14default_configENS1_38merge_sort_block_merge_config_selectorIhNS0_10empty_typeEEEZZNS1_27merge_sort_block_merge_implIS3_N6thrust23THRUST_200600_302600_NS6detail15normal_iteratorINS9_10device_ptrIhEEEEPS5_m14custom_greaterIhEEE10hipError_tT0_T1_T2_jT3_P12ihipStream_tbPNSt15iterator_traitsISJ_E10value_typeEPNSP_ISK_E10value_typeEPSL_NS1_7vsmem_tEENKUlT_SJ_SK_SL_E_clIPhSE_SF_SF_EESI_SY_SJ_SK_SL_EUlSY_E_NS1_11comp_targetILNS1_3genE8ELNS1_11target_archE1030ELNS1_3gpuE2ELNS1_3repE0EEENS1_48merge_mergepath_partition_config_static_selectorELNS0_4arch9wavefront6targetE1EEEvSK_, .Lfunc_end2868-_ZN7rocprim17ROCPRIM_400000_NS6detail17trampoline_kernelINS0_14default_configENS1_38merge_sort_block_merge_config_selectorIhNS0_10empty_typeEEEZZNS1_27merge_sort_block_merge_implIS3_N6thrust23THRUST_200600_302600_NS6detail15normal_iteratorINS9_10device_ptrIhEEEEPS5_m14custom_greaterIhEEE10hipError_tT0_T1_T2_jT3_P12ihipStream_tbPNSt15iterator_traitsISJ_E10value_typeEPNSP_ISK_E10value_typeEPSL_NS1_7vsmem_tEENKUlT_SJ_SK_SL_E_clIPhSE_SF_SF_EESI_SY_SJ_SK_SL_EUlSY_E_NS1_11comp_targetILNS1_3genE8ELNS1_11target_archE1030ELNS1_3gpuE2ELNS1_3repE0EEENS1_48merge_mergepath_partition_config_static_selectorELNS0_4arch9wavefront6targetE1EEEvSK_
                                        ; -- End function
	.section	.AMDGPU.csdata,"",@progbits
; Kernel info:
; codeLenInByte = 0
; NumSgprs: 4
; NumVgprs: 0
; NumAgprs: 0
; TotalNumVgprs: 0
; ScratchSize: 0
; MemoryBound: 0
; FloatMode: 240
; IeeeMode: 1
; LDSByteSize: 0 bytes/workgroup (compile time only)
; SGPRBlocks: 0
; VGPRBlocks: 0
; NumSGPRsForWavesPerEU: 4
; NumVGPRsForWavesPerEU: 1
; AccumOffset: 4
; Occupancy: 8
; WaveLimiterHint : 0
; COMPUTE_PGM_RSRC2:SCRATCH_EN: 0
; COMPUTE_PGM_RSRC2:USER_SGPR: 6
; COMPUTE_PGM_RSRC2:TRAP_HANDLER: 0
; COMPUTE_PGM_RSRC2:TGID_X_EN: 1
; COMPUTE_PGM_RSRC2:TGID_Y_EN: 0
; COMPUTE_PGM_RSRC2:TGID_Z_EN: 0
; COMPUTE_PGM_RSRC2:TIDIG_COMP_CNT: 0
; COMPUTE_PGM_RSRC3_GFX90A:ACCUM_OFFSET: 0
; COMPUTE_PGM_RSRC3_GFX90A:TG_SPLIT: 0
	.section	.text._ZN7rocprim17ROCPRIM_400000_NS6detail17trampoline_kernelINS0_14default_configENS1_38merge_sort_block_merge_config_selectorIhNS0_10empty_typeEEEZZNS1_27merge_sort_block_merge_implIS3_N6thrust23THRUST_200600_302600_NS6detail15normal_iteratorINS9_10device_ptrIhEEEEPS5_m14custom_greaterIhEEE10hipError_tT0_T1_T2_jT3_P12ihipStream_tbPNSt15iterator_traitsISJ_E10value_typeEPNSP_ISK_E10value_typeEPSL_NS1_7vsmem_tEENKUlT_SJ_SK_SL_E_clIPhSE_SF_SF_EESI_SY_SJ_SK_SL_EUlSY_E0_NS1_11comp_targetILNS1_3genE0ELNS1_11target_archE4294967295ELNS1_3gpuE0ELNS1_3repE0EEENS1_38merge_mergepath_config_static_selectorELNS0_4arch9wavefront6targetE1EEEvSK_,"axG",@progbits,_ZN7rocprim17ROCPRIM_400000_NS6detail17trampoline_kernelINS0_14default_configENS1_38merge_sort_block_merge_config_selectorIhNS0_10empty_typeEEEZZNS1_27merge_sort_block_merge_implIS3_N6thrust23THRUST_200600_302600_NS6detail15normal_iteratorINS9_10device_ptrIhEEEEPS5_m14custom_greaterIhEEE10hipError_tT0_T1_T2_jT3_P12ihipStream_tbPNSt15iterator_traitsISJ_E10value_typeEPNSP_ISK_E10value_typeEPSL_NS1_7vsmem_tEENKUlT_SJ_SK_SL_E_clIPhSE_SF_SF_EESI_SY_SJ_SK_SL_EUlSY_E0_NS1_11comp_targetILNS1_3genE0ELNS1_11target_archE4294967295ELNS1_3gpuE0ELNS1_3repE0EEENS1_38merge_mergepath_config_static_selectorELNS0_4arch9wavefront6targetE1EEEvSK_,comdat
	.protected	_ZN7rocprim17ROCPRIM_400000_NS6detail17trampoline_kernelINS0_14default_configENS1_38merge_sort_block_merge_config_selectorIhNS0_10empty_typeEEEZZNS1_27merge_sort_block_merge_implIS3_N6thrust23THRUST_200600_302600_NS6detail15normal_iteratorINS9_10device_ptrIhEEEEPS5_m14custom_greaterIhEEE10hipError_tT0_T1_T2_jT3_P12ihipStream_tbPNSt15iterator_traitsISJ_E10value_typeEPNSP_ISK_E10value_typeEPSL_NS1_7vsmem_tEENKUlT_SJ_SK_SL_E_clIPhSE_SF_SF_EESI_SY_SJ_SK_SL_EUlSY_E0_NS1_11comp_targetILNS1_3genE0ELNS1_11target_archE4294967295ELNS1_3gpuE0ELNS1_3repE0EEENS1_38merge_mergepath_config_static_selectorELNS0_4arch9wavefront6targetE1EEEvSK_ ; -- Begin function _ZN7rocprim17ROCPRIM_400000_NS6detail17trampoline_kernelINS0_14default_configENS1_38merge_sort_block_merge_config_selectorIhNS0_10empty_typeEEEZZNS1_27merge_sort_block_merge_implIS3_N6thrust23THRUST_200600_302600_NS6detail15normal_iteratorINS9_10device_ptrIhEEEEPS5_m14custom_greaterIhEEE10hipError_tT0_T1_T2_jT3_P12ihipStream_tbPNSt15iterator_traitsISJ_E10value_typeEPNSP_ISK_E10value_typeEPSL_NS1_7vsmem_tEENKUlT_SJ_SK_SL_E_clIPhSE_SF_SF_EESI_SY_SJ_SK_SL_EUlSY_E0_NS1_11comp_targetILNS1_3genE0ELNS1_11target_archE4294967295ELNS1_3gpuE0ELNS1_3repE0EEENS1_38merge_mergepath_config_static_selectorELNS0_4arch9wavefront6targetE1EEEvSK_
	.globl	_ZN7rocprim17ROCPRIM_400000_NS6detail17trampoline_kernelINS0_14default_configENS1_38merge_sort_block_merge_config_selectorIhNS0_10empty_typeEEEZZNS1_27merge_sort_block_merge_implIS3_N6thrust23THRUST_200600_302600_NS6detail15normal_iteratorINS9_10device_ptrIhEEEEPS5_m14custom_greaterIhEEE10hipError_tT0_T1_T2_jT3_P12ihipStream_tbPNSt15iterator_traitsISJ_E10value_typeEPNSP_ISK_E10value_typeEPSL_NS1_7vsmem_tEENKUlT_SJ_SK_SL_E_clIPhSE_SF_SF_EESI_SY_SJ_SK_SL_EUlSY_E0_NS1_11comp_targetILNS1_3genE0ELNS1_11target_archE4294967295ELNS1_3gpuE0ELNS1_3repE0EEENS1_38merge_mergepath_config_static_selectorELNS0_4arch9wavefront6targetE1EEEvSK_
	.p2align	8
	.type	_ZN7rocprim17ROCPRIM_400000_NS6detail17trampoline_kernelINS0_14default_configENS1_38merge_sort_block_merge_config_selectorIhNS0_10empty_typeEEEZZNS1_27merge_sort_block_merge_implIS3_N6thrust23THRUST_200600_302600_NS6detail15normal_iteratorINS9_10device_ptrIhEEEEPS5_m14custom_greaterIhEEE10hipError_tT0_T1_T2_jT3_P12ihipStream_tbPNSt15iterator_traitsISJ_E10value_typeEPNSP_ISK_E10value_typeEPSL_NS1_7vsmem_tEENKUlT_SJ_SK_SL_E_clIPhSE_SF_SF_EESI_SY_SJ_SK_SL_EUlSY_E0_NS1_11comp_targetILNS1_3genE0ELNS1_11target_archE4294967295ELNS1_3gpuE0ELNS1_3repE0EEENS1_38merge_mergepath_config_static_selectorELNS0_4arch9wavefront6targetE1EEEvSK_,@function
_ZN7rocprim17ROCPRIM_400000_NS6detail17trampoline_kernelINS0_14default_configENS1_38merge_sort_block_merge_config_selectorIhNS0_10empty_typeEEEZZNS1_27merge_sort_block_merge_implIS3_N6thrust23THRUST_200600_302600_NS6detail15normal_iteratorINS9_10device_ptrIhEEEEPS5_m14custom_greaterIhEEE10hipError_tT0_T1_T2_jT3_P12ihipStream_tbPNSt15iterator_traitsISJ_E10value_typeEPNSP_ISK_E10value_typeEPSL_NS1_7vsmem_tEENKUlT_SJ_SK_SL_E_clIPhSE_SF_SF_EESI_SY_SJ_SK_SL_EUlSY_E0_NS1_11comp_targetILNS1_3genE0ELNS1_11target_archE4294967295ELNS1_3gpuE0ELNS1_3repE0EEENS1_38merge_mergepath_config_static_selectorELNS0_4arch9wavefront6targetE1EEEvSK_: ; @_ZN7rocprim17ROCPRIM_400000_NS6detail17trampoline_kernelINS0_14default_configENS1_38merge_sort_block_merge_config_selectorIhNS0_10empty_typeEEEZZNS1_27merge_sort_block_merge_implIS3_N6thrust23THRUST_200600_302600_NS6detail15normal_iteratorINS9_10device_ptrIhEEEEPS5_m14custom_greaterIhEEE10hipError_tT0_T1_T2_jT3_P12ihipStream_tbPNSt15iterator_traitsISJ_E10value_typeEPNSP_ISK_E10value_typeEPSL_NS1_7vsmem_tEENKUlT_SJ_SK_SL_E_clIPhSE_SF_SF_EESI_SY_SJ_SK_SL_EUlSY_E0_NS1_11comp_targetILNS1_3genE0ELNS1_11target_archE4294967295ELNS1_3gpuE0ELNS1_3repE0EEENS1_38merge_mergepath_config_static_selectorELNS0_4arch9wavefront6targetE1EEEvSK_
; %bb.0:
	.section	.rodata,"a",@progbits
	.p2align	6, 0x0
	.amdhsa_kernel _ZN7rocprim17ROCPRIM_400000_NS6detail17trampoline_kernelINS0_14default_configENS1_38merge_sort_block_merge_config_selectorIhNS0_10empty_typeEEEZZNS1_27merge_sort_block_merge_implIS3_N6thrust23THRUST_200600_302600_NS6detail15normal_iteratorINS9_10device_ptrIhEEEEPS5_m14custom_greaterIhEEE10hipError_tT0_T1_T2_jT3_P12ihipStream_tbPNSt15iterator_traitsISJ_E10value_typeEPNSP_ISK_E10value_typeEPSL_NS1_7vsmem_tEENKUlT_SJ_SK_SL_E_clIPhSE_SF_SF_EESI_SY_SJ_SK_SL_EUlSY_E0_NS1_11comp_targetILNS1_3genE0ELNS1_11target_archE4294967295ELNS1_3gpuE0ELNS1_3repE0EEENS1_38merge_mergepath_config_static_selectorELNS0_4arch9wavefront6targetE1EEEvSK_
		.amdhsa_group_segment_fixed_size 0
		.amdhsa_private_segment_fixed_size 0
		.amdhsa_kernarg_size 72
		.amdhsa_user_sgpr_count 6
		.amdhsa_user_sgpr_private_segment_buffer 1
		.amdhsa_user_sgpr_dispatch_ptr 0
		.amdhsa_user_sgpr_queue_ptr 0
		.amdhsa_user_sgpr_kernarg_segment_ptr 1
		.amdhsa_user_sgpr_dispatch_id 0
		.amdhsa_user_sgpr_flat_scratch_init 0
		.amdhsa_user_sgpr_kernarg_preload_length 0
		.amdhsa_user_sgpr_kernarg_preload_offset 0
		.amdhsa_user_sgpr_private_segment_size 0
		.amdhsa_uses_dynamic_stack 0
		.amdhsa_system_sgpr_private_segment_wavefront_offset 0
		.amdhsa_system_sgpr_workgroup_id_x 1
		.amdhsa_system_sgpr_workgroup_id_y 0
		.amdhsa_system_sgpr_workgroup_id_z 0
		.amdhsa_system_sgpr_workgroup_info 0
		.amdhsa_system_vgpr_workitem_id 0
		.amdhsa_next_free_vgpr 1
		.amdhsa_next_free_sgpr 0
		.amdhsa_accum_offset 4
		.amdhsa_reserve_vcc 0
		.amdhsa_reserve_flat_scratch 0
		.amdhsa_float_round_mode_32 0
		.amdhsa_float_round_mode_16_64 0
		.amdhsa_float_denorm_mode_32 3
		.amdhsa_float_denorm_mode_16_64 3
		.amdhsa_dx10_clamp 1
		.amdhsa_ieee_mode 1
		.amdhsa_fp16_overflow 0
		.amdhsa_tg_split 0
		.amdhsa_exception_fp_ieee_invalid_op 0
		.amdhsa_exception_fp_denorm_src 0
		.amdhsa_exception_fp_ieee_div_zero 0
		.amdhsa_exception_fp_ieee_overflow 0
		.amdhsa_exception_fp_ieee_underflow 0
		.amdhsa_exception_fp_ieee_inexact 0
		.amdhsa_exception_int_div_zero 0
	.end_amdhsa_kernel
	.section	.text._ZN7rocprim17ROCPRIM_400000_NS6detail17trampoline_kernelINS0_14default_configENS1_38merge_sort_block_merge_config_selectorIhNS0_10empty_typeEEEZZNS1_27merge_sort_block_merge_implIS3_N6thrust23THRUST_200600_302600_NS6detail15normal_iteratorINS9_10device_ptrIhEEEEPS5_m14custom_greaterIhEEE10hipError_tT0_T1_T2_jT3_P12ihipStream_tbPNSt15iterator_traitsISJ_E10value_typeEPNSP_ISK_E10value_typeEPSL_NS1_7vsmem_tEENKUlT_SJ_SK_SL_E_clIPhSE_SF_SF_EESI_SY_SJ_SK_SL_EUlSY_E0_NS1_11comp_targetILNS1_3genE0ELNS1_11target_archE4294967295ELNS1_3gpuE0ELNS1_3repE0EEENS1_38merge_mergepath_config_static_selectorELNS0_4arch9wavefront6targetE1EEEvSK_,"axG",@progbits,_ZN7rocprim17ROCPRIM_400000_NS6detail17trampoline_kernelINS0_14default_configENS1_38merge_sort_block_merge_config_selectorIhNS0_10empty_typeEEEZZNS1_27merge_sort_block_merge_implIS3_N6thrust23THRUST_200600_302600_NS6detail15normal_iteratorINS9_10device_ptrIhEEEEPS5_m14custom_greaterIhEEE10hipError_tT0_T1_T2_jT3_P12ihipStream_tbPNSt15iterator_traitsISJ_E10value_typeEPNSP_ISK_E10value_typeEPSL_NS1_7vsmem_tEENKUlT_SJ_SK_SL_E_clIPhSE_SF_SF_EESI_SY_SJ_SK_SL_EUlSY_E0_NS1_11comp_targetILNS1_3genE0ELNS1_11target_archE4294967295ELNS1_3gpuE0ELNS1_3repE0EEENS1_38merge_mergepath_config_static_selectorELNS0_4arch9wavefront6targetE1EEEvSK_,comdat
.Lfunc_end2869:
	.size	_ZN7rocprim17ROCPRIM_400000_NS6detail17trampoline_kernelINS0_14default_configENS1_38merge_sort_block_merge_config_selectorIhNS0_10empty_typeEEEZZNS1_27merge_sort_block_merge_implIS3_N6thrust23THRUST_200600_302600_NS6detail15normal_iteratorINS9_10device_ptrIhEEEEPS5_m14custom_greaterIhEEE10hipError_tT0_T1_T2_jT3_P12ihipStream_tbPNSt15iterator_traitsISJ_E10value_typeEPNSP_ISK_E10value_typeEPSL_NS1_7vsmem_tEENKUlT_SJ_SK_SL_E_clIPhSE_SF_SF_EESI_SY_SJ_SK_SL_EUlSY_E0_NS1_11comp_targetILNS1_3genE0ELNS1_11target_archE4294967295ELNS1_3gpuE0ELNS1_3repE0EEENS1_38merge_mergepath_config_static_selectorELNS0_4arch9wavefront6targetE1EEEvSK_, .Lfunc_end2869-_ZN7rocprim17ROCPRIM_400000_NS6detail17trampoline_kernelINS0_14default_configENS1_38merge_sort_block_merge_config_selectorIhNS0_10empty_typeEEEZZNS1_27merge_sort_block_merge_implIS3_N6thrust23THRUST_200600_302600_NS6detail15normal_iteratorINS9_10device_ptrIhEEEEPS5_m14custom_greaterIhEEE10hipError_tT0_T1_T2_jT3_P12ihipStream_tbPNSt15iterator_traitsISJ_E10value_typeEPNSP_ISK_E10value_typeEPSL_NS1_7vsmem_tEENKUlT_SJ_SK_SL_E_clIPhSE_SF_SF_EESI_SY_SJ_SK_SL_EUlSY_E0_NS1_11comp_targetILNS1_3genE0ELNS1_11target_archE4294967295ELNS1_3gpuE0ELNS1_3repE0EEENS1_38merge_mergepath_config_static_selectorELNS0_4arch9wavefront6targetE1EEEvSK_
                                        ; -- End function
	.section	.AMDGPU.csdata,"",@progbits
; Kernel info:
; codeLenInByte = 0
; NumSgprs: 4
; NumVgprs: 0
; NumAgprs: 0
; TotalNumVgprs: 0
; ScratchSize: 0
; MemoryBound: 0
; FloatMode: 240
; IeeeMode: 1
; LDSByteSize: 0 bytes/workgroup (compile time only)
; SGPRBlocks: 0
; VGPRBlocks: 0
; NumSGPRsForWavesPerEU: 4
; NumVGPRsForWavesPerEU: 1
; AccumOffset: 4
; Occupancy: 8
; WaveLimiterHint : 0
; COMPUTE_PGM_RSRC2:SCRATCH_EN: 0
; COMPUTE_PGM_RSRC2:USER_SGPR: 6
; COMPUTE_PGM_RSRC2:TRAP_HANDLER: 0
; COMPUTE_PGM_RSRC2:TGID_X_EN: 1
; COMPUTE_PGM_RSRC2:TGID_Y_EN: 0
; COMPUTE_PGM_RSRC2:TGID_Z_EN: 0
; COMPUTE_PGM_RSRC2:TIDIG_COMP_CNT: 0
; COMPUTE_PGM_RSRC3_GFX90A:ACCUM_OFFSET: 0
; COMPUTE_PGM_RSRC3_GFX90A:TG_SPLIT: 0
	.section	.text._ZN7rocprim17ROCPRIM_400000_NS6detail17trampoline_kernelINS0_14default_configENS1_38merge_sort_block_merge_config_selectorIhNS0_10empty_typeEEEZZNS1_27merge_sort_block_merge_implIS3_N6thrust23THRUST_200600_302600_NS6detail15normal_iteratorINS9_10device_ptrIhEEEEPS5_m14custom_greaterIhEEE10hipError_tT0_T1_T2_jT3_P12ihipStream_tbPNSt15iterator_traitsISJ_E10value_typeEPNSP_ISK_E10value_typeEPSL_NS1_7vsmem_tEENKUlT_SJ_SK_SL_E_clIPhSE_SF_SF_EESI_SY_SJ_SK_SL_EUlSY_E0_NS1_11comp_targetILNS1_3genE10ELNS1_11target_archE1201ELNS1_3gpuE5ELNS1_3repE0EEENS1_38merge_mergepath_config_static_selectorELNS0_4arch9wavefront6targetE1EEEvSK_,"axG",@progbits,_ZN7rocprim17ROCPRIM_400000_NS6detail17trampoline_kernelINS0_14default_configENS1_38merge_sort_block_merge_config_selectorIhNS0_10empty_typeEEEZZNS1_27merge_sort_block_merge_implIS3_N6thrust23THRUST_200600_302600_NS6detail15normal_iteratorINS9_10device_ptrIhEEEEPS5_m14custom_greaterIhEEE10hipError_tT0_T1_T2_jT3_P12ihipStream_tbPNSt15iterator_traitsISJ_E10value_typeEPNSP_ISK_E10value_typeEPSL_NS1_7vsmem_tEENKUlT_SJ_SK_SL_E_clIPhSE_SF_SF_EESI_SY_SJ_SK_SL_EUlSY_E0_NS1_11comp_targetILNS1_3genE10ELNS1_11target_archE1201ELNS1_3gpuE5ELNS1_3repE0EEENS1_38merge_mergepath_config_static_selectorELNS0_4arch9wavefront6targetE1EEEvSK_,comdat
	.protected	_ZN7rocprim17ROCPRIM_400000_NS6detail17trampoline_kernelINS0_14default_configENS1_38merge_sort_block_merge_config_selectorIhNS0_10empty_typeEEEZZNS1_27merge_sort_block_merge_implIS3_N6thrust23THRUST_200600_302600_NS6detail15normal_iteratorINS9_10device_ptrIhEEEEPS5_m14custom_greaterIhEEE10hipError_tT0_T1_T2_jT3_P12ihipStream_tbPNSt15iterator_traitsISJ_E10value_typeEPNSP_ISK_E10value_typeEPSL_NS1_7vsmem_tEENKUlT_SJ_SK_SL_E_clIPhSE_SF_SF_EESI_SY_SJ_SK_SL_EUlSY_E0_NS1_11comp_targetILNS1_3genE10ELNS1_11target_archE1201ELNS1_3gpuE5ELNS1_3repE0EEENS1_38merge_mergepath_config_static_selectorELNS0_4arch9wavefront6targetE1EEEvSK_ ; -- Begin function _ZN7rocprim17ROCPRIM_400000_NS6detail17trampoline_kernelINS0_14default_configENS1_38merge_sort_block_merge_config_selectorIhNS0_10empty_typeEEEZZNS1_27merge_sort_block_merge_implIS3_N6thrust23THRUST_200600_302600_NS6detail15normal_iteratorINS9_10device_ptrIhEEEEPS5_m14custom_greaterIhEEE10hipError_tT0_T1_T2_jT3_P12ihipStream_tbPNSt15iterator_traitsISJ_E10value_typeEPNSP_ISK_E10value_typeEPSL_NS1_7vsmem_tEENKUlT_SJ_SK_SL_E_clIPhSE_SF_SF_EESI_SY_SJ_SK_SL_EUlSY_E0_NS1_11comp_targetILNS1_3genE10ELNS1_11target_archE1201ELNS1_3gpuE5ELNS1_3repE0EEENS1_38merge_mergepath_config_static_selectorELNS0_4arch9wavefront6targetE1EEEvSK_
	.globl	_ZN7rocprim17ROCPRIM_400000_NS6detail17trampoline_kernelINS0_14default_configENS1_38merge_sort_block_merge_config_selectorIhNS0_10empty_typeEEEZZNS1_27merge_sort_block_merge_implIS3_N6thrust23THRUST_200600_302600_NS6detail15normal_iteratorINS9_10device_ptrIhEEEEPS5_m14custom_greaterIhEEE10hipError_tT0_T1_T2_jT3_P12ihipStream_tbPNSt15iterator_traitsISJ_E10value_typeEPNSP_ISK_E10value_typeEPSL_NS1_7vsmem_tEENKUlT_SJ_SK_SL_E_clIPhSE_SF_SF_EESI_SY_SJ_SK_SL_EUlSY_E0_NS1_11comp_targetILNS1_3genE10ELNS1_11target_archE1201ELNS1_3gpuE5ELNS1_3repE0EEENS1_38merge_mergepath_config_static_selectorELNS0_4arch9wavefront6targetE1EEEvSK_
	.p2align	8
	.type	_ZN7rocprim17ROCPRIM_400000_NS6detail17trampoline_kernelINS0_14default_configENS1_38merge_sort_block_merge_config_selectorIhNS0_10empty_typeEEEZZNS1_27merge_sort_block_merge_implIS3_N6thrust23THRUST_200600_302600_NS6detail15normal_iteratorINS9_10device_ptrIhEEEEPS5_m14custom_greaterIhEEE10hipError_tT0_T1_T2_jT3_P12ihipStream_tbPNSt15iterator_traitsISJ_E10value_typeEPNSP_ISK_E10value_typeEPSL_NS1_7vsmem_tEENKUlT_SJ_SK_SL_E_clIPhSE_SF_SF_EESI_SY_SJ_SK_SL_EUlSY_E0_NS1_11comp_targetILNS1_3genE10ELNS1_11target_archE1201ELNS1_3gpuE5ELNS1_3repE0EEENS1_38merge_mergepath_config_static_selectorELNS0_4arch9wavefront6targetE1EEEvSK_,@function
_ZN7rocprim17ROCPRIM_400000_NS6detail17trampoline_kernelINS0_14default_configENS1_38merge_sort_block_merge_config_selectorIhNS0_10empty_typeEEEZZNS1_27merge_sort_block_merge_implIS3_N6thrust23THRUST_200600_302600_NS6detail15normal_iteratorINS9_10device_ptrIhEEEEPS5_m14custom_greaterIhEEE10hipError_tT0_T1_T2_jT3_P12ihipStream_tbPNSt15iterator_traitsISJ_E10value_typeEPNSP_ISK_E10value_typeEPSL_NS1_7vsmem_tEENKUlT_SJ_SK_SL_E_clIPhSE_SF_SF_EESI_SY_SJ_SK_SL_EUlSY_E0_NS1_11comp_targetILNS1_3genE10ELNS1_11target_archE1201ELNS1_3gpuE5ELNS1_3repE0EEENS1_38merge_mergepath_config_static_selectorELNS0_4arch9wavefront6targetE1EEEvSK_: ; @_ZN7rocprim17ROCPRIM_400000_NS6detail17trampoline_kernelINS0_14default_configENS1_38merge_sort_block_merge_config_selectorIhNS0_10empty_typeEEEZZNS1_27merge_sort_block_merge_implIS3_N6thrust23THRUST_200600_302600_NS6detail15normal_iteratorINS9_10device_ptrIhEEEEPS5_m14custom_greaterIhEEE10hipError_tT0_T1_T2_jT3_P12ihipStream_tbPNSt15iterator_traitsISJ_E10value_typeEPNSP_ISK_E10value_typeEPSL_NS1_7vsmem_tEENKUlT_SJ_SK_SL_E_clIPhSE_SF_SF_EESI_SY_SJ_SK_SL_EUlSY_E0_NS1_11comp_targetILNS1_3genE10ELNS1_11target_archE1201ELNS1_3gpuE5ELNS1_3repE0EEENS1_38merge_mergepath_config_static_selectorELNS0_4arch9wavefront6targetE1EEEvSK_
; %bb.0:
	.section	.rodata,"a",@progbits
	.p2align	6, 0x0
	.amdhsa_kernel _ZN7rocprim17ROCPRIM_400000_NS6detail17trampoline_kernelINS0_14default_configENS1_38merge_sort_block_merge_config_selectorIhNS0_10empty_typeEEEZZNS1_27merge_sort_block_merge_implIS3_N6thrust23THRUST_200600_302600_NS6detail15normal_iteratorINS9_10device_ptrIhEEEEPS5_m14custom_greaterIhEEE10hipError_tT0_T1_T2_jT3_P12ihipStream_tbPNSt15iterator_traitsISJ_E10value_typeEPNSP_ISK_E10value_typeEPSL_NS1_7vsmem_tEENKUlT_SJ_SK_SL_E_clIPhSE_SF_SF_EESI_SY_SJ_SK_SL_EUlSY_E0_NS1_11comp_targetILNS1_3genE10ELNS1_11target_archE1201ELNS1_3gpuE5ELNS1_3repE0EEENS1_38merge_mergepath_config_static_selectorELNS0_4arch9wavefront6targetE1EEEvSK_
		.amdhsa_group_segment_fixed_size 0
		.amdhsa_private_segment_fixed_size 0
		.amdhsa_kernarg_size 72
		.amdhsa_user_sgpr_count 6
		.amdhsa_user_sgpr_private_segment_buffer 1
		.amdhsa_user_sgpr_dispatch_ptr 0
		.amdhsa_user_sgpr_queue_ptr 0
		.amdhsa_user_sgpr_kernarg_segment_ptr 1
		.amdhsa_user_sgpr_dispatch_id 0
		.amdhsa_user_sgpr_flat_scratch_init 0
		.amdhsa_user_sgpr_kernarg_preload_length 0
		.amdhsa_user_sgpr_kernarg_preload_offset 0
		.amdhsa_user_sgpr_private_segment_size 0
		.amdhsa_uses_dynamic_stack 0
		.amdhsa_system_sgpr_private_segment_wavefront_offset 0
		.amdhsa_system_sgpr_workgroup_id_x 1
		.amdhsa_system_sgpr_workgroup_id_y 0
		.amdhsa_system_sgpr_workgroup_id_z 0
		.amdhsa_system_sgpr_workgroup_info 0
		.amdhsa_system_vgpr_workitem_id 0
		.amdhsa_next_free_vgpr 1
		.amdhsa_next_free_sgpr 0
		.amdhsa_accum_offset 4
		.amdhsa_reserve_vcc 0
		.amdhsa_reserve_flat_scratch 0
		.amdhsa_float_round_mode_32 0
		.amdhsa_float_round_mode_16_64 0
		.amdhsa_float_denorm_mode_32 3
		.amdhsa_float_denorm_mode_16_64 3
		.amdhsa_dx10_clamp 1
		.amdhsa_ieee_mode 1
		.amdhsa_fp16_overflow 0
		.amdhsa_tg_split 0
		.amdhsa_exception_fp_ieee_invalid_op 0
		.amdhsa_exception_fp_denorm_src 0
		.amdhsa_exception_fp_ieee_div_zero 0
		.amdhsa_exception_fp_ieee_overflow 0
		.amdhsa_exception_fp_ieee_underflow 0
		.amdhsa_exception_fp_ieee_inexact 0
		.amdhsa_exception_int_div_zero 0
	.end_amdhsa_kernel
	.section	.text._ZN7rocprim17ROCPRIM_400000_NS6detail17trampoline_kernelINS0_14default_configENS1_38merge_sort_block_merge_config_selectorIhNS0_10empty_typeEEEZZNS1_27merge_sort_block_merge_implIS3_N6thrust23THRUST_200600_302600_NS6detail15normal_iteratorINS9_10device_ptrIhEEEEPS5_m14custom_greaterIhEEE10hipError_tT0_T1_T2_jT3_P12ihipStream_tbPNSt15iterator_traitsISJ_E10value_typeEPNSP_ISK_E10value_typeEPSL_NS1_7vsmem_tEENKUlT_SJ_SK_SL_E_clIPhSE_SF_SF_EESI_SY_SJ_SK_SL_EUlSY_E0_NS1_11comp_targetILNS1_3genE10ELNS1_11target_archE1201ELNS1_3gpuE5ELNS1_3repE0EEENS1_38merge_mergepath_config_static_selectorELNS0_4arch9wavefront6targetE1EEEvSK_,"axG",@progbits,_ZN7rocprim17ROCPRIM_400000_NS6detail17trampoline_kernelINS0_14default_configENS1_38merge_sort_block_merge_config_selectorIhNS0_10empty_typeEEEZZNS1_27merge_sort_block_merge_implIS3_N6thrust23THRUST_200600_302600_NS6detail15normal_iteratorINS9_10device_ptrIhEEEEPS5_m14custom_greaterIhEEE10hipError_tT0_T1_T2_jT3_P12ihipStream_tbPNSt15iterator_traitsISJ_E10value_typeEPNSP_ISK_E10value_typeEPSL_NS1_7vsmem_tEENKUlT_SJ_SK_SL_E_clIPhSE_SF_SF_EESI_SY_SJ_SK_SL_EUlSY_E0_NS1_11comp_targetILNS1_3genE10ELNS1_11target_archE1201ELNS1_3gpuE5ELNS1_3repE0EEENS1_38merge_mergepath_config_static_selectorELNS0_4arch9wavefront6targetE1EEEvSK_,comdat
.Lfunc_end2870:
	.size	_ZN7rocprim17ROCPRIM_400000_NS6detail17trampoline_kernelINS0_14default_configENS1_38merge_sort_block_merge_config_selectorIhNS0_10empty_typeEEEZZNS1_27merge_sort_block_merge_implIS3_N6thrust23THRUST_200600_302600_NS6detail15normal_iteratorINS9_10device_ptrIhEEEEPS5_m14custom_greaterIhEEE10hipError_tT0_T1_T2_jT3_P12ihipStream_tbPNSt15iterator_traitsISJ_E10value_typeEPNSP_ISK_E10value_typeEPSL_NS1_7vsmem_tEENKUlT_SJ_SK_SL_E_clIPhSE_SF_SF_EESI_SY_SJ_SK_SL_EUlSY_E0_NS1_11comp_targetILNS1_3genE10ELNS1_11target_archE1201ELNS1_3gpuE5ELNS1_3repE0EEENS1_38merge_mergepath_config_static_selectorELNS0_4arch9wavefront6targetE1EEEvSK_, .Lfunc_end2870-_ZN7rocprim17ROCPRIM_400000_NS6detail17trampoline_kernelINS0_14default_configENS1_38merge_sort_block_merge_config_selectorIhNS0_10empty_typeEEEZZNS1_27merge_sort_block_merge_implIS3_N6thrust23THRUST_200600_302600_NS6detail15normal_iteratorINS9_10device_ptrIhEEEEPS5_m14custom_greaterIhEEE10hipError_tT0_T1_T2_jT3_P12ihipStream_tbPNSt15iterator_traitsISJ_E10value_typeEPNSP_ISK_E10value_typeEPSL_NS1_7vsmem_tEENKUlT_SJ_SK_SL_E_clIPhSE_SF_SF_EESI_SY_SJ_SK_SL_EUlSY_E0_NS1_11comp_targetILNS1_3genE10ELNS1_11target_archE1201ELNS1_3gpuE5ELNS1_3repE0EEENS1_38merge_mergepath_config_static_selectorELNS0_4arch9wavefront6targetE1EEEvSK_
                                        ; -- End function
	.section	.AMDGPU.csdata,"",@progbits
; Kernel info:
; codeLenInByte = 0
; NumSgprs: 4
; NumVgprs: 0
; NumAgprs: 0
; TotalNumVgprs: 0
; ScratchSize: 0
; MemoryBound: 0
; FloatMode: 240
; IeeeMode: 1
; LDSByteSize: 0 bytes/workgroup (compile time only)
; SGPRBlocks: 0
; VGPRBlocks: 0
; NumSGPRsForWavesPerEU: 4
; NumVGPRsForWavesPerEU: 1
; AccumOffset: 4
; Occupancy: 8
; WaveLimiterHint : 0
; COMPUTE_PGM_RSRC2:SCRATCH_EN: 0
; COMPUTE_PGM_RSRC2:USER_SGPR: 6
; COMPUTE_PGM_RSRC2:TRAP_HANDLER: 0
; COMPUTE_PGM_RSRC2:TGID_X_EN: 1
; COMPUTE_PGM_RSRC2:TGID_Y_EN: 0
; COMPUTE_PGM_RSRC2:TGID_Z_EN: 0
; COMPUTE_PGM_RSRC2:TIDIG_COMP_CNT: 0
; COMPUTE_PGM_RSRC3_GFX90A:ACCUM_OFFSET: 0
; COMPUTE_PGM_RSRC3_GFX90A:TG_SPLIT: 0
	.section	.text._ZN7rocprim17ROCPRIM_400000_NS6detail17trampoline_kernelINS0_14default_configENS1_38merge_sort_block_merge_config_selectorIhNS0_10empty_typeEEEZZNS1_27merge_sort_block_merge_implIS3_N6thrust23THRUST_200600_302600_NS6detail15normal_iteratorINS9_10device_ptrIhEEEEPS5_m14custom_greaterIhEEE10hipError_tT0_T1_T2_jT3_P12ihipStream_tbPNSt15iterator_traitsISJ_E10value_typeEPNSP_ISK_E10value_typeEPSL_NS1_7vsmem_tEENKUlT_SJ_SK_SL_E_clIPhSE_SF_SF_EESI_SY_SJ_SK_SL_EUlSY_E0_NS1_11comp_targetILNS1_3genE5ELNS1_11target_archE942ELNS1_3gpuE9ELNS1_3repE0EEENS1_38merge_mergepath_config_static_selectorELNS0_4arch9wavefront6targetE1EEEvSK_,"axG",@progbits,_ZN7rocprim17ROCPRIM_400000_NS6detail17trampoline_kernelINS0_14default_configENS1_38merge_sort_block_merge_config_selectorIhNS0_10empty_typeEEEZZNS1_27merge_sort_block_merge_implIS3_N6thrust23THRUST_200600_302600_NS6detail15normal_iteratorINS9_10device_ptrIhEEEEPS5_m14custom_greaterIhEEE10hipError_tT0_T1_T2_jT3_P12ihipStream_tbPNSt15iterator_traitsISJ_E10value_typeEPNSP_ISK_E10value_typeEPSL_NS1_7vsmem_tEENKUlT_SJ_SK_SL_E_clIPhSE_SF_SF_EESI_SY_SJ_SK_SL_EUlSY_E0_NS1_11comp_targetILNS1_3genE5ELNS1_11target_archE942ELNS1_3gpuE9ELNS1_3repE0EEENS1_38merge_mergepath_config_static_selectorELNS0_4arch9wavefront6targetE1EEEvSK_,comdat
	.protected	_ZN7rocprim17ROCPRIM_400000_NS6detail17trampoline_kernelINS0_14default_configENS1_38merge_sort_block_merge_config_selectorIhNS0_10empty_typeEEEZZNS1_27merge_sort_block_merge_implIS3_N6thrust23THRUST_200600_302600_NS6detail15normal_iteratorINS9_10device_ptrIhEEEEPS5_m14custom_greaterIhEEE10hipError_tT0_T1_T2_jT3_P12ihipStream_tbPNSt15iterator_traitsISJ_E10value_typeEPNSP_ISK_E10value_typeEPSL_NS1_7vsmem_tEENKUlT_SJ_SK_SL_E_clIPhSE_SF_SF_EESI_SY_SJ_SK_SL_EUlSY_E0_NS1_11comp_targetILNS1_3genE5ELNS1_11target_archE942ELNS1_3gpuE9ELNS1_3repE0EEENS1_38merge_mergepath_config_static_selectorELNS0_4arch9wavefront6targetE1EEEvSK_ ; -- Begin function _ZN7rocprim17ROCPRIM_400000_NS6detail17trampoline_kernelINS0_14default_configENS1_38merge_sort_block_merge_config_selectorIhNS0_10empty_typeEEEZZNS1_27merge_sort_block_merge_implIS3_N6thrust23THRUST_200600_302600_NS6detail15normal_iteratorINS9_10device_ptrIhEEEEPS5_m14custom_greaterIhEEE10hipError_tT0_T1_T2_jT3_P12ihipStream_tbPNSt15iterator_traitsISJ_E10value_typeEPNSP_ISK_E10value_typeEPSL_NS1_7vsmem_tEENKUlT_SJ_SK_SL_E_clIPhSE_SF_SF_EESI_SY_SJ_SK_SL_EUlSY_E0_NS1_11comp_targetILNS1_3genE5ELNS1_11target_archE942ELNS1_3gpuE9ELNS1_3repE0EEENS1_38merge_mergepath_config_static_selectorELNS0_4arch9wavefront6targetE1EEEvSK_
	.globl	_ZN7rocprim17ROCPRIM_400000_NS6detail17trampoline_kernelINS0_14default_configENS1_38merge_sort_block_merge_config_selectorIhNS0_10empty_typeEEEZZNS1_27merge_sort_block_merge_implIS3_N6thrust23THRUST_200600_302600_NS6detail15normal_iteratorINS9_10device_ptrIhEEEEPS5_m14custom_greaterIhEEE10hipError_tT0_T1_T2_jT3_P12ihipStream_tbPNSt15iterator_traitsISJ_E10value_typeEPNSP_ISK_E10value_typeEPSL_NS1_7vsmem_tEENKUlT_SJ_SK_SL_E_clIPhSE_SF_SF_EESI_SY_SJ_SK_SL_EUlSY_E0_NS1_11comp_targetILNS1_3genE5ELNS1_11target_archE942ELNS1_3gpuE9ELNS1_3repE0EEENS1_38merge_mergepath_config_static_selectorELNS0_4arch9wavefront6targetE1EEEvSK_
	.p2align	8
	.type	_ZN7rocprim17ROCPRIM_400000_NS6detail17trampoline_kernelINS0_14default_configENS1_38merge_sort_block_merge_config_selectorIhNS0_10empty_typeEEEZZNS1_27merge_sort_block_merge_implIS3_N6thrust23THRUST_200600_302600_NS6detail15normal_iteratorINS9_10device_ptrIhEEEEPS5_m14custom_greaterIhEEE10hipError_tT0_T1_T2_jT3_P12ihipStream_tbPNSt15iterator_traitsISJ_E10value_typeEPNSP_ISK_E10value_typeEPSL_NS1_7vsmem_tEENKUlT_SJ_SK_SL_E_clIPhSE_SF_SF_EESI_SY_SJ_SK_SL_EUlSY_E0_NS1_11comp_targetILNS1_3genE5ELNS1_11target_archE942ELNS1_3gpuE9ELNS1_3repE0EEENS1_38merge_mergepath_config_static_selectorELNS0_4arch9wavefront6targetE1EEEvSK_,@function
_ZN7rocprim17ROCPRIM_400000_NS6detail17trampoline_kernelINS0_14default_configENS1_38merge_sort_block_merge_config_selectorIhNS0_10empty_typeEEEZZNS1_27merge_sort_block_merge_implIS3_N6thrust23THRUST_200600_302600_NS6detail15normal_iteratorINS9_10device_ptrIhEEEEPS5_m14custom_greaterIhEEE10hipError_tT0_T1_T2_jT3_P12ihipStream_tbPNSt15iterator_traitsISJ_E10value_typeEPNSP_ISK_E10value_typeEPSL_NS1_7vsmem_tEENKUlT_SJ_SK_SL_E_clIPhSE_SF_SF_EESI_SY_SJ_SK_SL_EUlSY_E0_NS1_11comp_targetILNS1_3genE5ELNS1_11target_archE942ELNS1_3gpuE9ELNS1_3repE0EEENS1_38merge_mergepath_config_static_selectorELNS0_4arch9wavefront6targetE1EEEvSK_: ; @_ZN7rocprim17ROCPRIM_400000_NS6detail17trampoline_kernelINS0_14default_configENS1_38merge_sort_block_merge_config_selectorIhNS0_10empty_typeEEEZZNS1_27merge_sort_block_merge_implIS3_N6thrust23THRUST_200600_302600_NS6detail15normal_iteratorINS9_10device_ptrIhEEEEPS5_m14custom_greaterIhEEE10hipError_tT0_T1_T2_jT3_P12ihipStream_tbPNSt15iterator_traitsISJ_E10value_typeEPNSP_ISK_E10value_typeEPSL_NS1_7vsmem_tEENKUlT_SJ_SK_SL_E_clIPhSE_SF_SF_EESI_SY_SJ_SK_SL_EUlSY_E0_NS1_11comp_targetILNS1_3genE5ELNS1_11target_archE942ELNS1_3gpuE9ELNS1_3repE0EEENS1_38merge_mergepath_config_static_selectorELNS0_4arch9wavefront6targetE1EEEvSK_
; %bb.0:
	.section	.rodata,"a",@progbits
	.p2align	6, 0x0
	.amdhsa_kernel _ZN7rocprim17ROCPRIM_400000_NS6detail17trampoline_kernelINS0_14default_configENS1_38merge_sort_block_merge_config_selectorIhNS0_10empty_typeEEEZZNS1_27merge_sort_block_merge_implIS3_N6thrust23THRUST_200600_302600_NS6detail15normal_iteratorINS9_10device_ptrIhEEEEPS5_m14custom_greaterIhEEE10hipError_tT0_T1_T2_jT3_P12ihipStream_tbPNSt15iterator_traitsISJ_E10value_typeEPNSP_ISK_E10value_typeEPSL_NS1_7vsmem_tEENKUlT_SJ_SK_SL_E_clIPhSE_SF_SF_EESI_SY_SJ_SK_SL_EUlSY_E0_NS1_11comp_targetILNS1_3genE5ELNS1_11target_archE942ELNS1_3gpuE9ELNS1_3repE0EEENS1_38merge_mergepath_config_static_selectorELNS0_4arch9wavefront6targetE1EEEvSK_
		.amdhsa_group_segment_fixed_size 0
		.amdhsa_private_segment_fixed_size 0
		.amdhsa_kernarg_size 72
		.amdhsa_user_sgpr_count 6
		.amdhsa_user_sgpr_private_segment_buffer 1
		.amdhsa_user_sgpr_dispatch_ptr 0
		.amdhsa_user_sgpr_queue_ptr 0
		.amdhsa_user_sgpr_kernarg_segment_ptr 1
		.amdhsa_user_sgpr_dispatch_id 0
		.amdhsa_user_sgpr_flat_scratch_init 0
		.amdhsa_user_sgpr_kernarg_preload_length 0
		.amdhsa_user_sgpr_kernarg_preload_offset 0
		.amdhsa_user_sgpr_private_segment_size 0
		.amdhsa_uses_dynamic_stack 0
		.amdhsa_system_sgpr_private_segment_wavefront_offset 0
		.amdhsa_system_sgpr_workgroup_id_x 1
		.amdhsa_system_sgpr_workgroup_id_y 0
		.amdhsa_system_sgpr_workgroup_id_z 0
		.amdhsa_system_sgpr_workgroup_info 0
		.amdhsa_system_vgpr_workitem_id 0
		.amdhsa_next_free_vgpr 1
		.amdhsa_next_free_sgpr 0
		.amdhsa_accum_offset 4
		.amdhsa_reserve_vcc 0
		.amdhsa_reserve_flat_scratch 0
		.amdhsa_float_round_mode_32 0
		.amdhsa_float_round_mode_16_64 0
		.amdhsa_float_denorm_mode_32 3
		.amdhsa_float_denorm_mode_16_64 3
		.amdhsa_dx10_clamp 1
		.amdhsa_ieee_mode 1
		.amdhsa_fp16_overflow 0
		.amdhsa_tg_split 0
		.amdhsa_exception_fp_ieee_invalid_op 0
		.amdhsa_exception_fp_denorm_src 0
		.amdhsa_exception_fp_ieee_div_zero 0
		.amdhsa_exception_fp_ieee_overflow 0
		.amdhsa_exception_fp_ieee_underflow 0
		.amdhsa_exception_fp_ieee_inexact 0
		.amdhsa_exception_int_div_zero 0
	.end_amdhsa_kernel
	.section	.text._ZN7rocprim17ROCPRIM_400000_NS6detail17trampoline_kernelINS0_14default_configENS1_38merge_sort_block_merge_config_selectorIhNS0_10empty_typeEEEZZNS1_27merge_sort_block_merge_implIS3_N6thrust23THRUST_200600_302600_NS6detail15normal_iteratorINS9_10device_ptrIhEEEEPS5_m14custom_greaterIhEEE10hipError_tT0_T1_T2_jT3_P12ihipStream_tbPNSt15iterator_traitsISJ_E10value_typeEPNSP_ISK_E10value_typeEPSL_NS1_7vsmem_tEENKUlT_SJ_SK_SL_E_clIPhSE_SF_SF_EESI_SY_SJ_SK_SL_EUlSY_E0_NS1_11comp_targetILNS1_3genE5ELNS1_11target_archE942ELNS1_3gpuE9ELNS1_3repE0EEENS1_38merge_mergepath_config_static_selectorELNS0_4arch9wavefront6targetE1EEEvSK_,"axG",@progbits,_ZN7rocprim17ROCPRIM_400000_NS6detail17trampoline_kernelINS0_14default_configENS1_38merge_sort_block_merge_config_selectorIhNS0_10empty_typeEEEZZNS1_27merge_sort_block_merge_implIS3_N6thrust23THRUST_200600_302600_NS6detail15normal_iteratorINS9_10device_ptrIhEEEEPS5_m14custom_greaterIhEEE10hipError_tT0_T1_T2_jT3_P12ihipStream_tbPNSt15iterator_traitsISJ_E10value_typeEPNSP_ISK_E10value_typeEPSL_NS1_7vsmem_tEENKUlT_SJ_SK_SL_E_clIPhSE_SF_SF_EESI_SY_SJ_SK_SL_EUlSY_E0_NS1_11comp_targetILNS1_3genE5ELNS1_11target_archE942ELNS1_3gpuE9ELNS1_3repE0EEENS1_38merge_mergepath_config_static_selectorELNS0_4arch9wavefront6targetE1EEEvSK_,comdat
.Lfunc_end2871:
	.size	_ZN7rocprim17ROCPRIM_400000_NS6detail17trampoline_kernelINS0_14default_configENS1_38merge_sort_block_merge_config_selectorIhNS0_10empty_typeEEEZZNS1_27merge_sort_block_merge_implIS3_N6thrust23THRUST_200600_302600_NS6detail15normal_iteratorINS9_10device_ptrIhEEEEPS5_m14custom_greaterIhEEE10hipError_tT0_T1_T2_jT3_P12ihipStream_tbPNSt15iterator_traitsISJ_E10value_typeEPNSP_ISK_E10value_typeEPSL_NS1_7vsmem_tEENKUlT_SJ_SK_SL_E_clIPhSE_SF_SF_EESI_SY_SJ_SK_SL_EUlSY_E0_NS1_11comp_targetILNS1_3genE5ELNS1_11target_archE942ELNS1_3gpuE9ELNS1_3repE0EEENS1_38merge_mergepath_config_static_selectorELNS0_4arch9wavefront6targetE1EEEvSK_, .Lfunc_end2871-_ZN7rocprim17ROCPRIM_400000_NS6detail17trampoline_kernelINS0_14default_configENS1_38merge_sort_block_merge_config_selectorIhNS0_10empty_typeEEEZZNS1_27merge_sort_block_merge_implIS3_N6thrust23THRUST_200600_302600_NS6detail15normal_iteratorINS9_10device_ptrIhEEEEPS5_m14custom_greaterIhEEE10hipError_tT0_T1_T2_jT3_P12ihipStream_tbPNSt15iterator_traitsISJ_E10value_typeEPNSP_ISK_E10value_typeEPSL_NS1_7vsmem_tEENKUlT_SJ_SK_SL_E_clIPhSE_SF_SF_EESI_SY_SJ_SK_SL_EUlSY_E0_NS1_11comp_targetILNS1_3genE5ELNS1_11target_archE942ELNS1_3gpuE9ELNS1_3repE0EEENS1_38merge_mergepath_config_static_selectorELNS0_4arch9wavefront6targetE1EEEvSK_
                                        ; -- End function
	.section	.AMDGPU.csdata,"",@progbits
; Kernel info:
; codeLenInByte = 0
; NumSgprs: 4
; NumVgprs: 0
; NumAgprs: 0
; TotalNumVgprs: 0
; ScratchSize: 0
; MemoryBound: 0
; FloatMode: 240
; IeeeMode: 1
; LDSByteSize: 0 bytes/workgroup (compile time only)
; SGPRBlocks: 0
; VGPRBlocks: 0
; NumSGPRsForWavesPerEU: 4
; NumVGPRsForWavesPerEU: 1
; AccumOffset: 4
; Occupancy: 8
; WaveLimiterHint : 0
; COMPUTE_PGM_RSRC2:SCRATCH_EN: 0
; COMPUTE_PGM_RSRC2:USER_SGPR: 6
; COMPUTE_PGM_RSRC2:TRAP_HANDLER: 0
; COMPUTE_PGM_RSRC2:TGID_X_EN: 1
; COMPUTE_PGM_RSRC2:TGID_Y_EN: 0
; COMPUTE_PGM_RSRC2:TGID_Z_EN: 0
; COMPUTE_PGM_RSRC2:TIDIG_COMP_CNT: 0
; COMPUTE_PGM_RSRC3_GFX90A:ACCUM_OFFSET: 0
; COMPUTE_PGM_RSRC3_GFX90A:TG_SPLIT: 0
	.section	.text._ZN7rocprim17ROCPRIM_400000_NS6detail17trampoline_kernelINS0_14default_configENS1_38merge_sort_block_merge_config_selectorIhNS0_10empty_typeEEEZZNS1_27merge_sort_block_merge_implIS3_N6thrust23THRUST_200600_302600_NS6detail15normal_iteratorINS9_10device_ptrIhEEEEPS5_m14custom_greaterIhEEE10hipError_tT0_T1_T2_jT3_P12ihipStream_tbPNSt15iterator_traitsISJ_E10value_typeEPNSP_ISK_E10value_typeEPSL_NS1_7vsmem_tEENKUlT_SJ_SK_SL_E_clIPhSE_SF_SF_EESI_SY_SJ_SK_SL_EUlSY_E0_NS1_11comp_targetILNS1_3genE4ELNS1_11target_archE910ELNS1_3gpuE8ELNS1_3repE0EEENS1_38merge_mergepath_config_static_selectorELNS0_4arch9wavefront6targetE1EEEvSK_,"axG",@progbits,_ZN7rocprim17ROCPRIM_400000_NS6detail17trampoline_kernelINS0_14default_configENS1_38merge_sort_block_merge_config_selectorIhNS0_10empty_typeEEEZZNS1_27merge_sort_block_merge_implIS3_N6thrust23THRUST_200600_302600_NS6detail15normal_iteratorINS9_10device_ptrIhEEEEPS5_m14custom_greaterIhEEE10hipError_tT0_T1_T2_jT3_P12ihipStream_tbPNSt15iterator_traitsISJ_E10value_typeEPNSP_ISK_E10value_typeEPSL_NS1_7vsmem_tEENKUlT_SJ_SK_SL_E_clIPhSE_SF_SF_EESI_SY_SJ_SK_SL_EUlSY_E0_NS1_11comp_targetILNS1_3genE4ELNS1_11target_archE910ELNS1_3gpuE8ELNS1_3repE0EEENS1_38merge_mergepath_config_static_selectorELNS0_4arch9wavefront6targetE1EEEvSK_,comdat
	.protected	_ZN7rocprim17ROCPRIM_400000_NS6detail17trampoline_kernelINS0_14default_configENS1_38merge_sort_block_merge_config_selectorIhNS0_10empty_typeEEEZZNS1_27merge_sort_block_merge_implIS3_N6thrust23THRUST_200600_302600_NS6detail15normal_iteratorINS9_10device_ptrIhEEEEPS5_m14custom_greaterIhEEE10hipError_tT0_T1_T2_jT3_P12ihipStream_tbPNSt15iterator_traitsISJ_E10value_typeEPNSP_ISK_E10value_typeEPSL_NS1_7vsmem_tEENKUlT_SJ_SK_SL_E_clIPhSE_SF_SF_EESI_SY_SJ_SK_SL_EUlSY_E0_NS1_11comp_targetILNS1_3genE4ELNS1_11target_archE910ELNS1_3gpuE8ELNS1_3repE0EEENS1_38merge_mergepath_config_static_selectorELNS0_4arch9wavefront6targetE1EEEvSK_ ; -- Begin function _ZN7rocprim17ROCPRIM_400000_NS6detail17trampoline_kernelINS0_14default_configENS1_38merge_sort_block_merge_config_selectorIhNS0_10empty_typeEEEZZNS1_27merge_sort_block_merge_implIS3_N6thrust23THRUST_200600_302600_NS6detail15normal_iteratorINS9_10device_ptrIhEEEEPS5_m14custom_greaterIhEEE10hipError_tT0_T1_T2_jT3_P12ihipStream_tbPNSt15iterator_traitsISJ_E10value_typeEPNSP_ISK_E10value_typeEPSL_NS1_7vsmem_tEENKUlT_SJ_SK_SL_E_clIPhSE_SF_SF_EESI_SY_SJ_SK_SL_EUlSY_E0_NS1_11comp_targetILNS1_3genE4ELNS1_11target_archE910ELNS1_3gpuE8ELNS1_3repE0EEENS1_38merge_mergepath_config_static_selectorELNS0_4arch9wavefront6targetE1EEEvSK_
	.globl	_ZN7rocprim17ROCPRIM_400000_NS6detail17trampoline_kernelINS0_14default_configENS1_38merge_sort_block_merge_config_selectorIhNS0_10empty_typeEEEZZNS1_27merge_sort_block_merge_implIS3_N6thrust23THRUST_200600_302600_NS6detail15normal_iteratorINS9_10device_ptrIhEEEEPS5_m14custom_greaterIhEEE10hipError_tT0_T1_T2_jT3_P12ihipStream_tbPNSt15iterator_traitsISJ_E10value_typeEPNSP_ISK_E10value_typeEPSL_NS1_7vsmem_tEENKUlT_SJ_SK_SL_E_clIPhSE_SF_SF_EESI_SY_SJ_SK_SL_EUlSY_E0_NS1_11comp_targetILNS1_3genE4ELNS1_11target_archE910ELNS1_3gpuE8ELNS1_3repE0EEENS1_38merge_mergepath_config_static_selectorELNS0_4arch9wavefront6targetE1EEEvSK_
	.p2align	8
	.type	_ZN7rocprim17ROCPRIM_400000_NS6detail17trampoline_kernelINS0_14default_configENS1_38merge_sort_block_merge_config_selectorIhNS0_10empty_typeEEEZZNS1_27merge_sort_block_merge_implIS3_N6thrust23THRUST_200600_302600_NS6detail15normal_iteratorINS9_10device_ptrIhEEEEPS5_m14custom_greaterIhEEE10hipError_tT0_T1_T2_jT3_P12ihipStream_tbPNSt15iterator_traitsISJ_E10value_typeEPNSP_ISK_E10value_typeEPSL_NS1_7vsmem_tEENKUlT_SJ_SK_SL_E_clIPhSE_SF_SF_EESI_SY_SJ_SK_SL_EUlSY_E0_NS1_11comp_targetILNS1_3genE4ELNS1_11target_archE910ELNS1_3gpuE8ELNS1_3repE0EEENS1_38merge_mergepath_config_static_selectorELNS0_4arch9wavefront6targetE1EEEvSK_,@function
_ZN7rocprim17ROCPRIM_400000_NS6detail17trampoline_kernelINS0_14default_configENS1_38merge_sort_block_merge_config_selectorIhNS0_10empty_typeEEEZZNS1_27merge_sort_block_merge_implIS3_N6thrust23THRUST_200600_302600_NS6detail15normal_iteratorINS9_10device_ptrIhEEEEPS5_m14custom_greaterIhEEE10hipError_tT0_T1_T2_jT3_P12ihipStream_tbPNSt15iterator_traitsISJ_E10value_typeEPNSP_ISK_E10value_typeEPSL_NS1_7vsmem_tEENKUlT_SJ_SK_SL_E_clIPhSE_SF_SF_EESI_SY_SJ_SK_SL_EUlSY_E0_NS1_11comp_targetILNS1_3genE4ELNS1_11target_archE910ELNS1_3gpuE8ELNS1_3repE0EEENS1_38merge_mergepath_config_static_selectorELNS0_4arch9wavefront6targetE1EEEvSK_: ; @_ZN7rocprim17ROCPRIM_400000_NS6detail17trampoline_kernelINS0_14default_configENS1_38merge_sort_block_merge_config_selectorIhNS0_10empty_typeEEEZZNS1_27merge_sort_block_merge_implIS3_N6thrust23THRUST_200600_302600_NS6detail15normal_iteratorINS9_10device_ptrIhEEEEPS5_m14custom_greaterIhEEE10hipError_tT0_T1_T2_jT3_P12ihipStream_tbPNSt15iterator_traitsISJ_E10value_typeEPNSP_ISK_E10value_typeEPSL_NS1_7vsmem_tEENKUlT_SJ_SK_SL_E_clIPhSE_SF_SF_EESI_SY_SJ_SK_SL_EUlSY_E0_NS1_11comp_targetILNS1_3genE4ELNS1_11target_archE910ELNS1_3gpuE8ELNS1_3repE0EEENS1_38merge_mergepath_config_static_selectorELNS0_4arch9wavefront6targetE1EEEvSK_
; %bb.0:
	s_load_dwordx2 s[22:23], s[4:5], 0x48
	s_load_dword s0, s[4:5], 0x38
	s_add_u32 s10, s4, 0x48
	s_addc_u32 s11, s5, 0
	s_waitcnt lgkmcnt(0)
	s_mul_i32 s1, s23, s8
	s_add_i32 s1, s1, s7
	s_mul_i32 s1, s1, s22
	s_add_i32 s8, s1, s6
	s_cmp_ge_u32 s8, s0
	s_cbranch_scc1 .LBB2872_53
; %bb.1:
	s_load_dwordx2 s[0:1], s[4:5], 0x40
	s_load_dwordx4 s[16:19], s[4:5], 0x8
	s_load_dwordx4 s[12:15], s[4:5], 0x28
	s_mov_b32 s9, 0
	s_lshl_b64 s[2:3], s[8:9], 3
	s_waitcnt lgkmcnt(0)
	s_add_u32 s0, s0, s2
	s_addc_u32 s1, s1, s3
	v_mov_b32_e32 v1, s14
	v_alignbit_b32 v1, s15, v1, 9
	v_readfirstlane_b32 s4, v1
	s_and_b32 s4, s4, -2
	s_sub_i32 s30, 0, s4
	s_and_b32 s24, s8, s30
	s_mov_b32 s25, s9
	s_lshl_b64 s[4:5], s[24:25], 10
	s_lshl_b64 s[20:21], s[8:9], 10
	s_sub_u32 s7, s20, s4
	s_load_dwordx4 s[0:3], s[0:1], 0x0
	s_subb_u32 s23, s21, s5
	s_lshl_b64 s[24:25], s[24:25], 11
	s_add_u32 s24, s24, s14
	s_addc_u32 s25, s25, s15
	s_add_u32 s7, s24, s7
	s_addc_u32 s23, s25, s23
	s_waitcnt lgkmcnt(0)
	s_sub_u32 s26, s7, s2
	s_subb_u32 s3, s23, s3
	s_add_u32 s26, s26, 0x400
	s_addc_u32 s27, s3, 0
	v_pk_mov_b32 v[2:3], s[26:27], s[26:27] op_sel:[0,1]
	v_cmp_lt_u64_e32 vcc, s[12:13], v[2:3]
	s_and_b64 s[28:29], vcc, exec
	s_cselect_b32 s3, s12, s26
	s_or_b32 s26, s8, s30
	s_cmp_lg_u32 s26, -1
	s_cbranch_scc1 .LBB2872_3
; %bb.2:
	s_sub_u32 s4, s24, s4
	s_subb_u32 s5, s25, s5
	v_pk_mov_b32 v[2:3], s[4:5], s[4:5] op_sel:[0,1]
	v_cmp_lt_u64_e32 vcc, s[12:13], v[2:3]
	s_and_b64 s[2:3], vcc, exec
	s_cselect_b32 s2, s12, s4
	s_add_u32 s4, s4, s14
	s_addc_u32 s5, s5, s15
	v_pk_mov_b32 v[2:3], s[4:5], s[4:5] op_sel:[0,1]
	v_cmp_lt_u64_e32 vcc, s[12:13], v[2:3]
	s_and_b64 s[14:15], vcc, exec
	s_cselect_b32 s3, s12, s4
.LBB2872_3:
	s_lshr_b64 s[24:25], s[12:13], 10
	s_cmp_lg_u64 s[24:25], s[8:9]
	s_cselect_b64 s[14:15], -1, 0
	s_sub_u32 s4, s7, s0
	s_subb_u32 s5, s23, s1
	v_pk_mov_b32 v[2:3], s[4:5], s[4:5] op_sel:[0,1]
	v_cmp_lt_u64_e32 vcc, s[12:13], v[2:3]
	s_and_b64 s[26:27], vcc, exec
	s_cselect_b32 s4, s12, s4
	s_cselect_b32 s23, s13, s5
	s_sub_i32 s13, s2, s0
	s_sub_i32 s2, s3, s4
	s_add_u32 s5, s16, s0
	s_addc_u32 s7, s17, s1
	s_add_u32 s3, s16, s4
	s_addc_u32 s4, s17, s23
	s_cmp_lt_u32 s6, s22
	v_mov_b32_e32 v1, 0
	s_cselect_b32 s0, 12, 18
	global_load_dword v2, v1, s[10:11] offset:14
	s_add_u32 s0, s10, s0
	s_addc_u32 s1, s11, 0
	global_load_ushort v1, v1, s[0:1]
	s_cmp_eq_u64 s[24:25], s[8:9]
	s_waitcnt vmcnt(1)
	v_lshrrev_b32_e32 v3, 16, v2
	v_and_b32_e32 v2, 0xffff, v2
	v_mul_lo_u32 v2, v2, v3
	s_waitcnt vmcnt(0)
	v_mul_lo_u32 v4, v2, v1
	v_add_u32_e32 v10, v4, v0
	v_add_u32_e32 v8, v10, v4
	s_cbranch_scc1 .LBB2872_5
; %bb.4:
	v_mov_b32_e32 v1, s7
	v_add_co_u32_e32 v2, vcc, s5, v0
	v_addc_co_u32_e32 v1, vcc, 0, v1, vcc
	v_subrev_u32_e32 v3, s13, v0
	v_mov_b32_e32 v5, s4
	v_add_co_u32_e32 v3, vcc, s3, v3
	v_addc_co_u32_e32 v5, vcc, 0, v5, vcc
	v_cmp_gt_u32_e32 vcc, s13, v0
	v_cndmask_b32_e32 v13, v5, v1, vcc
	v_cndmask_b32_e32 v12, v3, v2, vcc
	v_mov_b32_e32 v1, s7
	v_add_co_u32_e32 v2, vcc, s5, v10
	v_addc_co_u32_e32 v1, vcc, 0, v1, vcc
	v_subrev_u32_e32 v3, s13, v10
	v_mov_b32_e32 v5, s4
	v_add_co_u32_e32 v3, vcc, s3, v3
	v_addc_co_u32_e32 v5, vcc, 0, v5, vcc
	v_cmp_gt_u32_e32 vcc, s13, v10
	v_cndmask_b32_e32 v15, v5, v1, vcc
	v_cndmask_b32_e32 v14, v3, v2, vcc
	v_mov_b32_e32 v1, s7
	v_add_co_u32_e32 v2, vcc, s5, v8
	v_addc_co_u32_e32 v1, vcc, 0, v1, vcc
	v_subrev_u32_e32 v3, s13, v8
	v_mov_b32_e32 v5, s4
	v_add_co_u32_e32 v3, vcc, s3, v3
	v_addc_co_u32_e32 v5, vcc, 0, v5, vcc
	v_cmp_gt_u32_e32 vcc, s13, v8
	v_cndmask_b32_e32 v17, v5, v1, vcc
	v_add_u32_e32 v1, v8, v4
	v_cndmask_b32_e32 v16, v3, v2, vcc
	v_mov_b32_e32 v2, s7
	v_add_co_u32_e32 v3, vcc, s5, v1
	v_addc_co_u32_e32 v2, vcc, 0, v2, vcc
	v_subrev_u32_e32 v5, s13, v1
	v_mov_b32_e32 v6, s4
	v_add_co_u32_e32 v5, vcc, s3, v5
	v_addc_co_u32_e32 v6, vcc, 0, v6, vcc
	v_cmp_gt_u32_e32 vcc, s13, v1
	v_add_u32_e32 v1, v1, v4
	v_cndmask_b32_e32 v19, v6, v2, vcc
	v_cndmask_b32_e32 v18, v5, v3, vcc
	v_mov_b32_e32 v2, s7
	v_add_co_u32_e32 v3, vcc, s5, v1
	v_addc_co_u32_e32 v2, vcc, 0, v2, vcc
	v_subrev_u32_e32 v5, s13, v1
	v_mov_b32_e32 v6, s4
	v_add_co_u32_e32 v5, vcc, s3, v5
	v_addc_co_u32_e32 v6, vcc, 0, v6, vcc
	v_cmp_gt_u32_e32 vcc, s13, v1
	v_add_u32_e32 v1, v1, v4
	v_cndmask_b32_e32 v21, v6, v2, vcc
	v_cndmask_b32_e32 v20, v5, v3, vcc
	v_mov_b32_e32 v2, s7
	v_add_co_u32_e32 v3, vcc, s5, v1
	v_addc_co_u32_e32 v2, vcc, 0, v2, vcc
	v_subrev_u32_e32 v5, s13, v1
	v_mov_b32_e32 v6, s4
	v_add_co_u32_e32 v5, vcc, s3, v5
	v_addc_co_u32_e32 v6, vcc, 0, v6, vcc
	v_cmp_gt_u32_e32 vcc, s13, v1
	v_add_u32_e32 v1, v1, v4
	v_cndmask_b32_e32 v23, v6, v2, vcc
	v_cndmask_b32_e32 v22, v5, v3, vcc
	v_mov_b32_e32 v2, s7
	v_add_co_u32_e32 v3, vcc, s5, v1
	v_addc_co_u32_e32 v2, vcc, 0, v2, vcc
	v_subrev_u32_e32 v5, s13, v1
	v_mov_b32_e32 v6, s4
	v_add_co_u32_e32 v5, vcc, s3, v5
	v_addc_co_u32_e32 v6, vcc, 0, v6, vcc
	v_cmp_gt_u32_e32 vcc, s13, v1
	v_add_u32_e32 v1, v1, v4
	v_cndmask_b32_e32 v25, v6, v2, vcc
	v_cndmask_b32_e32 v24, v5, v3, vcc
	v_mov_b32_e32 v2, s7
	v_add_co_u32_e32 v3, vcc, s5, v1
	v_addc_co_u32_e32 v2, vcc, 0, v2, vcc
	v_subrev_u32_e32 v5, s13, v1
	v_mov_b32_e32 v6, s4
	v_add_co_u32_e32 v5, vcc, s3, v5
	v_addc_co_u32_e32 v6, vcc, 0, v6, vcc
	v_cmp_gt_u32_e32 vcc, s13, v1
	v_cndmask_b32_e32 v27, v6, v2, vcc
	v_cndmask_b32_e32 v26, v5, v3, vcc
	global_load_ubyte v1, v[12:13], off
	global_load_ubyte v2, v[14:15], off
	;; [unrolled: 1-line block ×8, first 2 shown]
	s_add_i32 s22, s13, s2
	s_cbranch_execz .LBB2872_6
	s_branch .LBB2872_23
.LBB2872_5:
                                        ; implicit-def: $vgpr1
                                        ; implicit-def: $vgpr2
                                        ; implicit-def: $vgpr3
                                        ; implicit-def: $vgpr5
                                        ; implicit-def: $vgpr6
                                        ; implicit-def: $vgpr7
                                        ; implicit-def: $vgpr9
                                        ; implicit-def: $vgpr11
                                        ; implicit-def: $sgpr22
.LBB2872_6:
	s_add_i32 s22, s13, s2
	v_cmp_gt_u32_e32 vcc, s22, v0
                                        ; implicit-def: $vgpr1
	s_and_saveexec_b64 s[0:1], vcc
	s_cbranch_execz .LBB2872_8
; %bb.7:
	s_waitcnt vmcnt(7)
	v_mov_b32_e32 v1, s7
	s_waitcnt vmcnt(6)
	v_add_co_u32_e32 v2, vcc, s5, v0
	v_addc_co_u32_e32 v1, vcc, 0, v1, vcc
	s_waitcnt vmcnt(5)
	v_subrev_u32_e32 v3, s13, v0
	s_waitcnt vmcnt(4)
	v_mov_b32_e32 v5, s4
	s_waitcnt vmcnt(3)
	v_add_co_u32_e32 v6, vcc, s3, v3
	v_addc_co_u32_e32 v3, vcc, 0, v5, vcc
	v_cmp_gt_u32_e32 vcc, s13, v0
	v_cndmask_b32_e32 v3, v3, v1, vcc
	v_cndmask_b32_e32 v2, v6, v2, vcc
	global_load_ubyte v1, v[2:3], off
.LBB2872_8:
	s_or_b64 exec, exec, s[0:1]
	v_cmp_gt_u32_e32 vcc, s22, v10
                                        ; implicit-def: $vgpr2
	s_and_saveexec_b64 s[0:1], vcc
	s_cbranch_execz .LBB2872_10
; %bb.9:
	s_waitcnt vmcnt(6)
	v_mov_b32_e32 v2, s7
	s_waitcnt vmcnt(4)
	v_add_co_u32_e32 v5, vcc, s5, v10
	v_addc_co_u32_e32 v2, vcc, 0, v2, vcc
	v_subrev_u32_e32 v3, s13, v10
	s_waitcnt vmcnt(3)
	v_mov_b32_e32 v6, s4
	s_waitcnt vmcnt(2)
	v_add_co_u32_e32 v7, vcc, s3, v3
	v_addc_co_u32_e32 v3, vcc, 0, v6, vcc
	v_cmp_gt_u32_e32 vcc, s13, v10
	v_cndmask_b32_e32 v3, v3, v2, vcc
	v_cndmask_b32_e32 v2, v7, v5, vcc
	global_load_ubyte v2, v[2:3], off
.LBB2872_10:
	s_or_b64 exec, exec, s[0:1]
	v_cmp_gt_u32_e32 vcc, s22, v8
                                        ; implicit-def: $vgpr3
	s_and_saveexec_b64 s[0:1], vcc
	s_cbranch_execz .LBB2872_12
; %bb.11:
	s_waitcnt vmcnt(5)
	v_mov_b32_e32 v3, s7
	s_waitcnt vmcnt(4)
	v_add_co_u32_e32 v5, vcc, s5, v8
	v_addc_co_u32_e32 v3, vcc, 0, v3, vcc
	s_waitcnt vmcnt(3)
	v_subrev_u32_e32 v6, s13, v8
	s_waitcnt vmcnt(2)
	v_mov_b32_e32 v7, s4
	v_add_co_u32_e32 v6, vcc, s3, v6
	v_addc_co_u32_e32 v7, vcc, 0, v7, vcc
	v_cmp_gt_u32_e32 vcc, s13, v8
	v_cndmask_b32_e32 v7, v7, v3, vcc
	v_cndmask_b32_e32 v6, v6, v5, vcc
	global_load_ubyte v3, v[6:7], off
.LBB2872_12:
	s_or_b64 exec, exec, s[0:1]
	s_waitcnt vmcnt(3)
	v_add_u32_e32 v6, v8, v4
	v_cmp_gt_u32_e32 vcc, s22, v6
                                        ; implicit-def: $vgpr5
	s_and_saveexec_b64 s[0:1], vcc
	s_cbranch_execz .LBB2872_14
; %bb.13:
	v_mov_b32_e32 v5, s7
	s_waitcnt vmcnt(2)
	v_add_co_u32_e32 v7, vcc, s5, v6
	v_addc_co_u32_e32 v5, vcc, 0, v5, vcc
	v_subrev_u32_e32 v8, s13, v6
	s_waitcnt vmcnt(1)
	v_mov_b32_e32 v9, s4
	v_add_co_u32_e32 v8, vcc, s3, v8
	v_addc_co_u32_e32 v9, vcc, 0, v9, vcc
	v_cmp_gt_u32_e32 vcc, s13, v6
	v_cndmask_b32_e32 v9, v9, v5, vcc
	v_cndmask_b32_e32 v8, v8, v7, vcc
	global_load_ubyte v5, v[8:9], off
.LBB2872_14:
	s_or_b64 exec, exec, s[0:1]
	s_waitcnt vmcnt(2)
	v_add_u32_e32 v7, v6, v4
	v_cmp_gt_u32_e32 vcc, s22, v7
                                        ; implicit-def: $vgpr6
	s_and_saveexec_b64 s[0:1], vcc
	s_cbranch_execz .LBB2872_16
; %bb.15:
	v_mov_b32_e32 v6, s7
	v_add_co_u32_e32 v8, vcc, s5, v7
	v_addc_co_u32_e32 v6, vcc, 0, v6, vcc
	s_waitcnt vmcnt(1)
	v_subrev_u32_e32 v9, s13, v7
	v_mov_b32_e32 v10, s4
	s_waitcnt vmcnt(0)
	v_add_co_u32_e32 v11, vcc, s3, v9
	v_addc_co_u32_e32 v9, vcc, 0, v10, vcc
	v_cmp_gt_u32_e32 vcc, s13, v7
	v_cndmask_b32_e32 v9, v9, v6, vcc
	v_cndmask_b32_e32 v8, v11, v8, vcc
	global_load_ubyte v6, v[8:9], off
.LBB2872_16:
	s_or_b64 exec, exec, s[0:1]
	v_add_u32_e32 v8, v7, v4
	v_cmp_gt_u32_e32 vcc, s22, v8
                                        ; implicit-def: $vgpr7
	s_and_saveexec_b64 s[0:1], vcc
	s_cbranch_execz .LBB2872_18
; %bb.17:
	v_mov_b32_e32 v7, s7
	s_waitcnt vmcnt(1)
	v_add_co_u32_e32 v9, vcc, s5, v8
	v_addc_co_u32_e32 v7, vcc, 0, v7, vcc
	v_subrev_u32_e32 v10, s13, v8
	s_waitcnt vmcnt(0)
	v_mov_b32_e32 v11, s4
	v_add_co_u32_e32 v10, vcc, s3, v10
	v_addc_co_u32_e32 v11, vcc, 0, v11, vcc
	v_cmp_gt_u32_e32 vcc, s13, v8
	v_cndmask_b32_e32 v11, v11, v7, vcc
	v_cndmask_b32_e32 v10, v10, v9, vcc
	global_load_ubyte v7, v[10:11], off
.LBB2872_18:
	s_or_b64 exec, exec, s[0:1]
	v_add_u32_e32 v8, v8, v4
	v_cmp_gt_u32_e32 vcc, s22, v8
                                        ; implicit-def: $vgpr9
	s_and_saveexec_b64 s[0:1], vcc
	s_cbranch_execz .LBB2872_20
; %bb.19:
	s_waitcnt vmcnt(1)
	v_mov_b32_e32 v9, s7
	v_add_co_u32_e32 v10, vcc, s5, v8
	v_addc_co_u32_e32 v9, vcc, 0, v9, vcc
	s_waitcnt vmcnt(0)
	v_subrev_u32_e32 v11, s13, v8
	v_mov_b32_e32 v12, s4
	v_add_co_u32_e32 v13, vcc, s3, v11
	v_addc_co_u32_e32 v11, vcc, 0, v12, vcc
	v_cmp_gt_u32_e32 vcc, s13, v8
	v_cndmask_b32_e32 v11, v11, v9, vcc
	v_cndmask_b32_e32 v10, v13, v10, vcc
	global_load_ubyte v9, v[10:11], off
.LBB2872_20:
	s_or_b64 exec, exec, s[0:1]
	v_add_u32_e32 v4, v8, v4
	v_cmp_gt_u32_e32 vcc, s22, v4
                                        ; implicit-def: $vgpr11
	s_and_saveexec_b64 s[0:1], vcc
	s_cbranch_execz .LBB2872_22
; %bb.21:
	v_mov_b32_e32 v8, s7
	v_add_co_u32_e32 v10, vcc, s5, v4
	v_addc_co_u32_e32 v8, vcc, 0, v8, vcc
	s_waitcnt vmcnt(0)
	v_subrev_u32_e32 v11, s13, v4
	v_mov_b32_e32 v12, s4
	v_add_co_u32_e32 v13, vcc, s3, v11
	v_addc_co_u32_e32 v11, vcc, 0, v12, vcc
	v_cmp_gt_u32_e32 vcc, s13, v4
	v_cndmask_b32_e32 v11, v11, v8, vcc
	v_cndmask_b32_e32 v10, v13, v10, vcc
	global_load_ubyte v11, v[10:11], off
.LBB2872_22:
	s_or_b64 exec, exec, s[0:1]
.LBB2872_23:
	v_lshlrev_b32_e32 v4, 3, v0
	v_min_u32_e32 v10, s22, v4
	v_sub_u32_e64 v8, v10, s2 clamp
	v_min_u32_e32 v12, s13, v10
	v_cmp_lt_u32_e32 vcc, v8, v12
	s_waitcnt vmcnt(0)
	ds_write_b8 v0, v1
	ds_write_b8 v0, v2 offset:128
	ds_write_b8 v0, v3 offset:256
	;; [unrolled: 1-line block ×7, first 2 shown]
	s_waitcnt lgkmcnt(0)
	s_barrier
	s_and_saveexec_b64 s[0:1], vcc
	s_cbranch_execz .LBB2872_27
; %bb.24:
	v_add_u32_e32 v13, s13, v10
	s_mov_b64 s[2:3], 0
.LBB2872_25:                            ; =>This Inner Loop Header: Depth=1
	v_add_u32_e32 v14, v12, v8
	v_lshrrev_b32_e32 v14, 1, v14
	v_xad_u32 v15, v14, -1, v13
	ds_read_u8 v16, v14
	ds_read_u8 v15, v15
	v_add_u32_e32 v17, 1, v14
	s_waitcnt lgkmcnt(0)
	v_cmp_gt_u16_e32 vcc, v16, v15
	v_cndmask_b32_e32 v12, v12, v14, vcc
	v_cndmask_b32_e32 v8, v17, v8, vcc
	v_cmp_ge_u32_e32 vcc, v8, v12
	s_or_b64 s[2:3], vcc, s[2:3]
	s_andn2_b64 exec, exec, s[2:3]
	s_cbranch_execnz .LBB2872_25
; %bb.26:
	s_or_b64 exec, exec, s[2:3]
.LBB2872_27:
	s_or_b64 exec, exec, s[0:1]
	v_sub_u32_e32 v10, v10, v8
	v_add_u32_e32 v10, s13, v10
	v_cmp_ge_u32_e32 vcc, s13, v8
	v_cmp_ge_u32_e64 s[0:1], s22, v10
	s_or_b64 s[0:1], vcc, s[0:1]
	s_and_saveexec_b64 s[16:17], s[0:1]
	s_cbranch_execz .LBB2872_33
; %bb.28:
	v_cmp_gt_u32_e32 vcc, s13, v8
                                        ; implicit-def: $vgpr1
	s_and_saveexec_b64 s[0:1], vcc
	s_cbranch_execz .LBB2872_30
; %bb.29:
	ds_read_u8 v1, v8
.LBB2872_30:
	s_or_b64 exec, exec, s[0:1]
	v_cmp_le_u32_e64 s[0:1], s22, v10
	v_cmp_gt_u32_e64 s[2:3], s22, v10
                                        ; implicit-def: $vgpr2
	s_and_saveexec_b64 s[4:5], s[2:3]
	s_cbranch_execz .LBB2872_32
; %bb.31:
	ds_read_u8 v2, v10
.LBB2872_32:
	s_or_b64 exec, exec, s[4:5]
	s_waitcnt lgkmcnt(0)
	v_cmp_le_u16_sdwa s[2:3], v1, v2 src0_sel:BYTE_0 src1_sel:BYTE_0
	s_and_b64 s[2:3], vcc, s[2:3]
	s_or_b64 vcc, s[0:1], s[2:3]
	v_mov_b32_e32 v5, s22
	v_mov_b32_e32 v6, s13
	v_cndmask_b32_e32 v3, v10, v8, vcc
	v_cndmask_b32_e32 v7, v5, v6, vcc
	v_add_u32_e32 v3, 1, v3
	v_add_u32_e32 v7, -1, v7
	v_min_u32_e32 v7, v3, v7
	ds_read_u8 v7, v7
	v_cndmask_b32_e32 v10, v3, v10, vcc
	v_cndmask_b32_e32 v3, v8, v3, vcc
	v_cmp_gt_u32_e64 s[2:3], s13, v3
	v_cmp_le_u32_e64 s[0:1], s22, v10
	s_waitcnt lgkmcnt(0)
	v_cndmask_b32_e32 v9, v7, v2, vcc
	v_cndmask_b32_e32 v7, v1, v7, vcc
	v_cmp_le_u16_sdwa s[4:5], v7, v9 src0_sel:BYTE_0 src1_sel:BYTE_0
	s_and_b64 s[2:3], s[2:3], s[4:5]
	s_or_b64 s[0:1], s[0:1], s[2:3]
	v_cndmask_b32_e64 v8, v10, v3, s[0:1]
	v_cndmask_b32_e64 v11, v5, v6, s[0:1]
	v_add_u32_e32 v8, 1, v8
	v_add_u32_e32 v11, -1, v11
	v_min_u32_e32 v11, v8, v11
	ds_read_u8 v11, v11
	v_cndmask_b32_e64 v3, v3, v8, s[0:1]
	v_cndmask_b32_e64 v10, v8, v10, s[0:1]
	v_cmp_gt_u32_e64 s[4:5], s13, v3
	v_cmp_le_u32_e64 s[2:3], s22, v10
	s_waitcnt lgkmcnt(0)
	v_cndmask_b32_e64 v12, v11, v9, s[0:1]
	v_cndmask_b32_e64 v11, v7, v11, s[0:1]
	v_cmp_le_u16_sdwa s[6:7], v11, v12 src0_sel:BYTE_0 src1_sel:BYTE_0
	s_and_b64 s[4:5], s[4:5], s[6:7]
	s_or_b64 s[2:3], s[2:3], s[4:5]
	v_cndmask_b32_e64 v8, v10, v3, s[2:3]
	v_cndmask_b32_e64 v13, v5, v6, s[2:3]
	v_add_u32_e32 v8, 1, v8
	v_add_u32_e32 v13, -1, v13
	v_min_u32_e32 v13, v8, v13
	ds_read_u8 v13, v13
	v_cndmask_b32_e64 v3, v3, v8, s[2:3]
	v_cndmask_b32_e64 v10, v8, v10, s[2:3]
	v_cmp_gt_u32_e64 s[6:7], s13, v3
	v_cmp_le_u32_e64 s[4:5], s22, v10
	s_waitcnt lgkmcnt(0)
	v_cndmask_b32_e64 v14, v13, v12, s[2:3]
	v_cndmask_b32_e64 v13, v11, v13, s[2:3]
	;; [unrolled: 16-line block ×4, first 2 shown]
	v_cmp_le_u16_sdwa s[24:25], v17, v18 src0_sel:BYTE_0 src1_sel:BYTE_0
	s_and_b64 s[10:11], s[10:11], s[24:25]
	s_or_b64 s[8:9], s[8:9], s[10:11]
	v_cndmask_b32_e64 v3, v10, v8, s[8:9]
	v_cndmask_b32_e64 v19, v5, v6, s[8:9]
	v_add_u32_e32 v20, 1, v3
	v_add_u32_e32 v3, -1, v19
	v_min_u32_e32 v3, v20, v3
	ds_read_u8 v19, v3
	v_cndmask_b32_e64 v3, v12, v11, s[2:3]
	v_cndmask_b32_e64 v8, v8, v20, s[8:9]
	v_cndmask_b32_e32 v1, v2, v1, vcc
	v_cndmask_b32_e64 v2, v9, v7, s[0:1]
	s_waitcnt lgkmcnt(0)
	v_cndmask_b32_e64 v11, v19, v18, s[8:9]
	v_cndmask_b32_e64 v12, v17, v19, s[8:9]
	v_cndmask_b32_e64 v10, v20, v10, s[8:9]
	v_cmp_gt_u32_e64 s[0:1], s13, v8
	v_cmp_le_u16_sdwa s[2:3], v12, v11 src0_sel:BYTE_0 src1_sel:BYTE_0
	v_cmp_le_u32_e32 vcc, s22, v10
	s_and_b64 s[0:1], s[0:1], s[2:3]
	s_or_b64 vcc, vcc, s[0:1]
	v_cndmask_b32_e32 v7, v10, v8, vcc
	v_cndmask_b32_e32 v5, v5, v6, vcc
	v_add_u32_e32 v19, 1, v7
	v_add_u32_e32 v5, -1, v5
	v_min_u32_e32 v5, v19, v5
	ds_read_u8 v20, v5
	v_cndmask_b32_e32 v9, v11, v12, vcc
	v_cndmask_b32_e32 v8, v8, v19, vcc
	;; [unrolled: 1-line block ×3, first 2 shown]
	v_cmp_gt_u32_e64 s[0:1], s13, v8
	s_waitcnt lgkmcnt(0)
	v_cndmask_b32_e32 v11, v20, v11, vcc
	v_cndmask_b32_e32 v12, v12, v20, vcc
	v_cmp_le_u16_sdwa s[2:3], v12, v11 src0_sel:BYTE_0 src1_sel:BYTE_0
	v_cmp_le_u32_e32 vcc, s22, v10
	s_and_b64 s[0:1], s[0:1], s[2:3]
	s_or_b64 vcc, vcc, s[0:1]
	v_cndmask_b32_e64 v5, v14, v13, s[4:5]
	v_cndmask_b32_e64 v6, v16, v15, s[6:7]
	;; [unrolled: 1-line block ×3, first 2 shown]
	v_cndmask_b32_e32 v11, v11, v12, vcc
.LBB2872_33:
	s_or_b64 exec, exec, s[16:17]
	v_lshlrev_b16_e32 v7, 8, v7
	v_lshlrev_b16_e32 v2, 8, v2
	v_lshrrev_b32_e32 v8, 2, v0
	v_or_b32_sdwa v6, v6, v7 dst_sel:DWORD dst_unused:UNUSED_PAD src0_sel:BYTE_0 src1_sel:DWORD
	v_lshlrev_b16_e32 v7, 8, v11
	v_or_b32_sdwa v1, v1, v2 dst_sel:DWORD dst_unused:UNUSED_PAD src0_sel:BYTE_0 src1_sel:DWORD
	v_lshlrev_b16_e32 v2, 8, v5
	s_add_u32 s0, s18, s20
	v_and_b32_e32 v8, 28, v8
	v_or_b32_sdwa v7, v9, v7 dst_sel:WORD_1 dst_unused:UNUSED_PAD src0_sel:BYTE_0 src1_sel:DWORD
	v_or_b32_sdwa v2, v3, v2 dst_sel:WORD_1 dst_unused:UNUSED_PAD src0_sel:BYTE_0 src1_sel:DWORD
	s_addc_u32 s1, s19, s21
	v_add_u32_e32 v4, v8, v4
	v_or_b32_sdwa v6, v6, v7 dst_sel:DWORD dst_unused:UNUSED_PAD src0_sel:WORD_0 src1_sel:DWORD
	v_or_b32_sdwa v1, v1, v2 dst_sel:DWORD dst_unused:UNUSED_PAD src0_sel:WORD_0 src1_sel:DWORD
	s_barrier
	s_barrier
	ds_write2_b32 v4, v1, v6 offset1:1
	v_mov_b32_e32 v1, s1
	v_add_co_u32_e32 v2, vcc, s0, v0
	v_addc_co_u32_e32 v3, vcc, 0, v1, vcc
	s_and_b64 vcc, exec, s[14:15]
	v_add_u32_e32 v1, 4, v0
	v_add_u32_e32 v4, 8, v0
	;; [unrolled: 1-line block ×7, first 2 shown]
	s_waitcnt lgkmcnt(0)
	s_cbranch_vccz .LBB2872_35
; %bb.34:
	s_barrier
	ds_read_u8 v10, v0
	ds_read_u8 v11, v1 offset:128
	ds_read_u8 v12, v4 offset:256
	;; [unrolled: 1-line block ×7, first 2 shown]
	s_waitcnt lgkmcnt(7)
	global_store_byte v[2:3], v10, off
	s_waitcnt lgkmcnt(6)
	global_store_byte v[2:3], v11, off offset:128
	s_waitcnt lgkmcnt(5)
	global_store_byte v[2:3], v12, off offset:256
	;; [unrolled: 2-line block ×6, first 2 shown]
	v_lshlrev_b16_e32 v10, 8, v15
	s_waitcnt lgkmcnt(0)
	v_lshlrev_b16_e32 v11, 8, v17
	v_or_b32_e32 v10, v14, v10
	v_or_b32_sdwa v11, v16, v11 dst_sel:WORD_1 dst_unused:UNUSED_PAD src0_sel:DWORD src1_sel:DWORD
	v_or_b32_sdwa v10, v10, v11 dst_sel:DWORD dst_unused:UNUSED_PAD src0_sel:WORD_0 src1_sel:DWORD
	s_mov_b64 s[0:1], -1
	s_cbranch_execz .LBB2872_36
	s_branch .LBB2872_51
.LBB2872_35:
	s_mov_b64 s[0:1], 0
                                        ; implicit-def: $vgpr10
.LBB2872_36:
	s_barrier
	ds_read_u8 v13, v0
	ds_read_u8 v12, v1 offset:128
	ds_read_u8 v11, v4 offset:256
	ds_read_u8 v10, v5 offset:384
	ds_read_u8 v1, v6 offset:512
	ds_read_u8 v5, v7 offset:640
	ds_read_u8 v4, v8 offset:768
	ds_read_u8 v6, v9 offset:896
	s_sub_i32 s2, s12, s20
	v_or_b32_e32 v7, 0x80, v0
	v_cmp_gt_u32_e32 vcc, s2, v0
	s_and_saveexec_b64 s[0:1], vcc
	s_cbranch_execz .LBB2872_38
; %bb.37:
	s_waitcnt lgkmcnt(7)
	global_store_byte v[2:3], v13, off
.LBB2872_38:
	s_or_b64 exec, exec, s[0:1]
	v_or_b32_e32 v8, 0x100, v0
	v_cmp_gt_u32_e32 vcc, s2, v7
	s_and_saveexec_b64 s[0:1], vcc
	s_cbranch_execz .LBB2872_40
; %bb.39:
	s_waitcnt lgkmcnt(6)
	global_store_byte v[2:3], v12, off offset:128
.LBB2872_40:
	s_or_b64 exec, exec, s[0:1]
	v_or_b32_e32 v7, 0x180, v0
	v_cmp_gt_u32_e32 vcc, s2, v8
	s_and_saveexec_b64 s[0:1], vcc
	s_cbranch_execz .LBB2872_42
; %bb.41:
	s_waitcnt lgkmcnt(5)
	global_store_byte v[2:3], v11, off offset:256
.LBB2872_42:
	;; [unrolled: 9-line block ×6, first 2 shown]
	s_or_b64 exec, exec, s[0:1]
	v_cmp_gt_u32_e64 s[0:1], s2, v0
	s_waitcnt lgkmcnt(2)
	v_lshlrev_b16_e32 v0, 8, v5
	v_or_b32_sdwa v0, v1, v0 dst_sel:DWORD dst_unused:UNUSED_PAD src0_sel:BYTE_0 src1_sel:DWORD
	s_waitcnt lgkmcnt(0)
	v_lshlrev_b16_e32 v1, 8, v6
	v_or_b32_sdwa v1, v4, v1 dst_sel:WORD_1 dst_unused:UNUSED_PAD src0_sel:BYTE_0 src1_sel:DWORD
	v_or_b32_sdwa v10, v0, v1 dst_sel:DWORD dst_unused:UNUSED_PAD src0_sel:WORD_0 src1_sel:DWORD
.LBB2872_51:
	s_and_saveexec_b64 s[2:3], s[0:1]
	s_cbranch_execz .LBB2872_53
; %bb.52:
	v_lshrrev_b32_e32 v0, 24, v10
	global_store_byte v[2:3], v0, off offset:896
.LBB2872_53:
	s_endpgm
	.section	.rodata,"a",@progbits
	.p2align	6, 0x0
	.amdhsa_kernel _ZN7rocprim17ROCPRIM_400000_NS6detail17trampoline_kernelINS0_14default_configENS1_38merge_sort_block_merge_config_selectorIhNS0_10empty_typeEEEZZNS1_27merge_sort_block_merge_implIS3_N6thrust23THRUST_200600_302600_NS6detail15normal_iteratorINS9_10device_ptrIhEEEEPS5_m14custom_greaterIhEEE10hipError_tT0_T1_T2_jT3_P12ihipStream_tbPNSt15iterator_traitsISJ_E10value_typeEPNSP_ISK_E10value_typeEPSL_NS1_7vsmem_tEENKUlT_SJ_SK_SL_E_clIPhSE_SF_SF_EESI_SY_SJ_SK_SL_EUlSY_E0_NS1_11comp_targetILNS1_3genE4ELNS1_11target_archE910ELNS1_3gpuE8ELNS1_3repE0EEENS1_38merge_mergepath_config_static_selectorELNS0_4arch9wavefront6targetE1EEEvSK_
		.amdhsa_group_segment_fixed_size 1056
		.amdhsa_private_segment_fixed_size 0
		.amdhsa_kernarg_size 328
		.amdhsa_user_sgpr_count 6
		.amdhsa_user_sgpr_private_segment_buffer 1
		.amdhsa_user_sgpr_dispatch_ptr 0
		.amdhsa_user_sgpr_queue_ptr 0
		.amdhsa_user_sgpr_kernarg_segment_ptr 1
		.amdhsa_user_sgpr_dispatch_id 0
		.amdhsa_user_sgpr_flat_scratch_init 0
		.amdhsa_user_sgpr_kernarg_preload_length 0
		.amdhsa_user_sgpr_kernarg_preload_offset 0
		.amdhsa_user_sgpr_private_segment_size 0
		.amdhsa_uses_dynamic_stack 0
		.amdhsa_system_sgpr_private_segment_wavefront_offset 0
		.amdhsa_system_sgpr_workgroup_id_x 1
		.amdhsa_system_sgpr_workgroup_id_y 1
		.amdhsa_system_sgpr_workgroup_id_z 1
		.amdhsa_system_sgpr_workgroup_info 0
		.amdhsa_system_vgpr_workitem_id 0
		.amdhsa_next_free_vgpr 28
		.amdhsa_next_free_sgpr 31
		.amdhsa_accum_offset 28
		.amdhsa_reserve_vcc 1
		.amdhsa_reserve_flat_scratch 0
		.amdhsa_float_round_mode_32 0
		.amdhsa_float_round_mode_16_64 0
		.amdhsa_float_denorm_mode_32 3
		.amdhsa_float_denorm_mode_16_64 3
		.amdhsa_dx10_clamp 1
		.amdhsa_ieee_mode 1
		.amdhsa_fp16_overflow 0
		.amdhsa_tg_split 0
		.amdhsa_exception_fp_ieee_invalid_op 0
		.amdhsa_exception_fp_denorm_src 0
		.amdhsa_exception_fp_ieee_div_zero 0
		.amdhsa_exception_fp_ieee_overflow 0
		.amdhsa_exception_fp_ieee_underflow 0
		.amdhsa_exception_fp_ieee_inexact 0
		.amdhsa_exception_int_div_zero 0
	.end_amdhsa_kernel
	.section	.text._ZN7rocprim17ROCPRIM_400000_NS6detail17trampoline_kernelINS0_14default_configENS1_38merge_sort_block_merge_config_selectorIhNS0_10empty_typeEEEZZNS1_27merge_sort_block_merge_implIS3_N6thrust23THRUST_200600_302600_NS6detail15normal_iteratorINS9_10device_ptrIhEEEEPS5_m14custom_greaterIhEEE10hipError_tT0_T1_T2_jT3_P12ihipStream_tbPNSt15iterator_traitsISJ_E10value_typeEPNSP_ISK_E10value_typeEPSL_NS1_7vsmem_tEENKUlT_SJ_SK_SL_E_clIPhSE_SF_SF_EESI_SY_SJ_SK_SL_EUlSY_E0_NS1_11comp_targetILNS1_3genE4ELNS1_11target_archE910ELNS1_3gpuE8ELNS1_3repE0EEENS1_38merge_mergepath_config_static_selectorELNS0_4arch9wavefront6targetE1EEEvSK_,"axG",@progbits,_ZN7rocprim17ROCPRIM_400000_NS6detail17trampoline_kernelINS0_14default_configENS1_38merge_sort_block_merge_config_selectorIhNS0_10empty_typeEEEZZNS1_27merge_sort_block_merge_implIS3_N6thrust23THRUST_200600_302600_NS6detail15normal_iteratorINS9_10device_ptrIhEEEEPS5_m14custom_greaterIhEEE10hipError_tT0_T1_T2_jT3_P12ihipStream_tbPNSt15iterator_traitsISJ_E10value_typeEPNSP_ISK_E10value_typeEPSL_NS1_7vsmem_tEENKUlT_SJ_SK_SL_E_clIPhSE_SF_SF_EESI_SY_SJ_SK_SL_EUlSY_E0_NS1_11comp_targetILNS1_3genE4ELNS1_11target_archE910ELNS1_3gpuE8ELNS1_3repE0EEENS1_38merge_mergepath_config_static_selectorELNS0_4arch9wavefront6targetE1EEEvSK_,comdat
.Lfunc_end2872:
	.size	_ZN7rocprim17ROCPRIM_400000_NS6detail17trampoline_kernelINS0_14default_configENS1_38merge_sort_block_merge_config_selectorIhNS0_10empty_typeEEEZZNS1_27merge_sort_block_merge_implIS3_N6thrust23THRUST_200600_302600_NS6detail15normal_iteratorINS9_10device_ptrIhEEEEPS5_m14custom_greaterIhEEE10hipError_tT0_T1_T2_jT3_P12ihipStream_tbPNSt15iterator_traitsISJ_E10value_typeEPNSP_ISK_E10value_typeEPSL_NS1_7vsmem_tEENKUlT_SJ_SK_SL_E_clIPhSE_SF_SF_EESI_SY_SJ_SK_SL_EUlSY_E0_NS1_11comp_targetILNS1_3genE4ELNS1_11target_archE910ELNS1_3gpuE8ELNS1_3repE0EEENS1_38merge_mergepath_config_static_selectorELNS0_4arch9wavefront6targetE1EEEvSK_, .Lfunc_end2872-_ZN7rocprim17ROCPRIM_400000_NS6detail17trampoline_kernelINS0_14default_configENS1_38merge_sort_block_merge_config_selectorIhNS0_10empty_typeEEEZZNS1_27merge_sort_block_merge_implIS3_N6thrust23THRUST_200600_302600_NS6detail15normal_iteratorINS9_10device_ptrIhEEEEPS5_m14custom_greaterIhEEE10hipError_tT0_T1_T2_jT3_P12ihipStream_tbPNSt15iterator_traitsISJ_E10value_typeEPNSP_ISK_E10value_typeEPSL_NS1_7vsmem_tEENKUlT_SJ_SK_SL_E_clIPhSE_SF_SF_EESI_SY_SJ_SK_SL_EUlSY_E0_NS1_11comp_targetILNS1_3genE4ELNS1_11target_archE910ELNS1_3gpuE8ELNS1_3repE0EEENS1_38merge_mergepath_config_static_selectorELNS0_4arch9wavefront6targetE1EEEvSK_
                                        ; -- End function
	.section	.AMDGPU.csdata,"",@progbits
; Kernel info:
; codeLenInByte = 3280
; NumSgprs: 35
; NumVgprs: 28
; NumAgprs: 0
; TotalNumVgprs: 28
; ScratchSize: 0
; MemoryBound: 0
; FloatMode: 240
; IeeeMode: 1
; LDSByteSize: 1056 bytes/workgroup (compile time only)
; SGPRBlocks: 4
; VGPRBlocks: 3
; NumSGPRsForWavesPerEU: 35
; NumVGPRsForWavesPerEU: 28
; AccumOffset: 28
; Occupancy: 8
; WaveLimiterHint : 1
; COMPUTE_PGM_RSRC2:SCRATCH_EN: 0
; COMPUTE_PGM_RSRC2:USER_SGPR: 6
; COMPUTE_PGM_RSRC2:TRAP_HANDLER: 0
; COMPUTE_PGM_RSRC2:TGID_X_EN: 1
; COMPUTE_PGM_RSRC2:TGID_Y_EN: 1
; COMPUTE_PGM_RSRC2:TGID_Z_EN: 1
; COMPUTE_PGM_RSRC2:TIDIG_COMP_CNT: 0
; COMPUTE_PGM_RSRC3_GFX90A:ACCUM_OFFSET: 6
; COMPUTE_PGM_RSRC3_GFX90A:TG_SPLIT: 0
	.section	.text._ZN7rocprim17ROCPRIM_400000_NS6detail17trampoline_kernelINS0_14default_configENS1_38merge_sort_block_merge_config_selectorIhNS0_10empty_typeEEEZZNS1_27merge_sort_block_merge_implIS3_N6thrust23THRUST_200600_302600_NS6detail15normal_iteratorINS9_10device_ptrIhEEEEPS5_m14custom_greaterIhEEE10hipError_tT0_T1_T2_jT3_P12ihipStream_tbPNSt15iterator_traitsISJ_E10value_typeEPNSP_ISK_E10value_typeEPSL_NS1_7vsmem_tEENKUlT_SJ_SK_SL_E_clIPhSE_SF_SF_EESI_SY_SJ_SK_SL_EUlSY_E0_NS1_11comp_targetILNS1_3genE3ELNS1_11target_archE908ELNS1_3gpuE7ELNS1_3repE0EEENS1_38merge_mergepath_config_static_selectorELNS0_4arch9wavefront6targetE1EEEvSK_,"axG",@progbits,_ZN7rocprim17ROCPRIM_400000_NS6detail17trampoline_kernelINS0_14default_configENS1_38merge_sort_block_merge_config_selectorIhNS0_10empty_typeEEEZZNS1_27merge_sort_block_merge_implIS3_N6thrust23THRUST_200600_302600_NS6detail15normal_iteratorINS9_10device_ptrIhEEEEPS5_m14custom_greaterIhEEE10hipError_tT0_T1_T2_jT3_P12ihipStream_tbPNSt15iterator_traitsISJ_E10value_typeEPNSP_ISK_E10value_typeEPSL_NS1_7vsmem_tEENKUlT_SJ_SK_SL_E_clIPhSE_SF_SF_EESI_SY_SJ_SK_SL_EUlSY_E0_NS1_11comp_targetILNS1_3genE3ELNS1_11target_archE908ELNS1_3gpuE7ELNS1_3repE0EEENS1_38merge_mergepath_config_static_selectorELNS0_4arch9wavefront6targetE1EEEvSK_,comdat
	.protected	_ZN7rocprim17ROCPRIM_400000_NS6detail17trampoline_kernelINS0_14default_configENS1_38merge_sort_block_merge_config_selectorIhNS0_10empty_typeEEEZZNS1_27merge_sort_block_merge_implIS3_N6thrust23THRUST_200600_302600_NS6detail15normal_iteratorINS9_10device_ptrIhEEEEPS5_m14custom_greaterIhEEE10hipError_tT0_T1_T2_jT3_P12ihipStream_tbPNSt15iterator_traitsISJ_E10value_typeEPNSP_ISK_E10value_typeEPSL_NS1_7vsmem_tEENKUlT_SJ_SK_SL_E_clIPhSE_SF_SF_EESI_SY_SJ_SK_SL_EUlSY_E0_NS1_11comp_targetILNS1_3genE3ELNS1_11target_archE908ELNS1_3gpuE7ELNS1_3repE0EEENS1_38merge_mergepath_config_static_selectorELNS0_4arch9wavefront6targetE1EEEvSK_ ; -- Begin function _ZN7rocprim17ROCPRIM_400000_NS6detail17trampoline_kernelINS0_14default_configENS1_38merge_sort_block_merge_config_selectorIhNS0_10empty_typeEEEZZNS1_27merge_sort_block_merge_implIS3_N6thrust23THRUST_200600_302600_NS6detail15normal_iteratorINS9_10device_ptrIhEEEEPS5_m14custom_greaterIhEEE10hipError_tT0_T1_T2_jT3_P12ihipStream_tbPNSt15iterator_traitsISJ_E10value_typeEPNSP_ISK_E10value_typeEPSL_NS1_7vsmem_tEENKUlT_SJ_SK_SL_E_clIPhSE_SF_SF_EESI_SY_SJ_SK_SL_EUlSY_E0_NS1_11comp_targetILNS1_3genE3ELNS1_11target_archE908ELNS1_3gpuE7ELNS1_3repE0EEENS1_38merge_mergepath_config_static_selectorELNS0_4arch9wavefront6targetE1EEEvSK_
	.globl	_ZN7rocprim17ROCPRIM_400000_NS6detail17trampoline_kernelINS0_14default_configENS1_38merge_sort_block_merge_config_selectorIhNS0_10empty_typeEEEZZNS1_27merge_sort_block_merge_implIS3_N6thrust23THRUST_200600_302600_NS6detail15normal_iteratorINS9_10device_ptrIhEEEEPS5_m14custom_greaterIhEEE10hipError_tT0_T1_T2_jT3_P12ihipStream_tbPNSt15iterator_traitsISJ_E10value_typeEPNSP_ISK_E10value_typeEPSL_NS1_7vsmem_tEENKUlT_SJ_SK_SL_E_clIPhSE_SF_SF_EESI_SY_SJ_SK_SL_EUlSY_E0_NS1_11comp_targetILNS1_3genE3ELNS1_11target_archE908ELNS1_3gpuE7ELNS1_3repE0EEENS1_38merge_mergepath_config_static_selectorELNS0_4arch9wavefront6targetE1EEEvSK_
	.p2align	8
	.type	_ZN7rocprim17ROCPRIM_400000_NS6detail17trampoline_kernelINS0_14default_configENS1_38merge_sort_block_merge_config_selectorIhNS0_10empty_typeEEEZZNS1_27merge_sort_block_merge_implIS3_N6thrust23THRUST_200600_302600_NS6detail15normal_iteratorINS9_10device_ptrIhEEEEPS5_m14custom_greaterIhEEE10hipError_tT0_T1_T2_jT3_P12ihipStream_tbPNSt15iterator_traitsISJ_E10value_typeEPNSP_ISK_E10value_typeEPSL_NS1_7vsmem_tEENKUlT_SJ_SK_SL_E_clIPhSE_SF_SF_EESI_SY_SJ_SK_SL_EUlSY_E0_NS1_11comp_targetILNS1_3genE3ELNS1_11target_archE908ELNS1_3gpuE7ELNS1_3repE0EEENS1_38merge_mergepath_config_static_selectorELNS0_4arch9wavefront6targetE1EEEvSK_,@function
_ZN7rocprim17ROCPRIM_400000_NS6detail17trampoline_kernelINS0_14default_configENS1_38merge_sort_block_merge_config_selectorIhNS0_10empty_typeEEEZZNS1_27merge_sort_block_merge_implIS3_N6thrust23THRUST_200600_302600_NS6detail15normal_iteratorINS9_10device_ptrIhEEEEPS5_m14custom_greaterIhEEE10hipError_tT0_T1_T2_jT3_P12ihipStream_tbPNSt15iterator_traitsISJ_E10value_typeEPNSP_ISK_E10value_typeEPSL_NS1_7vsmem_tEENKUlT_SJ_SK_SL_E_clIPhSE_SF_SF_EESI_SY_SJ_SK_SL_EUlSY_E0_NS1_11comp_targetILNS1_3genE3ELNS1_11target_archE908ELNS1_3gpuE7ELNS1_3repE0EEENS1_38merge_mergepath_config_static_selectorELNS0_4arch9wavefront6targetE1EEEvSK_: ; @_ZN7rocprim17ROCPRIM_400000_NS6detail17trampoline_kernelINS0_14default_configENS1_38merge_sort_block_merge_config_selectorIhNS0_10empty_typeEEEZZNS1_27merge_sort_block_merge_implIS3_N6thrust23THRUST_200600_302600_NS6detail15normal_iteratorINS9_10device_ptrIhEEEEPS5_m14custom_greaterIhEEE10hipError_tT0_T1_T2_jT3_P12ihipStream_tbPNSt15iterator_traitsISJ_E10value_typeEPNSP_ISK_E10value_typeEPSL_NS1_7vsmem_tEENKUlT_SJ_SK_SL_E_clIPhSE_SF_SF_EESI_SY_SJ_SK_SL_EUlSY_E0_NS1_11comp_targetILNS1_3genE3ELNS1_11target_archE908ELNS1_3gpuE7ELNS1_3repE0EEENS1_38merge_mergepath_config_static_selectorELNS0_4arch9wavefront6targetE1EEEvSK_
; %bb.0:
	.section	.rodata,"a",@progbits
	.p2align	6, 0x0
	.amdhsa_kernel _ZN7rocprim17ROCPRIM_400000_NS6detail17trampoline_kernelINS0_14default_configENS1_38merge_sort_block_merge_config_selectorIhNS0_10empty_typeEEEZZNS1_27merge_sort_block_merge_implIS3_N6thrust23THRUST_200600_302600_NS6detail15normal_iteratorINS9_10device_ptrIhEEEEPS5_m14custom_greaterIhEEE10hipError_tT0_T1_T2_jT3_P12ihipStream_tbPNSt15iterator_traitsISJ_E10value_typeEPNSP_ISK_E10value_typeEPSL_NS1_7vsmem_tEENKUlT_SJ_SK_SL_E_clIPhSE_SF_SF_EESI_SY_SJ_SK_SL_EUlSY_E0_NS1_11comp_targetILNS1_3genE3ELNS1_11target_archE908ELNS1_3gpuE7ELNS1_3repE0EEENS1_38merge_mergepath_config_static_selectorELNS0_4arch9wavefront6targetE1EEEvSK_
		.amdhsa_group_segment_fixed_size 0
		.amdhsa_private_segment_fixed_size 0
		.amdhsa_kernarg_size 72
		.amdhsa_user_sgpr_count 6
		.amdhsa_user_sgpr_private_segment_buffer 1
		.amdhsa_user_sgpr_dispatch_ptr 0
		.amdhsa_user_sgpr_queue_ptr 0
		.amdhsa_user_sgpr_kernarg_segment_ptr 1
		.amdhsa_user_sgpr_dispatch_id 0
		.amdhsa_user_sgpr_flat_scratch_init 0
		.amdhsa_user_sgpr_kernarg_preload_length 0
		.amdhsa_user_sgpr_kernarg_preload_offset 0
		.amdhsa_user_sgpr_private_segment_size 0
		.amdhsa_uses_dynamic_stack 0
		.amdhsa_system_sgpr_private_segment_wavefront_offset 0
		.amdhsa_system_sgpr_workgroup_id_x 1
		.amdhsa_system_sgpr_workgroup_id_y 0
		.amdhsa_system_sgpr_workgroup_id_z 0
		.amdhsa_system_sgpr_workgroup_info 0
		.amdhsa_system_vgpr_workitem_id 0
		.amdhsa_next_free_vgpr 1
		.amdhsa_next_free_sgpr 0
		.amdhsa_accum_offset 4
		.amdhsa_reserve_vcc 0
		.amdhsa_reserve_flat_scratch 0
		.amdhsa_float_round_mode_32 0
		.amdhsa_float_round_mode_16_64 0
		.amdhsa_float_denorm_mode_32 3
		.amdhsa_float_denorm_mode_16_64 3
		.amdhsa_dx10_clamp 1
		.amdhsa_ieee_mode 1
		.amdhsa_fp16_overflow 0
		.amdhsa_tg_split 0
		.amdhsa_exception_fp_ieee_invalid_op 0
		.amdhsa_exception_fp_denorm_src 0
		.amdhsa_exception_fp_ieee_div_zero 0
		.amdhsa_exception_fp_ieee_overflow 0
		.amdhsa_exception_fp_ieee_underflow 0
		.amdhsa_exception_fp_ieee_inexact 0
		.amdhsa_exception_int_div_zero 0
	.end_amdhsa_kernel
	.section	.text._ZN7rocprim17ROCPRIM_400000_NS6detail17trampoline_kernelINS0_14default_configENS1_38merge_sort_block_merge_config_selectorIhNS0_10empty_typeEEEZZNS1_27merge_sort_block_merge_implIS3_N6thrust23THRUST_200600_302600_NS6detail15normal_iteratorINS9_10device_ptrIhEEEEPS5_m14custom_greaterIhEEE10hipError_tT0_T1_T2_jT3_P12ihipStream_tbPNSt15iterator_traitsISJ_E10value_typeEPNSP_ISK_E10value_typeEPSL_NS1_7vsmem_tEENKUlT_SJ_SK_SL_E_clIPhSE_SF_SF_EESI_SY_SJ_SK_SL_EUlSY_E0_NS1_11comp_targetILNS1_3genE3ELNS1_11target_archE908ELNS1_3gpuE7ELNS1_3repE0EEENS1_38merge_mergepath_config_static_selectorELNS0_4arch9wavefront6targetE1EEEvSK_,"axG",@progbits,_ZN7rocprim17ROCPRIM_400000_NS6detail17trampoline_kernelINS0_14default_configENS1_38merge_sort_block_merge_config_selectorIhNS0_10empty_typeEEEZZNS1_27merge_sort_block_merge_implIS3_N6thrust23THRUST_200600_302600_NS6detail15normal_iteratorINS9_10device_ptrIhEEEEPS5_m14custom_greaterIhEEE10hipError_tT0_T1_T2_jT3_P12ihipStream_tbPNSt15iterator_traitsISJ_E10value_typeEPNSP_ISK_E10value_typeEPSL_NS1_7vsmem_tEENKUlT_SJ_SK_SL_E_clIPhSE_SF_SF_EESI_SY_SJ_SK_SL_EUlSY_E0_NS1_11comp_targetILNS1_3genE3ELNS1_11target_archE908ELNS1_3gpuE7ELNS1_3repE0EEENS1_38merge_mergepath_config_static_selectorELNS0_4arch9wavefront6targetE1EEEvSK_,comdat
.Lfunc_end2873:
	.size	_ZN7rocprim17ROCPRIM_400000_NS6detail17trampoline_kernelINS0_14default_configENS1_38merge_sort_block_merge_config_selectorIhNS0_10empty_typeEEEZZNS1_27merge_sort_block_merge_implIS3_N6thrust23THRUST_200600_302600_NS6detail15normal_iteratorINS9_10device_ptrIhEEEEPS5_m14custom_greaterIhEEE10hipError_tT0_T1_T2_jT3_P12ihipStream_tbPNSt15iterator_traitsISJ_E10value_typeEPNSP_ISK_E10value_typeEPSL_NS1_7vsmem_tEENKUlT_SJ_SK_SL_E_clIPhSE_SF_SF_EESI_SY_SJ_SK_SL_EUlSY_E0_NS1_11comp_targetILNS1_3genE3ELNS1_11target_archE908ELNS1_3gpuE7ELNS1_3repE0EEENS1_38merge_mergepath_config_static_selectorELNS0_4arch9wavefront6targetE1EEEvSK_, .Lfunc_end2873-_ZN7rocprim17ROCPRIM_400000_NS6detail17trampoline_kernelINS0_14default_configENS1_38merge_sort_block_merge_config_selectorIhNS0_10empty_typeEEEZZNS1_27merge_sort_block_merge_implIS3_N6thrust23THRUST_200600_302600_NS6detail15normal_iteratorINS9_10device_ptrIhEEEEPS5_m14custom_greaterIhEEE10hipError_tT0_T1_T2_jT3_P12ihipStream_tbPNSt15iterator_traitsISJ_E10value_typeEPNSP_ISK_E10value_typeEPSL_NS1_7vsmem_tEENKUlT_SJ_SK_SL_E_clIPhSE_SF_SF_EESI_SY_SJ_SK_SL_EUlSY_E0_NS1_11comp_targetILNS1_3genE3ELNS1_11target_archE908ELNS1_3gpuE7ELNS1_3repE0EEENS1_38merge_mergepath_config_static_selectorELNS0_4arch9wavefront6targetE1EEEvSK_
                                        ; -- End function
	.section	.AMDGPU.csdata,"",@progbits
; Kernel info:
; codeLenInByte = 0
; NumSgprs: 4
; NumVgprs: 0
; NumAgprs: 0
; TotalNumVgprs: 0
; ScratchSize: 0
; MemoryBound: 0
; FloatMode: 240
; IeeeMode: 1
; LDSByteSize: 0 bytes/workgroup (compile time only)
; SGPRBlocks: 0
; VGPRBlocks: 0
; NumSGPRsForWavesPerEU: 4
; NumVGPRsForWavesPerEU: 1
; AccumOffset: 4
; Occupancy: 8
; WaveLimiterHint : 0
; COMPUTE_PGM_RSRC2:SCRATCH_EN: 0
; COMPUTE_PGM_RSRC2:USER_SGPR: 6
; COMPUTE_PGM_RSRC2:TRAP_HANDLER: 0
; COMPUTE_PGM_RSRC2:TGID_X_EN: 1
; COMPUTE_PGM_RSRC2:TGID_Y_EN: 0
; COMPUTE_PGM_RSRC2:TGID_Z_EN: 0
; COMPUTE_PGM_RSRC2:TIDIG_COMP_CNT: 0
; COMPUTE_PGM_RSRC3_GFX90A:ACCUM_OFFSET: 0
; COMPUTE_PGM_RSRC3_GFX90A:TG_SPLIT: 0
	.section	.text._ZN7rocprim17ROCPRIM_400000_NS6detail17trampoline_kernelINS0_14default_configENS1_38merge_sort_block_merge_config_selectorIhNS0_10empty_typeEEEZZNS1_27merge_sort_block_merge_implIS3_N6thrust23THRUST_200600_302600_NS6detail15normal_iteratorINS9_10device_ptrIhEEEEPS5_m14custom_greaterIhEEE10hipError_tT0_T1_T2_jT3_P12ihipStream_tbPNSt15iterator_traitsISJ_E10value_typeEPNSP_ISK_E10value_typeEPSL_NS1_7vsmem_tEENKUlT_SJ_SK_SL_E_clIPhSE_SF_SF_EESI_SY_SJ_SK_SL_EUlSY_E0_NS1_11comp_targetILNS1_3genE2ELNS1_11target_archE906ELNS1_3gpuE6ELNS1_3repE0EEENS1_38merge_mergepath_config_static_selectorELNS0_4arch9wavefront6targetE1EEEvSK_,"axG",@progbits,_ZN7rocprim17ROCPRIM_400000_NS6detail17trampoline_kernelINS0_14default_configENS1_38merge_sort_block_merge_config_selectorIhNS0_10empty_typeEEEZZNS1_27merge_sort_block_merge_implIS3_N6thrust23THRUST_200600_302600_NS6detail15normal_iteratorINS9_10device_ptrIhEEEEPS5_m14custom_greaterIhEEE10hipError_tT0_T1_T2_jT3_P12ihipStream_tbPNSt15iterator_traitsISJ_E10value_typeEPNSP_ISK_E10value_typeEPSL_NS1_7vsmem_tEENKUlT_SJ_SK_SL_E_clIPhSE_SF_SF_EESI_SY_SJ_SK_SL_EUlSY_E0_NS1_11comp_targetILNS1_3genE2ELNS1_11target_archE906ELNS1_3gpuE6ELNS1_3repE0EEENS1_38merge_mergepath_config_static_selectorELNS0_4arch9wavefront6targetE1EEEvSK_,comdat
	.protected	_ZN7rocprim17ROCPRIM_400000_NS6detail17trampoline_kernelINS0_14default_configENS1_38merge_sort_block_merge_config_selectorIhNS0_10empty_typeEEEZZNS1_27merge_sort_block_merge_implIS3_N6thrust23THRUST_200600_302600_NS6detail15normal_iteratorINS9_10device_ptrIhEEEEPS5_m14custom_greaterIhEEE10hipError_tT0_T1_T2_jT3_P12ihipStream_tbPNSt15iterator_traitsISJ_E10value_typeEPNSP_ISK_E10value_typeEPSL_NS1_7vsmem_tEENKUlT_SJ_SK_SL_E_clIPhSE_SF_SF_EESI_SY_SJ_SK_SL_EUlSY_E0_NS1_11comp_targetILNS1_3genE2ELNS1_11target_archE906ELNS1_3gpuE6ELNS1_3repE0EEENS1_38merge_mergepath_config_static_selectorELNS0_4arch9wavefront6targetE1EEEvSK_ ; -- Begin function _ZN7rocprim17ROCPRIM_400000_NS6detail17trampoline_kernelINS0_14default_configENS1_38merge_sort_block_merge_config_selectorIhNS0_10empty_typeEEEZZNS1_27merge_sort_block_merge_implIS3_N6thrust23THRUST_200600_302600_NS6detail15normal_iteratorINS9_10device_ptrIhEEEEPS5_m14custom_greaterIhEEE10hipError_tT0_T1_T2_jT3_P12ihipStream_tbPNSt15iterator_traitsISJ_E10value_typeEPNSP_ISK_E10value_typeEPSL_NS1_7vsmem_tEENKUlT_SJ_SK_SL_E_clIPhSE_SF_SF_EESI_SY_SJ_SK_SL_EUlSY_E0_NS1_11comp_targetILNS1_3genE2ELNS1_11target_archE906ELNS1_3gpuE6ELNS1_3repE0EEENS1_38merge_mergepath_config_static_selectorELNS0_4arch9wavefront6targetE1EEEvSK_
	.globl	_ZN7rocprim17ROCPRIM_400000_NS6detail17trampoline_kernelINS0_14default_configENS1_38merge_sort_block_merge_config_selectorIhNS0_10empty_typeEEEZZNS1_27merge_sort_block_merge_implIS3_N6thrust23THRUST_200600_302600_NS6detail15normal_iteratorINS9_10device_ptrIhEEEEPS5_m14custom_greaterIhEEE10hipError_tT0_T1_T2_jT3_P12ihipStream_tbPNSt15iterator_traitsISJ_E10value_typeEPNSP_ISK_E10value_typeEPSL_NS1_7vsmem_tEENKUlT_SJ_SK_SL_E_clIPhSE_SF_SF_EESI_SY_SJ_SK_SL_EUlSY_E0_NS1_11comp_targetILNS1_3genE2ELNS1_11target_archE906ELNS1_3gpuE6ELNS1_3repE0EEENS1_38merge_mergepath_config_static_selectorELNS0_4arch9wavefront6targetE1EEEvSK_
	.p2align	8
	.type	_ZN7rocprim17ROCPRIM_400000_NS6detail17trampoline_kernelINS0_14default_configENS1_38merge_sort_block_merge_config_selectorIhNS0_10empty_typeEEEZZNS1_27merge_sort_block_merge_implIS3_N6thrust23THRUST_200600_302600_NS6detail15normal_iteratorINS9_10device_ptrIhEEEEPS5_m14custom_greaterIhEEE10hipError_tT0_T1_T2_jT3_P12ihipStream_tbPNSt15iterator_traitsISJ_E10value_typeEPNSP_ISK_E10value_typeEPSL_NS1_7vsmem_tEENKUlT_SJ_SK_SL_E_clIPhSE_SF_SF_EESI_SY_SJ_SK_SL_EUlSY_E0_NS1_11comp_targetILNS1_3genE2ELNS1_11target_archE906ELNS1_3gpuE6ELNS1_3repE0EEENS1_38merge_mergepath_config_static_selectorELNS0_4arch9wavefront6targetE1EEEvSK_,@function
_ZN7rocprim17ROCPRIM_400000_NS6detail17trampoline_kernelINS0_14default_configENS1_38merge_sort_block_merge_config_selectorIhNS0_10empty_typeEEEZZNS1_27merge_sort_block_merge_implIS3_N6thrust23THRUST_200600_302600_NS6detail15normal_iteratorINS9_10device_ptrIhEEEEPS5_m14custom_greaterIhEEE10hipError_tT0_T1_T2_jT3_P12ihipStream_tbPNSt15iterator_traitsISJ_E10value_typeEPNSP_ISK_E10value_typeEPSL_NS1_7vsmem_tEENKUlT_SJ_SK_SL_E_clIPhSE_SF_SF_EESI_SY_SJ_SK_SL_EUlSY_E0_NS1_11comp_targetILNS1_3genE2ELNS1_11target_archE906ELNS1_3gpuE6ELNS1_3repE0EEENS1_38merge_mergepath_config_static_selectorELNS0_4arch9wavefront6targetE1EEEvSK_: ; @_ZN7rocprim17ROCPRIM_400000_NS6detail17trampoline_kernelINS0_14default_configENS1_38merge_sort_block_merge_config_selectorIhNS0_10empty_typeEEEZZNS1_27merge_sort_block_merge_implIS3_N6thrust23THRUST_200600_302600_NS6detail15normal_iteratorINS9_10device_ptrIhEEEEPS5_m14custom_greaterIhEEE10hipError_tT0_T1_T2_jT3_P12ihipStream_tbPNSt15iterator_traitsISJ_E10value_typeEPNSP_ISK_E10value_typeEPSL_NS1_7vsmem_tEENKUlT_SJ_SK_SL_E_clIPhSE_SF_SF_EESI_SY_SJ_SK_SL_EUlSY_E0_NS1_11comp_targetILNS1_3genE2ELNS1_11target_archE906ELNS1_3gpuE6ELNS1_3repE0EEENS1_38merge_mergepath_config_static_selectorELNS0_4arch9wavefront6targetE1EEEvSK_
; %bb.0:
	.section	.rodata,"a",@progbits
	.p2align	6, 0x0
	.amdhsa_kernel _ZN7rocprim17ROCPRIM_400000_NS6detail17trampoline_kernelINS0_14default_configENS1_38merge_sort_block_merge_config_selectorIhNS0_10empty_typeEEEZZNS1_27merge_sort_block_merge_implIS3_N6thrust23THRUST_200600_302600_NS6detail15normal_iteratorINS9_10device_ptrIhEEEEPS5_m14custom_greaterIhEEE10hipError_tT0_T1_T2_jT3_P12ihipStream_tbPNSt15iterator_traitsISJ_E10value_typeEPNSP_ISK_E10value_typeEPSL_NS1_7vsmem_tEENKUlT_SJ_SK_SL_E_clIPhSE_SF_SF_EESI_SY_SJ_SK_SL_EUlSY_E0_NS1_11comp_targetILNS1_3genE2ELNS1_11target_archE906ELNS1_3gpuE6ELNS1_3repE0EEENS1_38merge_mergepath_config_static_selectorELNS0_4arch9wavefront6targetE1EEEvSK_
		.amdhsa_group_segment_fixed_size 0
		.amdhsa_private_segment_fixed_size 0
		.amdhsa_kernarg_size 72
		.amdhsa_user_sgpr_count 6
		.amdhsa_user_sgpr_private_segment_buffer 1
		.amdhsa_user_sgpr_dispatch_ptr 0
		.amdhsa_user_sgpr_queue_ptr 0
		.amdhsa_user_sgpr_kernarg_segment_ptr 1
		.amdhsa_user_sgpr_dispatch_id 0
		.amdhsa_user_sgpr_flat_scratch_init 0
		.amdhsa_user_sgpr_kernarg_preload_length 0
		.amdhsa_user_sgpr_kernarg_preload_offset 0
		.amdhsa_user_sgpr_private_segment_size 0
		.amdhsa_uses_dynamic_stack 0
		.amdhsa_system_sgpr_private_segment_wavefront_offset 0
		.amdhsa_system_sgpr_workgroup_id_x 1
		.amdhsa_system_sgpr_workgroup_id_y 0
		.amdhsa_system_sgpr_workgroup_id_z 0
		.amdhsa_system_sgpr_workgroup_info 0
		.amdhsa_system_vgpr_workitem_id 0
		.amdhsa_next_free_vgpr 1
		.amdhsa_next_free_sgpr 0
		.amdhsa_accum_offset 4
		.amdhsa_reserve_vcc 0
		.amdhsa_reserve_flat_scratch 0
		.amdhsa_float_round_mode_32 0
		.amdhsa_float_round_mode_16_64 0
		.amdhsa_float_denorm_mode_32 3
		.amdhsa_float_denorm_mode_16_64 3
		.amdhsa_dx10_clamp 1
		.amdhsa_ieee_mode 1
		.amdhsa_fp16_overflow 0
		.amdhsa_tg_split 0
		.amdhsa_exception_fp_ieee_invalid_op 0
		.amdhsa_exception_fp_denorm_src 0
		.amdhsa_exception_fp_ieee_div_zero 0
		.amdhsa_exception_fp_ieee_overflow 0
		.amdhsa_exception_fp_ieee_underflow 0
		.amdhsa_exception_fp_ieee_inexact 0
		.amdhsa_exception_int_div_zero 0
	.end_amdhsa_kernel
	.section	.text._ZN7rocprim17ROCPRIM_400000_NS6detail17trampoline_kernelINS0_14default_configENS1_38merge_sort_block_merge_config_selectorIhNS0_10empty_typeEEEZZNS1_27merge_sort_block_merge_implIS3_N6thrust23THRUST_200600_302600_NS6detail15normal_iteratorINS9_10device_ptrIhEEEEPS5_m14custom_greaterIhEEE10hipError_tT0_T1_T2_jT3_P12ihipStream_tbPNSt15iterator_traitsISJ_E10value_typeEPNSP_ISK_E10value_typeEPSL_NS1_7vsmem_tEENKUlT_SJ_SK_SL_E_clIPhSE_SF_SF_EESI_SY_SJ_SK_SL_EUlSY_E0_NS1_11comp_targetILNS1_3genE2ELNS1_11target_archE906ELNS1_3gpuE6ELNS1_3repE0EEENS1_38merge_mergepath_config_static_selectorELNS0_4arch9wavefront6targetE1EEEvSK_,"axG",@progbits,_ZN7rocprim17ROCPRIM_400000_NS6detail17trampoline_kernelINS0_14default_configENS1_38merge_sort_block_merge_config_selectorIhNS0_10empty_typeEEEZZNS1_27merge_sort_block_merge_implIS3_N6thrust23THRUST_200600_302600_NS6detail15normal_iteratorINS9_10device_ptrIhEEEEPS5_m14custom_greaterIhEEE10hipError_tT0_T1_T2_jT3_P12ihipStream_tbPNSt15iterator_traitsISJ_E10value_typeEPNSP_ISK_E10value_typeEPSL_NS1_7vsmem_tEENKUlT_SJ_SK_SL_E_clIPhSE_SF_SF_EESI_SY_SJ_SK_SL_EUlSY_E0_NS1_11comp_targetILNS1_3genE2ELNS1_11target_archE906ELNS1_3gpuE6ELNS1_3repE0EEENS1_38merge_mergepath_config_static_selectorELNS0_4arch9wavefront6targetE1EEEvSK_,comdat
.Lfunc_end2874:
	.size	_ZN7rocprim17ROCPRIM_400000_NS6detail17trampoline_kernelINS0_14default_configENS1_38merge_sort_block_merge_config_selectorIhNS0_10empty_typeEEEZZNS1_27merge_sort_block_merge_implIS3_N6thrust23THRUST_200600_302600_NS6detail15normal_iteratorINS9_10device_ptrIhEEEEPS5_m14custom_greaterIhEEE10hipError_tT0_T1_T2_jT3_P12ihipStream_tbPNSt15iterator_traitsISJ_E10value_typeEPNSP_ISK_E10value_typeEPSL_NS1_7vsmem_tEENKUlT_SJ_SK_SL_E_clIPhSE_SF_SF_EESI_SY_SJ_SK_SL_EUlSY_E0_NS1_11comp_targetILNS1_3genE2ELNS1_11target_archE906ELNS1_3gpuE6ELNS1_3repE0EEENS1_38merge_mergepath_config_static_selectorELNS0_4arch9wavefront6targetE1EEEvSK_, .Lfunc_end2874-_ZN7rocprim17ROCPRIM_400000_NS6detail17trampoline_kernelINS0_14default_configENS1_38merge_sort_block_merge_config_selectorIhNS0_10empty_typeEEEZZNS1_27merge_sort_block_merge_implIS3_N6thrust23THRUST_200600_302600_NS6detail15normal_iteratorINS9_10device_ptrIhEEEEPS5_m14custom_greaterIhEEE10hipError_tT0_T1_T2_jT3_P12ihipStream_tbPNSt15iterator_traitsISJ_E10value_typeEPNSP_ISK_E10value_typeEPSL_NS1_7vsmem_tEENKUlT_SJ_SK_SL_E_clIPhSE_SF_SF_EESI_SY_SJ_SK_SL_EUlSY_E0_NS1_11comp_targetILNS1_3genE2ELNS1_11target_archE906ELNS1_3gpuE6ELNS1_3repE0EEENS1_38merge_mergepath_config_static_selectorELNS0_4arch9wavefront6targetE1EEEvSK_
                                        ; -- End function
	.section	.AMDGPU.csdata,"",@progbits
; Kernel info:
; codeLenInByte = 0
; NumSgprs: 4
; NumVgprs: 0
; NumAgprs: 0
; TotalNumVgprs: 0
; ScratchSize: 0
; MemoryBound: 0
; FloatMode: 240
; IeeeMode: 1
; LDSByteSize: 0 bytes/workgroup (compile time only)
; SGPRBlocks: 0
; VGPRBlocks: 0
; NumSGPRsForWavesPerEU: 4
; NumVGPRsForWavesPerEU: 1
; AccumOffset: 4
; Occupancy: 8
; WaveLimiterHint : 0
; COMPUTE_PGM_RSRC2:SCRATCH_EN: 0
; COMPUTE_PGM_RSRC2:USER_SGPR: 6
; COMPUTE_PGM_RSRC2:TRAP_HANDLER: 0
; COMPUTE_PGM_RSRC2:TGID_X_EN: 1
; COMPUTE_PGM_RSRC2:TGID_Y_EN: 0
; COMPUTE_PGM_RSRC2:TGID_Z_EN: 0
; COMPUTE_PGM_RSRC2:TIDIG_COMP_CNT: 0
; COMPUTE_PGM_RSRC3_GFX90A:ACCUM_OFFSET: 0
; COMPUTE_PGM_RSRC3_GFX90A:TG_SPLIT: 0
	.section	.text._ZN7rocprim17ROCPRIM_400000_NS6detail17trampoline_kernelINS0_14default_configENS1_38merge_sort_block_merge_config_selectorIhNS0_10empty_typeEEEZZNS1_27merge_sort_block_merge_implIS3_N6thrust23THRUST_200600_302600_NS6detail15normal_iteratorINS9_10device_ptrIhEEEEPS5_m14custom_greaterIhEEE10hipError_tT0_T1_T2_jT3_P12ihipStream_tbPNSt15iterator_traitsISJ_E10value_typeEPNSP_ISK_E10value_typeEPSL_NS1_7vsmem_tEENKUlT_SJ_SK_SL_E_clIPhSE_SF_SF_EESI_SY_SJ_SK_SL_EUlSY_E0_NS1_11comp_targetILNS1_3genE9ELNS1_11target_archE1100ELNS1_3gpuE3ELNS1_3repE0EEENS1_38merge_mergepath_config_static_selectorELNS0_4arch9wavefront6targetE1EEEvSK_,"axG",@progbits,_ZN7rocprim17ROCPRIM_400000_NS6detail17trampoline_kernelINS0_14default_configENS1_38merge_sort_block_merge_config_selectorIhNS0_10empty_typeEEEZZNS1_27merge_sort_block_merge_implIS3_N6thrust23THRUST_200600_302600_NS6detail15normal_iteratorINS9_10device_ptrIhEEEEPS5_m14custom_greaterIhEEE10hipError_tT0_T1_T2_jT3_P12ihipStream_tbPNSt15iterator_traitsISJ_E10value_typeEPNSP_ISK_E10value_typeEPSL_NS1_7vsmem_tEENKUlT_SJ_SK_SL_E_clIPhSE_SF_SF_EESI_SY_SJ_SK_SL_EUlSY_E0_NS1_11comp_targetILNS1_3genE9ELNS1_11target_archE1100ELNS1_3gpuE3ELNS1_3repE0EEENS1_38merge_mergepath_config_static_selectorELNS0_4arch9wavefront6targetE1EEEvSK_,comdat
	.protected	_ZN7rocprim17ROCPRIM_400000_NS6detail17trampoline_kernelINS0_14default_configENS1_38merge_sort_block_merge_config_selectorIhNS0_10empty_typeEEEZZNS1_27merge_sort_block_merge_implIS3_N6thrust23THRUST_200600_302600_NS6detail15normal_iteratorINS9_10device_ptrIhEEEEPS5_m14custom_greaterIhEEE10hipError_tT0_T1_T2_jT3_P12ihipStream_tbPNSt15iterator_traitsISJ_E10value_typeEPNSP_ISK_E10value_typeEPSL_NS1_7vsmem_tEENKUlT_SJ_SK_SL_E_clIPhSE_SF_SF_EESI_SY_SJ_SK_SL_EUlSY_E0_NS1_11comp_targetILNS1_3genE9ELNS1_11target_archE1100ELNS1_3gpuE3ELNS1_3repE0EEENS1_38merge_mergepath_config_static_selectorELNS0_4arch9wavefront6targetE1EEEvSK_ ; -- Begin function _ZN7rocprim17ROCPRIM_400000_NS6detail17trampoline_kernelINS0_14default_configENS1_38merge_sort_block_merge_config_selectorIhNS0_10empty_typeEEEZZNS1_27merge_sort_block_merge_implIS3_N6thrust23THRUST_200600_302600_NS6detail15normal_iteratorINS9_10device_ptrIhEEEEPS5_m14custom_greaterIhEEE10hipError_tT0_T1_T2_jT3_P12ihipStream_tbPNSt15iterator_traitsISJ_E10value_typeEPNSP_ISK_E10value_typeEPSL_NS1_7vsmem_tEENKUlT_SJ_SK_SL_E_clIPhSE_SF_SF_EESI_SY_SJ_SK_SL_EUlSY_E0_NS1_11comp_targetILNS1_3genE9ELNS1_11target_archE1100ELNS1_3gpuE3ELNS1_3repE0EEENS1_38merge_mergepath_config_static_selectorELNS0_4arch9wavefront6targetE1EEEvSK_
	.globl	_ZN7rocprim17ROCPRIM_400000_NS6detail17trampoline_kernelINS0_14default_configENS1_38merge_sort_block_merge_config_selectorIhNS0_10empty_typeEEEZZNS1_27merge_sort_block_merge_implIS3_N6thrust23THRUST_200600_302600_NS6detail15normal_iteratorINS9_10device_ptrIhEEEEPS5_m14custom_greaterIhEEE10hipError_tT0_T1_T2_jT3_P12ihipStream_tbPNSt15iterator_traitsISJ_E10value_typeEPNSP_ISK_E10value_typeEPSL_NS1_7vsmem_tEENKUlT_SJ_SK_SL_E_clIPhSE_SF_SF_EESI_SY_SJ_SK_SL_EUlSY_E0_NS1_11comp_targetILNS1_3genE9ELNS1_11target_archE1100ELNS1_3gpuE3ELNS1_3repE0EEENS1_38merge_mergepath_config_static_selectorELNS0_4arch9wavefront6targetE1EEEvSK_
	.p2align	8
	.type	_ZN7rocprim17ROCPRIM_400000_NS6detail17trampoline_kernelINS0_14default_configENS1_38merge_sort_block_merge_config_selectorIhNS0_10empty_typeEEEZZNS1_27merge_sort_block_merge_implIS3_N6thrust23THRUST_200600_302600_NS6detail15normal_iteratorINS9_10device_ptrIhEEEEPS5_m14custom_greaterIhEEE10hipError_tT0_T1_T2_jT3_P12ihipStream_tbPNSt15iterator_traitsISJ_E10value_typeEPNSP_ISK_E10value_typeEPSL_NS1_7vsmem_tEENKUlT_SJ_SK_SL_E_clIPhSE_SF_SF_EESI_SY_SJ_SK_SL_EUlSY_E0_NS1_11comp_targetILNS1_3genE9ELNS1_11target_archE1100ELNS1_3gpuE3ELNS1_3repE0EEENS1_38merge_mergepath_config_static_selectorELNS0_4arch9wavefront6targetE1EEEvSK_,@function
_ZN7rocprim17ROCPRIM_400000_NS6detail17trampoline_kernelINS0_14default_configENS1_38merge_sort_block_merge_config_selectorIhNS0_10empty_typeEEEZZNS1_27merge_sort_block_merge_implIS3_N6thrust23THRUST_200600_302600_NS6detail15normal_iteratorINS9_10device_ptrIhEEEEPS5_m14custom_greaterIhEEE10hipError_tT0_T1_T2_jT3_P12ihipStream_tbPNSt15iterator_traitsISJ_E10value_typeEPNSP_ISK_E10value_typeEPSL_NS1_7vsmem_tEENKUlT_SJ_SK_SL_E_clIPhSE_SF_SF_EESI_SY_SJ_SK_SL_EUlSY_E0_NS1_11comp_targetILNS1_3genE9ELNS1_11target_archE1100ELNS1_3gpuE3ELNS1_3repE0EEENS1_38merge_mergepath_config_static_selectorELNS0_4arch9wavefront6targetE1EEEvSK_: ; @_ZN7rocprim17ROCPRIM_400000_NS6detail17trampoline_kernelINS0_14default_configENS1_38merge_sort_block_merge_config_selectorIhNS0_10empty_typeEEEZZNS1_27merge_sort_block_merge_implIS3_N6thrust23THRUST_200600_302600_NS6detail15normal_iteratorINS9_10device_ptrIhEEEEPS5_m14custom_greaterIhEEE10hipError_tT0_T1_T2_jT3_P12ihipStream_tbPNSt15iterator_traitsISJ_E10value_typeEPNSP_ISK_E10value_typeEPSL_NS1_7vsmem_tEENKUlT_SJ_SK_SL_E_clIPhSE_SF_SF_EESI_SY_SJ_SK_SL_EUlSY_E0_NS1_11comp_targetILNS1_3genE9ELNS1_11target_archE1100ELNS1_3gpuE3ELNS1_3repE0EEENS1_38merge_mergepath_config_static_selectorELNS0_4arch9wavefront6targetE1EEEvSK_
; %bb.0:
	.section	.rodata,"a",@progbits
	.p2align	6, 0x0
	.amdhsa_kernel _ZN7rocprim17ROCPRIM_400000_NS6detail17trampoline_kernelINS0_14default_configENS1_38merge_sort_block_merge_config_selectorIhNS0_10empty_typeEEEZZNS1_27merge_sort_block_merge_implIS3_N6thrust23THRUST_200600_302600_NS6detail15normal_iteratorINS9_10device_ptrIhEEEEPS5_m14custom_greaterIhEEE10hipError_tT0_T1_T2_jT3_P12ihipStream_tbPNSt15iterator_traitsISJ_E10value_typeEPNSP_ISK_E10value_typeEPSL_NS1_7vsmem_tEENKUlT_SJ_SK_SL_E_clIPhSE_SF_SF_EESI_SY_SJ_SK_SL_EUlSY_E0_NS1_11comp_targetILNS1_3genE9ELNS1_11target_archE1100ELNS1_3gpuE3ELNS1_3repE0EEENS1_38merge_mergepath_config_static_selectorELNS0_4arch9wavefront6targetE1EEEvSK_
		.amdhsa_group_segment_fixed_size 0
		.amdhsa_private_segment_fixed_size 0
		.amdhsa_kernarg_size 72
		.amdhsa_user_sgpr_count 6
		.amdhsa_user_sgpr_private_segment_buffer 1
		.amdhsa_user_sgpr_dispatch_ptr 0
		.amdhsa_user_sgpr_queue_ptr 0
		.amdhsa_user_sgpr_kernarg_segment_ptr 1
		.amdhsa_user_sgpr_dispatch_id 0
		.amdhsa_user_sgpr_flat_scratch_init 0
		.amdhsa_user_sgpr_kernarg_preload_length 0
		.amdhsa_user_sgpr_kernarg_preload_offset 0
		.amdhsa_user_sgpr_private_segment_size 0
		.amdhsa_uses_dynamic_stack 0
		.amdhsa_system_sgpr_private_segment_wavefront_offset 0
		.amdhsa_system_sgpr_workgroup_id_x 1
		.amdhsa_system_sgpr_workgroup_id_y 0
		.amdhsa_system_sgpr_workgroup_id_z 0
		.amdhsa_system_sgpr_workgroup_info 0
		.amdhsa_system_vgpr_workitem_id 0
		.amdhsa_next_free_vgpr 1
		.amdhsa_next_free_sgpr 0
		.amdhsa_accum_offset 4
		.amdhsa_reserve_vcc 0
		.amdhsa_reserve_flat_scratch 0
		.amdhsa_float_round_mode_32 0
		.amdhsa_float_round_mode_16_64 0
		.amdhsa_float_denorm_mode_32 3
		.amdhsa_float_denorm_mode_16_64 3
		.amdhsa_dx10_clamp 1
		.amdhsa_ieee_mode 1
		.amdhsa_fp16_overflow 0
		.amdhsa_tg_split 0
		.amdhsa_exception_fp_ieee_invalid_op 0
		.amdhsa_exception_fp_denorm_src 0
		.amdhsa_exception_fp_ieee_div_zero 0
		.amdhsa_exception_fp_ieee_overflow 0
		.amdhsa_exception_fp_ieee_underflow 0
		.amdhsa_exception_fp_ieee_inexact 0
		.amdhsa_exception_int_div_zero 0
	.end_amdhsa_kernel
	.section	.text._ZN7rocprim17ROCPRIM_400000_NS6detail17trampoline_kernelINS0_14default_configENS1_38merge_sort_block_merge_config_selectorIhNS0_10empty_typeEEEZZNS1_27merge_sort_block_merge_implIS3_N6thrust23THRUST_200600_302600_NS6detail15normal_iteratorINS9_10device_ptrIhEEEEPS5_m14custom_greaterIhEEE10hipError_tT0_T1_T2_jT3_P12ihipStream_tbPNSt15iterator_traitsISJ_E10value_typeEPNSP_ISK_E10value_typeEPSL_NS1_7vsmem_tEENKUlT_SJ_SK_SL_E_clIPhSE_SF_SF_EESI_SY_SJ_SK_SL_EUlSY_E0_NS1_11comp_targetILNS1_3genE9ELNS1_11target_archE1100ELNS1_3gpuE3ELNS1_3repE0EEENS1_38merge_mergepath_config_static_selectorELNS0_4arch9wavefront6targetE1EEEvSK_,"axG",@progbits,_ZN7rocprim17ROCPRIM_400000_NS6detail17trampoline_kernelINS0_14default_configENS1_38merge_sort_block_merge_config_selectorIhNS0_10empty_typeEEEZZNS1_27merge_sort_block_merge_implIS3_N6thrust23THRUST_200600_302600_NS6detail15normal_iteratorINS9_10device_ptrIhEEEEPS5_m14custom_greaterIhEEE10hipError_tT0_T1_T2_jT3_P12ihipStream_tbPNSt15iterator_traitsISJ_E10value_typeEPNSP_ISK_E10value_typeEPSL_NS1_7vsmem_tEENKUlT_SJ_SK_SL_E_clIPhSE_SF_SF_EESI_SY_SJ_SK_SL_EUlSY_E0_NS1_11comp_targetILNS1_3genE9ELNS1_11target_archE1100ELNS1_3gpuE3ELNS1_3repE0EEENS1_38merge_mergepath_config_static_selectorELNS0_4arch9wavefront6targetE1EEEvSK_,comdat
.Lfunc_end2875:
	.size	_ZN7rocprim17ROCPRIM_400000_NS6detail17trampoline_kernelINS0_14default_configENS1_38merge_sort_block_merge_config_selectorIhNS0_10empty_typeEEEZZNS1_27merge_sort_block_merge_implIS3_N6thrust23THRUST_200600_302600_NS6detail15normal_iteratorINS9_10device_ptrIhEEEEPS5_m14custom_greaterIhEEE10hipError_tT0_T1_T2_jT3_P12ihipStream_tbPNSt15iterator_traitsISJ_E10value_typeEPNSP_ISK_E10value_typeEPSL_NS1_7vsmem_tEENKUlT_SJ_SK_SL_E_clIPhSE_SF_SF_EESI_SY_SJ_SK_SL_EUlSY_E0_NS1_11comp_targetILNS1_3genE9ELNS1_11target_archE1100ELNS1_3gpuE3ELNS1_3repE0EEENS1_38merge_mergepath_config_static_selectorELNS0_4arch9wavefront6targetE1EEEvSK_, .Lfunc_end2875-_ZN7rocprim17ROCPRIM_400000_NS6detail17trampoline_kernelINS0_14default_configENS1_38merge_sort_block_merge_config_selectorIhNS0_10empty_typeEEEZZNS1_27merge_sort_block_merge_implIS3_N6thrust23THRUST_200600_302600_NS6detail15normal_iteratorINS9_10device_ptrIhEEEEPS5_m14custom_greaterIhEEE10hipError_tT0_T1_T2_jT3_P12ihipStream_tbPNSt15iterator_traitsISJ_E10value_typeEPNSP_ISK_E10value_typeEPSL_NS1_7vsmem_tEENKUlT_SJ_SK_SL_E_clIPhSE_SF_SF_EESI_SY_SJ_SK_SL_EUlSY_E0_NS1_11comp_targetILNS1_3genE9ELNS1_11target_archE1100ELNS1_3gpuE3ELNS1_3repE0EEENS1_38merge_mergepath_config_static_selectorELNS0_4arch9wavefront6targetE1EEEvSK_
                                        ; -- End function
	.section	.AMDGPU.csdata,"",@progbits
; Kernel info:
; codeLenInByte = 0
; NumSgprs: 4
; NumVgprs: 0
; NumAgprs: 0
; TotalNumVgprs: 0
; ScratchSize: 0
; MemoryBound: 0
; FloatMode: 240
; IeeeMode: 1
; LDSByteSize: 0 bytes/workgroup (compile time only)
; SGPRBlocks: 0
; VGPRBlocks: 0
; NumSGPRsForWavesPerEU: 4
; NumVGPRsForWavesPerEU: 1
; AccumOffset: 4
; Occupancy: 8
; WaveLimiterHint : 0
; COMPUTE_PGM_RSRC2:SCRATCH_EN: 0
; COMPUTE_PGM_RSRC2:USER_SGPR: 6
; COMPUTE_PGM_RSRC2:TRAP_HANDLER: 0
; COMPUTE_PGM_RSRC2:TGID_X_EN: 1
; COMPUTE_PGM_RSRC2:TGID_Y_EN: 0
; COMPUTE_PGM_RSRC2:TGID_Z_EN: 0
; COMPUTE_PGM_RSRC2:TIDIG_COMP_CNT: 0
; COMPUTE_PGM_RSRC3_GFX90A:ACCUM_OFFSET: 0
; COMPUTE_PGM_RSRC3_GFX90A:TG_SPLIT: 0
	.section	.text._ZN7rocprim17ROCPRIM_400000_NS6detail17trampoline_kernelINS0_14default_configENS1_38merge_sort_block_merge_config_selectorIhNS0_10empty_typeEEEZZNS1_27merge_sort_block_merge_implIS3_N6thrust23THRUST_200600_302600_NS6detail15normal_iteratorINS9_10device_ptrIhEEEEPS5_m14custom_greaterIhEEE10hipError_tT0_T1_T2_jT3_P12ihipStream_tbPNSt15iterator_traitsISJ_E10value_typeEPNSP_ISK_E10value_typeEPSL_NS1_7vsmem_tEENKUlT_SJ_SK_SL_E_clIPhSE_SF_SF_EESI_SY_SJ_SK_SL_EUlSY_E0_NS1_11comp_targetILNS1_3genE8ELNS1_11target_archE1030ELNS1_3gpuE2ELNS1_3repE0EEENS1_38merge_mergepath_config_static_selectorELNS0_4arch9wavefront6targetE1EEEvSK_,"axG",@progbits,_ZN7rocprim17ROCPRIM_400000_NS6detail17trampoline_kernelINS0_14default_configENS1_38merge_sort_block_merge_config_selectorIhNS0_10empty_typeEEEZZNS1_27merge_sort_block_merge_implIS3_N6thrust23THRUST_200600_302600_NS6detail15normal_iteratorINS9_10device_ptrIhEEEEPS5_m14custom_greaterIhEEE10hipError_tT0_T1_T2_jT3_P12ihipStream_tbPNSt15iterator_traitsISJ_E10value_typeEPNSP_ISK_E10value_typeEPSL_NS1_7vsmem_tEENKUlT_SJ_SK_SL_E_clIPhSE_SF_SF_EESI_SY_SJ_SK_SL_EUlSY_E0_NS1_11comp_targetILNS1_3genE8ELNS1_11target_archE1030ELNS1_3gpuE2ELNS1_3repE0EEENS1_38merge_mergepath_config_static_selectorELNS0_4arch9wavefront6targetE1EEEvSK_,comdat
	.protected	_ZN7rocprim17ROCPRIM_400000_NS6detail17trampoline_kernelINS0_14default_configENS1_38merge_sort_block_merge_config_selectorIhNS0_10empty_typeEEEZZNS1_27merge_sort_block_merge_implIS3_N6thrust23THRUST_200600_302600_NS6detail15normal_iteratorINS9_10device_ptrIhEEEEPS5_m14custom_greaterIhEEE10hipError_tT0_T1_T2_jT3_P12ihipStream_tbPNSt15iterator_traitsISJ_E10value_typeEPNSP_ISK_E10value_typeEPSL_NS1_7vsmem_tEENKUlT_SJ_SK_SL_E_clIPhSE_SF_SF_EESI_SY_SJ_SK_SL_EUlSY_E0_NS1_11comp_targetILNS1_3genE8ELNS1_11target_archE1030ELNS1_3gpuE2ELNS1_3repE0EEENS1_38merge_mergepath_config_static_selectorELNS0_4arch9wavefront6targetE1EEEvSK_ ; -- Begin function _ZN7rocprim17ROCPRIM_400000_NS6detail17trampoline_kernelINS0_14default_configENS1_38merge_sort_block_merge_config_selectorIhNS0_10empty_typeEEEZZNS1_27merge_sort_block_merge_implIS3_N6thrust23THRUST_200600_302600_NS6detail15normal_iteratorINS9_10device_ptrIhEEEEPS5_m14custom_greaterIhEEE10hipError_tT0_T1_T2_jT3_P12ihipStream_tbPNSt15iterator_traitsISJ_E10value_typeEPNSP_ISK_E10value_typeEPSL_NS1_7vsmem_tEENKUlT_SJ_SK_SL_E_clIPhSE_SF_SF_EESI_SY_SJ_SK_SL_EUlSY_E0_NS1_11comp_targetILNS1_3genE8ELNS1_11target_archE1030ELNS1_3gpuE2ELNS1_3repE0EEENS1_38merge_mergepath_config_static_selectorELNS0_4arch9wavefront6targetE1EEEvSK_
	.globl	_ZN7rocprim17ROCPRIM_400000_NS6detail17trampoline_kernelINS0_14default_configENS1_38merge_sort_block_merge_config_selectorIhNS0_10empty_typeEEEZZNS1_27merge_sort_block_merge_implIS3_N6thrust23THRUST_200600_302600_NS6detail15normal_iteratorINS9_10device_ptrIhEEEEPS5_m14custom_greaterIhEEE10hipError_tT0_T1_T2_jT3_P12ihipStream_tbPNSt15iterator_traitsISJ_E10value_typeEPNSP_ISK_E10value_typeEPSL_NS1_7vsmem_tEENKUlT_SJ_SK_SL_E_clIPhSE_SF_SF_EESI_SY_SJ_SK_SL_EUlSY_E0_NS1_11comp_targetILNS1_3genE8ELNS1_11target_archE1030ELNS1_3gpuE2ELNS1_3repE0EEENS1_38merge_mergepath_config_static_selectorELNS0_4arch9wavefront6targetE1EEEvSK_
	.p2align	8
	.type	_ZN7rocprim17ROCPRIM_400000_NS6detail17trampoline_kernelINS0_14default_configENS1_38merge_sort_block_merge_config_selectorIhNS0_10empty_typeEEEZZNS1_27merge_sort_block_merge_implIS3_N6thrust23THRUST_200600_302600_NS6detail15normal_iteratorINS9_10device_ptrIhEEEEPS5_m14custom_greaterIhEEE10hipError_tT0_T1_T2_jT3_P12ihipStream_tbPNSt15iterator_traitsISJ_E10value_typeEPNSP_ISK_E10value_typeEPSL_NS1_7vsmem_tEENKUlT_SJ_SK_SL_E_clIPhSE_SF_SF_EESI_SY_SJ_SK_SL_EUlSY_E0_NS1_11comp_targetILNS1_3genE8ELNS1_11target_archE1030ELNS1_3gpuE2ELNS1_3repE0EEENS1_38merge_mergepath_config_static_selectorELNS0_4arch9wavefront6targetE1EEEvSK_,@function
_ZN7rocprim17ROCPRIM_400000_NS6detail17trampoline_kernelINS0_14default_configENS1_38merge_sort_block_merge_config_selectorIhNS0_10empty_typeEEEZZNS1_27merge_sort_block_merge_implIS3_N6thrust23THRUST_200600_302600_NS6detail15normal_iteratorINS9_10device_ptrIhEEEEPS5_m14custom_greaterIhEEE10hipError_tT0_T1_T2_jT3_P12ihipStream_tbPNSt15iterator_traitsISJ_E10value_typeEPNSP_ISK_E10value_typeEPSL_NS1_7vsmem_tEENKUlT_SJ_SK_SL_E_clIPhSE_SF_SF_EESI_SY_SJ_SK_SL_EUlSY_E0_NS1_11comp_targetILNS1_3genE8ELNS1_11target_archE1030ELNS1_3gpuE2ELNS1_3repE0EEENS1_38merge_mergepath_config_static_selectorELNS0_4arch9wavefront6targetE1EEEvSK_: ; @_ZN7rocprim17ROCPRIM_400000_NS6detail17trampoline_kernelINS0_14default_configENS1_38merge_sort_block_merge_config_selectorIhNS0_10empty_typeEEEZZNS1_27merge_sort_block_merge_implIS3_N6thrust23THRUST_200600_302600_NS6detail15normal_iteratorINS9_10device_ptrIhEEEEPS5_m14custom_greaterIhEEE10hipError_tT0_T1_T2_jT3_P12ihipStream_tbPNSt15iterator_traitsISJ_E10value_typeEPNSP_ISK_E10value_typeEPSL_NS1_7vsmem_tEENKUlT_SJ_SK_SL_E_clIPhSE_SF_SF_EESI_SY_SJ_SK_SL_EUlSY_E0_NS1_11comp_targetILNS1_3genE8ELNS1_11target_archE1030ELNS1_3gpuE2ELNS1_3repE0EEENS1_38merge_mergepath_config_static_selectorELNS0_4arch9wavefront6targetE1EEEvSK_
; %bb.0:
	.section	.rodata,"a",@progbits
	.p2align	6, 0x0
	.amdhsa_kernel _ZN7rocprim17ROCPRIM_400000_NS6detail17trampoline_kernelINS0_14default_configENS1_38merge_sort_block_merge_config_selectorIhNS0_10empty_typeEEEZZNS1_27merge_sort_block_merge_implIS3_N6thrust23THRUST_200600_302600_NS6detail15normal_iteratorINS9_10device_ptrIhEEEEPS5_m14custom_greaterIhEEE10hipError_tT0_T1_T2_jT3_P12ihipStream_tbPNSt15iterator_traitsISJ_E10value_typeEPNSP_ISK_E10value_typeEPSL_NS1_7vsmem_tEENKUlT_SJ_SK_SL_E_clIPhSE_SF_SF_EESI_SY_SJ_SK_SL_EUlSY_E0_NS1_11comp_targetILNS1_3genE8ELNS1_11target_archE1030ELNS1_3gpuE2ELNS1_3repE0EEENS1_38merge_mergepath_config_static_selectorELNS0_4arch9wavefront6targetE1EEEvSK_
		.amdhsa_group_segment_fixed_size 0
		.amdhsa_private_segment_fixed_size 0
		.amdhsa_kernarg_size 72
		.amdhsa_user_sgpr_count 6
		.amdhsa_user_sgpr_private_segment_buffer 1
		.amdhsa_user_sgpr_dispatch_ptr 0
		.amdhsa_user_sgpr_queue_ptr 0
		.amdhsa_user_sgpr_kernarg_segment_ptr 1
		.amdhsa_user_sgpr_dispatch_id 0
		.amdhsa_user_sgpr_flat_scratch_init 0
		.amdhsa_user_sgpr_kernarg_preload_length 0
		.amdhsa_user_sgpr_kernarg_preload_offset 0
		.amdhsa_user_sgpr_private_segment_size 0
		.amdhsa_uses_dynamic_stack 0
		.amdhsa_system_sgpr_private_segment_wavefront_offset 0
		.amdhsa_system_sgpr_workgroup_id_x 1
		.amdhsa_system_sgpr_workgroup_id_y 0
		.amdhsa_system_sgpr_workgroup_id_z 0
		.amdhsa_system_sgpr_workgroup_info 0
		.amdhsa_system_vgpr_workitem_id 0
		.amdhsa_next_free_vgpr 1
		.amdhsa_next_free_sgpr 0
		.amdhsa_accum_offset 4
		.amdhsa_reserve_vcc 0
		.amdhsa_reserve_flat_scratch 0
		.amdhsa_float_round_mode_32 0
		.amdhsa_float_round_mode_16_64 0
		.amdhsa_float_denorm_mode_32 3
		.amdhsa_float_denorm_mode_16_64 3
		.amdhsa_dx10_clamp 1
		.amdhsa_ieee_mode 1
		.amdhsa_fp16_overflow 0
		.amdhsa_tg_split 0
		.amdhsa_exception_fp_ieee_invalid_op 0
		.amdhsa_exception_fp_denorm_src 0
		.amdhsa_exception_fp_ieee_div_zero 0
		.amdhsa_exception_fp_ieee_overflow 0
		.amdhsa_exception_fp_ieee_underflow 0
		.amdhsa_exception_fp_ieee_inexact 0
		.amdhsa_exception_int_div_zero 0
	.end_amdhsa_kernel
	.section	.text._ZN7rocprim17ROCPRIM_400000_NS6detail17trampoline_kernelINS0_14default_configENS1_38merge_sort_block_merge_config_selectorIhNS0_10empty_typeEEEZZNS1_27merge_sort_block_merge_implIS3_N6thrust23THRUST_200600_302600_NS6detail15normal_iteratorINS9_10device_ptrIhEEEEPS5_m14custom_greaterIhEEE10hipError_tT0_T1_T2_jT3_P12ihipStream_tbPNSt15iterator_traitsISJ_E10value_typeEPNSP_ISK_E10value_typeEPSL_NS1_7vsmem_tEENKUlT_SJ_SK_SL_E_clIPhSE_SF_SF_EESI_SY_SJ_SK_SL_EUlSY_E0_NS1_11comp_targetILNS1_3genE8ELNS1_11target_archE1030ELNS1_3gpuE2ELNS1_3repE0EEENS1_38merge_mergepath_config_static_selectorELNS0_4arch9wavefront6targetE1EEEvSK_,"axG",@progbits,_ZN7rocprim17ROCPRIM_400000_NS6detail17trampoline_kernelINS0_14default_configENS1_38merge_sort_block_merge_config_selectorIhNS0_10empty_typeEEEZZNS1_27merge_sort_block_merge_implIS3_N6thrust23THRUST_200600_302600_NS6detail15normal_iteratorINS9_10device_ptrIhEEEEPS5_m14custom_greaterIhEEE10hipError_tT0_T1_T2_jT3_P12ihipStream_tbPNSt15iterator_traitsISJ_E10value_typeEPNSP_ISK_E10value_typeEPSL_NS1_7vsmem_tEENKUlT_SJ_SK_SL_E_clIPhSE_SF_SF_EESI_SY_SJ_SK_SL_EUlSY_E0_NS1_11comp_targetILNS1_3genE8ELNS1_11target_archE1030ELNS1_3gpuE2ELNS1_3repE0EEENS1_38merge_mergepath_config_static_selectorELNS0_4arch9wavefront6targetE1EEEvSK_,comdat
.Lfunc_end2876:
	.size	_ZN7rocprim17ROCPRIM_400000_NS6detail17trampoline_kernelINS0_14default_configENS1_38merge_sort_block_merge_config_selectorIhNS0_10empty_typeEEEZZNS1_27merge_sort_block_merge_implIS3_N6thrust23THRUST_200600_302600_NS6detail15normal_iteratorINS9_10device_ptrIhEEEEPS5_m14custom_greaterIhEEE10hipError_tT0_T1_T2_jT3_P12ihipStream_tbPNSt15iterator_traitsISJ_E10value_typeEPNSP_ISK_E10value_typeEPSL_NS1_7vsmem_tEENKUlT_SJ_SK_SL_E_clIPhSE_SF_SF_EESI_SY_SJ_SK_SL_EUlSY_E0_NS1_11comp_targetILNS1_3genE8ELNS1_11target_archE1030ELNS1_3gpuE2ELNS1_3repE0EEENS1_38merge_mergepath_config_static_selectorELNS0_4arch9wavefront6targetE1EEEvSK_, .Lfunc_end2876-_ZN7rocprim17ROCPRIM_400000_NS6detail17trampoline_kernelINS0_14default_configENS1_38merge_sort_block_merge_config_selectorIhNS0_10empty_typeEEEZZNS1_27merge_sort_block_merge_implIS3_N6thrust23THRUST_200600_302600_NS6detail15normal_iteratorINS9_10device_ptrIhEEEEPS5_m14custom_greaterIhEEE10hipError_tT0_T1_T2_jT3_P12ihipStream_tbPNSt15iterator_traitsISJ_E10value_typeEPNSP_ISK_E10value_typeEPSL_NS1_7vsmem_tEENKUlT_SJ_SK_SL_E_clIPhSE_SF_SF_EESI_SY_SJ_SK_SL_EUlSY_E0_NS1_11comp_targetILNS1_3genE8ELNS1_11target_archE1030ELNS1_3gpuE2ELNS1_3repE0EEENS1_38merge_mergepath_config_static_selectorELNS0_4arch9wavefront6targetE1EEEvSK_
                                        ; -- End function
	.section	.AMDGPU.csdata,"",@progbits
; Kernel info:
; codeLenInByte = 0
; NumSgprs: 4
; NumVgprs: 0
; NumAgprs: 0
; TotalNumVgprs: 0
; ScratchSize: 0
; MemoryBound: 0
; FloatMode: 240
; IeeeMode: 1
; LDSByteSize: 0 bytes/workgroup (compile time only)
; SGPRBlocks: 0
; VGPRBlocks: 0
; NumSGPRsForWavesPerEU: 4
; NumVGPRsForWavesPerEU: 1
; AccumOffset: 4
; Occupancy: 8
; WaveLimiterHint : 0
; COMPUTE_PGM_RSRC2:SCRATCH_EN: 0
; COMPUTE_PGM_RSRC2:USER_SGPR: 6
; COMPUTE_PGM_RSRC2:TRAP_HANDLER: 0
; COMPUTE_PGM_RSRC2:TGID_X_EN: 1
; COMPUTE_PGM_RSRC2:TGID_Y_EN: 0
; COMPUTE_PGM_RSRC2:TGID_Z_EN: 0
; COMPUTE_PGM_RSRC2:TIDIG_COMP_CNT: 0
; COMPUTE_PGM_RSRC3_GFX90A:ACCUM_OFFSET: 0
; COMPUTE_PGM_RSRC3_GFX90A:TG_SPLIT: 0
	.section	.text._ZN7rocprim17ROCPRIM_400000_NS6detail17trampoline_kernelINS0_14default_configENS1_38merge_sort_block_merge_config_selectorIhNS0_10empty_typeEEEZZNS1_27merge_sort_block_merge_implIS3_N6thrust23THRUST_200600_302600_NS6detail15normal_iteratorINS9_10device_ptrIhEEEEPS5_m14custom_greaterIhEEE10hipError_tT0_T1_T2_jT3_P12ihipStream_tbPNSt15iterator_traitsISJ_E10value_typeEPNSP_ISK_E10value_typeEPSL_NS1_7vsmem_tEENKUlT_SJ_SK_SL_E_clIPhSE_SF_SF_EESI_SY_SJ_SK_SL_EUlSY_E1_NS1_11comp_targetILNS1_3genE0ELNS1_11target_archE4294967295ELNS1_3gpuE0ELNS1_3repE0EEENS1_36merge_oddeven_config_static_selectorELNS0_4arch9wavefront6targetE1EEEvSK_,"axG",@progbits,_ZN7rocprim17ROCPRIM_400000_NS6detail17trampoline_kernelINS0_14default_configENS1_38merge_sort_block_merge_config_selectorIhNS0_10empty_typeEEEZZNS1_27merge_sort_block_merge_implIS3_N6thrust23THRUST_200600_302600_NS6detail15normal_iteratorINS9_10device_ptrIhEEEEPS5_m14custom_greaterIhEEE10hipError_tT0_T1_T2_jT3_P12ihipStream_tbPNSt15iterator_traitsISJ_E10value_typeEPNSP_ISK_E10value_typeEPSL_NS1_7vsmem_tEENKUlT_SJ_SK_SL_E_clIPhSE_SF_SF_EESI_SY_SJ_SK_SL_EUlSY_E1_NS1_11comp_targetILNS1_3genE0ELNS1_11target_archE4294967295ELNS1_3gpuE0ELNS1_3repE0EEENS1_36merge_oddeven_config_static_selectorELNS0_4arch9wavefront6targetE1EEEvSK_,comdat
	.protected	_ZN7rocprim17ROCPRIM_400000_NS6detail17trampoline_kernelINS0_14default_configENS1_38merge_sort_block_merge_config_selectorIhNS0_10empty_typeEEEZZNS1_27merge_sort_block_merge_implIS3_N6thrust23THRUST_200600_302600_NS6detail15normal_iteratorINS9_10device_ptrIhEEEEPS5_m14custom_greaterIhEEE10hipError_tT0_T1_T2_jT3_P12ihipStream_tbPNSt15iterator_traitsISJ_E10value_typeEPNSP_ISK_E10value_typeEPSL_NS1_7vsmem_tEENKUlT_SJ_SK_SL_E_clIPhSE_SF_SF_EESI_SY_SJ_SK_SL_EUlSY_E1_NS1_11comp_targetILNS1_3genE0ELNS1_11target_archE4294967295ELNS1_3gpuE0ELNS1_3repE0EEENS1_36merge_oddeven_config_static_selectorELNS0_4arch9wavefront6targetE1EEEvSK_ ; -- Begin function _ZN7rocprim17ROCPRIM_400000_NS6detail17trampoline_kernelINS0_14default_configENS1_38merge_sort_block_merge_config_selectorIhNS0_10empty_typeEEEZZNS1_27merge_sort_block_merge_implIS3_N6thrust23THRUST_200600_302600_NS6detail15normal_iteratorINS9_10device_ptrIhEEEEPS5_m14custom_greaterIhEEE10hipError_tT0_T1_T2_jT3_P12ihipStream_tbPNSt15iterator_traitsISJ_E10value_typeEPNSP_ISK_E10value_typeEPSL_NS1_7vsmem_tEENKUlT_SJ_SK_SL_E_clIPhSE_SF_SF_EESI_SY_SJ_SK_SL_EUlSY_E1_NS1_11comp_targetILNS1_3genE0ELNS1_11target_archE4294967295ELNS1_3gpuE0ELNS1_3repE0EEENS1_36merge_oddeven_config_static_selectorELNS0_4arch9wavefront6targetE1EEEvSK_
	.globl	_ZN7rocprim17ROCPRIM_400000_NS6detail17trampoline_kernelINS0_14default_configENS1_38merge_sort_block_merge_config_selectorIhNS0_10empty_typeEEEZZNS1_27merge_sort_block_merge_implIS3_N6thrust23THRUST_200600_302600_NS6detail15normal_iteratorINS9_10device_ptrIhEEEEPS5_m14custom_greaterIhEEE10hipError_tT0_T1_T2_jT3_P12ihipStream_tbPNSt15iterator_traitsISJ_E10value_typeEPNSP_ISK_E10value_typeEPSL_NS1_7vsmem_tEENKUlT_SJ_SK_SL_E_clIPhSE_SF_SF_EESI_SY_SJ_SK_SL_EUlSY_E1_NS1_11comp_targetILNS1_3genE0ELNS1_11target_archE4294967295ELNS1_3gpuE0ELNS1_3repE0EEENS1_36merge_oddeven_config_static_selectorELNS0_4arch9wavefront6targetE1EEEvSK_
	.p2align	8
	.type	_ZN7rocprim17ROCPRIM_400000_NS6detail17trampoline_kernelINS0_14default_configENS1_38merge_sort_block_merge_config_selectorIhNS0_10empty_typeEEEZZNS1_27merge_sort_block_merge_implIS3_N6thrust23THRUST_200600_302600_NS6detail15normal_iteratorINS9_10device_ptrIhEEEEPS5_m14custom_greaterIhEEE10hipError_tT0_T1_T2_jT3_P12ihipStream_tbPNSt15iterator_traitsISJ_E10value_typeEPNSP_ISK_E10value_typeEPSL_NS1_7vsmem_tEENKUlT_SJ_SK_SL_E_clIPhSE_SF_SF_EESI_SY_SJ_SK_SL_EUlSY_E1_NS1_11comp_targetILNS1_3genE0ELNS1_11target_archE4294967295ELNS1_3gpuE0ELNS1_3repE0EEENS1_36merge_oddeven_config_static_selectorELNS0_4arch9wavefront6targetE1EEEvSK_,@function
_ZN7rocprim17ROCPRIM_400000_NS6detail17trampoline_kernelINS0_14default_configENS1_38merge_sort_block_merge_config_selectorIhNS0_10empty_typeEEEZZNS1_27merge_sort_block_merge_implIS3_N6thrust23THRUST_200600_302600_NS6detail15normal_iteratorINS9_10device_ptrIhEEEEPS5_m14custom_greaterIhEEE10hipError_tT0_T1_T2_jT3_P12ihipStream_tbPNSt15iterator_traitsISJ_E10value_typeEPNSP_ISK_E10value_typeEPSL_NS1_7vsmem_tEENKUlT_SJ_SK_SL_E_clIPhSE_SF_SF_EESI_SY_SJ_SK_SL_EUlSY_E1_NS1_11comp_targetILNS1_3genE0ELNS1_11target_archE4294967295ELNS1_3gpuE0ELNS1_3repE0EEENS1_36merge_oddeven_config_static_selectorELNS0_4arch9wavefront6targetE1EEEvSK_: ; @_ZN7rocprim17ROCPRIM_400000_NS6detail17trampoline_kernelINS0_14default_configENS1_38merge_sort_block_merge_config_selectorIhNS0_10empty_typeEEEZZNS1_27merge_sort_block_merge_implIS3_N6thrust23THRUST_200600_302600_NS6detail15normal_iteratorINS9_10device_ptrIhEEEEPS5_m14custom_greaterIhEEE10hipError_tT0_T1_T2_jT3_P12ihipStream_tbPNSt15iterator_traitsISJ_E10value_typeEPNSP_ISK_E10value_typeEPSL_NS1_7vsmem_tEENKUlT_SJ_SK_SL_E_clIPhSE_SF_SF_EESI_SY_SJ_SK_SL_EUlSY_E1_NS1_11comp_targetILNS1_3genE0ELNS1_11target_archE4294967295ELNS1_3gpuE0ELNS1_3repE0EEENS1_36merge_oddeven_config_static_selectorELNS0_4arch9wavefront6targetE1EEEvSK_
; %bb.0:
	.section	.rodata,"a",@progbits
	.p2align	6, 0x0
	.amdhsa_kernel _ZN7rocprim17ROCPRIM_400000_NS6detail17trampoline_kernelINS0_14default_configENS1_38merge_sort_block_merge_config_selectorIhNS0_10empty_typeEEEZZNS1_27merge_sort_block_merge_implIS3_N6thrust23THRUST_200600_302600_NS6detail15normal_iteratorINS9_10device_ptrIhEEEEPS5_m14custom_greaterIhEEE10hipError_tT0_T1_T2_jT3_P12ihipStream_tbPNSt15iterator_traitsISJ_E10value_typeEPNSP_ISK_E10value_typeEPSL_NS1_7vsmem_tEENKUlT_SJ_SK_SL_E_clIPhSE_SF_SF_EESI_SY_SJ_SK_SL_EUlSY_E1_NS1_11comp_targetILNS1_3genE0ELNS1_11target_archE4294967295ELNS1_3gpuE0ELNS1_3repE0EEENS1_36merge_oddeven_config_static_selectorELNS0_4arch9wavefront6targetE1EEEvSK_
		.amdhsa_group_segment_fixed_size 0
		.amdhsa_private_segment_fixed_size 0
		.amdhsa_kernarg_size 56
		.amdhsa_user_sgpr_count 6
		.amdhsa_user_sgpr_private_segment_buffer 1
		.amdhsa_user_sgpr_dispatch_ptr 0
		.amdhsa_user_sgpr_queue_ptr 0
		.amdhsa_user_sgpr_kernarg_segment_ptr 1
		.amdhsa_user_sgpr_dispatch_id 0
		.amdhsa_user_sgpr_flat_scratch_init 0
		.amdhsa_user_sgpr_kernarg_preload_length 0
		.amdhsa_user_sgpr_kernarg_preload_offset 0
		.amdhsa_user_sgpr_private_segment_size 0
		.amdhsa_uses_dynamic_stack 0
		.amdhsa_system_sgpr_private_segment_wavefront_offset 0
		.amdhsa_system_sgpr_workgroup_id_x 1
		.amdhsa_system_sgpr_workgroup_id_y 0
		.amdhsa_system_sgpr_workgroup_id_z 0
		.amdhsa_system_sgpr_workgroup_info 0
		.amdhsa_system_vgpr_workitem_id 0
		.amdhsa_next_free_vgpr 1
		.amdhsa_next_free_sgpr 0
		.amdhsa_accum_offset 4
		.amdhsa_reserve_vcc 0
		.amdhsa_reserve_flat_scratch 0
		.amdhsa_float_round_mode_32 0
		.amdhsa_float_round_mode_16_64 0
		.amdhsa_float_denorm_mode_32 3
		.amdhsa_float_denorm_mode_16_64 3
		.amdhsa_dx10_clamp 1
		.amdhsa_ieee_mode 1
		.amdhsa_fp16_overflow 0
		.amdhsa_tg_split 0
		.amdhsa_exception_fp_ieee_invalid_op 0
		.amdhsa_exception_fp_denorm_src 0
		.amdhsa_exception_fp_ieee_div_zero 0
		.amdhsa_exception_fp_ieee_overflow 0
		.amdhsa_exception_fp_ieee_underflow 0
		.amdhsa_exception_fp_ieee_inexact 0
		.amdhsa_exception_int_div_zero 0
	.end_amdhsa_kernel
	.section	.text._ZN7rocprim17ROCPRIM_400000_NS6detail17trampoline_kernelINS0_14default_configENS1_38merge_sort_block_merge_config_selectorIhNS0_10empty_typeEEEZZNS1_27merge_sort_block_merge_implIS3_N6thrust23THRUST_200600_302600_NS6detail15normal_iteratorINS9_10device_ptrIhEEEEPS5_m14custom_greaterIhEEE10hipError_tT0_T1_T2_jT3_P12ihipStream_tbPNSt15iterator_traitsISJ_E10value_typeEPNSP_ISK_E10value_typeEPSL_NS1_7vsmem_tEENKUlT_SJ_SK_SL_E_clIPhSE_SF_SF_EESI_SY_SJ_SK_SL_EUlSY_E1_NS1_11comp_targetILNS1_3genE0ELNS1_11target_archE4294967295ELNS1_3gpuE0ELNS1_3repE0EEENS1_36merge_oddeven_config_static_selectorELNS0_4arch9wavefront6targetE1EEEvSK_,"axG",@progbits,_ZN7rocprim17ROCPRIM_400000_NS6detail17trampoline_kernelINS0_14default_configENS1_38merge_sort_block_merge_config_selectorIhNS0_10empty_typeEEEZZNS1_27merge_sort_block_merge_implIS3_N6thrust23THRUST_200600_302600_NS6detail15normal_iteratorINS9_10device_ptrIhEEEEPS5_m14custom_greaterIhEEE10hipError_tT0_T1_T2_jT3_P12ihipStream_tbPNSt15iterator_traitsISJ_E10value_typeEPNSP_ISK_E10value_typeEPSL_NS1_7vsmem_tEENKUlT_SJ_SK_SL_E_clIPhSE_SF_SF_EESI_SY_SJ_SK_SL_EUlSY_E1_NS1_11comp_targetILNS1_3genE0ELNS1_11target_archE4294967295ELNS1_3gpuE0ELNS1_3repE0EEENS1_36merge_oddeven_config_static_selectorELNS0_4arch9wavefront6targetE1EEEvSK_,comdat
.Lfunc_end2877:
	.size	_ZN7rocprim17ROCPRIM_400000_NS6detail17trampoline_kernelINS0_14default_configENS1_38merge_sort_block_merge_config_selectorIhNS0_10empty_typeEEEZZNS1_27merge_sort_block_merge_implIS3_N6thrust23THRUST_200600_302600_NS6detail15normal_iteratorINS9_10device_ptrIhEEEEPS5_m14custom_greaterIhEEE10hipError_tT0_T1_T2_jT3_P12ihipStream_tbPNSt15iterator_traitsISJ_E10value_typeEPNSP_ISK_E10value_typeEPSL_NS1_7vsmem_tEENKUlT_SJ_SK_SL_E_clIPhSE_SF_SF_EESI_SY_SJ_SK_SL_EUlSY_E1_NS1_11comp_targetILNS1_3genE0ELNS1_11target_archE4294967295ELNS1_3gpuE0ELNS1_3repE0EEENS1_36merge_oddeven_config_static_selectorELNS0_4arch9wavefront6targetE1EEEvSK_, .Lfunc_end2877-_ZN7rocprim17ROCPRIM_400000_NS6detail17trampoline_kernelINS0_14default_configENS1_38merge_sort_block_merge_config_selectorIhNS0_10empty_typeEEEZZNS1_27merge_sort_block_merge_implIS3_N6thrust23THRUST_200600_302600_NS6detail15normal_iteratorINS9_10device_ptrIhEEEEPS5_m14custom_greaterIhEEE10hipError_tT0_T1_T2_jT3_P12ihipStream_tbPNSt15iterator_traitsISJ_E10value_typeEPNSP_ISK_E10value_typeEPSL_NS1_7vsmem_tEENKUlT_SJ_SK_SL_E_clIPhSE_SF_SF_EESI_SY_SJ_SK_SL_EUlSY_E1_NS1_11comp_targetILNS1_3genE0ELNS1_11target_archE4294967295ELNS1_3gpuE0ELNS1_3repE0EEENS1_36merge_oddeven_config_static_selectorELNS0_4arch9wavefront6targetE1EEEvSK_
                                        ; -- End function
	.section	.AMDGPU.csdata,"",@progbits
; Kernel info:
; codeLenInByte = 0
; NumSgprs: 4
; NumVgprs: 0
; NumAgprs: 0
; TotalNumVgprs: 0
; ScratchSize: 0
; MemoryBound: 0
; FloatMode: 240
; IeeeMode: 1
; LDSByteSize: 0 bytes/workgroup (compile time only)
; SGPRBlocks: 0
; VGPRBlocks: 0
; NumSGPRsForWavesPerEU: 4
; NumVGPRsForWavesPerEU: 1
; AccumOffset: 4
; Occupancy: 8
; WaveLimiterHint : 0
; COMPUTE_PGM_RSRC2:SCRATCH_EN: 0
; COMPUTE_PGM_RSRC2:USER_SGPR: 6
; COMPUTE_PGM_RSRC2:TRAP_HANDLER: 0
; COMPUTE_PGM_RSRC2:TGID_X_EN: 1
; COMPUTE_PGM_RSRC2:TGID_Y_EN: 0
; COMPUTE_PGM_RSRC2:TGID_Z_EN: 0
; COMPUTE_PGM_RSRC2:TIDIG_COMP_CNT: 0
; COMPUTE_PGM_RSRC3_GFX90A:ACCUM_OFFSET: 0
; COMPUTE_PGM_RSRC3_GFX90A:TG_SPLIT: 0
	.section	.text._ZN7rocprim17ROCPRIM_400000_NS6detail17trampoline_kernelINS0_14default_configENS1_38merge_sort_block_merge_config_selectorIhNS0_10empty_typeEEEZZNS1_27merge_sort_block_merge_implIS3_N6thrust23THRUST_200600_302600_NS6detail15normal_iteratorINS9_10device_ptrIhEEEEPS5_m14custom_greaterIhEEE10hipError_tT0_T1_T2_jT3_P12ihipStream_tbPNSt15iterator_traitsISJ_E10value_typeEPNSP_ISK_E10value_typeEPSL_NS1_7vsmem_tEENKUlT_SJ_SK_SL_E_clIPhSE_SF_SF_EESI_SY_SJ_SK_SL_EUlSY_E1_NS1_11comp_targetILNS1_3genE10ELNS1_11target_archE1201ELNS1_3gpuE5ELNS1_3repE0EEENS1_36merge_oddeven_config_static_selectorELNS0_4arch9wavefront6targetE1EEEvSK_,"axG",@progbits,_ZN7rocprim17ROCPRIM_400000_NS6detail17trampoline_kernelINS0_14default_configENS1_38merge_sort_block_merge_config_selectorIhNS0_10empty_typeEEEZZNS1_27merge_sort_block_merge_implIS3_N6thrust23THRUST_200600_302600_NS6detail15normal_iteratorINS9_10device_ptrIhEEEEPS5_m14custom_greaterIhEEE10hipError_tT0_T1_T2_jT3_P12ihipStream_tbPNSt15iterator_traitsISJ_E10value_typeEPNSP_ISK_E10value_typeEPSL_NS1_7vsmem_tEENKUlT_SJ_SK_SL_E_clIPhSE_SF_SF_EESI_SY_SJ_SK_SL_EUlSY_E1_NS1_11comp_targetILNS1_3genE10ELNS1_11target_archE1201ELNS1_3gpuE5ELNS1_3repE0EEENS1_36merge_oddeven_config_static_selectorELNS0_4arch9wavefront6targetE1EEEvSK_,comdat
	.protected	_ZN7rocprim17ROCPRIM_400000_NS6detail17trampoline_kernelINS0_14default_configENS1_38merge_sort_block_merge_config_selectorIhNS0_10empty_typeEEEZZNS1_27merge_sort_block_merge_implIS3_N6thrust23THRUST_200600_302600_NS6detail15normal_iteratorINS9_10device_ptrIhEEEEPS5_m14custom_greaterIhEEE10hipError_tT0_T1_T2_jT3_P12ihipStream_tbPNSt15iterator_traitsISJ_E10value_typeEPNSP_ISK_E10value_typeEPSL_NS1_7vsmem_tEENKUlT_SJ_SK_SL_E_clIPhSE_SF_SF_EESI_SY_SJ_SK_SL_EUlSY_E1_NS1_11comp_targetILNS1_3genE10ELNS1_11target_archE1201ELNS1_3gpuE5ELNS1_3repE0EEENS1_36merge_oddeven_config_static_selectorELNS0_4arch9wavefront6targetE1EEEvSK_ ; -- Begin function _ZN7rocprim17ROCPRIM_400000_NS6detail17trampoline_kernelINS0_14default_configENS1_38merge_sort_block_merge_config_selectorIhNS0_10empty_typeEEEZZNS1_27merge_sort_block_merge_implIS3_N6thrust23THRUST_200600_302600_NS6detail15normal_iteratorINS9_10device_ptrIhEEEEPS5_m14custom_greaterIhEEE10hipError_tT0_T1_T2_jT3_P12ihipStream_tbPNSt15iterator_traitsISJ_E10value_typeEPNSP_ISK_E10value_typeEPSL_NS1_7vsmem_tEENKUlT_SJ_SK_SL_E_clIPhSE_SF_SF_EESI_SY_SJ_SK_SL_EUlSY_E1_NS1_11comp_targetILNS1_3genE10ELNS1_11target_archE1201ELNS1_3gpuE5ELNS1_3repE0EEENS1_36merge_oddeven_config_static_selectorELNS0_4arch9wavefront6targetE1EEEvSK_
	.globl	_ZN7rocprim17ROCPRIM_400000_NS6detail17trampoline_kernelINS0_14default_configENS1_38merge_sort_block_merge_config_selectorIhNS0_10empty_typeEEEZZNS1_27merge_sort_block_merge_implIS3_N6thrust23THRUST_200600_302600_NS6detail15normal_iteratorINS9_10device_ptrIhEEEEPS5_m14custom_greaterIhEEE10hipError_tT0_T1_T2_jT3_P12ihipStream_tbPNSt15iterator_traitsISJ_E10value_typeEPNSP_ISK_E10value_typeEPSL_NS1_7vsmem_tEENKUlT_SJ_SK_SL_E_clIPhSE_SF_SF_EESI_SY_SJ_SK_SL_EUlSY_E1_NS1_11comp_targetILNS1_3genE10ELNS1_11target_archE1201ELNS1_3gpuE5ELNS1_3repE0EEENS1_36merge_oddeven_config_static_selectorELNS0_4arch9wavefront6targetE1EEEvSK_
	.p2align	8
	.type	_ZN7rocprim17ROCPRIM_400000_NS6detail17trampoline_kernelINS0_14default_configENS1_38merge_sort_block_merge_config_selectorIhNS0_10empty_typeEEEZZNS1_27merge_sort_block_merge_implIS3_N6thrust23THRUST_200600_302600_NS6detail15normal_iteratorINS9_10device_ptrIhEEEEPS5_m14custom_greaterIhEEE10hipError_tT0_T1_T2_jT3_P12ihipStream_tbPNSt15iterator_traitsISJ_E10value_typeEPNSP_ISK_E10value_typeEPSL_NS1_7vsmem_tEENKUlT_SJ_SK_SL_E_clIPhSE_SF_SF_EESI_SY_SJ_SK_SL_EUlSY_E1_NS1_11comp_targetILNS1_3genE10ELNS1_11target_archE1201ELNS1_3gpuE5ELNS1_3repE0EEENS1_36merge_oddeven_config_static_selectorELNS0_4arch9wavefront6targetE1EEEvSK_,@function
_ZN7rocprim17ROCPRIM_400000_NS6detail17trampoline_kernelINS0_14default_configENS1_38merge_sort_block_merge_config_selectorIhNS0_10empty_typeEEEZZNS1_27merge_sort_block_merge_implIS3_N6thrust23THRUST_200600_302600_NS6detail15normal_iteratorINS9_10device_ptrIhEEEEPS5_m14custom_greaterIhEEE10hipError_tT0_T1_T2_jT3_P12ihipStream_tbPNSt15iterator_traitsISJ_E10value_typeEPNSP_ISK_E10value_typeEPSL_NS1_7vsmem_tEENKUlT_SJ_SK_SL_E_clIPhSE_SF_SF_EESI_SY_SJ_SK_SL_EUlSY_E1_NS1_11comp_targetILNS1_3genE10ELNS1_11target_archE1201ELNS1_3gpuE5ELNS1_3repE0EEENS1_36merge_oddeven_config_static_selectorELNS0_4arch9wavefront6targetE1EEEvSK_: ; @_ZN7rocprim17ROCPRIM_400000_NS6detail17trampoline_kernelINS0_14default_configENS1_38merge_sort_block_merge_config_selectorIhNS0_10empty_typeEEEZZNS1_27merge_sort_block_merge_implIS3_N6thrust23THRUST_200600_302600_NS6detail15normal_iteratorINS9_10device_ptrIhEEEEPS5_m14custom_greaterIhEEE10hipError_tT0_T1_T2_jT3_P12ihipStream_tbPNSt15iterator_traitsISJ_E10value_typeEPNSP_ISK_E10value_typeEPSL_NS1_7vsmem_tEENKUlT_SJ_SK_SL_E_clIPhSE_SF_SF_EESI_SY_SJ_SK_SL_EUlSY_E1_NS1_11comp_targetILNS1_3genE10ELNS1_11target_archE1201ELNS1_3gpuE5ELNS1_3repE0EEENS1_36merge_oddeven_config_static_selectorELNS0_4arch9wavefront6targetE1EEEvSK_
; %bb.0:
	.section	.rodata,"a",@progbits
	.p2align	6, 0x0
	.amdhsa_kernel _ZN7rocprim17ROCPRIM_400000_NS6detail17trampoline_kernelINS0_14default_configENS1_38merge_sort_block_merge_config_selectorIhNS0_10empty_typeEEEZZNS1_27merge_sort_block_merge_implIS3_N6thrust23THRUST_200600_302600_NS6detail15normal_iteratorINS9_10device_ptrIhEEEEPS5_m14custom_greaterIhEEE10hipError_tT0_T1_T2_jT3_P12ihipStream_tbPNSt15iterator_traitsISJ_E10value_typeEPNSP_ISK_E10value_typeEPSL_NS1_7vsmem_tEENKUlT_SJ_SK_SL_E_clIPhSE_SF_SF_EESI_SY_SJ_SK_SL_EUlSY_E1_NS1_11comp_targetILNS1_3genE10ELNS1_11target_archE1201ELNS1_3gpuE5ELNS1_3repE0EEENS1_36merge_oddeven_config_static_selectorELNS0_4arch9wavefront6targetE1EEEvSK_
		.amdhsa_group_segment_fixed_size 0
		.amdhsa_private_segment_fixed_size 0
		.amdhsa_kernarg_size 56
		.amdhsa_user_sgpr_count 6
		.amdhsa_user_sgpr_private_segment_buffer 1
		.amdhsa_user_sgpr_dispatch_ptr 0
		.amdhsa_user_sgpr_queue_ptr 0
		.amdhsa_user_sgpr_kernarg_segment_ptr 1
		.amdhsa_user_sgpr_dispatch_id 0
		.amdhsa_user_sgpr_flat_scratch_init 0
		.amdhsa_user_sgpr_kernarg_preload_length 0
		.amdhsa_user_sgpr_kernarg_preload_offset 0
		.amdhsa_user_sgpr_private_segment_size 0
		.amdhsa_uses_dynamic_stack 0
		.amdhsa_system_sgpr_private_segment_wavefront_offset 0
		.amdhsa_system_sgpr_workgroup_id_x 1
		.amdhsa_system_sgpr_workgroup_id_y 0
		.amdhsa_system_sgpr_workgroup_id_z 0
		.amdhsa_system_sgpr_workgroup_info 0
		.amdhsa_system_vgpr_workitem_id 0
		.amdhsa_next_free_vgpr 1
		.amdhsa_next_free_sgpr 0
		.amdhsa_accum_offset 4
		.amdhsa_reserve_vcc 0
		.amdhsa_reserve_flat_scratch 0
		.amdhsa_float_round_mode_32 0
		.amdhsa_float_round_mode_16_64 0
		.amdhsa_float_denorm_mode_32 3
		.amdhsa_float_denorm_mode_16_64 3
		.amdhsa_dx10_clamp 1
		.amdhsa_ieee_mode 1
		.amdhsa_fp16_overflow 0
		.amdhsa_tg_split 0
		.amdhsa_exception_fp_ieee_invalid_op 0
		.amdhsa_exception_fp_denorm_src 0
		.amdhsa_exception_fp_ieee_div_zero 0
		.amdhsa_exception_fp_ieee_overflow 0
		.amdhsa_exception_fp_ieee_underflow 0
		.amdhsa_exception_fp_ieee_inexact 0
		.amdhsa_exception_int_div_zero 0
	.end_amdhsa_kernel
	.section	.text._ZN7rocprim17ROCPRIM_400000_NS6detail17trampoline_kernelINS0_14default_configENS1_38merge_sort_block_merge_config_selectorIhNS0_10empty_typeEEEZZNS1_27merge_sort_block_merge_implIS3_N6thrust23THRUST_200600_302600_NS6detail15normal_iteratorINS9_10device_ptrIhEEEEPS5_m14custom_greaterIhEEE10hipError_tT0_T1_T2_jT3_P12ihipStream_tbPNSt15iterator_traitsISJ_E10value_typeEPNSP_ISK_E10value_typeEPSL_NS1_7vsmem_tEENKUlT_SJ_SK_SL_E_clIPhSE_SF_SF_EESI_SY_SJ_SK_SL_EUlSY_E1_NS1_11comp_targetILNS1_3genE10ELNS1_11target_archE1201ELNS1_3gpuE5ELNS1_3repE0EEENS1_36merge_oddeven_config_static_selectorELNS0_4arch9wavefront6targetE1EEEvSK_,"axG",@progbits,_ZN7rocprim17ROCPRIM_400000_NS6detail17trampoline_kernelINS0_14default_configENS1_38merge_sort_block_merge_config_selectorIhNS0_10empty_typeEEEZZNS1_27merge_sort_block_merge_implIS3_N6thrust23THRUST_200600_302600_NS6detail15normal_iteratorINS9_10device_ptrIhEEEEPS5_m14custom_greaterIhEEE10hipError_tT0_T1_T2_jT3_P12ihipStream_tbPNSt15iterator_traitsISJ_E10value_typeEPNSP_ISK_E10value_typeEPSL_NS1_7vsmem_tEENKUlT_SJ_SK_SL_E_clIPhSE_SF_SF_EESI_SY_SJ_SK_SL_EUlSY_E1_NS1_11comp_targetILNS1_3genE10ELNS1_11target_archE1201ELNS1_3gpuE5ELNS1_3repE0EEENS1_36merge_oddeven_config_static_selectorELNS0_4arch9wavefront6targetE1EEEvSK_,comdat
.Lfunc_end2878:
	.size	_ZN7rocprim17ROCPRIM_400000_NS6detail17trampoline_kernelINS0_14default_configENS1_38merge_sort_block_merge_config_selectorIhNS0_10empty_typeEEEZZNS1_27merge_sort_block_merge_implIS3_N6thrust23THRUST_200600_302600_NS6detail15normal_iteratorINS9_10device_ptrIhEEEEPS5_m14custom_greaterIhEEE10hipError_tT0_T1_T2_jT3_P12ihipStream_tbPNSt15iterator_traitsISJ_E10value_typeEPNSP_ISK_E10value_typeEPSL_NS1_7vsmem_tEENKUlT_SJ_SK_SL_E_clIPhSE_SF_SF_EESI_SY_SJ_SK_SL_EUlSY_E1_NS1_11comp_targetILNS1_3genE10ELNS1_11target_archE1201ELNS1_3gpuE5ELNS1_3repE0EEENS1_36merge_oddeven_config_static_selectorELNS0_4arch9wavefront6targetE1EEEvSK_, .Lfunc_end2878-_ZN7rocprim17ROCPRIM_400000_NS6detail17trampoline_kernelINS0_14default_configENS1_38merge_sort_block_merge_config_selectorIhNS0_10empty_typeEEEZZNS1_27merge_sort_block_merge_implIS3_N6thrust23THRUST_200600_302600_NS6detail15normal_iteratorINS9_10device_ptrIhEEEEPS5_m14custom_greaterIhEEE10hipError_tT0_T1_T2_jT3_P12ihipStream_tbPNSt15iterator_traitsISJ_E10value_typeEPNSP_ISK_E10value_typeEPSL_NS1_7vsmem_tEENKUlT_SJ_SK_SL_E_clIPhSE_SF_SF_EESI_SY_SJ_SK_SL_EUlSY_E1_NS1_11comp_targetILNS1_3genE10ELNS1_11target_archE1201ELNS1_3gpuE5ELNS1_3repE0EEENS1_36merge_oddeven_config_static_selectorELNS0_4arch9wavefront6targetE1EEEvSK_
                                        ; -- End function
	.section	.AMDGPU.csdata,"",@progbits
; Kernel info:
; codeLenInByte = 0
; NumSgprs: 4
; NumVgprs: 0
; NumAgprs: 0
; TotalNumVgprs: 0
; ScratchSize: 0
; MemoryBound: 0
; FloatMode: 240
; IeeeMode: 1
; LDSByteSize: 0 bytes/workgroup (compile time only)
; SGPRBlocks: 0
; VGPRBlocks: 0
; NumSGPRsForWavesPerEU: 4
; NumVGPRsForWavesPerEU: 1
; AccumOffset: 4
; Occupancy: 8
; WaveLimiterHint : 0
; COMPUTE_PGM_RSRC2:SCRATCH_EN: 0
; COMPUTE_PGM_RSRC2:USER_SGPR: 6
; COMPUTE_PGM_RSRC2:TRAP_HANDLER: 0
; COMPUTE_PGM_RSRC2:TGID_X_EN: 1
; COMPUTE_PGM_RSRC2:TGID_Y_EN: 0
; COMPUTE_PGM_RSRC2:TGID_Z_EN: 0
; COMPUTE_PGM_RSRC2:TIDIG_COMP_CNT: 0
; COMPUTE_PGM_RSRC3_GFX90A:ACCUM_OFFSET: 0
; COMPUTE_PGM_RSRC3_GFX90A:TG_SPLIT: 0
	.section	.text._ZN7rocprim17ROCPRIM_400000_NS6detail17trampoline_kernelINS0_14default_configENS1_38merge_sort_block_merge_config_selectorIhNS0_10empty_typeEEEZZNS1_27merge_sort_block_merge_implIS3_N6thrust23THRUST_200600_302600_NS6detail15normal_iteratorINS9_10device_ptrIhEEEEPS5_m14custom_greaterIhEEE10hipError_tT0_T1_T2_jT3_P12ihipStream_tbPNSt15iterator_traitsISJ_E10value_typeEPNSP_ISK_E10value_typeEPSL_NS1_7vsmem_tEENKUlT_SJ_SK_SL_E_clIPhSE_SF_SF_EESI_SY_SJ_SK_SL_EUlSY_E1_NS1_11comp_targetILNS1_3genE5ELNS1_11target_archE942ELNS1_3gpuE9ELNS1_3repE0EEENS1_36merge_oddeven_config_static_selectorELNS0_4arch9wavefront6targetE1EEEvSK_,"axG",@progbits,_ZN7rocprim17ROCPRIM_400000_NS6detail17trampoline_kernelINS0_14default_configENS1_38merge_sort_block_merge_config_selectorIhNS0_10empty_typeEEEZZNS1_27merge_sort_block_merge_implIS3_N6thrust23THRUST_200600_302600_NS6detail15normal_iteratorINS9_10device_ptrIhEEEEPS5_m14custom_greaterIhEEE10hipError_tT0_T1_T2_jT3_P12ihipStream_tbPNSt15iterator_traitsISJ_E10value_typeEPNSP_ISK_E10value_typeEPSL_NS1_7vsmem_tEENKUlT_SJ_SK_SL_E_clIPhSE_SF_SF_EESI_SY_SJ_SK_SL_EUlSY_E1_NS1_11comp_targetILNS1_3genE5ELNS1_11target_archE942ELNS1_3gpuE9ELNS1_3repE0EEENS1_36merge_oddeven_config_static_selectorELNS0_4arch9wavefront6targetE1EEEvSK_,comdat
	.protected	_ZN7rocprim17ROCPRIM_400000_NS6detail17trampoline_kernelINS0_14default_configENS1_38merge_sort_block_merge_config_selectorIhNS0_10empty_typeEEEZZNS1_27merge_sort_block_merge_implIS3_N6thrust23THRUST_200600_302600_NS6detail15normal_iteratorINS9_10device_ptrIhEEEEPS5_m14custom_greaterIhEEE10hipError_tT0_T1_T2_jT3_P12ihipStream_tbPNSt15iterator_traitsISJ_E10value_typeEPNSP_ISK_E10value_typeEPSL_NS1_7vsmem_tEENKUlT_SJ_SK_SL_E_clIPhSE_SF_SF_EESI_SY_SJ_SK_SL_EUlSY_E1_NS1_11comp_targetILNS1_3genE5ELNS1_11target_archE942ELNS1_3gpuE9ELNS1_3repE0EEENS1_36merge_oddeven_config_static_selectorELNS0_4arch9wavefront6targetE1EEEvSK_ ; -- Begin function _ZN7rocprim17ROCPRIM_400000_NS6detail17trampoline_kernelINS0_14default_configENS1_38merge_sort_block_merge_config_selectorIhNS0_10empty_typeEEEZZNS1_27merge_sort_block_merge_implIS3_N6thrust23THRUST_200600_302600_NS6detail15normal_iteratorINS9_10device_ptrIhEEEEPS5_m14custom_greaterIhEEE10hipError_tT0_T1_T2_jT3_P12ihipStream_tbPNSt15iterator_traitsISJ_E10value_typeEPNSP_ISK_E10value_typeEPSL_NS1_7vsmem_tEENKUlT_SJ_SK_SL_E_clIPhSE_SF_SF_EESI_SY_SJ_SK_SL_EUlSY_E1_NS1_11comp_targetILNS1_3genE5ELNS1_11target_archE942ELNS1_3gpuE9ELNS1_3repE0EEENS1_36merge_oddeven_config_static_selectorELNS0_4arch9wavefront6targetE1EEEvSK_
	.globl	_ZN7rocprim17ROCPRIM_400000_NS6detail17trampoline_kernelINS0_14default_configENS1_38merge_sort_block_merge_config_selectorIhNS0_10empty_typeEEEZZNS1_27merge_sort_block_merge_implIS3_N6thrust23THRUST_200600_302600_NS6detail15normal_iteratorINS9_10device_ptrIhEEEEPS5_m14custom_greaterIhEEE10hipError_tT0_T1_T2_jT3_P12ihipStream_tbPNSt15iterator_traitsISJ_E10value_typeEPNSP_ISK_E10value_typeEPSL_NS1_7vsmem_tEENKUlT_SJ_SK_SL_E_clIPhSE_SF_SF_EESI_SY_SJ_SK_SL_EUlSY_E1_NS1_11comp_targetILNS1_3genE5ELNS1_11target_archE942ELNS1_3gpuE9ELNS1_3repE0EEENS1_36merge_oddeven_config_static_selectorELNS0_4arch9wavefront6targetE1EEEvSK_
	.p2align	8
	.type	_ZN7rocprim17ROCPRIM_400000_NS6detail17trampoline_kernelINS0_14default_configENS1_38merge_sort_block_merge_config_selectorIhNS0_10empty_typeEEEZZNS1_27merge_sort_block_merge_implIS3_N6thrust23THRUST_200600_302600_NS6detail15normal_iteratorINS9_10device_ptrIhEEEEPS5_m14custom_greaterIhEEE10hipError_tT0_T1_T2_jT3_P12ihipStream_tbPNSt15iterator_traitsISJ_E10value_typeEPNSP_ISK_E10value_typeEPSL_NS1_7vsmem_tEENKUlT_SJ_SK_SL_E_clIPhSE_SF_SF_EESI_SY_SJ_SK_SL_EUlSY_E1_NS1_11comp_targetILNS1_3genE5ELNS1_11target_archE942ELNS1_3gpuE9ELNS1_3repE0EEENS1_36merge_oddeven_config_static_selectorELNS0_4arch9wavefront6targetE1EEEvSK_,@function
_ZN7rocprim17ROCPRIM_400000_NS6detail17trampoline_kernelINS0_14default_configENS1_38merge_sort_block_merge_config_selectorIhNS0_10empty_typeEEEZZNS1_27merge_sort_block_merge_implIS3_N6thrust23THRUST_200600_302600_NS6detail15normal_iteratorINS9_10device_ptrIhEEEEPS5_m14custom_greaterIhEEE10hipError_tT0_T1_T2_jT3_P12ihipStream_tbPNSt15iterator_traitsISJ_E10value_typeEPNSP_ISK_E10value_typeEPSL_NS1_7vsmem_tEENKUlT_SJ_SK_SL_E_clIPhSE_SF_SF_EESI_SY_SJ_SK_SL_EUlSY_E1_NS1_11comp_targetILNS1_3genE5ELNS1_11target_archE942ELNS1_3gpuE9ELNS1_3repE0EEENS1_36merge_oddeven_config_static_selectorELNS0_4arch9wavefront6targetE1EEEvSK_: ; @_ZN7rocprim17ROCPRIM_400000_NS6detail17trampoline_kernelINS0_14default_configENS1_38merge_sort_block_merge_config_selectorIhNS0_10empty_typeEEEZZNS1_27merge_sort_block_merge_implIS3_N6thrust23THRUST_200600_302600_NS6detail15normal_iteratorINS9_10device_ptrIhEEEEPS5_m14custom_greaterIhEEE10hipError_tT0_T1_T2_jT3_P12ihipStream_tbPNSt15iterator_traitsISJ_E10value_typeEPNSP_ISK_E10value_typeEPSL_NS1_7vsmem_tEENKUlT_SJ_SK_SL_E_clIPhSE_SF_SF_EESI_SY_SJ_SK_SL_EUlSY_E1_NS1_11comp_targetILNS1_3genE5ELNS1_11target_archE942ELNS1_3gpuE9ELNS1_3repE0EEENS1_36merge_oddeven_config_static_selectorELNS0_4arch9wavefront6targetE1EEEvSK_
; %bb.0:
	.section	.rodata,"a",@progbits
	.p2align	6, 0x0
	.amdhsa_kernel _ZN7rocprim17ROCPRIM_400000_NS6detail17trampoline_kernelINS0_14default_configENS1_38merge_sort_block_merge_config_selectorIhNS0_10empty_typeEEEZZNS1_27merge_sort_block_merge_implIS3_N6thrust23THRUST_200600_302600_NS6detail15normal_iteratorINS9_10device_ptrIhEEEEPS5_m14custom_greaterIhEEE10hipError_tT0_T1_T2_jT3_P12ihipStream_tbPNSt15iterator_traitsISJ_E10value_typeEPNSP_ISK_E10value_typeEPSL_NS1_7vsmem_tEENKUlT_SJ_SK_SL_E_clIPhSE_SF_SF_EESI_SY_SJ_SK_SL_EUlSY_E1_NS1_11comp_targetILNS1_3genE5ELNS1_11target_archE942ELNS1_3gpuE9ELNS1_3repE0EEENS1_36merge_oddeven_config_static_selectorELNS0_4arch9wavefront6targetE1EEEvSK_
		.amdhsa_group_segment_fixed_size 0
		.amdhsa_private_segment_fixed_size 0
		.amdhsa_kernarg_size 56
		.amdhsa_user_sgpr_count 6
		.amdhsa_user_sgpr_private_segment_buffer 1
		.amdhsa_user_sgpr_dispatch_ptr 0
		.amdhsa_user_sgpr_queue_ptr 0
		.amdhsa_user_sgpr_kernarg_segment_ptr 1
		.amdhsa_user_sgpr_dispatch_id 0
		.amdhsa_user_sgpr_flat_scratch_init 0
		.amdhsa_user_sgpr_kernarg_preload_length 0
		.amdhsa_user_sgpr_kernarg_preload_offset 0
		.amdhsa_user_sgpr_private_segment_size 0
		.amdhsa_uses_dynamic_stack 0
		.amdhsa_system_sgpr_private_segment_wavefront_offset 0
		.amdhsa_system_sgpr_workgroup_id_x 1
		.amdhsa_system_sgpr_workgroup_id_y 0
		.amdhsa_system_sgpr_workgroup_id_z 0
		.amdhsa_system_sgpr_workgroup_info 0
		.amdhsa_system_vgpr_workitem_id 0
		.amdhsa_next_free_vgpr 1
		.amdhsa_next_free_sgpr 0
		.amdhsa_accum_offset 4
		.amdhsa_reserve_vcc 0
		.amdhsa_reserve_flat_scratch 0
		.amdhsa_float_round_mode_32 0
		.amdhsa_float_round_mode_16_64 0
		.amdhsa_float_denorm_mode_32 3
		.amdhsa_float_denorm_mode_16_64 3
		.amdhsa_dx10_clamp 1
		.amdhsa_ieee_mode 1
		.amdhsa_fp16_overflow 0
		.amdhsa_tg_split 0
		.amdhsa_exception_fp_ieee_invalid_op 0
		.amdhsa_exception_fp_denorm_src 0
		.amdhsa_exception_fp_ieee_div_zero 0
		.amdhsa_exception_fp_ieee_overflow 0
		.amdhsa_exception_fp_ieee_underflow 0
		.amdhsa_exception_fp_ieee_inexact 0
		.amdhsa_exception_int_div_zero 0
	.end_amdhsa_kernel
	.section	.text._ZN7rocprim17ROCPRIM_400000_NS6detail17trampoline_kernelINS0_14default_configENS1_38merge_sort_block_merge_config_selectorIhNS0_10empty_typeEEEZZNS1_27merge_sort_block_merge_implIS3_N6thrust23THRUST_200600_302600_NS6detail15normal_iteratorINS9_10device_ptrIhEEEEPS5_m14custom_greaterIhEEE10hipError_tT0_T1_T2_jT3_P12ihipStream_tbPNSt15iterator_traitsISJ_E10value_typeEPNSP_ISK_E10value_typeEPSL_NS1_7vsmem_tEENKUlT_SJ_SK_SL_E_clIPhSE_SF_SF_EESI_SY_SJ_SK_SL_EUlSY_E1_NS1_11comp_targetILNS1_3genE5ELNS1_11target_archE942ELNS1_3gpuE9ELNS1_3repE0EEENS1_36merge_oddeven_config_static_selectorELNS0_4arch9wavefront6targetE1EEEvSK_,"axG",@progbits,_ZN7rocprim17ROCPRIM_400000_NS6detail17trampoline_kernelINS0_14default_configENS1_38merge_sort_block_merge_config_selectorIhNS0_10empty_typeEEEZZNS1_27merge_sort_block_merge_implIS3_N6thrust23THRUST_200600_302600_NS6detail15normal_iteratorINS9_10device_ptrIhEEEEPS5_m14custom_greaterIhEEE10hipError_tT0_T1_T2_jT3_P12ihipStream_tbPNSt15iterator_traitsISJ_E10value_typeEPNSP_ISK_E10value_typeEPSL_NS1_7vsmem_tEENKUlT_SJ_SK_SL_E_clIPhSE_SF_SF_EESI_SY_SJ_SK_SL_EUlSY_E1_NS1_11comp_targetILNS1_3genE5ELNS1_11target_archE942ELNS1_3gpuE9ELNS1_3repE0EEENS1_36merge_oddeven_config_static_selectorELNS0_4arch9wavefront6targetE1EEEvSK_,comdat
.Lfunc_end2879:
	.size	_ZN7rocprim17ROCPRIM_400000_NS6detail17trampoline_kernelINS0_14default_configENS1_38merge_sort_block_merge_config_selectorIhNS0_10empty_typeEEEZZNS1_27merge_sort_block_merge_implIS3_N6thrust23THRUST_200600_302600_NS6detail15normal_iteratorINS9_10device_ptrIhEEEEPS5_m14custom_greaterIhEEE10hipError_tT0_T1_T2_jT3_P12ihipStream_tbPNSt15iterator_traitsISJ_E10value_typeEPNSP_ISK_E10value_typeEPSL_NS1_7vsmem_tEENKUlT_SJ_SK_SL_E_clIPhSE_SF_SF_EESI_SY_SJ_SK_SL_EUlSY_E1_NS1_11comp_targetILNS1_3genE5ELNS1_11target_archE942ELNS1_3gpuE9ELNS1_3repE0EEENS1_36merge_oddeven_config_static_selectorELNS0_4arch9wavefront6targetE1EEEvSK_, .Lfunc_end2879-_ZN7rocprim17ROCPRIM_400000_NS6detail17trampoline_kernelINS0_14default_configENS1_38merge_sort_block_merge_config_selectorIhNS0_10empty_typeEEEZZNS1_27merge_sort_block_merge_implIS3_N6thrust23THRUST_200600_302600_NS6detail15normal_iteratorINS9_10device_ptrIhEEEEPS5_m14custom_greaterIhEEE10hipError_tT0_T1_T2_jT3_P12ihipStream_tbPNSt15iterator_traitsISJ_E10value_typeEPNSP_ISK_E10value_typeEPSL_NS1_7vsmem_tEENKUlT_SJ_SK_SL_E_clIPhSE_SF_SF_EESI_SY_SJ_SK_SL_EUlSY_E1_NS1_11comp_targetILNS1_3genE5ELNS1_11target_archE942ELNS1_3gpuE9ELNS1_3repE0EEENS1_36merge_oddeven_config_static_selectorELNS0_4arch9wavefront6targetE1EEEvSK_
                                        ; -- End function
	.section	.AMDGPU.csdata,"",@progbits
; Kernel info:
; codeLenInByte = 0
; NumSgprs: 4
; NumVgprs: 0
; NumAgprs: 0
; TotalNumVgprs: 0
; ScratchSize: 0
; MemoryBound: 0
; FloatMode: 240
; IeeeMode: 1
; LDSByteSize: 0 bytes/workgroup (compile time only)
; SGPRBlocks: 0
; VGPRBlocks: 0
; NumSGPRsForWavesPerEU: 4
; NumVGPRsForWavesPerEU: 1
; AccumOffset: 4
; Occupancy: 8
; WaveLimiterHint : 0
; COMPUTE_PGM_RSRC2:SCRATCH_EN: 0
; COMPUTE_PGM_RSRC2:USER_SGPR: 6
; COMPUTE_PGM_RSRC2:TRAP_HANDLER: 0
; COMPUTE_PGM_RSRC2:TGID_X_EN: 1
; COMPUTE_PGM_RSRC2:TGID_Y_EN: 0
; COMPUTE_PGM_RSRC2:TGID_Z_EN: 0
; COMPUTE_PGM_RSRC2:TIDIG_COMP_CNT: 0
; COMPUTE_PGM_RSRC3_GFX90A:ACCUM_OFFSET: 0
; COMPUTE_PGM_RSRC3_GFX90A:TG_SPLIT: 0
	.section	.text._ZN7rocprim17ROCPRIM_400000_NS6detail17trampoline_kernelINS0_14default_configENS1_38merge_sort_block_merge_config_selectorIhNS0_10empty_typeEEEZZNS1_27merge_sort_block_merge_implIS3_N6thrust23THRUST_200600_302600_NS6detail15normal_iteratorINS9_10device_ptrIhEEEEPS5_m14custom_greaterIhEEE10hipError_tT0_T1_T2_jT3_P12ihipStream_tbPNSt15iterator_traitsISJ_E10value_typeEPNSP_ISK_E10value_typeEPSL_NS1_7vsmem_tEENKUlT_SJ_SK_SL_E_clIPhSE_SF_SF_EESI_SY_SJ_SK_SL_EUlSY_E1_NS1_11comp_targetILNS1_3genE4ELNS1_11target_archE910ELNS1_3gpuE8ELNS1_3repE0EEENS1_36merge_oddeven_config_static_selectorELNS0_4arch9wavefront6targetE1EEEvSK_,"axG",@progbits,_ZN7rocprim17ROCPRIM_400000_NS6detail17trampoline_kernelINS0_14default_configENS1_38merge_sort_block_merge_config_selectorIhNS0_10empty_typeEEEZZNS1_27merge_sort_block_merge_implIS3_N6thrust23THRUST_200600_302600_NS6detail15normal_iteratorINS9_10device_ptrIhEEEEPS5_m14custom_greaterIhEEE10hipError_tT0_T1_T2_jT3_P12ihipStream_tbPNSt15iterator_traitsISJ_E10value_typeEPNSP_ISK_E10value_typeEPSL_NS1_7vsmem_tEENKUlT_SJ_SK_SL_E_clIPhSE_SF_SF_EESI_SY_SJ_SK_SL_EUlSY_E1_NS1_11comp_targetILNS1_3genE4ELNS1_11target_archE910ELNS1_3gpuE8ELNS1_3repE0EEENS1_36merge_oddeven_config_static_selectorELNS0_4arch9wavefront6targetE1EEEvSK_,comdat
	.protected	_ZN7rocprim17ROCPRIM_400000_NS6detail17trampoline_kernelINS0_14default_configENS1_38merge_sort_block_merge_config_selectorIhNS0_10empty_typeEEEZZNS1_27merge_sort_block_merge_implIS3_N6thrust23THRUST_200600_302600_NS6detail15normal_iteratorINS9_10device_ptrIhEEEEPS5_m14custom_greaterIhEEE10hipError_tT0_T1_T2_jT3_P12ihipStream_tbPNSt15iterator_traitsISJ_E10value_typeEPNSP_ISK_E10value_typeEPSL_NS1_7vsmem_tEENKUlT_SJ_SK_SL_E_clIPhSE_SF_SF_EESI_SY_SJ_SK_SL_EUlSY_E1_NS1_11comp_targetILNS1_3genE4ELNS1_11target_archE910ELNS1_3gpuE8ELNS1_3repE0EEENS1_36merge_oddeven_config_static_selectorELNS0_4arch9wavefront6targetE1EEEvSK_ ; -- Begin function _ZN7rocprim17ROCPRIM_400000_NS6detail17trampoline_kernelINS0_14default_configENS1_38merge_sort_block_merge_config_selectorIhNS0_10empty_typeEEEZZNS1_27merge_sort_block_merge_implIS3_N6thrust23THRUST_200600_302600_NS6detail15normal_iteratorINS9_10device_ptrIhEEEEPS5_m14custom_greaterIhEEE10hipError_tT0_T1_T2_jT3_P12ihipStream_tbPNSt15iterator_traitsISJ_E10value_typeEPNSP_ISK_E10value_typeEPSL_NS1_7vsmem_tEENKUlT_SJ_SK_SL_E_clIPhSE_SF_SF_EESI_SY_SJ_SK_SL_EUlSY_E1_NS1_11comp_targetILNS1_3genE4ELNS1_11target_archE910ELNS1_3gpuE8ELNS1_3repE0EEENS1_36merge_oddeven_config_static_selectorELNS0_4arch9wavefront6targetE1EEEvSK_
	.globl	_ZN7rocprim17ROCPRIM_400000_NS6detail17trampoline_kernelINS0_14default_configENS1_38merge_sort_block_merge_config_selectorIhNS0_10empty_typeEEEZZNS1_27merge_sort_block_merge_implIS3_N6thrust23THRUST_200600_302600_NS6detail15normal_iteratorINS9_10device_ptrIhEEEEPS5_m14custom_greaterIhEEE10hipError_tT0_T1_T2_jT3_P12ihipStream_tbPNSt15iterator_traitsISJ_E10value_typeEPNSP_ISK_E10value_typeEPSL_NS1_7vsmem_tEENKUlT_SJ_SK_SL_E_clIPhSE_SF_SF_EESI_SY_SJ_SK_SL_EUlSY_E1_NS1_11comp_targetILNS1_3genE4ELNS1_11target_archE910ELNS1_3gpuE8ELNS1_3repE0EEENS1_36merge_oddeven_config_static_selectorELNS0_4arch9wavefront6targetE1EEEvSK_
	.p2align	8
	.type	_ZN7rocprim17ROCPRIM_400000_NS6detail17trampoline_kernelINS0_14default_configENS1_38merge_sort_block_merge_config_selectorIhNS0_10empty_typeEEEZZNS1_27merge_sort_block_merge_implIS3_N6thrust23THRUST_200600_302600_NS6detail15normal_iteratorINS9_10device_ptrIhEEEEPS5_m14custom_greaterIhEEE10hipError_tT0_T1_T2_jT3_P12ihipStream_tbPNSt15iterator_traitsISJ_E10value_typeEPNSP_ISK_E10value_typeEPSL_NS1_7vsmem_tEENKUlT_SJ_SK_SL_E_clIPhSE_SF_SF_EESI_SY_SJ_SK_SL_EUlSY_E1_NS1_11comp_targetILNS1_3genE4ELNS1_11target_archE910ELNS1_3gpuE8ELNS1_3repE0EEENS1_36merge_oddeven_config_static_selectorELNS0_4arch9wavefront6targetE1EEEvSK_,@function
_ZN7rocprim17ROCPRIM_400000_NS6detail17trampoline_kernelINS0_14default_configENS1_38merge_sort_block_merge_config_selectorIhNS0_10empty_typeEEEZZNS1_27merge_sort_block_merge_implIS3_N6thrust23THRUST_200600_302600_NS6detail15normal_iteratorINS9_10device_ptrIhEEEEPS5_m14custom_greaterIhEEE10hipError_tT0_T1_T2_jT3_P12ihipStream_tbPNSt15iterator_traitsISJ_E10value_typeEPNSP_ISK_E10value_typeEPSL_NS1_7vsmem_tEENKUlT_SJ_SK_SL_E_clIPhSE_SF_SF_EESI_SY_SJ_SK_SL_EUlSY_E1_NS1_11comp_targetILNS1_3genE4ELNS1_11target_archE910ELNS1_3gpuE8ELNS1_3repE0EEENS1_36merge_oddeven_config_static_selectorELNS0_4arch9wavefront6targetE1EEEvSK_: ; @_ZN7rocprim17ROCPRIM_400000_NS6detail17trampoline_kernelINS0_14default_configENS1_38merge_sort_block_merge_config_selectorIhNS0_10empty_typeEEEZZNS1_27merge_sort_block_merge_implIS3_N6thrust23THRUST_200600_302600_NS6detail15normal_iteratorINS9_10device_ptrIhEEEEPS5_m14custom_greaterIhEEE10hipError_tT0_T1_T2_jT3_P12ihipStream_tbPNSt15iterator_traitsISJ_E10value_typeEPNSP_ISK_E10value_typeEPSL_NS1_7vsmem_tEENKUlT_SJ_SK_SL_E_clIPhSE_SF_SF_EESI_SY_SJ_SK_SL_EUlSY_E1_NS1_11comp_targetILNS1_3genE4ELNS1_11target_archE910ELNS1_3gpuE8ELNS1_3repE0EEENS1_36merge_oddeven_config_static_selectorELNS0_4arch9wavefront6targetE1EEEvSK_
; %bb.0:
	s_load_dword s17, s[4:5], 0x20
	s_waitcnt lgkmcnt(0)
	s_lshr_b32 s0, s17, 8
	s_cmp_lg_u32 s6, s0
	s_cselect_b64 s[14:15], -1, 0
	s_cmp_eq_u32 s6, s0
	s_cselect_b64 s[12:13], -1, 0
	s_lshl_b32 s7, s6, 8
	s_sub_i32 s0, s17, s7
	v_cmp_gt_u32_e64 s[2:3], s0, v0
	s_or_b64 s[0:1], s[14:15], s[2:3]
	s_and_saveexec_b64 s[8:9], s[0:1]
	s_cbranch_execz .LBB2880_20
; %bb.1:
	s_load_dwordx4 s[8:11], s[4:5], 0x0
	s_load_dword s18, s[4:5], 0x28
	v_add_u32_e32 v2, s7, v0
	s_waitcnt lgkmcnt(0)
	s_add_u32 s0, s8, s7
	s_addc_u32 s1, s9, 0
	global_load_ubyte v1, v0, s[0:1]
	s_lshr_b32 s0, s18, 8
	s_sub_i32 s1, 0, s0
	s_and_b32 s1, s6, s1
	s_and_b32 s0, s1, s0
	s_lshl_b32 s19, s1, 8
	s_sub_i32 s6, 0, s18
	s_cmp_eq_u32 s0, 0
	s_cselect_b64 s[0:1], -1, 0
	s_and_b64 s[4:5], s[0:1], exec
	s_cselect_b32 s16, s18, s6
	s_add_i32 s16, s16, s19
	s_cmp_lt_u32 s16, s17
	s_cbranch_scc1 .LBB2880_3
; %bb.2:
	v_cmp_gt_u32_e32 vcc, s17, v2
	s_or_b64 s[4:5], vcc, s[14:15]
	s_and_b64 s[4:5], s[4:5], exec
	s_cbranch_execz .LBB2880_4
	s_branch .LBB2880_18
.LBB2880_3:
	s_mov_b64 s[4:5], 0
.LBB2880_4:
	s_min_u32 s14, s16, s17
	s_add_i32 s6, s14, s18
	s_min_u32 s15, s6, s17
	s_min_u32 s6, s19, s14
	s_add_i32 s19, s19, s14
	v_subrev_u32_e32 v0, s19, v2
	v_add_u32_e32 v0, s6, v0
	s_and_b64 vcc, exec, s[12:13]
	s_cbranch_vccz .LBB2880_12
; %bb.5:
                                        ; implicit-def: $vgpr2
	s_and_saveexec_b64 s[6:7], s[2:3]
	s_cbranch_execz .LBB2880_11
; %bb.6:
	s_cmp_ge_u32 s16, s15
	v_mov_b32_e32 v2, s14
	s_cbranch_scc1 .LBB2880_10
; %bb.7:
	s_mov_b64 s[2:3], 0
	v_mov_b32_e32 v3, s15
	v_mov_b32_e32 v2, s14
.LBB2880_8:                             ; =>This Inner Loop Header: Depth=1
	v_add_u32_e32 v4, v2, v3
	v_lshrrev_b32_e32 v4, 1, v4
	global_load_ubyte v5, v4, s[8:9]
	v_add_u32_e32 v6, 1, v4
	s_waitcnt vmcnt(0)
	v_cmp_gt_u16_sdwa s[12:13], v1, v5 src0_sel:BYTE_0 src1_sel:DWORD
	v_cndmask_b32_e64 v7, 0, 1, s[12:13]
	v_cmp_le_u16_sdwa s[12:13], v5, v1 src0_sel:DWORD src1_sel:BYTE_0
	v_cndmask_b32_e64 v5, 0, 1, s[12:13]
	v_cndmask_b32_e64 v5, v5, v7, s[0:1]
	v_and_b32_e32 v5, 1, v5
	v_cmp_eq_u32_e32 vcc, 1, v5
	v_cndmask_b32_e32 v3, v4, v3, vcc
	v_cndmask_b32_e32 v2, v2, v6, vcc
	v_cmp_ge_u32_e32 vcc, v2, v3
	s_or_b64 s[2:3], vcc, s[2:3]
	s_andn2_b64 exec, exec, s[2:3]
	s_cbranch_execnz .LBB2880_8
; %bb.9:
	s_or_b64 exec, exec, s[2:3]
.LBB2880_10:
	v_add_u32_e32 v2, v2, v0
	s_or_b64 s[4:5], s[4:5], exec
.LBB2880_11:
	s_or_b64 exec, exec, s[6:7]
	s_branch .LBB2880_18
.LBB2880_12:
                                        ; implicit-def: $vgpr2
	s_cbranch_execz .LBB2880_18
; %bb.13:
	s_cmp_ge_u32 s16, s15
	v_mov_b32_e32 v2, s14
	s_cbranch_scc1 .LBB2880_17
; %bb.14:
	s_mov_b64 s[2:3], 0
	v_mov_b32_e32 v3, s15
	v_mov_b32_e32 v2, s14
.LBB2880_15:                            ; =>This Inner Loop Header: Depth=1
	v_add_u32_e32 v4, v2, v3
	v_lshrrev_b32_e32 v4, 1, v4
	global_load_ubyte v5, v4, s[8:9]
	v_add_u32_e32 v6, 1, v4
	s_waitcnt vmcnt(0)
	v_cmp_gt_u16_sdwa s[4:5], v1, v5 src0_sel:BYTE_0 src1_sel:DWORD
	v_cndmask_b32_e64 v7, 0, 1, s[4:5]
	v_cmp_le_u16_sdwa s[4:5], v5, v1 src0_sel:DWORD src1_sel:BYTE_0
	v_cndmask_b32_e64 v5, 0, 1, s[4:5]
	v_cndmask_b32_e64 v5, v5, v7, s[0:1]
	v_and_b32_e32 v5, 1, v5
	v_cmp_eq_u32_e32 vcc, 1, v5
	v_cndmask_b32_e32 v3, v4, v3, vcc
	v_cndmask_b32_e32 v2, v2, v6, vcc
	v_cmp_ge_u32_e32 vcc, v2, v3
	s_or_b64 s[2:3], vcc, s[2:3]
	s_andn2_b64 exec, exec, s[2:3]
	s_cbranch_execnz .LBB2880_15
; %bb.16:
	s_or_b64 exec, exec, s[2:3]
.LBB2880_17:
	v_add_u32_e32 v2, v2, v0
	s_mov_b64 s[4:5], -1
.LBB2880_18:
	s_and_b64 exec, exec, s[4:5]
	s_cbranch_execz .LBB2880_20
; %bb.19:
	s_waitcnt vmcnt(0)
	global_store_byte v2, v1, s[10:11]
.LBB2880_20:
	s_endpgm
	.section	.rodata,"a",@progbits
	.p2align	6, 0x0
	.amdhsa_kernel _ZN7rocprim17ROCPRIM_400000_NS6detail17trampoline_kernelINS0_14default_configENS1_38merge_sort_block_merge_config_selectorIhNS0_10empty_typeEEEZZNS1_27merge_sort_block_merge_implIS3_N6thrust23THRUST_200600_302600_NS6detail15normal_iteratorINS9_10device_ptrIhEEEEPS5_m14custom_greaterIhEEE10hipError_tT0_T1_T2_jT3_P12ihipStream_tbPNSt15iterator_traitsISJ_E10value_typeEPNSP_ISK_E10value_typeEPSL_NS1_7vsmem_tEENKUlT_SJ_SK_SL_E_clIPhSE_SF_SF_EESI_SY_SJ_SK_SL_EUlSY_E1_NS1_11comp_targetILNS1_3genE4ELNS1_11target_archE910ELNS1_3gpuE8ELNS1_3repE0EEENS1_36merge_oddeven_config_static_selectorELNS0_4arch9wavefront6targetE1EEEvSK_
		.amdhsa_group_segment_fixed_size 0
		.amdhsa_private_segment_fixed_size 0
		.amdhsa_kernarg_size 56
		.amdhsa_user_sgpr_count 6
		.amdhsa_user_sgpr_private_segment_buffer 1
		.amdhsa_user_sgpr_dispatch_ptr 0
		.amdhsa_user_sgpr_queue_ptr 0
		.amdhsa_user_sgpr_kernarg_segment_ptr 1
		.amdhsa_user_sgpr_dispatch_id 0
		.amdhsa_user_sgpr_flat_scratch_init 0
		.amdhsa_user_sgpr_kernarg_preload_length 0
		.amdhsa_user_sgpr_kernarg_preload_offset 0
		.amdhsa_user_sgpr_private_segment_size 0
		.amdhsa_uses_dynamic_stack 0
		.amdhsa_system_sgpr_private_segment_wavefront_offset 0
		.amdhsa_system_sgpr_workgroup_id_x 1
		.amdhsa_system_sgpr_workgroup_id_y 0
		.amdhsa_system_sgpr_workgroup_id_z 0
		.amdhsa_system_sgpr_workgroup_info 0
		.amdhsa_system_vgpr_workitem_id 0
		.amdhsa_next_free_vgpr 8
		.amdhsa_next_free_sgpr 20
		.amdhsa_accum_offset 8
		.amdhsa_reserve_vcc 1
		.amdhsa_reserve_flat_scratch 0
		.amdhsa_float_round_mode_32 0
		.amdhsa_float_round_mode_16_64 0
		.amdhsa_float_denorm_mode_32 3
		.amdhsa_float_denorm_mode_16_64 3
		.amdhsa_dx10_clamp 1
		.amdhsa_ieee_mode 1
		.amdhsa_fp16_overflow 0
		.amdhsa_tg_split 0
		.amdhsa_exception_fp_ieee_invalid_op 0
		.amdhsa_exception_fp_denorm_src 0
		.amdhsa_exception_fp_ieee_div_zero 0
		.amdhsa_exception_fp_ieee_overflow 0
		.amdhsa_exception_fp_ieee_underflow 0
		.amdhsa_exception_fp_ieee_inexact 0
		.amdhsa_exception_int_div_zero 0
	.end_amdhsa_kernel
	.section	.text._ZN7rocprim17ROCPRIM_400000_NS6detail17trampoline_kernelINS0_14default_configENS1_38merge_sort_block_merge_config_selectorIhNS0_10empty_typeEEEZZNS1_27merge_sort_block_merge_implIS3_N6thrust23THRUST_200600_302600_NS6detail15normal_iteratorINS9_10device_ptrIhEEEEPS5_m14custom_greaterIhEEE10hipError_tT0_T1_T2_jT3_P12ihipStream_tbPNSt15iterator_traitsISJ_E10value_typeEPNSP_ISK_E10value_typeEPSL_NS1_7vsmem_tEENKUlT_SJ_SK_SL_E_clIPhSE_SF_SF_EESI_SY_SJ_SK_SL_EUlSY_E1_NS1_11comp_targetILNS1_3genE4ELNS1_11target_archE910ELNS1_3gpuE8ELNS1_3repE0EEENS1_36merge_oddeven_config_static_selectorELNS0_4arch9wavefront6targetE1EEEvSK_,"axG",@progbits,_ZN7rocprim17ROCPRIM_400000_NS6detail17trampoline_kernelINS0_14default_configENS1_38merge_sort_block_merge_config_selectorIhNS0_10empty_typeEEEZZNS1_27merge_sort_block_merge_implIS3_N6thrust23THRUST_200600_302600_NS6detail15normal_iteratorINS9_10device_ptrIhEEEEPS5_m14custom_greaterIhEEE10hipError_tT0_T1_T2_jT3_P12ihipStream_tbPNSt15iterator_traitsISJ_E10value_typeEPNSP_ISK_E10value_typeEPSL_NS1_7vsmem_tEENKUlT_SJ_SK_SL_E_clIPhSE_SF_SF_EESI_SY_SJ_SK_SL_EUlSY_E1_NS1_11comp_targetILNS1_3genE4ELNS1_11target_archE910ELNS1_3gpuE8ELNS1_3repE0EEENS1_36merge_oddeven_config_static_selectorELNS0_4arch9wavefront6targetE1EEEvSK_,comdat
.Lfunc_end2880:
	.size	_ZN7rocprim17ROCPRIM_400000_NS6detail17trampoline_kernelINS0_14default_configENS1_38merge_sort_block_merge_config_selectorIhNS0_10empty_typeEEEZZNS1_27merge_sort_block_merge_implIS3_N6thrust23THRUST_200600_302600_NS6detail15normal_iteratorINS9_10device_ptrIhEEEEPS5_m14custom_greaterIhEEE10hipError_tT0_T1_T2_jT3_P12ihipStream_tbPNSt15iterator_traitsISJ_E10value_typeEPNSP_ISK_E10value_typeEPSL_NS1_7vsmem_tEENKUlT_SJ_SK_SL_E_clIPhSE_SF_SF_EESI_SY_SJ_SK_SL_EUlSY_E1_NS1_11comp_targetILNS1_3genE4ELNS1_11target_archE910ELNS1_3gpuE8ELNS1_3repE0EEENS1_36merge_oddeven_config_static_selectorELNS0_4arch9wavefront6targetE1EEEvSK_, .Lfunc_end2880-_ZN7rocprim17ROCPRIM_400000_NS6detail17trampoline_kernelINS0_14default_configENS1_38merge_sort_block_merge_config_selectorIhNS0_10empty_typeEEEZZNS1_27merge_sort_block_merge_implIS3_N6thrust23THRUST_200600_302600_NS6detail15normal_iteratorINS9_10device_ptrIhEEEEPS5_m14custom_greaterIhEEE10hipError_tT0_T1_T2_jT3_P12ihipStream_tbPNSt15iterator_traitsISJ_E10value_typeEPNSP_ISK_E10value_typeEPSL_NS1_7vsmem_tEENKUlT_SJ_SK_SL_E_clIPhSE_SF_SF_EESI_SY_SJ_SK_SL_EUlSY_E1_NS1_11comp_targetILNS1_3genE4ELNS1_11target_archE910ELNS1_3gpuE8ELNS1_3repE0EEENS1_36merge_oddeven_config_static_selectorELNS0_4arch9wavefront6targetE1EEEvSK_
                                        ; -- End function
	.section	.AMDGPU.csdata,"",@progbits
; Kernel info:
; codeLenInByte = 520
; NumSgprs: 24
; NumVgprs: 8
; NumAgprs: 0
; TotalNumVgprs: 8
; ScratchSize: 0
; MemoryBound: 0
; FloatMode: 240
; IeeeMode: 1
; LDSByteSize: 0 bytes/workgroup (compile time only)
; SGPRBlocks: 2
; VGPRBlocks: 0
; NumSGPRsForWavesPerEU: 24
; NumVGPRsForWavesPerEU: 8
; AccumOffset: 8
; Occupancy: 8
; WaveLimiterHint : 0
; COMPUTE_PGM_RSRC2:SCRATCH_EN: 0
; COMPUTE_PGM_RSRC2:USER_SGPR: 6
; COMPUTE_PGM_RSRC2:TRAP_HANDLER: 0
; COMPUTE_PGM_RSRC2:TGID_X_EN: 1
; COMPUTE_PGM_RSRC2:TGID_Y_EN: 0
; COMPUTE_PGM_RSRC2:TGID_Z_EN: 0
; COMPUTE_PGM_RSRC2:TIDIG_COMP_CNT: 0
; COMPUTE_PGM_RSRC3_GFX90A:ACCUM_OFFSET: 1
; COMPUTE_PGM_RSRC3_GFX90A:TG_SPLIT: 0
	.section	.text._ZN7rocprim17ROCPRIM_400000_NS6detail17trampoline_kernelINS0_14default_configENS1_38merge_sort_block_merge_config_selectorIhNS0_10empty_typeEEEZZNS1_27merge_sort_block_merge_implIS3_N6thrust23THRUST_200600_302600_NS6detail15normal_iteratorINS9_10device_ptrIhEEEEPS5_m14custom_greaterIhEEE10hipError_tT0_T1_T2_jT3_P12ihipStream_tbPNSt15iterator_traitsISJ_E10value_typeEPNSP_ISK_E10value_typeEPSL_NS1_7vsmem_tEENKUlT_SJ_SK_SL_E_clIPhSE_SF_SF_EESI_SY_SJ_SK_SL_EUlSY_E1_NS1_11comp_targetILNS1_3genE3ELNS1_11target_archE908ELNS1_3gpuE7ELNS1_3repE0EEENS1_36merge_oddeven_config_static_selectorELNS0_4arch9wavefront6targetE1EEEvSK_,"axG",@progbits,_ZN7rocprim17ROCPRIM_400000_NS6detail17trampoline_kernelINS0_14default_configENS1_38merge_sort_block_merge_config_selectorIhNS0_10empty_typeEEEZZNS1_27merge_sort_block_merge_implIS3_N6thrust23THRUST_200600_302600_NS6detail15normal_iteratorINS9_10device_ptrIhEEEEPS5_m14custom_greaterIhEEE10hipError_tT0_T1_T2_jT3_P12ihipStream_tbPNSt15iterator_traitsISJ_E10value_typeEPNSP_ISK_E10value_typeEPSL_NS1_7vsmem_tEENKUlT_SJ_SK_SL_E_clIPhSE_SF_SF_EESI_SY_SJ_SK_SL_EUlSY_E1_NS1_11comp_targetILNS1_3genE3ELNS1_11target_archE908ELNS1_3gpuE7ELNS1_3repE0EEENS1_36merge_oddeven_config_static_selectorELNS0_4arch9wavefront6targetE1EEEvSK_,comdat
	.protected	_ZN7rocprim17ROCPRIM_400000_NS6detail17trampoline_kernelINS0_14default_configENS1_38merge_sort_block_merge_config_selectorIhNS0_10empty_typeEEEZZNS1_27merge_sort_block_merge_implIS3_N6thrust23THRUST_200600_302600_NS6detail15normal_iteratorINS9_10device_ptrIhEEEEPS5_m14custom_greaterIhEEE10hipError_tT0_T1_T2_jT3_P12ihipStream_tbPNSt15iterator_traitsISJ_E10value_typeEPNSP_ISK_E10value_typeEPSL_NS1_7vsmem_tEENKUlT_SJ_SK_SL_E_clIPhSE_SF_SF_EESI_SY_SJ_SK_SL_EUlSY_E1_NS1_11comp_targetILNS1_3genE3ELNS1_11target_archE908ELNS1_3gpuE7ELNS1_3repE0EEENS1_36merge_oddeven_config_static_selectorELNS0_4arch9wavefront6targetE1EEEvSK_ ; -- Begin function _ZN7rocprim17ROCPRIM_400000_NS6detail17trampoline_kernelINS0_14default_configENS1_38merge_sort_block_merge_config_selectorIhNS0_10empty_typeEEEZZNS1_27merge_sort_block_merge_implIS3_N6thrust23THRUST_200600_302600_NS6detail15normal_iteratorINS9_10device_ptrIhEEEEPS5_m14custom_greaterIhEEE10hipError_tT0_T1_T2_jT3_P12ihipStream_tbPNSt15iterator_traitsISJ_E10value_typeEPNSP_ISK_E10value_typeEPSL_NS1_7vsmem_tEENKUlT_SJ_SK_SL_E_clIPhSE_SF_SF_EESI_SY_SJ_SK_SL_EUlSY_E1_NS1_11comp_targetILNS1_3genE3ELNS1_11target_archE908ELNS1_3gpuE7ELNS1_3repE0EEENS1_36merge_oddeven_config_static_selectorELNS0_4arch9wavefront6targetE1EEEvSK_
	.globl	_ZN7rocprim17ROCPRIM_400000_NS6detail17trampoline_kernelINS0_14default_configENS1_38merge_sort_block_merge_config_selectorIhNS0_10empty_typeEEEZZNS1_27merge_sort_block_merge_implIS3_N6thrust23THRUST_200600_302600_NS6detail15normal_iteratorINS9_10device_ptrIhEEEEPS5_m14custom_greaterIhEEE10hipError_tT0_T1_T2_jT3_P12ihipStream_tbPNSt15iterator_traitsISJ_E10value_typeEPNSP_ISK_E10value_typeEPSL_NS1_7vsmem_tEENKUlT_SJ_SK_SL_E_clIPhSE_SF_SF_EESI_SY_SJ_SK_SL_EUlSY_E1_NS1_11comp_targetILNS1_3genE3ELNS1_11target_archE908ELNS1_3gpuE7ELNS1_3repE0EEENS1_36merge_oddeven_config_static_selectorELNS0_4arch9wavefront6targetE1EEEvSK_
	.p2align	8
	.type	_ZN7rocprim17ROCPRIM_400000_NS6detail17trampoline_kernelINS0_14default_configENS1_38merge_sort_block_merge_config_selectorIhNS0_10empty_typeEEEZZNS1_27merge_sort_block_merge_implIS3_N6thrust23THRUST_200600_302600_NS6detail15normal_iteratorINS9_10device_ptrIhEEEEPS5_m14custom_greaterIhEEE10hipError_tT0_T1_T2_jT3_P12ihipStream_tbPNSt15iterator_traitsISJ_E10value_typeEPNSP_ISK_E10value_typeEPSL_NS1_7vsmem_tEENKUlT_SJ_SK_SL_E_clIPhSE_SF_SF_EESI_SY_SJ_SK_SL_EUlSY_E1_NS1_11comp_targetILNS1_3genE3ELNS1_11target_archE908ELNS1_3gpuE7ELNS1_3repE0EEENS1_36merge_oddeven_config_static_selectorELNS0_4arch9wavefront6targetE1EEEvSK_,@function
_ZN7rocprim17ROCPRIM_400000_NS6detail17trampoline_kernelINS0_14default_configENS1_38merge_sort_block_merge_config_selectorIhNS0_10empty_typeEEEZZNS1_27merge_sort_block_merge_implIS3_N6thrust23THRUST_200600_302600_NS6detail15normal_iteratorINS9_10device_ptrIhEEEEPS5_m14custom_greaterIhEEE10hipError_tT0_T1_T2_jT3_P12ihipStream_tbPNSt15iterator_traitsISJ_E10value_typeEPNSP_ISK_E10value_typeEPSL_NS1_7vsmem_tEENKUlT_SJ_SK_SL_E_clIPhSE_SF_SF_EESI_SY_SJ_SK_SL_EUlSY_E1_NS1_11comp_targetILNS1_3genE3ELNS1_11target_archE908ELNS1_3gpuE7ELNS1_3repE0EEENS1_36merge_oddeven_config_static_selectorELNS0_4arch9wavefront6targetE1EEEvSK_: ; @_ZN7rocprim17ROCPRIM_400000_NS6detail17trampoline_kernelINS0_14default_configENS1_38merge_sort_block_merge_config_selectorIhNS0_10empty_typeEEEZZNS1_27merge_sort_block_merge_implIS3_N6thrust23THRUST_200600_302600_NS6detail15normal_iteratorINS9_10device_ptrIhEEEEPS5_m14custom_greaterIhEEE10hipError_tT0_T1_T2_jT3_P12ihipStream_tbPNSt15iterator_traitsISJ_E10value_typeEPNSP_ISK_E10value_typeEPSL_NS1_7vsmem_tEENKUlT_SJ_SK_SL_E_clIPhSE_SF_SF_EESI_SY_SJ_SK_SL_EUlSY_E1_NS1_11comp_targetILNS1_3genE3ELNS1_11target_archE908ELNS1_3gpuE7ELNS1_3repE0EEENS1_36merge_oddeven_config_static_selectorELNS0_4arch9wavefront6targetE1EEEvSK_
; %bb.0:
	.section	.rodata,"a",@progbits
	.p2align	6, 0x0
	.amdhsa_kernel _ZN7rocprim17ROCPRIM_400000_NS6detail17trampoline_kernelINS0_14default_configENS1_38merge_sort_block_merge_config_selectorIhNS0_10empty_typeEEEZZNS1_27merge_sort_block_merge_implIS3_N6thrust23THRUST_200600_302600_NS6detail15normal_iteratorINS9_10device_ptrIhEEEEPS5_m14custom_greaterIhEEE10hipError_tT0_T1_T2_jT3_P12ihipStream_tbPNSt15iterator_traitsISJ_E10value_typeEPNSP_ISK_E10value_typeEPSL_NS1_7vsmem_tEENKUlT_SJ_SK_SL_E_clIPhSE_SF_SF_EESI_SY_SJ_SK_SL_EUlSY_E1_NS1_11comp_targetILNS1_3genE3ELNS1_11target_archE908ELNS1_3gpuE7ELNS1_3repE0EEENS1_36merge_oddeven_config_static_selectorELNS0_4arch9wavefront6targetE1EEEvSK_
		.amdhsa_group_segment_fixed_size 0
		.amdhsa_private_segment_fixed_size 0
		.amdhsa_kernarg_size 56
		.amdhsa_user_sgpr_count 6
		.amdhsa_user_sgpr_private_segment_buffer 1
		.amdhsa_user_sgpr_dispatch_ptr 0
		.amdhsa_user_sgpr_queue_ptr 0
		.amdhsa_user_sgpr_kernarg_segment_ptr 1
		.amdhsa_user_sgpr_dispatch_id 0
		.amdhsa_user_sgpr_flat_scratch_init 0
		.amdhsa_user_sgpr_kernarg_preload_length 0
		.amdhsa_user_sgpr_kernarg_preload_offset 0
		.amdhsa_user_sgpr_private_segment_size 0
		.amdhsa_uses_dynamic_stack 0
		.amdhsa_system_sgpr_private_segment_wavefront_offset 0
		.amdhsa_system_sgpr_workgroup_id_x 1
		.amdhsa_system_sgpr_workgroup_id_y 0
		.amdhsa_system_sgpr_workgroup_id_z 0
		.amdhsa_system_sgpr_workgroup_info 0
		.amdhsa_system_vgpr_workitem_id 0
		.amdhsa_next_free_vgpr 1
		.amdhsa_next_free_sgpr 0
		.amdhsa_accum_offset 4
		.amdhsa_reserve_vcc 0
		.amdhsa_reserve_flat_scratch 0
		.amdhsa_float_round_mode_32 0
		.amdhsa_float_round_mode_16_64 0
		.amdhsa_float_denorm_mode_32 3
		.amdhsa_float_denorm_mode_16_64 3
		.amdhsa_dx10_clamp 1
		.amdhsa_ieee_mode 1
		.amdhsa_fp16_overflow 0
		.amdhsa_tg_split 0
		.amdhsa_exception_fp_ieee_invalid_op 0
		.amdhsa_exception_fp_denorm_src 0
		.amdhsa_exception_fp_ieee_div_zero 0
		.amdhsa_exception_fp_ieee_overflow 0
		.amdhsa_exception_fp_ieee_underflow 0
		.amdhsa_exception_fp_ieee_inexact 0
		.amdhsa_exception_int_div_zero 0
	.end_amdhsa_kernel
	.section	.text._ZN7rocprim17ROCPRIM_400000_NS6detail17trampoline_kernelINS0_14default_configENS1_38merge_sort_block_merge_config_selectorIhNS0_10empty_typeEEEZZNS1_27merge_sort_block_merge_implIS3_N6thrust23THRUST_200600_302600_NS6detail15normal_iteratorINS9_10device_ptrIhEEEEPS5_m14custom_greaterIhEEE10hipError_tT0_T1_T2_jT3_P12ihipStream_tbPNSt15iterator_traitsISJ_E10value_typeEPNSP_ISK_E10value_typeEPSL_NS1_7vsmem_tEENKUlT_SJ_SK_SL_E_clIPhSE_SF_SF_EESI_SY_SJ_SK_SL_EUlSY_E1_NS1_11comp_targetILNS1_3genE3ELNS1_11target_archE908ELNS1_3gpuE7ELNS1_3repE0EEENS1_36merge_oddeven_config_static_selectorELNS0_4arch9wavefront6targetE1EEEvSK_,"axG",@progbits,_ZN7rocprim17ROCPRIM_400000_NS6detail17trampoline_kernelINS0_14default_configENS1_38merge_sort_block_merge_config_selectorIhNS0_10empty_typeEEEZZNS1_27merge_sort_block_merge_implIS3_N6thrust23THRUST_200600_302600_NS6detail15normal_iteratorINS9_10device_ptrIhEEEEPS5_m14custom_greaterIhEEE10hipError_tT0_T1_T2_jT3_P12ihipStream_tbPNSt15iterator_traitsISJ_E10value_typeEPNSP_ISK_E10value_typeEPSL_NS1_7vsmem_tEENKUlT_SJ_SK_SL_E_clIPhSE_SF_SF_EESI_SY_SJ_SK_SL_EUlSY_E1_NS1_11comp_targetILNS1_3genE3ELNS1_11target_archE908ELNS1_3gpuE7ELNS1_3repE0EEENS1_36merge_oddeven_config_static_selectorELNS0_4arch9wavefront6targetE1EEEvSK_,comdat
.Lfunc_end2881:
	.size	_ZN7rocprim17ROCPRIM_400000_NS6detail17trampoline_kernelINS0_14default_configENS1_38merge_sort_block_merge_config_selectorIhNS0_10empty_typeEEEZZNS1_27merge_sort_block_merge_implIS3_N6thrust23THRUST_200600_302600_NS6detail15normal_iteratorINS9_10device_ptrIhEEEEPS5_m14custom_greaterIhEEE10hipError_tT0_T1_T2_jT3_P12ihipStream_tbPNSt15iterator_traitsISJ_E10value_typeEPNSP_ISK_E10value_typeEPSL_NS1_7vsmem_tEENKUlT_SJ_SK_SL_E_clIPhSE_SF_SF_EESI_SY_SJ_SK_SL_EUlSY_E1_NS1_11comp_targetILNS1_3genE3ELNS1_11target_archE908ELNS1_3gpuE7ELNS1_3repE0EEENS1_36merge_oddeven_config_static_selectorELNS0_4arch9wavefront6targetE1EEEvSK_, .Lfunc_end2881-_ZN7rocprim17ROCPRIM_400000_NS6detail17trampoline_kernelINS0_14default_configENS1_38merge_sort_block_merge_config_selectorIhNS0_10empty_typeEEEZZNS1_27merge_sort_block_merge_implIS3_N6thrust23THRUST_200600_302600_NS6detail15normal_iteratorINS9_10device_ptrIhEEEEPS5_m14custom_greaterIhEEE10hipError_tT0_T1_T2_jT3_P12ihipStream_tbPNSt15iterator_traitsISJ_E10value_typeEPNSP_ISK_E10value_typeEPSL_NS1_7vsmem_tEENKUlT_SJ_SK_SL_E_clIPhSE_SF_SF_EESI_SY_SJ_SK_SL_EUlSY_E1_NS1_11comp_targetILNS1_3genE3ELNS1_11target_archE908ELNS1_3gpuE7ELNS1_3repE0EEENS1_36merge_oddeven_config_static_selectorELNS0_4arch9wavefront6targetE1EEEvSK_
                                        ; -- End function
	.section	.AMDGPU.csdata,"",@progbits
; Kernel info:
; codeLenInByte = 0
; NumSgprs: 4
; NumVgprs: 0
; NumAgprs: 0
; TotalNumVgprs: 0
; ScratchSize: 0
; MemoryBound: 0
; FloatMode: 240
; IeeeMode: 1
; LDSByteSize: 0 bytes/workgroup (compile time only)
; SGPRBlocks: 0
; VGPRBlocks: 0
; NumSGPRsForWavesPerEU: 4
; NumVGPRsForWavesPerEU: 1
; AccumOffset: 4
; Occupancy: 8
; WaveLimiterHint : 0
; COMPUTE_PGM_RSRC2:SCRATCH_EN: 0
; COMPUTE_PGM_RSRC2:USER_SGPR: 6
; COMPUTE_PGM_RSRC2:TRAP_HANDLER: 0
; COMPUTE_PGM_RSRC2:TGID_X_EN: 1
; COMPUTE_PGM_RSRC2:TGID_Y_EN: 0
; COMPUTE_PGM_RSRC2:TGID_Z_EN: 0
; COMPUTE_PGM_RSRC2:TIDIG_COMP_CNT: 0
; COMPUTE_PGM_RSRC3_GFX90A:ACCUM_OFFSET: 0
; COMPUTE_PGM_RSRC3_GFX90A:TG_SPLIT: 0
	.section	.text._ZN7rocprim17ROCPRIM_400000_NS6detail17trampoline_kernelINS0_14default_configENS1_38merge_sort_block_merge_config_selectorIhNS0_10empty_typeEEEZZNS1_27merge_sort_block_merge_implIS3_N6thrust23THRUST_200600_302600_NS6detail15normal_iteratorINS9_10device_ptrIhEEEEPS5_m14custom_greaterIhEEE10hipError_tT0_T1_T2_jT3_P12ihipStream_tbPNSt15iterator_traitsISJ_E10value_typeEPNSP_ISK_E10value_typeEPSL_NS1_7vsmem_tEENKUlT_SJ_SK_SL_E_clIPhSE_SF_SF_EESI_SY_SJ_SK_SL_EUlSY_E1_NS1_11comp_targetILNS1_3genE2ELNS1_11target_archE906ELNS1_3gpuE6ELNS1_3repE0EEENS1_36merge_oddeven_config_static_selectorELNS0_4arch9wavefront6targetE1EEEvSK_,"axG",@progbits,_ZN7rocprim17ROCPRIM_400000_NS6detail17trampoline_kernelINS0_14default_configENS1_38merge_sort_block_merge_config_selectorIhNS0_10empty_typeEEEZZNS1_27merge_sort_block_merge_implIS3_N6thrust23THRUST_200600_302600_NS6detail15normal_iteratorINS9_10device_ptrIhEEEEPS5_m14custom_greaterIhEEE10hipError_tT0_T1_T2_jT3_P12ihipStream_tbPNSt15iterator_traitsISJ_E10value_typeEPNSP_ISK_E10value_typeEPSL_NS1_7vsmem_tEENKUlT_SJ_SK_SL_E_clIPhSE_SF_SF_EESI_SY_SJ_SK_SL_EUlSY_E1_NS1_11comp_targetILNS1_3genE2ELNS1_11target_archE906ELNS1_3gpuE6ELNS1_3repE0EEENS1_36merge_oddeven_config_static_selectorELNS0_4arch9wavefront6targetE1EEEvSK_,comdat
	.protected	_ZN7rocprim17ROCPRIM_400000_NS6detail17trampoline_kernelINS0_14default_configENS1_38merge_sort_block_merge_config_selectorIhNS0_10empty_typeEEEZZNS1_27merge_sort_block_merge_implIS3_N6thrust23THRUST_200600_302600_NS6detail15normal_iteratorINS9_10device_ptrIhEEEEPS5_m14custom_greaterIhEEE10hipError_tT0_T1_T2_jT3_P12ihipStream_tbPNSt15iterator_traitsISJ_E10value_typeEPNSP_ISK_E10value_typeEPSL_NS1_7vsmem_tEENKUlT_SJ_SK_SL_E_clIPhSE_SF_SF_EESI_SY_SJ_SK_SL_EUlSY_E1_NS1_11comp_targetILNS1_3genE2ELNS1_11target_archE906ELNS1_3gpuE6ELNS1_3repE0EEENS1_36merge_oddeven_config_static_selectorELNS0_4arch9wavefront6targetE1EEEvSK_ ; -- Begin function _ZN7rocprim17ROCPRIM_400000_NS6detail17trampoline_kernelINS0_14default_configENS1_38merge_sort_block_merge_config_selectorIhNS0_10empty_typeEEEZZNS1_27merge_sort_block_merge_implIS3_N6thrust23THRUST_200600_302600_NS6detail15normal_iteratorINS9_10device_ptrIhEEEEPS5_m14custom_greaterIhEEE10hipError_tT0_T1_T2_jT3_P12ihipStream_tbPNSt15iterator_traitsISJ_E10value_typeEPNSP_ISK_E10value_typeEPSL_NS1_7vsmem_tEENKUlT_SJ_SK_SL_E_clIPhSE_SF_SF_EESI_SY_SJ_SK_SL_EUlSY_E1_NS1_11comp_targetILNS1_3genE2ELNS1_11target_archE906ELNS1_3gpuE6ELNS1_3repE0EEENS1_36merge_oddeven_config_static_selectorELNS0_4arch9wavefront6targetE1EEEvSK_
	.globl	_ZN7rocprim17ROCPRIM_400000_NS6detail17trampoline_kernelINS0_14default_configENS1_38merge_sort_block_merge_config_selectorIhNS0_10empty_typeEEEZZNS1_27merge_sort_block_merge_implIS3_N6thrust23THRUST_200600_302600_NS6detail15normal_iteratorINS9_10device_ptrIhEEEEPS5_m14custom_greaterIhEEE10hipError_tT0_T1_T2_jT3_P12ihipStream_tbPNSt15iterator_traitsISJ_E10value_typeEPNSP_ISK_E10value_typeEPSL_NS1_7vsmem_tEENKUlT_SJ_SK_SL_E_clIPhSE_SF_SF_EESI_SY_SJ_SK_SL_EUlSY_E1_NS1_11comp_targetILNS1_3genE2ELNS1_11target_archE906ELNS1_3gpuE6ELNS1_3repE0EEENS1_36merge_oddeven_config_static_selectorELNS0_4arch9wavefront6targetE1EEEvSK_
	.p2align	8
	.type	_ZN7rocprim17ROCPRIM_400000_NS6detail17trampoline_kernelINS0_14default_configENS1_38merge_sort_block_merge_config_selectorIhNS0_10empty_typeEEEZZNS1_27merge_sort_block_merge_implIS3_N6thrust23THRUST_200600_302600_NS6detail15normal_iteratorINS9_10device_ptrIhEEEEPS5_m14custom_greaterIhEEE10hipError_tT0_T1_T2_jT3_P12ihipStream_tbPNSt15iterator_traitsISJ_E10value_typeEPNSP_ISK_E10value_typeEPSL_NS1_7vsmem_tEENKUlT_SJ_SK_SL_E_clIPhSE_SF_SF_EESI_SY_SJ_SK_SL_EUlSY_E1_NS1_11comp_targetILNS1_3genE2ELNS1_11target_archE906ELNS1_3gpuE6ELNS1_3repE0EEENS1_36merge_oddeven_config_static_selectorELNS0_4arch9wavefront6targetE1EEEvSK_,@function
_ZN7rocprim17ROCPRIM_400000_NS6detail17trampoline_kernelINS0_14default_configENS1_38merge_sort_block_merge_config_selectorIhNS0_10empty_typeEEEZZNS1_27merge_sort_block_merge_implIS3_N6thrust23THRUST_200600_302600_NS6detail15normal_iteratorINS9_10device_ptrIhEEEEPS5_m14custom_greaterIhEEE10hipError_tT0_T1_T2_jT3_P12ihipStream_tbPNSt15iterator_traitsISJ_E10value_typeEPNSP_ISK_E10value_typeEPSL_NS1_7vsmem_tEENKUlT_SJ_SK_SL_E_clIPhSE_SF_SF_EESI_SY_SJ_SK_SL_EUlSY_E1_NS1_11comp_targetILNS1_3genE2ELNS1_11target_archE906ELNS1_3gpuE6ELNS1_3repE0EEENS1_36merge_oddeven_config_static_selectorELNS0_4arch9wavefront6targetE1EEEvSK_: ; @_ZN7rocprim17ROCPRIM_400000_NS6detail17trampoline_kernelINS0_14default_configENS1_38merge_sort_block_merge_config_selectorIhNS0_10empty_typeEEEZZNS1_27merge_sort_block_merge_implIS3_N6thrust23THRUST_200600_302600_NS6detail15normal_iteratorINS9_10device_ptrIhEEEEPS5_m14custom_greaterIhEEE10hipError_tT0_T1_T2_jT3_P12ihipStream_tbPNSt15iterator_traitsISJ_E10value_typeEPNSP_ISK_E10value_typeEPSL_NS1_7vsmem_tEENKUlT_SJ_SK_SL_E_clIPhSE_SF_SF_EESI_SY_SJ_SK_SL_EUlSY_E1_NS1_11comp_targetILNS1_3genE2ELNS1_11target_archE906ELNS1_3gpuE6ELNS1_3repE0EEENS1_36merge_oddeven_config_static_selectorELNS0_4arch9wavefront6targetE1EEEvSK_
; %bb.0:
	.section	.rodata,"a",@progbits
	.p2align	6, 0x0
	.amdhsa_kernel _ZN7rocprim17ROCPRIM_400000_NS6detail17trampoline_kernelINS0_14default_configENS1_38merge_sort_block_merge_config_selectorIhNS0_10empty_typeEEEZZNS1_27merge_sort_block_merge_implIS3_N6thrust23THRUST_200600_302600_NS6detail15normal_iteratorINS9_10device_ptrIhEEEEPS5_m14custom_greaterIhEEE10hipError_tT0_T1_T2_jT3_P12ihipStream_tbPNSt15iterator_traitsISJ_E10value_typeEPNSP_ISK_E10value_typeEPSL_NS1_7vsmem_tEENKUlT_SJ_SK_SL_E_clIPhSE_SF_SF_EESI_SY_SJ_SK_SL_EUlSY_E1_NS1_11comp_targetILNS1_3genE2ELNS1_11target_archE906ELNS1_3gpuE6ELNS1_3repE0EEENS1_36merge_oddeven_config_static_selectorELNS0_4arch9wavefront6targetE1EEEvSK_
		.amdhsa_group_segment_fixed_size 0
		.amdhsa_private_segment_fixed_size 0
		.amdhsa_kernarg_size 56
		.amdhsa_user_sgpr_count 6
		.amdhsa_user_sgpr_private_segment_buffer 1
		.amdhsa_user_sgpr_dispatch_ptr 0
		.amdhsa_user_sgpr_queue_ptr 0
		.amdhsa_user_sgpr_kernarg_segment_ptr 1
		.amdhsa_user_sgpr_dispatch_id 0
		.amdhsa_user_sgpr_flat_scratch_init 0
		.amdhsa_user_sgpr_kernarg_preload_length 0
		.amdhsa_user_sgpr_kernarg_preload_offset 0
		.amdhsa_user_sgpr_private_segment_size 0
		.amdhsa_uses_dynamic_stack 0
		.amdhsa_system_sgpr_private_segment_wavefront_offset 0
		.amdhsa_system_sgpr_workgroup_id_x 1
		.amdhsa_system_sgpr_workgroup_id_y 0
		.amdhsa_system_sgpr_workgroup_id_z 0
		.amdhsa_system_sgpr_workgroup_info 0
		.amdhsa_system_vgpr_workitem_id 0
		.amdhsa_next_free_vgpr 1
		.amdhsa_next_free_sgpr 0
		.amdhsa_accum_offset 4
		.amdhsa_reserve_vcc 0
		.amdhsa_reserve_flat_scratch 0
		.amdhsa_float_round_mode_32 0
		.amdhsa_float_round_mode_16_64 0
		.amdhsa_float_denorm_mode_32 3
		.amdhsa_float_denorm_mode_16_64 3
		.amdhsa_dx10_clamp 1
		.amdhsa_ieee_mode 1
		.amdhsa_fp16_overflow 0
		.amdhsa_tg_split 0
		.amdhsa_exception_fp_ieee_invalid_op 0
		.amdhsa_exception_fp_denorm_src 0
		.amdhsa_exception_fp_ieee_div_zero 0
		.amdhsa_exception_fp_ieee_overflow 0
		.amdhsa_exception_fp_ieee_underflow 0
		.amdhsa_exception_fp_ieee_inexact 0
		.amdhsa_exception_int_div_zero 0
	.end_amdhsa_kernel
	.section	.text._ZN7rocprim17ROCPRIM_400000_NS6detail17trampoline_kernelINS0_14default_configENS1_38merge_sort_block_merge_config_selectorIhNS0_10empty_typeEEEZZNS1_27merge_sort_block_merge_implIS3_N6thrust23THRUST_200600_302600_NS6detail15normal_iteratorINS9_10device_ptrIhEEEEPS5_m14custom_greaterIhEEE10hipError_tT0_T1_T2_jT3_P12ihipStream_tbPNSt15iterator_traitsISJ_E10value_typeEPNSP_ISK_E10value_typeEPSL_NS1_7vsmem_tEENKUlT_SJ_SK_SL_E_clIPhSE_SF_SF_EESI_SY_SJ_SK_SL_EUlSY_E1_NS1_11comp_targetILNS1_3genE2ELNS1_11target_archE906ELNS1_3gpuE6ELNS1_3repE0EEENS1_36merge_oddeven_config_static_selectorELNS0_4arch9wavefront6targetE1EEEvSK_,"axG",@progbits,_ZN7rocprim17ROCPRIM_400000_NS6detail17trampoline_kernelINS0_14default_configENS1_38merge_sort_block_merge_config_selectorIhNS0_10empty_typeEEEZZNS1_27merge_sort_block_merge_implIS3_N6thrust23THRUST_200600_302600_NS6detail15normal_iteratorINS9_10device_ptrIhEEEEPS5_m14custom_greaterIhEEE10hipError_tT0_T1_T2_jT3_P12ihipStream_tbPNSt15iterator_traitsISJ_E10value_typeEPNSP_ISK_E10value_typeEPSL_NS1_7vsmem_tEENKUlT_SJ_SK_SL_E_clIPhSE_SF_SF_EESI_SY_SJ_SK_SL_EUlSY_E1_NS1_11comp_targetILNS1_3genE2ELNS1_11target_archE906ELNS1_3gpuE6ELNS1_3repE0EEENS1_36merge_oddeven_config_static_selectorELNS0_4arch9wavefront6targetE1EEEvSK_,comdat
.Lfunc_end2882:
	.size	_ZN7rocprim17ROCPRIM_400000_NS6detail17trampoline_kernelINS0_14default_configENS1_38merge_sort_block_merge_config_selectorIhNS0_10empty_typeEEEZZNS1_27merge_sort_block_merge_implIS3_N6thrust23THRUST_200600_302600_NS6detail15normal_iteratorINS9_10device_ptrIhEEEEPS5_m14custom_greaterIhEEE10hipError_tT0_T1_T2_jT3_P12ihipStream_tbPNSt15iterator_traitsISJ_E10value_typeEPNSP_ISK_E10value_typeEPSL_NS1_7vsmem_tEENKUlT_SJ_SK_SL_E_clIPhSE_SF_SF_EESI_SY_SJ_SK_SL_EUlSY_E1_NS1_11comp_targetILNS1_3genE2ELNS1_11target_archE906ELNS1_3gpuE6ELNS1_3repE0EEENS1_36merge_oddeven_config_static_selectorELNS0_4arch9wavefront6targetE1EEEvSK_, .Lfunc_end2882-_ZN7rocprim17ROCPRIM_400000_NS6detail17trampoline_kernelINS0_14default_configENS1_38merge_sort_block_merge_config_selectorIhNS0_10empty_typeEEEZZNS1_27merge_sort_block_merge_implIS3_N6thrust23THRUST_200600_302600_NS6detail15normal_iteratorINS9_10device_ptrIhEEEEPS5_m14custom_greaterIhEEE10hipError_tT0_T1_T2_jT3_P12ihipStream_tbPNSt15iterator_traitsISJ_E10value_typeEPNSP_ISK_E10value_typeEPSL_NS1_7vsmem_tEENKUlT_SJ_SK_SL_E_clIPhSE_SF_SF_EESI_SY_SJ_SK_SL_EUlSY_E1_NS1_11comp_targetILNS1_3genE2ELNS1_11target_archE906ELNS1_3gpuE6ELNS1_3repE0EEENS1_36merge_oddeven_config_static_selectorELNS0_4arch9wavefront6targetE1EEEvSK_
                                        ; -- End function
	.section	.AMDGPU.csdata,"",@progbits
; Kernel info:
; codeLenInByte = 0
; NumSgprs: 4
; NumVgprs: 0
; NumAgprs: 0
; TotalNumVgprs: 0
; ScratchSize: 0
; MemoryBound: 0
; FloatMode: 240
; IeeeMode: 1
; LDSByteSize: 0 bytes/workgroup (compile time only)
; SGPRBlocks: 0
; VGPRBlocks: 0
; NumSGPRsForWavesPerEU: 4
; NumVGPRsForWavesPerEU: 1
; AccumOffset: 4
; Occupancy: 8
; WaveLimiterHint : 0
; COMPUTE_PGM_RSRC2:SCRATCH_EN: 0
; COMPUTE_PGM_RSRC2:USER_SGPR: 6
; COMPUTE_PGM_RSRC2:TRAP_HANDLER: 0
; COMPUTE_PGM_RSRC2:TGID_X_EN: 1
; COMPUTE_PGM_RSRC2:TGID_Y_EN: 0
; COMPUTE_PGM_RSRC2:TGID_Z_EN: 0
; COMPUTE_PGM_RSRC2:TIDIG_COMP_CNT: 0
; COMPUTE_PGM_RSRC3_GFX90A:ACCUM_OFFSET: 0
; COMPUTE_PGM_RSRC3_GFX90A:TG_SPLIT: 0
	.section	.text._ZN7rocprim17ROCPRIM_400000_NS6detail17trampoline_kernelINS0_14default_configENS1_38merge_sort_block_merge_config_selectorIhNS0_10empty_typeEEEZZNS1_27merge_sort_block_merge_implIS3_N6thrust23THRUST_200600_302600_NS6detail15normal_iteratorINS9_10device_ptrIhEEEEPS5_m14custom_greaterIhEEE10hipError_tT0_T1_T2_jT3_P12ihipStream_tbPNSt15iterator_traitsISJ_E10value_typeEPNSP_ISK_E10value_typeEPSL_NS1_7vsmem_tEENKUlT_SJ_SK_SL_E_clIPhSE_SF_SF_EESI_SY_SJ_SK_SL_EUlSY_E1_NS1_11comp_targetILNS1_3genE9ELNS1_11target_archE1100ELNS1_3gpuE3ELNS1_3repE0EEENS1_36merge_oddeven_config_static_selectorELNS0_4arch9wavefront6targetE1EEEvSK_,"axG",@progbits,_ZN7rocprim17ROCPRIM_400000_NS6detail17trampoline_kernelINS0_14default_configENS1_38merge_sort_block_merge_config_selectorIhNS0_10empty_typeEEEZZNS1_27merge_sort_block_merge_implIS3_N6thrust23THRUST_200600_302600_NS6detail15normal_iteratorINS9_10device_ptrIhEEEEPS5_m14custom_greaterIhEEE10hipError_tT0_T1_T2_jT3_P12ihipStream_tbPNSt15iterator_traitsISJ_E10value_typeEPNSP_ISK_E10value_typeEPSL_NS1_7vsmem_tEENKUlT_SJ_SK_SL_E_clIPhSE_SF_SF_EESI_SY_SJ_SK_SL_EUlSY_E1_NS1_11comp_targetILNS1_3genE9ELNS1_11target_archE1100ELNS1_3gpuE3ELNS1_3repE0EEENS1_36merge_oddeven_config_static_selectorELNS0_4arch9wavefront6targetE1EEEvSK_,comdat
	.protected	_ZN7rocprim17ROCPRIM_400000_NS6detail17trampoline_kernelINS0_14default_configENS1_38merge_sort_block_merge_config_selectorIhNS0_10empty_typeEEEZZNS1_27merge_sort_block_merge_implIS3_N6thrust23THRUST_200600_302600_NS6detail15normal_iteratorINS9_10device_ptrIhEEEEPS5_m14custom_greaterIhEEE10hipError_tT0_T1_T2_jT3_P12ihipStream_tbPNSt15iterator_traitsISJ_E10value_typeEPNSP_ISK_E10value_typeEPSL_NS1_7vsmem_tEENKUlT_SJ_SK_SL_E_clIPhSE_SF_SF_EESI_SY_SJ_SK_SL_EUlSY_E1_NS1_11comp_targetILNS1_3genE9ELNS1_11target_archE1100ELNS1_3gpuE3ELNS1_3repE0EEENS1_36merge_oddeven_config_static_selectorELNS0_4arch9wavefront6targetE1EEEvSK_ ; -- Begin function _ZN7rocprim17ROCPRIM_400000_NS6detail17trampoline_kernelINS0_14default_configENS1_38merge_sort_block_merge_config_selectorIhNS0_10empty_typeEEEZZNS1_27merge_sort_block_merge_implIS3_N6thrust23THRUST_200600_302600_NS6detail15normal_iteratorINS9_10device_ptrIhEEEEPS5_m14custom_greaterIhEEE10hipError_tT0_T1_T2_jT3_P12ihipStream_tbPNSt15iterator_traitsISJ_E10value_typeEPNSP_ISK_E10value_typeEPSL_NS1_7vsmem_tEENKUlT_SJ_SK_SL_E_clIPhSE_SF_SF_EESI_SY_SJ_SK_SL_EUlSY_E1_NS1_11comp_targetILNS1_3genE9ELNS1_11target_archE1100ELNS1_3gpuE3ELNS1_3repE0EEENS1_36merge_oddeven_config_static_selectorELNS0_4arch9wavefront6targetE1EEEvSK_
	.globl	_ZN7rocprim17ROCPRIM_400000_NS6detail17trampoline_kernelINS0_14default_configENS1_38merge_sort_block_merge_config_selectorIhNS0_10empty_typeEEEZZNS1_27merge_sort_block_merge_implIS3_N6thrust23THRUST_200600_302600_NS6detail15normal_iteratorINS9_10device_ptrIhEEEEPS5_m14custom_greaterIhEEE10hipError_tT0_T1_T2_jT3_P12ihipStream_tbPNSt15iterator_traitsISJ_E10value_typeEPNSP_ISK_E10value_typeEPSL_NS1_7vsmem_tEENKUlT_SJ_SK_SL_E_clIPhSE_SF_SF_EESI_SY_SJ_SK_SL_EUlSY_E1_NS1_11comp_targetILNS1_3genE9ELNS1_11target_archE1100ELNS1_3gpuE3ELNS1_3repE0EEENS1_36merge_oddeven_config_static_selectorELNS0_4arch9wavefront6targetE1EEEvSK_
	.p2align	8
	.type	_ZN7rocprim17ROCPRIM_400000_NS6detail17trampoline_kernelINS0_14default_configENS1_38merge_sort_block_merge_config_selectorIhNS0_10empty_typeEEEZZNS1_27merge_sort_block_merge_implIS3_N6thrust23THRUST_200600_302600_NS6detail15normal_iteratorINS9_10device_ptrIhEEEEPS5_m14custom_greaterIhEEE10hipError_tT0_T1_T2_jT3_P12ihipStream_tbPNSt15iterator_traitsISJ_E10value_typeEPNSP_ISK_E10value_typeEPSL_NS1_7vsmem_tEENKUlT_SJ_SK_SL_E_clIPhSE_SF_SF_EESI_SY_SJ_SK_SL_EUlSY_E1_NS1_11comp_targetILNS1_3genE9ELNS1_11target_archE1100ELNS1_3gpuE3ELNS1_3repE0EEENS1_36merge_oddeven_config_static_selectorELNS0_4arch9wavefront6targetE1EEEvSK_,@function
_ZN7rocprim17ROCPRIM_400000_NS6detail17trampoline_kernelINS0_14default_configENS1_38merge_sort_block_merge_config_selectorIhNS0_10empty_typeEEEZZNS1_27merge_sort_block_merge_implIS3_N6thrust23THRUST_200600_302600_NS6detail15normal_iteratorINS9_10device_ptrIhEEEEPS5_m14custom_greaterIhEEE10hipError_tT0_T1_T2_jT3_P12ihipStream_tbPNSt15iterator_traitsISJ_E10value_typeEPNSP_ISK_E10value_typeEPSL_NS1_7vsmem_tEENKUlT_SJ_SK_SL_E_clIPhSE_SF_SF_EESI_SY_SJ_SK_SL_EUlSY_E1_NS1_11comp_targetILNS1_3genE9ELNS1_11target_archE1100ELNS1_3gpuE3ELNS1_3repE0EEENS1_36merge_oddeven_config_static_selectorELNS0_4arch9wavefront6targetE1EEEvSK_: ; @_ZN7rocprim17ROCPRIM_400000_NS6detail17trampoline_kernelINS0_14default_configENS1_38merge_sort_block_merge_config_selectorIhNS0_10empty_typeEEEZZNS1_27merge_sort_block_merge_implIS3_N6thrust23THRUST_200600_302600_NS6detail15normal_iteratorINS9_10device_ptrIhEEEEPS5_m14custom_greaterIhEEE10hipError_tT0_T1_T2_jT3_P12ihipStream_tbPNSt15iterator_traitsISJ_E10value_typeEPNSP_ISK_E10value_typeEPSL_NS1_7vsmem_tEENKUlT_SJ_SK_SL_E_clIPhSE_SF_SF_EESI_SY_SJ_SK_SL_EUlSY_E1_NS1_11comp_targetILNS1_3genE9ELNS1_11target_archE1100ELNS1_3gpuE3ELNS1_3repE0EEENS1_36merge_oddeven_config_static_selectorELNS0_4arch9wavefront6targetE1EEEvSK_
; %bb.0:
	.section	.rodata,"a",@progbits
	.p2align	6, 0x0
	.amdhsa_kernel _ZN7rocprim17ROCPRIM_400000_NS6detail17trampoline_kernelINS0_14default_configENS1_38merge_sort_block_merge_config_selectorIhNS0_10empty_typeEEEZZNS1_27merge_sort_block_merge_implIS3_N6thrust23THRUST_200600_302600_NS6detail15normal_iteratorINS9_10device_ptrIhEEEEPS5_m14custom_greaterIhEEE10hipError_tT0_T1_T2_jT3_P12ihipStream_tbPNSt15iterator_traitsISJ_E10value_typeEPNSP_ISK_E10value_typeEPSL_NS1_7vsmem_tEENKUlT_SJ_SK_SL_E_clIPhSE_SF_SF_EESI_SY_SJ_SK_SL_EUlSY_E1_NS1_11comp_targetILNS1_3genE9ELNS1_11target_archE1100ELNS1_3gpuE3ELNS1_3repE0EEENS1_36merge_oddeven_config_static_selectorELNS0_4arch9wavefront6targetE1EEEvSK_
		.amdhsa_group_segment_fixed_size 0
		.amdhsa_private_segment_fixed_size 0
		.amdhsa_kernarg_size 56
		.amdhsa_user_sgpr_count 6
		.amdhsa_user_sgpr_private_segment_buffer 1
		.amdhsa_user_sgpr_dispatch_ptr 0
		.amdhsa_user_sgpr_queue_ptr 0
		.amdhsa_user_sgpr_kernarg_segment_ptr 1
		.amdhsa_user_sgpr_dispatch_id 0
		.amdhsa_user_sgpr_flat_scratch_init 0
		.amdhsa_user_sgpr_kernarg_preload_length 0
		.amdhsa_user_sgpr_kernarg_preload_offset 0
		.amdhsa_user_sgpr_private_segment_size 0
		.amdhsa_uses_dynamic_stack 0
		.amdhsa_system_sgpr_private_segment_wavefront_offset 0
		.amdhsa_system_sgpr_workgroup_id_x 1
		.amdhsa_system_sgpr_workgroup_id_y 0
		.amdhsa_system_sgpr_workgroup_id_z 0
		.amdhsa_system_sgpr_workgroup_info 0
		.amdhsa_system_vgpr_workitem_id 0
		.amdhsa_next_free_vgpr 1
		.amdhsa_next_free_sgpr 0
		.amdhsa_accum_offset 4
		.amdhsa_reserve_vcc 0
		.amdhsa_reserve_flat_scratch 0
		.amdhsa_float_round_mode_32 0
		.amdhsa_float_round_mode_16_64 0
		.amdhsa_float_denorm_mode_32 3
		.amdhsa_float_denorm_mode_16_64 3
		.amdhsa_dx10_clamp 1
		.amdhsa_ieee_mode 1
		.amdhsa_fp16_overflow 0
		.amdhsa_tg_split 0
		.amdhsa_exception_fp_ieee_invalid_op 0
		.amdhsa_exception_fp_denorm_src 0
		.amdhsa_exception_fp_ieee_div_zero 0
		.amdhsa_exception_fp_ieee_overflow 0
		.amdhsa_exception_fp_ieee_underflow 0
		.amdhsa_exception_fp_ieee_inexact 0
		.amdhsa_exception_int_div_zero 0
	.end_amdhsa_kernel
	.section	.text._ZN7rocprim17ROCPRIM_400000_NS6detail17trampoline_kernelINS0_14default_configENS1_38merge_sort_block_merge_config_selectorIhNS0_10empty_typeEEEZZNS1_27merge_sort_block_merge_implIS3_N6thrust23THRUST_200600_302600_NS6detail15normal_iteratorINS9_10device_ptrIhEEEEPS5_m14custom_greaterIhEEE10hipError_tT0_T1_T2_jT3_P12ihipStream_tbPNSt15iterator_traitsISJ_E10value_typeEPNSP_ISK_E10value_typeEPSL_NS1_7vsmem_tEENKUlT_SJ_SK_SL_E_clIPhSE_SF_SF_EESI_SY_SJ_SK_SL_EUlSY_E1_NS1_11comp_targetILNS1_3genE9ELNS1_11target_archE1100ELNS1_3gpuE3ELNS1_3repE0EEENS1_36merge_oddeven_config_static_selectorELNS0_4arch9wavefront6targetE1EEEvSK_,"axG",@progbits,_ZN7rocprim17ROCPRIM_400000_NS6detail17trampoline_kernelINS0_14default_configENS1_38merge_sort_block_merge_config_selectorIhNS0_10empty_typeEEEZZNS1_27merge_sort_block_merge_implIS3_N6thrust23THRUST_200600_302600_NS6detail15normal_iteratorINS9_10device_ptrIhEEEEPS5_m14custom_greaterIhEEE10hipError_tT0_T1_T2_jT3_P12ihipStream_tbPNSt15iterator_traitsISJ_E10value_typeEPNSP_ISK_E10value_typeEPSL_NS1_7vsmem_tEENKUlT_SJ_SK_SL_E_clIPhSE_SF_SF_EESI_SY_SJ_SK_SL_EUlSY_E1_NS1_11comp_targetILNS1_3genE9ELNS1_11target_archE1100ELNS1_3gpuE3ELNS1_3repE0EEENS1_36merge_oddeven_config_static_selectorELNS0_4arch9wavefront6targetE1EEEvSK_,comdat
.Lfunc_end2883:
	.size	_ZN7rocprim17ROCPRIM_400000_NS6detail17trampoline_kernelINS0_14default_configENS1_38merge_sort_block_merge_config_selectorIhNS0_10empty_typeEEEZZNS1_27merge_sort_block_merge_implIS3_N6thrust23THRUST_200600_302600_NS6detail15normal_iteratorINS9_10device_ptrIhEEEEPS5_m14custom_greaterIhEEE10hipError_tT0_T1_T2_jT3_P12ihipStream_tbPNSt15iterator_traitsISJ_E10value_typeEPNSP_ISK_E10value_typeEPSL_NS1_7vsmem_tEENKUlT_SJ_SK_SL_E_clIPhSE_SF_SF_EESI_SY_SJ_SK_SL_EUlSY_E1_NS1_11comp_targetILNS1_3genE9ELNS1_11target_archE1100ELNS1_3gpuE3ELNS1_3repE0EEENS1_36merge_oddeven_config_static_selectorELNS0_4arch9wavefront6targetE1EEEvSK_, .Lfunc_end2883-_ZN7rocprim17ROCPRIM_400000_NS6detail17trampoline_kernelINS0_14default_configENS1_38merge_sort_block_merge_config_selectorIhNS0_10empty_typeEEEZZNS1_27merge_sort_block_merge_implIS3_N6thrust23THRUST_200600_302600_NS6detail15normal_iteratorINS9_10device_ptrIhEEEEPS5_m14custom_greaterIhEEE10hipError_tT0_T1_T2_jT3_P12ihipStream_tbPNSt15iterator_traitsISJ_E10value_typeEPNSP_ISK_E10value_typeEPSL_NS1_7vsmem_tEENKUlT_SJ_SK_SL_E_clIPhSE_SF_SF_EESI_SY_SJ_SK_SL_EUlSY_E1_NS1_11comp_targetILNS1_3genE9ELNS1_11target_archE1100ELNS1_3gpuE3ELNS1_3repE0EEENS1_36merge_oddeven_config_static_selectorELNS0_4arch9wavefront6targetE1EEEvSK_
                                        ; -- End function
	.section	.AMDGPU.csdata,"",@progbits
; Kernel info:
; codeLenInByte = 0
; NumSgprs: 4
; NumVgprs: 0
; NumAgprs: 0
; TotalNumVgprs: 0
; ScratchSize: 0
; MemoryBound: 0
; FloatMode: 240
; IeeeMode: 1
; LDSByteSize: 0 bytes/workgroup (compile time only)
; SGPRBlocks: 0
; VGPRBlocks: 0
; NumSGPRsForWavesPerEU: 4
; NumVGPRsForWavesPerEU: 1
; AccumOffset: 4
; Occupancy: 8
; WaveLimiterHint : 0
; COMPUTE_PGM_RSRC2:SCRATCH_EN: 0
; COMPUTE_PGM_RSRC2:USER_SGPR: 6
; COMPUTE_PGM_RSRC2:TRAP_HANDLER: 0
; COMPUTE_PGM_RSRC2:TGID_X_EN: 1
; COMPUTE_PGM_RSRC2:TGID_Y_EN: 0
; COMPUTE_PGM_RSRC2:TGID_Z_EN: 0
; COMPUTE_PGM_RSRC2:TIDIG_COMP_CNT: 0
; COMPUTE_PGM_RSRC3_GFX90A:ACCUM_OFFSET: 0
; COMPUTE_PGM_RSRC3_GFX90A:TG_SPLIT: 0
	.section	.text._ZN7rocprim17ROCPRIM_400000_NS6detail17trampoline_kernelINS0_14default_configENS1_38merge_sort_block_merge_config_selectorIhNS0_10empty_typeEEEZZNS1_27merge_sort_block_merge_implIS3_N6thrust23THRUST_200600_302600_NS6detail15normal_iteratorINS9_10device_ptrIhEEEEPS5_m14custom_greaterIhEEE10hipError_tT0_T1_T2_jT3_P12ihipStream_tbPNSt15iterator_traitsISJ_E10value_typeEPNSP_ISK_E10value_typeEPSL_NS1_7vsmem_tEENKUlT_SJ_SK_SL_E_clIPhSE_SF_SF_EESI_SY_SJ_SK_SL_EUlSY_E1_NS1_11comp_targetILNS1_3genE8ELNS1_11target_archE1030ELNS1_3gpuE2ELNS1_3repE0EEENS1_36merge_oddeven_config_static_selectorELNS0_4arch9wavefront6targetE1EEEvSK_,"axG",@progbits,_ZN7rocprim17ROCPRIM_400000_NS6detail17trampoline_kernelINS0_14default_configENS1_38merge_sort_block_merge_config_selectorIhNS0_10empty_typeEEEZZNS1_27merge_sort_block_merge_implIS3_N6thrust23THRUST_200600_302600_NS6detail15normal_iteratorINS9_10device_ptrIhEEEEPS5_m14custom_greaterIhEEE10hipError_tT0_T1_T2_jT3_P12ihipStream_tbPNSt15iterator_traitsISJ_E10value_typeEPNSP_ISK_E10value_typeEPSL_NS1_7vsmem_tEENKUlT_SJ_SK_SL_E_clIPhSE_SF_SF_EESI_SY_SJ_SK_SL_EUlSY_E1_NS1_11comp_targetILNS1_3genE8ELNS1_11target_archE1030ELNS1_3gpuE2ELNS1_3repE0EEENS1_36merge_oddeven_config_static_selectorELNS0_4arch9wavefront6targetE1EEEvSK_,comdat
	.protected	_ZN7rocprim17ROCPRIM_400000_NS6detail17trampoline_kernelINS0_14default_configENS1_38merge_sort_block_merge_config_selectorIhNS0_10empty_typeEEEZZNS1_27merge_sort_block_merge_implIS3_N6thrust23THRUST_200600_302600_NS6detail15normal_iteratorINS9_10device_ptrIhEEEEPS5_m14custom_greaterIhEEE10hipError_tT0_T1_T2_jT3_P12ihipStream_tbPNSt15iterator_traitsISJ_E10value_typeEPNSP_ISK_E10value_typeEPSL_NS1_7vsmem_tEENKUlT_SJ_SK_SL_E_clIPhSE_SF_SF_EESI_SY_SJ_SK_SL_EUlSY_E1_NS1_11comp_targetILNS1_3genE8ELNS1_11target_archE1030ELNS1_3gpuE2ELNS1_3repE0EEENS1_36merge_oddeven_config_static_selectorELNS0_4arch9wavefront6targetE1EEEvSK_ ; -- Begin function _ZN7rocprim17ROCPRIM_400000_NS6detail17trampoline_kernelINS0_14default_configENS1_38merge_sort_block_merge_config_selectorIhNS0_10empty_typeEEEZZNS1_27merge_sort_block_merge_implIS3_N6thrust23THRUST_200600_302600_NS6detail15normal_iteratorINS9_10device_ptrIhEEEEPS5_m14custom_greaterIhEEE10hipError_tT0_T1_T2_jT3_P12ihipStream_tbPNSt15iterator_traitsISJ_E10value_typeEPNSP_ISK_E10value_typeEPSL_NS1_7vsmem_tEENKUlT_SJ_SK_SL_E_clIPhSE_SF_SF_EESI_SY_SJ_SK_SL_EUlSY_E1_NS1_11comp_targetILNS1_3genE8ELNS1_11target_archE1030ELNS1_3gpuE2ELNS1_3repE0EEENS1_36merge_oddeven_config_static_selectorELNS0_4arch9wavefront6targetE1EEEvSK_
	.globl	_ZN7rocprim17ROCPRIM_400000_NS6detail17trampoline_kernelINS0_14default_configENS1_38merge_sort_block_merge_config_selectorIhNS0_10empty_typeEEEZZNS1_27merge_sort_block_merge_implIS3_N6thrust23THRUST_200600_302600_NS6detail15normal_iteratorINS9_10device_ptrIhEEEEPS5_m14custom_greaterIhEEE10hipError_tT0_T1_T2_jT3_P12ihipStream_tbPNSt15iterator_traitsISJ_E10value_typeEPNSP_ISK_E10value_typeEPSL_NS1_7vsmem_tEENKUlT_SJ_SK_SL_E_clIPhSE_SF_SF_EESI_SY_SJ_SK_SL_EUlSY_E1_NS1_11comp_targetILNS1_3genE8ELNS1_11target_archE1030ELNS1_3gpuE2ELNS1_3repE0EEENS1_36merge_oddeven_config_static_selectorELNS0_4arch9wavefront6targetE1EEEvSK_
	.p2align	8
	.type	_ZN7rocprim17ROCPRIM_400000_NS6detail17trampoline_kernelINS0_14default_configENS1_38merge_sort_block_merge_config_selectorIhNS0_10empty_typeEEEZZNS1_27merge_sort_block_merge_implIS3_N6thrust23THRUST_200600_302600_NS6detail15normal_iteratorINS9_10device_ptrIhEEEEPS5_m14custom_greaterIhEEE10hipError_tT0_T1_T2_jT3_P12ihipStream_tbPNSt15iterator_traitsISJ_E10value_typeEPNSP_ISK_E10value_typeEPSL_NS1_7vsmem_tEENKUlT_SJ_SK_SL_E_clIPhSE_SF_SF_EESI_SY_SJ_SK_SL_EUlSY_E1_NS1_11comp_targetILNS1_3genE8ELNS1_11target_archE1030ELNS1_3gpuE2ELNS1_3repE0EEENS1_36merge_oddeven_config_static_selectorELNS0_4arch9wavefront6targetE1EEEvSK_,@function
_ZN7rocprim17ROCPRIM_400000_NS6detail17trampoline_kernelINS0_14default_configENS1_38merge_sort_block_merge_config_selectorIhNS0_10empty_typeEEEZZNS1_27merge_sort_block_merge_implIS3_N6thrust23THRUST_200600_302600_NS6detail15normal_iteratorINS9_10device_ptrIhEEEEPS5_m14custom_greaterIhEEE10hipError_tT0_T1_T2_jT3_P12ihipStream_tbPNSt15iterator_traitsISJ_E10value_typeEPNSP_ISK_E10value_typeEPSL_NS1_7vsmem_tEENKUlT_SJ_SK_SL_E_clIPhSE_SF_SF_EESI_SY_SJ_SK_SL_EUlSY_E1_NS1_11comp_targetILNS1_3genE8ELNS1_11target_archE1030ELNS1_3gpuE2ELNS1_3repE0EEENS1_36merge_oddeven_config_static_selectorELNS0_4arch9wavefront6targetE1EEEvSK_: ; @_ZN7rocprim17ROCPRIM_400000_NS6detail17trampoline_kernelINS0_14default_configENS1_38merge_sort_block_merge_config_selectorIhNS0_10empty_typeEEEZZNS1_27merge_sort_block_merge_implIS3_N6thrust23THRUST_200600_302600_NS6detail15normal_iteratorINS9_10device_ptrIhEEEEPS5_m14custom_greaterIhEEE10hipError_tT0_T1_T2_jT3_P12ihipStream_tbPNSt15iterator_traitsISJ_E10value_typeEPNSP_ISK_E10value_typeEPSL_NS1_7vsmem_tEENKUlT_SJ_SK_SL_E_clIPhSE_SF_SF_EESI_SY_SJ_SK_SL_EUlSY_E1_NS1_11comp_targetILNS1_3genE8ELNS1_11target_archE1030ELNS1_3gpuE2ELNS1_3repE0EEENS1_36merge_oddeven_config_static_selectorELNS0_4arch9wavefront6targetE1EEEvSK_
; %bb.0:
	.section	.rodata,"a",@progbits
	.p2align	6, 0x0
	.amdhsa_kernel _ZN7rocprim17ROCPRIM_400000_NS6detail17trampoline_kernelINS0_14default_configENS1_38merge_sort_block_merge_config_selectorIhNS0_10empty_typeEEEZZNS1_27merge_sort_block_merge_implIS3_N6thrust23THRUST_200600_302600_NS6detail15normal_iteratorINS9_10device_ptrIhEEEEPS5_m14custom_greaterIhEEE10hipError_tT0_T1_T2_jT3_P12ihipStream_tbPNSt15iterator_traitsISJ_E10value_typeEPNSP_ISK_E10value_typeEPSL_NS1_7vsmem_tEENKUlT_SJ_SK_SL_E_clIPhSE_SF_SF_EESI_SY_SJ_SK_SL_EUlSY_E1_NS1_11comp_targetILNS1_3genE8ELNS1_11target_archE1030ELNS1_3gpuE2ELNS1_3repE0EEENS1_36merge_oddeven_config_static_selectorELNS0_4arch9wavefront6targetE1EEEvSK_
		.amdhsa_group_segment_fixed_size 0
		.amdhsa_private_segment_fixed_size 0
		.amdhsa_kernarg_size 56
		.amdhsa_user_sgpr_count 6
		.amdhsa_user_sgpr_private_segment_buffer 1
		.amdhsa_user_sgpr_dispatch_ptr 0
		.amdhsa_user_sgpr_queue_ptr 0
		.amdhsa_user_sgpr_kernarg_segment_ptr 1
		.amdhsa_user_sgpr_dispatch_id 0
		.amdhsa_user_sgpr_flat_scratch_init 0
		.amdhsa_user_sgpr_kernarg_preload_length 0
		.amdhsa_user_sgpr_kernarg_preload_offset 0
		.amdhsa_user_sgpr_private_segment_size 0
		.amdhsa_uses_dynamic_stack 0
		.amdhsa_system_sgpr_private_segment_wavefront_offset 0
		.amdhsa_system_sgpr_workgroup_id_x 1
		.amdhsa_system_sgpr_workgroup_id_y 0
		.amdhsa_system_sgpr_workgroup_id_z 0
		.amdhsa_system_sgpr_workgroup_info 0
		.amdhsa_system_vgpr_workitem_id 0
		.amdhsa_next_free_vgpr 1
		.amdhsa_next_free_sgpr 0
		.amdhsa_accum_offset 4
		.amdhsa_reserve_vcc 0
		.amdhsa_reserve_flat_scratch 0
		.amdhsa_float_round_mode_32 0
		.amdhsa_float_round_mode_16_64 0
		.amdhsa_float_denorm_mode_32 3
		.amdhsa_float_denorm_mode_16_64 3
		.amdhsa_dx10_clamp 1
		.amdhsa_ieee_mode 1
		.amdhsa_fp16_overflow 0
		.amdhsa_tg_split 0
		.amdhsa_exception_fp_ieee_invalid_op 0
		.amdhsa_exception_fp_denorm_src 0
		.amdhsa_exception_fp_ieee_div_zero 0
		.amdhsa_exception_fp_ieee_overflow 0
		.amdhsa_exception_fp_ieee_underflow 0
		.amdhsa_exception_fp_ieee_inexact 0
		.amdhsa_exception_int_div_zero 0
	.end_amdhsa_kernel
	.section	.text._ZN7rocprim17ROCPRIM_400000_NS6detail17trampoline_kernelINS0_14default_configENS1_38merge_sort_block_merge_config_selectorIhNS0_10empty_typeEEEZZNS1_27merge_sort_block_merge_implIS3_N6thrust23THRUST_200600_302600_NS6detail15normal_iteratorINS9_10device_ptrIhEEEEPS5_m14custom_greaterIhEEE10hipError_tT0_T1_T2_jT3_P12ihipStream_tbPNSt15iterator_traitsISJ_E10value_typeEPNSP_ISK_E10value_typeEPSL_NS1_7vsmem_tEENKUlT_SJ_SK_SL_E_clIPhSE_SF_SF_EESI_SY_SJ_SK_SL_EUlSY_E1_NS1_11comp_targetILNS1_3genE8ELNS1_11target_archE1030ELNS1_3gpuE2ELNS1_3repE0EEENS1_36merge_oddeven_config_static_selectorELNS0_4arch9wavefront6targetE1EEEvSK_,"axG",@progbits,_ZN7rocprim17ROCPRIM_400000_NS6detail17trampoline_kernelINS0_14default_configENS1_38merge_sort_block_merge_config_selectorIhNS0_10empty_typeEEEZZNS1_27merge_sort_block_merge_implIS3_N6thrust23THRUST_200600_302600_NS6detail15normal_iteratorINS9_10device_ptrIhEEEEPS5_m14custom_greaterIhEEE10hipError_tT0_T1_T2_jT3_P12ihipStream_tbPNSt15iterator_traitsISJ_E10value_typeEPNSP_ISK_E10value_typeEPSL_NS1_7vsmem_tEENKUlT_SJ_SK_SL_E_clIPhSE_SF_SF_EESI_SY_SJ_SK_SL_EUlSY_E1_NS1_11comp_targetILNS1_3genE8ELNS1_11target_archE1030ELNS1_3gpuE2ELNS1_3repE0EEENS1_36merge_oddeven_config_static_selectorELNS0_4arch9wavefront6targetE1EEEvSK_,comdat
.Lfunc_end2884:
	.size	_ZN7rocprim17ROCPRIM_400000_NS6detail17trampoline_kernelINS0_14default_configENS1_38merge_sort_block_merge_config_selectorIhNS0_10empty_typeEEEZZNS1_27merge_sort_block_merge_implIS3_N6thrust23THRUST_200600_302600_NS6detail15normal_iteratorINS9_10device_ptrIhEEEEPS5_m14custom_greaterIhEEE10hipError_tT0_T1_T2_jT3_P12ihipStream_tbPNSt15iterator_traitsISJ_E10value_typeEPNSP_ISK_E10value_typeEPSL_NS1_7vsmem_tEENKUlT_SJ_SK_SL_E_clIPhSE_SF_SF_EESI_SY_SJ_SK_SL_EUlSY_E1_NS1_11comp_targetILNS1_3genE8ELNS1_11target_archE1030ELNS1_3gpuE2ELNS1_3repE0EEENS1_36merge_oddeven_config_static_selectorELNS0_4arch9wavefront6targetE1EEEvSK_, .Lfunc_end2884-_ZN7rocprim17ROCPRIM_400000_NS6detail17trampoline_kernelINS0_14default_configENS1_38merge_sort_block_merge_config_selectorIhNS0_10empty_typeEEEZZNS1_27merge_sort_block_merge_implIS3_N6thrust23THRUST_200600_302600_NS6detail15normal_iteratorINS9_10device_ptrIhEEEEPS5_m14custom_greaterIhEEE10hipError_tT0_T1_T2_jT3_P12ihipStream_tbPNSt15iterator_traitsISJ_E10value_typeEPNSP_ISK_E10value_typeEPSL_NS1_7vsmem_tEENKUlT_SJ_SK_SL_E_clIPhSE_SF_SF_EESI_SY_SJ_SK_SL_EUlSY_E1_NS1_11comp_targetILNS1_3genE8ELNS1_11target_archE1030ELNS1_3gpuE2ELNS1_3repE0EEENS1_36merge_oddeven_config_static_selectorELNS0_4arch9wavefront6targetE1EEEvSK_
                                        ; -- End function
	.section	.AMDGPU.csdata,"",@progbits
; Kernel info:
; codeLenInByte = 0
; NumSgprs: 4
; NumVgprs: 0
; NumAgprs: 0
; TotalNumVgprs: 0
; ScratchSize: 0
; MemoryBound: 0
; FloatMode: 240
; IeeeMode: 1
; LDSByteSize: 0 bytes/workgroup (compile time only)
; SGPRBlocks: 0
; VGPRBlocks: 0
; NumSGPRsForWavesPerEU: 4
; NumVGPRsForWavesPerEU: 1
; AccumOffset: 4
; Occupancy: 8
; WaveLimiterHint : 0
; COMPUTE_PGM_RSRC2:SCRATCH_EN: 0
; COMPUTE_PGM_RSRC2:USER_SGPR: 6
; COMPUTE_PGM_RSRC2:TRAP_HANDLER: 0
; COMPUTE_PGM_RSRC2:TGID_X_EN: 1
; COMPUTE_PGM_RSRC2:TGID_Y_EN: 0
; COMPUTE_PGM_RSRC2:TGID_Z_EN: 0
; COMPUTE_PGM_RSRC2:TIDIG_COMP_CNT: 0
; COMPUTE_PGM_RSRC3_GFX90A:ACCUM_OFFSET: 0
; COMPUTE_PGM_RSRC3_GFX90A:TG_SPLIT: 0
	.section	.text._ZN7rocprim17ROCPRIM_400000_NS6detail17trampoline_kernelINS0_14default_configENS1_38merge_sort_block_merge_config_selectorIhNS0_10empty_typeEEEZZNS1_27merge_sort_block_merge_implIS3_N6thrust23THRUST_200600_302600_NS6detail15normal_iteratorINS9_10device_ptrIhEEEEPS5_m14custom_greaterIhEEE10hipError_tT0_T1_T2_jT3_P12ihipStream_tbPNSt15iterator_traitsISJ_E10value_typeEPNSP_ISK_E10value_typeEPSL_NS1_7vsmem_tEENKUlT_SJ_SK_SL_E_clISE_PhSF_SF_EESI_SY_SJ_SK_SL_EUlSY_E_NS1_11comp_targetILNS1_3genE0ELNS1_11target_archE4294967295ELNS1_3gpuE0ELNS1_3repE0EEENS1_48merge_mergepath_partition_config_static_selectorELNS0_4arch9wavefront6targetE1EEEvSK_,"axG",@progbits,_ZN7rocprim17ROCPRIM_400000_NS6detail17trampoline_kernelINS0_14default_configENS1_38merge_sort_block_merge_config_selectorIhNS0_10empty_typeEEEZZNS1_27merge_sort_block_merge_implIS3_N6thrust23THRUST_200600_302600_NS6detail15normal_iteratorINS9_10device_ptrIhEEEEPS5_m14custom_greaterIhEEE10hipError_tT0_T1_T2_jT3_P12ihipStream_tbPNSt15iterator_traitsISJ_E10value_typeEPNSP_ISK_E10value_typeEPSL_NS1_7vsmem_tEENKUlT_SJ_SK_SL_E_clISE_PhSF_SF_EESI_SY_SJ_SK_SL_EUlSY_E_NS1_11comp_targetILNS1_3genE0ELNS1_11target_archE4294967295ELNS1_3gpuE0ELNS1_3repE0EEENS1_48merge_mergepath_partition_config_static_selectorELNS0_4arch9wavefront6targetE1EEEvSK_,comdat
	.protected	_ZN7rocprim17ROCPRIM_400000_NS6detail17trampoline_kernelINS0_14default_configENS1_38merge_sort_block_merge_config_selectorIhNS0_10empty_typeEEEZZNS1_27merge_sort_block_merge_implIS3_N6thrust23THRUST_200600_302600_NS6detail15normal_iteratorINS9_10device_ptrIhEEEEPS5_m14custom_greaterIhEEE10hipError_tT0_T1_T2_jT3_P12ihipStream_tbPNSt15iterator_traitsISJ_E10value_typeEPNSP_ISK_E10value_typeEPSL_NS1_7vsmem_tEENKUlT_SJ_SK_SL_E_clISE_PhSF_SF_EESI_SY_SJ_SK_SL_EUlSY_E_NS1_11comp_targetILNS1_3genE0ELNS1_11target_archE4294967295ELNS1_3gpuE0ELNS1_3repE0EEENS1_48merge_mergepath_partition_config_static_selectorELNS0_4arch9wavefront6targetE1EEEvSK_ ; -- Begin function _ZN7rocprim17ROCPRIM_400000_NS6detail17trampoline_kernelINS0_14default_configENS1_38merge_sort_block_merge_config_selectorIhNS0_10empty_typeEEEZZNS1_27merge_sort_block_merge_implIS3_N6thrust23THRUST_200600_302600_NS6detail15normal_iteratorINS9_10device_ptrIhEEEEPS5_m14custom_greaterIhEEE10hipError_tT0_T1_T2_jT3_P12ihipStream_tbPNSt15iterator_traitsISJ_E10value_typeEPNSP_ISK_E10value_typeEPSL_NS1_7vsmem_tEENKUlT_SJ_SK_SL_E_clISE_PhSF_SF_EESI_SY_SJ_SK_SL_EUlSY_E_NS1_11comp_targetILNS1_3genE0ELNS1_11target_archE4294967295ELNS1_3gpuE0ELNS1_3repE0EEENS1_48merge_mergepath_partition_config_static_selectorELNS0_4arch9wavefront6targetE1EEEvSK_
	.globl	_ZN7rocprim17ROCPRIM_400000_NS6detail17trampoline_kernelINS0_14default_configENS1_38merge_sort_block_merge_config_selectorIhNS0_10empty_typeEEEZZNS1_27merge_sort_block_merge_implIS3_N6thrust23THRUST_200600_302600_NS6detail15normal_iteratorINS9_10device_ptrIhEEEEPS5_m14custom_greaterIhEEE10hipError_tT0_T1_T2_jT3_P12ihipStream_tbPNSt15iterator_traitsISJ_E10value_typeEPNSP_ISK_E10value_typeEPSL_NS1_7vsmem_tEENKUlT_SJ_SK_SL_E_clISE_PhSF_SF_EESI_SY_SJ_SK_SL_EUlSY_E_NS1_11comp_targetILNS1_3genE0ELNS1_11target_archE4294967295ELNS1_3gpuE0ELNS1_3repE0EEENS1_48merge_mergepath_partition_config_static_selectorELNS0_4arch9wavefront6targetE1EEEvSK_
	.p2align	8
	.type	_ZN7rocprim17ROCPRIM_400000_NS6detail17trampoline_kernelINS0_14default_configENS1_38merge_sort_block_merge_config_selectorIhNS0_10empty_typeEEEZZNS1_27merge_sort_block_merge_implIS3_N6thrust23THRUST_200600_302600_NS6detail15normal_iteratorINS9_10device_ptrIhEEEEPS5_m14custom_greaterIhEEE10hipError_tT0_T1_T2_jT3_P12ihipStream_tbPNSt15iterator_traitsISJ_E10value_typeEPNSP_ISK_E10value_typeEPSL_NS1_7vsmem_tEENKUlT_SJ_SK_SL_E_clISE_PhSF_SF_EESI_SY_SJ_SK_SL_EUlSY_E_NS1_11comp_targetILNS1_3genE0ELNS1_11target_archE4294967295ELNS1_3gpuE0ELNS1_3repE0EEENS1_48merge_mergepath_partition_config_static_selectorELNS0_4arch9wavefront6targetE1EEEvSK_,@function
_ZN7rocprim17ROCPRIM_400000_NS6detail17trampoline_kernelINS0_14default_configENS1_38merge_sort_block_merge_config_selectorIhNS0_10empty_typeEEEZZNS1_27merge_sort_block_merge_implIS3_N6thrust23THRUST_200600_302600_NS6detail15normal_iteratorINS9_10device_ptrIhEEEEPS5_m14custom_greaterIhEEE10hipError_tT0_T1_T2_jT3_P12ihipStream_tbPNSt15iterator_traitsISJ_E10value_typeEPNSP_ISK_E10value_typeEPSL_NS1_7vsmem_tEENKUlT_SJ_SK_SL_E_clISE_PhSF_SF_EESI_SY_SJ_SK_SL_EUlSY_E_NS1_11comp_targetILNS1_3genE0ELNS1_11target_archE4294967295ELNS1_3gpuE0ELNS1_3repE0EEENS1_48merge_mergepath_partition_config_static_selectorELNS0_4arch9wavefront6targetE1EEEvSK_: ; @_ZN7rocprim17ROCPRIM_400000_NS6detail17trampoline_kernelINS0_14default_configENS1_38merge_sort_block_merge_config_selectorIhNS0_10empty_typeEEEZZNS1_27merge_sort_block_merge_implIS3_N6thrust23THRUST_200600_302600_NS6detail15normal_iteratorINS9_10device_ptrIhEEEEPS5_m14custom_greaterIhEEE10hipError_tT0_T1_T2_jT3_P12ihipStream_tbPNSt15iterator_traitsISJ_E10value_typeEPNSP_ISK_E10value_typeEPSL_NS1_7vsmem_tEENKUlT_SJ_SK_SL_E_clISE_PhSF_SF_EESI_SY_SJ_SK_SL_EUlSY_E_NS1_11comp_targetILNS1_3genE0ELNS1_11target_archE4294967295ELNS1_3gpuE0ELNS1_3repE0EEENS1_48merge_mergepath_partition_config_static_selectorELNS0_4arch9wavefront6targetE1EEEvSK_
; %bb.0:
	.section	.rodata,"a",@progbits
	.p2align	6, 0x0
	.amdhsa_kernel _ZN7rocprim17ROCPRIM_400000_NS6detail17trampoline_kernelINS0_14default_configENS1_38merge_sort_block_merge_config_selectorIhNS0_10empty_typeEEEZZNS1_27merge_sort_block_merge_implIS3_N6thrust23THRUST_200600_302600_NS6detail15normal_iteratorINS9_10device_ptrIhEEEEPS5_m14custom_greaterIhEEE10hipError_tT0_T1_T2_jT3_P12ihipStream_tbPNSt15iterator_traitsISJ_E10value_typeEPNSP_ISK_E10value_typeEPSL_NS1_7vsmem_tEENKUlT_SJ_SK_SL_E_clISE_PhSF_SF_EESI_SY_SJ_SK_SL_EUlSY_E_NS1_11comp_targetILNS1_3genE0ELNS1_11target_archE4294967295ELNS1_3gpuE0ELNS1_3repE0EEENS1_48merge_mergepath_partition_config_static_selectorELNS0_4arch9wavefront6targetE1EEEvSK_
		.amdhsa_group_segment_fixed_size 0
		.amdhsa_private_segment_fixed_size 0
		.amdhsa_kernarg_size 48
		.amdhsa_user_sgpr_count 6
		.amdhsa_user_sgpr_private_segment_buffer 1
		.amdhsa_user_sgpr_dispatch_ptr 0
		.amdhsa_user_sgpr_queue_ptr 0
		.amdhsa_user_sgpr_kernarg_segment_ptr 1
		.amdhsa_user_sgpr_dispatch_id 0
		.amdhsa_user_sgpr_flat_scratch_init 0
		.amdhsa_user_sgpr_kernarg_preload_length 0
		.amdhsa_user_sgpr_kernarg_preload_offset 0
		.amdhsa_user_sgpr_private_segment_size 0
		.amdhsa_uses_dynamic_stack 0
		.amdhsa_system_sgpr_private_segment_wavefront_offset 0
		.amdhsa_system_sgpr_workgroup_id_x 1
		.amdhsa_system_sgpr_workgroup_id_y 0
		.amdhsa_system_sgpr_workgroup_id_z 0
		.amdhsa_system_sgpr_workgroup_info 0
		.amdhsa_system_vgpr_workitem_id 0
		.amdhsa_next_free_vgpr 1
		.amdhsa_next_free_sgpr 0
		.amdhsa_accum_offset 4
		.amdhsa_reserve_vcc 0
		.amdhsa_reserve_flat_scratch 0
		.amdhsa_float_round_mode_32 0
		.amdhsa_float_round_mode_16_64 0
		.amdhsa_float_denorm_mode_32 3
		.amdhsa_float_denorm_mode_16_64 3
		.amdhsa_dx10_clamp 1
		.amdhsa_ieee_mode 1
		.amdhsa_fp16_overflow 0
		.amdhsa_tg_split 0
		.amdhsa_exception_fp_ieee_invalid_op 0
		.amdhsa_exception_fp_denorm_src 0
		.amdhsa_exception_fp_ieee_div_zero 0
		.amdhsa_exception_fp_ieee_overflow 0
		.amdhsa_exception_fp_ieee_underflow 0
		.amdhsa_exception_fp_ieee_inexact 0
		.amdhsa_exception_int_div_zero 0
	.end_amdhsa_kernel
	.section	.text._ZN7rocprim17ROCPRIM_400000_NS6detail17trampoline_kernelINS0_14default_configENS1_38merge_sort_block_merge_config_selectorIhNS0_10empty_typeEEEZZNS1_27merge_sort_block_merge_implIS3_N6thrust23THRUST_200600_302600_NS6detail15normal_iteratorINS9_10device_ptrIhEEEEPS5_m14custom_greaterIhEEE10hipError_tT0_T1_T2_jT3_P12ihipStream_tbPNSt15iterator_traitsISJ_E10value_typeEPNSP_ISK_E10value_typeEPSL_NS1_7vsmem_tEENKUlT_SJ_SK_SL_E_clISE_PhSF_SF_EESI_SY_SJ_SK_SL_EUlSY_E_NS1_11comp_targetILNS1_3genE0ELNS1_11target_archE4294967295ELNS1_3gpuE0ELNS1_3repE0EEENS1_48merge_mergepath_partition_config_static_selectorELNS0_4arch9wavefront6targetE1EEEvSK_,"axG",@progbits,_ZN7rocprim17ROCPRIM_400000_NS6detail17trampoline_kernelINS0_14default_configENS1_38merge_sort_block_merge_config_selectorIhNS0_10empty_typeEEEZZNS1_27merge_sort_block_merge_implIS3_N6thrust23THRUST_200600_302600_NS6detail15normal_iteratorINS9_10device_ptrIhEEEEPS5_m14custom_greaterIhEEE10hipError_tT0_T1_T2_jT3_P12ihipStream_tbPNSt15iterator_traitsISJ_E10value_typeEPNSP_ISK_E10value_typeEPSL_NS1_7vsmem_tEENKUlT_SJ_SK_SL_E_clISE_PhSF_SF_EESI_SY_SJ_SK_SL_EUlSY_E_NS1_11comp_targetILNS1_3genE0ELNS1_11target_archE4294967295ELNS1_3gpuE0ELNS1_3repE0EEENS1_48merge_mergepath_partition_config_static_selectorELNS0_4arch9wavefront6targetE1EEEvSK_,comdat
.Lfunc_end2885:
	.size	_ZN7rocprim17ROCPRIM_400000_NS6detail17trampoline_kernelINS0_14default_configENS1_38merge_sort_block_merge_config_selectorIhNS0_10empty_typeEEEZZNS1_27merge_sort_block_merge_implIS3_N6thrust23THRUST_200600_302600_NS6detail15normal_iteratorINS9_10device_ptrIhEEEEPS5_m14custom_greaterIhEEE10hipError_tT0_T1_T2_jT3_P12ihipStream_tbPNSt15iterator_traitsISJ_E10value_typeEPNSP_ISK_E10value_typeEPSL_NS1_7vsmem_tEENKUlT_SJ_SK_SL_E_clISE_PhSF_SF_EESI_SY_SJ_SK_SL_EUlSY_E_NS1_11comp_targetILNS1_3genE0ELNS1_11target_archE4294967295ELNS1_3gpuE0ELNS1_3repE0EEENS1_48merge_mergepath_partition_config_static_selectorELNS0_4arch9wavefront6targetE1EEEvSK_, .Lfunc_end2885-_ZN7rocprim17ROCPRIM_400000_NS6detail17trampoline_kernelINS0_14default_configENS1_38merge_sort_block_merge_config_selectorIhNS0_10empty_typeEEEZZNS1_27merge_sort_block_merge_implIS3_N6thrust23THRUST_200600_302600_NS6detail15normal_iteratorINS9_10device_ptrIhEEEEPS5_m14custom_greaterIhEEE10hipError_tT0_T1_T2_jT3_P12ihipStream_tbPNSt15iterator_traitsISJ_E10value_typeEPNSP_ISK_E10value_typeEPSL_NS1_7vsmem_tEENKUlT_SJ_SK_SL_E_clISE_PhSF_SF_EESI_SY_SJ_SK_SL_EUlSY_E_NS1_11comp_targetILNS1_3genE0ELNS1_11target_archE4294967295ELNS1_3gpuE0ELNS1_3repE0EEENS1_48merge_mergepath_partition_config_static_selectorELNS0_4arch9wavefront6targetE1EEEvSK_
                                        ; -- End function
	.section	.AMDGPU.csdata,"",@progbits
; Kernel info:
; codeLenInByte = 0
; NumSgprs: 4
; NumVgprs: 0
; NumAgprs: 0
; TotalNumVgprs: 0
; ScratchSize: 0
; MemoryBound: 0
; FloatMode: 240
; IeeeMode: 1
; LDSByteSize: 0 bytes/workgroup (compile time only)
; SGPRBlocks: 0
; VGPRBlocks: 0
; NumSGPRsForWavesPerEU: 4
; NumVGPRsForWavesPerEU: 1
; AccumOffset: 4
; Occupancy: 8
; WaveLimiterHint : 0
; COMPUTE_PGM_RSRC2:SCRATCH_EN: 0
; COMPUTE_PGM_RSRC2:USER_SGPR: 6
; COMPUTE_PGM_RSRC2:TRAP_HANDLER: 0
; COMPUTE_PGM_RSRC2:TGID_X_EN: 1
; COMPUTE_PGM_RSRC2:TGID_Y_EN: 0
; COMPUTE_PGM_RSRC2:TGID_Z_EN: 0
; COMPUTE_PGM_RSRC2:TIDIG_COMP_CNT: 0
; COMPUTE_PGM_RSRC3_GFX90A:ACCUM_OFFSET: 0
; COMPUTE_PGM_RSRC3_GFX90A:TG_SPLIT: 0
	.section	.text._ZN7rocprim17ROCPRIM_400000_NS6detail17trampoline_kernelINS0_14default_configENS1_38merge_sort_block_merge_config_selectorIhNS0_10empty_typeEEEZZNS1_27merge_sort_block_merge_implIS3_N6thrust23THRUST_200600_302600_NS6detail15normal_iteratorINS9_10device_ptrIhEEEEPS5_m14custom_greaterIhEEE10hipError_tT0_T1_T2_jT3_P12ihipStream_tbPNSt15iterator_traitsISJ_E10value_typeEPNSP_ISK_E10value_typeEPSL_NS1_7vsmem_tEENKUlT_SJ_SK_SL_E_clISE_PhSF_SF_EESI_SY_SJ_SK_SL_EUlSY_E_NS1_11comp_targetILNS1_3genE10ELNS1_11target_archE1201ELNS1_3gpuE5ELNS1_3repE0EEENS1_48merge_mergepath_partition_config_static_selectorELNS0_4arch9wavefront6targetE1EEEvSK_,"axG",@progbits,_ZN7rocprim17ROCPRIM_400000_NS6detail17trampoline_kernelINS0_14default_configENS1_38merge_sort_block_merge_config_selectorIhNS0_10empty_typeEEEZZNS1_27merge_sort_block_merge_implIS3_N6thrust23THRUST_200600_302600_NS6detail15normal_iteratorINS9_10device_ptrIhEEEEPS5_m14custom_greaterIhEEE10hipError_tT0_T1_T2_jT3_P12ihipStream_tbPNSt15iterator_traitsISJ_E10value_typeEPNSP_ISK_E10value_typeEPSL_NS1_7vsmem_tEENKUlT_SJ_SK_SL_E_clISE_PhSF_SF_EESI_SY_SJ_SK_SL_EUlSY_E_NS1_11comp_targetILNS1_3genE10ELNS1_11target_archE1201ELNS1_3gpuE5ELNS1_3repE0EEENS1_48merge_mergepath_partition_config_static_selectorELNS0_4arch9wavefront6targetE1EEEvSK_,comdat
	.protected	_ZN7rocprim17ROCPRIM_400000_NS6detail17trampoline_kernelINS0_14default_configENS1_38merge_sort_block_merge_config_selectorIhNS0_10empty_typeEEEZZNS1_27merge_sort_block_merge_implIS3_N6thrust23THRUST_200600_302600_NS6detail15normal_iteratorINS9_10device_ptrIhEEEEPS5_m14custom_greaterIhEEE10hipError_tT0_T1_T2_jT3_P12ihipStream_tbPNSt15iterator_traitsISJ_E10value_typeEPNSP_ISK_E10value_typeEPSL_NS1_7vsmem_tEENKUlT_SJ_SK_SL_E_clISE_PhSF_SF_EESI_SY_SJ_SK_SL_EUlSY_E_NS1_11comp_targetILNS1_3genE10ELNS1_11target_archE1201ELNS1_3gpuE5ELNS1_3repE0EEENS1_48merge_mergepath_partition_config_static_selectorELNS0_4arch9wavefront6targetE1EEEvSK_ ; -- Begin function _ZN7rocprim17ROCPRIM_400000_NS6detail17trampoline_kernelINS0_14default_configENS1_38merge_sort_block_merge_config_selectorIhNS0_10empty_typeEEEZZNS1_27merge_sort_block_merge_implIS3_N6thrust23THRUST_200600_302600_NS6detail15normal_iteratorINS9_10device_ptrIhEEEEPS5_m14custom_greaterIhEEE10hipError_tT0_T1_T2_jT3_P12ihipStream_tbPNSt15iterator_traitsISJ_E10value_typeEPNSP_ISK_E10value_typeEPSL_NS1_7vsmem_tEENKUlT_SJ_SK_SL_E_clISE_PhSF_SF_EESI_SY_SJ_SK_SL_EUlSY_E_NS1_11comp_targetILNS1_3genE10ELNS1_11target_archE1201ELNS1_3gpuE5ELNS1_3repE0EEENS1_48merge_mergepath_partition_config_static_selectorELNS0_4arch9wavefront6targetE1EEEvSK_
	.globl	_ZN7rocprim17ROCPRIM_400000_NS6detail17trampoline_kernelINS0_14default_configENS1_38merge_sort_block_merge_config_selectorIhNS0_10empty_typeEEEZZNS1_27merge_sort_block_merge_implIS3_N6thrust23THRUST_200600_302600_NS6detail15normal_iteratorINS9_10device_ptrIhEEEEPS5_m14custom_greaterIhEEE10hipError_tT0_T1_T2_jT3_P12ihipStream_tbPNSt15iterator_traitsISJ_E10value_typeEPNSP_ISK_E10value_typeEPSL_NS1_7vsmem_tEENKUlT_SJ_SK_SL_E_clISE_PhSF_SF_EESI_SY_SJ_SK_SL_EUlSY_E_NS1_11comp_targetILNS1_3genE10ELNS1_11target_archE1201ELNS1_3gpuE5ELNS1_3repE0EEENS1_48merge_mergepath_partition_config_static_selectorELNS0_4arch9wavefront6targetE1EEEvSK_
	.p2align	8
	.type	_ZN7rocprim17ROCPRIM_400000_NS6detail17trampoline_kernelINS0_14default_configENS1_38merge_sort_block_merge_config_selectorIhNS0_10empty_typeEEEZZNS1_27merge_sort_block_merge_implIS3_N6thrust23THRUST_200600_302600_NS6detail15normal_iteratorINS9_10device_ptrIhEEEEPS5_m14custom_greaterIhEEE10hipError_tT0_T1_T2_jT3_P12ihipStream_tbPNSt15iterator_traitsISJ_E10value_typeEPNSP_ISK_E10value_typeEPSL_NS1_7vsmem_tEENKUlT_SJ_SK_SL_E_clISE_PhSF_SF_EESI_SY_SJ_SK_SL_EUlSY_E_NS1_11comp_targetILNS1_3genE10ELNS1_11target_archE1201ELNS1_3gpuE5ELNS1_3repE0EEENS1_48merge_mergepath_partition_config_static_selectorELNS0_4arch9wavefront6targetE1EEEvSK_,@function
_ZN7rocprim17ROCPRIM_400000_NS6detail17trampoline_kernelINS0_14default_configENS1_38merge_sort_block_merge_config_selectorIhNS0_10empty_typeEEEZZNS1_27merge_sort_block_merge_implIS3_N6thrust23THRUST_200600_302600_NS6detail15normal_iteratorINS9_10device_ptrIhEEEEPS5_m14custom_greaterIhEEE10hipError_tT0_T1_T2_jT3_P12ihipStream_tbPNSt15iterator_traitsISJ_E10value_typeEPNSP_ISK_E10value_typeEPSL_NS1_7vsmem_tEENKUlT_SJ_SK_SL_E_clISE_PhSF_SF_EESI_SY_SJ_SK_SL_EUlSY_E_NS1_11comp_targetILNS1_3genE10ELNS1_11target_archE1201ELNS1_3gpuE5ELNS1_3repE0EEENS1_48merge_mergepath_partition_config_static_selectorELNS0_4arch9wavefront6targetE1EEEvSK_: ; @_ZN7rocprim17ROCPRIM_400000_NS6detail17trampoline_kernelINS0_14default_configENS1_38merge_sort_block_merge_config_selectorIhNS0_10empty_typeEEEZZNS1_27merge_sort_block_merge_implIS3_N6thrust23THRUST_200600_302600_NS6detail15normal_iteratorINS9_10device_ptrIhEEEEPS5_m14custom_greaterIhEEE10hipError_tT0_T1_T2_jT3_P12ihipStream_tbPNSt15iterator_traitsISJ_E10value_typeEPNSP_ISK_E10value_typeEPSL_NS1_7vsmem_tEENKUlT_SJ_SK_SL_E_clISE_PhSF_SF_EESI_SY_SJ_SK_SL_EUlSY_E_NS1_11comp_targetILNS1_3genE10ELNS1_11target_archE1201ELNS1_3gpuE5ELNS1_3repE0EEENS1_48merge_mergepath_partition_config_static_selectorELNS0_4arch9wavefront6targetE1EEEvSK_
; %bb.0:
	.section	.rodata,"a",@progbits
	.p2align	6, 0x0
	.amdhsa_kernel _ZN7rocprim17ROCPRIM_400000_NS6detail17trampoline_kernelINS0_14default_configENS1_38merge_sort_block_merge_config_selectorIhNS0_10empty_typeEEEZZNS1_27merge_sort_block_merge_implIS3_N6thrust23THRUST_200600_302600_NS6detail15normal_iteratorINS9_10device_ptrIhEEEEPS5_m14custom_greaterIhEEE10hipError_tT0_T1_T2_jT3_P12ihipStream_tbPNSt15iterator_traitsISJ_E10value_typeEPNSP_ISK_E10value_typeEPSL_NS1_7vsmem_tEENKUlT_SJ_SK_SL_E_clISE_PhSF_SF_EESI_SY_SJ_SK_SL_EUlSY_E_NS1_11comp_targetILNS1_3genE10ELNS1_11target_archE1201ELNS1_3gpuE5ELNS1_3repE0EEENS1_48merge_mergepath_partition_config_static_selectorELNS0_4arch9wavefront6targetE1EEEvSK_
		.amdhsa_group_segment_fixed_size 0
		.amdhsa_private_segment_fixed_size 0
		.amdhsa_kernarg_size 48
		.amdhsa_user_sgpr_count 6
		.amdhsa_user_sgpr_private_segment_buffer 1
		.amdhsa_user_sgpr_dispatch_ptr 0
		.amdhsa_user_sgpr_queue_ptr 0
		.amdhsa_user_sgpr_kernarg_segment_ptr 1
		.amdhsa_user_sgpr_dispatch_id 0
		.amdhsa_user_sgpr_flat_scratch_init 0
		.amdhsa_user_sgpr_kernarg_preload_length 0
		.amdhsa_user_sgpr_kernarg_preload_offset 0
		.amdhsa_user_sgpr_private_segment_size 0
		.amdhsa_uses_dynamic_stack 0
		.amdhsa_system_sgpr_private_segment_wavefront_offset 0
		.amdhsa_system_sgpr_workgroup_id_x 1
		.amdhsa_system_sgpr_workgroup_id_y 0
		.amdhsa_system_sgpr_workgroup_id_z 0
		.amdhsa_system_sgpr_workgroup_info 0
		.amdhsa_system_vgpr_workitem_id 0
		.amdhsa_next_free_vgpr 1
		.amdhsa_next_free_sgpr 0
		.amdhsa_accum_offset 4
		.amdhsa_reserve_vcc 0
		.amdhsa_reserve_flat_scratch 0
		.amdhsa_float_round_mode_32 0
		.amdhsa_float_round_mode_16_64 0
		.amdhsa_float_denorm_mode_32 3
		.amdhsa_float_denorm_mode_16_64 3
		.amdhsa_dx10_clamp 1
		.amdhsa_ieee_mode 1
		.amdhsa_fp16_overflow 0
		.amdhsa_tg_split 0
		.amdhsa_exception_fp_ieee_invalid_op 0
		.amdhsa_exception_fp_denorm_src 0
		.amdhsa_exception_fp_ieee_div_zero 0
		.amdhsa_exception_fp_ieee_overflow 0
		.amdhsa_exception_fp_ieee_underflow 0
		.amdhsa_exception_fp_ieee_inexact 0
		.amdhsa_exception_int_div_zero 0
	.end_amdhsa_kernel
	.section	.text._ZN7rocprim17ROCPRIM_400000_NS6detail17trampoline_kernelINS0_14default_configENS1_38merge_sort_block_merge_config_selectorIhNS0_10empty_typeEEEZZNS1_27merge_sort_block_merge_implIS3_N6thrust23THRUST_200600_302600_NS6detail15normal_iteratorINS9_10device_ptrIhEEEEPS5_m14custom_greaterIhEEE10hipError_tT0_T1_T2_jT3_P12ihipStream_tbPNSt15iterator_traitsISJ_E10value_typeEPNSP_ISK_E10value_typeEPSL_NS1_7vsmem_tEENKUlT_SJ_SK_SL_E_clISE_PhSF_SF_EESI_SY_SJ_SK_SL_EUlSY_E_NS1_11comp_targetILNS1_3genE10ELNS1_11target_archE1201ELNS1_3gpuE5ELNS1_3repE0EEENS1_48merge_mergepath_partition_config_static_selectorELNS0_4arch9wavefront6targetE1EEEvSK_,"axG",@progbits,_ZN7rocprim17ROCPRIM_400000_NS6detail17trampoline_kernelINS0_14default_configENS1_38merge_sort_block_merge_config_selectorIhNS0_10empty_typeEEEZZNS1_27merge_sort_block_merge_implIS3_N6thrust23THRUST_200600_302600_NS6detail15normal_iteratorINS9_10device_ptrIhEEEEPS5_m14custom_greaterIhEEE10hipError_tT0_T1_T2_jT3_P12ihipStream_tbPNSt15iterator_traitsISJ_E10value_typeEPNSP_ISK_E10value_typeEPSL_NS1_7vsmem_tEENKUlT_SJ_SK_SL_E_clISE_PhSF_SF_EESI_SY_SJ_SK_SL_EUlSY_E_NS1_11comp_targetILNS1_3genE10ELNS1_11target_archE1201ELNS1_3gpuE5ELNS1_3repE0EEENS1_48merge_mergepath_partition_config_static_selectorELNS0_4arch9wavefront6targetE1EEEvSK_,comdat
.Lfunc_end2886:
	.size	_ZN7rocprim17ROCPRIM_400000_NS6detail17trampoline_kernelINS0_14default_configENS1_38merge_sort_block_merge_config_selectorIhNS0_10empty_typeEEEZZNS1_27merge_sort_block_merge_implIS3_N6thrust23THRUST_200600_302600_NS6detail15normal_iteratorINS9_10device_ptrIhEEEEPS5_m14custom_greaterIhEEE10hipError_tT0_T1_T2_jT3_P12ihipStream_tbPNSt15iterator_traitsISJ_E10value_typeEPNSP_ISK_E10value_typeEPSL_NS1_7vsmem_tEENKUlT_SJ_SK_SL_E_clISE_PhSF_SF_EESI_SY_SJ_SK_SL_EUlSY_E_NS1_11comp_targetILNS1_3genE10ELNS1_11target_archE1201ELNS1_3gpuE5ELNS1_3repE0EEENS1_48merge_mergepath_partition_config_static_selectorELNS0_4arch9wavefront6targetE1EEEvSK_, .Lfunc_end2886-_ZN7rocprim17ROCPRIM_400000_NS6detail17trampoline_kernelINS0_14default_configENS1_38merge_sort_block_merge_config_selectorIhNS0_10empty_typeEEEZZNS1_27merge_sort_block_merge_implIS3_N6thrust23THRUST_200600_302600_NS6detail15normal_iteratorINS9_10device_ptrIhEEEEPS5_m14custom_greaterIhEEE10hipError_tT0_T1_T2_jT3_P12ihipStream_tbPNSt15iterator_traitsISJ_E10value_typeEPNSP_ISK_E10value_typeEPSL_NS1_7vsmem_tEENKUlT_SJ_SK_SL_E_clISE_PhSF_SF_EESI_SY_SJ_SK_SL_EUlSY_E_NS1_11comp_targetILNS1_3genE10ELNS1_11target_archE1201ELNS1_3gpuE5ELNS1_3repE0EEENS1_48merge_mergepath_partition_config_static_selectorELNS0_4arch9wavefront6targetE1EEEvSK_
                                        ; -- End function
	.section	.AMDGPU.csdata,"",@progbits
; Kernel info:
; codeLenInByte = 0
; NumSgprs: 4
; NumVgprs: 0
; NumAgprs: 0
; TotalNumVgprs: 0
; ScratchSize: 0
; MemoryBound: 0
; FloatMode: 240
; IeeeMode: 1
; LDSByteSize: 0 bytes/workgroup (compile time only)
; SGPRBlocks: 0
; VGPRBlocks: 0
; NumSGPRsForWavesPerEU: 4
; NumVGPRsForWavesPerEU: 1
; AccumOffset: 4
; Occupancy: 8
; WaveLimiterHint : 0
; COMPUTE_PGM_RSRC2:SCRATCH_EN: 0
; COMPUTE_PGM_RSRC2:USER_SGPR: 6
; COMPUTE_PGM_RSRC2:TRAP_HANDLER: 0
; COMPUTE_PGM_RSRC2:TGID_X_EN: 1
; COMPUTE_PGM_RSRC2:TGID_Y_EN: 0
; COMPUTE_PGM_RSRC2:TGID_Z_EN: 0
; COMPUTE_PGM_RSRC2:TIDIG_COMP_CNT: 0
; COMPUTE_PGM_RSRC3_GFX90A:ACCUM_OFFSET: 0
; COMPUTE_PGM_RSRC3_GFX90A:TG_SPLIT: 0
	.section	.text._ZN7rocprim17ROCPRIM_400000_NS6detail17trampoline_kernelINS0_14default_configENS1_38merge_sort_block_merge_config_selectorIhNS0_10empty_typeEEEZZNS1_27merge_sort_block_merge_implIS3_N6thrust23THRUST_200600_302600_NS6detail15normal_iteratorINS9_10device_ptrIhEEEEPS5_m14custom_greaterIhEEE10hipError_tT0_T1_T2_jT3_P12ihipStream_tbPNSt15iterator_traitsISJ_E10value_typeEPNSP_ISK_E10value_typeEPSL_NS1_7vsmem_tEENKUlT_SJ_SK_SL_E_clISE_PhSF_SF_EESI_SY_SJ_SK_SL_EUlSY_E_NS1_11comp_targetILNS1_3genE5ELNS1_11target_archE942ELNS1_3gpuE9ELNS1_3repE0EEENS1_48merge_mergepath_partition_config_static_selectorELNS0_4arch9wavefront6targetE1EEEvSK_,"axG",@progbits,_ZN7rocprim17ROCPRIM_400000_NS6detail17trampoline_kernelINS0_14default_configENS1_38merge_sort_block_merge_config_selectorIhNS0_10empty_typeEEEZZNS1_27merge_sort_block_merge_implIS3_N6thrust23THRUST_200600_302600_NS6detail15normal_iteratorINS9_10device_ptrIhEEEEPS5_m14custom_greaterIhEEE10hipError_tT0_T1_T2_jT3_P12ihipStream_tbPNSt15iterator_traitsISJ_E10value_typeEPNSP_ISK_E10value_typeEPSL_NS1_7vsmem_tEENKUlT_SJ_SK_SL_E_clISE_PhSF_SF_EESI_SY_SJ_SK_SL_EUlSY_E_NS1_11comp_targetILNS1_3genE5ELNS1_11target_archE942ELNS1_3gpuE9ELNS1_3repE0EEENS1_48merge_mergepath_partition_config_static_selectorELNS0_4arch9wavefront6targetE1EEEvSK_,comdat
	.protected	_ZN7rocprim17ROCPRIM_400000_NS6detail17trampoline_kernelINS0_14default_configENS1_38merge_sort_block_merge_config_selectorIhNS0_10empty_typeEEEZZNS1_27merge_sort_block_merge_implIS3_N6thrust23THRUST_200600_302600_NS6detail15normal_iteratorINS9_10device_ptrIhEEEEPS5_m14custom_greaterIhEEE10hipError_tT0_T1_T2_jT3_P12ihipStream_tbPNSt15iterator_traitsISJ_E10value_typeEPNSP_ISK_E10value_typeEPSL_NS1_7vsmem_tEENKUlT_SJ_SK_SL_E_clISE_PhSF_SF_EESI_SY_SJ_SK_SL_EUlSY_E_NS1_11comp_targetILNS1_3genE5ELNS1_11target_archE942ELNS1_3gpuE9ELNS1_3repE0EEENS1_48merge_mergepath_partition_config_static_selectorELNS0_4arch9wavefront6targetE1EEEvSK_ ; -- Begin function _ZN7rocprim17ROCPRIM_400000_NS6detail17trampoline_kernelINS0_14default_configENS1_38merge_sort_block_merge_config_selectorIhNS0_10empty_typeEEEZZNS1_27merge_sort_block_merge_implIS3_N6thrust23THRUST_200600_302600_NS6detail15normal_iteratorINS9_10device_ptrIhEEEEPS5_m14custom_greaterIhEEE10hipError_tT0_T1_T2_jT3_P12ihipStream_tbPNSt15iterator_traitsISJ_E10value_typeEPNSP_ISK_E10value_typeEPSL_NS1_7vsmem_tEENKUlT_SJ_SK_SL_E_clISE_PhSF_SF_EESI_SY_SJ_SK_SL_EUlSY_E_NS1_11comp_targetILNS1_3genE5ELNS1_11target_archE942ELNS1_3gpuE9ELNS1_3repE0EEENS1_48merge_mergepath_partition_config_static_selectorELNS0_4arch9wavefront6targetE1EEEvSK_
	.globl	_ZN7rocprim17ROCPRIM_400000_NS6detail17trampoline_kernelINS0_14default_configENS1_38merge_sort_block_merge_config_selectorIhNS0_10empty_typeEEEZZNS1_27merge_sort_block_merge_implIS3_N6thrust23THRUST_200600_302600_NS6detail15normal_iteratorINS9_10device_ptrIhEEEEPS5_m14custom_greaterIhEEE10hipError_tT0_T1_T2_jT3_P12ihipStream_tbPNSt15iterator_traitsISJ_E10value_typeEPNSP_ISK_E10value_typeEPSL_NS1_7vsmem_tEENKUlT_SJ_SK_SL_E_clISE_PhSF_SF_EESI_SY_SJ_SK_SL_EUlSY_E_NS1_11comp_targetILNS1_3genE5ELNS1_11target_archE942ELNS1_3gpuE9ELNS1_3repE0EEENS1_48merge_mergepath_partition_config_static_selectorELNS0_4arch9wavefront6targetE1EEEvSK_
	.p2align	8
	.type	_ZN7rocprim17ROCPRIM_400000_NS6detail17trampoline_kernelINS0_14default_configENS1_38merge_sort_block_merge_config_selectorIhNS0_10empty_typeEEEZZNS1_27merge_sort_block_merge_implIS3_N6thrust23THRUST_200600_302600_NS6detail15normal_iteratorINS9_10device_ptrIhEEEEPS5_m14custom_greaterIhEEE10hipError_tT0_T1_T2_jT3_P12ihipStream_tbPNSt15iterator_traitsISJ_E10value_typeEPNSP_ISK_E10value_typeEPSL_NS1_7vsmem_tEENKUlT_SJ_SK_SL_E_clISE_PhSF_SF_EESI_SY_SJ_SK_SL_EUlSY_E_NS1_11comp_targetILNS1_3genE5ELNS1_11target_archE942ELNS1_3gpuE9ELNS1_3repE0EEENS1_48merge_mergepath_partition_config_static_selectorELNS0_4arch9wavefront6targetE1EEEvSK_,@function
_ZN7rocprim17ROCPRIM_400000_NS6detail17trampoline_kernelINS0_14default_configENS1_38merge_sort_block_merge_config_selectorIhNS0_10empty_typeEEEZZNS1_27merge_sort_block_merge_implIS3_N6thrust23THRUST_200600_302600_NS6detail15normal_iteratorINS9_10device_ptrIhEEEEPS5_m14custom_greaterIhEEE10hipError_tT0_T1_T2_jT3_P12ihipStream_tbPNSt15iterator_traitsISJ_E10value_typeEPNSP_ISK_E10value_typeEPSL_NS1_7vsmem_tEENKUlT_SJ_SK_SL_E_clISE_PhSF_SF_EESI_SY_SJ_SK_SL_EUlSY_E_NS1_11comp_targetILNS1_3genE5ELNS1_11target_archE942ELNS1_3gpuE9ELNS1_3repE0EEENS1_48merge_mergepath_partition_config_static_selectorELNS0_4arch9wavefront6targetE1EEEvSK_: ; @_ZN7rocprim17ROCPRIM_400000_NS6detail17trampoline_kernelINS0_14default_configENS1_38merge_sort_block_merge_config_selectorIhNS0_10empty_typeEEEZZNS1_27merge_sort_block_merge_implIS3_N6thrust23THRUST_200600_302600_NS6detail15normal_iteratorINS9_10device_ptrIhEEEEPS5_m14custom_greaterIhEEE10hipError_tT0_T1_T2_jT3_P12ihipStream_tbPNSt15iterator_traitsISJ_E10value_typeEPNSP_ISK_E10value_typeEPSL_NS1_7vsmem_tEENKUlT_SJ_SK_SL_E_clISE_PhSF_SF_EESI_SY_SJ_SK_SL_EUlSY_E_NS1_11comp_targetILNS1_3genE5ELNS1_11target_archE942ELNS1_3gpuE9ELNS1_3repE0EEENS1_48merge_mergepath_partition_config_static_selectorELNS0_4arch9wavefront6targetE1EEEvSK_
; %bb.0:
	.section	.rodata,"a",@progbits
	.p2align	6, 0x0
	.amdhsa_kernel _ZN7rocprim17ROCPRIM_400000_NS6detail17trampoline_kernelINS0_14default_configENS1_38merge_sort_block_merge_config_selectorIhNS0_10empty_typeEEEZZNS1_27merge_sort_block_merge_implIS3_N6thrust23THRUST_200600_302600_NS6detail15normal_iteratorINS9_10device_ptrIhEEEEPS5_m14custom_greaterIhEEE10hipError_tT0_T1_T2_jT3_P12ihipStream_tbPNSt15iterator_traitsISJ_E10value_typeEPNSP_ISK_E10value_typeEPSL_NS1_7vsmem_tEENKUlT_SJ_SK_SL_E_clISE_PhSF_SF_EESI_SY_SJ_SK_SL_EUlSY_E_NS1_11comp_targetILNS1_3genE5ELNS1_11target_archE942ELNS1_3gpuE9ELNS1_3repE0EEENS1_48merge_mergepath_partition_config_static_selectorELNS0_4arch9wavefront6targetE1EEEvSK_
		.amdhsa_group_segment_fixed_size 0
		.amdhsa_private_segment_fixed_size 0
		.amdhsa_kernarg_size 48
		.amdhsa_user_sgpr_count 6
		.amdhsa_user_sgpr_private_segment_buffer 1
		.amdhsa_user_sgpr_dispatch_ptr 0
		.amdhsa_user_sgpr_queue_ptr 0
		.amdhsa_user_sgpr_kernarg_segment_ptr 1
		.amdhsa_user_sgpr_dispatch_id 0
		.amdhsa_user_sgpr_flat_scratch_init 0
		.amdhsa_user_sgpr_kernarg_preload_length 0
		.amdhsa_user_sgpr_kernarg_preload_offset 0
		.amdhsa_user_sgpr_private_segment_size 0
		.amdhsa_uses_dynamic_stack 0
		.amdhsa_system_sgpr_private_segment_wavefront_offset 0
		.amdhsa_system_sgpr_workgroup_id_x 1
		.amdhsa_system_sgpr_workgroup_id_y 0
		.amdhsa_system_sgpr_workgroup_id_z 0
		.amdhsa_system_sgpr_workgroup_info 0
		.amdhsa_system_vgpr_workitem_id 0
		.amdhsa_next_free_vgpr 1
		.amdhsa_next_free_sgpr 0
		.amdhsa_accum_offset 4
		.amdhsa_reserve_vcc 0
		.amdhsa_reserve_flat_scratch 0
		.amdhsa_float_round_mode_32 0
		.amdhsa_float_round_mode_16_64 0
		.amdhsa_float_denorm_mode_32 3
		.amdhsa_float_denorm_mode_16_64 3
		.amdhsa_dx10_clamp 1
		.amdhsa_ieee_mode 1
		.amdhsa_fp16_overflow 0
		.amdhsa_tg_split 0
		.amdhsa_exception_fp_ieee_invalid_op 0
		.amdhsa_exception_fp_denorm_src 0
		.amdhsa_exception_fp_ieee_div_zero 0
		.amdhsa_exception_fp_ieee_overflow 0
		.amdhsa_exception_fp_ieee_underflow 0
		.amdhsa_exception_fp_ieee_inexact 0
		.amdhsa_exception_int_div_zero 0
	.end_amdhsa_kernel
	.section	.text._ZN7rocprim17ROCPRIM_400000_NS6detail17trampoline_kernelINS0_14default_configENS1_38merge_sort_block_merge_config_selectorIhNS0_10empty_typeEEEZZNS1_27merge_sort_block_merge_implIS3_N6thrust23THRUST_200600_302600_NS6detail15normal_iteratorINS9_10device_ptrIhEEEEPS5_m14custom_greaterIhEEE10hipError_tT0_T1_T2_jT3_P12ihipStream_tbPNSt15iterator_traitsISJ_E10value_typeEPNSP_ISK_E10value_typeEPSL_NS1_7vsmem_tEENKUlT_SJ_SK_SL_E_clISE_PhSF_SF_EESI_SY_SJ_SK_SL_EUlSY_E_NS1_11comp_targetILNS1_3genE5ELNS1_11target_archE942ELNS1_3gpuE9ELNS1_3repE0EEENS1_48merge_mergepath_partition_config_static_selectorELNS0_4arch9wavefront6targetE1EEEvSK_,"axG",@progbits,_ZN7rocprim17ROCPRIM_400000_NS6detail17trampoline_kernelINS0_14default_configENS1_38merge_sort_block_merge_config_selectorIhNS0_10empty_typeEEEZZNS1_27merge_sort_block_merge_implIS3_N6thrust23THRUST_200600_302600_NS6detail15normal_iteratorINS9_10device_ptrIhEEEEPS5_m14custom_greaterIhEEE10hipError_tT0_T1_T2_jT3_P12ihipStream_tbPNSt15iterator_traitsISJ_E10value_typeEPNSP_ISK_E10value_typeEPSL_NS1_7vsmem_tEENKUlT_SJ_SK_SL_E_clISE_PhSF_SF_EESI_SY_SJ_SK_SL_EUlSY_E_NS1_11comp_targetILNS1_3genE5ELNS1_11target_archE942ELNS1_3gpuE9ELNS1_3repE0EEENS1_48merge_mergepath_partition_config_static_selectorELNS0_4arch9wavefront6targetE1EEEvSK_,comdat
.Lfunc_end2887:
	.size	_ZN7rocprim17ROCPRIM_400000_NS6detail17trampoline_kernelINS0_14default_configENS1_38merge_sort_block_merge_config_selectorIhNS0_10empty_typeEEEZZNS1_27merge_sort_block_merge_implIS3_N6thrust23THRUST_200600_302600_NS6detail15normal_iteratorINS9_10device_ptrIhEEEEPS5_m14custom_greaterIhEEE10hipError_tT0_T1_T2_jT3_P12ihipStream_tbPNSt15iterator_traitsISJ_E10value_typeEPNSP_ISK_E10value_typeEPSL_NS1_7vsmem_tEENKUlT_SJ_SK_SL_E_clISE_PhSF_SF_EESI_SY_SJ_SK_SL_EUlSY_E_NS1_11comp_targetILNS1_3genE5ELNS1_11target_archE942ELNS1_3gpuE9ELNS1_3repE0EEENS1_48merge_mergepath_partition_config_static_selectorELNS0_4arch9wavefront6targetE1EEEvSK_, .Lfunc_end2887-_ZN7rocprim17ROCPRIM_400000_NS6detail17trampoline_kernelINS0_14default_configENS1_38merge_sort_block_merge_config_selectorIhNS0_10empty_typeEEEZZNS1_27merge_sort_block_merge_implIS3_N6thrust23THRUST_200600_302600_NS6detail15normal_iteratorINS9_10device_ptrIhEEEEPS5_m14custom_greaterIhEEE10hipError_tT0_T1_T2_jT3_P12ihipStream_tbPNSt15iterator_traitsISJ_E10value_typeEPNSP_ISK_E10value_typeEPSL_NS1_7vsmem_tEENKUlT_SJ_SK_SL_E_clISE_PhSF_SF_EESI_SY_SJ_SK_SL_EUlSY_E_NS1_11comp_targetILNS1_3genE5ELNS1_11target_archE942ELNS1_3gpuE9ELNS1_3repE0EEENS1_48merge_mergepath_partition_config_static_selectorELNS0_4arch9wavefront6targetE1EEEvSK_
                                        ; -- End function
	.section	.AMDGPU.csdata,"",@progbits
; Kernel info:
; codeLenInByte = 0
; NumSgprs: 4
; NumVgprs: 0
; NumAgprs: 0
; TotalNumVgprs: 0
; ScratchSize: 0
; MemoryBound: 0
; FloatMode: 240
; IeeeMode: 1
; LDSByteSize: 0 bytes/workgroup (compile time only)
; SGPRBlocks: 0
; VGPRBlocks: 0
; NumSGPRsForWavesPerEU: 4
; NumVGPRsForWavesPerEU: 1
; AccumOffset: 4
; Occupancy: 8
; WaveLimiterHint : 0
; COMPUTE_PGM_RSRC2:SCRATCH_EN: 0
; COMPUTE_PGM_RSRC2:USER_SGPR: 6
; COMPUTE_PGM_RSRC2:TRAP_HANDLER: 0
; COMPUTE_PGM_RSRC2:TGID_X_EN: 1
; COMPUTE_PGM_RSRC2:TGID_Y_EN: 0
; COMPUTE_PGM_RSRC2:TGID_Z_EN: 0
; COMPUTE_PGM_RSRC2:TIDIG_COMP_CNT: 0
; COMPUTE_PGM_RSRC3_GFX90A:ACCUM_OFFSET: 0
; COMPUTE_PGM_RSRC3_GFX90A:TG_SPLIT: 0
	.section	.text._ZN7rocprim17ROCPRIM_400000_NS6detail17trampoline_kernelINS0_14default_configENS1_38merge_sort_block_merge_config_selectorIhNS0_10empty_typeEEEZZNS1_27merge_sort_block_merge_implIS3_N6thrust23THRUST_200600_302600_NS6detail15normal_iteratorINS9_10device_ptrIhEEEEPS5_m14custom_greaterIhEEE10hipError_tT0_T1_T2_jT3_P12ihipStream_tbPNSt15iterator_traitsISJ_E10value_typeEPNSP_ISK_E10value_typeEPSL_NS1_7vsmem_tEENKUlT_SJ_SK_SL_E_clISE_PhSF_SF_EESI_SY_SJ_SK_SL_EUlSY_E_NS1_11comp_targetILNS1_3genE4ELNS1_11target_archE910ELNS1_3gpuE8ELNS1_3repE0EEENS1_48merge_mergepath_partition_config_static_selectorELNS0_4arch9wavefront6targetE1EEEvSK_,"axG",@progbits,_ZN7rocprim17ROCPRIM_400000_NS6detail17trampoline_kernelINS0_14default_configENS1_38merge_sort_block_merge_config_selectorIhNS0_10empty_typeEEEZZNS1_27merge_sort_block_merge_implIS3_N6thrust23THRUST_200600_302600_NS6detail15normal_iteratorINS9_10device_ptrIhEEEEPS5_m14custom_greaterIhEEE10hipError_tT0_T1_T2_jT3_P12ihipStream_tbPNSt15iterator_traitsISJ_E10value_typeEPNSP_ISK_E10value_typeEPSL_NS1_7vsmem_tEENKUlT_SJ_SK_SL_E_clISE_PhSF_SF_EESI_SY_SJ_SK_SL_EUlSY_E_NS1_11comp_targetILNS1_3genE4ELNS1_11target_archE910ELNS1_3gpuE8ELNS1_3repE0EEENS1_48merge_mergepath_partition_config_static_selectorELNS0_4arch9wavefront6targetE1EEEvSK_,comdat
	.protected	_ZN7rocprim17ROCPRIM_400000_NS6detail17trampoline_kernelINS0_14default_configENS1_38merge_sort_block_merge_config_selectorIhNS0_10empty_typeEEEZZNS1_27merge_sort_block_merge_implIS3_N6thrust23THRUST_200600_302600_NS6detail15normal_iteratorINS9_10device_ptrIhEEEEPS5_m14custom_greaterIhEEE10hipError_tT0_T1_T2_jT3_P12ihipStream_tbPNSt15iterator_traitsISJ_E10value_typeEPNSP_ISK_E10value_typeEPSL_NS1_7vsmem_tEENKUlT_SJ_SK_SL_E_clISE_PhSF_SF_EESI_SY_SJ_SK_SL_EUlSY_E_NS1_11comp_targetILNS1_3genE4ELNS1_11target_archE910ELNS1_3gpuE8ELNS1_3repE0EEENS1_48merge_mergepath_partition_config_static_selectorELNS0_4arch9wavefront6targetE1EEEvSK_ ; -- Begin function _ZN7rocprim17ROCPRIM_400000_NS6detail17trampoline_kernelINS0_14default_configENS1_38merge_sort_block_merge_config_selectorIhNS0_10empty_typeEEEZZNS1_27merge_sort_block_merge_implIS3_N6thrust23THRUST_200600_302600_NS6detail15normal_iteratorINS9_10device_ptrIhEEEEPS5_m14custom_greaterIhEEE10hipError_tT0_T1_T2_jT3_P12ihipStream_tbPNSt15iterator_traitsISJ_E10value_typeEPNSP_ISK_E10value_typeEPSL_NS1_7vsmem_tEENKUlT_SJ_SK_SL_E_clISE_PhSF_SF_EESI_SY_SJ_SK_SL_EUlSY_E_NS1_11comp_targetILNS1_3genE4ELNS1_11target_archE910ELNS1_3gpuE8ELNS1_3repE0EEENS1_48merge_mergepath_partition_config_static_selectorELNS0_4arch9wavefront6targetE1EEEvSK_
	.globl	_ZN7rocprim17ROCPRIM_400000_NS6detail17trampoline_kernelINS0_14default_configENS1_38merge_sort_block_merge_config_selectorIhNS0_10empty_typeEEEZZNS1_27merge_sort_block_merge_implIS3_N6thrust23THRUST_200600_302600_NS6detail15normal_iteratorINS9_10device_ptrIhEEEEPS5_m14custom_greaterIhEEE10hipError_tT0_T1_T2_jT3_P12ihipStream_tbPNSt15iterator_traitsISJ_E10value_typeEPNSP_ISK_E10value_typeEPSL_NS1_7vsmem_tEENKUlT_SJ_SK_SL_E_clISE_PhSF_SF_EESI_SY_SJ_SK_SL_EUlSY_E_NS1_11comp_targetILNS1_3genE4ELNS1_11target_archE910ELNS1_3gpuE8ELNS1_3repE0EEENS1_48merge_mergepath_partition_config_static_selectorELNS0_4arch9wavefront6targetE1EEEvSK_
	.p2align	8
	.type	_ZN7rocprim17ROCPRIM_400000_NS6detail17trampoline_kernelINS0_14default_configENS1_38merge_sort_block_merge_config_selectorIhNS0_10empty_typeEEEZZNS1_27merge_sort_block_merge_implIS3_N6thrust23THRUST_200600_302600_NS6detail15normal_iteratorINS9_10device_ptrIhEEEEPS5_m14custom_greaterIhEEE10hipError_tT0_T1_T2_jT3_P12ihipStream_tbPNSt15iterator_traitsISJ_E10value_typeEPNSP_ISK_E10value_typeEPSL_NS1_7vsmem_tEENKUlT_SJ_SK_SL_E_clISE_PhSF_SF_EESI_SY_SJ_SK_SL_EUlSY_E_NS1_11comp_targetILNS1_3genE4ELNS1_11target_archE910ELNS1_3gpuE8ELNS1_3repE0EEENS1_48merge_mergepath_partition_config_static_selectorELNS0_4arch9wavefront6targetE1EEEvSK_,@function
_ZN7rocprim17ROCPRIM_400000_NS6detail17trampoline_kernelINS0_14default_configENS1_38merge_sort_block_merge_config_selectorIhNS0_10empty_typeEEEZZNS1_27merge_sort_block_merge_implIS3_N6thrust23THRUST_200600_302600_NS6detail15normal_iteratorINS9_10device_ptrIhEEEEPS5_m14custom_greaterIhEEE10hipError_tT0_T1_T2_jT3_P12ihipStream_tbPNSt15iterator_traitsISJ_E10value_typeEPNSP_ISK_E10value_typeEPSL_NS1_7vsmem_tEENKUlT_SJ_SK_SL_E_clISE_PhSF_SF_EESI_SY_SJ_SK_SL_EUlSY_E_NS1_11comp_targetILNS1_3genE4ELNS1_11target_archE910ELNS1_3gpuE8ELNS1_3repE0EEENS1_48merge_mergepath_partition_config_static_selectorELNS0_4arch9wavefront6targetE1EEEvSK_: ; @_ZN7rocprim17ROCPRIM_400000_NS6detail17trampoline_kernelINS0_14default_configENS1_38merge_sort_block_merge_config_selectorIhNS0_10empty_typeEEEZZNS1_27merge_sort_block_merge_implIS3_N6thrust23THRUST_200600_302600_NS6detail15normal_iteratorINS9_10device_ptrIhEEEEPS5_m14custom_greaterIhEEE10hipError_tT0_T1_T2_jT3_P12ihipStream_tbPNSt15iterator_traitsISJ_E10value_typeEPNSP_ISK_E10value_typeEPSL_NS1_7vsmem_tEENKUlT_SJ_SK_SL_E_clISE_PhSF_SF_EESI_SY_SJ_SK_SL_EUlSY_E_NS1_11comp_targetILNS1_3genE4ELNS1_11target_archE910ELNS1_3gpuE8ELNS1_3repE0EEENS1_48merge_mergepath_partition_config_static_selectorELNS0_4arch9wavefront6targetE1EEEvSK_
; %bb.0:
	s_load_dword s0, s[4:5], 0x0
	v_lshl_or_b32 v0, s6, 7, v0
	s_waitcnt lgkmcnt(0)
	v_cmp_gt_u32_e32 vcc, s0, v0
	s_and_saveexec_b64 s[0:1], vcc
	s_cbranch_execz .LBB2888_6
; %bb.1:
	s_load_dwordx4 s[0:3], s[4:5], 0x8
	s_load_dwordx2 s[6:7], s[4:5], 0x28
	v_mov_b32_e32 v5, 0
	s_waitcnt lgkmcnt(0)
	v_mov_b32_e32 v1, s0
	v_alignbit_b32 v1, s1, v1, 9
	v_and_b32_e32 v1, -2, v1
	v_add_u32_e32 v2, -1, v1
	v_sub_u32_e32 v1, 0, v1
	v_and_b32_e32 v4, v0, v1
	v_lshlrev_b64 v[8:9], 10, v[4:5]
	v_mov_b32_e32 v4, s3
	v_cmp_lt_u64_e32 vcc, s[2:3], v[8:9]
	v_mov_b32_e32 v7, s2
	v_and_b32_e32 v6, v2, v0
	v_cndmask_b32_e32 v1, v9, v4, vcc
	v_cndmask_b32_e32 v2, v8, v7, vcc
	v_mov_b32_e32 v3, s1
	v_add_co_u32_e32 v8, vcc, s0, v8
	v_addc_co_u32_e32 v9, vcc, v9, v3, vcc
	v_cmp_lt_u64_e32 vcc, s[2:3], v[8:9]
	v_cndmask_b32_e32 v8, v8, v7, vcc
	v_cndmask_b32_e32 v3, v9, v4, vcc
	v_mov_b32_e32 v9, s1
	v_add_co_u32_e32 v10, vcc, s0, v8
	v_addc_co_u32_e32 v11, vcc, v3, v9, vcc
	v_cmp_lt_u64_e32 vcc, s[2:3], v[10:11]
	v_cndmask_b32_e32 v12, v10, v7, vcc
	v_cndmask_b32_e32 v9, v11, v4, vcc
	v_sub_co_u32_e32 v10, vcc, v12, v2
	v_mov_b32_e32 v7, v5
	v_subb_co_u32_e32 v11, vcc, v9, v1, vcc
	v_lshlrev_b64 v[4:5], 10, v[6:7]
	v_cmp_lt_u64_e32 vcc, v[10:11], v[4:5]
	v_cndmask_b32_e32 v11, v5, v11, vcc
	v_cndmask_b32_e32 v10, v4, v10, vcc
	v_sub_co_u32_e32 v6, vcc, v8, v2
	v_subb_co_u32_e32 v7, vcc, v3, v1, vcc
	v_sub_co_u32_e32 v4, vcc, v8, v12
	v_subb_co_u32_e32 v5, vcc, v3, v9, vcc
	v_add_co_u32_e32 v4, vcc, v10, v4
	v_addc_co_u32_e32 v5, vcc, v11, v5, vcc
	v_cmp_gt_u64_e32 vcc, v[4:5], v[10:11]
	v_cndmask_b32_e64 v5, v5, 0, vcc
	v_cndmask_b32_e64 v4, v4, 0, vcc
	v_cmp_lt_u64_e32 vcc, v[10:11], v[6:7]
	v_cndmask_b32_e32 v7, v7, v11, vcc
	v_cndmask_b32_e32 v6, v6, v10, vcc
	v_cmp_lt_u64_e32 vcc, v[4:5], v[6:7]
	s_and_saveexec_b64 s[0:1], vcc
	s_cbranch_execz .LBB2888_5
; %bb.2:
	s_load_dwordx2 s[2:3], s[4:5], 0x18
	s_waitcnt lgkmcnt(0)
	v_mov_b32_e32 v13, s3
	v_add_co_u32_e32 v9, vcc, s2, v2
	v_addc_co_u32_e32 v12, vcc, v13, v1, vcc
	v_add_co_u32_e32 v8, vcc, s2, v8
	v_addc_co_u32_e32 v13, vcc, v13, v3, vcc
	;; [unrolled: 2-line block ×3, first 2 shown]
	s_mov_b64 s[2:3], 0
.LBB2888_3:                             ; =>This Inner Loop Header: Depth=1
	v_add_co_u32_e32 v10, vcc, v6, v4
	v_addc_co_u32_e32 v11, vcc, v7, v5, vcc
	v_lshrrev_b64 v[10:11], 1, v[10:11]
	v_add_co_u32_e32 v14, vcc, v9, v10
	v_not_b32_e32 v16, v10
	v_addc_co_u32_e32 v15, vcc, v12, v11, vcc
	v_not_b32_e32 v13, v11
	v_add_co_u32_e32 v16, vcc, v3, v16
	v_addc_co_u32_e32 v17, vcc, v8, v13, vcc
	flat_load_ubyte v13, v[14:15]
	flat_load_ubyte v18, v[16:17]
	v_add_co_u32_e32 v14, vcc, 1, v10
	v_addc_co_u32_e32 v15, vcc, 0, v11, vcc
	s_waitcnt vmcnt(0) lgkmcnt(0)
	v_cmp_gt_u16_e32 vcc, v13, v18
	v_cndmask_b32_e32 v7, v7, v11, vcc
	v_cndmask_b32_e32 v6, v6, v10, vcc
	;; [unrolled: 1-line block ×4, first 2 shown]
	v_cmp_ge_u64_e32 vcc, v[4:5], v[6:7]
	s_or_b64 s[2:3], vcc, s[2:3]
	s_andn2_b64 exec, exec, s[2:3]
	s_cbranch_execnz .LBB2888_3
; %bb.4:
	s_or_b64 exec, exec, s[2:3]
.LBB2888_5:
	s_or_b64 exec, exec, s[0:1]
	v_add_co_u32_e32 v2, vcc, v4, v2
	v_addc_co_u32_e32 v3, vcc, v5, v1, vcc
	v_mov_b32_e32 v1, 0
	v_lshlrev_b64 v[0:1], 3, v[0:1]
	v_mov_b32_e32 v4, s7
	v_add_co_u32_e32 v0, vcc, s6, v0
	v_addc_co_u32_e32 v1, vcc, v4, v1, vcc
	global_store_dwordx2 v[0:1], v[2:3], off
.LBB2888_6:
	s_endpgm
	.section	.rodata,"a",@progbits
	.p2align	6, 0x0
	.amdhsa_kernel _ZN7rocprim17ROCPRIM_400000_NS6detail17trampoline_kernelINS0_14default_configENS1_38merge_sort_block_merge_config_selectorIhNS0_10empty_typeEEEZZNS1_27merge_sort_block_merge_implIS3_N6thrust23THRUST_200600_302600_NS6detail15normal_iteratorINS9_10device_ptrIhEEEEPS5_m14custom_greaterIhEEE10hipError_tT0_T1_T2_jT3_P12ihipStream_tbPNSt15iterator_traitsISJ_E10value_typeEPNSP_ISK_E10value_typeEPSL_NS1_7vsmem_tEENKUlT_SJ_SK_SL_E_clISE_PhSF_SF_EESI_SY_SJ_SK_SL_EUlSY_E_NS1_11comp_targetILNS1_3genE4ELNS1_11target_archE910ELNS1_3gpuE8ELNS1_3repE0EEENS1_48merge_mergepath_partition_config_static_selectorELNS0_4arch9wavefront6targetE1EEEvSK_
		.amdhsa_group_segment_fixed_size 0
		.amdhsa_private_segment_fixed_size 0
		.amdhsa_kernarg_size 48
		.amdhsa_user_sgpr_count 6
		.amdhsa_user_sgpr_private_segment_buffer 1
		.amdhsa_user_sgpr_dispatch_ptr 0
		.amdhsa_user_sgpr_queue_ptr 0
		.amdhsa_user_sgpr_kernarg_segment_ptr 1
		.amdhsa_user_sgpr_dispatch_id 0
		.amdhsa_user_sgpr_flat_scratch_init 0
		.amdhsa_user_sgpr_kernarg_preload_length 0
		.amdhsa_user_sgpr_kernarg_preload_offset 0
		.amdhsa_user_sgpr_private_segment_size 0
		.amdhsa_uses_dynamic_stack 0
		.amdhsa_system_sgpr_private_segment_wavefront_offset 0
		.amdhsa_system_sgpr_workgroup_id_x 1
		.amdhsa_system_sgpr_workgroup_id_y 0
		.amdhsa_system_sgpr_workgroup_id_z 0
		.amdhsa_system_sgpr_workgroup_info 0
		.amdhsa_system_vgpr_workitem_id 0
		.amdhsa_next_free_vgpr 19
		.amdhsa_next_free_sgpr 8
		.amdhsa_accum_offset 20
		.amdhsa_reserve_vcc 1
		.amdhsa_reserve_flat_scratch 0
		.amdhsa_float_round_mode_32 0
		.amdhsa_float_round_mode_16_64 0
		.amdhsa_float_denorm_mode_32 3
		.amdhsa_float_denorm_mode_16_64 3
		.amdhsa_dx10_clamp 1
		.amdhsa_ieee_mode 1
		.amdhsa_fp16_overflow 0
		.amdhsa_tg_split 0
		.amdhsa_exception_fp_ieee_invalid_op 0
		.amdhsa_exception_fp_denorm_src 0
		.amdhsa_exception_fp_ieee_div_zero 0
		.amdhsa_exception_fp_ieee_overflow 0
		.amdhsa_exception_fp_ieee_underflow 0
		.amdhsa_exception_fp_ieee_inexact 0
		.amdhsa_exception_int_div_zero 0
	.end_amdhsa_kernel
	.section	.text._ZN7rocprim17ROCPRIM_400000_NS6detail17trampoline_kernelINS0_14default_configENS1_38merge_sort_block_merge_config_selectorIhNS0_10empty_typeEEEZZNS1_27merge_sort_block_merge_implIS3_N6thrust23THRUST_200600_302600_NS6detail15normal_iteratorINS9_10device_ptrIhEEEEPS5_m14custom_greaterIhEEE10hipError_tT0_T1_T2_jT3_P12ihipStream_tbPNSt15iterator_traitsISJ_E10value_typeEPNSP_ISK_E10value_typeEPSL_NS1_7vsmem_tEENKUlT_SJ_SK_SL_E_clISE_PhSF_SF_EESI_SY_SJ_SK_SL_EUlSY_E_NS1_11comp_targetILNS1_3genE4ELNS1_11target_archE910ELNS1_3gpuE8ELNS1_3repE0EEENS1_48merge_mergepath_partition_config_static_selectorELNS0_4arch9wavefront6targetE1EEEvSK_,"axG",@progbits,_ZN7rocprim17ROCPRIM_400000_NS6detail17trampoline_kernelINS0_14default_configENS1_38merge_sort_block_merge_config_selectorIhNS0_10empty_typeEEEZZNS1_27merge_sort_block_merge_implIS3_N6thrust23THRUST_200600_302600_NS6detail15normal_iteratorINS9_10device_ptrIhEEEEPS5_m14custom_greaterIhEEE10hipError_tT0_T1_T2_jT3_P12ihipStream_tbPNSt15iterator_traitsISJ_E10value_typeEPNSP_ISK_E10value_typeEPSL_NS1_7vsmem_tEENKUlT_SJ_SK_SL_E_clISE_PhSF_SF_EESI_SY_SJ_SK_SL_EUlSY_E_NS1_11comp_targetILNS1_3genE4ELNS1_11target_archE910ELNS1_3gpuE8ELNS1_3repE0EEENS1_48merge_mergepath_partition_config_static_selectorELNS0_4arch9wavefront6targetE1EEEvSK_,comdat
.Lfunc_end2888:
	.size	_ZN7rocprim17ROCPRIM_400000_NS6detail17trampoline_kernelINS0_14default_configENS1_38merge_sort_block_merge_config_selectorIhNS0_10empty_typeEEEZZNS1_27merge_sort_block_merge_implIS3_N6thrust23THRUST_200600_302600_NS6detail15normal_iteratorINS9_10device_ptrIhEEEEPS5_m14custom_greaterIhEEE10hipError_tT0_T1_T2_jT3_P12ihipStream_tbPNSt15iterator_traitsISJ_E10value_typeEPNSP_ISK_E10value_typeEPSL_NS1_7vsmem_tEENKUlT_SJ_SK_SL_E_clISE_PhSF_SF_EESI_SY_SJ_SK_SL_EUlSY_E_NS1_11comp_targetILNS1_3genE4ELNS1_11target_archE910ELNS1_3gpuE8ELNS1_3repE0EEENS1_48merge_mergepath_partition_config_static_selectorELNS0_4arch9wavefront6targetE1EEEvSK_, .Lfunc_end2888-_ZN7rocprim17ROCPRIM_400000_NS6detail17trampoline_kernelINS0_14default_configENS1_38merge_sort_block_merge_config_selectorIhNS0_10empty_typeEEEZZNS1_27merge_sort_block_merge_implIS3_N6thrust23THRUST_200600_302600_NS6detail15normal_iteratorINS9_10device_ptrIhEEEEPS5_m14custom_greaterIhEEE10hipError_tT0_T1_T2_jT3_P12ihipStream_tbPNSt15iterator_traitsISJ_E10value_typeEPNSP_ISK_E10value_typeEPSL_NS1_7vsmem_tEENKUlT_SJ_SK_SL_E_clISE_PhSF_SF_EESI_SY_SJ_SK_SL_EUlSY_E_NS1_11comp_targetILNS1_3genE4ELNS1_11target_archE910ELNS1_3gpuE8ELNS1_3repE0EEENS1_48merge_mergepath_partition_config_static_selectorELNS0_4arch9wavefront6targetE1EEEvSK_
                                        ; -- End function
	.section	.AMDGPU.csdata,"",@progbits
; Kernel info:
; codeLenInByte = 464
; NumSgprs: 12
; NumVgprs: 19
; NumAgprs: 0
; TotalNumVgprs: 19
; ScratchSize: 0
; MemoryBound: 0
; FloatMode: 240
; IeeeMode: 1
; LDSByteSize: 0 bytes/workgroup (compile time only)
; SGPRBlocks: 1
; VGPRBlocks: 2
; NumSGPRsForWavesPerEU: 12
; NumVGPRsForWavesPerEU: 19
; AccumOffset: 20
; Occupancy: 8
; WaveLimiterHint : 0
; COMPUTE_PGM_RSRC2:SCRATCH_EN: 0
; COMPUTE_PGM_RSRC2:USER_SGPR: 6
; COMPUTE_PGM_RSRC2:TRAP_HANDLER: 0
; COMPUTE_PGM_RSRC2:TGID_X_EN: 1
; COMPUTE_PGM_RSRC2:TGID_Y_EN: 0
; COMPUTE_PGM_RSRC2:TGID_Z_EN: 0
; COMPUTE_PGM_RSRC2:TIDIG_COMP_CNT: 0
; COMPUTE_PGM_RSRC3_GFX90A:ACCUM_OFFSET: 4
; COMPUTE_PGM_RSRC3_GFX90A:TG_SPLIT: 0
	.section	.text._ZN7rocprim17ROCPRIM_400000_NS6detail17trampoline_kernelINS0_14default_configENS1_38merge_sort_block_merge_config_selectorIhNS0_10empty_typeEEEZZNS1_27merge_sort_block_merge_implIS3_N6thrust23THRUST_200600_302600_NS6detail15normal_iteratorINS9_10device_ptrIhEEEEPS5_m14custom_greaterIhEEE10hipError_tT0_T1_T2_jT3_P12ihipStream_tbPNSt15iterator_traitsISJ_E10value_typeEPNSP_ISK_E10value_typeEPSL_NS1_7vsmem_tEENKUlT_SJ_SK_SL_E_clISE_PhSF_SF_EESI_SY_SJ_SK_SL_EUlSY_E_NS1_11comp_targetILNS1_3genE3ELNS1_11target_archE908ELNS1_3gpuE7ELNS1_3repE0EEENS1_48merge_mergepath_partition_config_static_selectorELNS0_4arch9wavefront6targetE1EEEvSK_,"axG",@progbits,_ZN7rocprim17ROCPRIM_400000_NS6detail17trampoline_kernelINS0_14default_configENS1_38merge_sort_block_merge_config_selectorIhNS0_10empty_typeEEEZZNS1_27merge_sort_block_merge_implIS3_N6thrust23THRUST_200600_302600_NS6detail15normal_iteratorINS9_10device_ptrIhEEEEPS5_m14custom_greaterIhEEE10hipError_tT0_T1_T2_jT3_P12ihipStream_tbPNSt15iterator_traitsISJ_E10value_typeEPNSP_ISK_E10value_typeEPSL_NS1_7vsmem_tEENKUlT_SJ_SK_SL_E_clISE_PhSF_SF_EESI_SY_SJ_SK_SL_EUlSY_E_NS1_11comp_targetILNS1_3genE3ELNS1_11target_archE908ELNS1_3gpuE7ELNS1_3repE0EEENS1_48merge_mergepath_partition_config_static_selectorELNS0_4arch9wavefront6targetE1EEEvSK_,comdat
	.protected	_ZN7rocprim17ROCPRIM_400000_NS6detail17trampoline_kernelINS0_14default_configENS1_38merge_sort_block_merge_config_selectorIhNS0_10empty_typeEEEZZNS1_27merge_sort_block_merge_implIS3_N6thrust23THRUST_200600_302600_NS6detail15normal_iteratorINS9_10device_ptrIhEEEEPS5_m14custom_greaterIhEEE10hipError_tT0_T1_T2_jT3_P12ihipStream_tbPNSt15iterator_traitsISJ_E10value_typeEPNSP_ISK_E10value_typeEPSL_NS1_7vsmem_tEENKUlT_SJ_SK_SL_E_clISE_PhSF_SF_EESI_SY_SJ_SK_SL_EUlSY_E_NS1_11comp_targetILNS1_3genE3ELNS1_11target_archE908ELNS1_3gpuE7ELNS1_3repE0EEENS1_48merge_mergepath_partition_config_static_selectorELNS0_4arch9wavefront6targetE1EEEvSK_ ; -- Begin function _ZN7rocprim17ROCPRIM_400000_NS6detail17trampoline_kernelINS0_14default_configENS1_38merge_sort_block_merge_config_selectorIhNS0_10empty_typeEEEZZNS1_27merge_sort_block_merge_implIS3_N6thrust23THRUST_200600_302600_NS6detail15normal_iteratorINS9_10device_ptrIhEEEEPS5_m14custom_greaterIhEEE10hipError_tT0_T1_T2_jT3_P12ihipStream_tbPNSt15iterator_traitsISJ_E10value_typeEPNSP_ISK_E10value_typeEPSL_NS1_7vsmem_tEENKUlT_SJ_SK_SL_E_clISE_PhSF_SF_EESI_SY_SJ_SK_SL_EUlSY_E_NS1_11comp_targetILNS1_3genE3ELNS1_11target_archE908ELNS1_3gpuE7ELNS1_3repE0EEENS1_48merge_mergepath_partition_config_static_selectorELNS0_4arch9wavefront6targetE1EEEvSK_
	.globl	_ZN7rocprim17ROCPRIM_400000_NS6detail17trampoline_kernelINS0_14default_configENS1_38merge_sort_block_merge_config_selectorIhNS0_10empty_typeEEEZZNS1_27merge_sort_block_merge_implIS3_N6thrust23THRUST_200600_302600_NS6detail15normal_iteratorINS9_10device_ptrIhEEEEPS5_m14custom_greaterIhEEE10hipError_tT0_T1_T2_jT3_P12ihipStream_tbPNSt15iterator_traitsISJ_E10value_typeEPNSP_ISK_E10value_typeEPSL_NS1_7vsmem_tEENKUlT_SJ_SK_SL_E_clISE_PhSF_SF_EESI_SY_SJ_SK_SL_EUlSY_E_NS1_11comp_targetILNS1_3genE3ELNS1_11target_archE908ELNS1_3gpuE7ELNS1_3repE0EEENS1_48merge_mergepath_partition_config_static_selectorELNS0_4arch9wavefront6targetE1EEEvSK_
	.p2align	8
	.type	_ZN7rocprim17ROCPRIM_400000_NS6detail17trampoline_kernelINS0_14default_configENS1_38merge_sort_block_merge_config_selectorIhNS0_10empty_typeEEEZZNS1_27merge_sort_block_merge_implIS3_N6thrust23THRUST_200600_302600_NS6detail15normal_iteratorINS9_10device_ptrIhEEEEPS5_m14custom_greaterIhEEE10hipError_tT0_T1_T2_jT3_P12ihipStream_tbPNSt15iterator_traitsISJ_E10value_typeEPNSP_ISK_E10value_typeEPSL_NS1_7vsmem_tEENKUlT_SJ_SK_SL_E_clISE_PhSF_SF_EESI_SY_SJ_SK_SL_EUlSY_E_NS1_11comp_targetILNS1_3genE3ELNS1_11target_archE908ELNS1_3gpuE7ELNS1_3repE0EEENS1_48merge_mergepath_partition_config_static_selectorELNS0_4arch9wavefront6targetE1EEEvSK_,@function
_ZN7rocprim17ROCPRIM_400000_NS6detail17trampoline_kernelINS0_14default_configENS1_38merge_sort_block_merge_config_selectorIhNS0_10empty_typeEEEZZNS1_27merge_sort_block_merge_implIS3_N6thrust23THRUST_200600_302600_NS6detail15normal_iteratorINS9_10device_ptrIhEEEEPS5_m14custom_greaterIhEEE10hipError_tT0_T1_T2_jT3_P12ihipStream_tbPNSt15iterator_traitsISJ_E10value_typeEPNSP_ISK_E10value_typeEPSL_NS1_7vsmem_tEENKUlT_SJ_SK_SL_E_clISE_PhSF_SF_EESI_SY_SJ_SK_SL_EUlSY_E_NS1_11comp_targetILNS1_3genE3ELNS1_11target_archE908ELNS1_3gpuE7ELNS1_3repE0EEENS1_48merge_mergepath_partition_config_static_selectorELNS0_4arch9wavefront6targetE1EEEvSK_: ; @_ZN7rocprim17ROCPRIM_400000_NS6detail17trampoline_kernelINS0_14default_configENS1_38merge_sort_block_merge_config_selectorIhNS0_10empty_typeEEEZZNS1_27merge_sort_block_merge_implIS3_N6thrust23THRUST_200600_302600_NS6detail15normal_iteratorINS9_10device_ptrIhEEEEPS5_m14custom_greaterIhEEE10hipError_tT0_T1_T2_jT3_P12ihipStream_tbPNSt15iterator_traitsISJ_E10value_typeEPNSP_ISK_E10value_typeEPSL_NS1_7vsmem_tEENKUlT_SJ_SK_SL_E_clISE_PhSF_SF_EESI_SY_SJ_SK_SL_EUlSY_E_NS1_11comp_targetILNS1_3genE3ELNS1_11target_archE908ELNS1_3gpuE7ELNS1_3repE0EEENS1_48merge_mergepath_partition_config_static_selectorELNS0_4arch9wavefront6targetE1EEEvSK_
; %bb.0:
	.section	.rodata,"a",@progbits
	.p2align	6, 0x0
	.amdhsa_kernel _ZN7rocprim17ROCPRIM_400000_NS6detail17trampoline_kernelINS0_14default_configENS1_38merge_sort_block_merge_config_selectorIhNS0_10empty_typeEEEZZNS1_27merge_sort_block_merge_implIS3_N6thrust23THRUST_200600_302600_NS6detail15normal_iteratorINS9_10device_ptrIhEEEEPS5_m14custom_greaterIhEEE10hipError_tT0_T1_T2_jT3_P12ihipStream_tbPNSt15iterator_traitsISJ_E10value_typeEPNSP_ISK_E10value_typeEPSL_NS1_7vsmem_tEENKUlT_SJ_SK_SL_E_clISE_PhSF_SF_EESI_SY_SJ_SK_SL_EUlSY_E_NS1_11comp_targetILNS1_3genE3ELNS1_11target_archE908ELNS1_3gpuE7ELNS1_3repE0EEENS1_48merge_mergepath_partition_config_static_selectorELNS0_4arch9wavefront6targetE1EEEvSK_
		.amdhsa_group_segment_fixed_size 0
		.amdhsa_private_segment_fixed_size 0
		.amdhsa_kernarg_size 48
		.amdhsa_user_sgpr_count 6
		.amdhsa_user_sgpr_private_segment_buffer 1
		.amdhsa_user_sgpr_dispatch_ptr 0
		.amdhsa_user_sgpr_queue_ptr 0
		.amdhsa_user_sgpr_kernarg_segment_ptr 1
		.amdhsa_user_sgpr_dispatch_id 0
		.amdhsa_user_sgpr_flat_scratch_init 0
		.amdhsa_user_sgpr_kernarg_preload_length 0
		.amdhsa_user_sgpr_kernarg_preload_offset 0
		.amdhsa_user_sgpr_private_segment_size 0
		.amdhsa_uses_dynamic_stack 0
		.amdhsa_system_sgpr_private_segment_wavefront_offset 0
		.amdhsa_system_sgpr_workgroup_id_x 1
		.amdhsa_system_sgpr_workgroup_id_y 0
		.amdhsa_system_sgpr_workgroup_id_z 0
		.amdhsa_system_sgpr_workgroup_info 0
		.amdhsa_system_vgpr_workitem_id 0
		.amdhsa_next_free_vgpr 1
		.amdhsa_next_free_sgpr 0
		.amdhsa_accum_offset 4
		.amdhsa_reserve_vcc 0
		.amdhsa_reserve_flat_scratch 0
		.amdhsa_float_round_mode_32 0
		.amdhsa_float_round_mode_16_64 0
		.amdhsa_float_denorm_mode_32 3
		.amdhsa_float_denorm_mode_16_64 3
		.amdhsa_dx10_clamp 1
		.amdhsa_ieee_mode 1
		.amdhsa_fp16_overflow 0
		.amdhsa_tg_split 0
		.amdhsa_exception_fp_ieee_invalid_op 0
		.amdhsa_exception_fp_denorm_src 0
		.amdhsa_exception_fp_ieee_div_zero 0
		.amdhsa_exception_fp_ieee_overflow 0
		.amdhsa_exception_fp_ieee_underflow 0
		.amdhsa_exception_fp_ieee_inexact 0
		.amdhsa_exception_int_div_zero 0
	.end_amdhsa_kernel
	.section	.text._ZN7rocprim17ROCPRIM_400000_NS6detail17trampoline_kernelINS0_14default_configENS1_38merge_sort_block_merge_config_selectorIhNS0_10empty_typeEEEZZNS1_27merge_sort_block_merge_implIS3_N6thrust23THRUST_200600_302600_NS6detail15normal_iteratorINS9_10device_ptrIhEEEEPS5_m14custom_greaterIhEEE10hipError_tT0_T1_T2_jT3_P12ihipStream_tbPNSt15iterator_traitsISJ_E10value_typeEPNSP_ISK_E10value_typeEPSL_NS1_7vsmem_tEENKUlT_SJ_SK_SL_E_clISE_PhSF_SF_EESI_SY_SJ_SK_SL_EUlSY_E_NS1_11comp_targetILNS1_3genE3ELNS1_11target_archE908ELNS1_3gpuE7ELNS1_3repE0EEENS1_48merge_mergepath_partition_config_static_selectorELNS0_4arch9wavefront6targetE1EEEvSK_,"axG",@progbits,_ZN7rocprim17ROCPRIM_400000_NS6detail17trampoline_kernelINS0_14default_configENS1_38merge_sort_block_merge_config_selectorIhNS0_10empty_typeEEEZZNS1_27merge_sort_block_merge_implIS3_N6thrust23THRUST_200600_302600_NS6detail15normal_iteratorINS9_10device_ptrIhEEEEPS5_m14custom_greaterIhEEE10hipError_tT0_T1_T2_jT3_P12ihipStream_tbPNSt15iterator_traitsISJ_E10value_typeEPNSP_ISK_E10value_typeEPSL_NS1_7vsmem_tEENKUlT_SJ_SK_SL_E_clISE_PhSF_SF_EESI_SY_SJ_SK_SL_EUlSY_E_NS1_11comp_targetILNS1_3genE3ELNS1_11target_archE908ELNS1_3gpuE7ELNS1_3repE0EEENS1_48merge_mergepath_partition_config_static_selectorELNS0_4arch9wavefront6targetE1EEEvSK_,comdat
.Lfunc_end2889:
	.size	_ZN7rocprim17ROCPRIM_400000_NS6detail17trampoline_kernelINS0_14default_configENS1_38merge_sort_block_merge_config_selectorIhNS0_10empty_typeEEEZZNS1_27merge_sort_block_merge_implIS3_N6thrust23THRUST_200600_302600_NS6detail15normal_iteratorINS9_10device_ptrIhEEEEPS5_m14custom_greaterIhEEE10hipError_tT0_T1_T2_jT3_P12ihipStream_tbPNSt15iterator_traitsISJ_E10value_typeEPNSP_ISK_E10value_typeEPSL_NS1_7vsmem_tEENKUlT_SJ_SK_SL_E_clISE_PhSF_SF_EESI_SY_SJ_SK_SL_EUlSY_E_NS1_11comp_targetILNS1_3genE3ELNS1_11target_archE908ELNS1_3gpuE7ELNS1_3repE0EEENS1_48merge_mergepath_partition_config_static_selectorELNS0_4arch9wavefront6targetE1EEEvSK_, .Lfunc_end2889-_ZN7rocprim17ROCPRIM_400000_NS6detail17trampoline_kernelINS0_14default_configENS1_38merge_sort_block_merge_config_selectorIhNS0_10empty_typeEEEZZNS1_27merge_sort_block_merge_implIS3_N6thrust23THRUST_200600_302600_NS6detail15normal_iteratorINS9_10device_ptrIhEEEEPS5_m14custom_greaterIhEEE10hipError_tT0_T1_T2_jT3_P12ihipStream_tbPNSt15iterator_traitsISJ_E10value_typeEPNSP_ISK_E10value_typeEPSL_NS1_7vsmem_tEENKUlT_SJ_SK_SL_E_clISE_PhSF_SF_EESI_SY_SJ_SK_SL_EUlSY_E_NS1_11comp_targetILNS1_3genE3ELNS1_11target_archE908ELNS1_3gpuE7ELNS1_3repE0EEENS1_48merge_mergepath_partition_config_static_selectorELNS0_4arch9wavefront6targetE1EEEvSK_
                                        ; -- End function
	.section	.AMDGPU.csdata,"",@progbits
; Kernel info:
; codeLenInByte = 0
; NumSgprs: 4
; NumVgprs: 0
; NumAgprs: 0
; TotalNumVgprs: 0
; ScratchSize: 0
; MemoryBound: 0
; FloatMode: 240
; IeeeMode: 1
; LDSByteSize: 0 bytes/workgroup (compile time only)
; SGPRBlocks: 0
; VGPRBlocks: 0
; NumSGPRsForWavesPerEU: 4
; NumVGPRsForWavesPerEU: 1
; AccumOffset: 4
; Occupancy: 8
; WaveLimiterHint : 0
; COMPUTE_PGM_RSRC2:SCRATCH_EN: 0
; COMPUTE_PGM_RSRC2:USER_SGPR: 6
; COMPUTE_PGM_RSRC2:TRAP_HANDLER: 0
; COMPUTE_PGM_RSRC2:TGID_X_EN: 1
; COMPUTE_PGM_RSRC2:TGID_Y_EN: 0
; COMPUTE_PGM_RSRC2:TGID_Z_EN: 0
; COMPUTE_PGM_RSRC2:TIDIG_COMP_CNT: 0
; COMPUTE_PGM_RSRC3_GFX90A:ACCUM_OFFSET: 0
; COMPUTE_PGM_RSRC3_GFX90A:TG_SPLIT: 0
	.section	.text._ZN7rocprim17ROCPRIM_400000_NS6detail17trampoline_kernelINS0_14default_configENS1_38merge_sort_block_merge_config_selectorIhNS0_10empty_typeEEEZZNS1_27merge_sort_block_merge_implIS3_N6thrust23THRUST_200600_302600_NS6detail15normal_iteratorINS9_10device_ptrIhEEEEPS5_m14custom_greaterIhEEE10hipError_tT0_T1_T2_jT3_P12ihipStream_tbPNSt15iterator_traitsISJ_E10value_typeEPNSP_ISK_E10value_typeEPSL_NS1_7vsmem_tEENKUlT_SJ_SK_SL_E_clISE_PhSF_SF_EESI_SY_SJ_SK_SL_EUlSY_E_NS1_11comp_targetILNS1_3genE2ELNS1_11target_archE906ELNS1_3gpuE6ELNS1_3repE0EEENS1_48merge_mergepath_partition_config_static_selectorELNS0_4arch9wavefront6targetE1EEEvSK_,"axG",@progbits,_ZN7rocprim17ROCPRIM_400000_NS6detail17trampoline_kernelINS0_14default_configENS1_38merge_sort_block_merge_config_selectorIhNS0_10empty_typeEEEZZNS1_27merge_sort_block_merge_implIS3_N6thrust23THRUST_200600_302600_NS6detail15normal_iteratorINS9_10device_ptrIhEEEEPS5_m14custom_greaterIhEEE10hipError_tT0_T1_T2_jT3_P12ihipStream_tbPNSt15iterator_traitsISJ_E10value_typeEPNSP_ISK_E10value_typeEPSL_NS1_7vsmem_tEENKUlT_SJ_SK_SL_E_clISE_PhSF_SF_EESI_SY_SJ_SK_SL_EUlSY_E_NS1_11comp_targetILNS1_3genE2ELNS1_11target_archE906ELNS1_3gpuE6ELNS1_3repE0EEENS1_48merge_mergepath_partition_config_static_selectorELNS0_4arch9wavefront6targetE1EEEvSK_,comdat
	.protected	_ZN7rocprim17ROCPRIM_400000_NS6detail17trampoline_kernelINS0_14default_configENS1_38merge_sort_block_merge_config_selectorIhNS0_10empty_typeEEEZZNS1_27merge_sort_block_merge_implIS3_N6thrust23THRUST_200600_302600_NS6detail15normal_iteratorINS9_10device_ptrIhEEEEPS5_m14custom_greaterIhEEE10hipError_tT0_T1_T2_jT3_P12ihipStream_tbPNSt15iterator_traitsISJ_E10value_typeEPNSP_ISK_E10value_typeEPSL_NS1_7vsmem_tEENKUlT_SJ_SK_SL_E_clISE_PhSF_SF_EESI_SY_SJ_SK_SL_EUlSY_E_NS1_11comp_targetILNS1_3genE2ELNS1_11target_archE906ELNS1_3gpuE6ELNS1_3repE0EEENS1_48merge_mergepath_partition_config_static_selectorELNS0_4arch9wavefront6targetE1EEEvSK_ ; -- Begin function _ZN7rocprim17ROCPRIM_400000_NS6detail17trampoline_kernelINS0_14default_configENS1_38merge_sort_block_merge_config_selectorIhNS0_10empty_typeEEEZZNS1_27merge_sort_block_merge_implIS3_N6thrust23THRUST_200600_302600_NS6detail15normal_iteratorINS9_10device_ptrIhEEEEPS5_m14custom_greaterIhEEE10hipError_tT0_T1_T2_jT3_P12ihipStream_tbPNSt15iterator_traitsISJ_E10value_typeEPNSP_ISK_E10value_typeEPSL_NS1_7vsmem_tEENKUlT_SJ_SK_SL_E_clISE_PhSF_SF_EESI_SY_SJ_SK_SL_EUlSY_E_NS1_11comp_targetILNS1_3genE2ELNS1_11target_archE906ELNS1_3gpuE6ELNS1_3repE0EEENS1_48merge_mergepath_partition_config_static_selectorELNS0_4arch9wavefront6targetE1EEEvSK_
	.globl	_ZN7rocprim17ROCPRIM_400000_NS6detail17trampoline_kernelINS0_14default_configENS1_38merge_sort_block_merge_config_selectorIhNS0_10empty_typeEEEZZNS1_27merge_sort_block_merge_implIS3_N6thrust23THRUST_200600_302600_NS6detail15normal_iteratorINS9_10device_ptrIhEEEEPS5_m14custom_greaterIhEEE10hipError_tT0_T1_T2_jT3_P12ihipStream_tbPNSt15iterator_traitsISJ_E10value_typeEPNSP_ISK_E10value_typeEPSL_NS1_7vsmem_tEENKUlT_SJ_SK_SL_E_clISE_PhSF_SF_EESI_SY_SJ_SK_SL_EUlSY_E_NS1_11comp_targetILNS1_3genE2ELNS1_11target_archE906ELNS1_3gpuE6ELNS1_3repE0EEENS1_48merge_mergepath_partition_config_static_selectorELNS0_4arch9wavefront6targetE1EEEvSK_
	.p2align	8
	.type	_ZN7rocprim17ROCPRIM_400000_NS6detail17trampoline_kernelINS0_14default_configENS1_38merge_sort_block_merge_config_selectorIhNS0_10empty_typeEEEZZNS1_27merge_sort_block_merge_implIS3_N6thrust23THRUST_200600_302600_NS6detail15normal_iteratorINS9_10device_ptrIhEEEEPS5_m14custom_greaterIhEEE10hipError_tT0_T1_T2_jT3_P12ihipStream_tbPNSt15iterator_traitsISJ_E10value_typeEPNSP_ISK_E10value_typeEPSL_NS1_7vsmem_tEENKUlT_SJ_SK_SL_E_clISE_PhSF_SF_EESI_SY_SJ_SK_SL_EUlSY_E_NS1_11comp_targetILNS1_3genE2ELNS1_11target_archE906ELNS1_3gpuE6ELNS1_3repE0EEENS1_48merge_mergepath_partition_config_static_selectorELNS0_4arch9wavefront6targetE1EEEvSK_,@function
_ZN7rocprim17ROCPRIM_400000_NS6detail17trampoline_kernelINS0_14default_configENS1_38merge_sort_block_merge_config_selectorIhNS0_10empty_typeEEEZZNS1_27merge_sort_block_merge_implIS3_N6thrust23THRUST_200600_302600_NS6detail15normal_iteratorINS9_10device_ptrIhEEEEPS5_m14custom_greaterIhEEE10hipError_tT0_T1_T2_jT3_P12ihipStream_tbPNSt15iterator_traitsISJ_E10value_typeEPNSP_ISK_E10value_typeEPSL_NS1_7vsmem_tEENKUlT_SJ_SK_SL_E_clISE_PhSF_SF_EESI_SY_SJ_SK_SL_EUlSY_E_NS1_11comp_targetILNS1_3genE2ELNS1_11target_archE906ELNS1_3gpuE6ELNS1_3repE0EEENS1_48merge_mergepath_partition_config_static_selectorELNS0_4arch9wavefront6targetE1EEEvSK_: ; @_ZN7rocprim17ROCPRIM_400000_NS6detail17trampoline_kernelINS0_14default_configENS1_38merge_sort_block_merge_config_selectorIhNS0_10empty_typeEEEZZNS1_27merge_sort_block_merge_implIS3_N6thrust23THRUST_200600_302600_NS6detail15normal_iteratorINS9_10device_ptrIhEEEEPS5_m14custom_greaterIhEEE10hipError_tT0_T1_T2_jT3_P12ihipStream_tbPNSt15iterator_traitsISJ_E10value_typeEPNSP_ISK_E10value_typeEPSL_NS1_7vsmem_tEENKUlT_SJ_SK_SL_E_clISE_PhSF_SF_EESI_SY_SJ_SK_SL_EUlSY_E_NS1_11comp_targetILNS1_3genE2ELNS1_11target_archE906ELNS1_3gpuE6ELNS1_3repE0EEENS1_48merge_mergepath_partition_config_static_selectorELNS0_4arch9wavefront6targetE1EEEvSK_
; %bb.0:
	.section	.rodata,"a",@progbits
	.p2align	6, 0x0
	.amdhsa_kernel _ZN7rocprim17ROCPRIM_400000_NS6detail17trampoline_kernelINS0_14default_configENS1_38merge_sort_block_merge_config_selectorIhNS0_10empty_typeEEEZZNS1_27merge_sort_block_merge_implIS3_N6thrust23THRUST_200600_302600_NS6detail15normal_iteratorINS9_10device_ptrIhEEEEPS5_m14custom_greaterIhEEE10hipError_tT0_T1_T2_jT3_P12ihipStream_tbPNSt15iterator_traitsISJ_E10value_typeEPNSP_ISK_E10value_typeEPSL_NS1_7vsmem_tEENKUlT_SJ_SK_SL_E_clISE_PhSF_SF_EESI_SY_SJ_SK_SL_EUlSY_E_NS1_11comp_targetILNS1_3genE2ELNS1_11target_archE906ELNS1_3gpuE6ELNS1_3repE0EEENS1_48merge_mergepath_partition_config_static_selectorELNS0_4arch9wavefront6targetE1EEEvSK_
		.amdhsa_group_segment_fixed_size 0
		.amdhsa_private_segment_fixed_size 0
		.amdhsa_kernarg_size 48
		.amdhsa_user_sgpr_count 6
		.amdhsa_user_sgpr_private_segment_buffer 1
		.amdhsa_user_sgpr_dispatch_ptr 0
		.amdhsa_user_sgpr_queue_ptr 0
		.amdhsa_user_sgpr_kernarg_segment_ptr 1
		.amdhsa_user_sgpr_dispatch_id 0
		.amdhsa_user_sgpr_flat_scratch_init 0
		.amdhsa_user_sgpr_kernarg_preload_length 0
		.amdhsa_user_sgpr_kernarg_preload_offset 0
		.amdhsa_user_sgpr_private_segment_size 0
		.amdhsa_uses_dynamic_stack 0
		.amdhsa_system_sgpr_private_segment_wavefront_offset 0
		.amdhsa_system_sgpr_workgroup_id_x 1
		.amdhsa_system_sgpr_workgroup_id_y 0
		.amdhsa_system_sgpr_workgroup_id_z 0
		.amdhsa_system_sgpr_workgroup_info 0
		.amdhsa_system_vgpr_workitem_id 0
		.amdhsa_next_free_vgpr 1
		.amdhsa_next_free_sgpr 0
		.amdhsa_accum_offset 4
		.amdhsa_reserve_vcc 0
		.amdhsa_reserve_flat_scratch 0
		.amdhsa_float_round_mode_32 0
		.amdhsa_float_round_mode_16_64 0
		.amdhsa_float_denorm_mode_32 3
		.amdhsa_float_denorm_mode_16_64 3
		.amdhsa_dx10_clamp 1
		.amdhsa_ieee_mode 1
		.amdhsa_fp16_overflow 0
		.amdhsa_tg_split 0
		.amdhsa_exception_fp_ieee_invalid_op 0
		.amdhsa_exception_fp_denorm_src 0
		.amdhsa_exception_fp_ieee_div_zero 0
		.amdhsa_exception_fp_ieee_overflow 0
		.amdhsa_exception_fp_ieee_underflow 0
		.amdhsa_exception_fp_ieee_inexact 0
		.amdhsa_exception_int_div_zero 0
	.end_amdhsa_kernel
	.section	.text._ZN7rocprim17ROCPRIM_400000_NS6detail17trampoline_kernelINS0_14default_configENS1_38merge_sort_block_merge_config_selectorIhNS0_10empty_typeEEEZZNS1_27merge_sort_block_merge_implIS3_N6thrust23THRUST_200600_302600_NS6detail15normal_iteratorINS9_10device_ptrIhEEEEPS5_m14custom_greaterIhEEE10hipError_tT0_T1_T2_jT3_P12ihipStream_tbPNSt15iterator_traitsISJ_E10value_typeEPNSP_ISK_E10value_typeEPSL_NS1_7vsmem_tEENKUlT_SJ_SK_SL_E_clISE_PhSF_SF_EESI_SY_SJ_SK_SL_EUlSY_E_NS1_11comp_targetILNS1_3genE2ELNS1_11target_archE906ELNS1_3gpuE6ELNS1_3repE0EEENS1_48merge_mergepath_partition_config_static_selectorELNS0_4arch9wavefront6targetE1EEEvSK_,"axG",@progbits,_ZN7rocprim17ROCPRIM_400000_NS6detail17trampoline_kernelINS0_14default_configENS1_38merge_sort_block_merge_config_selectorIhNS0_10empty_typeEEEZZNS1_27merge_sort_block_merge_implIS3_N6thrust23THRUST_200600_302600_NS6detail15normal_iteratorINS9_10device_ptrIhEEEEPS5_m14custom_greaterIhEEE10hipError_tT0_T1_T2_jT3_P12ihipStream_tbPNSt15iterator_traitsISJ_E10value_typeEPNSP_ISK_E10value_typeEPSL_NS1_7vsmem_tEENKUlT_SJ_SK_SL_E_clISE_PhSF_SF_EESI_SY_SJ_SK_SL_EUlSY_E_NS1_11comp_targetILNS1_3genE2ELNS1_11target_archE906ELNS1_3gpuE6ELNS1_3repE0EEENS1_48merge_mergepath_partition_config_static_selectorELNS0_4arch9wavefront6targetE1EEEvSK_,comdat
.Lfunc_end2890:
	.size	_ZN7rocprim17ROCPRIM_400000_NS6detail17trampoline_kernelINS0_14default_configENS1_38merge_sort_block_merge_config_selectorIhNS0_10empty_typeEEEZZNS1_27merge_sort_block_merge_implIS3_N6thrust23THRUST_200600_302600_NS6detail15normal_iteratorINS9_10device_ptrIhEEEEPS5_m14custom_greaterIhEEE10hipError_tT0_T1_T2_jT3_P12ihipStream_tbPNSt15iterator_traitsISJ_E10value_typeEPNSP_ISK_E10value_typeEPSL_NS1_7vsmem_tEENKUlT_SJ_SK_SL_E_clISE_PhSF_SF_EESI_SY_SJ_SK_SL_EUlSY_E_NS1_11comp_targetILNS1_3genE2ELNS1_11target_archE906ELNS1_3gpuE6ELNS1_3repE0EEENS1_48merge_mergepath_partition_config_static_selectorELNS0_4arch9wavefront6targetE1EEEvSK_, .Lfunc_end2890-_ZN7rocprim17ROCPRIM_400000_NS6detail17trampoline_kernelINS0_14default_configENS1_38merge_sort_block_merge_config_selectorIhNS0_10empty_typeEEEZZNS1_27merge_sort_block_merge_implIS3_N6thrust23THRUST_200600_302600_NS6detail15normal_iteratorINS9_10device_ptrIhEEEEPS5_m14custom_greaterIhEEE10hipError_tT0_T1_T2_jT3_P12ihipStream_tbPNSt15iterator_traitsISJ_E10value_typeEPNSP_ISK_E10value_typeEPSL_NS1_7vsmem_tEENKUlT_SJ_SK_SL_E_clISE_PhSF_SF_EESI_SY_SJ_SK_SL_EUlSY_E_NS1_11comp_targetILNS1_3genE2ELNS1_11target_archE906ELNS1_3gpuE6ELNS1_3repE0EEENS1_48merge_mergepath_partition_config_static_selectorELNS0_4arch9wavefront6targetE1EEEvSK_
                                        ; -- End function
	.section	.AMDGPU.csdata,"",@progbits
; Kernel info:
; codeLenInByte = 0
; NumSgprs: 4
; NumVgprs: 0
; NumAgprs: 0
; TotalNumVgprs: 0
; ScratchSize: 0
; MemoryBound: 0
; FloatMode: 240
; IeeeMode: 1
; LDSByteSize: 0 bytes/workgroup (compile time only)
; SGPRBlocks: 0
; VGPRBlocks: 0
; NumSGPRsForWavesPerEU: 4
; NumVGPRsForWavesPerEU: 1
; AccumOffset: 4
; Occupancy: 8
; WaveLimiterHint : 0
; COMPUTE_PGM_RSRC2:SCRATCH_EN: 0
; COMPUTE_PGM_RSRC2:USER_SGPR: 6
; COMPUTE_PGM_RSRC2:TRAP_HANDLER: 0
; COMPUTE_PGM_RSRC2:TGID_X_EN: 1
; COMPUTE_PGM_RSRC2:TGID_Y_EN: 0
; COMPUTE_PGM_RSRC2:TGID_Z_EN: 0
; COMPUTE_PGM_RSRC2:TIDIG_COMP_CNT: 0
; COMPUTE_PGM_RSRC3_GFX90A:ACCUM_OFFSET: 0
; COMPUTE_PGM_RSRC3_GFX90A:TG_SPLIT: 0
	.section	.text._ZN7rocprim17ROCPRIM_400000_NS6detail17trampoline_kernelINS0_14default_configENS1_38merge_sort_block_merge_config_selectorIhNS0_10empty_typeEEEZZNS1_27merge_sort_block_merge_implIS3_N6thrust23THRUST_200600_302600_NS6detail15normal_iteratorINS9_10device_ptrIhEEEEPS5_m14custom_greaterIhEEE10hipError_tT0_T1_T2_jT3_P12ihipStream_tbPNSt15iterator_traitsISJ_E10value_typeEPNSP_ISK_E10value_typeEPSL_NS1_7vsmem_tEENKUlT_SJ_SK_SL_E_clISE_PhSF_SF_EESI_SY_SJ_SK_SL_EUlSY_E_NS1_11comp_targetILNS1_3genE9ELNS1_11target_archE1100ELNS1_3gpuE3ELNS1_3repE0EEENS1_48merge_mergepath_partition_config_static_selectorELNS0_4arch9wavefront6targetE1EEEvSK_,"axG",@progbits,_ZN7rocprim17ROCPRIM_400000_NS6detail17trampoline_kernelINS0_14default_configENS1_38merge_sort_block_merge_config_selectorIhNS0_10empty_typeEEEZZNS1_27merge_sort_block_merge_implIS3_N6thrust23THRUST_200600_302600_NS6detail15normal_iteratorINS9_10device_ptrIhEEEEPS5_m14custom_greaterIhEEE10hipError_tT0_T1_T2_jT3_P12ihipStream_tbPNSt15iterator_traitsISJ_E10value_typeEPNSP_ISK_E10value_typeEPSL_NS1_7vsmem_tEENKUlT_SJ_SK_SL_E_clISE_PhSF_SF_EESI_SY_SJ_SK_SL_EUlSY_E_NS1_11comp_targetILNS1_3genE9ELNS1_11target_archE1100ELNS1_3gpuE3ELNS1_3repE0EEENS1_48merge_mergepath_partition_config_static_selectorELNS0_4arch9wavefront6targetE1EEEvSK_,comdat
	.protected	_ZN7rocprim17ROCPRIM_400000_NS6detail17trampoline_kernelINS0_14default_configENS1_38merge_sort_block_merge_config_selectorIhNS0_10empty_typeEEEZZNS1_27merge_sort_block_merge_implIS3_N6thrust23THRUST_200600_302600_NS6detail15normal_iteratorINS9_10device_ptrIhEEEEPS5_m14custom_greaterIhEEE10hipError_tT0_T1_T2_jT3_P12ihipStream_tbPNSt15iterator_traitsISJ_E10value_typeEPNSP_ISK_E10value_typeEPSL_NS1_7vsmem_tEENKUlT_SJ_SK_SL_E_clISE_PhSF_SF_EESI_SY_SJ_SK_SL_EUlSY_E_NS1_11comp_targetILNS1_3genE9ELNS1_11target_archE1100ELNS1_3gpuE3ELNS1_3repE0EEENS1_48merge_mergepath_partition_config_static_selectorELNS0_4arch9wavefront6targetE1EEEvSK_ ; -- Begin function _ZN7rocprim17ROCPRIM_400000_NS6detail17trampoline_kernelINS0_14default_configENS1_38merge_sort_block_merge_config_selectorIhNS0_10empty_typeEEEZZNS1_27merge_sort_block_merge_implIS3_N6thrust23THRUST_200600_302600_NS6detail15normal_iteratorINS9_10device_ptrIhEEEEPS5_m14custom_greaterIhEEE10hipError_tT0_T1_T2_jT3_P12ihipStream_tbPNSt15iterator_traitsISJ_E10value_typeEPNSP_ISK_E10value_typeEPSL_NS1_7vsmem_tEENKUlT_SJ_SK_SL_E_clISE_PhSF_SF_EESI_SY_SJ_SK_SL_EUlSY_E_NS1_11comp_targetILNS1_3genE9ELNS1_11target_archE1100ELNS1_3gpuE3ELNS1_3repE0EEENS1_48merge_mergepath_partition_config_static_selectorELNS0_4arch9wavefront6targetE1EEEvSK_
	.globl	_ZN7rocprim17ROCPRIM_400000_NS6detail17trampoline_kernelINS0_14default_configENS1_38merge_sort_block_merge_config_selectorIhNS0_10empty_typeEEEZZNS1_27merge_sort_block_merge_implIS3_N6thrust23THRUST_200600_302600_NS6detail15normal_iteratorINS9_10device_ptrIhEEEEPS5_m14custom_greaterIhEEE10hipError_tT0_T1_T2_jT3_P12ihipStream_tbPNSt15iterator_traitsISJ_E10value_typeEPNSP_ISK_E10value_typeEPSL_NS1_7vsmem_tEENKUlT_SJ_SK_SL_E_clISE_PhSF_SF_EESI_SY_SJ_SK_SL_EUlSY_E_NS1_11comp_targetILNS1_3genE9ELNS1_11target_archE1100ELNS1_3gpuE3ELNS1_3repE0EEENS1_48merge_mergepath_partition_config_static_selectorELNS0_4arch9wavefront6targetE1EEEvSK_
	.p2align	8
	.type	_ZN7rocprim17ROCPRIM_400000_NS6detail17trampoline_kernelINS0_14default_configENS1_38merge_sort_block_merge_config_selectorIhNS0_10empty_typeEEEZZNS1_27merge_sort_block_merge_implIS3_N6thrust23THRUST_200600_302600_NS6detail15normal_iteratorINS9_10device_ptrIhEEEEPS5_m14custom_greaterIhEEE10hipError_tT0_T1_T2_jT3_P12ihipStream_tbPNSt15iterator_traitsISJ_E10value_typeEPNSP_ISK_E10value_typeEPSL_NS1_7vsmem_tEENKUlT_SJ_SK_SL_E_clISE_PhSF_SF_EESI_SY_SJ_SK_SL_EUlSY_E_NS1_11comp_targetILNS1_3genE9ELNS1_11target_archE1100ELNS1_3gpuE3ELNS1_3repE0EEENS1_48merge_mergepath_partition_config_static_selectorELNS0_4arch9wavefront6targetE1EEEvSK_,@function
_ZN7rocprim17ROCPRIM_400000_NS6detail17trampoline_kernelINS0_14default_configENS1_38merge_sort_block_merge_config_selectorIhNS0_10empty_typeEEEZZNS1_27merge_sort_block_merge_implIS3_N6thrust23THRUST_200600_302600_NS6detail15normal_iteratorINS9_10device_ptrIhEEEEPS5_m14custom_greaterIhEEE10hipError_tT0_T1_T2_jT3_P12ihipStream_tbPNSt15iterator_traitsISJ_E10value_typeEPNSP_ISK_E10value_typeEPSL_NS1_7vsmem_tEENKUlT_SJ_SK_SL_E_clISE_PhSF_SF_EESI_SY_SJ_SK_SL_EUlSY_E_NS1_11comp_targetILNS1_3genE9ELNS1_11target_archE1100ELNS1_3gpuE3ELNS1_3repE0EEENS1_48merge_mergepath_partition_config_static_selectorELNS0_4arch9wavefront6targetE1EEEvSK_: ; @_ZN7rocprim17ROCPRIM_400000_NS6detail17trampoline_kernelINS0_14default_configENS1_38merge_sort_block_merge_config_selectorIhNS0_10empty_typeEEEZZNS1_27merge_sort_block_merge_implIS3_N6thrust23THRUST_200600_302600_NS6detail15normal_iteratorINS9_10device_ptrIhEEEEPS5_m14custom_greaterIhEEE10hipError_tT0_T1_T2_jT3_P12ihipStream_tbPNSt15iterator_traitsISJ_E10value_typeEPNSP_ISK_E10value_typeEPSL_NS1_7vsmem_tEENKUlT_SJ_SK_SL_E_clISE_PhSF_SF_EESI_SY_SJ_SK_SL_EUlSY_E_NS1_11comp_targetILNS1_3genE9ELNS1_11target_archE1100ELNS1_3gpuE3ELNS1_3repE0EEENS1_48merge_mergepath_partition_config_static_selectorELNS0_4arch9wavefront6targetE1EEEvSK_
; %bb.0:
	.section	.rodata,"a",@progbits
	.p2align	6, 0x0
	.amdhsa_kernel _ZN7rocprim17ROCPRIM_400000_NS6detail17trampoline_kernelINS0_14default_configENS1_38merge_sort_block_merge_config_selectorIhNS0_10empty_typeEEEZZNS1_27merge_sort_block_merge_implIS3_N6thrust23THRUST_200600_302600_NS6detail15normal_iteratorINS9_10device_ptrIhEEEEPS5_m14custom_greaterIhEEE10hipError_tT0_T1_T2_jT3_P12ihipStream_tbPNSt15iterator_traitsISJ_E10value_typeEPNSP_ISK_E10value_typeEPSL_NS1_7vsmem_tEENKUlT_SJ_SK_SL_E_clISE_PhSF_SF_EESI_SY_SJ_SK_SL_EUlSY_E_NS1_11comp_targetILNS1_3genE9ELNS1_11target_archE1100ELNS1_3gpuE3ELNS1_3repE0EEENS1_48merge_mergepath_partition_config_static_selectorELNS0_4arch9wavefront6targetE1EEEvSK_
		.amdhsa_group_segment_fixed_size 0
		.amdhsa_private_segment_fixed_size 0
		.amdhsa_kernarg_size 48
		.amdhsa_user_sgpr_count 6
		.amdhsa_user_sgpr_private_segment_buffer 1
		.amdhsa_user_sgpr_dispatch_ptr 0
		.amdhsa_user_sgpr_queue_ptr 0
		.amdhsa_user_sgpr_kernarg_segment_ptr 1
		.amdhsa_user_sgpr_dispatch_id 0
		.amdhsa_user_sgpr_flat_scratch_init 0
		.amdhsa_user_sgpr_kernarg_preload_length 0
		.amdhsa_user_sgpr_kernarg_preload_offset 0
		.amdhsa_user_sgpr_private_segment_size 0
		.amdhsa_uses_dynamic_stack 0
		.amdhsa_system_sgpr_private_segment_wavefront_offset 0
		.amdhsa_system_sgpr_workgroup_id_x 1
		.amdhsa_system_sgpr_workgroup_id_y 0
		.amdhsa_system_sgpr_workgroup_id_z 0
		.amdhsa_system_sgpr_workgroup_info 0
		.amdhsa_system_vgpr_workitem_id 0
		.amdhsa_next_free_vgpr 1
		.amdhsa_next_free_sgpr 0
		.amdhsa_accum_offset 4
		.amdhsa_reserve_vcc 0
		.amdhsa_reserve_flat_scratch 0
		.amdhsa_float_round_mode_32 0
		.amdhsa_float_round_mode_16_64 0
		.amdhsa_float_denorm_mode_32 3
		.amdhsa_float_denorm_mode_16_64 3
		.amdhsa_dx10_clamp 1
		.amdhsa_ieee_mode 1
		.amdhsa_fp16_overflow 0
		.amdhsa_tg_split 0
		.amdhsa_exception_fp_ieee_invalid_op 0
		.amdhsa_exception_fp_denorm_src 0
		.amdhsa_exception_fp_ieee_div_zero 0
		.amdhsa_exception_fp_ieee_overflow 0
		.amdhsa_exception_fp_ieee_underflow 0
		.amdhsa_exception_fp_ieee_inexact 0
		.amdhsa_exception_int_div_zero 0
	.end_amdhsa_kernel
	.section	.text._ZN7rocprim17ROCPRIM_400000_NS6detail17trampoline_kernelINS0_14default_configENS1_38merge_sort_block_merge_config_selectorIhNS0_10empty_typeEEEZZNS1_27merge_sort_block_merge_implIS3_N6thrust23THRUST_200600_302600_NS6detail15normal_iteratorINS9_10device_ptrIhEEEEPS5_m14custom_greaterIhEEE10hipError_tT0_T1_T2_jT3_P12ihipStream_tbPNSt15iterator_traitsISJ_E10value_typeEPNSP_ISK_E10value_typeEPSL_NS1_7vsmem_tEENKUlT_SJ_SK_SL_E_clISE_PhSF_SF_EESI_SY_SJ_SK_SL_EUlSY_E_NS1_11comp_targetILNS1_3genE9ELNS1_11target_archE1100ELNS1_3gpuE3ELNS1_3repE0EEENS1_48merge_mergepath_partition_config_static_selectorELNS0_4arch9wavefront6targetE1EEEvSK_,"axG",@progbits,_ZN7rocprim17ROCPRIM_400000_NS6detail17trampoline_kernelINS0_14default_configENS1_38merge_sort_block_merge_config_selectorIhNS0_10empty_typeEEEZZNS1_27merge_sort_block_merge_implIS3_N6thrust23THRUST_200600_302600_NS6detail15normal_iteratorINS9_10device_ptrIhEEEEPS5_m14custom_greaterIhEEE10hipError_tT0_T1_T2_jT3_P12ihipStream_tbPNSt15iterator_traitsISJ_E10value_typeEPNSP_ISK_E10value_typeEPSL_NS1_7vsmem_tEENKUlT_SJ_SK_SL_E_clISE_PhSF_SF_EESI_SY_SJ_SK_SL_EUlSY_E_NS1_11comp_targetILNS1_3genE9ELNS1_11target_archE1100ELNS1_3gpuE3ELNS1_3repE0EEENS1_48merge_mergepath_partition_config_static_selectorELNS0_4arch9wavefront6targetE1EEEvSK_,comdat
.Lfunc_end2891:
	.size	_ZN7rocprim17ROCPRIM_400000_NS6detail17trampoline_kernelINS0_14default_configENS1_38merge_sort_block_merge_config_selectorIhNS0_10empty_typeEEEZZNS1_27merge_sort_block_merge_implIS3_N6thrust23THRUST_200600_302600_NS6detail15normal_iteratorINS9_10device_ptrIhEEEEPS5_m14custom_greaterIhEEE10hipError_tT0_T1_T2_jT3_P12ihipStream_tbPNSt15iterator_traitsISJ_E10value_typeEPNSP_ISK_E10value_typeEPSL_NS1_7vsmem_tEENKUlT_SJ_SK_SL_E_clISE_PhSF_SF_EESI_SY_SJ_SK_SL_EUlSY_E_NS1_11comp_targetILNS1_3genE9ELNS1_11target_archE1100ELNS1_3gpuE3ELNS1_3repE0EEENS1_48merge_mergepath_partition_config_static_selectorELNS0_4arch9wavefront6targetE1EEEvSK_, .Lfunc_end2891-_ZN7rocprim17ROCPRIM_400000_NS6detail17trampoline_kernelINS0_14default_configENS1_38merge_sort_block_merge_config_selectorIhNS0_10empty_typeEEEZZNS1_27merge_sort_block_merge_implIS3_N6thrust23THRUST_200600_302600_NS6detail15normal_iteratorINS9_10device_ptrIhEEEEPS5_m14custom_greaterIhEEE10hipError_tT0_T1_T2_jT3_P12ihipStream_tbPNSt15iterator_traitsISJ_E10value_typeEPNSP_ISK_E10value_typeEPSL_NS1_7vsmem_tEENKUlT_SJ_SK_SL_E_clISE_PhSF_SF_EESI_SY_SJ_SK_SL_EUlSY_E_NS1_11comp_targetILNS1_3genE9ELNS1_11target_archE1100ELNS1_3gpuE3ELNS1_3repE0EEENS1_48merge_mergepath_partition_config_static_selectorELNS0_4arch9wavefront6targetE1EEEvSK_
                                        ; -- End function
	.section	.AMDGPU.csdata,"",@progbits
; Kernel info:
; codeLenInByte = 0
; NumSgprs: 4
; NumVgprs: 0
; NumAgprs: 0
; TotalNumVgprs: 0
; ScratchSize: 0
; MemoryBound: 0
; FloatMode: 240
; IeeeMode: 1
; LDSByteSize: 0 bytes/workgroup (compile time only)
; SGPRBlocks: 0
; VGPRBlocks: 0
; NumSGPRsForWavesPerEU: 4
; NumVGPRsForWavesPerEU: 1
; AccumOffset: 4
; Occupancy: 8
; WaveLimiterHint : 0
; COMPUTE_PGM_RSRC2:SCRATCH_EN: 0
; COMPUTE_PGM_RSRC2:USER_SGPR: 6
; COMPUTE_PGM_RSRC2:TRAP_HANDLER: 0
; COMPUTE_PGM_RSRC2:TGID_X_EN: 1
; COMPUTE_PGM_RSRC2:TGID_Y_EN: 0
; COMPUTE_PGM_RSRC2:TGID_Z_EN: 0
; COMPUTE_PGM_RSRC2:TIDIG_COMP_CNT: 0
; COMPUTE_PGM_RSRC3_GFX90A:ACCUM_OFFSET: 0
; COMPUTE_PGM_RSRC3_GFX90A:TG_SPLIT: 0
	.section	.text._ZN7rocprim17ROCPRIM_400000_NS6detail17trampoline_kernelINS0_14default_configENS1_38merge_sort_block_merge_config_selectorIhNS0_10empty_typeEEEZZNS1_27merge_sort_block_merge_implIS3_N6thrust23THRUST_200600_302600_NS6detail15normal_iteratorINS9_10device_ptrIhEEEEPS5_m14custom_greaterIhEEE10hipError_tT0_T1_T2_jT3_P12ihipStream_tbPNSt15iterator_traitsISJ_E10value_typeEPNSP_ISK_E10value_typeEPSL_NS1_7vsmem_tEENKUlT_SJ_SK_SL_E_clISE_PhSF_SF_EESI_SY_SJ_SK_SL_EUlSY_E_NS1_11comp_targetILNS1_3genE8ELNS1_11target_archE1030ELNS1_3gpuE2ELNS1_3repE0EEENS1_48merge_mergepath_partition_config_static_selectorELNS0_4arch9wavefront6targetE1EEEvSK_,"axG",@progbits,_ZN7rocprim17ROCPRIM_400000_NS6detail17trampoline_kernelINS0_14default_configENS1_38merge_sort_block_merge_config_selectorIhNS0_10empty_typeEEEZZNS1_27merge_sort_block_merge_implIS3_N6thrust23THRUST_200600_302600_NS6detail15normal_iteratorINS9_10device_ptrIhEEEEPS5_m14custom_greaterIhEEE10hipError_tT0_T1_T2_jT3_P12ihipStream_tbPNSt15iterator_traitsISJ_E10value_typeEPNSP_ISK_E10value_typeEPSL_NS1_7vsmem_tEENKUlT_SJ_SK_SL_E_clISE_PhSF_SF_EESI_SY_SJ_SK_SL_EUlSY_E_NS1_11comp_targetILNS1_3genE8ELNS1_11target_archE1030ELNS1_3gpuE2ELNS1_3repE0EEENS1_48merge_mergepath_partition_config_static_selectorELNS0_4arch9wavefront6targetE1EEEvSK_,comdat
	.protected	_ZN7rocprim17ROCPRIM_400000_NS6detail17trampoline_kernelINS0_14default_configENS1_38merge_sort_block_merge_config_selectorIhNS0_10empty_typeEEEZZNS1_27merge_sort_block_merge_implIS3_N6thrust23THRUST_200600_302600_NS6detail15normal_iteratorINS9_10device_ptrIhEEEEPS5_m14custom_greaterIhEEE10hipError_tT0_T1_T2_jT3_P12ihipStream_tbPNSt15iterator_traitsISJ_E10value_typeEPNSP_ISK_E10value_typeEPSL_NS1_7vsmem_tEENKUlT_SJ_SK_SL_E_clISE_PhSF_SF_EESI_SY_SJ_SK_SL_EUlSY_E_NS1_11comp_targetILNS1_3genE8ELNS1_11target_archE1030ELNS1_3gpuE2ELNS1_3repE0EEENS1_48merge_mergepath_partition_config_static_selectorELNS0_4arch9wavefront6targetE1EEEvSK_ ; -- Begin function _ZN7rocprim17ROCPRIM_400000_NS6detail17trampoline_kernelINS0_14default_configENS1_38merge_sort_block_merge_config_selectorIhNS0_10empty_typeEEEZZNS1_27merge_sort_block_merge_implIS3_N6thrust23THRUST_200600_302600_NS6detail15normal_iteratorINS9_10device_ptrIhEEEEPS5_m14custom_greaterIhEEE10hipError_tT0_T1_T2_jT3_P12ihipStream_tbPNSt15iterator_traitsISJ_E10value_typeEPNSP_ISK_E10value_typeEPSL_NS1_7vsmem_tEENKUlT_SJ_SK_SL_E_clISE_PhSF_SF_EESI_SY_SJ_SK_SL_EUlSY_E_NS1_11comp_targetILNS1_3genE8ELNS1_11target_archE1030ELNS1_3gpuE2ELNS1_3repE0EEENS1_48merge_mergepath_partition_config_static_selectorELNS0_4arch9wavefront6targetE1EEEvSK_
	.globl	_ZN7rocprim17ROCPRIM_400000_NS6detail17trampoline_kernelINS0_14default_configENS1_38merge_sort_block_merge_config_selectorIhNS0_10empty_typeEEEZZNS1_27merge_sort_block_merge_implIS3_N6thrust23THRUST_200600_302600_NS6detail15normal_iteratorINS9_10device_ptrIhEEEEPS5_m14custom_greaterIhEEE10hipError_tT0_T1_T2_jT3_P12ihipStream_tbPNSt15iterator_traitsISJ_E10value_typeEPNSP_ISK_E10value_typeEPSL_NS1_7vsmem_tEENKUlT_SJ_SK_SL_E_clISE_PhSF_SF_EESI_SY_SJ_SK_SL_EUlSY_E_NS1_11comp_targetILNS1_3genE8ELNS1_11target_archE1030ELNS1_3gpuE2ELNS1_3repE0EEENS1_48merge_mergepath_partition_config_static_selectorELNS0_4arch9wavefront6targetE1EEEvSK_
	.p2align	8
	.type	_ZN7rocprim17ROCPRIM_400000_NS6detail17trampoline_kernelINS0_14default_configENS1_38merge_sort_block_merge_config_selectorIhNS0_10empty_typeEEEZZNS1_27merge_sort_block_merge_implIS3_N6thrust23THRUST_200600_302600_NS6detail15normal_iteratorINS9_10device_ptrIhEEEEPS5_m14custom_greaterIhEEE10hipError_tT0_T1_T2_jT3_P12ihipStream_tbPNSt15iterator_traitsISJ_E10value_typeEPNSP_ISK_E10value_typeEPSL_NS1_7vsmem_tEENKUlT_SJ_SK_SL_E_clISE_PhSF_SF_EESI_SY_SJ_SK_SL_EUlSY_E_NS1_11comp_targetILNS1_3genE8ELNS1_11target_archE1030ELNS1_3gpuE2ELNS1_3repE0EEENS1_48merge_mergepath_partition_config_static_selectorELNS0_4arch9wavefront6targetE1EEEvSK_,@function
_ZN7rocprim17ROCPRIM_400000_NS6detail17trampoline_kernelINS0_14default_configENS1_38merge_sort_block_merge_config_selectorIhNS0_10empty_typeEEEZZNS1_27merge_sort_block_merge_implIS3_N6thrust23THRUST_200600_302600_NS6detail15normal_iteratorINS9_10device_ptrIhEEEEPS5_m14custom_greaterIhEEE10hipError_tT0_T1_T2_jT3_P12ihipStream_tbPNSt15iterator_traitsISJ_E10value_typeEPNSP_ISK_E10value_typeEPSL_NS1_7vsmem_tEENKUlT_SJ_SK_SL_E_clISE_PhSF_SF_EESI_SY_SJ_SK_SL_EUlSY_E_NS1_11comp_targetILNS1_3genE8ELNS1_11target_archE1030ELNS1_3gpuE2ELNS1_3repE0EEENS1_48merge_mergepath_partition_config_static_selectorELNS0_4arch9wavefront6targetE1EEEvSK_: ; @_ZN7rocprim17ROCPRIM_400000_NS6detail17trampoline_kernelINS0_14default_configENS1_38merge_sort_block_merge_config_selectorIhNS0_10empty_typeEEEZZNS1_27merge_sort_block_merge_implIS3_N6thrust23THRUST_200600_302600_NS6detail15normal_iteratorINS9_10device_ptrIhEEEEPS5_m14custom_greaterIhEEE10hipError_tT0_T1_T2_jT3_P12ihipStream_tbPNSt15iterator_traitsISJ_E10value_typeEPNSP_ISK_E10value_typeEPSL_NS1_7vsmem_tEENKUlT_SJ_SK_SL_E_clISE_PhSF_SF_EESI_SY_SJ_SK_SL_EUlSY_E_NS1_11comp_targetILNS1_3genE8ELNS1_11target_archE1030ELNS1_3gpuE2ELNS1_3repE0EEENS1_48merge_mergepath_partition_config_static_selectorELNS0_4arch9wavefront6targetE1EEEvSK_
; %bb.0:
	.section	.rodata,"a",@progbits
	.p2align	6, 0x0
	.amdhsa_kernel _ZN7rocprim17ROCPRIM_400000_NS6detail17trampoline_kernelINS0_14default_configENS1_38merge_sort_block_merge_config_selectorIhNS0_10empty_typeEEEZZNS1_27merge_sort_block_merge_implIS3_N6thrust23THRUST_200600_302600_NS6detail15normal_iteratorINS9_10device_ptrIhEEEEPS5_m14custom_greaterIhEEE10hipError_tT0_T1_T2_jT3_P12ihipStream_tbPNSt15iterator_traitsISJ_E10value_typeEPNSP_ISK_E10value_typeEPSL_NS1_7vsmem_tEENKUlT_SJ_SK_SL_E_clISE_PhSF_SF_EESI_SY_SJ_SK_SL_EUlSY_E_NS1_11comp_targetILNS1_3genE8ELNS1_11target_archE1030ELNS1_3gpuE2ELNS1_3repE0EEENS1_48merge_mergepath_partition_config_static_selectorELNS0_4arch9wavefront6targetE1EEEvSK_
		.amdhsa_group_segment_fixed_size 0
		.amdhsa_private_segment_fixed_size 0
		.amdhsa_kernarg_size 48
		.amdhsa_user_sgpr_count 6
		.amdhsa_user_sgpr_private_segment_buffer 1
		.amdhsa_user_sgpr_dispatch_ptr 0
		.amdhsa_user_sgpr_queue_ptr 0
		.amdhsa_user_sgpr_kernarg_segment_ptr 1
		.amdhsa_user_sgpr_dispatch_id 0
		.amdhsa_user_sgpr_flat_scratch_init 0
		.amdhsa_user_sgpr_kernarg_preload_length 0
		.amdhsa_user_sgpr_kernarg_preload_offset 0
		.amdhsa_user_sgpr_private_segment_size 0
		.amdhsa_uses_dynamic_stack 0
		.amdhsa_system_sgpr_private_segment_wavefront_offset 0
		.amdhsa_system_sgpr_workgroup_id_x 1
		.amdhsa_system_sgpr_workgroup_id_y 0
		.amdhsa_system_sgpr_workgroup_id_z 0
		.amdhsa_system_sgpr_workgroup_info 0
		.amdhsa_system_vgpr_workitem_id 0
		.amdhsa_next_free_vgpr 1
		.amdhsa_next_free_sgpr 0
		.amdhsa_accum_offset 4
		.amdhsa_reserve_vcc 0
		.amdhsa_reserve_flat_scratch 0
		.amdhsa_float_round_mode_32 0
		.amdhsa_float_round_mode_16_64 0
		.amdhsa_float_denorm_mode_32 3
		.amdhsa_float_denorm_mode_16_64 3
		.amdhsa_dx10_clamp 1
		.amdhsa_ieee_mode 1
		.amdhsa_fp16_overflow 0
		.amdhsa_tg_split 0
		.amdhsa_exception_fp_ieee_invalid_op 0
		.amdhsa_exception_fp_denorm_src 0
		.amdhsa_exception_fp_ieee_div_zero 0
		.amdhsa_exception_fp_ieee_overflow 0
		.amdhsa_exception_fp_ieee_underflow 0
		.amdhsa_exception_fp_ieee_inexact 0
		.amdhsa_exception_int_div_zero 0
	.end_amdhsa_kernel
	.section	.text._ZN7rocprim17ROCPRIM_400000_NS6detail17trampoline_kernelINS0_14default_configENS1_38merge_sort_block_merge_config_selectorIhNS0_10empty_typeEEEZZNS1_27merge_sort_block_merge_implIS3_N6thrust23THRUST_200600_302600_NS6detail15normal_iteratorINS9_10device_ptrIhEEEEPS5_m14custom_greaterIhEEE10hipError_tT0_T1_T2_jT3_P12ihipStream_tbPNSt15iterator_traitsISJ_E10value_typeEPNSP_ISK_E10value_typeEPSL_NS1_7vsmem_tEENKUlT_SJ_SK_SL_E_clISE_PhSF_SF_EESI_SY_SJ_SK_SL_EUlSY_E_NS1_11comp_targetILNS1_3genE8ELNS1_11target_archE1030ELNS1_3gpuE2ELNS1_3repE0EEENS1_48merge_mergepath_partition_config_static_selectorELNS0_4arch9wavefront6targetE1EEEvSK_,"axG",@progbits,_ZN7rocprim17ROCPRIM_400000_NS6detail17trampoline_kernelINS0_14default_configENS1_38merge_sort_block_merge_config_selectorIhNS0_10empty_typeEEEZZNS1_27merge_sort_block_merge_implIS3_N6thrust23THRUST_200600_302600_NS6detail15normal_iteratorINS9_10device_ptrIhEEEEPS5_m14custom_greaterIhEEE10hipError_tT0_T1_T2_jT3_P12ihipStream_tbPNSt15iterator_traitsISJ_E10value_typeEPNSP_ISK_E10value_typeEPSL_NS1_7vsmem_tEENKUlT_SJ_SK_SL_E_clISE_PhSF_SF_EESI_SY_SJ_SK_SL_EUlSY_E_NS1_11comp_targetILNS1_3genE8ELNS1_11target_archE1030ELNS1_3gpuE2ELNS1_3repE0EEENS1_48merge_mergepath_partition_config_static_selectorELNS0_4arch9wavefront6targetE1EEEvSK_,comdat
.Lfunc_end2892:
	.size	_ZN7rocprim17ROCPRIM_400000_NS6detail17trampoline_kernelINS0_14default_configENS1_38merge_sort_block_merge_config_selectorIhNS0_10empty_typeEEEZZNS1_27merge_sort_block_merge_implIS3_N6thrust23THRUST_200600_302600_NS6detail15normal_iteratorINS9_10device_ptrIhEEEEPS5_m14custom_greaterIhEEE10hipError_tT0_T1_T2_jT3_P12ihipStream_tbPNSt15iterator_traitsISJ_E10value_typeEPNSP_ISK_E10value_typeEPSL_NS1_7vsmem_tEENKUlT_SJ_SK_SL_E_clISE_PhSF_SF_EESI_SY_SJ_SK_SL_EUlSY_E_NS1_11comp_targetILNS1_3genE8ELNS1_11target_archE1030ELNS1_3gpuE2ELNS1_3repE0EEENS1_48merge_mergepath_partition_config_static_selectorELNS0_4arch9wavefront6targetE1EEEvSK_, .Lfunc_end2892-_ZN7rocprim17ROCPRIM_400000_NS6detail17trampoline_kernelINS0_14default_configENS1_38merge_sort_block_merge_config_selectorIhNS0_10empty_typeEEEZZNS1_27merge_sort_block_merge_implIS3_N6thrust23THRUST_200600_302600_NS6detail15normal_iteratorINS9_10device_ptrIhEEEEPS5_m14custom_greaterIhEEE10hipError_tT0_T1_T2_jT3_P12ihipStream_tbPNSt15iterator_traitsISJ_E10value_typeEPNSP_ISK_E10value_typeEPSL_NS1_7vsmem_tEENKUlT_SJ_SK_SL_E_clISE_PhSF_SF_EESI_SY_SJ_SK_SL_EUlSY_E_NS1_11comp_targetILNS1_3genE8ELNS1_11target_archE1030ELNS1_3gpuE2ELNS1_3repE0EEENS1_48merge_mergepath_partition_config_static_selectorELNS0_4arch9wavefront6targetE1EEEvSK_
                                        ; -- End function
	.section	.AMDGPU.csdata,"",@progbits
; Kernel info:
; codeLenInByte = 0
; NumSgprs: 4
; NumVgprs: 0
; NumAgprs: 0
; TotalNumVgprs: 0
; ScratchSize: 0
; MemoryBound: 0
; FloatMode: 240
; IeeeMode: 1
; LDSByteSize: 0 bytes/workgroup (compile time only)
; SGPRBlocks: 0
; VGPRBlocks: 0
; NumSGPRsForWavesPerEU: 4
; NumVGPRsForWavesPerEU: 1
; AccumOffset: 4
; Occupancy: 8
; WaveLimiterHint : 0
; COMPUTE_PGM_RSRC2:SCRATCH_EN: 0
; COMPUTE_PGM_RSRC2:USER_SGPR: 6
; COMPUTE_PGM_RSRC2:TRAP_HANDLER: 0
; COMPUTE_PGM_RSRC2:TGID_X_EN: 1
; COMPUTE_PGM_RSRC2:TGID_Y_EN: 0
; COMPUTE_PGM_RSRC2:TGID_Z_EN: 0
; COMPUTE_PGM_RSRC2:TIDIG_COMP_CNT: 0
; COMPUTE_PGM_RSRC3_GFX90A:ACCUM_OFFSET: 0
; COMPUTE_PGM_RSRC3_GFX90A:TG_SPLIT: 0
	.section	.text._ZN7rocprim17ROCPRIM_400000_NS6detail17trampoline_kernelINS0_14default_configENS1_38merge_sort_block_merge_config_selectorIhNS0_10empty_typeEEEZZNS1_27merge_sort_block_merge_implIS3_N6thrust23THRUST_200600_302600_NS6detail15normal_iteratorINS9_10device_ptrIhEEEEPS5_m14custom_greaterIhEEE10hipError_tT0_T1_T2_jT3_P12ihipStream_tbPNSt15iterator_traitsISJ_E10value_typeEPNSP_ISK_E10value_typeEPSL_NS1_7vsmem_tEENKUlT_SJ_SK_SL_E_clISE_PhSF_SF_EESI_SY_SJ_SK_SL_EUlSY_E0_NS1_11comp_targetILNS1_3genE0ELNS1_11target_archE4294967295ELNS1_3gpuE0ELNS1_3repE0EEENS1_38merge_mergepath_config_static_selectorELNS0_4arch9wavefront6targetE1EEEvSK_,"axG",@progbits,_ZN7rocprim17ROCPRIM_400000_NS6detail17trampoline_kernelINS0_14default_configENS1_38merge_sort_block_merge_config_selectorIhNS0_10empty_typeEEEZZNS1_27merge_sort_block_merge_implIS3_N6thrust23THRUST_200600_302600_NS6detail15normal_iteratorINS9_10device_ptrIhEEEEPS5_m14custom_greaterIhEEE10hipError_tT0_T1_T2_jT3_P12ihipStream_tbPNSt15iterator_traitsISJ_E10value_typeEPNSP_ISK_E10value_typeEPSL_NS1_7vsmem_tEENKUlT_SJ_SK_SL_E_clISE_PhSF_SF_EESI_SY_SJ_SK_SL_EUlSY_E0_NS1_11comp_targetILNS1_3genE0ELNS1_11target_archE4294967295ELNS1_3gpuE0ELNS1_3repE0EEENS1_38merge_mergepath_config_static_selectorELNS0_4arch9wavefront6targetE1EEEvSK_,comdat
	.protected	_ZN7rocprim17ROCPRIM_400000_NS6detail17trampoline_kernelINS0_14default_configENS1_38merge_sort_block_merge_config_selectorIhNS0_10empty_typeEEEZZNS1_27merge_sort_block_merge_implIS3_N6thrust23THRUST_200600_302600_NS6detail15normal_iteratorINS9_10device_ptrIhEEEEPS5_m14custom_greaterIhEEE10hipError_tT0_T1_T2_jT3_P12ihipStream_tbPNSt15iterator_traitsISJ_E10value_typeEPNSP_ISK_E10value_typeEPSL_NS1_7vsmem_tEENKUlT_SJ_SK_SL_E_clISE_PhSF_SF_EESI_SY_SJ_SK_SL_EUlSY_E0_NS1_11comp_targetILNS1_3genE0ELNS1_11target_archE4294967295ELNS1_3gpuE0ELNS1_3repE0EEENS1_38merge_mergepath_config_static_selectorELNS0_4arch9wavefront6targetE1EEEvSK_ ; -- Begin function _ZN7rocprim17ROCPRIM_400000_NS6detail17trampoline_kernelINS0_14default_configENS1_38merge_sort_block_merge_config_selectorIhNS0_10empty_typeEEEZZNS1_27merge_sort_block_merge_implIS3_N6thrust23THRUST_200600_302600_NS6detail15normal_iteratorINS9_10device_ptrIhEEEEPS5_m14custom_greaterIhEEE10hipError_tT0_T1_T2_jT3_P12ihipStream_tbPNSt15iterator_traitsISJ_E10value_typeEPNSP_ISK_E10value_typeEPSL_NS1_7vsmem_tEENKUlT_SJ_SK_SL_E_clISE_PhSF_SF_EESI_SY_SJ_SK_SL_EUlSY_E0_NS1_11comp_targetILNS1_3genE0ELNS1_11target_archE4294967295ELNS1_3gpuE0ELNS1_3repE0EEENS1_38merge_mergepath_config_static_selectorELNS0_4arch9wavefront6targetE1EEEvSK_
	.globl	_ZN7rocprim17ROCPRIM_400000_NS6detail17trampoline_kernelINS0_14default_configENS1_38merge_sort_block_merge_config_selectorIhNS0_10empty_typeEEEZZNS1_27merge_sort_block_merge_implIS3_N6thrust23THRUST_200600_302600_NS6detail15normal_iteratorINS9_10device_ptrIhEEEEPS5_m14custom_greaterIhEEE10hipError_tT0_T1_T2_jT3_P12ihipStream_tbPNSt15iterator_traitsISJ_E10value_typeEPNSP_ISK_E10value_typeEPSL_NS1_7vsmem_tEENKUlT_SJ_SK_SL_E_clISE_PhSF_SF_EESI_SY_SJ_SK_SL_EUlSY_E0_NS1_11comp_targetILNS1_3genE0ELNS1_11target_archE4294967295ELNS1_3gpuE0ELNS1_3repE0EEENS1_38merge_mergepath_config_static_selectorELNS0_4arch9wavefront6targetE1EEEvSK_
	.p2align	8
	.type	_ZN7rocprim17ROCPRIM_400000_NS6detail17trampoline_kernelINS0_14default_configENS1_38merge_sort_block_merge_config_selectorIhNS0_10empty_typeEEEZZNS1_27merge_sort_block_merge_implIS3_N6thrust23THRUST_200600_302600_NS6detail15normal_iteratorINS9_10device_ptrIhEEEEPS5_m14custom_greaterIhEEE10hipError_tT0_T1_T2_jT3_P12ihipStream_tbPNSt15iterator_traitsISJ_E10value_typeEPNSP_ISK_E10value_typeEPSL_NS1_7vsmem_tEENKUlT_SJ_SK_SL_E_clISE_PhSF_SF_EESI_SY_SJ_SK_SL_EUlSY_E0_NS1_11comp_targetILNS1_3genE0ELNS1_11target_archE4294967295ELNS1_3gpuE0ELNS1_3repE0EEENS1_38merge_mergepath_config_static_selectorELNS0_4arch9wavefront6targetE1EEEvSK_,@function
_ZN7rocprim17ROCPRIM_400000_NS6detail17trampoline_kernelINS0_14default_configENS1_38merge_sort_block_merge_config_selectorIhNS0_10empty_typeEEEZZNS1_27merge_sort_block_merge_implIS3_N6thrust23THRUST_200600_302600_NS6detail15normal_iteratorINS9_10device_ptrIhEEEEPS5_m14custom_greaterIhEEE10hipError_tT0_T1_T2_jT3_P12ihipStream_tbPNSt15iterator_traitsISJ_E10value_typeEPNSP_ISK_E10value_typeEPSL_NS1_7vsmem_tEENKUlT_SJ_SK_SL_E_clISE_PhSF_SF_EESI_SY_SJ_SK_SL_EUlSY_E0_NS1_11comp_targetILNS1_3genE0ELNS1_11target_archE4294967295ELNS1_3gpuE0ELNS1_3repE0EEENS1_38merge_mergepath_config_static_selectorELNS0_4arch9wavefront6targetE1EEEvSK_: ; @_ZN7rocprim17ROCPRIM_400000_NS6detail17trampoline_kernelINS0_14default_configENS1_38merge_sort_block_merge_config_selectorIhNS0_10empty_typeEEEZZNS1_27merge_sort_block_merge_implIS3_N6thrust23THRUST_200600_302600_NS6detail15normal_iteratorINS9_10device_ptrIhEEEEPS5_m14custom_greaterIhEEE10hipError_tT0_T1_T2_jT3_P12ihipStream_tbPNSt15iterator_traitsISJ_E10value_typeEPNSP_ISK_E10value_typeEPSL_NS1_7vsmem_tEENKUlT_SJ_SK_SL_E_clISE_PhSF_SF_EESI_SY_SJ_SK_SL_EUlSY_E0_NS1_11comp_targetILNS1_3genE0ELNS1_11target_archE4294967295ELNS1_3gpuE0ELNS1_3repE0EEENS1_38merge_mergepath_config_static_selectorELNS0_4arch9wavefront6targetE1EEEvSK_
; %bb.0:
	.section	.rodata,"a",@progbits
	.p2align	6, 0x0
	.amdhsa_kernel _ZN7rocprim17ROCPRIM_400000_NS6detail17trampoline_kernelINS0_14default_configENS1_38merge_sort_block_merge_config_selectorIhNS0_10empty_typeEEEZZNS1_27merge_sort_block_merge_implIS3_N6thrust23THRUST_200600_302600_NS6detail15normal_iteratorINS9_10device_ptrIhEEEEPS5_m14custom_greaterIhEEE10hipError_tT0_T1_T2_jT3_P12ihipStream_tbPNSt15iterator_traitsISJ_E10value_typeEPNSP_ISK_E10value_typeEPSL_NS1_7vsmem_tEENKUlT_SJ_SK_SL_E_clISE_PhSF_SF_EESI_SY_SJ_SK_SL_EUlSY_E0_NS1_11comp_targetILNS1_3genE0ELNS1_11target_archE4294967295ELNS1_3gpuE0ELNS1_3repE0EEENS1_38merge_mergepath_config_static_selectorELNS0_4arch9wavefront6targetE1EEEvSK_
		.amdhsa_group_segment_fixed_size 0
		.amdhsa_private_segment_fixed_size 0
		.amdhsa_kernarg_size 72
		.amdhsa_user_sgpr_count 6
		.amdhsa_user_sgpr_private_segment_buffer 1
		.amdhsa_user_sgpr_dispatch_ptr 0
		.amdhsa_user_sgpr_queue_ptr 0
		.amdhsa_user_sgpr_kernarg_segment_ptr 1
		.amdhsa_user_sgpr_dispatch_id 0
		.amdhsa_user_sgpr_flat_scratch_init 0
		.amdhsa_user_sgpr_kernarg_preload_length 0
		.amdhsa_user_sgpr_kernarg_preload_offset 0
		.amdhsa_user_sgpr_private_segment_size 0
		.amdhsa_uses_dynamic_stack 0
		.amdhsa_system_sgpr_private_segment_wavefront_offset 0
		.amdhsa_system_sgpr_workgroup_id_x 1
		.amdhsa_system_sgpr_workgroup_id_y 0
		.amdhsa_system_sgpr_workgroup_id_z 0
		.amdhsa_system_sgpr_workgroup_info 0
		.amdhsa_system_vgpr_workitem_id 0
		.amdhsa_next_free_vgpr 1
		.amdhsa_next_free_sgpr 0
		.amdhsa_accum_offset 4
		.amdhsa_reserve_vcc 0
		.amdhsa_reserve_flat_scratch 0
		.amdhsa_float_round_mode_32 0
		.amdhsa_float_round_mode_16_64 0
		.amdhsa_float_denorm_mode_32 3
		.amdhsa_float_denorm_mode_16_64 3
		.amdhsa_dx10_clamp 1
		.amdhsa_ieee_mode 1
		.amdhsa_fp16_overflow 0
		.amdhsa_tg_split 0
		.amdhsa_exception_fp_ieee_invalid_op 0
		.amdhsa_exception_fp_denorm_src 0
		.amdhsa_exception_fp_ieee_div_zero 0
		.amdhsa_exception_fp_ieee_overflow 0
		.amdhsa_exception_fp_ieee_underflow 0
		.amdhsa_exception_fp_ieee_inexact 0
		.amdhsa_exception_int_div_zero 0
	.end_amdhsa_kernel
	.section	.text._ZN7rocprim17ROCPRIM_400000_NS6detail17trampoline_kernelINS0_14default_configENS1_38merge_sort_block_merge_config_selectorIhNS0_10empty_typeEEEZZNS1_27merge_sort_block_merge_implIS3_N6thrust23THRUST_200600_302600_NS6detail15normal_iteratorINS9_10device_ptrIhEEEEPS5_m14custom_greaterIhEEE10hipError_tT0_T1_T2_jT3_P12ihipStream_tbPNSt15iterator_traitsISJ_E10value_typeEPNSP_ISK_E10value_typeEPSL_NS1_7vsmem_tEENKUlT_SJ_SK_SL_E_clISE_PhSF_SF_EESI_SY_SJ_SK_SL_EUlSY_E0_NS1_11comp_targetILNS1_3genE0ELNS1_11target_archE4294967295ELNS1_3gpuE0ELNS1_3repE0EEENS1_38merge_mergepath_config_static_selectorELNS0_4arch9wavefront6targetE1EEEvSK_,"axG",@progbits,_ZN7rocprim17ROCPRIM_400000_NS6detail17trampoline_kernelINS0_14default_configENS1_38merge_sort_block_merge_config_selectorIhNS0_10empty_typeEEEZZNS1_27merge_sort_block_merge_implIS3_N6thrust23THRUST_200600_302600_NS6detail15normal_iteratorINS9_10device_ptrIhEEEEPS5_m14custom_greaterIhEEE10hipError_tT0_T1_T2_jT3_P12ihipStream_tbPNSt15iterator_traitsISJ_E10value_typeEPNSP_ISK_E10value_typeEPSL_NS1_7vsmem_tEENKUlT_SJ_SK_SL_E_clISE_PhSF_SF_EESI_SY_SJ_SK_SL_EUlSY_E0_NS1_11comp_targetILNS1_3genE0ELNS1_11target_archE4294967295ELNS1_3gpuE0ELNS1_3repE0EEENS1_38merge_mergepath_config_static_selectorELNS0_4arch9wavefront6targetE1EEEvSK_,comdat
.Lfunc_end2893:
	.size	_ZN7rocprim17ROCPRIM_400000_NS6detail17trampoline_kernelINS0_14default_configENS1_38merge_sort_block_merge_config_selectorIhNS0_10empty_typeEEEZZNS1_27merge_sort_block_merge_implIS3_N6thrust23THRUST_200600_302600_NS6detail15normal_iteratorINS9_10device_ptrIhEEEEPS5_m14custom_greaterIhEEE10hipError_tT0_T1_T2_jT3_P12ihipStream_tbPNSt15iterator_traitsISJ_E10value_typeEPNSP_ISK_E10value_typeEPSL_NS1_7vsmem_tEENKUlT_SJ_SK_SL_E_clISE_PhSF_SF_EESI_SY_SJ_SK_SL_EUlSY_E0_NS1_11comp_targetILNS1_3genE0ELNS1_11target_archE4294967295ELNS1_3gpuE0ELNS1_3repE0EEENS1_38merge_mergepath_config_static_selectorELNS0_4arch9wavefront6targetE1EEEvSK_, .Lfunc_end2893-_ZN7rocprim17ROCPRIM_400000_NS6detail17trampoline_kernelINS0_14default_configENS1_38merge_sort_block_merge_config_selectorIhNS0_10empty_typeEEEZZNS1_27merge_sort_block_merge_implIS3_N6thrust23THRUST_200600_302600_NS6detail15normal_iteratorINS9_10device_ptrIhEEEEPS5_m14custom_greaterIhEEE10hipError_tT0_T1_T2_jT3_P12ihipStream_tbPNSt15iterator_traitsISJ_E10value_typeEPNSP_ISK_E10value_typeEPSL_NS1_7vsmem_tEENKUlT_SJ_SK_SL_E_clISE_PhSF_SF_EESI_SY_SJ_SK_SL_EUlSY_E0_NS1_11comp_targetILNS1_3genE0ELNS1_11target_archE4294967295ELNS1_3gpuE0ELNS1_3repE0EEENS1_38merge_mergepath_config_static_selectorELNS0_4arch9wavefront6targetE1EEEvSK_
                                        ; -- End function
	.section	.AMDGPU.csdata,"",@progbits
; Kernel info:
; codeLenInByte = 0
; NumSgprs: 4
; NumVgprs: 0
; NumAgprs: 0
; TotalNumVgprs: 0
; ScratchSize: 0
; MemoryBound: 0
; FloatMode: 240
; IeeeMode: 1
; LDSByteSize: 0 bytes/workgroup (compile time only)
; SGPRBlocks: 0
; VGPRBlocks: 0
; NumSGPRsForWavesPerEU: 4
; NumVGPRsForWavesPerEU: 1
; AccumOffset: 4
; Occupancy: 8
; WaveLimiterHint : 0
; COMPUTE_PGM_RSRC2:SCRATCH_EN: 0
; COMPUTE_PGM_RSRC2:USER_SGPR: 6
; COMPUTE_PGM_RSRC2:TRAP_HANDLER: 0
; COMPUTE_PGM_RSRC2:TGID_X_EN: 1
; COMPUTE_PGM_RSRC2:TGID_Y_EN: 0
; COMPUTE_PGM_RSRC2:TGID_Z_EN: 0
; COMPUTE_PGM_RSRC2:TIDIG_COMP_CNT: 0
; COMPUTE_PGM_RSRC3_GFX90A:ACCUM_OFFSET: 0
; COMPUTE_PGM_RSRC3_GFX90A:TG_SPLIT: 0
	.section	.text._ZN7rocprim17ROCPRIM_400000_NS6detail17trampoline_kernelINS0_14default_configENS1_38merge_sort_block_merge_config_selectorIhNS0_10empty_typeEEEZZNS1_27merge_sort_block_merge_implIS3_N6thrust23THRUST_200600_302600_NS6detail15normal_iteratorINS9_10device_ptrIhEEEEPS5_m14custom_greaterIhEEE10hipError_tT0_T1_T2_jT3_P12ihipStream_tbPNSt15iterator_traitsISJ_E10value_typeEPNSP_ISK_E10value_typeEPSL_NS1_7vsmem_tEENKUlT_SJ_SK_SL_E_clISE_PhSF_SF_EESI_SY_SJ_SK_SL_EUlSY_E0_NS1_11comp_targetILNS1_3genE10ELNS1_11target_archE1201ELNS1_3gpuE5ELNS1_3repE0EEENS1_38merge_mergepath_config_static_selectorELNS0_4arch9wavefront6targetE1EEEvSK_,"axG",@progbits,_ZN7rocprim17ROCPRIM_400000_NS6detail17trampoline_kernelINS0_14default_configENS1_38merge_sort_block_merge_config_selectorIhNS0_10empty_typeEEEZZNS1_27merge_sort_block_merge_implIS3_N6thrust23THRUST_200600_302600_NS6detail15normal_iteratorINS9_10device_ptrIhEEEEPS5_m14custom_greaterIhEEE10hipError_tT0_T1_T2_jT3_P12ihipStream_tbPNSt15iterator_traitsISJ_E10value_typeEPNSP_ISK_E10value_typeEPSL_NS1_7vsmem_tEENKUlT_SJ_SK_SL_E_clISE_PhSF_SF_EESI_SY_SJ_SK_SL_EUlSY_E0_NS1_11comp_targetILNS1_3genE10ELNS1_11target_archE1201ELNS1_3gpuE5ELNS1_3repE0EEENS1_38merge_mergepath_config_static_selectorELNS0_4arch9wavefront6targetE1EEEvSK_,comdat
	.protected	_ZN7rocprim17ROCPRIM_400000_NS6detail17trampoline_kernelINS0_14default_configENS1_38merge_sort_block_merge_config_selectorIhNS0_10empty_typeEEEZZNS1_27merge_sort_block_merge_implIS3_N6thrust23THRUST_200600_302600_NS6detail15normal_iteratorINS9_10device_ptrIhEEEEPS5_m14custom_greaterIhEEE10hipError_tT0_T1_T2_jT3_P12ihipStream_tbPNSt15iterator_traitsISJ_E10value_typeEPNSP_ISK_E10value_typeEPSL_NS1_7vsmem_tEENKUlT_SJ_SK_SL_E_clISE_PhSF_SF_EESI_SY_SJ_SK_SL_EUlSY_E0_NS1_11comp_targetILNS1_3genE10ELNS1_11target_archE1201ELNS1_3gpuE5ELNS1_3repE0EEENS1_38merge_mergepath_config_static_selectorELNS0_4arch9wavefront6targetE1EEEvSK_ ; -- Begin function _ZN7rocprim17ROCPRIM_400000_NS6detail17trampoline_kernelINS0_14default_configENS1_38merge_sort_block_merge_config_selectorIhNS0_10empty_typeEEEZZNS1_27merge_sort_block_merge_implIS3_N6thrust23THRUST_200600_302600_NS6detail15normal_iteratorINS9_10device_ptrIhEEEEPS5_m14custom_greaterIhEEE10hipError_tT0_T1_T2_jT3_P12ihipStream_tbPNSt15iterator_traitsISJ_E10value_typeEPNSP_ISK_E10value_typeEPSL_NS1_7vsmem_tEENKUlT_SJ_SK_SL_E_clISE_PhSF_SF_EESI_SY_SJ_SK_SL_EUlSY_E0_NS1_11comp_targetILNS1_3genE10ELNS1_11target_archE1201ELNS1_3gpuE5ELNS1_3repE0EEENS1_38merge_mergepath_config_static_selectorELNS0_4arch9wavefront6targetE1EEEvSK_
	.globl	_ZN7rocprim17ROCPRIM_400000_NS6detail17trampoline_kernelINS0_14default_configENS1_38merge_sort_block_merge_config_selectorIhNS0_10empty_typeEEEZZNS1_27merge_sort_block_merge_implIS3_N6thrust23THRUST_200600_302600_NS6detail15normal_iteratorINS9_10device_ptrIhEEEEPS5_m14custom_greaterIhEEE10hipError_tT0_T1_T2_jT3_P12ihipStream_tbPNSt15iterator_traitsISJ_E10value_typeEPNSP_ISK_E10value_typeEPSL_NS1_7vsmem_tEENKUlT_SJ_SK_SL_E_clISE_PhSF_SF_EESI_SY_SJ_SK_SL_EUlSY_E0_NS1_11comp_targetILNS1_3genE10ELNS1_11target_archE1201ELNS1_3gpuE5ELNS1_3repE0EEENS1_38merge_mergepath_config_static_selectorELNS0_4arch9wavefront6targetE1EEEvSK_
	.p2align	8
	.type	_ZN7rocprim17ROCPRIM_400000_NS6detail17trampoline_kernelINS0_14default_configENS1_38merge_sort_block_merge_config_selectorIhNS0_10empty_typeEEEZZNS1_27merge_sort_block_merge_implIS3_N6thrust23THRUST_200600_302600_NS6detail15normal_iteratorINS9_10device_ptrIhEEEEPS5_m14custom_greaterIhEEE10hipError_tT0_T1_T2_jT3_P12ihipStream_tbPNSt15iterator_traitsISJ_E10value_typeEPNSP_ISK_E10value_typeEPSL_NS1_7vsmem_tEENKUlT_SJ_SK_SL_E_clISE_PhSF_SF_EESI_SY_SJ_SK_SL_EUlSY_E0_NS1_11comp_targetILNS1_3genE10ELNS1_11target_archE1201ELNS1_3gpuE5ELNS1_3repE0EEENS1_38merge_mergepath_config_static_selectorELNS0_4arch9wavefront6targetE1EEEvSK_,@function
_ZN7rocprim17ROCPRIM_400000_NS6detail17trampoline_kernelINS0_14default_configENS1_38merge_sort_block_merge_config_selectorIhNS0_10empty_typeEEEZZNS1_27merge_sort_block_merge_implIS3_N6thrust23THRUST_200600_302600_NS6detail15normal_iteratorINS9_10device_ptrIhEEEEPS5_m14custom_greaterIhEEE10hipError_tT0_T1_T2_jT3_P12ihipStream_tbPNSt15iterator_traitsISJ_E10value_typeEPNSP_ISK_E10value_typeEPSL_NS1_7vsmem_tEENKUlT_SJ_SK_SL_E_clISE_PhSF_SF_EESI_SY_SJ_SK_SL_EUlSY_E0_NS1_11comp_targetILNS1_3genE10ELNS1_11target_archE1201ELNS1_3gpuE5ELNS1_3repE0EEENS1_38merge_mergepath_config_static_selectorELNS0_4arch9wavefront6targetE1EEEvSK_: ; @_ZN7rocprim17ROCPRIM_400000_NS6detail17trampoline_kernelINS0_14default_configENS1_38merge_sort_block_merge_config_selectorIhNS0_10empty_typeEEEZZNS1_27merge_sort_block_merge_implIS3_N6thrust23THRUST_200600_302600_NS6detail15normal_iteratorINS9_10device_ptrIhEEEEPS5_m14custom_greaterIhEEE10hipError_tT0_T1_T2_jT3_P12ihipStream_tbPNSt15iterator_traitsISJ_E10value_typeEPNSP_ISK_E10value_typeEPSL_NS1_7vsmem_tEENKUlT_SJ_SK_SL_E_clISE_PhSF_SF_EESI_SY_SJ_SK_SL_EUlSY_E0_NS1_11comp_targetILNS1_3genE10ELNS1_11target_archE1201ELNS1_3gpuE5ELNS1_3repE0EEENS1_38merge_mergepath_config_static_selectorELNS0_4arch9wavefront6targetE1EEEvSK_
; %bb.0:
	.section	.rodata,"a",@progbits
	.p2align	6, 0x0
	.amdhsa_kernel _ZN7rocprim17ROCPRIM_400000_NS6detail17trampoline_kernelINS0_14default_configENS1_38merge_sort_block_merge_config_selectorIhNS0_10empty_typeEEEZZNS1_27merge_sort_block_merge_implIS3_N6thrust23THRUST_200600_302600_NS6detail15normal_iteratorINS9_10device_ptrIhEEEEPS5_m14custom_greaterIhEEE10hipError_tT0_T1_T2_jT3_P12ihipStream_tbPNSt15iterator_traitsISJ_E10value_typeEPNSP_ISK_E10value_typeEPSL_NS1_7vsmem_tEENKUlT_SJ_SK_SL_E_clISE_PhSF_SF_EESI_SY_SJ_SK_SL_EUlSY_E0_NS1_11comp_targetILNS1_3genE10ELNS1_11target_archE1201ELNS1_3gpuE5ELNS1_3repE0EEENS1_38merge_mergepath_config_static_selectorELNS0_4arch9wavefront6targetE1EEEvSK_
		.amdhsa_group_segment_fixed_size 0
		.amdhsa_private_segment_fixed_size 0
		.amdhsa_kernarg_size 72
		.amdhsa_user_sgpr_count 6
		.amdhsa_user_sgpr_private_segment_buffer 1
		.amdhsa_user_sgpr_dispatch_ptr 0
		.amdhsa_user_sgpr_queue_ptr 0
		.amdhsa_user_sgpr_kernarg_segment_ptr 1
		.amdhsa_user_sgpr_dispatch_id 0
		.amdhsa_user_sgpr_flat_scratch_init 0
		.amdhsa_user_sgpr_kernarg_preload_length 0
		.amdhsa_user_sgpr_kernarg_preload_offset 0
		.amdhsa_user_sgpr_private_segment_size 0
		.amdhsa_uses_dynamic_stack 0
		.amdhsa_system_sgpr_private_segment_wavefront_offset 0
		.amdhsa_system_sgpr_workgroup_id_x 1
		.amdhsa_system_sgpr_workgroup_id_y 0
		.amdhsa_system_sgpr_workgroup_id_z 0
		.amdhsa_system_sgpr_workgroup_info 0
		.amdhsa_system_vgpr_workitem_id 0
		.amdhsa_next_free_vgpr 1
		.amdhsa_next_free_sgpr 0
		.amdhsa_accum_offset 4
		.amdhsa_reserve_vcc 0
		.amdhsa_reserve_flat_scratch 0
		.amdhsa_float_round_mode_32 0
		.amdhsa_float_round_mode_16_64 0
		.amdhsa_float_denorm_mode_32 3
		.amdhsa_float_denorm_mode_16_64 3
		.amdhsa_dx10_clamp 1
		.amdhsa_ieee_mode 1
		.amdhsa_fp16_overflow 0
		.amdhsa_tg_split 0
		.amdhsa_exception_fp_ieee_invalid_op 0
		.amdhsa_exception_fp_denorm_src 0
		.amdhsa_exception_fp_ieee_div_zero 0
		.amdhsa_exception_fp_ieee_overflow 0
		.amdhsa_exception_fp_ieee_underflow 0
		.amdhsa_exception_fp_ieee_inexact 0
		.amdhsa_exception_int_div_zero 0
	.end_amdhsa_kernel
	.section	.text._ZN7rocprim17ROCPRIM_400000_NS6detail17trampoline_kernelINS0_14default_configENS1_38merge_sort_block_merge_config_selectorIhNS0_10empty_typeEEEZZNS1_27merge_sort_block_merge_implIS3_N6thrust23THRUST_200600_302600_NS6detail15normal_iteratorINS9_10device_ptrIhEEEEPS5_m14custom_greaterIhEEE10hipError_tT0_T1_T2_jT3_P12ihipStream_tbPNSt15iterator_traitsISJ_E10value_typeEPNSP_ISK_E10value_typeEPSL_NS1_7vsmem_tEENKUlT_SJ_SK_SL_E_clISE_PhSF_SF_EESI_SY_SJ_SK_SL_EUlSY_E0_NS1_11comp_targetILNS1_3genE10ELNS1_11target_archE1201ELNS1_3gpuE5ELNS1_3repE0EEENS1_38merge_mergepath_config_static_selectorELNS0_4arch9wavefront6targetE1EEEvSK_,"axG",@progbits,_ZN7rocprim17ROCPRIM_400000_NS6detail17trampoline_kernelINS0_14default_configENS1_38merge_sort_block_merge_config_selectorIhNS0_10empty_typeEEEZZNS1_27merge_sort_block_merge_implIS3_N6thrust23THRUST_200600_302600_NS6detail15normal_iteratorINS9_10device_ptrIhEEEEPS5_m14custom_greaterIhEEE10hipError_tT0_T1_T2_jT3_P12ihipStream_tbPNSt15iterator_traitsISJ_E10value_typeEPNSP_ISK_E10value_typeEPSL_NS1_7vsmem_tEENKUlT_SJ_SK_SL_E_clISE_PhSF_SF_EESI_SY_SJ_SK_SL_EUlSY_E0_NS1_11comp_targetILNS1_3genE10ELNS1_11target_archE1201ELNS1_3gpuE5ELNS1_3repE0EEENS1_38merge_mergepath_config_static_selectorELNS0_4arch9wavefront6targetE1EEEvSK_,comdat
.Lfunc_end2894:
	.size	_ZN7rocprim17ROCPRIM_400000_NS6detail17trampoline_kernelINS0_14default_configENS1_38merge_sort_block_merge_config_selectorIhNS0_10empty_typeEEEZZNS1_27merge_sort_block_merge_implIS3_N6thrust23THRUST_200600_302600_NS6detail15normal_iteratorINS9_10device_ptrIhEEEEPS5_m14custom_greaterIhEEE10hipError_tT0_T1_T2_jT3_P12ihipStream_tbPNSt15iterator_traitsISJ_E10value_typeEPNSP_ISK_E10value_typeEPSL_NS1_7vsmem_tEENKUlT_SJ_SK_SL_E_clISE_PhSF_SF_EESI_SY_SJ_SK_SL_EUlSY_E0_NS1_11comp_targetILNS1_3genE10ELNS1_11target_archE1201ELNS1_3gpuE5ELNS1_3repE0EEENS1_38merge_mergepath_config_static_selectorELNS0_4arch9wavefront6targetE1EEEvSK_, .Lfunc_end2894-_ZN7rocprim17ROCPRIM_400000_NS6detail17trampoline_kernelINS0_14default_configENS1_38merge_sort_block_merge_config_selectorIhNS0_10empty_typeEEEZZNS1_27merge_sort_block_merge_implIS3_N6thrust23THRUST_200600_302600_NS6detail15normal_iteratorINS9_10device_ptrIhEEEEPS5_m14custom_greaterIhEEE10hipError_tT0_T1_T2_jT3_P12ihipStream_tbPNSt15iterator_traitsISJ_E10value_typeEPNSP_ISK_E10value_typeEPSL_NS1_7vsmem_tEENKUlT_SJ_SK_SL_E_clISE_PhSF_SF_EESI_SY_SJ_SK_SL_EUlSY_E0_NS1_11comp_targetILNS1_3genE10ELNS1_11target_archE1201ELNS1_3gpuE5ELNS1_3repE0EEENS1_38merge_mergepath_config_static_selectorELNS0_4arch9wavefront6targetE1EEEvSK_
                                        ; -- End function
	.section	.AMDGPU.csdata,"",@progbits
; Kernel info:
; codeLenInByte = 0
; NumSgprs: 4
; NumVgprs: 0
; NumAgprs: 0
; TotalNumVgprs: 0
; ScratchSize: 0
; MemoryBound: 0
; FloatMode: 240
; IeeeMode: 1
; LDSByteSize: 0 bytes/workgroup (compile time only)
; SGPRBlocks: 0
; VGPRBlocks: 0
; NumSGPRsForWavesPerEU: 4
; NumVGPRsForWavesPerEU: 1
; AccumOffset: 4
; Occupancy: 8
; WaveLimiterHint : 0
; COMPUTE_PGM_RSRC2:SCRATCH_EN: 0
; COMPUTE_PGM_RSRC2:USER_SGPR: 6
; COMPUTE_PGM_RSRC2:TRAP_HANDLER: 0
; COMPUTE_PGM_RSRC2:TGID_X_EN: 1
; COMPUTE_PGM_RSRC2:TGID_Y_EN: 0
; COMPUTE_PGM_RSRC2:TGID_Z_EN: 0
; COMPUTE_PGM_RSRC2:TIDIG_COMP_CNT: 0
; COMPUTE_PGM_RSRC3_GFX90A:ACCUM_OFFSET: 0
; COMPUTE_PGM_RSRC3_GFX90A:TG_SPLIT: 0
	.section	.text._ZN7rocprim17ROCPRIM_400000_NS6detail17trampoline_kernelINS0_14default_configENS1_38merge_sort_block_merge_config_selectorIhNS0_10empty_typeEEEZZNS1_27merge_sort_block_merge_implIS3_N6thrust23THRUST_200600_302600_NS6detail15normal_iteratorINS9_10device_ptrIhEEEEPS5_m14custom_greaterIhEEE10hipError_tT0_T1_T2_jT3_P12ihipStream_tbPNSt15iterator_traitsISJ_E10value_typeEPNSP_ISK_E10value_typeEPSL_NS1_7vsmem_tEENKUlT_SJ_SK_SL_E_clISE_PhSF_SF_EESI_SY_SJ_SK_SL_EUlSY_E0_NS1_11comp_targetILNS1_3genE5ELNS1_11target_archE942ELNS1_3gpuE9ELNS1_3repE0EEENS1_38merge_mergepath_config_static_selectorELNS0_4arch9wavefront6targetE1EEEvSK_,"axG",@progbits,_ZN7rocprim17ROCPRIM_400000_NS6detail17trampoline_kernelINS0_14default_configENS1_38merge_sort_block_merge_config_selectorIhNS0_10empty_typeEEEZZNS1_27merge_sort_block_merge_implIS3_N6thrust23THRUST_200600_302600_NS6detail15normal_iteratorINS9_10device_ptrIhEEEEPS5_m14custom_greaterIhEEE10hipError_tT0_T1_T2_jT3_P12ihipStream_tbPNSt15iterator_traitsISJ_E10value_typeEPNSP_ISK_E10value_typeEPSL_NS1_7vsmem_tEENKUlT_SJ_SK_SL_E_clISE_PhSF_SF_EESI_SY_SJ_SK_SL_EUlSY_E0_NS1_11comp_targetILNS1_3genE5ELNS1_11target_archE942ELNS1_3gpuE9ELNS1_3repE0EEENS1_38merge_mergepath_config_static_selectorELNS0_4arch9wavefront6targetE1EEEvSK_,comdat
	.protected	_ZN7rocprim17ROCPRIM_400000_NS6detail17trampoline_kernelINS0_14default_configENS1_38merge_sort_block_merge_config_selectorIhNS0_10empty_typeEEEZZNS1_27merge_sort_block_merge_implIS3_N6thrust23THRUST_200600_302600_NS6detail15normal_iteratorINS9_10device_ptrIhEEEEPS5_m14custom_greaterIhEEE10hipError_tT0_T1_T2_jT3_P12ihipStream_tbPNSt15iterator_traitsISJ_E10value_typeEPNSP_ISK_E10value_typeEPSL_NS1_7vsmem_tEENKUlT_SJ_SK_SL_E_clISE_PhSF_SF_EESI_SY_SJ_SK_SL_EUlSY_E0_NS1_11comp_targetILNS1_3genE5ELNS1_11target_archE942ELNS1_3gpuE9ELNS1_3repE0EEENS1_38merge_mergepath_config_static_selectorELNS0_4arch9wavefront6targetE1EEEvSK_ ; -- Begin function _ZN7rocprim17ROCPRIM_400000_NS6detail17trampoline_kernelINS0_14default_configENS1_38merge_sort_block_merge_config_selectorIhNS0_10empty_typeEEEZZNS1_27merge_sort_block_merge_implIS3_N6thrust23THRUST_200600_302600_NS6detail15normal_iteratorINS9_10device_ptrIhEEEEPS5_m14custom_greaterIhEEE10hipError_tT0_T1_T2_jT3_P12ihipStream_tbPNSt15iterator_traitsISJ_E10value_typeEPNSP_ISK_E10value_typeEPSL_NS1_7vsmem_tEENKUlT_SJ_SK_SL_E_clISE_PhSF_SF_EESI_SY_SJ_SK_SL_EUlSY_E0_NS1_11comp_targetILNS1_3genE5ELNS1_11target_archE942ELNS1_3gpuE9ELNS1_3repE0EEENS1_38merge_mergepath_config_static_selectorELNS0_4arch9wavefront6targetE1EEEvSK_
	.globl	_ZN7rocprim17ROCPRIM_400000_NS6detail17trampoline_kernelINS0_14default_configENS1_38merge_sort_block_merge_config_selectorIhNS0_10empty_typeEEEZZNS1_27merge_sort_block_merge_implIS3_N6thrust23THRUST_200600_302600_NS6detail15normal_iteratorINS9_10device_ptrIhEEEEPS5_m14custom_greaterIhEEE10hipError_tT0_T1_T2_jT3_P12ihipStream_tbPNSt15iterator_traitsISJ_E10value_typeEPNSP_ISK_E10value_typeEPSL_NS1_7vsmem_tEENKUlT_SJ_SK_SL_E_clISE_PhSF_SF_EESI_SY_SJ_SK_SL_EUlSY_E0_NS1_11comp_targetILNS1_3genE5ELNS1_11target_archE942ELNS1_3gpuE9ELNS1_3repE0EEENS1_38merge_mergepath_config_static_selectorELNS0_4arch9wavefront6targetE1EEEvSK_
	.p2align	8
	.type	_ZN7rocprim17ROCPRIM_400000_NS6detail17trampoline_kernelINS0_14default_configENS1_38merge_sort_block_merge_config_selectorIhNS0_10empty_typeEEEZZNS1_27merge_sort_block_merge_implIS3_N6thrust23THRUST_200600_302600_NS6detail15normal_iteratorINS9_10device_ptrIhEEEEPS5_m14custom_greaterIhEEE10hipError_tT0_T1_T2_jT3_P12ihipStream_tbPNSt15iterator_traitsISJ_E10value_typeEPNSP_ISK_E10value_typeEPSL_NS1_7vsmem_tEENKUlT_SJ_SK_SL_E_clISE_PhSF_SF_EESI_SY_SJ_SK_SL_EUlSY_E0_NS1_11comp_targetILNS1_3genE5ELNS1_11target_archE942ELNS1_3gpuE9ELNS1_3repE0EEENS1_38merge_mergepath_config_static_selectorELNS0_4arch9wavefront6targetE1EEEvSK_,@function
_ZN7rocprim17ROCPRIM_400000_NS6detail17trampoline_kernelINS0_14default_configENS1_38merge_sort_block_merge_config_selectorIhNS0_10empty_typeEEEZZNS1_27merge_sort_block_merge_implIS3_N6thrust23THRUST_200600_302600_NS6detail15normal_iteratorINS9_10device_ptrIhEEEEPS5_m14custom_greaterIhEEE10hipError_tT0_T1_T2_jT3_P12ihipStream_tbPNSt15iterator_traitsISJ_E10value_typeEPNSP_ISK_E10value_typeEPSL_NS1_7vsmem_tEENKUlT_SJ_SK_SL_E_clISE_PhSF_SF_EESI_SY_SJ_SK_SL_EUlSY_E0_NS1_11comp_targetILNS1_3genE5ELNS1_11target_archE942ELNS1_3gpuE9ELNS1_3repE0EEENS1_38merge_mergepath_config_static_selectorELNS0_4arch9wavefront6targetE1EEEvSK_: ; @_ZN7rocprim17ROCPRIM_400000_NS6detail17trampoline_kernelINS0_14default_configENS1_38merge_sort_block_merge_config_selectorIhNS0_10empty_typeEEEZZNS1_27merge_sort_block_merge_implIS3_N6thrust23THRUST_200600_302600_NS6detail15normal_iteratorINS9_10device_ptrIhEEEEPS5_m14custom_greaterIhEEE10hipError_tT0_T1_T2_jT3_P12ihipStream_tbPNSt15iterator_traitsISJ_E10value_typeEPNSP_ISK_E10value_typeEPSL_NS1_7vsmem_tEENKUlT_SJ_SK_SL_E_clISE_PhSF_SF_EESI_SY_SJ_SK_SL_EUlSY_E0_NS1_11comp_targetILNS1_3genE5ELNS1_11target_archE942ELNS1_3gpuE9ELNS1_3repE0EEENS1_38merge_mergepath_config_static_selectorELNS0_4arch9wavefront6targetE1EEEvSK_
; %bb.0:
	.section	.rodata,"a",@progbits
	.p2align	6, 0x0
	.amdhsa_kernel _ZN7rocprim17ROCPRIM_400000_NS6detail17trampoline_kernelINS0_14default_configENS1_38merge_sort_block_merge_config_selectorIhNS0_10empty_typeEEEZZNS1_27merge_sort_block_merge_implIS3_N6thrust23THRUST_200600_302600_NS6detail15normal_iteratorINS9_10device_ptrIhEEEEPS5_m14custom_greaterIhEEE10hipError_tT0_T1_T2_jT3_P12ihipStream_tbPNSt15iterator_traitsISJ_E10value_typeEPNSP_ISK_E10value_typeEPSL_NS1_7vsmem_tEENKUlT_SJ_SK_SL_E_clISE_PhSF_SF_EESI_SY_SJ_SK_SL_EUlSY_E0_NS1_11comp_targetILNS1_3genE5ELNS1_11target_archE942ELNS1_3gpuE9ELNS1_3repE0EEENS1_38merge_mergepath_config_static_selectorELNS0_4arch9wavefront6targetE1EEEvSK_
		.amdhsa_group_segment_fixed_size 0
		.amdhsa_private_segment_fixed_size 0
		.amdhsa_kernarg_size 72
		.amdhsa_user_sgpr_count 6
		.amdhsa_user_sgpr_private_segment_buffer 1
		.amdhsa_user_sgpr_dispatch_ptr 0
		.amdhsa_user_sgpr_queue_ptr 0
		.amdhsa_user_sgpr_kernarg_segment_ptr 1
		.amdhsa_user_sgpr_dispatch_id 0
		.amdhsa_user_sgpr_flat_scratch_init 0
		.amdhsa_user_sgpr_kernarg_preload_length 0
		.amdhsa_user_sgpr_kernarg_preload_offset 0
		.amdhsa_user_sgpr_private_segment_size 0
		.amdhsa_uses_dynamic_stack 0
		.amdhsa_system_sgpr_private_segment_wavefront_offset 0
		.amdhsa_system_sgpr_workgroup_id_x 1
		.amdhsa_system_sgpr_workgroup_id_y 0
		.amdhsa_system_sgpr_workgroup_id_z 0
		.amdhsa_system_sgpr_workgroup_info 0
		.amdhsa_system_vgpr_workitem_id 0
		.amdhsa_next_free_vgpr 1
		.amdhsa_next_free_sgpr 0
		.amdhsa_accum_offset 4
		.amdhsa_reserve_vcc 0
		.amdhsa_reserve_flat_scratch 0
		.amdhsa_float_round_mode_32 0
		.amdhsa_float_round_mode_16_64 0
		.amdhsa_float_denorm_mode_32 3
		.amdhsa_float_denorm_mode_16_64 3
		.amdhsa_dx10_clamp 1
		.amdhsa_ieee_mode 1
		.amdhsa_fp16_overflow 0
		.amdhsa_tg_split 0
		.amdhsa_exception_fp_ieee_invalid_op 0
		.amdhsa_exception_fp_denorm_src 0
		.amdhsa_exception_fp_ieee_div_zero 0
		.amdhsa_exception_fp_ieee_overflow 0
		.amdhsa_exception_fp_ieee_underflow 0
		.amdhsa_exception_fp_ieee_inexact 0
		.amdhsa_exception_int_div_zero 0
	.end_amdhsa_kernel
	.section	.text._ZN7rocprim17ROCPRIM_400000_NS6detail17trampoline_kernelINS0_14default_configENS1_38merge_sort_block_merge_config_selectorIhNS0_10empty_typeEEEZZNS1_27merge_sort_block_merge_implIS3_N6thrust23THRUST_200600_302600_NS6detail15normal_iteratorINS9_10device_ptrIhEEEEPS5_m14custom_greaterIhEEE10hipError_tT0_T1_T2_jT3_P12ihipStream_tbPNSt15iterator_traitsISJ_E10value_typeEPNSP_ISK_E10value_typeEPSL_NS1_7vsmem_tEENKUlT_SJ_SK_SL_E_clISE_PhSF_SF_EESI_SY_SJ_SK_SL_EUlSY_E0_NS1_11comp_targetILNS1_3genE5ELNS1_11target_archE942ELNS1_3gpuE9ELNS1_3repE0EEENS1_38merge_mergepath_config_static_selectorELNS0_4arch9wavefront6targetE1EEEvSK_,"axG",@progbits,_ZN7rocprim17ROCPRIM_400000_NS6detail17trampoline_kernelINS0_14default_configENS1_38merge_sort_block_merge_config_selectorIhNS0_10empty_typeEEEZZNS1_27merge_sort_block_merge_implIS3_N6thrust23THRUST_200600_302600_NS6detail15normal_iteratorINS9_10device_ptrIhEEEEPS5_m14custom_greaterIhEEE10hipError_tT0_T1_T2_jT3_P12ihipStream_tbPNSt15iterator_traitsISJ_E10value_typeEPNSP_ISK_E10value_typeEPSL_NS1_7vsmem_tEENKUlT_SJ_SK_SL_E_clISE_PhSF_SF_EESI_SY_SJ_SK_SL_EUlSY_E0_NS1_11comp_targetILNS1_3genE5ELNS1_11target_archE942ELNS1_3gpuE9ELNS1_3repE0EEENS1_38merge_mergepath_config_static_selectorELNS0_4arch9wavefront6targetE1EEEvSK_,comdat
.Lfunc_end2895:
	.size	_ZN7rocprim17ROCPRIM_400000_NS6detail17trampoline_kernelINS0_14default_configENS1_38merge_sort_block_merge_config_selectorIhNS0_10empty_typeEEEZZNS1_27merge_sort_block_merge_implIS3_N6thrust23THRUST_200600_302600_NS6detail15normal_iteratorINS9_10device_ptrIhEEEEPS5_m14custom_greaterIhEEE10hipError_tT0_T1_T2_jT3_P12ihipStream_tbPNSt15iterator_traitsISJ_E10value_typeEPNSP_ISK_E10value_typeEPSL_NS1_7vsmem_tEENKUlT_SJ_SK_SL_E_clISE_PhSF_SF_EESI_SY_SJ_SK_SL_EUlSY_E0_NS1_11comp_targetILNS1_3genE5ELNS1_11target_archE942ELNS1_3gpuE9ELNS1_3repE0EEENS1_38merge_mergepath_config_static_selectorELNS0_4arch9wavefront6targetE1EEEvSK_, .Lfunc_end2895-_ZN7rocprim17ROCPRIM_400000_NS6detail17trampoline_kernelINS0_14default_configENS1_38merge_sort_block_merge_config_selectorIhNS0_10empty_typeEEEZZNS1_27merge_sort_block_merge_implIS3_N6thrust23THRUST_200600_302600_NS6detail15normal_iteratorINS9_10device_ptrIhEEEEPS5_m14custom_greaterIhEEE10hipError_tT0_T1_T2_jT3_P12ihipStream_tbPNSt15iterator_traitsISJ_E10value_typeEPNSP_ISK_E10value_typeEPSL_NS1_7vsmem_tEENKUlT_SJ_SK_SL_E_clISE_PhSF_SF_EESI_SY_SJ_SK_SL_EUlSY_E0_NS1_11comp_targetILNS1_3genE5ELNS1_11target_archE942ELNS1_3gpuE9ELNS1_3repE0EEENS1_38merge_mergepath_config_static_selectorELNS0_4arch9wavefront6targetE1EEEvSK_
                                        ; -- End function
	.section	.AMDGPU.csdata,"",@progbits
; Kernel info:
; codeLenInByte = 0
; NumSgprs: 4
; NumVgprs: 0
; NumAgprs: 0
; TotalNumVgprs: 0
; ScratchSize: 0
; MemoryBound: 0
; FloatMode: 240
; IeeeMode: 1
; LDSByteSize: 0 bytes/workgroup (compile time only)
; SGPRBlocks: 0
; VGPRBlocks: 0
; NumSGPRsForWavesPerEU: 4
; NumVGPRsForWavesPerEU: 1
; AccumOffset: 4
; Occupancy: 8
; WaveLimiterHint : 0
; COMPUTE_PGM_RSRC2:SCRATCH_EN: 0
; COMPUTE_PGM_RSRC2:USER_SGPR: 6
; COMPUTE_PGM_RSRC2:TRAP_HANDLER: 0
; COMPUTE_PGM_RSRC2:TGID_X_EN: 1
; COMPUTE_PGM_RSRC2:TGID_Y_EN: 0
; COMPUTE_PGM_RSRC2:TGID_Z_EN: 0
; COMPUTE_PGM_RSRC2:TIDIG_COMP_CNT: 0
; COMPUTE_PGM_RSRC3_GFX90A:ACCUM_OFFSET: 0
; COMPUTE_PGM_RSRC3_GFX90A:TG_SPLIT: 0
	.section	.text._ZN7rocprim17ROCPRIM_400000_NS6detail17trampoline_kernelINS0_14default_configENS1_38merge_sort_block_merge_config_selectorIhNS0_10empty_typeEEEZZNS1_27merge_sort_block_merge_implIS3_N6thrust23THRUST_200600_302600_NS6detail15normal_iteratorINS9_10device_ptrIhEEEEPS5_m14custom_greaterIhEEE10hipError_tT0_T1_T2_jT3_P12ihipStream_tbPNSt15iterator_traitsISJ_E10value_typeEPNSP_ISK_E10value_typeEPSL_NS1_7vsmem_tEENKUlT_SJ_SK_SL_E_clISE_PhSF_SF_EESI_SY_SJ_SK_SL_EUlSY_E0_NS1_11comp_targetILNS1_3genE4ELNS1_11target_archE910ELNS1_3gpuE8ELNS1_3repE0EEENS1_38merge_mergepath_config_static_selectorELNS0_4arch9wavefront6targetE1EEEvSK_,"axG",@progbits,_ZN7rocprim17ROCPRIM_400000_NS6detail17trampoline_kernelINS0_14default_configENS1_38merge_sort_block_merge_config_selectorIhNS0_10empty_typeEEEZZNS1_27merge_sort_block_merge_implIS3_N6thrust23THRUST_200600_302600_NS6detail15normal_iteratorINS9_10device_ptrIhEEEEPS5_m14custom_greaterIhEEE10hipError_tT0_T1_T2_jT3_P12ihipStream_tbPNSt15iterator_traitsISJ_E10value_typeEPNSP_ISK_E10value_typeEPSL_NS1_7vsmem_tEENKUlT_SJ_SK_SL_E_clISE_PhSF_SF_EESI_SY_SJ_SK_SL_EUlSY_E0_NS1_11comp_targetILNS1_3genE4ELNS1_11target_archE910ELNS1_3gpuE8ELNS1_3repE0EEENS1_38merge_mergepath_config_static_selectorELNS0_4arch9wavefront6targetE1EEEvSK_,comdat
	.protected	_ZN7rocprim17ROCPRIM_400000_NS6detail17trampoline_kernelINS0_14default_configENS1_38merge_sort_block_merge_config_selectorIhNS0_10empty_typeEEEZZNS1_27merge_sort_block_merge_implIS3_N6thrust23THRUST_200600_302600_NS6detail15normal_iteratorINS9_10device_ptrIhEEEEPS5_m14custom_greaterIhEEE10hipError_tT0_T1_T2_jT3_P12ihipStream_tbPNSt15iterator_traitsISJ_E10value_typeEPNSP_ISK_E10value_typeEPSL_NS1_7vsmem_tEENKUlT_SJ_SK_SL_E_clISE_PhSF_SF_EESI_SY_SJ_SK_SL_EUlSY_E0_NS1_11comp_targetILNS1_3genE4ELNS1_11target_archE910ELNS1_3gpuE8ELNS1_3repE0EEENS1_38merge_mergepath_config_static_selectorELNS0_4arch9wavefront6targetE1EEEvSK_ ; -- Begin function _ZN7rocprim17ROCPRIM_400000_NS6detail17trampoline_kernelINS0_14default_configENS1_38merge_sort_block_merge_config_selectorIhNS0_10empty_typeEEEZZNS1_27merge_sort_block_merge_implIS3_N6thrust23THRUST_200600_302600_NS6detail15normal_iteratorINS9_10device_ptrIhEEEEPS5_m14custom_greaterIhEEE10hipError_tT0_T1_T2_jT3_P12ihipStream_tbPNSt15iterator_traitsISJ_E10value_typeEPNSP_ISK_E10value_typeEPSL_NS1_7vsmem_tEENKUlT_SJ_SK_SL_E_clISE_PhSF_SF_EESI_SY_SJ_SK_SL_EUlSY_E0_NS1_11comp_targetILNS1_3genE4ELNS1_11target_archE910ELNS1_3gpuE8ELNS1_3repE0EEENS1_38merge_mergepath_config_static_selectorELNS0_4arch9wavefront6targetE1EEEvSK_
	.globl	_ZN7rocprim17ROCPRIM_400000_NS6detail17trampoline_kernelINS0_14default_configENS1_38merge_sort_block_merge_config_selectorIhNS0_10empty_typeEEEZZNS1_27merge_sort_block_merge_implIS3_N6thrust23THRUST_200600_302600_NS6detail15normal_iteratorINS9_10device_ptrIhEEEEPS5_m14custom_greaterIhEEE10hipError_tT0_T1_T2_jT3_P12ihipStream_tbPNSt15iterator_traitsISJ_E10value_typeEPNSP_ISK_E10value_typeEPSL_NS1_7vsmem_tEENKUlT_SJ_SK_SL_E_clISE_PhSF_SF_EESI_SY_SJ_SK_SL_EUlSY_E0_NS1_11comp_targetILNS1_3genE4ELNS1_11target_archE910ELNS1_3gpuE8ELNS1_3repE0EEENS1_38merge_mergepath_config_static_selectorELNS0_4arch9wavefront6targetE1EEEvSK_
	.p2align	8
	.type	_ZN7rocprim17ROCPRIM_400000_NS6detail17trampoline_kernelINS0_14default_configENS1_38merge_sort_block_merge_config_selectorIhNS0_10empty_typeEEEZZNS1_27merge_sort_block_merge_implIS3_N6thrust23THRUST_200600_302600_NS6detail15normal_iteratorINS9_10device_ptrIhEEEEPS5_m14custom_greaterIhEEE10hipError_tT0_T1_T2_jT3_P12ihipStream_tbPNSt15iterator_traitsISJ_E10value_typeEPNSP_ISK_E10value_typeEPSL_NS1_7vsmem_tEENKUlT_SJ_SK_SL_E_clISE_PhSF_SF_EESI_SY_SJ_SK_SL_EUlSY_E0_NS1_11comp_targetILNS1_3genE4ELNS1_11target_archE910ELNS1_3gpuE8ELNS1_3repE0EEENS1_38merge_mergepath_config_static_selectorELNS0_4arch9wavefront6targetE1EEEvSK_,@function
_ZN7rocprim17ROCPRIM_400000_NS6detail17trampoline_kernelINS0_14default_configENS1_38merge_sort_block_merge_config_selectorIhNS0_10empty_typeEEEZZNS1_27merge_sort_block_merge_implIS3_N6thrust23THRUST_200600_302600_NS6detail15normal_iteratorINS9_10device_ptrIhEEEEPS5_m14custom_greaterIhEEE10hipError_tT0_T1_T2_jT3_P12ihipStream_tbPNSt15iterator_traitsISJ_E10value_typeEPNSP_ISK_E10value_typeEPSL_NS1_7vsmem_tEENKUlT_SJ_SK_SL_E_clISE_PhSF_SF_EESI_SY_SJ_SK_SL_EUlSY_E0_NS1_11comp_targetILNS1_3genE4ELNS1_11target_archE910ELNS1_3gpuE8ELNS1_3repE0EEENS1_38merge_mergepath_config_static_selectorELNS0_4arch9wavefront6targetE1EEEvSK_: ; @_ZN7rocprim17ROCPRIM_400000_NS6detail17trampoline_kernelINS0_14default_configENS1_38merge_sort_block_merge_config_selectorIhNS0_10empty_typeEEEZZNS1_27merge_sort_block_merge_implIS3_N6thrust23THRUST_200600_302600_NS6detail15normal_iteratorINS9_10device_ptrIhEEEEPS5_m14custom_greaterIhEEE10hipError_tT0_T1_T2_jT3_P12ihipStream_tbPNSt15iterator_traitsISJ_E10value_typeEPNSP_ISK_E10value_typeEPSL_NS1_7vsmem_tEENKUlT_SJ_SK_SL_E_clISE_PhSF_SF_EESI_SY_SJ_SK_SL_EUlSY_E0_NS1_11comp_targetILNS1_3genE4ELNS1_11target_archE910ELNS1_3gpuE8ELNS1_3repE0EEENS1_38merge_mergepath_config_static_selectorELNS0_4arch9wavefront6targetE1EEEvSK_
; %bb.0:
	s_load_dwordx2 s[22:23], s[4:5], 0x48
	s_load_dword s0, s[4:5], 0x38
	s_add_u32 s10, s4, 0x48
	s_addc_u32 s11, s5, 0
	s_waitcnt lgkmcnt(0)
	s_mul_i32 s1, s23, s8
	s_add_i32 s1, s1, s7
	s_mul_i32 s1, s1, s22
	s_add_i32 s8, s1, s6
	s_cmp_ge_u32 s8, s0
	s_cbranch_scc1 .LBB2896_53
; %bb.1:
	s_load_dwordx2 s[0:1], s[4:5], 0x40
	s_load_dwordx4 s[16:19], s[4:5], 0x8
	s_load_dwordx4 s[12:15], s[4:5], 0x28
	s_mov_b32 s9, 0
	s_lshl_b64 s[2:3], s[8:9], 3
	s_waitcnt lgkmcnt(0)
	s_add_u32 s0, s0, s2
	s_addc_u32 s1, s1, s3
	v_mov_b32_e32 v1, s14
	v_alignbit_b32 v1, s15, v1, 9
	v_readfirstlane_b32 s4, v1
	s_and_b32 s4, s4, -2
	s_sub_i32 s30, 0, s4
	s_and_b32 s24, s8, s30
	s_mov_b32 s25, s9
	s_lshl_b64 s[4:5], s[24:25], 10
	s_lshl_b64 s[20:21], s[8:9], 10
	s_sub_u32 s7, s20, s4
	s_load_dwordx4 s[0:3], s[0:1], 0x0
	s_subb_u32 s23, s21, s5
	s_lshl_b64 s[24:25], s[24:25], 11
	s_add_u32 s24, s24, s14
	s_addc_u32 s25, s25, s15
	s_add_u32 s7, s24, s7
	s_addc_u32 s23, s25, s23
	s_waitcnt lgkmcnt(0)
	s_sub_u32 s26, s7, s2
	s_subb_u32 s3, s23, s3
	s_add_u32 s26, s26, 0x400
	s_addc_u32 s27, s3, 0
	v_pk_mov_b32 v[2:3], s[26:27], s[26:27] op_sel:[0,1]
	v_cmp_lt_u64_e32 vcc, s[12:13], v[2:3]
	s_and_b64 s[28:29], vcc, exec
	s_cselect_b32 s3, s12, s26
	s_or_b32 s26, s8, s30
	s_cmp_lg_u32 s26, -1
	s_cbranch_scc1 .LBB2896_3
; %bb.2:
	s_sub_u32 s4, s24, s4
	s_subb_u32 s5, s25, s5
	v_pk_mov_b32 v[2:3], s[4:5], s[4:5] op_sel:[0,1]
	v_cmp_lt_u64_e32 vcc, s[12:13], v[2:3]
	s_and_b64 s[2:3], vcc, exec
	s_cselect_b32 s2, s12, s4
	s_add_u32 s4, s4, s14
	s_addc_u32 s5, s5, s15
	v_pk_mov_b32 v[2:3], s[4:5], s[4:5] op_sel:[0,1]
	v_cmp_lt_u64_e32 vcc, s[12:13], v[2:3]
	s_and_b64 s[14:15], vcc, exec
	s_cselect_b32 s3, s12, s4
.LBB2896_3:
	s_lshr_b64 s[24:25], s[12:13], 10
	s_cmp_lg_u64 s[24:25], s[8:9]
	s_cselect_b64 s[14:15], -1, 0
	s_sub_u32 s4, s7, s0
	s_subb_u32 s5, s23, s1
	v_pk_mov_b32 v[2:3], s[4:5], s[4:5] op_sel:[0,1]
	v_cmp_lt_u64_e32 vcc, s[12:13], v[2:3]
	s_and_b64 s[26:27], vcc, exec
	s_cselect_b32 s26, s12, s4
	s_cselect_b32 s23, s13, s5
	s_sub_i32 s13, s2, s0
	s_sub_i32 s4, s3, s26
	s_add_u32 s5, s16, s0
	s_addc_u32 s7, s17, s1
	s_add_u32 s16, s16, s26
	s_addc_u32 s17, s17, s23
	s_cmp_lt_u32 s6, s22
	v_mov_b32_e32 v1, 0
	s_cselect_b32 s0, 12, 18
	global_load_dword v2, v1, s[10:11] offset:14
	s_add_u32 s0, s10, s0
	s_addc_u32 s1, s11, 0
	global_load_ushort v1, v1, s[0:1]
	s_cmp_eq_u64 s[24:25], s[8:9]
	s_waitcnt vmcnt(1)
	v_lshrrev_b32_e32 v3, 16, v2
	v_and_b32_e32 v2, 0xffff, v2
	v_mul_lo_u32 v2, v2, v3
	s_waitcnt vmcnt(0)
	v_mul_lo_u32 v5, v2, v1
	v_add_u32_e32 v10, v5, v0
	v_add_u32_e32 v9, v10, v5
	s_cbranch_scc1 .LBB2896_5
; %bb.4:
	v_subrev_u32_e32 v1, s13, v0
	v_mov_b32_e32 v2, s17
	v_add_co_u32_e32 v1, vcc, s16, v1
	v_addc_co_u32_e32 v2, vcc, 0, v2, vcc
	v_mov_b32_e32 v3, s7
	v_add_co_u32_e32 v4, vcc, s5, v0
	v_addc_co_u32_e32 v3, vcc, 0, v3, vcc
	v_cmp_gt_u32_e32 vcc, s13, v0
	v_cndmask_b32_e32 v12, v1, v4, vcc
	v_subrev_u32_e32 v1, s13, v10
	v_cndmask_b32_e32 v13, v2, v3, vcc
	v_mov_b32_e32 v2, s17
	v_add_co_u32_e32 v1, vcc, s16, v1
	v_addc_co_u32_e32 v2, vcc, 0, v2, vcc
	v_mov_b32_e32 v3, s7
	v_add_co_u32_e32 v4, vcc, s5, v10
	v_addc_co_u32_e32 v3, vcc, 0, v3, vcc
	v_cmp_gt_u32_e32 vcc, s13, v10
	v_cndmask_b32_e32 v14, v1, v4, vcc
	v_subrev_u32_e32 v1, s13, v9
	v_cndmask_b32_e32 v15, v2, v3, vcc
	v_mov_b32_e32 v2, s17
	v_add_co_u32_e32 v1, vcc, s16, v1
	v_addc_co_u32_e32 v2, vcc, 0, v2, vcc
	v_mov_b32_e32 v3, s7
	v_add_co_u32_e32 v4, vcc, s5, v9
	v_addc_co_u32_e32 v3, vcc, 0, v3, vcc
	v_cmp_gt_u32_e32 vcc, s13, v9
	v_cndmask_b32_e32 v16, v1, v4, vcc
	v_add_u32_e32 v1, v9, v5
	v_cndmask_b32_e32 v17, v2, v3, vcc
	v_subrev_u32_e32 v2, s13, v1
	v_mov_b32_e32 v3, s17
	v_add_co_u32_e32 v2, vcc, s16, v2
	v_addc_co_u32_e32 v3, vcc, 0, v3, vcc
	v_mov_b32_e32 v4, s7
	v_add_co_u32_e32 v6, vcc, s5, v1
	v_addc_co_u32_e32 v4, vcc, 0, v4, vcc
	v_cmp_gt_u32_e32 vcc, s13, v1
	v_add_u32_e32 v1, v1, v5
	v_cndmask_b32_e32 v18, v2, v6, vcc
	v_subrev_u32_e32 v2, s13, v1
	v_cndmask_b32_e32 v19, v3, v4, vcc
	v_mov_b32_e32 v3, s17
	v_add_co_u32_e32 v2, vcc, s16, v2
	v_addc_co_u32_e32 v3, vcc, 0, v3, vcc
	v_mov_b32_e32 v4, s7
	v_add_co_u32_e32 v6, vcc, s5, v1
	v_addc_co_u32_e32 v4, vcc, 0, v4, vcc
	v_cmp_gt_u32_e32 vcc, s13, v1
	v_add_u32_e32 v1, v1, v5
	v_cndmask_b32_e32 v20, v2, v6, vcc
	v_subrev_u32_e32 v2, s13, v1
	v_cndmask_b32_e32 v21, v3, v4, vcc
	v_mov_b32_e32 v3, s17
	v_add_co_u32_e32 v2, vcc, s16, v2
	v_addc_co_u32_e32 v3, vcc, 0, v3, vcc
	v_mov_b32_e32 v4, s7
	v_add_co_u32_e32 v6, vcc, s5, v1
	v_addc_co_u32_e32 v4, vcc, 0, v4, vcc
	v_add_u32_e32 v11, v1, v5
	v_cmp_gt_u32_e32 vcc, s13, v1
	v_subrev_u32_e32 v1, s13, v11
	v_cndmask_b32_e32 v23, v3, v4, vcc
	v_cndmask_b32_e32 v22, v2, v6, vcc
	v_mov_b32_e32 v2, s17
	v_add_co_u32_e32 v1, vcc, s16, v1
	v_addc_co_u32_e32 v2, vcc, 0, v2, vcc
	v_mov_b32_e32 v3, s7
	v_add_co_u32_e32 v4, vcc, s5, v11
	v_addc_co_u32_e32 v3, vcc, 0, v3, vcc
	v_cmp_gt_u32_e32 vcc, s13, v11
	v_cndmask_b32_e32 v25, v2, v3, vcc
	v_cndmask_b32_e32 v24, v1, v4, vcc
	global_load_ubyte v1, v[12:13], off
	global_load_ubyte v2, v[14:15], off
	;; [unrolled: 1-line block ×7, first 2 shown]
	v_add_u32_e32 v11, v11, v5
	s_add_i32 s6, s13, s4
	s_mov_b64 s[0:1], -1
	s_cbranch_execz .LBB2896_6
	s_branch .LBB2896_21
.LBB2896_5:
	s_mov_b64 s[0:1], 0
                                        ; implicit-def: $vgpr11
                                        ; implicit-def: $vgpr1
                                        ; implicit-def: $vgpr2
                                        ; implicit-def: $vgpr3
                                        ; implicit-def: $vgpr4
                                        ; implicit-def: $vgpr6
                                        ; implicit-def: $vgpr7
                                        ; implicit-def: $vgpr8
                                        ; implicit-def: $sgpr6
.LBB2896_6:
	s_add_i32 s6, s13, s4
	v_cmp_gt_u32_e32 vcc, s6, v0
                                        ; implicit-def: $vgpr1
	s_and_saveexec_b64 s[0:1], vcc
	s_cbranch_execz .LBB2896_8
; %bb.7:
	s_waitcnt vmcnt(6)
	v_mov_b32_e32 v1, s7
	s_waitcnt vmcnt(5)
	v_add_co_u32_e32 v2, vcc, s5, v0
	v_addc_co_u32_e32 v1, vcc, 0, v1, vcc
	s_waitcnt vmcnt(4)
	v_subrev_u32_e32 v3, s13, v0
	s_waitcnt vmcnt(3)
	v_mov_b32_e32 v4, s17
	s_waitcnt vmcnt(2)
	v_add_co_u32_e32 v6, vcc, s16, v3
	v_addc_co_u32_e32 v3, vcc, 0, v4, vcc
	v_cmp_gt_u32_e32 vcc, s13, v0
	v_cndmask_b32_e32 v3, v3, v1, vcc
	v_cndmask_b32_e32 v2, v6, v2, vcc
	global_load_ubyte v1, v[2:3], off
.LBB2896_8:
	s_or_b64 exec, exec, s[0:1]
	v_cmp_gt_u32_e32 vcc, s6, v10
                                        ; implicit-def: $vgpr2
	s_and_saveexec_b64 s[0:1], vcc
	s_cbranch_execz .LBB2896_10
; %bb.9:
	s_waitcnt vmcnt(5)
	v_mov_b32_e32 v2, s7
	s_waitcnt vmcnt(3)
	v_add_co_u32_e32 v4, vcc, s5, v10
	v_addc_co_u32_e32 v2, vcc, 0, v2, vcc
	v_subrev_u32_e32 v3, s13, v10
	s_waitcnt vmcnt(2)
	v_mov_b32_e32 v6, s17
	s_waitcnt vmcnt(1)
	v_add_co_u32_e32 v7, vcc, s16, v3
	v_addc_co_u32_e32 v3, vcc, 0, v6, vcc
	v_cmp_gt_u32_e32 vcc, s13, v10
	v_cndmask_b32_e32 v3, v3, v2, vcc
	v_cndmask_b32_e32 v2, v7, v4, vcc
	global_load_ubyte v2, v[2:3], off
.LBB2896_10:
	s_or_b64 exec, exec, s[0:1]
	v_cmp_gt_u32_e32 vcc, s6, v9
                                        ; implicit-def: $vgpr3
	s_and_saveexec_b64 s[0:1], vcc
	s_cbranch_execz .LBB2896_12
; %bb.11:
	s_waitcnt vmcnt(4)
	v_mov_b32_e32 v3, s7
	s_waitcnt vmcnt(3)
	v_add_co_u32_e32 v4, vcc, s5, v9
	v_addc_co_u32_e32 v3, vcc, 0, v3, vcc
	s_waitcnt vmcnt(2)
	v_subrev_u32_e32 v6, s13, v9
	s_waitcnt vmcnt(1)
	v_mov_b32_e32 v7, s17
	v_add_co_u32_e32 v6, vcc, s16, v6
	v_addc_co_u32_e32 v7, vcc, 0, v7, vcc
	v_cmp_gt_u32_e32 vcc, s13, v9
	v_cndmask_b32_e32 v7, v7, v3, vcc
	v_cndmask_b32_e32 v6, v6, v4, vcc
	global_load_ubyte v3, v[6:7], off
.LBB2896_12:
	s_or_b64 exec, exec, s[0:1]
	s_waitcnt vmcnt(2)
	v_add_u32_e32 v6, v9, v5
	v_cmp_gt_u32_e32 vcc, s6, v6
                                        ; implicit-def: $vgpr4
	s_and_saveexec_b64 s[0:1], vcc
	s_cbranch_execz .LBB2896_14
; %bb.13:
	v_mov_b32_e32 v4, s7
	s_waitcnt vmcnt(1)
	v_add_co_u32_e32 v7, vcc, s5, v6
	v_addc_co_u32_e32 v4, vcc, 0, v4, vcc
	s_waitcnt vmcnt(0)
	v_subrev_u32_e32 v8, s13, v6
	v_mov_b32_e32 v9, s17
	v_add_co_u32_e32 v8, vcc, s16, v8
	v_addc_co_u32_e32 v9, vcc, 0, v9, vcc
	v_cmp_gt_u32_e32 vcc, s13, v6
	v_cndmask_b32_e32 v9, v9, v4, vcc
	v_cndmask_b32_e32 v8, v8, v7, vcc
	global_load_ubyte v4, v[8:9], off
.LBB2896_14:
	s_or_b64 exec, exec, s[0:1]
	s_waitcnt vmcnt(1)
	v_add_u32_e32 v7, v6, v5
	v_cmp_gt_u32_e32 vcc, s6, v7
                                        ; implicit-def: $vgpr6
	s_and_saveexec_b64 s[0:1], vcc
	s_cbranch_execz .LBB2896_16
; %bb.15:
	v_mov_b32_e32 v6, s7
	s_waitcnt vmcnt(0)
	v_add_co_u32_e32 v8, vcc, s5, v7
	v_addc_co_u32_e32 v6, vcc, 0, v6, vcc
	v_subrev_u32_e32 v9, s13, v7
	v_mov_b32_e32 v10, s17
	v_add_co_u32_e32 v11, vcc, s16, v9
	v_addc_co_u32_e32 v9, vcc, 0, v10, vcc
	v_cmp_gt_u32_e32 vcc, s13, v7
	v_cndmask_b32_e32 v9, v9, v6, vcc
	v_cndmask_b32_e32 v8, v11, v8, vcc
	global_load_ubyte v6, v[8:9], off
.LBB2896_16:
	s_or_b64 exec, exec, s[0:1]
	s_waitcnt vmcnt(0)
	v_add_u32_e32 v8, v7, v5
	v_cmp_gt_u32_e32 vcc, s6, v8
                                        ; implicit-def: $vgpr7
	s_and_saveexec_b64 s[0:1], vcc
	s_cbranch_execz .LBB2896_18
; %bb.17:
	v_mov_b32_e32 v7, s7
	v_add_co_u32_e32 v9, vcc, s5, v8
	v_addc_co_u32_e32 v7, vcc, 0, v7, vcc
	v_subrev_u32_e32 v10, s13, v8
	v_mov_b32_e32 v11, s17
	v_add_co_u32_e32 v10, vcc, s16, v10
	v_addc_co_u32_e32 v11, vcc, 0, v11, vcc
	v_cmp_gt_u32_e32 vcc, s13, v8
	v_cndmask_b32_e32 v11, v11, v7, vcc
	v_cndmask_b32_e32 v10, v10, v9, vcc
	global_load_ubyte v7, v[10:11], off
.LBB2896_18:
	s_or_b64 exec, exec, s[0:1]
	v_add_u32_e32 v9, v8, v5
	v_cmp_gt_u32_e32 vcc, s6, v9
                                        ; implicit-def: $vgpr8
	s_and_saveexec_b64 s[0:1], vcc
	s_cbranch_execz .LBB2896_20
; %bb.19:
	v_mov_b32_e32 v8, s7
	v_add_co_u32_e32 v10, vcc, s5, v9
	v_addc_co_u32_e32 v8, vcc, 0, v8, vcc
	v_subrev_u32_e32 v11, s13, v9
	v_mov_b32_e32 v12, s17
	v_add_co_u32_e32 v13, vcc, s16, v11
	v_addc_co_u32_e32 v11, vcc, 0, v12, vcc
	v_cmp_gt_u32_e32 vcc, s13, v9
	v_cndmask_b32_e32 v11, v11, v8, vcc
	v_cndmask_b32_e32 v10, v13, v10, vcc
	global_load_ubyte v8, v[10:11], off
.LBB2896_20:
	s_or_b64 exec, exec, s[0:1]
	v_add_u32_e32 v11, v9, v5
	v_cmp_gt_u32_e64 s[0:1], s6, v11
.LBB2896_21:
	v_mov_b32_e32 v5, s6
                                        ; implicit-def: $vgpr10
	s_and_saveexec_b64 s[2:3], s[0:1]
	s_cbranch_execz .LBB2896_23
; %bb.22:
	v_subrev_u32_e32 v5, s13, v11
	v_mov_b32_e32 v9, s17
	v_add_co_u32_e32 v5, vcc, s16, v5
	v_addc_co_u32_e32 v9, vcc, 0, v9, vcc
	v_mov_b32_e32 v10, s7
	v_add_co_u32_e32 v12, vcc, s5, v11
	v_addc_co_u32_e32 v10, vcc, 0, v10, vcc
	v_cmp_gt_u32_e32 vcc, s13, v11
	v_cndmask_b32_e32 v11, v9, v10, vcc
	v_cndmask_b32_e32 v10, v5, v12, vcc
	global_load_ubyte v10, v[10:11], off
	v_mov_b32_e32 v5, s6
.LBB2896_23:
	s_or_b64 exec, exec, s[2:3]
	v_lshlrev_b32_e32 v9, 3, v0
	v_min_u32_e32 v12, v5, v9
	v_sub_u32_e64 v11, v12, s4 clamp
	v_min_u32_e32 v13, s13, v12
	v_cmp_lt_u32_e32 vcc, v11, v13
	s_waitcnt vmcnt(6)
	ds_write_b8 v0, v1
	s_waitcnt vmcnt(5)
	ds_write_b8 v0, v2 offset:128
	s_waitcnt vmcnt(4)
	ds_write_b8 v0, v3 offset:256
	;; [unrolled: 2-line block ×5, first 2 shown]
	ds_write_b8 v0, v8 offset:768
	ds_write_b8 v0, v10 offset:896
	s_waitcnt lgkmcnt(0)
	s_barrier
	s_and_saveexec_b64 s[0:1], vcc
	s_cbranch_execz .LBB2896_27
; %bb.24:
	v_add_u32_e32 v14, s13, v12
	s_mov_b64 s[2:3], 0
.LBB2896_25:                            ; =>This Inner Loop Header: Depth=1
	v_add_u32_e32 v15, v13, v11
	v_lshrrev_b32_e32 v15, 1, v15
	v_xad_u32 v16, v15, -1, v14
	ds_read_u8 v17, v15
	ds_read_u8 v16, v16
	v_add_u32_e32 v18, 1, v15
	s_waitcnt lgkmcnt(0)
	v_cmp_gt_u16_e32 vcc, v17, v16
	v_cndmask_b32_e32 v13, v13, v15, vcc
	v_cndmask_b32_e32 v11, v18, v11, vcc
	v_cmp_ge_u32_e32 vcc, v11, v13
	s_or_b64 s[2:3], vcc, s[2:3]
	s_andn2_b64 exec, exec, s[2:3]
	s_cbranch_execnz .LBB2896_25
; %bb.26:
	s_or_b64 exec, exec, s[2:3]
.LBB2896_27:
	s_or_b64 exec, exec, s[0:1]
	v_sub_u32_e32 v12, v12, v11
	v_add_u32_e32 v12, s13, v12
	v_cmp_ge_u32_e32 vcc, s13, v11
	v_cmp_le_u32_e64 s[0:1], v12, v5
	s_or_b64 s[0:1], vcc, s[0:1]
	s_and_saveexec_b64 s[16:17], s[0:1]
	s_cbranch_execz .LBB2896_33
; %bb.28:
	v_cmp_gt_u32_e32 vcc, s13, v11
                                        ; implicit-def: $vgpr1
	s_and_saveexec_b64 s[0:1], vcc
	s_cbranch_execz .LBB2896_30
; %bb.29:
	ds_read_u8 v1, v11
.LBB2896_30:
	s_or_b64 exec, exec, s[0:1]
	v_cmp_ge_u32_e64 s[0:1], v12, v5
	v_cmp_lt_u32_e64 s[2:3], v12, v5
                                        ; implicit-def: $vgpr2
	s_and_saveexec_b64 s[4:5], s[2:3]
	s_cbranch_execz .LBB2896_32
; %bb.31:
	ds_read_u8 v2, v12
.LBB2896_32:
	s_or_b64 exec, exec, s[4:5]
	s_waitcnt lgkmcnt(0)
	v_cmp_le_u16_sdwa s[2:3], v1, v2 src0_sel:BYTE_0 src1_sel:BYTE_0
	s_and_b64 s[2:3], vcc, s[2:3]
	s_or_b64 vcc, s[0:1], s[2:3]
	v_mov_b32_e32 v4, s13
	v_cndmask_b32_e32 v3, v12, v11, vcc
	v_cndmask_b32_e32 v6, v5, v4, vcc
	v_add_u32_e32 v3, 1, v3
	v_add_u32_e32 v6, -1, v6
	v_min_u32_e32 v6, v3, v6
	ds_read_u8 v6, v6
	v_cndmask_b32_e32 v8, v3, v12, vcc
	v_cndmask_b32_e32 v3, v11, v3, vcc
	v_cmp_gt_u32_e64 s[2:3], s13, v3
	v_cmp_ge_u32_e64 s[0:1], v8, v5
	s_waitcnt lgkmcnt(0)
	v_cndmask_b32_e32 v7, v6, v2, vcc
	v_cndmask_b32_e32 v6, v1, v6, vcc
	v_cmp_le_u16_sdwa s[4:5], v6, v7 src0_sel:BYTE_0 src1_sel:BYTE_0
	s_and_b64 s[2:3], s[2:3], s[4:5]
	s_or_b64 s[0:1], s[0:1], s[2:3]
	v_cndmask_b32_e64 v10, v8, v3, s[0:1]
	v_cndmask_b32_e64 v11, v5, v4, s[0:1]
	v_add_u32_e32 v10, 1, v10
	v_add_u32_e32 v11, -1, v11
	v_min_u32_e32 v11, v10, v11
	ds_read_u8 v11, v11
	v_cndmask_b32_e64 v3, v3, v10, s[0:1]
	v_cndmask_b32_e64 v8, v10, v8, s[0:1]
	v_cmp_gt_u32_e64 s[4:5], s13, v3
	v_cmp_ge_u32_e64 s[2:3], v8, v5
	s_waitcnt lgkmcnt(0)
	v_cndmask_b32_e64 v12, v11, v7, s[0:1]
	v_cndmask_b32_e64 v11, v6, v11, s[0:1]
	v_cmp_le_u16_sdwa s[6:7], v11, v12 src0_sel:BYTE_0 src1_sel:BYTE_0
	s_and_b64 s[4:5], s[4:5], s[6:7]
	s_or_b64 s[2:3], s[2:3], s[4:5]
	v_cndmask_b32_e64 v10, v8, v3, s[2:3]
	v_cndmask_b32_e64 v13, v5, v4, s[2:3]
	v_add_u32_e32 v10, 1, v10
	v_add_u32_e32 v13, -1, v13
	v_min_u32_e32 v13, v10, v13
	ds_read_u8 v13, v13
	v_cndmask_b32_e64 v3, v3, v10, s[2:3]
	v_cndmask_b32_e64 v8, v10, v8, s[2:3]
	v_cmp_gt_u32_e64 s[6:7], s13, v3
	v_cmp_ge_u32_e64 s[4:5], v8, v5
	s_waitcnt lgkmcnt(0)
	v_cndmask_b32_e64 v14, v13, v12, s[2:3]
	v_cndmask_b32_e64 v13, v11, v13, s[2:3]
	;; [unrolled: 16-line block ×4, first 2 shown]
	v_cmp_le_u16_sdwa s[22:23], v17, v18 src0_sel:BYTE_0 src1_sel:BYTE_0
	s_and_b64 s[10:11], s[10:11], s[22:23]
	s_or_b64 s[8:9], s[8:9], s[10:11]
	v_cndmask_b32_e64 v3, v8, v10, s[8:9]
	v_cndmask_b32_e64 v19, v5, v4, s[8:9]
	v_add_u32_e32 v20, 1, v3
	v_add_u32_e32 v3, -1, v19
	v_min_u32_e32 v3, v20, v3
	ds_read_u8 v19, v3
	v_cndmask_b32_e64 v3, v12, v11, s[2:3]
	v_cndmask_b32_e64 v10, v10, v20, s[8:9]
	v_cndmask_b32_e32 v1, v2, v1, vcc
	v_cndmask_b32_e64 v2, v7, v6, s[0:1]
	s_waitcnt lgkmcnt(0)
	v_cndmask_b32_e64 v11, v19, v18, s[8:9]
	v_cndmask_b32_e64 v12, v17, v19, s[8:9]
	;; [unrolled: 1-line block ×3, first 2 shown]
	v_cmp_gt_u32_e64 s[0:1], s13, v10
	v_cmp_le_u16_sdwa s[2:3], v12, v11 src0_sel:BYTE_0 src1_sel:BYTE_0
	v_cmp_ge_u32_e32 vcc, v19, v5
	s_and_b64 s[0:1], s[0:1], s[2:3]
	s_or_b64 vcc, vcc, s[0:1]
	v_cndmask_b32_e32 v6, v19, v10, vcc
	v_cndmask_b32_e32 v4, v5, v4, vcc
	v_add_u32_e32 v20, 1, v6
	v_add_u32_e32 v4, -1, v4
	v_min_u32_e32 v4, v20, v4
	ds_read_u8 v21, v4
	v_cndmask_b32_e32 v8, v11, v12, vcc
	v_cndmask_b32_e32 v10, v10, v20, vcc
	v_cndmask_b32_e64 v4, v14, v13, s[4:5]
	v_cndmask_b32_e32 v13, v20, v19, vcc
	s_waitcnt lgkmcnt(0)
	v_cndmask_b32_e32 v11, v21, v11, vcc
	v_cndmask_b32_e32 v12, v12, v21, vcc
	v_cmp_gt_u32_e64 s[0:1], s13, v10
	v_cmp_le_u16_sdwa s[2:3], v12, v11 src0_sel:BYTE_0 src1_sel:BYTE_0
	v_cmp_ge_u32_e32 vcc, v13, v5
	s_and_b64 s[0:1], s[0:1], s[2:3]
	s_or_b64 vcc, vcc, s[0:1]
	v_cndmask_b32_e64 v6, v16, v15, s[6:7]
	v_cndmask_b32_e64 v7, v18, v17, s[8:9]
	v_cndmask_b32_e32 v10, v11, v12, vcc
.LBB2896_33:
	s_or_b64 exec, exec, s[16:17]
	v_lshlrev_b16_e32 v7, 8, v7
	v_lshlrev_b16_e32 v2, 8, v2
	v_lshrrev_b32_e32 v5, 2, v0
	v_or_b32_sdwa v6, v6, v7 dst_sel:DWORD dst_unused:UNUSED_PAD src0_sel:BYTE_0 src1_sel:DWORD
	v_lshlrev_b16_e32 v7, 8, v10
	v_or_b32_sdwa v1, v1, v2 dst_sel:DWORD dst_unused:UNUSED_PAD src0_sel:BYTE_0 src1_sel:DWORD
	v_lshlrev_b16_e32 v2, 8, v4
	s_add_u32 s0, s18, s20
	v_and_b32_e32 v5, 28, v5
	v_or_b32_sdwa v7, v8, v7 dst_sel:WORD_1 dst_unused:UNUSED_PAD src0_sel:BYTE_0 src1_sel:DWORD
	v_or_b32_sdwa v2, v3, v2 dst_sel:WORD_1 dst_unused:UNUSED_PAD src0_sel:BYTE_0 src1_sel:DWORD
	s_addc_u32 s1, s19, s21
	v_add_u32_e32 v5, v5, v9
	v_or_b32_sdwa v6, v6, v7 dst_sel:DWORD dst_unused:UNUSED_PAD src0_sel:WORD_0 src1_sel:DWORD
	v_or_b32_sdwa v1, v1, v2 dst_sel:DWORD dst_unused:UNUSED_PAD src0_sel:WORD_0 src1_sel:DWORD
	s_barrier
	s_barrier
	ds_write2_b32 v5, v1, v6 offset1:1
	v_mov_b32_e32 v1, s1
	v_add_co_u32_e32 v2, vcc, s0, v0
	v_addc_co_u32_e32 v3, vcc, 0, v1, vcc
	s_and_b64 vcc, exec, s[14:15]
	v_add_u32_e32 v4, 4, v0
	v_add_u32_e32 v5, 8, v0
	;; [unrolled: 1-line block ×7, first 2 shown]
	s_waitcnt lgkmcnt(0)
	s_cbranch_vccz .LBB2896_35
; %bb.34:
	s_barrier
	ds_read_u8 v11, v0
	ds_read_u8 v12, v4 offset:128
	ds_read_u8 v13, v5 offset:256
	;; [unrolled: 1-line block ×7, first 2 shown]
	s_waitcnt lgkmcnt(7)
	global_store_byte v[2:3], v11, off
	s_waitcnt lgkmcnt(6)
	global_store_byte v[2:3], v12, off offset:128
	s_waitcnt lgkmcnt(5)
	global_store_byte v[2:3], v13, off offset:256
	;; [unrolled: 2-line block ×6, first 2 shown]
	s_mov_b64 s[0:1], -1
	s_cbranch_execz .LBB2896_36
	s_branch .LBB2896_51
.LBB2896_35:
	s_mov_b64 s[0:1], 0
                                        ; implicit-def: $vgpr1
.LBB2896_36:
	s_barrier
	s_waitcnt lgkmcnt(0)
	ds_read_u8 v13, v4 offset:128
	ds_read_u8 v12, v5 offset:256
	ds_read_u8 v11, v6 offset:384
	ds_read_u8 v6, v7 offset:512
	ds_read_u8 v5, v8 offset:640
	ds_read_u8 v4, v9 offset:768
	ds_read_u8 v1, v10 offset:896
	s_sub_i32 s2, s12, s20
	v_or_b32_e32 v7, 0x80, v0
	v_cmp_gt_u32_e32 vcc, s2, v0
	s_and_saveexec_b64 s[0:1], vcc
	s_cbranch_execz .LBB2896_38
; %bb.37:
	ds_read_u8 v8, v0
	s_waitcnt lgkmcnt(0)
	global_store_byte v[2:3], v8, off
.LBB2896_38:
	s_or_b64 exec, exec, s[0:1]
	v_or_b32_e32 v8, 0x100, v0
	v_cmp_gt_u32_e32 vcc, s2, v7
	s_and_saveexec_b64 s[0:1], vcc
	s_cbranch_execz .LBB2896_40
; %bb.39:
	s_waitcnt lgkmcnt(6)
	global_store_byte v[2:3], v13, off offset:128
.LBB2896_40:
	s_or_b64 exec, exec, s[0:1]
	v_or_b32_e32 v7, 0x180, v0
	v_cmp_gt_u32_e32 vcc, s2, v8
	s_and_saveexec_b64 s[0:1], vcc
	s_cbranch_execz .LBB2896_42
; %bb.41:
	s_waitcnt lgkmcnt(5)
	global_store_byte v[2:3], v12, off offset:256
.LBB2896_42:
	;; [unrolled: 9-line block ×4, first 2 shown]
	s_or_b64 exec, exec, s[0:1]
	s_waitcnt lgkmcnt(3)
	v_or_b32_e32 v6, 0x300, v0
	v_cmp_gt_u32_e32 vcc, s2, v7
	s_and_saveexec_b64 s[0:1], vcc
	s_cbranch_execz .LBB2896_48
; %bb.47:
	s_waitcnt lgkmcnt(2)
	global_store_byte v[2:3], v5, off offset:640
.LBB2896_48:
	s_or_b64 exec, exec, s[0:1]
	v_or_b32_e32 v0, 0x380, v0
	v_cmp_gt_u32_e32 vcc, s2, v6
	s_and_saveexec_b64 s[0:1], vcc
	s_cbranch_execz .LBB2896_50
; %bb.49:
	s_waitcnt lgkmcnt(1)
	global_store_byte v[2:3], v4, off offset:768
.LBB2896_50:
	s_or_b64 exec, exec, s[0:1]
	v_cmp_gt_u32_e64 s[0:1], s2, v0
.LBB2896_51:
	s_and_saveexec_b64 s[2:3], s[0:1]
	s_cbranch_execz .LBB2896_53
; %bb.52:
	s_waitcnt lgkmcnt(0)
	global_store_byte v[2:3], v1, off offset:896
.LBB2896_53:
	s_endpgm
	.section	.rodata,"a",@progbits
	.p2align	6, 0x0
	.amdhsa_kernel _ZN7rocprim17ROCPRIM_400000_NS6detail17trampoline_kernelINS0_14default_configENS1_38merge_sort_block_merge_config_selectorIhNS0_10empty_typeEEEZZNS1_27merge_sort_block_merge_implIS3_N6thrust23THRUST_200600_302600_NS6detail15normal_iteratorINS9_10device_ptrIhEEEEPS5_m14custom_greaterIhEEE10hipError_tT0_T1_T2_jT3_P12ihipStream_tbPNSt15iterator_traitsISJ_E10value_typeEPNSP_ISK_E10value_typeEPSL_NS1_7vsmem_tEENKUlT_SJ_SK_SL_E_clISE_PhSF_SF_EESI_SY_SJ_SK_SL_EUlSY_E0_NS1_11comp_targetILNS1_3genE4ELNS1_11target_archE910ELNS1_3gpuE8ELNS1_3repE0EEENS1_38merge_mergepath_config_static_selectorELNS0_4arch9wavefront6targetE1EEEvSK_
		.amdhsa_group_segment_fixed_size 1056
		.amdhsa_private_segment_fixed_size 0
		.amdhsa_kernarg_size 328
		.amdhsa_user_sgpr_count 6
		.amdhsa_user_sgpr_private_segment_buffer 1
		.amdhsa_user_sgpr_dispatch_ptr 0
		.amdhsa_user_sgpr_queue_ptr 0
		.amdhsa_user_sgpr_kernarg_segment_ptr 1
		.amdhsa_user_sgpr_dispatch_id 0
		.amdhsa_user_sgpr_flat_scratch_init 0
		.amdhsa_user_sgpr_kernarg_preload_length 0
		.amdhsa_user_sgpr_kernarg_preload_offset 0
		.amdhsa_user_sgpr_private_segment_size 0
		.amdhsa_uses_dynamic_stack 0
		.amdhsa_system_sgpr_private_segment_wavefront_offset 0
		.amdhsa_system_sgpr_workgroup_id_x 1
		.amdhsa_system_sgpr_workgroup_id_y 1
		.amdhsa_system_sgpr_workgroup_id_z 1
		.amdhsa_system_sgpr_workgroup_info 0
		.amdhsa_system_vgpr_workitem_id 0
		.amdhsa_next_free_vgpr 26
		.amdhsa_next_free_sgpr 31
		.amdhsa_accum_offset 28
		.amdhsa_reserve_vcc 1
		.amdhsa_reserve_flat_scratch 0
		.amdhsa_float_round_mode_32 0
		.amdhsa_float_round_mode_16_64 0
		.amdhsa_float_denorm_mode_32 3
		.amdhsa_float_denorm_mode_16_64 3
		.amdhsa_dx10_clamp 1
		.amdhsa_ieee_mode 1
		.amdhsa_fp16_overflow 0
		.amdhsa_tg_split 0
		.amdhsa_exception_fp_ieee_invalid_op 0
		.amdhsa_exception_fp_denorm_src 0
		.amdhsa_exception_fp_ieee_div_zero 0
		.amdhsa_exception_fp_ieee_overflow 0
		.amdhsa_exception_fp_ieee_underflow 0
		.amdhsa_exception_fp_ieee_inexact 0
		.amdhsa_exception_int_div_zero 0
	.end_amdhsa_kernel
	.section	.text._ZN7rocprim17ROCPRIM_400000_NS6detail17trampoline_kernelINS0_14default_configENS1_38merge_sort_block_merge_config_selectorIhNS0_10empty_typeEEEZZNS1_27merge_sort_block_merge_implIS3_N6thrust23THRUST_200600_302600_NS6detail15normal_iteratorINS9_10device_ptrIhEEEEPS5_m14custom_greaterIhEEE10hipError_tT0_T1_T2_jT3_P12ihipStream_tbPNSt15iterator_traitsISJ_E10value_typeEPNSP_ISK_E10value_typeEPSL_NS1_7vsmem_tEENKUlT_SJ_SK_SL_E_clISE_PhSF_SF_EESI_SY_SJ_SK_SL_EUlSY_E0_NS1_11comp_targetILNS1_3genE4ELNS1_11target_archE910ELNS1_3gpuE8ELNS1_3repE0EEENS1_38merge_mergepath_config_static_selectorELNS0_4arch9wavefront6targetE1EEEvSK_,"axG",@progbits,_ZN7rocprim17ROCPRIM_400000_NS6detail17trampoline_kernelINS0_14default_configENS1_38merge_sort_block_merge_config_selectorIhNS0_10empty_typeEEEZZNS1_27merge_sort_block_merge_implIS3_N6thrust23THRUST_200600_302600_NS6detail15normal_iteratorINS9_10device_ptrIhEEEEPS5_m14custom_greaterIhEEE10hipError_tT0_T1_T2_jT3_P12ihipStream_tbPNSt15iterator_traitsISJ_E10value_typeEPNSP_ISK_E10value_typeEPSL_NS1_7vsmem_tEENKUlT_SJ_SK_SL_E_clISE_PhSF_SF_EESI_SY_SJ_SK_SL_EUlSY_E0_NS1_11comp_targetILNS1_3genE4ELNS1_11target_archE910ELNS1_3gpuE8ELNS1_3repE0EEENS1_38merge_mergepath_config_static_selectorELNS0_4arch9wavefront6targetE1EEEvSK_,comdat
.Lfunc_end2896:
	.size	_ZN7rocprim17ROCPRIM_400000_NS6detail17trampoline_kernelINS0_14default_configENS1_38merge_sort_block_merge_config_selectorIhNS0_10empty_typeEEEZZNS1_27merge_sort_block_merge_implIS3_N6thrust23THRUST_200600_302600_NS6detail15normal_iteratorINS9_10device_ptrIhEEEEPS5_m14custom_greaterIhEEE10hipError_tT0_T1_T2_jT3_P12ihipStream_tbPNSt15iterator_traitsISJ_E10value_typeEPNSP_ISK_E10value_typeEPSL_NS1_7vsmem_tEENKUlT_SJ_SK_SL_E_clISE_PhSF_SF_EESI_SY_SJ_SK_SL_EUlSY_E0_NS1_11comp_targetILNS1_3genE4ELNS1_11target_archE910ELNS1_3gpuE8ELNS1_3repE0EEENS1_38merge_mergepath_config_static_selectorELNS0_4arch9wavefront6targetE1EEEvSK_, .Lfunc_end2896-_ZN7rocprim17ROCPRIM_400000_NS6detail17trampoline_kernelINS0_14default_configENS1_38merge_sort_block_merge_config_selectorIhNS0_10empty_typeEEEZZNS1_27merge_sort_block_merge_implIS3_N6thrust23THRUST_200600_302600_NS6detail15normal_iteratorINS9_10device_ptrIhEEEEPS5_m14custom_greaterIhEEE10hipError_tT0_T1_T2_jT3_P12ihipStream_tbPNSt15iterator_traitsISJ_E10value_typeEPNSP_ISK_E10value_typeEPSL_NS1_7vsmem_tEENKUlT_SJ_SK_SL_E_clISE_PhSF_SF_EESI_SY_SJ_SK_SL_EUlSY_E0_NS1_11comp_targetILNS1_3genE4ELNS1_11target_archE910ELNS1_3gpuE8ELNS1_3repE0EEENS1_38merge_mergepath_config_static_selectorELNS0_4arch9wavefront6targetE1EEEvSK_
                                        ; -- End function
	.section	.AMDGPU.csdata,"",@progbits
; Kernel info:
; codeLenInByte = 3184
; NumSgprs: 35
; NumVgprs: 26
; NumAgprs: 0
; TotalNumVgprs: 26
; ScratchSize: 0
; MemoryBound: 0
; FloatMode: 240
; IeeeMode: 1
; LDSByteSize: 1056 bytes/workgroup (compile time only)
; SGPRBlocks: 4
; VGPRBlocks: 3
; NumSGPRsForWavesPerEU: 35
; NumVGPRsForWavesPerEU: 26
; AccumOffset: 28
; Occupancy: 8
; WaveLimiterHint : 1
; COMPUTE_PGM_RSRC2:SCRATCH_EN: 0
; COMPUTE_PGM_RSRC2:USER_SGPR: 6
; COMPUTE_PGM_RSRC2:TRAP_HANDLER: 0
; COMPUTE_PGM_RSRC2:TGID_X_EN: 1
; COMPUTE_PGM_RSRC2:TGID_Y_EN: 1
; COMPUTE_PGM_RSRC2:TGID_Z_EN: 1
; COMPUTE_PGM_RSRC2:TIDIG_COMP_CNT: 0
; COMPUTE_PGM_RSRC3_GFX90A:ACCUM_OFFSET: 6
; COMPUTE_PGM_RSRC3_GFX90A:TG_SPLIT: 0
	.section	.text._ZN7rocprim17ROCPRIM_400000_NS6detail17trampoline_kernelINS0_14default_configENS1_38merge_sort_block_merge_config_selectorIhNS0_10empty_typeEEEZZNS1_27merge_sort_block_merge_implIS3_N6thrust23THRUST_200600_302600_NS6detail15normal_iteratorINS9_10device_ptrIhEEEEPS5_m14custom_greaterIhEEE10hipError_tT0_T1_T2_jT3_P12ihipStream_tbPNSt15iterator_traitsISJ_E10value_typeEPNSP_ISK_E10value_typeEPSL_NS1_7vsmem_tEENKUlT_SJ_SK_SL_E_clISE_PhSF_SF_EESI_SY_SJ_SK_SL_EUlSY_E0_NS1_11comp_targetILNS1_3genE3ELNS1_11target_archE908ELNS1_3gpuE7ELNS1_3repE0EEENS1_38merge_mergepath_config_static_selectorELNS0_4arch9wavefront6targetE1EEEvSK_,"axG",@progbits,_ZN7rocprim17ROCPRIM_400000_NS6detail17trampoline_kernelINS0_14default_configENS1_38merge_sort_block_merge_config_selectorIhNS0_10empty_typeEEEZZNS1_27merge_sort_block_merge_implIS3_N6thrust23THRUST_200600_302600_NS6detail15normal_iteratorINS9_10device_ptrIhEEEEPS5_m14custom_greaterIhEEE10hipError_tT0_T1_T2_jT3_P12ihipStream_tbPNSt15iterator_traitsISJ_E10value_typeEPNSP_ISK_E10value_typeEPSL_NS1_7vsmem_tEENKUlT_SJ_SK_SL_E_clISE_PhSF_SF_EESI_SY_SJ_SK_SL_EUlSY_E0_NS1_11comp_targetILNS1_3genE3ELNS1_11target_archE908ELNS1_3gpuE7ELNS1_3repE0EEENS1_38merge_mergepath_config_static_selectorELNS0_4arch9wavefront6targetE1EEEvSK_,comdat
	.protected	_ZN7rocprim17ROCPRIM_400000_NS6detail17trampoline_kernelINS0_14default_configENS1_38merge_sort_block_merge_config_selectorIhNS0_10empty_typeEEEZZNS1_27merge_sort_block_merge_implIS3_N6thrust23THRUST_200600_302600_NS6detail15normal_iteratorINS9_10device_ptrIhEEEEPS5_m14custom_greaterIhEEE10hipError_tT0_T1_T2_jT3_P12ihipStream_tbPNSt15iterator_traitsISJ_E10value_typeEPNSP_ISK_E10value_typeEPSL_NS1_7vsmem_tEENKUlT_SJ_SK_SL_E_clISE_PhSF_SF_EESI_SY_SJ_SK_SL_EUlSY_E0_NS1_11comp_targetILNS1_3genE3ELNS1_11target_archE908ELNS1_3gpuE7ELNS1_3repE0EEENS1_38merge_mergepath_config_static_selectorELNS0_4arch9wavefront6targetE1EEEvSK_ ; -- Begin function _ZN7rocprim17ROCPRIM_400000_NS6detail17trampoline_kernelINS0_14default_configENS1_38merge_sort_block_merge_config_selectorIhNS0_10empty_typeEEEZZNS1_27merge_sort_block_merge_implIS3_N6thrust23THRUST_200600_302600_NS6detail15normal_iteratorINS9_10device_ptrIhEEEEPS5_m14custom_greaterIhEEE10hipError_tT0_T1_T2_jT3_P12ihipStream_tbPNSt15iterator_traitsISJ_E10value_typeEPNSP_ISK_E10value_typeEPSL_NS1_7vsmem_tEENKUlT_SJ_SK_SL_E_clISE_PhSF_SF_EESI_SY_SJ_SK_SL_EUlSY_E0_NS1_11comp_targetILNS1_3genE3ELNS1_11target_archE908ELNS1_3gpuE7ELNS1_3repE0EEENS1_38merge_mergepath_config_static_selectorELNS0_4arch9wavefront6targetE1EEEvSK_
	.globl	_ZN7rocprim17ROCPRIM_400000_NS6detail17trampoline_kernelINS0_14default_configENS1_38merge_sort_block_merge_config_selectorIhNS0_10empty_typeEEEZZNS1_27merge_sort_block_merge_implIS3_N6thrust23THRUST_200600_302600_NS6detail15normal_iteratorINS9_10device_ptrIhEEEEPS5_m14custom_greaterIhEEE10hipError_tT0_T1_T2_jT3_P12ihipStream_tbPNSt15iterator_traitsISJ_E10value_typeEPNSP_ISK_E10value_typeEPSL_NS1_7vsmem_tEENKUlT_SJ_SK_SL_E_clISE_PhSF_SF_EESI_SY_SJ_SK_SL_EUlSY_E0_NS1_11comp_targetILNS1_3genE3ELNS1_11target_archE908ELNS1_3gpuE7ELNS1_3repE0EEENS1_38merge_mergepath_config_static_selectorELNS0_4arch9wavefront6targetE1EEEvSK_
	.p2align	8
	.type	_ZN7rocprim17ROCPRIM_400000_NS6detail17trampoline_kernelINS0_14default_configENS1_38merge_sort_block_merge_config_selectorIhNS0_10empty_typeEEEZZNS1_27merge_sort_block_merge_implIS3_N6thrust23THRUST_200600_302600_NS6detail15normal_iteratorINS9_10device_ptrIhEEEEPS5_m14custom_greaterIhEEE10hipError_tT0_T1_T2_jT3_P12ihipStream_tbPNSt15iterator_traitsISJ_E10value_typeEPNSP_ISK_E10value_typeEPSL_NS1_7vsmem_tEENKUlT_SJ_SK_SL_E_clISE_PhSF_SF_EESI_SY_SJ_SK_SL_EUlSY_E0_NS1_11comp_targetILNS1_3genE3ELNS1_11target_archE908ELNS1_3gpuE7ELNS1_3repE0EEENS1_38merge_mergepath_config_static_selectorELNS0_4arch9wavefront6targetE1EEEvSK_,@function
_ZN7rocprim17ROCPRIM_400000_NS6detail17trampoline_kernelINS0_14default_configENS1_38merge_sort_block_merge_config_selectorIhNS0_10empty_typeEEEZZNS1_27merge_sort_block_merge_implIS3_N6thrust23THRUST_200600_302600_NS6detail15normal_iteratorINS9_10device_ptrIhEEEEPS5_m14custom_greaterIhEEE10hipError_tT0_T1_T2_jT3_P12ihipStream_tbPNSt15iterator_traitsISJ_E10value_typeEPNSP_ISK_E10value_typeEPSL_NS1_7vsmem_tEENKUlT_SJ_SK_SL_E_clISE_PhSF_SF_EESI_SY_SJ_SK_SL_EUlSY_E0_NS1_11comp_targetILNS1_3genE3ELNS1_11target_archE908ELNS1_3gpuE7ELNS1_3repE0EEENS1_38merge_mergepath_config_static_selectorELNS0_4arch9wavefront6targetE1EEEvSK_: ; @_ZN7rocprim17ROCPRIM_400000_NS6detail17trampoline_kernelINS0_14default_configENS1_38merge_sort_block_merge_config_selectorIhNS0_10empty_typeEEEZZNS1_27merge_sort_block_merge_implIS3_N6thrust23THRUST_200600_302600_NS6detail15normal_iteratorINS9_10device_ptrIhEEEEPS5_m14custom_greaterIhEEE10hipError_tT0_T1_T2_jT3_P12ihipStream_tbPNSt15iterator_traitsISJ_E10value_typeEPNSP_ISK_E10value_typeEPSL_NS1_7vsmem_tEENKUlT_SJ_SK_SL_E_clISE_PhSF_SF_EESI_SY_SJ_SK_SL_EUlSY_E0_NS1_11comp_targetILNS1_3genE3ELNS1_11target_archE908ELNS1_3gpuE7ELNS1_3repE0EEENS1_38merge_mergepath_config_static_selectorELNS0_4arch9wavefront6targetE1EEEvSK_
; %bb.0:
	.section	.rodata,"a",@progbits
	.p2align	6, 0x0
	.amdhsa_kernel _ZN7rocprim17ROCPRIM_400000_NS6detail17trampoline_kernelINS0_14default_configENS1_38merge_sort_block_merge_config_selectorIhNS0_10empty_typeEEEZZNS1_27merge_sort_block_merge_implIS3_N6thrust23THRUST_200600_302600_NS6detail15normal_iteratorINS9_10device_ptrIhEEEEPS5_m14custom_greaterIhEEE10hipError_tT0_T1_T2_jT3_P12ihipStream_tbPNSt15iterator_traitsISJ_E10value_typeEPNSP_ISK_E10value_typeEPSL_NS1_7vsmem_tEENKUlT_SJ_SK_SL_E_clISE_PhSF_SF_EESI_SY_SJ_SK_SL_EUlSY_E0_NS1_11comp_targetILNS1_3genE3ELNS1_11target_archE908ELNS1_3gpuE7ELNS1_3repE0EEENS1_38merge_mergepath_config_static_selectorELNS0_4arch9wavefront6targetE1EEEvSK_
		.amdhsa_group_segment_fixed_size 0
		.amdhsa_private_segment_fixed_size 0
		.amdhsa_kernarg_size 72
		.amdhsa_user_sgpr_count 6
		.amdhsa_user_sgpr_private_segment_buffer 1
		.amdhsa_user_sgpr_dispatch_ptr 0
		.amdhsa_user_sgpr_queue_ptr 0
		.amdhsa_user_sgpr_kernarg_segment_ptr 1
		.amdhsa_user_sgpr_dispatch_id 0
		.amdhsa_user_sgpr_flat_scratch_init 0
		.amdhsa_user_sgpr_kernarg_preload_length 0
		.amdhsa_user_sgpr_kernarg_preload_offset 0
		.amdhsa_user_sgpr_private_segment_size 0
		.amdhsa_uses_dynamic_stack 0
		.amdhsa_system_sgpr_private_segment_wavefront_offset 0
		.amdhsa_system_sgpr_workgroup_id_x 1
		.amdhsa_system_sgpr_workgroup_id_y 0
		.amdhsa_system_sgpr_workgroup_id_z 0
		.amdhsa_system_sgpr_workgroup_info 0
		.amdhsa_system_vgpr_workitem_id 0
		.amdhsa_next_free_vgpr 1
		.amdhsa_next_free_sgpr 0
		.amdhsa_accum_offset 4
		.amdhsa_reserve_vcc 0
		.amdhsa_reserve_flat_scratch 0
		.amdhsa_float_round_mode_32 0
		.amdhsa_float_round_mode_16_64 0
		.amdhsa_float_denorm_mode_32 3
		.amdhsa_float_denorm_mode_16_64 3
		.amdhsa_dx10_clamp 1
		.amdhsa_ieee_mode 1
		.amdhsa_fp16_overflow 0
		.amdhsa_tg_split 0
		.amdhsa_exception_fp_ieee_invalid_op 0
		.amdhsa_exception_fp_denorm_src 0
		.amdhsa_exception_fp_ieee_div_zero 0
		.amdhsa_exception_fp_ieee_overflow 0
		.amdhsa_exception_fp_ieee_underflow 0
		.amdhsa_exception_fp_ieee_inexact 0
		.amdhsa_exception_int_div_zero 0
	.end_amdhsa_kernel
	.section	.text._ZN7rocprim17ROCPRIM_400000_NS6detail17trampoline_kernelINS0_14default_configENS1_38merge_sort_block_merge_config_selectorIhNS0_10empty_typeEEEZZNS1_27merge_sort_block_merge_implIS3_N6thrust23THRUST_200600_302600_NS6detail15normal_iteratorINS9_10device_ptrIhEEEEPS5_m14custom_greaterIhEEE10hipError_tT0_T1_T2_jT3_P12ihipStream_tbPNSt15iterator_traitsISJ_E10value_typeEPNSP_ISK_E10value_typeEPSL_NS1_7vsmem_tEENKUlT_SJ_SK_SL_E_clISE_PhSF_SF_EESI_SY_SJ_SK_SL_EUlSY_E0_NS1_11comp_targetILNS1_3genE3ELNS1_11target_archE908ELNS1_3gpuE7ELNS1_3repE0EEENS1_38merge_mergepath_config_static_selectorELNS0_4arch9wavefront6targetE1EEEvSK_,"axG",@progbits,_ZN7rocprim17ROCPRIM_400000_NS6detail17trampoline_kernelINS0_14default_configENS1_38merge_sort_block_merge_config_selectorIhNS0_10empty_typeEEEZZNS1_27merge_sort_block_merge_implIS3_N6thrust23THRUST_200600_302600_NS6detail15normal_iteratorINS9_10device_ptrIhEEEEPS5_m14custom_greaterIhEEE10hipError_tT0_T1_T2_jT3_P12ihipStream_tbPNSt15iterator_traitsISJ_E10value_typeEPNSP_ISK_E10value_typeEPSL_NS1_7vsmem_tEENKUlT_SJ_SK_SL_E_clISE_PhSF_SF_EESI_SY_SJ_SK_SL_EUlSY_E0_NS1_11comp_targetILNS1_3genE3ELNS1_11target_archE908ELNS1_3gpuE7ELNS1_3repE0EEENS1_38merge_mergepath_config_static_selectorELNS0_4arch9wavefront6targetE1EEEvSK_,comdat
.Lfunc_end2897:
	.size	_ZN7rocprim17ROCPRIM_400000_NS6detail17trampoline_kernelINS0_14default_configENS1_38merge_sort_block_merge_config_selectorIhNS0_10empty_typeEEEZZNS1_27merge_sort_block_merge_implIS3_N6thrust23THRUST_200600_302600_NS6detail15normal_iteratorINS9_10device_ptrIhEEEEPS5_m14custom_greaterIhEEE10hipError_tT0_T1_T2_jT3_P12ihipStream_tbPNSt15iterator_traitsISJ_E10value_typeEPNSP_ISK_E10value_typeEPSL_NS1_7vsmem_tEENKUlT_SJ_SK_SL_E_clISE_PhSF_SF_EESI_SY_SJ_SK_SL_EUlSY_E0_NS1_11comp_targetILNS1_3genE3ELNS1_11target_archE908ELNS1_3gpuE7ELNS1_3repE0EEENS1_38merge_mergepath_config_static_selectorELNS0_4arch9wavefront6targetE1EEEvSK_, .Lfunc_end2897-_ZN7rocprim17ROCPRIM_400000_NS6detail17trampoline_kernelINS0_14default_configENS1_38merge_sort_block_merge_config_selectorIhNS0_10empty_typeEEEZZNS1_27merge_sort_block_merge_implIS3_N6thrust23THRUST_200600_302600_NS6detail15normal_iteratorINS9_10device_ptrIhEEEEPS5_m14custom_greaterIhEEE10hipError_tT0_T1_T2_jT3_P12ihipStream_tbPNSt15iterator_traitsISJ_E10value_typeEPNSP_ISK_E10value_typeEPSL_NS1_7vsmem_tEENKUlT_SJ_SK_SL_E_clISE_PhSF_SF_EESI_SY_SJ_SK_SL_EUlSY_E0_NS1_11comp_targetILNS1_3genE3ELNS1_11target_archE908ELNS1_3gpuE7ELNS1_3repE0EEENS1_38merge_mergepath_config_static_selectorELNS0_4arch9wavefront6targetE1EEEvSK_
                                        ; -- End function
	.section	.AMDGPU.csdata,"",@progbits
; Kernel info:
; codeLenInByte = 0
; NumSgprs: 4
; NumVgprs: 0
; NumAgprs: 0
; TotalNumVgprs: 0
; ScratchSize: 0
; MemoryBound: 0
; FloatMode: 240
; IeeeMode: 1
; LDSByteSize: 0 bytes/workgroup (compile time only)
; SGPRBlocks: 0
; VGPRBlocks: 0
; NumSGPRsForWavesPerEU: 4
; NumVGPRsForWavesPerEU: 1
; AccumOffset: 4
; Occupancy: 8
; WaveLimiterHint : 0
; COMPUTE_PGM_RSRC2:SCRATCH_EN: 0
; COMPUTE_PGM_RSRC2:USER_SGPR: 6
; COMPUTE_PGM_RSRC2:TRAP_HANDLER: 0
; COMPUTE_PGM_RSRC2:TGID_X_EN: 1
; COMPUTE_PGM_RSRC2:TGID_Y_EN: 0
; COMPUTE_PGM_RSRC2:TGID_Z_EN: 0
; COMPUTE_PGM_RSRC2:TIDIG_COMP_CNT: 0
; COMPUTE_PGM_RSRC3_GFX90A:ACCUM_OFFSET: 0
; COMPUTE_PGM_RSRC3_GFX90A:TG_SPLIT: 0
	.section	.text._ZN7rocprim17ROCPRIM_400000_NS6detail17trampoline_kernelINS0_14default_configENS1_38merge_sort_block_merge_config_selectorIhNS0_10empty_typeEEEZZNS1_27merge_sort_block_merge_implIS3_N6thrust23THRUST_200600_302600_NS6detail15normal_iteratorINS9_10device_ptrIhEEEEPS5_m14custom_greaterIhEEE10hipError_tT0_T1_T2_jT3_P12ihipStream_tbPNSt15iterator_traitsISJ_E10value_typeEPNSP_ISK_E10value_typeEPSL_NS1_7vsmem_tEENKUlT_SJ_SK_SL_E_clISE_PhSF_SF_EESI_SY_SJ_SK_SL_EUlSY_E0_NS1_11comp_targetILNS1_3genE2ELNS1_11target_archE906ELNS1_3gpuE6ELNS1_3repE0EEENS1_38merge_mergepath_config_static_selectorELNS0_4arch9wavefront6targetE1EEEvSK_,"axG",@progbits,_ZN7rocprim17ROCPRIM_400000_NS6detail17trampoline_kernelINS0_14default_configENS1_38merge_sort_block_merge_config_selectorIhNS0_10empty_typeEEEZZNS1_27merge_sort_block_merge_implIS3_N6thrust23THRUST_200600_302600_NS6detail15normal_iteratorINS9_10device_ptrIhEEEEPS5_m14custom_greaterIhEEE10hipError_tT0_T1_T2_jT3_P12ihipStream_tbPNSt15iterator_traitsISJ_E10value_typeEPNSP_ISK_E10value_typeEPSL_NS1_7vsmem_tEENKUlT_SJ_SK_SL_E_clISE_PhSF_SF_EESI_SY_SJ_SK_SL_EUlSY_E0_NS1_11comp_targetILNS1_3genE2ELNS1_11target_archE906ELNS1_3gpuE6ELNS1_3repE0EEENS1_38merge_mergepath_config_static_selectorELNS0_4arch9wavefront6targetE1EEEvSK_,comdat
	.protected	_ZN7rocprim17ROCPRIM_400000_NS6detail17trampoline_kernelINS0_14default_configENS1_38merge_sort_block_merge_config_selectorIhNS0_10empty_typeEEEZZNS1_27merge_sort_block_merge_implIS3_N6thrust23THRUST_200600_302600_NS6detail15normal_iteratorINS9_10device_ptrIhEEEEPS5_m14custom_greaterIhEEE10hipError_tT0_T1_T2_jT3_P12ihipStream_tbPNSt15iterator_traitsISJ_E10value_typeEPNSP_ISK_E10value_typeEPSL_NS1_7vsmem_tEENKUlT_SJ_SK_SL_E_clISE_PhSF_SF_EESI_SY_SJ_SK_SL_EUlSY_E0_NS1_11comp_targetILNS1_3genE2ELNS1_11target_archE906ELNS1_3gpuE6ELNS1_3repE0EEENS1_38merge_mergepath_config_static_selectorELNS0_4arch9wavefront6targetE1EEEvSK_ ; -- Begin function _ZN7rocprim17ROCPRIM_400000_NS6detail17trampoline_kernelINS0_14default_configENS1_38merge_sort_block_merge_config_selectorIhNS0_10empty_typeEEEZZNS1_27merge_sort_block_merge_implIS3_N6thrust23THRUST_200600_302600_NS6detail15normal_iteratorINS9_10device_ptrIhEEEEPS5_m14custom_greaterIhEEE10hipError_tT0_T1_T2_jT3_P12ihipStream_tbPNSt15iterator_traitsISJ_E10value_typeEPNSP_ISK_E10value_typeEPSL_NS1_7vsmem_tEENKUlT_SJ_SK_SL_E_clISE_PhSF_SF_EESI_SY_SJ_SK_SL_EUlSY_E0_NS1_11comp_targetILNS1_3genE2ELNS1_11target_archE906ELNS1_3gpuE6ELNS1_3repE0EEENS1_38merge_mergepath_config_static_selectorELNS0_4arch9wavefront6targetE1EEEvSK_
	.globl	_ZN7rocprim17ROCPRIM_400000_NS6detail17trampoline_kernelINS0_14default_configENS1_38merge_sort_block_merge_config_selectorIhNS0_10empty_typeEEEZZNS1_27merge_sort_block_merge_implIS3_N6thrust23THRUST_200600_302600_NS6detail15normal_iteratorINS9_10device_ptrIhEEEEPS5_m14custom_greaterIhEEE10hipError_tT0_T1_T2_jT3_P12ihipStream_tbPNSt15iterator_traitsISJ_E10value_typeEPNSP_ISK_E10value_typeEPSL_NS1_7vsmem_tEENKUlT_SJ_SK_SL_E_clISE_PhSF_SF_EESI_SY_SJ_SK_SL_EUlSY_E0_NS1_11comp_targetILNS1_3genE2ELNS1_11target_archE906ELNS1_3gpuE6ELNS1_3repE0EEENS1_38merge_mergepath_config_static_selectorELNS0_4arch9wavefront6targetE1EEEvSK_
	.p2align	8
	.type	_ZN7rocprim17ROCPRIM_400000_NS6detail17trampoline_kernelINS0_14default_configENS1_38merge_sort_block_merge_config_selectorIhNS0_10empty_typeEEEZZNS1_27merge_sort_block_merge_implIS3_N6thrust23THRUST_200600_302600_NS6detail15normal_iteratorINS9_10device_ptrIhEEEEPS5_m14custom_greaterIhEEE10hipError_tT0_T1_T2_jT3_P12ihipStream_tbPNSt15iterator_traitsISJ_E10value_typeEPNSP_ISK_E10value_typeEPSL_NS1_7vsmem_tEENKUlT_SJ_SK_SL_E_clISE_PhSF_SF_EESI_SY_SJ_SK_SL_EUlSY_E0_NS1_11comp_targetILNS1_3genE2ELNS1_11target_archE906ELNS1_3gpuE6ELNS1_3repE0EEENS1_38merge_mergepath_config_static_selectorELNS0_4arch9wavefront6targetE1EEEvSK_,@function
_ZN7rocprim17ROCPRIM_400000_NS6detail17trampoline_kernelINS0_14default_configENS1_38merge_sort_block_merge_config_selectorIhNS0_10empty_typeEEEZZNS1_27merge_sort_block_merge_implIS3_N6thrust23THRUST_200600_302600_NS6detail15normal_iteratorINS9_10device_ptrIhEEEEPS5_m14custom_greaterIhEEE10hipError_tT0_T1_T2_jT3_P12ihipStream_tbPNSt15iterator_traitsISJ_E10value_typeEPNSP_ISK_E10value_typeEPSL_NS1_7vsmem_tEENKUlT_SJ_SK_SL_E_clISE_PhSF_SF_EESI_SY_SJ_SK_SL_EUlSY_E0_NS1_11comp_targetILNS1_3genE2ELNS1_11target_archE906ELNS1_3gpuE6ELNS1_3repE0EEENS1_38merge_mergepath_config_static_selectorELNS0_4arch9wavefront6targetE1EEEvSK_: ; @_ZN7rocprim17ROCPRIM_400000_NS6detail17trampoline_kernelINS0_14default_configENS1_38merge_sort_block_merge_config_selectorIhNS0_10empty_typeEEEZZNS1_27merge_sort_block_merge_implIS3_N6thrust23THRUST_200600_302600_NS6detail15normal_iteratorINS9_10device_ptrIhEEEEPS5_m14custom_greaterIhEEE10hipError_tT0_T1_T2_jT3_P12ihipStream_tbPNSt15iterator_traitsISJ_E10value_typeEPNSP_ISK_E10value_typeEPSL_NS1_7vsmem_tEENKUlT_SJ_SK_SL_E_clISE_PhSF_SF_EESI_SY_SJ_SK_SL_EUlSY_E0_NS1_11comp_targetILNS1_3genE2ELNS1_11target_archE906ELNS1_3gpuE6ELNS1_3repE0EEENS1_38merge_mergepath_config_static_selectorELNS0_4arch9wavefront6targetE1EEEvSK_
; %bb.0:
	.section	.rodata,"a",@progbits
	.p2align	6, 0x0
	.amdhsa_kernel _ZN7rocprim17ROCPRIM_400000_NS6detail17trampoline_kernelINS0_14default_configENS1_38merge_sort_block_merge_config_selectorIhNS0_10empty_typeEEEZZNS1_27merge_sort_block_merge_implIS3_N6thrust23THRUST_200600_302600_NS6detail15normal_iteratorINS9_10device_ptrIhEEEEPS5_m14custom_greaterIhEEE10hipError_tT0_T1_T2_jT3_P12ihipStream_tbPNSt15iterator_traitsISJ_E10value_typeEPNSP_ISK_E10value_typeEPSL_NS1_7vsmem_tEENKUlT_SJ_SK_SL_E_clISE_PhSF_SF_EESI_SY_SJ_SK_SL_EUlSY_E0_NS1_11comp_targetILNS1_3genE2ELNS1_11target_archE906ELNS1_3gpuE6ELNS1_3repE0EEENS1_38merge_mergepath_config_static_selectorELNS0_4arch9wavefront6targetE1EEEvSK_
		.amdhsa_group_segment_fixed_size 0
		.amdhsa_private_segment_fixed_size 0
		.amdhsa_kernarg_size 72
		.amdhsa_user_sgpr_count 6
		.amdhsa_user_sgpr_private_segment_buffer 1
		.amdhsa_user_sgpr_dispatch_ptr 0
		.amdhsa_user_sgpr_queue_ptr 0
		.amdhsa_user_sgpr_kernarg_segment_ptr 1
		.amdhsa_user_sgpr_dispatch_id 0
		.amdhsa_user_sgpr_flat_scratch_init 0
		.amdhsa_user_sgpr_kernarg_preload_length 0
		.amdhsa_user_sgpr_kernarg_preload_offset 0
		.amdhsa_user_sgpr_private_segment_size 0
		.amdhsa_uses_dynamic_stack 0
		.amdhsa_system_sgpr_private_segment_wavefront_offset 0
		.amdhsa_system_sgpr_workgroup_id_x 1
		.amdhsa_system_sgpr_workgroup_id_y 0
		.amdhsa_system_sgpr_workgroup_id_z 0
		.amdhsa_system_sgpr_workgroup_info 0
		.amdhsa_system_vgpr_workitem_id 0
		.amdhsa_next_free_vgpr 1
		.amdhsa_next_free_sgpr 0
		.amdhsa_accum_offset 4
		.amdhsa_reserve_vcc 0
		.amdhsa_reserve_flat_scratch 0
		.amdhsa_float_round_mode_32 0
		.amdhsa_float_round_mode_16_64 0
		.amdhsa_float_denorm_mode_32 3
		.amdhsa_float_denorm_mode_16_64 3
		.amdhsa_dx10_clamp 1
		.amdhsa_ieee_mode 1
		.amdhsa_fp16_overflow 0
		.amdhsa_tg_split 0
		.amdhsa_exception_fp_ieee_invalid_op 0
		.amdhsa_exception_fp_denorm_src 0
		.amdhsa_exception_fp_ieee_div_zero 0
		.amdhsa_exception_fp_ieee_overflow 0
		.amdhsa_exception_fp_ieee_underflow 0
		.amdhsa_exception_fp_ieee_inexact 0
		.amdhsa_exception_int_div_zero 0
	.end_amdhsa_kernel
	.section	.text._ZN7rocprim17ROCPRIM_400000_NS6detail17trampoline_kernelINS0_14default_configENS1_38merge_sort_block_merge_config_selectorIhNS0_10empty_typeEEEZZNS1_27merge_sort_block_merge_implIS3_N6thrust23THRUST_200600_302600_NS6detail15normal_iteratorINS9_10device_ptrIhEEEEPS5_m14custom_greaterIhEEE10hipError_tT0_T1_T2_jT3_P12ihipStream_tbPNSt15iterator_traitsISJ_E10value_typeEPNSP_ISK_E10value_typeEPSL_NS1_7vsmem_tEENKUlT_SJ_SK_SL_E_clISE_PhSF_SF_EESI_SY_SJ_SK_SL_EUlSY_E0_NS1_11comp_targetILNS1_3genE2ELNS1_11target_archE906ELNS1_3gpuE6ELNS1_3repE0EEENS1_38merge_mergepath_config_static_selectorELNS0_4arch9wavefront6targetE1EEEvSK_,"axG",@progbits,_ZN7rocprim17ROCPRIM_400000_NS6detail17trampoline_kernelINS0_14default_configENS1_38merge_sort_block_merge_config_selectorIhNS0_10empty_typeEEEZZNS1_27merge_sort_block_merge_implIS3_N6thrust23THRUST_200600_302600_NS6detail15normal_iteratorINS9_10device_ptrIhEEEEPS5_m14custom_greaterIhEEE10hipError_tT0_T1_T2_jT3_P12ihipStream_tbPNSt15iterator_traitsISJ_E10value_typeEPNSP_ISK_E10value_typeEPSL_NS1_7vsmem_tEENKUlT_SJ_SK_SL_E_clISE_PhSF_SF_EESI_SY_SJ_SK_SL_EUlSY_E0_NS1_11comp_targetILNS1_3genE2ELNS1_11target_archE906ELNS1_3gpuE6ELNS1_3repE0EEENS1_38merge_mergepath_config_static_selectorELNS0_4arch9wavefront6targetE1EEEvSK_,comdat
.Lfunc_end2898:
	.size	_ZN7rocprim17ROCPRIM_400000_NS6detail17trampoline_kernelINS0_14default_configENS1_38merge_sort_block_merge_config_selectorIhNS0_10empty_typeEEEZZNS1_27merge_sort_block_merge_implIS3_N6thrust23THRUST_200600_302600_NS6detail15normal_iteratorINS9_10device_ptrIhEEEEPS5_m14custom_greaterIhEEE10hipError_tT0_T1_T2_jT3_P12ihipStream_tbPNSt15iterator_traitsISJ_E10value_typeEPNSP_ISK_E10value_typeEPSL_NS1_7vsmem_tEENKUlT_SJ_SK_SL_E_clISE_PhSF_SF_EESI_SY_SJ_SK_SL_EUlSY_E0_NS1_11comp_targetILNS1_3genE2ELNS1_11target_archE906ELNS1_3gpuE6ELNS1_3repE0EEENS1_38merge_mergepath_config_static_selectorELNS0_4arch9wavefront6targetE1EEEvSK_, .Lfunc_end2898-_ZN7rocprim17ROCPRIM_400000_NS6detail17trampoline_kernelINS0_14default_configENS1_38merge_sort_block_merge_config_selectorIhNS0_10empty_typeEEEZZNS1_27merge_sort_block_merge_implIS3_N6thrust23THRUST_200600_302600_NS6detail15normal_iteratorINS9_10device_ptrIhEEEEPS5_m14custom_greaterIhEEE10hipError_tT0_T1_T2_jT3_P12ihipStream_tbPNSt15iterator_traitsISJ_E10value_typeEPNSP_ISK_E10value_typeEPSL_NS1_7vsmem_tEENKUlT_SJ_SK_SL_E_clISE_PhSF_SF_EESI_SY_SJ_SK_SL_EUlSY_E0_NS1_11comp_targetILNS1_3genE2ELNS1_11target_archE906ELNS1_3gpuE6ELNS1_3repE0EEENS1_38merge_mergepath_config_static_selectorELNS0_4arch9wavefront6targetE1EEEvSK_
                                        ; -- End function
	.section	.AMDGPU.csdata,"",@progbits
; Kernel info:
; codeLenInByte = 0
; NumSgprs: 4
; NumVgprs: 0
; NumAgprs: 0
; TotalNumVgprs: 0
; ScratchSize: 0
; MemoryBound: 0
; FloatMode: 240
; IeeeMode: 1
; LDSByteSize: 0 bytes/workgroup (compile time only)
; SGPRBlocks: 0
; VGPRBlocks: 0
; NumSGPRsForWavesPerEU: 4
; NumVGPRsForWavesPerEU: 1
; AccumOffset: 4
; Occupancy: 8
; WaveLimiterHint : 0
; COMPUTE_PGM_RSRC2:SCRATCH_EN: 0
; COMPUTE_PGM_RSRC2:USER_SGPR: 6
; COMPUTE_PGM_RSRC2:TRAP_HANDLER: 0
; COMPUTE_PGM_RSRC2:TGID_X_EN: 1
; COMPUTE_PGM_RSRC2:TGID_Y_EN: 0
; COMPUTE_PGM_RSRC2:TGID_Z_EN: 0
; COMPUTE_PGM_RSRC2:TIDIG_COMP_CNT: 0
; COMPUTE_PGM_RSRC3_GFX90A:ACCUM_OFFSET: 0
; COMPUTE_PGM_RSRC3_GFX90A:TG_SPLIT: 0
	.section	.text._ZN7rocprim17ROCPRIM_400000_NS6detail17trampoline_kernelINS0_14default_configENS1_38merge_sort_block_merge_config_selectorIhNS0_10empty_typeEEEZZNS1_27merge_sort_block_merge_implIS3_N6thrust23THRUST_200600_302600_NS6detail15normal_iteratorINS9_10device_ptrIhEEEEPS5_m14custom_greaterIhEEE10hipError_tT0_T1_T2_jT3_P12ihipStream_tbPNSt15iterator_traitsISJ_E10value_typeEPNSP_ISK_E10value_typeEPSL_NS1_7vsmem_tEENKUlT_SJ_SK_SL_E_clISE_PhSF_SF_EESI_SY_SJ_SK_SL_EUlSY_E0_NS1_11comp_targetILNS1_3genE9ELNS1_11target_archE1100ELNS1_3gpuE3ELNS1_3repE0EEENS1_38merge_mergepath_config_static_selectorELNS0_4arch9wavefront6targetE1EEEvSK_,"axG",@progbits,_ZN7rocprim17ROCPRIM_400000_NS6detail17trampoline_kernelINS0_14default_configENS1_38merge_sort_block_merge_config_selectorIhNS0_10empty_typeEEEZZNS1_27merge_sort_block_merge_implIS3_N6thrust23THRUST_200600_302600_NS6detail15normal_iteratorINS9_10device_ptrIhEEEEPS5_m14custom_greaterIhEEE10hipError_tT0_T1_T2_jT3_P12ihipStream_tbPNSt15iterator_traitsISJ_E10value_typeEPNSP_ISK_E10value_typeEPSL_NS1_7vsmem_tEENKUlT_SJ_SK_SL_E_clISE_PhSF_SF_EESI_SY_SJ_SK_SL_EUlSY_E0_NS1_11comp_targetILNS1_3genE9ELNS1_11target_archE1100ELNS1_3gpuE3ELNS1_3repE0EEENS1_38merge_mergepath_config_static_selectorELNS0_4arch9wavefront6targetE1EEEvSK_,comdat
	.protected	_ZN7rocprim17ROCPRIM_400000_NS6detail17trampoline_kernelINS0_14default_configENS1_38merge_sort_block_merge_config_selectorIhNS0_10empty_typeEEEZZNS1_27merge_sort_block_merge_implIS3_N6thrust23THRUST_200600_302600_NS6detail15normal_iteratorINS9_10device_ptrIhEEEEPS5_m14custom_greaterIhEEE10hipError_tT0_T1_T2_jT3_P12ihipStream_tbPNSt15iterator_traitsISJ_E10value_typeEPNSP_ISK_E10value_typeEPSL_NS1_7vsmem_tEENKUlT_SJ_SK_SL_E_clISE_PhSF_SF_EESI_SY_SJ_SK_SL_EUlSY_E0_NS1_11comp_targetILNS1_3genE9ELNS1_11target_archE1100ELNS1_3gpuE3ELNS1_3repE0EEENS1_38merge_mergepath_config_static_selectorELNS0_4arch9wavefront6targetE1EEEvSK_ ; -- Begin function _ZN7rocprim17ROCPRIM_400000_NS6detail17trampoline_kernelINS0_14default_configENS1_38merge_sort_block_merge_config_selectorIhNS0_10empty_typeEEEZZNS1_27merge_sort_block_merge_implIS3_N6thrust23THRUST_200600_302600_NS6detail15normal_iteratorINS9_10device_ptrIhEEEEPS5_m14custom_greaterIhEEE10hipError_tT0_T1_T2_jT3_P12ihipStream_tbPNSt15iterator_traitsISJ_E10value_typeEPNSP_ISK_E10value_typeEPSL_NS1_7vsmem_tEENKUlT_SJ_SK_SL_E_clISE_PhSF_SF_EESI_SY_SJ_SK_SL_EUlSY_E0_NS1_11comp_targetILNS1_3genE9ELNS1_11target_archE1100ELNS1_3gpuE3ELNS1_3repE0EEENS1_38merge_mergepath_config_static_selectorELNS0_4arch9wavefront6targetE1EEEvSK_
	.globl	_ZN7rocprim17ROCPRIM_400000_NS6detail17trampoline_kernelINS0_14default_configENS1_38merge_sort_block_merge_config_selectorIhNS0_10empty_typeEEEZZNS1_27merge_sort_block_merge_implIS3_N6thrust23THRUST_200600_302600_NS6detail15normal_iteratorINS9_10device_ptrIhEEEEPS5_m14custom_greaterIhEEE10hipError_tT0_T1_T2_jT3_P12ihipStream_tbPNSt15iterator_traitsISJ_E10value_typeEPNSP_ISK_E10value_typeEPSL_NS1_7vsmem_tEENKUlT_SJ_SK_SL_E_clISE_PhSF_SF_EESI_SY_SJ_SK_SL_EUlSY_E0_NS1_11comp_targetILNS1_3genE9ELNS1_11target_archE1100ELNS1_3gpuE3ELNS1_3repE0EEENS1_38merge_mergepath_config_static_selectorELNS0_4arch9wavefront6targetE1EEEvSK_
	.p2align	8
	.type	_ZN7rocprim17ROCPRIM_400000_NS6detail17trampoline_kernelINS0_14default_configENS1_38merge_sort_block_merge_config_selectorIhNS0_10empty_typeEEEZZNS1_27merge_sort_block_merge_implIS3_N6thrust23THRUST_200600_302600_NS6detail15normal_iteratorINS9_10device_ptrIhEEEEPS5_m14custom_greaterIhEEE10hipError_tT0_T1_T2_jT3_P12ihipStream_tbPNSt15iterator_traitsISJ_E10value_typeEPNSP_ISK_E10value_typeEPSL_NS1_7vsmem_tEENKUlT_SJ_SK_SL_E_clISE_PhSF_SF_EESI_SY_SJ_SK_SL_EUlSY_E0_NS1_11comp_targetILNS1_3genE9ELNS1_11target_archE1100ELNS1_3gpuE3ELNS1_3repE0EEENS1_38merge_mergepath_config_static_selectorELNS0_4arch9wavefront6targetE1EEEvSK_,@function
_ZN7rocprim17ROCPRIM_400000_NS6detail17trampoline_kernelINS0_14default_configENS1_38merge_sort_block_merge_config_selectorIhNS0_10empty_typeEEEZZNS1_27merge_sort_block_merge_implIS3_N6thrust23THRUST_200600_302600_NS6detail15normal_iteratorINS9_10device_ptrIhEEEEPS5_m14custom_greaterIhEEE10hipError_tT0_T1_T2_jT3_P12ihipStream_tbPNSt15iterator_traitsISJ_E10value_typeEPNSP_ISK_E10value_typeEPSL_NS1_7vsmem_tEENKUlT_SJ_SK_SL_E_clISE_PhSF_SF_EESI_SY_SJ_SK_SL_EUlSY_E0_NS1_11comp_targetILNS1_3genE9ELNS1_11target_archE1100ELNS1_3gpuE3ELNS1_3repE0EEENS1_38merge_mergepath_config_static_selectorELNS0_4arch9wavefront6targetE1EEEvSK_: ; @_ZN7rocprim17ROCPRIM_400000_NS6detail17trampoline_kernelINS0_14default_configENS1_38merge_sort_block_merge_config_selectorIhNS0_10empty_typeEEEZZNS1_27merge_sort_block_merge_implIS3_N6thrust23THRUST_200600_302600_NS6detail15normal_iteratorINS9_10device_ptrIhEEEEPS5_m14custom_greaterIhEEE10hipError_tT0_T1_T2_jT3_P12ihipStream_tbPNSt15iterator_traitsISJ_E10value_typeEPNSP_ISK_E10value_typeEPSL_NS1_7vsmem_tEENKUlT_SJ_SK_SL_E_clISE_PhSF_SF_EESI_SY_SJ_SK_SL_EUlSY_E0_NS1_11comp_targetILNS1_3genE9ELNS1_11target_archE1100ELNS1_3gpuE3ELNS1_3repE0EEENS1_38merge_mergepath_config_static_selectorELNS0_4arch9wavefront6targetE1EEEvSK_
; %bb.0:
	.section	.rodata,"a",@progbits
	.p2align	6, 0x0
	.amdhsa_kernel _ZN7rocprim17ROCPRIM_400000_NS6detail17trampoline_kernelINS0_14default_configENS1_38merge_sort_block_merge_config_selectorIhNS0_10empty_typeEEEZZNS1_27merge_sort_block_merge_implIS3_N6thrust23THRUST_200600_302600_NS6detail15normal_iteratorINS9_10device_ptrIhEEEEPS5_m14custom_greaterIhEEE10hipError_tT0_T1_T2_jT3_P12ihipStream_tbPNSt15iterator_traitsISJ_E10value_typeEPNSP_ISK_E10value_typeEPSL_NS1_7vsmem_tEENKUlT_SJ_SK_SL_E_clISE_PhSF_SF_EESI_SY_SJ_SK_SL_EUlSY_E0_NS1_11comp_targetILNS1_3genE9ELNS1_11target_archE1100ELNS1_3gpuE3ELNS1_3repE0EEENS1_38merge_mergepath_config_static_selectorELNS0_4arch9wavefront6targetE1EEEvSK_
		.amdhsa_group_segment_fixed_size 0
		.amdhsa_private_segment_fixed_size 0
		.amdhsa_kernarg_size 72
		.amdhsa_user_sgpr_count 6
		.amdhsa_user_sgpr_private_segment_buffer 1
		.amdhsa_user_sgpr_dispatch_ptr 0
		.amdhsa_user_sgpr_queue_ptr 0
		.amdhsa_user_sgpr_kernarg_segment_ptr 1
		.amdhsa_user_sgpr_dispatch_id 0
		.amdhsa_user_sgpr_flat_scratch_init 0
		.amdhsa_user_sgpr_kernarg_preload_length 0
		.amdhsa_user_sgpr_kernarg_preload_offset 0
		.amdhsa_user_sgpr_private_segment_size 0
		.amdhsa_uses_dynamic_stack 0
		.amdhsa_system_sgpr_private_segment_wavefront_offset 0
		.amdhsa_system_sgpr_workgroup_id_x 1
		.amdhsa_system_sgpr_workgroup_id_y 0
		.amdhsa_system_sgpr_workgroup_id_z 0
		.amdhsa_system_sgpr_workgroup_info 0
		.amdhsa_system_vgpr_workitem_id 0
		.amdhsa_next_free_vgpr 1
		.amdhsa_next_free_sgpr 0
		.amdhsa_accum_offset 4
		.amdhsa_reserve_vcc 0
		.amdhsa_reserve_flat_scratch 0
		.amdhsa_float_round_mode_32 0
		.amdhsa_float_round_mode_16_64 0
		.amdhsa_float_denorm_mode_32 3
		.amdhsa_float_denorm_mode_16_64 3
		.amdhsa_dx10_clamp 1
		.amdhsa_ieee_mode 1
		.amdhsa_fp16_overflow 0
		.amdhsa_tg_split 0
		.amdhsa_exception_fp_ieee_invalid_op 0
		.amdhsa_exception_fp_denorm_src 0
		.amdhsa_exception_fp_ieee_div_zero 0
		.amdhsa_exception_fp_ieee_overflow 0
		.amdhsa_exception_fp_ieee_underflow 0
		.amdhsa_exception_fp_ieee_inexact 0
		.amdhsa_exception_int_div_zero 0
	.end_amdhsa_kernel
	.section	.text._ZN7rocprim17ROCPRIM_400000_NS6detail17trampoline_kernelINS0_14default_configENS1_38merge_sort_block_merge_config_selectorIhNS0_10empty_typeEEEZZNS1_27merge_sort_block_merge_implIS3_N6thrust23THRUST_200600_302600_NS6detail15normal_iteratorINS9_10device_ptrIhEEEEPS5_m14custom_greaterIhEEE10hipError_tT0_T1_T2_jT3_P12ihipStream_tbPNSt15iterator_traitsISJ_E10value_typeEPNSP_ISK_E10value_typeEPSL_NS1_7vsmem_tEENKUlT_SJ_SK_SL_E_clISE_PhSF_SF_EESI_SY_SJ_SK_SL_EUlSY_E0_NS1_11comp_targetILNS1_3genE9ELNS1_11target_archE1100ELNS1_3gpuE3ELNS1_3repE0EEENS1_38merge_mergepath_config_static_selectorELNS0_4arch9wavefront6targetE1EEEvSK_,"axG",@progbits,_ZN7rocprim17ROCPRIM_400000_NS6detail17trampoline_kernelINS0_14default_configENS1_38merge_sort_block_merge_config_selectorIhNS0_10empty_typeEEEZZNS1_27merge_sort_block_merge_implIS3_N6thrust23THRUST_200600_302600_NS6detail15normal_iteratorINS9_10device_ptrIhEEEEPS5_m14custom_greaterIhEEE10hipError_tT0_T1_T2_jT3_P12ihipStream_tbPNSt15iterator_traitsISJ_E10value_typeEPNSP_ISK_E10value_typeEPSL_NS1_7vsmem_tEENKUlT_SJ_SK_SL_E_clISE_PhSF_SF_EESI_SY_SJ_SK_SL_EUlSY_E0_NS1_11comp_targetILNS1_3genE9ELNS1_11target_archE1100ELNS1_3gpuE3ELNS1_3repE0EEENS1_38merge_mergepath_config_static_selectorELNS0_4arch9wavefront6targetE1EEEvSK_,comdat
.Lfunc_end2899:
	.size	_ZN7rocprim17ROCPRIM_400000_NS6detail17trampoline_kernelINS0_14default_configENS1_38merge_sort_block_merge_config_selectorIhNS0_10empty_typeEEEZZNS1_27merge_sort_block_merge_implIS3_N6thrust23THRUST_200600_302600_NS6detail15normal_iteratorINS9_10device_ptrIhEEEEPS5_m14custom_greaterIhEEE10hipError_tT0_T1_T2_jT3_P12ihipStream_tbPNSt15iterator_traitsISJ_E10value_typeEPNSP_ISK_E10value_typeEPSL_NS1_7vsmem_tEENKUlT_SJ_SK_SL_E_clISE_PhSF_SF_EESI_SY_SJ_SK_SL_EUlSY_E0_NS1_11comp_targetILNS1_3genE9ELNS1_11target_archE1100ELNS1_3gpuE3ELNS1_3repE0EEENS1_38merge_mergepath_config_static_selectorELNS0_4arch9wavefront6targetE1EEEvSK_, .Lfunc_end2899-_ZN7rocprim17ROCPRIM_400000_NS6detail17trampoline_kernelINS0_14default_configENS1_38merge_sort_block_merge_config_selectorIhNS0_10empty_typeEEEZZNS1_27merge_sort_block_merge_implIS3_N6thrust23THRUST_200600_302600_NS6detail15normal_iteratorINS9_10device_ptrIhEEEEPS5_m14custom_greaterIhEEE10hipError_tT0_T1_T2_jT3_P12ihipStream_tbPNSt15iterator_traitsISJ_E10value_typeEPNSP_ISK_E10value_typeEPSL_NS1_7vsmem_tEENKUlT_SJ_SK_SL_E_clISE_PhSF_SF_EESI_SY_SJ_SK_SL_EUlSY_E0_NS1_11comp_targetILNS1_3genE9ELNS1_11target_archE1100ELNS1_3gpuE3ELNS1_3repE0EEENS1_38merge_mergepath_config_static_selectorELNS0_4arch9wavefront6targetE1EEEvSK_
                                        ; -- End function
	.section	.AMDGPU.csdata,"",@progbits
; Kernel info:
; codeLenInByte = 0
; NumSgprs: 4
; NumVgprs: 0
; NumAgprs: 0
; TotalNumVgprs: 0
; ScratchSize: 0
; MemoryBound: 0
; FloatMode: 240
; IeeeMode: 1
; LDSByteSize: 0 bytes/workgroup (compile time only)
; SGPRBlocks: 0
; VGPRBlocks: 0
; NumSGPRsForWavesPerEU: 4
; NumVGPRsForWavesPerEU: 1
; AccumOffset: 4
; Occupancy: 8
; WaveLimiterHint : 0
; COMPUTE_PGM_RSRC2:SCRATCH_EN: 0
; COMPUTE_PGM_RSRC2:USER_SGPR: 6
; COMPUTE_PGM_RSRC2:TRAP_HANDLER: 0
; COMPUTE_PGM_RSRC2:TGID_X_EN: 1
; COMPUTE_PGM_RSRC2:TGID_Y_EN: 0
; COMPUTE_PGM_RSRC2:TGID_Z_EN: 0
; COMPUTE_PGM_RSRC2:TIDIG_COMP_CNT: 0
; COMPUTE_PGM_RSRC3_GFX90A:ACCUM_OFFSET: 0
; COMPUTE_PGM_RSRC3_GFX90A:TG_SPLIT: 0
	.section	.text._ZN7rocprim17ROCPRIM_400000_NS6detail17trampoline_kernelINS0_14default_configENS1_38merge_sort_block_merge_config_selectorIhNS0_10empty_typeEEEZZNS1_27merge_sort_block_merge_implIS3_N6thrust23THRUST_200600_302600_NS6detail15normal_iteratorINS9_10device_ptrIhEEEEPS5_m14custom_greaterIhEEE10hipError_tT0_T1_T2_jT3_P12ihipStream_tbPNSt15iterator_traitsISJ_E10value_typeEPNSP_ISK_E10value_typeEPSL_NS1_7vsmem_tEENKUlT_SJ_SK_SL_E_clISE_PhSF_SF_EESI_SY_SJ_SK_SL_EUlSY_E0_NS1_11comp_targetILNS1_3genE8ELNS1_11target_archE1030ELNS1_3gpuE2ELNS1_3repE0EEENS1_38merge_mergepath_config_static_selectorELNS0_4arch9wavefront6targetE1EEEvSK_,"axG",@progbits,_ZN7rocprim17ROCPRIM_400000_NS6detail17trampoline_kernelINS0_14default_configENS1_38merge_sort_block_merge_config_selectorIhNS0_10empty_typeEEEZZNS1_27merge_sort_block_merge_implIS3_N6thrust23THRUST_200600_302600_NS6detail15normal_iteratorINS9_10device_ptrIhEEEEPS5_m14custom_greaterIhEEE10hipError_tT0_T1_T2_jT3_P12ihipStream_tbPNSt15iterator_traitsISJ_E10value_typeEPNSP_ISK_E10value_typeEPSL_NS1_7vsmem_tEENKUlT_SJ_SK_SL_E_clISE_PhSF_SF_EESI_SY_SJ_SK_SL_EUlSY_E0_NS1_11comp_targetILNS1_3genE8ELNS1_11target_archE1030ELNS1_3gpuE2ELNS1_3repE0EEENS1_38merge_mergepath_config_static_selectorELNS0_4arch9wavefront6targetE1EEEvSK_,comdat
	.protected	_ZN7rocprim17ROCPRIM_400000_NS6detail17trampoline_kernelINS0_14default_configENS1_38merge_sort_block_merge_config_selectorIhNS0_10empty_typeEEEZZNS1_27merge_sort_block_merge_implIS3_N6thrust23THRUST_200600_302600_NS6detail15normal_iteratorINS9_10device_ptrIhEEEEPS5_m14custom_greaterIhEEE10hipError_tT0_T1_T2_jT3_P12ihipStream_tbPNSt15iterator_traitsISJ_E10value_typeEPNSP_ISK_E10value_typeEPSL_NS1_7vsmem_tEENKUlT_SJ_SK_SL_E_clISE_PhSF_SF_EESI_SY_SJ_SK_SL_EUlSY_E0_NS1_11comp_targetILNS1_3genE8ELNS1_11target_archE1030ELNS1_3gpuE2ELNS1_3repE0EEENS1_38merge_mergepath_config_static_selectorELNS0_4arch9wavefront6targetE1EEEvSK_ ; -- Begin function _ZN7rocprim17ROCPRIM_400000_NS6detail17trampoline_kernelINS0_14default_configENS1_38merge_sort_block_merge_config_selectorIhNS0_10empty_typeEEEZZNS1_27merge_sort_block_merge_implIS3_N6thrust23THRUST_200600_302600_NS6detail15normal_iteratorINS9_10device_ptrIhEEEEPS5_m14custom_greaterIhEEE10hipError_tT0_T1_T2_jT3_P12ihipStream_tbPNSt15iterator_traitsISJ_E10value_typeEPNSP_ISK_E10value_typeEPSL_NS1_7vsmem_tEENKUlT_SJ_SK_SL_E_clISE_PhSF_SF_EESI_SY_SJ_SK_SL_EUlSY_E0_NS1_11comp_targetILNS1_3genE8ELNS1_11target_archE1030ELNS1_3gpuE2ELNS1_3repE0EEENS1_38merge_mergepath_config_static_selectorELNS0_4arch9wavefront6targetE1EEEvSK_
	.globl	_ZN7rocprim17ROCPRIM_400000_NS6detail17trampoline_kernelINS0_14default_configENS1_38merge_sort_block_merge_config_selectorIhNS0_10empty_typeEEEZZNS1_27merge_sort_block_merge_implIS3_N6thrust23THRUST_200600_302600_NS6detail15normal_iteratorINS9_10device_ptrIhEEEEPS5_m14custom_greaterIhEEE10hipError_tT0_T1_T2_jT3_P12ihipStream_tbPNSt15iterator_traitsISJ_E10value_typeEPNSP_ISK_E10value_typeEPSL_NS1_7vsmem_tEENKUlT_SJ_SK_SL_E_clISE_PhSF_SF_EESI_SY_SJ_SK_SL_EUlSY_E0_NS1_11comp_targetILNS1_3genE8ELNS1_11target_archE1030ELNS1_3gpuE2ELNS1_3repE0EEENS1_38merge_mergepath_config_static_selectorELNS0_4arch9wavefront6targetE1EEEvSK_
	.p2align	8
	.type	_ZN7rocprim17ROCPRIM_400000_NS6detail17trampoline_kernelINS0_14default_configENS1_38merge_sort_block_merge_config_selectorIhNS0_10empty_typeEEEZZNS1_27merge_sort_block_merge_implIS3_N6thrust23THRUST_200600_302600_NS6detail15normal_iteratorINS9_10device_ptrIhEEEEPS5_m14custom_greaterIhEEE10hipError_tT0_T1_T2_jT3_P12ihipStream_tbPNSt15iterator_traitsISJ_E10value_typeEPNSP_ISK_E10value_typeEPSL_NS1_7vsmem_tEENKUlT_SJ_SK_SL_E_clISE_PhSF_SF_EESI_SY_SJ_SK_SL_EUlSY_E0_NS1_11comp_targetILNS1_3genE8ELNS1_11target_archE1030ELNS1_3gpuE2ELNS1_3repE0EEENS1_38merge_mergepath_config_static_selectorELNS0_4arch9wavefront6targetE1EEEvSK_,@function
_ZN7rocprim17ROCPRIM_400000_NS6detail17trampoline_kernelINS0_14default_configENS1_38merge_sort_block_merge_config_selectorIhNS0_10empty_typeEEEZZNS1_27merge_sort_block_merge_implIS3_N6thrust23THRUST_200600_302600_NS6detail15normal_iteratorINS9_10device_ptrIhEEEEPS5_m14custom_greaterIhEEE10hipError_tT0_T1_T2_jT3_P12ihipStream_tbPNSt15iterator_traitsISJ_E10value_typeEPNSP_ISK_E10value_typeEPSL_NS1_7vsmem_tEENKUlT_SJ_SK_SL_E_clISE_PhSF_SF_EESI_SY_SJ_SK_SL_EUlSY_E0_NS1_11comp_targetILNS1_3genE8ELNS1_11target_archE1030ELNS1_3gpuE2ELNS1_3repE0EEENS1_38merge_mergepath_config_static_selectorELNS0_4arch9wavefront6targetE1EEEvSK_: ; @_ZN7rocprim17ROCPRIM_400000_NS6detail17trampoline_kernelINS0_14default_configENS1_38merge_sort_block_merge_config_selectorIhNS0_10empty_typeEEEZZNS1_27merge_sort_block_merge_implIS3_N6thrust23THRUST_200600_302600_NS6detail15normal_iteratorINS9_10device_ptrIhEEEEPS5_m14custom_greaterIhEEE10hipError_tT0_T1_T2_jT3_P12ihipStream_tbPNSt15iterator_traitsISJ_E10value_typeEPNSP_ISK_E10value_typeEPSL_NS1_7vsmem_tEENKUlT_SJ_SK_SL_E_clISE_PhSF_SF_EESI_SY_SJ_SK_SL_EUlSY_E0_NS1_11comp_targetILNS1_3genE8ELNS1_11target_archE1030ELNS1_3gpuE2ELNS1_3repE0EEENS1_38merge_mergepath_config_static_selectorELNS0_4arch9wavefront6targetE1EEEvSK_
; %bb.0:
	.section	.rodata,"a",@progbits
	.p2align	6, 0x0
	.amdhsa_kernel _ZN7rocprim17ROCPRIM_400000_NS6detail17trampoline_kernelINS0_14default_configENS1_38merge_sort_block_merge_config_selectorIhNS0_10empty_typeEEEZZNS1_27merge_sort_block_merge_implIS3_N6thrust23THRUST_200600_302600_NS6detail15normal_iteratorINS9_10device_ptrIhEEEEPS5_m14custom_greaterIhEEE10hipError_tT0_T1_T2_jT3_P12ihipStream_tbPNSt15iterator_traitsISJ_E10value_typeEPNSP_ISK_E10value_typeEPSL_NS1_7vsmem_tEENKUlT_SJ_SK_SL_E_clISE_PhSF_SF_EESI_SY_SJ_SK_SL_EUlSY_E0_NS1_11comp_targetILNS1_3genE8ELNS1_11target_archE1030ELNS1_3gpuE2ELNS1_3repE0EEENS1_38merge_mergepath_config_static_selectorELNS0_4arch9wavefront6targetE1EEEvSK_
		.amdhsa_group_segment_fixed_size 0
		.amdhsa_private_segment_fixed_size 0
		.amdhsa_kernarg_size 72
		.amdhsa_user_sgpr_count 6
		.amdhsa_user_sgpr_private_segment_buffer 1
		.amdhsa_user_sgpr_dispatch_ptr 0
		.amdhsa_user_sgpr_queue_ptr 0
		.amdhsa_user_sgpr_kernarg_segment_ptr 1
		.amdhsa_user_sgpr_dispatch_id 0
		.amdhsa_user_sgpr_flat_scratch_init 0
		.amdhsa_user_sgpr_kernarg_preload_length 0
		.amdhsa_user_sgpr_kernarg_preload_offset 0
		.amdhsa_user_sgpr_private_segment_size 0
		.amdhsa_uses_dynamic_stack 0
		.amdhsa_system_sgpr_private_segment_wavefront_offset 0
		.amdhsa_system_sgpr_workgroup_id_x 1
		.amdhsa_system_sgpr_workgroup_id_y 0
		.amdhsa_system_sgpr_workgroup_id_z 0
		.amdhsa_system_sgpr_workgroup_info 0
		.amdhsa_system_vgpr_workitem_id 0
		.amdhsa_next_free_vgpr 1
		.amdhsa_next_free_sgpr 0
		.amdhsa_accum_offset 4
		.amdhsa_reserve_vcc 0
		.amdhsa_reserve_flat_scratch 0
		.amdhsa_float_round_mode_32 0
		.amdhsa_float_round_mode_16_64 0
		.amdhsa_float_denorm_mode_32 3
		.amdhsa_float_denorm_mode_16_64 3
		.amdhsa_dx10_clamp 1
		.amdhsa_ieee_mode 1
		.amdhsa_fp16_overflow 0
		.amdhsa_tg_split 0
		.amdhsa_exception_fp_ieee_invalid_op 0
		.amdhsa_exception_fp_denorm_src 0
		.amdhsa_exception_fp_ieee_div_zero 0
		.amdhsa_exception_fp_ieee_overflow 0
		.amdhsa_exception_fp_ieee_underflow 0
		.amdhsa_exception_fp_ieee_inexact 0
		.amdhsa_exception_int_div_zero 0
	.end_amdhsa_kernel
	.section	.text._ZN7rocprim17ROCPRIM_400000_NS6detail17trampoline_kernelINS0_14default_configENS1_38merge_sort_block_merge_config_selectorIhNS0_10empty_typeEEEZZNS1_27merge_sort_block_merge_implIS3_N6thrust23THRUST_200600_302600_NS6detail15normal_iteratorINS9_10device_ptrIhEEEEPS5_m14custom_greaterIhEEE10hipError_tT0_T1_T2_jT3_P12ihipStream_tbPNSt15iterator_traitsISJ_E10value_typeEPNSP_ISK_E10value_typeEPSL_NS1_7vsmem_tEENKUlT_SJ_SK_SL_E_clISE_PhSF_SF_EESI_SY_SJ_SK_SL_EUlSY_E0_NS1_11comp_targetILNS1_3genE8ELNS1_11target_archE1030ELNS1_3gpuE2ELNS1_3repE0EEENS1_38merge_mergepath_config_static_selectorELNS0_4arch9wavefront6targetE1EEEvSK_,"axG",@progbits,_ZN7rocprim17ROCPRIM_400000_NS6detail17trampoline_kernelINS0_14default_configENS1_38merge_sort_block_merge_config_selectorIhNS0_10empty_typeEEEZZNS1_27merge_sort_block_merge_implIS3_N6thrust23THRUST_200600_302600_NS6detail15normal_iteratorINS9_10device_ptrIhEEEEPS5_m14custom_greaterIhEEE10hipError_tT0_T1_T2_jT3_P12ihipStream_tbPNSt15iterator_traitsISJ_E10value_typeEPNSP_ISK_E10value_typeEPSL_NS1_7vsmem_tEENKUlT_SJ_SK_SL_E_clISE_PhSF_SF_EESI_SY_SJ_SK_SL_EUlSY_E0_NS1_11comp_targetILNS1_3genE8ELNS1_11target_archE1030ELNS1_3gpuE2ELNS1_3repE0EEENS1_38merge_mergepath_config_static_selectorELNS0_4arch9wavefront6targetE1EEEvSK_,comdat
.Lfunc_end2900:
	.size	_ZN7rocprim17ROCPRIM_400000_NS6detail17trampoline_kernelINS0_14default_configENS1_38merge_sort_block_merge_config_selectorIhNS0_10empty_typeEEEZZNS1_27merge_sort_block_merge_implIS3_N6thrust23THRUST_200600_302600_NS6detail15normal_iteratorINS9_10device_ptrIhEEEEPS5_m14custom_greaterIhEEE10hipError_tT0_T1_T2_jT3_P12ihipStream_tbPNSt15iterator_traitsISJ_E10value_typeEPNSP_ISK_E10value_typeEPSL_NS1_7vsmem_tEENKUlT_SJ_SK_SL_E_clISE_PhSF_SF_EESI_SY_SJ_SK_SL_EUlSY_E0_NS1_11comp_targetILNS1_3genE8ELNS1_11target_archE1030ELNS1_3gpuE2ELNS1_3repE0EEENS1_38merge_mergepath_config_static_selectorELNS0_4arch9wavefront6targetE1EEEvSK_, .Lfunc_end2900-_ZN7rocprim17ROCPRIM_400000_NS6detail17trampoline_kernelINS0_14default_configENS1_38merge_sort_block_merge_config_selectorIhNS0_10empty_typeEEEZZNS1_27merge_sort_block_merge_implIS3_N6thrust23THRUST_200600_302600_NS6detail15normal_iteratorINS9_10device_ptrIhEEEEPS5_m14custom_greaterIhEEE10hipError_tT0_T1_T2_jT3_P12ihipStream_tbPNSt15iterator_traitsISJ_E10value_typeEPNSP_ISK_E10value_typeEPSL_NS1_7vsmem_tEENKUlT_SJ_SK_SL_E_clISE_PhSF_SF_EESI_SY_SJ_SK_SL_EUlSY_E0_NS1_11comp_targetILNS1_3genE8ELNS1_11target_archE1030ELNS1_3gpuE2ELNS1_3repE0EEENS1_38merge_mergepath_config_static_selectorELNS0_4arch9wavefront6targetE1EEEvSK_
                                        ; -- End function
	.section	.AMDGPU.csdata,"",@progbits
; Kernel info:
; codeLenInByte = 0
; NumSgprs: 4
; NumVgprs: 0
; NumAgprs: 0
; TotalNumVgprs: 0
; ScratchSize: 0
; MemoryBound: 0
; FloatMode: 240
; IeeeMode: 1
; LDSByteSize: 0 bytes/workgroup (compile time only)
; SGPRBlocks: 0
; VGPRBlocks: 0
; NumSGPRsForWavesPerEU: 4
; NumVGPRsForWavesPerEU: 1
; AccumOffset: 4
; Occupancy: 8
; WaveLimiterHint : 0
; COMPUTE_PGM_RSRC2:SCRATCH_EN: 0
; COMPUTE_PGM_RSRC2:USER_SGPR: 6
; COMPUTE_PGM_RSRC2:TRAP_HANDLER: 0
; COMPUTE_PGM_RSRC2:TGID_X_EN: 1
; COMPUTE_PGM_RSRC2:TGID_Y_EN: 0
; COMPUTE_PGM_RSRC2:TGID_Z_EN: 0
; COMPUTE_PGM_RSRC2:TIDIG_COMP_CNT: 0
; COMPUTE_PGM_RSRC3_GFX90A:ACCUM_OFFSET: 0
; COMPUTE_PGM_RSRC3_GFX90A:TG_SPLIT: 0
	.section	.text._ZN7rocprim17ROCPRIM_400000_NS6detail17trampoline_kernelINS0_14default_configENS1_38merge_sort_block_merge_config_selectorIhNS0_10empty_typeEEEZZNS1_27merge_sort_block_merge_implIS3_N6thrust23THRUST_200600_302600_NS6detail15normal_iteratorINS9_10device_ptrIhEEEEPS5_m14custom_greaterIhEEE10hipError_tT0_T1_T2_jT3_P12ihipStream_tbPNSt15iterator_traitsISJ_E10value_typeEPNSP_ISK_E10value_typeEPSL_NS1_7vsmem_tEENKUlT_SJ_SK_SL_E_clISE_PhSF_SF_EESI_SY_SJ_SK_SL_EUlSY_E1_NS1_11comp_targetILNS1_3genE0ELNS1_11target_archE4294967295ELNS1_3gpuE0ELNS1_3repE0EEENS1_36merge_oddeven_config_static_selectorELNS0_4arch9wavefront6targetE1EEEvSK_,"axG",@progbits,_ZN7rocprim17ROCPRIM_400000_NS6detail17trampoline_kernelINS0_14default_configENS1_38merge_sort_block_merge_config_selectorIhNS0_10empty_typeEEEZZNS1_27merge_sort_block_merge_implIS3_N6thrust23THRUST_200600_302600_NS6detail15normal_iteratorINS9_10device_ptrIhEEEEPS5_m14custom_greaterIhEEE10hipError_tT0_T1_T2_jT3_P12ihipStream_tbPNSt15iterator_traitsISJ_E10value_typeEPNSP_ISK_E10value_typeEPSL_NS1_7vsmem_tEENKUlT_SJ_SK_SL_E_clISE_PhSF_SF_EESI_SY_SJ_SK_SL_EUlSY_E1_NS1_11comp_targetILNS1_3genE0ELNS1_11target_archE4294967295ELNS1_3gpuE0ELNS1_3repE0EEENS1_36merge_oddeven_config_static_selectorELNS0_4arch9wavefront6targetE1EEEvSK_,comdat
	.protected	_ZN7rocprim17ROCPRIM_400000_NS6detail17trampoline_kernelINS0_14default_configENS1_38merge_sort_block_merge_config_selectorIhNS0_10empty_typeEEEZZNS1_27merge_sort_block_merge_implIS3_N6thrust23THRUST_200600_302600_NS6detail15normal_iteratorINS9_10device_ptrIhEEEEPS5_m14custom_greaterIhEEE10hipError_tT0_T1_T2_jT3_P12ihipStream_tbPNSt15iterator_traitsISJ_E10value_typeEPNSP_ISK_E10value_typeEPSL_NS1_7vsmem_tEENKUlT_SJ_SK_SL_E_clISE_PhSF_SF_EESI_SY_SJ_SK_SL_EUlSY_E1_NS1_11comp_targetILNS1_3genE0ELNS1_11target_archE4294967295ELNS1_3gpuE0ELNS1_3repE0EEENS1_36merge_oddeven_config_static_selectorELNS0_4arch9wavefront6targetE1EEEvSK_ ; -- Begin function _ZN7rocprim17ROCPRIM_400000_NS6detail17trampoline_kernelINS0_14default_configENS1_38merge_sort_block_merge_config_selectorIhNS0_10empty_typeEEEZZNS1_27merge_sort_block_merge_implIS3_N6thrust23THRUST_200600_302600_NS6detail15normal_iteratorINS9_10device_ptrIhEEEEPS5_m14custom_greaterIhEEE10hipError_tT0_T1_T2_jT3_P12ihipStream_tbPNSt15iterator_traitsISJ_E10value_typeEPNSP_ISK_E10value_typeEPSL_NS1_7vsmem_tEENKUlT_SJ_SK_SL_E_clISE_PhSF_SF_EESI_SY_SJ_SK_SL_EUlSY_E1_NS1_11comp_targetILNS1_3genE0ELNS1_11target_archE4294967295ELNS1_3gpuE0ELNS1_3repE0EEENS1_36merge_oddeven_config_static_selectorELNS0_4arch9wavefront6targetE1EEEvSK_
	.globl	_ZN7rocprim17ROCPRIM_400000_NS6detail17trampoline_kernelINS0_14default_configENS1_38merge_sort_block_merge_config_selectorIhNS0_10empty_typeEEEZZNS1_27merge_sort_block_merge_implIS3_N6thrust23THRUST_200600_302600_NS6detail15normal_iteratorINS9_10device_ptrIhEEEEPS5_m14custom_greaterIhEEE10hipError_tT0_T1_T2_jT3_P12ihipStream_tbPNSt15iterator_traitsISJ_E10value_typeEPNSP_ISK_E10value_typeEPSL_NS1_7vsmem_tEENKUlT_SJ_SK_SL_E_clISE_PhSF_SF_EESI_SY_SJ_SK_SL_EUlSY_E1_NS1_11comp_targetILNS1_3genE0ELNS1_11target_archE4294967295ELNS1_3gpuE0ELNS1_3repE0EEENS1_36merge_oddeven_config_static_selectorELNS0_4arch9wavefront6targetE1EEEvSK_
	.p2align	8
	.type	_ZN7rocprim17ROCPRIM_400000_NS6detail17trampoline_kernelINS0_14default_configENS1_38merge_sort_block_merge_config_selectorIhNS0_10empty_typeEEEZZNS1_27merge_sort_block_merge_implIS3_N6thrust23THRUST_200600_302600_NS6detail15normal_iteratorINS9_10device_ptrIhEEEEPS5_m14custom_greaterIhEEE10hipError_tT0_T1_T2_jT3_P12ihipStream_tbPNSt15iterator_traitsISJ_E10value_typeEPNSP_ISK_E10value_typeEPSL_NS1_7vsmem_tEENKUlT_SJ_SK_SL_E_clISE_PhSF_SF_EESI_SY_SJ_SK_SL_EUlSY_E1_NS1_11comp_targetILNS1_3genE0ELNS1_11target_archE4294967295ELNS1_3gpuE0ELNS1_3repE0EEENS1_36merge_oddeven_config_static_selectorELNS0_4arch9wavefront6targetE1EEEvSK_,@function
_ZN7rocprim17ROCPRIM_400000_NS6detail17trampoline_kernelINS0_14default_configENS1_38merge_sort_block_merge_config_selectorIhNS0_10empty_typeEEEZZNS1_27merge_sort_block_merge_implIS3_N6thrust23THRUST_200600_302600_NS6detail15normal_iteratorINS9_10device_ptrIhEEEEPS5_m14custom_greaterIhEEE10hipError_tT0_T1_T2_jT3_P12ihipStream_tbPNSt15iterator_traitsISJ_E10value_typeEPNSP_ISK_E10value_typeEPSL_NS1_7vsmem_tEENKUlT_SJ_SK_SL_E_clISE_PhSF_SF_EESI_SY_SJ_SK_SL_EUlSY_E1_NS1_11comp_targetILNS1_3genE0ELNS1_11target_archE4294967295ELNS1_3gpuE0ELNS1_3repE0EEENS1_36merge_oddeven_config_static_selectorELNS0_4arch9wavefront6targetE1EEEvSK_: ; @_ZN7rocprim17ROCPRIM_400000_NS6detail17trampoline_kernelINS0_14default_configENS1_38merge_sort_block_merge_config_selectorIhNS0_10empty_typeEEEZZNS1_27merge_sort_block_merge_implIS3_N6thrust23THRUST_200600_302600_NS6detail15normal_iteratorINS9_10device_ptrIhEEEEPS5_m14custom_greaterIhEEE10hipError_tT0_T1_T2_jT3_P12ihipStream_tbPNSt15iterator_traitsISJ_E10value_typeEPNSP_ISK_E10value_typeEPSL_NS1_7vsmem_tEENKUlT_SJ_SK_SL_E_clISE_PhSF_SF_EESI_SY_SJ_SK_SL_EUlSY_E1_NS1_11comp_targetILNS1_3genE0ELNS1_11target_archE4294967295ELNS1_3gpuE0ELNS1_3repE0EEENS1_36merge_oddeven_config_static_selectorELNS0_4arch9wavefront6targetE1EEEvSK_
; %bb.0:
	.section	.rodata,"a",@progbits
	.p2align	6, 0x0
	.amdhsa_kernel _ZN7rocprim17ROCPRIM_400000_NS6detail17trampoline_kernelINS0_14default_configENS1_38merge_sort_block_merge_config_selectorIhNS0_10empty_typeEEEZZNS1_27merge_sort_block_merge_implIS3_N6thrust23THRUST_200600_302600_NS6detail15normal_iteratorINS9_10device_ptrIhEEEEPS5_m14custom_greaterIhEEE10hipError_tT0_T1_T2_jT3_P12ihipStream_tbPNSt15iterator_traitsISJ_E10value_typeEPNSP_ISK_E10value_typeEPSL_NS1_7vsmem_tEENKUlT_SJ_SK_SL_E_clISE_PhSF_SF_EESI_SY_SJ_SK_SL_EUlSY_E1_NS1_11comp_targetILNS1_3genE0ELNS1_11target_archE4294967295ELNS1_3gpuE0ELNS1_3repE0EEENS1_36merge_oddeven_config_static_selectorELNS0_4arch9wavefront6targetE1EEEvSK_
		.amdhsa_group_segment_fixed_size 0
		.amdhsa_private_segment_fixed_size 0
		.amdhsa_kernarg_size 56
		.amdhsa_user_sgpr_count 6
		.amdhsa_user_sgpr_private_segment_buffer 1
		.amdhsa_user_sgpr_dispatch_ptr 0
		.amdhsa_user_sgpr_queue_ptr 0
		.amdhsa_user_sgpr_kernarg_segment_ptr 1
		.amdhsa_user_sgpr_dispatch_id 0
		.amdhsa_user_sgpr_flat_scratch_init 0
		.amdhsa_user_sgpr_kernarg_preload_length 0
		.amdhsa_user_sgpr_kernarg_preload_offset 0
		.amdhsa_user_sgpr_private_segment_size 0
		.amdhsa_uses_dynamic_stack 0
		.amdhsa_system_sgpr_private_segment_wavefront_offset 0
		.amdhsa_system_sgpr_workgroup_id_x 1
		.amdhsa_system_sgpr_workgroup_id_y 0
		.amdhsa_system_sgpr_workgroup_id_z 0
		.amdhsa_system_sgpr_workgroup_info 0
		.amdhsa_system_vgpr_workitem_id 0
		.amdhsa_next_free_vgpr 1
		.amdhsa_next_free_sgpr 0
		.amdhsa_accum_offset 4
		.amdhsa_reserve_vcc 0
		.amdhsa_reserve_flat_scratch 0
		.amdhsa_float_round_mode_32 0
		.amdhsa_float_round_mode_16_64 0
		.amdhsa_float_denorm_mode_32 3
		.amdhsa_float_denorm_mode_16_64 3
		.amdhsa_dx10_clamp 1
		.amdhsa_ieee_mode 1
		.amdhsa_fp16_overflow 0
		.amdhsa_tg_split 0
		.amdhsa_exception_fp_ieee_invalid_op 0
		.amdhsa_exception_fp_denorm_src 0
		.amdhsa_exception_fp_ieee_div_zero 0
		.amdhsa_exception_fp_ieee_overflow 0
		.amdhsa_exception_fp_ieee_underflow 0
		.amdhsa_exception_fp_ieee_inexact 0
		.amdhsa_exception_int_div_zero 0
	.end_amdhsa_kernel
	.section	.text._ZN7rocprim17ROCPRIM_400000_NS6detail17trampoline_kernelINS0_14default_configENS1_38merge_sort_block_merge_config_selectorIhNS0_10empty_typeEEEZZNS1_27merge_sort_block_merge_implIS3_N6thrust23THRUST_200600_302600_NS6detail15normal_iteratorINS9_10device_ptrIhEEEEPS5_m14custom_greaterIhEEE10hipError_tT0_T1_T2_jT3_P12ihipStream_tbPNSt15iterator_traitsISJ_E10value_typeEPNSP_ISK_E10value_typeEPSL_NS1_7vsmem_tEENKUlT_SJ_SK_SL_E_clISE_PhSF_SF_EESI_SY_SJ_SK_SL_EUlSY_E1_NS1_11comp_targetILNS1_3genE0ELNS1_11target_archE4294967295ELNS1_3gpuE0ELNS1_3repE0EEENS1_36merge_oddeven_config_static_selectorELNS0_4arch9wavefront6targetE1EEEvSK_,"axG",@progbits,_ZN7rocprim17ROCPRIM_400000_NS6detail17trampoline_kernelINS0_14default_configENS1_38merge_sort_block_merge_config_selectorIhNS0_10empty_typeEEEZZNS1_27merge_sort_block_merge_implIS3_N6thrust23THRUST_200600_302600_NS6detail15normal_iteratorINS9_10device_ptrIhEEEEPS5_m14custom_greaterIhEEE10hipError_tT0_T1_T2_jT3_P12ihipStream_tbPNSt15iterator_traitsISJ_E10value_typeEPNSP_ISK_E10value_typeEPSL_NS1_7vsmem_tEENKUlT_SJ_SK_SL_E_clISE_PhSF_SF_EESI_SY_SJ_SK_SL_EUlSY_E1_NS1_11comp_targetILNS1_3genE0ELNS1_11target_archE4294967295ELNS1_3gpuE0ELNS1_3repE0EEENS1_36merge_oddeven_config_static_selectorELNS0_4arch9wavefront6targetE1EEEvSK_,comdat
.Lfunc_end2901:
	.size	_ZN7rocprim17ROCPRIM_400000_NS6detail17trampoline_kernelINS0_14default_configENS1_38merge_sort_block_merge_config_selectorIhNS0_10empty_typeEEEZZNS1_27merge_sort_block_merge_implIS3_N6thrust23THRUST_200600_302600_NS6detail15normal_iteratorINS9_10device_ptrIhEEEEPS5_m14custom_greaterIhEEE10hipError_tT0_T1_T2_jT3_P12ihipStream_tbPNSt15iterator_traitsISJ_E10value_typeEPNSP_ISK_E10value_typeEPSL_NS1_7vsmem_tEENKUlT_SJ_SK_SL_E_clISE_PhSF_SF_EESI_SY_SJ_SK_SL_EUlSY_E1_NS1_11comp_targetILNS1_3genE0ELNS1_11target_archE4294967295ELNS1_3gpuE0ELNS1_3repE0EEENS1_36merge_oddeven_config_static_selectorELNS0_4arch9wavefront6targetE1EEEvSK_, .Lfunc_end2901-_ZN7rocprim17ROCPRIM_400000_NS6detail17trampoline_kernelINS0_14default_configENS1_38merge_sort_block_merge_config_selectorIhNS0_10empty_typeEEEZZNS1_27merge_sort_block_merge_implIS3_N6thrust23THRUST_200600_302600_NS6detail15normal_iteratorINS9_10device_ptrIhEEEEPS5_m14custom_greaterIhEEE10hipError_tT0_T1_T2_jT3_P12ihipStream_tbPNSt15iterator_traitsISJ_E10value_typeEPNSP_ISK_E10value_typeEPSL_NS1_7vsmem_tEENKUlT_SJ_SK_SL_E_clISE_PhSF_SF_EESI_SY_SJ_SK_SL_EUlSY_E1_NS1_11comp_targetILNS1_3genE0ELNS1_11target_archE4294967295ELNS1_3gpuE0ELNS1_3repE0EEENS1_36merge_oddeven_config_static_selectorELNS0_4arch9wavefront6targetE1EEEvSK_
                                        ; -- End function
	.section	.AMDGPU.csdata,"",@progbits
; Kernel info:
; codeLenInByte = 0
; NumSgprs: 4
; NumVgprs: 0
; NumAgprs: 0
; TotalNumVgprs: 0
; ScratchSize: 0
; MemoryBound: 0
; FloatMode: 240
; IeeeMode: 1
; LDSByteSize: 0 bytes/workgroup (compile time only)
; SGPRBlocks: 0
; VGPRBlocks: 0
; NumSGPRsForWavesPerEU: 4
; NumVGPRsForWavesPerEU: 1
; AccumOffset: 4
; Occupancy: 8
; WaveLimiterHint : 0
; COMPUTE_PGM_RSRC2:SCRATCH_EN: 0
; COMPUTE_PGM_RSRC2:USER_SGPR: 6
; COMPUTE_PGM_RSRC2:TRAP_HANDLER: 0
; COMPUTE_PGM_RSRC2:TGID_X_EN: 1
; COMPUTE_PGM_RSRC2:TGID_Y_EN: 0
; COMPUTE_PGM_RSRC2:TGID_Z_EN: 0
; COMPUTE_PGM_RSRC2:TIDIG_COMP_CNT: 0
; COMPUTE_PGM_RSRC3_GFX90A:ACCUM_OFFSET: 0
; COMPUTE_PGM_RSRC3_GFX90A:TG_SPLIT: 0
	.section	.text._ZN7rocprim17ROCPRIM_400000_NS6detail17trampoline_kernelINS0_14default_configENS1_38merge_sort_block_merge_config_selectorIhNS0_10empty_typeEEEZZNS1_27merge_sort_block_merge_implIS3_N6thrust23THRUST_200600_302600_NS6detail15normal_iteratorINS9_10device_ptrIhEEEEPS5_m14custom_greaterIhEEE10hipError_tT0_T1_T2_jT3_P12ihipStream_tbPNSt15iterator_traitsISJ_E10value_typeEPNSP_ISK_E10value_typeEPSL_NS1_7vsmem_tEENKUlT_SJ_SK_SL_E_clISE_PhSF_SF_EESI_SY_SJ_SK_SL_EUlSY_E1_NS1_11comp_targetILNS1_3genE10ELNS1_11target_archE1201ELNS1_3gpuE5ELNS1_3repE0EEENS1_36merge_oddeven_config_static_selectorELNS0_4arch9wavefront6targetE1EEEvSK_,"axG",@progbits,_ZN7rocprim17ROCPRIM_400000_NS6detail17trampoline_kernelINS0_14default_configENS1_38merge_sort_block_merge_config_selectorIhNS0_10empty_typeEEEZZNS1_27merge_sort_block_merge_implIS3_N6thrust23THRUST_200600_302600_NS6detail15normal_iteratorINS9_10device_ptrIhEEEEPS5_m14custom_greaterIhEEE10hipError_tT0_T1_T2_jT3_P12ihipStream_tbPNSt15iterator_traitsISJ_E10value_typeEPNSP_ISK_E10value_typeEPSL_NS1_7vsmem_tEENKUlT_SJ_SK_SL_E_clISE_PhSF_SF_EESI_SY_SJ_SK_SL_EUlSY_E1_NS1_11comp_targetILNS1_3genE10ELNS1_11target_archE1201ELNS1_3gpuE5ELNS1_3repE0EEENS1_36merge_oddeven_config_static_selectorELNS0_4arch9wavefront6targetE1EEEvSK_,comdat
	.protected	_ZN7rocprim17ROCPRIM_400000_NS6detail17trampoline_kernelINS0_14default_configENS1_38merge_sort_block_merge_config_selectorIhNS0_10empty_typeEEEZZNS1_27merge_sort_block_merge_implIS3_N6thrust23THRUST_200600_302600_NS6detail15normal_iteratorINS9_10device_ptrIhEEEEPS5_m14custom_greaterIhEEE10hipError_tT0_T1_T2_jT3_P12ihipStream_tbPNSt15iterator_traitsISJ_E10value_typeEPNSP_ISK_E10value_typeEPSL_NS1_7vsmem_tEENKUlT_SJ_SK_SL_E_clISE_PhSF_SF_EESI_SY_SJ_SK_SL_EUlSY_E1_NS1_11comp_targetILNS1_3genE10ELNS1_11target_archE1201ELNS1_3gpuE5ELNS1_3repE0EEENS1_36merge_oddeven_config_static_selectorELNS0_4arch9wavefront6targetE1EEEvSK_ ; -- Begin function _ZN7rocprim17ROCPRIM_400000_NS6detail17trampoline_kernelINS0_14default_configENS1_38merge_sort_block_merge_config_selectorIhNS0_10empty_typeEEEZZNS1_27merge_sort_block_merge_implIS3_N6thrust23THRUST_200600_302600_NS6detail15normal_iteratorINS9_10device_ptrIhEEEEPS5_m14custom_greaterIhEEE10hipError_tT0_T1_T2_jT3_P12ihipStream_tbPNSt15iterator_traitsISJ_E10value_typeEPNSP_ISK_E10value_typeEPSL_NS1_7vsmem_tEENKUlT_SJ_SK_SL_E_clISE_PhSF_SF_EESI_SY_SJ_SK_SL_EUlSY_E1_NS1_11comp_targetILNS1_3genE10ELNS1_11target_archE1201ELNS1_3gpuE5ELNS1_3repE0EEENS1_36merge_oddeven_config_static_selectorELNS0_4arch9wavefront6targetE1EEEvSK_
	.globl	_ZN7rocprim17ROCPRIM_400000_NS6detail17trampoline_kernelINS0_14default_configENS1_38merge_sort_block_merge_config_selectorIhNS0_10empty_typeEEEZZNS1_27merge_sort_block_merge_implIS3_N6thrust23THRUST_200600_302600_NS6detail15normal_iteratorINS9_10device_ptrIhEEEEPS5_m14custom_greaterIhEEE10hipError_tT0_T1_T2_jT3_P12ihipStream_tbPNSt15iterator_traitsISJ_E10value_typeEPNSP_ISK_E10value_typeEPSL_NS1_7vsmem_tEENKUlT_SJ_SK_SL_E_clISE_PhSF_SF_EESI_SY_SJ_SK_SL_EUlSY_E1_NS1_11comp_targetILNS1_3genE10ELNS1_11target_archE1201ELNS1_3gpuE5ELNS1_3repE0EEENS1_36merge_oddeven_config_static_selectorELNS0_4arch9wavefront6targetE1EEEvSK_
	.p2align	8
	.type	_ZN7rocprim17ROCPRIM_400000_NS6detail17trampoline_kernelINS0_14default_configENS1_38merge_sort_block_merge_config_selectorIhNS0_10empty_typeEEEZZNS1_27merge_sort_block_merge_implIS3_N6thrust23THRUST_200600_302600_NS6detail15normal_iteratorINS9_10device_ptrIhEEEEPS5_m14custom_greaterIhEEE10hipError_tT0_T1_T2_jT3_P12ihipStream_tbPNSt15iterator_traitsISJ_E10value_typeEPNSP_ISK_E10value_typeEPSL_NS1_7vsmem_tEENKUlT_SJ_SK_SL_E_clISE_PhSF_SF_EESI_SY_SJ_SK_SL_EUlSY_E1_NS1_11comp_targetILNS1_3genE10ELNS1_11target_archE1201ELNS1_3gpuE5ELNS1_3repE0EEENS1_36merge_oddeven_config_static_selectorELNS0_4arch9wavefront6targetE1EEEvSK_,@function
_ZN7rocprim17ROCPRIM_400000_NS6detail17trampoline_kernelINS0_14default_configENS1_38merge_sort_block_merge_config_selectorIhNS0_10empty_typeEEEZZNS1_27merge_sort_block_merge_implIS3_N6thrust23THRUST_200600_302600_NS6detail15normal_iteratorINS9_10device_ptrIhEEEEPS5_m14custom_greaterIhEEE10hipError_tT0_T1_T2_jT3_P12ihipStream_tbPNSt15iterator_traitsISJ_E10value_typeEPNSP_ISK_E10value_typeEPSL_NS1_7vsmem_tEENKUlT_SJ_SK_SL_E_clISE_PhSF_SF_EESI_SY_SJ_SK_SL_EUlSY_E1_NS1_11comp_targetILNS1_3genE10ELNS1_11target_archE1201ELNS1_3gpuE5ELNS1_3repE0EEENS1_36merge_oddeven_config_static_selectorELNS0_4arch9wavefront6targetE1EEEvSK_: ; @_ZN7rocprim17ROCPRIM_400000_NS6detail17trampoline_kernelINS0_14default_configENS1_38merge_sort_block_merge_config_selectorIhNS0_10empty_typeEEEZZNS1_27merge_sort_block_merge_implIS3_N6thrust23THRUST_200600_302600_NS6detail15normal_iteratorINS9_10device_ptrIhEEEEPS5_m14custom_greaterIhEEE10hipError_tT0_T1_T2_jT3_P12ihipStream_tbPNSt15iterator_traitsISJ_E10value_typeEPNSP_ISK_E10value_typeEPSL_NS1_7vsmem_tEENKUlT_SJ_SK_SL_E_clISE_PhSF_SF_EESI_SY_SJ_SK_SL_EUlSY_E1_NS1_11comp_targetILNS1_3genE10ELNS1_11target_archE1201ELNS1_3gpuE5ELNS1_3repE0EEENS1_36merge_oddeven_config_static_selectorELNS0_4arch9wavefront6targetE1EEEvSK_
; %bb.0:
	.section	.rodata,"a",@progbits
	.p2align	6, 0x0
	.amdhsa_kernel _ZN7rocprim17ROCPRIM_400000_NS6detail17trampoline_kernelINS0_14default_configENS1_38merge_sort_block_merge_config_selectorIhNS0_10empty_typeEEEZZNS1_27merge_sort_block_merge_implIS3_N6thrust23THRUST_200600_302600_NS6detail15normal_iteratorINS9_10device_ptrIhEEEEPS5_m14custom_greaterIhEEE10hipError_tT0_T1_T2_jT3_P12ihipStream_tbPNSt15iterator_traitsISJ_E10value_typeEPNSP_ISK_E10value_typeEPSL_NS1_7vsmem_tEENKUlT_SJ_SK_SL_E_clISE_PhSF_SF_EESI_SY_SJ_SK_SL_EUlSY_E1_NS1_11comp_targetILNS1_3genE10ELNS1_11target_archE1201ELNS1_3gpuE5ELNS1_3repE0EEENS1_36merge_oddeven_config_static_selectorELNS0_4arch9wavefront6targetE1EEEvSK_
		.amdhsa_group_segment_fixed_size 0
		.amdhsa_private_segment_fixed_size 0
		.amdhsa_kernarg_size 56
		.amdhsa_user_sgpr_count 6
		.amdhsa_user_sgpr_private_segment_buffer 1
		.amdhsa_user_sgpr_dispatch_ptr 0
		.amdhsa_user_sgpr_queue_ptr 0
		.amdhsa_user_sgpr_kernarg_segment_ptr 1
		.amdhsa_user_sgpr_dispatch_id 0
		.amdhsa_user_sgpr_flat_scratch_init 0
		.amdhsa_user_sgpr_kernarg_preload_length 0
		.amdhsa_user_sgpr_kernarg_preload_offset 0
		.amdhsa_user_sgpr_private_segment_size 0
		.amdhsa_uses_dynamic_stack 0
		.amdhsa_system_sgpr_private_segment_wavefront_offset 0
		.amdhsa_system_sgpr_workgroup_id_x 1
		.amdhsa_system_sgpr_workgroup_id_y 0
		.amdhsa_system_sgpr_workgroup_id_z 0
		.amdhsa_system_sgpr_workgroup_info 0
		.amdhsa_system_vgpr_workitem_id 0
		.amdhsa_next_free_vgpr 1
		.amdhsa_next_free_sgpr 0
		.amdhsa_accum_offset 4
		.amdhsa_reserve_vcc 0
		.amdhsa_reserve_flat_scratch 0
		.amdhsa_float_round_mode_32 0
		.amdhsa_float_round_mode_16_64 0
		.amdhsa_float_denorm_mode_32 3
		.amdhsa_float_denorm_mode_16_64 3
		.amdhsa_dx10_clamp 1
		.amdhsa_ieee_mode 1
		.amdhsa_fp16_overflow 0
		.amdhsa_tg_split 0
		.amdhsa_exception_fp_ieee_invalid_op 0
		.amdhsa_exception_fp_denorm_src 0
		.amdhsa_exception_fp_ieee_div_zero 0
		.amdhsa_exception_fp_ieee_overflow 0
		.amdhsa_exception_fp_ieee_underflow 0
		.amdhsa_exception_fp_ieee_inexact 0
		.amdhsa_exception_int_div_zero 0
	.end_amdhsa_kernel
	.section	.text._ZN7rocprim17ROCPRIM_400000_NS6detail17trampoline_kernelINS0_14default_configENS1_38merge_sort_block_merge_config_selectorIhNS0_10empty_typeEEEZZNS1_27merge_sort_block_merge_implIS3_N6thrust23THRUST_200600_302600_NS6detail15normal_iteratorINS9_10device_ptrIhEEEEPS5_m14custom_greaterIhEEE10hipError_tT0_T1_T2_jT3_P12ihipStream_tbPNSt15iterator_traitsISJ_E10value_typeEPNSP_ISK_E10value_typeEPSL_NS1_7vsmem_tEENKUlT_SJ_SK_SL_E_clISE_PhSF_SF_EESI_SY_SJ_SK_SL_EUlSY_E1_NS1_11comp_targetILNS1_3genE10ELNS1_11target_archE1201ELNS1_3gpuE5ELNS1_3repE0EEENS1_36merge_oddeven_config_static_selectorELNS0_4arch9wavefront6targetE1EEEvSK_,"axG",@progbits,_ZN7rocprim17ROCPRIM_400000_NS6detail17trampoline_kernelINS0_14default_configENS1_38merge_sort_block_merge_config_selectorIhNS0_10empty_typeEEEZZNS1_27merge_sort_block_merge_implIS3_N6thrust23THRUST_200600_302600_NS6detail15normal_iteratorINS9_10device_ptrIhEEEEPS5_m14custom_greaterIhEEE10hipError_tT0_T1_T2_jT3_P12ihipStream_tbPNSt15iterator_traitsISJ_E10value_typeEPNSP_ISK_E10value_typeEPSL_NS1_7vsmem_tEENKUlT_SJ_SK_SL_E_clISE_PhSF_SF_EESI_SY_SJ_SK_SL_EUlSY_E1_NS1_11comp_targetILNS1_3genE10ELNS1_11target_archE1201ELNS1_3gpuE5ELNS1_3repE0EEENS1_36merge_oddeven_config_static_selectorELNS0_4arch9wavefront6targetE1EEEvSK_,comdat
.Lfunc_end2902:
	.size	_ZN7rocprim17ROCPRIM_400000_NS6detail17trampoline_kernelINS0_14default_configENS1_38merge_sort_block_merge_config_selectorIhNS0_10empty_typeEEEZZNS1_27merge_sort_block_merge_implIS3_N6thrust23THRUST_200600_302600_NS6detail15normal_iteratorINS9_10device_ptrIhEEEEPS5_m14custom_greaterIhEEE10hipError_tT0_T1_T2_jT3_P12ihipStream_tbPNSt15iterator_traitsISJ_E10value_typeEPNSP_ISK_E10value_typeEPSL_NS1_7vsmem_tEENKUlT_SJ_SK_SL_E_clISE_PhSF_SF_EESI_SY_SJ_SK_SL_EUlSY_E1_NS1_11comp_targetILNS1_3genE10ELNS1_11target_archE1201ELNS1_3gpuE5ELNS1_3repE0EEENS1_36merge_oddeven_config_static_selectorELNS0_4arch9wavefront6targetE1EEEvSK_, .Lfunc_end2902-_ZN7rocprim17ROCPRIM_400000_NS6detail17trampoline_kernelINS0_14default_configENS1_38merge_sort_block_merge_config_selectorIhNS0_10empty_typeEEEZZNS1_27merge_sort_block_merge_implIS3_N6thrust23THRUST_200600_302600_NS6detail15normal_iteratorINS9_10device_ptrIhEEEEPS5_m14custom_greaterIhEEE10hipError_tT0_T1_T2_jT3_P12ihipStream_tbPNSt15iterator_traitsISJ_E10value_typeEPNSP_ISK_E10value_typeEPSL_NS1_7vsmem_tEENKUlT_SJ_SK_SL_E_clISE_PhSF_SF_EESI_SY_SJ_SK_SL_EUlSY_E1_NS1_11comp_targetILNS1_3genE10ELNS1_11target_archE1201ELNS1_3gpuE5ELNS1_3repE0EEENS1_36merge_oddeven_config_static_selectorELNS0_4arch9wavefront6targetE1EEEvSK_
                                        ; -- End function
	.section	.AMDGPU.csdata,"",@progbits
; Kernel info:
; codeLenInByte = 0
; NumSgprs: 4
; NumVgprs: 0
; NumAgprs: 0
; TotalNumVgprs: 0
; ScratchSize: 0
; MemoryBound: 0
; FloatMode: 240
; IeeeMode: 1
; LDSByteSize: 0 bytes/workgroup (compile time only)
; SGPRBlocks: 0
; VGPRBlocks: 0
; NumSGPRsForWavesPerEU: 4
; NumVGPRsForWavesPerEU: 1
; AccumOffset: 4
; Occupancy: 8
; WaveLimiterHint : 0
; COMPUTE_PGM_RSRC2:SCRATCH_EN: 0
; COMPUTE_PGM_RSRC2:USER_SGPR: 6
; COMPUTE_PGM_RSRC2:TRAP_HANDLER: 0
; COMPUTE_PGM_RSRC2:TGID_X_EN: 1
; COMPUTE_PGM_RSRC2:TGID_Y_EN: 0
; COMPUTE_PGM_RSRC2:TGID_Z_EN: 0
; COMPUTE_PGM_RSRC2:TIDIG_COMP_CNT: 0
; COMPUTE_PGM_RSRC3_GFX90A:ACCUM_OFFSET: 0
; COMPUTE_PGM_RSRC3_GFX90A:TG_SPLIT: 0
	.section	.text._ZN7rocprim17ROCPRIM_400000_NS6detail17trampoline_kernelINS0_14default_configENS1_38merge_sort_block_merge_config_selectorIhNS0_10empty_typeEEEZZNS1_27merge_sort_block_merge_implIS3_N6thrust23THRUST_200600_302600_NS6detail15normal_iteratorINS9_10device_ptrIhEEEEPS5_m14custom_greaterIhEEE10hipError_tT0_T1_T2_jT3_P12ihipStream_tbPNSt15iterator_traitsISJ_E10value_typeEPNSP_ISK_E10value_typeEPSL_NS1_7vsmem_tEENKUlT_SJ_SK_SL_E_clISE_PhSF_SF_EESI_SY_SJ_SK_SL_EUlSY_E1_NS1_11comp_targetILNS1_3genE5ELNS1_11target_archE942ELNS1_3gpuE9ELNS1_3repE0EEENS1_36merge_oddeven_config_static_selectorELNS0_4arch9wavefront6targetE1EEEvSK_,"axG",@progbits,_ZN7rocprim17ROCPRIM_400000_NS6detail17trampoline_kernelINS0_14default_configENS1_38merge_sort_block_merge_config_selectorIhNS0_10empty_typeEEEZZNS1_27merge_sort_block_merge_implIS3_N6thrust23THRUST_200600_302600_NS6detail15normal_iteratorINS9_10device_ptrIhEEEEPS5_m14custom_greaterIhEEE10hipError_tT0_T1_T2_jT3_P12ihipStream_tbPNSt15iterator_traitsISJ_E10value_typeEPNSP_ISK_E10value_typeEPSL_NS1_7vsmem_tEENKUlT_SJ_SK_SL_E_clISE_PhSF_SF_EESI_SY_SJ_SK_SL_EUlSY_E1_NS1_11comp_targetILNS1_3genE5ELNS1_11target_archE942ELNS1_3gpuE9ELNS1_3repE0EEENS1_36merge_oddeven_config_static_selectorELNS0_4arch9wavefront6targetE1EEEvSK_,comdat
	.protected	_ZN7rocprim17ROCPRIM_400000_NS6detail17trampoline_kernelINS0_14default_configENS1_38merge_sort_block_merge_config_selectorIhNS0_10empty_typeEEEZZNS1_27merge_sort_block_merge_implIS3_N6thrust23THRUST_200600_302600_NS6detail15normal_iteratorINS9_10device_ptrIhEEEEPS5_m14custom_greaterIhEEE10hipError_tT0_T1_T2_jT3_P12ihipStream_tbPNSt15iterator_traitsISJ_E10value_typeEPNSP_ISK_E10value_typeEPSL_NS1_7vsmem_tEENKUlT_SJ_SK_SL_E_clISE_PhSF_SF_EESI_SY_SJ_SK_SL_EUlSY_E1_NS1_11comp_targetILNS1_3genE5ELNS1_11target_archE942ELNS1_3gpuE9ELNS1_3repE0EEENS1_36merge_oddeven_config_static_selectorELNS0_4arch9wavefront6targetE1EEEvSK_ ; -- Begin function _ZN7rocprim17ROCPRIM_400000_NS6detail17trampoline_kernelINS0_14default_configENS1_38merge_sort_block_merge_config_selectorIhNS0_10empty_typeEEEZZNS1_27merge_sort_block_merge_implIS3_N6thrust23THRUST_200600_302600_NS6detail15normal_iteratorINS9_10device_ptrIhEEEEPS5_m14custom_greaterIhEEE10hipError_tT0_T1_T2_jT3_P12ihipStream_tbPNSt15iterator_traitsISJ_E10value_typeEPNSP_ISK_E10value_typeEPSL_NS1_7vsmem_tEENKUlT_SJ_SK_SL_E_clISE_PhSF_SF_EESI_SY_SJ_SK_SL_EUlSY_E1_NS1_11comp_targetILNS1_3genE5ELNS1_11target_archE942ELNS1_3gpuE9ELNS1_3repE0EEENS1_36merge_oddeven_config_static_selectorELNS0_4arch9wavefront6targetE1EEEvSK_
	.globl	_ZN7rocprim17ROCPRIM_400000_NS6detail17trampoline_kernelINS0_14default_configENS1_38merge_sort_block_merge_config_selectorIhNS0_10empty_typeEEEZZNS1_27merge_sort_block_merge_implIS3_N6thrust23THRUST_200600_302600_NS6detail15normal_iteratorINS9_10device_ptrIhEEEEPS5_m14custom_greaterIhEEE10hipError_tT0_T1_T2_jT3_P12ihipStream_tbPNSt15iterator_traitsISJ_E10value_typeEPNSP_ISK_E10value_typeEPSL_NS1_7vsmem_tEENKUlT_SJ_SK_SL_E_clISE_PhSF_SF_EESI_SY_SJ_SK_SL_EUlSY_E1_NS1_11comp_targetILNS1_3genE5ELNS1_11target_archE942ELNS1_3gpuE9ELNS1_3repE0EEENS1_36merge_oddeven_config_static_selectorELNS0_4arch9wavefront6targetE1EEEvSK_
	.p2align	8
	.type	_ZN7rocprim17ROCPRIM_400000_NS6detail17trampoline_kernelINS0_14default_configENS1_38merge_sort_block_merge_config_selectorIhNS0_10empty_typeEEEZZNS1_27merge_sort_block_merge_implIS3_N6thrust23THRUST_200600_302600_NS6detail15normal_iteratorINS9_10device_ptrIhEEEEPS5_m14custom_greaterIhEEE10hipError_tT0_T1_T2_jT3_P12ihipStream_tbPNSt15iterator_traitsISJ_E10value_typeEPNSP_ISK_E10value_typeEPSL_NS1_7vsmem_tEENKUlT_SJ_SK_SL_E_clISE_PhSF_SF_EESI_SY_SJ_SK_SL_EUlSY_E1_NS1_11comp_targetILNS1_3genE5ELNS1_11target_archE942ELNS1_3gpuE9ELNS1_3repE0EEENS1_36merge_oddeven_config_static_selectorELNS0_4arch9wavefront6targetE1EEEvSK_,@function
_ZN7rocprim17ROCPRIM_400000_NS6detail17trampoline_kernelINS0_14default_configENS1_38merge_sort_block_merge_config_selectorIhNS0_10empty_typeEEEZZNS1_27merge_sort_block_merge_implIS3_N6thrust23THRUST_200600_302600_NS6detail15normal_iteratorINS9_10device_ptrIhEEEEPS5_m14custom_greaterIhEEE10hipError_tT0_T1_T2_jT3_P12ihipStream_tbPNSt15iterator_traitsISJ_E10value_typeEPNSP_ISK_E10value_typeEPSL_NS1_7vsmem_tEENKUlT_SJ_SK_SL_E_clISE_PhSF_SF_EESI_SY_SJ_SK_SL_EUlSY_E1_NS1_11comp_targetILNS1_3genE5ELNS1_11target_archE942ELNS1_3gpuE9ELNS1_3repE0EEENS1_36merge_oddeven_config_static_selectorELNS0_4arch9wavefront6targetE1EEEvSK_: ; @_ZN7rocprim17ROCPRIM_400000_NS6detail17trampoline_kernelINS0_14default_configENS1_38merge_sort_block_merge_config_selectorIhNS0_10empty_typeEEEZZNS1_27merge_sort_block_merge_implIS3_N6thrust23THRUST_200600_302600_NS6detail15normal_iteratorINS9_10device_ptrIhEEEEPS5_m14custom_greaterIhEEE10hipError_tT0_T1_T2_jT3_P12ihipStream_tbPNSt15iterator_traitsISJ_E10value_typeEPNSP_ISK_E10value_typeEPSL_NS1_7vsmem_tEENKUlT_SJ_SK_SL_E_clISE_PhSF_SF_EESI_SY_SJ_SK_SL_EUlSY_E1_NS1_11comp_targetILNS1_3genE5ELNS1_11target_archE942ELNS1_3gpuE9ELNS1_3repE0EEENS1_36merge_oddeven_config_static_selectorELNS0_4arch9wavefront6targetE1EEEvSK_
; %bb.0:
	.section	.rodata,"a",@progbits
	.p2align	6, 0x0
	.amdhsa_kernel _ZN7rocprim17ROCPRIM_400000_NS6detail17trampoline_kernelINS0_14default_configENS1_38merge_sort_block_merge_config_selectorIhNS0_10empty_typeEEEZZNS1_27merge_sort_block_merge_implIS3_N6thrust23THRUST_200600_302600_NS6detail15normal_iteratorINS9_10device_ptrIhEEEEPS5_m14custom_greaterIhEEE10hipError_tT0_T1_T2_jT3_P12ihipStream_tbPNSt15iterator_traitsISJ_E10value_typeEPNSP_ISK_E10value_typeEPSL_NS1_7vsmem_tEENKUlT_SJ_SK_SL_E_clISE_PhSF_SF_EESI_SY_SJ_SK_SL_EUlSY_E1_NS1_11comp_targetILNS1_3genE5ELNS1_11target_archE942ELNS1_3gpuE9ELNS1_3repE0EEENS1_36merge_oddeven_config_static_selectorELNS0_4arch9wavefront6targetE1EEEvSK_
		.amdhsa_group_segment_fixed_size 0
		.amdhsa_private_segment_fixed_size 0
		.amdhsa_kernarg_size 56
		.amdhsa_user_sgpr_count 6
		.amdhsa_user_sgpr_private_segment_buffer 1
		.amdhsa_user_sgpr_dispatch_ptr 0
		.amdhsa_user_sgpr_queue_ptr 0
		.amdhsa_user_sgpr_kernarg_segment_ptr 1
		.amdhsa_user_sgpr_dispatch_id 0
		.amdhsa_user_sgpr_flat_scratch_init 0
		.amdhsa_user_sgpr_kernarg_preload_length 0
		.amdhsa_user_sgpr_kernarg_preload_offset 0
		.amdhsa_user_sgpr_private_segment_size 0
		.amdhsa_uses_dynamic_stack 0
		.amdhsa_system_sgpr_private_segment_wavefront_offset 0
		.amdhsa_system_sgpr_workgroup_id_x 1
		.amdhsa_system_sgpr_workgroup_id_y 0
		.amdhsa_system_sgpr_workgroup_id_z 0
		.amdhsa_system_sgpr_workgroup_info 0
		.amdhsa_system_vgpr_workitem_id 0
		.amdhsa_next_free_vgpr 1
		.amdhsa_next_free_sgpr 0
		.amdhsa_accum_offset 4
		.amdhsa_reserve_vcc 0
		.amdhsa_reserve_flat_scratch 0
		.amdhsa_float_round_mode_32 0
		.amdhsa_float_round_mode_16_64 0
		.amdhsa_float_denorm_mode_32 3
		.amdhsa_float_denorm_mode_16_64 3
		.amdhsa_dx10_clamp 1
		.amdhsa_ieee_mode 1
		.amdhsa_fp16_overflow 0
		.amdhsa_tg_split 0
		.amdhsa_exception_fp_ieee_invalid_op 0
		.amdhsa_exception_fp_denorm_src 0
		.amdhsa_exception_fp_ieee_div_zero 0
		.amdhsa_exception_fp_ieee_overflow 0
		.amdhsa_exception_fp_ieee_underflow 0
		.amdhsa_exception_fp_ieee_inexact 0
		.amdhsa_exception_int_div_zero 0
	.end_amdhsa_kernel
	.section	.text._ZN7rocprim17ROCPRIM_400000_NS6detail17trampoline_kernelINS0_14default_configENS1_38merge_sort_block_merge_config_selectorIhNS0_10empty_typeEEEZZNS1_27merge_sort_block_merge_implIS3_N6thrust23THRUST_200600_302600_NS6detail15normal_iteratorINS9_10device_ptrIhEEEEPS5_m14custom_greaterIhEEE10hipError_tT0_T1_T2_jT3_P12ihipStream_tbPNSt15iterator_traitsISJ_E10value_typeEPNSP_ISK_E10value_typeEPSL_NS1_7vsmem_tEENKUlT_SJ_SK_SL_E_clISE_PhSF_SF_EESI_SY_SJ_SK_SL_EUlSY_E1_NS1_11comp_targetILNS1_3genE5ELNS1_11target_archE942ELNS1_3gpuE9ELNS1_3repE0EEENS1_36merge_oddeven_config_static_selectorELNS0_4arch9wavefront6targetE1EEEvSK_,"axG",@progbits,_ZN7rocprim17ROCPRIM_400000_NS6detail17trampoline_kernelINS0_14default_configENS1_38merge_sort_block_merge_config_selectorIhNS0_10empty_typeEEEZZNS1_27merge_sort_block_merge_implIS3_N6thrust23THRUST_200600_302600_NS6detail15normal_iteratorINS9_10device_ptrIhEEEEPS5_m14custom_greaterIhEEE10hipError_tT0_T1_T2_jT3_P12ihipStream_tbPNSt15iterator_traitsISJ_E10value_typeEPNSP_ISK_E10value_typeEPSL_NS1_7vsmem_tEENKUlT_SJ_SK_SL_E_clISE_PhSF_SF_EESI_SY_SJ_SK_SL_EUlSY_E1_NS1_11comp_targetILNS1_3genE5ELNS1_11target_archE942ELNS1_3gpuE9ELNS1_3repE0EEENS1_36merge_oddeven_config_static_selectorELNS0_4arch9wavefront6targetE1EEEvSK_,comdat
.Lfunc_end2903:
	.size	_ZN7rocprim17ROCPRIM_400000_NS6detail17trampoline_kernelINS0_14default_configENS1_38merge_sort_block_merge_config_selectorIhNS0_10empty_typeEEEZZNS1_27merge_sort_block_merge_implIS3_N6thrust23THRUST_200600_302600_NS6detail15normal_iteratorINS9_10device_ptrIhEEEEPS5_m14custom_greaterIhEEE10hipError_tT0_T1_T2_jT3_P12ihipStream_tbPNSt15iterator_traitsISJ_E10value_typeEPNSP_ISK_E10value_typeEPSL_NS1_7vsmem_tEENKUlT_SJ_SK_SL_E_clISE_PhSF_SF_EESI_SY_SJ_SK_SL_EUlSY_E1_NS1_11comp_targetILNS1_3genE5ELNS1_11target_archE942ELNS1_3gpuE9ELNS1_3repE0EEENS1_36merge_oddeven_config_static_selectorELNS0_4arch9wavefront6targetE1EEEvSK_, .Lfunc_end2903-_ZN7rocprim17ROCPRIM_400000_NS6detail17trampoline_kernelINS0_14default_configENS1_38merge_sort_block_merge_config_selectorIhNS0_10empty_typeEEEZZNS1_27merge_sort_block_merge_implIS3_N6thrust23THRUST_200600_302600_NS6detail15normal_iteratorINS9_10device_ptrIhEEEEPS5_m14custom_greaterIhEEE10hipError_tT0_T1_T2_jT3_P12ihipStream_tbPNSt15iterator_traitsISJ_E10value_typeEPNSP_ISK_E10value_typeEPSL_NS1_7vsmem_tEENKUlT_SJ_SK_SL_E_clISE_PhSF_SF_EESI_SY_SJ_SK_SL_EUlSY_E1_NS1_11comp_targetILNS1_3genE5ELNS1_11target_archE942ELNS1_3gpuE9ELNS1_3repE0EEENS1_36merge_oddeven_config_static_selectorELNS0_4arch9wavefront6targetE1EEEvSK_
                                        ; -- End function
	.section	.AMDGPU.csdata,"",@progbits
; Kernel info:
; codeLenInByte = 0
; NumSgprs: 4
; NumVgprs: 0
; NumAgprs: 0
; TotalNumVgprs: 0
; ScratchSize: 0
; MemoryBound: 0
; FloatMode: 240
; IeeeMode: 1
; LDSByteSize: 0 bytes/workgroup (compile time only)
; SGPRBlocks: 0
; VGPRBlocks: 0
; NumSGPRsForWavesPerEU: 4
; NumVGPRsForWavesPerEU: 1
; AccumOffset: 4
; Occupancy: 8
; WaveLimiterHint : 0
; COMPUTE_PGM_RSRC2:SCRATCH_EN: 0
; COMPUTE_PGM_RSRC2:USER_SGPR: 6
; COMPUTE_PGM_RSRC2:TRAP_HANDLER: 0
; COMPUTE_PGM_RSRC2:TGID_X_EN: 1
; COMPUTE_PGM_RSRC2:TGID_Y_EN: 0
; COMPUTE_PGM_RSRC2:TGID_Z_EN: 0
; COMPUTE_PGM_RSRC2:TIDIG_COMP_CNT: 0
; COMPUTE_PGM_RSRC3_GFX90A:ACCUM_OFFSET: 0
; COMPUTE_PGM_RSRC3_GFX90A:TG_SPLIT: 0
	.section	.text._ZN7rocprim17ROCPRIM_400000_NS6detail17trampoline_kernelINS0_14default_configENS1_38merge_sort_block_merge_config_selectorIhNS0_10empty_typeEEEZZNS1_27merge_sort_block_merge_implIS3_N6thrust23THRUST_200600_302600_NS6detail15normal_iteratorINS9_10device_ptrIhEEEEPS5_m14custom_greaterIhEEE10hipError_tT0_T1_T2_jT3_P12ihipStream_tbPNSt15iterator_traitsISJ_E10value_typeEPNSP_ISK_E10value_typeEPSL_NS1_7vsmem_tEENKUlT_SJ_SK_SL_E_clISE_PhSF_SF_EESI_SY_SJ_SK_SL_EUlSY_E1_NS1_11comp_targetILNS1_3genE4ELNS1_11target_archE910ELNS1_3gpuE8ELNS1_3repE0EEENS1_36merge_oddeven_config_static_selectorELNS0_4arch9wavefront6targetE1EEEvSK_,"axG",@progbits,_ZN7rocprim17ROCPRIM_400000_NS6detail17trampoline_kernelINS0_14default_configENS1_38merge_sort_block_merge_config_selectorIhNS0_10empty_typeEEEZZNS1_27merge_sort_block_merge_implIS3_N6thrust23THRUST_200600_302600_NS6detail15normal_iteratorINS9_10device_ptrIhEEEEPS5_m14custom_greaterIhEEE10hipError_tT0_T1_T2_jT3_P12ihipStream_tbPNSt15iterator_traitsISJ_E10value_typeEPNSP_ISK_E10value_typeEPSL_NS1_7vsmem_tEENKUlT_SJ_SK_SL_E_clISE_PhSF_SF_EESI_SY_SJ_SK_SL_EUlSY_E1_NS1_11comp_targetILNS1_3genE4ELNS1_11target_archE910ELNS1_3gpuE8ELNS1_3repE0EEENS1_36merge_oddeven_config_static_selectorELNS0_4arch9wavefront6targetE1EEEvSK_,comdat
	.protected	_ZN7rocprim17ROCPRIM_400000_NS6detail17trampoline_kernelINS0_14default_configENS1_38merge_sort_block_merge_config_selectorIhNS0_10empty_typeEEEZZNS1_27merge_sort_block_merge_implIS3_N6thrust23THRUST_200600_302600_NS6detail15normal_iteratorINS9_10device_ptrIhEEEEPS5_m14custom_greaterIhEEE10hipError_tT0_T1_T2_jT3_P12ihipStream_tbPNSt15iterator_traitsISJ_E10value_typeEPNSP_ISK_E10value_typeEPSL_NS1_7vsmem_tEENKUlT_SJ_SK_SL_E_clISE_PhSF_SF_EESI_SY_SJ_SK_SL_EUlSY_E1_NS1_11comp_targetILNS1_3genE4ELNS1_11target_archE910ELNS1_3gpuE8ELNS1_3repE0EEENS1_36merge_oddeven_config_static_selectorELNS0_4arch9wavefront6targetE1EEEvSK_ ; -- Begin function _ZN7rocprim17ROCPRIM_400000_NS6detail17trampoline_kernelINS0_14default_configENS1_38merge_sort_block_merge_config_selectorIhNS0_10empty_typeEEEZZNS1_27merge_sort_block_merge_implIS3_N6thrust23THRUST_200600_302600_NS6detail15normal_iteratorINS9_10device_ptrIhEEEEPS5_m14custom_greaterIhEEE10hipError_tT0_T1_T2_jT3_P12ihipStream_tbPNSt15iterator_traitsISJ_E10value_typeEPNSP_ISK_E10value_typeEPSL_NS1_7vsmem_tEENKUlT_SJ_SK_SL_E_clISE_PhSF_SF_EESI_SY_SJ_SK_SL_EUlSY_E1_NS1_11comp_targetILNS1_3genE4ELNS1_11target_archE910ELNS1_3gpuE8ELNS1_3repE0EEENS1_36merge_oddeven_config_static_selectorELNS0_4arch9wavefront6targetE1EEEvSK_
	.globl	_ZN7rocprim17ROCPRIM_400000_NS6detail17trampoline_kernelINS0_14default_configENS1_38merge_sort_block_merge_config_selectorIhNS0_10empty_typeEEEZZNS1_27merge_sort_block_merge_implIS3_N6thrust23THRUST_200600_302600_NS6detail15normal_iteratorINS9_10device_ptrIhEEEEPS5_m14custom_greaterIhEEE10hipError_tT0_T1_T2_jT3_P12ihipStream_tbPNSt15iterator_traitsISJ_E10value_typeEPNSP_ISK_E10value_typeEPSL_NS1_7vsmem_tEENKUlT_SJ_SK_SL_E_clISE_PhSF_SF_EESI_SY_SJ_SK_SL_EUlSY_E1_NS1_11comp_targetILNS1_3genE4ELNS1_11target_archE910ELNS1_3gpuE8ELNS1_3repE0EEENS1_36merge_oddeven_config_static_selectorELNS0_4arch9wavefront6targetE1EEEvSK_
	.p2align	8
	.type	_ZN7rocprim17ROCPRIM_400000_NS6detail17trampoline_kernelINS0_14default_configENS1_38merge_sort_block_merge_config_selectorIhNS0_10empty_typeEEEZZNS1_27merge_sort_block_merge_implIS3_N6thrust23THRUST_200600_302600_NS6detail15normal_iteratorINS9_10device_ptrIhEEEEPS5_m14custom_greaterIhEEE10hipError_tT0_T1_T2_jT3_P12ihipStream_tbPNSt15iterator_traitsISJ_E10value_typeEPNSP_ISK_E10value_typeEPSL_NS1_7vsmem_tEENKUlT_SJ_SK_SL_E_clISE_PhSF_SF_EESI_SY_SJ_SK_SL_EUlSY_E1_NS1_11comp_targetILNS1_3genE4ELNS1_11target_archE910ELNS1_3gpuE8ELNS1_3repE0EEENS1_36merge_oddeven_config_static_selectorELNS0_4arch9wavefront6targetE1EEEvSK_,@function
_ZN7rocprim17ROCPRIM_400000_NS6detail17trampoline_kernelINS0_14default_configENS1_38merge_sort_block_merge_config_selectorIhNS0_10empty_typeEEEZZNS1_27merge_sort_block_merge_implIS3_N6thrust23THRUST_200600_302600_NS6detail15normal_iteratorINS9_10device_ptrIhEEEEPS5_m14custom_greaterIhEEE10hipError_tT0_T1_T2_jT3_P12ihipStream_tbPNSt15iterator_traitsISJ_E10value_typeEPNSP_ISK_E10value_typeEPSL_NS1_7vsmem_tEENKUlT_SJ_SK_SL_E_clISE_PhSF_SF_EESI_SY_SJ_SK_SL_EUlSY_E1_NS1_11comp_targetILNS1_3genE4ELNS1_11target_archE910ELNS1_3gpuE8ELNS1_3repE0EEENS1_36merge_oddeven_config_static_selectorELNS0_4arch9wavefront6targetE1EEEvSK_: ; @_ZN7rocprim17ROCPRIM_400000_NS6detail17trampoline_kernelINS0_14default_configENS1_38merge_sort_block_merge_config_selectorIhNS0_10empty_typeEEEZZNS1_27merge_sort_block_merge_implIS3_N6thrust23THRUST_200600_302600_NS6detail15normal_iteratorINS9_10device_ptrIhEEEEPS5_m14custom_greaterIhEEE10hipError_tT0_T1_T2_jT3_P12ihipStream_tbPNSt15iterator_traitsISJ_E10value_typeEPNSP_ISK_E10value_typeEPSL_NS1_7vsmem_tEENKUlT_SJ_SK_SL_E_clISE_PhSF_SF_EESI_SY_SJ_SK_SL_EUlSY_E1_NS1_11comp_targetILNS1_3genE4ELNS1_11target_archE910ELNS1_3gpuE8ELNS1_3repE0EEENS1_36merge_oddeven_config_static_selectorELNS0_4arch9wavefront6targetE1EEEvSK_
; %bb.0:
	s_load_dword s17, s[4:5], 0x20
	s_waitcnt lgkmcnt(0)
	s_lshr_b32 s0, s17, 8
	s_cmp_lg_u32 s6, s0
	s_cselect_b64 s[14:15], -1, 0
	s_cmp_eq_u32 s6, s0
	s_cselect_b64 s[12:13], -1, 0
	s_lshl_b32 s7, s6, 8
	s_sub_i32 s0, s17, s7
	v_cmp_gt_u32_e64 s[2:3], s0, v0
	s_or_b64 s[0:1], s[14:15], s[2:3]
	s_and_saveexec_b64 s[8:9], s[0:1]
	s_cbranch_execz .LBB2904_20
; %bb.1:
	s_load_dwordx4 s[8:11], s[4:5], 0x0
	s_load_dword s18, s[4:5], 0x28
	v_add_u32_e32 v2, s7, v0
	s_waitcnt lgkmcnt(0)
	s_add_u32 s0, s8, s7
	s_addc_u32 s1, s9, 0
	global_load_ubyte v1, v0, s[0:1]
	s_lshr_b32 s0, s18, 8
	s_sub_i32 s1, 0, s0
	s_and_b32 s1, s6, s1
	s_and_b32 s0, s1, s0
	s_lshl_b32 s19, s1, 8
	s_sub_i32 s6, 0, s18
	s_cmp_eq_u32 s0, 0
	s_cselect_b64 s[0:1], -1, 0
	s_and_b64 s[4:5], s[0:1], exec
	s_cselect_b32 s16, s18, s6
	s_add_i32 s16, s16, s19
	s_cmp_lt_u32 s16, s17
	s_cbranch_scc1 .LBB2904_3
; %bb.2:
	v_cmp_gt_u32_e32 vcc, s17, v2
	s_or_b64 s[4:5], vcc, s[14:15]
	s_and_b64 s[4:5], s[4:5], exec
	s_cbranch_execz .LBB2904_4
	s_branch .LBB2904_18
.LBB2904_3:
	s_mov_b64 s[4:5], 0
.LBB2904_4:
	s_min_u32 s14, s16, s17
	s_add_i32 s6, s14, s18
	s_min_u32 s15, s6, s17
	s_min_u32 s6, s19, s14
	s_add_i32 s19, s19, s14
	v_subrev_u32_e32 v0, s19, v2
	v_add_u32_e32 v0, s6, v0
	s_and_b64 vcc, exec, s[12:13]
	s_cbranch_vccz .LBB2904_12
; %bb.5:
                                        ; implicit-def: $vgpr2
	s_and_saveexec_b64 s[6:7], s[2:3]
	s_cbranch_execz .LBB2904_11
; %bb.6:
	s_cmp_ge_u32 s16, s15
	v_mov_b32_e32 v2, s14
	s_cbranch_scc1 .LBB2904_10
; %bb.7:
	s_mov_b64 s[2:3], 0
	v_mov_b32_e32 v3, s15
	v_mov_b32_e32 v2, s14
.LBB2904_8:                             ; =>This Inner Loop Header: Depth=1
	v_add_u32_e32 v4, v2, v3
	v_lshrrev_b32_e32 v4, 1, v4
	global_load_ubyte v5, v4, s[8:9]
	v_add_u32_e32 v6, 1, v4
	s_waitcnt vmcnt(0)
	v_cmp_gt_u16_sdwa s[12:13], v1, v5 src0_sel:BYTE_0 src1_sel:DWORD
	v_cndmask_b32_e64 v7, 0, 1, s[12:13]
	v_cmp_le_u16_sdwa s[12:13], v5, v1 src0_sel:DWORD src1_sel:BYTE_0
	v_cndmask_b32_e64 v5, 0, 1, s[12:13]
	v_cndmask_b32_e64 v5, v5, v7, s[0:1]
	v_and_b32_e32 v5, 1, v5
	v_cmp_eq_u32_e32 vcc, 1, v5
	v_cndmask_b32_e32 v3, v4, v3, vcc
	v_cndmask_b32_e32 v2, v2, v6, vcc
	v_cmp_ge_u32_e32 vcc, v2, v3
	s_or_b64 s[2:3], vcc, s[2:3]
	s_andn2_b64 exec, exec, s[2:3]
	s_cbranch_execnz .LBB2904_8
; %bb.9:
	s_or_b64 exec, exec, s[2:3]
.LBB2904_10:
	v_add_u32_e32 v2, v2, v0
	s_or_b64 s[4:5], s[4:5], exec
.LBB2904_11:
	s_or_b64 exec, exec, s[6:7]
	s_branch .LBB2904_18
.LBB2904_12:
                                        ; implicit-def: $vgpr2
	s_cbranch_execz .LBB2904_18
; %bb.13:
	s_cmp_ge_u32 s16, s15
	v_mov_b32_e32 v2, s14
	s_cbranch_scc1 .LBB2904_17
; %bb.14:
	s_mov_b64 s[2:3], 0
	v_mov_b32_e32 v3, s15
	v_mov_b32_e32 v2, s14
.LBB2904_15:                            ; =>This Inner Loop Header: Depth=1
	v_add_u32_e32 v4, v2, v3
	v_lshrrev_b32_e32 v4, 1, v4
	global_load_ubyte v5, v4, s[8:9]
	v_add_u32_e32 v6, 1, v4
	s_waitcnt vmcnt(0)
	v_cmp_gt_u16_sdwa s[4:5], v1, v5 src0_sel:BYTE_0 src1_sel:DWORD
	v_cndmask_b32_e64 v7, 0, 1, s[4:5]
	v_cmp_le_u16_sdwa s[4:5], v5, v1 src0_sel:DWORD src1_sel:BYTE_0
	v_cndmask_b32_e64 v5, 0, 1, s[4:5]
	v_cndmask_b32_e64 v5, v5, v7, s[0:1]
	v_and_b32_e32 v5, 1, v5
	v_cmp_eq_u32_e32 vcc, 1, v5
	v_cndmask_b32_e32 v3, v4, v3, vcc
	v_cndmask_b32_e32 v2, v2, v6, vcc
	v_cmp_ge_u32_e32 vcc, v2, v3
	s_or_b64 s[2:3], vcc, s[2:3]
	s_andn2_b64 exec, exec, s[2:3]
	s_cbranch_execnz .LBB2904_15
; %bb.16:
	s_or_b64 exec, exec, s[2:3]
.LBB2904_17:
	v_add_u32_e32 v2, v2, v0
	s_mov_b64 s[4:5], -1
.LBB2904_18:
	s_and_b64 exec, exec, s[4:5]
	s_cbranch_execz .LBB2904_20
; %bb.19:
	s_waitcnt vmcnt(0)
	global_store_byte v2, v1, s[10:11]
.LBB2904_20:
	s_endpgm
	.section	.rodata,"a",@progbits
	.p2align	6, 0x0
	.amdhsa_kernel _ZN7rocprim17ROCPRIM_400000_NS6detail17trampoline_kernelINS0_14default_configENS1_38merge_sort_block_merge_config_selectorIhNS0_10empty_typeEEEZZNS1_27merge_sort_block_merge_implIS3_N6thrust23THRUST_200600_302600_NS6detail15normal_iteratorINS9_10device_ptrIhEEEEPS5_m14custom_greaterIhEEE10hipError_tT0_T1_T2_jT3_P12ihipStream_tbPNSt15iterator_traitsISJ_E10value_typeEPNSP_ISK_E10value_typeEPSL_NS1_7vsmem_tEENKUlT_SJ_SK_SL_E_clISE_PhSF_SF_EESI_SY_SJ_SK_SL_EUlSY_E1_NS1_11comp_targetILNS1_3genE4ELNS1_11target_archE910ELNS1_3gpuE8ELNS1_3repE0EEENS1_36merge_oddeven_config_static_selectorELNS0_4arch9wavefront6targetE1EEEvSK_
		.amdhsa_group_segment_fixed_size 0
		.amdhsa_private_segment_fixed_size 0
		.amdhsa_kernarg_size 56
		.amdhsa_user_sgpr_count 6
		.amdhsa_user_sgpr_private_segment_buffer 1
		.amdhsa_user_sgpr_dispatch_ptr 0
		.amdhsa_user_sgpr_queue_ptr 0
		.amdhsa_user_sgpr_kernarg_segment_ptr 1
		.amdhsa_user_sgpr_dispatch_id 0
		.amdhsa_user_sgpr_flat_scratch_init 0
		.amdhsa_user_sgpr_kernarg_preload_length 0
		.amdhsa_user_sgpr_kernarg_preload_offset 0
		.amdhsa_user_sgpr_private_segment_size 0
		.amdhsa_uses_dynamic_stack 0
		.amdhsa_system_sgpr_private_segment_wavefront_offset 0
		.amdhsa_system_sgpr_workgroup_id_x 1
		.amdhsa_system_sgpr_workgroup_id_y 0
		.amdhsa_system_sgpr_workgroup_id_z 0
		.amdhsa_system_sgpr_workgroup_info 0
		.amdhsa_system_vgpr_workitem_id 0
		.amdhsa_next_free_vgpr 8
		.amdhsa_next_free_sgpr 20
		.amdhsa_accum_offset 8
		.amdhsa_reserve_vcc 1
		.amdhsa_reserve_flat_scratch 0
		.amdhsa_float_round_mode_32 0
		.amdhsa_float_round_mode_16_64 0
		.amdhsa_float_denorm_mode_32 3
		.amdhsa_float_denorm_mode_16_64 3
		.amdhsa_dx10_clamp 1
		.amdhsa_ieee_mode 1
		.amdhsa_fp16_overflow 0
		.amdhsa_tg_split 0
		.amdhsa_exception_fp_ieee_invalid_op 0
		.amdhsa_exception_fp_denorm_src 0
		.amdhsa_exception_fp_ieee_div_zero 0
		.amdhsa_exception_fp_ieee_overflow 0
		.amdhsa_exception_fp_ieee_underflow 0
		.amdhsa_exception_fp_ieee_inexact 0
		.amdhsa_exception_int_div_zero 0
	.end_amdhsa_kernel
	.section	.text._ZN7rocprim17ROCPRIM_400000_NS6detail17trampoline_kernelINS0_14default_configENS1_38merge_sort_block_merge_config_selectorIhNS0_10empty_typeEEEZZNS1_27merge_sort_block_merge_implIS3_N6thrust23THRUST_200600_302600_NS6detail15normal_iteratorINS9_10device_ptrIhEEEEPS5_m14custom_greaterIhEEE10hipError_tT0_T1_T2_jT3_P12ihipStream_tbPNSt15iterator_traitsISJ_E10value_typeEPNSP_ISK_E10value_typeEPSL_NS1_7vsmem_tEENKUlT_SJ_SK_SL_E_clISE_PhSF_SF_EESI_SY_SJ_SK_SL_EUlSY_E1_NS1_11comp_targetILNS1_3genE4ELNS1_11target_archE910ELNS1_3gpuE8ELNS1_3repE0EEENS1_36merge_oddeven_config_static_selectorELNS0_4arch9wavefront6targetE1EEEvSK_,"axG",@progbits,_ZN7rocprim17ROCPRIM_400000_NS6detail17trampoline_kernelINS0_14default_configENS1_38merge_sort_block_merge_config_selectorIhNS0_10empty_typeEEEZZNS1_27merge_sort_block_merge_implIS3_N6thrust23THRUST_200600_302600_NS6detail15normal_iteratorINS9_10device_ptrIhEEEEPS5_m14custom_greaterIhEEE10hipError_tT0_T1_T2_jT3_P12ihipStream_tbPNSt15iterator_traitsISJ_E10value_typeEPNSP_ISK_E10value_typeEPSL_NS1_7vsmem_tEENKUlT_SJ_SK_SL_E_clISE_PhSF_SF_EESI_SY_SJ_SK_SL_EUlSY_E1_NS1_11comp_targetILNS1_3genE4ELNS1_11target_archE910ELNS1_3gpuE8ELNS1_3repE0EEENS1_36merge_oddeven_config_static_selectorELNS0_4arch9wavefront6targetE1EEEvSK_,comdat
.Lfunc_end2904:
	.size	_ZN7rocprim17ROCPRIM_400000_NS6detail17trampoline_kernelINS0_14default_configENS1_38merge_sort_block_merge_config_selectorIhNS0_10empty_typeEEEZZNS1_27merge_sort_block_merge_implIS3_N6thrust23THRUST_200600_302600_NS6detail15normal_iteratorINS9_10device_ptrIhEEEEPS5_m14custom_greaterIhEEE10hipError_tT0_T1_T2_jT3_P12ihipStream_tbPNSt15iterator_traitsISJ_E10value_typeEPNSP_ISK_E10value_typeEPSL_NS1_7vsmem_tEENKUlT_SJ_SK_SL_E_clISE_PhSF_SF_EESI_SY_SJ_SK_SL_EUlSY_E1_NS1_11comp_targetILNS1_3genE4ELNS1_11target_archE910ELNS1_3gpuE8ELNS1_3repE0EEENS1_36merge_oddeven_config_static_selectorELNS0_4arch9wavefront6targetE1EEEvSK_, .Lfunc_end2904-_ZN7rocprim17ROCPRIM_400000_NS6detail17trampoline_kernelINS0_14default_configENS1_38merge_sort_block_merge_config_selectorIhNS0_10empty_typeEEEZZNS1_27merge_sort_block_merge_implIS3_N6thrust23THRUST_200600_302600_NS6detail15normal_iteratorINS9_10device_ptrIhEEEEPS5_m14custom_greaterIhEEE10hipError_tT0_T1_T2_jT3_P12ihipStream_tbPNSt15iterator_traitsISJ_E10value_typeEPNSP_ISK_E10value_typeEPSL_NS1_7vsmem_tEENKUlT_SJ_SK_SL_E_clISE_PhSF_SF_EESI_SY_SJ_SK_SL_EUlSY_E1_NS1_11comp_targetILNS1_3genE4ELNS1_11target_archE910ELNS1_3gpuE8ELNS1_3repE0EEENS1_36merge_oddeven_config_static_selectorELNS0_4arch9wavefront6targetE1EEEvSK_
                                        ; -- End function
	.section	.AMDGPU.csdata,"",@progbits
; Kernel info:
; codeLenInByte = 520
; NumSgprs: 24
; NumVgprs: 8
; NumAgprs: 0
; TotalNumVgprs: 8
; ScratchSize: 0
; MemoryBound: 0
; FloatMode: 240
; IeeeMode: 1
; LDSByteSize: 0 bytes/workgroup (compile time only)
; SGPRBlocks: 2
; VGPRBlocks: 0
; NumSGPRsForWavesPerEU: 24
; NumVGPRsForWavesPerEU: 8
; AccumOffset: 8
; Occupancy: 8
; WaveLimiterHint : 0
; COMPUTE_PGM_RSRC2:SCRATCH_EN: 0
; COMPUTE_PGM_RSRC2:USER_SGPR: 6
; COMPUTE_PGM_RSRC2:TRAP_HANDLER: 0
; COMPUTE_PGM_RSRC2:TGID_X_EN: 1
; COMPUTE_PGM_RSRC2:TGID_Y_EN: 0
; COMPUTE_PGM_RSRC2:TGID_Z_EN: 0
; COMPUTE_PGM_RSRC2:TIDIG_COMP_CNT: 0
; COMPUTE_PGM_RSRC3_GFX90A:ACCUM_OFFSET: 1
; COMPUTE_PGM_RSRC3_GFX90A:TG_SPLIT: 0
	.section	.text._ZN7rocprim17ROCPRIM_400000_NS6detail17trampoline_kernelINS0_14default_configENS1_38merge_sort_block_merge_config_selectorIhNS0_10empty_typeEEEZZNS1_27merge_sort_block_merge_implIS3_N6thrust23THRUST_200600_302600_NS6detail15normal_iteratorINS9_10device_ptrIhEEEEPS5_m14custom_greaterIhEEE10hipError_tT0_T1_T2_jT3_P12ihipStream_tbPNSt15iterator_traitsISJ_E10value_typeEPNSP_ISK_E10value_typeEPSL_NS1_7vsmem_tEENKUlT_SJ_SK_SL_E_clISE_PhSF_SF_EESI_SY_SJ_SK_SL_EUlSY_E1_NS1_11comp_targetILNS1_3genE3ELNS1_11target_archE908ELNS1_3gpuE7ELNS1_3repE0EEENS1_36merge_oddeven_config_static_selectorELNS0_4arch9wavefront6targetE1EEEvSK_,"axG",@progbits,_ZN7rocprim17ROCPRIM_400000_NS6detail17trampoline_kernelINS0_14default_configENS1_38merge_sort_block_merge_config_selectorIhNS0_10empty_typeEEEZZNS1_27merge_sort_block_merge_implIS3_N6thrust23THRUST_200600_302600_NS6detail15normal_iteratorINS9_10device_ptrIhEEEEPS5_m14custom_greaterIhEEE10hipError_tT0_T1_T2_jT3_P12ihipStream_tbPNSt15iterator_traitsISJ_E10value_typeEPNSP_ISK_E10value_typeEPSL_NS1_7vsmem_tEENKUlT_SJ_SK_SL_E_clISE_PhSF_SF_EESI_SY_SJ_SK_SL_EUlSY_E1_NS1_11comp_targetILNS1_3genE3ELNS1_11target_archE908ELNS1_3gpuE7ELNS1_3repE0EEENS1_36merge_oddeven_config_static_selectorELNS0_4arch9wavefront6targetE1EEEvSK_,comdat
	.protected	_ZN7rocprim17ROCPRIM_400000_NS6detail17trampoline_kernelINS0_14default_configENS1_38merge_sort_block_merge_config_selectorIhNS0_10empty_typeEEEZZNS1_27merge_sort_block_merge_implIS3_N6thrust23THRUST_200600_302600_NS6detail15normal_iteratorINS9_10device_ptrIhEEEEPS5_m14custom_greaterIhEEE10hipError_tT0_T1_T2_jT3_P12ihipStream_tbPNSt15iterator_traitsISJ_E10value_typeEPNSP_ISK_E10value_typeEPSL_NS1_7vsmem_tEENKUlT_SJ_SK_SL_E_clISE_PhSF_SF_EESI_SY_SJ_SK_SL_EUlSY_E1_NS1_11comp_targetILNS1_3genE3ELNS1_11target_archE908ELNS1_3gpuE7ELNS1_3repE0EEENS1_36merge_oddeven_config_static_selectorELNS0_4arch9wavefront6targetE1EEEvSK_ ; -- Begin function _ZN7rocprim17ROCPRIM_400000_NS6detail17trampoline_kernelINS0_14default_configENS1_38merge_sort_block_merge_config_selectorIhNS0_10empty_typeEEEZZNS1_27merge_sort_block_merge_implIS3_N6thrust23THRUST_200600_302600_NS6detail15normal_iteratorINS9_10device_ptrIhEEEEPS5_m14custom_greaterIhEEE10hipError_tT0_T1_T2_jT3_P12ihipStream_tbPNSt15iterator_traitsISJ_E10value_typeEPNSP_ISK_E10value_typeEPSL_NS1_7vsmem_tEENKUlT_SJ_SK_SL_E_clISE_PhSF_SF_EESI_SY_SJ_SK_SL_EUlSY_E1_NS1_11comp_targetILNS1_3genE3ELNS1_11target_archE908ELNS1_3gpuE7ELNS1_3repE0EEENS1_36merge_oddeven_config_static_selectorELNS0_4arch9wavefront6targetE1EEEvSK_
	.globl	_ZN7rocprim17ROCPRIM_400000_NS6detail17trampoline_kernelINS0_14default_configENS1_38merge_sort_block_merge_config_selectorIhNS0_10empty_typeEEEZZNS1_27merge_sort_block_merge_implIS3_N6thrust23THRUST_200600_302600_NS6detail15normal_iteratorINS9_10device_ptrIhEEEEPS5_m14custom_greaterIhEEE10hipError_tT0_T1_T2_jT3_P12ihipStream_tbPNSt15iterator_traitsISJ_E10value_typeEPNSP_ISK_E10value_typeEPSL_NS1_7vsmem_tEENKUlT_SJ_SK_SL_E_clISE_PhSF_SF_EESI_SY_SJ_SK_SL_EUlSY_E1_NS1_11comp_targetILNS1_3genE3ELNS1_11target_archE908ELNS1_3gpuE7ELNS1_3repE0EEENS1_36merge_oddeven_config_static_selectorELNS0_4arch9wavefront6targetE1EEEvSK_
	.p2align	8
	.type	_ZN7rocprim17ROCPRIM_400000_NS6detail17trampoline_kernelINS0_14default_configENS1_38merge_sort_block_merge_config_selectorIhNS0_10empty_typeEEEZZNS1_27merge_sort_block_merge_implIS3_N6thrust23THRUST_200600_302600_NS6detail15normal_iteratorINS9_10device_ptrIhEEEEPS5_m14custom_greaterIhEEE10hipError_tT0_T1_T2_jT3_P12ihipStream_tbPNSt15iterator_traitsISJ_E10value_typeEPNSP_ISK_E10value_typeEPSL_NS1_7vsmem_tEENKUlT_SJ_SK_SL_E_clISE_PhSF_SF_EESI_SY_SJ_SK_SL_EUlSY_E1_NS1_11comp_targetILNS1_3genE3ELNS1_11target_archE908ELNS1_3gpuE7ELNS1_3repE0EEENS1_36merge_oddeven_config_static_selectorELNS0_4arch9wavefront6targetE1EEEvSK_,@function
_ZN7rocprim17ROCPRIM_400000_NS6detail17trampoline_kernelINS0_14default_configENS1_38merge_sort_block_merge_config_selectorIhNS0_10empty_typeEEEZZNS1_27merge_sort_block_merge_implIS3_N6thrust23THRUST_200600_302600_NS6detail15normal_iteratorINS9_10device_ptrIhEEEEPS5_m14custom_greaterIhEEE10hipError_tT0_T1_T2_jT3_P12ihipStream_tbPNSt15iterator_traitsISJ_E10value_typeEPNSP_ISK_E10value_typeEPSL_NS1_7vsmem_tEENKUlT_SJ_SK_SL_E_clISE_PhSF_SF_EESI_SY_SJ_SK_SL_EUlSY_E1_NS1_11comp_targetILNS1_3genE3ELNS1_11target_archE908ELNS1_3gpuE7ELNS1_3repE0EEENS1_36merge_oddeven_config_static_selectorELNS0_4arch9wavefront6targetE1EEEvSK_: ; @_ZN7rocprim17ROCPRIM_400000_NS6detail17trampoline_kernelINS0_14default_configENS1_38merge_sort_block_merge_config_selectorIhNS0_10empty_typeEEEZZNS1_27merge_sort_block_merge_implIS3_N6thrust23THRUST_200600_302600_NS6detail15normal_iteratorINS9_10device_ptrIhEEEEPS5_m14custom_greaterIhEEE10hipError_tT0_T1_T2_jT3_P12ihipStream_tbPNSt15iterator_traitsISJ_E10value_typeEPNSP_ISK_E10value_typeEPSL_NS1_7vsmem_tEENKUlT_SJ_SK_SL_E_clISE_PhSF_SF_EESI_SY_SJ_SK_SL_EUlSY_E1_NS1_11comp_targetILNS1_3genE3ELNS1_11target_archE908ELNS1_3gpuE7ELNS1_3repE0EEENS1_36merge_oddeven_config_static_selectorELNS0_4arch9wavefront6targetE1EEEvSK_
; %bb.0:
	.section	.rodata,"a",@progbits
	.p2align	6, 0x0
	.amdhsa_kernel _ZN7rocprim17ROCPRIM_400000_NS6detail17trampoline_kernelINS0_14default_configENS1_38merge_sort_block_merge_config_selectorIhNS0_10empty_typeEEEZZNS1_27merge_sort_block_merge_implIS3_N6thrust23THRUST_200600_302600_NS6detail15normal_iteratorINS9_10device_ptrIhEEEEPS5_m14custom_greaterIhEEE10hipError_tT0_T1_T2_jT3_P12ihipStream_tbPNSt15iterator_traitsISJ_E10value_typeEPNSP_ISK_E10value_typeEPSL_NS1_7vsmem_tEENKUlT_SJ_SK_SL_E_clISE_PhSF_SF_EESI_SY_SJ_SK_SL_EUlSY_E1_NS1_11comp_targetILNS1_3genE3ELNS1_11target_archE908ELNS1_3gpuE7ELNS1_3repE0EEENS1_36merge_oddeven_config_static_selectorELNS0_4arch9wavefront6targetE1EEEvSK_
		.amdhsa_group_segment_fixed_size 0
		.amdhsa_private_segment_fixed_size 0
		.amdhsa_kernarg_size 56
		.amdhsa_user_sgpr_count 6
		.amdhsa_user_sgpr_private_segment_buffer 1
		.amdhsa_user_sgpr_dispatch_ptr 0
		.amdhsa_user_sgpr_queue_ptr 0
		.amdhsa_user_sgpr_kernarg_segment_ptr 1
		.amdhsa_user_sgpr_dispatch_id 0
		.amdhsa_user_sgpr_flat_scratch_init 0
		.amdhsa_user_sgpr_kernarg_preload_length 0
		.amdhsa_user_sgpr_kernarg_preload_offset 0
		.amdhsa_user_sgpr_private_segment_size 0
		.amdhsa_uses_dynamic_stack 0
		.amdhsa_system_sgpr_private_segment_wavefront_offset 0
		.amdhsa_system_sgpr_workgroup_id_x 1
		.amdhsa_system_sgpr_workgroup_id_y 0
		.amdhsa_system_sgpr_workgroup_id_z 0
		.amdhsa_system_sgpr_workgroup_info 0
		.amdhsa_system_vgpr_workitem_id 0
		.amdhsa_next_free_vgpr 1
		.amdhsa_next_free_sgpr 0
		.amdhsa_accum_offset 4
		.amdhsa_reserve_vcc 0
		.amdhsa_reserve_flat_scratch 0
		.amdhsa_float_round_mode_32 0
		.amdhsa_float_round_mode_16_64 0
		.amdhsa_float_denorm_mode_32 3
		.amdhsa_float_denorm_mode_16_64 3
		.amdhsa_dx10_clamp 1
		.amdhsa_ieee_mode 1
		.amdhsa_fp16_overflow 0
		.amdhsa_tg_split 0
		.amdhsa_exception_fp_ieee_invalid_op 0
		.amdhsa_exception_fp_denorm_src 0
		.amdhsa_exception_fp_ieee_div_zero 0
		.amdhsa_exception_fp_ieee_overflow 0
		.amdhsa_exception_fp_ieee_underflow 0
		.amdhsa_exception_fp_ieee_inexact 0
		.amdhsa_exception_int_div_zero 0
	.end_amdhsa_kernel
	.section	.text._ZN7rocprim17ROCPRIM_400000_NS6detail17trampoline_kernelINS0_14default_configENS1_38merge_sort_block_merge_config_selectorIhNS0_10empty_typeEEEZZNS1_27merge_sort_block_merge_implIS3_N6thrust23THRUST_200600_302600_NS6detail15normal_iteratorINS9_10device_ptrIhEEEEPS5_m14custom_greaterIhEEE10hipError_tT0_T1_T2_jT3_P12ihipStream_tbPNSt15iterator_traitsISJ_E10value_typeEPNSP_ISK_E10value_typeEPSL_NS1_7vsmem_tEENKUlT_SJ_SK_SL_E_clISE_PhSF_SF_EESI_SY_SJ_SK_SL_EUlSY_E1_NS1_11comp_targetILNS1_3genE3ELNS1_11target_archE908ELNS1_3gpuE7ELNS1_3repE0EEENS1_36merge_oddeven_config_static_selectorELNS0_4arch9wavefront6targetE1EEEvSK_,"axG",@progbits,_ZN7rocprim17ROCPRIM_400000_NS6detail17trampoline_kernelINS0_14default_configENS1_38merge_sort_block_merge_config_selectorIhNS0_10empty_typeEEEZZNS1_27merge_sort_block_merge_implIS3_N6thrust23THRUST_200600_302600_NS6detail15normal_iteratorINS9_10device_ptrIhEEEEPS5_m14custom_greaterIhEEE10hipError_tT0_T1_T2_jT3_P12ihipStream_tbPNSt15iterator_traitsISJ_E10value_typeEPNSP_ISK_E10value_typeEPSL_NS1_7vsmem_tEENKUlT_SJ_SK_SL_E_clISE_PhSF_SF_EESI_SY_SJ_SK_SL_EUlSY_E1_NS1_11comp_targetILNS1_3genE3ELNS1_11target_archE908ELNS1_3gpuE7ELNS1_3repE0EEENS1_36merge_oddeven_config_static_selectorELNS0_4arch9wavefront6targetE1EEEvSK_,comdat
.Lfunc_end2905:
	.size	_ZN7rocprim17ROCPRIM_400000_NS6detail17trampoline_kernelINS0_14default_configENS1_38merge_sort_block_merge_config_selectorIhNS0_10empty_typeEEEZZNS1_27merge_sort_block_merge_implIS3_N6thrust23THRUST_200600_302600_NS6detail15normal_iteratorINS9_10device_ptrIhEEEEPS5_m14custom_greaterIhEEE10hipError_tT0_T1_T2_jT3_P12ihipStream_tbPNSt15iterator_traitsISJ_E10value_typeEPNSP_ISK_E10value_typeEPSL_NS1_7vsmem_tEENKUlT_SJ_SK_SL_E_clISE_PhSF_SF_EESI_SY_SJ_SK_SL_EUlSY_E1_NS1_11comp_targetILNS1_3genE3ELNS1_11target_archE908ELNS1_3gpuE7ELNS1_3repE0EEENS1_36merge_oddeven_config_static_selectorELNS0_4arch9wavefront6targetE1EEEvSK_, .Lfunc_end2905-_ZN7rocprim17ROCPRIM_400000_NS6detail17trampoline_kernelINS0_14default_configENS1_38merge_sort_block_merge_config_selectorIhNS0_10empty_typeEEEZZNS1_27merge_sort_block_merge_implIS3_N6thrust23THRUST_200600_302600_NS6detail15normal_iteratorINS9_10device_ptrIhEEEEPS5_m14custom_greaterIhEEE10hipError_tT0_T1_T2_jT3_P12ihipStream_tbPNSt15iterator_traitsISJ_E10value_typeEPNSP_ISK_E10value_typeEPSL_NS1_7vsmem_tEENKUlT_SJ_SK_SL_E_clISE_PhSF_SF_EESI_SY_SJ_SK_SL_EUlSY_E1_NS1_11comp_targetILNS1_3genE3ELNS1_11target_archE908ELNS1_3gpuE7ELNS1_3repE0EEENS1_36merge_oddeven_config_static_selectorELNS0_4arch9wavefront6targetE1EEEvSK_
                                        ; -- End function
	.section	.AMDGPU.csdata,"",@progbits
; Kernel info:
; codeLenInByte = 0
; NumSgprs: 4
; NumVgprs: 0
; NumAgprs: 0
; TotalNumVgprs: 0
; ScratchSize: 0
; MemoryBound: 0
; FloatMode: 240
; IeeeMode: 1
; LDSByteSize: 0 bytes/workgroup (compile time only)
; SGPRBlocks: 0
; VGPRBlocks: 0
; NumSGPRsForWavesPerEU: 4
; NumVGPRsForWavesPerEU: 1
; AccumOffset: 4
; Occupancy: 8
; WaveLimiterHint : 0
; COMPUTE_PGM_RSRC2:SCRATCH_EN: 0
; COMPUTE_PGM_RSRC2:USER_SGPR: 6
; COMPUTE_PGM_RSRC2:TRAP_HANDLER: 0
; COMPUTE_PGM_RSRC2:TGID_X_EN: 1
; COMPUTE_PGM_RSRC2:TGID_Y_EN: 0
; COMPUTE_PGM_RSRC2:TGID_Z_EN: 0
; COMPUTE_PGM_RSRC2:TIDIG_COMP_CNT: 0
; COMPUTE_PGM_RSRC3_GFX90A:ACCUM_OFFSET: 0
; COMPUTE_PGM_RSRC3_GFX90A:TG_SPLIT: 0
	.section	.text._ZN7rocprim17ROCPRIM_400000_NS6detail17trampoline_kernelINS0_14default_configENS1_38merge_sort_block_merge_config_selectorIhNS0_10empty_typeEEEZZNS1_27merge_sort_block_merge_implIS3_N6thrust23THRUST_200600_302600_NS6detail15normal_iteratorINS9_10device_ptrIhEEEEPS5_m14custom_greaterIhEEE10hipError_tT0_T1_T2_jT3_P12ihipStream_tbPNSt15iterator_traitsISJ_E10value_typeEPNSP_ISK_E10value_typeEPSL_NS1_7vsmem_tEENKUlT_SJ_SK_SL_E_clISE_PhSF_SF_EESI_SY_SJ_SK_SL_EUlSY_E1_NS1_11comp_targetILNS1_3genE2ELNS1_11target_archE906ELNS1_3gpuE6ELNS1_3repE0EEENS1_36merge_oddeven_config_static_selectorELNS0_4arch9wavefront6targetE1EEEvSK_,"axG",@progbits,_ZN7rocprim17ROCPRIM_400000_NS6detail17trampoline_kernelINS0_14default_configENS1_38merge_sort_block_merge_config_selectorIhNS0_10empty_typeEEEZZNS1_27merge_sort_block_merge_implIS3_N6thrust23THRUST_200600_302600_NS6detail15normal_iteratorINS9_10device_ptrIhEEEEPS5_m14custom_greaterIhEEE10hipError_tT0_T1_T2_jT3_P12ihipStream_tbPNSt15iterator_traitsISJ_E10value_typeEPNSP_ISK_E10value_typeEPSL_NS1_7vsmem_tEENKUlT_SJ_SK_SL_E_clISE_PhSF_SF_EESI_SY_SJ_SK_SL_EUlSY_E1_NS1_11comp_targetILNS1_3genE2ELNS1_11target_archE906ELNS1_3gpuE6ELNS1_3repE0EEENS1_36merge_oddeven_config_static_selectorELNS0_4arch9wavefront6targetE1EEEvSK_,comdat
	.protected	_ZN7rocprim17ROCPRIM_400000_NS6detail17trampoline_kernelINS0_14default_configENS1_38merge_sort_block_merge_config_selectorIhNS0_10empty_typeEEEZZNS1_27merge_sort_block_merge_implIS3_N6thrust23THRUST_200600_302600_NS6detail15normal_iteratorINS9_10device_ptrIhEEEEPS5_m14custom_greaterIhEEE10hipError_tT0_T1_T2_jT3_P12ihipStream_tbPNSt15iterator_traitsISJ_E10value_typeEPNSP_ISK_E10value_typeEPSL_NS1_7vsmem_tEENKUlT_SJ_SK_SL_E_clISE_PhSF_SF_EESI_SY_SJ_SK_SL_EUlSY_E1_NS1_11comp_targetILNS1_3genE2ELNS1_11target_archE906ELNS1_3gpuE6ELNS1_3repE0EEENS1_36merge_oddeven_config_static_selectorELNS0_4arch9wavefront6targetE1EEEvSK_ ; -- Begin function _ZN7rocprim17ROCPRIM_400000_NS6detail17trampoline_kernelINS0_14default_configENS1_38merge_sort_block_merge_config_selectorIhNS0_10empty_typeEEEZZNS1_27merge_sort_block_merge_implIS3_N6thrust23THRUST_200600_302600_NS6detail15normal_iteratorINS9_10device_ptrIhEEEEPS5_m14custom_greaterIhEEE10hipError_tT0_T1_T2_jT3_P12ihipStream_tbPNSt15iterator_traitsISJ_E10value_typeEPNSP_ISK_E10value_typeEPSL_NS1_7vsmem_tEENKUlT_SJ_SK_SL_E_clISE_PhSF_SF_EESI_SY_SJ_SK_SL_EUlSY_E1_NS1_11comp_targetILNS1_3genE2ELNS1_11target_archE906ELNS1_3gpuE6ELNS1_3repE0EEENS1_36merge_oddeven_config_static_selectorELNS0_4arch9wavefront6targetE1EEEvSK_
	.globl	_ZN7rocprim17ROCPRIM_400000_NS6detail17trampoline_kernelINS0_14default_configENS1_38merge_sort_block_merge_config_selectorIhNS0_10empty_typeEEEZZNS1_27merge_sort_block_merge_implIS3_N6thrust23THRUST_200600_302600_NS6detail15normal_iteratorINS9_10device_ptrIhEEEEPS5_m14custom_greaterIhEEE10hipError_tT0_T1_T2_jT3_P12ihipStream_tbPNSt15iterator_traitsISJ_E10value_typeEPNSP_ISK_E10value_typeEPSL_NS1_7vsmem_tEENKUlT_SJ_SK_SL_E_clISE_PhSF_SF_EESI_SY_SJ_SK_SL_EUlSY_E1_NS1_11comp_targetILNS1_3genE2ELNS1_11target_archE906ELNS1_3gpuE6ELNS1_3repE0EEENS1_36merge_oddeven_config_static_selectorELNS0_4arch9wavefront6targetE1EEEvSK_
	.p2align	8
	.type	_ZN7rocprim17ROCPRIM_400000_NS6detail17trampoline_kernelINS0_14default_configENS1_38merge_sort_block_merge_config_selectorIhNS0_10empty_typeEEEZZNS1_27merge_sort_block_merge_implIS3_N6thrust23THRUST_200600_302600_NS6detail15normal_iteratorINS9_10device_ptrIhEEEEPS5_m14custom_greaterIhEEE10hipError_tT0_T1_T2_jT3_P12ihipStream_tbPNSt15iterator_traitsISJ_E10value_typeEPNSP_ISK_E10value_typeEPSL_NS1_7vsmem_tEENKUlT_SJ_SK_SL_E_clISE_PhSF_SF_EESI_SY_SJ_SK_SL_EUlSY_E1_NS1_11comp_targetILNS1_3genE2ELNS1_11target_archE906ELNS1_3gpuE6ELNS1_3repE0EEENS1_36merge_oddeven_config_static_selectorELNS0_4arch9wavefront6targetE1EEEvSK_,@function
_ZN7rocprim17ROCPRIM_400000_NS6detail17trampoline_kernelINS0_14default_configENS1_38merge_sort_block_merge_config_selectorIhNS0_10empty_typeEEEZZNS1_27merge_sort_block_merge_implIS3_N6thrust23THRUST_200600_302600_NS6detail15normal_iteratorINS9_10device_ptrIhEEEEPS5_m14custom_greaterIhEEE10hipError_tT0_T1_T2_jT3_P12ihipStream_tbPNSt15iterator_traitsISJ_E10value_typeEPNSP_ISK_E10value_typeEPSL_NS1_7vsmem_tEENKUlT_SJ_SK_SL_E_clISE_PhSF_SF_EESI_SY_SJ_SK_SL_EUlSY_E1_NS1_11comp_targetILNS1_3genE2ELNS1_11target_archE906ELNS1_3gpuE6ELNS1_3repE0EEENS1_36merge_oddeven_config_static_selectorELNS0_4arch9wavefront6targetE1EEEvSK_: ; @_ZN7rocprim17ROCPRIM_400000_NS6detail17trampoline_kernelINS0_14default_configENS1_38merge_sort_block_merge_config_selectorIhNS0_10empty_typeEEEZZNS1_27merge_sort_block_merge_implIS3_N6thrust23THRUST_200600_302600_NS6detail15normal_iteratorINS9_10device_ptrIhEEEEPS5_m14custom_greaterIhEEE10hipError_tT0_T1_T2_jT3_P12ihipStream_tbPNSt15iterator_traitsISJ_E10value_typeEPNSP_ISK_E10value_typeEPSL_NS1_7vsmem_tEENKUlT_SJ_SK_SL_E_clISE_PhSF_SF_EESI_SY_SJ_SK_SL_EUlSY_E1_NS1_11comp_targetILNS1_3genE2ELNS1_11target_archE906ELNS1_3gpuE6ELNS1_3repE0EEENS1_36merge_oddeven_config_static_selectorELNS0_4arch9wavefront6targetE1EEEvSK_
; %bb.0:
	.section	.rodata,"a",@progbits
	.p2align	6, 0x0
	.amdhsa_kernel _ZN7rocprim17ROCPRIM_400000_NS6detail17trampoline_kernelINS0_14default_configENS1_38merge_sort_block_merge_config_selectorIhNS0_10empty_typeEEEZZNS1_27merge_sort_block_merge_implIS3_N6thrust23THRUST_200600_302600_NS6detail15normal_iteratorINS9_10device_ptrIhEEEEPS5_m14custom_greaterIhEEE10hipError_tT0_T1_T2_jT3_P12ihipStream_tbPNSt15iterator_traitsISJ_E10value_typeEPNSP_ISK_E10value_typeEPSL_NS1_7vsmem_tEENKUlT_SJ_SK_SL_E_clISE_PhSF_SF_EESI_SY_SJ_SK_SL_EUlSY_E1_NS1_11comp_targetILNS1_3genE2ELNS1_11target_archE906ELNS1_3gpuE6ELNS1_3repE0EEENS1_36merge_oddeven_config_static_selectorELNS0_4arch9wavefront6targetE1EEEvSK_
		.amdhsa_group_segment_fixed_size 0
		.amdhsa_private_segment_fixed_size 0
		.amdhsa_kernarg_size 56
		.amdhsa_user_sgpr_count 6
		.amdhsa_user_sgpr_private_segment_buffer 1
		.amdhsa_user_sgpr_dispatch_ptr 0
		.amdhsa_user_sgpr_queue_ptr 0
		.amdhsa_user_sgpr_kernarg_segment_ptr 1
		.amdhsa_user_sgpr_dispatch_id 0
		.amdhsa_user_sgpr_flat_scratch_init 0
		.amdhsa_user_sgpr_kernarg_preload_length 0
		.amdhsa_user_sgpr_kernarg_preload_offset 0
		.amdhsa_user_sgpr_private_segment_size 0
		.amdhsa_uses_dynamic_stack 0
		.amdhsa_system_sgpr_private_segment_wavefront_offset 0
		.amdhsa_system_sgpr_workgroup_id_x 1
		.amdhsa_system_sgpr_workgroup_id_y 0
		.amdhsa_system_sgpr_workgroup_id_z 0
		.amdhsa_system_sgpr_workgroup_info 0
		.amdhsa_system_vgpr_workitem_id 0
		.amdhsa_next_free_vgpr 1
		.amdhsa_next_free_sgpr 0
		.amdhsa_accum_offset 4
		.amdhsa_reserve_vcc 0
		.amdhsa_reserve_flat_scratch 0
		.amdhsa_float_round_mode_32 0
		.amdhsa_float_round_mode_16_64 0
		.amdhsa_float_denorm_mode_32 3
		.amdhsa_float_denorm_mode_16_64 3
		.amdhsa_dx10_clamp 1
		.amdhsa_ieee_mode 1
		.amdhsa_fp16_overflow 0
		.amdhsa_tg_split 0
		.amdhsa_exception_fp_ieee_invalid_op 0
		.amdhsa_exception_fp_denorm_src 0
		.amdhsa_exception_fp_ieee_div_zero 0
		.amdhsa_exception_fp_ieee_overflow 0
		.amdhsa_exception_fp_ieee_underflow 0
		.amdhsa_exception_fp_ieee_inexact 0
		.amdhsa_exception_int_div_zero 0
	.end_amdhsa_kernel
	.section	.text._ZN7rocprim17ROCPRIM_400000_NS6detail17trampoline_kernelINS0_14default_configENS1_38merge_sort_block_merge_config_selectorIhNS0_10empty_typeEEEZZNS1_27merge_sort_block_merge_implIS3_N6thrust23THRUST_200600_302600_NS6detail15normal_iteratorINS9_10device_ptrIhEEEEPS5_m14custom_greaterIhEEE10hipError_tT0_T1_T2_jT3_P12ihipStream_tbPNSt15iterator_traitsISJ_E10value_typeEPNSP_ISK_E10value_typeEPSL_NS1_7vsmem_tEENKUlT_SJ_SK_SL_E_clISE_PhSF_SF_EESI_SY_SJ_SK_SL_EUlSY_E1_NS1_11comp_targetILNS1_3genE2ELNS1_11target_archE906ELNS1_3gpuE6ELNS1_3repE0EEENS1_36merge_oddeven_config_static_selectorELNS0_4arch9wavefront6targetE1EEEvSK_,"axG",@progbits,_ZN7rocprim17ROCPRIM_400000_NS6detail17trampoline_kernelINS0_14default_configENS1_38merge_sort_block_merge_config_selectorIhNS0_10empty_typeEEEZZNS1_27merge_sort_block_merge_implIS3_N6thrust23THRUST_200600_302600_NS6detail15normal_iteratorINS9_10device_ptrIhEEEEPS5_m14custom_greaterIhEEE10hipError_tT0_T1_T2_jT3_P12ihipStream_tbPNSt15iterator_traitsISJ_E10value_typeEPNSP_ISK_E10value_typeEPSL_NS1_7vsmem_tEENKUlT_SJ_SK_SL_E_clISE_PhSF_SF_EESI_SY_SJ_SK_SL_EUlSY_E1_NS1_11comp_targetILNS1_3genE2ELNS1_11target_archE906ELNS1_3gpuE6ELNS1_3repE0EEENS1_36merge_oddeven_config_static_selectorELNS0_4arch9wavefront6targetE1EEEvSK_,comdat
.Lfunc_end2906:
	.size	_ZN7rocprim17ROCPRIM_400000_NS6detail17trampoline_kernelINS0_14default_configENS1_38merge_sort_block_merge_config_selectorIhNS0_10empty_typeEEEZZNS1_27merge_sort_block_merge_implIS3_N6thrust23THRUST_200600_302600_NS6detail15normal_iteratorINS9_10device_ptrIhEEEEPS5_m14custom_greaterIhEEE10hipError_tT0_T1_T2_jT3_P12ihipStream_tbPNSt15iterator_traitsISJ_E10value_typeEPNSP_ISK_E10value_typeEPSL_NS1_7vsmem_tEENKUlT_SJ_SK_SL_E_clISE_PhSF_SF_EESI_SY_SJ_SK_SL_EUlSY_E1_NS1_11comp_targetILNS1_3genE2ELNS1_11target_archE906ELNS1_3gpuE6ELNS1_3repE0EEENS1_36merge_oddeven_config_static_selectorELNS0_4arch9wavefront6targetE1EEEvSK_, .Lfunc_end2906-_ZN7rocprim17ROCPRIM_400000_NS6detail17trampoline_kernelINS0_14default_configENS1_38merge_sort_block_merge_config_selectorIhNS0_10empty_typeEEEZZNS1_27merge_sort_block_merge_implIS3_N6thrust23THRUST_200600_302600_NS6detail15normal_iteratorINS9_10device_ptrIhEEEEPS5_m14custom_greaterIhEEE10hipError_tT0_T1_T2_jT3_P12ihipStream_tbPNSt15iterator_traitsISJ_E10value_typeEPNSP_ISK_E10value_typeEPSL_NS1_7vsmem_tEENKUlT_SJ_SK_SL_E_clISE_PhSF_SF_EESI_SY_SJ_SK_SL_EUlSY_E1_NS1_11comp_targetILNS1_3genE2ELNS1_11target_archE906ELNS1_3gpuE6ELNS1_3repE0EEENS1_36merge_oddeven_config_static_selectorELNS0_4arch9wavefront6targetE1EEEvSK_
                                        ; -- End function
	.section	.AMDGPU.csdata,"",@progbits
; Kernel info:
; codeLenInByte = 0
; NumSgprs: 4
; NumVgprs: 0
; NumAgprs: 0
; TotalNumVgprs: 0
; ScratchSize: 0
; MemoryBound: 0
; FloatMode: 240
; IeeeMode: 1
; LDSByteSize: 0 bytes/workgroup (compile time only)
; SGPRBlocks: 0
; VGPRBlocks: 0
; NumSGPRsForWavesPerEU: 4
; NumVGPRsForWavesPerEU: 1
; AccumOffset: 4
; Occupancy: 8
; WaveLimiterHint : 0
; COMPUTE_PGM_RSRC2:SCRATCH_EN: 0
; COMPUTE_PGM_RSRC2:USER_SGPR: 6
; COMPUTE_PGM_RSRC2:TRAP_HANDLER: 0
; COMPUTE_PGM_RSRC2:TGID_X_EN: 1
; COMPUTE_PGM_RSRC2:TGID_Y_EN: 0
; COMPUTE_PGM_RSRC2:TGID_Z_EN: 0
; COMPUTE_PGM_RSRC2:TIDIG_COMP_CNT: 0
; COMPUTE_PGM_RSRC3_GFX90A:ACCUM_OFFSET: 0
; COMPUTE_PGM_RSRC3_GFX90A:TG_SPLIT: 0
	.section	.text._ZN7rocprim17ROCPRIM_400000_NS6detail17trampoline_kernelINS0_14default_configENS1_38merge_sort_block_merge_config_selectorIhNS0_10empty_typeEEEZZNS1_27merge_sort_block_merge_implIS3_N6thrust23THRUST_200600_302600_NS6detail15normal_iteratorINS9_10device_ptrIhEEEEPS5_m14custom_greaterIhEEE10hipError_tT0_T1_T2_jT3_P12ihipStream_tbPNSt15iterator_traitsISJ_E10value_typeEPNSP_ISK_E10value_typeEPSL_NS1_7vsmem_tEENKUlT_SJ_SK_SL_E_clISE_PhSF_SF_EESI_SY_SJ_SK_SL_EUlSY_E1_NS1_11comp_targetILNS1_3genE9ELNS1_11target_archE1100ELNS1_3gpuE3ELNS1_3repE0EEENS1_36merge_oddeven_config_static_selectorELNS0_4arch9wavefront6targetE1EEEvSK_,"axG",@progbits,_ZN7rocprim17ROCPRIM_400000_NS6detail17trampoline_kernelINS0_14default_configENS1_38merge_sort_block_merge_config_selectorIhNS0_10empty_typeEEEZZNS1_27merge_sort_block_merge_implIS3_N6thrust23THRUST_200600_302600_NS6detail15normal_iteratorINS9_10device_ptrIhEEEEPS5_m14custom_greaterIhEEE10hipError_tT0_T1_T2_jT3_P12ihipStream_tbPNSt15iterator_traitsISJ_E10value_typeEPNSP_ISK_E10value_typeEPSL_NS1_7vsmem_tEENKUlT_SJ_SK_SL_E_clISE_PhSF_SF_EESI_SY_SJ_SK_SL_EUlSY_E1_NS1_11comp_targetILNS1_3genE9ELNS1_11target_archE1100ELNS1_3gpuE3ELNS1_3repE0EEENS1_36merge_oddeven_config_static_selectorELNS0_4arch9wavefront6targetE1EEEvSK_,comdat
	.protected	_ZN7rocprim17ROCPRIM_400000_NS6detail17trampoline_kernelINS0_14default_configENS1_38merge_sort_block_merge_config_selectorIhNS0_10empty_typeEEEZZNS1_27merge_sort_block_merge_implIS3_N6thrust23THRUST_200600_302600_NS6detail15normal_iteratorINS9_10device_ptrIhEEEEPS5_m14custom_greaterIhEEE10hipError_tT0_T1_T2_jT3_P12ihipStream_tbPNSt15iterator_traitsISJ_E10value_typeEPNSP_ISK_E10value_typeEPSL_NS1_7vsmem_tEENKUlT_SJ_SK_SL_E_clISE_PhSF_SF_EESI_SY_SJ_SK_SL_EUlSY_E1_NS1_11comp_targetILNS1_3genE9ELNS1_11target_archE1100ELNS1_3gpuE3ELNS1_3repE0EEENS1_36merge_oddeven_config_static_selectorELNS0_4arch9wavefront6targetE1EEEvSK_ ; -- Begin function _ZN7rocprim17ROCPRIM_400000_NS6detail17trampoline_kernelINS0_14default_configENS1_38merge_sort_block_merge_config_selectorIhNS0_10empty_typeEEEZZNS1_27merge_sort_block_merge_implIS3_N6thrust23THRUST_200600_302600_NS6detail15normal_iteratorINS9_10device_ptrIhEEEEPS5_m14custom_greaterIhEEE10hipError_tT0_T1_T2_jT3_P12ihipStream_tbPNSt15iterator_traitsISJ_E10value_typeEPNSP_ISK_E10value_typeEPSL_NS1_7vsmem_tEENKUlT_SJ_SK_SL_E_clISE_PhSF_SF_EESI_SY_SJ_SK_SL_EUlSY_E1_NS1_11comp_targetILNS1_3genE9ELNS1_11target_archE1100ELNS1_3gpuE3ELNS1_3repE0EEENS1_36merge_oddeven_config_static_selectorELNS0_4arch9wavefront6targetE1EEEvSK_
	.globl	_ZN7rocprim17ROCPRIM_400000_NS6detail17trampoline_kernelINS0_14default_configENS1_38merge_sort_block_merge_config_selectorIhNS0_10empty_typeEEEZZNS1_27merge_sort_block_merge_implIS3_N6thrust23THRUST_200600_302600_NS6detail15normal_iteratorINS9_10device_ptrIhEEEEPS5_m14custom_greaterIhEEE10hipError_tT0_T1_T2_jT3_P12ihipStream_tbPNSt15iterator_traitsISJ_E10value_typeEPNSP_ISK_E10value_typeEPSL_NS1_7vsmem_tEENKUlT_SJ_SK_SL_E_clISE_PhSF_SF_EESI_SY_SJ_SK_SL_EUlSY_E1_NS1_11comp_targetILNS1_3genE9ELNS1_11target_archE1100ELNS1_3gpuE3ELNS1_3repE0EEENS1_36merge_oddeven_config_static_selectorELNS0_4arch9wavefront6targetE1EEEvSK_
	.p2align	8
	.type	_ZN7rocprim17ROCPRIM_400000_NS6detail17trampoline_kernelINS0_14default_configENS1_38merge_sort_block_merge_config_selectorIhNS0_10empty_typeEEEZZNS1_27merge_sort_block_merge_implIS3_N6thrust23THRUST_200600_302600_NS6detail15normal_iteratorINS9_10device_ptrIhEEEEPS5_m14custom_greaterIhEEE10hipError_tT0_T1_T2_jT3_P12ihipStream_tbPNSt15iterator_traitsISJ_E10value_typeEPNSP_ISK_E10value_typeEPSL_NS1_7vsmem_tEENKUlT_SJ_SK_SL_E_clISE_PhSF_SF_EESI_SY_SJ_SK_SL_EUlSY_E1_NS1_11comp_targetILNS1_3genE9ELNS1_11target_archE1100ELNS1_3gpuE3ELNS1_3repE0EEENS1_36merge_oddeven_config_static_selectorELNS0_4arch9wavefront6targetE1EEEvSK_,@function
_ZN7rocprim17ROCPRIM_400000_NS6detail17trampoline_kernelINS0_14default_configENS1_38merge_sort_block_merge_config_selectorIhNS0_10empty_typeEEEZZNS1_27merge_sort_block_merge_implIS3_N6thrust23THRUST_200600_302600_NS6detail15normal_iteratorINS9_10device_ptrIhEEEEPS5_m14custom_greaterIhEEE10hipError_tT0_T1_T2_jT3_P12ihipStream_tbPNSt15iterator_traitsISJ_E10value_typeEPNSP_ISK_E10value_typeEPSL_NS1_7vsmem_tEENKUlT_SJ_SK_SL_E_clISE_PhSF_SF_EESI_SY_SJ_SK_SL_EUlSY_E1_NS1_11comp_targetILNS1_3genE9ELNS1_11target_archE1100ELNS1_3gpuE3ELNS1_3repE0EEENS1_36merge_oddeven_config_static_selectorELNS0_4arch9wavefront6targetE1EEEvSK_: ; @_ZN7rocprim17ROCPRIM_400000_NS6detail17trampoline_kernelINS0_14default_configENS1_38merge_sort_block_merge_config_selectorIhNS0_10empty_typeEEEZZNS1_27merge_sort_block_merge_implIS3_N6thrust23THRUST_200600_302600_NS6detail15normal_iteratorINS9_10device_ptrIhEEEEPS5_m14custom_greaterIhEEE10hipError_tT0_T1_T2_jT3_P12ihipStream_tbPNSt15iterator_traitsISJ_E10value_typeEPNSP_ISK_E10value_typeEPSL_NS1_7vsmem_tEENKUlT_SJ_SK_SL_E_clISE_PhSF_SF_EESI_SY_SJ_SK_SL_EUlSY_E1_NS1_11comp_targetILNS1_3genE9ELNS1_11target_archE1100ELNS1_3gpuE3ELNS1_3repE0EEENS1_36merge_oddeven_config_static_selectorELNS0_4arch9wavefront6targetE1EEEvSK_
; %bb.0:
	.section	.rodata,"a",@progbits
	.p2align	6, 0x0
	.amdhsa_kernel _ZN7rocprim17ROCPRIM_400000_NS6detail17trampoline_kernelINS0_14default_configENS1_38merge_sort_block_merge_config_selectorIhNS0_10empty_typeEEEZZNS1_27merge_sort_block_merge_implIS3_N6thrust23THRUST_200600_302600_NS6detail15normal_iteratorINS9_10device_ptrIhEEEEPS5_m14custom_greaterIhEEE10hipError_tT0_T1_T2_jT3_P12ihipStream_tbPNSt15iterator_traitsISJ_E10value_typeEPNSP_ISK_E10value_typeEPSL_NS1_7vsmem_tEENKUlT_SJ_SK_SL_E_clISE_PhSF_SF_EESI_SY_SJ_SK_SL_EUlSY_E1_NS1_11comp_targetILNS1_3genE9ELNS1_11target_archE1100ELNS1_3gpuE3ELNS1_3repE0EEENS1_36merge_oddeven_config_static_selectorELNS0_4arch9wavefront6targetE1EEEvSK_
		.amdhsa_group_segment_fixed_size 0
		.amdhsa_private_segment_fixed_size 0
		.amdhsa_kernarg_size 56
		.amdhsa_user_sgpr_count 6
		.amdhsa_user_sgpr_private_segment_buffer 1
		.amdhsa_user_sgpr_dispatch_ptr 0
		.amdhsa_user_sgpr_queue_ptr 0
		.amdhsa_user_sgpr_kernarg_segment_ptr 1
		.amdhsa_user_sgpr_dispatch_id 0
		.amdhsa_user_sgpr_flat_scratch_init 0
		.amdhsa_user_sgpr_kernarg_preload_length 0
		.amdhsa_user_sgpr_kernarg_preload_offset 0
		.amdhsa_user_sgpr_private_segment_size 0
		.amdhsa_uses_dynamic_stack 0
		.amdhsa_system_sgpr_private_segment_wavefront_offset 0
		.amdhsa_system_sgpr_workgroup_id_x 1
		.amdhsa_system_sgpr_workgroup_id_y 0
		.amdhsa_system_sgpr_workgroup_id_z 0
		.amdhsa_system_sgpr_workgroup_info 0
		.amdhsa_system_vgpr_workitem_id 0
		.amdhsa_next_free_vgpr 1
		.amdhsa_next_free_sgpr 0
		.amdhsa_accum_offset 4
		.amdhsa_reserve_vcc 0
		.amdhsa_reserve_flat_scratch 0
		.amdhsa_float_round_mode_32 0
		.amdhsa_float_round_mode_16_64 0
		.amdhsa_float_denorm_mode_32 3
		.amdhsa_float_denorm_mode_16_64 3
		.amdhsa_dx10_clamp 1
		.amdhsa_ieee_mode 1
		.amdhsa_fp16_overflow 0
		.amdhsa_tg_split 0
		.amdhsa_exception_fp_ieee_invalid_op 0
		.amdhsa_exception_fp_denorm_src 0
		.amdhsa_exception_fp_ieee_div_zero 0
		.amdhsa_exception_fp_ieee_overflow 0
		.amdhsa_exception_fp_ieee_underflow 0
		.amdhsa_exception_fp_ieee_inexact 0
		.amdhsa_exception_int_div_zero 0
	.end_amdhsa_kernel
	.section	.text._ZN7rocprim17ROCPRIM_400000_NS6detail17trampoline_kernelINS0_14default_configENS1_38merge_sort_block_merge_config_selectorIhNS0_10empty_typeEEEZZNS1_27merge_sort_block_merge_implIS3_N6thrust23THRUST_200600_302600_NS6detail15normal_iteratorINS9_10device_ptrIhEEEEPS5_m14custom_greaterIhEEE10hipError_tT0_T1_T2_jT3_P12ihipStream_tbPNSt15iterator_traitsISJ_E10value_typeEPNSP_ISK_E10value_typeEPSL_NS1_7vsmem_tEENKUlT_SJ_SK_SL_E_clISE_PhSF_SF_EESI_SY_SJ_SK_SL_EUlSY_E1_NS1_11comp_targetILNS1_3genE9ELNS1_11target_archE1100ELNS1_3gpuE3ELNS1_3repE0EEENS1_36merge_oddeven_config_static_selectorELNS0_4arch9wavefront6targetE1EEEvSK_,"axG",@progbits,_ZN7rocprim17ROCPRIM_400000_NS6detail17trampoline_kernelINS0_14default_configENS1_38merge_sort_block_merge_config_selectorIhNS0_10empty_typeEEEZZNS1_27merge_sort_block_merge_implIS3_N6thrust23THRUST_200600_302600_NS6detail15normal_iteratorINS9_10device_ptrIhEEEEPS5_m14custom_greaterIhEEE10hipError_tT0_T1_T2_jT3_P12ihipStream_tbPNSt15iterator_traitsISJ_E10value_typeEPNSP_ISK_E10value_typeEPSL_NS1_7vsmem_tEENKUlT_SJ_SK_SL_E_clISE_PhSF_SF_EESI_SY_SJ_SK_SL_EUlSY_E1_NS1_11comp_targetILNS1_3genE9ELNS1_11target_archE1100ELNS1_3gpuE3ELNS1_3repE0EEENS1_36merge_oddeven_config_static_selectorELNS0_4arch9wavefront6targetE1EEEvSK_,comdat
.Lfunc_end2907:
	.size	_ZN7rocprim17ROCPRIM_400000_NS6detail17trampoline_kernelINS0_14default_configENS1_38merge_sort_block_merge_config_selectorIhNS0_10empty_typeEEEZZNS1_27merge_sort_block_merge_implIS3_N6thrust23THRUST_200600_302600_NS6detail15normal_iteratorINS9_10device_ptrIhEEEEPS5_m14custom_greaterIhEEE10hipError_tT0_T1_T2_jT3_P12ihipStream_tbPNSt15iterator_traitsISJ_E10value_typeEPNSP_ISK_E10value_typeEPSL_NS1_7vsmem_tEENKUlT_SJ_SK_SL_E_clISE_PhSF_SF_EESI_SY_SJ_SK_SL_EUlSY_E1_NS1_11comp_targetILNS1_3genE9ELNS1_11target_archE1100ELNS1_3gpuE3ELNS1_3repE0EEENS1_36merge_oddeven_config_static_selectorELNS0_4arch9wavefront6targetE1EEEvSK_, .Lfunc_end2907-_ZN7rocprim17ROCPRIM_400000_NS6detail17trampoline_kernelINS0_14default_configENS1_38merge_sort_block_merge_config_selectorIhNS0_10empty_typeEEEZZNS1_27merge_sort_block_merge_implIS3_N6thrust23THRUST_200600_302600_NS6detail15normal_iteratorINS9_10device_ptrIhEEEEPS5_m14custom_greaterIhEEE10hipError_tT0_T1_T2_jT3_P12ihipStream_tbPNSt15iterator_traitsISJ_E10value_typeEPNSP_ISK_E10value_typeEPSL_NS1_7vsmem_tEENKUlT_SJ_SK_SL_E_clISE_PhSF_SF_EESI_SY_SJ_SK_SL_EUlSY_E1_NS1_11comp_targetILNS1_3genE9ELNS1_11target_archE1100ELNS1_3gpuE3ELNS1_3repE0EEENS1_36merge_oddeven_config_static_selectorELNS0_4arch9wavefront6targetE1EEEvSK_
                                        ; -- End function
	.section	.AMDGPU.csdata,"",@progbits
; Kernel info:
; codeLenInByte = 0
; NumSgprs: 4
; NumVgprs: 0
; NumAgprs: 0
; TotalNumVgprs: 0
; ScratchSize: 0
; MemoryBound: 0
; FloatMode: 240
; IeeeMode: 1
; LDSByteSize: 0 bytes/workgroup (compile time only)
; SGPRBlocks: 0
; VGPRBlocks: 0
; NumSGPRsForWavesPerEU: 4
; NumVGPRsForWavesPerEU: 1
; AccumOffset: 4
; Occupancy: 8
; WaveLimiterHint : 0
; COMPUTE_PGM_RSRC2:SCRATCH_EN: 0
; COMPUTE_PGM_RSRC2:USER_SGPR: 6
; COMPUTE_PGM_RSRC2:TRAP_HANDLER: 0
; COMPUTE_PGM_RSRC2:TGID_X_EN: 1
; COMPUTE_PGM_RSRC2:TGID_Y_EN: 0
; COMPUTE_PGM_RSRC2:TGID_Z_EN: 0
; COMPUTE_PGM_RSRC2:TIDIG_COMP_CNT: 0
; COMPUTE_PGM_RSRC3_GFX90A:ACCUM_OFFSET: 0
; COMPUTE_PGM_RSRC3_GFX90A:TG_SPLIT: 0
	.section	.text._ZN7rocprim17ROCPRIM_400000_NS6detail17trampoline_kernelINS0_14default_configENS1_38merge_sort_block_merge_config_selectorIhNS0_10empty_typeEEEZZNS1_27merge_sort_block_merge_implIS3_N6thrust23THRUST_200600_302600_NS6detail15normal_iteratorINS9_10device_ptrIhEEEEPS5_m14custom_greaterIhEEE10hipError_tT0_T1_T2_jT3_P12ihipStream_tbPNSt15iterator_traitsISJ_E10value_typeEPNSP_ISK_E10value_typeEPSL_NS1_7vsmem_tEENKUlT_SJ_SK_SL_E_clISE_PhSF_SF_EESI_SY_SJ_SK_SL_EUlSY_E1_NS1_11comp_targetILNS1_3genE8ELNS1_11target_archE1030ELNS1_3gpuE2ELNS1_3repE0EEENS1_36merge_oddeven_config_static_selectorELNS0_4arch9wavefront6targetE1EEEvSK_,"axG",@progbits,_ZN7rocprim17ROCPRIM_400000_NS6detail17trampoline_kernelINS0_14default_configENS1_38merge_sort_block_merge_config_selectorIhNS0_10empty_typeEEEZZNS1_27merge_sort_block_merge_implIS3_N6thrust23THRUST_200600_302600_NS6detail15normal_iteratorINS9_10device_ptrIhEEEEPS5_m14custom_greaterIhEEE10hipError_tT0_T1_T2_jT3_P12ihipStream_tbPNSt15iterator_traitsISJ_E10value_typeEPNSP_ISK_E10value_typeEPSL_NS1_7vsmem_tEENKUlT_SJ_SK_SL_E_clISE_PhSF_SF_EESI_SY_SJ_SK_SL_EUlSY_E1_NS1_11comp_targetILNS1_3genE8ELNS1_11target_archE1030ELNS1_3gpuE2ELNS1_3repE0EEENS1_36merge_oddeven_config_static_selectorELNS0_4arch9wavefront6targetE1EEEvSK_,comdat
	.protected	_ZN7rocprim17ROCPRIM_400000_NS6detail17trampoline_kernelINS0_14default_configENS1_38merge_sort_block_merge_config_selectorIhNS0_10empty_typeEEEZZNS1_27merge_sort_block_merge_implIS3_N6thrust23THRUST_200600_302600_NS6detail15normal_iteratorINS9_10device_ptrIhEEEEPS5_m14custom_greaterIhEEE10hipError_tT0_T1_T2_jT3_P12ihipStream_tbPNSt15iterator_traitsISJ_E10value_typeEPNSP_ISK_E10value_typeEPSL_NS1_7vsmem_tEENKUlT_SJ_SK_SL_E_clISE_PhSF_SF_EESI_SY_SJ_SK_SL_EUlSY_E1_NS1_11comp_targetILNS1_3genE8ELNS1_11target_archE1030ELNS1_3gpuE2ELNS1_3repE0EEENS1_36merge_oddeven_config_static_selectorELNS0_4arch9wavefront6targetE1EEEvSK_ ; -- Begin function _ZN7rocprim17ROCPRIM_400000_NS6detail17trampoline_kernelINS0_14default_configENS1_38merge_sort_block_merge_config_selectorIhNS0_10empty_typeEEEZZNS1_27merge_sort_block_merge_implIS3_N6thrust23THRUST_200600_302600_NS6detail15normal_iteratorINS9_10device_ptrIhEEEEPS5_m14custom_greaterIhEEE10hipError_tT0_T1_T2_jT3_P12ihipStream_tbPNSt15iterator_traitsISJ_E10value_typeEPNSP_ISK_E10value_typeEPSL_NS1_7vsmem_tEENKUlT_SJ_SK_SL_E_clISE_PhSF_SF_EESI_SY_SJ_SK_SL_EUlSY_E1_NS1_11comp_targetILNS1_3genE8ELNS1_11target_archE1030ELNS1_3gpuE2ELNS1_3repE0EEENS1_36merge_oddeven_config_static_selectorELNS0_4arch9wavefront6targetE1EEEvSK_
	.globl	_ZN7rocprim17ROCPRIM_400000_NS6detail17trampoline_kernelINS0_14default_configENS1_38merge_sort_block_merge_config_selectorIhNS0_10empty_typeEEEZZNS1_27merge_sort_block_merge_implIS3_N6thrust23THRUST_200600_302600_NS6detail15normal_iteratorINS9_10device_ptrIhEEEEPS5_m14custom_greaterIhEEE10hipError_tT0_T1_T2_jT3_P12ihipStream_tbPNSt15iterator_traitsISJ_E10value_typeEPNSP_ISK_E10value_typeEPSL_NS1_7vsmem_tEENKUlT_SJ_SK_SL_E_clISE_PhSF_SF_EESI_SY_SJ_SK_SL_EUlSY_E1_NS1_11comp_targetILNS1_3genE8ELNS1_11target_archE1030ELNS1_3gpuE2ELNS1_3repE0EEENS1_36merge_oddeven_config_static_selectorELNS0_4arch9wavefront6targetE1EEEvSK_
	.p2align	8
	.type	_ZN7rocprim17ROCPRIM_400000_NS6detail17trampoline_kernelINS0_14default_configENS1_38merge_sort_block_merge_config_selectorIhNS0_10empty_typeEEEZZNS1_27merge_sort_block_merge_implIS3_N6thrust23THRUST_200600_302600_NS6detail15normal_iteratorINS9_10device_ptrIhEEEEPS5_m14custom_greaterIhEEE10hipError_tT0_T1_T2_jT3_P12ihipStream_tbPNSt15iterator_traitsISJ_E10value_typeEPNSP_ISK_E10value_typeEPSL_NS1_7vsmem_tEENKUlT_SJ_SK_SL_E_clISE_PhSF_SF_EESI_SY_SJ_SK_SL_EUlSY_E1_NS1_11comp_targetILNS1_3genE8ELNS1_11target_archE1030ELNS1_3gpuE2ELNS1_3repE0EEENS1_36merge_oddeven_config_static_selectorELNS0_4arch9wavefront6targetE1EEEvSK_,@function
_ZN7rocprim17ROCPRIM_400000_NS6detail17trampoline_kernelINS0_14default_configENS1_38merge_sort_block_merge_config_selectorIhNS0_10empty_typeEEEZZNS1_27merge_sort_block_merge_implIS3_N6thrust23THRUST_200600_302600_NS6detail15normal_iteratorINS9_10device_ptrIhEEEEPS5_m14custom_greaterIhEEE10hipError_tT0_T1_T2_jT3_P12ihipStream_tbPNSt15iterator_traitsISJ_E10value_typeEPNSP_ISK_E10value_typeEPSL_NS1_7vsmem_tEENKUlT_SJ_SK_SL_E_clISE_PhSF_SF_EESI_SY_SJ_SK_SL_EUlSY_E1_NS1_11comp_targetILNS1_3genE8ELNS1_11target_archE1030ELNS1_3gpuE2ELNS1_3repE0EEENS1_36merge_oddeven_config_static_selectorELNS0_4arch9wavefront6targetE1EEEvSK_: ; @_ZN7rocprim17ROCPRIM_400000_NS6detail17trampoline_kernelINS0_14default_configENS1_38merge_sort_block_merge_config_selectorIhNS0_10empty_typeEEEZZNS1_27merge_sort_block_merge_implIS3_N6thrust23THRUST_200600_302600_NS6detail15normal_iteratorINS9_10device_ptrIhEEEEPS5_m14custom_greaterIhEEE10hipError_tT0_T1_T2_jT3_P12ihipStream_tbPNSt15iterator_traitsISJ_E10value_typeEPNSP_ISK_E10value_typeEPSL_NS1_7vsmem_tEENKUlT_SJ_SK_SL_E_clISE_PhSF_SF_EESI_SY_SJ_SK_SL_EUlSY_E1_NS1_11comp_targetILNS1_3genE8ELNS1_11target_archE1030ELNS1_3gpuE2ELNS1_3repE0EEENS1_36merge_oddeven_config_static_selectorELNS0_4arch9wavefront6targetE1EEEvSK_
; %bb.0:
	.section	.rodata,"a",@progbits
	.p2align	6, 0x0
	.amdhsa_kernel _ZN7rocprim17ROCPRIM_400000_NS6detail17trampoline_kernelINS0_14default_configENS1_38merge_sort_block_merge_config_selectorIhNS0_10empty_typeEEEZZNS1_27merge_sort_block_merge_implIS3_N6thrust23THRUST_200600_302600_NS6detail15normal_iteratorINS9_10device_ptrIhEEEEPS5_m14custom_greaterIhEEE10hipError_tT0_T1_T2_jT3_P12ihipStream_tbPNSt15iterator_traitsISJ_E10value_typeEPNSP_ISK_E10value_typeEPSL_NS1_7vsmem_tEENKUlT_SJ_SK_SL_E_clISE_PhSF_SF_EESI_SY_SJ_SK_SL_EUlSY_E1_NS1_11comp_targetILNS1_3genE8ELNS1_11target_archE1030ELNS1_3gpuE2ELNS1_3repE0EEENS1_36merge_oddeven_config_static_selectorELNS0_4arch9wavefront6targetE1EEEvSK_
		.amdhsa_group_segment_fixed_size 0
		.amdhsa_private_segment_fixed_size 0
		.amdhsa_kernarg_size 56
		.amdhsa_user_sgpr_count 6
		.amdhsa_user_sgpr_private_segment_buffer 1
		.amdhsa_user_sgpr_dispatch_ptr 0
		.amdhsa_user_sgpr_queue_ptr 0
		.amdhsa_user_sgpr_kernarg_segment_ptr 1
		.amdhsa_user_sgpr_dispatch_id 0
		.amdhsa_user_sgpr_flat_scratch_init 0
		.amdhsa_user_sgpr_kernarg_preload_length 0
		.amdhsa_user_sgpr_kernarg_preload_offset 0
		.amdhsa_user_sgpr_private_segment_size 0
		.amdhsa_uses_dynamic_stack 0
		.amdhsa_system_sgpr_private_segment_wavefront_offset 0
		.amdhsa_system_sgpr_workgroup_id_x 1
		.amdhsa_system_sgpr_workgroup_id_y 0
		.amdhsa_system_sgpr_workgroup_id_z 0
		.amdhsa_system_sgpr_workgroup_info 0
		.amdhsa_system_vgpr_workitem_id 0
		.amdhsa_next_free_vgpr 1
		.amdhsa_next_free_sgpr 0
		.amdhsa_accum_offset 4
		.amdhsa_reserve_vcc 0
		.amdhsa_reserve_flat_scratch 0
		.amdhsa_float_round_mode_32 0
		.amdhsa_float_round_mode_16_64 0
		.amdhsa_float_denorm_mode_32 3
		.amdhsa_float_denorm_mode_16_64 3
		.amdhsa_dx10_clamp 1
		.amdhsa_ieee_mode 1
		.amdhsa_fp16_overflow 0
		.amdhsa_tg_split 0
		.amdhsa_exception_fp_ieee_invalid_op 0
		.amdhsa_exception_fp_denorm_src 0
		.amdhsa_exception_fp_ieee_div_zero 0
		.amdhsa_exception_fp_ieee_overflow 0
		.amdhsa_exception_fp_ieee_underflow 0
		.amdhsa_exception_fp_ieee_inexact 0
		.amdhsa_exception_int_div_zero 0
	.end_amdhsa_kernel
	.section	.text._ZN7rocprim17ROCPRIM_400000_NS6detail17trampoline_kernelINS0_14default_configENS1_38merge_sort_block_merge_config_selectorIhNS0_10empty_typeEEEZZNS1_27merge_sort_block_merge_implIS3_N6thrust23THRUST_200600_302600_NS6detail15normal_iteratorINS9_10device_ptrIhEEEEPS5_m14custom_greaterIhEEE10hipError_tT0_T1_T2_jT3_P12ihipStream_tbPNSt15iterator_traitsISJ_E10value_typeEPNSP_ISK_E10value_typeEPSL_NS1_7vsmem_tEENKUlT_SJ_SK_SL_E_clISE_PhSF_SF_EESI_SY_SJ_SK_SL_EUlSY_E1_NS1_11comp_targetILNS1_3genE8ELNS1_11target_archE1030ELNS1_3gpuE2ELNS1_3repE0EEENS1_36merge_oddeven_config_static_selectorELNS0_4arch9wavefront6targetE1EEEvSK_,"axG",@progbits,_ZN7rocprim17ROCPRIM_400000_NS6detail17trampoline_kernelINS0_14default_configENS1_38merge_sort_block_merge_config_selectorIhNS0_10empty_typeEEEZZNS1_27merge_sort_block_merge_implIS3_N6thrust23THRUST_200600_302600_NS6detail15normal_iteratorINS9_10device_ptrIhEEEEPS5_m14custom_greaterIhEEE10hipError_tT0_T1_T2_jT3_P12ihipStream_tbPNSt15iterator_traitsISJ_E10value_typeEPNSP_ISK_E10value_typeEPSL_NS1_7vsmem_tEENKUlT_SJ_SK_SL_E_clISE_PhSF_SF_EESI_SY_SJ_SK_SL_EUlSY_E1_NS1_11comp_targetILNS1_3genE8ELNS1_11target_archE1030ELNS1_3gpuE2ELNS1_3repE0EEENS1_36merge_oddeven_config_static_selectorELNS0_4arch9wavefront6targetE1EEEvSK_,comdat
.Lfunc_end2908:
	.size	_ZN7rocprim17ROCPRIM_400000_NS6detail17trampoline_kernelINS0_14default_configENS1_38merge_sort_block_merge_config_selectorIhNS0_10empty_typeEEEZZNS1_27merge_sort_block_merge_implIS3_N6thrust23THRUST_200600_302600_NS6detail15normal_iteratorINS9_10device_ptrIhEEEEPS5_m14custom_greaterIhEEE10hipError_tT0_T1_T2_jT3_P12ihipStream_tbPNSt15iterator_traitsISJ_E10value_typeEPNSP_ISK_E10value_typeEPSL_NS1_7vsmem_tEENKUlT_SJ_SK_SL_E_clISE_PhSF_SF_EESI_SY_SJ_SK_SL_EUlSY_E1_NS1_11comp_targetILNS1_3genE8ELNS1_11target_archE1030ELNS1_3gpuE2ELNS1_3repE0EEENS1_36merge_oddeven_config_static_selectorELNS0_4arch9wavefront6targetE1EEEvSK_, .Lfunc_end2908-_ZN7rocprim17ROCPRIM_400000_NS6detail17trampoline_kernelINS0_14default_configENS1_38merge_sort_block_merge_config_selectorIhNS0_10empty_typeEEEZZNS1_27merge_sort_block_merge_implIS3_N6thrust23THRUST_200600_302600_NS6detail15normal_iteratorINS9_10device_ptrIhEEEEPS5_m14custom_greaterIhEEE10hipError_tT0_T1_T2_jT3_P12ihipStream_tbPNSt15iterator_traitsISJ_E10value_typeEPNSP_ISK_E10value_typeEPSL_NS1_7vsmem_tEENKUlT_SJ_SK_SL_E_clISE_PhSF_SF_EESI_SY_SJ_SK_SL_EUlSY_E1_NS1_11comp_targetILNS1_3genE8ELNS1_11target_archE1030ELNS1_3gpuE2ELNS1_3repE0EEENS1_36merge_oddeven_config_static_selectorELNS0_4arch9wavefront6targetE1EEEvSK_
                                        ; -- End function
	.section	.AMDGPU.csdata,"",@progbits
; Kernel info:
; codeLenInByte = 0
; NumSgprs: 4
; NumVgprs: 0
; NumAgprs: 0
; TotalNumVgprs: 0
; ScratchSize: 0
; MemoryBound: 0
; FloatMode: 240
; IeeeMode: 1
; LDSByteSize: 0 bytes/workgroup (compile time only)
; SGPRBlocks: 0
; VGPRBlocks: 0
; NumSGPRsForWavesPerEU: 4
; NumVGPRsForWavesPerEU: 1
; AccumOffset: 4
; Occupancy: 8
; WaveLimiterHint : 0
; COMPUTE_PGM_RSRC2:SCRATCH_EN: 0
; COMPUTE_PGM_RSRC2:USER_SGPR: 6
; COMPUTE_PGM_RSRC2:TRAP_HANDLER: 0
; COMPUTE_PGM_RSRC2:TGID_X_EN: 1
; COMPUTE_PGM_RSRC2:TGID_Y_EN: 0
; COMPUTE_PGM_RSRC2:TGID_Z_EN: 0
; COMPUTE_PGM_RSRC2:TIDIG_COMP_CNT: 0
; COMPUTE_PGM_RSRC3_GFX90A:ACCUM_OFFSET: 0
; COMPUTE_PGM_RSRC3_GFX90A:TG_SPLIT: 0
	.section	.text._ZN7rocprim17ROCPRIM_400000_NS6detail17trampoline_kernelINS0_14default_configENS1_25transform_config_selectorIhLb0EEEZNS1_14transform_implILb0ES3_S5_PhN6thrust23THRUST_200600_302600_NS6detail15normal_iteratorINS9_10device_ptrIhEEEENS0_8identityIhEEEE10hipError_tT2_T3_mT4_P12ihipStream_tbEUlT_E_NS1_11comp_targetILNS1_3genE0ELNS1_11target_archE4294967295ELNS1_3gpuE0ELNS1_3repE0EEENS1_30default_config_static_selectorELNS0_4arch9wavefront6targetE1EEEvT1_,"axG",@progbits,_ZN7rocprim17ROCPRIM_400000_NS6detail17trampoline_kernelINS0_14default_configENS1_25transform_config_selectorIhLb0EEEZNS1_14transform_implILb0ES3_S5_PhN6thrust23THRUST_200600_302600_NS6detail15normal_iteratorINS9_10device_ptrIhEEEENS0_8identityIhEEEE10hipError_tT2_T3_mT4_P12ihipStream_tbEUlT_E_NS1_11comp_targetILNS1_3genE0ELNS1_11target_archE4294967295ELNS1_3gpuE0ELNS1_3repE0EEENS1_30default_config_static_selectorELNS0_4arch9wavefront6targetE1EEEvT1_,comdat
	.protected	_ZN7rocprim17ROCPRIM_400000_NS6detail17trampoline_kernelINS0_14default_configENS1_25transform_config_selectorIhLb0EEEZNS1_14transform_implILb0ES3_S5_PhN6thrust23THRUST_200600_302600_NS6detail15normal_iteratorINS9_10device_ptrIhEEEENS0_8identityIhEEEE10hipError_tT2_T3_mT4_P12ihipStream_tbEUlT_E_NS1_11comp_targetILNS1_3genE0ELNS1_11target_archE4294967295ELNS1_3gpuE0ELNS1_3repE0EEENS1_30default_config_static_selectorELNS0_4arch9wavefront6targetE1EEEvT1_ ; -- Begin function _ZN7rocprim17ROCPRIM_400000_NS6detail17trampoline_kernelINS0_14default_configENS1_25transform_config_selectorIhLb0EEEZNS1_14transform_implILb0ES3_S5_PhN6thrust23THRUST_200600_302600_NS6detail15normal_iteratorINS9_10device_ptrIhEEEENS0_8identityIhEEEE10hipError_tT2_T3_mT4_P12ihipStream_tbEUlT_E_NS1_11comp_targetILNS1_3genE0ELNS1_11target_archE4294967295ELNS1_3gpuE0ELNS1_3repE0EEENS1_30default_config_static_selectorELNS0_4arch9wavefront6targetE1EEEvT1_
	.globl	_ZN7rocprim17ROCPRIM_400000_NS6detail17trampoline_kernelINS0_14default_configENS1_25transform_config_selectorIhLb0EEEZNS1_14transform_implILb0ES3_S5_PhN6thrust23THRUST_200600_302600_NS6detail15normal_iteratorINS9_10device_ptrIhEEEENS0_8identityIhEEEE10hipError_tT2_T3_mT4_P12ihipStream_tbEUlT_E_NS1_11comp_targetILNS1_3genE0ELNS1_11target_archE4294967295ELNS1_3gpuE0ELNS1_3repE0EEENS1_30default_config_static_selectorELNS0_4arch9wavefront6targetE1EEEvT1_
	.p2align	8
	.type	_ZN7rocprim17ROCPRIM_400000_NS6detail17trampoline_kernelINS0_14default_configENS1_25transform_config_selectorIhLb0EEEZNS1_14transform_implILb0ES3_S5_PhN6thrust23THRUST_200600_302600_NS6detail15normal_iteratorINS9_10device_ptrIhEEEENS0_8identityIhEEEE10hipError_tT2_T3_mT4_P12ihipStream_tbEUlT_E_NS1_11comp_targetILNS1_3genE0ELNS1_11target_archE4294967295ELNS1_3gpuE0ELNS1_3repE0EEENS1_30default_config_static_selectorELNS0_4arch9wavefront6targetE1EEEvT1_,@function
_ZN7rocprim17ROCPRIM_400000_NS6detail17trampoline_kernelINS0_14default_configENS1_25transform_config_selectorIhLb0EEEZNS1_14transform_implILb0ES3_S5_PhN6thrust23THRUST_200600_302600_NS6detail15normal_iteratorINS9_10device_ptrIhEEEENS0_8identityIhEEEE10hipError_tT2_T3_mT4_P12ihipStream_tbEUlT_E_NS1_11comp_targetILNS1_3genE0ELNS1_11target_archE4294967295ELNS1_3gpuE0ELNS1_3repE0EEENS1_30default_config_static_selectorELNS0_4arch9wavefront6targetE1EEEvT1_: ; @_ZN7rocprim17ROCPRIM_400000_NS6detail17trampoline_kernelINS0_14default_configENS1_25transform_config_selectorIhLb0EEEZNS1_14transform_implILb0ES3_S5_PhN6thrust23THRUST_200600_302600_NS6detail15normal_iteratorINS9_10device_ptrIhEEEENS0_8identityIhEEEE10hipError_tT2_T3_mT4_P12ihipStream_tbEUlT_E_NS1_11comp_targetILNS1_3genE0ELNS1_11target_archE4294967295ELNS1_3gpuE0ELNS1_3repE0EEENS1_30default_config_static_selectorELNS0_4arch9wavefront6targetE1EEEvT1_
; %bb.0:
	.section	.rodata,"a",@progbits
	.p2align	6, 0x0
	.amdhsa_kernel _ZN7rocprim17ROCPRIM_400000_NS6detail17trampoline_kernelINS0_14default_configENS1_25transform_config_selectorIhLb0EEEZNS1_14transform_implILb0ES3_S5_PhN6thrust23THRUST_200600_302600_NS6detail15normal_iteratorINS9_10device_ptrIhEEEENS0_8identityIhEEEE10hipError_tT2_T3_mT4_P12ihipStream_tbEUlT_E_NS1_11comp_targetILNS1_3genE0ELNS1_11target_archE4294967295ELNS1_3gpuE0ELNS1_3repE0EEENS1_30default_config_static_selectorELNS0_4arch9wavefront6targetE1EEEvT1_
		.amdhsa_group_segment_fixed_size 0
		.amdhsa_private_segment_fixed_size 0
		.amdhsa_kernarg_size 40
		.amdhsa_user_sgpr_count 6
		.amdhsa_user_sgpr_private_segment_buffer 1
		.amdhsa_user_sgpr_dispatch_ptr 0
		.amdhsa_user_sgpr_queue_ptr 0
		.amdhsa_user_sgpr_kernarg_segment_ptr 1
		.amdhsa_user_sgpr_dispatch_id 0
		.amdhsa_user_sgpr_flat_scratch_init 0
		.amdhsa_user_sgpr_kernarg_preload_length 0
		.amdhsa_user_sgpr_kernarg_preload_offset 0
		.amdhsa_user_sgpr_private_segment_size 0
		.amdhsa_uses_dynamic_stack 0
		.amdhsa_system_sgpr_private_segment_wavefront_offset 0
		.amdhsa_system_sgpr_workgroup_id_x 1
		.amdhsa_system_sgpr_workgroup_id_y 0
		.amdhsa_system_sgpr_workgroup_id_z 0
		.amdhsa_system_sgpr_workgroup_info 0
		.amdhsa_system_vgpr_workitem_id 0
		.amdhsa_next_free_vgpr 1
		.amdhsa_next_free_sgpr 0
		.amdhsa_accum_offset 4
		.amdhsa_reserve_vcc 0
		.amdhsa_reserve_flat_scratch 0
		.amdhsa_float_round_mode_32 0
		.amdhsa_float_round_mode_16_64 0
		.amdhsa_float_denorm_mode_32 3
		.amdhsa_float_denorm_mode_16_64 3
		.amdhsa_dx10_clamp 1
		.amdhsa_ieee_mode 1
		.amdhsa_fp16_overflow 0
		.amdhsa_tg_split 0
		.amdhsa_exception_fp_ieee_invalid_op 0
		.amdhsa_exception_fp_denorm_src 0
		.amdhsa_exception_fp_ieee_div_zero 0
		.amdhsa_exception_fp_ieee_overflow 0
		.amdhsa_exception_fp_ieee_underflow 0
		.amdhsa_exception_fp_ieee_inexact 0
		.amdhsa_exception_int_div_zero 0
	.end_amdhsa_kernel
	.section	.text._ZN7rocprim17ROCPRIM_400000_NS6detail17trampoline_kernelINS0_14default_configENS1_25transform_config_selectorIhLb0EEEZNS1_14transform_implILb0ES3_S5_PhN6thrust23THRUST_200600_302600_NS6detail15normal_iteratorINS9_10device_ptrIhEEEENS0_8identityIhEEEE10hipError_tT2_T3_mT4_P12ihipStream_tbEUlT_E_NS1_11comp_targetILNS1_3genE0ELNS1_11target_archE4294967295ELNS1_3gpuE0ELNS1_3repE0EEENS1_30default_config_static_selectorELNS0_4arch9wavefront6targetE1EEEvT1_,"axG",@progbits,_ZN7rocprim17ROCPRIM_400000_NS6detail17trampoline_kernelINS0_14default_configENS1_25transform_config_selectorIhLb0EEEZNS1_14transform_implILb0ES3_S5_PhN6thrust23THRUST_200600_302600_NS6detail15normal_iteratorINS9_10device_ptrIhEEEENS0_8identityIhEEEE10hipError_tT2_T3_mT4_P12ihipStream_tbEUlT_E_NS1_11comp_targetILNS1_3genE0ELNS1_11target_archE4294967295ELNS1_3gpuE0ELNS1_3repE0EEENS1_30default_config_static_selectorELNS0_4arch9wavefront6targetE1EEEvT1_,comdat
.Lfunc_end2909:
	.size	_ZN7rocprim17ROCPRIM_400000_NS6detail17trampoline_kernelINS0_14default_configENS1_25transform_config_selectorIhLb0EEEZNS1_14transform_implILb0ES3_S5_PhN6thrust23THRUST_200600_302600_NS6detail15normal_iteratorINS9_10device_ptrIhEEEENS0_8identityIhEEEE10hipError_tT2_T3_mT4_P12ihipStream_tbEUlT_E_NS1_11comp_targetILNS1_3genE0ELNS1_11target_archE4294967295ELNS1_3gpuE0ELNS1_3repE0EEENS1_30default_config_static_selectorELNS0_4arch9wavefront6targetE1EEEvT1_, .Lfunc_end2909-_ZN7rocprim17ROCPRIM_400000_NS6detail17trampoline_kernelINS0_14default_configENS1_25transform_config_selectorIhLb0EEEZNS1_14transform_implILb0ES3_S5_PhN6thrust23THRUST_200600_302600_NS6detail15normal_iteratorINS9_10device_ptrIhEEEENS0_8identityIhEEEE10hipError_tT2_T3_mT4_P12ihipStream_tbEUlT_E_NS1_11comp_targetILNS1_3genE0ELNS1_11target_archE4294967295ELNS1_3gpuE0ELNS1_3repE0EEENS1_30default_config_static_selectorELNS0_4arch9wavefront6targetE1EEEvT1_
                                        ; -- End function
	.section	.AMDGPU.csdata,"",@progbits
; Kernel info:
; codeLenInByte = 0
; NumSgprs: 4
; NumVgprs: 0
; NumAgprs: 0
; TotalNumVgprs: 0
; ScratchSize: 0
; MemoryBound: 0
; FloatMode: 240
; IeeeMode: 1
; LDSByteSize: 0 bytes/workgroup (compile time only)
; SGPRBlocks: 0
; VGPRBlocks: 0
; NumSGPRsForWavesPerEU: 4
; NumVGPRsForWavesPerEU: 1
; AccumOffset: 4
; Occupancy: 8
; WaveLimiterHint : 0
; COMPUTE_PGM_RSRC2:SCRATCH_EN: 0
; COMPUTE_PGM_RSRC2:USER_SGPR: 6
; COMPUTE_PGM_RSRC2:TRAP_HANDLER: 0
; COMPUTE_PGM_RSRC2:TGID_X_EN: 1
; COMPUTE_PGM_RSRC2:TGID_Y_EN: 0
; COMPUTE_PGM_RSRC2:TGID_Z_EN: 0
; COMPUTE_PGM_RSRC2:TIDIG_COMP_CNT: 0
; COMPUTE_PGM_RSRC3_GFX90A:ACCUM_OFFSET: 0
; COMPUTE_PGM_RSRC3_GFX90A:TG_SPLIT: 0
	.section	.text._ZN7rocprim17ROCPRIM_400000_NS6detail17trampoline_kernelINS0_14default_configENS1_25transform_config_selectorIhLb0EEEZNS1_14transform_implILb0ES3_S5_PhN6thrust23THRUST_200600_302600_NS6detail15normal_iteratorINS9_10device_ptrIhEEEENS0_8identityIhEEEE10hipError_tT2_T3_mT4_P12ihipStream_tbEUlT_E_NS1_11comp_targetILNS1_3genE5ELNS1_11target_archE942ELNS1_3gpuE9ELNS1_3repE0EEENS1_30default_config_static_selectorELNS0_4arch9wavefront6targetE1EEEvT1_,"axG",@progbits,_ZN7rocprim17ROCPRIM_400000_NS6detail17trampoline_kernelINS0_14default_configENS1_25transform_config_selectorIhLb0EEEZNS1_14transform_implILb0ES3_S5_PhN6thrust23THRUST_200600_302600_NS6detail15normal_iteratorINS9_10device_ptrIhEEEENS0_8identityIhEEEE10hipError_tT2_T3_mT4_P12ihipStream_tbEUlT_E_NS1_11comp_targetILNS1_3genE5ELNS1_11target_archE942ELNS1_3gpuE9ELNS1_3repE0EEENS1_30default_config_static_selectorELNS0_4arch9wavefront6targetE1EEEvT1_,comdat
	.protected	_ZN7rocprim17ROCPRIM_400000_NS6detail17trampoline_kernelINS0_14default_configENS1_25transform_config_selectorIhLb0EEEZNS1_14transform_implILb0ES3_S5_PhN6thrust23THRUST_200600_302600_NS6detail15normal_iteratorINS9_10device_ptrIhEEEENS0_8identityIhEEEE10hipError_tT2_T3_mT4_P12ihipStream_tbEUlT_E_NS1_11comp_targetILNS1_3genE5ELNS1_11target_archE942ELNS1_3gpuE9ELNS1_3repE0EEENS1_30default_config_static_selectorELNS0_4arch9wavefront6targetE1EEEvT1_ ; -- Begin function _ZN7rocprim17ROCPRIM_400000_NS6detail17trampoline_kernelINS0_14default_configENS1_25transform_config_selectorIhLb0EEEZNS1_14transform_implILb0ES3_S5_PhN6thrust23THRUST_200600_302600_NS6detail15normal_iteratorINS9_10device_ptrIhEEEENS0_8identityIhEEEE10hipError_tT2_T3_mT4_P12ihipStream_tbEUlT_E_NS1_11comp_targetILNS1_3genE5ELNS1_11target_archE942ELNS1_3gpuE9ELNS1_3repE0EEENS1_30default_config_static_selectorELNS0_4arch9wavefront6targetE1EEEvT1_
	.globl	_ZN7rocprim17ROCPRIM_400000_NS6detail17trampoline_kernelINS0_14default_configENS1_25transform_config_selectorIhLb0EEEZNS1_14transform_implILb0ES3_S5_PhN6thrust23THRUST_200600_302600_NS6detail15normal_iteratorINS9_10device_ptrIhEEEENS0_8identityIhEEEE10hipError_tT2_T3_mT4_P12ihipStream_tbEUlT_E_NS1_11comp_targetILNS1_3genE5ELNS1_11target_archE942ELNS1_3gpuE9ELNS1_3repE0EEENS1_30default_config_static_selectorELNS0_4arch9wavefront6targetE1EEEvT1_
	.p2align	8
	.type	_ZN7rocprim17ROCPRIM_400000_NS6detail17trampoline_kernelINS0_14default_configENS1_25transform_config_selectorIhLb0EEEZNS1_14transform_implILb0ES3_S5_PhN6thrust23THRUST_200600_302600_NS6detail15normal_iteratorINS9_10device_ptrIhEEEENS0_8identityIhEEEE10hipError_tT2_T3_mT4_P12ihipStream_tbEUlT_E_NS1_11comp_targetILNS1_3genE5ELNS1_11target_archE942ELNS1_3gpuE9ELNS1_3repE0EEENS1_30default_config_static_selectorELNS0_4arch9wavefront6targetE1EEEvT1_,@function
_ZN7rocprim17ROCPRIM_400000_NS6detail17trampoline_kernelINS0_14default_configENS1_25transform_config_selectorIhLb0EEEZNS1_14transform_implILb0ES3_S5_PhN6thrust23THRUST_200600_302600_NS6detail15normal_iteratorINS9_10device_ptrIhEEEENS0_8identityIhEEEE10hipError_tT2_T3_mT4_P12ihipStream_tbEUlT_E_NS1_11comp_targetILNS1_3genE5ELNS1_11target_archE942ELNS1_3gpuE9ELNS1_3repE0EEENS1_30default_config_static_selectorELNS0_4arch9wavefront6targetE1EEEvT1_: ; @_ZN7rocprim17ROCPRIM_400000_NS6detail17trampoline_kernelINS0_14default_configENS1_25transform_config_selectorIhLb0EEEZNS1_14transform_implILb0ES3_S5_PhN6thrust23THRUST_200600_302600_NS6detail15normal_iteratorINS9_10device_ptrIhEEEENS0_8identityIhEEEE10hipError_tT2_T3_mT4_P12ihipStream_tbEUlT_E_NS1_11comp_targetILNS1_3genE5ELNS1_11target_archE942ELNS1_3gpuE9ELNS1_3repE0EEENS1_30default_config_static_selectorELNS0_4arch9wavefront6targetE1EEEvT1_
; %bb.0:
	.section	.rodata,"a",@progbits
	.p2align	6, 0x0
	.amdhsa_kernel _ZN7rocprim17ROCPRIM_400000_NS6detail17trampoline_kernelINS0_14default_configENS1_25transform_config_selectorIhLb0EEEZNS1_14transform_implILb0ES3_S5_PhN6thrust23THRUST_200600_302600_NS6detail15normal_iteratorINS9_10device_ptrIhEEEENS0_8identityIhEEEE10hipError_tT2_T3_mT4_P12ihipStream_tbEUlT_E_NS1_11comp_targetILNS1_3genE5ELNS1_11target_archE942ELNS1_3gpuE9ELNS1_3repE0EEENS1_30default_config_static_selectorELNS0_4arch9wavefront6targetE1EEEvT1_
		.amdhsa_group_segment_fixed_size 0
		.amdhsa_private_segment_fixed_size 0
		.amdhsa_kernarg_size 40
		.amdhsa_user_sgpr_count 6
		.amdhsa_user_sgpr_private_segment_buffer 1
		.amdhsa_user_sgpr_dispatch_ptr 0
		.amdhsa_user_sgpr_queue_ptr 0
		.amdhsa_user_sgpr_kernarg_segment_ptr 1
		.amdhsa_user_sgpr_dispatch_id 0
		.amdhsa_user_sgpr_flat_scratch_init 0
		.amdhsa_user_sgpr_kernarg_preload_length 0
		.amdhsa_user_sgpr_kernarg_preload_offset 0
		.amdhsa_user_sgpr_private_segment_size 0
		.amdhsa_uses_dynamic_stack 0
		.amdhsa_system_sgpr_private_segment_wavefront_offset 0
		.amdhsa_system_sgpr_workgroup_id_x 1
		.amdhsa_system_sgpr_workgroup_id_y 0
		.amdhsa_system_sgpr_workgroup_id_z 0
		.amdhsa_system_sgpr_workgroup_info 0
		.amdhsa_system_vgpr_workitem_id 0
		.amdhsa_next_free_vgpr 1
		.amdhsa_next_free_sgpr 0
		.amdhsa_accum_offset 4
		.amdhsa_reserve_vcc 0
		.amdhsa_reserve_flat_scratch 0
		.amdhsa_float_round_mode_32 0
		.amdhsa_float_round_mode_16_64 0
		.amdhsa_float_denorm_mode_32 3
		.amdhsa_float_denorm_mode_16_64 3
		.amdhsa_dx10_clamp 1
		.amdhsa_ieee_mode 1
		.amdhsa_fp16_overflow 0
		.amdhsa_tg_split 0
		.amdhsa_exception_fp_ieee_invalid_op 0
		.amdhsa_exception_fp_denorm_src 0
		.amdhsa_exception_fp_ieee_div_zero 0
		.amdhsa_exception_fp_ieee_overflow 0
		.amdhsa_exception_fp_ieee_underflow 0
		.amdhsa_exception_fp_ieee_inexact 0
		.amdhsa_exception_int_div_zero 0
	.end_amdhsa_kernel
	.section	.text._ZN7rocprim17ROCPRIM_400000_NS6detail17trampoline_kernelINS0_14default_configENS1_25transform_config_selectorIhLb0EEEZNS1_14transform_implILb0ES3_S5_PhN6thrust23THRUST_200600_302600_NS6detail15normal_iteratorINS9_10device_ptrIhEEEENS0_8identityIhEEEE10hipError_tT2_T3_mT4_P12ihipStream_tbEUlT_E_NS1_11comp_targetILNS1_3genE5ELNS1_11target_archE942ELNS1_3gpuE9ELNS1_3repE0EEENS1_30default_config_static_selectorELNS0_4arch9wavefront6targetE1EEEvT1_,"axG",@progbits,_ZN7rocprim17ROCPRIM_400000_NS6detail17trampoline_kernelINS0_14default_configENS1_25transform_config_selectorIhLb0EEEZNS1_14transform_implILb0ES3_S5_PhN6thrust23THRUST_200600_302600_NS6detail15normal_iteratorINS9_10device_ptrIhEEEENS0_8identityIhEEEE10hipError_tT2_T3_mT4_P12ihipStream_tbEUlT_E_NS1_11comp_targetILNS1_3genE5ELNS1_11target_archE942ELNS1_3gpuE9ELNS1_3repE0EEENS1_30default_config_static_selectorELNS0_4arch9wavefront6targetE1EEEvT1_,comdat
.Lfunc_end2910:
	.size	_ZN7rocprim17ROCPRIM_400000_NS6detail17trampoline_kernelINS0_14default_configENS1_25transform_config_selectorIhLb0EEEZNS1_14transform_implILb0ES3_S5_PhN6thrust23THRUST_200600_302600_NS6detail15normal_iteratorINS9_10device_ptrIhEEEENS0_8identityIhEEEE10hipError_tT2_T3_mT4_P12ihipStream_tbEUlT_E_NS1_11comp_targetILNS1_3genE5ELNS1_11target_archE942ELNS1_3gpuE9ELNS1_3repE0EEENS1_30default_config_static_selectorELNS0_4arch9wavefront6targetE1EEEvT1_, .Lfunc_end2910-_ZN7rocprim17ROCPRIM_400000_NS6detail17trampoline_kernelINS0_14default_configENS1_25transform_config_selectorIhLb0EEEZNS1_14transform_implILb0ES3_S5_PhN6thrust23THRUST_200600_302600_NS6detail15normal_iteratorINS9_10device_ptrIhEEEENS0_8identityIhEEEE10hipError_tT2_T3_mT4_P12ihipStream_tbEUlT_E_NS1_11comp_targetILNS1_3genE5ELNS1_11target_archE942ELNS1_3gpuE9ELNS1_3repE0EEENS1_30default_config_static_selectorELNS0_4arch9wavefront6targetE1EEEvT1_
                                        ; -- End function
	.section	.AMDGPU.csdata,"",@progbits
; Kernel info:
; codeLenInByte = 0
; NumSgprs: 4
; NumVgprs: 0
; NumAgprs: 0
; TotalNumVgprs: 0
; ScratchSize: 0
; MemoryBound: 0
; FloatMode: 240
; IeeeMode: 1
; LDSByteSize: 0 bytes/workgroup (compile time only)
; SGPRBlocks: 0
; VGPRBlocks: 0
; NumSGPRsForWavesPerEU: 4
; NumVGPRsForWavesPerEU: 1
; AccumOffset: 4
; Occupancy: 8
; WaveLimiterHint : 0
; COMPUTE_PGM_RSRC2:SCRATCH_EN: 0
; COMPUTE_PGM_RSRC2:USER_SGPR: 6
; COMPUTE_PGM_RSRC2:TRAP_HANDLER: 0
; COMPUTE_PGM_RSRC2:TGID_X_EN: 1
; COMPUTE_PGM_RSRC2:TGID_Y_EN: 0
; COMPUTE_PGM_RSRC2:TGID_Z_EN: 0
; COMPUTE_PGM_RSRC2:TIDIG_COMP_CNT: 0
; COMPUTE_PGM_RSRC3_GFX90A:ACCUM_OFFSET: 0
; COMPUTE_PGM_RSRC3_GFX90A:TG_SPLIT: 0
	.section	.text._ZN7rocprim17ROCPRIM_400000_NS6detail17trampoline_kernelINS0_14default_configENS1_25transform_config_selectorIhLb0EEEZNS1_14transform_implILb0ES3_S5_PhN6thrust23THRUST_200600_302600_NS6detail15normal_iteratorINS9_10device_ptrIhEEEENS0_8identityIhEEEE10hipError_tT2_T3_mT4_P12ihipStream_tbEUlT_E_NS1_11comp_targetILNS1_3genE4ELNS1_11target_archE910ELNS1_3gpuE8ELNS1_3repE0EEENS1_30default_config_static_selectorELNS0_4arch9wavefront6targetE1EEEvT1_,"axG",@progbits,_ZN7rocprim17ROCPRIM_400000_NS6detail17trampoline_kernelINS0_14default_configENS1_25transform_config_selectorIhLb0EEEZNS1_14transform_implILb0ES3_S5_PhN6thrust23THRUST_200600_302600_NS6detail15normal_iteratorINS9_10device_ptrIhEEEENS0_8identityIhEEEE10hipError_tT2_T3_mT4_P12ihipStream_tbEUlT_E_NS1_11comp_targetILNS1_3genE4ELNS1_11target_archE910ELNS1_3gpuE8ELNS1_3repE0EEENS1_30default_config_static_selectorELNS0_4arch9wavefront6targetE1EEEvT1_,comdat
	.protected	_ZN7rocprim17ROCPRIM_400000_NS6detail17trampoline_kernelINS0_14default_configENS1_25transform_config_selectorIhLb0EEEZNS1_14transform_implILb0ES3_S5_PhN6thrust23THRUST_200600_302600_NS6detail15normal_iteratorINS9_10device_ptrIhEEEENS0_8identityIhEEEE10hipError_tT2_T3_mT4_P12ihipStream_tbEUlT_E_NS1_11comp_targetILNS1_3genE4ELNS1_11target_archE910ELNS1_3gpuE8ELNS1_3repE0EEENS1_30default_config_static_selectorELNS0_4arch9wavefront6targetE1EEEvT1_ ; -- Begin function _ZN7rocprim17ROCPRIM_400000_NS6detail17trampoline_kernelINS0_14default_configENS1_25transform_config_selectorIhLb0EEEZNS1_14transform_implILb0ES3_S5_PhN6thrust23THRUST_200600_302600_NS6detail15normal_iteratorINS9_10device_ptrIhEEEENS0_8identityIhEEEE10hipError_tT2_T3_mT4_P12ihipStream_tbEUlT_E_NS1_11comp_targetILNS1_3genE4ELNS1_11target_archE910ELNS1_3gpuE8ELNS1_3repE0EEENS1_30default_config_static_selectorELNS0_4arch9wavefront6targetE1EEEvT1_
	.globl	_ZN7rocprim17ROCPRIM_400000_NS6detail17trampoline_kernelINS0_14default_configENS1_25transform_config_selectorIhLb0EEEZNS1_14transform_implILb0ES3_S5_PhN6thrust23THRUST_200600_302600_NS6detail15normal_iteratorINS9_10device_ptrIhEEEENS0_8identityIhEEEE10hipError_tT2_T3_mT4_P12ihipStream_tbEUlT_E_NS1_11comp_targetILNS1_3genE4ELNS1_11target_archE910ELNS1_3gpuE8ELNS1_3repE0EEENS1_30default_config_static_selectorELNS0_4arch9wavefront6targetE1EEEvT1_
	.p2align	8
	.type	_ZN7rocprim17ROCPRIM_400000_NS6detail17trampoline_kernelINS0_14default_configENS1_25transform_config_selectorIhLb0EEEZNS1_14transform_implILb0ES3_S5_PhN6thrust23THRUST_200600_302600_NS6detail15normal_iteratorINS9_10device_ptrIhEEEENS0_8identityIhEEEE10hipError_tT2_T3_mT4_P12ihipStream_tbEUlT_E_NS1_11comp_targetILNS1_3genE4ELNS1_11target_archE910ELNS1_3gpuE8ELNS1_3repE0EEENS1_30default_config_static_selectorELNS0_4arch9wavefront6targetE1EEEvT1_,@function
_ZN7rocprim17ROCPRIM_400000_NS6detail17trampoline_kernelINS0_14default_configENS1_25transform_config_selectorIhLb0EEEZNS1_14transform_implILb0ES3_S5_PhN6thrust23THRUST_200600_302600_NS6detail15normal_iteratorINS9_10device_ptrIhEEEENS0_8identityIhEEEE10hipError_tT2_T3_mT4_P12ihipStream_tbEUlT_E_NS1_11comp_targetILNS1_3genE4ELNS1_11target_archE910ELNS1_3gpuE8ELNS1_3repE0EEENS1_30default_config_static_selectorELNS0_4arch9wavefront6targetE1EEEvT1_: ; @_ZN7rocprim17ROCPRIM_400000_NS6detail17trampoline_kernelINS0_14default_configENS1_25transform_config_selectorIhLb0EEEZNS1_14transform_implILb0ES3_S5_PhN6thrust23THRUST_200600_302600_NS6detail15normal_iteratorINS9_10device_ptrIhEEEENS0_8identityIhEEEE10hipError_tT2_T3_mT4_P12ihipStream_tbEUlT_E_NS1_11comp_targetILNS1_3genE4ELNS1_11target_archE910ELNS1_3gpuE8ELNS1_3repE0EEENS1_30default_config_static_selectorELNS0_4arch9wavefront6targetE1EEEvT1_
; %bb.0:
	s_load_dwordx8 s[8:15], s[4:5], 0x0
	s_load_dword s0, s[4:5], 0x28
	s_waitcnt lgkmcnt(0)
	s_add_u32 s1, s8, s10
	s_addc_u32 s2, s9, s11
	s_add_u32 s33, s14, s10
	s_addc_u32 s38, s15, s11
	s_lshl_b32 s39, s6, 10
	s_add_i32 s0, s0, -1
	s_add_u32 s36, s1, s39
	s_addc_u32 s37, s2, 0
	s_cmp_lg_u32 s6, s0
	s_cbranch_scc0 .LBB2911_2
; %bb.1:
	global_load_ubyte v1, v0, s[36:37]
	global_load_ubyte v5, v0, s[36:37] offset:64
	global_load_ubyte v6, v0, s[36:37] offset:128
	;; [unrolled: 1-line block ×15, first 2 shown]
	s_add_u32 s2, s33, s39
	s_addc_u32 s3, s38, 0
	v_mov_b32_e32 v3, s3
	v_add_co_u32_e32 v2, vcc, s2, v0
	v_addc_co_u32_e32 v3, vcc, 0, v3, vcc
	s_mov_b64 s[34:35], -1
	s_waitcnt vmcnt(15)
	flat_store_byte v[2:3], v1
	s_waitcnt vmcnt(0)
	flat_store_byte v[2:3], v5 offset:64
	flat_store_byte v[2:3], v6 offset:128
	;; [unrolled: 1-line block ×14, first 2 shown]
	s_cbranch_execz .LBB2911_3
	s_branch .LBB2911_70
.LBB2911_2:
	s_mov_b64 s[34:35], 0
                                        ; implicit-def: $vgpr4
                                        ; implicit-def: $vgpr2_vgpr3
.LBB2911_3:
	s_sub_i32 s30, s12, s39
	v_cmp_gt_u32_e32 vcc, s30, v0
                                        ; implicit-def: $vgpr1
	s_and_saveexec_b64 s[0:1], vcc
	s_cbranch_execz .LBB2911_5
; %bb.4:
	global_load_ubyte v1, v0, s[36:37]
.LBB2911_5:
	s_or_b64 exec, exec, s[0:1]
	v_or_b32_e32 v2, 64, v0
	v_cmp_gt_u32_e64 s[0:1], s30, v2
                                        ; implicit-def: $vgpr4
	s_and_saveexec_b64 s[2:3], s[0:1]
	s_cbranch_execz .LBB2911_7
; %bb.6:
	global_load_ubyte v4, v0, s[36:37] offset:64
.LBB2911_7:
	s_or_b64 exec, exec, s[2:3]
	v_or_b32_e32 v2, 0x80, v0
	v_cmp_gt_u32_e64 s[2:3], s30, v2
                                        ; implicit-def: $vgpr5
	s_and_saveexec_b64 s[4:5], s[2:3]
	s_cbranch_execz .LBB2911_9
; %bb.8:
	global_load_ubyte v5, v0, s[36:37] offset:128
.LBB2911_9:
	s_or_b64 exec, exec, s[4:5]
	v_or_b32_e32 v2, 0xc0, v0
	v_cmp_gt_u32_e64 s[4:5], s30, v2
                                        ; implicit-def: $vgpr6
	s_and_saveexec_b64 s[6:7], s[4:5]
	s_cbranch_execz .LBB2911_11
; %bb.10:
	global_load_ubyte v6, v0, s[36:37] offset:192
.LBB2911_11:
	s_or_b64 exec, exec, s[6:7]
	v_or_b32_e32 v2, 0x100, v0
	v_cmp_gt_u32_e64 s[6:7], s30, v2
                                        ; implicit-def: $vgpr7
	s_and_saveexec_b64 s[8:9], s[6:7]
	s_cbranch_execz .LBB2911_13
; %bb.12:
	global_load_ubyte v7, v0, s[36:37] offset:256
.LBB2911_13:
	s_or_b64 exec, exec, s[8:9]
	v_or_b32_e32 v2, 0x140, v0
	v_cmp_gt_u32_e64 s[8:9], s30, v2
                                        ; implicit-def: $vgpr8
	s_and_saveexec_b64 s[10:11], s[8:9]
	s_cbranch_execz .LBB2911_15
; %bb.14:
	global_load_ubyte v8, v0, s[36:37] offset:320
.LBB2911_15:
	s_or_b64 exec, exec, s[10:11]
	v_or_b32_e32 v2, 0x180, v0
	v_cmp_gt_u32_e64 s[10:11], s30, v2
                                        ; implicit-def: $vgpr9
	s_and_saveexec_b64 s[12:13], s[10:11]
	s_cbranch_execz .LBB2911_17
; %bb.16:
	global_load_ubyte v9, v0, s[36:37] offset:384
.LBB2911_17:
	s_or_b64 exec, exec, s[12:13]
	v_or_b32_e32 v2, 0x1c0, v0
	v_cmp_gt_u32_e64 s[12:13], s30, v2
                                        ; implicit-def: $vgpr10
	s_and_saveexec_b64 s[14:15], s[12:13]
	s_cbranch_execz .LBB2911_19
; %bb.18:
	global_load_ubyte v10, v0, s[36:37] offset:448
.LBB2911_19:
	s_or_b64 exec, exec, s[14:15]
	v_or_b32_e32 v2, 0x200, v0
	v_cmp_gt_u32_e64 s[14:15], s30, v2
                                        ; implicit-def: $vgpr11
	s_and_saveexec_b64 s[16:17], s[14:15]
	s_cbranch_execz .LBB2911_21
; %bb.20:
	global_load_ubyte v11, v0, s[36:37] offset:512
.LBB2911_21:
	s_or_b64 exec, exec, s[16:17]
	v_or_b32_e32 v2, 0x240, v0
	v_cmp_gt_u32_e64 s[16:17], s30, v2
                                        ; implicit-def: $vgpr12
	s_and_saveexec_b64 s[18:19], s[16:17]
	s_cbranch_execz .LBB2911_23
; %bb.22:
	global_load_ubyte v12, v0, s[36:37] offset:576
.LBB2911_23:
	s_or_b64 exec, exec, s[18:19]
	v_or_b32_e32 v2, 0x280, v0
	v_cmp_gt_u32_e64 s[18:19], s30, v2
                                        ; implicit-def: $vgpr13
	s_and_saveexec_b64 s[20:21], s[18:19]
	s_cbranch_execz .LBB2911_25
; %bb.24:
	global_load_ubyte v13, v0, s[36:37] offset:640
.LBB2911_25:
	s_or_b64 exec, exec, s[20:21]
	v_or_b32_e32 v2, 0x2c0, v0
	v_cmp_gt_u32_e64 s[20:21], s30, v2
                                        ; implicit-def: $vgpr14
	s_and_saveexec_b64 s[22:23], s[20:21]
	s_cbranch_execz .LBB2911_27
; %bb.26:
	global_load_ubyte v14, v0, s[36:37] offset:704
.LBB2911_27:
	s_or_b64 exec, exec, s[22:23]
	v_or_b32_e32 v2, 0x300, v0
	v_cmp_gt_u32_e64 s[22:23], s30, v2
                                        ; implicit-def: $vgpr15
	s_and_saveexec_b64 s[24:25], s[22:23]
	s_cbranch_execz .LBB2911_29
; %bb.28:
	global_load_ubyte v15, v0, s[36:37] offset:768
.LBB2911_29:
	s_or_b64 exec, exec, s[24:25]
	v_or_b32_e32 v2, 0x340, v0
	v_cmp_gt_u32_e64 s[24:25], s30, v2
                                        ; implicit-def: $vgpr16
	s_and_saveexec_b64 s[26:27], s[24:25]
	s_cbranch_execz .LBB2911_31
; %bb.30:
	global_load_ubyte v16, v0, s[36:37] offset:832
.LBB2911_31:
	s_or_b64 exec, exec, s[26:27]
	v_or_b32_e32 v2, 0x380, v0
	v_cmp_gt_u32_e64 s[26:27], s30, v2
                                        ; implicit-def: $vgpr17
	s_and_saveexec_b64 s[28:29], s[26:27]
	s_cbranch_execz .LBB2911_33
; %bb.32:
	global_load_ubyte v17, v0, s[36:37] offset:896
.LBB2911_33:
	s_or_b64 exec, exec, s[28:29]
	v_or_b32_e32 v2, 0x3c0, v0
	v_cmp_gt_u32_e64 s[28:29], s30, v2
	v_cmp_le_u32_e64 s[30:31], s30, v2
	s_and_saveexec_b64 s[40:41], s[30:31]
	s_xor_b64 s[30:31], exec, s[40:41]
                                        ; implicit-def: $vgpr2_vgpr3
; %bb.34:
	v_mov_b32_e32 v3, 0
; %bb.35:
	s_or_saveexec_b64 s[30:31], s[30:31]
                                        ; implicit-def: $vgpr2
	s_xor_b64 exec, exec, s[30:31]
	s_cbranch_execz .LBB2911_37
; %bb.36:
	global_load_ubyte v2, v0, s[36:37] offset:960
	v_mov_b32_e32 v3, 0
.LBB2911_37:
	s_or_b64 exec, exec, s[30:31]
	s_waitcnt vmcnt(0)
	v_lshlrev_b16_e32 v4, 8, v4
	v_or_b32_sdwa v1, v1, v4 dst_sel:DWORD dst_unused:UNUSED_PAD src0_sel:BYTE_0 src1_sel:DWORD
	v_lshlrev_b16_e32 v4, 8, v6
	v_or_b32_sdwa v4, v5, v4 dst_sel:WORD_1 dst_unused:UNUSED_PAD src0_sel:BYTE_0 src1_sel:DWORD
	v_or_b32_sdwa v6, v1, v4 dst_sel:DWORD dst_unused:UNUSED_PAD src0_sel:WORD_0 src1_sel:DWORD
	v_lshlrev_b16_e32 v1, 8, v8
	v_lshlrev_b16_e32 v4, 8, v10
	v_or_b32_sdwa v1, v7, v1 dst_sel:DWORD dst_unused:UNUSED_PAD src0_sel:BYTE_0 src1_sel:DWORD
	v_or_b32_sdwa v4, v9, v4 dst_sel:WORD_1 dst_unused:UNUSED_PAD src0_sel:BYTE_0 src1_sel:DWORD
	v_or_b32_sdwa v5, v1, v4 dst_sel:DWORD dst_unused:UNUSED_PAD src0_sel:WORD_0 src1_sel:DWORD
	v_lshlrev_b16_e32 v1, 8, v12
	v_lshlrev_b16_e32 v4, 8, v14
	v_or_b32_sdwa v1, v11, v1 dst_sel:DWORD dst_unused:UNUSED_PAD src0_sel:BYTE_0 src1_sel:DWORD
	v_or_b32_sdwa v4, v13, v4 dst_sel:WORD_1 dst_unused:UNUSED_PAD src0_sel:BYTE_0 src1_sel:DWORD
	v_or_b32_sdwa v4, v1, v4 dst_sel:DWORD dst_unused:UNUSED_PAD src0_sel:WORD_0 src1_sel:DWORD
	v_lshlrev_b16_e32 v1, 8, v16
	v_lshlrev_b16_e32 v2, 8, v2
	s_add_u32 s30, s33, s39
	v_or_b32_sdwa v1, v15, v1 dst_sel:DWORD dst_unused:UNUSED_PAD src0_sel:BYTE_0 src1_sel:DWORD
	v_or_b32_sdwa v2, v17, v2 dst_sel:WORD_1 dst_unused:UNUSED_PAD src0_sel:BYTE_0 src1_sel:DWORD
	s_addc_u32 s31, s38, 0
	v_or_b32_sdwa v1, v1, v2 dst_sel:DWORD dst_unused:UNUSED_PAD src0_sel:WORD_0 src1_sel:DWORD
	v_mov_b32_e32 v7, s31
	v_add_co_u32_e64 v2, s[30:31], s30, v0
	v_addc_co_u32_e64 v3, s[30:31], v7, v3, s[30:31]
	s_and_saveexec_b64 s[30:31], vcc
	s_cbranch_execz .LBB2911_39
; %bb.38:
	flat_store_byte v[2:3], v6
.LBB2911_39:
	s_or_b64 exec, exec, s[30:31]
	s_and_saveexec_b64 s[30:31], s[0:1]
	s_cbranch_execz .LBB2911_41
; %bb.40:
	v_lshrrev_b32_e32 v0, 8, v6
	flat_store_byte v[2:3], v0 offset:64
.LBB2911_41:
	s_or_b64 exec, exec, s[30:31]
	s_mov_b32 s0, 0x7060104
	v_perm_b32 v0, v6, v6, s0
	v_cndmask_b32_e64 v7, v0, v6, s[2:3]
	s_and_saveexec_b64 s[0:1], s[2:3]
	s_cbranch_execz .LBB2911_43
; %bb.42:
	flat_store_byte_d16_hi v[2:3], v7 offset:128
.LBB2911_43:
	s_or_b64 exec, exec, s[0:1]
	s_mov_b32 s0, 0x7020504
	v_perm_b32 v0, v0, v7, s0
	v_cndmask_b32_e64 v0, v0, v6, s[4:5]
	s_and_saveexec_b64 s[0:1], s[4:5]
	s_cbranch_execz .LBB2911_45
; %bb.44:
	v_lshrrev_b32_e32 v0, 24, v0
	flat_store_byte v[2:3], v0 offset:192
.LBB2911_45:
	s_or_b64 exec, exec, s[0:1]
	s_and_saveexec_b64 s[0:1], s[6:7]
	s_cbranch_execz .LBB2911_47
; %bb.46:
	flat_store_byte v[2:3], v5 offset:256
.LBB2911_47:
	s_or_b64 exec, exec, s[0:1]
	s_mov_b32 s0, 0x3020104
	v_perm_b32 v0, v5, v5, s0
	v_cndmask_b32_e64 v6, v0, v5, s[8:9]
	s_and_saveexec_b64 s[0:1], s[8:9]
	s_cbranch_execz .LBB2911_49
; %bb.48:
	v_lshrrev_b32_e32 v7, 8, v6
	flat_store_byte v[2:3], v7 offset:320
.LBB2911_49:
	s_or_b64 exec, exec, s[0:1]
	s_mov_b32 s0, 0x7060104
	v_perm_b32 v0, v0, v6, s0
	v_cndmask_b32_e64 v6, v0, v5, s[10:11]
	s_and_saveexec_b64 s[0:1], s[10:11]
	s_cbranch_execz .LBB2911_51
; %bb.50:
	flat_store_byte_d16_hi v[2:3], v6 offset:384
.LBB2911_51:
	s_or_b64 exec, exec, s[0:1]
	s_mov_b32 s0, 0x7020504
	v_perm_b32 v0, v0, v6, s0
	v_cndmask_b32_e64 v0, v0, v5, s[12:13]
	s_and_saveexec_b64 s[0:1], s[12:13]
	s_cbranch_execz .LBB2911_53
; %bb.52:
	v_lshrrev_b32_e32 v0, 24, v0
	flat_store_byte v[2:3], v0 offset:448
.LBB2911_53:
	s_or_b64 exec, exec, s[0:1]
	s_and_saveexec_b64 s[0:1], s[14:15]
	s_cbranch_execz .LBB2911_55
; %bb.54:
	flat_store_byte v[2:3], v4 offset:512
.LBB2911_55:
	s_or_b64 exec, exec, s[0:1]
	s_mov_b32 s0, 0x3020104
	v_perm_b32 v0, v4, v4, s0
	v_cndmask_b32_e64 v5, v0, v4, s[16:17]
	;; [unrolled: 35-line block ×3, first 2 shown]
	s_and_saveexec_b64 s[0:1], s[24:25]
	s_cbranch_execz .LBB2911_65
; %bb.64:
	v_lshrrev_b32_e32 v5, 8, v4
	flat_store_byte v[2:3], v5 offset:832
.LBB2911_65:
	s_or_b64 exec, exec, s[0:1]
	s_mov_b32 s0, 0x7060104
	v_perm_b32 v0, v0, v4, s0
	s_and_saveexec_b64 s[0:1], s[26:27]
	s_cbranch_execz .LBB2911_67
; %bb.66:
	v_cndmask_b32_e64 v4, v0, v1, s[26:27]
	flat_store_byte_d16_hi v[2:3], v4 offset:896
.LBB2911_67:
	s_or_b64 exec, exec, s[0:1]
                                        ; implicit-def: $vgpr4
	s_and_saveexec_b64 s[0:1], s[28:29]
; %bb.68:
	v_cndmask_b32_e64 v0, v0, v1, s[28:29]
	v_lshrrev_b32_e32 v4, 24, v0
	s_or_b64 s[34:35], s[34:35], exec
; %bb.69:
	s_or_b64 exec, exec, s[0:1]
.LBB2911_70:
	s_and_saveexec_b64 s[0:1], s[34:35]
	s_cbranch_execnz .LBB2911_72
; %bb.71:
	s_endpgm
.LBB2911_72:
	flat_store_byte v[2:3], v4 offset:960
	s_endpgm
	.section	.rodata,"a",@progbits
	.p2align	6, 0x0
	.amdhsa_kernel _ZN7rocprim17ROCPRIM_400000_NS6detail17trampoline_kernelINS0_14default_configENS1_25transform_config_selectorIhLb0EEEZNS1_14transform_implILb0ES3_S5_PhN6thrust23THRUST_200600_302600_NS6detail15normal_iteratorINS9_10device_ptrIhEEEENS0_8identityIhEEEE10hipError_tT2_T3_mT4_P12ihipStream_tbEUlT_E_NS1_11comp_targetILNS1_3genE4ELNS1_11target_archE910ELNS1_3gpuE8ELNS1_3repE0EEENS1_30default_config_static_selectorELNS0_4arch9wavefront6targetE1EEEvT1_
		.amdhsa_group_segment_fixed_size 0
		.amdhsa_private_segment_fixed_size 0
		.amdhsa_kernarg_size 296
		.amdhsa_user_sgpr_count 6
		.amdhsa_user_sgpr_private_segment_buffer 1
		.amdhsa_user_sgpr_dispatch_ptr 0
		.amdhsa_user_sgpr_queue_ptr 0
		.amdhsa_user_sgpr_kernarg_segment_ptr 1
		.amdhsa_user_sgpr_dispatch_id 0
		.amdhsa_user_sgpr_flat_scratch_init 0
		.amdhsa_user_sgpr_kernarg_preload_length 0
		.amdhsa_user_sgpr_kernarg_preload_offset 0
		.amdhsa_user_sgpr_private_segment_size 0
		.amdhsa_uses_dynamic_stack 0
		.amdhsa_system_sgpr_private_segment_wavefront_offset 0
		.amdhsa_system_sgpr_workgroup_id_x 1
		.amdhsa_system_sgpr_workgroup_id_y 0
		.amdhsa_system_sgpr_workgroup_id_z 0
		.amdhsa_system_sgpr_workgroup_info 0
		.amdhsa_system_vgpr_workitem_id 0
		.amdhsa_next_free_vgpr 19
		.amdhsa_next_free_sgpr 42
		.amdhsa_accum_offset 20
		.amdhsa_reserve_vcc 1
		.amdhsa_reserve_flat_scratch 0
		.amdhsa_float_round_mode_32 0
		.amdhsa_float_round_mode_16_64 0
		.amdhsa_float_denorm_mode_32 3
		.amdhsa_float_denorm_mode_16_64 3
		.amdhsa_dx10_clamp 1
		.amdhsa_ieee_mode 1
		.amdhsa_fp16_overflow 0
		.amdhsa_tg_split 0
		.amdhsa_exception_fp_ieee_invalid_op 0
		.amdhsa_exception_fp_denorm_src 0
		.amdhsa_exception_fp_ieee_div_zero 0
		.amdhsa_exception_fp_ieee_overflow 0
		.amdhsa_exception_fp_ieee_underflow 0
		.amdhsa_exception_fp_ieee_inexact 0
		.amdhsa_exception_int_div_zero 0
	.end_amdhsa_kernel
	.section	.text._ZN7rocprim17ROCPRIM_400000_NS6detail17trampoline_kernelINS0_14default_configENS1_25transform_config_selectorIhLb0EEEZNS1_14transform_implILb0ES3_S5_PhN6thrust23THRUST_200600_302600_NS6detail15normal_iteratorINS9_10device_ptrIhEEEENS0_8identityIhEEEE10hipError_tT2_T3_mT4_P12ihipStream_tbEUlT_E_NS1_11comp_targetILNS1_3genE4ELNS1_11target_archE910ELNS1_3gpuE8ELNS1_3repE0EEENS1_30default_config_static_selectorELNS0_4arch9wavefront6targetE1EEEvT1_,"axG",@progbits,_ZN7rocprim17ROCPRIM_400000_NS6detail17trampoline_kernelINS0_14default_configENS1_25transform_config_selectorIhLb0EEEZNS1_14transform_implILb0ES3_S5_PhN6thrust23THRUST_200600_302600_NS6detail15normal_iteratorINS9_10device_ptrIhEEEENS0_8identityIhEEEE10hipError_tT2_T3_mT4_P12ihipStream_tbEUlT_E_NS1_11comp_targetILNS1_3genE4ELNS1_11target_archE910ELNS1_3gpuE8ELNS1_3repE0EEENS1_30default_config_static_selectorELNS0_4arch9wavefront6targetE1EEEvT1_,comdat
.Lfunc_end2911:
	.size	_ZN7rocprim17ROCPRIM_400000_NS6detail17trampoline_kernelINS0_14default_configENS1_25transform_config_selectorIhLb0EEEZNS1_14transform_implILb0ES3_S5_PhN6thrust23THRUST_200600_302600_NS6detail15normal_iteratorINS9_10device_ptrIhEEEENS0_8identityIhEEEE10hipError_tT2_T3_mT4_P12ihipStream_tbEUlT_E_NS1_11comp_targetILNS1_3genE4ELNS1_11target_archE910ELNS1_3gpuE8ELNS1_3repE0EEENS1_30default_config_static_selectorELNS0_4arch9wavefront6targetE1EEEvT1_, .Lfunc_end2911-_ZN7rocprim17ROCPRIM_400000_NS6detail17trampoline_kernelINS0_14default_configENS1_25transform_config_selectorIhLb0EEEZNS1_14transform_implILb0ES3_S5_PhN6thrust23THRUST_200600_302600_NS6detail15normal_iteratorINS9_10device_ptrIhEEEENS0_8identityIhEEEE10hipError_tT2_T3_mT4_P12ihipStream_tbEUlT_E_NS1_11comp_targetILNS1_3genE4ELNS1_11target_archE910ELNS1_3gpuE8ELNS1_3repE0EEENS1_30default_config_static_selectorELNS0_4arch9wavefront6targetE1EEEvT1_
                                        ; -- End function
	.section	.AMDGPU.csdata,"",@progbits
; Kernel info:
; codeLenInByte = 1720
; NumSgprs: 46
; NumVgprs: 19
; NumAgprs: 0
; TotalNumVgprs: 19
; ScratchSize: 0
; MemoryBound: 0
; FloatMode: 240
; IeeeMode: 1
; LDSByteSize: 0 bytes/workgroup (compile time only)
; SGPRBlocks: 5
; VGPRBlocks: 2
; NumSGPRsForWavesPerEU: 46
; NumVGPRsForWavesPerEU: 19
; AccumOffset: 20
; Occupancy: 8
; WaveLimiterHint : 0
; COMPUTE_PGM_RSRC2:SCRATCH_EN: 0
; COMPUTE_PGM_RSRC2:USER_SGPR: 6
; COMPUTE_PGM_RSRC2:TRAP_HANDLER: 0
; COMPUTE_PGM_RSRC2:TGID_X_EN: 1
; COMPUTE_PGM_RSRC2:TGID_Y_EN: 0
; COMPUTE_PGM_RSRC2:TGID_Z_EN: 0
; COMPUTE_PGM_RSRC2:TIDIG_COMP_CNT: 0
; COMPUTE_PGM_RSRC3_GFX90A:ACCUM_OFFSET: 4
; COMPUTE_PGM_RSRC3_GFX90A:TG_SPLIT: 0
	.section	.text._ZN7rocprim17ROCPRIM_400000_NS6detail17trampoline_kernelINS0_14default_configENS1_25transform_config_selectorIhLb0EEEZNS1_14transform_implILb0ES3_S5_PhN6thrust23THRUST_200600_302600_NS6detail15normal_iteratorINS9_10device_ptrIhEEEENS0_8identityIhEEEE10hipError_tT2_T3_mT4_P12ihipStream_tbEUlT_E_NS1_11comp_targetILNS1_3genE3ELNS1_11target_archE908ELNS1_3gpuE7ELNS1_3repE0EEENS1_30default_config_static_selectorELNS0_4arch9wavefront6targetE1EEEvT1_,"axG",@progbits,_ZN7rocprim17ROCPRIM_400000_NS6detail17trampoline_kernelINS0_14default_configENS1_25transform_config_selectorIhLb0EEEZNS1_14transform_implILb0ES3_S5_PhN6thrust23THRUST_200600_302600_NS6detail15normal_iteratorINS9_10device_ptrIhEEEENS0_8identityIhEEEE10hipError_tT2_T3_mT4_P12ihipStream_tbEUlT_E_NS1_11comp_targetILNS1_3genE3ELNS1_11target_archE908ELNS1_3gpuE7ELNS1_3repE0EEENS1_30default_config_static_selectorELNS0_4arch9wavefront6targetE1EEEvT1_,comdat
	.protected	_ZN7rocprim17ROCPRIM_400000_NS6detail17trampoline_kernelINS0_14default_configENS1_25transform_config_selectorIhLb0EEEZNS1_14transform_implILb0ES3_S5_PhN6thrust23THRUST_200600_302600_NS6detail15normal_iteratorINS9_10device_ptrIhEEEENS0_8identityIhEEEE10hipError_tT2_T3_mT4_P12ihipStream_tbEUlT_E_NS1_11comp_targetILNS1_3genE3ELNS1_11target_archE908ELNS1_3gpuE7ELNS1_3repE0EEENS1_30default_config_static_selectorELNS0_4arch9wavefront6targetE1EEEvT1_ ; -- Begin function _ZN7rocprim17ROCPRIM_400000_NS6detail17trampoline_kernelINS0_14default_configENS1_25transform_config_selectorIhLb0EEEZNS1_14transform_implILb0ES3_S5_PhN6thrust23THRUST_200600_302600_NS6detail15normal_iteratorINS9_10device_ptrIhEEEENS0_8identityIhEEEE10hipError_tT2_T3_mT4_P12ihipStream_tbEUlT_E_NS1_11comp_targetILNS1_3genE3ELNS1_11target_archE908ELNS1_3gpuE7ELNS1_3repE0EEENS1_30default_config_static_selectorELNS0_4arch9wavefront6targetE1EEEvT1_
	.globl	_ZN7rocprim17ROCPRIM_400000_NS6detail17trampoline_kernelINS0_14default_configENS1_25transform_config_selectorIhLb0EEEZNS1_14transform_implILb0ES3_S5_PhN6thrust23THRUST_200600_302600_NS6detail15normal_iteratorINS9_10device_ptrIhEEEENS0_8identityIhEEEE10hipError_tT2_T3_mT4_P12ihipStream_tbEUlT_E_NS1_11comp_targetILNS1_3genE3ELNS1_11target_archE908ELNS1_3gpuE7ELNS1_3repE0EEENS1_30default_config_static_selectorELNS0_4arch9wavefront6targetE1EEEvT1_
	.p2align	8
	.type	_ZN7rocprim17ROCPRIM_400000_NS6detail17trampoline_kernelINS0_14default_configENS1_25transform_config_selectorIhLb0EEEZNS1_14transform_implILb0ES3_S5_PhN6thrust23THRUST_200600_302600_NS6detail15normal_iteratorINS9_10device_ptrIhEEEENS0_8identityIhEEEE10hipError_tT2_T3_mT4_P12ihipStream_tbEUlT_E_NS1_11comp_targetILNS1_3genE3ELNS1_11target_archE908ELNS1_3gpuE7ELNS1_3repE0EEENS1_30default_config_static_selectorELNS0_4arch9wavefront6targetE1EEEvT1_,@function
_ZN7rocprim17ROCPRIM_400000_NS6detail17trampoline_kernelINS0_14default_configENS1_25transform_config_selectorIhLb0EEEZNS1_14transform_implILb0ES3_S5_PhN6thrust23THRUST_200600_302600_NS6detail15normal_iteratorINS9_10device_ptrIhEEEENS0_8identityIhEEEE10hipError_tT2_T3_mT4_P12ihipStream_tbEUlT_E_NS1_11comp_targetILNS1_3genE3ELNS1_11target_archE908ELNS1_3gpuE7ELNS1_3repE0EEENS1_30default_config_static_selectorELNS0_4arch9wavefront6targetE1EEEvT1_: ; @_ZN7rocprim17ROCPRIM_400000_NS6detail17trampoline_kernelINS0_14default_configENS1_25transform_config_selectorIhLb0EEEZNS1_14transform_implILb0ES3_S5_PhN6thrust23THRUST_200600_302600_NS6detail15normal_iteratorINS9_10device_ptrIhEEEENS0_8identityIhEEEE10hipError_tT2_T3_mT4_P12ihipStream_tbEUlT_E_NS1_11comp_targetILNS1_3genE3ELNS1_11target_archE908ELNS1_3gpuE7ELNS1_3repE0EEENS1_30default_config_static_selectorELNS0_4arch9wavefront6targetE1EEEvT1_
; %bb.0:
	.section	.rodata,"a",@progbits
	.p2align	6, 0x0
	.amdhsa_kernel _ZN7rocprim17ROCPRIM_400000_NS6detail17trampoline_kernelINS0_14default_configENS1_25transform_config_selectorIhLb0EEEZNS1_14transform_implILb0ES3_S5_PhN6thrust23THRUST_200600_302600_NS6detail15normal_iteratorINS9_10device_ptrIhEEEENS0_8identityIhEEEE10hipError_tT2_T3_mT4_P12ihipStream_tbEUlT_E_NS1_11comp_targetILNS1_3genE3ELNS1_11target_archE908ELNS1_3gpuE7ELNS1_3repE0EEENS1_30default_config_static_selectorELNS0_4arch9wavefront6targetE1EEEvT1_
		.amdhsa_group_segment_fixed_size 0
		.amdhsa_private_segment_fixed_size 0
		.amdhsa_kernarg_size 40
		.amdhsa_user_sgpr_count 6
		.amdhsa_user_sgpr_private_segment_buffer 1
		.amdhsa_user_sgpr_dispatch_ptr 0
		.amdhsa_user_sgpr_queue_ptr 0
		.amdhsa_user_sgpr_kernarg_segment_ptr 1
		.amdhsa_user_sgpr_dispatch_id 0
		.amdhsa_user_sgpr_flat_scratch_init 0
		.amdhsa_user_sgpr_kernarg_preload_length 0
		.amdhsa_user_sgpr_kernarg_preload_offset 0
		.amdhsa_user_sgpr_private_segment_size 0
		.amdhsa_uses_dynamic_stack 0
		.amdhsa_system_sgpr_private_segment_wavefront_offset 0
		.amdhsa_system_sgpr_workgroup_id_x 1
		.amdhsa_system_sgpr_workgroup_id_y 0
		.amdhsa_system_sgpr_workgroup_id_z 0
		.amdhsa_system_sgpr_workgroup_info 0
		.amdhsa_system_vgpr_workitem_id 0
		.amdhsa_next_free_vgpr 1
		.amdhsa_next_free_sgpr 0
		.amdhsa_accum_offset 4
		.amdhsa_reserve_vcc 0
		.amdhsa_reserve_flat_scratch 0
		.amdhsa_float_round_mode_32 0
		.amdhsa_float_round_mode_16_64 0
		.amdhsa_float_denorm_mode_32 3
		.amdhsa_float_denorm_mode_16_64 3
		.amdhsa_dx10_clamp 1
		.amdhsa_ieee_mode 1
		.amdhsa_fp16_overflow 0
		.amdhsa_tg_split 0
		.amdhsa_exception_fp_ieee_invalid_op 0
		.amdhsa_exception_fp_denorm_src 0
		.amdhsa_exception_fp_ieee_div_zero 0
		.amdhsa_exception_fp_ieee_overflow 0
		.amdhsa_exception_fp_ieee_underflow 0
		.amdhsa_exception_fp_ieee_inexact 0
		.amdhsa_exception_int_div_zero 0
	.end_amdhsa_kernel
	.section	.text._ZN7rocprim17ROCPRIM_400000_NS6detail17trampoline_kernelINS0_14default_configENS1_25transform_config_selectorIhLb0EEEZNS1_14transform_implILb0ES3_S5_PhN6thrust23THRUST_200600_302600_NS6detail15normal_iteratorINS9_10device_ptrIhEEEENS0_8identityIhEEEE10hipError_tT2_T3_mT4_P12ihipStream_tbEUlT_E_NS1_11comp_targetILNS1_3genE3ELNS1_11target_archE908ELNS1_3gpuE7ELNS1_3repE0EEENS1_30default_config_static_selectorELNS0_4arch9wavefront6targetE1EEEvT1_,"axG",@progbits,_ZN7rocprim17ROCPRIM_400000_NS6detail17trampoline_kernelINS0_14default_configENS1_25transform_config_selectorIhLb0EEEZNS1_14transform_implILb0ES3_S5_PhN6thrust23THRUST_200600_302600_NS6detail15normal_iteratorINS9_10device_ptrIhEEEENS0_8identityIhEEEE10hipError_tT2_T3_mT4_P12ihipStream_tbEUlT_E_NS1_11comp_targetILNS1_3genE3ELNS1_11target_archE908ELNS1_3gpuE7ELNS1_3repE0EEENS1_30default_config_static_selectorELNS0_4arch9wavefront6targetE1EEEvT1_,comdat
.Lfunc_end2912:
	.size	_ZN7rocprim17ROCPRIM_400000_NS6detail17trampoline_kernelINS0_14default_configENS1_25transform_config_selectorIhLb0EEEZNS1_14transform_implILb0ES3_S5_PhN6thrust23THRUST_200600_302600_NS6detail15normal_iteratorINS9_10device_ptrIhEEEENS0_8identityIhEEEE10hipError_tT2_T3_mT4_P12ihipStream_tbEUlT_E_NS1_11comp_targetILNS1_3genE3ELNS1_11target_archE908ELNS1_3gpuE7ELNS1_3repE0EEENS1_30default_config_static_selectorELNS0_4arch9wavefront6targetE1EEEvT1_, .Lfunc_end2912-_ZN7rocprim17ROCPRIM_400000_NS6detail17trampoline_kernelINS0_14default_configENS1_25transform_config_selectorIhLb0EEEZNS1_14transform_implILb0ES3_S5_PhN6thrust23THRUST_200600_302600_NS6detail15normal_iteratorINS9_10device_ptrIhEEEENS0_8identityIhEEEE10hipError_tT2_T3_mT4_P12ihipStream_tbEUlT_E_NS1_11comp_targetILNS1_3genE3ELNS1_11target_archE908ELNS1_3gpuE7ELNS1_3repE0EEENS1_30default_config_static_selectorELNS0_4arch9wavefront6targetE1EEEvT1_
                                        ; -- End function
	.section	.AMDGPU.csdata,"",@progbits
; Kernel info:
; codeLenInByte = 0
; NumSgprs: 4
; NumVgprs: 0
; NumAgprs: 0
; TotalNumVgprs: 0
; ScratchSize: 0
; MemoryBound: 0
; FloatMode: 240
; IeeeMode: 1
; LDSByteSize: 0 bytes/workgroup (compile time only)
; SGPRBlocks: 0
; VGPRBlocks: 0
; NumSGPRsForWavesPerEU: 4
; NumVGPRsForWavesPerEU: 1
; AccumOffset: 4
; Occupancy: 8
; WaveLimiterHint : 0
; COMPUTE_PGM_RSRC2:SCRATCH_EN: 0
; COMPUTE_PGM_RSRC2:USER_SGPR: 6
; COMPUTE_PGM_RSRC2:TRAP_HANDLER: 0
; COMPUTE_PGM_RSRC2:TGID_X_EN: 1
; COMPUTE_PGM_RSRC2:TGID_Y_EN: 0
; COMPUTE_PGM_RSRC2:TGID_Z_EN: 0
; COMPUTE_PGM_RSRC2:TIDIG_COMP_CNT: 0
; COMPUTE_PGM_RSRC3_GFX90A:ACCUM_OFFSET: 0
; COMPUTE_PGM_RSRC3_GFX90A:TG_SPLIT: 0
	.section	.text._ZN7rocprim17ROCPRIM_400000_NS6detail17trampoline_kernelINS0_14default_configENS1_25transform_config_selectorIhLb0EEEZNS1_14transform_implILb0ES3_S5_PhN6thrust23THRUST_200600_302600_NS6detail15normal_iteratorINS9_10device_ptrIhEEEENS0_8identityIhEEEE10hipError_tT2_T3_mT4_P12ihipStream_tbEUlT_E_NS1_11comp_targetILNS1_3genE2ELNS1_11target_archE906ELNS1_3gpuE6ELNS1_3repE0EEENS1_30default_config_static_selectorELNS0_4arch9wavefront6targetE1EEEvT1_,"axG",@progbits,_ZN7rocprim17ROCPRIM_400000_NS6detail17trampoline_kernelINS0_14default_configENS1_25transform_config_selectorIhLb0EEEZNS1_14transform_implILb0ES3_S5_PhN6thrust23THRUST_200600_302600_NS6detail15normal_iteratorINS9_10device_ptrIhEEEENS0_8identityIhEEEE10hipError_tT2_T3_mT4_P12ihipStream_tbEUlT_E_NS1_11comp_targetILNS1_3genE2ELNS1_11target_archE906ELNS1_3gpuE6ELNS1_3repE0EEENS1_30default_config_static_selectorELNS0_4arch9wavefront6targetE1EEEvT1_,comdat
	.protected	_ZN7rocprim17ROCPRIM_400000_NS6detail17trampoline_kernelINS0_14default_configENS1_25transform_config_selectorIhLb0EEEZNS1_14transform_implILb0ES3_S5_PhN6thrust23THRUST_200600_302600_NS6detail15normal_iteratorINS9_10device_ptrIhEEEENS0_8identityIhEEEE10hipError_tT2_T3_mT4_P12ihipStream_tbEUlT_E_NS1_11comp_targetILNS1_3genE2ELNS1_11target_archE906ELNS1_3gpuE6ELNS1_3repE0EEENS1_30default_config_static_selectorELNS0_4arch9wavefront6targetE1EEEvT1_ ; -- Begin function _ZN7rocprim17ROCPRIM_400000_NS6detail17trampoline_kernelINS0_14default_configENS1_25transform_config_selectorIhLb0EEEZNS1_14transform_implILb0ES3_S5_PhN6thrust23THRUST_200600_302600_NS6detail15normal_iteratorINS9_10device_ptrIhEEEENS0_8identityIhEEEE10hipError_tT2_T3_mT4_P12ihipStream_tbEUlT_E_NS1_11comp_targetILNS1_3genE2ELNS1_11target_archE906ELNS1_3gpuE6ELNS1_3repE0EEENS1_30default_config_static_selectorELNS0_4arch9wavefront6targetE1EEEvT1_
	.globl	_ZN7rocprim17ROCPRIM_400000_NS6detail17trampoline_kernelINS0_14default_configENS1_25transform_config_selectorIhLb0EEEZNS1_14transform_implILb0ES3_S5_PhN6thrust23THRUST_200600_302600_NS6detail15normal_iteratorINS9_10device_ptrIhEEEENS0_8identityIhEEEE10hipError_tT2_T3_mT4_P12ihipStream_tbEUlT_E_NS1_11comp_targetILNS1_3genE2ELNS1_11target_archE906ELNS1_3gpuE6ELNS1_3repE0EEENS1_30default_config_static_selectorELNS0_4arch9wavefront6targetE1EEEvT1_
	.p2align	8
	.type	_ZN7rocprim17ROCPRIM_400000_NS6detail17trampoline_kernelINS0_14default_configENS1_25transform_config_selectorIhLb0EEEZNS1_14transform_implILb0ES3_S5_PhN6thrust23THRUST_200600_302600_NS6detail15normal_iteratorINS9_10device_ptrIhEEEENS0_8identityIhEEEE10hipError_tT2_T3_mT4_P12ihipStream_tbEUlT_E_NS1_11comp_targetILNS1_3genE2ELNS1_11target_archE906ELNS1_3gpuE6ELNS1_3repE0EEENS1_30default_config_static_selectorELNS0_4arch9wavefront6targetE1EEEvT1_,@function
_ZN7rocprim17ROCPRIM_400000_NS6detail17trampoline_kernelINS0_14default_configENS1_25transform_config_selectorIhLb0EEEZNS1_14transform_implILb0ES3_S5_PhN6thrust23THRUST_200600_302600_NS6detail15normal_iteratorINS9_10device_ptrIhEEEENS0_8identityIhEEEE10hipError_tT2_T3_mT4_P12ihipStream_tbEUlT_E_NS1_11comp_targetILNS1_3genE2ELNS1_11target_archE906ELNS1_3gpuE6ELNS1_3repE0EEENS1_30default_config_static_selectorELNS0_4arch9wavefront6targetE1EEEvT1_: ; @_ZN7rocprim17ROCPRIM_400000_NS6detail17trampoline_kernelINS0_14default_configENS1_25transform_config_selectorIhLb0EEEZNS1_14transform_implILb0ES3_S5_PhN6thrust23THRUST_200600_302600_NS6detail15normal_iteratorINS9_10device_ptrIhEEEENS0_8identityIhEEEE10hipError_tT2_T3_mT4_P12ihipStream_tbEUlT_E_NS1_11comp_targetILNS1_3genE2ELNS1_11target_archE906ELNS1_3gpuE6ELNS1_3repE0EEENS1_30default_config_static_selectorELNS0_4arch9wavefront6targetE1EEEvT1_
; %bb.0:
	.section	.rodata,"a",@progbits
	.p2align	6, 0x0
	.amdhsa_kernel _ZN7rocprim17ROCPRIM_400000_NS6detail17trampoline_kernelINS0_14default_configENS1_25transform_config_selectorIhLb0EEEZNS1_14transform_implILb0ES3_S5_PhN6thrust23THRUST_200600_302600_NS6detail15normal_iteratorINS9_10device_ptrIhEEEENS0_8identityIhEEEE10hipError_tT2_T3_mT4_P12ihipStream_tbEUlT_E_NS1_11comp_targetILNS1_3genE2ELNS1_11target_archE906ELNS1_3gpuE6ELNS1_3repE0EEENS1_30default_config_static_selectorELNS0_4arch9wavefront6targetE1EEEvT1_
		.amdhsa_group_segment_fixed_size 0
		.amdhsa_private_segment_fixed_size 0
		.amdhsa_kernarg_size 40
		.amdhsa_user_sgpr_count 6
		.amdhsa_user_sgpr_private_segment_buffer 1
		.amdhsa_user_sgpr_dispatch_ptr 0
		.amdhsa_user_sgpr_queue_ptr 0
		.amdhsa_user_sgpr_kernarg_segment_ptr 1
		.amdhsa_user_sgpr_dispatch_id 0
		.amdhsa_user_sgpr_flat_scratch_init 0
		.amdhsa_user_sgpr_kernarg_preload_length 0
		.amdhsa_user_sgpr_kernarg_preload_offset 0
		.amdhsa_user_sgpr_private_segment_size 0
		.amdhsa_uses_dynamic_stack 0
		.amdhsa_system_sgpr_private_segment_wavefront_offset 0
		.amdhsa_system_sgpr_workgroup_id_x 1
		.amdhsa_system_sgpr_workgroup_id_y 0
		.amdhsa_system_sgpr_workgroup_id_z 0
		.amdhsa_system_sgpr_workgroup_info 0
		.amdhsa_system_vgpr_workitem_id 0
		.amdhsa_next_free_vgpr 1
		.amdhsa_next_free_sgpr 0
		.amdhsa_accum_offset 4
		.amdhsa_reserve_vcc 0
		.amdhsa_reserve_flat_scratch 0
		.amdhsa_float_round_mode_32 0
		.amdhsa_float_round_mode_16_64 0
		.amdhsa_float_denorm_mode_32 3
		.amdhsa_float_denorm_mode_16_64 3
		.amdhsa_dx10_clamp 1
		.amdhsa_ieee_mode 1
		.amdhsa_fp16_overflow 0
		.amdhsa_tg_split 0
		.amdhsa_exception_fp_ieee_invalid_op 0
		.amdhsa_exception_fp_denorm_src 0
		.amdhsa_exception_fp_ieee_div_zero 0
		.amdhsa_exception_fp_ieee_overflow 0
		.amdhsa_exception_fp_ieee_underflow 0
		.amdhsa_exception_fp_ieee_inexact 0
		.amdhsa_exception_int_div_zero 0
	.end_amdhsa_kernel
	.section	.text._ZN7rocprim17ROCPRIM_400000_NS6detail17trampoline_kernelINS0_14default_configENS1_25transform_config_selectorIhLb0EEEZNS1_14transform_implILb0ES3_S5_PhN6thrust23THRUST_200600_302600_NS6detail15normal_iteratorINS9_10device_ptrIhEEEENS0_8identityIhEEEE10hipError_tT2_T3_mT4_P12ihipStream_tbEUlT_E_NS1_11comp_targetILNS1_3genE2ELNS1_11target_archE906ELNS1_3gpuE6ELNS1_3repE0EEENS1_30default_config_static_selectorELNS0_4arch9wavefront6targetE1EEEvT1_,"axG",@progbits,_ZN7rocprim17ROCPRIM_400000_NS6detail17trampoline_kernelINS0_14default_configENS1_25transform_config_selectorIhLb0EEEZNS1_14transform_implILb0ES3_S5_PhN6thrust23THRUST_200600_302600_NS6detail15normal_iteratorINS9_10device_ptrIhEEEENS0_8identityIhEEEE10hipError_tT2_T3_mT4_P12ihipStream_tbEUlT_E_NS1_11comp_targetILNS1_3genE2ELNS1_11target_archE906ELNS1_3gpuE6ELNS1_3repE0EEENS1_30default_config_static_selectorELNS0_4arch9wavefront6targetE1EEEvT1_,comdat
.Lfunc_end2913:
	.size	_ZN7rocprim17ROCPRIM_400000_NS6detail17trampoline_kernelINS0_14default_configENS1_25transform_config_selectorIhLb0EEEZNS1_14transform_implILb0ES3_S5_PhN6thrust23THRUST_200600_302600_NS6detail15normal_iteratorINS9_10device_ptrIhEEEENS0_8identityIhEEEE10hipError_tT2_T3_mT4_P12ihipStream_tbEUlT_E_NS1_11comp_targetILNS1_3genE2ELNS1_11target_archE906ELNS1_3gpuE6ELNS1_3repE0EEENS1_30default_config_static_selectorELNS0_4arch9wavefront6targetE1EEEvT1_, .Lfunc_end2913-_ZN7rocprim17ROCPRIM_400000_NS6detail17trampoline_kernelINS0_14default_configENS1_25transform_config_selectorIhLb0EEEZNS1_14transform_implILb0ES3_S5_PhN6thrust23THRUST_200600_302600_NS6detail15normal_iteratorINS9_10device_ptrIhEEEENS0_8identityIhEEEE10hipError_tT2_T3_mT4_P12ihipStream_tbEUlT_E_NS1_11comp_targetILNS1_3genE2ELNS1_11target_archE906ELNS1_3gpuE6ELNS1_3repE0EEENS1_30default_config_static_selectorELNS0_4arch9wavefront6targetE1EEEvT1_
                                        ; -- End function
	.section	.AMDGPU.csdata,"",@progbits
; Kernel info:
; codeLenInByte = 0
; NumSgprs: 4
; NumVgprs: 0
; NumAgprs: 0
; TotalNumVgprs: 0
; ScratchSize: 0
; MemoryBound: 0
; FloatMode: 240
; IeeeMode: 1
; LDSByteSize: 0 bytes/workgroup (compile time only)
; SGPRBlocks: 0
; VGPRBlocks: 0
; NumSGPRsForWavesPerEU: 4
; NumVGPRsForWavesPerEU: 1
; AccumOffset: 4
; Occupancy: 8
; WaveLimiterHint : 0
; COMPUTE_PGM_RSRC2:SCRATCH_EN: 0
; COMPUTE_PGM_RSRC2:USER_SGPR: 6
; COMPUTE_PGM_RSRC2:TRAP_HANDLER: 0
; COMPUTE_PGM_RSRC2:TGID_X_EN: 1
; COMPUTE_PGM_RSRC2:TGID_Y_EN: 0
; COMPUTE_PGM_RSRC2:TGID_Z_EN: 0
; COMPUTE_PGM_RSRC2:TIDIG_COMP_CNT: 0
; COMPUTE_PGM_RSRC3_GFX90A:ACCUM_OFFSET: 0
; COMPUTE_PGM_RSRC3_GFX90A:TG_SPLIT: 0
	.section	.text._ZN7rocprim17ROCPRIM_400000_NS6detail17trampoline_kernelINS0_14default_configENS1_25transform_config_selectorIhLb0EEEZNS1_14transform_implILb0ES3_S5_PhN6thrust23THRUST_200600_302600_NS6detail15normal_iteratorINS9_10device_ptrIhEEEENS0_8identityIhEEEE10hipError_tT2_T3_mT4_P12ihipStream_tbEUlT_E_NS1_11comp_targetILNS1_3genE10ELNS1_11target_archE1201ELNS1_3gpuE5ELNS1_3repE0EEENS1_30default_config_static_selectorELNS0_4arch9wavefront6targetE1EEEvT1_,"axG",@progbits,_ZN7rocprim17ROCPRIM_400000_NS6detail17trampoline_kernelINS0_14default_configENS1_25transform_config_selectorIhLb0EEEZNS1_14transform_implILb0ES3_S5_PhN6thrust23THRUST_200600_302600_NS6detail15normal_iteratorINS9_10device_ptrIhEEEENS0_8identityIhEEEE10hipError_tT2_T3_mT4_P12ihipStream_tbEUlT_E_NS1_11comp_targetILNS1_3genE10ELNS1_11target_archE1201ELNS1_3gpuE5ELNS1_3repE0EEENS1_30default_config_static_selectorELNS0_4arch9wavefront6targetE1EEEvT1_,comdat
	.protected	_ZN7rocprim17ROCPRIM_400000_NS6detail17trampoline_kernelINS0_14default_configENS1_25transform_config_selectorIhLb0EEEZNS1_14transform_implILb0ES3_S5_PhN6thrust23THRUST_200600_302600_NS6detail15normal_iteratorINS9_10device_ptrIhEEEENS0_8identityIhEEEE10hipError_tT2_T3_mT4_P12ihipStream_tbEUlT_E_NS1_11comp_targetILNS1_3genE10ELNS1_11target_archE1201ELNS1_3gpuE5ELNS1_3repE0EEENS1_30default_config_static_selectorELNS0_4arch9wavefront6targetE1EEEvT1_ ; -- Begin function _ZN7rocprim17ROCPRIM_400000_NS6detail17trampoline_kernelINS0_14default_configENS1_25transform_config_selectorIhLb0EEEZNS1_14transform_implILb0ES3_S5_PhN6thrust23THRUST_200600_302600_NS6detail15normal_iteratorINS9_10device_ptrIhEEEENS0_8identityIhEEEE10hipError_tT2_T3_mT4_P12ihipStream_tbEUlT_E_NS1_11comp_targetILNS1_3genE10ELNS1_11target_archE1201ELNS1_3gpuE5ELNS1_3repE0EEENS1_30default_config_static_selectorELNS0_4arch9wavefront6targetE1EEEvT1_
	.globl	_ZN7rocprim17ROCPRIM_400000_NS6detail17trampoline_kernelINS0_14default_configENS1_25transform_config_selectorIhLb0EEEZNS1_14transform_implILb0ES3_S5_PhN6thrust23THRUST_200600_302600_NS6detail15normal_iteratorINS9_10device_ptrIhEEEENS0_8identityIhEEEE10hipError_tT2_T3_mT4_P12ihipStream_tbEUlT_E_NS1_11comp_targetILNS1_3genE10ELNS1_11target_archE1201ELNS1_3gpuE5ELNS1_3repE0EEENS1_30default_config_static_selectorELNS0_4arch9wavefront6targetE1EEEvT1_
	.p2align	8
	.type	_ZN7rocprim17ROCPRIM_400000_NS6detail17trampoline_kernelINS0_14default_configENS1_25transform_config_selectorIhLb0EEEZNS1_14transform_implILb0ES3_S5_PhN6thrust23THRUST_200600_302600_NS6detail15normal_iteratorINS9_10device_ptrIhEEEENS0_8identityIhEEEE10hipError_tT2_T3_mT4_P12ihipStream_tbEUlT_E_NS1_11comp_targetILNS1_3genE10ELNS1_11target_archE1201ELNS1_3gpuE5ELNS1_3repE0EEENS1_30default_config_static_selectorELNS0_4arch9wavefront6targetE1EEEvT1_,@function
_ZN7rocprim17ROCPRIM_400000_NS6detail17trampoline_kernelINS0_14default_configENS1_25transform_config_selectorIhLb0EEEZNS1_14transform_implILb0ES3_S5_PhN6thrust23THRUST_200600_302600_NS6detail15normal_iteratorINS9_10device_ptrIhEEEENS0_8identityIhEEEE10hipError_tT2_T3_mT4_P12ihipStream_tbEUlT_E_NS1_11comp_targetILNS1_3genE10ELNS1_11target_archE1201ELNS1_3gpuE5ELNS1_3repE0EEENS1_30default_config_static_selectorELNS0_4arch9wavefront6targetE1EEEvT1_: ; @_ZN7rocprim17ROCPRIM_400000_NS6detail17trampoline_kernelINS0_14default_configENS1_25transform_config_selectorIhLb0EEEZNS1_14transform_implILb0ES3_S5_PhN6thrust23THRUST_200600_302600_NS6detail15normal_iteratorINS9_10device_ptrIhEEEENS0_8identityIhEEEE10hipError_tT2_T3_mT4_P12ihipStream_tbEUlT_E_NS1_11comp_targetILNS1_3genE10ELNS1_11target_archE1201ELNS1_3gpuE5ELNS1_3repE0EEENS1_30default_config_static_selectorELNS0_4arch9wavefront6targetE1EEEvT1_
; %bb.0:
	.section	.rodata,"a",@progbits
	.p2align	6, 0x0
	.amdhsa_kernel _ZN7rocprim17ROCPRIM_400000_NS6detail17trampoline_kernelINS0_14default_configENS1_25transform_config_selectorIhLb0EEEZNS1_14transform_implILb0ES3_S5_PhN6thrust23THRUST_200600_302600_NS6detail15normal_iteratorINS9_10device_ptrIhEEEENS0_8identityIhEEEE10hipError_tT2_T3_mT4_P12ihipStream_tbEUlT_E_NS1_11comp_targetILNS1_3genE10ELNS1_11target_archE1201ELNS1_3gpuE5ELNS1_3repE0EEENS1_30default_config_static_selectorELNS0_4arch9wavefront6targetE1EEEvT1_
		.amdhsa_group_segment_fixed_size 0
		.amdhsa_private_segment_fixed_size 0
		.amdhsa_kernarg_size 40
		.amdhsa_user_sgpr_count 6
		.amdhsa_user_sgpr_private_segment_buffer 1
		.amdhsa_user_sgpr_dispatch_ptr 0
		.amdhsa_user_sgpr_queue_ptr 0
		.amdhsa_user_sgpr_kernarg_segment_ptr 1
		.amdhsa_user_sgpr_dispatch_id 0
		.amdhsa_user_sgpr_flat_scratch_init 0
		.amdhsa_user_sgpr_kernarg_preload_length 0
		.amdhsa_user_sgpr_kernarg_preload_offset 0
		.amdhsa_user_sgpr_private_segment_size 0
		.amdhsa_uses_dynamic_stack 0
		.amdhsa_system_sgpr_private_segment_wavefront_offset 0
		.amdhsa_system_sgpr_workgroup_id_x 1
		.amdhsa_system_sgpr_workgroup_id_y 0
		.amdhsa_system_sgpr_workgroup_id_z 0
		.amdhsa_system_sgpr_workgroup_info 0
		.amdhsa_system_vgpr_workitem_id 0
		.amdhsa_next_free_vgpr 1
		.amdhsa_next_free_sgpr 0
		.amdhsa_accum_offset 4
		.amdhsa_reserve_vcc 0
		.amdhsa_reserve_flat_scratch 0
		.amdhsa_float_round_mode_32 0
		.amdhsa_float_round_mode_16_64 0
		.amdhsa_float_denorm_mode_32 3
		.amdhsa_float_denorm_mode_16_64 3
		.amdhsa_dx10_clamp 1
		.amdhsa_ieee_mode 1
		.amdhsa_fp16_overflow 0
		.amdhsa_tg_split 0
		.amdhsa_exception_fp_ieee_invalid_op 0
		.amdhsa_exception_fp_denorm_src 0
		.amdhsa_exception_fp_ieee_div_zero 0
		.amdhsa_exception_fp_ieee_overflow 0
		.amdhsa_exception_fp_ieee_underflow 0
		.amdhsa_exception_fp_ieee_inexact 0
		.amdhsa_exception_int_div_zero 0
	.end_amdhsa_kernel
	.section	.text._ZN7rocprim17ROCPRIM_400000_NS6detail17trampoline_kernelINS0_14default_configENS1_25transform_config_selectorIhLb0EEEZNS1_14transform_implILb0ES3_S5_PhN6thrust23THRUST_200600_302600_NS6detail15normal_iteratorINS9_10device_ptrIhEEEENS0_8identityIhEEEE10hipError_tT2_T3_mT4_P12ihipStream_tbEUlT_E_NS1_11comp_targetILNS1_3genE10ELNS1_11target_archE1201ELNS1_3gpuE5ELNS1_3repE0EEENS1_30default_config_static_selectorELNS0_4arch9wavefront6targetE1EEEvT1_,"axG",@progbits,_ZN7rocprim17ROCPRIM_400000_NS6detail17trampoline_kernelINS0_14default_configENS1_25transform_config_selectorIhLb0EEEZNS1_14transform_implILb0ES3_S5_PhN6thrust23THRUST_200600_302600_NS6detail15normal_iteratorINS9_10device_ptrIhEEEENS0_8identityIhEEEE10hipError_tT2_T3_mT4_P12ihipStream_tbEUlT_E_NS1_11comp_targetILNS1_3genE10ELNS1_11target_archE1201ELNS1_3gpuE5ELNS1_3repE0EEENS1_30default_config_static_selectorELNS0_4arch9wavefront6targetE1EEEvT1_,comdat
.Lfunc_end2914:
	.size	_ZN7rocprim17ROCPRIM_400000_NS6detail17trampoline_kernelINS0_14default_configENS1_25transform_config_selectorIhLb0EEEZNS1_14transform_implILb0ES3_S5_PhN6thrust23THRUST_200600_302600_NS6detail15normal_iteratorINS9_10device_ptrIhEEEENS0_8identityIhEEEE10hipError_tT2_T3_mT4_P12ihipStream_tbEUlT_E_NS1_11comp_targetILNS1_3genE10ELNS1_11target_archE1201ELNS1_3gpuE5ELNS1_3repE0EEENS1_30default_config_static_selectorELNS0_4arch9wavefront6targetE1EEEvT1_, .Lfunc_end2914-_ZN7rocprim17ROCPRIM_400000_NS6detail17trampoline_kernelINS0_14default_configENS1_25transform_config_selectorIhLb0EEEZNS1_14transform_implILb0ES3_S5_PhN6thrust23THRUST_200600_302600_NS6detail15normal_iteratorINS9_10device_ptrIhEEEENS0_8identityIhEEEE10hipError_tT2_T3_mT4_P12ihipStream_tbEUlT_E_NS1_11comp_targetILNS1_3genE10ELNS1_11target_archE1201ELNS1_3gpuE5ELNS1_3repE0EEENS1_30default_config_static_selectorELNS0_4arch9wavefront6targetE1EEEvT1_
                                        ; -- End function
	.section	.AMDGPU.csdata,"",@progbits
; Kernel info:
; codeLenInByte = 0
; NumSgprs: 4
; NumVgprs: 0
; NumAgprs: 0
; TotalNumVgprs: 0
; ScratchSize: 0
; MemoryBound: 0
; FloatMode: 240
; IeeeMode: 1
; LDSByteSize: 0 bytes/workgroup (compile time only)
; SGPRBlocks: 0
; VGPRBlocks: 0
; NumSGPRsForWavesPerEU: 4
; NumVGPRsForWavesPerEU: 1
; AccumOffset: 4
; Occupancy: 8
; WaveLimiterHint : 0
; COMPUTE_PGM_RSRC2:SCRATCH_EN: 0
; COMPUTE_PGM_RSRC2:USER_SGPR: 6
; COMPUTE_PGM_RSRC2:TRAP_HANDLER: 0
; COMPUTE_PGM_RSRC2:TGID_X_EN: 1
; COMPUTE_PGM_RSRC2:TGID_Y_EN: 0
; COMPUTE_PGM_RSRC2:TGID_Z_EN: 0
; COMPUTE_PGM_RSRC2:TIDIG_COMP_CNT: 0
; COMPUTE_PGM_RSRC3_GFX90A:ACCUM_OFFSET: 0
; COMPUTE_PGM_RSRC3_GFX90A:TG_SPLIT: 0
	.section	.text._ZN7rocprim17ROCPRIM_400000_NS6detail17trampoline_kernelINS0_14default_configENS1_25transform_config_selectorIhLb0EEEZNS1_14transform_implILb0ES3_S5_PhN6thrust23THRUST_200600_302600_NS6detail15normal_iteratorINS9_10device_ptrIhEEEENS0_8identityIhEEEE10hipError_tT2_T3_mT4_P12ihipStream_tbEUlT_E_NS1_11comp_targetILNS1_3genE10ELNS1_11target_archE1200ELNS1_3gpuE4ELNS1_3repE0EEENS1_30default_config_static_selectorELNS0_4arch9wavefront6targetE1EEEvT1_,"axG",@progbits,_ZN7rocprim17ROCPRIM_400000_NS6detail17trampoline_kernelINS0_14default_configENS1_25transform_config_selectorIhLb0EEEZNS1_14transform_implILb0ES3_S5_PhN6thrust23THRUST_200600_302600_NS6detail15normal_iteratorINS9_10device_ptrIhEEEENS0_8identityIhEEEE10hipError_tT2_T3_mT4_P12ihipStream_tbEUlT_E_NS1_11comp_targetILNS1_3genE10ELNS1_11target_archE1200ELNS1_3gpuE4ELNS1_3repE0EEENS1_30default_config_static_selectorELNS0_4arch9wavefront6targetE1EEEvT1_,comdat
	.protected	_ZN7rocprim17ROCPRIM_400000_NS6detail17trampoline_kernelINS0_14default_configENS1_25transform_config_selectorIhLb0EEEZNS1_14transform_implILb0ES3_S5_PhN6thrust23THRUST_200600_302600_NS6detail15normal_iteratorINS9_10device_ptrIhEEEENS0_8identityIhEEEE10hipError_tT2_T3_mT4_P12ihipStream_tbEUlT_E_NS1_11comp_targetILNS1_3genE10ELNS1_11target_archE1200ELNS1_3gpuE4ELNS1_3repE0EEENS1_30default_config_static_selectorELNS0_4arch9wavefront6targetE1EEEvT1_ ; -- Begin function _ZN7rocprim17ROCPRIM_400000_NS6detail17trampoline_kernelINS0_14default_configENS1_25transform_config_selectorIhLb0EEEZNS1_14transform_implILb0ES3_S5_PhN6thrust23THRUST_200600_302600_NS6detail15normal_iteratorINS9_10device_ptrIhEEEENS0_8identityIhEEEE10hipError_tT2_T3_mT4_P12ihipStream_tbEUlT_E_NS1_11comp_targetILNS1_3genE10ELNS1_11target_archE1200ELNS1_3gpuE4ELNS1_3repE0EEENS1_30default_config_static_selectorELNS0_4arch9wavefront6targetE1EEEvT1_
	.globl	_ZN7rocprim17ROCPRIM_400000_NS6detail17trampoline_kernelINS0_14default_configENS1_25transform_config_selectorIhLb0EEEZNS1_14transform_implILb0ES3_S5_PhN6thrust23THRUST_200600_302600_NS6detail15normal_iteratorINS9_10device_ptrIhEEEENS0_8identityIhEEEE10hipError_tT2_T3_mT4_P12ihipStream_tbEUlT_E_NS1_11comp_targetILNS1_3genE10ELNS1_11target_archE1200ELNS1_3gpuE4ELNS1_3repE0EEENS1_30default_config_static_selectorELNS0_4arch9wavefront6targetE1EEEvT1_
	.p2align	8
	.type	_ZN7rocprim17ROCPRIM_400000_NS6detail17trampoline_kernelINS0_14default_configENS1_25transform_config_selectorIhLb0EEEZNS1_14transform_implILb0ES3_S5_PhN6thrust23THRUST_200600_302600_NS6detail15normal_iteratorINS9_10device_ptrIhEEEENS0_8identityIhEEEE10hipError_tT2_T3_mT4_P12ihipStream_tbEUlT_E_NS1_11comp_targetILNS1_3genE10ELNS1_11target_archE1200ELNS1_3gpuE4ELNS1_3repE0EEENS1_30default_config_static_selectorELNS0_4arch9wavefront6targetE1EEEvT1_,@function
_ZN7rocprim17ROCPRIM_400000_NS6detail17trampoline_kernelINS0_14default_configENS1_25transform_config_selectorIhLb0EEEZNS1_14transform_implILb0ES3_S5_PhN6thrust23THRUST_200600_302600_NS6detail15normal_iteratorINS9_10device_ptrIhEEEENS0_8identityIhEEEE10hipError_tT2_T3_mT4_P12ihipStream_tbEUlT_E_NS1_11comp_targetILNS1_3genE10ELNS1_11target_archE1200ELNS1_3gpuE4ELNS1_3repE0EEENS1_30default_config_static_selectorELNS0_4arch9wavefront6targetE1EEEvT1_: ; @_ZN7rocprim17ROCPRIM_400000_NS6detail17trampoline_kernelINS0_14default_configENS1_25transform_config_selectorIhLb0EEEZNS1_14transform_implILb0ES3_S5_PhN6thrust23THRUST_200600_302600_NS6detail15normal_iteratorINS9_10device_ptrIhEEEENS0_8identityIhEEEE10hipError_tT2_T3_mT4_P12ihipStream_tbEUlT_E_NS1_11comp_targetILNS1_3genE10ELNS1_11target_archE1200ELNS1_3gpuE4ELNS1_3repE0EEENS1_30default_config_static_selectorELNS0_4arch9wavefront6targetE1EEEvT1_
; %bb.0:
	.section	.rodata,"a",@progbits
	.p2align	6, 0x0
	.amdhsa_kernel _ZN7rocprim17ROCPRIM_400000_NS6detail17trampoline_kernelINS0_14default_configENS1_25transform_config_selectorIhLb0EEEZNS1_14transform_implILb0ES3_S5_PhN6thrust23THRUST_200600_302600_NS6detail15normal_iteratorINS9_10device_ptrIhEEEENS0_8identityIhEEEE10hipError_tT2_T3_mT4_P12ihipStream_tbEUlT_E_NS1_11comp_targetILNS1_3genE10ELNS1_11target_archE1200ELNS1_3gpuE4ELNS1_3repE0EEENS1_30default_config_static_selectorELNS0_4arch9wavefront6targetE1EEEvT1_
		.amdhsa_group_segment_fixed_size 0
		.amdhsa_private_segment_fixed_size 0
		.amdhsa_kernarg_size 40
		.amdhsa_user_sgpr_count 6
		.amdhsa_user_sgpr_private_segment_buffer 1
		.amdhsa_user_sgpr_dispatch_ptr 0
		.amdhsa_user_sgpr_queue_ptr 0
		.amdhsa_user_sgpr_kernarg_segment_ptr 1
		.amdhsa_user_sgpr_dispatch_id 0
		.amdhsa_user_sgpr_flat_scratch_init 0
		.amdhsa_user_sgpr_kernarg_preload_length 0
		.amdhsa_user_sgpr_kernarg_preload_offset 0
		.amdhsa_user_sgpr_private_segment_size 0
		.amdhsa_uses_dynamic_stack 0
		.amdhsa_system_sgpr_private_segment_wavefront_offset 0
		.amdhsa_system_sgpr_workgroup_id_x 1
		.amdhsa_system_sgpr_workgroup_id_y 0
		.amdhsa_system_sgpr_workgroup_id_z 0
		.amdhsa_system_sgpr_workgroup_info 0
		.amdhsa_system_vgpr_workitem_id 0
		.amdhsa_next_free_vgpr 1
		.amdhsa_next_free_sgpr 0
		.amdhsa_accum_offset 4
		.amdhsa_reserve_vcc 0
		.amdhsa_reserve_flat_scratch 0
		.amdhsa_float_round_mode_32 0
		.amdhsa_float_round_mode_16_64 0
		.amdhsa_float_denorm_mode_32 3
		.amdhsa_float_denorm_mode_16_64 3
		.amdhsa_dx10_clamp 1
		.amdhsa_ieee_mode 1
		.amdhsa_fp16_overflow 0
		.amdhsa_tg_split 0
		.amdhsa_exception_fp_ieee_invalid_op 0
		.amdhsa_exception_fp_denorm_src 0
		.amdhsa_exception_fp_ieee_div_zero 0
		.amdhsa_exception_fp_ieee_overflow 0
		.amdhsa_exception_fp_ieee_underflow 0
		.amdhsa_exception_fp_ieee_inexact 0
		.amdhsa_exception_int_div_zero 0
	.end_amdhsa_kernel
	.section	.text._ZN7rocprim17ROCPRIM_400000_NS6detail17trampoline_kernelINS0_14default_configENS1_25transform_config_selectorIhLb0EEEZNS1_14transform_implILb0ES3_S5_PhN6thrust23THRUST_200600_302600_NS6detail15normal_iteratorINS9_10device_ptrIhEEEENS0_8identityIhEEEE10hipError_tT2_T3_mT4_P12ihipStream_tbEUlT_E_NS1_11comp_targetILNS1_3genE10ELNS1_11target_archE1200ELNS1_3gpuE4ELNS1_3repE0EEENS1_30default_config_static_selectorELNS0_4arch9wavefront6targetE1EEEvT1_,"axG",@progbits,_ZN7rocprim17ROCPRIM_400000_NS6detail17trampoline_kernelINS0_14default_configENS1_25transform_config_selectorIhLb0EEEZNS1_14transform_implILb0ES3_S5_PhN6thrust23THRUST_200600_302600_NS6detail15normal_iteratorINS9_10device_ptrIhEEEENS0_8identityIhEEEE10hipError_tT2_T3_mT4_P12ihipStream_tbEUlT_E_NS1_11comp_targetILNS1_3genE10ELNS1_11target_archE1200ELNS1_3gpuE4ELNS1_3repE0EEENS1_30default_config_static_selectorELNS0_4arch9wavefront6targetE1EEEvT1_,comdat
.Lfunc_end2915:
	.size	_ZN7rocprim17ROCPRIM_400000_NS6detail17trampoline_kernelINS0_14default_configENS1_25transform_config_selectorIhLb0EEEZNS1_14transform_implILb0ES3_S5_PhN6thrust23THRUST_200600_302600_NS6detail15normal_iteratorINS9_10device_ptrIhEEEENS0_8identityIhEEEE10hipError_tT2_T3_mT4_P12ihipStream_tbEUlT_E_NS1_11comp_targetILNS1_3genE10ELNS1_11target_archE1200ELNS1_3gpuE4ELNS1_3repE0EEENS1_30default_config_static_selectorELNS0_4arch9wavefront6targetE1EEEvT1_, .Lfunc_end2915-_ZN7rocprim17ROCPRIM_400000_NS6detail17trampoline_kernelINS0_14default_configENS1_25transform_config_selectorIhLb0EEEZNS1_14transform_implILb0ES3_S5_PhN6thrust23THRUST_200600_302600_NS6detail15normal_iteratorINS9_10device_ptrIhEEEENS0_8identityIhEEEE10hipError_tT2_T3_mT4_P12ihipStream_tbEUlT_E_NS1_11comp_targetILNS1_3genE10ELNS1_11target_archE1200ELNS1_3gpuE4ELNS1_3repE0EEENS1_30default_config_static_selectorELNS0_4arch9wavefront6targetE1EEEvT1_
                                        ; -- End function
	.section	.AMDGPU.csdata,"",@progbits
; Kernel info:
; codeLenInByte = 0
; NumSgprs: 4
; NumVgprs: 0
; NumAgprs: 0
; TotalNumVgprs: 0
; ScratchSize: 0
; MemoryBound: 0
; FloatMode: 240
; IeeeMode: 1
; LDSByteSize: 0 bytes/workgroup (compile time only)
; SGPRBlocks: 0
; VGPRBlocks: 0
; NumSGPRsForWavesPerEU: 4
; NumVGPRsForWavesPerEU: 1
; AccumOffset: 4
; Occupancy: 8
; WaveLimiterHint : 0
; COMPUTE_PGM_RSRC2:SCRATCH_EN: 0
; COMPUTE_PGM_RSRC2:USER_SGPR: 6
; COMPUTE_PGM_RSRC2:TRAP_HANDLER: 0
; COMPUTE_PGM_RSRC2:TGID_X_EN: 1
; COMPUTE_PGM_RSRC2:TGID_Y_EN: 0
; COMPUTE_PGM_RSRC2:TGID_Z_EN: 0
; COMPUTE_PGM_RSRC2:TIDIG_COMP_CNT: 0
; COMPUTE_PGM_RSRC3_GFX90A:ACCUM_OFFSET: 0
; COMPUTE_PGM_RSRC3_GFX90A:TG_SPLIT: 0
	.section	.text._ZN7rocprim17ROCPRIM_400000_NS6detail17trampoline_kernelINS0_14default_configENS1_25transform_config_selectorIhLb0EEEZNS1_14transform_implILb0ES3_S5_PhN6thrust23THRUST_200600_302600_NS6detail15normal_iteratorINS9_10device_ptrIhEEEENS0_8identityIhEEEE10hipError_tT2_T3_mT4_P12ihipStream_tbEUlT_E_NS1_11comp_targetILNS1_3genE9ELNS1_11target_archE1100ELNS1_3gpuE3ELNS1_3repE0EEENS1_30default_config_static_selectorELNS0_4arch9wavefront6targetE1EEEvT1_,"axG",@progbits,_ZN7rocprim17ROCPRIM_400000_NS6detail17trampoline_kernelINS0_14default_configENS1_25transform_config_selectorIhLb0EEEZNS1_14transform_implILb0ES3_S5_PhN6thrust23THRUST_200600_302600_NS6detail15normal_iteratorINS9_10device_ptrIhEEEENS0_8identityIhEEEE10hipError_tT2_T3_mT4_P12ihipStream_tbEUlT_E_NS1_11comp_targetILNS1_3genE9ELNS1_11target_archE1100ELNS1_3gpuE3ELNS1_3repE0EEENS1_30default_config_static_selectorELNS0_4arch9wavefront6targetE1EEEvT1_,comdat
	.protected	_ZN7rocprim17ROCPRIM_400000_NS6detail17trampoline_kernelINS0_14default_configENS1_25transform_config_selectorIhLb0EEEZNS1_14transform_implILb0ES3_S5_PhN6thrust23THRUST_200600_302600_NS6detail15normal_iteratorINS9_10device_ptrIhEEEENS0_8identityIhEEEE10hipError_tT2_T3_mT4_P12ihipStream_tbEUlT_E_NS1_11comp_targetILNS1_3genE9ELNS1_11target_archE1100ELNS1_3gpuE3ELNS1_3repE0EEENS1_30default_config_static_selectorELNS0_4arch9wavefront6targetE1EEEvT1_ ; -- Begin function _ZN7rocprim17ROCPRIM_400000_NS6detail17trampoline_kernelINS0_14default_configENS1_25transform_config_selectorIhLb0EEEZNS1_14transform_implILb0ES3_S5_PhN6thrust23THRUST_200600_302600_NS6detail15normal_iteratorINS9_10device_ptrIhEEEENS0_8identityIhEEEE10hipError_tT2_T3_mT4_P12ihipStream_tbEUlT_E_NS1_11comp_targetILNS1_3genE9ELNS1_11target_archE1100ELNS1_3gpuE3ELNS1_3repE0EEENS1_30default_config_static_selectorELNS0_4arch9wavefront6targetE1EEEvT1_
	.globl	_ZN7rocprim17ROCPRIM_400000_NS6detail17trampoline_kernelINS0_14default_configENS1_25transform_config_selectorIhLb0EEEZNS1_14transform_implILb0ES3_S5_PhN6thrust23THRUST_200600_302600_NS6detail15normal_iteratorINS9_10device_ptrIhEEEENS0_8identityIhEEEE10hipError_tT2_T3_mT4_P12ihipStream_tbEUlT_E_NS1_11comp_targetILNS1_3genE9ELNS1_11target_archE1100ELNS1_3gpuE3ELNS1_3repE0EEENS1_30default_config_static_selectorELNS0_4arch9wavefront6targetE1EEEvT1_
	.p2align	8
	.type	_ZN7rocprim17ROCPRIM_400000_NS6detail17trampoline_kernelINS0_14default_configENS1_25transform_config_selectorIhLb0EEEZNS1_14transform_implILb0ES3_S5_PhN6thrust23THRUST_200600_302600_NS6detail15normal_iteratorINS9_10device_ptrIhEEEENS0_8identityIhEEEE10hipError_tT2_T3_mT4_P12ihipStream_tbEUlT_E_NS1_11comp_targetILNS1_3genE9ELNS1_11target_archE1100ELNS1_3gpuE3ELNS1_3repE0EEENS1_30default_config_static_selectorELNS0_4arch9wavefront6targetE1EEEvT1_,@function
_ZN7rocprim17ROCPRIM_400000_NS6detail17trampoline_kernelINS0_14default_configENS1_25transform_config_selectorIhLb0EEEZNS1_14transform_implILb0ES3_S5_PhN6thrust23THRUST_200600_302600_NS6detail15normal_iteratorINS9_10device_ptrIhEEEENS0_8identityIhEEEE10hipError_tT2_T3_mT4_P12ihipStream_tbEUlT_E_NS1_11comp_targetILNS1_3genE9ELNS1_11target_archE1100ELNS1_3gpuE3ELNS1_3repE0EEENS1_30default_config_static_selectorELNS0_4arch9wavefront6targetE1EEEvT1_: ; @_ZN7rocprim17ROCPRIM_400000_NS6detail17trampoline_kernelINS0_14default_configENS1_25transform_config_selectorIhLb0EEEZNS1_14transform_implILb0ES3_S5_PhN6thrust23THRUST_200600_302600_NS6detail15normal_iteratorINS9_10device_ptrIhEEEENS0_8identityIhEEEE10hipError_tT2_T3_mT4_P12ihipStream_tbEUlT_E_NS1_11comp_targetILNS1_3genE9ELNS1_11target_archE1100ELNS1_3gpuE3ELNS1_3repE0EEENS1_30default_config_static_selectorELNS0_4arch9wavefront6targetE1EEEvT1_
; %bb.0:
	.section	.rodata,"a",@progbits
	.p2align	6, 0x0
	.amdhsa_kernel _ZN7rocprim17ROCPRIM_400000_NS6detail17trampoline_kernelINS0_14default_configENS1_25transform_config_selectorIhLb0EEEZNS1_14transform_implILb0ES3_S5_PhN6thrust23THRUST_200600_302600_NS6detail15normal_iteratorINS9_10device_ptrIhEEEENS0_8identityIhEEEE10hipError_tT2_T3_mT4_P12ihipStream_tbEUlT_E_NS1_11comp_targetILNS1_3genE9ELNS1_11target_archE1100ELNS1_3gpuE3ELNS1_3repE0EEENS1_30default_config_static_selectorELNS0_4arch9wavefront6targetE1EEEvT1_
		.amdhsa_group_segment_fixed_size 0
		.amdhsa_private_segment_fixed_size 0
		.amdhsa_kernarg_size 40
		.amdhsa_user_sgpr_count 6
		.amdhsa_user_sgpr_private_segment_buffer 1
		.amdhsa_user_sgpr_dispatch_ptr 0
		.amdhsa_user_sgpr_queue_ptr 0
		.amdhsa_user_sgpr_kernarg_segment_ptr 1
		.amdhsa_user_sgpr_dispatch_id 0
		.amdhsa_user_sgpr_flat_scratch_init 0
		.amdhsa_user_sgpr_kernarg_preload_length 0
		.amdhsa_user_sgpr_kernarg_preload_offset 0
		.amdhsa_user_sgpr_private_segment_size 0
		.amdhsa_uses_dynamic_stack 0
		.amdhsa_system_sgpr_private_segment_wavefront_offset 0
		.amdhsa_system_sgpr_workgroup_id_x 1
		.amdhsa_system_sgpr_workgroup_id_y 0
		.amdhsa_system_sgpr_workgroup_id_z 0
		.amdhsa_system_sgpr_workgroup_info 0
		.amdhsa_system_vgpr_workitem_id 0
		.amdhsa_next_free_vgpr 1
		.amdhsa_next_free_sgpr 0
		.amdhsa_accum_offset 4
		.amdhsa_reserve_vcc 0
		.amdhsa_reserve_flat_scratch 0
		.amdhsa_float_round_mode_32 0
		.amdhsa_float_round_mode_16_64 0
		.amdhsa_float_denorm_mode_32 3
		.amdhsa_float_denorm_mode_16_64 3
		.amdhsa_dx10_clamp 1
		.amdhsa_ieee_mode 1
		.amdhsa_fp16_overflow 0
		.amdhsa_tg_split 0
		.amdhsa_exception_fp_ieee_invalid_op 0
		.amdhsa_exception_fp_denorm_src 0
		.amdhsa_exception_fp_ieee_div_zero 0
		.amdhsa_exception_fp_ieee_overflow 0
		.amdhsa_exception_fp_ieee_underflow 0
		.amdhsa_exception_fp_ieee_inexact 0
		.amdhsa_exception_int_div_zero 0
	.end_amdhsa_kernel
	.section	.text._ZN7rocprim17ROCPRIM_400000_NS6detail17trampoline_kernelINS0_14default_configENS1_25transform_config_selectorIhLb0EEEZNS1_14transform_implILb0ES3_S5_PhN6thrust23THRUST_200600_302600_NS6detail15normal_iteratorINS9_10device_ptrIhEEEENS0_8identityIhEEEE10hipError_tT2_T3_mT4_P12ihipStream_tbEUlT_E_NS1_11comp_targetILNS1_3genE9ELNS1_11target_archE1100ELNS1_3gpuE3ELNS1_3repE0EEENS1_30default_config_static_selectorELNS0_4arch9wavefront6targetE1EEEvT1_,"axG",@progbits,_ZN7rocprim17ROCPRIM_400000_NS6detail17trampoline_kernelINS0_14default_configENS1_25transform_config_selectorIhLb0EEEZNS1_14transform_implILb0ES3_S5_PhN6thrust23THRUST_200600_302600_NS6detail15normal_iteratorINS9_10device_ptrIhEEEENS0_8identityIhEEEE10hipError_tT2_T3_mT4_P12ihipStream_tbEUlT_E_NS1_11comp_targetILNS1_3genE9ELNS1_11target_archE1100ELNS1_3gpuE3ELNS1_3repE0EEENS1_30default_config_static_selectorELNS0_4arch9wavefront6targetE1EEEvT1_,comdat
.Lfunc_end2916:
	.size	_ZN7rocprim17ROCPRIM_400000_NS6detail17trampoline_kernelINS0_14default_configENS1_25transform_config_selectorIhLb0EEEZNS1_14transform_implILb0ES3_S5_PhN6thrust23THRUST_200600_302600_NS6detail15normal_iteratorINS9_10device_ptrIhEEEENS0_8identityIhEEEE10hipError_tT2_T3_mT4_P12ihipStream_tbEUlT_E_NS1_11comp_targetILNS1_3genE9ELNS1_11target_archE1100ELNS1_3gpuE3ELNS1_3repE0EEENS1_30default_config_static_selectorELNS0_4arch9wavefront6targetE1EEEvT1_, .Lfunc_end2916-_ZN7rocprim17ROCPRIM_400000_NS6detail17trampoline_kernelINS0_14default_configENS1_25transform_config_selectorIhLb0EEEZNS1_14transform_implILb0ES3_S5_PhN6thrust23THRUST_200600_302600_NS6detail15normal_iteratorINS9_10device_ptrIhEEEENS0_8identityIhEEEE10hipError_tT2_T3_mT4_P12ihipStream_tbEUlT_E_NS1_11comp_targetILNS1_3genE9ELNS1_11target_archE1100ELNS1_3gpuE3ELNS1_3repE0EEENS1_30default_config_static_selectorELNS0_4arch9wavefront6targetE1EEEvT1_
                                        ; -- End function
	.section	.AMDGPU.csdata,"",@progbits
; Kernel info:
; codeLenInByte = 0
; NumSgprs: 4
; NumVgprs: 0
; NumAgprs: 0
; TotalNumVgprs: 0
; ScratchSize: 0
; MemoryBound: 0
; FloatMode: 240
; IeeeMode: 1
; LDSByteSize: 0 bytes/workgroup (compile time only)
; SGPRBlocks: 0
; VGPRBlocks: 0
; NumSGPRsForWavesPerEU: 4
; NumVGPRsForWavesPerEU: 1
; AccumOffset: 4
; Occupancy: 8
; WaveLimiterHint : 0
; COMPUTE_PGM_RSRC2:SCRATCH_EN: 0
; COMPUTE_PGM_RSRC2:USER_SGPR: 6
; COMPUTE_PGM_RSRC2:TRAP_HANDLER: 0
; COMPUTE_PGM_RSRC2:TGID_X_EN: 1
; COMPUTE_PGM_RSRC2:TGID_Y_EN: 0
; COMPUTE_PGM_RSRC2:TGID_Z_EN: 0
; COMPUTE_PGM_RSRC2:TIDIG_COMP_CNT: 0
; COMPUTE_PGM_RSRC3_GFX90A:ACCUM_OFFSET: 0
; COMPUTE_PGM_RSRC3_GFX90A:TG_SPLIT: 0
	.section	.text._ZN7rocprim17ROCPRIM_400000_NS6detail17trampoline_kernelINS0_14default_configENS1_25transform_config_selectorIhLb0EEEZNS1_14transform_implILb0ES3_S5_PhN6thrust23THRUST_200600_302600_NS6detail15normal_iteratorINS9_10device_ptrIhEEEENS0_8identityIhEEEE10hipError_tT2_T3_mT4_P12ihipStream_tbEUlT_E_NS1_11comp_targetILNS1_3genE8ELNS1_11target_archE1030ELNS1_3gpuE2ELNS1_3repE0EEENS1_30default_config_static_selectorELNS0_4arch9wavefront6targetE1EEEvT1_,"axG",@progbits,_ZN7rocprim17ROCPRIM_400000_NS6detail17trampoline_kernelINS0_14default_configENS1_25transform_config_selectorIhLb0EEEZNS1_14transform_implILb0ES3_S5_PhN6thrust23THRUST_200600_302600_NS6detail15normal_iteratorINS9_10device_ptrIhEEEENS0_8identityIhEEEE10hipError_tT2_T3_mT4_P12ihipStream_tbEUlT_E_NS1_11comp_targetILNS1_3genE8ELNS1_11target_archE1030ELNS1_3gpuE2ELNS1_3repE0EEENS1_30default_config_static_selectorELNS0_4arch9wavefront6targetE1EEEvT1_,comdat
	.protected	_ZN7rocprim17ROCPRIM_400000_NS6detail17trampoline_kernelINS0_14default_configENS1_25transform_config_selectorIhLb0EEEZNS1_14transform_implILb0ES3_S5_PhN6thrust23THRUST_200600_302600_NS6detail15normal_iteratorINS9_10device_ptrIhEEEENS0_8identityIhEEEE10hipError_tT2_T3_mT4_P12ihipStream_tbEUlT_E_NS1_11comp_targetILNS1_3genE8ELNS1_11target_archE1030ELNS1_3gpuE2ELNS1_3repE0EEENS1_30default_config_static_selectorELNS0_4arch9wavefront6targetE1EEEvT1_ ; -- Begin function _ZN7rocprim17ROCPRIM_400000_NS6detail17trampoline_kernelINS0_14default_configENS1_25transform_config_selectorIhLb0EEEZNS1_14transform_implILb0ES3_S5_PhN6thrust23THRUST_200600_302600_NS6detail15normal_iteratorINS9_10device_ptrIhEEEENS0_8identityIhEEEE10hipError_tT2_T3_mT4_P12ihipStream_tbEUlT_E_NS1_11comp_targetILNS1_3genE8ELNS1_11target_archE1030ELNS1_3gpuE2ELNS1_3repE0EEENS1_30default_config_static_selectorELNS0_4arch9wavefront6targetE1EEEvT1_
	.globl	_ZN7rocprim17ROCPRIM_400000_NS6detail17trampoline_kernelINS0_14default_configENS1_25transform_config_selectorIhLb0EEEZNS1_14transform_implILb0ES3_S5_PhN6thrust23THRUST_200600_302600_NS6detail15normal_iteratorINS9_10device_ptrIhEEEENS0_8identityIhEEEE10hipError_tT2_T3_mT4_P12ihipStream_tbEUlT_E_NS1_11comp_targetILNS1_3genE8ELNS1_11target_archE1030ELNS1_3gpuE2ELNS1_3repE0EEENS1_30default_config_static_selectorELNS0_4arch9wavefront6targetE1EEEvT1_
	.p2align	8
	.type	_ZN7rocprim17ROCPRIM_400000_NS6detail17trampoline_kernelINS0_14default_configENS1_25transform_config_selectorIhLb0EEEZNS1_14transform_implILb0ES3_S5_PhN6thrust23THRUST_200600_302600_NS6detail15normal_iteratorINS9_10device_ptrIhEEEENS0_8identityIhEEEE10hipError_tT2_T3_mT4_P12ihipStream_tbEUlT_E_NS1_11comp_targetILNS1_3genE8ELNS1_11target_archE1030ELNS1_3gpuE2ELNS1_3repE0EEENS1_30default_config_static_selectorELNS0_4arch9wavefront6targetE1EEEvT1_,@function
_ZN7rocprim17ROCPRIM_400000_NS6detail17trampoline_kernelINS0_14default_configENS1_25transform_config_selectorIhLb0EEEZNS1_14transform_implILb0ES3_S5_PhN6thrust23THRUST_200600_302600_NS6detail15normal_iteratorINS9_10device_ptrIhEEEENS0_8identityIhEEEE10hipError_tT2_T3_mT4_P12ihipStream_tbEUlT_E_NS1_11comp_targetILNS1_3genE8ELNS1_11target_archE1030ELNS1_3gpuE2ELNS1_3repE0EEENS1_30default_config_static_selectorELNS0_4arch9wavefront6targetE1EEEvT1_: ; @_ZN7rocprim17ROCPRIM_400000_NS6detail17trampoline_kernelINS0_14default_configENS1_25transform_config_selectorIhLb0EEEZNS1_14transform_implILb0ES3_S5_PhN6thrust23THRUST_200600_302600_NS6detail15normal_iteratorINS9_10device_ptrIhEEEENS0_8identityIhEEEE10hipError_tT2_T3_mT4_P12ihipStream_tbEUlT_E_NS1_11comp_targetILNS1_3genE8ELNS1_11target_archE1030ELNS1_3gpuE2ELNS1_3repE0EEENS1_30default_config_static_selectorELNS0_4arch9wavefront6targetE1EEEvT1_
; %bb.0:
	.section	.rodata,"a",@progbits
	.p2align	6, 0x0
	.amdhsa_kernel _ZN7rocprim17ROCPRIM_400000_NS6detail17trampoline_kernelINS0_14default_configENS1_25transform_config_selectorIhLb0EEEZNS1_14transform_implILb0ES3_S5_PhN6thrust23THRUST_200600_302600_NS6detail15normal_iteratorINS9_10device_ptrIhEEEENS0_8identityIhEEEE10hipError_tT2_T3_mT4_P12ihipStream_tbEUlT_E_NS1_11comp_targetILNS1_3genE8ELNS1_11target_archE1030ELNS1_3gpuE2ELNS1_3repE0EEENS1_30default_config_static_selectorELNS0_4arch9wavefront6targetE1EEEvT1_
		.amdhsa_group_segment_fixed_size 0
		.amdhsa_private_segment_fixed_size 0
		.amdhsa_kernarg_size 40
		.amdhsa_user_sgpr_count 6
		.amdhsa_user_sgpr_private_segment_buffer 1
		.amdhsa_user_sgpr_dispatch_ptr 0
		.amdhsa_user_sgpr_queue_ptr 0
		.amdhsa_user_sgpr_kernarg_segment_ptr 1
		.amdhsa_user_sgpr_dispatch_id 0
		.amdhsa_user_sgpr_flat_scratch_init 0
		.amdhsa_user_sgpr_kernarg_preload_length 0
		.amdhsa_user_sgpr_kernarg_preload_offset 0
		.amdhsa_user_sgpr_private_segment_size 0
		.amdhsa_uses_dynamic_stack 0
		.amdhsa_system_sgpr_private_segment_wavefront_offset 0
		.amdhsa_system_sgpr_workgroup_id_x 1
		.amdhsa_system_sgpr_workgroup_id_y 0
		.amdhsa_system_sgpr_workgroup_id_z 0
		.amdhsa_system_sgpr_workgroup_info 0
		.amdhsa_system_vgpr_workitem_id 0
		.amdhsa_next_free_vgpr 1
		.amdhsa_next_free_sgpr 0
		.amdhsa_accum_offset 4
		.amdhsa_reserve_vcc 0
		.amdhsa_reserve_flat_scratch 0
		.amdhsa_float_round_mode_32 0
		.amdhsa_float_round_mode_16_64 0
		.amdhsa_float_denorm_mode_32 3
		.amdhsa_float_denorm_mode_16_64 3
		.amdhsa_dx10_clamp 1
		.amdhsa_ieee_mode 1
		.amdhsa_fp16_overflow 0
		.amdhsa_tg_split 0
		.amdhsa_exception_fp_ieee_invalid_op 0
		.amdhsa_exception_fp_denorm_src 0
		.amdhsa_exception_fp_ieee_div_zero 0
		.amdhsa_exception_fp_ieee_overflow 0
		.amdhsa_exception_fp_ieee_underflow 0
		.amdhsa_exception_fp_ieee_inexact 0
		.amdhsa_exception_int_div_zero 0
	.end_amdhsa_kernel
	.section	.text._ZN7rocprim17ROCPRIM_400000_NS6detail17trampoline_kernelINS0_14default_configENS1_25transform_config_selectorIhLb0EEEZNS1_14transform_implILb0ES3_S5_PhN6thrust23THRUST_200600_302600_NS6detail15normal_iteratorINS9_10device_ptrIhEEEENS0_8identityIhEEEE10hipError_tT2_T3_mT4_P12ihipStream_tbEUlT_E_NS1_11comp_targetILNS1_3genE8ELNS1_11target_archE1030ELNS1_3gpuE2ELNS1_3repE0EEENS1_30default_config_static_selectorELNS0_4arch9wavefront6targetE1EEEvT1_,"axG",@progbits,_ZN7rocprim17ROCPRIM_400000_NS6detail17trampoline_kernelINS0_14default_configENS1_25transform_config_selectorIhLb0EEEZNS1_14transform_implILb0ES3_S5_PhN6thrust23THRUST_200600_302600_NS6detail15normal_iteratorINS9_10device_ptrIhEEEENS0_8identityIhEEEE10hipError_tT2_T3_mT4_P12ihipStream_tbEUlT_E_NS1_11comp_targetILNS1_3genE8ELNS1_11target_archE1030ELNS1_3gpuE2ELNS1_3repE0EEENS1_30default_config_static_selectorELNS0_4arch9wavefront6targetE1EEEvT1_,comdat
.Lfunc_end2917:
	.size	_ZN7rocprim17ROCPRIM_400000_NS6detail17trampoline_kernelINS0_14default_configENS1_25transform_config_selectorIhLb0EEEZNS1_14transform_implILb0ES3_S5_PhN6thrust23THRUST_200600_302600_NS6detail15normal_iteratorINS9_10device_ptrIhEEEENS0_8identityIhEEEE10hipError_tT2_T3_mT4_P12ihipStream_tbEUlT_E_NS1_11comp_targetILNS1_3genE8ELNS1_11target_archE1030ELNS1_3gpuE2ELNS1_3repE0EEENS1_30default_config_static_selectorELNS0_4arch9wavefront6targetE1EEEvT1_, .Lfunc_end2917-_ZN7rocprim17ROCPRIM_400000_NS6detail17trampoline_kernelINS0_14default_configENS1_25transform_config_selectorIhLb0EEEZNS1_14transform_implILb0ES3_S5_PhN6thrust23THRUST_200600_302600_NS6detail15normal_iteratorINS9_10device_ptrIhEEEENS0_8identityIhEEEE10hipError_tT2_T3_mT4_P12ihipStream_tbEUlT_E_NS1_11comp_targetILNS1_3genE8ELNS1_11target_archE1030ELNS1_3gpuE2ELNS1_3repE0EEENS1_30default_config_static_selectorELNS0_4arch9wavefront6targetE1EEEvT1_
                                        ; -- End function
	.section	.AMDGPU.csdata,"",@progbits
; Kernel info:
; codeLenInByte = 0
; NumSgprs: 4
; NumVgprs: 0
; NumAgprs: 0
; TotalNumVgprs: 0
; ScratchSize: 0
; MemoryBound: 0
; FloatMode: 240
; IeeeMode: 1
; LDSByteSize: 0 bytes/workgroup (compile time only)
; SGPRBlocks: 0
; VGPRBlocks: 0
; NumSGPRsForWavesPerEU: 4
; NumVGPRsForWavesPerEU: 1
; AccumOffset: 4
; Occupancy: 8
; WaveLimiterHint : 0
; COMPUTE_PGM_RSRC2:SCRATCH_EN: 0
; COMPUTE_PGM_RSRC2:USER_SGPR: 6
; COMPUTE_PGM_RSRC2:TRAP_HANDLER: 0
; COMPUTE_PGM_RSRC2:TGID_X_EN: 1
; COMPUTE_PGM_RSRC2:TGID_Y_EN: 0
; COMPUTE_PGM_RSRC2:TGID_Z_EN: 0
; COMPUTE_PGM_RSRC2:TIDIG_COMP_CNT: 0
; COMPUTE_PGM_RSRC3_GFX90A:ACCUM_OFFSET: 0
; COMPUTE_PGM_RSRC3_GFX90A:TG_SPLIT: 0
	.section	.text._ZN7rocprim17ROCPRIM_400000_NS6detail44device_merge_sort_compile_time_verifier_archINS1_11comp_targetILNS1_3genE0ELNS1_11target_archE4294967295ELNS1_3gpuE0ELNS1_3repE0EEES8_NS0_14default_configES9_NS1_37merge_sort_block_sort_config_selectorIsNS0_10empty_typeEEENS1_38merge_sort_block_merge_config_selectorIsSB_EEEEvv,"axG",@progbits,_ZN7rocprim17ROCPRIM_400000_NS6detail44device_merge_sort_compile_time_verifier_archINS1_11comp_targetILNS1_3genE0ELNS1_11target_archE4294967295ELNS1_3gpuE0ELNS1_3repE0EEES8_NS0_14default_configES9_NS1_37merge_sort_block_sort_config_selectorIsNS0_10empty_typeEEENS1_38merge_sort_block_merge_config_selectorIsSB_EEEEvv,comdat
	.protected	_ZN7rocprim17ROCPRIM_400000_NS6detail44device_merge_sort_compile_time_verifier_archINS1_11comp_targetILNS1_3genE0ELNS1_11target_archE4294967295ELNS1_3gpuE0ELNS1_3repE0EEES8_NS0_14default_configES9_NS1_37merge_sort_block_sort_config_selectorIsNS0_10empty_typeEEENS1_38merge_sort_block_merge_config_selectorIsSB_EEEEvv ; -- Begin function _ZN7rocprim17ROCPRIM_400000_NS6detail44device_merge_sort_compile_time_verifier_archINS1_11comp_targetILNS1_3genE0ELNS1_11target_archE4294967295ELNS1_3gpuE0ELNS1_3repE0EEES8_NS0_14default_configES9_NS1_37merge_sort_block_sort_config_selectorIsNS0_10empty_typeEEENS1_38merge_sort_block_merge_config_selectorIsSB_EEEEvv
	.globl	_ZN7rocprim17ROCPRIM_400000_NS6detail44device_merge_sort_compile_time_verifier_archINS1_11comp_targetILNS1_3genE0ELNS1_11target_archE4294967295ELNS1_3gpuE0ELNS1_3repE0EEES8_NS0_14default_configES9_NS1_37merge_sort_block_sort_config_selectorIsNS0_10empty_typeEEENS1_38merge_sort_block_merge_config_selectorIsSB_EEEEvv
	.p2align	8
	.type	_ZN7rocprim17ROCPRIM_400000_NS6detail44device_merge_sort_compile_time_verifier_archINS1_11comp_targetILNS1_3genE0ELNS1_11target_archE4294967295ELNS1_3gpuE0ELNS1_3repE0EEES8_NS0_14default_configES9_NS1_37merge_sort_block_sort_config_selectorIsNS0_10empty_typeEEENS1_38merge_sort_block_merge_config_selectorIsSB_EEEEvv,@function
_ZN7rocprim17ROCPRIM_400000_NS6detail44device_merge_sort_compile_time_verifier_archINS1_11comp_targetILNS1_3genE0ELNS1_11target_archE4294967295ELNS1_3gpuE0ELNS1_3repE0EEES8_NS0_14default_configES9_NS1_37merge_sort_block_sort_config_selectorIsNS0_10empty_typeEEENS1_38merge_sort_block_merge_config_selectorIsSB_EEEEvv: ; @_ZN7rocprim17ROCPRIM_400000_NS6detail44device_merge_sort_compile_time_verifier_archINS1_11comp_targetILNS1_3genE0ELNS1_11target_archE4294967295ELNS1_3gpuE0ELNS1_3repE0EEES8_NS0_14default_configES9_NS1_37merge_sort_block_sort_config_selectorIsNS0_10empty_typeEEENS1_38merge_sort_block_merge_config_selectorIsSB_EEEEvv
; %bb.0:
	s_endpgm
	.section	.rodata,"a",@progbits
	.p2align	6, 0x0
	.amdhsa_kernel _ZN7rocprim17ROCPRIM_400000_NS6detail44device_merge_sort_compile_time_verifier_archINS1_11comp_targetILNS1_3genE0ELNS1_11target_archE4294967295ELNS1_3gpuE0ELNS1_3repE0EEES8_NS0_14default_configES9_NS1_37merge_sort_block_sort_config_selectorIsNS0_10empty_typeEEENS1_38merge_sort_block_merge_config_selectorIsSB_EEEEvv
		.amdhsa_group_segment_fixed_size 0
		.amdhsa_private_segment_fixed_size 0
		.amdhsa_kernarg_size 0
		.amdhsa_user_sgpr_count 4
		.amdhsa_user_sgpr_private_segment_buffer 1
		.amdhsa_user_sgpr_dispatch_ptr 0
		.amdhsa_user_sgpr_queue_ptr 0
		.amdhsa_user_sgpr_kernarg_segment_ptr 0
		.amdhsa_user_sgpr_dispatch_id 0
		.amdhsa_user_sgpr_flat_scratch_init 0
		.amdhsa_user_sgpr_kernarg_preload_length 0
		.amdhsa_user_sgpr_kernarg_preload_offset 0
		.amdhsa_user_sgpr_private_segment_size 0
		.amdhsa_uses_dynamic_stack 0
		.amdhsa_system_sgpr_private_segment_wavefront_offset 0
		.amdhsa_system_sgpr_workgroup_id_x 1
		.amdhsa_system_sgpr_workgroup_id_y 0
		.amdhsa_system_sgpr_workgroup_id_z 0
		.amdhsa_system_sgpr_workgroup_info 0
		.amdhsa_system_vgpr_workitem_id 0
		.amdhsa_next_free_vgpr 1
		.amdhsa_next_free_sgpr 0
		.amdhsa_accum_offset 4
		.amdhsa_reserve_vcc 0
		.amdhsa_reserve_flat_scratch 0
		.amdhsa_float_round_mode_32 0
		.amdhsa_float_round_mode_16_64 0
		.amdhsa_float_denorm_mode_32 3
		.amdhsa_float_denorm_mode_16_64 3
		.amdhsa_dx10_clamp 1
		.amdhsa_ieee_mode 1
		.amdhsa_fp16_overflow 0
		.amdhsa_tg_split 0
		.amdhsa_exception_fp_ieee_invalid_op 0
		.amdhsa_exception_fp_denorm_src 0
		.amdhsa_exception_fp_ieee_div_zero 0
		.amdhsa_exception_fp_ieee_overflow 0
		.amdhsa_exception_fp_ieee_underflow 0
		.amdhsa_exception_fp_ieee_inexact 0
		.amdhsa_exception_int_div_zero 0
	.end_amdhsa_kernel
	.section	.text._ZN7rocprim17ROCPRIM_400000_NS6detail44device_merge_sort_compile_time_verifier_archINS1_11comp_targetILNS1_3genE0ELNS1_11target_archE4294967295ELNS1_3gpuE0ELNS1_3repE0EEES8_NS0_14default_configES9_NS1_37merge_sort_block_sort_config_selectorIsNS0_10empty_typeEEENS1_38merge_sort_block_merge_config_selectorIsSB_EEEEvv,"axG",@progbits,_ZN7rocprim17ROCPRIM_400000_NS6detail44device_merge_sort_compile_time_verifier_archINS1_11comp_targetILNS1_3genE0ELNS1_11target_archE4294967295ELNS1_3gpuE0ELNS1_3repE0EEES8_NS0_14default_configES9_NS1_37merge_sort_block_sort_config_selectorIsNS0_10empty_typeEEENS1_38merge_sort_block_merge_config_selectorIsSB_EEEEvv,comdat
.Lfunc_end2918:
	.size	_ZN7rocprim17ROCPRIM_400000_NS6detail44device_merge_sort_compile_time_verifier_archINS1_11comp_targetILNS1_3genE0ELNS1_11target_archE4294967295ELNS1_3gpuE0ELNS1_3repE0EEES8_NS0_14default_configES9_NS1_37merge_sort_block_sort_config_selectorIsNS0_10empty_typeEEENS1_38merge_sort_block_merge_config_selectorIsSB_EEEEvv, .Lfunc_end2918-_ZN7rocprim17ROCPRIM_400000_NS6detail44device_merge_sort_compile_time_verifier_archINS1_11comp_targetILNS1_3genE0ELNS1_11target_archE4294967295ELNS1_3gpuE0ELNS1_3repE0EEES8_NS0_14default_configES9_NS1_37merge_sort_block_sort_config_selectorIsNS0_10empty_typeEEENS1_38merge_sort_block_merge_config_selectorIsSB_EEEEvv
                                        ; -- End function
	.section	.AMDGPU.csdata,"",@progbits
; Kernel info:
; codeLenInByte = 4
; NumSgprs: 4
; NumVgprs: 0
; NumAgprs: 0
; TotalNumVgprs: 0
; ScratchSize: 0
; MemoryBound: 0
; FloatMode: 240
; IeeeMode: 1
; LDSByteSize: 0 bytes/workgroup (compile time only)
; SGPRBlocks: 0
; VGPRBlocks: 0
; NumSGPRsForWavesPerEU: 4
; NumVGPRsForWavesPerEU: 1
; AccumOffset: 4
; Occupancy: 8
; WaveLimiterHint : 0
; COMPUTE_PGM_RSRC2:SCRATCH_EN: 0
; COMPUTE_PGM_RSRC2:USER_SGPR: 4
; COMPUTE_PGM_RSRC2:TRAP_HANDLER: 0
; COMPUTE_PGM_RSRC2:TGID_X_EN: 1
; COMPUTE_PGM_RSRC2:TGID_Y_EN: 0
; COMPUTE_PGM_RSRC2:TGID_Z_EN: 0
; COMPUTE_PGM_RSRC2:TIDIG_COMP_CNT: 0
; COMPUTE_PGM_RSRC3_GFX90A:ACCUM_OFFSET: 0
; COMPUTE_PGM_RSRC3_GFX90A:TG_SPLIT: 0
	.section	.text._ZN7rocprim17ROCPRIM_400000_NS6detail44device_merge_sort_compile_time_verifier_archINS1_11comp_targetILNS1_3genE5ELNS1_11target_archE942ELNS1_3gpuE9ELNS1_3repE0EEES8_NS0_14default_configES9_NS1_37merge_sort_block_sort_config_selectorIsNS0_10empty_typeEEENS1_38merge_sort_block_merge_config_selectorIsSB_EEEEvv,"axG",@progbits,_ZN7rocprim17ROCPRIM_400000_NS6detail44device_merge_sort_compile_time_verifier_archINS1_11comp_targetILNS1_3genE5ELNS1_11target_archE942ELNS1_3gpuE9ELNS1_3repE0EEES8_NS0_14default_configES9_NS1_37merge_sort_block_sort_config_selectorIsNS0_10empty_typeEEENS1_38merge_sort_block_merge_config_selectorIsSB_EEEEvv,comdat
	.protected	_ZN7rocprim17ROCPRIM_400000_NS6detail44device_merge_sort_compile_time_verifier_archINS1_11comp_targetILNS1_3genE5ELNS1_11target_archE942ELNS1_3gpuE9ELNS1_3repE0EEES8_NS0_14default_configES9_NS1_37merge_sort_block_sort_config_selectorIsNS0_10empty_typeEEENS1_38merge_sort_block_merge_config_selectorIsSB_EEEEvv ; -- Begin function _ZN7rocprim17ROCPRIM_400000_NS6detail44device_merge_sort_compile_time_verifier_archINS1_11comp_targetILNS1_3genE5ELNS1_11target_archE942ELNS1_3gpuE9ELNS1_3repE0EEES8_NS0_14default_configES9_NS1_37merge_sort_block_sort_config_selectorIsNS0_10empty_typeEEENS1_38merge_sort_block_merge_config_selectorIsSB_EEEEvv
	.globl	_ZN7rocprim17ROCPRIM_400000_NS6detail44device_merge_sort_compile_time_verifier_archINS1_11comp_targetILNS1_3genE5ELNS1_11target_archE942ELNS1_3gpuE9ELNS1_3repE0EEES8_NS0_14default_configES9_NS1_37merge_sort_block_sort_config_selectorIsNS0_10empty_typeEEENS1_38merge_sort_block_merge_config_selectorIsSB_EEEEvv
	.p2align	8
	.type	_ZN7rocprim17ROCPRIM_400000_NS6detail44device_merge_sort_compile_time_verifier_archINS1_11comp_targetILNS1_3genE5ELNS1_11target_archE942ELNS1_3gpuE9ELNS1_3repE0EEES8_NS0_14default_configES9_NS1_37merge_sort_block_sort_config_selectorIsNS0_10empty_typeEEENS1_38merge_sort_block_merge_config_selectorIsSB_EEEEvv,@function
_ZN7rocprim17ROCPRIM_400000_NS6detail44device_merge_sort_compile_time_verifier_archINS1_11comp_targetILNS1_3genE5ELNS1_11target_archE942ELNS1_3gpuE9ELNS1_3repE0EEES8_NS0_14default_configES9_NS1_37merge_sort_block_sort_config_selectorIsNS0_10empty_typeEEENS1_38merge_sort_block_merge_config_selectorIsSB_EEEEvv: ; @_ZN7rocprim17ROCPRIM_400000_NS6detail44device_merge_sort_compile_time_verifier_archINS1_11comp_targetILNS1_3genE5ELNS1_11target_archE942ELNS1_3gpuE9ELNS1_3repE0EEES8_NS0_14default_configES9_NS1_37merge_sort_block_sort_config_selectorIsNS0_10empty_typeEEENS1_38merge_sort_block_merge_config_selectorIsSB_EEEEvv
; %bb.0:
	s_endpgm
	.section	.rodata,"a",@progbits
	.p2align	6, 0x0
	.amdhsa_kernel _ZN7rocprim17ROCPRIM_400000_NS6detail44device_merge_sort_compile_time_verifier_archINS1_11comp_targetILNS1_3genE5ELNS1_11target_archE942ELNS1_3gpuE9ELNS1_3repE0EEES8_NS0_14default_configES9_NS1_37merge_sort_block_sort_config_selectorIsNS0_10empty_typeEEENS1_38merge_sort_block_merge_config_selectorIsSB_EEEEvv
		.amdhsa_group_segment_fixed_size 0
		.amdhsa_private_segment_fixed_size 0
		.amdhsa_kernarg_size 0
		.amdhsa_user_sgpr_count 4
		.amdhsa_user_sgpr_private_segment_buffer 1
		.amdhsa_user_sgpr_dispatch_ptr 0
		.amdhsa_user_sgpr_queue_ptr 0
		.amdhsa_user_sgpr_kernarg_segment_ptr 0
		.amdhsa_user_sgpr_dispatch_id 0
		.amdhsa_user_sgpr_flat_scratch_init 0
		.amdhsa_user_sgpr_kernarg_preload_length 0
		.amdhsa_user_sgpr_kernarg_preload_offset 0
		.amdhsa_user_sgpr_private_segment_size 0
		.amdhsa_uses_dynamic_stack 0
		.amdhsa_system_sgpr_private_segment_wavefront_offset 0
		.amdhsa_system_sgpr_workgroup_id_x 1
		.amdhsa_system_sgpr_workgroup_id_y 0
		.amdhsa_system_sgpr_workgroup_id_z 0
		.amdhsa_system_sgpr_workgroup_info 0
		.amdhsa_system_vgpr_workitem_id 0
		.amdhsa_next_free_vgpr 1
		.amdhsa_next_free_sgpr 0
		.amdhsa_accum_offset 4
		.amdhsa_reserve_vcc 0
		.amdhsa_reserve_flat_scratch 0
		.amdhsa_float_round_mode_32 0
		.amdhsa_float_round_mode_16_64 0
		.amdhsa_float_denorm_mode_32 3
		.amdhsa_float_denorm_mode_16_64 3
		.amdhsa_dx10_clamp 1
		.amdhsa_ieee_mode 1
		.amdhsa_fp16_overflow 0
		.amdhsa_tg_split 0
		.amdhsa_exception_fp_ieee_invalid_op 0
		.amdhsa_exception_fp_denorm_src 0
		.amdhsa_exception_fp_ieee_div_zero 0
		.amdhsa_exception_fp_ieee_overflow 0
		.amdhsa_exception_fp_ieee_underflow 0
		.amdhsa_exception_fp_ieee_inexact 0
		.amdhsa_exception_int_div_zero 0
	.end_amdhsa_kernel
	.section	.text._ZN7rocprim17ROCPRIM_400000_NS6detail44device_merge_sort_compile_time_verifier_archINS1_11comp_targetILNS1_3genE5ELNS1_11target_archE942ELNS1_3gpuE9ELNS1_3repE0EEES8_NS0_14default_configES9_NS1_37merge_sort_block_sort_config_selectorIsNS0_10empty_typeEEENS1_38merge_sort_block_merge_config_selectorIsSB_EEEEvv,"axG",@progbits,_ZN7rocprim17ROCPRIM_400000_NS6detail44device_merge_sort_compile_time_verifier_archINS1_11comp_targetILNS1_3genE5ELNS1_11target_archE942ELNS1_3gpuE9ELNS1_3repE0EEES8_NS0_14default_configES9_NS1_37merge_sort_block_sort_config_selectorIsNS0_10empty_typeEEENS1_38merge_sort_block_merge_config_selectorIsSB_EEEEvv,comdat
.Lfunc_end2919:
	.size	_ZN7rocprim17ROCPRIM_400000_NS6detail44device_merge_sort_compile_time_verifier_archINS1_11comp_targetILNS1_3genE5ELNS1_11target_archE942ELNS1_3gpuE9ELNS1_3repE0EEES8_NS0_14default_configES9_NS1_37merge_sort_block_sort_config_selectorIsNS0_10empty_typeEEENS1_38merge_sort_block_merge_config_selectorIsSB_EEEEvv, .Lfunc_end2919-_ZN7rocprim17ROCPRIM_400000_NS6detail44device_merge_sort_compile_time_verifier_archINS1_11comp_targetILNS1_3genE5ELNS1_11target_archE942ELNS1_3gpuE9ELNS1_3repE0EEES8_NS0_14default_configES9_NS1_37merge_sort_block_sort_config_selectorIsNS0_10empty_typeEEENS1_38merge_sort_block_merge_config_selectorIsSB_EEEEvv
                                        ; -- End function
	.section	.AMDGPU.csdata,"",@progbits
; Kernel info:
; codeLenInByte = 4
; NumSgprs: 4
; NumVgprs: 0
; NumAgprs: 0
; TotalNumVgprs: 0
; ScratchSize: 0
; MemoryBound: 0
; FloatMode: 240
; IeeeMode: 1
; LDSByteSize: 0 bytes/workgroup (compile time only)
; SGPRBlocks: 0
; VGPRBlocks: 0
; NumSGPRsForWavesPerEU: 4
; NumVGPRsForWavesPerEU: 1
; AccumOffset: 4
; Occupancy: 8
; WaveLimiterHint : 0
; COMPUTE_PGM_RSRC2:SCRATCH_EN: 0
; COMPUTE_PGM_RSRC2:USER_SGPR: 4
; COMPUTE_PGM_RSRC2:TRAP_HANDLER: 0
; COMPUTE_PGM_RSRC2:TGID_X_EN: 1
; COMPUTE_PGM_RSRC2:TGID_Y_EN: 0
; COMPUTE_PGM_RSRC2:TGID_Z_EN: 0
; COMPUTE_PGM_RSRC2:TIDIG_COMP_CNT: 0
; COMPUTE_PGM_RSRC3_GFX90A:ACCUM_OFFSET: 0
; COMPUTE_PGM_RSRC3_GFX90A:TG_SPLIT: 0
	.section	.text._ZN7rocprim17ROCPRIM_400000_NS6detail44device_merge_sort_compile_time_verifier_archINS1_11comp_targetILNS1_3genE4ELNS1_11target_archE910ELNS1_3gpuE8ELNS1_3repE0EEES8_NS0_14default_configES9_NS1_37merge_sort_block_sort_config_selectorIsNS0_10empty_typeEEENS1_38merge_sort_block_merge_config_selectorIsSB_EEEEvv,"axG",@progbits,_ZN7rocprim17ROCPRIM_400000_NS6detail44device_merge_sort_compile_time_verifier_archINS1_11comp_targetILNS1_3genE4ELNS1_11target_archE910ELNS1_3gpuE8ELNS1_3repE0EEES8_NS0_14default_configES9_NS1_37merge_sort_block_sort_config_selectorIsNS0_10empty_typeEEENS1_38merge_sort_block_merge_config_selectorIsSB_EEEEvv,comdat
	.protected	_ZN7rocprim17ROCPRIM_400000_NS6detail44device_merge_sort_compile_time_verifier_archINS1_11comp_targetILNS1_3genE4ELNS1_11target_archE910ELNS1_3gpuE8ELNS1_3repE0EEES8_NS0_14default_configES9_NS1_37merge_sort_block_sort_config_selectorIsNS0_10empty_typeEEENS1_38merge_sort_block_merge_config_selectorIsSB_EEEEvv ; -- Begin function _ZN7rocprim17ROCPRIM_400000_NS6detail44device_merge_sort_compile_time_verifier_archINS1_11comp_targetILNS1_3genE4ELNS1_11target_archE910ELNS1_3gpuE8ELNS1_3repE0EEES8_NS0_14default_configES9_NS1_37merge_sort_block_sort_config_selectorIsNS0_10empty_typeEEENS1_38merge_sort_block_merge_config_selectorIsSB_EEEEvv
	.globl	_ZN7rocprim17ROCPRIM_400000_NS6detail44device_merge_sort_compile_time_verifier_archINS1_11comp_targetILNS1_3genE4ELNS1_11target_archE910ELNS1_3gpuE8ELNS1_3repE0EEES8_NS0_14default_configES9_NS1_37merge_sort_block_sort_config_selectorIsNS0_10empty_typeEEENS1_38merge_sort_block_merge_config_selectorIsSB_EEEEvv
	.p2align	8
	.type	_ZN7rocprim17ROCPRIM_400000_NS6detail44device_merge_sort_compile_time_verifier_archINS1_11comp_targetILNS1_3genE4ELNS1_11target_archE910ELNS1_3gpuE8ELNS1_3repE0EEES8_NS0_14default_configES9_NS1_37merge_sort_block_sort_config_selectorIsNS0_10empty_typeEEENS1_38merge_sort_block_merge_config_selectorIsSB_EEEEvv,@function
_ZN7rocprim17ROCPRIM_400000_NS6detail44device_merge_sort_compile_time_verifier_archINS1_11comp_targetILNS1_3genE4ELNS1_11target_archE910ELNS1_3gpuE8ELNS1_3repE0EEES8_NS0_14default_configES9_NS1_37merge_sort_block_sort_config_selectorIsNS0_10empty_typeEEENS1_38merge_sort_block_merge_config_selectorIsSB_EEEEvv: ; @_ZN7rocprim17ROCPRIM_400000_NS6detail44device_merge_sort_compile_time_verifier_archINS1_11comp_targetILNS1_3genE4ELNS1_11target_archE910ELNS1_3gpuE8ELNS1_3repE0EEES8_NS0_14default_configES9_NS1_37merge_sort_block_sort_config_selectorIsNS0_10empty_typeEEENS1_38merge_sort_block_merge_config_selectorIsSB_EEEEvv
; %bb.0:
	s_endpgm
	.section	.rodata,"a",@progbits
	.p2align	6, 0x0
	.amdhsa_kernel _ZN7rocprim17ROCPRIM_400000_NS6detail44device_merge_sort_compile_time_verifier_archINS1_11comp_targetILNS1_3genE4ELNS1_11target_archE910ELNS1_3gpuE8ELNS1_3repE0EEES8_NS0_14default_configES9_NS1_37merge_sort_block_sort_config_selectorIsNS0_10empty_typeEEENS1_38merge_sort_block_merge_config_selectorIsSB_EEEEvv
		.amdhsa_group_segment_fixed_size 0
		.amdhsa_private_segment_fixed_size 0
		.amdhsa_kernarg_size 0
		.amdhsa_user_sgpr_count 4
		.amdhsa_user_sgpr_private_segment_buffer 1
		.amdhsa_user_sgpr_dispatch_ptr 0
		.amdhsa_user_sgpr_queue_ptr 0
		.amdhsa_user_sgpr_kernarg_segment_ptr 0
		.amdhsa_user_sgpr_dispatch_id 0
		.amdhsa_user_sgpr_flat_scratch_init 0
		.amdhsa_user_sgpr_kernarg_preload_length 0
		.amdhsa_user_sgpr_kernarg_preload_offset 0
		.amdhsa_user_sgpr_private_segment_size 0
		.amdhsa_uses_dynamic_stack 0
		.amdhsa_system_sgpr_private_segment_wavefront_offset 0
		.amdhsa_system_sgpr_workgroup_id_x 1
		.amdhsa_system_sgpr_workgroup_id_y 0
		.amdhsa_system_sgpr_workgroup_id_z 0
		.amdhsa_system_sgpr_workgroup_info 0
		.amdhsa_system_vgpr_workitem_id 0
		.amdhsa_next_free_vgpr 1
		.amdhsa_next_free_sgpr 0
		.amdhsa_accum_offset 4
		.amdhsa_reserve_vcc 0
		.amdhsa_reserve_flat_scratch 0
		.amdhsa_float_round_mode_32 0
		.amdhsa_float_round_mode_16_64 0
		.amdhsa_float_denorm_mode_32 3
		.amdhsa_float_denorm_mode_16_64 3
		.amdhsa_dx10_clamp 1
		.amdhsa_ieee_mode 1
		.amdhsa_fp16_overflow 0
		.amdhsa_tg_split 0
		.amdhsa_exception_fp_ieee_invalid_op 0
		.amdhsa_exception_fp_denorm_src 0
		.amdhsa_exception_fp_ieee_div_zero 0
		.amdhsa_exception_fp_ieee_overflow 0
		.amdhsa_exception_fp_ieee_underflow 0
		.amdhsa_exception_fp_ieee_inexact 0
		.amdhsa_exception_int_div_zero 0
	.end_amdhsa_kernel
	.section	.text._ZN7rocprim17ROCPRIM_400000_NS6detail44device_merge_sort_compile_time_verifier_archINS1_11comp_targetILNS1_3genE4ELNS1_11target_archE910ELNS1_3gpuE8ELNS1_3repE0EEES8_NS0_14default_configES9_NS1_37merge_sort_block_sort_config_selectorIsNS0_10empty_typeEEENS1_38merge_sort_block_merge_config_selectorIsSB_EEEEvv,"axG",@progbits,_ZN7rocprim17ROCPRIM_400000_NS6detail44device_merge_sort_compile_time_verifier_archINS1_11comp_targetILNS1_3genE4ELNS1_11target_archE910ELNS1_3gpuE8ELNS1_3repE0EEES8_NS0_14default_configES9_NS1_37merge_sort_block_sort_config_selectorIsNS0_10empty_typeEEENS1_38merge_sort_block_merge_config_selectorIsSB_EEEEvv,comdat
.Lfunc_end2920:
	.size	_ZN7rocprim17ROCPRIM_400000_NS6detail44device_merge_sort_compile_time_verifier_archINS1_11comp_targetILNS1_3genE4ELNS1_11target_archE910ELNS1_3gpuE8ELNS1_3repE0EEES8_NS0_14default_configES9_NS1_37merge_sort_block_sort_config_selectorIsNS0_10empty_typeEEENS1_38merge_sort_block_merge_config_selectorIsSB_EEEEvv, .Lfunc_end2920-_ZN7rocprim17ROCPRIM_400000_NS6detail44device_merge_sort_compile_time_verifier_archINS1_11comp_targetILNS1_3genE4ELNS1_11target_archE910ELNS1_3gpuE8ELNS1_3repE0EEES8_NS0_14default_configES9_NS1_37merge_sort_block_sort_config_selectorIsNS0_10empty_typeEEENS1_38merge_sort_block_merge_config_selectorIsSB_EEEEvv
                                        ; -- End function
	.section	.AMDGPU.csdata,"",@progbits
; Kernel info:
; codeLenInByte = 4
; NumSgprs: 4
; NumVgprs: 0
; NumAgprs: 0
; TotalNumVgprs: 0
; ScratchSize: 0
; MemoryBound: 0
; FloatMode: 240
; IeeeMode: 1
; LDSByteSize: 0 bytes/workgroup (compile time only)
; SGPRBlocks: 0
; VGPRBlocks: 0
; NumSGPRsForWavesPerEU: 4
; NumVGPRsForWavesPerEU: 1
; AccumOffset: 4
; Occupancy: 8
; WaveLimiterHint : 0
; COMPUTE_PGM_RSRC2:SCRATCH_EN: 0
; COMPUTE_PGM_RSRC2:USER_SGPR: 4
; COMPUTE_PGM_RSRC2:TRAP_HANDLER: 0
; COMPUTE_PGM_RSRC2:TGID_X_EN: 1
; COMPUTE_PGM_RSRC2:TGID_Y_EN: 0
; COMPUTE_PGM_RSRC2:TGID_Z_EN: 0
; COMPUTE_PGM_RSRC2:TIDIG_COMP_CNT: 0
; COMPUTE_PGM_RSRC3_GFX90A:ACCUM_OFFSET: 0
; COMPUTE_PGM_RSRC3_GFX90A:TG_SPLIT: 0
	.section	.text._ZN7rocprim17ROCPRIM_400000_NS6detail44device_merge_sort_compile_time_verifier_archINS1_11comp_targetILNS1_3genE3ELNS1_11target_archE908ELNS1_3gpuE7ELNS1_3repE0EEES8_NS0_14default_configES9_NS1_37merge_sort_block_sort_config_selectorIsNS0_10empty_typeEEENS1_38merge_sort_block_merge_config_selectorIsSB_EEEEvv,"axG",@progbits,_ZN7rocprim17ROCPRIM_400000_NS6detail44device_merge_sort_compile_time_verifier_archINS1_11comp_targetILNS1_3genE3ELNS1_11target_archE908ELNS1_3gpuE7ELNS1_3repE0EEES8_NS0_14default_configES9_NS1_37merge_sort_block_sort_config_selectorIsNS0_10empty_typeEEENS1_38merge_sort_block_merge_config_selectorIsSB_EEEEvv,comdat
	.protected	_ZN7rocprim17ROCPRIM_400000_NS6detail44device_merge_sort_compile_time_verifier_archINS1_11comp_targetILNS1_3genE3ELNS1_11target_archE908ELNS1_3gpuE7ELNS1_3repE0EEES8_NS0_14default_configES9_NS1_37merge_sort_block_sort_config_selectorIsNS0_10empty_typeEEENS1_38merge_sort_block_merge_config_selectorIsSB_EEEEvv ; -- Begin function _ZN7rocprim17ROCPRIM_400000_NS6detail44device_merge_sort_compile_time_verifier_archINS1_11comp_targetILNS1_3genE3ELNS1_11target_archE908ELNS1_3gpuE7ELNS1_3repE0EEES8_NS0_14default_configES9_NS1_37merge_sort_block_sort_config_selectorIsNS0_10empty_typeEEENS1_38merge_sort_block_merge_config_selectorIsSB_EEEEvv
	.globl	_ZN7rocprim17ROCPRIM_400000_NS6detail44device_merge_sort_compile_time_verifier_archINS1_11comp_targetILNS1_3genE3ELNS1_11target_archE908ELNS1_3gpuE7ELNS1_3repE0EEES8_NS0_14default_configES9_NS1_37merge_sort_block_sort_config_selectorIsNS0_10empty_typeEEENS1_38merge_sort_block_merge_config_selectorIsSB_EEEEvv
	.p2align	8
	.type	_ZN7rocprim17ROCPRIM_400000_NS6detail44device_merge_sort_compile_time_verifier_archINS1_11comp_targetILNS1_3genE3ELNS1_11target_archE908ELNS1_3gpuE7ELNS1_3repE0EEES8_NS0_14default_configES9_NS1_37merge_sort_block_sort_config_selectorIsNS0_10empty_typeEEENS1_38merge_sort_block_merge_config_selectorIsSB_EEEEvv,@function
_ZN7rocprim17ROCPRIM_400000_NS6detail44device_merge_sort_compile_time_verifier_archINS1_11comp_targetILNS1_3genE3ELNS1_11target_archE908ELNS1_3gpuE7ELNS1_3repE0EEES8_NS0_14default_configES9_NS1_37merge_sort_block_sort_config_selectorIsNS0_10empty_typeEEENS1_38merge_sort_block_merge_config_selectorIsSB_EEEEvv: ; @_ZN7rocprim17ROCPRIM_400000_NS6detail44device_merge_sort_compile_time_verifier_archINS1_11comp_targetILNS1_3genE3ELNS1_11target_archE908ELNS1_3gpuE7ELNS1_3repE0EEES8_NS0_14default_configES9_NS1_37merge_sort_block_sort_config_selectorIsNS0_10empty_typeEEENS1_38merge_sort_block_merge_config_selectorIsSB_EEEEvv
; %bb.0:
	s_endpgm
	.section	.rodata,"a",@progbits
	.p2align	6, 0x0
	.amdhsa_kernel _ZN7rocprim17ROCPRIM_400000_NS6detail44device_merge_sort_compile_time_verifier_archINS1_11comp_targetILNS1_3genE3ELNS1_11target_archE908ELNS1_3gpuE7ELNS1_3repE0EEES8_NS0_14default_configES9_NS1_37merge_sort_block_sort_config_selectorIsNS0_10empty_typeEEENS1_38merge_sort_block_merge_config_selectorIsSB_EEEEvv
		.amdhsa_group_segment_fixed_size 0
		.amdhsa_private_segment_fixed_size 0
		.amdhsa_kernarg_size 0
		.amdhsa_user_sgpr_count 4
		.amdhsa_user_sgpr_private_segment_buffer 1
		.amdhsa_user_sgpr_dispatch_ptr 0
		.amdhsa_user_sgpr_queue_ptr 0
		.amdhsa_user_sgpr_kernarg_segment_ptr 0
		.amdhsa_user_sgpr_dispatch_id 0
		.amdhsa_user_sgpr_flat_scratch_init 0
		.amdhsa_user_sgpr_kernarg_preload_length 0
		.amdhsa_user_sgpr_kernarg_preload_offset 0
		.amdhsa_user_sgpr_private_segment_size 0
		.amdhsa_uses_dynamic_stack 0
		.amdhsa_system_sgpr_private_segment_wavefront_offset 0
		.amdhsa_system_sgpr_workgroup_id_x 1
		.amdhsa_system_sgpr_workgroup_id_y 0
		.amdhsa_system_sgpr_workgroup_id_z 0
		.amdhsa_system_sgpr_workgroup_info 0
		.amdhsa_system_vgpr_workitem_id 0
		.amdhsa_next_free_vgpr 1
		.amdhsa_next_free_sgpr 0
		.amdhsa_accum_offset 4
		.amdhsa_reserve_vcc 0
		.amdhsa_reserve_flat_scratch 0
		.amdhsa_float_round_mode_32 0
		.amdhsa_float_round_mode_16_64 0
		.amdhsa_float_denorm_mode_32 3
		.amdhsa_float_denorm_mode_16_64 3
		.amdhsa_dx10_clamp 1
		.amdhsa_ieee_mode 1
		.amdhsa_fp16_overflow 0
		.amdhsa_tg_split 0
		.amdhsa_exception_fp_ieee_invalid_op 0
		.amdhsa_exception_fp_denorm_src 0
		.amdhsa_exception_fp_ieee_div_zero 0
		.amdhsa_exception_fp_ieee_overflow 0
		.amdhsa_exception_fp_ieee_underflow 0
		.amdhsa_exception_fp_ieee_inexact 0
		.amdhsa_exception_int_div_zero 0
	.end_amdhsa_kernel
	.section	.text._ZN7rocprim17ROCPRIM_400000_NS6detail44device_merge_sort_compile_time_verifier_archINS1_11comp_targetILNS1_3genE3ELNS1_11target_archE908ELNS1_3gpuE7ELNS1_3repE0EEES8_NS0_14default_configES9_NS1_37merge_sort_block_sort_config_selectorIsNS0_10empty_typeEEENS1_38merge_sort_block_merge_config_selectorIsSB_EEEEvv,"axG",@progbits,_ZN7rocprim17ROCPRIM_400000_NS6detail44device_merge_sort_compile_time_verifier_archINS1_11comp_targetILNS1_3genE3ELNS1_11target_archE908ELNS1_3gpuE7ELNS1_3repE0EEES8_NS0_14default_configES9_NS1_37merge_sort_block_sort_config_selectorIsNS0_10empty_typeEEENS1_38merge_sort_block_merge_config_selectorIsSB_EEEEvv,comdat
.Lfunc_end2921:
	.size	_ZN7rocprim17ROCPRIM_400000_NS6detail44device_merge_sort_compile_time_verifier_archINS1_11comp_targetILNS1_3genE3ELNS1_11target_archE908ELNS1_3gpuE7ELNS1_3repE0EEES8_NS0_14default_configES9_NS1_37merge_sort_block_sort_config_selectorIsNS0_10empty_typeEEENS1_38merge_sort_block_merge_config_selectorIsSB_EEEEvv, .Lfunc_end2921-_ZN7rocprim17ROCPRIM_400000_NS6detail44device_merge_sort_compile_time_verifier_archINS1_11comp_targetILNS1_3genE3ELNS1_11target_archE908ELNS1_3gpuE7ELNS1_3repE0EEES8_NS0_14default_configES9_NS1_37merge_sort_block_sort_config_selectorIsNS0_10empty_typeEEENS1_38merge_sort_block_merge_config_selectorIsSB_EEEEvv
                                        ; -- End function
	.section	.AMDGPU.csdata,"",@progbits
; Kernel info:
; codeLenInByte = 4
; NumSgprs: 4
; NumVgprs: 0
; NumAgprs: 0
; TotalNumVgprs: 0
; ScratchSize: 0
; MemoryBound: 0
; FloatMode: 240
; IeeeMode: 1
; LDSByteSize: 0 bytes/workgroup (compile time only)
; SGPRBlocks: 0
; VGPRBlocks: 0
; NumSGPRsForWavesPerEU: 4
; NumVGPRsForWavesPerEU: 1
; AccumOffset: 4
; Occupancy: 8
; WaveLimiterHint : 0
; COMPUTE_PGM_RSRC2:SCRATCH_EN: 0
; COMPUTE_PGM_RSRC2:USER_SGPR: 4
; COMPUTE_PGM_RSRC2:TRAP_HANDLER: 0
; COMPUTE_PGM_RSRC2:TGID_X_EN: 1
; COMPUTE_PGM_RSRC2:TGID_Y_EN: 0
; COMPUTE_PGM_RSRC2:TGID_Z_EN: 0
; COMPUTE_PGM_RSRC2:TIDIG_COMP_CNT: 0
; COMPUTE_PGM_RSRC3_GFX90A:ACCUM_OFFSET: 0
; COMPUTE_PGM_RSRC3_GFX90A:TG_SPLIT: 0
	.section	.text._ZN7rocprim17ROCPRIM_400000_NS6detail44device_merge_sort_compile_time_verifier_archINS1_11comp_targetILNS1_3genE2ELNS1_11target_archE906ELNS1_3gpuE6ELNS1_3repE0EEES8_NS0_14default_configES9_NS1_37merge_sort_block_sort_config_selectorIsNS0_10empty_typeEEENS1_38merge_sort_block_merge_config_selectorIsSB_EEEEvv,"axG",@progbits,_ZN7rocprim17ROCPRIM_400000_NS6detail44device_merge_sort_compile_time_verifier_archINS1_11comp_targetILNS1_3genE2ELNS1_11target_archE906ELNS1_3gpuE6ELNS1_3repE0EEES8_NS0_14default_configES9_NS1_37merge_sort_block_sort_config_selectorIsNS0_10empty_typeEEENS1_38merge_sort_block_merge_config_selectorIsSB_EEEEvv,comdat
	.protected	_ZN7rocprim17ROCPRIM_400000_NS6detail44device_merge_sort_compile_time_verifier_archINS1_11comp_targetILNS1_3genE2ELNS1_11target_archE906ELNS1_3gpuE6ELNS1_3repE0EEES8_NS0_14default_configES9_NS1_37merge_sort_block_sort_config_selectorIsNS0_10empty_typeEEENS1_38merge_sort_block_merge_config_selectorIsSB_EEEEvv ; -- Begin function _ZN7rocprim17ROCPRIM_400000_NS6detail44device_merge_sort_compile_time_verifier_archINS1_11comp_targetILNS1_3genE2ELNS1_11target_archE906ELNS1_3gpuE6ELNS1_3repE0EEES8_NS0_14default_configES9_NS1_37merge_sort_block_sort_config_selectorIsNS0_10empty_typeEEENS1_38merge_sort_block_merge_config_selectorIsSB_EEEEvv
	.globl	_ZN7rocprim17ROCPRIM_400000_NS6detail44device_merge_sort_compile_time_verifier_archINS1_11comp_targetILNS1_3genE2ELNS1_11target_archE906ELNS1_3gpuE6ELNS1_3repE0EEES8_NS0_14default_configES9_NS1_37merge_sort_block_sort_config_selectorIsNS0_10empty_typeEEENS1_38merge_sort_block_merge_config_selectorIsSB_EEEEvv
	.p2align	8
	.type	_ZN7rocprim17ROCPRIM_400000_NS6detail44device_merge_sort_compile_time_verifier_archINS1_11comp_targetILNS1_3genE2ELNS1_11target_archE906ELNS1_3gpuE6ELNS1_3repE0EEES8_NS0_14default_configES9_NS1_37merge_sort_block_sort_config_selectorIsNS0_10empty_typeEEENS1_38merge_sort_block_merge_config_selectorIsSB_EEEEvv,@function
_ZN7rocprim17ROCPRIM_400000_NS6detail44device_merge_sort_compile_time_verifier_archINS1_11comp_targetILNS1_3genE2ELNS1_11target_archE906ELNS1_3gpuE6ELNS1_3repE0EEES8_NS0_14default_configES9_NS1_37merge_sort_block_sort_config_selectorIsNS0_10empty_typeEEENS1_38merge_sort_block_merge_config_selectorIsSB_EEEEvv: ; @_ZN7rocprim17ROCPRIM_400000_NS6detail44device_merge_sort_compile_time_verifier_archINS1_11comp_targetILNS1_3genE2ELNS1_11target_archE906ELNS1_3gpuE6ELNS1_3repE0EEES8_NS0_14default_configES9_NS1_37merge_sort_block_sort_config_selectorIsNS0_10empty_typeEEENS1_38merge_sort_block_merge_config_selectorIsSB_EEEEvv
; %bb.0:
	s_endpgm
	.section	.rodata,"a",@progbits
	.p2align	6, 0x0
	.amdhsa_kernel _ZN7rocprim17ROCPRIM_400000_NS6detail44device_merge_sort_compile_time_verifier_archINS1_11comp_targetILNS1_3genE2ELNS1_11target_archE906ELNS1_3gpuE6ELNS1_3repE0EEES8_NS0_14default_configES9_NS1_37merge_sort_block_sort_config_selectorIsNS0_10empty_typeEEENS1_38merge_sort_block_merge_config_selectorIsSB_EEEEvv
		.amdhsa_group_segment_fixed_size 0
		.amdhsa_private_segment_fixed_size 0
		.amdhsa_kernarg_size 0
		.amdhsa_user_sgpr_count 4
		.amdhsa_user_sgpr_private_segment_buffer 1
		.amdhsa_user_sgpr_dispatch_ptr 0
		.amdhsa_user_sgpr_queue_ptr 0
		.amdhsa_user_sgpr_kernarg_segment_ptr 0
		.amdhsa_user_sgpr_dispatch_id 0
		.amdhsa_user_sgpr_flat_scratch_init 0
		.amdhsa_user_sgpr_kernarg_preload_length 0
		.amdhsa_user_sgpr_kernarg_preload_offset 0
		.amdhsa_user_sgpr_private_segment_size 0
		.amdhsa_uses_dynamic_stack 0
		.amdhsa_system_sgpr_private_segment_wavefront_offset 0
		.amdhsa_system_sgpr_workgroup_id_x 1
		.amdhsa_system_sgpr_workgroup_id_y 0
		.amdhsa_system_sgpr_workgroup_id_z 0
		.amdhsa_system_sgpr_workgroup_info 0
		.amdhsa_system_vgpr_workitem_id 0
		.amdhsa_next_free_vgpr 1
		.amdhsa_next_free_sgpr 0
		.amdhsa_accum_offset 4
		.amdhsa_reserve_vcc 0
		.amdhsa_reserve_flat_scratch 0
		.amdhsa_float_round_mode_32 0
		.amdhsa_float_round_mode_16_64 0
		.amdhsa_float_denorm_mode_32 3
		.amdhsa_float_denorm_mode_16_64 3
		.amdhsa_dx10_clamp 1
		.amdhsa_ieee_mode 1
		.amdhsa_fp16_overflow 0
		.amdhsa_tg_split 0
		.amdhsa_exception_fp_ieee_invalid_op 0
		.amdhsa_exception_fp_denorm_src 0
		.amdhsa_exception_fp_ieee_div_zero 0
		.amdhsa_exception_fp_ieee_overflow 0
		.amdhsa_exception_fp_ieee_underflow 0
		.amdhsa_exception_fp_ieee_inexact 0
		.amdhsa_exception_int_div_zero 0
	.end_amdhsa_kernel
	.section	.text._ZN7rocprim17ROCPRIM_400000_NS6detail44device_merge_sort_compile_time_verifier_archINS1_11comp_targetILNS1_3genE2ELNS1_11target_archE906ELNS1_3gpuE6ELNS1_3repE0EEES8_NS0_14default_configES9_NS1_37merge_sort_block_sort_config_selectorIsNS0_10empty_typeEEENS1_38merge_sort_block_merge_config_selectorIsSB_EEEEvv,"axG",@progbits,_ZN7rocprim17ROCPRIM_400000_NS6detail44device_merge_sort_compile_time_verifier_archINS1_11comp_targetILNS1_3genE2ELNS1_11target_archE906ELNS1_3gpuE6ELNS1_3repE0EEES8_NS0_14default_configES9_NS1_37merge_sort_block_sort_config_selectorIsNS0_10empty_typeEEENS1_38merge_sort_block_merge_config_selectorIsSB_EEEEvv,comdat
.Lfunc_end2922:
	.size	_ZN7rocprim17ROCPRIM_400000_NS6detail44device_merge_sort_compile_time_verifier_archINS1_11comp_targetILNS1_3genE2ELNS1_11target_archE906ELNS1_3gpuE6ELNS1_3repE0EEES8_NS0_14default_configES9_NS1_37merge_sort_block_sort_config_selectorIsNS0_10empty_typeEEENS1_38merge_sort_block_merge_config_selectorIsSB_EEEEvv, .Lfunc_end2922-_ZN7rocprim17ROCPRIM_400000_NS6detail44device_merge_sort_compile_time_verifier_archINS1_11comp_targetILNS1_3genE2ELNS1_11target_archE906ELNS1_3gpuE6ELNS1_3repE0EEES8_NS0_14default_configES9_NS1_37merge_sort_block_sort_config_selectorIsNS0_10empty_typeEEENS1_38merge_sort_block_merge_config_selectorIsSB_EEEEvv
                                        ; -- End function
	.section	.AMDGPU.csdata,"",@progbits
; Kernel info:
; codeLenInByte = 4
; NumSgprs: 4
; NumVgprs: 0
; NumAgprs: 0
; TotalNumVgprs: 0
; ScratchSize: 0
; MemoryBound: 0
; FloatMode: 240
; IeeeMode: 1
; LDSByteSize: 0 bytes/workgroup (compile time only)
; SGPRBlocks: 0
; VGPRBlocks: 0
; NumSGPRsForWavesPerEU: 4
; NumVGPRsForWavesPerEU: 1
; AccumOffset: 4
; Occupancy: 8
; WaveLimiterHint : 0
; COMPUTE_PGM_RSRC2:SCRATCH_EN: 0
; COMPUTE_PGM_RSRC2:USER_SGPR: 4
; COMPUTE_PGM_RSRC2:TRAP_HANDLER: 0
; COMPUTE_PGM_RSRC2:TGID_X_EN: 1
; COMPUTE_PGM_RSRC2:TGID_Y_EN: 0
; COMPUTE_PGM_RSRC2:TGID_Z_EN: 0
; COMPUTE_PGM_RSRC2:TIDIG_COMP_CNT: 0
; COMPUTE_PGM_RSRC3_GFX90A:ACCUM_OFFSET: 0
; COMPUTE_PGM_RSRC3_GFX90A:TG_SPLIT: 0
	.section	.text._ZN7rocprim17ROCPRIM_400000_NS6detail44device_merge_sort_compile_time_verifier_archINS1_11comp_targetILNS1_3genE10ELNS1_11target_archE1201ELNS1_3gpuE5ELNS1_3repE0EEES8_NS0_14default_configES9_NS1_37merge_sort_block_sort_config_selectorIsNS0_10empty_typeEEENS1_38merge_sort_block_merge_config_selectorIsSB_EEEEvv,"axG",@progbits,_ZN7rocprim17ROCPRIM_400000_NS6detail44device_merge_sort_compile_time_verifier_archINS1_11comp_targetILNS1_3genE10ELNS1_11target_archE1201ELNS1_3gpuE5ELNS1_3repE0EEES8_NS0_14default_configES9_NS1_37merge_sort_block_sort_config_selectorIsNS0_10empty_typeEEENS1_38merge_sort_block_merge_config_selectorIsSB_EEEEvv,comdat
	.protected	_ZN7rocprim17ROCPRIM_400000_NS6detail44device_merge_sort_compile_time_verifier_archINS1_11comp_targetILNS1_3genE10ELNS1_11target_archE1201ELNS1_3gpuE5ELNS1_3repE0EEES8_NS0_14default_configES9_NS1_37merge_sort_block_sort_config_selectorIsNS0_10empty_typeEEENS1_38merge_sort_block_merge_config_selectorIsSB_EEEEvv ; -- Begin function _ZN7rocprim17ROCPRIM_400000_NS6detail44device_merge_sort_compile_time_verifier_archINS1_11comp_targetILNS1_3genE10ELNS1_11target_archE1201ELNS1_3gpuE5ELNS1_3repE0EEES8_NS0_14default_configES9_NS1_37merge_sort_block_sort_config_selectorIsNS0_10empty_typeEEENS1_38merge_sort_block_merge_config_selectorIsSB_EEEEvv
	.globl	_ZN7rocprim17ROCPRIM_400000_NS6detail44device_merge_sort_compile_time_verifier_archINS1_11comp_targetILNS1_3genE10ELNS1_11target_archE1201ELNS1_3gpuE5ELNS1_3repE0EEES8_NS0_14default_configES9_NS1_37merge_sort_block_sort_config_selectorIsNS0_10empty_typeEEENS1_38merge_sort_block_merge_config_selectorIsSB_EEEEvv
	.p2align	8
	.type	_ZN7rocprim17ROCPRIM_400000_NS6detail44device_merge_sort_compile_time_verifier_archINS1_11comp_targetILNS1_3genE10ELNS1_11target_archE1201ELNS1_3gpuE5ELNS1_3repE0EEES8_NS0_14default_configES9_NS1_37merge_sort_block_sort_config_selectorIsNS0_10empty_typeEEENS1_38merge_sort_block_merge_config_selectorIsSB_EEEEvv,@function
_ZN7rocprim17ROCPRIM_400000_NS6detail44device_merge_sort_compile_time_verifier_archINS1_11comp_targetILNS1_3genE10ELNS1_11target_archE1201ELNS1_3gpuE5ELNS1_3repE0EEES8_NS0_14default_configES9_NS1_37merge_sort_block_sort_config_selectorIsNS0_10empty_typeEEENS1_38merge_sort_block_merge_config_selectorIsSB_EEEEvv: ; @_ZN7rocprim17ROCPRIM_400000_NS6detail44device_merge_sort_compile_time_verifier_archINS1_11comp_targetILNS1_3genE10ELNS1_11target_archE1201ELNS1_3gpuE5ELNS1_3repE0EEES8_NS0_14default_configES9_NS1_37merge_sort_block_sort_config_selectorIsNS0_10empty_typeEEENS1_38merge_sort_block_merge_config_selectorIsSB_EEEEvv
; %bb.0:
	s_endpgm
	.section	.rodata,"a",@progbits
	.p2align	6, 0x0
	.amdhsa_kernel _ZN7rocprim17ROCPRIM_400000_NS6detail44device_merge_sort_compile_time_verifier_archINS1_11comp_targetILNS1_3genE10ELNS1_11target_archE1201ELNS1_3gpuE5ELNS1_3repE0EEES8_NS0_14default_configES9_NS1_37merge_sort_block_sort_config_selectorIsNS0_10empty_typeEEENS1_38merge_sort_block_merge_config_selectorIsSB_EEEEvv
		.amdhsa_group_segment_fixed_size 0
		.amdhsa_private_segment_fixed_size 0
		.amdhsa_kernarg_size 0
		.amdhsa_user_sgpr_count 4
		.amdhsa_user_sgpr_private_segment_buffer 1
		.amdhsa_user_sgpr_dispatch_ptr 0
		.amdhsa_user_sgpr_queue_ptr 0
		.amdhsa_user_sgpr_kernarg_segment_ptr 0
		.amdhsa_user_sgpr_dispatch_id 0
		.amdhsa_user_sgpr_flat_scratch_init 0
		.amdhsa_user_sgpr_kernarg_preload_length 0
		.amdhsa_user_sgpr_kernarg_preload_offset 0
		.amdhsa_user_sgpr_private_segment_size 0
		.amdhsa_uses_dynamic_stack 0
		.amdhsa_system_sgpr_private_segment_wavefront_offset 0
		.amdhsa_system_sgpr_workgroup_id_x 1
		.amdhsa_system_sgpr_workgroup_id_y 0
		.amdhsa_system_sgpr_workgroup_id_z 0
		.amdhsa_system_sgpr_workgroup_info 0
		.amdhsa_system_vgpr_workitem_id 0
		.amdhsa_next_free_vgpr 1
		.amdhsa_next_free_sgpr 0
		.amdhsa_accum_offset 4
		.amdhsa_reserve_vcc 0
		.amdhsa_reserve_flat_scratch 0
		.amdhsa_float_round_mode_32 0
		.amdhsa_float_round_mode_16_64 0
		.amdhsa_float_denorm_mode_32 3
		.amdhsa_float_denorm_mode_16_64 3
		.amdhsa_dx10_clamp 1
		.amdhsa_ieee_mode 1
		.amdhsa_fp16_overflow 0
		.amdhsa_tg_split 0
		.amdhsa_exception_fp_ieee_invalid_op 0
		.amdhsa_exception_fp_denorm_src 0
		.amdhsa_exception_fp_ieee_div_zero 0
		.amdhsa_exception_fp_ieee_overflow 0
		.amdhsa_exception_fp_ieee_underflow 0
		.amdhsa_exception_fp_ieee_inexact 0
		.amdhsa_exception_int_div_zero 0
	.end_amdhsa_kernel
	.section	.text._ZN7rocprim17ROCPRIM_400000_NS6detail44device_merge_sort_compile_time_verifier_archINS1_11comp_targetILNS1_3genE10ELNS1_11target_archE1201ELNS1_3gpuE5ELNS1_3repE0EEES8_NS0_14default_configES9_NS1_37merge_sort_block_sort_config_selectorIsNS0_10empty_typeEEENS1_38merge_sort_block_merge_config_selectorIsSB_EEEEvv,"axG",@progbits,_ZN7rocprim17ROCPRIM_400000_NS6detail44device_merge_sort_compile_time_verifier_archINS1_11comp_targetILNS1_3genE10ELNS1_11target_archE1201ELNS1_3gpuE5ELNS1_3repE0EEES8_NS0_14default_configES9_NS1_37merge_sort_block_sort_config_selectorIsNS0_10empty_typeEEENS1_38merge_sort_block_merge_config_selectorIsSB_EEEEvv,comdat
.Lfunc_end2923:
	.size	_ZN7rocprim17ROCPRIM_400000_NS6detail44device_merge_sort_compile_time_verifier_archINS1_11comp_targetILNS1_3genE10ELNS1_11target_archE1201ELNS1_3gpuE5ELNS1_3repE0EEES8_NS0_14default_configES9_NS1_37merge_sort_block_sort_config_selectorIsNS0_10empty_typeEEENS1_38merge_sort_block_merge_config_selectorIsSB_EEEEvv, .Lfunc_end2923-_ZN7rocprim17ROCPRIM_400000_NS6detail44device_merge_sort_compile_time_verifier_archINS1_11comp_targetILNS1_3genE10ELNS1_11target_archE1201ELNS1_3gpuE5ELNS1_3repE0EEES8_NS0_14default_configES9_NS1_37merge_sort_block_sort_config_selectorIsNS0_10empty_typeEEENS1_38merge_sort_block_merge_config_selectorIsSB_EEEEvv
                                        ; -- End function
	.section	.AMDGPU.csdata,"",@progbits
; Kernel info:
; codeLenInByte = 4
; NumSgprs: 4
; NumVgprs: 0
; NumAgprs: 0
; TotalNumVgprs: 0
; ScratchSize: 0
; MemoryBound: 0
; FloatMode: 240
; IeeeMode: 1
; LDSByteSize: 0 bytes/workgroup (compile time only)
; SGPRBlocks: 0
; VGPRBlocks: 0
; NumSGPRsForWavesPerEU: 4
; NumVGPRsForWavesPerEU: 1
; AccumOffset: 4
; Occupancy: 8
; WaveLimiterHint : 0
; COMPUTE_PGM_RSRC2:SCRATCH_EN: 0
; COMPUTE_PGM_RSRC2:USER_SGPR: 4
; COMPUTE_PGM_RSRC2:TRAP_HANDLER: 0
; COMPUTE_PGM_RSRC2:TGID_X_EN: 1
; COMPUTE_PGM_RSRC2:TGID_Y_EN: 0
; COMPUTE_PGM_RSRC2:TGID_Z_EN: 0
; COMPUTE_PGM_RSRC2:TIDIG_COMP_CNT: 0
; COMPUTE_PGM_RSRC3_GFX90A:ACCUM_OFFSET: 0
; COMPUTE_PGM_RSRC3_GFX90A:TG_SPLIT: 0
	.section	.text._ZN7rocprim17ROCPRIM_400000_NS6detail44device_merge_sort_compile_time_verifier_archINS1_11comp_targetILNS1_3genE10ELNS1_11target_archE1200ELNS1_3gpuE4ELNS1_3repE0EEENS3_ILS4_10ELS5_1201ELS6_5ELS7_0EEENS0_14default_configESA_NS1_37merge_sort_block_sort_config_selectorIsNS0_10empty_typeEEENS1_38merge_sort_block_merge_config_selectorIsSC_EEEEvv,"axG",@progbits,_ZN7rocprim17ROCPRIM_400000_NS6detail44device_merge_sort_compile_time_verifier_archINS1_11comp_targetILNS1_3genE10ELNS1_11target_archE1200ELNS1_3gpuE4ELNS1_3repE0EEENS3_ILS4_10ELS5_1201ELS6_5ELS7_0EEENS0_14default_configESA_NS1_37merge_sort_block_sort_config_selectorIsNS0_10empty_typeEEENS1_38merge_sort_block_merge_config_selectorIsSC_EEEEvv,comdat
	.protected	_ZN7rocprim17ROCPRIM_400000_NS6detail44device_merge_sort_compile_time_verifier_archINS1_11comp_targetILNS1_3genE10ELNS1_11target_archE1200ELNS1_3gpuE4ELNS1_3repE0EEENS3_ILS4_10ELS5_1201ELS6_5ELS7_0EEENS0_14default_configESA_NS1_37merge_sort_block_sort_config_selectorIsNS0_10empty_typeEEENS1_38merge_sort_block_merge_config_selectorIsSC_EEEEvv ; -- Begin function _ZN7rocprim17ROCPRIM_400000_NS6detail44device_merge_sort_compile_time_verifier_archINS1_11comp_targetILNS1_3genE10ELNS1_11target_archE1200ELNS1_3gpuE4ELNS1_3repE0EEENS3_ILS4_10ELS5_1201ELS6_5ELS7_0EEENS0_14default_configESA_NS1_37merge_sort_block_sort_config_selectorIsNS0_10empty_typeEEENS1_38merge_sort_block_merge_config_selectorIsSC_EEEEvv
	.globl	_ZN7rocprim17ROCPRIM_400000_NS6detail44device_merge_sort_compile_time_verifier_archINS1_11comp_targetILNS1_3genE10ELNS1_11target_archE1200ELNS1_3gpuE4ELNS1_3repE0EEENS3_ILS4_10ELS5_1201ELS6_5ELS7_0EEENS0_14default_configESA_NS1_37merge_sort_block_sort_config_selectorIsNS0_10empty_typeEEENS1_38merge_sort_block_merge_config_selectorIsSC_EEEEvv
	.p2align	8
	.type	_ZN7rocprim17ROCPRIM_400000_NS6detail44device_merge_sort_compile_time_verifier_archINS1_11comp_targetILNS1_3genE10ELNS1_11target_archE1200ELNS1_3gpuE4ELNS1_3repE0EEENS3_ILS4_10ELS5_1201ELS6_5ELS7_0EEENS0_14default_configESA_NS1_37merge_sort_block_sort_config_selectorIsNS0_10empty_typeEEENS1_38merge_sort_block_merge_config_selectorIsSC_EEEEvv,@function
_ZN7rocprim17ROCPRIM_400000_NS6detail44device_merge_sort_compile_time_verifier_archINS1_11comp_targetILNS1_3genE10ELNS1_11target_archE1200ELNS1_3gpuE4ELNS1_3repE0EEENS3_ILS4_10ELS5_1201ELS6_5ELS7_0EEENS0_14default_configESA_NS1_37merge_sort_block_sort_config_selectorIsNS0_10empty_typeEEENS1_38merge_sort_block_merge_config_selectorIsSC_EEEEvv: ; @_ZN7rocprim17ROCPRIM_400000_NS6detail44device_merge_sort_compile_time_verifier_archINS1_11comp_targetILNS1_3genE10ELNS1_11target_archE1200ELNS1_3gpuE4ELNS1_3repE0EEENS3_ILS4_10ELS5_1201ELS6_5ELS7_0EEENS0_14default_configESA_NS1_37merge_sort_block_sort_config_selectorIsNS0_10empty_typeEEENS1_38merge_sort_block_merge_config_selectorIsSC_EEEEvv
; %bb.0:
	s_endpgm
	.section	.rodata,"a",@progbits
	.p2align	6, 0x0
	.amdhsa_kernel _ZN7rocprim17ROCPRIM_400000_NS6detail44device_merge_sort_compile_time_verifier_archINS1_11comp_targetILNS1_3genE10ELNS1_11target_archE1200ELNS1_3gpuE4ELNS1_3repE0EEENS3_ILS4_10ELS5_1201ELS6_5ELS7_0EEENS0_14default_configESA_NS1_37merge_sort_block_sort_config_selectorIsNS0_10empty_typeEEENS1_38merge_sort_block_merge_config_selectorIsSC_EEEEvv
		.amdhsa_group_segment_fixed_size 0
		.amdhsa_private_segment_fixed_size 0
		.amdhsa_kernarg_size 0
		.amdhsa_user_sgpr_count 4
		.amdhsa_user_sgpr_private_segment_buffer 1
		.amdhsa_user_sgpr_dispatch_ptr 0
		.amdhsa_user_sgpr_queue_ptr 0
		.amdhsa_user_sgpr_kernarg_segment_ptr 0
		.amdhsa_user_sgpr_dispatch_id 0
		.amdhsa_user_sgpr_flat_scratch_init 0
		.amdhsa_user_sgpr_kernarg_preload_length 0
		.amdhsa_user_sgpr_kernarg_preload_offset 0
		.amdhsa_user_sgpr_private_segment_size 0
		.amdhsa_uses_dynamic_stack 0
		.amdhsa_system_sgpr_private_segment_wavefront_offset 0
		.amdhsa_system_sgpr_workgroup_id_x 1
		.amdhsa_system_sgpr_workgroup_id_y 0
		.amdhsa_system_sgpr_workgroup_id_z 0
		.amdhsa_system_sgpr_workgroup_info 0
		.amdhsa_system_vgpr_workitem_id 0
		.amdhsa_next_free_vgpr 1
		.amdhsa_next_free_sgpr 0
		.amdhsa_accum_offset 4
		.amdhsa_reserve_vcc 0
		.amdhsa_reserve_flat_scratch 0
		.amdhsa_float_round_mode_32 0
		.amdhsa_float_round_mode_16_64 0
		.amdhsa_float_denorm_mode_32 3
		.amdhsa_float_denorm_mode_16_64 3
		.amdhsa_dx10_clamp 1
		.amdhsa_ieee_mode 1
		.amdhsa_fp16_overflow 0
		.amdhsa_tg_split 0
		.amdhsa_exception_fp_ieee_invalid_op 0
		.amdhsa_exception_fp_denorm_src 0
		.amdhsa_exception_fp_ieee_div_zero 0
		.amdhsa_exception_fp_ieee_overflow 0
		.amdhsa_exception_fp_ieee_underflow 0
		.amdhsa_exception_fp_ieee_inexact 0
		.amdhsa_exception_int_div_zero 0
	.end_amdhsa_kernel
	.section	.text._ZN7rocprim17ROCPRIM_400000_NS6detail44device_merge_sort_compile_time_verifier_archINS1_11comp_targetILNS1_3genE10ELNS1_11target_archE1200ELNS1_3gpuE4ELNS1_3repE0EEENS3_ILS4_10ELS5_1201ELS6_5ELS7_0EEENS0_14default_configESA_NS1_37merge_sort_block_sort_config_selectorIsNS0_10empty_typeEEENS1_38merge_sort_block_merge_config_selectorIsSC_EEEEvv,"axG",@progbits,_ZN7rocprim17ROCPRIM_400000_NS6detail44device_merge_sort_compile_time_verifier_archINS1_11comp_targetILNS1_3genE10ELNS1_11target_archE1200ELNS1_3gpuE4ELNS1_3repE0EEENS3_ILS4_10ELS5_1201ELS6_5ELS7_0EEENS0_14default_configESA_NS1_37merge_sort_block_sort_config_selectorIsNS0_10empty_typeEEENS1_38merge_sort_block_merge_config_selectorIsSC_EEEEvv,comdat
.Lfunc_end2924:
	.size	_ZN7rocprim17ROCPRIM_400000_NS6detail44device_merge_sort_compile_time_verifier_archINS1_11comp_targetILNS1_3genE10ELNS1_11target_archE1200ELNS1_3gpuE4ELNS1_3repE0EEENS3_ILS4_10ELS5_1201ELS6_5ELS7_0EEENS0_14default_configESA_NS1_37merge_sort_block_sort_config_selectorIsNS0_10empty_typeEEENS1_38merge_sort_block_merge_config_selectorIsSC_EEEEvv, .Lfunc_end2924-_ZN7rocprim17ROCPRIM_400000_NS6detail44device_merge_sort_compile_time_verifier_archINS1_11comp_targetILNS1_3genE10ELNS1_11target_archE1200ELNS1_3gpuE4ELNS1_3repE0EEENS3_ILS4_10ELS5_1201ELS6_5ELS7_0EEENS0_14default_configESA_NS1_37merge_sort_block_sort_config_selectorIsNS0_10empty_typeEEENS1_38merge_sort_block_merge_config_selectorIsSC_EEEEvv
                                        ; -- End function
	.section	.AMDGPU.csdata,"",@progbits
; Kernel info:
; codeLenInByte = 4
; NumSgprs: 4
; NumVgprs: 0
; NumAgprs: 0
; TotalNumVgprs: 0
; ScratchSize: 0
; MemoryBound: 0
; FloatMode: 240
; IeeeMode: 1
; LDSByteSize: 0 bytes/workgroup (compile time only)
; SGPRBlocks: 0
; VGPRBlocks: 0
; NumSGPRsForWavesPerEU: 4
; NumVGPRsForWavesPerEU: 1
; AccumOffset: 4
; Occupancy: 8
; WaveLimiterHint : 0
; COMPUTE_PGM_RSRC2:SCRATCH_EN: 0
; COMPUTE_PGM_RSRC2:USER_SGPR: 4
; COMPUTE_PGM_RSRC2:TRAP_HANDLER: 0
; COMPUTE_PGM_RSRC2:TGID_X_EN: 1
; COMPUTE_PGM_RSRC2:TGID_Y_EN: 0
; COMPUTE_PGM_RSRC2:TGID_Z_EN: 0
; COMPUTE_PGM_RSRC2:TIDIG_COMP_CNT: 0
; COMPUTE_PGM_RSRC3_GFX90A:ACCUM_OFFSET: 0
; COMPUTE_PGM_RSRC3_GFX90A:TG_SPLIT: 0
	.section	.text._ZN7rocprim17ROCPRIM_400000_NS6detail44device_merge_sort_compile_time_verifier_archINS1_11comp_targetILNS1_3genE9ELNS1_11target_archE1100ELNS1_3gpuE3ELNS1_3repE0EEES8_NS0_14default_configES9_NS1_37merge_sort_block_sort_config_selectorIsNS0_10empty_typeEEENS1_38merge_sort_block_merge_config_selectorIsSB_EEEEvv,"axG",@progbits,_ZN7rocprim17ROCPRIM_400000_NS6detail44device_merge_sort_compile_time_verifier_archINS1_11comp_targetILNS1_3genE9ELNS1_11target_archE1100ELNS1_3gpuE3ELNS1_3repE0EEES8_NS0_14default_configES9_NS1_37merge_sort_block_sort_config_selectorIsNS0_10empty_typeEEENS1_38merge_sort_block_merge_config_selectorIsSB_EEEEvv,comdat
	.protected	_ZN7rocprim17ROCPRIM_400000_NS6detail44device_merge_sort_compile_time_verifier_archINS1_11comp_targetILNS1_3genE9ELNS1_11target_archE1100ELNS1_3gpuE3ELNS1_3repE0EEES8_NS0_14default_configES9_NS1_37merge_sort_block_sort_config_selectorIsNS0_10empty_typeEEENS1_38merge_sort_block_merge_config_selectorIsSB_EEEEvv ; -- Begin function _ZN7rocprim17ROCPRIM_400000_NS6detail44device_merge_sort_compile_time_verifier_archINS1_11comp_targetILNS1_3genE9ELNS1_11target_archE1100ELNS1_3gpuE3ELNS1_3repE0EEES8_NS0_14default_configES9_NS1_37merge_sort_block_sort_config_selectorIsNS0_10empty_typeEEENS1_38merge_sort_block_merge_config_selectorIsSB_EEEEvv
	.globl	_ZN7rocprim17ROCPRIM_400000_NS6detail44device_merge_sort_compile_time_verifier_archINS1_11comp_targetILNS1_3genE9ELNS1_11target_archE1100ELNS1_3gpuE3ELNS1_3repE0EEES8_NS0_14default_configES9_NS1_37merge_sort_block_sort_config_selectorIsNS0_10empty_typeEEENS1_38merge_sort_block_merge_config_selectorIsSB_EEEEvv
	.p2align	8
	.type	_ZN7rocprim17ROCPRIM_400000_NS6detail44device_merge_sort_compile_time_verifier_archINS1_11comp_targetILNS1_3genE9ELNS1_11target_archE1100ELNS1_3gpuE3ELNS1_3repE0EEES8_NS0_14default_configES9_NS1_37merge_sort_block_sort_config_selectorIsNS0_10empty_typeEEENS1_38merge_sort_block_merge_config_selectorIsSB_EEEEvv,@function
_ZN7rocprim17ROCPRIM_400000_NS6detail44device_merge_sort_compile_time_verifier_archINS1_11comp_targetILNS1_3genE9ELNS1_11target_archE1100ELNS1_3gpuE3ELNS1_3repE0EEES8_NS0_14default_configES9_NS1_37merge_sort_block_sort_config_selectorIsNS0_10empty_typeEEENS1_38merge_sort_block_merge_config_selectorIsSB_EEEEvv: ; @_ZN7rocprim17ROCPRIM_400000_NS6detail44device_merge_sort_compile_time_verifier_archINS1_11comp_targetILNS1_3genE9ELNS1_11target_archE1100ELNS1_3gpuE3ELNS1_3repE0EEES8_NS0_14default_configES9_NS1_37merge_sort_block_sort_config_selectorIsNS0_10empty_typeEEENS1_38merge_sort_block_merge_config_selectorIsSB_EEEEvv
; %bb.0:
	s_endpgm
	.section	.rodata,"a",@progbits
	.p2align	6, 0x0
	.amdhsa_kernel _ZN7rocprim17ROCPRIM_400000_NS6detail44device_merge_sort_compile_time_verifier_archINS1_11comp_targetILNS1_3genE9ELNS1_11target_archE1100ELNS1_3gpuE3ELNS1_3repE0EEES8_NS0_14default_configES9_NS1_37merge_sort_block_sort_config_selectorIsNS0_10empty_typeEEENS1_38merge_sort_block_merge_config_selectorIsSB_EEEEvv
		.amdhsa_group_segment_fixed_size 0
		.amdhsa_private_segment_fixed_size 0
		.amdhsa_kernarg_size 0
		.amdhsa_user_sgpr_count 4
		.amdhsa_user_sgpr_private_segment_buffer 1
		.amdhsa_user_sgpr_dispatch_ptr 0
		.amdhsa_user_sgpr_queue_ptr 0
		.amdhsa_user_sgpr_kernarg_segment_ptr 0
		.amdhsa_user_sgpr_dispatch_id 0
		.amdhsa_user_sgpr_flat_scratch_init 0
		.amdhsa_user_sgpr_kernarg_preload_length 0
		.amdhsa_user_sgpr_kernarg_preload_offset 0
		.amdhsa_user_sgpr_private_segment_size 0
		.amdhsa_uses_dynamic_stack 0
		.amdhsa_system_sgpr_private_segment_wavefront_offset 0
		.amdhsa_system_sgpr_workgroup_id_x 1
		.amdhsa_system_sgpr_workgroup_id_y 0
		.amdhsa_system_sgpr_workgroup_id_z 0
		.amdhsa_system_sgpr_workgroup_info 0
		.amdhsa_system_vgpr_workitem_id 0
		.amdhsa_next_free_vgpr 1
		.amdhsa_next_free_sgpr 0
		.amdhsa_accum_offset 4
		.amdhsa_reserve_vcc 0
		.amdhsa_reserve_flat_scratch 0
		.amdhsa_float_round_mode_32 0
		.amdhsa_float_round_mode_16_64 0
		.amdhsa_float_denorm_mode_32 3
		.amdhsa_float_denorm_mode_16_64 3
		.amdhsa_dx10_clamp 1
		.amdhsa_ieee_mode 1
		.amdhsa_fp16_overflow 0
		.amdhsa_tg_split 0
		.amdhsa_exception_fp_ieee_invalid_op 0
		.amdhsa_exception_fp_denorm_src 0
		.amdhsa_exception_fp_ieee_div_zero 0
		.amdhsa_exception_fp_ieee_overflow 0
		.amdhsa_exception_fp_ieee_underflow 0
		.amdhsa_exception_fp_ieee_inexact 0
		.amdhsa_exception_int_div_zero 0
	.end_amdhsa_kernel
	.section	.text._ZN7rocprim17ROCPRIM_400000_NS6detail44device_merge_sort_compile_time_verifier_archINS1_11comp_targetILNS1_3genE9ELNS1_11target_archE1100ELNS1_3gpuE3ELNS1_3repE0EEES8_NS0_14default_configES9_NS1_37merge_sort_block_sort_config_selectorIsNS0_10empty_typeEEENS1_38merge_sort_block_merge_config_selectorIsSB_EEEEvv,"axG",@progbits,_ZN7rocprim17ROCPRIM_400000_NS6detail44device_merge_sort_compile_time_verifier_archINS1_11comp_targetILNS1_3genE9ELNS1_11target_archE1100ELNS1_3gpuE3ELNS1_3repE0EEES8_NS0_14default_configES9_NS1_37merge_sort_block_sort_config_selectorIsNS0_10empty_typeEEENS1_38merge_sort_block_merge_config_selectorIsSB_EEEEvv,comdat
.Lfunc_end2925:
	.size	_ZN7rocprim17ROCPRIM_400000_NS6detail44device_merge_sort_compile_time_verifier_archINS1_11comp_targetILNS1_3genE9ELNS1_11target_archE1100ELNS1_3gpuE3ELNS1_3repE0EEES8_NS0_14default_configES9_NS1_37merge_sort_block_sort_config_selectorIsNS0_10empty_typeEEENS1_38merge_sort_block_merge_config_selectorIsSB_EEEEvv, .Lfunc_end2925-_ZN7rocprim17ROCPRIM_400000_NS6detail44device_merge_sort_compile_time_verifier_archINS1_11comp_targetILNS1_3genE9ELNS1_11target_archE1100ELNS1_3gpuE3ELNS1_3repE0EEES8_NS0_14default_configES9_NS1_37merge_sort_block_sort_config_selectorIsNS0_10empty_typeEEENS1_38merge_sort_block_merge_config_selectorIsSB_EEEEvv
                                        ; -- End function
	.section	.AMDGPU.csdata,"",@progbits
; Kernel info:
; codeLenInByte = 4
; NumSgprs: 4
; NumVgprs: 0
; NumAgprs: 0
; TotalNumVgprs: 0
; ScratchSize: 0
; MemoryBound: 0
; FloatMode: 240
; IeeeMode: 1
; LDSByteSize: 0 bytes/workgroup (compile time only)
; SGPRBlocks: 0
; VGPRBlocks: 0
; NumSGPRsForWavesPerEU: 4
; NumVGPRsForWavesPerEU: 1
; AccumOffset: 4
; Occupancy: 8
; WaveLimiterHint : 0
; COMPUTE_PGM_RSRC2:SCRATCH_EN: 0
; COMPUTE_PGM_RSRC2:USER_SGPR: 4
; COMPUTE_PGM_RSRC2:TRAP_HANDLER: 0
; COMPUTE_PGM_RSRC2:TGID_X_EN: 1
; COMPUTE_PGM_RSRC2:TGID_Y_EN: 0
; COMPUTE_PGM_RSRC2:TGID_Z_EN: 0
; COMPUTE_PGM_RSRC2:TIDIG_COMP_CNT: 0
; COMPUTE_PGM_RSRC3_GFX90A:ACCUM_OFFSET: 0
; COMPUTE_PGM_RSRC3_GFX90A:TG_SPLIT: 0
	.section	.text._ZN7rocprim17ROCPRIM_400000_NS6detail44device_merge_sort_compile_time_verifier_archINS1_11comp_targetILNS1_3genE8ELNS1_11target_archE1030ELNS1_3gpuE2ELNS1_3repE0EEES8_NS0_14default_configES9_NS1_37merge_sort_block_sort_config_selectorIsNS0_10empty_typeEEENS1_38merge_sort_block_merge_config_selectorIsSB_EEEEvv,"axG",@progbits,_ZN7rocprim17ROCPRIM_400000_NS6detail44device_merge_sort_compile_time_verifier_archINS1_11comp_targetILNS1_3genE8ELNS1_11target_archE1030ELNS1_3gpuE2ELNS1_3repE0EEES8_NS0_14default_configES9_NS1_37merge_sort_block_sort_config_selectorIsNS0_10empty_typeEEENS1_38merge_sort_block_merge_config_selectorIsSB_EEEEvv,comdat
	.protected	_ZN7rocprim17ROCPRIM_400000_NS6detail44device_merge_sort_compile_time_verifier_archINS1_11comp_targetILNS1_3genE8ELNS1_11target_archE1030ELNS1_3gpuE2ELNS1_3repE0EEES8_NS0_14default_configES9_NS1_37merge_sort_block_sort_config_selectorIsNS0_10empty_typeEEENS1_38merge_sort_block_merge_config_selectorIsSB_EEEEvv ; -- Begin function _ZN7rocprim17ROCPRIM_400000_NS6detail44device_merge_sort_compile_time_verifier_archINS1_11comp_targetILNS1_3genE8ELNS1_11target_archE1030ELNS1_3gpuE2ELNS1_3repE0EEES8_NS0_14default_configES9_NS1_37merge_sort_block_sort_config_selectorIsNS0_10empty_typeEEENS1_38merge_sort_block_merge_config_selectorIsSB_EEEEvv
	.globl	_ZN7rocprim17ROCPRIM_400000_NS6detail44device_merge_sort_compile_time_verifier_archINS1_11comp_targetILNS1_3genE8ELNS1_11target_archE1030ELNS1_3gpuE2ELNS1_3repE0EEES8_NS0_14default_configES9_NS1_37merge_sort_block_sort_config_selectorIsNS0_10empty_typeEEENS1_38merge_sort_block_merge_config_selectorIsSB_EEEEvv
	.p2align	8
	.type	_ZN7rocprim17ROCPRIM_400000_NS6detail44device_merge_sort_compile_time_verifier_archINS1_11comp_targetILNS1_3genE8ELNS1_11target_archE1030ELNS1_3gpuE2ELNS1_3repE0EEES8_NS0_14default_configES9_NS1_37merge_sort_block_sort_config_selectorIsNS0_10empty_typeEEENS1_38merge_sort_block_merge_config_selectorIsSB_EEEEvv,@function
_ZN7rocprim17ROCPRIM_400000_NS6detail44device_merge_sort_compile_time_verifier_archINS1_11comp_targetILNS1_3genE8ELNS1_11target_archE1030ELNS1_3gpuE2ELNS1_3repE0EEES8_NS0_14default_configES9_NS1_37merge_sort_block_sort_config_selectorIsNS0_10empty_typeEEENS1_38merge_sort_block_merge_config_selectorIsSB_EEEEvv: ; @_ZN7rocprim17ROCPRIM_400000_NS6detail44device_merge_sort_compile_time_verifier_archINS1_11comp_targetILNS1_3genE8ELNS1_11target_archE1030ELNS1_3gpuE2ELNS1_3repE0EEES8_NS0_14default_configES9_NS1_37merge_sort_block_sort_config_selectorIsNS0_10empty_typeEEENS1_38merge_sort_block_merge_config_selectorIsSB_EEEEvv
; %bb.0:
	s_endpgm
	.section	.rodata,"a",@progbits
	.p2align	6, 0x0
	.amdhsa_kernel _ZN7rocprim17ROCPRIM_400000_NS6detail44device_merge_sort_compile_time_verifier_archINS1_11comp_targetILNS1_3genE8ELNS1_11target_archE1030ELNS1_3gpuE2ELNS1_3repE0EEES8_NS0_14default_configES9_NS1_37merge_sort_block_sort_config_selectorIsNS0_10empty_typeEEENS1_38merge_sort_block_merge_config_selectorIsSB_EEEEvv
		.amdhsa_group_segment_fixed_size 0
		.amdhsa_private_segment_fixed_size 0
		.amdhsa_kernarg_size 0
		.amdhsa_user_sgpr_count 4
		.amdhsa_user_sgpr_private_segment_buffer 1
		.amdhsa_user_sgpr_dispatch_ptr 0
		.amdhsa_user_sgpr_queue_ptr 0
		.amdhsa_user_sgpr_kernarg_segment_ptr 0
		.amdhsa_user_sgpr_dispatch_id 0
		.amdhsa_user_sgpr_flat_scratch_init 0
		.amdhsa_user_sgpr_kernarg_preload_length 0
		.amdhsa_user_sgpr_kernarg_preload_offset 0
		.amdhsa_user_sgpr_private_segment_size 0
		.amdhsa_uses_dynamic_stack 0
		.amdhsa_system_sgpr_private_segment_wavefront_offset 0
		.amdhsa_system_sgpr_workgroup_id_x 1
		.amdhsa_system_sgpr_workgroup_id_y 0
		.amdhsa_system_sgpr_workgroup_id_z 0
		.amdhsa_system_sgpr_workgroup_info 0
		.amdhsa_system_vgpr_workitem_id 0
		.amdhsa_next_free_vgpr 1
		.amdhsa_next_free_sgpr 0
		.amdhsa_accum_offset 4
		.amdhsa_reserve_vcc 0
		.amdhsa_reserve_flat_scratch 0
		.amdhsa_float_round_mode_32 0
		.amdhsa_float_round_mode_16_64 0
		.amdhsa_float_denorm_mode_32 3
		.amdhsa_float_denorm_mode_16_64 3
		.amdhsa_dx10_clamp 1
		.amdhsa_ieee_mode 1
		.amdhsa_fp16_overflow 0
		.amdhsa_tg_split 0
		.amdhsa_exception_fp_ieee_invalid_op 0
		.amdhsa_exception_fp_denorm_src 0
		.amdhsa_exception_fp_ieee_div_zero 0
		.amdhsa_exception_fp_ieee_overflow 0
		.amdhsa_exception_fp_ieee_underflow 0
		.amdhsa_exception_fp_ieee_inexact 0
		.amdhsa_exception_int_div_zero 0
	.end_amdhsa_kernel
	.section	.text._ZN7rocprim17ROCPRIM_400000_NS6detail44device_merge_sort_compile_time_verifier_archINS1_11comp_targetILNS1_3genE8ELNS1_11target_archE1030ELNS1_3gpuE2ELNS1_3repE0EEES8_NS0_14default_configES9_NS1_37merge_sort_block_sort_config_selectorIsNS0_10empty_typeEEENS1_38merge_sort_block_merge_config_selectorIsSB_EEEEvv,"axG",@progbits,_ZN7rocprim17ROCPRIM_400000_NS6detail44device_merge_sort_compile_time_verifier_archINS1_11comp_targetILNS1_3genE8ELNS1_11target_archE1030ELNS1_3gpuE2ELNS1_3repE0EEES8_NS0_14default_configES9_NS1_37merge_sort_block_sort_config_selectorIsNS0_10empty_typeEEENS1_38merge_sort_block_merge_config_selectorIsSB_EEEEvv,comdat
.Lfunc_end2926:
	.size	_ZN7rocprim17ROCPRIM_400000_NS6detail44device_merge_sort_compile_time_verifier_archINS1_11comp_targetILNS1_3genE8ELNS1_11target_archE1030ELNS1_3gpuE2ELNS1_3repE0EEES8_NS0_14default_configES9_NS1_37merge_sort_block_sort_config_selectorIsNS0_10empty_typeEEENS1_38merge_sort_block_merge_config_selectorIsSB_EEEEvv, .Lfunc_end2926-_ZN7rocprim17ROCPRIM_400000_NS6detail44device_merge_sort_compile_time_verifier_archINS1_11comp_targetILNS1_3genE8ELNS1_11target_archE1030ELNS1_3gpuE2ELNS1_3repE0EEES8_NS0_14default_configES9_NS1_37merge_sort_block_sort_config_selectorIsNS0_10empty_typeEEENS1_38merge_sort_block_merge_config_selectorIsSB_EEEEvv
                                        ; -- End function
	.section	.AMDGPU.csdata,"",@progbits
; Kernel info:
; codeLenInByte = 4
; NumSgprs: 4
; NumVgprs: 0
; NumAgprs: 0
; TotalNumVgprs: 0
; ScratchSize: 0
; MemoryBound: 0
; FloatMode: 240
; IeeeMode: 1
; LDSByteSize: 0 bytes/workgroup (compile time only)
; SGPRBlocks: 0
; VGPRBlocks: 0
; NumSGPRsForWavesPerEU: 4
; NumVGPRsForWavesPerEU: 1
; AccumOffset: 4
; Occupancy: 8
; WaveLimiterHint : 0
; COMPUTE_PGM_RSRC2:SCRATCH_EN: 0
; COMPUTE_PGM_RSRC2:USER_SGPR: 4
; COMPUTE_PGM_RSRC2:TRAP_HANDLER: 0
; COMPUTE_PGM_RSRC2:TGID_X_EN: 1
; COMPUTE_PGM_RSRC2:TGID_Y_EN: 0
; COMPUTE_PGM_RSRC2:TGID_Z_EN: 0
; COMPUTE_PGM_RSRC2:TIDIG_COMP_CNT: 0
; COMPUTE_PGM_RSRC3_GFX90A:ACCUM_OFFSET: 0
; COMPUTE_PGM_RSRC3_GFX90A:TG_SPLIT: 0
	.section	.text._ZN7rocprim17ROCPRIM_400000_NS6detail17trampoline_kernelINS0_14default_configENS1_37merge_sort_block_sort_config_selectorIsNS0_10empty_typeEEEZNS1_21merge_sort_block_sortIS3_N6thrust23THRUST_200600_302600_NS6detail15normal_iteratorINS9_10device_ptrIsEEEESE_PS5_SF_14custom_greaterIsEEE10hipError_tT0_T1_T2_T3_mRjT4_P12ihipStream_tbNS1_7vsmem_tEEUlT_E_NS1_11comp_targetILNS1_3genE0ELNS1_11target_archE4294967295ELNS1_3gpuE0ELNS1_3repE0EEENS1_30default_config_static_selectorELNS0_4arch9wavefront6targetE1EEEvSK_,"axG",@progbits,_ZN7rocprim17ROCPRIM_400000_NS6detail17trampoline_kernelINS0_14default_configENS1_37merge_sort_block_sort_config_selectorIsNS0_10empty_typeEEEZNS1_21merge_sort_block_sortIS3_N6thrust23THRUST_200600_302600_NS6detail15normal_iteratorINS9_10device_ptrIsEEEESE_PS5_SF_14custom_greaterIsEEE10hipError_tT0_T1_T2_T3_mRjT4_P12ihipStream_tbNS1_7vsmem_tEEUlT_E_NS1_11comp_targetILNS1_3genE0ELNS1_11target_archE4294967295ELNS1_3gpuE0ELNS1_3repE0EEENS1_30default_config_static_selectorELNS0_4arch9wavefront6targetE1EEEvSK_,comdat
	.protected	_ZN7rocprim17ROCPRIM_400000_NS6detail17trampoline_kernelINS0_14default_configENS1_37merge_sort_block_sort_config_selectorIsNS0_10empty_typeEEEZNS1_21merge_sort_block_sortIS3_N6thrust23THRUST_200600_302600_NS6detail15normal_iteratorINS9_10device_ptrIsEEEESE_PS5_SF_14custom_greaterIsEEE10hipError_tT0_T1_T2_T3_mRjT4_P12ihipStream_tbNS1_7vsmem_tEEUlT_E_NS1_11comp_targetILNS1_3genE0ELNS1_11target_archE4294967295ELNS1_3gpuE0ELNS1_3repE0EEENS1_30default_config_static_selectorELNS0_4arch9wavefront6targetE1EEEvSK_ ; -- Begin function _ZN7rocprim17ROCPRIM_400000_NS6detail17trampoline_kernelINS0_14default_configENS1_37merge_sort_block_sort_config_selectorIsNS0_10empty_typeEEEZNS1_21merge_sort_block_sortIS3_N6thrust23THRUST_200600_302600_NS6detail15normal_iteratorINS9_10device_ptrIsEEEESE_PS5_SF_14custom_greaterIsEEE10hipError_tT0_T1_T2_T3_mRjT4_P12ihipStream_tbNS1_7vsmem_tEEUlT_E_NS1_11comp_targetILNS1_3genE0ELNS1_11target_archE4294967295ELNS1_3gpuE0ELNS1_3repE0EEENS1_30default_config_static_selectorELNS0_4arch9wavefront6targetE1EEEvSK_
	.globl	_ZN7rocprim17ROCPRIM_400000_NS6detail17trampoline_kernelINS0_14default_configENS1_37merge_sort_block_sort_config_selectorIsNS0_10empty_typeEEEZNS1_21merge_sort_block_sortIS3_N6thrust23THRUST_200600_302600_NS6detail15normal_iteratorINS9_10device_ptrIsEEEESE_PS5_SF_14custom_greaterIsEEE10hipError_tT0_T1_T2_T3_mRjT4_P12ihipStream_tbNS1_7vsmem_tEEUlT_E_NS1_11comp_targetILNS1_3genE0ELNS1_11target_archE4294967295ELNS1_3gpuE0ELNS1_3repE0EEENS1_30default_config_static_selectorELNS0_4arch9wavefront6targetE1EEEvSK_
	.p2align	8
	.type	_ZN7rocprim17ROCPRIM_400000_NS6detail17trampoline_kernelINS0_14default_configENS1_37merge_sort_block_sort_config_selectorIsNS0_10empty_typeEEEZNS1_21merge_sort_block_sortIS3_N6thrust23THRUST_200600_302600_NS6detail15normal_iteratorINS9_10device_ptrIsEEEESE_PS5_SF_14custom_greaterIsEEE10hipError_tT0_T1_T2_T3_mRjT4_P12ihipStream_tbNS1_7vsmem_tEEUlT_E_NS1_11comp_targetILNS1_3genE0ELNS1_11target_archE4294967295ELNS1_3gpuE0ELNS1_3repE0EEENS1_30default_config_static_selectorELNS0_4arch9wavefront6targetE1EEEvSK_,@function
_ZN7rocprim17ROCPRIM_400000_NS6detail17trampoline_kernelINS0_14default_configENS1_37merge_sort_block_sort_config_selectorIsNS0_10empty_typeEEEZNS1_21merge_sort_block_sortIS3_N6thrust23THRUST_200600_302600_NS6detail15normal_iteratorINS9_10device_ptrIsEEEESE_PS5_SF_14custom_greaterIsEEE10hipError_tT0_T1_T2_T3_mRjT4_P12ihipStream_tbNS1_7vsmem_tEEUlT_E_NS1_11comp_targetILNS1_3genE0ELNS1_11target_archE4294967295ELNS1_3gpuE0ELNS1_3repE0EEENS1_30default_config_static_selectorELNS0_4arch9wavefront6targetE1EEEvSK_: ; @_ZN7rocprim17ROCPRIM_400000_NS6detail17trampoline_kernelINS0_14default_configENS1_37merge_sort_block_sort_config_selectorIsNS0_10empty_typeEEEZNS1_21merge_sort_block_sortIS3_N6thrust23THRUST_200600_302600_NS6detail15normal_iteratorINS9_10device_ptrIsEEEESE_PS5_SF_14custom_greaterIsEEE10hipError_tT0_T1_T2_T3_mRjT4_P12ihipStream_tbNS1_7vsmem_tEEUlT_E_NS1_11comp_targetILNS1_3genE0ELNS1_11target_archE4294967295ELNS1_3gpuE0ELNS1_3repE0EEENS1_30default_config_static_selectorELNS0_4arch9wavefront6targetE1EEEvSK_
; %bb.0:
	.section	.rodata,"a",@progbits
	.p2align	6, 0x0
	.amdhsa_kernel _ZN7rocprim17ROCPRIM_400000_NS6detail17trampoline_kernelINS0_14default_configENS1_37merge_sort_block_sort_config_selectorIsNS0_10empty_typeEEEZNS1_21merge_sort_block_sortIS3_N6thrust23THRUST_200600_302600_NS6detail15normal_iteratorINS9_10device_ptrIsEEEESE_PS5_SF_14custom_greaterIsEEE10hipError_tT0_T1_T2_T3_mRjT4_P12ihipStream_tbNS1_7vsmem_tEEUlT_E_NS1_11comp_targetILNS1_3genE0ELNS1_11target_archE4294967295ELNS1_3gpuE0ELNS1_3repE0EEENS1_30default_config_static_selectorELNS0_4arch9wavefront6targetE1EEEvSK_
		.amdhsa_group_segment_fixed_size 0
		.amdhsa_private_segment_fixed_size 0
		.amdhsa_kernarg_size 64
		.amdhsa_user_sgpr_count 6
		.amdhsa_user_sgpr_private_segment_buffer 1
		.amdhsa_user_sgpr_dispatch_ptr 0
		.amdhsa_user_sgpr_queue_ptr 0
		.amdhsa_user_sgpr_kernarg_segment_ptr 1
		.amdhsa_user_sgpr_dispatch_id 0
		.amdhsa_user_sgpr_flat_scratch_init 0
		.amdhsa_user_sgpr_kernarg_preload_length 0
		.amdhsa_user_sgpr_kernarg_preload_offset 0
		.amdhsa_user_sgpr_private_segment_size 0
		.amdhsa_uses_dynamic_stack 0
		.amdhsa_system_sgpr_private_segment_wavefront_offset 0
		.amdhsa_system_sgpr_workgroup_id_x 1
		.amdhsa_system_sgpr_workgroup_id_y 0
		.amdhsa_system_sgpr_workgroup_id_z 0
		.amdhsa_system_sgpr_workgroup_info 0
		.amdhsa_system_vgpr_workitem_id 0
		.amdhsa_next_free_vgpr 1
		.amdhsa_next_free_sgpr 0
		.amdhsa_accum_offset 4
		.amdhsa_reserve_vcc 0
		.amdhsa_reserve_flat_scratch 0
		.amdhsa_float_round_mode_32 0
		.amdhsa_float_round_mode_16_64 0
		.amdhsa_float_denorm_mode_32 3
		.amdhsa_float_denorm_mode_16_64 3
		.amdhsa_dx10_clamp 1
		.amdhsa_ieee_mode 1
		.amdhsa_fp16_overflow 0
		.amdhsa_tg_split 0
		.amdhsa_exception_fp_ieee_invalid_op 0
		.amdhsa_exception_fp_denorm_src 0
		.amdhsa_exception_fp_ieee_div_zero 0
		.amdhsa_exception_fp_ieee_overflow 0
		.amdhsa_exception_fp_ieee_underflow 0
		.amdhsa_exception_fp_ieee_inexact 0
		.amdhsa_exception_int_div_zero 0
	.end_amdhsa_kernel
	.section	.text._ZN7rocprim17ROCPRIM_400000_NS6detail17trampoline_kernelINS0_14default_configENS1_37merge_sort_block_sort_config_selectorIsNS0_10empty_typeEEEZNS1_21merge_sort_block_sortIS3_N6thrust23THRUST_200600_302600_NS6detail15normal_iteratorINS9_10device_ptrIsEEEESE_PS5_SF_14custom_greaterIsEEE10hipError_tT0_T1_T2_T3_mRjT4_P12ihipStream_tbNS1_7vsmem_tEEUlT_E_NS1_11comp_targetILNS1_3genE0ELNS1_11target_archE4294967295ELNS1_3gpuE0ELNS1_3repE0EEENS1_30default_config_static_selectorELNS0_4arch9wavefront6targetE1EEEvSK_,"axG",@progbits,_ZN7rocprim17ROCPRIM_400000_NS6detail17trampoline_kernelINS0_14default_configENS1_37merge_sort_block_sort_config_selectorIsNS0_10empty_typeEEEZNS1_21merge_sort_block_sortIS3_N6thrust23THRUST_200600_302600_NS6detail15normal_iteratorINS9_10device_ptrIsEEEESE_PS5_SF_14custom_greaterIsEEE10hipError_tT0_T1_T2_T3_mRjT4_P12ihipStream_tbNS1_7vsmem_tEEUlT_E_NS1_11comp_targetILNS1_3genE0ELNS1_11target_archE4294967295ELNS1_3gpuE0ELNS1_3repE0EEENS1_30default_config_static_selectorELNS0_4arch9wavefront6targetE1EEEvSK_,comdat
.Lfunc_end2927:
	.size	_ZN7rocprim17ROCPRIM_400000_NS6detail17trampoline_kernelINS0_14default_configENS1_37merge_sort_block_sort_config_selectorIsNS0_10empty_typeEEEZNS1_21merge_sort_block_sortIS3_N6thrust23THRUST_200600_302600_NS6detail15normal_iteratorINS9_10device_ptrIsEEEESE_PS5_SF_14custom_greaterIsEEE10hipError_tT0_T1_T2_T3_mRjT4_P12ihipStream_tbNS1_7vsmem_tEEUlT_E_NS1_11comp_targetILNS1_3genE0ELNS1_11target_archE4294967295ELNS1_3gpuE0ELNS1_3repE0EEENS1_30default_config_static_selectorELNS0_4arch9wavefront6targetE1EEEvSK_, .Lfunc_end2927-_ZN7rocprim17ROCPRIM_400000_NS6detail17trampoline_kernelINS0_14default_configENS1_37merge_sort_block_sort_config_selectorIsNS0_10empty_typeEEEZNS1_21merge_sort_block_sortIS3_N6thrust23THRUST_200600_302600_NS6detail15normal_iteratorINS9_10device_ptrIsEEEESE_PS5_SF_14custom_greaterIsEEE10hipError_tT0_T1_T2_T3_mRjT4_P12ihipStream_tbNS1_7vsmem_tEEUlT_E_NS1_11comp_targetILNS1_3genE0ELNS1_11target_archE4294967295ELNS1_3gpuE0ELNS1_3repE0EEENS1_30default_config_static_selectorELNS0_4arch9wavefront6targetE1EEEvSK_
                                        ; -- End function
	.section	.AMDGPU.csdata,"",@progbits
; Kernel info:
; codeLenInByte = 0
; NumSgprs: 4
; NumVgprs: 0
; NumAgprs: 0
; TotalNumVgprs: 0
; ScratchSize: 0
; MemoryBound: 0
; FloatMode: 240
; IeeeMode: 1
; LDSByteSize: 0 bytes/workgroup (compile time only)
; SGPRBlocks: 0
; VGPRBlocks: 0
; NumSGPRsForWavesPerEU: 4
; NumVGPRsForWavesPerEU: 1
; AccumOffset: 4
; Occupancy: 8
; WaveLimiterHint : 0
; COMPUTE_PGM_RSRC2:SCRATCH_EN: 0
; COMPUTE_PGM_RSRC2:USER_SGPR: 6
; COMPUTE_PGM_RSRC2:TRAP_HANDLER: 0
; COMPUTE_PGM_RSRC2:TGID_X_EN: 1
; COMPUTE_PGM_RSRC2:TGID_Y_EN: 0
; COMPUTE_PGM_RSRC2:TGID_Z_EN: 0
; COMPUTE_PGM_RSRC2:TIDIG_COMP_CNT: 0
; COMPUTE_PGM_RSRC3_GFX90A:ACCUM_OFFSET: 0
; COMPUTE_PGM_RSRC3_GFX90A:TG_SPLIT: 0
	.section	.text._ZN7rocprim17ROCPRIM_400000_NS6detail17trampoline_kernelINS0_14default_configENS1_37merge_sort_block_sort_config_selectorIsNS0_10empty_typeEEEZNS1_21merge_sort_block_sortIS3_N6thrust23THRUST_200600_302600_NS6detail15normal_iteratorINS9_10device_ptrIsEEEESE_PS5_SF_14custom_greaterIsEEE10hipError_tT0_T1_T2_T3_mRjT4_P12ihipStream_tbNS1_7vsmem_tEEUlT_E_NS1_11comp_targetILNS1_3genE5ELNS1_11target_archE942ELNS1_3gpuE9ELNS1_3repE0EEENS1_30default_config_static_selectorELNS0_4arch9wavefront6targetE1EEEvSK_,"axG",@progbits,_ZN7rocprim17ROCPRIM_400000_NS6detail17trampoline_kernelINS0_14default_configENS1_37merge_sort_block_sort_config_selectorIsNS0_10empty_typeEEEZNS1_21merge_sort_block_sortIS3_N6thrust23THRUST_200600_302600_NS6detail15normal_iteratorINS9_10device_ptrIsEEEESE_PS5_SF_14custom_greaterIsEEE10hipError_tT0_T1_T2_T3_mRjT4_P12ihipStream_tbNS1_7vsmem_tEEUlT_E_NS1_11comp_targetILNS1_3genE5ELNS1_11target_archE942ELNS1_3gpuE9ELNS1_3repE0EEENS1_30default_config_static_selectorELNS0_4arch9wavefront6targetE1EEEvSK_,comdat
	.protected	_ZN7rocprim17ROCPRIM_400000_NS6detail17trampoline_kernelINS0_14default_configENS1_37merge_sort_block_sort_config_selectorIsNS0_10empty_typeEEEZNS1_21merge_sort_block_sortIS3_N6thrust23THRUST_200600_302600_NS6detail15normal_iteratorINS9_10device_ptrIsEEEESE_PS5_SF_14custom_greaterIsEEE10hipError_tT0_T1_T2_T3_mRjT4_P12ihipStream_tbNS1_7vsmem_tEEUlT_E_NS1_11comp_targetILNS1_3genE5ELNS1_11target_archE942ELNS1_3gpuE9ELNS1_3repE0EEENS1_30default_config_static_selectorELNS0_4arch9wavefront6targetE1EEEvSK_ ; -- Begin function _ZN7rocprim17ROCPRIM_400000_NS6detail17trampoline_kernelINS0_14default_configENS1_37merge_sort_block_sort_config_selectorIsNS0_10empty_typeEEEZNS1_21merge_sort_block_sortIS3_N6thrust23THRUST_200600_302600_NS6detail15normal_iteratorINS9_10device_ptrIsEEEESE_PS5_SF_14custom_greaterIsEEE10hipError_tT0_T1_T2_T3_mRjT4_P12ihipStream_tbNS1_7vsmem_tEEUlT_E_NS1_11comp_targetILNS1_3genE5ELNS1_11target_archE942ELNS1_3gpuE9ELNS1_3repE0EEENS1_30default_config_static_selectorELNS0_4arch9wavefront6targetE1EEEvSK_
	.globl	_ZN7rocprim17ROCPRIM_400000_NS6detail17trampoline_kernelINS0_14default_configENS1_37merge_sort_block_sort_config_selectorIsNS0_10empty_typeEEEZNS1_21merge_sort_block_sortIS3_N6thrust23THRUST_200600_302600_NS6detail15normal_iteratorINS9_10device_ptrIsEEEESE_PS5_SF_14custom_greaterIsEEE10hipError_tT0_T1_T2_T3_mRjT4_P12ihipStream_tbNS1_7vsmem_tEEUlT_E_NS1_11comp_targetILNS1_3genE5ELNS1_11target_archE942ELNS1_3gpuE9ELNS1_3repE0EEENS1_30default_config_static_selectorELNS0_4arch9wavefront6targetE1EEEvSK_
	.p2align	8
	.type	_ZN7rocprim17ROCPRIM_400000_NS6detail17trampoline_kernelINS0_14default_configENS1_37merge_sort_block_sort_config_selectorIsNS0_10empty_typeEEEZNS1_21merge_sort_block_sortIS3_N6thrust23THRUST_200600_302600_NS6detail15normal_iteratorINS9_10device_ptrIsEEEESE_PS5_SF_14custom_greaterIsEEE10hipError_tT0_T1_T2_T3_mRjT4_P12ihipStream_tbNS1_7vsmem_tEEUlT_E_NS1_11comp_targetILNS1_3genE5ELNS1_11target_archE942ELNS1_3gpuE9ELNS1_3repE0EEENS1_30default_config_static_selectorELNS0_4arch9wavefront6targetE1EEEvSK_,@function
_ZN7rocprim17ROCPRIM_400000_NS6detail17trampoline_kernelINS0_14default_configENS1_37merge_sort_block_sort_config_selectorIsNS0_10empty_typeEEEZNS1_21merge_sort_block_sortIS3_N6thrust23THRUST_200600_302600_NS6detail15normal_iteratorINS9_10device_ptrIsEEEESE_PS5_SF_14custom_greaterIsEEE10hipError_tT0_T1_T2_T3_mRjT4_P12ihipStream_tbNS1_7vsmem_tEEUlT_E_NS1_11comp_targetILNS1_3genE5ELNS1_11target_archE942ELNS1_3gpuE9ELNS1_3repE0EEENS1_30default_config_static_selectorELNS0_4arch9wavefront6targetE1EEEvSK_: ; @_ZN7rocprim17ROCPRIM_400000_NS6detail17trampoline_kernelINS0_14default_configENS1_37merge_sort_block_sort_config_selectorIsNS0_10empty_typeEEEZNS1_21merge_sort_block_sortIS3_N6thrust23THRUST_200600_302600_NS6detail15normal_iteratorINS9_10device_ptrIsEEEESE_PS5_SF_14custom_greaterIsEEE10hipError_tT0_T1_T2_T3_mRjT4_P12ihipStream_tbNS1_7vsmem_tEEUlT_E_NS1_11comp_targetILNS1_3genE5ELNS1_11target_archE942ELNS1_3gpuE9ELNS1_3repE0EEENS1_30default_config_static_selectorELNS0_4arch9wavefront6targetE1EEEvSK_
; %bb.0:
	.section	.rodata,"a",@progbits
	.p2align	6, 0x0
	.amdhsa_kernel _ZN7rocprim17ROCPRIM_400000_NS6detail17trampoline_kernelINS0_14default_configENS1_37merge_sort_block_sort_config_selectorIsNS0_10empty_typeEEEZNS1_21merge_sort_block_sortIS3_N6thrust23THRUST_200600_302600_NS6detail15normal_iteratorINS9_10device_ptrIsEEEESE_PS5_SF_14custom_greaterIsEEE10hipError_tT0_T1_T2_T3_mRjT4_P12ihipStream_tbNS1_7vsmem_tEEUlT_E_NS1_11comp_targetILNS1_3genE5ELNS1_11target_archE942ELNS1_3gpuE9ELNS1_3repE0EEENS1_30default_config_static_selectorELNS0_4arch9wavefront6targetE1EEEvSK_
		.amdhsa_group_segment_fixed_size 0
		.amdhsa_private_segment_fixed_size 0
		.amdhsa_kernarg_size 64
		.amdhsa_user_sgpr_count 6
		.amdhsa_user_sgpr_private_segment_buffer 1
		.amdhsa_user_sgpr_dispatch_ptr 0
		.amdhsa_user_sgpr_queue_ptr 0
		.amdhsa_user_sgpr_kernarg_segment_ptr 1
		.amdhsa_user_sgpr_dispatch_id 0
		.amdhsa_user_sgpr_flat_scratch_init 0
		.amdhsa_user_sgpr_kernarg_preload_length 0
		.amdhsa_user_sgpr_kernarg_preload_offset 0
		.amdhsa_user_sgpr_private_segment_size 0
		.amdhsa_uses_dynamic_stack 0
		.amdhsa_system_sgpr_private_segment_wavefront_offset 0
		.amdhsa_system_sgpr_workgroup_id_x 1
		.amdhsa_system_sgpr_workgroup_id_y 0
		.amdhsa_system_sgpr_workgroup_id_z 0
		.amdhsa_system_sgpr_workgroup_info 0
		.amdhsa_system_vgpr_workitem_id 0
		.amdhsa_next_free_vgpr 1
		.amdhsa_next_free_sgpr 0
		.amdhsa_accum_offset 4
		.amdhsa_reserve_vcc 0
		.amdhsa_reserve_flat_scratch 0
		.amdhsa_float_round_mode_32 0
		.amdhsa_float_round_mode_16_64 0
		.amdhsa_float_denorm_mode_32 3
		.amdhsa_float_denorm_mode_16_64 3
		.amdhsa_dx10_clamp 1
		.amdhsa_ieee_mode 1
		.amdhsa_fp16_overflow 0
		.amdhsa_tg_split 0
		.amdhsa_exception_fp_ieee_invalid_op 0
		.amdhsa_exception_fp_denorm_src 0
		.amdhsa_exception_fp_ieee_div_zero 0
		.amdhsa_exception_fp_ieee_overflow 0
		.amdhsa_exception_fp_ieee_underflow 0
		.amdhsa_exception_fp_ieee_inexact 0
		.amdhsa_exception_int_div_zero 0
	.end_amdhsa_kernel
	.section	.text._ZN7rocprim17ROCPRIM_400000_NS6detail17trampoline_kernelINS0_14default_configENS1_37merge_sort_block_sort_config_selectorIsNS0_10empty_typeEEEZNS1_21merge_sort_block_sortIS3_N6thrust23THRUST_200600_302600_NS6detail15normal_iteratorINS9_10device_ptrIsEEEESE_PS5_SF_14custom_greaterIsEEE10hipError_tT0_T1_T2_T3_mRjT4_P12ihipStream_tbNS1_7vsmem_tEEUlT_E_NS1_11comp_targetILNS1_3genE5ELNS1_11target_archE942ELNS1_3gpuE9ELNS1_3repE0EEENS1_30default_config_static_selectorELNS0_4arch9wavefront6targetE1EEEvSK_,"axG",@progbits,_ZN7rocprim17ROCPRIM_400000_NS6detail17trampoline_kernelINS0_14default_configENS1_37merge_sort_block_sort_config_selectorIsNS0_10empty_typeEEEZNS1_21merge_sort_block_sortIS3_N6thrust23THRUST_200600_302600_NS6detail15normal_iteratorINS9_10device_ptrIsEEEESE_PS5_SF_14custom_greaterIsEEE10hipError_tT0_T1_T2_T3_mRjT4_P12ihipStream_tbNS1_7vsmem_tEEUlT_E_NS1_11comp_targetILNS1_3genE5ELNS1_11target_archE942ELNS1_3gpuE9ELNS1_3repE0EEENS1_30default_config_static_selectorELNS0_4arch9wavefront6targetE1EEEvSK_,comdat
.Lfunc_end2928:
	.size	_ZN7rocprim17ROCPRIM_400000_NS6detail17trampoline_kernelINS0_14default_configENS1_37merge_sort_block_sort_config_selectorIsNS0_10empty_typeEEEZNS1_21merge_sort_block_sortIS3_N6thrust23THRUST_200600_302600_NS6detail15normal_iteratorINS9_10device_ptrIsEEEESE_PS5_SF_14custom_greaterIsEEE10hipError_tT0_T1_T2_T3_mRjT4_P12ihipStream_tbNS1_7vsmem_tEEUlT_E_NS1_11comp_targetILNS1_3genE5ELNS1_11target_archE942ELNS1_3gpuE9ELNS1_3repE0EEENS1_30default_config_static_selectorELNS0_4arch9wavefront6targetE1EEEvSK_, .Lfunc_end2928-_ZN7rocprim17ROCPRIM_400000_NS6detail17trampoline_kernelINS0_14default_configENS1_37merge_sort_block_sort_config_selectorIsNS0_10empty_typeEEEZNS1_21merge_sort_block_sortIS3_N6thrust23THRUST_200600_302600_NS6detail15normal_iteratorINS9_10device_ptrIsEEEESE_PS5_SF_14custom_greaterIsEEE10hipError_tT0_T1_T2_T3_mRjT4_P12ihipStream_tbNS1_7vsmem_tEEUlT_E_NS1_11comp_targetILNS1_3genE5ELNS1_11target_archE942ELNS1_3gpuE9ELNS1_3repE0EEENS1_30default_config_static_selectorELNS0_4arch9wavefront6targetE1EEEvSK_
                                        ; -- End function
	.section	.AMDGPU.csdata,"",@progbits
; Kernel info:
; codeLenInByte = 0
; NumSgprs: 4
; NumVgprs: 0
; NumAgprs: 0
; TotalNumVgprs: 0
; ScratchSize: 0
; MemoryBound: 0
; FloatMode: 240
; IeeeMode: 1
; LDSByteSize: 0 bytes/workgroup (compile time only)
; SGPRBlocks: 0
; VGPRBlocks: 0
; NumSGPRsForWavesPerEU: 4
; NumVGPRsForWavesPerEU: 1
; AccumOffset: 4
; Occupancy: 8
; WaveLimiterHint : 0
; COMPUTE_PGM_RSRC2:SCRATCH_EN: 0
; COMPUTE_PGM_RSRC2:USER_SGPR: 6
; COMPUTE_PGM_RSRC2:TRAP_HANDLER: 0
; COMPUTE_PGM_RSRC2:TGID_X_EN: 1
; COMPUTE_PGM_RSRC2:TGID_Y_EN: 0
; COMPUTE_PGM_RSRC2:TGID_Z_EN: 0
; COMPUTE_PGM_RSRC2:TIDIG_COMP_CNT: 0
; COMPUTE_PGM_RSRC3_GFX90A:ACCUM_OFFSET: 0
; COMPUTE_PGM_RSRC3_GFX90A:TG_SPLIT: 0
	.text
	.p2align	2                               ; -- Begin function _ZN7rocprim17ROCPRIM_400000_NS6detail15block_sort_implIsNS0_10empty_typeELj256ELj16ELNS0_4arch9wavefront6targetE1EvE4sortIN6thrust23THRUST_200600_302600_NS6detail15normal_iteratorINSA_10device_ptrIsEEEESF_PS3_SG_14custom_greaterIsEEEvjbT_T0_T1_T2_T3_RNS7_12storage_typeE
	.type	_ZN7rocprim17ROCPRIM_400000_NS6detail15block_sort_implIsNS0_10empty_typeELj256ELj16ELNS0_4arch9wavefront6targetE1EvE4sortIN6thrust23THRUST_200600_302600_NS6detail15normal_iteratorINSA_10device_ptrIsEEEESF_PS3_SG_14custom_greaterIsEEEvjbT_T0_T1_T2_T3_RNS7_12storage_typeE,@function
_ZN7rocprim17ROCPRIM_400000_NS6detail15block_sort_implIsNS0_10empty_typeELj256ELj16ELNS0_4arch9wavefront6targetE1EvE4sortIN6thrust23THRUST_200600_302600_NS6detail15normal_iteratorINSA_10device_ptrIsEEEESF_PS3_SG_14custom_greaterIsEEEvjbT_T0_T1_T2_T3_RNS7_12storage_typeE: ; @_ZN7rocprim17ROCPRIM_400000_NS6detail15block_sort_implIsNS0_10empty_typeELj256ELj16ELNS0_4arch9wavefront6targetE1EvE4sortIN6thrust23THRUST_200600_302600_NS6detail15normal_iteratorINSA_10device_ptrIsEEEESF_PS3_SG_14custom_greaterIsEEEvjbT_T0_T1_T2_T3_RNS7_12storage_typeE
; %bb.0:
	s_waitcnt vmcnt(0) expcnt(0) lgkmcnt(0)
	s_or_saveexec_b64 s[4:5], -1
	buffer_store_dword v40, off, s[0:3], s32 ; 4-byte Folded Spill
	s_mov_b64 exec, s[4:5]
	v_writelane_b32 v40, s34, 0
	v_writelane_b32 v40, s35, 1
	;; [unrolled: 1-line block ×44, first 2 shown]
	v_and_b32_e32 v1, 1, v1
	v_cmp_eq_u32_e32 vcc, 1, v1
	v_and_b32_e32 v14, 0x3ff, v31
	s_xor_b64 s[4:5], vcc, -1
	s_mov_b64 s[68:69], 0
	v_bfe_u32 v32, v31, 10, 10
	v_bfe_u32 v31, v31, 20, 10
	v_lshlrev_b32_e32 v16, 1, v14
	v_lshrrev_b32_e32 v1, 4, v14
	v_lshlrev_b32_e32 v17, 4, v14
	v_lshrrev_b32_e32 v30, 1, v14
                                        ; implicit-def: $vgpr6
	s_and_saveexec_b64 s[6:7], s[4:5]
	s_xor_b64 s[36:37], exec, s[6:7]
	s_cbranch_execnz .LBB2929_5
; %bb.1:
	s_andn2_saveexec_b64 s[70:71], s[36:37]
	s_cbranch_execnz .LBB2929_88
.LBB2929_2:
	s_or_b64 exec, exec, s[70:71]
	s_and_saveexec_b64 s[4:5], s[68:69]
	s_cbranch_execz .LBB2929_4
.LBB2929_3:
	v_lshlrev_b64 v[0:1], 1, v[14:15]
	v_add_co_u32_e32 v0, vcc, v4, v0
	v_addc_co_u32_e32 v1, vcc, v5, v1, vcc
	v_add_co_u32_e32 v0, vcc, 0x1000, v0
	v_addc_co_u32_e32 v1, vcc, 0, v1, vcc
	s_waitcnt lgkmcnt(0)
	flat_store_short v[0:1], v6 offset:3584
.LBB2929_4:
	s_or_b64 exec, exec, s[4:5]
	v_readlane_b32 s30, v40, 42
	v_readlane_b32 s31, v40, 43
	;; [unrolled: 1-line block ×44, first 2 shown]
	s_or_saveexec_b64 s[4:5], -1
	buffer_load_dword v40, off, s[0:3], s32 ; 4-byte Folded Reload
	s_mov_b64 exec, s[4:5]
	s_waitcnt vmcnt(0) lgkmcnt(0)
	s_setpc_b64 s[30:31]
.LBB2929_5:
	v_add_co_u32_e32 v2, vcc, v2, v16
	v_addc_co_u32_e32 v3, vcc, 0, v3, vcc
	flat_load_ushort v0, v[2:3]
	flat_load_ushort v6, v[2:3] offset:512
	flat_load_ushort v7, v[2:3] offset:1024
	;; [unrolled: 1-line block ×7, first 2 shown]
	v_add_co_u32_e32 v2, vcc, 0x1000, v2
	v_addc_co_u32_e32 v3, vcc, 0, v3, vcc
	flat_load_ushort v28, v[2:3]
	flat_load_ushort v29, v[2:3] offset:512
	flat_load_ushort v33, v[2:3] offset:1024
	;; [unrolled: 1-line block ×7, first 2 shown]
	v_and_b32_e32 v1, 60, v1
	v_add_u32_e32 v2, 0x100, v14
	v_add_u32_e32 v3, 0x200, v14
	;; [unrolled: 1-line block ×3, first 2 shown]
	v_or_b32_e32 v12, 0x400, v14
	v_add_u32_e32 v13, 0x500, v14
	v_add_u32_e32 v18, 0x600, v14
	;; [unrolled: 1-line block ×3, first 2 shown]
	v_or_b32_e32 v20, 0x800, v14
	v_add_u32_e32 v21, 0x900, v14
	v_add_u32_e32 v22, 0xa00, v14
	;; [unrolled: 1-line block ×4, first 2 shown]
	v_lshrrev_b32_e32 v1, 4, v2
	v_lshrrev_b32_e32 v2, 4, v3
	;; [unrolled: 1-line block ×11, first 2 shown]
	v_or_b32_e32 v39, 0xc00, v14
	v_and_b32_e32 v1, 0x7c, v1
	v_and_b32_e32 v2, 0x7c, v2
	;; [unrolled: 1-line block ×11, first 2 shown]
	v_add_u32_e32 v11, v1, v16
	v_add_u32_e32 v12, v2, v16
	;; [unrolled: 1-line block ×11, first 2 shown]
	v_and_b32_e32 v30, 0x1fe, v30
	v_add_lshl_u32 v2, v30, v17, 1
	s_waitcnt vmcnt(0) lgkmcnt(0)
	ds_write_b16 v10, v0
	ds_write_b16 v11, v6 offset:512
	ds_write_b16 v12, v7 offset:1024
	ds_write_b16 v13, v8 offset:1536
	ds_write_b16 v18, v9 offset:2048
	ds_write_b16 v19, v15 offset:2560
	ds_write_b16 v20, v26 offset:3072
	ds_write_b16 v21, v27 offset:3584
	ds_write_b16 v22, v28 offset:4096
	ds_write_b16 v23, v29 offset:4608
	ds_write_b16 v24, v33 offset:5120
	ds_write_b16 v25, v34 offset:5632
	v_lshrrev_b32_e32 v0, 4, v39
	v_and_b32_e32 v0, 0xfc, v0
	v_add_u32_e32 v26, v0, v16
	v_add_u32_e32 v0, 0xd00, v14
	v_lshrrev_b32_e32 v0, 4, v0
	v_and_b32_e32 v0, 0x1fc, v0
	v_add_u32_e32 v27, v0, v16
	v_add_u32_e32 v0, 0xe00, v14
	;; [unrolled: 4-line block ×3, first 2 shown]
	v_lshrrev_b32_e32 v0, 4, v0
	v_and_b32_e32 v0, 0x1fc, v0
	v_add_u32_e32 v29, v0, v16
	ds_write_b16 v26, v35 offset:6144
	ds_write_b16 v27, v36 offset:6656
	;; [unrolled: 1-line block ×4, first 2 shown]
	s_waitcnt lgkmcnt(0)
	s_barrier
	ds_read2_b32 v[6:7], v2 offset1:1
	ds_read2_b32 v[8:9], v2 offset0:2 offset1:3
	ds_read2_b32 v[0:1], v2 offset0:4 offset1:5
	;; [unrolled: 1-line block ×3, first 2 shown]
	s_waitcnt lgkmcnt(0)
	s_barrier
	s_load_dwordx2 s[4:5], s[8:9], 0x0
	v_mov_b32_e32 v15, 0
	s_waitcnt lgkmcnt(0)
	s_cmp_lt_u32 s12, s4
	s_cselect_b32 s6, 12, 18
	s_cmp_lt_u32 s13, s5
	s_cselect_b32 s4, 14, 20
	s_add_u32 s4, s8, s4
	s_addc_u32 s5, s9, 0
	s_add_u32 s6, s8, s6
	s_addc_u32 s7, s9, 0
	global_load_ushort v33, v15, s[4:5]
	global_load_ushort v34, v15, s[6:7]
	s_movk_i32 s6, 0x1000
	s_waitcnt vmcnt(1)
	v_mad_u32_u24 v31, v31, v33, v32
	s_waitcnt vmcnt(0)
	v_mul_lo_u32 v31, v31, v34
	v_add_lshl_u32 v31, v31, v14, 4
	v_cmp_gt_u32_e32 vcc, s6, v31
	v_mov_b32_e32 v32, v6
	s_and_saveexec_b64 s[4:5], vcc
	s_cbranch_execz .LBB2929_7
; %bb.6:
	v_alignbit_b32 v32, v6, v6, 16
	v_cmp_gt_i16_sdwa vcc, v6, v6 src0_sel:DWORD src1_sel:WORD_1
	v_cndmask_b32_e32 v32, v6, v32, vcc
	v_alignbit_b32 v34, v7, v7, 16
	v_cmp_gt_i16_sdwa vcc, v7, v7 src0_sel:DWORD src1_sel:WORD_1
	v_cndmask_b32_e32 v34, v7, v34, vcc
	;; [unrolled: 3-line block ×6, first 2 shown]
	v_alignbit_b32 v52, v2, v2, 16
	v_cmp_gt_i16_sdwa vcc, v2, v2 src0_sel:DWORD src1_sel:WORD_1
	v_min_i16_sdwa v33, v6, v6 dst_sel:DWORD dst_unused:UNUSED_PAD src0_sel:DWORD src1_sel:WORD_1
	v_max_i16_sdwa v6, v6, v6 dst_sel:DWORD dst_unused:UNUSED_PAD src0_sel:DWORD src1_sel:WORD_1
	v_max_i16_sdwa v35, v7, v7 dst_sel:DWORD dst_unused:UNUSED_PAD src0_sel:DWORD src1_sel:WORD_1
	v_min_i16_sdwa v7, v7, v7 dst_sel:DWORD dst_unused:UNUSED_PAD src0_sel:DWORD src1_sel:WORD_1
	v_cndmask_b32_e32 v52, v2, v52, vcc
	v_alignbit_b32 v54, v3, v3, 16
	v_cmp_gt_i16_sdwa vcc, v3, v3 src0_sel:DWORD src1_sel:WORD_1
	s_mov_b32 s7, 0x5040100
	s_mov_b32 s10, 0xffff
	v_max_i16_sdwa v37, v8, v8 dst_sel:DWORD dst_unused:UNUSED_PAD src0_sel:DWORD src1_sel:WORD_1
	v_min_i16_sdwa v8, v8, v8 dst_sel:DWORD dst_unused:UNUSED_PAD src0_sel:DWORD src1_sel:WORD_1
	v_cndmask_b32_e32 v54, v3, v54, vcc
	v_perm_b32 v64, v7, v32, s7
	v_bfi_b32 v65, s10, v6, v34
	v_cmp_gt_i16_e32 vcc, v6, v7
	v_cndmask_b32_e32 v32, v32, v64, vcc
	v_cndmask_b32_e32 v34, v34, v65, vcc
	v_bfi_b32 v66, s10, v35, v36
	v_cmp_gt_i16_e32 vcc, v35, v8
	v_max_i16_sdwa v39, v9, v9 dst_sel:DWORD dst_unused:UNUSED_PAD src0_sel:DWORD src1_sel:WORD_1
	v_min_i16_sdwa v9, v9, v9 dst_sel:DWORD dst_unused:UNUSED_PAD src0_sel:DWORD src1_sel:WORD_1
	v_perm_b32 v65, v8, v34, s7
	v_cndmask_b32_e32 v36, v36, v66, vcc
	v_cndmask_b32_e32 v34, v34, v65, vcc
	v_max_i16_e32 v65, v35, v8
	v_min_i16_e32 v8, v35, v8
	v_perm_b32 v35, v9, v36, s7
	v_bfi_b32 v66, s10, v37, v38
	v_cmp_gt_i16_e32 vcc, v37, v9
	v_max_i16_sdwa v49, v0, v0 dst_sel:DWORD dst_unused:UNUSED_PAD src0_sel:DWORD src1_sel:WORD_1
	v_min_i16_sdwa v0, v0, v0 dst_sel:DWORD dst_unused:UNUSED_PAD src0_sel:DWORD src1_sel:WORD_1
	v_cndmask_b32_e32 v35, v36, v35, vcc
	v_cndmask_b32_e32 v36, v38, v66, vcc
	v_max_i16_e32 v38, v37, v9
	v_min_i16_e32 v9, v37, v9
	v_perm_b32 v37, v0, v36, s7
	v_bfi_b32 v66, s10, v39, v48
	v_cmp_gt_i16_e32 vcc, v39, v0
	v_max_i16_sdwa v51, v1, v1 dst_sel:DWORD dst_unused:UNUSED_PAD src0_sel:DWORD src1_sel:WORD_1
	v_min_i16_sdwa v1, v1, v1 dst_sel:DWORD dst_unused:UNUSED_PAD src0_sel:DWORD src1_sel:WORD_1
	;; [unrolled: 9-line block ×4, first 2 shown]
	v_cndmask_b32_e32 v39, v39, v49, vcc
	v_cndmask_b32_e32 v49, v52, v66, vcc
	v_max_i16_e32 v64, v6, v7
	v_min_i16_e32 v6, v6, v7
	v_max_i16_e32 v52, v51, v2
	v_min_i16_e32 v2, v51, v2
	v_perm_b32 v51, v3, v49, s7
	v_bfi_b32 v66, s10, v53, v54
	v_cmp_gt_i16_e32 vcc, v53, v3
	v_cndmask_b32_e32 v49, v49, v51, vcc
	v_cndmask_b32_e32 v51, v54, v66, vcc
	v_perm_b32 v66, v33, v6, s7
	v_cmp_lt_i16_e32 vcc, v7, v33
	v_cndmask_b32_e32 v7, v32, v66, vcc
	v_cndmask_b32_e32 v32, v33, v6, vcc
	;; [unrolled: 1-line block ×3, first 2 shown]
	v_perm_b32 v33, v64, v8, s7
	v_cmp_gt_i16_e32 vcc, v64, v8
	v_cndmask_b32_e32 v33, v34, v33, vcc
	v_max_i16_e32 v34, v64, v8
	v_min_i16_e32 v8, v64, v8
	v_perm_b32 v64, v65, v9, s7
	v_cmp_gt_i16_e32 vcc, v65, v9
	v_cndmask_b32_e32 v35, v35, v64, vcc
	v_max_i16_e32 v64, v65, v9
	v_min_i16_e32 v9, v65, v9
	;; [unrolled: 5-line block ×3, first 2 shown]
	v_perm_b32 v38, v48, v1, s7
	v_cmp_gt_i16_e32 vcc, v48, v1
	v_max_i16_e32 v54, v53, v3
	v_min_i16_e32 v3, v53, v3
	v_cndmask_b32_e32 v37, v37, v38, vcc
	v_max_i16_e32 v38, v48, v1
	v_min_i16_e32 v1, v48, v1
	v_perm_b32 v48, v50, v2, s7
	v_cmp_gt_i16_e32 vcc, v50, v2
	v_cndmask_b32_e32 v39, v39, v48, vcc
	v_max_i16_e32 v48, v50, v2
	v_min_i16_e32 v2, v50, v2
	v_perm_b32 v50, v52, v3, s7
	v_cmp_gt_i16_e32 vcc, v52, v3
	;; [unrolled: 5-line block ×3, first 2 shown]
	v_cndmask_b32_e32 v51, v51, v52, vcc
	v_cndmask_b32_e32 v52, v55, v54, vcc
	;; [unrolled: 1-line block ×3, first 2 shown]
	v_bfi_b32 v55, s10, v6, v33
	v_cmp_gt_i16_e32 vcc, v6, v8
	v_perm_b32 v54, v8, v7, s7
	v_cndmask_b32_e32 v33, v33, v55, vcc
	v_cndmask_b32_e32 v7, v7, v54, vcc
	v_max_i16_e32 v54, v6, v8
	v_min_i16_e32 v6, v6, v8
	v_perm_b32 v8, v9, v33, s7
	v_bfi_b32 v55, s10, v34, v35
	v_cmp_gt_i16_e32 vcc, v34, v9
	v_cndmask_b32_e32 v8, v33, v8, vcc
	v_cndmask_b32_e32 v33, v35, v55, vcc
	v_max_i16_e32 v35, v34, v9
	v_min_i16_e32 v9, v34, v9
	v_perm_b32 v34, v0, v33, s7
	v_bfi_b32 v55, s10, v64, v36
	v_cmp_gt_i16_e32 vcc, v64, v0
	v_cndmask_b32_e32 v33, v33, v34, vcc
	v_cndmask_b32_e32 v34, v36, v55, vcc
	v_max_i16_e32 v36, v64, v0
	v_min_i16_e32 v0, v64, v0
	v_perm_b32 v55, v1, v34, s7
	v_bfi_b32 v64, s10, v65, v37
	v_cmp_gt_i16_e32 vcc, v65, v1
	v_cndmask_b32_e32 v34, v34, v55, vcc
	v_cndmask_b32_e32 v37, v37, v64, vcc
	v_max_i16_e32 v55, v65, v1
	v_min_i16_e32 v1, v65, v1
	v_bfi_b32 v65, s10, v38, v39
	v_cmp_gt_i16_e32 vcc, v38, v2
	v_perm_b32 v64, v2, v37, s7
	v_cndmask_b32_e32 v39, v39, v65, vcc
	v_cndmask_b32_e32 v37, v37, v64, vcc
	v_max_i16_e32 v64, v38, v2
	v_min_i16_e32 v2, v38, v2
	v_perm_b32 v38, v3, v39, s7
	v_bfi_b32 v65, s10, v48, v49
	v_cmp_gt_i16_e32 vcc, v48, v3
	v_cndmask_b32_e32 v38, v39, v38, vcc
	v_cndmask_b32_e32 v39, v49, v65, vcc
	v_max_i16_e32 v49, v48, v3
	v_min_i16_e32 v3, v48, v3
	v_perm_b32 v48, v53, v39, s7
	v_bfi_b32 v65, s10, v50, v51
	v_cmp_gt_i16_e32 vcc, v50, v53
	v_cndmask_b32_e32 v39, v39, v48, vcc
	v_cndmask_b32_e32 v48, v51, v65, vcc
	v_max_i16_e32 v51, v50, v53
	v_min_i16_e32 v50, v50, v53
	v_perm_b32 v53, v32, v6, s7
	v_cmp_gt_i16_e32 vcc, v32, v6
	v_cndmask_b32_e32 v7, v7, v53, vcc
	v_min_i16_e32 v53, v32, v6
	v_max_i16_e32 v6, v32, v6
	v_perm_b32 v32, v54, v9, s7
	v_cmp_gt_i16_e32 vcc, v54, v9
	v_cndmask_b32_e32 v8, v8, v32, vcc
	v_max_i16_e32 v32, v54, v9
	v_min_i16_e32 v9, v54, v9
	v_perm_b32 v54, v35, v0, s7
	v_cmp_gt_i16_e32 vcc, v35, v0
	v_cndmask_b32_e32 v33, v33, v54, vcc
	v_max_i16_e32 v54, v35, v0
	v_min_i16_e32 v0, v35, v0
	;; [unrolled: 5-line block ×7, first 2 shown]
	v_perm_b32 v52, v9, v7, s7
	v_bfi_b32 v65, s10, v6, v8
	v_cmp_gt_i16_e32 vcc, v6, v9
	v_cndmask_b32_e32 v8, v8, v65, vcc
	v_cndmask_b32_e32 v7, v7, v52, vcc
	v_bfi_b32 v66, s10, v32, v33
	v_cmp_gt_i16_e32 vcc, v32, v0
	v_perm_b32 v65, v0, v8, s7
	v_cndmask_b32_e32 v33, v33, v66, vcc
	v_cndmask_b32_e32 v8, v8, v65, vcc
	v_max_i16_e32 v65, v32, v0
	v_min_i16_e32 v0, v32, v0
	v_perm_b32 v32, v1, v33, s7
	v_bfi_b32 v66, s10, v54, v34
	v_cmp_gt_i16_e32 vcc, v54, v1
	v_cndmask_b32_e32 v32, v33, v32, vcc
	v_cndmask_b32_e32 v33, v34, v66, vcc
	v_bfi_b32 v66, s10, v35, v36
	v_cmp_gt_i16_e32 vcc, v35, v2
	v_max_i16_e32 v34, v54, v1
	v_min_i16_e32 v1, v54, v1
	v_perm_b32 v54, v2, v33, s7
	v_cndmask_b32_e32 v36, v36, v66, vcc
	v_cndmask_b32_e32 v33, v33, v54, vcc
	v_max_i16_e32 v54, v35, v2
	v_min_i16_e32 v2, v35, v2
	v_perm_b32 v35, v3, v36, s7
	v_bfi_b32 v66, s10, v37, v38
	v_cmp_gt_i16_e32 vcc, v37, v3
	v_cndmask_b32_e32 v35, v36, v35, vcc
	v_cndmask_b32_e32 v36, v38, v66, vcc
	v_max_i16_e32 v38, v37, v3
	v_min_i16_e32 v3, v37, v3
	v_perm_b32 v37, v49, v36, s7
	v_bfi_b32 v66, s10, v55, v39
	v_cmp_gt_i16_e32 vcc, v55, v49
	v_cndmask_b32_e32 v36, v36, v37, vcc
	v_cndmask_b32_e32 v37, v39, v66, vcc
	v_max_i16_e32 v52, v6, v9
	v_min_i16_e32 v6, v6, v9
	v_max_i16_e32 v39, v55, v49
	v_min_i16_e32 v49, v55, v49
	v_perm_b32 v55, v51, v37, s7
	v_bfi_b32 v66, s10, v64, v48
	v_cmp_gt_i16_e32 vcc, v64, v51
	v_cndmask_b32_e32 v37, v37, v55, vcc
	v_cndmask_b32_e32 v48, v48, v66, vcc
	v_perm_b32 v66, v53, v6, s7
	v_cmp_lt_i16_e32 vcc, v9, v53
	v_cndmask_b32_e32 v7, v7, v66, vcc
	v_cndmask_b32_e32 v9, v53, v6, vcc
	;; [unrolled: 1-line block ×3, first 2 shown]
	v_perm_b32 v53, v52, v0, s7
	v_cmp_gt_i16_e32 vcc, v52, v0
	v_cndmask_b32_e32 v8, v8, v53, vcc
	v_max_i16_e32 v53, v52, v0
	v_min_i16_e32 v0, v52, v0
	v_perm_b32 v52, v65, v1, s7
	v_cmp_gt_i16_e32 vcc, v65, v1
	v_cndmask_b32_e32 v32, v32, v52, vcc
	v_max_i16_e32 v52, v65, v1
	v_min_i16_e32 v1, v65, v1
	;; [unrolled: 5-line block ×3, first 2 shown]
	v_perm_b32 v34, v54, v3, s7
	v_cmp_gt_i16_e32 vcc, v54, v3
	v_max_i16_e32 v55, v64, v51
	v_min_i16_e32 v51, v64, v51
	v_cndmask_b32_e32 v34, v35, v34, vcc
	v_max_i16_e32 v35, v54, v3
	v_min_i16_e32 v3, v54, v3
	v_perm_b32 v54, v38, v49, s7
	v_cmp_gt_i16_e32 vcc, v38, v49
	v_cndmask_b32_e32 v36, v36, v54, vcc
	v_max_i16_e32 v54, v38, v49
	v_min_i16_e32 v38, v38, v49
	v_perm_b32 v49, v39, v51, s7
	v_cmp_gt_i16_e32 vcc, v39, v51
	;; [unrolled: 5-line block ×3, first 2 shown]
	v_cndmask_b32_e32 v48, v48, v51, vcc
	v_cndmask_b32_e32 v51, v50, v55, vcc
	;; [unrolled: 1-line block ×3, first 2 shown]
	v_bfi_b32 v64, s10, v6, v8
	v_cmp_gt_i16_e32 vcc, v6, v0
	v_perm_b32 v55, v0, v7, s7
	v_cndmask_b32_e32 v8, v8, v64, vcc
	v_cndmask_b32_e32 v7, v7, v55, vcc
	v_max_i16_e32 v55, v6, v0
	v_min_i16_e32 v0, v6, v0
	v_perm_b32 v6, v1, v8, s7
	v_bfi_b32 v64, s10, v53, v32
	v_cmp_gt_i16_e32 vcc, v53, v1
	v_cndmask_b32_e32 v6, v8, v6, vcc
	v_cndmask_b32_e32 v8, v32, v64, vcc
	v_max_i16_e32 v32, v53, v1
	v_min_i16_e32 v1, v53, v1
	v_perm_b32 v53, v2, v8, s7
	v_bfi_b32 v64, s10, v52, v33
	v_cmp_gt_i16_e32 vcc, v52, v2
	v_cndmask_b32_e32 v8, v8, v53, vcc
	v_cndmask_b32_e32 v33, v33, v64, vcc
	v_bfi_b32 v64, s10, v65, v34
	v_cmp_gt_i16_e32 vcc, v65, v3
	v_max_i16_e32 v53, v52, v2
	v_min_i16_e32 v2, v52, v2
	v_perm_b32 v52, v3, v33, s7
	v_cndmask_b32_e32 v34, v34, v64, vcc
	v_cndmask_b32_e32 v33, v33, v52, vcc
	v_max_i16_e32 v52, v65, v3
	v_min_i16_e32 v3, v65, v3
	v_perm_b32 v64, v38, v34, s7
	v_bfi_b32 v65, s10, v35, v36
	v_cmp_gt_i16_e32 vcc, v35, v38
	v_cndmask_b32_e32 v34, v34, v64, vcc
	v_cndmask_b32_e32 v36, v36, v65, vcc
	v_bfi_b32 v65, s10, v54, v37
	v_cmp_gt_i16_e32 vcc, v54, v39
	v_max_i16_e32 v64, v35, v38
	v_min_i16_e32 v35, v35, v38
	v_perm_b32 v38, v39, v36, s7
	v_cndmask_b32_e32 v37, v37, v65, vcc
	v_cndmask_b32_e32 v36, v36, v38, vcc
	v_max_i16_e32 v38, v54, v39
	v_min_i16_e32 v39, v54, v39
	v_perm_b32 v54, v50, v37, s7
	v_bfi_b32 v65, s10, v49, v48
	v_cmp_gt_i16_e32 vcc, v49, v50
	v_cndmask_b32_e32 v37, v37, v54, vcc
	v_cndmask_b32_e32 v48, v48, v65, vcc
	v_max_i16_e32 v54, v49, v50
	v_min_i16_e32 v49, v49, v50
	v_perm_b32 v50, v9, v0, s7
	v_cmp_gt_i16_e32 vcc, v9, v0
	v_cndmask_b32_e32 v7, v7, v50, vcc
	v_min_i16_e32 v50, v9, v0
	v_max_i16_e32 v0, v9, v0
	v_perm_b32 v9, v55, v1, s7
	v_cmp_gt_i16_e32 vcc, v55, v1
	v_cndmask_b32_e32 v6, v6, v9, vcc
	v_max_i16_e32 v9, v55, v1
	v_min_i16_e32 v1, v55, v1
	v_perm_b32 v55, v32, v2, s7
	v_cmp_gt_i16_e32 vcc, v32, v2
	v_cndmask_b32_e32 v8, v8, v55, vcc
	v_max_i16_e32 v55, v32, v2
	v_min_i16_e32 v2, v32, v2
	;; [unrolled: 5-line block ×7, first 2 shown]
	v_perm_b32 v54, v1, v7, s7
	v_bfi_b32 v65, s10, v0, v6
	v_cmp_gt_i16_e32 vcc, v0, v1
	v_cndmask_b32_e32 v6, v6, v65, vcc
	v_cndmask_b32_e32 v7, v7, v54, vcc
	v_bfi_b32 v66, s10, v9, v8
	v_cmp_gt_i16_e32 vcc, v9, v2
	v_perm_b32 v65, v2, v6, s7
	v_cndmask_b32_e32 v8, v8, v66, vcc
	v_cndmask_b32_e32 v6, v6, v65, vcc
	v_max_i16_e32 v65, v9, v2
	v_min_i16_e32 v2, v9, v2
	v_perm_b32 v9, v3, v8, s7
	v_bfi_b32 v66, s10, v55, v32
	v_cmp_gt_i16_e32 vcc, v55, v3
	v_cndmask_b32_e32 v8, v8, v9, vcc
	v_cndmask_b32_e32 v9, v32, v66, vcc
	v_bfi_b32 v66, s10, v33, v34
	v_cmp_gt_i16_e32 vcc, v33, v35
	v_max_i16_e32 v32, v55, v3
	v_min_i16_e32 v3, v55, v3
	v_perm_b32 v55, v35, v9, s7
	v_cndmask_b32_e32 v34, v34, v66, vcc
	v_cndmask_b32_e32 v9, v9, v55, vcc
	v_max_i16_e32 v55, v33, v35
	v_min_i16_e32 v33, v33, v35
	v_perm_b32 v35, v39, v34, s7
	v_bfi_b32 v66, s10, v53, v36
	v_cmp_gt_i16_e32 vcc, v53, v39
	v_cndmask_b32_e32 v34, v34, v35, vcc
	v_cndmask_b32_e32 v35, v36, v66, vcc
	v_bfi_b32 v66, s10, v52, v37
	v_cmp_gt_i16_e32 vcc, v52, v38
	v_max_i16_e32 v36, v53, v39
	v_min_i16_e32 v39, v53, v39
	v_perm_b32 v53, v38, v35, s7
	v_cndmask_b32_e32 v37, v37, v66, vcc
	v_max_i16_e32 v54, v0, v1
	v_min_i16_e32 v0, v0, v1
	v_cndmask_b32_e32 v35, v35, v53, vcc
	v_max_i16_e32 v53, v52, v38
	v_min_i16_e32 v38, v52, v38
	v_perm_b32 v52, v51, v37, s7
	v_bfi_b32 v66, s10, v64, v48
	v_cmp_gt_i16_e32 vcc, v64, v51
	v_cndmask_b32_e32 v37, v37, v52, vcc
	v_cndmask_b32_e32 v48, v48, v66, vcc
	v_perm_b32 v66, v50, v0, s7
	v_cmp_lt_i16_e32 vcc, v1, v50
	v_cndmask_b32_e32 v1, v7, v66, vcc
	v_cndmask_b32_e32 v7, v50, v0, vcc
	;; [unrolled: 1-line block ×3, first 2 shown]
	v_perm_b32 v50, v54, v2, s7
	v_cmp_gt_i16_e32 vcc, v54, v2
	v_cndmask_b32_e32 v6, v6, v50, vcc
	v_max_i16_e32 v50, v54, v2
	v_min_i16_e32 v2, v54, v2
	v_perm_b32 v54, v65, v3, s7
	v_cmp_gt_i16_e32 vcc, v65, v3
	v_cndmask_b32_e32 v8, v8, v54, vcc
	v_max_i16_e32 v54, v65, v3
	v_min_i16_e32 v3, v65, v3
	;; [unrolled: 5-line block ×3, first 2 shown]
	v_perm_b32 v33, v55, v39, s7
	v_cmp_gt_i16_e32 vcc, v55, v39
	v_max_i16_e32 v52, v64, v51
	v_min_i16_e32 v51, v64, v51
	v_cndmask_b32_e32 v33, v34, v33, vcc
	v_max_i16_e32 v34, v55, v39
	v_min_i16_e32 v39, v55, v39
	v_perm_b32 v55, v36, v38, s7
	v_cmp_gt_i16_e32 vcc, v36, v38
	v_cndmask_b32_e32 v35, v35, v55, vcc
	v_max_i16_e32 v55, v36, v38
	v_min_i16_e32 v36, v36, v38
	v_perm_b32 v38, v53, v51, s7
	v_cmp_gt_i16_e32 vcc, v53, v51
	;; [unrolled: 5-line block ×3, first 2 shown]
	v_cndmask_b32_e32 v48, v48, v53, vcc
	v_cndmask_b32_e32 v53, v49, v52, vcc
	;; [unrolled: 1-line block ×3, first 2 shown]
	v_bfi_b32 v64, s10, v0, v6
	v_cmp_gt_i16_e32 vcc, v0, v2
	v_perm_b32 v52, v2, v1, s7
	v_cndmask_b32_e32 v6, v6, v64, vcc
	v_cndmask_b32_e32 v1, v1, v52, vcc
	v_max_i16_e32 v52, v0, v2
	v_min_i16_e32 v0, v0, v2
	v_perm_b32 v2, v3, v6, s7
	v_bfi_b32 v64, s10, v50, v8
	v_cmp_gt_i16_e32 vcc, v50, v3
	v_cndmask_b32_e32 v2, v6, v2, vcc
	v_cndmask_b32_e32 v6, v8, v64, vcc
	v_bfi_b32 v64, s10, v54, v9
	v_cmp_gt_i16_e32 vcc, v54, v32
	v_max_i16_e32 v8, v50, v3
	v_min_i16_e32 v3, v50, v3
	v_perm_b32 v50, v32, v6, s7
	v_cndmask_b32_e32 v9, v9, v64, vcc
	v_cndmask_b32_e32 v6, v6, v50, vcc
	v_max_i16_e32 v50, v54, v32
	v_min_i16_e32 v32, v54, v32
	v_perm_b32 v54, v39, v9, s7
	v_bfi_b32 v64, s10, v65, v33
	v_cmp_gt_i16_e32 vcc, v65, v39
	v_cndmask_b32_e32 v9, v9, v54, vcc
	v_cndmask_b32_e32 v33, v33, v64, vcc
	v_max_i16_e32 v54, v65, v39
	v_min_i16_e32 v39, v65, v39
	v_bfi_b32 v65, s10, v34, v35
	v_cmp_gt_i16_e32 vcc, v34, v36
	v_perm_b32 v64, v36, v33, s7
	v_cndmask_b32_e32 v35, v35, v65, vcc
	v_cndmask_b32_e32 v33, v33, v64, vcc
	v_max_i16_e32 v64, v34, v36
	v_min_i16_e32 v34, v34, v36
	v_perm_b32 v36, v51, v35, s7
	v_bfi_b32 v65, s10, v55, v37
	v_cmp_gt_i16_e32 vcc, v55, v51
	v_cndmask_b32_e32 v35, v35, v36, vcc
	v_cndmask_b32_e32 v36, v37, v65, vcc
	v_max_i16_e32 v37, v55, v51
	v_min_i16_e32 v51, v55, v51
	v_perm_b32 v55, v49, v36, s7
	v_bfi_b32 v65, s10, v38, v48
	v_cmp_gt_i16_e32 vcc, v38, v49
	v_cndmask_b32_e32 v36, v36, v55, vcc
	v_cndmask_b32_e32 v48, v48, v65, vcc
	v_max_i16_e32 v55, v38, v49
	v_min_i16_e32 v38, v38, v49
	v_perm_b32 v49, v7, v0, s7
	v_cmp_gt_i16_e32 vcc, v7, v0
	v_cndmask_b32_e32 v1, v1, v49, vcc
	v_max_i16_e32 v0, v7, v0
	v_perm_b32 v7, v52, v3, s7
	v_cmp_gt_i16_e32 vcc, v52, v3
	v_cndmask_b32_e32 v2, v2, v7, vcc
	v_perm_b32 v49, v8, v32, s7
	v_cmp_gt_i16_e32 vcc, v8, v32
	v_cndmask_b32_e32 v6, v6, v49, vcc
	v_max_i16_e32 v49, v8, v32
	v_min_i16_e32 v8, v8, v32
	v_perm_b32 v32, v50, v39, s7
	v_cmp_gt_i16_e32 vcc, v50, v39
	v_cndmask_b32_e32 v9, v9, v32, vcc
	v_max_i16_e32 v32, v50, v39
	v_min_i16_e32 v39, v50, v39
	v_perm_b32 v50, v54, v34, s7
	v_cmp_gt_i16_e32 vcc, v54, v34
	v_max_i16_e32 v7, v52, v3
	v_min_i16_e32 v3, v52, v3
	v_cndmask_b32_e32 v33, v33, v50, vcc
	v_perm_b32 v52, v64, v51, s7
	v_cmp_gt_i16_e32 vcc, v64, v51
	v_max_i16_e32 v50, v54, v34
	v_min_i16_e32 v34, v54, v34
	v_cndmask_b32_e32 v35, v35, v52, vcc
	v_perm_b32 v54, v37, v38, s7
	v_cmp_gt_i16_e32 vcc, v37, v38
	v_cndmask_b32_e32 v36, v36, v54, vcc
	v_max_i16_e32 v54, v37, v38
	v_min_i16_e32 v37, v37, v38
	v_perm_b32 v38, v55, v53, s7
	v_cmp_gt_i16_e32 vcc, v55, v53
	v_cndmask_b32_e32 v38, v48, v38, vcc
	v_min_i16_e32 v48, v55, v53
	v_bfi_b32 v55, s10, v0, v2
	v_cmp_gt_i16_e32 vcc, v0, v3
	v_perm_b32 v53, v3, v1, s7
	v_cndmask_b32_e32 v0, v2, v55, vcc
	v_cndmask_b32_e32 v1, v1, v53, vcc
	v_perm_b32 v2, v8, v0, s7
	v_bfi_b32 v3, s10, v7, v6
	v_cmp_gt_i16_e32 vcc, v7, v8
	v_cndmask_b32_e32 v0, v0, v2, vcc
	v_cndmask_b32_e32 v2, v6, v3, vcc
	v_perm_b32 v3, v39, v2, s7
	v_bfi_b32 v6, s10, v49, v9
	v_cmp_gt_i16_e32 vcc, v49, v39
	;; [unrolled: 5-line block ×3, first 2 shown]
	v_max_i16_e32 v52, v64, v51
	v_min_i16_e32 v51, v64, v51
	v_cndmask_b32_e32 v3, v3, v6, vcc
	v_cndmask_b32_e32 v6, v33, v7, vcc
	v_perm_b32 v7, v51, v6, s7
	v_bfi_b32 v8, s10, v50, v35
	v_cmp_gt_i16_e32 vcc, v50, v51
	v_cndmask_b32_e32 v6, v6, v7, vcc
	v_cndmask_b32_e32 v7, v35, v8, vcc
	v_perm_b32 v8, v37, v7, s7
	v_bfi_b32 v9, s10, v52, v36
	v_cmp_gt_i16_e32 vcc, v52, v37
	;; [unrolled: 5-line block ×3, first 2 shown]
	v_cndmask_b32_e32 v8, v8, v9, vcc
	v_cndmask_b32_e32 v9, v38, v32, vcc
	v_alignbit_b32 v32, v1, v1, 16
	v_cmp_gt_i16_sdwa vcc, v1, v1 src0_sel:DWORD src1_sel:WORD_1
	v_cndmask_b32_e32 v33, v1, v32, vcc
	v_alignbit_b32 v34, v0, v0, 16
	v_cmp_gt_i16_sdwa vcc, v0, v0 src0_sel:DWORD src1_sel:WORD_1
	;; [unrolled: 3-line block ×5, first 2 shown]
	v_cndmask_b32_e32 v48, v6, v48, vcc
	v_max_i16_sdwa v49, v6, v6 dst_sel:DWORD dst_unused:UNUSED_PAD src0_sel:DWORD src1_sel:WORD_1
	v_min_i16_sdwa v50, v6, v6 dst_sel:DWORD dst_unused:UNUSED_PAD src0_sel:DWORD src1_sel:WORD_1
	v_alignbit_b32 v6, v7, v7, 16
	v_cmp_gt_i16_sdwa vcc, v7, v7 src0_sel:DWORD src1_sel:WORD_1
	v_cndmask_b32_e32 v51, v7, v6, vcc
	v_alignbit_b32 v6, v8, v8, 16
	v_cmp_gt_i16_sdwa vcc, v8, v8 src0_sel:DWORD src1_sel:WORD_1
	v_min_i16_sdwa v32, v1, v1 dst_sel:DWORD dst_unused:UNUSED_PAD src0_sel:DWORD src1_sel:WORD_1
	v_max_i16_sdwa v1, v1, v1 dst_sel:DWORD dst_unused:UNUSED_PAD src0_sel:DWORD src1_sel:WORD_1
	v_max_i16_sdwa v35, v0, v0 dst_sel:DWORD dst_unused:UNUSED_PAD src0_sel:DWORD src1_sel:WORD_1
	v_min_i16_sdwa v0, v0, v0 dst_sel:DWORD dst_unused:UNUSED_PAD src0_sel:DWORD src1_sel:WORD_1
	v_cndmask_b32_e32 v54, v8, v6, vcc
	v_alignbit_b32 v6, v9, v9, 16
	v_cmp_gt_i16_sdwa vcc, v9, v9 src0_sel:DWORD src1_sel:WORD_1
	v_max_i16_sdwa v52, v7, v7 dst_sel:DWORD dst_unused:UNUSED_PAD src0_sel:DWORD src1_sel:WORD_1
	v_min_i16_sdwa v53, v7, v7 dst_sel:DWORD dst_unused:UNUSED_PAD src0_sel:DWORD src1_sel:WORD_1
	v_cndmask_b32_e32 v65, v9, v6, vcc
	v_bfi_b32 v7, s10, v1, v34
	v_cmp_gt_i16_e32 vcc, v1, v0
	v_max_i16_sdwa v37, v2, v2 dst_sel:DWORD dst_unused:UNUSED_PAD src0_sel:DWORD src1_sel:WORD_1
	v_min_i16_sdwa v2, v2, v2 dst_sel:DWORD dst_unused:UNUSED_PAD src0_sel:DWORD src1_sel:WORD_1
	v_perm_b32 v6, v0, v33, s7
	v_cndmask_b32_e32 v0, v34, v7, vcc
	v_max_i16_sdwa v55, v8, v8 dst_sel:DWORD dst_unused:UNUSED_PAD src0_sel:DWORD src1_sel:WORD_1
	v_min_i16_sdwa v64, v8, v8 dst_sel:DWORD dst_unused:UNUSED_PAD src0_sel:DWORD src1_sel:WORD_1
	v_cndmask_b32_e32 v6, v33, v6, vcc
	v_perm_b32 v1, v2, v0, s7
	v_bfi_b32 v8, s10, v35, v36
	v_cmp_gt_i16_e32 vcc, v35, v2
	v_max_i16_sdwa v39, v3, v3 dst_sel:DWORD dst_unused:UNUSED_PAD src0_sel:DWORD src1_sel:WORD_1
	v_min_i16_sdwa v3, v3, v3 dst_sel:DWORD dst_unused:UNUSED_PAD src0_sel:DWORD src1_sel:WORD_1
	v_cndmask_b32_e32 v7, v0, v1, vcc
	v_cndmask_b32_e32 v0, v36, v8, vcc
	v_perm_b32 v1, v3, v0, s7
	v_bfi_b32 v2, s10, v37, v38
	v_cmp_gt_i16_e32 vcc, v37, v3
	v_cndmask_b32_e32 v8, v0, v1, vcc
	v_cndmask_b32_e32 v0, v38, v2, vcc
	v_perm_b32 v1, v50, v0, s7
	v_bfi_b32 v2, s10, v39, v48
	v_cmp_gt_i16_e32 vcc, v39, v50
	v_min_i16_sdwa v66, v9, v9 dst_sel:DWORD dst_unused:UNUSED_PAD src0_sel:DWORD src1_sel:WORD_1
	v_cndmask_b32_e32 v9, v0, v1, vcc
	v_cndmask_b32_e32 v0, v48, v2, vcc
	v_perm_b32 v1, v53, v0, s7
	v_bfi_b32 v2, s10, v49, v51
	v_cmp_gt_i16_e32 vcc, v49, v53
	v_cndmask_b32_e32 v0, v0, v1, vcc
	v_cndmask_b32_e32 v1, v51, v2, vcc
	v_perm_b32 v2, v64, v1, s7
	v_bfi_b32 v3, s10, v52, v54
	v_cmp_gt_i16_e32 vcc, v52, v64
	;; [unrolled: 5-line block ×3, first 2 shown]
	v_cndmask_b32_e32 v2, v2, v3, vcc
	v_cndmask_b32_e32 v3, v65, v33, vcc
.LBB2929_7:
	s_or_b64 exec, exec, s[4:5]
	v_mbcnt_lo_u32_b32 v33, -1, 0
	v_mbcnt_hi_u32_b32 v37, -1, v33
	v_and_b32_e32 v31, 0xfffffc00, v31
	v_sub_u32_e64 v36, s6, v31 clamp
	v_lshlrev_b32_e32 v31, 1, v31
	v_lshlrev_b32_e32 v33, 5, v37
	s_mov_b32 s4, 0xffff
	v_add_u32_e32 v38, v31, v33
	v_bfi_b32 v32, s4, v32, v6
	v_mov_b32_e32 v33, v7
	v_mov_b32_e32 v34, v8
	;; [unrolled: 1-line block ×3, first 2 shown]
	v_lshlrev_b32_e32 v39, 4, v37
	ds_write_b128 v38, v[32:35]
	ds_write_b128 v38, v[0:3] offset:16
	v_or_b32_e32 v32, 16, v39
	v_min_u32_e32 v51, v36, v32
	v_add_u32_e32 v32, 16, v51
	v_and_b32_e32 v55, 0x7e0, v39
	v_min_u32_e32 v52, v36, v32
	v_and_b32_e32 v32, 16, v39
	v_min_u32_e32 v64, v36, v32
	v_sub_u32_e32 v32, v51, v55
	v_sub_u32_e32 v33, v52, v51
	v_sub_u32_e64 v54, v64, v33 clamp
	v_min_u32_e32 v32, v64, v32
	v_lshl_add_u32 v53, v55, 1, v31
	v_cmp_lt_u32_e32 vcc, v54, v32
	; wave barrier
	s_and_saveexec_b64 s[4:5], vcc
	s_cbranch_execz .LBB2929_11
; %bb.8:
	v_lshlrev_b32_e32 v33, 1, v51
	v_lshlrev_b32_e32 v34, 1, v64
	v_add3_u32 v33, v31, v33, v34
	s_mov_b64 s[6:7], 0
.LBB2929_9:                             ; =>This Inner Loop Header: Depth=1
	v_add_u32_e32 v34, v32, v54
	v_lshrrev_b32_e32 v35, 1, v34
	v_and_b32_e32 v34, -2, v34
	v_not_b32_e32 v37, v35
	v_add_u32_e32 v34, v53, v34
	v_lshl_add_u32 v37, v37, 1, v33
	ds_read_u16 v34, v34
	ds_read_u16 v37, v37
	v_add_u32_e32 v48, 1, v35
	s_waitcnt lgkmcnt(0)
	v_cmp_gt_i16_e32 vcc, v34, v37
	v_cndmask_b32_e32 v32, v32, v35, vcc
	v_cndmask_b32_e32 v54, v48, v54, vcc
	v_cmp_ge_u32_e32 vcc, v54, v32
	s_or_b64 s[6:7], vcc, s[6:7]
	s_andn2_b64 exec, exec, s[6:7]
	s_cbranch_execnz .LBB2929_9
; %bb.10:
	s_or_b64 exec, exec, s[6:7]
.LBB2929_11:
	s_or_b64 exec, exec, s[4:5]
	v_add_u32_e32 v64, v51, v64
	v_add_u32_e32 v55, v54, v55
	v_sub_u32_e32 v64, v64, v54
	v_cmp_le_u32_e32 vcc, v55, v51
	v_cmp_le_u32_e64 s[4:5], v64, v52
	v_lshrrev_b32_e32 v32, 16, v6
	v_lshrrev_b32_e32 v33, 16, v7
	;; [unrolled: 1-line block ×8, first 2 shown]
	s_or_b64 s[4:5], vcc, s[4:5]
	s_and_saveexec_b64 s[38:39], s[4:5]
	s_cbranch_execz .LBB2929_17
; %bb.12:
	v_cmp_lt_u32_e32 vcc, v55, v51
                                        ; implicit-def: $vgpr0
	s_and_saveexec_b64 s[4:5], vcc
	s_cbranch_execz .LBB2929_14
; %bb.13:
	v_lshl_add_u32 v0, v54, 1, v53
	ds_read_u16 v0, v0
.LBB2929_14:
	s_or_b64 exec, exec, s[4:5]
	v_cmp_ge_u32_e64 s[4:5], v64, v52
	v_cmp_lt_u32_e64 s[6:7], v64, v52
                                        ; implicit-def: $vgpr1
	s_and_saveexec_b64 s[10:11], s[6:7]
	s_cbranch_execz .LBB2929_16
; %bb.15:
	v_lshl_add_u32 v1, v64, 1, v31
	ds_read_u16 v1, v1
.LBB2929_16:
	s_or_b64 exec, exec, s[10:11]
	s_waitcnt lgkmcnt(0)
	v_cmp_le_i16_e64 s[6:7], v0, v1
	s_and_b64 s[6:7], vcc, s[6:7]
	s_or_b64 vcc, s[4:5], s[6:7]
	v_cndmask_b32_e32 v2, v64, v55, vcc
	v_cndmask_b32_e32 v3, v52, v51, vcc
	v_add_u32_e32 v2, 1, v2
	v_add_u32_e32 v3, -1, v3
	v_min_u32_e32 v3, v2, v3
	v_lshl_add_u32 v3, v3, 1, v31
	ds_read_u16 v3, v3
	v_cndmask_b32_e32 v6, v2, v64, vcc
	v_cndmask_b32_e32 v2, v55, v2, vcc
	v_cmp_lt_u32_e64 s[6:7], v2, v51
	v_cmp_ge_u32_e64 s[4:5], v6, v52
	s_waitcnt lgkmcnt(0)
	v_cndmask_b32_e32 v7, v3, v1, vcc
	v_cndmask_b32_e32 v3, v0, v3, vcc
	v_cmp_le_i16_e64 s[10:11], v3, v7
	s_and_b64 s[6:7], s[6:7], s[10:11]
	s_or_b64 s[4:5], s[4:5], s[6:7]
	v_cndmask_b32_e64 v8, v6, v2, s[4:5]
	v_cndmask_b32_e64 v9, v52, v51, s[4:5]
	v_add_u32_e32 v8, 1, v8
	v_add_u32_e32 v9, -1, v9
	v_min_u32_e32 v9, v8, v9
	v_lshl_add_u32 v9, v9, 1, v31
	ds_read_u16 v9, v9
	v_cndmask_b32_e64 v2, v2, v8, s[4:5]
	v_cndmask_b32_e64 v6, v8, v6, s[4:5]
	v_cmp_lt_u32_e64 s[10:11], v2, v51
	v_cmp_ge_u32_e64 s[6:7], v6, v52
	s_waitcnt lgkmcnt(0)
	v_cndmask_b32_e64 v33, v9, v7, s[4:5]
	v_cndmask_b32_e64 v9, v3, v9, s[4:5]
	v_cmp_le_i16_e64 s[14:15], v9, v33
	s_and_b64 s[10:11], s[10:11], s[14:15]
	s_or_b64 s[10:11], s[6:7], s[10:11]
	v_cndmask_b32_e64 v8, v6, v2, s[10:11]
	v_cndmask_b32_e64 v32, v52, v51, s[10:11]
	v_add_u32_e32 v8, 1, v8
	v_add_u32_e32 v32, -1, v32
	v_min_u32_e32 v32, v8, v32
	v_lshl_add_u32 v32, v32, 1, v31
	ds_read_u16 v32, v32
	v_cndmask_b32_e64 v2, v2, v8, s[10:11]
	v_cndmask_b32_e64 v6, v8, v6, s[10:11]
	v_cmp_lt_u32_e64 s[14:15], v2, v51
	v_cmp_ge_u32_e64 s[6:7], v6, v52
	s_waitcnt lgkmcnt(0)
	v_cndmask_b32_e64 v34, v32, v33, s[10:11]
	v_cndmask_b32_e64 v35, v9, v32, s[10:11]
	;; [unrolled: 17-line block ×10, first 2 shown]
	v_cmp_le_i16_e64 s[34:35], v80, v71
	s_and_b64 s[30:31], s[30:31], s[34:35]
	s_or_b64 s[28:29], s[28:29], s[30:31]
	v_cndmask_b32_e64 v8, v6, v2, s[28:29]
	v_cndmask_b32_e64 v32, v52, v51, s[28:29]
	v_add_u32_e32 v8, 1, v8
	v_add_u32_e32 v32, -1, v32
	v_min_u32_e32 v32, v8, v32
	v_lshl_add_u32 v32, v32, 1, v31
	ds_read_u16 v81, v32
	v_cndmask_b32_e32 v82, v1, v0, vcc
	v_cndmask_b32_e64 v32, v7, v3, s[4:5]
	v_cndmask_b32_e64 v1, v2, v8, s[28:29]
	;; [unrolled: 1-line block ×3, first 2 shown]
	s_waitcnt lgkmcnt(0)
	v_cndmask_b32_e64 v3, v81, v71, s[28:29]
	v_cndmask_b32_e64 v81, v80, v81, s[28:29]
	;; [unrolled: 1-line block ×3, first 2 shown]
	v_cmp_lt_u32_e64 s[4:5], v1, v51
	v_cmp_le_i16_e64 s[10:11], v81, v3
	v_cmp_ge_u32_e32 vcc, v0, v52
	s_and_b64 s[4:5], s[4:5], s[10:11]
	s_or_b64 vcc, vcc, s[4:5]
	v_cndmask_b32_e32 v2, v0, v1, vcc
	v_cndmask_b32_e32 v6, v52, v51, vcc
	v_add_u32_e32 v2, 1, v2
	v_add_u32_e32 v6, -1, v6
	v_min_u32_e32 v6, v2, v6
	v_lshl_add_u32 v6, v6, 1, v31
	ds_read_u16 v6, v6
	v_cndmask_b32_e64 v33, v34, v35, s[6:7]
	v_cndmask_b32_e64 v8, v37, v48, s[22:23]
	;; [unrolled: 1-line block ×3, first 2 shown]
	v_cndmask_b32_e32 v48, v2, v0, vcc
	s_waitcnt lgkmcnt(0)
	v_cndmask_b32_e32 v49, v6, v3, vcc
	v_cndmask_b32_e32 v6, v81, v6, vcc
	;; [unrolled: 1-line block ×3, first 2 shown]
	v_cmp_lt_u32_e64 s[6:7], v2, v51
	v_cmp_le_i16_e64 s[10:11], v6, v49
	v_cmp_ge_u32_e64 s[4:5], v48, v52
	s_and_b64 s[6:7], s[6:7], s[10:11]
	s_or_b64 s[4:5], s[4:5], s[6:7]
	v_cndmask_b32_e64 v0, v48, v2, s[4:5]
	v_cndmask_b32_e64 v1, v52, v51, s[4:5]
	v_add_u32_e32 v50, 1, v0
	v_add_u32_e32 v0, -1, v1
	v_min_u32_e32 v0, v50, v0
	v_lshl_add_u32 v0, v0, 1, v31
	v_cndmask_b32_e64 v9, v53, v54, s[18:19]
	ds_read_u16 v53, v0
	v_cndmask_b32_e64 v35, v55, v64, s[16:17]
	v_cndmask_b32_e64 v55, v50, v48, s[4:5]
	;; [unrolled: 1-line block ×3, first 2 shown]
	v_cmp_lt_u32_e64 s[10:11], v50, v51
	s_waitcnt lgkmcnt(0)
	v_cndmask_b32_e64 v54, v53, v49, s[4:5]
	v_cndmask_b32_e64 v53, v6, v53, s[4:5]
	v_cmp_le_i16_e64 s[14:15], v53, v54
	v_cmp_ge_u32_e64 s[6:7], v55, v52
	s_and_b64 s[10:11], s[10:11], s[14:15]
	s_or_b64 s[6:7], s[6:7], s[10:11]
	v_cndmask_b32_e64 v2, v55, v50, s[6:7]
	v_cndmask_b32_e64 v48, v52, v51, s[6:7]
	v_add_u32_e32 v64, 1, v2
	v_add_u32_e32 v2, -1, v48
	v_min_u32_e32 v2, v64, v2
	v_lshl_add_u32 v2, v2, 1, v31
	v_cndmask_b32_e64 v0, v65, v66, s[20:21]
	ds_read_u16 v65, v2
	v_cndmask_b32_e32 v2, v3, v81, vcc
	v_cndmask_b32_e64 v49, v49, v6, s[4:5]
	v_cndmask_b32_e64 v3, v54, v53, s[6:7]
	;; [unrolled: 1-line block ×3, first 2 shown]
	s_waitcnt lgkmcnt(0)
	v_cndmask_b32_e64 v6, v53, v65, s[6:7]
	v_cndmask_b32_e64 v54, v65, v54, s[6:7]
	v_cndmask_b32_e64 v53, v64, v55, s[6:7]
	v_min_i16_e32 v55, v6, v54
	v_cmp_lt_u32_e32 vcc, v50, v51
	v_cndmask_b32_e32 v50, v54, v55, vcc
	v_cmp_lt_u32_e32 vcc, v53, v52
	s_mov_b32 s4, 0x5040100
	v_cndmask_b32_e64 v37, v67, v68, s[24:25]
	v_cndmask_b32_e64 v1, v69, v70, s[26:27]
	;; [unrolled: 1-line block ×3, first 2 shown]
	v_cndmask_b32_e32 v50, v6, v50, vcc
	v_perm_b32 v6, v32, v82, s4
.LBB2929_17:
	s_or_b64 exec, exec, s[38:39]
	s_mov_b32 s4, 0x5040100
	v_perm_b32 v55, v35, v9, s4
	v_perm_b32 v54, v34, v8, s4
	;; [unrolled: 1-line block ×4, first 2 shown]
	; wave barrier
	ds_write_b128 v38, v[52:55]
	v_perm_b32 v55, v50, v3, s4
	v_perm_b32 v54, v49, v2, s4
	;; [unrolled: 1-line block ×4, first 2 shown]
	ds_write_b128 v38, v[52:55] offset:16
	v_and_b32_e32 v55, 0x7c0, v39
	v_or_b32_e32 v51, 32, v55
	v_min_u32_e32 v51, v36, v51
	v_add_u32_e32 v52, 32, v51
	v_min_u32_e32 v52, v36, v52
	v_and_b32_e32 v53, 48, v39
	v_min_u32_e32 v64, v36, v53
	v_sub_u32_e32 v65, v51, v55
	v_sub_u32_e32 v54, v52, v51
	v_sub_u32_e64 v54, v64, v54 clamp
	v_min_u32_e32 v65, v64, v65
	v_lshl_add_u32 v53, v55, 1, v31
	v_cmp_lt_u32_e32 vcc, v54, v65
	; wave barrier
	s_and_saveexec_b64 s[4:5], vcc
	s_cbranch_execz .LBB2929_21
; %bb.18:
	v_lshlrev_b32_e32 v66, 1, v51
	v_lshlrev_b32_e32 v67, 1, v64
	v_add3_u32 v66, v31, v66, v67
	s_mov_b64 s[6:7], 0
.LBB2929_19:                            ; =>This Inner Loop Header: Depth=1
	v_add_u32_e32 v67, v65, v54
	v_lshrrev_b32_e32 v68, 1, v67
	v_and_b32_e32 v67, -2, v67
	v_not_b32_e32 v69, v68
	v_add_u32_e32 v67, v53, v67
	v_lshl_add_u32 v69, v69, 1, v66
	ds_read_u16 v67, v67
	ds_read_u16 v69, v69
	v_add_u32_e32 v70, 1, v68
	s_waitcnt lgkmcnt(0)
	v_cmp_gt_i16_e32 vcc, v67, v69
	v_cndmask_b32_e32 v65, v65, v68, vcc
	v_cndmask_b32_e32 v54, v70, v54, vcc
	v_cmp_ge_u32_e32 vcc, v54, v65
	s_or_b64 s[6:7], vcc, s[6:7]
	s_andn2_b64 exec, exec, s[6:7]
	s_cbranch_execnz .LBB2929_19
; %bb.20:
	s_or_b64 exec, exec, s[6:7]
.LBB2929_21:
	s_or_b64 exec, exec, s[4:5]
	v_add_u32_e32 v64, v51, v64
	v_add_u32_e32 v55, v54, v55
	v_sub_u32_e32 v64, v64, v54
	v_cmp_le_u32_e32 vcc, v55, v51
	v_cmp_le_u32_e64 s[4:5], v64, v52
	s_or_b64 s[4:5], vcc, s[4:5]
	s_and_saveexec_b64 s[38:39], s[4:5]
	s_cbranch_execz .LBB2929_27
; %bb.22:
	v_cmp_lt_u32_e32 vcc, v55, v51
                                        ; implicit-def: $vgpr0
	s_and_saveexec_b64 s[4:5], vcc
	s_cbranch_execz .LBB2929_24
; %bb.23:
	v_lshl_add_u32 v0, v54, 1, v53
	ds_read_u16 v0, v0
.LBB2929_24:
	s_or_b64 exec, exec, s[4:5]
	v_cmp_ge_u32_e64 s[4:5], v64, v52
	v_cmp_lt_u32_e64 s[6:7], v64, v52
                                        ; implicit-def: $vgpr1
	s_and_saveexec_b64 s[10:11], s[6:7]
	s_cbranch_execz .LBB2929_26
; %bb.25:
	v_lshl_add_u32 v1, v64, 1, v31
	ds_read_u16 v1, v1
.LBB2929_26:
	s_or_b64 exec, exec, s[10:11]
	s_waitcnt lgkmcnt(0)
	v_cmp_le_i16_e64 s[6:7], v0, v1
	s_and_b64 s[6:7], vcc, s[6:7]
	s_or_b64 vcc, s[4:5], s[6:7]
	v_cndmask_b32_e32 v2, v64, v55, vcc
	v_cndmask_b32_e32 v3, v52, v51, vcc
	v_add_u32_e32 v2, 1, v2
	v_add_u32_e32 v3, -1, v3
	v_min_u32_e32 v3, v2, v3
	v_lshl_add_u32 v3, v3, 1, v31
	ds_read_u16 v3, v3
	v_cndmask_b32_e32 v6, v2, v64, vcc
	v_cndmask_b32_e32 v2, v55, v2, vcc
	v_cmp_lt_u32_e64 s[6:7], v2, v51
	v_cmp_ge_u32_e64 s[4:5], v6, v52
	s_waitcnt lgkmcnt(0)
	v_cndmask_b32_e32 v7, v3, v1, vcc
	v_cndmask_b32_e32 v3, v0, v3, vcc
	v_cmp_le_i16_e64 s[10:11], v3, v7
	s_and_b64 s[6:7], s[6:7], s[10:11]
	s_or_b64 s[4:5], s[4:5], s[6:7]
	v_cndmask_b32_e64 v8, v6, v2, s[4:5]
	v_cndmask_b32_e64 v9, v52, v51, s[4:5]
	v_add_u32_e32 v8, 1, v8
	v_add_u32_e32 v9, -1, v9
	v_min_u32_e32 v9, v8, v9
	v_lshl_add_u32 v9, v9, 1, v31
	ds_read_u16 v9, v9
	v_cndmask_b32_e64 v2, v2, v8, s[4:5]
	v_cndmask_b32_e64 v6, v8, v6, s[4:5]
	v_cmp_lt_u32_e64 s[10:11], v2, v51
	v_cmp_ge_u32_e64 s[6:7], v6, v52
	s_waitcnt lgkmcnt(0)
	v_cndmask_b32_e64 v33, v9, v7, s[4:5]
	v_cndmask_b32_e64 v9, v3, v9, s[4:5]
	v_cmp_le_i16_e64 s[14:15], v9, v33
	s_and_b64 s[10:11], s[10:11], s[14:15]
	s_or_b64 s[10:11], s[6:7], s[10:11]
	v_cndmask_b32_e64 v8, v6, v2, s[10:11]
	v_cndmask_b32_e64 v32, v52, v51, s[10:11]
	v_add_u32_e32 v8, 1, v8
	v_add_u32_e32 v32, -1, v32
	v_min_u32_e32 v32, v8, v32
	v_lshl_add_u32 v32, v32, 1, v31
	ds_read_u16 v32, v32
	v_cndmask_b32_e64 v2, v2, v8, s[10:11]
	v_cndmask_b32_e64 v6, v8, v6, s[10:11]
	v_cmp_lt_u32_e64 s[14:15], v2, v51
	v_cmp_ge_u32_e64 s[6:7], v6, v52
	s_waitcnt lgkmcnt(0)
	v_cndmask_b32_e64 v34, v32, v33, s[10:11]
	v_cndmask_b32_e64 v35, v9, v32, s[10:11]
	;; [unrolled: 17-line block ×10, first 2 shown]
	v_cmp_le_i16_e64 s[34:35], v80, v71
	s_and_b64 s[30:31], s[30:31], s[34:35]
	s_or_b64 s[28:29], s[28:29], s[30:31]
	v_cndmask_b32_e64 v6, v81, v2, s[28:29]
	v_cndmask_b32_e64 v8, v52, v51, s[28:29]
	v_add_u32_e32 v82, 1, v6
	v_add_u32_e32 v6, -1, v8
	v_min_u32_e32 v6, v82, v6
	v_lshl_add_u32 v6, v6, 1, v31
	ds_read_u16 v8, v6
	v_cndmask_b32_e32 v6, v1, v0, vcc
	v_cndmask_b32_e64 v32, v7, v3, s[4:5]
	v_cndmask_b32_e64 v1, v2, v82, s[28:29]
	;; [unrolled: 1-line block ×3, first 2 shown]
	s_waitcnt lgkmcnt(0)
	v_cndmask_b32_e64 v3, v8, v71, s[28:29]
	v_cndmask_b32_e64 v83, v80, v8, s[28:29]
	;; [unrolled: 1-line block ×3, first 2 shown]
	v_cmp_lt_u32_e64 s[4:5], v1, v51
	v_cmp_le_i16_e64 s[10:11], v83, v3
	v_cmp_ge_u32_e32 vcc, v0, v52
	s_and_b64 s[4:5], s[4:5], s[10:11]
	s_or_b64 vcc, vcc, s[4:5]
	v_cndmask_b32_e32 v2, v0, v1, vcc
	v_cndmask_b32_e32 v8, v52, v51, vcc
	v_add_u32_e32 v2, 1, v2
	v_add_u32_e32 v8, -1, v8
	v_min_u32_e32 v8, v2, v8
	v_lshl_add_u32 v8, v8, 1, v31
	ds_read_u16 v81, v8
	v_cndmask_b32_e64 v33, v34, v35, s[6:7]
	v_cndmask_b32_e64 v8, v37, v48, s[22:23]
	;; [unrolled: 1-line block ×3, first 2 shown]
	v_cndmask_b32_e32 v48, v2, v0, vcc
	s_waitcnt lgkmcnt(0)
	v_cndmask_b32_e32 v49, v81, v3, vcc
	v_cndmask_b32_e32 v50, v83, v81, vcc
	;; [unrolled: 1-line block ×3, first 2 shown]
	v_cmp_lt_u32_e64 s[6:7], v2, v51
	v_cmp_le_i16_e64 s[10:11], v50, v49
	v_cmp_ge_u32_e64 s[4:5], v48, v52
	s_and_b64 s[6:7], s[6:7], s[10:11]
	s_or_b64 s[4:5], s[4:5], s[6:7]
	v_cndmask_b32_e64 v0, v48, v2, s[4:5]
	v_cndmask_b32_e64 v1, v52, v51, s[4:5]
	;; [unrolled: 1-line block ×3, first 2 shown]
	v_add_u32_e32 v53, 1, v0
	v_add_u32_e32 v0, -1, v1
	v_min_u32_e32 v0, v53, v0
	v_lshl_add_u32 v0, v0, 1, v31
	ds_read_u16 v54, v0
	v_cndmask_b32_e64 v35, v55, v64, s[16:17]
	v_cndmask_b32_e64 v64, v53, v48, s[4:5]
	;; [unrolled: 1-line block ×3, first 2 shown]
	v_cmp_lt_u32_e64 s[10:11], v53, v51
	s_waitcnt lgkmcnt(0)
	v_cndmask_b32_e64 v55, v54, v49, s[4:5]
	v_cndmask_b32_e64 v54, v50, v54, s[4:5]
	v_cmp_le_i16_e64 s[14:15], v54, v55
	v_cmp_ge_u32_e64 s[6:7], v64, v52
	s_and_b64 s[10:11], s[10:11], s[14:15]
	s_or_b64 s[6:7], s[6:7], s[10:11]
	v_cndmask_b32_e64 v2, v64, v53, s[6:7]
	v_cndmask_b32_e64 v48, v52, v51, s[6:7]
	;; [unrolled: 1-line block ×3, first 2 shown]
	v_add_u32_e32 v65, 1, v2
	v_add_u32_e32 v2, -1, v48
	v_min_u32_e32 v2, v65, v2
	v_lshl_add_u32 v2, v2, 1, v31
	ds_read_u16 v66, v2
	v_cndmask_b32_e32 v2, v3, v83, vcc
	v_cndmask_b32_e64 v49, v49, v50, s[4:5]
	v_cndmask_b32_e64 v3, v55, v54, s[6:7]
	;; [unrolled: 1-line block ×3, first 2 shown]
	s_waitcnt lgkmcnt(0)
	v_cndmask_b32_e64 v50, v54, v66, s[6:7]
	v_cndmask_b32_e64 v55, v66, v55, s[6:7]
	;; [unrolled: 1-line block ×3, first 2 shown]
	v_min_i16_e32 v64, v50, v55
	v_cmp_lt_u32_e32 vcc, v53, v51
	v_cndmask_b32_e32 v51, v55, v64, vcc
	v_cmp_lt_u32_e32 vcc, v54, v52
	v_cndmask_b32_e64 v37, v67, v68, s[24:25]
	v_cndmask_b32_e64 v1, v69, v70, s[26:27]
	;; [unrolled: 1-line block ×3, first 2 shown]
	v_cndmask_b32_e32 v50, v50, v51, vcc
.LBB2929_27:
	s_or_b64 exec, exec, s[38:39]
	s_mov_b32 s4, 0x5040100
	v_perm_b32 v55, v35, v9, s4
	v_perm_b32 v54, v34, v8, s4
	;; [unrolled: 1-line block ×4, first 2 shown]
	; wave barrier
	ds_write_b128 v38, v[52:55]
	v_perm_b32 v55, v50, v3, s4
	v_perm_b32 v54, v49, v2, s4
	;; [unrolled: 1-line block ×4, first 2 shown]
	ds_write_b128 v38, v[52:55] offset:16
	v_and_b32_e32 v55, 0x780, v39
	v_or_b32_e32 v51, 64, v55
	v_min_u32_e32 v51, v36, v51
	v_add_u32_e32 v52, 64, v51
	v_min_u32_e32 v52, v36, v52
	v_and_b32_e32 v53, 0x70, v39
	v_min_u32_e32 v64, v36, v53
	v_sub_u32_e32 v65, v51, v55
	v_sub_u32_e32 v54, v52, v51
	v_sub_u32_e64 v54, v64, v54 clamp
	v_min_u32_e32 v65, v64, v65
	v_lshl_add_u32 v53, v55, 1, v31
	v_cmp_lt_u32_e32 vcc, v54, v65
	; wave barrier
	s_and_saveexec_b64 s[4:5], vcc
	s_cbranch_execz .LBB2929_31
; %bb.28:
	v_lshlrev_b32_e32 v66, 1, v51
	v_lshlrev_b32_e32 v67, 1, v64
	v_add3_u32 v66, v31, v66, v67
	s_mov_b64 s[6:7], 0
.LBB2929_29:                            ; =>This Inner Loop Header: Depth=1
	v_add_u32_e32 v67, v65, v54
	v_lshrrev_b32_e32 v68, 1, v67
	v_and_b32_e32 v67, -2, v67
	v_not_b32_e32 v69, v68
	v_add_u32_e32 v67, v53, v67
	v_lshl_add_u32 v69, v69, 1, v66
	ds_read_u16 v67, v67
	ds_read_u16 v69, v69
	v_add_u32_e32 v70, 1, v68
	s_waitcnt lgkmcnt(0)
	v_cmp_gt_i16_e32 vcc, v67, v69
	v_cndmask_b32_e32 v65, v65, v68, vcc
	v_cndmask_b32_e32 v54, v70, v54, vcc
	v_cmp_ge_u32_e32 vcc, v54, v65
	s_or_b64 s[6:7], vcc, s[6:7]
	s_andn2_b64 exec, exec, s[6:7]
	s_cbranch_execnz .LBB2929_29
; %bb.30:
	s_or_b64 exec, exec, s[6:7]
.LBB2929_31:
	s_or_b64 exec, exec, s[4:5]
	v_add_u32_e32 v64, v51, v64
	v_add_u32_e32 v55, v54, v55
	v_sub_u32_e32 v64, v64, v54
	v_cmp_le_u32_e32 vcc, v55, v51
	v_cmp_le_u32_e64 s[4:5], v64, v52
	s_or_b64 s[4:5], vcc, s[4:5]
	s_and_saveexec_b64 s[38:39], s[4:5]
	s_cbranch_execz .LBB2929_37
; %bb.32:
	v_cmp_lt_u32_e32 vcc, v55, v51
                                        ; implicit-def: $vgpr0
	s_and_saveexec_b64 s[4:5], vcc
	s_cbranch_execz .LBB2929_34
; %bb.33:
	v_lshl_add_u32 v0, v54, 1, v53
	ds_read_u16 v0, v0
.LBB2929_34:
	s_or_b64 exec, exec, s[4:5]
	v_cmp_ge_u32_e64 s[4:5], v64, v52
	v_cmp_lt_u32_e64 s[6:7], v64, v52
                                        ; implicit-def: $vgpr1
	s_and_saveexec_b64 s[10:11], s[6:7]
	s_cbranch_execz .LBB2929_36
; %bb.35:
	v_lshl_add_u32 v1, v64, 1, v31
	ds_read_u16 v1, v1
.LBB2929_36:
	s_or_b64 exec, exec, s[10:11]
	s_waitcnt lgkmcnt(0)
	v_cmp_le_i16_e64 s[6:7], v0, v1
	s_and_b64 s[6:7], vcc, s[6:7]
	s_or_b64 vcc, s[4:5], s[6:7]
	v_cndmask_b32_e32 v2, v64, v55, vcc
	v_cndmask_b32_e32 v3, v52, v51, vcc
	v_add_u32_e32 v2, 1, v2
	v_add_u32_e32 v3, -1, v3
	v_min_u32_e32 v3, v2, v3
	v_lshl_add_u32 v3, v3, 1, v31
	ds_read_u16 v3, v3
	v_cndmask_b32_e32 v6, v2, v64, vcc
	v_cndmask_b32_e32 v2, v55, v2, vcc
	v_cmp_lt_u32_e64 s[6:7], v2, v51
	v_cmp_ge_u32_e64 s[4:5], v6, v52
	s_waitcnt lgkmcnt(0)
	v_cndmask_b32_e32 v7, v3, v1, vcc
	v_cndmask_b32_e32 v3, v0, v3, vcc
	v_cmp_le_i16_e64 s[10:11], v3, v7
	s_and_b64 s[6:7], s[6:7], s[10:11]
	s_or_b64 s[4:5], s[4:5], s[6:7]
	v_cndmask_b32_e64 v8, v6, v2, s[4:5]
	v_cndmask_b32_e64 v9, v52, v51, s[4:5]
	v_add_u32_e32 v8, 1, v8
	v_add_u32_e32 v9, -1, v9
	v_min_u32_e32 v9, v8, v9
	v_lshl_add_u32 v9, v9, 1, v31
	ds_read_u16 v9, v9
	v_cndmask_b32_e64 v2, v2, v8, s[4:5]
	v_cndmask_b32_e64 v6, v8, v6, s[4:5]
	v_cmp_lt_u32_e64 s[10:11], v2, v51
	v_cmp_ge_u32_e64 s[6:7], v6, v52
	s_waitcnt lgkmcnt(0)
	v_cndmask_b32_e64 v33, v9, v7, s[4:5]
	v_cndmask_b32_e64 v9, v3, v9, s[4:5]
	v_cmp_le_i16_e64 s[14:15], v9, v33
	s_and_b64 s[10:11], s[10:11], s[14:15]
	s_or_b64 s[10:11], s[6:7], s[10:11]
	v_cndmask_b32_e64 v8, v6, v2, s[10:11]
	v_cndmask_b32_e64 v32, v52, v51, s[10:11]
	v_add_u32_e32 v8, 1, v8
	v_add_u32_e32 v32, -1, v32
	v_min_u32_e32 v32, v8, v32
	v_lshl_add_u32 v32, v32, 1, v31
	ds_read_u16 v32, v32
	v_cndmask_b32_e64 v2, v2, v8, s[10:11]
	v_cndmask_b32_e64 v6, v8, v6, s[10:11]
	v_cmp_lt_u32_e64 s[14:15], v2, v51
	v_cmp_ge_u32_e64 s[6:7], v6, v52
	s_waitcnt lgkmcnt(0)
	v_cndmask_b32_e64 v34, v32, v33, s[10:11]
	v_cndmask_b32_e64 v35, v9, v32, s[10:11]
	;; [unrolled: 17-line block ×10, first 2 shown]
	v_cmp_le_i16_e64 s[34:35], v80, v71
	s_and_b64 s[30:31], s[30:31], s[34:35]
	s_or_b64 s[28:29], s[28:29], s[30:31]
	v_cndmask_b32_e64 v6, v81, v2, s[28:29]
	v_cndmask_b32_e64 v8, v52, v51, s[28:29]
	v_add_u32_e32 v82, 1, v6
	v_add_u32_e32 v6, -1, v8
	v_min_u32_e32 v6, v82, v6
	v_lshl_add_u32 v6, v6, 1, v31
	ds_read_u16 v8, v6
	v_cndmask_b32_e32 v6, v1, v0, vcc
	v_cndmask_b32_e64 v32, v7, v3, s[4:5]
	v_cndmask_b32_e64 v1, v2, v82, s[28:29]
	;; [unrolled: 1-line block ×3, first 2 shown]
	s_waitcnt lgkmcnt(0)
	v_cndmask_b32_e64 v3, v8, v71, s[28:29]
	v_cndmask_b32_e64 v83, v80, v8, s[28:29]
	;; [unrolled: 1-line block ×3, first 2 shown]
	v_cmp_lt_u32_e64 s[4:5], v1, v51
	v_cmp_le_i16_e64 s[10:11], v83, v3
	v_cmp_ge_u32_e32 vcc, v0, v52
	s_and_b64 s[4:5], s[4:5], s[10:11]
	s_or_b64 vcc, vcc, s[4:5]
	v_cndmask_b32_e32 v2, v0, v1, vcc
	v_cndmask_b32_e32 v8, v52, v51, vcc
	v_add_u32_e32 v2, 1, v2
	v_add_u32_e32 v8, -1, v8
	v_min_u32_e32 v8, v2, v8
	v_lshl_add_u32 v8, v8, 1, v31
	ds_read_u16 v81, v8
	v_cndmask_b32_e64 v33, v34, v35, s[6:7]
	v_cndmask_b32_e64 v8, v37, v48, s[22:23]
	;; [unrolled: 1-line block ×3, first 2 shown]
	v_cndmask_b32_e32 v48, v2, v0, vcc
	s_waitcnt lgkmcnt(0)
	v_cndmask_b32_e32 v49, v81, v3, vcc
	v_cndmask_b32_e32 v50, v83, v81, vcc
	;; [unrolled: 1-line block ×3, first 2 shown]
	v_cmp_lt_u32_e64 s[6:7], v2, v51
	v_cmp_le_i16_e64 s[10:11], v50, v49
	v_cmp_ge_u32_e64 s[4:5], v48, v52
	s_and_b64 s[6:7], s[6:7], s[10:11]
	s_or_b64 s[4:5], s[4:5], s[6:7]
	v_cndmask_b32_e64 v0, v48, v2, s[4:5]
	v_cndmask_b32_e64 v1, v52, v51, s[4:5]
	;; [unrolled: 1-line block ×3, first 2 shown]
	v_add_u32_e32 v53, 1, v0
	v_add_u32_e32 v0, -1, v1
	v_min_u32_e32 v0, v53, v0
	v_lshl_add_u32 v0, v0, 1, v31
	ds_read_u16 v54, v0
	v_cndmask_b32_e64 v35, v55, v64, s[16:17]
	v_cndmask_b32_e64 v64, v53, v48, s[4:5]
	;; [unrolled: 1-line block ×3, first 2 shown]
	v_cmp_lt_u32_e64 s[10:11], v53, v51
	s_waitcnt lgkmcnt(0)
	v_cndmask_b32_e64 v55, v54, v49, s[4:5]
	v_cndmask_b32_e64 v54, v50, v54, s[4:5]
	v_cmp_le_i16_e64 s[14:15], v54, v55
	v_cmp_ge_u32_e64 s[6:7], v64, v52
	s_and_b64 s[10:11], s[10:11], s[14:15]
	s_or_b64 s[6:7], s[6:7], s[10:11]
	v_cndmask_b32_e64 v2, v64, v53, s[6:7]
	v_cndmask_b32_e64 v48, v52, v51, s[6:7]
	;; [unrolled: 1-line block ×3, first 2 shown]
	v_add_u32_e32 v65, 1, v2
	v_add_u32_e32 v2, -1, v48
	v_min_u32_e32 v2, v65, v2
	v_lshl_add_u32 v2, v2, 1, v31
	ds_read_u16 v66, v2
	v_cndmask_b32_e32 v2, v3, v83, vcc
	v_cndmask_b32_e64 v49, v49, v50, s[4:5]
	v_cndmask_b32_e64 v3, v55, v54, s[6:7]
	;; [unrolled: 1-line block ×3, first 2 shown]
	s_waitcnt lgkmcnt(0)
	v_cndmask_b32_e64 v50, v54, v66, s[6:7]
	v_cndmask_b32_e64 v55, v66, v55, s[6:7]
	;; [unrolled: 1-line block ×3, first 2 shown]
	v_min_i16_e32 v64, v50, v55
	v_cmp_lt_u32_e32 vcc, v53, v51
	v_cndmask_b32_e32 v51, v55, v64, vcc
	v_cmp_lt_u32_e32 vcc, v54, v52
	v_cndmask_b32_e64 v37, v67, v68, s[24:25]
	v_cndmask_b32_e64 v1, v69, v70, s[26:27]
	v_cndmask_b32_e64 v48, v71, v80, s[28:29]
	v_cndmask_b32_e32 v50, v50, v51, vcc
.LBB2929_37:
	s_or_b64 exec, exec, s[38:39]
	s_mov_b32 s4, 0x5040100
	v_perm_b32 v55, v35, v9, s4
	v_perm_b32 v54, v34, v8, s4
	;; [unrolled: 1-line block ×4, first 2 shown]
	; wave barrier
	ds_write_b128 v38, v[52:55]
	v_perm_b32 v55, v50, v3, s4
	v_perm_b32 v54, v49, v2, s4
	;; [unrolled: 1-line block ×4, first 2 shown]
	ds_write_b128 v38, v[52:55] offset:16
	v_and_b32_e32 v52, 0x700, v39
	v_or_b32_e32 v38, 0x80, v52
	v_min_u32_e32 v38, v36, v38
	v_add_u32_e32 v51, 0x80, v38
	v_min_u32_e32 v51, v36, v51
	v_and_b32_e32 v39, 0xf0, v39
	v_min_u32_e32 v53, v36, v39
	v_sub_u32_e32 v54, v38, v52
	v_sub_u32_e32 v39, v51, v38
	v_sub_u32_e64 v39, v53, v39 clamp
	v_min_u32_e32 v54, v53, v54
	v_lshl_add_u32 v36, v52, 1, v31
	v_cmp_lt_u32_e32 vcc, v39, v54
	; wave barrier
	s_and_saveexec_b64 s[4:5], vcc
	s_cbranch_execz .LBB2929_41
; %bb.38:
	v_lshlrev_b32_e32 v55, 1, v38
	v_lshlrev_b32_e32 v64, 1, v53
	v_add3_u32 v55, v31, v55, v64
	s_mov_b64 s[6:7], 0
.LBB2929_39:                            ; =>This Inner Loop Header: Depth=1
	v_add_u32_e32 v64, v54, v39
	v_lshrrev_b32_e32 v65, 1, v64
	v_and_b32_e32 v64, -2, v64
	v_not_b32_e32 v66, v65
	v_add_u32_e32 v64, v36, v64
	v_lshl_add_u32 v66, v66, 1, v55
	ds_read_u16 v64, v64
	ds_read_u16 v66, v66
	v_add_u32_e32 v67, 1, v65
	s_waitcnt lgkmcnt(0)
	v_cmp_gt_i16_e32 vcc, v64, v66
	v_cndmask_b32_e32 v54, v54, v65, vcc
	v_cndmask_b32_e32 v39, v67, v39, vcc
	v_cmp_ge_u32_e32 vcc, v39, v54
	s_or_b64 s[6:7], vcc, s[6:7]
	s_andn2_b64 exec, exec, s[6:7]
	s_cbranch_execnz .LBB2929_39
; %bb.40:
	s_or_b64 exec, exec, s[6:7]
.LBB2929_41:
	s_or_b64 exec, exec, s[4:5]
	v_add_u32_e32 v53, v38, v53
	v_add_u32_e32 v52, v39, v52
	v_sub_u32_e32 v53, v53, v39
	v_cmp_le_u32_e32 vcc, v52, v38
	v_cmp_le_u32_e64 s[4:5], v53, v51
	s_or_b64 s[4:5], vcc, s[4:5]
	s_and_saveexec_b64 s[38:39], s[4:5]
	s_cbranch_execz .LBB2929_47
; %bb.42:
	v_cmp_lt_u32_e32 vcc, v52, v38
                                        ; implicit-def: $vgpr0
	s_and_saveexec_b64 s[4:5], vcc
	s_cbranch_execz .LBB2929_44
; %bb.43:
	v_lshl_add_u32 v0, v39, 1, v36
	ds_read_u16 v0, v0
.LBB2929_44:
	s_or_b64 exec, exec, s[4:5]
	v_cmp_ge_u32_e64 s[4:5], v53, v51
	v_cmp_lt_u32_e64 s[6:7], v53, v51
                                        ; implicit-def: $vgpr1
	s_and_saveexec_b64 s[10:11], s[6:7]
	s_cbranch_execz .LBB2929_46
; %bb.45:
	v_lshl_add_u32 v1, v53, 1, v31
	ds_read_u16 v1, v1
.LBB2929_46:
	s_or_b64 exec, exec, s[10:11]
	s_waitcnt lgkmcnt(0)
	v_cmp_le_i16_e64 s[6:7], v0, v1
	s_and_b64 s[6:7], vcc, s[6:7]
	s_or_b64 vcc, s[4:5], s[6:7]
	v_cndmask_b32_e32 v2, v53, v52, vcc
	v_cndmask_b32_e32 v3, v51, v38, vcc
	v_add_u32_e32 v2, 1, v2
	v_add_u32_e32 v3, -1, v3
	v_min_u32_e32 v3, v2, v3
	v_lshl_add_u32 v3, v3, 1, v31
	ds_read_u16 v3, v3
	v_cndmask_b32_e32 v6, v2, v53, vcc
	v_cndmask_b32_e32 v2, v52, v2, vcc
	v_cmp_lt_u32_e64 s[6:7], v2, v38
	v_cmp_ge_u32_e64 s[4:5], v6, v51
	s_waitcnt lgkmcnt(0)
	v_cndmask_b32_e32 v7, v3, v1, vcc
	v_cndmask_b32_e32 v3, v0, v3, vcc
	v_cmp_le_i16_e64 s[10:11], v3, v7
	s_and_b64 s[6:7], s[6:7], s[10:11]
	s_or_b64 s[4:5], s[4:5], s[6:7]
	v_cndmask_b32_e64 v8, v6, v2, s[4:5]
	v_cndmask_b32_e64 v9, v51, v38, s[4:5]
	v_add_u32_e32 v8, 1, v8
	v_add_u32_e32 v9, -1, v9
	v_min_u32_e32 v9, v8, v9
	v_lshl_add_u32 v9, v9, 1, v31
	ds_read_u16 v9, v9
	v_cndmask_b32_e64 v2, v2, v8, s[4:5]
	v_cndmask_b32_e64 v6, v8, v6, s[4:5]
	v_cmp_lt_u32_e64 s[10:11], v2, v38
	v_cmp_ge_u32_e64 s[6:7], v6, v51
	s_waitcnt lgkmcnt(0)
	v_cndmask_b32_e64 v33, v9, v7, s[4:5]
	v_cndmask_b32_e64 v9, v3, v9, s[4:5]
	v_cmp_le_i16_e64 s[14:15], v9, v33
	s_and_b64 s[10:11], s[10:11], s[14:15]
	s_or_b64 s[10:11], s[6:7], s[10:11]
	v_cndmask_b32_e64 v8, v6, v2, s[10:11]
	v_cndmask_b32_e64 v32, v51, v38, s[10:11]
	v_add_u32_e32 v8, 1, v8
	v_add_u32_e32 v32, -1, v32
	v_min_u32_e32 v32, v8, v32
	v_lshl_add_u32 v32, v32, 1, v31
	ds_read_u16 v32, v32
	v_cndmask_b32_e64 v2, v2, v8, s[10:11]
	v_cndmask_b32_e64 v6, v8, v6, s[10:11]
	v_cmp_lt_u32_e64 s[14:15], v2, v38
	v_cmp_ge_u32_e64 s[6:7], v6, v51
	s_waitcnt lgkmcnt(0)
	v_cndmask_b32_e64 v34, v32, v33, s[10:11]
	v_cndmask_b32_e64 v35, v9, v32, s[10:11]
	;; [unrolled: 17-line block ×10, first 2 shown]
	v_cmp_le_i16_e64 s[34:35], v69, v68
	s_and_b64 s[30:31], s[30:31], s[34:35]
	s_or_b64 s[28:29], s[28:29], s[30:31]
	v_cndmask_b32_e64 v6, v70, v2, s[28:29]
	v_cndmask_b32_e64 v8, v51, v38, s[28:29]
	v_add_u32_e32 v71, 1, v6
	v_add_u32_e32 v6, -1, v8
	v_min_u32_e32 v6, v71, v6
	v_lshl_add_u32 v6, v6, 1, v31
	ds_read_u16 v8, v6
	v_cndmask_b32_e32 v6, v1, v0, vcc
	v_cndmask_b32_e64 v32, v7, v3, s[4:5]
	v_cndmask_b32_e64 v1, v2, v71, s[28:29]
	;; [unrolled: 1-line block ×3, first 2 shown]
	s_waitcnt lgkmcnt(0)
	v_cndmask_b32_e64 v3, v8, v68, s[28:29]
	v_cndmask_b32_e64 v80, v69, v8, s[28:29]
	;; [unrolled: 1-line block ×3, first 2 shown]
	v_cmp_lt_u32_e64 s[4:5], v1, v38
	v_cmp_le_i16_e64 s[10:11], v80, v3
	v_cmp_ge_u32_e32 vcc, v0, v51
	s_and_b64 s[4:5], s[4:5], s[10:11]
	s_or_b64 vcc, vcc, s[4:5]
	v_cndmask_b32_e32 v2, v0, v1, vcc
	v_cndmask_b32_e32 v8, v51, v38, vcc
	v_add_u32_e32 v2, 1, v2
	v_add_u32_e32 v8, -1, v8
	v_min_u32_e32 v8, v2, v8
	v_lshl_add_u32 v8, v8, 1, v31
	ds_read_u16 v70, v8
	v_cndmask_b32_e64 v33, v34, v35, s[6:7]
	v_cndmask_b32_e64 v8, v36, v37, s[22:23]
	;; [unrolled: 1-line block ×3, first 2 shown]
	v_cndmask_b32_e32 v48, v2, v0, vcc
	s_waitcnt lgkmcnt(0)
	v_cndmask_b32_e32 v36, v70, v3, vcc
	v_cndmask_b32_e32 v39, v80, v70, vcc
	;; [unrolled: 1-line block ×3, first 2 shown]
	v_cmp_lt_u32_e64 s[6:7], v2, v38
	v_cmp_le_i16_e64 s[10:11], v39, v36
	v_cmp_ge_u32_e64 s[4:5], v48, v51
	s_and_b64 s[6:7], s[6:7], s[10:11]
	s_or_b64 s[4:5], s[4:5], s[6:7]
	v_cndmask_b32_e64 v0, v48, v2, s[4:5]
	v_cndmask_b32_e64 v1, v51, v38, s[4:5]
	;; [unrolled: 1-line block ×3, first 2 shown]
	v_add_u32_e32 v49, 1, v0
	v_add_u32_e32 v0, -1, v1
	v_min_u32_e32 v0, v49, v0
	v_lshl_add_u32 v0, v0, 1, v31
	ds_read_u16 v50, v0
	v_cndmask_b32_e64 v35, v52, v53, s[16:17]
	v_cndmask_b32_e64 v0, v54, v55, s[20:21]
	;; [unrolled: 1-line block ×4, first 2 shown]
	s_waitcnt lgkmcnt(0)
	v_cndmask_b32_e64 v52, v50, v36, s[4:5]
	v_cndmask_b32_e64 v50, v39, v50, s[4:5]
	v_cmp_lt_u32_e64 s[10:11], v54, v38
	v_cmp_le_i16_e64 s[14:15], v50, v52
	v_cmp_ge_u32_e64 s[6:7], v53, v51
	s_and_b64 s[10:11], s[10:11], s[14:15]
	s_or_b64 s[6:7], s[6:7], s[10:11]
	v_cndmask_b32_e64 v2, v53, v54, s[6:7]
	v_cndmask_b32_e64 v48, v51, v38, s[6:7]
	v_add_u32_e32 v55, 1, v2
	v_add_u32_e32 v2, -1, v48
	v_min_u32_e32 v2, v55, v2
	v_lshl_add_u32 v2, v2, 1, v31
	ds_read_u16 v31, v2
	v_cndmask_b32_e32 v2, v3, v80, vcc
	v_cndmask_b32_e64 v49, v36, v39, s[4:5]
	v_cndmask_b32_e64 v3, v52, v50, s[6:7]
	;; [unrolled: 1-line block ×3, first 2 shown]
	s_waitcnt lgkmcnt(0)
	v_cndmask_b32_e64 v36, v50, v31, s[6:7]
	v_cndmask_b32_e64 v31, v31, v52, s[6:7]
	;; [unrolled: 1-line block ×3, first 2 shown]
	v_min_i16_e32 v52, v36, v31
	v_cmp_lt_u32_e32 vcc, v50, v38
	v_cndmask_b32_e32 v31, v31, v52, vcc
	v_cmp_lt_u32_e32 vcc, v39, v51
	v_cndmask_b32_e64 v37, v64, v65, s[24:25]
	v_cndmask_b32_e64 v1, v66, v67, s[26:27]
	v_cndmask_b32_e64 v48, v68, v69, s[28:29]
	v_cndmask_b32_e32 v50, v36, v31, vcc
.LBB2929_47:
	s_or_b64 exec, exec, s[38:39]
	s_mov_b32 s4, 0x5040100
	v_lshlrev_b32_e32 v31, 5, v14
	v_perm_b32 v55, v35, v9, s4
	v_perm_b32 v54, v34, v8, s4
	;; [unrolled: 1-line block ×4, first 2 shown]
	; wave barrier
	s_waitcnt lgkmcnt(0)
	s_barrier
	ds_write_b128 v31, v[52:55]
	v_perm_b32 v55, v50, v3, s4
	v_perm_b32 v54, v49, v2, s4
	;; [unrolled: 1-line block ×4, first 2 shown]
	ds_write_b128 v31, v[52:55] offset:16
	v_and_b32_e32 v52, 0x3e00, v17
	v_or_b32_e32 v38, 0x100, v52
	v_min_u32_e32 v36, 0x1000, v38
	v_min_u32_e32 v38, 0xf00, v38
	v_add_u32_e32 v38, 0x100, v38
	v_and_b32_e32 v53, 0x1f0, v17
	v_sub_u32_e32 v54, v36, v52
	v_sub_u32_e32 v51, v38, v36
	v_sub_u32_e64 v51, v53, v51 clamp
	v_min_u32_e32 v54, v53, v54
	v_lshlrev_b32_e32 v39, 1, v52
	v_cmp_lt_u32_e32 vcc, v51, v54
	s_waitcnt lgkmcnt(0)
	s_barrier
	s_and_saveexec_b64 s[4:5], vcc
	s_cbranch_execz .LBB2929_51
; %bb.48:
	v_lshlrev_b32_e32 v55, 1, v53
	v_lshl_add_u32 v55, v36, 1, v55
	s_mov_b64 s[6:7], 0
.LBB2929_49:                            ; =>This Inner Loop Header: Depth=1
	v_add_u32_e32 v64, v54, v51
	v_lshrrev_b32_e32 v65, 1, v64
	v_and_b32_e32 v64, -2, v64
	v_not_b32_e32 v66, v65
	v_add_u32_e32 v64, v39, v64
	v_lshl_add_u32 v66, v66, 1, v55
	ds_read_u16 v64, v64
	ds_read_u16 v66, v66
	v_add_u32_e32 v67, 1, v65
	s_waitcnt lgkmcnt(0)
	v_cmp_gt_i16_e32 vcc, v64, v66
	v_cndmask_b32_e32 v54, v54, v65, vcc
	v_cndmask_b32_e32 v51, v67, v51, vcc
	v_cmp_ge_u32_e32 vcc, v51, v54
	s_or_b64 s[6:7], vcc, s[6:7]
	s_andn2_b64 exec, exec, s[6:7]
	s_cbranch_execnz .LBB2929_49
; %bb.50:
	s_or_b64 exec, exec, s[6:7]
.LBB2929_51:
	s_or_b64 exec, exec, s[4:5]
	v_sub_u32_e32 v53, v53, v51
	v_add_u32_e32 v52, v51, v52
	v_add_u32_e32 v53, v53, v36
	v_cmp_le_u32_e32 vcc, v52, v36
	v_cmp_le_u32_e64 s[4:5], v53, v38
	s_or_b64 s[4:5], vcc, s[4:5]
	s_and_saveexec_b64 s[38:39], s[4:5]
	s_cbranch_execz .LBB2929_57
; %bb.52:
	v_cmp_lt_u32_e32 vcc, v52, v36
                                        ; implicit-def: $vgpr0
	s_and_saveexec_b64 s[4:5], vcc
	s_cbranch_execz .LBB2929_54
; %bb.53:
	v_lshl_add_u32 v0, v51, 1, v39
	ds_read_u16 v0, v0
.LBB2929_54:
	s_or_b64 exec, exec, s[4:5]
	v_cmp_ge_u32_e64 s[4:5], v53, v38
	v_cmp_lt_u32_e64 s[6:7], v53, v38
                                        ; implicit-def: $vgpr1
	s_and_saveexec_b64 s[10:11], s[6:7]
	s_cbranch_execz .LBB2929_56
; %bb.55:
	v_lshlrev_b32_e32 v1, 1, v53
	ds_read_u16 v1, v1
.LBB2929_56:
	s_or_b64 exec, exec, s[10:11]
	s_waitcnt lgkmcnt(0)
	v_cmp_le_i16_e64 s[6:7], v0, v1
	s_and_b64 s[6:7], vcc, s[6:7]
	s_or_b64 vcc, s[4:5], s[6:7]
	v_cndmask_b32_e32 v2, v53, v52, vcc
	v_cndmask_b32_e32 v3, v38, v36, vcc
	v_add_u32_e32 v2, 1, v2
	v_add_u32_e32 v3, -1, v3
	v_min_u32_e32 v3, v2, v3
	v_lshlrev_b32_e32 v3, 1, v3
	ds_read_u16 v3, v3
	v_cndmask_b32_e32 v6, v2, v53, vcc
	v_cndmask_b32_e32 v2, v52, v2, vcc
	v_cmp_lt_u32_e64 s[6:7], v2, v36
	v_cmp_ge_u32_e64 s[4:5], v6, v38
	s_waitcnt lgkmcnt(0)
	v_cndmask_b32_e32 v7, v3, v1, vcc
	v_cndmask_b32_e32 v3, v0, v3, vcc
	v_cmp_le_i16_e64 s[10:11], v3, v7
	s_and_b64 s[6:7], s[6:7], s[10:11]
	s_or_b64 s[4:5], s[4:5], s[6:7]
	v_cndmask_b32_e64 v8, v6, v2, s[4:5]
	v_cndmask_b32_e64 v9, v38, v36, s[4:5]
	v_add_u32_e32 v8, 1, v8
	v_add_u32_e32 v9, -1, v9
	v_min_u32_e32 v9, v8, v9
	v_lshlrev_b32_e32 v9, 1, v9
	ds_read_u16 v9, v9
	v_cndmask_b32_e64 v2, v2, v8, s[4:5]
	v_cndmask_b32_e64 v6, v8, v6, s[4:5]
	v_cmp_lt_u32_e64 s[10:11], v2, v36
	v_cmp_ge_u32_e64 s[6:7], v6, v38
	s_waitcnt lgkmcnt(0)
	v_cndmask_b32_e64 v33, v9, v7, s[4:5]
	v_cndmask_b32_e64 v9, v3, v9, s[4:5]
	v_cmp_le_i16_e64 s[14:15], v9, v33
	s_and_b64 s[10:11], s[10:11], s[14:15]
	s_or_b64 s[10:11], s[6:7], s[10:11]
	v_cndmask_b32_e64 v8, v6, v2, s[10:11]
	v_cndmask_b32_e64 v32, v38, v36, s[10:11]
	v_add_u32_e32 v8, 1, v8
	v_add_u32_e32 v32, -1, v32
	v_min_u32_e32 v32, v8, v32
	v_lshlrev_b32_e32 v32, 1, v32
	ds_read_u16 v32, v32
	v_cndmask_b32_e64 v2, v2, v8, s[10:11]
	v_cndmask_b32_e64 v6, v8, v6, s[10:11]
	v_cmp_lt_u32_e64 s[14:15], v2, v36
	v_cmp_ge_u32_e64 s[6:7], v6, v38
	s_waitcnt lgkmcnt(0)
	v_cndmask_b32_e64 v34, v32, v33, s[10:11]
	v_cndmask_b32_e64 v35, v9, v32, s[10:11]
	;; [unrolled: 17-line block ×10, first 2 shown]
	v_cmp_le_i16_e64 s[34:35], v69, v68
	s_and_b64 s[30:31], s[30:31], s[34:35]
	s_or_b64 s[28:29], s[28:29], s[30:31]
	v_cndmask_b32_e64 v6, v70, v2, s[28:29]
	v_cndmask_b32_e64 v8, v38, v36, s[28:29]
	v_add_u32_e32 v71, 1, v6
	v_add_u32_e32 v6, -1, v8
	v_min_u32_e32 v6, v71, v6
	v_lshlrev_b32_e32 v6, 1, v6
	ds_read_u16 v8, v6
	v_cndmask_b32_e32 v6, v1, v0, vcc
	v_cndmask_b32_e64 v32, v7, v3, s[4:5]
	v_cndmask_b32_e64 v1, v2, v71, s[28:29]
	;; [unrolled: 1-line block ×3, first 2 shown]
	s_waitcnt lgkmcnt(0)
	v_cndmask_b32_e64 v3, v8, v68, s[28:29]
	v_cndmask_b32_e64 v80, v69, v8, s[28:29]
	;; [unrolled: 1-line block ×3, first 2 shown]
	v_cmp_lt_u32_e64 s[4:5], v1, v36
	v_cmp_le_i16_e64 s[10:11], v80, v3
	v_cmp_ge_u32_e32 vcc, v0, v38
	s_and_b64 s[4:5], s[4:5], s[10:11]
	s_or_b64 vcc, vcc, s[4:5]
	v_cndmask_b32_e32 v2, v0, v1, vcc
	v_cndmask_b32_e32 v8, v38, v36, vcc
	v_add_u32_e32 v2, 1, v2
	v_add_u32_e32 v8, -1, v8
	v_min_u32_e32 v8, v2, v8
	v_lshlrev_b32_e32 v8, 1, v8
	ds_read_u16 v70, v8
	v_cndmask_b32_e64 v33, v34, v35, s[6:7]
	v_cndmask_b32_e64 v8, v37, v39, s[22:23]
	;; [unrolled: 1-line block ×3, first 2 shown]
	v_cndmask_b32_e32 v48, v2, v0, vcc
	s_waitcnt lgkmcnt(0)
	v_cndmask_b32_e32 v39, v70, v3, vcc
	v_cndmask_b32_e32 v49, v80, v70, vcc
	;; [unrolled: 1-line block ×3, first 2 shown]
	v_cmp_lt_u32_e64 s[6:7], v2, v36
	v_cmp_le_i16_e64 s[10:11], v49, v39
	v_cmp_ge_u32_e64 s[4:5], v48, v38
	s_and_b64 s[6:7], s[6:7], s[10:11]
	s_or_b64 s[4:5], s[4:5], s[6:7]
	v_cndmask_b32_e64 v0, v48, v2, s[4:5]
	v_cndmask_b32_e64 v1, v38, v36, s[4:5]
	;; [unrolled: 1-line block ×3, first 2 shown]
	v_add_u32_e32 v50, 1, v0
	v_add_u32_e32 v0, -1, v1
	v_min_u32_e32 v0, v50, v0
	v_lshlrev_b32_e32 v0, 1, v0
	ds_read_u16 v51, v0
	v_cndmask_b32_e64 v35, v52, v53, s[16:17]
	v_cndmask_b32_e64 v53, v50, v48, s[4:5]
	;; [unrolled: 1-line block ×3, first 2 shown]
	v_cmp_lt_u32_e64 s[10:11], v50, v36
	s_waitcnt lgkmcnt(0)
	v_cndmask_b32_e64 v52, v51, v39, s[4:5]
	v_cndmask_b32_e64 v51, v49, v51, s[4:5]
	v_cmp_le_i16_e64 s[14:15], v51, v52
	v_cmp_ge_u32_e64 s[6:7], v53, v38
	s_and_b64 s[10:11], s[10:11], s[14:15]
	s_or_b64 s[6:7], s[6:7], s[10:11]
	v_cndmask_b32_e64 v2, v53, v50, s[6:7]
	v_cndmask_b32_e64 v48, v38, v36, s[6:7]
	;; [unrolled: 1-line block ×3, first 2 shown]
	v_add_u32_e32 v54, 1, v2
	v_add_u32_e32 v2, -1, v48
	v_min_u32_e32 v2, v54, v2
	v_lshlrev_b32_e32 v2, 1, v2
	ds_read_u16 v55, v2
	v_cndmask_b32_e32 v2, v3, v80, vcc
	v_cndmask_b32_e64 v49, v39, v49, s[4:5]
	v_cndmask_b32_e64 v3, v52, v51, s[6:7]
	v_cndmask_b32_e64 v50, v50, v54, s[6:7]
	s_waitcnt lgkmcnt(0)
	v_cndmask_b32_e64 v39, v51, v55, s[6:7]
	v_cndmask_b32_e64 v52, v55, v52, s[6:7]
	;; [unrolled: 1-line block ×3, first 2 shown]
	v_min_i16_e32 v53, v39, v52
	v_cmp_lt_u32_e32 vcc, v50, v36
	v_cndmask_b32_e32 v36, v52, v53, vcc
	v_cmp_lt_u32_e32 vcc, v51, v38
	v_cndmask_b32_e64 v37, v64, v65, s[24:25]
	v_cndmask_b32_e64 v1, v66, v67, s[26:27]
	;; [unrolled: 1-line block ×3, first 2 shown]
	v_cndmask_b32_e32 v50, v39, v36, vcc
.LBB2929_57:
	s_or_b64 exec, exec, s[38:39]
	s_mov_b32 s4, 0x5040100
	v_perm_b32 v55, v35, v9, s4
	v_perm_b32 v54, v34, v8, s4
	;; [unrolled: 1-line block ×4, first 2 shown]
	s_barrier
	ds_write_b128 v31, v[52:55]
	v_perm_b32 v55, v50, v3, s4
	v_perm_b32 v54, v49, v2, s4
	;; [unrolled: 1-line block ×4, first 2 shown]
	ds_write_b128 v31, v[52:55] offset:16
	v_and_b32_e32 v52, 0x3c00, v17
	v_or_b32_e32 v38, 0x200, v52
	v_min_u32_e32 v36, 0x1000, v38
	v_min_u32_e32 v38, 0xe00, v38
	v_add_u32_e32 v38, 0x200, v38
	v_and_b32_e32 v53, 0x3f0, v17
	v_sub_u32_e32 v54, v36, v52
	v_sub_u32_e32 v51, v38, v36
	v_sub_u32_e64 v51, v53, v51 clamp
	v_min_u32_e32 v54, v53, v54
	v_lshlrev_b32_e32 v39, 1, v52
	v_cmp_lt_u32_e32 vcc, v51, v54
	s_waitcnt lgkmcnt(0)
	s_barrier
	s_and_saveexec_b64 s[4:5], vcc
	s_cbranch_execz .LBB2929_61
; %bb.58:
	v_lshlrev_b32_e32 v55, 1, v53
	v_lshl_add_u32 v55, v36, 1, v55
	s_mov_b64 s[6:7], 0
.LBB2929_59:                            ; =>This Inner Loop Header: Depth=1
	v_add_u32_e32 v64, v54, v51
	v_lshrrev_b32_e32 v65, 1, v64
	v_and_b32_e32 v64, -2, v64
	v_not_b32_e32 v66, v65
	v_add_u32_e32 v64, v39, v64
	v_lshl_add_u32 v66, v66, 1, v55
	ds_read_u16 v64, v64
	ds_read_u16 v66, v66
	v_add_u32_e32 v67, 1, v65
	s_waitcnt lgkmcnt(0)
	v_cmp_gt_i16_e32 vcc, v64, v66
	v_cndmask_b32_e32 v54, v54, v65, vcc
	v_cndmask_b32_e32 v51, v67, v51, vcc
	v_cmp_ge_u32_e32 vcc, v51, v54
	s_or_b64 s[6:7], vcc, s[6:7]
	s_andn2_b64 exec, exec, s[6:7]
	s_cbranch_execnz .LBB2929_59
; %bb.60:
	s_or_b64 exec, exec, s[6:7]
.LBB2929_61:
	s_or_b64 exec, exec, s[4:5]
	v_sub_u32_e32 v53, v53, v51
	v_add_u32_e32 v52, v51, v52
	v_add_u32_e32 v53, v53, v36
	v_cmp_le_u32_e32 vcc, v52, v36
	v_cmp_le_u32_e64 s[4:5], v53, v38
	s_or_b64 s[4:5], vcc, s[4:5]
	s_and_saveexec_b64 s[38:39], s[4:5]
	s_cbranch_execz .LBB2929_67
; %bb.62:
	v_cmp_lt_u32_e32 vcc, v52, v36
                                        ; implicit-def: $vgpr0
	s_and_saveexec_b64 s[4:5], vcc
	s_cbranch_execz .LBB2929_64
; %bb.63:
	v_lshl_add_u32 v0, v51, 1, v39
	ds_read_u16 v0, v0
.LBB2929_64:
	s_or_b64 exec, exec, s[4:5]
	v_cmp_ge_u32_e64 s[4:5], v53, v38
	v_cmp_lt_u32_e64 s[6:7], v53, v38
                                        ; implicit-def: $vgpr1
	s_and_saveexec_b64 s[10:11], s[6:7]
	s_cbranch_execz .LBB2929_66
; %bb.65:
	v_lshlrev_b32_e32 v1, 1, v53
	ds_read_u16 v1, v1
.LBB2929_66:
	s_or_b64 exec, exec, s[10:11]
	s_waitcnt lgkmcnt(0)
	v_cmp_le_i16_e64 s[6:7], v0, v1
	s_and_b64 s[6:7], vcc, s[6:7]
	s_or_b64 vcc, s[4:5], s[6:7]
	v_cndmask_b32_e32 v2, v53, v52, vcc
	v_cndmask_b32_e32 v3, v38, v36, vcc
	v_add_u32_e32 v2, 1, v2
	v_add_u32_e32 v3, -1, v3
	v_min_u32_e32 v3, v2, v3
	v_lshlrev_b32_e32 v3, 1, v3
	ds_read_u16 v3, v3
	v_cndmask_b32_e32 v6, v2, v53, vcc
	v_cndmask_b32_e32 v2, v52, v2, vcc
	v_cmp_lt_u32_e64 s[6:7], v2, v36
	v_cmp_ge_u32_e64 s[4:5], v6, v38
	s_waitcnt lgkmcnt(0)
	v_cndmask_b32_e32 v7, v3, v1, vcc
	v_cndmask_b32_e32 v3, v0, v3, vcc
	v_cmp_le_i16_e64 s[10:11], v3, v7
	s_and_b64 s[6:7], s[6:7], s[10:11]
	s_or_b64 s[4:5], s[4:5], s[6:7]
	v_cndmask_b32_e64 v8, v6, v2, s[4:5]
	v_cndmask_b32_e64 v9, v38, v36, s[4:5]
	v_add_u32_e32 v8, 1, v8
	v_add_u32_e32 v9, -1, v9
	v_min_u32_e32 v9, v8, v9
	v_lshlrev_b32_e32 v9, 1, v9
	ds_read_u16 v9, v9
	v_cndmask_b32_e64 v2, v2, v8, s[4:5]
	v_cndmask_b32_e64 v6, v8, v6, s[4:5]
	v_cmp_lt_u32_e64 s[10:11], v2, v36
	v_cmp_ge_u32_e64 s[6:7], v6, v38
	s_waitcnt lgkmcnt(0)
	v_cndmask_b32_e64 v33, v9, v7, s[4:5]
	v_cndmask_b32_e64 v9, v3, v9, s[4:5]
	v_cmp_le_i16_e64 s[14:15], v9, v33
	s_and_b64 s[10:11], s[10:11], s[14:15]
	s_or_b64 s[10:11], s[6:7], s[10:11]
	v_cndmask_b32_e64 v8, v6, v2, s[10:11]
	v_cndmask_b32_e64 v32, v38, v36, s[10:11]
	v_add_u32_e32 v8, 1, v8
	v_add_u32_e32 v32, -1, v32
	v_min_u32_e32 v32, v8, v32
	v_lshlrev_b32_e32 v32, 1, v32
	ds_read_u16 v32, v32
	v_cndmask_b32_e64 v2, v2, v8, s[10:11]
	v_cndmask_b32_e64 v6, v8, v6, s[10:11]
	v_cmp_lt_u32_e64 s[14:15], v2, v36
	v_cmp_ge_u32_e64 s[6:7], v6, v38
	s_waitcnt lgkmcnt(0)
	v_cndmask_b32_e64 v34, v32, v33, s[10:11]
	v_cndmask_b32_e64 v35, v9, v32, s[10:11]
	v_cmp_le_i16_e64 s[16:17], v35, v34
	s_and_b64 s[14:15], s[14:15], s[16:17]
	s_or_b64 s[6:7], s[6:7], s[14:15]
	v_cndmask_b32_e64 v8, v6, v2, s[6:7]
	v_cndmask_b32_e64 v32, v38, v36, s[6:7]
	v_add_u32_e32 v8, 1, v8
	v_add_u32_e32 v32, -1, v32
	v_min_u32_e32 v32, v8, v32
	v_lshlrev_b32_e32 v32, 1, v32
	ds_read_u16 v32, v32
	v_cndmask_b32_e64 v2, v2, v8, s[6:7]
	v_cndmask_b32_e64 v6, v8, v6, s[6:7]
	v_cmp_lt_u32_e64 s[16:17], v2, v36
	v_cmp_ge_u32_e64 s[14:15], v6, v38
	s_waitcnt lgkmcnt(0)
	v_cndmask_b32_e64 v37, v32, v34, s[6:7]
	v_cndmask_b32_e64 v39, v35, v32, s[6:7]
	v_cmp_le_i16_e64 s[18:19], v39, v37
	s_and_b64 s[16:17], s[16:17], s[18:19]
	s_or_b64 s[22:23], s[14:15], s[16:17]
	v_cndmask_b32_e64 v8, v6, v2, s[22:23]
	v_cndmask_b32_e64 v32, v38, v36, s[22:23]
	v_add_u32_e32 v8, 1, v8
	v_add_u32_e32 v32, -1, v32
	v_min_u32_e32 v32, v8, v32
	v_lshlrev_b32_e32 v32, 1, v32
	ds_read_u16 v32, v32
	v_cndmask_b32_e64 v2, v2, v8, s[22:23]
	v_cndmask_b32_e64 v6, v8, v6, s[22:23]
	v_cmp_lt_u32_e64 s[16:17], v2, v36
	v_cmp_ge_u32_e64 s[14:15], v6, v38
	s_waitcnt lgkmcnt(0)
	v_cndmask_b32_e64 v48, v32, v37, s[22:23]
	v_cndmask_b32_e64 v49, v39, v32, s[22:23]
	v_cmp_le_i16_e64 s[18:19], v49, v48
	s_and_b64 s[16:17], s[16:17], s[18:19]
	s_or_b64 s[14:15], s[14:15], s[16:17]
	v_cndmask_b32_e64 v8, v6, v2, s[14:15]
	v_cndmask_b32_e64 v32, v38, v36, s[14:15]
	v_add_u32_e32 v8, 1, v8
	v_add_u32_e32 v32, -1, v32
	v_min_u32_e32 v32, v8, v32
	v_lshlrev_b32_e32 v32, 1, v32
	ds_read_u16 v32, v32
	v_cndmask_b32_e64 v2, v2, v8, s[14:15]
	v_cndmask_b32_e64 v6, v8, v6, s[14:15]
	v_cmp_lt_u32_e64 s[18:19], v2, v36
	v_cmp_ge_u32_e64 s[16:17], v6, v38
	s_waitcnt lgkmcnt(0)
	v_cndmask_b32_e64 v50, v32, v48, s[14:15]
	v_cndmask_b32_e64 v51, v49, v32, s[14:15]
	v_cmp_le_i16_e64 s[20:21], v51, v50
	s_and_b64 s[18:19], s[18:19], s[20:21]
	s_or_b64 s[18:19], s[16:17], s[18:19]
	v_cndmask_b32_e64 v8, v6, v2, s[18:19]
	v_cndmask_b32_e64 v32, v38, v36, s[18:19]
	v_add_u32_e32 v8, 1, v8
	v_add_u32_e32 v32, -1, v32
	v_min_u32_e32 v32, v8, v32
	v_lshlrev_b32_e32 v32, 1, v32
	ds_read_u16 v32, v32
	v_cndmask_b32_e64 v2, v2, v8, s[18:19]
	v_cndmask_b32_e64 v6, v8, v6, s[18:19]
	v_cmp_lt_u32_e64 s[20:21], v2, v36
	v_cmp_ge_u32_e64 s[16:17], v6, v38
	s_waitcnt lgkmcnt(0)
	v_cndmask_b32_e64 v52, v32, v50, s[18:19]
	v_cndmask_b32_e64 v53, v51, v32, s[18:19]
	v_cmp_le_i16_e64 s[24:25], v53, v52
	s_and_b64 s[20:21], s[20:21], s[24:25]
	s_or_b64 s[16:17], s[16:17], s[20:21]
	v_cndmask_b32_e64 v8, v6, v2, s[16:17]
	v_cndmask_b32_e64 v32, v38, v36, s[16:17]
	v_add_u32_e32 v8, 1, v8
	v_add_u32_e32 v32, -1, v32
	v_min_u32_e32 v32, v8, v32
	v_lshlrev_b32_e32 v32, 1, v32
	ds_read_u16 v32, v32
	v_cndmask_b32_e64 v2, v2, v8, s[16:17]
	v_cndmask_b32_e64 v6, v8, v6, s[16:17]
	v_cmp_lt_u32_e64 s[24:25], v2, v36
	v_cmp_ge_u32_e64 s[20:21], v6, v38
	s_waitcnt lgkmcnt(0)
	v_cndmask_b32_e64 v54, v32, v52, s[16:17]
	v_cndmask_b32_e64 v55, v53, v32, s[16:17]
	v_cmp_le_i16_e64 s[26:27], v55, v54
	s_and_b64 s[24:25], s[24:25], s[26:27]
	s_or_b64 s[20:21], s[20:21], s[24:25]
	v_cndmask_b32_e64 v8, v6, v2, s[20:21]
	v_cndmask_b32_e64 v32, v38, v36, s[20:21]
	v_add_u32_e32 v8, 1, v8
	v_add_u32_e32 v32, -1, v32
	v_min_u32_e32 v32, v8, v32
	v_lshlrev_b32_e32 v32, 1, v32
	ds_read_u16 v32, v32
	v_cndmask_b32_e64 v2, v2, v8, s[20:21]
	v_cndmask_b32_e64 v6, v8, v6, s[20:21]
	v_cmp_lt_u32_e64 s[26:27], v2, v36
	v_cmp_ge_u32_e64 s[24:25], v6, v38
	s_waitcnt lgkmcnt(0)
	v_cndmask_b32_e64 v64, v32, v54, s[20:21]
	v_cndmask_b32_e64 v65, v55, v32, s[20:21]
	v_cmp_le_i16_e64 s[28:29], v65, v64
	s_and_b64 s[26:27], s[26:27], s[28:29]
	s_or_b64 s[24:25], s[24:25], s[26:27]
	v_cndmask_b32_e64 v8, v6, v2, s[24:25]
	v_cndmask_b32_e64 v32, v38, v36, s[24:25]
	v_add_u32_e32 v8, 1, v8
	v_add_u32_e32 v32, -1, v32
	v_min_u32_e32 v32, v8, v32
	v_lshlrev_b32_e32 v32, 1, v32
	ds_read_u16 v32, v32
	v_cndmask_b32_e64 v2, v2, v8, s[24:25]
	v_cndmask_b32_e64 v6, v8, v6, s[24:25]
	v_cmp_lt_u32_e64 s[28:29], v2, v36
	v_cmp_ge_u32_e64 s[26:27], v6, v38
	s_waitcnt lgkmcnt(0)
	v_cndmask_b32_e64 v66, v32, v64, s[24:25]
	v_cndmask_b32_e64 v67, v65, v32, s[24:25]
	v_cmp_le_i16_e64 s[30:31], v67, v66
	s_and_b64 s[28:29], s[28:29], s[30:31]
	s_or_b64 s[26:27], s[26:27], s[28:29]
	v_cndmask_b32_e64 v8, v6, v2, s[26:27]
	v_cndmask_b32_e64 v32, v38, v36, s[26:27]
	v_add_u32_e32 v8, 1, v8
	v_add_u32_e32 v32, -1, v32
	v_min_u32_e32 v32, v8, v32
	v_lshlrev_b32_e32 v32, 1, v32
	ds_read_u16 v32, v32
	v_cndmask_b32_e64 v2, v2, v8, s[26:27]
	v_cndmask_b32_e64 v70, v8, v6, s[26:27]
	v_cmp_lt_u32_e64 s[30:31], v2, v36
	v_cmp_ge_u32_e64 s[28:29], v70, v38
	s_waitcnt lgkmcnt(0)
	v_cndmask_b32_e64 v68, v32, v66, s[26:27]
	v_cndmask_b32_e64 v69, v67, v32, s[26:27]
	v_cmp_le_i16_e64 s[34:35], v69, v68
	s_and_b64 s[30:31], s[30:31], s[34:35]
	s_or_b64 s[28:29], s[28:29], s[30:31]
	v_cndmask_b32_e64 v6, v70, v2, s[28:29]
	v_cndmask_b32_e64 v8, v38, v36, s[28:29]
	v_add_u32_e32 v71, 1, v6
	v_add_u32_e32 v6, -1, v8
	v_min_u32_e32 v6, v71, v6
	v_lshlrev_b32_e32 v6, 1, v6
	ds_read_u16 v8, v6
	v_cndmask_b32_e32 v6, v1, v0, vcc
	v_cndmask_b32_e64 v32, v7, v3, s[4:5]
	v_cndmask_b32_e64 v1, v2, v71, s[28:29]
	;; [unrolled: 1-line block ×3, first 2 shown]
	s_waitcnt lgkmcnt(0)
	v_cndmask_b32_e64 v3, v8, v68, s[28:29]
	v_cndmask_b32_e64 v80, v69, v8, s[28:29]
	;; [unrolled: 1-line block ×3, first 2 shown]
	v_cmp_lt_u32_e64 s[4:5], v1, v36
	v_cmp_le_i16_e64 s[10:11], v80, v3
	v_cmp_ge_u32_e32 vcc, v0, v38
	s_and_b64 s[4:5], s[4:5], s[10:11]
	s_or_b64 vcc, vcc, s[4:5]
	v_cndmask_b32_e32 v2, v0, v1, vcc
	v_cndmask_b32_e32 v8, v38, v36, vcc
	v_add_u32_e32 v2, 1, v2
	v_add_u32_e32 v8, -1, v8
	v_min_u32_e32 v8, v2, v8
	v_lshlrev_b32_e32 v8, 1, v8
	ds_read_u16 v70, v8
	v_cndmask_b32_e64 v33, v34, v35, s[6:7]
	v_cndmask_b32_e64 v8, v37, v39, s[22:23]
	;; [unrolled: 1-line block ×3, first 2 shown]
	v_cndmask_b32_e32 v48, v2, v0, vcc
	s_waitcnt lgkmcnt(0)
	v_cndmask_b32_e32 v39, v70, v3, vcc
	v_cndmask_b32_e32 v49, v80, v70, vcc
	;; [unrolled: 1-line block ×3, first 2 shown]
	v_cmp_lt_u32_e64 s[6:7], v2, v36
	v_cmp_le_i16_e64 s[10:11], v49, v39
	v_cmp_ge_u32_e64 s[4:5], v48, v38
	s_and_b64 s[6:7], s[6:7], s[10:11]
	s_or_b64 s[4:5], s[4:5], s[6:7]
	v_cndmask_b32_e64 v0, v48, v2, s[4:5]
	v_cndmask_b32_e64 v1, v38, v36, s[4:5]
	;; [unrolled: 1-line block ×3, first 2 shown]
	v_add_u32_e32 v50, 1, v0
	v_add_u32_e32 v0, -1, v1
	v_min_u32_e32 v0, v50, v0
	v_lshlrev_b32_e32 v0, 1, v0
	ds_read_u16 v51, v0
	v_cndmask_b32_e64 v35, v52, v53, s[16:17]
	v_cndmask_b32_e64 v53, v50, v48, s[4:5]
	v_cndmask_b32_e64 v50, v2, v50, s[4:5]
	v_cmp_lt_u32_e64 s[10:11], v50, v36
	s_waitcnt lgkmcnt(0)
	v_cndmask_b32_e64 v52, v51, v39, s[4:5]
	v_cndmask_b32_e64 v51, v49, v51, s[4:5]
	v_cmp_le_i16_e64 s[14:15], v51, v52
	v_cmp_ge_u32_e64 s[6:7], v53, v38
	s_and_b64 s[10:11], s[10:11], s[14:15]
	s_or_b64 s[6:7], s[6:7], s[10:11]
	v_cndmask_b32_e64 v2, v53, v50, s[6:7]
	v_cndmask_b32_e64 v48, v38, v36, s[6:7]
	;; [unrolled: 1-line block ×3, first 2 shown]
	v_add_u32_e32 v54, 1, v2
	v_add_u32_e32 v2, -1, v48
	v_min_u32_e32 v2, v54, v2
	v_lshlrev_b32_e32 v2, 1, v2
	ds_read_u16 v55, v2
	v_cndmask_b32_e32 v2, v3, v80, vcc
	v_cndmask_b32_e64 v49, v39, v49, s[4:5]
	v_cndmask_b32_e64 v3, v52, v51, s[6:7]
	;; [unrolled: 1-line block ×3, first 2 shown]
	s_waitcnt lgkmcnt(0)
	v_cndmask_b32_e64 v39, v51, v55, s[6:7]
	v_cndmask_b32_e64 v52, v55, v52, s[6:7]
	;; [unrolled: 1-line block ×3, first 2 shown]
	v_min_i16_e32 v53, v39, v52
	v_cmp_lt_u32_e32 vcc, v50, v36
	v_cndmask_b32_e32 v36, v52, v53, vcc
	v_cmp_lt_u32_e32 vcc, v51, v38
	v_cndmask_b32_e64 v37, v64, v65, s[24:25]
	v_cndmask_b32_e64 v1, v66, v67, s[26:27]
	;; [unrolled: 1-line block ×3, first 2 shown]
	v_cndmask_b32_e32 v50, v39, v36, vcc
.LBB2929_67:
	s_or_b64 exec, exec, s[38:39]
	s_mov_b32 s4, 0x5040100
	v_perm_b32 v55, v35, v9, s4
	v_perm_b32 v54, v34, v8, s4
	;; [unrolled: 1-line block ×4, first 2 shown]
	s_barrier
	ds_write_b128 v31, v[52:55]
	v_perm_b32 v55, v50, v3, s4
	v_perm_b32 v54, v49, v2, s4
	v_perm_b32 v53, v48, v1, s4
	v_perm_b32 v52, v37, v0, s4
	ds_write_b128 v31, v[52:55] offset:16
	v_and_b32_e32 v52, 0x3800, v17
	v_or_b32_e32 v38, 0x400, v52
	v_min_u32_e32 v36, 0x1000, v38
	v_min_u32_e32 v38, 0xc00, v38
	v_add_u32_e32 v38, 0x400, v38
	v_and_b32_e32 v53, 0x7f0, v17
	v_sub_u32_e32 v54, v36, v52
	v_sub_u32_e32 v51, v38, v36
	v_sub_u32_e64 v51, v53, v51 clamp
	v_min_u32_e32 v54, v53, v54
	v_lshlrev_b32_e32 v39, 1, v52
	v_cmp_lt_u32_e32 vcc, v51, v54
	s_waitcnt lgkmcnt(0)
	s_barrier
	s_and_saveexec_b64 s[4:5], vcc
	s_cbranch_execz .LBB2929_71
; %bb.68:
	v_lshlrev_b32_e32 v55, 1, v53
	v_lshl_add_u32 v55, v36, 1, v55
	s_mov_b64 s[6:7], 0
.LBB2929_69:                            ; =>This Inner Loop Header: Depth=1
	v_add_u32_e32 v64, v54, v51
	v_lshrrev_b32_e32 v65, 1, v64
	v_and_b32_e32 v64, -2, v64
	v_not_b32_e32 v66, v65
	v_add_u32_e32 v64, v39, v64
	v_lshl_add_u32 v66, v66, 1, v55
	ds_read_u16 v64, v64
	ds_read_u16 v66, v66
	v_add_u32_e32 v67, 1, v65
	s_waitcnt lgkmcnt(0)
	v_cmp_gt_i16_e32 vcc, v64, v66
	v_cndmask_b32_e32 v54, v54, v65, vcc
	v_cndmask_b32_e32 v51, v67, v51, vcc
	v_cmp_ge_u32_e32 vcc, v51, v54
	s_or_b64 s[6:7], vcc, s[6:7]
	s_andn2_b64 exec, exec, s[6:7]
	s_cbranch_execnz .LBB2929_69
; %bb.70:
	s_or_b64 exec, exec, s[6:7]
.LBB2929_71:
	s_or_b64 exec, exec, s[4:5]
	v_sub_u32_e32 v53, v53, v51
	v_add_u32_e32 v52, v51, v52
	v_add_u32_e32 v53, v53, v36
	v_cmp_le_u32_e32 vcc, v52, v36
	v_cmp_le_u32_e64 s[4:5], v53, v38
	s_or_b64 s[4:5], vcc, s[4:5]
	s_and_saveexec_b64 s[38:39], s[4:5]
	s_cbranch_execz .LBB2929_77
; %bb.72:
	v_cmp_lt_u32_e32 vcc, v52, v36
                                        ; implicit-def: $vgpr0
	s_and_saveexec_b64 s[4:5], vcc
	s_cbranch_execz .LBB2929_74
; %bb.73:
	v_lshl_add_u32 v0, v51, 1, v39
	ds_read_u16 v0, v0
.LBB2929_74:
	s_or_b64 exec, exec, s[4:5]
	v_cmp_ge_u32_e64 s[4:5], v53, v38
	v_cmp_lt_u32_e64 s[6:7], v53, v38
                                        ; implicit-def: $vgpr1
	s_and_saveexec_b64 s[10:11], s[6:7]
	s_cbranch_execz .LBB2929_76
; %bb.75:
	v_lshlrev_b32_e32 v1, 1, v53
	ds_read_u16 v1, v1
.LBB2929_76:
	s_or_b64 exec, exec, s[10:11]
	s_waitcnt lgkmcnt(0)
	v_cmp_le_i16_e64 s[6:7], v0, v1
	s_and_b64 s[6:7], vcc, s[6:7]
	s_or_b64 vcc, s[4:5], s[6:7]
	v_cndmask_b32_e32 v2, v53, v52, vcc
	v_cndmask_b32_e32 v3, v38, v36, vcc
	v_add_u32_e32 v2, 1, v2
	v_add_u32_e32 v3, -1, v3
	v_min_u32_e32 v3, v2, v3
	v_lshlrev_b32_e32 v3, 1, v3
	ds_read_u16 v3, v3
	v_cndmask_b32_e32 v6, v2, v53, vcc
	v_cndmask_b32_e32 v2, v52, v2, vcc
	v_cmp_lt_u32_e64 s[6:7], v2, v36
	v_cmp_ge_u32_e64 s[4:5], v6, v38
	s_waitcnt lgkmcnt(0)
	v_cndmask_b32_e32 v7, v3, v1, vcc
	v_cndmask_b32_e32 v3, v0, v3, vcc
	v_cmp_le_i16_e64 s[10:11], v3, v7
	s_and_b64 s[6:7], s[6:7], s[10:11]
	s_or_b64 s[4:5], s[4:5], s[6:7]
	v_cndmask_b32_e64 v8, v6, v2, s[4:5]
	v_cndmask_b32_e64 v9, v38, v36, s[4:5]
	v_add_u32_e32 v8, 1, v8
	v_add_u32_e32 v9, -1, v9
	v_min_u32_e32 v9, v8, v9
	v_lshlrev_b32_e32 v9, 1, v9
	ds_read_u16 v9, v9
	v_cndmask_b32_e64 v2, v2, v8, s[4:5]
	v_cndmask_b32_e64 v6, v8, v6, s[4:5]
	v_cmp_lt_u32_e64 s[10:11], v2, v36
	v_cmp_ge_u32_e64 s[6:7], v6, v38
	s_waitcnt lgkmcnt(0)
	v_cndmask_b32_e64 v33, v9, v7, s[4:5]
	v_cndmask_b32_e64 v9, v3, v9, s[4:5]
	v_cmp_le_i16_e64 s[14:15], v9, v33
	s_and_b64 s[10:11], s[10:11], s[14:15]
	s_or_b64 s[10:11], s[6:7], s[10:11]
	v_cndmask_b32_e64 v8, v6, v2, s[10:11]
	v_cndmask_b32_e64 v32, v38, v36, s[10:11]
	v_add_u32_e32 v8, 1, v8
	v_add_u32_e32 v32, -1, v32
	v_min_u32_e32 v32, v8, v32
	v_lshlrev_b32_e32 v32, 1, v32
	ds_read_u16 v32, v32
	v_cndmask_b32_e64 v2, v2, v8, s[10:11]
	v_cndmask_b32_e64 v6, v8, v6, s[10:11]
	v_cmp_lt_u32_e64 s[14:15], v2, v36
	v_cmp_ge_u32_e64 s[6:7], v6, v38
	s_waitcnt lgkmcnt(0)
	v_cndmask_b32_e64 v34, v32, v33, s[10:11]
	v_cndmask_b32_e64 v35, v9, v32, s[10:11]
	;; [unrolled: 17-line block ×10, first 2 shown]
	v_cmp_le_i16_e64 s[34:35], v69, v68
	s_and_b64 s[30:31], s[30:31], s[34:35]
	s_or_b64 s[28:29], s[28:29], s[30:31]
	v_cndmask_b32_e64 v6, v70, v2, s[28:29]
	v_cndmask_b32_e64 v8, v38, v36, s[28:29]
	v_add_u32_e32 v71, 1, v6
	v_add_u32_e32 v6, -1, v8
	v_min_u32_e32 v6, v71, v6
	v_lshlrev_b32_e32 v6, 1, v6
	ds_read_u16 v8, v6
	v_cndmask_b32_e32 v6, v1, v0, vcc
	v_cndmask_b32_e64 v32, v7, v3, s[4:5]
	v_cndmask_b32_e64 v1, v2, v71, s[28:29]
	;; [unrolled: 1-line block ×3, first 2 shown]
	s_waitcnt lgkmcnt(0)
	v_cndmask_b32_e64 v3, v8, v68, s[28:29]
	v_cndmask_b32_e64 v80, v69, v8, s[28:29]
	;; [unrolled: 1-line block ×3, first 2 shown]
	v_cmp_lt_u32_e64 s[4:5], v1, v36
	v_cmp_le_i16_e64 s[10:11], v80, v3
	v_cmp_ge_u32_e32 vcc, v0, v38
	s_and_b64 s[4:5], s[4:5], s[10:11]
	s_or_b64 vcc, vcc, s[4:5]
	v_cndmask_b32_e32 v2, v0, v1, vcc
	v_cndmask_b32_e32 v8, v38, v36, vcc
	v_add_u32_e32 v2, 1, v2
	v_add_u32_e32 v8, -1, v8
	v_min_u32_e32 v8, v2, v8
	v_lshlrev_b32_e32 v8, 1, v8
	ds_read_u16 v70, v8
	v_cndmask_b32_e64 v33, v34, v35, s[6:7]
	v_cndmask_b32_e64 v8, v37, v39, s[22:23]
	;; [unrolled: 1-line block ×3, first 2 shown]
	v_cndmask_b32_e32 v48, v2, v0, vcc
	s_waitcnt lgkmcnt(0)
	v_cndmask_b32_e32 v39, v70, v3, vcc
	v_cndmask_b32_e32 v49, v80, v70, vcc
	;; [unrolled: 1-line block ×3, first 2 shown]
	v_cmp_lt_u32_e64 s[6:7], v2, v36
	v_cmp_le_i16_e64 s[10:11], v49, v39
	v_cmp_ge_u32_e64 s[4:5], v48, v38
	s_and_b64 s[6:7], s[6:7], s[10:11]
	s_or_b64 s[4:5], s[4:5], s[6:7]
	v_cndmask_b32_e64 v0, v48, v2, s[4:5]
	v_cndmask_b32_e64 v1, v38, v36, s[4:5]
	;; [unrolled: 1-line block ×3, first 2 shown]
	v_add_u32_e32 v50, 1, v0
	v_add_u32_e32 v0, -1, v1
	v_min_u32_e32 v0, v50, v0
	v_lshlrev_b32_e32 v0, 1, v0
	ds_read_u16 v51, v0
	v_cndmask_b32_e64 v35, v52, v53, s[16:17]
	v_cndmask_b32_e64 v53, v50, v48, s[4:5]
	;; [unrolled: 1-line block ×3, first 2 shown]
	v_cmp_lt_u32_e64 s[10:11], v50, v36
	s_waitcnt lgkmcnt(0)
	v_cndmask_b32_e64 v52, v51, v39, s[4:5]
	v_cndmask_b32_e64 v51, v49, v51, s[4:5]
	v_cmp_le_i16_e64 s[14:15], v51, v52
	v_cmp_ge_u32_e64 s[6:7], v53, v38
	s_and_b64 s[10:11], s[10:11], s[14:15]
	s_or_b64 s[6:7], s[6:7], s[10:11]
	v_cndmask_b32_e64 v2, v53, v50, s[6:7]
	v_cndmask_b32_e64 v48, v38, v36, s[6:7]
	;; [unrolled: 1-line block ×3, first 2 shown]
	v_add_u32_e32 v54, 1, v2
	v_add_u32_e32 v2, -1, v48
	v_min_u32_e32 v2, v54, v2
	v_lshlrev_b32_e32 v2, 1, v2
	ds_read_u16 v55, v2
	v_cndmask_b32_e32 v2, v3, v80, vcc
	v_cndmask_b32_e64 v49, v39, v49, s[4:5]
	v_cndmask_b32_e64 v3, v52, v51, s[6:7]
	;; [unrolled: 1-line block ×3, first 2 shown]
	s_waitcnt lgkmcnt(0)
	v_cndmask_b32_e64 v39, v51, v55, s[6:7]
	v_cndmask_b32_e64 v52, v55, v52, s[6:7]
	;; [unrolled: 1-line block ×3, first 2 shown]
	v_min_i16_e32 v53, v39, v52
	v_cmp_lt_u32_e32 vcc, v50, v36
	v_cndmask_b32_e32 v36, v52, v53, vcc
	v_cmp_lt_u32_e32 vcc, v51, v38
	v_cndmask_b32_e64 v37, v64, v65, s[24:25]
	v_cndmask_b32_e64 v1, v66, v67, s[26:27]
	;; [unrolled: 1-line block ×3, first 2 shown]
	v_cndmask_b32_e32 v50, v39, v36, vcc
.LBB2929_77:
	s_or_b64 exec, exec, s[38:39]
	s_mov_b32 s4, 0x5040100
	v_and_b32_e32 v39, 0x3000, v17
	v_perm_b32 v55, v35, v9, s4
	v_perm_b32 v54, v34, v8, s4
	;; [unrolled: 1-line block ×4, first 2 shown]
	v_or_b32_e32 v36, 0x800, v39
	s_barrier
	ds_write_b128 v31, v[52:55]
	v_perm_b32 v55, v50, v3, s4
	v_perm_b32 v54, v49, v2, s4
	;; [unrolled: 1-line block ×4, first 2 shown]
	v_min_u32_e32 v36, 0x1000, v36
	ds_write_b128 v31, v[52:55] offset:16
	v_and_b32_e32 v51, 0xff0, v17
	v_sub_u32_e32 v52, v36, v39
	v_sub_u32_e32 v38, 0x1000, v36
	v_sub_u32_e64 v38, v51, v38 clamp
	v_min_u32_e32 v52, v51, v52
	v_lshlrev_b32_e32 v17, 1, v39
	v_cmp_lt_u32_e32 vcc, v38, v52
	s_waitcnt lgkmcnt(0)
	s_barrier
	s_and_saveexec_b64 s[4:5], vcc
	s_cbranch_execz .LBB2929_81
; %bb.78:
	v_lshlrev_b32_e32 v53, 1, v51
	v_lshl_add_u32 v53, v36, 1, v53
	s_mov_b64 s[6:7], 0
.LBB2929_79:                            ; =>This Inner Loop Header: Depth=1
	v_add_u32_e32 v54, v52, v38
	v_lshrrev_b32_e32 v55, 1, v54
	v_and_b32_e32 v54, -2, v54
	v_not_b32_e32 v64, v55
	v_add_u32_e32 v54, v17, v54
	v_lshl_add_u32 v64, v64, 1, v53
	ds_read_u16 v54, v54
	ds_read_u16 v64, v64
	v_add_u32_e32 v65, 1, v55
	s_waitcnt lgkmcnt(0)
	v_cmp_gt_i16_e32 vcc, v54, v64
	v_cndmask_b32_e32 v52, v52, v55, vcc
	v_cndmask_b32_e32 v38, v65, v38, vcc
	v_cmp_ge_u32_e32 vcc, v38, v52
	s_or_b64 s[6:7], vcc, s[6:7]
	s_andn2_b64 exec, exec, s[6:7]
	s_cbranch_execnz .LBB2929_79
; %bb.80:
	s_or_b64 exec, exec, s[6:7]
.LBB2929_81:
	s_or_b64 exec, exec, s[4:5]
	v_sub_u32_e32 v51, v51, v38
	v_add_u32_e32 v39, v38, v39
	v_add_u32_e32 v51, v51, v36
	s_movk_i32 s4, 0x1001
	v_cmp_le_u32_e32 vcc, v39, v36
	v_cmp_gt_u32_e64 s[4:5], s4, v51
	s_or_b64 s[4:5], vcc, s[4:5]
	s_and_saveexec_b64 s[38:39], s[4:5]
	s_cbranch_execz .LBB2929_87
; %bb.82:
	v_cmp_lt_u32_e32 vcc, v39, v36
                                        ; implicit-def: $vgpr0
	s_and_saveexec_b64 s[4:5], vcc
	s_cbranch_execz .LBB2929_84
; %bb.83:
	v_lshl_add_u32 v0, v38, 1, v17
	ds_read_u16 v0, v0
.LBB2929_84:
	s_or_b64 exec, exec, s[4:5]
	s_movk_i32 s41, 0xfff
	s_movk_i32 s40, 0x1000
	v_cmp_lt_u32_e64 s[4:5], s41, v51
	v_cmp_gt_u32_e64 s[6:7], s40, v51
                                        ; implicit-def: $vgpr1
	s_and_saveexec_b64 s[10:11], s[6:7]
	s_cbranch_execz .LBB2929_86
; %bb.85:
	v_lshlrev_b32_e32 v1, 1, v51
	ds_read_u16 v1, v1
.LBB2929_86:
	s_or_b64 exec, exec, s[10:11]
	s_waitcnt lgkmcnt(0)
	v_cmp_le_i16_e64 s[6:7], v0, v1
	s_and_b64 s[6:7], vcc, s[6:7]
	s_or_b64 vcc, s[4:5], s[6:7]
	v_cndmask_b32_e32 v2, v51, v39, vcc
	v_add_u32_e32 v3, -1, v36
	v_mov_b32_e32 v17, 0xfff
	v_add_u32_e32 v2, 1, v2
	v_cndmask_b32_e32 v6, v17, v3, vcc
	v_min_u32_e32 v6, v2, v6
	v_lshlrev_b32_e32 v6, 1, v6
	ds_read_u16 v6, v6
	s_waitcnt lgkmcnt(0)
	v_cndmask_b32_e32 v7, v6, v1, vcc
	v_cndmask_b32_e32 v8, v0, v6, vcc
	;; [unrolled: 1-line block ×4, first 2 shown]
	v_cmp_lt_u32_e64 s[6:7], v2, v36
	v_cmp_le_i16_e64 s[10:11], v8, v7
	v_cmp_lt_u32_e64 s[4:5], s41, v6
	s_and_b64 s[6:7], s[6:7], s[10:11]
	s_or_b64 s[4:5], s[4:5], s[6:7]
	v_cndmask_b32_e64 v9, v6, v2, s[4:5]
	v_add_u32_e32 v9, 1, v9
	v_cndmask_b32_e64 v32, v17, v3, s[4:5]
	v_min_u32_e32 v32, v9, v32
	v_lshlrev_b32_e32 v32, 1, v32
	ds_read_u16 v32, v32
	v_cndmask_b32_e64 v2, v2, v9, s[4:5]
	v_cndmask_b32_e64 v6, v9, v6, s[4:5]
	v_cmp_lt_u32_e64 s[10:11], v2, v36
	v_cmp_lt_u32_e64 s[6:7], s41, v6
	s_waitcnt lgkmcnt(0)
	v_cndmask_b32_e64 v33, v32, v7, s[4:5]
	v_cndmask_b32_e64 v34, v8, v32, s[4:5]
	v_cmp_le_i16_e64 s[14:15], v34, v33
	s_and_b64 s[10:11], s[10:11], s[14:15]
	s_or_b64 s[10:11], s[6:7], s[10:11]
	v_cndmask_b32_e64 v9, v6, v2, s[10:11]
	v_add_u32_e32 v9, 1, v9
	v_cndmask_b32_e64 v32, v17, v3, s[10:11]
	v_min_u32_e32 v32, v9, v32
	v_lshlrev_b32_e32 v32, 1, v32
	ds_read_u16 v32, v32
	v_cndmask_b32_e64 v2, v2, v9, s[10:11]
	v_cndmask_b32_e64 v6, v9, v6, s[10:11]
	v_cmp_lt_u32_e64 s[14:15], v2, v36
	v_cmp_lt_u32_e64 s[6:7], s41, v6
	s_waitcnt lgkmcnt(0)
	v_cndmask_b32_e64 v35, v32, v33, s[10:11]
	v_cndmask_b32_e64 v37, v34, v32, s[10:11]
	v_cmp_le_i16_e64 s[16:17], v37, v35
	;; [unrolled: 16-line block ×10, first 2 shown]
	s_and_b64 s[30:31], s[30:31], s[34:35]
	s_or_b64 s[28:29], s[28:29], s[30:31]
	v_cndmask_b32_e64 v6, v70, v2, s[28:29]
	v_add_u32_e32 v9, 1, v6
	v_cndmask_b32_e64 v6, v17, v3, s[28:29]
	v_min_u32_e32 v6, v9, v6
	v_lshlrev_b32_e32 v6, 1, v6
	ds_read_u16 v71, v6
	v_cndmask_b32_e32 v6, v1, v0, vcc
	v_cndmask_b32_e64 v1, v2, v9, s[28:29]
	v_cndmask_b32_e64 v32, v7, v8, s[4:5]
	;; [unrolled: 1-line block ×3, first 2 shown]
	s_waitcnt lgkmcnt(0)
	v_cndmask_b32_e64 v80, v71, v68, s[28:29]
	v_cndmask_b32_e64 v71, v69, v71, s[28:29]
	;; [unrolled: 1-line block ×3, first 2 shown]
	v_cmp_lt_u32_e64 s[4:5], v1, v36
	v_cmp_le_i16_e64 s[10:11], v71, v80
	v_cmp_lt_u32_e32 vcc, s41, v0
	s_and_b64 s[4:5], s[4:5], s[10:11]
	s_or_b64 vcc, vcc, s[4:5]
	v_cndmask_b32_e32 v2, v0, v1, vcc
	v_add_u32_e32 v2, 1, v2
	v_cndmask_b32_e32 v8, v17, v3, vcc
	v_min_u32_e32 v8, v2, v8
	v_lshlrev_b32_e32 v8, 1, v8
	ds_read_u16 v70, v8
	v_cndmask_b32_e64 v8, v38, v39, s[20:21]
	v_cndmask_b32_e64 v34, v48, v49, s[14:15]
	v_cndmask_b32_e32 v48, v2, v0, vcc
	v_cndmask_b32_e32 v2, v1, v2, vcc
	s_waitcnt lgkmcnt(0)
	v_cndmask_b32_e32 v38, v70, v80, vcc
	v_cndmask_b32_e32 v39, v71, v70, vcc
	v_cndmask_b32_e64 v33, v35, v37, s[6:7]
	v_cmp_lt_u32_e64 s[6:7], v2, v36
	v_cmp_le_i16_e64 s[10:11], v39, v38
	v_cmp_lt_u32_e64 s[4:5], s41, v48
	s_and_b64 s[6:7], s[6:7], s[10:11]
	s_or_b64 s[4:5], s[4:5], s[6:7]
	v_cndmask_b32_e64 v0, v48, v2, s[4:5]
	v_add_u32_e32 v49, 1, v0
	v_cndmask_b32_e64 v0, v17, v3, s[4:5]
	v_min_u32_e32 v0, v49, v0
	v_lshlrev_b32_e32 v0, 1, v0
	v_cndmask_b32_e64 v9, v50, v51, s[18:19]
	ds_read_u16 v50, v0
	v_cndmask_b32_e64 v35, v52, v53, s[16:17]
	v_cndmask_b32_e64 v53, v2, v49, s[4:5]
	;; [unrolled: 1-line block ×3, first 2 shown]
	v_cmp_lt_u32_e64 s[10:11], v53, v36
	s_waitcnt lgkmcnt(0)
	v_cndmask_b32_e64 v51, v50, v38, s[4:5]
	v_cndmask_b32_e64 v50, v39, v50, s[4:5]
	v_cmp_le_i16_e64 s[14:15], v50, v51
	v_cmp_lt_u32_e64 s[6:7], s41, v52
	s_and_b64 s[10:11], s[10:11], s[14:15]
	s_or_b64 s[6:7], s[6:7], s[10:11]
	v_cndmask_b32_e64 v2, v52, v53, s[6:7]
	v_cndmask_b32_e64 v0, v54, v55, s[22:23]
	v_add_u32_e32 v54, 1, v2
	v_cndmask_b32_e64 v2, v17, v3, s[6:7]
	v_min_u32_e32 v2, v54, v2
	v_lshlrev_b32_e32 v2, 1, v2
	ds_read_u16 v17, v2
	v_cndmask_b32_e64 v49, v38, v39, s[4:5]
	v_cndmask_b32_e64 v3, v51, v50, s[6:7]
	v_cndmask_b32_e32 v2, v80, v71, vcc
	v_cndmask_b32_e64 v39, v54, v52, s[6:7]
	s_waitcnt lgkmcnt(0)
	v_cndmask_b32_e64 v38, v50, v17, s[6:7]
	v_cndmask_b32_e64 v17, v17, v51, s[6:7]
	;; [unrolled: 1-line block ×3, first 2 shown]
	v_min_i16_e32 v51, v38, v17
	v_cmp_lt_u32_e32 vcc, v50, v36
	v_cndmask_b32_e32 v17, v17, v51, vcc
	v_cmp_gt_u32_e32 vcc, s40, v39
	v_cndmask_b32_e64 v37, v64, v65, s[24:25]
	v_cndmask_b32_e64 v1, v66, v67, s[26:27]
	;; [unrolled: 1-line block ×3, first 2 shown]
	v_cndmask_b32_e32 v50, v38, v17, vcc
.LBB2929_87:
	s_or_b64 exec, exec, s[38:39]
	s_mov_b32 s4, 0x5040100
	v_lshl_add_u32 v17, v30, 1, v31
	v_perm_b32 v7, v33, v7, s4
	v_perm_b32 v6, v32, v6, s4
	;; [unrolled: 1-line block ×4, first 2 shown]
	s_barrier
	s_barrier
	ds_write2_b32 v17, v6, v7 offset1:1
	v_perm_b32 v6, v35, v9, s4
	v_perm_b32 v7, v34, v8, s4
	ds_write2_b32 v17, v0, v1 offset0:4 offset1:5
	v_perm_b32 v0, v50, v3, s4
	v_perm_b32 v1, v49, v2, s4
	ds_write2_b32 v17, v7, v6 offset0:2 offset1:3
	ds_write2_b32 v17, v1, v0 offset0:6 offset1:7
	s_waitcnt lgkmcnt(0)
	s_barrier
	ds_read_u16 v2, v10
	ds_read_u16 v3, v11 offset:512
	ds_read_u16 v7, v12 offset:1024
	;; [unrolled: 1-line block ×15, first 2 shown]
	v_add_co_u32_e32 v0, vcc, v4, v16
	v_addc_co_u32_e32 v1, vcc, 0, v5, vcc
	s_waitcnt lgkmcnt(14)
	flat_store_short v[0:1], v2
	flat_store_short v[0:1], v3 offset:512
	s_waitcnt lgkmcnt(0)
	flat_store_short v[0:1], v7 offset:1024
	flat_store_short v[0:1], v8 offset:1536
	;; [unrolled: 1-line block ×6, first 2 shown]
	v_add_co_u32_e32 v0, vcc, 0x1000, v0
	s_mov_b64 s[68:69], exec
	v_addc_co_u32_e32 v1, vcc, 0, v1, vcc
	flat_store_short v[0:1], v13
	flat_store_short v[0:1], v17 offset:512
	flat_store_short v[0:1], v18 offset:1024
	;; [unrolled: 1-line block ×6, first 2 shown]
                                        ; implicit-def: $vgpr0
                                        ; implicit-def: $vgpr2
                                        ; implicit-def: $vgpr3
                                        ; implicit-def: $vgpr32
                                        ; implicit-def: $vgpr31
                                        ; implicit-def: $vgpr16
                                        ; implicit-def: $vgpr1
                                        ; implicit-def: $vgpr17
                                        ; implicit-def: $vgpr30
	s_andn2_saveexec_b64 s[70:71], s[36:37]
	s_cbranch_execz .LBB2929_2
.LBB2929_88:
	v_cmp_lt_u32_e32 vcc, v14, v0
                                        ; implicit-def: $vgpr6_vgpr7_vgpr8_vgpr9_vgpr10_vgpr11_vgpr12_vgpr13
	s_and_saveexec_b64 s[6:7], vcc
	s_cbranch_execz .LBB2929_90
; %bb.89:
	v_add_co_u32_e64 v6, s[4:5], v2, v16
	v_addc_co_u32_e64 v7, s[4:5], 0, v3, s[4:5]
	flat_load_ushort v6, v[6:7]
.LBB2929_90:
	s_or_b64 exec, exec, s[6:7]
	v_add_u32_e32 v15, 0x100, v14
	v_cmp_lt_u32_e64 s[4:5], v15, v0
	s_and_saveexec_b64 s[10:11], s[4:5]
	s_cbranch_execz .LBB2929_92
; %bb.91:
	v_add_co_u32_e64 v18, s[6:7], v2, v16
	v_addc_co_u32_e64 v19, s[6:7], 0, v3, s[6:7]
	flat_load_ushort v18, v[18:19] offset:512
	s_mov_b32 s6, 0x5040100
	s_waitcnt vmcnt(0) lgkmcnt(0)
	v_perm_b32 v6, v18, v6, s6
.LBB2929_92:
	s_or_b64 exec, exec, s[10:11]
	v_add_u32_e32 v18, 0x200, v14
	v_cmp_lt_u32_e64 s[6:7], v18, v0
	s_and_saveexec_b64 s[14:15], s[6:7]
	s_cbranch_execz .LBB2929_94
; %bb.93:
	v_add_co_u32_e64 v20, s[10:11], v2, v16
	v_addc_co_u32_e64 v21, s[10:11], 0, v3, s[10:11]
	flat_load_ushort v19, v[20:21] offset:1024
	s_mov_b32 s10, 0xffff
	s_waitcnt vmcnt(0) lgkmcnt(0)
	v_bfi_b32 v7, s10, v19, v7
.LBB2929_94:
	s_or_b64 exec, exec, s[14:15]
	v_add_u32_e32 v19, 0x300, v14
	v_cmp_lt_u32_e64 s[36:37], v19, v0
	s_and_saveexec_b64 s[14:15], s[36:37]
	s_cbranch_execz .LBB2929_96
; %bb.95:
	v_add_co_u32_e64 v20, s[10:11], v2, v16
	v_addc_co_u32_e64 v21, s[10:11], 0, v3, s[10:11]
	flat_load_ushort v20, v[20:21] offset:1536
	s_mov_b32 s10, 0x5040100
	s_waitcnt vmcnt(0) lgkmcnt(0)
	v_perm_b32 v7, v20, v7, s10
.LBB2929_96:
	s_or_b64 exec, exec, s[14:15]
	v_or_b32_e32 v20, 0x400, v14
	v_cmp_lt_u32_e64 s[10:11], v20, v0
	s_and_saveexec_b64 s[16:17], s[10:11]
	s_cbranch_execz .LBB2929_98
; %bb.97:
	v_add_co_u32_e64 v22, s[14:15], v2, v16
	v_addc_co_u32_e64 v23, s[14:15], 0, v3, s[14:15]
	flat_load_ushort v21, v[22:23] offset:2048
	s_mov_b32 s14, 0xffff
	s_waitcnt vmcnt(0) lgkmcnt(0)
	v_bfi_b32 v8, s14, v21, v8
.LBB2929_98:
	s_or_b64 exec, exec, s[16:17]
	v_add_u32_e32 v21, 0x500, v14
	v_cmp_lt_u32_e64 s[66:67], v21, v0
	s_and_saveexec_b64 s[16:17], s[66:67]
	s_cbranch_execz .LBB2929_100
; %bb.99:
	v_add_co_u32_e64 v22, s[14:15], v2, v16
	v_addc_co_u32_e64 v23, s[14:15], 0, v3, s[14:15]
	flat_load_ushort v22, v[22:23] offset:2560
	s_mov_b32 s14, 0x5040100
	s_waitcnt vmcnt(0) lgkmcnt(0)
	v_perm_b32 v8, v22, v8, s14
.LBB2929_100:
	s_or_b64 exec, exec, s[16:17]
	v_add_u32_e32 v22, 0x600, v14
	v_cmp_lt_u32_e64 s[14:15], v22, v0
	s_and_saveexec_b64 s[18:19], s[14:15]
	s_cbranch_execz .LBB2929_102
; %bb.101:
	v_add_co_u32_e64 v24, s[16:17], v2, v16
	v_addc_co_u32_e64 v25, s[16:17], 0, v3, s[16:17]
	flat_load_ushort v23, v[24:25] offset:3072
	s_mov_b32 s16, 0xffff
	s_waitcnt vmcnt(0) lgkmcnt(0)
	v_bfi_b32 v9, s16, v23, v9
.LBB2929_102:
	s_or_b64 exec, exec, s[18:19]
	v_add_u32_e32 v23, 0x700, v14
	v_cmp_lt_u32_e64 s[16:17], v23, v0
	s_and_saveexec_b64 s[20:21], s[16:17]
	s_cbranch_execz .LBB2929_104
; %bb.103:
	v_add_co_u32_e64 v24, s[18:19], v2, v16
	v_addc_co_u32_e64 v25, s[18:19], 0, v3, s[18:19]
	flat_load_ushort v24, v[24:25] offset:3584
	s_mov_b32 s18, 0x5040100
	s_waitcnt vmcnt(0) lgkmcnt(0)
	v_perm_b32 v9, v24, v9, s18
.LBB2929_104:
	s_or_b64 exec, exec, s[20:21]
	v_or_b32_e32 v24, 0x800, v14
	v_cmp_lt_u32_e64 s[18:19], v24, v0
	s_and_saveexec_b64 s[22:23], s[18:19]
	s_cbranch_execz .LBB2929_106
; %bb.105:
	v_lshlrev_b32_e32 v25, 1, v24
	v_add_co_u32_e64 v26, s[20:21], v2, v25
	v_addc_co_u32_e64 v27, s[20:21], 0, v3, s[20:21]
	flat_load_ushort v25, v[26:27]
	s_mov_b32 s20, 0xffff
	s_waitcnt vmcnt(0) lgkmcnt(0)
	v_bfi_b32 v10, s20, v25, v10
.LBB2929_106:
	s_or_b64 exec, exec, s[22:23]
	v_add_u32_e32 v25, 0x900, v14
	v_cmp_lt_u32_e64 s[20:21], v25, v0
	s_and_saveexec_b64 s[24:25], s[20:21]
	s_cbranch_execz .LBB2929_108
; %bb.107:
	v_lshlrev_b32_e32 v26, 1, v25
	v_add_co_u32_e64 v26, s[22:23], v2, v26
	v_addc_co_u32_e64 v27, s[22:23], 0, v3, s[22:23]
	flat_load_ushort v26, v[26:27]
	s_mov_b32 s22, 0x5040100
	s_waitcnt vmcnt(0) lgkmcnt(0)
	v_perm_b32 v10, v26, v10, s22
.LBB2929_108:
	s_or_b64 exec, exec, s[24:25]
	v_add_u32_e32 v26, 0xa00, v14
	v_cmp_lt_u32_e64 s[22:23], v26, v0
	s_and_saveexec_b64 s[26:27], s[22:23]
	s_cbranch_execz .LBB2929_110
; %bb.109:
	v_lshlrev_b32_e32 v27, 1, v26
	v_add_co_u32_e64 v28, s[24:25], v2, v27
	v_addc_co_u32_e64 v29, s[24:25], 0, v3, s[24:25]
	flat_load_ushort v27, v[28:29]
	s_mov_b32 s24, 0xffff
	s_waitcnt vmcnt(0) lgkmcnt(0)
	v_bfi_b32 v11, s24, v27, v11
.LBB2929_110:
	s_or_b64 exec, exec, s[26:27]
	v_add_u32_e32 v27, 0xb00, v14
	v_cmp_lt_u32_e64 s[24:25], v27, v0
	s_and_saveexec_b64 s[28:29], s[24:25]
	s_cbranch_execz .LBB2929_112
; %bb.111:
	v_lshlrev_b32_e32 v28, 1, v27
	v_add_co_u32_e64 v28, s[26:27], v2, v28
	v_addc_co_u32_e64 v29, s[26:27], 0, v3, s[26:27]
	flat_load_ushort v28, v[28:29]
	s_mov_b32 s26, 0x5040100
	s_waitcnt vmcnt(0) lgkmcnt(0)
	v_perm_b32 v11, v28, v11, s26
.LBB2929_112:
	s_or_b64 exec, exec, s[28:29]
	v_or_b32_e32 v28, 0xc00, v14
	v_cmp_lt_u32_e64 s[26:27], v28, v0
	s_and_saveexec_b64 s[30:31], s[26:27]
	s_cbranch_execz .LBB2929_114
; %bb.113:
	v_lshlrev_b32_e32 v29, 1, v28
	v_add_co_u32_e64 v34, s[28:29], v2, v29
	v_addc_co_u32_e64 v35, s[28:29], 0, v3, s[28:29]
	flat_load_ushort v29, v[34:35]
	s_mov_b32 s28, 0xffff
	s_waitcnt vmcnt(0) lgkmcnt(0)
	v_bfi_b32 v12, s28, v29, v12
.LBB2929_114:
	s_or_b64 exec, exec, s[30:31]
	v_add_u32_e32 v29, 0xd00, v14
	v_cmp_lt_u32_e64 s[28:29], v29, v0
	s_and_saveexec_b64 s[34:35], s[28:29]
	s_cbranch_execz .LBB2929_116
; %bb.115:
	v_lshlrev_b32_e32 v33, 1, v29
	v_add_co_u32_e64 v34, s[30:31], v2, v33
	v_addc_co_u32_e64 v35, s[30:31], 0, v3, s[30:31]
	flat_load_ushort v33, v[34:35]
	s_mov_b32 s30, 0x5040100
	s_waitcnt vmcnt(0) lgkmcnt(0)
	v_perm_b32 v12, v33, v12, s30
.LBB2929_116:
	s_or_b64 exec, exec, s[34:35]
	v_add_u32_e32 v33, 0xe00, v14
	v_cmp_lt_u32_e64 s[30:31], v33, v0
	s_and_saveexec_b64 s[38:39], s[30:31]
	s_cbranch_execz .LBB2929_118
; %bb.117:
	v_lshlrev_b32_e32 v34, 1, v33
	v_add_co_u32_e64 v34, s[34:35], v2, v34
	v_addc_co_u32_e64 v35, s[34:35], 0, v3, s[34:35]
	flat_load_ushort v34, v[34:35]
	s_mov_b32 s34, 0xffff
	s_waitcnt vmcnt(0) lgkmcnt(0)
	v_bfi_b32 v13, s34, v34, v13
.LBB2929_118:
	s_or_b64 exec, exec, s[38:39]
	v_add_u32_e32 v34, 0xf00, v14
	v_cmp_lt_u32_e64 s[34:35], v34, v0
	s_and_saveexec_b64 s[40:41], s[34:35]
	s_cbranch_execz .LBB2929_120
; %bb.119:
	v_lshlrev_b32_e32 v35, 1, v34
	v_add_co_u32_e64 v2, s[38:39], v2, v35
	v_addc_co_u32_e64 v3, s[38:39], 0, v3, s[38:39]
	flat_load_ushort v2, v[2:3]
	s_mov_b32 s38, 0x5040100
	s_waitcnt vmcnt(0) lgkmcnt(0)
	v_perm_b32 v13, v2, v13, s38
.LBB2929_120:
	s_or_b64 exec, exec, s[40:41]
	v_and_b32_e32 v1, 60, v1
	v_add_u32_e32 v2, v1, v16
	v_lshrrev_b32_e32 v1, 4, v15
	v_and_b32_e32 v1, 0x7c, v1
	v_add_u32_e32 v1, v1, v16
	s_waitcnt vmcnt(0) lgkmcnt(0)
	ds_write_b16 v2, v6
	ds_write_b16_d16_hi v1, v6 offset:512
	v_lshrrev_b32_e32 v6, 4, v19
	v_and_b32_e32 v6, 0x7c, v6
	v_add_u32_e32 v15, v6, v16
	v_lshrrev_b32_e32 v6, 4, v20
	v_and_b32_e32 v6, 0x7c, v6
	v_lshrrev_b32_e32 v3, 4, v18
	v_add_u32_e32 v18, v6, v16
	v_lshrrev_b32_e32 v6, 4, v21
	v_and_b32_e32 v6, 0xfc, v6
	v_add_u32_e32 v19, v6, v16
	v_lshrrev_b32_e32 v6, 4, v22
	v_and_b32_e32 v6, 0xfc, v6
	;; [unrolled: 3-line block ×11, first 2 shown]
	v_and_b32_e32 v6, 0x1fc, v6
	v_and_b32_e32 v30, 0x1fe, v30
	v_add_u32_e32 v3, v3, v16
	ds_write_b16 v26, v12 offset:6144
	ds_write_b16_d16_hi v27, v12 offset:6656
	v_add_u32_e32 v29, v6, v16
	v_add_lshl_u32 v12, v30, v17, 1
	ds_write_b16 v3, v7 offset:1024
	ds_write_b16_d16_hi v15, v7 offset:1536
	ds_write_b16 v18, v8 offset:2048
	ds_write_b16_d16_hi v19, v8 offset:2560
	;; [unrolled: 2-line block ×6, first 2 shown]
	s_waitcnt lgkmcnt(0)
	s_barrier
	ds_read2_b32 v[6:7], v12 offset1:1
	ds_read2_b32 v[8:9], v12 offset0:2 offset1:3
	ds_read2_b32 v[10:11], v12 offset0:4 offset1:5
	;; [unrolled: 1-line block ×3, first 2 shown]
	s_waitcnt lgkmcnt(0)
	s_barrier
	s_load_dwordx2 s[38:39], s[8:9], 0x0
	v_mov_b32_e32 v33, 0
	s_waitcnt lgkmcnt(0)
	s_cmp_lt_u32 s12, s38
	s_cselect_b32 s38, 12, 18
	s_cmp_lt_u32 s13, s39
	s_cselect_b32 s12, 14, 20
	s_add_u32 s12, s8, s12
	s_addc_u32 s13, s9, 0
	s_add_u32 s8, s8, s38
	s_addc_u32 s9, s9, 0
	global_load_ushort v34, v33, s[12:13]
	global_load_ushort v35, v33, s[8:9]
	v_cmp_gt_i16_sdwa s[8:9], v6, v6 src0_sel:DWORD src1_sel:WORD_1
	v_alignbit_b32 v33, v6, v6, 16
	s_waitcnt vmcnt(1)
	v_mad_u32_u24 v31, v31, v34, v32
	s_waitcnt vmcnt(0)
	v_mul_lo_u32 v31, v31, v35
	v_add_lshl_u32 v31, v31, v14, 4
	v_sub_u32_e64 v32, v0, v31 clamp
	v_cmp_lt_u32_e64 s[38:39], 1, v32
	s_and_b64 s[8:9], s[38:39], s[8:9]
	v_cndmask_b32_e64 v6, v6, v33, s[8:9]
	v_cmp_lt_u32_e64 s[8:9], 3, v32
	s_and_saveexec_b64 s[40:41], s[8:9]
	s_cbranch_execnz .LBB2929_294
; %bb.121:
	s_or_b64 exec, exec, s[40:41]
	v_cmp_lt_u32_e64 s[40:41], 5, v32
	s_and_saveexec_b64 s[42:43], s[40:41]
	s_cbranch_execnz .LBB2929_295
.LBB2929_122:
	s_or_b64 exec, exec, s[42:43]
	v_cmp_lt_u32_e64 s[42:43], 7, v32
	s_and_saveexec_b64 s[44:45], s[42:43]
	s_cbranch_execnz .LBB2929_296
.LBB2929_123:
	s_or_b64 exec, exec, s[44:45]
	v_cmp_lt_u32_e64 s[44:45], 9, v32
	s_and_saveexec_b64 s[46:47], s[44:45]
	s_cbranch_execnz .LBB2929_297
.LBB2929_124:
	s_or_b64 exec, exec, s[46:47]
	v_cmp_lt_u32_e64 s[46:47], 11, v32
	s_and_saveexec_b64 s[48:49], s[46:47]
	s_cbranch_execnz .LBB2929_298
.LBB2929_125:
	s_or_b64 exec, exec, s[48:49]
	v_cmp_lt_u32_e64 s[48:49], 13, v32
	s_and_saveexec_b64 s[50:51], s[48:49]
	s_cbranch_execnz .LBB2929_299
.LBB2929_126:
	s_or_b64 exec, exec, s[50:51]
	v_cmp_lt_u32_e64 s[50:51], 15, v32
	s_and_saveexec_b64 s[52:53], s[50:51]
.LBB2929_127:
	v_alignbit_b32 v33, v13, v13, 16
	v_cmp_gt_i16_sdwa s[12:13], v13, v13 src0_sel:DWORD src1_sel:WORD_1
	v_cndmask_b32_e64 v13, v13, v33, s[12:13]
.LBB2929_128:
	s_or_b64 exec, exec, s[52:53]
	v_cmp_lt_u32_e64 s[52:53], 2, v32
	s_and_saveexec_b64 s[12:13], s[52:53]
	s_xor_b64 s[54:55], exec, s[12:13]
	s_cbranch_execnz .LBB2929_300
; %bb.129:
	s_or_b64 exec, exec, s[54:55]
	v_cmp_lt_u32_e64 s[54:55], 4, v32
	s_and_saveexec_b64 s[56:57], s[54:55]
	s_cbranch_execnz .LBB2929_301
.LBB2929_130:
	s_or_b64 exec, exec, s[56:57]
	v_cmp_lt_u32_e64 s[56:57], 6, v32
	s_and_saveexec_b64 s[58:59], s[56:57]
	s_cbranch_execnz .LBB2929_302
.LBB2929_131:
	s_or_b64 exec, exec, s[58:59]
	v_cmp_lt_u32_e64 s[58:59], 8, v32
	s_and_saveexec_b64 s[60:61], s[58:59]
	s_cbranch_execnz .LBB2929_303
.LBB2929_132:
	s_or_b64 exec, exec, s[60:61]
	v_cmp_lt_u32_e64 s[60:61], 10, v32
	s_and_saveexec_b64 s[62:63], s[60:61]
	s_cbranch_execnz .LBB2929_304
.LBB2929_133:
	s_or_b64 exec, exec, s[62:63]
	v_cmp_lt_u32_e64 s[62:63], 12, v32
	s_and_saveexec_b64 s[64:65], s[62:63]
	s_cbranch_execnz .LBB2929_305
.LBB2929_134:
	s_or_b64 exec, exec, s[64:65]
	v_cmp_lt_u32_e64 s[64:65], 14, v32
	s_and_saveexec_b64 s[72:73], s[64:65]
.LBB2929_135:
	s_mov_b32 s12, 0x5040100
	v_perm_b32 v32, v13, v12, s12
	s_mov_b32 s12, 0x7060302
	v_perm_b32 v33, v13, v12, s12
	v_cmp_gt_i16_sdwa s[12:13], v12, v13 src0_sel:WORD_1 src1_sel:DWORD
	v_cndmask_b32_e64 v13, v13, v33, s[12:13]
	v_cndmask_b32_e64 v12, v12, v32, s[12:13]
.LBB2929_136:
	s_or_b64 exec, exec, s[72:73]
	v_cmp_gt_i16_sdwa s[12:13], v6, v6 src0_sel:DWORD src1_sel:WORD_1
	v_alignbit_b32 v32, v6, v6, 16
	s_and_b64 s[12:13], s[38:39], s[12:13]
	v_cndmask_b32_e64 v6, v6, v32, s[12:13]
	s_and_saveexec_b64 s[72:73], s[8:9]
	s_cbranch_execnz .LBB2929_306
; %bb.137:
	s_or_b64 exec, exec, s[72:73]
	s_and_saveexec_b64 s[72:73], s[40:41]
	s_cbranch_execnz .LBB2929_307
.LBB2929_138:
	s_or_b64 exec, exec, s[72:73]
	s_and_saveexec_b64 s[72:73], s[42:43]
	s_cbranch_execnz .LBB2929_308
.LBB2929_139:
	s_or_b64 exec, exec, s[72:73]
	s_and_saveexec_b64 s[72:73], s[44:45]
	s_cbranch_execnz .LBB2929_309
.LBB2929_140:
	s_or_b64 exec, exec, s[72:73]
	s_and_saveexec_b64 s[72:73], s[46:47]
	s_cbranch_execnz .LBB2929_310
.LBB2929_141:
	s_or_b64 exec, exec, s[72:73]
	s_and_saveexec_b64 s[72:73], s[48:49]
	s_cbranch_execnz .LBB2929_311
.LBB2929_142:
	s_or_b64 exec, exec, s[72:73]
	s_and_saveexec_b64 s[72:73], s[50:51]
	s_cbranch_execnz .LBB2929_312
.LBB2929_143:
	s_or_b64 exec, exec, s[72:73]
	s_and_saveexec_b64 s[72:73], s[52:53]
	s_cbranch_execnz .LBB2929_313
.LBB2929_144:
	s_or_b64 exec, exec, s[72:73]
	s_and_saveexec_b64 s[72:73], s[54:55]
	s_cbranch_execnz .LBB2929_314
.LBB2929_145:
	s_or_b64 exec, exec, s[72:73]
	s_and_saveexec_b64 s[72:73], s[56:57]
	s_cbranch_execnz .LBB2929_315
.LBB2929_146:
	s_or_b64 exec, exec, s[72:73]
	s_and_saveexec_b64 s[72:73], s[58:59]
	s_cbranch_execnz .LBB2929_316
.LBB2929_147:
	s_or_b64 exec, exec, s[72:73]
	s_and_saveexec_b64 s[72:73], s[60:61]
	s_cbranch_execnz .LBB2929_317
.LBB2929_148:
	s_or_b64 exec, exec, s[72:73]
	s_and_saveexec_b64 s[72:73], s[62:63]
	s_cbranch_execnz .LBB2929_318
.LBB2929_149:
	s_or_b64 exec, exec, s[72:73]
	s_and_saveexec_b64 s[72:73], s[64:65]
.LBB2929_150:
	s_mov_b32 s12, 0x5040100
	v_perm_b32 v32, v13, v12, s12
	s_mov_b32 s12, 0x7060302
	v_perm_b32 v33, v13, v12, s12
	v_cmp_gt_i16_sdwa s[12:13], v12, v13 src0_sel:WORD_1 src1_sel:DWORD
	v_cndmask_b32_e64 v13, v13, v33, s[12:13]
	v_cndmask_b32_e64 v12, v12, v32, s[12:13]
.LBB2929_151:
	s_or_b64 exec, exec, s[72:73]
	v_cmp_gt_i16_sdwa s[12:13], v6, v6 src0_sel:DWORD src1_sel:WORD_1
	v_alignbit_b32 v32, v6, v6, 16
	s_and_b64 s[12:13], s[38:39], s[12:13]
	v_cndmask_b32_e64 v6, v6, v32, s[12:13]
	s_and_saveexec_b64 s[72:73], s[8:9]
	s_cbranch_execnz .LBB2929_319
; %bb.152:
	s_or_b64 exec, exec, s[72:73]
	s_and_saveexec_b64 s[72:73], s[40:41]
	s_cbranch_execnz .LBB2929_320
.LBB2929_153:
	s_or_b64 exec, exec, s[72:73]
	s_and_saveexec_b64 s[72:73], s[42:43]
	s_cbranch_execnz .LBB2929_321
.LBB2929_154:
	s_or_b64 exec, exec, s[72:73]
	s_and_saveexec_b64 s[72:73], s[44:45]
	s_cbranch_execnz .LBB2929_322
.LBB2929_155:
	s_or_b64 exec, exec, s[72:73]
	s_and_saveexec_b64 s[72:73], s[46:47]
	s_cbranch_execnz .LBB2929_323
.LBB2929_156:
	s_or_b64 exec, exec, s[72:73]
	s_and_saveexec_b64 s[72:73], s[48:49]
	s_cbranch_execnz .LBB2929_324
.LBB2929_157:
	s_or_b64 exec, exec, s[72:73]
	s_and_saveexec_b64 s[72:73], s[50:51]
	s_cbranch_execnz .LBB2929_325
.LBB2929_158:
	s_or_b64 exec, exec, s[72:73]
	s_and_saveexec_b64 s[72:73], s[52:53]
	s_cbranch_execnz .LBB2929_326
.LBB2929_159:
	s_or_b64 exec, exec, s[72:73]
	s_and_saveexec_b64 s[72:73], s[54:55]
	s_cbranch_execnz .LBB2929_327
.LBB2929_160:
	s_or_b64 exec, exec, s[72:73]
	s_and_saveexec_b64 s[72:73], s[56:57]
	s_cbranch_execnz .LBB2929_328
.LBB2929_161:
	s_or_b64 exec, exec, s[72:73]
	s_and_saveexec_b64 s[72:73], s[58:59]
	s_cbranch_execnz .LBB2929_329
.LBB2929_162:
	s_or_b64 exec, exec, s[72:73]
	s_and_saveexec_b64 s[72:73], s[60:61]
	s_cbranch_execnz .LBB2929_330
.LBB2929_163:
	s_or_b64 exec, exec, s[72:73]
	s_and_saveexec_b64 s[72:73], s[62:63]
	s_cbranch_execnz .LBB2929_331
.LBB2929_164:
	s_or_b64 exec, exec, s[72:73]
	s_and_saveexec_b64 s[72:73], s[64:65]
.LBB2929_165:
	s_mov_b32 s12, 0x5040100
	v_perm_b32 v32, v13, v12, s12
	s_mov_b32 s12, 0x7060302
	v_perm_b32 v33, v13, v12, s12
	v_cmp_gt_i16_sdwa s[12:13], v12, v13 src0_sel:WORD_1 src1_sel:DWORD
	v_cndmask_b32_e64 v13, v13, v33, s[12:13]
	v_cndmask_b32_e64 v12, v12, v32, s[12:13]
.LBB2929_166:
	s_or_b64 exec, exec, s[72:73]
	v_cmp_gt_i16_sdwa s[12:13], v6, v6 src0_sel:DWORD src1_sel:WORD_1
	v_alignbit_b32 v32, v6, v6, 16
	s_and_b64 s[12:13], s[38:39], s[12:13]
	v_cndmask_b32_e64 v6, v6, v32, s[12:13]
	s_and_saveexec_b64 s[72:73], s[8:9]
	s_cbranch_execnz .LBB2929_332
; %bb.167:
	s_or_b64 exec, exec, s[72:73]
	s_and_saveexec_b64 s[72:73], s[40:41]
	s_cbranch_execnz .LBB2929_333
.LBB2929_168:
	s_or_b64 exec, exec, s[72:73]
	s_and_saveexec_b64 s[72:73], s[42:43]
	s_cbranch_execnz .LBB2929_334
.LBB2929_169:
	s_or_b64 exec, exec, s[72:73]
	s_and_saveexec_b64 s[72:73], s[44:45]
	s_cbranch_execnz .LBB2929_335
.LBB2929_170:
	s_or_b64 exec, exec, s[72:73]
	s_and_saveexec_b64 s[72:73], s[46:47]
	s_cbranch_execnz .LBB2929_336
.LBB2929_171:
	s_or_b64 exec, exec, s[72:73]
	s_and_saveexec_b64 s[72:73], s[48:49]
	s_cbranch_execnz .LBB2929_337
.LBB2929_172:
	s_or_b64 exec, exec, s[72:73]
	s_and_saveexec_b64 s[72:73], s[50:51]
	s_cbranch_execnz .LBB2929_338
.LBB2929_173:
	s_or_b64 exec, exec, s[72:73]
	s_and_saveexec_b64 s[72:73], s[52:53]
	s_cbranch_execnz .LBB2929_339
.LBB2929_174:
	s_or_b64 exec, exec, s[72:73]
	s_and_saveexec_b64 s[72:73], s[54:55]
	s_cbranch_execnz .LBB2929_340
.LBB2929_175:
	s_or_b64 exec, exec, s[72:73]
	s_and_saveexec_b64 s[72:73], s[56:57]
	s_cbranch_execnz .LBB2929_341
.LBB2929_176:
	s_or_b64 exec, exec, s[72:73]
	s_and_saveexec_b64 s[72:73], s[58:59]
	s_cbranch_execnz .LBB2929_342
.LBB2929_177:
	s_or_b64 exec, exec, s[72:73]
	s_and_saveexec_b64 s[72:73], s[60:61]
	s_cbranch_execnz .LBB2929_343
.LBB2929_178:
	s_or_b64 exec, exec, s[72:73]
	s_and_saveexec_b64 s[72:73], s[62:63]
	s_cbranch_execnz .LBB2929_344
.LBB2929_179:
	s_or_b64 exec, exec, s[72:73]
	s_and_saveexec_b64 s[72:73], s[64:65]
.LBB2929_180:
	s_mov_b32 s12, 0x5040100
	v_perm_b32 v32, v13, v12, s12
	s_mov_b32 s12, 0x7060302
	v_perm_b32 v33, v13, v12, s12
	v_cmp_gt_i16_sdwa s[12:13], v12, v13 src0_sel:WORD_1 src1_sel:DWORD
	v_cndmask_b32_e64 v13, v13, v33, s[12:13]
	v_cndmask_b32_e64 v12, v12, v32, s[12:13]
.LBB2929_181:
	s_or_b64 exec, exec, s[72:73]
	v_cmp_gt_i16_sdwa s[12:13], v6, v6 src0_sel:DWORD src1_sel:WORD_1
	v_alignbit_b32 v32, v6, v6, 16
	s_and_b64 s[12:13], s[38:39], s[12:13]
	v_cndmask_b32_e64 v6, v6, v32, s[12:13]
	s_and_saveexec_b64 s[72:73], s[8:9]
	s_cbranch_execnz .LBB2929_345
; %bb.182:
	s_or_b64 exec, exec, s[72:73]
	s_and_saveexec_b64 s[72:73], s[40:41]
	s_cbranch_execnz .LBB2929_346
.LBB2929_183:
	s_or_b64 exec, exec, s[72:73]
	s_and_saveexec_b64 s[72:73], s[42:43]
	s_cbranch_execnz .LBB2929_347
.LBB2929_184:
	s_or_b64 exec, exec, s[72:73]
	s_and_saveexec_b64 s[72:73], s[44:45]
	s_cbranch_execnz .LBB2929_348
.LBB2929_185:
	s_or_b64 exec, exec, s[72:73]
	s_and_saveexec_b64 s[72:73], s[46:47]
	s_cbranch_execnz .LBB2929_349
.LBB2929_186:
	s_or_b64 exec, exec, s[72:73]
	s_and_saveexec_b64 s[72:73], s[48:49]
	s_cbranch_execnz .LBB2929_350
.LBB2929_187:
	s_or_b64 exec, exec, s[72:73]
	s_and_saveexec_b64 s[72:73], s[50:51]
	s_cbranch_execnz .LBB2929_351
.LBB2929_188:
	s_or_b64 exec, exec, s[72:73]
	s_and_saveexec_b64 s[72:73], s[52:53]
	s_cbranch_execnz .LBB2929_352
.LBB2929_189:
	s_or_b64 exec, exec, s[72:73]
	s_and_saveexec_b64 s[72:73], s[54:55]
	s_cbranch_execnz .LBB2929_353
.LBB2929_190:
	s_or_b64 exec, exec, s[72:73]
	s_and_saveexec_b64 s[72:73], s[56:57]
	s_cbranch_execnz .LBB2929_354
.LBB2929_191:
	s_or_b64 exec, exec, s[72:73]
	s_and_saveexec_b64 s[72:73], s[58:59]
	s_cbranch_execnz .LBB2929_355
.LBB2929_192:
	s_or_b64 exec, exec, s[72:73]
	s_and_saveexec_b64 s[72:73], s[60:61]
	s_cbranch_execnz .LBB2929_356
.LBB2929_193:
	s_or_b64 exec, exec, s[72:73]
	s_and_saveexec_b64 s[72:73], s[62:63]
	s_cbranch_execnz .LBB2929_357
.LBB2929_194:
	s_or_b64 exec, exec, s[72:73]
	s_and_saveexec_b64 s[72:73], s[64:65]
.LBB2929_195:
	s_mov_b32 s12, 0x5040100
	v_perm_b32 v32, v13, v12, s12
	s_mov_b32 s12, 0x7060302
	v_perm_b32 v33, v13, v12, s12
	v_cmp_gt_i16_sdwa s[12:13], v12, v13 src0_sel:WORD_1 src1_sel:DWORD
	v_cndmask_b32_e64 v13, v13, v33, s[12:13]
	v_cndmask_b32_e64 v12, v12, v32, s[12:13]
.LBB2929_196:
	s_or_b64 exec, exec, s[72:73]
	v_cmp_gt_i16_sdwa s[12:13], v6, v6 src0_sel:DWORD src1_sel:WORD_1
	v_alignbit_b32 v32, v6, v6, 16
	s_and_b64 s[12:13], s[38:39], s[12:13]
	v_cndmask_b32_e64 v6, v6, v32, s[12:13]
	s_and_saveexec_b64 s[72:73], s[8:9]
	s_cbranch_execnz .LBB2929_358
; %bb.197:
	s_or_b64 exec, exec, s[72:73]
	s_and_saveexec_b64 s[72:73], s[40:41]
	s_cbranch_execnz .LBB2929_359
.LBB2929_198:
	s_or_b64 exec, exec, s[72:73]
	s_and_saveexec_b64 s[72:73], s[42:43]
	s_cbranch_execnz .LBB2929_360
.LBB2929_199:
	s_or_b64 exec, exec, s[72:73]
	s_and_saveexec_b64 s[72:73], s[44:45]
	s_cbranch_execnz .LBB2929_361
.LBB2929_200:
	s_or_b64 exec, exec, s[72:73]
	s_and_saveexec_b64 s[72:73], s[46:47]
	s_cbranch_execnz .LBB2929_362
.LBB2929_201:
	s_or_b64 exec, exec, s[72:73]
	s_and_saveexec_b64 s[72:73], s[48:49]
	s_cbranch_execnz .LBB2929_363
.LBB2929_202:
	s_or_b64 exec, exec, s[72:73]
	s_and_saveexec_b64 s[72:73], s[50:51]
	s_cbranch_execnz .LBB2929_364
.LBB2929_203:
	s_or_b64 exec, exec, s[72:73]
	s_and_saveexec_b64 s[72:73], s[52:53]
	s_cbranch_execnz .LBB2929_365
.LBB2929_204:
	s_or_b64 exec, exec, s[72:73]
	s_and_saveexec_b64 s[72:73], s[54:55]
	s_cbranch_execnz .LBB2929_366
.LBB2929_205:
	s_or_b64 exec, exec, s[72:73]
	s_and_saveexec_b64 s[72:73], s[56:57]
	s_cbranch_execnz .LBB2929_367
.LBB2929_206:
	s_or_b64 exec, exec, s[72:73]
	s_and_saveexec_b64 s[72:73], s[58:59]
	s_cbranch_execnz .LBB2929_368
.LBB2929_207:
	s_or_b64 exec, exec, s[72:73]
	s_and_saveexec_b64 s[72:73], s[60:61]
	s_cbranch_execnz .LBB2929_369
.LBB2929_208:
	s_or_b64 exec, exec, s[72:73]
	s_and_saveexec_b64 s[72:73], s[62:63]
	s_cbranch_execnz .LBB2929_370
.LBB2929_209:
	s_or_b64 exec, exec, s[72:73]
	s_and_saveexec_b64 s[72:73], s[64:65]
.LBB2929_210:
	s_mov_b32 s12, 0x5040100
	v_perm_b32 v32, v13, v12, s12
	s_mov_b32 s12, 0x7060302
	v_perm_b32 v33, v13, v12, s12
	v_cmp_gt_i16_sdwa s[12:13], v12, v13 src0_sel:WORD_1 src1_sel:DWORD
	v_cndmask_b32_e64 v13, v13, v33, s[12:13]
	v_cndmask_b32_e64 v12, v12, v32, s[12:13]
.LBB2929_211:
	s_or_b64 exec, exec, s[72:73]
	v_cmp_gt_i16_sdwa s[12:13], v6, v6 src0_sel:DWORD src1_sel:WORD_1
	v_alignbit_b32 v32, v6, v6, 16
	s_and_b64 s[12:13], s[38:39], s[12:13]
	v_cndmask_b32_e64 v6, v6, v32, s[12:13]
	s_and_saveexec_b64 s[72:73], s[8:9]
	s_cbranch_execnz .LBB2929_371
; %bb.212:
	s_or_b64 exec, exec, s[72:73]
	s_and_saveexec_b64 s[72:73], s[40:41]
	s_cbranch_execnz .LBB2929_372
.LBB2929_213:
	s_or_b64 exec, exec, s[72:73]
	s_and_saveexec_b64 s[72:73], s[42:43]
	s_cbranch_execnz .LBB2929_373
.LBB2929_214:
	s_or_b64 exec, exec, s[72:73]
	s_and_saveexec_b64 s[72:73], s[44:45]
	s_cbranch_execnz .LBB2929_374
.LBB2929_215:
	s_or_b64 exec, exec, s[72:73]
	s_and_saveexec_b64 s[72:73], s[46:47]
	s_cbranch_execnz .LBB2929_375
.LBB2929_216:
	s_or_b64 exec, exec, s[72:73]
	s_and_saveexec_b64 s[72:73], s[48:49]
	s_cbranch_execnz .LBB2929_376
.LBB2929_217:
	s_or_b64 exec, exec, s[72:73]
	s_and_saveexec_b64 s[72:73], s[50:51]
	s_cbranch_execnz .LBB2929_377
.LBB2929_218:
	s_or_b64 exec, exec, s[72:73]
	s_and_saveexec_b64 s[72:73], s[52:53]
	s_cbranch_execnz .LBB2929_378
.LBB2929_219:
	s_or_b64 exec, exec, s[72:73]
	s_and_saveexec_b64 s[72:73], s[54:55]
	s_cbranch_execnz .LBB2929_379
.LBB2929_220:
	s_or_b64 exec, exec, s[72:73]
	s_and_saveexec_b64 s[72:73], s[56:57]
	s_cbranch_execnz .LBB2929_380
.LBB2929_221:
	s_or_b64 exec, exec, s[72:73]
	s_and_saveexec_b64 s[72:73], s[58:59]
	s_cbranch_execnz .LBB2929_381
.LBB2929_222:
	s_or_b64 exec, exec, s[72:73]
	s_and_saveexec_b64 s[72:73], s[60:61]
	s_cbranch_execnz .LBB2929_382
.LBB2929_223:
	s_or_b64 exec, exec, s[72:73]
	s_and_saveexec_b64 s[72:73], s[62:63]
	s_cbranch_execnz .LBB2929_383
.LBB2929_224:
	s_or_b64 exec, exec, s[72:73]
	s_and_saveexec_b64 s[72:73], s[64:65]
.LBB2929_225:
	s_mov_b32 s12, 0x5040100
	v_perm_b32 v32, v13, v12, s12
	s_mov_b32 s12, 0x7060302
	v_perm_b32 v33, v13, v12, s12
	v_cmp_gt_i16_sdwa s[12:13], v12, v13 src0_sel:WORD_1 src1_sel:DWORD
	v_cndmask_b32_e64 v13, v13, v33, s[12:13]
	v_cndmask_b32_e64 v12, v12, v32, s[12:13]
.LBB2929_226:
	s_or_b64 exec, exec, s[72:73]
	v_cmp_gt_i16_sdwa s[12:13], v6, v6 src0_sel:DWORD src1_sel:WORD_1
	v_alignbit_b32 v32, v6, v6, 16
	s_and_b64 s[12:13], s[38:39], s[12:13]
	v_cndmask_b32_e64 v6, v6, v32, s[12:13]
	s_and_saveexec_b64 s[12:13], s[8:9]
	s_cbranch_execnz .LBB2929_384
; %bb.227:
	s_or_b64 exec, exec, s[12:13]
	s_and_saveexec_b64 s[12:13], s[40:41]
	s_cbranch_execnz .LBB2929_385
.LBB2929_228:
	s_or_b64 exec, exec, s[12:13]
	s_and_saveexec_b64 s[12:13], s[42:43]
	s_cbranch_execnz .LBB2929_386
.LBB2929_229:
	s_or_b64 exec, exec, s[12:13]
	s_and_saveexec_b64 s[12:13], s[44:45]
	s_cbranch_execnz .LBB2929_387
.LBB2929_230:
	s_or_b64 exec, exec, s[12:13]
	s_and_saveexec_b64 s[12:13], s[46:47]
	s_cbranch_execnz .LBB2929_388
.LBB2929_231:
	s_or_b64 exec, exec, s[12:13]
	s_and_saveexec_b64 s[12:13], s[48:49]
	s_cbranch_execnz .LBB2929_389
.LBB2929_232:
	s_or_b64 exec, exec, s[12:13]
	s_and_saveexec_b64 s[12:13], s[50:51]
	s_cbranch_execnz .LBB2929_390
.LBB2929_233:
	s_or_b64 exec, exec, s[12:13]
	s_and_saveexec_b64 s[12:13], s[52:53]
	s_cbranch_execnz .LBB2929_391
.LBB2929_234:
	s_or_b64 exec, exec, s[12:13]
	s_and_saveexec_b64 s[12:13], s[54:55]
	s_cbranch_execnz .LBB2929_392
.LBB2929_235:
	s_or_b64 exec, exec, s[12:13]
	s_and_saveexec_b64 s[12:13], s[56:57]
	s_cbranch_execnz .LBB2929_393
.LBB2929_236:
	s_or_b64 exec, exec, s[12:13]
	s_and_saveexec_b64 s[12:13], s[58:59]
	s_cbranch_execnz .LBB2929_394
.LBB2929_237:
	s_or_b64 exec, exec, s[12:13]
	s_and_saveexec_b64 s[12:13], s[60:61]
	s_cbranch_execnz .LBB2929_395
.LBB2929_238:
	s_or_b64 exec, exec, s[12:13]
	s_and_saveexec_b64 s[12:13], s[62:63]
	s_cbranch_execnz .LBB2929_396
.LBB2929_239:
	s_or_b64 exec, exec, s[12:13]
	s_and_saveexec_b64 s[12:13], s[64:65]
.LBB2929_240:
	s_mov_b32 s8, 0x5040100
	v_perm_b32 v32, v13, v12, s8
	s_mov_b32 s8, 0x7060302
	v_perm_b32 v33, v13, v12, s8
	v_cmp_gt_i16_sdwa s[8:9], v12, v13 src0_sel:WORD_1 src1_sel:DWORD
	v_cndmask_b32_e64 v13, v13, v33, s[8:9]
	v_cndmask_b32_e64 v12, v12, v32, s[8:9]
.LBB2929_241:
	s_or_b64 exec, exec, s[12:13]
	v_mbcnt_lo_u32_b32 v32, -1, 0
	v_mbcnt_hi_u32_b32 v34, -1, v32
	v_and_b32_e32 v31, 0xfffffc00, v31
	v_lshlrev_b32_e32 v33, 5, v34
	v_lshlrev_b32_e32 v34, 4, v34
	v_sub_u32_e64 v32, v0, v31 clamp
	v_or_b32_e32 v35, 16, v34
	v_min_u32_e32 v67, v32, v35
	v_add_u32_e32 v35, 16, v67
	v_and_b32_e32 v36, 0x7e0, v34
	v_min_u32_e32 v68, v32, v35
	v_and_b32_e32 v35, 16, v34
	v_min_u32_e32 v37, v32, v35
	v_sub_u32_e32 v35, v67, v36
	v_sub_u32_e32 v38, v68, v67
	v_lshlrev_b32_e32 v31, 1, v31
	v_sub_u32_e64 v70, v37, v38 clamp
	v_min_u32_e32 v35, v37, v35
	v_add_u32_e32 v33, v31, v33
	v_lshl_add_u32 v69, v36, 1, v31
	v_cmp_lt_u32_e64 s[8:9], v70, v35
	ds_write_b128 v33, v[6:9]
	ds_write_b128 v33, v[10:13] offset:16
	; wave barrier
	s_and_saveexec_b64 s[12:13], s[8:9]
	s_cbranch_execz .LBB2929_245
; %bb.242:
	v_lshlrev_b32_e32 v38, 1, v67
	v_lshlrev_b32_e32 v39, 1, v37
	v_add3_u32 v38, v31, v38, v39
	s_mov_b64 s[38:39], 0
.LBB2929_243:                           ; =>This Inner Loop Header: Depth=1
	v_add_u32_e32 v39, v35, v70
	v_lshrrev_b32_e32 v48, 1, v39
	v_and_b32_e32 v39, -2, v39
	v_not_b32_e32 v49, v48
	v_add_u32_e32 v39, v69, v39
	v_lshl_add_u32 v49, v49, 1, v38
	ds_read_u16 v39, v39
	ds_read_u16 v49, v49
	v_add_u32_e32 v50, 1, v48
	s_waitcnt lgkmcnt(0)
	v_cmp_gt_i16_e64 s[8:9], v39, v49
	v_cndmask_b32_e64 v35, v35, v48, s[8:9]
	v_cndmask_b32_e64 v70, v50, v70, s[8:9]
	v_cmp_ge_u32_e64 s[8:9], v70, v35
	s_or_b64 s[38:39], s[8:9], s[38:39]
	s_andn2_b64 exec, exec, s[38:39]
	s_cbranch_execnz .LBB2929_243
; %bb.244:
	s_or_b64 exec, exec, s[38:39]
.LBB2929_245:
	s_or_b64 exec, exec, s[12:13]
	v_add_u32_e32 v71, v70, v36
	v_add_u32_e32 v36, v67, v37
	v_sub_u32_e32 v80, v36, v70
	v_cmp_le_u32_e64 s[8:9], v71, v67
	v_cmp_le_u32_e64 s[12:13], v80, v68
	v_lshrrev_b32_e32 v35, 16, v6
	v_lshrrev_b32_e32 v38, 16, v7
	;; [unrolled: 1-line block ×8, first 2 shown]
	s_or_b64 s[8:9], s[8:9], s[12:13]
	v_mov_b32_e32 v36, v6
	v_mov_b32_e32 v37, v7
	;; [unrolled: 1-line block ×8, first 2 shown]
	s_and_saveexec_b64 s[62:63], s[8:9]
	s_cbranch_execz .LBB2929_251
; %bb.246:
	v_cmp_lt_u32_e64 s[8:9], v71, v67
                                        ; implicit-def: $vgpr6
	s_and_saveexec_b64 s[12:13], s[8:9]
	s_cbranch_execz .LBB2929_248
; %bb.247:
	v_lshl_add_u32 v6, v70, 1, v69
	ds_read_u16 v6, v6
.LBB2929_248:
	s_or_b64 exec, exec, s[12:13]
	v_cmp_ge_u32_e64 s[38:39], v80, v68
	v_cmp_lt_u32_e64 s[12:13], v80, v68
                                        ; implicit-def: $vgpr7
	s_and_saveexec_b64 s[40:41], s[12:13]
	s_cbranch_execz .LBB2929_250
; %bb.249:
	v_lshl_add_u32 v7, v80, 1, v31
	ds_read_u16 v7, v7
.LBB2929_250:
	s_or_b64 exec, exec, s[40:41]
	s_waitcnt lgkmcnt(0)
	v_cmp_le_i16_e64 s[12:13], v6, v7
	s_and_b64 s[8:9], s[8:9], s[12:13]
	s_or_b64 s[8:9], s[38:39], s[8:9]
	v_cndmask_b32_e64 v8, v80, v71, s[8:9]
	v_cndmask_b32_e64 v9, v68, v67, s[8:9]
	v_add_u32_e32 v8, 1, v8
	v_add_u32_e32 v9, -1, v9
	v_min_u32_e32 v9, v8, v9
	v_lshl_add_u32 v9, v9, 1, v31
	ds_read_u16 v9, v9
	v_cndmask_b32_e64 v10, v8, v80, s[8:9]
	v_cndmask_b32_e64 v8, v71, v8, s[8:9]
	v_cmp_lt_u32_e64 s[38:39], v8, v67
	v_cmp_ge_u32_e64 s[12:13], v10, v68
	s_waitcnt lgkmcnt(0)
	v_cndmask_b32_e64 v11, v9, v7, s[8:9]
	v_cndmask_b32_e64 v9, v6, v9, s[8:9]
	v_cmp_le_i16_e64 s[40:41], v9, v11
	s_and_b64 s[38:39], s[38:39], s[40:41]
	s_or_b64 s[38:39], s[12:13], s[38:39]
	v_cndmask_b32_e64 v12, v10, v8, s[38:39]
	v_cndmask_b32_e64 v13, v68, v67, s[38:39]
	v_add_u32_e32 v12, 1, v12
	v_add_u32_e32 v13, -1, v13
	v_min_u32_e32 v13, v12, v13
	v_lshl_add_u32 v13, v13, 1, v31
	ds_read_u16 v13, v13
	v_cndmask_b32_e64 v8, v8, v12, s[38:39]
	v_cndmask_b32_e64 v10, v12, v10, s[38:39]
	v_cmp_lt_u32_e64 s[40:41], v8, v67
	v_cmp_ge_u32_e64 s[12:13], v10, v68
	s_waitcnt lgkmcnt(0)
	v_cndmask_b32_e64 v37, v13, v11, s[38:39]
	v_cndmask_b32_e64 v13, v9, v13, s[38:39]
	;; [unrolled: 17-line block ×11, first 2 shown]
	v_cmp_le_i16_e64 s[60:61], v81, v80
	s_and_b64 s[58:59], s[58:59], s[60:61]
	s_or_b64 s[56:57], s[56:57], s[58:59]
	v_cndmask_b32_e64 v12, v10, v8, s[56:57]
	v_cndmask_b32_e64 v35, v68, v67, s[56:57]
	v_add_u32_e32 v12, 1, v12
	v_add_u32_e32 v35, -1, v35
	v_min_u32_e32 v35, v12, v35
	v_lshl_add_u32 v35, v35, 1, v31
	ds_read_u16 v82, v35
	v_cndmask_b32_e64 v36, v7, v6, s[8:9]
	v_cndmask_b32_e64 v8, v8, v12, s[56:57]
	v_cndmask_b32_e64 v35, v11, v9, s[38:39]
	v_cndmask_b32_e64 v37, v37, v13, s[42:43]
	s_waitcnt lgkmcnt(0)
	v_cndmask_b32_e64 v6, v82, v80, s[56:57]
	v_cndmask_b32_e64 v7, v81, v82, s[56:57]
	;; [unrolled: 1-line block ×3, first 2 shown]
	v_cmp_lt_u32_e64 s[38:39], v8, v67
	v_cmp_le_i16_e64 s[42:43], v7, v6
	v_cmp_ge_u32_e64 s[8:9], v9, v68
	s_and_b64 s[38:39], s[38:39], s[42:43]
	s_or_b64 s[8:9], s[8:9], s[38:39]
	v_cndmask_b32_e64 v10, v9, v8, s[8:9]
	v_cndmask_b32_e64 v11, v68, v67, s[8:9]
	v_add_u32_e32 v10, 1, v10
	v_add_u32_e32 v11, -1, v11
	v_min_u32_e32 v11, v10, v11
	v_lshl_add_u32 v11, v11, 1, v31
	ds_read_u16 v11, v11
	v_cndmask_b32_e64 v8, v8, v10, s[8:9]
	v_cndmask_b32_e64 v38, v38, v39, s[40:41]
	;; [unrolled: 1-line block ×3, first 2 shown]
	v_cmp_lt_u32_e64 s[40:41], v8, v67
	s_waitcnt lgkmcnt(0)
	v_cndmask_b32_e64 v12, v11, v6, s[8:9]
	v_cndmask_b32_e64 v11, v7, v11, s[8:9]
	v_cmp_le_i16_e64 s[42:43], v11, v12
	v_cmp_ge_u32_e64 s[38:39], v9, v68
	s_and_b64 s[40:41], s[40:41], s[42:43]
	s_or_b64 s[38:39], s[38:39], s[40:41]
	v_cndmask_b32_e64 v10, v9, v8, s[38:39]
	v_cndmask_b32_e64 v13, v68, v67, s[38:39]
	v_add_u32_e32 v10, 1, v10
	v_add_u32_e32 v13, -1, v13
	v_min_u32_e32 v13, v10, v13
	v_lshl_add_u32 v13, v13, 1, v31
	ds_read_u16 v13, v13
	v_cndmask_b32_e64 v39, v50, v51, s[46:47]
	v_cndmask_b32_e64 v50, v66, v69, s[12:13]
	;; [unrolled: 1-line block ×4, first 2 shown]
	s_waitcnt lgkmcnt(0)
	v_cndmask_b32_e64 v66, v13, v12, s[38:39]
	v_cndmask_b32_e64 v13, v11, v13, s[38:39]
	v_cmp_lt_u32_e64 s[40:41], v8, v67
	v_cmp_le_i16_e64 s[42:43], v13, v66
	v_cmp_ge_u32_e64 s[12:13], v9, v68
	s_and_b64 s[40:41], s[40:41], s[42:43]
	s_or_b64 s[12:13], s[12:13], s[40:41]
	v_cndmask_b32_e64 v51, v54, v55, s[48:49]
	v_cndmask_b32_e64 v10, v9, v8, s[12:13]
	;; [unrolled: 1-line block ×3, first 2 shown]
	v_add_u32_e32 v10, 1, v10
	v_add_u32_e32 v54, -1, v54
	v_min_u32_e32 v54, v10, v54
	v_lshl_add_u32 v54, v54, 1, v31
	ds_read_u16 v69, v54
	v_cndmask_b32_e64 v48, v48, v49, s[44:45]
	v_cndmask_b32_e64 v49, v52, v53, s[50:51]
	;; [unrolled: 1-line block ×4, first 2 shown]
	s_waitcnt lgkmcnt(0)
	v_cndmask_b32_e64 v6, v13, v69, s[12:13]
	v_cndmask_b32_e64 v7, v10, v9, s[12:13]
	;; [unrolled: 1-line block ×4, first 2 shown]
	v_min_i16_e32 v10, v6, v9
	v_cmp_lt_u32_e64 s[8:9], v8, v67
	v_cndmask_b32_e64 v8, v9, v10, s[8:9]
	v_cmp_lt_u32_e64 s[8:9], v7, v68
	v_cndmask_b32_e64 v53, v70, v71, s[54:55]
	v_cndmask_b32_e64 v54, v80, v81, s[56:57]
	;; [unrolled: 1-line block ×5, first 2 shown]
	s_mov_b32 s8, 0x5040100
	v_perm_b32 v13, v66, v65, s8
	v_perm_b32 v12, v55, v64, s8
	;; [unrolled: 1-line block ×8, first 2 shown]
.LBB2929_251:
	s_or_b64 exec, exec, s[62:63]
	s_mov_b32 s8, 0x5040100
	v_perm_b32 v71, v51, v49, s8
	v_perm_b32 v70, v39, v48, s8
	;; [unrolled: 1-line block ×4, first 2 shown]
	; wave barrier
	ds_write_b128 v33, v[68:71]
	v_perm_b32 v71, v66, v65, s8
	v_perm_b32 v70, v55, v64, s8
	;; [unrolled: 1-line block ×4, first 2 shown]
	ds_write_b128 v33, v[68:71] offset:16
	v_and_b32_e32 v71, 0x7c0, v34
	v_or_b32_e32 v67, 32, v71
	v_min_u32_e32 v67, v32, v67
	v_add_u32_e32 v68, 32, v67
	v_min_u32_e32 v68, v32, v68
	v_and_b32_e32 v69, 48, v34
	v_min_u32_e32 v80, v32, v69
	v_sub_u32_e32 v81, v67, v71
	v_sub_u32_e32 v70, v68, v67
	v_sub_u32_e64 v70, v80, v70 clamp
	v_min_u32_e32 v81, v80, v81
	v_lshl_add_u32 v69, v71, 1, v31
	v_cmp_lt_u32_e64 s[8:9], v70, v81
	; wave barrier
	s_and_saveexec_b64 s[12:13], s[8:9]
	s_cbranch_execz .LBB2929_255
; %bb.252:
	v_lshlrev_b32_e32 v82, 1, v67
	v_lshlrev_b32_e32 v83, 1, v80
	v_add3_u32 v82, v31, v82, v83
	s_mov_b64 s[38:39], 0
.LBB2929_253:                           ; =>This Inner Loop Header: Depth=1
	v_add_u32_e32 v83, v81, v70
	v_lshrrev_b32_e32 v84, 1, v83
	v_and_b32_e32 v83, -2, v83
	v_not_b32_e32 v85, v84
	v_add_u32_e32 v83, v69, v83
	v_lshl_add_u32 v85, v85, 1, v82
	ds_read_u16 v83, v83
	ds_read_u16 v85, v85
	v_add_u32_e32 v86, 1, v84
	s_waitcnt lgkmcnt(0)
	v_cmp_gt_i16_e64 s[8:9], v83, v85
	v_cndmask_b32_e64 v81, v81, v84, s[8:9]
	v_cndmask_b32_e64 v70, v86, v70, s[8:9]
	v_cmp_ge_u32_e64 s[8:9], v70, v81
	s_or_b64 s[38:39], s[8:9], s[38:39]
	s_andn2_b64 exec, exec, s[38:39]
	s_cbranch_execnz .LBB2929_253
; %bb.254:
	s_or_b64 exec, exec, s[38:39]
.LBB2929_255:
	s_or_b64 exec, exec, s[12:13]
	v_add_u32_e32 v80, v67, v80
	v_add_u32_e32 v71, v70, v71
	v_sub_u32_e32 v80, v80, v70
	v_cmp_le_u32_e64 s[8:9], v71, v67
	v_cmp_le_u32_e64 s[12:13], v80, v68
	s_or_b64 s[8:9], s[8:9], s[12:13]
	s_and_saveexec_b64 s[62:63], s[8:9]
	s_cbranch_execz .LBB2929_261
; %bb.256:
	v_cmp_lt_u32_e64 s[8:9], v71, v67
                                        ; implicit-def: $vgpr6
	s_and_saveexec_b64 s[12:13], s[8:9]
	s_cbranch_execz .LBB2929_258
; %bb.257:
	v_lshl_add_u32 v6, v70, 1, v69
	ds_read_u16 v6, v6
.LBB2929_258:
	s_or_b64 exec, exec, s[12:13]
	v_cmp_ge_u32_e64 s[38:39], v80, v68
	v_cmp_lt_u32_e64 s[12:13], v80, v68
                                        ; implicit-def: $vgpr7
	s_and_saveexec_b64 s[40:41], s[12:13]
	s_cbranch_execz .LBB2929_260
; %bb.259:
	v_lshl_add_u32 v7, v80, 1, v31
	ds_read_u16 v7, v7
.LBB2929_260:
	s_or_b64 exec, exec, s[40:41]
	s_waitcnt lgkmcnt(0)
	v_cmp_le_i16_e64 s[12:13], v6, v7
	s_and_b64 s[8:9], s[8:9], s[12:13]
	s_or_b64 s[8:9], s[38:39], s[8:9]
	v_cndmask_b32_e64 v8, v80, v71, s[8:9]
	v_cndmask_b32_e64 v9, v68, v67, s[8:9]
	v_add_u32_e32 v8, 1, v8
	v_add_u32_e32 v9, -1, v9
	v_min_u32_e32 v9, v8, v9
	v_lshl_add_u32 v9, v9, 1, v31
	ds_read_u16 v9, v9
	v_cndmask_b32_e64 v10, v8, v80, s[8:9]
	v_cndmask_b32_e64 v8, v71, v8, s[8:9]
	v_cmp_lt_u32_e64 s[38:39], v8, v67
	v_cmp_ge_u32_e64 s[12:13], v10, v68
	s_waitcnt lgkmcnt(0)
	v_cndmask_b32_e64 v11, v9, v7, s[8:9]
	v_cndmask_b32_e64 v9, v6, v9, s[8:9]
	v_cmp_le_i16_e64 s[40:41], v9, v11
	s_and_b64 s[38:39], s[38:39], s[40:41]
	s_or_b64 s[38:39], s[12:13], s[38:39]
	v_cndmask_b32_e64 v12, v10, v8, s[38:39]
	v_cndmask_b32_e64 v13, v68, v67, s[38:39]
	v_add_u32_e32 v12, 1, v12
	v_add_u32_e32 v13, -1, v13
	v_min_u32_e32 v13, v12, v13
	v_lshl_add_u32 v13, v13, 1, v31
	ds_read_u16 v13, v13
	v_cndmask_b32_e64 v8, v8, v12, s[38:39]
	v_cndmask_b32_e64 v10, v12, v10, s[38:39]
	v_cmp_lt_u32_e64 s[40:41], v8, v67
	v_cmp_ge_u32_e64 s[12:13], v10, v68
	s_waitcnt lgkmcnt(0)
	v_cndmask_b32_e64 v37, v13, v11, s[38:39]
	v_cndmask_b32_e64 v13, v9, v13, s[38:39]
	;; [unrolled: 17-line block ×11, first 2 shown]
	v_cmp_le_i16_e64 s[60:61], v81, v80
	s_and_b64 s[58:59], s[58:59], s[60:61]
	s_or_b64 s[56:57], s[56:57], s[58:59]
	v_cndmask_b32_e64 v12, v10, v8, s[56:57]
	v_cndmask_b32_e64 v35, v68, v67, s[56:57]
	v_add_u32_e32 v12, 1, v12
	v_add_u32_e32 v35, -1, v35
	v_min_u32_e32 v35, v12, v35
	v_lshl_add_u32 v35, v35, 1, v31
	ds_read_u16 v82, v35
	v_cndmask_b32_e64 v36, v7, v6, s[8:9]
	v_cndmask_b32_e64 v8, v8, v12, s[56:57]
	;; [unrolled: 1-line block ×4, first 2 shown]
	s_waitcnt lgkmcnt(0)
	v_cndmask_b32_e64 v6, v82, v80, s[56:57]
	v_cndmask_b32_e64 v7, v81, v82, s[56:57]
	;; [unrolled: 1-line block ×3, first 2 shown]
	v_cmp_lt_u32_e64 s[38:39], v8, v67
	v_cmp_le_i16_e64 s[42:43], v7, v6
	v_cmp_ge_u32_e64 s[8:9], v9, v68
	s_and_b64 s[38:39], s[38:39], s[42:43]
	s_or_b64 s[8:9], s[8:9], s[38:39]
	v_cndmask_b32_e64 v10, v9, v8, s[8:9]
	v_cndmask_b32_e64 v11, v68, v67, s[8:9]
	v_add_u32_e32 v10, 1, v10
	v_add_u32_e32 v11, -1, v11
	v_min_u32_e32 v11, v10, v11
	v_lshl_add_u32 v11, v11, 1, v31
	ds_read_u16 v11, v11
	v_cndmask_b32_e64 v8, v8, v10, s[8:9]
	v_cndmask_b32_e64 v38, v38, v39, s[40:41]
	;; [unrolled: 1-line block ×3, first 2 shown]
	v_cmp_lt_u32_e64 s[40:41], v8, v67
	s_waitcnt lgkmcnt(0)
	v_cndmask_b32_e64 v12, v11, v6, s[8:9]
	v_cndmask_b32_e64 v11, v7, v11, s[8:9]
	v_cmp_le_i16_e64 s[42:43], v11, v12
	v_cmp_ge_u32_e64 s[38:39], v9, v68
	s_and_b64 s[40:41], s[40:41], s[42:43]
	s_or_b64 s[38:39], s[38:39], s[40:41]
	v_cndmask_b32_e64 v10, v9, v8, s[38:39]
	v_cndmask_b32_e64 v13, v68, v67, s[38:39]
	v_add_u32_e32 v10, 1, v10
	v_add_u32_e32 v13, -1, v13
	v_min_u32_e32 v13, v10, v13
	v_lshl_add_u32 v13, v13, 1, v31
	ds_read_u16 v13, v13
	v_cndmask_b32_e64 v39, v50, v51, s[46:47]
	v_cndmask_b32_e64 v50, v66, v69, s[12:13]
	;; [unrolled: 1-line block ×4, first 2 shown]
	s_waitcnt lgkmcnt(0)
	v_cndmask_b32_e64 v66, v13, v12, s[38:39]
	v_cndmask_b32_e64 v13, v11, v13, s[38:39]
	v_cmp_lt_u32_e64 s[40:41], v8, v67
	v_cmp_le_i16_e64 s[42:43], v13, v66
	v_cmp_ge_u32_e64 s[12:13], v9, v68
	s_and_b64 s[40:41], s[40:41], s[42:43]
	s_or_b64 s[12:13], s[12:13], s[40:41]
	v_cndmask_b32_e64 v51, v54, v55, s[48:49]
	v_cndmask_b32_e64 v10, v9, v8, s[12:13]
	;; [unrolled: 1-line block ×3, first 2 shown]
	v_add_u32_e32 v10, 1, v10
	v_add_u32_e32 v54, -1, v54
	v_min_u32_e32 v54, v10, v54
	v_lshl_add_u32 v54, v54, 1, v31
	ds_read_u16 v69, v54
	v_cndmask_b32_e64 v48, v48, v49, s[44:45]
	v_cndmask_b32_e64 v49, v52, v53, s[50:51]
	;; [unrolled: 1-line block ×4, first 2 shown]
	s_waitcnt lgkmcnt(0)
	v_cndmask_b32_e64 v6, v13, v69, s[12:13]
	v_cndmask_b32_e64 v7, v10, v9, s[12:13]
	;; [unrolled: 1-line block ×4, first 2 shown]
	v_min_i16_e32 v10, v6, v9
	v_cmp_lt_u32_e64 s[8:9], v8, v67
	v_cndmask_b32_e64 v8, v9, v10, s[8:9]
	v_cmp_lt_u32_e64 s[8:9], v7, v68
	v_cndmask_b32_e64 v53, v70, v71, s[54:55]
	v_cndmask_b32_e64 v54, v80, v81, s[56:57]
	;; [unrolled: 1-line block ×5, first 2 shown]
	s_mov_b32 s8, 0x5040100
	v_perm_b32 v13, v66, v65, s8
	v_perm_b32 v12, v55, v64, s8
	;; [unrolled: 1-line block ×8, first 2 shown]
.LBB2929_261:
	s_or_b64 exec, exec, s[62:63]
	s_mov_b32 s8, 0x5040100
	v_perm_b32 v71, v51, v49, s8
	v_perm_b32 v70, v39, v48, s8
	;; [unrolled: 1-line block ×4, first 2 shown]
	; wave barrier
	ds_write_b128 v33, v[68:71]
	v_perm_b32 v71, v66, v65, s8
	v_perm_b32 v70, v55, v64, s8
	;; [unrolled: 1-line block ×4, first 2 shown]
	ds_write_b128 v33, v[68:71] offset:16
	v_and_b32_e32 v71, 0x780, v34
	v_or_b32_e32 v67, 64, v71
	v_min_u32_e32 v67, v32, v67
	v_add_u32_e32 v68, 64, v67
	v_min_u32_e32 v68, v32, v68
	v_and_b32_e32 v69, 0x70, v34
	v_min_u32_e32 v80, v32, v69
	v_sub_u32_e32 v81, v67, v71
	v_sub_u32_e32 v70, v68, v67
	v_sub_u32_e64 v70, v80, v70 clamp
	v_min_u32_e32 v81, v80, v81
	v_lshl_add_u32 v69, v71, 1, v31
	v_cmp_lt_u32_e64 s[8:9], v70, v81
	; wave barrier
	s_and_saveexec_b64 s[12:13], s[8:9]
	s_cbranch_execz .LBB2929_265
; %bb.262:
	v_lshlrev_b32_e32 v82, 1, v67
	v_lshlrev_b32_e32 v83, 1, v80
	v_add3_u32 v82, v31, v82, v83
	s_mov_b64 s[38:39], 0
.LBB2929_263:                           ; =>This Inner Loop Header: Depth=1
	v_add_u32_e32 v83, v81, v70
	v_lshrrev_b32_e32 v84, 1, v83
	v_and_b32_e32 v83, -2, v83
	v_not_b32_e32 v85, v84
	v_add_u32_e32 v83, v69, v83
	v_lshl_add_u32 v85, v85, 1, v82
	ds_read_u16 v83, v83
	ds_read_u16 v85, v85
	v_add_u32_e32 v86, 1, v84
	s_waitcnt lgkmcnt(0)
	v_cmp_gt_i16_e64 s[8:9], v83, v85
	v_cndmask_b32_e64 v81, v81, v84, s[8:9]
	v_cndmask_b32_e64 v70, v86, v70, s[8:9]
	v_cmp_ge_u32_e64 s[8:9], v70, v81
	s_or_b64 s[38:39], s[8:9], s[38:39]
	s_andn2_b64 exec, exec, s[38:39]
	s_cbranch_execnz .LBB2929_263
; %bb.264:
	s_or_b64 exec, exec, s[38:39]
.LBB2929_265:
	s_or_b64 exec, exec, s[12:13]
	v_add_u32_e32 v80, v67, v80
	v_add_u32_e32 v71, v70, v71
	v_sub_u32_e32 v80, v80, v70
	v_cmp_le_u32_e64 s[8:9], v71, v67
	v_cmp_le_u32_e64 s[12:13], v80, v68
	s_or_b64 s[8:9], s[8:9], s[12:13]
	s_and_saveexec_b64 s[62:63], s[8:9]
	s_cbranch_execz .LBB2929_271
; %bb.266:
	v_cmp_lt_u32_e64 s[8:9], v71, v67
                                        ; implicit-def: $vgpr6
	s_and_saveexec_b64 s[12:13], s[8:9]
	s_cbranch_execz .LBB2929_268
; %bb.267:
	v_lshl_add_u32 v6, v70, 1, v69
	ds_read_u16 v6, v6
.LBB2929_268:
	s_or_b64 exec, exec, s[12:13]
	v_cmp_ge_u32_e64 s[38:39], v80, v68
	v_cmp_lt_u32_e64 s[12:13], v80, v68
                                        ; implicit-def: $vgpr7
	s_and_saveexec_b64 s[40:41], s[12:13]
	s_cbranch_execz .LBB2929_270
; %bb.269:
	v_lshl_add_u32 v7, v80, 1, v31
	ds_read_u16 v7, v7
.LBB2929_270:
	s_or_b64 exec, exec, s[40:41]
	s_waitcnt lgkmcnt(0)
	v_cmp_le_i16_e64 s[12:13], v6, v7
	s_and_b64 s[8:9], s[8:9], s[12:13]
	s_or_b64 s[8:9], s[38:39], s[8:9]
	v_cndmask_b32_e64 v8, v80, v71, s[8:9]
	v_cndmask_b32_e64 v9, v68, v67, s[8:9]
	v_add_u32_e32 v8, 1, v8
	v_add_u32_e32 v9, -1, v9
	v_min_u32_e32 v9, v8, v9
	v_lshl_add_u32 v9, v9, 1, v31
	ds_read_u16 v9, v9
	v_cndmask_b32_e64 v10, v8, v80, s[8:9]
	v_cndmask_b32_e64 v8, v71, v8, s[8:9]
	v_cmp_lt_u32_e64 s[38:39], v8, v67
	v_cmp_ge_u32_e64 s[12:13], v10, v68
	s_waitcnt lgkmcnt(0)
	v_cndmask_b32_e64 v11, v9, v7, s[8:9]
	v_cndmask_b32_e64 v9, v6, v9, s[8:9]
	v_cmp_le_i16_e64 s[40:41], v9, v11
	s_and_b64 s[38:39], s[38:39], s[40:41]
	s_or_b64 s[38:39], s[12:13], s[38:39]
	v_cndmask_b32_e64 v12, v10, v8, s[38:39]
	v_cndmask_b32_e64 v13, v68, v67, s[38:39]
	v_add_u32_e32 v12, 1, v12
	v_add_u32_e32 v13, -1, v13
	v_min_u32_e32 v13, v12, v13
	v_lshl_add_u32 v13, v13, 1, v31
	ds_read_u16 v13, v13
	v_cndmask_b32_e64 v8, v8, v12, s[38:39]
	v_cndmask_b32_e64 v10, v12, v10, s[38:39]
	v_cmp_lt_u32_e64 s[40:41], v8, v67
	v_cmp_ge_u32_e64 s[12:13], v10, v68
	s_waitcnt lgkmcnt(0)
	v_cndmask_b32_e64 v37, v13, v11, s[38:39]
	v_cndmask_b32_e64 v13, v9, v13, s[38:39]
	;; [unrolled: 17-line block ×11, first 2 shown]
	v_cmp_le_i16_e64 s[60:61], v81, v80
	s_and_b64 s[58:59], s[58:59], s[60:61]
	s_or_b64 s[56:57], s[56:57], s[58:59]
	v_cndmask_b32_e64 v12, v10, v8, s[56:57]
	v_cndmask_b32_e64 v35, v68, v67, s[56:57]
	v_add_u32_e32 v12, 1, v12
	v_add_u32_e32 v35, -1, v35
	v_min_u32_e32 v35, v12, v35
	v_lshl_add_u32 v35, v35, 1, v31
	ds_read_u16 v82, v35
	v_cndmask_b32_e64 v36, v7, v6, s[8:9]
	v_cndmask_b32_e64 v8, v8, v12, s[56:57]
	;; [unrolled: 1-line block ×4, first 2 shown]
	s_waitcnt lgkmcnt(0)
	v_cndmask_b32_e64 v6, v82, v80, s[56:57]
	v_cndmask_b32_e64 v7, v81, v82, s[56:57]
	v_cndmask_b32_e64 v9, v12, v10, s[56:57]
	v_cmp_lt_u32_e64 s[38:39], v8, v67
	v_cmp_le_i16_e64 s[42:43], v7, v6
	v_cmp_ge_u32_e64 s[8:9], v9, v68
	s_and_b64 s[38:39], s[38:39], s[42:43]
	s_or_b64 s[8:9], s[8:9], s[38:39]
	v_cndmask_b32_e64 v10, v9, v8, s[8:9]
	v_cndmask_b32_e64 v11, v68, v67, s[8:9]
	v_add_u32_e32 v10, 1, v10
	v_add_u32_e32 v11, -1, v11
	v_min_u32_e32 v11, v10, v11
	v_lshl_add_u32 v11, v11, 1, v31
	ds_read_u16 v11, v11
	v_cndmask_b32_e64 v8, v8, v10, s[8:9]
	v_cndmask_b32_e64 v38, v38, v39, s[40:41]
	;; [unrolled: 1-line block ×3, first 2 shown]
	v_cmp_lt_u32_e64 s[40:41], v8, v67
	s_waitcnt lgkmcnt(0)
	v_cndmask_b32_e64 v12, v11, v6, s[8:9]
	v_cndmask_b32_e64 v11, v7, v11, s[8:9]
	v_cmp_le_i16_e64 s[42:43], v11, v12
	v_cmp_ge_u32_e64 s[38:39], v9, v68
	s_and_b64 s[40:41], s[40:41], s[42:43]
	s_or_b64 s[38:39], s[38:39], s[40:41]
	v_cndmask_b32_e64 v10, v9, v8, s[38:39]
	v_cndmask_b32_e64 v13, v68, v67, s[38:39]
	v_add_u32_e32 v10, 1, v10
	v_add_u32_e32 v13, -1, v13
	v_min_u32_e32 v13, v10, v13
	v_lshl_add_u32 v13, v13, 1, v31
	ds_read_u16 v13, v13
	v_cndmask_b32_e64 v39, v50, v51, s[46:47]
	v_cndmask_b32_e64 v50, v66, v69, s[12:13]
	v_cndmask_b32_e64 v8, v8, v10, s[38:39]
	v_cndmask_b32_e64 v9, v10, v9, s[38:39]
	s_waitcnt lgkmcnt(0)
	v_cndmask_b32_e64 v66, v13, v12, s[38:39]
	v_cndmask_b32_e64 v13, v11, v13, s[38:39]
	v_cmp_lt_u32_e64 s[40:41], v8, v67
	v_cmp_le_i16_e64 s[42:43], v13, v66
	v_cmp_ge_u32_e64 s[12:13], v9, v68
	s_and_b64 s[40:41], s[40:41], s[42:43]
	s_or_b64 s[12:13], s[12:13], s[40:41]
	v_cndmask_b32_e64 v51, v54, v55, s[48:49]
	v_cndmask_b32_e64 v10, v9, v8, s[12:13]
	;; [unrolled: 1-line block ×3, first 2 shown]
	v_add_u32_e32 v10, 1, v10
	v_add_u32_e32 v54, -1, v54
	v_min_u32_e32 v54, v10, v54
	v_lshl_add_u32 v54, v54, 1, v31
	ds_read_u16 v69, v54
	v_cndmask_b32_e64 v48, v48, v49, s[44:45]
	v_cndmask_b32_e64 v49, v52, v53, s[50:51]
	v_cndmask_b32_e64 v52, v64, v65, s[52:53]
	v_cndmask_b32_e64 v64, v6, v7, s[8:9]
	s_waitcnt lgkmcnt(0)
	v_cndmask_b32_e64 v6, v13, v69, s[12:13]
	v_cndmask_b32_e64 v7, v10, v9, s[12:13]
	;; [unrolled: 1-line block ×4, first 2 shown]
	v_min_i16_e32 v10, v6, v9
	v_cmp_lt_u32_e64 s[8:9], v8, v67
	v_cndmask_b32_e64 v8, v9, v10, s[8:9]
	v_cmp_lt_u32_e64 s[8:9], v7, v68
	v_cndmask_b32_e64 v53, v70, v71, s[54:55]
	v_cndmask_b32_e64 v54, v80, v81, s[56:57]
	;; [unrolled: 1-line block ×5, first 2 shown]
	s_mov_b32 s8, 0x5040100
	v_perm_b32 v13, v66, v65, s8
	v_perm_b32 v12, v55, v64, s8
	;; [unrolled: 1-line block ×8, first 2 shown]
.LBB2929_271:
	s_or_b64 exec, exec, s[62:63]
	s_mov_b32 s8, 0x5040100
	v_perm_b32 v70, v39, v48, s8
	v_perm_b32 v69, v38, v37, s8
	;; [unrolled: 1-line block ×7, first 2 shown]
	; wave barrier
	v_perm_b32 v71, v51, v49, s8
	ds_write_b128 v33, v[36:39] offset:16
	v_and_b32_e32 v36, 0x700, v34
	ds_write_b128 v33, v[68:71]
	v_or_b32_e32 v33, 0x80, v36
	v_min_u32_e32 v33, v32, v33
	v_add_u32_e32 v35, 0x80, v33
	v_min_u32_e32 v35, v32, v35
	v_and_b32_e32 v34, 0xf0, v34
	v_min_u32_e32 v37, v32, v34
	v_sub_u32_e32 v38, v33, v36
	v_sub_u32_e32 v34, v35, v33
	v_sub_u32_e64 v34, v37, v34 clamp
	v_min_u32_e32 v38, v37, v38
	v_lshl_add_u32 v32, v36, 1, v31
	v_cmp_lt_u32_e64 s[8:9], v34, v38
	; wave barrier
	s_and_saveexec_b64 s[12:13], s[8:9]
	s_cbranch_execz .LBB2929_275
; %bb.272:
	v_lshlrev_b32_e32 v39, 1, v33
	v_lshlrev_b32_e32 v48, 1, v37
	v_add3_u32 v39, v31, v39, v48
	s_mov_b64 s[38:39], 0
.LBB2929_273:                           ; =>This Inner Loop Header: Depth=1
	v_add_u32_e32 v48, v38, v34
	v_lshrrev_b32_e32 v49, 1, v48
	v_and_b32_e32 v48, -2, v48
	v_not_b32_e32 v50, v49
	v_add_u32_e32 v48, v32, v48
	v_lshl_add_u32 v50, v50, 1, v39
	ds_read_u16 v48, v48
	ds_read_u16 v50, v50
	v_add_u32_e32 v51, 1, v49
	s_waitcnt lgkmcnt(0)
	v_cmp_gt_i16_e64 s[8:9], v48, v50
	v_cndmask_b32_e64 v38, v38, v49, s[8:9]
	v_cndmask_b32_e64 v34, v51, v34, s[8:9]
	v_cmp_ge_u32_e64 s[8:9], v34, v38
	s_or_b64 s[38:39], s[8:9], s[38:39]
	s_andn2_b64 exec, exec, s[38:39]
	s_cbranch_execnz .LBB2929_273
; %bb.274:
	s_or_b64 exec, exec, s[38:39]
.LBB2929_275:
	s_or_b64 exec, exec, s[12:13]
	v_add_u32_e32 v37, v33, v37
	v_add_u32_e32 v36, v34, v36
	v_sub_u32_e32 v37, v37, v34
	v_cmp_le_u32_e64 s[8:9], v36, v33
	v_cmp_le_u32_e64 s[12:13], v37, v35
	s_or_b64 s[8:9], s[8:9], s[12:13]
	s_and_saveexec_b64 s[62:63], s[8:9]
	s_cbranch_execz .LBB2929_281
; %bb.276:
	v_cmp_lt_u32_e64 s[8:9], v36, v33
                                        ; implicit-def: $vgpr6
	s_and_saveexec_b64 s[12:13], s[8:9]
	s_cbranch_execz .LBB2929_278
; %bb.277:
	v_lshl_add_u32 v6, v34, 1, v32
	ds_read_u16 v6, v6
.LBB2929_278:
	s_or_b64 exec, exec, s[12:13]
	v_cmp_ge_u32_e64 s[38:39], v37, v35
	v_cmp_lt_u32_e64 s[12:13], v37, v35
                                        ; implicit-def: $vgpr7
	s_and_saveexec_b64 s[40:41], s[12:13]
	s_cbranch_execz .LBB2929_280
; %bb.279:
	v_lshl_add_u32 v7, v37, 1, v31
	ds_read_u16 v7, v7
.LBB2929_280:
	s_or_b64 exec, exec, s[40:41]
	s_waitcnt lgkmcnt(0)
	v_cmp_le_i16_e64 s[12:13], v6, v7
	s_and_b64 s[8:9], s[8:9], s[12:13]
	s_or_b64 s[8:9], s[38:39], s[8:9]
	v_cndmask_b32_e64 v8, v37, v36, s[8:9]
	v_cndmask_b32_e64 v9, v35, v33, s[8:9]
	v_add_u32_e32 v8, 1, v8
	v_add_u32_e32 v9, -1, v9
	v_min_u32_e32 v9, v8, v9
	v_lshl_add_u32 v9, v9, 1, v31
	ds_read_u16 v9, v9
	v_cndmask_b32_e64 v10, v8, v37, s[8:9]
	v_cndmask_b32_e64 v8, v36, v8, s[8:9]
	v_cmp_lt_u32_e64 s[38:39], v8, v33
	v_cmp_ge_u32_e64 s[12:13], v10, v35
	s_waitcnt lgkmcnt(0)
	v_cndmask_b32_e64 v11, v9, v7, s[8:9]
	v_cndmask_b32_e64 v9, v6, v9, s[8:9]
	v_cmp_le_i16_e64 s[40:41], v9, v11
	s_and_b64 s[38:39], s[38:39], s[40:41]
	s_or_b64 s[38:39], s[12:13], s[38:39]
	v_cndmask_b32_e64 v12, v10, v8, s[38:39]
	v_cndmask_b32_e64 v13, v35, v33, s[38:39]
	v_add_u32_e32 v12, 1, v12
	v_add_u32_e32 v13, -1, v13
	v_min_u32_e32 v13, v12, v13
	v_lshl_add_u32 v13, v13, 1, v31
	ds_read_u16 v13, v13
	v_cndmask_b32_e64 v8, v8, v12, s[38:39]
	v_cndmask_b32_e64 v10, v12, v10, s[38:39]
	v_cmp_lt_u32_e64 s[40:41], v8, v33
	v_cmp_ge_u32_e64 s[12:13], v10, v35
	s_waitcnt lgkmcnt(0)
	v_cndmask_b32_e64 v32, v13, v11, s[38:39]
	v_cndmask_b32_e64 v13, v9, v13, s[38:39]
	;; [unrolled: 17-line block ×11, first 2 shown]
	v_cmp_le_i16_e64 s[60:61], v67, v68
	s_and_b64 s[58:59], s[58:59], s[60:61]
	s_or_b64 s[56:57], s[56:57], s[58:59]
	v_cndmask_b32_e64 v12, v10, v8, s[56:57]
	v_cndmask_b32_e64 v69, v35, v33, s[56:57]
	v_add_u32_e32 v12, 1, v12
	v_add_u32_e32 v69, -1, v69
	v_min_u32_e32 v69, v12, v69
	v_lshl_add_u32 v69, v69, 1, v31
	ds_read_u16 v69, v69
	v_cndmask_b32_e64 v70, v11, v9, s[38:39]
	v_cndmask_b32_e64 v8, v8, v12, s[56:57]
	;; [unrolled: 1-line block ×4, first 2 shown]
	s_waitcnt lgkmcnt(0)
	v_cndmask_b32_e64 v9, v69, v68, s[56:57]
	v_cndmask_b32_e64 v11, v67, v69, s[56:57]
	;; [unrolled: 1-line block ×3, first 2 shown]
	v_cmp_lt_u32_e64 s[38:39], v8, v33
	v_cmp_le_i16_e64 s[42:43], v11, v9
	v_cmp_ge_u32_e64 s[8:9], v10, v35
	s_and_b64 s[38:39], s[38:39], s[42:43]
	s_or_b64 s[8:9], s[8:9], s[38:39]
	v_cndmask_b32_e64 v12, v10, v8, s[8:9]
	v_cndmask_b32_e64 v13, v35, v33, s[8:9]
	v_add_u32_e32 v12, 1, v12
	v_add_u32_e32 v13, -1, v13
	v_min_u32_e32 v13, v12, v13
	v_lshl_add_u32 v13, v13, 1, v31
	ds_read_u16 v13, v13
	v_cndmask_b32_e64 v32, v36, v34, s[40:41]
	v_cndmask_b32_e64 v34, v38, v37, s[44:45]
	;; [unrolled: 1-line block ×4, first 2 shown]
	s_waitcnt lgkmcnt(0)
	v_cndmask_b32_e64 v38, v13, v9, s[8:9]
	v_cndmask_b32_e64 v13, v11, v13, s[8:9]
	v_cmp_lt_u32_e64 s[40:41], v8, v33
	v_cmp_le_i16_e64 s[42:43], v13, v38
	v_cmp_ge_u32_e64 s[38:39], v10, v35
	s_and_b64 s[40:41], s[40:41], s[42:43]
	s_or_b64 s[38:39], s[38:39], s[40:41]
	v_cndmask_b32_e64 v36, v48, v39, s[46:47]
	v_cndmask_b32_e64 v12, v10, v8, s[38:39]
	;; [unrolled: 1-line block ×3, first 2 shown]
	v_add_u32_e32 v12, 1, v12
	v_add_u32_e32 v39, -1, v39
	v_min_u32_e32 v39, v12, v39
	v_lshl_add_u32 v39, v39, 1, v31
	ds_read_u16 v39, v39
	v_cndmask_b32_e64 v48, v52, v51, s[48:49]
	v_cndmask_b32_e64 v8, v8, v12, s[38:39]
	v_cndmask_b32_e64 v10, v12, v10, s[38:39]
	v_cmp_lt_u32_e64 s[40:41], v8, v33
	s_waitcnt lgkmcnt(0)
	v_cndmask_b32_e64 v52, v39, v38, s[38:39]
	v_cndmask_b32_e64 v39, v13, v39, s[38:39]
	v_cmp_le_i16_e64 s[42:43], v39, v52
	v_cndmask_b32_e64 v37, v50, v49, s[50:51]
	v_cndmask_b32_e64 v50, v64, v55, s[12:13]
	v_cmp_ge_u32_e64 s[12:13], v10, v35
	s_and_b64 s[40:41], s[40:41], s[42:43]
	s_or_b64 s[12:13], s[12:13], s[40:41]
	v_cndmask_b32_e64 v49, v54, v53, s[52:53]
	v_cndmask_b32_e64 v12, v10, v8, s[12:13]
	v_cndmask_b32_e64 v53, v35, v33, s[12:13]
	v_add_u32_e32 v12, 1, v12
	v_add_u32_e32 v53, -1, v53
	v_min_u32_e32 v53, v12, v53
	v_lshl_add_u32 v31, v53, 1, v31
	ds_read_u16 v31, v31
	v_cndmask_b32_e64 v9, v9, v11, s[8:9]
	v_cndmask_b32_e64 v11, v38, v13, s[38:39]
	;; [unrolled: 1-line block ×4, first 2 shown]
	s_waitcnt lgkmcnt(0)
	v_cndmask_b32_e64 v38, v39, v31, s[12:13]
	v_cndmask_b32_e64 v31, v31, v52, s[12:13]
	v_min_i16_e32 v12, v38, v31
	v_cmp_lt_u32_e64 s[8:9], v8, v33
	v_cndmask_b32_e64 v8, v31, v12, s[8:9]
	v_cmp_lt_u32_e64 s[8:9], v10, v35
	v_cndmask_b32_e64 v51, v66, v65, s[54:55]
	v_cndmask_b32_e64 v53, v68, v67, s[56:57]
	;; [unrolled: 1-line block ×4, first 2 shown]
	s_mov_b32 s8, 0x5040100
	v_perm_b32 v13, v8, v13, s8
	v_perm_b32 v12, v11, v9, s8
	;; [unrolled: 1-line block ×8, first 2 shown]
.LBB2929_281:
	s_or_b64 exec, exec, s[62:63]
	s_movk_i32 s74, 0x100
	v_cmp_lt_u32_e64 s[8:9], s74, v0
	v_lshlrev_b32_e32 v31, 5, v14
	; wave barrier
	s_waitcnt lgkmcnt(0)
	s_barrier
	s_and_saveexec_b64 s[62:63], s[8:9]
	s_cbranch_execz .LBB2929_398
; %bb.282:
	s_mov_b64 s[64:65], 0
	s_mov_b32 s75, 0x5040100
	s_branch .LBB2929_285
.LBB2929_283:                           ;   in Loop: Header=BB2929_285 Depth=1
	s_or_b64 exec, exec, s[40:41]
	s_waitcnt lgkmcnt(0)
	v_cmp_le_i16_e64 s[12:13], v6, v7
	s_and_b64 s[8:9], s[8:9], s[12:13]
	s_or_b64 s[8:9], s[38:39], s[8:9]
	v_cndmask_b32_e64 v8, v37, v36, s[8:9]
	v_cndmask_b32_e64 v9, v33, v32, s[8:9]
	v_add_u32_e32 v8, 1, v8
	v_add_u32_e32 v9, -1, v9
	v_min_u32_e32 v9, v8, v9
	v_lshlrev_b32_e32 v9, 1, v9
	ds_read_u16 v9, v9
	v_cndmask_b32_e64 v10, v8, v37, s[8:9]
	v_cndmask_b32_e64 v8, v36, v8, s[8:9]
	v_cmp_lt_u32_e64 s[38:39], v8, v32
	v_cmp_ge_u32_e64 s[12:13], v10, v33
	s_waitcnt lgkmcnt(0)
	v_cndmask_b32_e64 v11, v9, v7, s[8:9]
	v_cndmask_b32_e64 v9, v6, v9, s[8:9]
	v_cmp_le_i16_e64 s[40:41], v9, v11
	s_and_b64 s[38:39], s[38:39], s[40:41]
	s_or_b64 s[38:39], s[12:13], s[38:39]
	v_cndmask_b32_e64 v12, v10, v8, s[38:39]
	v_cndmask_b32_e64 v13, v33, v32, s[38:39]
	v_add_u32_e32 v12, 1, v12
	v_add_u32_e32 v13, -1, v13
	v_min_u32_e32 v13, v12, v13
	v_lshlrev_b32_e32 v13, 1, v13
	ds_read_u16 v13, v13
	v_cndmask_b32_e64 v8, v8, v12, s[38:39]
	v_cndmask_b32_e64 v10, v12, v10, s[38:39]
	v_cmp_lt_u32_e64 s[40:41], v8, v32
	v_cmp_ge_u32_e64 s[12:13], v10, v33
	s_waitcnt lgkmcnt(0)
	v_cndmask_b32_e64 v34, v13, v11, s[38:39]
	v_cndmask_b32_e64 v13, v9, v13, s[38:39]
	;; [unrolled: 17-line block ×11, first 2 shown]
	v_cmp_le_i16_e64 s[60:61], v67, v68
	s_and_b64 s[58:59], s[58:59], s[60:61]
	s_or_b64 s[56:57], s[56:57], s[58:59]
	v_cndmask_b32_e64 v12, v10, v8, s[56:57]
	v_cndmask_b32_e64 v69, v33, v32, s[56:57]
	v_add_u32_e32 v12, 1, v12
	v_add_u32_e32 v69, -1, v69
	v_min_u32_e32 v69, v12, v69
	v_lshlrev_b32_e32 v69, 1, v69
	ds_read_u16 v69, v69
	v_cndmask_b32_e64 v70, v11, v9, s[38:39]
	v_cndmask_b32_e64 v8, v8, v12, s[56:57]
	;; [unrolled: 1-line block ×4, first 2 shown]
	s_waitcnt lgkmcnt(0)
	v_cndmask_b32_e64 v9, v69, v68, s[56:57]
	v_cndmask_b32_e64 v11, v67, v69, s[56:57]
	;; [unrolled: 1-line block ×3, first 2 shown]
	v_cmp_lt_u32_e64 s[38:39], v8, v32
	v_cmp_le_i16_e64 s[42:43], v11, v9
	v_cmp_ge_u32_e64 s[8:9], v10, v33
	s_and_b64 s[38:39], s[38:39], s[42:43]
	s_or_b64 s[8:9], s[8:9], s[38:39]
	v_cndmask_b32_e64 v12, v10, v8, s[8:9]
	v_cndmask_b32_e64 v13, v33, v32, s[8:9]
	v_add_u32_e32 v12, 1, v12
	v_add_u32_e32 v13, -1, v13
	v_min_u32_e32 v13, v12, v13
	v_lshlrev_b32_e32 v13, 1, v13
	ds_read_u16 v13, v13
	v_cndmask_b32_e64 v34, v36, v35, s[40:41]
	v_cndmask_b32_e64 v35, v38, v37, s[44:45]
	;; [unrolled: 1-line block ×4, first 2 shown]
	s_waitcnt lgkmcnt(0)
	v_cndmask_b32_e64 v38, v13, v9, s[8:9]
	v_cndmask_b32_e64 v13, v11, v13, s[8:9]
	v_cmp_lt_u32_e64 s[40:41], v8, v32
	v_cmp_le_i16_e64 s[42:43], v13, v38
	v_cmp_ge_u32_e64 s[38:39], v10, v33
	s_and_b64 s[40:41], s[40:41], s[42:43]
	s_or_b64 s[38:39], s[38:39], s[40:41]
	v_cndmask_b32_e64 v36, v48, v39, s[46:47]
	v_cndmask_b32_e64 v12, v10, v8, s[38:39]
	;; [unrolled: 1-line block ×3, first 2 shown]
	v_add_u32_e32 v12, 1, v12
	v_add_u32_e32 v39, -1, v39
	v_min_u32_e32 v39, v12, v39
	v_lshlrev_b32_e32 v39, 1, v39
	ds_read_u16 v39, v39
	v_cndmask_b32_e64 v48, v52, v51, s[48:49]
	v_cndmask_b32_e64 v8, v8, v12, s[38:39]
	;; [unrolled: 1-line block ×3, first 2 shown]
	v_cmp_lt_u32_e64 s[40:41], v8, v32
	s_waitcnt lgkmcnt(0)
	v_cndmask_b32_e64 v52, v39, v38, s[38:39]
	v_cndmask_b32_e64 v39, v13, v39, s[38:39]
	v_cmp_le_i16_e64 s[42:43], v39, v52
	v_cndmask_b32_e64 v37, v50, v49, s[50:51]
	v_cndmask_b32_e64 v50, v64, v55, s[12:13]
	v_cmp_ge_u32_e64 s[12:13], v10, v33
	s_and_b64 s[40:41], s[40:41], s[42:43]
	s_or_b64 s[12:13], s[12:13], s[40:41]
	v_cndmask_b32_e64 v49, v54, v53, s[52:53]
	v_cndmask_b32_e64 v12, v10, v8, s[12:13]
	;; [unrolled: 1-line block ×3, first 2 shown]
	v_add_u32_e32 v12, 1, v12
	v_add_u32_e32 v53, -1, v53
	v_min_u32_e32 v53, v12, v53
	v_lshlrev_b32_e32 v53, 1, v53
	ds_read_u16 v53, v53
	v_cndmask_b32_e64 v9, v9, v11, s[8:9]
	v_cndmask_b32_e64 v11, v38, v13, s[38:39]
	;; [unrolled: 1-line block ×4, first 2 shown]
	s_waitcnt lgkmcnt(0)
	v_cndmask_b32_e64 v38, v39, v53, s[12:13]
	v_cndmask_b32_e64 v39, v53, v52, s[12:13]
	;; [unrolled: 1-line block ×3, first 2 shown]
	v_min_i16_e32 v12, v38, v39
	v_cmp_lt_u32_e64 s[8:9], v8, v32
	v_cndmask_b32_e64 v8, v39, v12, s[8:9]
	v_cmp_lt_u32_e64 s[8:9], v10, v33
	v_cndmask_b32_e64 v51, v66, v65, s[54:55]
	v_cndmask_b32_e64 v54, v68, v67, s[56:57]
	;; [unrolled: 1-line block ×3, first 2 shown]
	v_perm_b32 v13, v8, v13, s75
	v_perm_b32 v12, v11, v9, s75
	;; [unrolled: 1-line block ×8, first 2 shown]
.LBB2929_284:                           ;   in Loop: Header=BB2929_285 Depth=1
	s_or_b64 exec, exec, s[72:73]
	v_cmp_ge_u32_e64 s[8:9], s74, v0
	s_or_b64 s[64:65], s[8:9], s[64:65]
	s_barrier
	s_andn2_b64 exec, exec, s[64:65]
	s_cbranch_execz .LBB2929_397
.LBB2929_285:                           ; =>This Loop Header: Depth=1
                                        ;     Child Loop BB2929_287 Depth 2
	s_mov_b32 s8, s74
	s_lshl_b32 s74, s74, 1
	s_sub_i32 s12, 0, s74
	v_and_b32_e32 v36, s12, v17
	v_add_u32_e32 v32, s8, v36
	v_min_u32_e32 v32, v32, v0
	s_add_i32 s9, s74, -1
	v_add_u32_e32 v33, s8, v32
	v_min_u32_e32 v33, v33, v0
	v_and_b32_e32 v34, s9, v17
	v_min_u32_e32 v37, v34, v0
	v_sub_u32_e32 v38, v32, v36
	v_sub_u32_e32 v35, v33, v32
	v_sub_u32_e64 v35, v37, v35 clamp
	v_min_u32_e32 v38, v37, v38
	v_lshlrev_b32_e32 v34, 1, v36
	v_cmp_lt_u32_e64 s[8:9], v35, v38
	ds_write_b128 v31, v[6:9]
	ds_write_b128 v31, v[10:13] offset:16
	s_waitcnt lgkmcnt(0)
	s_barrier
	s_and_saveexec_b64 s[12:13], s[8:9]
	s_cbranch_execz .LBB2929_289
; %bb.286:                              ;   in Loop: Header=BB2929_285 Depth=1
	v_lshlrev_b32_e32 v39, 1, v37
	v_lshl_add_u32 v39, v32, 1, v39
	s_mov_b64 s[38:39], 0
.LBB2929_287:                           ;   Parent Loop BB2929_285 Depth=1
                                        ; =>  This Inner Loop Header: Depth=2
	v_add_u32_e32 v48, v38, v35
	v_lshrrev_b32_e32 v49, 1, v48
	v_and_b32_e32 v48, -2, v48
	v_not_b32_e32 v50, v49
	v_add_u32_e32 v48, v34, v48
	v_lshl_add_u32 v50, v50, 1, v39
	ds_read_u16 v48, v48
	ds_read_u16 v50, v50
	v_add_u32_e32 v51, 1, v49
	s_waitcnt lgkmcnt(0)
	v_cmp_gt_i16_e64 s[8:9], v48, v50
	v_cndmask_b32_e64 v38, v38, v49, s[8:9]
	v_cndmask_b32_e64 v35, v51, v35, s[8:9]
	v_cmp_ge_u32_e64 s[8:9], v35, v38
	s_or_b64 s[38:39], s[8:9], s[38:39]
	s_andn2_b64 exec, exec, s[38:39]
	s_cbranch_execnz .LBB2929_287
; %bb.288:                              ;   in Loop: Header=BB2929_285 Depth=1
	s_or_b64 exec, exec, s[38:39]
.LBB2929_289:                           ;   in Loop: Header=BB2929_285 Depth=1
	s_or_b64 exec, exec, s[12:13]
	v_sub_u32_e32 v37, v37, v35
	v_add_u32_e32 v36, v35, v36
	v_add_u32_e32 v37, v37, v32
	v_cmp_le_u32_e64 s[8:9], v36, v32
	v_cmp_le_u32_e64 s[12:13], v37, v33
	s_or_b64 s[8:9], s[8:9], s[12:13]
	s_and_saveexec_b64 s[72:73], s[8:9]
	s_cbranch_execz .LBB2929_284
; %bb.290:                              ;   in Loop: Header=BB2929_285 Depth=1
	v_cmp_lt_u32_e64 s[8:9], v36, v32
                                        ; implicit-def: $vgpr6
	s_and_saveexec_b64 s[12:13], s[8:9]
	s_cbranch_execz .LBB2929_292
; %bb.291:                              ;   in Loop: Header=BB2929_285 Depth=1
	v_lshl_add_u32 v6, v35, 1, v34
	ds_read_u16 v6, v6
.LBB2929_292:                           ;   in Loop: Header=BB2929_285 Depth=1
	s_or_b64 exec, exec, s[12:13]
	v_cmp_ge_u32_e64 s[38:39], v37, v33
	v_cmp_lt_u32_e64 s[12:13], v37, v33
                                        ; implicit-def: $vgpr7
	s_and_saveexec_b64 s[40:41], s[12:13]
	s_cbranch_execz .LBB2929_283
; %bb.293:                              ;   in Loop: Header=BB2929_285 Depth=1
	v_lshlrev_b32_e32 v7, 1, v37
	ds_read_u16 v7, v7
	s_branch .LBB2929_283
.LBB2929_294:
	v_alignbit_b32 v33, v7, v7, 16
	v_cmp_gt_i16_sdwa s[12:13], v7, v7 src0_sel:DWORD src1_sel:WORD_1
	v_cndmask_b32_e64 v7, v7, v33, s[12:13]
	s_or_b64 exec, exec, s[40:41]
	v_cmp_lt_u32_e64 s[40:41], 5, v32
	s_and_saveexec_b64 s[42:43], s[40:41]
	s_cbranch_execz .LBB2929_122
.LBB2929_295:
	v_alignbit_b32 v33, v8, v8, 16
	v_cmp_gt_i16_sdwa s[12:13], v8, v8 src0_sel:DWORD src1_sel:WORD_1
	v_cndmask_b32_e64 v8, v8, v33, s[12:13]
	s_or_b64 exec, exec, s[42:43]
	v_cmp_lt_u32_e64 s[42:43], 7, v32
	s_and_saveexec_b64 s[44:45], s[42:43]
	s_cbranch_execz .LBB2929_123
.LBB2929_296:
	v_alignbit_b32 v33, v9, v9, 16
	v_cmp_gt_i16_sdwa s[12:13], v9, v9 src0_sel:DWORD src1_sel:WORD_1
	v_cndmask_b32_e64 v9, v9, v33, s[12:13]
	s_or_b64 exec, exec, s[44:45]
	v_cmp_lt_u32_e64 s[44:45], 9, v32
	s_and_saveexec_b64 s[46:47], s[44:45]
	s_cbranch_execz .LBB2929_124
.LBB2929_297:
	v_alignbit_b32 v33, v10, v10, 16
	v_cmp_gt_i16_sdwa s[12:13], v10, v10 src0_sel:DWORD src1_sel:WORD_1
	v_cndmask_b32_e64 v10, v10, v33, s[12:13]
	s_or_b64 exec, exec, s[46:47]
	v_cmp_lt_u32_e64 s[46:47], 11, v32
	s_and_saveexec_b64 s[48:49], s[46:47]
	s_cbranch_execz .LBB2929_125
.LBB2929_298:
	v_alignbit_b32 v33, v11, v11, 16
	v_cmp_gt_i16_sdwa s[12:13], v11, v11 src0_sel:DWORD src1_sel:WORD_1
	v_cndmask_b32_e64 v11, v11, v33, s[12:13]
	s_or_b64 exec, exec, s[48:49]
	v_cmp_lt_u32_e64 s[48:49], 13, v32
	s_and_saveexec_b64 s[50:51], s[48:49]
	s_cbranch_execz .LBB2929_126
.LBB2929_299:
	v_alignbit_b32 v33, v12, v12, 16
	v_cmp_gt_i16_sdwa s[12:13], v12, v12 src0_sel:DWORD src1_sel:WORD_1
	v_cndmask_b32_e64 v12, v12, v33, s[12:13]
	s_or_b64 exec, exec, s[50:51]
	v_cmp_lt_u32_e64 s[50:51], 15, v32
	s_and_saveexec_b64 s[52:53], s[50:51]
	s_cbranch_execnz .LBB2929_127
	s_branch .LBB2929_128
.LBB2929_300:
	s_mov_b32 s12, 0x7060302
	v_perm_b32 v33, v7, v6, s12
	v_cmp_gt_i16_sdwa s[12:13], v6, v7 src0_sel:WORD_1 src1_sel:DWORD
	s_mov_b32 s56, 0x5040100
	v_cndmask_b32_e64 v49, v7, v33, s[12:13]
	v_perm_b32 v7, v7, v6, s56
	v_cndmask_b32_e64 v48, v6, v7, s[12:13]
	v_mov_b32_e32 v50, v8
	v_mov_b32_e32 v51, v9
	;; [unrolled: 1-line block ×6, first 2 shown]
	v_pk_mov_b32 v[6:7], v[48:49], v[48:49] op_sel:[0,1]
	v_pk_mov_b32 v[8:9], v[50:51], v[50:51] op_sel:[0,1]
	;; [unrolled: 1-line block ×4, first 2 shown]
	s_or_b64 exec, exec, s[54:55]
	v_cmp_lt_u32_e64 s[54:55], 4, v32
	s_and_saveexec_b64 s[56:57], s[54:55]
	s_cbranch_execz .LBB2929_130
.LBB2929_301:
	s_mov_b32 s12, 0x7060302
	v_perm_b32 v33, v8, v7, s12
	v_cmp_gt_i16_sdwa s[12:13], v7, v8 src0_sel:WORD_1 src1_sel:DWORD
	s_mov_b32 s58, 0x5040100
	v_cndmask_b32_e64 v33, v8, v33, s[12:13]
	v_perm_b32 v8, v8, v7, s58
	v_cndmask_b32_e64 v7, v7, v8, s[12:13]
	v_mov_b32_e32 v8, v33
	s_or_b64 exec, exec, s[56:57]
	v_cmp_lt_u32_e64 s[56:57], 6, v32
	s_and_saveexec_b64 s[58:59], s[56:57]
	s_cbranch_execz .LBB2929_131
.LBB2929_302:
	s_mov_b32 s12, 0x7060302
	v_perm_b32 v33, v9, v8, s12
	v_cmp_gt_i16_sdwa s[12:13], v8, v9 src0_sel:WORD_1 src1_sel:DWORD
	s_mov_b32 s60, 0x5040100
	v_cndmask_b32_e64 v33, v9, v33, s[12:13]
	v_perm_b32 v9, v9, v8, s60
	v_cndmask_b32_e64 v8, v8, v9, s[12:13]
	v_mov_b32_e32 v9, v33
	s_or_b64 exec, exec, s[58:59]
	v_cmp_lt_u32_e64 s[58:59], 8, v32
	s_and_saveexec_b64 s[60:61], s[58:59]
	s_cbranch_execz .LBB2929_132
.LBB2929_303:
	s_mov_b32 s12, 0x5040100
	v_perm_b32 v33, v10, v9, s12
	s_mov_b32 s12, 0x7060302
	v_perm_b32 v34, v10, v9, s12
	v_cmp_gt_i16_sdwa s[12:13], v9, v10 src0_sel:WORD_1 src1_sel:DWORD
	v_cndmask_b32_e64 v10, v10, v34, s[12:13]
	v_cndmask_b32_e64 v9, v9, v33, s[12:13]
	s_or_b64 exec, exec, s[60:61]
	v_cmp_lt_u32_e64 s[60:61], 10, v32
	s_and_saveexec_b64 s[62:63], s[60:61]
	s_cbranch_execz .LBB2929_133
.LBB2929_304:
	s_mov_b32 s12, 0x5040100
	v_perm_b32 v33, v11, v10, s12
	s_mov_b32 s12, 0x7060302
	v_perm_b32 v34, v11, v10, s12
	v_cmp_gt_i16_sdwa s[12:13], v10, v11 src0_sel:WORD_1 src1_sel:DWORD
	v_cndmask_b32_e64 v11, v11, v34, s[12:13]
	v_cndmask_b32_e64 v10, v10, v33, s[12:13]
	s_or_b64 exec, exec, s[62:63]
	v_cmp_lt_u32_e64 s[62:63], 12, v32
	s_and_saveexec_b64 s[64:65], s[62:63]
	s_cbranch_execz .LBB2929_134
.LBB2929_305:
	s_mov_b32 s12, 0x5040100
	v_perm_b32 v33, v12, v11, s12
	s_mov_b32 s12, 0x7060302
	v_perm_b32 v34, v12, v11, s12
	v_cmp_gt_i16_sdwa s[12:13], v11, v12 src0_sel:WORD_1 src1_sel:DWORD
	v_cndmask_b32_e64 v12, v12, v34, s[12:13]
	v_cndmask_b32_e64 v11, v11, v33, s[12:13]
	s_or_b64 exec, exec, s[64:65]
	v_cmp_lt_u32_e64 s[64:65], 14, v32
	s_and_saveexec_b64 s[72:73], s[64:65]
	s_cbranch_execnz .LBB2929_135
	s_branch .LBB2929_136
.LBB2929_306:
	v_alignbit_b32 v32, v7, v7, 16
	v_cmp_gt_i16_sdwa s[12:13], v7, v7 src0_sel:DWORD src1_sel:WORD_1
	v_cndmask_b32_e64 v7, v7, v32, s[12:13]
	s_or_b64 exec, exec, s[72:73]
	s_and_saveexec_b64 s[72:73], s[40:41]
	s_cbranch_execz .LBB2929_138
.LBB2929_307:
	v_alignbit_b32 v32, v8, v8, 16
	v_cmp_gt_i16_sdwa s[12:13], v8, v8 src0_sel:DWORD src1_sel:WORD_1
	v_cndmask_b32_e64 v8, v8, v32, s[12:13]
	s_or_b64 exec, exec, s[72:73]
	s_and_saveexec_b64 s[72:73], s[42:43]
	s_cbranch_execz .LBB2929_139
.LBB2929_308:
	v_alignbit_b32 v32, v9, v9, 16
	v_cmp_gt_i16_sdwa s[12:13], v9, v9 src0_sel:DWORD src1_sel:WORD_1
	v_cndmask_b32_e64 v9, v9, v32, s[12:13]
	s_or_b64 exec, exec, s[72:73]
	s_and_saveexec_b64 s[72:73], s[44:45]
	s_cbranch_execz .LBB2929_140
.LBB2929_309:
	v_alignbit_b32 v32, v10, v10, 16
	v_cmp_gt_i16_sdwa s[12:13], v10, v10 src0_sel:DWORD src1_sel:WORD_1
	v_cndmask_b32_e64 v10, v10, v32, s[12:13]
	s_or_b64 exec, exec, s[72:73]
	s_and_saveexec_b64 s[72:73], s[46:47]
	s_cbranch_execz .LBB2929_141
.LBB2929_310:
	v_alignbit_b32 v32, v11, v11, 16
	v_cmp_gt_i16_sdwa s[12:13], v11, v11 src0_sel:DWORD src1_sel:WORD_1
	v_cndmask_b32_e64 v11, v11, v32, s[12:13]
	s_or_b64 exec, exec, s[72:73]
	s_and_saveexec_b64 s[72:73], s[48:49]
	s_cbranch_execz .LBB2929_142
.LBB2929_311:
	v_alignbit_b32 v32, v12, v12, 16
	v_cmp_gt_i16_sdwa s[12:13], v12, v12 src0_sel:DWORD src1_sel:WORD_1
	v_cndmask_b32_e64 v12, v12, v32, s[12:13]
	s_or_b64 exec, exec, s[72:73]
	s_and_saveexec_b64 s[72:73], s[50:51]
	s_cbranch_execz .LBB2929_143
.LBB2929_312:
	v_alignbit_b32 v32, v13, v13, 16
	v_cmp_gt_i16_sdwa s[12:13], v13, v13 src0_sel:DWORD src1_sel:WORD_1
	v_cndmask_b32_e64 v13, v13, v32, s[12:13]
	s_or_b64 exec, exec, s[72:73]
	s_and_saveexec_b64 s[72:73], s[52:53]
	s_cbranch_execz .LBB2929_144
.LBB2929_313:
	s_mov_b32 s12, 0x7060302
	v_perm_b32 v32, v7, v6, s12
	v_cmp_gt_i16_sdwa s[12:13], v6, v7 src0_sel:WORD_1 src1_sel:DWORD
	s_mov_b32 s74, 0x5040100
	v_cndmask_b32_e64 v33, v7, v32, s[12:13]
	v_perm_b32 v7, v7, v6, s74
	v_cndmask_b32_e64 v32, v6, v7, s[12:13]
	v_mov_b32_e32 v34, v8
	v_mov_b32_e32 v35, v9
	;; [unrolled: 1-line block ×6, first 2 shown]
	v_pk_mov_b32 v[6:7], v[32:33], v[32:33] op_sel:[0,1]
	v_pk_mov_b32 v[8:9], v[34:35], v[34:35] op_sel:[0,1]
	;; [unrolled: 1-line block ×4, first 2 shown]
	s_or_b64 exec, exec, s[72:73]
	s_and_saveexec_b64 s[72:73], s[54:55]
	s_cbranch_execz .LBB2929_145
.LBB2929_314:
	s_mov_b32 s12, 0x7060302
	v_perm_b32 v32, v8, v7, s12
	v_cmp_gt_i16_sdwa s[12:13], v7, v8 src0_sel:WORD_1 src1_sel:DWORD
	s_mov_b32 s74, 0x5040100
	v_cndmask_b32_e64 v32, v8, v32, s[12:13]
	v_perm_b32 v8, v8, v7, s74
	v_cndmask_b32_e64 v7, v7, v8, s[12:13]
	v_mov_b32_e32 v8, v32
	s_or_b64 exec, exec, s[72:73]
	s_and_saveexec_b64 s[72:73], s[56:57]
	s_cbranch_execz .LBB2929_146
.LBB2929_315:
	s_mov_b32 s12, 0x7060302
	v_perm_b32 v32, v9, v8, s12
	v_cmp_gt_i16_sdwa s[12:13], v8, v9 src0_sel:WORD_1 src1_sel:DWORD
	s_mov_b32 s74, 0x5040100
	v_cndmask_b32_e64 v32, v9, v32, s[12:13]
	v_perm_b32 v9, v9, v8, s74
	v_cndmask_b32_e64 v8, v8, v9, s[12:13]
	v_mov_b32_e32 v9, v32
	s_or_b64 exec, exec, s[72:73]
	s_and_saveexec_b64 s[72:73], s[58:59]
	s_cbranch_execz .LBB2929_147
.LBB2929_316:
	s_mov_b32 s12, 0x5040100
	v_perm_b32 v32, v10, v9, s12
	s_mov_b32 s12, 0x7060302
	v_perm_b32 v33, v10, v9, s12
	v_cmp_gt_i16_sdwa s[12:13], v9, v10 src0_sel:WORD_1 src1_sel:DWORD
	v_cndmask_b32_e64 v10, v10, v33, s[12:13]
	v_cndmask_b32_e64 v9, v9, v32, s[12:13]
	s_or_b64 exec, exec, s[72:73]
	s_and_saveexec_b64 s[72:73], s[60:61]
	s_cbranch_execz .LBB2929_148
.LBB2929_317:
	s_mov_b32 s12, 0x5040100
	v_perm_b32 v32, v11, v10, s12
	s_mov_b32 s12, 0x7060302
	v_perm_b32 v33, v11, v10, s12
	v_cmp_gt_i16_sdwa s[12:13], v10, v11 src0_sel:WORD_1 src1_sel:DWORD
	v_cndmask_b32_e64 v11, v11, v33, s[12:13]
	v_cndmask_b32_e64 v10, v10, v32, s[12:13]
	s_or_b64 exec, exec, s[72:73]
	s_and_saveexec_b64 s[72:73], s[62:63]
	s_cbranch_execz .LBB2929_149
.LBB2929_318:
	s_mov_b32 s12, 0x5040100
	v_perm_b32 v32, v12, v11, s12
	s_mov_b32 s12, 0x7060302
	v_perm_b32 v33, v12, v11, s12
	v_cmp_gt_i16_sdwa s[12:13], v11, v12 src0_sel:WORD_1 src1_sel:DWORD
	v_cndmask_b32_e64 v12, v12, v33, s[12:13]
	v_cndmask_b32_e64 v11, v11, v32, s[12:13]
	s_or_b64 exec, exec, s[72:73]
	s_and_saveexec_b64 s[72:73], s[64:65]
	s_cbranch_execnz .LBB2929_150
	s_branch .LBB2929_151
.LBB2929_319:
	v_alignbit_b32 v32, v7, v7, 16
	v_cmp_gt_i16_sdwa s[12:13], v7, v7 src0_sel:DWORD src1_sel:WORD_1
	v_cndmask_b32_e64 v7, v7, v32, s[12:13]
	s_or_b64 exec, exec, s[72:73]
	s_and_saveexec_b64 s[72:73], s[40:41]
	s_cbranch_execz .LBB2929_153
.LBB2929_320:
	v_alignbit_b32 v32, v8, v8, 16
	v_cmp_gt_i16_sdwa s[12:13], v8, v8 src0_sel:DWORD src1_sel:WORD_1
	v_cndmask_b32_e64 v8, v8, v32, s[12:13]
	s_or_b64 exec, exec, s[72:73]
	s_and_saveexec_b64 s[72:73], s[42:43]
	s_cbranch_execz .LBB2929_154
.LBB2929_321:
	v_alignbit_b32 v32, v9, v9, 16
	v_cmp_gt_i16_sdwa s[12:13], v9, v9 src0_sel:DWORD src1_sel:WORD_1
	v_cndmask_b32_e64 v9, v9, v32, s[12:13]
	s_or_b64 exec, exec, s[72:73]
	s_and_saveexec_b64 s[72:73], s[44:45]
	s_cbranch_execz .LBB2929_155
.LBB2929_322:
	v_alignbit_b32 v32, v10, v10, 16
	v_cmp_gt_i16_sdwa s[12:13], v10, v10 src0_sel:DWORD src1_sel:WORD_1
	v_cndmask_b32_e64 v10, v10, v32, s[12:13]
	s_or_b64 exec, exec, s[72:73]
	s_and_saveexec_b64 s[72:73], s[46:47]
	s_cbranch_execz .LBB2929_156
.LBB2929_323:
	v_alignbit_b32 v32, v11, v11, 16
	v_cmp_gt_i16_sdwa s[12:13], v11, v11 src0_sel:DWORD src1_sel:WORD_1
	v_cndmask_b32_e64 v11, v11, v32, s[12:13]
	s_or_b64 exec, exec, s[72:73]
	s_and_saveexec_b64 s[72:73], s[48:49]
	s_cbranch_execz .LBB2929_157
.LBB2929_324:
	v_alignbit_b32 v32, v12, v12, 16
	v_cmp_gt_i16_sdwa s[12:13], v12, v12 src0_sel:DWORD src1_sel:WORD_1
	v_cndmask_b32_e64 v12, v12, v32, s[12:13]
	s_or_b64 exec, exec, s[72:73]
	s_and_saveexec_b64 s[72:73], s[50:51]
	s_cbranch_execz .LBB2929_158
.LBB2929_325:
	v_alignbit_b32 v32, v13, v13, 16
	v_cmp_gt_i16_sdwa s[12:13], v13, v13 src0_sel:DWORD src1_sel:WORD_1
	v_cndmask_b32_e64 v13, v13, v32, s[12:13]
	s_or_b64 exec, exec, s[72:73]
	s_and_saveexec_b64 s[72:73], s[52:53]
	s_cbranch_execz .LBB2929_159
.LBB2929_326:
	s_mov_b32 s12, 0x7060302
	v_perm_b32 v32, v7, v6, s12
	v_cmp_gt_i16_sdwa s[12:13], v6, v7 src0_sel:WORD_1 src1_sel:DWORD
	s_mov_b32 s74, 0x5040100
	v_cndmask_b32_e64 v33, v7, v32, s[12:13]
	v_perm_b32 v7, v7, v6, s74
	v_cndmask_b32_e64 v32, v6, v7, s[12:13]
	v_mov_b32_e32 v34, v8
	v_mov_b32_e32 v35, v9
	;; [unrolled: 1-line block ×6, first 2 shown]
	v_pk_mov_b32 v[6:7], v[32:33], v[32:33] op_sel:[0,1]
	v_pk_mov_b32 v[8:9], v[34:35], v[34:35] op_sel:[0,1]
	;; [unrolled: 1-line block ×4, first 2 shown]
	s_or_b64 exec, exec, s[72:73]
	s_and_saveexec_b64 s[72:73], s[54:55]
	s_cbranch_execz .LBB2929_160
.LBB2929_327:
	s_mov_b32 s12, 0x7060302
	v_perm_b32 v32, v8, v7, s12
	v_cmp_gt_i16_sdwa s[12:13], v7, v8 src0_sel:WORD_1 src1_sel:DWORD
	s_mov_b32 s74, 0x5040100
	v_cndmask_b32_e64 v32, v8, v32, s[12:13]
	v_perm_b32 v8, v8, v7, s74
	v_cndmask_b32_e64 v7, v7, v8, s[12:13]
	v_mov_b32_e32 v8, v32
	s_or_b64 exec, exec, s[72:73]
	s_and_saveexec_b64 s[72:73], s[56:57]
	s_cbranch_execz .LBB2929_161
.LBB2929_328:
	s_mov_b32 s12, 0x7060302
	v_perm_b32 v32, v9, v8, s12
	v_cmp_gt_i16_sdwa s[12:13], v8, v9 src0_sel:WORD_1 src1_sel:DWORD
	s_mov_b32 s74, 0x5040100
	v_cndmask_b32_e64 v32, v9, v32, s[12:13]
	v_perm_b32 v9, v9, v8, s74
	v_cndmask_b32_e64 v8, v8, v9, s[12:13]
	v_mov_b32_e32 v9, v32
	s_or_b64 exec, exec, s[72:73]
	s_and_saveexec_b64 s[72:73], s[58:59]
	s_cbranch_execz .LBB2929_162
.LBB2929_329:
	s_mov_b32 s12, 0x5040100
	v_perm_b32 v32, v10, v9, s12
	s_mov_b32 s12, 0x7060302
	v_perm_b32 v33, v10, v9, s12
	v_cmp_gt_i16_sdwa s[12:13], v9, v10 src0_sel:WORD_1 src1_sel:DWORD
	v_cndmask_b32_e64 v10, v10, v33, s[12:13]
	v_cndmask_b32_e64 v9, v9, v32, s[12:13]
	s_or_b64 exec, exec, s[72:73]
	s_and_saveexec_b64 s[72:73], s[60:61]
	s_cbranch_execz .LBB2929_163
.LBB2929_330:
	s_mov_b32 s12, 0x5040100
	v_perm_b32 v32, v11, v10, s12
	s_mov_b32 s12, 0x7060302
	v_perm_b32 v33, v11, v10, s12
	v_cmp_gt_i16_sdwa s[12:13], v10, v11 src0_sel:WORD_1 src1_sel:DWORD
	v_cndmask_b32_e64 v11, v11, v33, s[12:13]
	v_cndmask_b32_e64 v10, v10, v32, s[12:13]
	s_or_b64 exec, exec, s[72:73]
	s_and_saveexec_b64 s[72:73], s[62:63]
	s_cbranch_execz .LBB2929_164
.LBB2929_331:
	s_mov_b32 s12, 0x5040100
	v_perm_b32 v32, v12, v11, s12
	s_mov_b32 s12, 0x7060302
	v_perm_b32 v33, v12, v11, s12
	v_cmp_gt_i16_sdwa s[12:13], v11, v12 src0_sel:WORD_1 src1_sel:DWORD
	v_cndmask_b32_e64 v12, v12, v33, s[12:13]
	v_cndmask_b32_e64 v11, v11, v32, s[12:13]
	s_or_b64 exec, exec, s[72:73]
	s_and_saveexec_b64 s[72:73], s[64:65]
	s_cbranch_execnz .LBB2929_165
	s_branch .LBB2929_166
.LBB2929_332:
	v_alignbit_b32 v32, v7, v7, 16
	v_cmp_gt_i16_sdwa s[12:13], v7, v7 src0_sel:DWORD src1_sel:WORD_1
	v_cndmask_b32_e64 v7, v7, v32, s[12:13]
	s_or_b64 exec, exec, s[72:73]
	s_and_saveexec_b64 s[72:73], s[40:41]
	s_cbranch_execz .LBB2929_168
.LBB2929_333:
	v_alignbit_b32 v32, v8, v8, 16
	v_cmp_gt_i16_sdwa s[12:13], v8, v8 src0_sel:DWORD src1_sel:WORD_1
	v_cndmask_b32_e64 v8, v8, v32, s[12:13]
	s_or_b64 exec, exec, s[72:73]
	s_and_saveexec_b64 s[72:73], s[42:43]
	s_cbranch_execz .LBB2929_169
.LBB2929_334:
	v_alignbit_b32 v32, v9, v9, 16
	v_cmp_gt_i16_sdwa s[12:13], v9, v9 src0_sel:DWORD src1_sel:WORD_1
	v_cndmask_b32_e64 v9, v9, v32, s[12:13]
	s_or_b64 exec, exec, s[72:73]
	s_and_saveexec_b64 s[72:73], s[44:45]
	s_cbranch_execz .LBB2929_170
.LBB2929_335:
	v_alignbit_b32 v32, v10, v10, 16
	v_cmp_gt_i16_sdwa s[12:13], v10, v10 src0_sel:DWORD src1_sel:WORD_1
	v_cndmask_b32_e64 v10, v10, v32, s[12:13]
	s_or_b64 exec, exec, s[72:73]
	s_and_saveexec_b64 s[72:73], s[46:47]
	s_cbranch_execz .LBB2929_171
.LBB2929_336:
	v_alignbit_b32 v32, v11, v11, 16
	v_cmp_gt_i16_sdwa s[12:13], v11, v11 src0_sel:DWORD src1_sel:WORD_1
	v_cndmask_b32_e64 v11, v11, v32, s[12:13]
	s_or_b64 exec, exec, s[72:73]
	s_and_saveexec_b64 s[72:73], s[48:49]
	s_cbranch_execz .LBB2929_172
.LBB2929_337:
	v_alignbit_b32 v32, v12, v12, 16
	v_cmp_gt_i16_sdwa s[12:13], v12, v12 src0_sel:DWORD src1_sel:WORD_1
	v_cndmask_b32_e64 v12, v12, v32, s[12:13]
	s_or_b64 exec, exec, s[72:73]
	s_and_saveexec_b64 s[72:73], s[50:51]
	s_cbranch_execz .LBB2929_173
.LBB2929_338:
	v_alignbit_b32 v32, v13, v13, 16
	v_cmp_gt_i16_sdwa s[12:13], v13, v13 src0_sel:DWORD src1_sel:WORD_1
	v_cndmask_b32_e64 v13, v13, v32, s[12:13]
	s_or_b64 exec, exec, s[72:73]
	s_and_saveexec_b64 s[72:73], s[52:53]
	s_cbranch_execz .LBB2929_174
.LBB2929_339:
	s_mov_b32 s12, 0x7060302
	v_perm_b32 v32, v7, v6, s12
	v_cmp_gt_i16_sdwa s[12:13], v6, v7 src0_sel:WORD_1 src1_sel:DWORD
	s_mov_b32 s74, 0x5040100
	v_cndmask_b32_e64 v33, v7, v32, s[12:13]
	v_perm_b32 v7, v7, v6, s74
	v_cndmask_b32_e64 v32, v6, v7, s[12:13]
	v_mov_b32_e32 v34, v8
	v_mov_b32_e32 v35, v9
	;; [unrolled: 1-line block ×6, first 2 shown]
	v_pk_mov_b32 v[6:7], v[32:33], v[32:33] op_sel:[0,1]
	v_pk_mov_b32 v[8:9], v[34:35], v[34:35] op_sel:[0,1]
	;; [unrolled: 1-line block ×4, first 2 shown]
	s_or_b64 exec, exec, s[72:73]
	s_and_saveexec_b64 s[72:73], s[54:55]
	s_cbranch_execz .LBB2929_175
.LBB2929_340:
	s_mov_b32 s12, 0x7060302
	v_perm_b32 v32, v8, v7, s12
	v_cmp_gt_i16_sdwa s[12:13], v7, v8 src0_sel:WORD_1 src1_sel:DWORD
	s_mov_b32 s74, 0x5040100
	v_cndmask_b32_e64 v32, v8, v32, s[12:13]
	v_perm_b32 v8, v8, v7, s74
	v_cndmask_b32_e64 v7, v7, v8, s[12:13]
	v_mov_b32_e32 v8, v32
	s_or_b64 exec, exec, s[72:73]
	s_and_saveexec_b64 s[72:73], s[56:57]
	s_cbranch_execz .LBB2929_176
.LBB2929_341:
	s_mov_b32 s12, 0x7060302
	v_perm_b32 v32, v9, v8, s12
	v_cmp_gt_i16_sdwa s[12:13], v8, v9 src0_sel:WORD_1 src1_sel:DWORD
	s_mov_b32 s74, 0x5040100
	v_cndmask_b32_e64 v32, v9, v32, s[12:13]
	v_perm_b32 v9, v9, v8, s74
	v_cndmask_b32_e64 v8, v8, v9, s[12:13]
	v_mov_b32_e32 v9, v32
	s_or_b64 exec, exec, s[72:73]
	s_and_saveexec_b64 s[72:73], s[58:59]
	s_cbranch_execz .LBB2929_177
.LBB2929_342:
	s_mov_b32 s12, 0x5040100
	v_perm_b32 v32, v10, v9, s12
	s_mov_b32 s12, 0x7060302
	v_perm_b32 v33, v10, v9, s12
	v_cmp_gt_i16_sdwa s[12:13], v9, v10 src0_sel:WORD_1 src1_sel:DWORD
	v_cndmask_b32_e64 v10, v10, v33, s[12:13]
	v_cndmask_b32_e64 v9, v9, v32, s[12:13]
	s_or_b64 exec, exec, s[72:73]
	s_and_saveexec_b64 s[72:73], s[60:61]
	s_cbranch_execz .LBB2929_178
.LBB2929_343:
	s_mov_b32 s12, 0x5040100
	v_perm_b32 v32, v11, v10, s12
	s_mov_b32 s12, 0x7060302
	v_perm_b32 v33, v11, v10, s12
	v_cmp_gt_i16_sdwa s[12:13], v10, v11 src0_sel:WORD_1 src1_sel:DWORD
	v_cndmask_b32_e64 v11, v11, v33, s[12:13]
	v_cndmask_b32_e64 v10, v10, v32, s[12:13]
	s_or_b64 exec, exec, s[72:73]
	s_and_saveexec_b64 s[72:73], s[62:63]
	s_cbranch_execz .LBB2929_179
.LBB2929_344:
	s_mov_b32 s12, 0x5040100
	v_perm_b32 v32, v12, v11, s12
	s_mov_b32 s12, 0x7060302
	v_perm_b32 v33, v12, v11, s12
	v_cmp_gt_i16_sdwa s[12:13], v11, v12 src0_sel:WORD_1 src1_sel:DWORD
	v_cndmask_b32_e64 v12, v12, v33, s[12:13]
	v_cndmask_b32_e64 v11, v11, v32, s[12:13]
	s_or_b64 exec, exec, s[72:73]
	s_and_saveexec_b64 s[72:73], s[64:65]
	s_cbranch_execnz .LBB2929_180
	s_branch .LBB2929_181
.LBB2929_345:
	v_alignbit_b32 v32, v7, v7, 16
	v_cmp_gt_i16_sdwa s[12:13], v7, v7 src0_sel:DWORD src1_sel:WORD_1
	v_cndmask_b32_e64 v7, v7, v32, s[12:13]
	s_or_b64 exec, exec, s[72:73]
	s_and_saveexec_b64 s[72:73], s[40:41]
	s_cbranch_execz .LBB2929_183
.LBB2929_346:
	v_alignbit_b32 v32, v8, v8, 16
	v_cmp_gt_i16_sdwa s[12:13], v8, v8 src0_sel:DWORD src1_sel:WORD_1
	v_cndmask_b32_e64 v8, v8, v32, s[12:13]
	s_or_b64 exec, exec, s[72:73]
	s_and_saveexec_b64 s[72:73], s[42:43]
	s_cbranch_execz .LBB2929_184
.LBB2929_347:
	v_alignbit_b32 v32, v9, v9, 16
	v_cmp_gt_i16_sdwa s[12:13], v9, v9 src0_sel:DWORD src1_sel:WORD_1
	v_cndmask_b32_e64 v9, v9, v32, s[12:13]
	s_or_b64 exec, exec, s[72:73]
	s_and_saveexec_b64 s[72:73], s[44:45]
	s_cbranch_execz .LBB2929_185
.LBB2929_348:
	v_alignbit_b32 v32, v10, v10, 16
	v_cmp_gt_i16_sdwa s[12:13], v10, v10 src0_sel:DWORD src1_sel:WORD_1
	v_cndmask_b32_e64 v10, v10, v32, s[12:13]
	s_or_b64 exec, exec, s[72:73]
	s_and_saveexec_b64 s[72:73], s[46:47]
	s_cbranch_execz .LBB2929_186
.LBB2929_349:
	v_alignbit_b32 v32, v11, v11, 16
	v_cmp_gt_i16_sdwa s[12:13], v11, v11 src0_sel:DWORD src1_sel:WORD_1
	v_cndmask_b32_e64 v11, v11, v32, s[12:13]
	s_or_b64 exec, exec, s[72:73]
	s_and_saveexec_b64 s[72:73], s[48:49]
	s_cbranch_execz .LBB2929_187
.LBB2929_350:
	v_alignbit_b32 v32, v12, v12, 16
	v_cmp_gt_i16_sdwa s[12:13], v12, v12 src0_sel:DWORD src1_sel:WORD_1
	v_cndmask_b32_e64 v12, v12, v32, s[12:13]
	s_or_b64 exec, exec, s[72:73]
	s_and_saveexec_b64 s[72:73], s[50:51]
	s_cbranch_execz .LBB2929_188
.LBB2929_351:
	v_alignbit_b32 v32, v13, v13, 16
	v_cmp_gt_i16_sdwa s[12:13], v13, v13 src0_sel:DWORD src1_sel:WORD_1
	v_cndmask_b32_e64 v13, v13, v32, s[12:13]
	s_or_b64 exec, exec, s[72:73]
	s_and_saveexec_b64 s[72:73], s[52:53]
	s_cbranch_execz .LBB2929_189
.LBB2929_352:
	s_mov_b32 s12, 0x7060302
	v_perm_b32 v32, v7, v6, s12
	v_cmp_gt_i16_sdwa s[12:13], v6, v7 src0_sel:WORD_1 src1_sel:DWORD
	s_mov_b32 s74, 0x5040100
	v_cndmask_b32_e64 v33, v7, v32, s[12:13]
	v_perm_b32 v7, v7, v6, s74
	v_cndmask_b32_e64 v32, v6, v7, s[12:13]
	v_mov_b32_e32 v34, v8
	v_mov_b32_e32 v35, v9
	;; [unrolled: 1-line block ×6, first 2 shown]
	v_pk_mov_b32 v[6:7], v[32:33], v[32:33] op_sel:[0,1]
	v_pk_mov_b32 v[8:9], v[34:35], v[34:35] op_sel:[0,1]
	;; [unrolled: 1-line block ×4, first 2 shown]
	s_or_b64 exec, exec, s[72:73]
	s_and_saveexec_b64 s[72:73], s[54:55]
	s_cbranch_execz .LBB2929_190
.LBB2929_353:
	s_mov_b32 s12, 0x7060302
	v_perm_b32 v32, v8, v7, s12
	v_cmp_gt_i16_sdwa s[12:13], v7, v8 src0_sel:WORD_1 src1_sel:DWORD
	s_mov_b32 s74, 0x5040100
	v_cndmask_b32_e64 v32, v8, v32, s[12:13]
	v_perm_b32 v8, v8, v7, s74
	v_cndmask_b32_e64 v7, v7, v8, s[12:13]
	v_mov_b32_e32 v8, v32
	s_or_b64 exec, exec, s[72:73]
	s_and_saveexec_b64 s[72:73], s[56:57]
	s_cbranch_execz .LBB2929_191
.LBB2929_354:
	s_mov_b32 s12, 0x7060302
	v_perm_b32 v32, v9, v8, s12
	v_cmp_gt_i16_sdwa s[12:13], v8, v9 src0_sel:WORD_1 src1_sel:DWORD
	s_mov_b32 s74, 0x5040100
	v_cndmask_b32_e64 v32, v9, v32, s[12:13]
	v_perm_b32 v9, v9, v8, s74
	v_cndmask_b32_e64 v8, v8, v9, s[12:13]
	v_mov_b32_e32 v9, v32
	s_or_b64 exec, exec, s[72:73]
	s_and_saveexec_b64 s[72:73], s[58:59]
	s_cbranch_execz .LBB2929_192
.LBB2929_355:
	s_mov_b32 s12, 0x5040100
	v_perm_b32 v32, v10, v9, s12
	s_mov_b32 s12, 0x7060302
	v_perm_b32 v33, v10, v9, s12
	v_cmp_gt_i16_sdwa s[12:13], v9, v10 src0_sel:WORD_1 src1_sel:DWORD
	v_cndmask_b32_e64 v10, v10, v33, s[12:13]
	v_cndmask_b32_e64 v9, v9, v32, s[12:13]
	s_or_b64 exec, exec, s[72:73]
	s_and_saveexec_b64 s[72:73], s[60:61]
	s_cbranch_execz .LBB2929_193
.LBB2929_356:
	s_mov_b32 s12, 0x5040100
	v_perm_b32 v32, v11, v10, s12
	s_mov_b32 s12, 0x7060302
	v_perm_b32 v33, v11, v10, s12
	v_cmp_gt_i16_sdwa s[12:13], v10, v11 src0_sel:WORD_1 src1_sel:DWORD
	v_cndmask_b32_e64 v11, v11, v33, s[12:13]
	v_cndmask_b32_e64 v10, v10, v32, s[12:13]
	s_or_b64 exec, exec, s[72:73]
	s_and_saveexec_b64 s[72:73], s[62:63]
	s_cbranch_execz .LBB2929_194
.LBB2929_357:
	s_mov_b32 s12, 0x5040100
	v_perm_b32 v32, v12, v11, s12
	s_mov_b32 s12, 0x7060302
	v_perm_b32 v33, v12, v11, s12
	v_cmp_gt_i16_sdwa s[12:13], v11, v12 src0_sel:WORD_1 src1_sel:DWORD
	v_cndmask_b32_e64 v12, v12, v33, s[12:13]
	v_cndmask_b32_e64 v11, v11, v32, s[12:13]
	s_or_b64 exec, exec, s[72:73]
	s_and_saveexec_b64 s[72:73], s[64:65]
	s_cbranch_execnz .LBB2929_195
	s_branch .LBB2929_196
.LBB2929_358:
	v_alignbit_b32 v32, v7, v7, 16
	v_cmp_gt_i16_sdwa s[12:13], v7, v7 src0_sel:DWORD src1_sel:WORD_1
	v_cndmask_b32_e64 v7, v7, v32, s[12:13]
	s_or_b64 exec, exec, s[72:73]
	s_and_saveexec_b64 s[72:73], s[40:41]
	s_cbranch_execz .LBB2929_198
.LBB2929_359:
	v_alignbit_b32 v32, v8, v8, 16
	v_cmp_gt_i16_sdwa s[12:13], v8, v8 src0_sel:DWORD src1_sel:WORD_1
	v_cndmask_b32_e64 v8, v8, v32, s[12:13]
	s_or_b64 exec, exec, s[72:73]
	s_and_saveexec_b64 s[72:73], s[42:43]
	s_cbranch_execz .LBB2929_199
.LBB2929_360:
	v_alignbit_b32 v32, v9, v9, 16
	v_cmp_gt_i16_sdwa s[12:13], v9, v9 src0_sel:DWORD src1_sel:WORD_1
	v_cndmask_b32_e64 v9, v9, v32, s[12:13]
	s_or_b64 exec, exec, s[72:73]
	s_and_saveexec_b64 s[72:73], s[44:45]
	s_cbranch_execz .LBB2929_200
.LBB2929_361:
	v_alignbit_b32 v32, v10, v10, 16
	v_cmp_gt_i16_sdwa s[12:13], v10, v10 src0_sel:DWORD src1_sel:WORD_1
	v_cndmask_b32_e64 v10, v10, v32, s[12:13]
	s_or_b64 exec, exec, s[72:73]
	s_and_saveexec_b64 s[72:73], s[46:47]
	s_cbranch_execz .LBB2929_201
.LBB2929_362:
	v_alignbit_b32 v32, v11, v11, 16
	v_cmp_gt_i16_sdwa s[12:13], v11, v11 src0_sel:DWORD src1_sel:WORD_1
	v_cndmask_b32_e64 v11, v11, v32, s[12:13]
	s_or_b64 exec, exec, s[72:73]
	s_and_saveexec_b64 s[72:73], s[48:49]
	s_cbranch_execz .LBB2929_202
.LBB2929_363:
	v_alignbit_b32 v32, v12, v12, 16
	v_cmp_gt_i16_sdwa s[12:13], v12, v12 src0_sel:DWORD src1_sel:WORD_1
	v_cndmask_b32_e64 v12, v12, v32, s[12:13]
	s_or_b64 exec, exec, s[72:73]
	s_and_saveexec_b64 s[72:73], s[50:51]
	s_cbranch_execz .LBB2929_203
.LBB2929_364:
	v_alignbit_b32 v32, v13, v13, 16
	v_cmp_gt_i16_sdwa s[12:13], v13, v13 src0_sel:DWORD src1_sel:WORD_1
	v_cndmask_b32_e64 v13, v13, v32, s[12:13]
	s_or_b64 exec, exec, s[72:73]
	s_and_saveexec_b64 s[72:73], s[52:53]
	s_cbranch_execz .LBB2929_204
.LBB2929_365:
	s_mov_b32 s12, 0x7060302
	v_perm_b32 v32, v7, v6, s12
	v_cmp_gt_i16_sdwa s[12:13], v6, v7 src0_sel:WORD_1 src1_sel:DWORD
	s_mov_b32 s74, 0x5040100
	v_cndmask_b32_e64 v33, v7, v32, s[12:13]
	v_perm_b32 v7, v7, v6, s74
	v_cndmask_b32_e64 v32, v6, v7, s[12:13]
	v_mov_b32_e32 v34, v8
	v_mov_b32_e32 v35, v9
	;; [unrolled: 1-line block ×6, first 2 shown]
	v_pk_mov_b32 v[6:7], v[32:33], v[32:33] op_sel:[0,1]
	v_pk_mov_b32 v[8:9], v[34:35], v[34:35] op_sel:[0,1]
	;; [unrolled: 1-line block ×4, first 2 shown]
	s_or_b64 exec, exec, s[72:73]
	s_and_saveexec_b64 s[72:73], s[54:55]
	s_cbranch_execz .LBB2929_205
.LBB2929_366:
	s_mov_b32 s12, 0x7060302
	v_perm_b32 v32, v8, v7, s12
	v_cmp_gt_i16_sdwa s[12:13], v7, v8 src0_sel:WORD_1 src1_sel:DWORD
	s_mov_b32 s74, 0x5040100
	v_cndmask_b32_e64 v32, v8, v32, s[12:13]
	v_perm_b32 v8, v8, v7, s74
	v_cndmask_b32_e64 v7, v7, v8, s[12:13]
	v_mov_b32_e32 v8, v32
	s_or_b64 exec, exec, s[72:73]
	s_and_saveexec_b64 s[72:73], s[56:57]
	s_cbranch_execz .LBB2929_206
.LBB2929_367:
	s_mov_b32 s12, 0x7060302
	v_perm_b32 v32, v9, v8, s12
	v_cmp_gt_i16_sdwa s[12:13], v8, v9 src0_sel:WORD_1 src1_sel:DWORD
	s_mov_b32 s74, 0x5040100
	v_cndmask_b32_e64 v32, v9, v32, s[12:13]
	v_perm_b32 v9, v9, v8, s74
	v_cndmask_b32_e64 v8, v8, v9, s[12:13]
	v_mov_b32_e32 v9, v32
	s_or_b64 exec, exec, s[72:73]
	s_and_saveexec_b64 s[72:73], s[58:59]
	s_cbranch_execz .LBB2929_207
.LBB2929_368:
	s_mov_b32 s12, 0x5040100
	v_perm_b32 v32, v10, v9, s12
	s_mov_b32 s12, 0x7060302
	v_perm_b32 v33, v10, v9, s12
	v_cmp_gt_i16_sdwa s[12:13], v9, v10 src0_sel:WORD_1 src1_sel:DWORD
	v_cndmask_b32_e64 v10, v10, v33, s[12:13]
	v_cndmask_b32_e64 v9, v9, v32, s[12:13]
	s_or_b64 exec, exec, s[72:73]
	s_and_saveexec_b64 s[72:73], s[60:61]
	s_cbranch_execz .LBB2929_208
.LBB2929_369:
	s_mov_b32 s12, 0x5040100
	v_perm_b32 v32, v11, v10, s12
	s_mov_b32 s12, 0x7060302
	v_perm_b32 v33, v11, v10, s12
	v_cmp_gt_i16_sdwa s[12:13], v10, v11 src0_sel:WORD_1 src1_sel:DWORD
	v_cndmask_b32_e64 v11, v11, v33, s[12:13]
	v_cndmask_b32_e64 v10, v10, v32, s[12:13]
	s_or_b64 exec, exec, s[72:73]
	s_and_saveexec_b64 s[72:73], s[62:63]
	s_cbranch_execz .LBB2929_209
.LBB2929_370:
	s_mov_b32 s12, 0x5040100
	v_perm_b32 v32, v12, v11, s12
	s_mov_b32 s12, 0x7060302
	v_perm_b32 v33, v12, v11, s12
	v_cmp_gt_i16_sdwa s[12:13], v11, v12 src0_sel:WORD_1 src1_sel:DWORD
	v_cndmask_b32_e64 v12, v12, v33, s[12:13]
	v_cndmask_b32_e64 v11, v11, v32, s[12:13]
	s_or_b64 exec, exec, s[72:73]
	s_and_saveexec_b64 s[72:73], s[64:65]
	s_cbranch_execnz .LBB2929_210
	s_branch .LBB2929_211
.LBB2929_371:
	v_alignbit_b32 v32, v7, v7, 16
	v_cmp_gt_i16_sdwa s[12:13], v7, v7 src0_sel:DWORD src1_sel:WORD_1
	v_cndmask_b32_e64 v7, v7, v32, s[12:13]
	s_or_b64 exec, exec, s[72:73]
	s_and_saveexec_b64 s[72:73], s[40:41]
	s_cbranch_execz .LBB2929_213
.LBB2929_372:
	v_alignbit_b32 v32, v8, v8, 16
	v_cmp_gt_i16_sdwa s[12:13], v8, v8 src0_sel:DWORD src1_sel:WORD_1
	v_cndmask_b32_e64 v8, v8, v32, s[12:13]
	s_or_b64 exec, exec, s[72:73]
	s_and_saveexec_b64 s[72:73], s[42:43]
	s_cbranch_execz .LBB2929_214
.LBB2929_373:
	v_alignbit_b32 v32, v9, v9, 16
	v_cmp_gt_i16_sdwa s[12:13], v9, v9 src0_sel:DWORD src1_sel:WORD_1
	v_cndmask_b32_e64 v9, v9, v32, s[12:13]
	s_or_b64 exec, exec, s[72:73]
	s_and_saveexec_b64 s[72:73], s[44:45]
	s_cbranch_execz .LBB2929_215
.LBB2929_374:
	v_alignbit_b32 v32, v10, v10, 16
	v_cmp_gt_i16_sdwa s[12:13], v10, v10 src0_sel:DWORD src1_sel:WORD_1
	v_cndmask_b32_e64 v10, v10, v32, s[12:13]
	s_or_b64 exec, exec, s[72:73]
	s_and_saveexec_b64 s[72:73], s[46:47]
	s_cbranch_execz .LBB2929_216
.LBB2929_375:
	v_alignbit_b32 v32, v11, v11, 16
	v_cmp_gt_i16_sdwa s[12:13], v11, v11 src0_sel:DWORD src1_sel:WORD_1
	v_cndmask_b32_e64 v11, v11, v32, s[12:13]
	s_or_b64 exec, exec, s[72:73]
	s_and_saveexec_b64 s[72:73], s[48:49]
	s_cbranch_execz .LBB2929_217
.LBB2929_376:
	v_alignbit_b32 v32, v12, v12, 16
	v_cmp_gt_i16_sdwa s[12:13], v12, v12 src0_sel:DWORD src1_sel:WORD_1
	v_cndmask_b32_e64 v12, v12, v32, s[12:13]
	s_or_b64 exec, exec, s[72:73]
	s_and_saveexec_b64 s[72:73], s[50:51]
	s_cbranch_execz .LBB2929_218
.LBB2929_377:
	v_alignbit_b32 v32, v13, v13, 16
	v_cmp_gt_i16_sdwa s[12:13], v13, v13 src0_sel:DWORD src1_sel:WORD_1
	v_cndmask_b32_e64 v13, v13, v32, s[12:13]
	s_or_b64 exec, exec, s[72:73]
	s_and_saveexec_b64 s[72:73], s[52:53]
	s_cbranch_execz .LBB2929_219
.LBB2929_378:
	s_mov_b32 s12, 0x7060302
	v_perm_b32 v32, v7, v6, s12
	v_cmp_gt_i16_sdwa s[12:13], v6, v7 src0_sel:WORD_1 src1_sel:DWORD
	s_mov_b32 s74, 0x5040100
	v_cndmask_b32_e64 v33, v7, v32, s[12:13]
	v_perm_b32 v7, v7, v6, s74
	v_cndmask_b32_e64 v32, v6, v7, s[12:13]
	v_mov_b32_e32 v34, v8
	v_mov_b32_e32 v35, v9
	;; [unrolled: 1-line block ×6, first 2 shown]
	v_pk_mov_b32 v[6:7], v[32:33], v[32:33] op_sel:[0,1]
	v_pk_mov_b32 v[8:9], v[34:35], v[34:35] op_sel:[0,1]
	;; [unrolled: 1-line block ×4, first 2 shown]
	s_or_b64 exec, exec, s[72:73]
	s_and_saveexec_b64 s[72:73], s[54:55]
	s_cbranch_execz .LBB2929_220
.LBB2929_379:
	s_mov_b32 s12, 0x7060302
	v_perm_b32 v32, v8, v7, s12
	v_cmp_gt_i16_sdwa s[12:13], v7, v8 src0_sel:WORD_1 src1_sel:DWORD
	s_mov_b32 s74, 0x5040100
	v_cndmask_b32_e64 v32, v8, v32, s[12:13]
	v_perm_b32 v8, v8, v7, s74
	v_cndmask_b32_e64 v7, v7, v8, s[12:13]
	v_mov_b32_e32 v8, v32
	s_or_b64 exec, exec, s[72:73]
	s_and_saveexec_b64 s[72:73], s[56:57]
	s_cbranch_execz .LBB2929_221
.LBB2929_380:
	s_mov_b32 s12, 0x7060302
	v_perm_b32 v32, v9, v8, s12
	v_cmp_gt_i16_sdwa s[12:13], v8, v9 src0_sel:WORD_1 src1_sel:DWORD
	s_mov_b32 s74, 0x5040100
	v_cndmask_b32_e64 v32, v9, v32, s[12:13]
	v_perm_b32 v9, v9, v8, s74
	v_cndmask_b32_e64 v8, v8, v9, s[12:13]
	v_mov_b32_e32 v9, v32
	s_or_b64 exec, exec, s[72:73]
	s_and_saveexec_b64 s[72:73], s[58:59]
	s_cbranch_execz .LBB2929_222
.LBB2929_381:
	s_mov_b32 s12, 0x5040100
	v_perm_b32 v32, v10, v9, s12
	s_mov_b32 s12, 0x7060302
	v_perm_b32 v33, v10, v9, s12
	v_cmp_gt_i16_sdwa s[12:13], v9, v10 src0_sel:WORD_1 src1_sel:DWORD
	v_cndmask_b32_e64 v10, v10, v33, s[12:13]
	v_cndmask_b32_e64 v9, v9, v32, s[12:13]
	s_or_b64 exec, exec, s[72:73]
	s_and_saveexec_b64 s[72:73], s[60:61]
	s_cbranch_execz .LBB2929_223
.LBB2929_382:
	s_mov_b32 s12, 0x5040100
	v_perm_b32 v32, v11, v10, s12
	s_mov_b32 s12, 0x7060302
	v_perm_b32 v33, v11, v10, s12
	v_cmp_gt_i16_sdwa s[12:13], v10, v11 src0_sel:WORD_1 src1_sel:DWORD
	v_cndmask_b32_e64 v11, v11, v33, s[12:13]
	v_cndmask_b32_e64 v10, v10, v32, s[12:13]
	s_or_b64 exec, exec, s[72:73]
	s_and_saveexec_b64 s[72:73], s[62:63]
	s_cbranch_execz .LBB2929_224
.LBB2929_383:
	s_mov_b32 s12, 0x5040100
	v_perm_b32 v32, v12, v11, s12
	s_mov_b32 s12, 0x7060302
	v_perm_b32 v33, v12, v11, s12
	v_cmp_gt_i16_sdwa s[12:13], v11, v12 src0_sel:WORD_1 src1_sel:DWORD
	v_cndmask_b32_e64 v12, v12, v33, s[12:13]
	v_cndmask_b32_e64 v11, v11, v32, s[12:13]
	s_or_b64 exec, exec, s[72:73]
	s_and_saveexec_b64 s[72:73], s[64:65]
	s_cbranch_execnz .LBB2929_225
	s_branch .LBB2929_226
.LBB2929_384:
	v_alignbit_b32 v32, v7, v7, 16
	v_cmp_gt_i16_sdwa s[8:9], v7, v7 src0_sel:DWORD src1_sel:WORD_1
	v_cndmask_b32_e64 v7, v7, v32, s[8:9]
	s_or_b64 exec, exec, s[12:13]
	s_and_saveexec_b64 s[12:13], s[40:41]
	s_cbranch_execz .LBB2929_228
.LBB2929_385:
	v_alignbit_b32 v32, v8, v8, 16
	v_cmp_gt_i16_sdwa s[8:9], v8, v8 src0_sel:DWORD src1_sel:WORD_1
	v_cndmask_b32_e64 v8, v8, v32, s[8:9]
	s_or_b64 exec, exec, s[12:13]
	s_and_saveexec_b64 s[12:13], s[42:43]
	s_cbranch_execz .LBB2929_229
.LBB2929_386:
	v_alignbit_b32 v32, v9, v9, 16
	v_cmp_gt_i16_sdwa s[8:9], v9, v9 src0_sel:DWORD src1_sel:WORD_1
	v_cndmask_b32_e64 v9, v9, v32, s[8:9]
	s_or_b64 exec, exec, s[12:13]
	s_and_saveexec_b64 s[12:13], s[44:45]
	s_cbranch_execz .LBB2929_230
.LBB2929_387:
	v_alignbit_b32 v32, v10, v10, 16
	v_cmp_gt_i16_sdwa s[8:9], v10, v10 src0_sel:DWORD src1_sel:WORD_1
	v_cndmask_b32_e64 v10, v10, v32, s[8:9]
	s_or_b64 exec, exec, s[12:13]
	s_and_saveexec_b64 s[12:13], s[46:47]
	s_cbranch_execz .LBB2929_231
.LBB2929_388:
	v_alignbit_b32 v32, v11, v11, 16
	v_cmp_gt_i16_sdwa s[8:9], v11, v11 src0_sel:DWORD src1_sel:WORD_1
	v_cndmask_b32_e64 v11, v11, v32, s[8:9]
	s_or_b64 exec, exec, s[12:13]
	s_and_saveexec_b64 s[12:13], s[48:49]
	s_cbranch_execz .LBB2929_232
.LBB2929_389:
	v_alignbit_b32 v32, v12, v12, 16
	v_cmp_gt_i16_sdwa s[8:9], v12, v12 src0_sel:DWORD src1_sel:WORD_1
	v_cndmask_b32_e64 v12, v12, v32, s[8:9]
	s_or_b64 exec, exec, s[12:13]
	s_and_saveexec_b64 s[12:13], s[50:51]
	s_cbranch_execz .LBB2929_233
.LBB2929_390:
	v_alignbit_b32 v32, v13, v13, 16
	v_cmp_gt_i16_sdwa s[8:9], v13, v13 src0_sel:DWORD src1_sel:WORD_1
	v_cndmask_b32_e64 v13, v13, v32, s[8:9]
	s_or_b64 exec, exec, s[12:13]
	s_and_saveexec_b64 s[12:13], s[52:53]
	s_cbranch_execz .LBB2929_234
.LBB2929_391:
	s_mov_b32 s8, 0x7060302
	v_perm_b32 v32, v7, v6, s8
	v_cmp_gt_i16_sdwa s[8:9], v6, v7 src0_sel:WORD_1 src1_sel:DWORD
	s_mov_b32 s38, 0x5040100
	v_cndmask_b32_e64 v33, v7, v32, s[8:9]
	v_perm_b32 v7, v7, v6, s38
	v_cndmask_b32_e64 v32, v6, v7, s[8:9]
	v_mov_b32_e32 v34, v8
	v_mov_b32_e32 v35, v9
	;; [unrolled: 1-line block ×6, first 2 shown]
	v_pk_mov_b32 v[6:7], v[32:33], v[32:33] op_sel:[0,1]
	v_pk_mov_b32 v[8:9], v[34:35], v[34:35] op_sel:[0,1]
	;; [unrolled: 1-line block ×4, first 2 shown]
	s_or_b64 exec, exec, s[12:13]
	s_and_saveexec_b64 s[12:13], s[54:55]
	s_cbranch_execz .LBB2929_235
.LBB2929_392:
	s_mov_b32 s8, 0x7060302
	v_perm_b32 v32, v8, v7, s8
	v_cmp_gt_i16_sdwa s[8:9], v7, v8 src0_sel:WORD_1 src1_sel:DWORD
	s_mov_b32 s38, 0x5040100
	v_cndmask_b32_e64 v32, v8, v32, s[8:9]
	v_perm_b32 v8, v8, v7, s38
	v_cndmask_b32_e64 v7, v7, v8, s[8:9]
	v_mov_b32_e32 v8, v32
	s_or_b64 exec, exec, s[12:13]
	s_and_saveexec_b64 s[12:13], s[56:57]
	s_cbranch_execz .LBB2929_236
.LBB2929_393:
	s_mov_b32 s8, 0x7060302
	v_perm_b32 v32, v9, v8, s8
	v_cmp_gt_i16_sdwa s[8:9], v8, v9 src0_sel:WORD_1 src1_sel:DWORD
	s_mov_b32 s38, 0x5040100
	v_cndmask_b32_e64 v32, v9, v32, s[8:9]
	v_perm_b32 v9, v9, v8, s38
	v_cndmask_b32_e64 v8, v8, v9, s[8:9]
	v_mov_b32_e32 v9, v32
	s_or_b64 exec, exec, s[12:13]
	s_and_saveexec_b64 s[12:13], s[58:59]
	s_cbranch_execz .LBB2929_237
.LBB2929_394:
	s_mov_b32 s8, 0x5040100
	v_perm_b32 v32, v10, v9, s8
	s_mov_b32 s8, 0x7060302
	v_perm_b32 v33, v10, v9, s8
	v_cmp_gt_i16_sdwa s[8:9], v9, v10 src0_sel:WORD_1 src1_sel:DWORD
	v_cndmask_b32_e64 v10, v10, v33, s[8:9]
	v_cndmask_b32_e64 v9, v9, v32, s[8:9]
	s_or_b64 exec, exec, s[12:13]
	s_and_saveexec_b64 s[12:13], s[60:61]
	s_cbranch_execz .LBB2929_238
.LBB2929_395:
	s_mov_b32 s8, 0x5040100
	v_perm_b32 v32, v11, v10, s8
	s_mov_b32 s8, 0x7060302
	v_perm_b32 v33, v11, v10, s8
	v_cmp_gt_i16_sdwa s[8:9], v10, v11 src0_sel:WORD_1 src1_sel:DWORD
	v_cndmask_b32_e64 v11, v11, v33, s[8:9]
	v_cndmask_b32_e64 v10, v10, v32, s[8:9]
	s_or_b64 exec, exec, s[12:13]
	s_and_saveexec_b64 s[12:13], s[62:63]
	s_cbranch_execz .LBB2929_239
.LBB2929_396:
	s_mov_b32 s8, 0x5040100
	v_perm_b32 v32, v12, v11, s8
	s_mov_b32 s8, 0x7060302
	v_perm_b32 v33, v12, v11, s8
	v_cmp_gt_i16_sdwa s[8:9], v11, v12 src0_sel:WORD_1 src1_sel:DWORD
	v_cndmask_b32_e64 v12, v12, v33, s[8:9]
	v_cndmask_b32_e64 v11, v11, v32, s[8:9]
	s_or_b64 exec, exec, s[12:13]
	s_and_saveexec_b64 s[12:13], s[64:65]
	s_cbranch_execnz .LBB2929_240
	s_branch .LBB2929_241
.LBB2929_397:
	s_or_b64 exec, exec, s[64:65]
.LBB2929_398:
	s_or_b64 exec, exec, s[62:63]
	v_lshl_add_u32 v0, v30, 1, v31
	s_barrier
	ds_write2_b32 v0, v6, v7 offset1:1
	ds_write2_b32 v0, v8, v9 offset0:2 offset1:3
	ds_write2_b32 v0, v10, v11 offset0:4 offset1:5
	ds_write2_b32 v0, v12, v13 offset0:6 offset1:7
	s_waitcnt lgkmcnt(0)
	s_barrier
	ds_read_u16 v33, v1 offset:512
	ds_read_u16 v32, v3 offset:1024
	;; [unrolled: 1-line block ×15, first 2 shown]
	v_add_co_u32_e64 v0, s[8:9], v4, v16
	v_mov_b32_e32 v15, 0
	v_addc_co_u32_e64 v1, s[8:9], 0, v5, s[8:9]
	s_and_saveexec_b64 s[8:9], vcc
	s_cbranch_execnz .LBB2929_415
; %bb.399:
	s_or_b64 exec, exec, s[8:9]
	s_and_saveexec_b64 s[8:9], s[4:5]
	s_cbranch_execnz .LBB2929_416
.LBB2929_400:
	s_or_b64 exec, exec, s[8:9]
	s_and_saveexec_b64 s[4:5], s[6:7]
	s_cbranch_execnz .LBB2929_417
.LBB2929_401:
	s_or_b64 exec, exec, s[4:5]
	s_and_saveexec_b64 s[4:5], s[36:37]
	s_cbranch_execnz .LBB2929_418
.LBB2929_402:
	s_or_b64 exec, exec, s[4:5]
	s_and_saveexec_b64 s[4:5], s[10:11]
	s_cbranch_execnz .LBB2929_419
.LBB2929_403:
	s_or_b64 exec, exec, s[4:5]
	s_and_saveexec_b64 s[4:5], s[66:67]
	s_cbranch_execnz .LBB2929_420
.LBB2929_404:
	s_or_b64 exec, exec, s[4:5]
	s_and_saveexec_b64 s[4:5], s[14:15]
	s_cbranch_execnz .LBB2929_421
.LBB2929_405:
	s_or_b64 exec, exec, s[4:5]
	s_and_saveexec_b64 s[4:5], s[16:17]
	s_cbranch_execnz .LBB2929_422
.LBB2929_406:
	s_or_b64 exec, exec, s[4:5]
	s_and_saveexec_b64 s[4:5], s[18:19]
	s_cbranch_execnz .LBB2929_423
.LBB2929_407:
	s_or_b64 exec, exec, s[4:5]
	s_and_saveexec_b64 s[4:5], s[20:21]
	s_cbranch_execnz .LBB2929_424
.LBB2929_408:
	s_or_b64 exec, exec, s[4:5]
	s_and_saveexec_b64 s[4:5], s[22:23]
	s_cbranch_execnz .LBB2929_425
.LBB2929_409:
	s_or_b64 exec, exec, s[4:5]
	s_and_saveexec_b64 s[4:5], s[24:25]
	s_cbranch_execnz .LBB2929_426
.LBB2929_410:
	s_or_b64 exec, exec, s[4:5]
	s_and_saveexec_b64 s[4:5], s[26:27]
	s_cbranch_execnz .LBB2929_427
.LBB2929_411:
	s_or_b64 exec, exec, s[4:5]
	s_and_saveexec_b64 s[4:5], s[28:29]
	s_cbranch_execnz .LBB2929_428
.LBB2929_412:
	s_or_b64 exec, exec, s[4:5]
	s_and_saveexec_b64 s[4:5], s[30:31]
	s_cbranch_execz .LBB2929_414
.LBB2929_413:
	v_add_co_u32_e32 v0, vcc, 0x1000, v0
	v_addc_co_u32_e32 v1, vcc, 0, v1, vcc
	s_waitcnt lgkmcnt(0)
	flat_store_short v[0:1], v3 offset:3072
.LBB2929_414:
	s_or_b64 exec, exec, s[4:5]
	s_andn2_b64 s[4:5], s[68:69], exec
	s_and_b64 s[6:7], s[34:35], exec
	s_or_b64 s[68:69], s[4:5], s[6:7]
	s_or_b64 exec, exec, s[70:71]
	s_and_saveexec_b64 s[4:5], s[68:69]
	s_cbranch_execnz .LBB2929_3
	s_branch .LBB2929_4
.LBB2929_415:
	ds_read_u16 v2, v2
	s_waitcnt lgkmcnt(0)
	flat_store_short v[0:1], v2
	s_or_b64 exec, exec, s[8:9]
	s_and_saveexec_b64 s[8:9], s[4:5]
	s_cbranch_execz .LBB2929_400
.LBB2929_416:
	s_waitcnt lgkmcnt(0)
	flat_store_short v[0:1], v33 offset:512
	s_or_b64 exec, exec, s[8:9]
	s_and_saveexec_b64 s[4:5], s[6:7]
	s_cbranch_execz .LBB2929_401
.LBB2929_417:
	s_waitcnt lgkmcnt(0)
	flat_store_short v[0:1], v32 offset:1024
	s_or_b64 exec, exec, s[4:5]
	s_and_saveexec_b64 s[4:5], s[36:37]
	s_cbranch_execz .LBB2929_402
.LBB2929_418:
	s_waitcnt lgkmcnt(0)
	flat_store_short v[0:1], v31 offset:1536
	s_or_b64 exec, exec, s[4:5]
	s_and_saveexec_b64 s[4:5], s[10:11]
	s_cbranch_execz .LBB2929_403
.LBB2929_419:
	s_waitcnt lgkmcnt(0)
	flat_store_short v[0:1], v30 offset:2048
	s_or_b64 exec, exec, s[4:5]
	s_and_saveexec_b64 s[4:5], s[66:67]
	s_cbranch_execz .LBB2929_404
.LBB2929_420:
	s_waitcnt lgkmcnt(0)
	flat_store_short v[0:1], v18 offset:2560
	s_or_b64 exec, exec, s[4:5]
	s_and_saveexec_b64 s[4:5], s[14:15]
	s_cbranch_execz .LBB2929_405
.LBB2929_421:
	s_waitcnt lgkmcnt(0)
	flat_store_short v[0:1], v17 offset:3072
	s_or_b64 exec, exec, s[4:5]
	s_and_saveexec_b64 s[4:5], s[16:17]
	s_cbranch_execz .LBB2929_406
.LBB2929_422:
	s_waitcnt lgkmcnt(0)
	flat_store_short v[0:1], v13 offset:3584
	s_or_b64 exec, exec, s[4:5]
	s_and_saveexec_b64 s[4:5], s[18:19]
	s_cbranch_execz .LBB2929_407
.LBB2929_423:
	v_add_co_u32_e32 v16, vcc, 0x1000, v0
	s_waitcnt lgkmcnt(0)
	v_addc_co_u32_e32 v17, vcc, 0, v1, vcc
	flat_store_short v[16:17], v12
	s_or_b64 exec, exec, s[4:5]
	s_and_saveexec_b64 s[4:5], s[20:21]
	s_cbranch_execz .LBB2929_408
.LBB2929_424:
	s_waitcnt lgkmcnt(0)
	v_add_co_u32_e32 v12, vcc, 0x1000, v0
	v_addc_co_u32_e32 v13, vcc, 0, v1, vcc
	flat_store_short v[12:13], v11 offset:512
	s_or_b64 exec, exec, s[4:5]
	s_and_saveexec_b64 s[4:5], s[22:23]
	s_cbranch_execz .LBB2929_409
.LBB2929_425:
	s_waitcnt lgkmcnt(0)
	v_add_co_u32_e32 v12, vcc, 0x1000, v0
	v_addc_co_u32_e32 v13, vcc, 0, v1, vcc
	flat_store_short v[12:13], v10 offset:1024
	s_or_b64 exec, exec, s[4:5]
	s_and_saveexec_b64 s[4:5], s[24:25]
	s_cbranch_execz .LBB2929_410
.LBB2929_426:
	s_waitcnt lgkmcnt(0)
	v_add_co_u32_e32 v10, vcc, 0x1000, v0
	v_addc_co_u32_e32 v11, vcc, 0, v1, vcc
	flat_store_short v[10:11], v9 offset:1536
	s_or_b64 exec, exec, s[4:5]
	s_and_saveexec_b64 s[4:5], s[26:27]
	s_cbranch_execz .LBB2929_411
.LBB2929_427:
	s_waitcnt lgkmcnt(0)
	v_add_co_u32_e32 v10, vcc, 0x1000, v0
	v_addc_co_u32_e32 v11, vcc, 0, v1, vcc
	flat_store_short v[10:11], v8 offset:2048
	s_or_b64 exec, exec, s[4:5]
	s_and_saveexec_b64 s[4:5], s[28:29]
	s_cbranch_execz .LBB2929_412
.LBB2929_428:
	s_waitcnt lgkmcnt(0)
	v_add_co_u32_e32 v8, vcc, 0x1000, v0
	v_addc_co_u32_e32 v9, vcc, 0, v1, vcc
	flat_store_short v[8:9], v7 offset:2560
	s_or_b64 exec, exec, s[4:5]
	s_and_saveexec_b64 s[4:5], s[30:31]
	s_cbranch_execnz .LBB2929_413
	s_branch .LBB2929_414
.Lfunc_end2929:
	.size	_ZN7rocprim17ROCPRIM_400000_NS6detail15block_sort_implIsNS0_10empty_typeELj256ELj16ELNS0_4arch9wavefront6targetE1EvE4sortIN6thrust23THRUST_200600_302600_NS6detail15normal_iteratorINSA_10device_ptrIsEEEESF_PS3_SG_14custom_greaterIsEEEvjbT_T0_T1_T2_T3_RNS7_12storage_typeE, .Lfunc_end2929-_ZN7rocprim17ROCPRIM_400000_NS6detail15block_sort_implIsNS0_10empty_typeELj256ELj16ELNS0_4arch9wavefront6targetE1EvE4sortIN6thrust23THRUST_200600_302600_NS6detail15normal_iteratorINSA_10device_ptrIsEEEESF_PS3_SG_14custom_greaterIsEEEvjbT_T0_T1_T2_T3_RNS7_12storage_typeE
                                        ; -- End function
	.section	.AMDGPU.csdata,"",@progbits
; Function info:
; codeLenInByte = 44776
; NumSgprs: 80
; NumVgprs: 87
; NumAgprs: 0
; TotalNumVgprs: 87
; ScratchSize: 8
; MemoryBound: 0
	.section	.text._ZN7rocprim17ROCPRIM_400000_NS6detail17trampoline_kernelINS0_14default_configENS1_37merge_sort_block_sort_config_selectorIsNS0_10empty_typeEEEZNS1_21merge_sort_block_sortIS3_N6thrust23THRUST_200600_302600_NS6detail15normal_iteratorINS9_10device_ptrIsEEEESE_PS5_SF_14custom_greaterIsEEE10hipError_tT0_T1_T2_T3_mRjT4_P12ihipStream_tbNS1_7vsmem_tEEUlT_E_NS1_11comp_targetILNS1_3genE4ELNS1_11target_archE910ELNS1_3gpuE8ELNS1_3repE0EEENS1_30default_config_static_selectorELNS0_4arch9wavefront6targetE1EEEvSK_,"axG",@progbits,_ZN7rocprim17ROCPRIM_400000_NS6detail17trampoline_kernelINS0_14default_configENS1_37merge_sort_block_sort_config_selectorIsNS0_10empty_typeEEEZNS1_21merge_sort_block_sortIS3_N6thrust23THRUST_200600_302600_NS6detail15normal_iteratorINS9_10device_ptrIsEEEESE_PS5_SF_14custom_greaterIsEEE10hipError_tT0_T1_T2_T3_mRjT4_P12ihipStream_tbNS1_7vsmem_tEEUlT_E_NS1_11comp_targetILNS1_3genE4ELNS1_11target_archE910ELNS1_3gpuE8ELNS1_3repE0EEENS1_30default_config_static_selectorELNS0_4arch9wavefront6targetE1EEEvSK_,comdat
	.protected	_ZN7rocprim17ROCPRIM_400000_NS6detail17trampoline_kernelINS0_14default_configENS1_37merge_sort_block_sort_config_selectorIsNS0_10empty_typeEEEZNS1_21merge_sort_block_sortIS3_N6thrust23THRUST_200600_302600_NS6detail15normal_iteratorINS9_10device_ptrIsEEEESE_PS5_SF_14custom_greaterIsEEE10hipError_tT0_T1_T2_T3_mRjT4_P12ihipStream_tbNS1_7vsmem_tEEUlT_E_NS1_11comp_targetILNS1_3genE4ELNS1_11target_archE910ELNS1_3gpuE8ELNS1_3repE0EEENS1_30default_config_static_selectorELNS0_4arch9wavefront6targetE1EEEvSK_ ; -- Begin function _ZN7rocprim17ROCPRIM_400000_NS6detail17trampoline_kernelINS0_14default_configENS1_37merge_sort_block_sort_config_selectorIsNS0_10empty_typeEEEZNS1_21merge_sort_block_sortIS3_N6thrust23THRUST_200600_302600_NS6detail15normal_iteratorINS9_10device_ptrIsEEEESE_PS5_SF_14custom_greaterIsEEE10hipError_tT0_T1_T2_T3_mRjT4_P12ihipStream_tbNS1_7vsmem_tEEUlT_E_NS1_11comp_targetILNS1_3genE4ELNS1_11target_archE910ELNS1_3gpuE8ELNS1_3repE0EEENS1_30default_config_static_selectorELNS0_4arch9wavefront6targetE1EEEvSK_
	.globl	_ZN7rocprim17ROCPRIM_400000_NS6detail17trampoline_kernelINS0_14default_configENS1_37merge_sort_block_sort_config_selectorIsNS0_10empty_typeEEEZNS1_21merge_sort_block_sortIS3_N6thrust23THRUST_200600_302600_NS6detail15normal_iteratorINS9_10device_ptrIsEEEESE_PS5_SF_14custom_greaterIsEEE10hipError_tT0_T1_T2_T3_mRjT4_P12ihipStream_tbNS1_7vsmem_tEEUlT_E_NS1_11comp_targetILNS1_3genE4ELNS1_11target_archE910ELNS1_3gpuE8ELNS1_3repE0EEENS1_30default_config_static_selectorELNS0_4arch9wavefront6targetE1EEEvSK_
	.p2align	8
	.type	_ZN7rocprim17ROCPRIM_400000_NS6detail17trampoline_kernelINS0_14default_configENS1_37merge_sort_block_sort_config_selectorIsNS0_10empty_typeEEEZNS1_21merge_sort_block_sortIS3_N6thrust23THRUST_200600_302600_NS6detail15normal_iteratorINS9_10device_ptrIsEEEESE_PS5_SF_14custom_greaterIsEEE10hipError_tT0_T1_T2_T3_mRjT4_P12ihipStream_tbNS1_7vsmem_tEEUlT_E_NS1_11comp_targetILNS1_3genE4ELNS1_11target_archE910ELNS1_3gpuE8ELNS1_3repE0EEENS1_30default_config_static_selectorELNS0_4arch9wavefront6targetE1EEEvSK_,@function
_ZN7rocprim17ROCPRIM_400000_NS6detail17trampoline_kernelINS0_14default_configENS1_37merge_sort_block_sort_config_selectorIsNS0_10empty_typeEEEZNS1_21merge_sort_block_sortIS3_N6thrust23THRUST_200600_302600_NS6detail15normal_iteratorINS9_10device_ptrIsEEEESE_PS5_SF_14custom_greaterIsEEE10hipError_tT0_T1_T2_T3_mRjT4_P12ihipStream_tbNS1_7vsmem_tEEUlT_E_NS1_11comp_targetILNS1_3genE4ELNS1_11target_archE910ELNS1_3gpuE8ELNS1_3repE0EEENS1_30default_config_static_selectorELNS0_4arch9wavefront6targetE1EEEvSK_: ; @_ZN7rocprim17ROCPRIM_400000_NS6detail17trampoline_kernelINS0_14default_configENS1_37merge_sort_block_sort_config_selectorIsNS0_10empty_typeEEEZNS1_21merge_sort_block_sortIS3_N6thrust23THRUST_200600_302600_NS6detail15normal_iteratorINS9_10device_ptrIsEEEESE_PS5_SF_14custom_greaterIsEEE10hipError_tT0_T1_T2_T3_mRjT4_P12ihipStream_tbNS1_7vsmem_tEEUlT_E_NS1_11comp_targetILNS1_3genE4ELNS1_11target_archE910ELNS1_3gpuE8ELNS1_3repE0EEENS1_30default_config_static_selectorELNS0_4arch9wavefront6targetE1EEEvSK_
; %bb.0:
	s_add_u32 flat_scratch_lo, s6, s11
	s_addc_u32 flat_scratch_hi, s7, 0
	s_mov_b32 s12, s8
	s_load_dwordx2 s[6:7], s[4:5], 0x40
	s_load_dword s8, s[4:5], 0x0
	s_add_u32 s0, s0, s11
	s_addc_u32 s1, s1, 0
	s_mov_b32 s32, 0
	s_waitcnt lgkmcnt(0)
	s_mul_i32 s7, s7, s10
	s_add_i32 s7, s7, s9
	s_mul_i32 s6, s7, s6
	s_add_i32 s6, s6, s12
	s_cmp_ge_u32 s6, s8
	s_cbranch_scc1 .LBB2930_2
; %bb.1:
	s_mov_b32 s13, s9
	s_load_dwordx4 s[8:11], s[4:5], 0x18
	s_load_dwordx2 s[14:15], s[4:5], 0x8
	s_mov_b32 s7, 0
	s_lshl_b64 s[16:17], s[6:7], 13
	v_mov_b32_e32 v31, v0
	s_waitcnt lgkmcnt(0)
	s_add_u32 s10, s10, s16
	s_addc_u32 s11, s11, s17
	s_add_u32 s16, s8, s16
	s_addc_u32 s17, s9, s17
	s_lshr_b64 s[8:9], s[14:15], 12
	s_cmp_eq_u64 s[8:9], s[6:7]
	s_cselect_b64 s[8:9], -1, 0
	s_lshl_b32 s6, s6, 12
	s_sub_i32 s6, s14, s6
	v_cndmask_b32_e64 v1, 0, 1, s[8:9]
	s_add_u32 s8, s4, 64
	s_addc_u32 s9, s5, 0
	v_mov_b32_e32 v0, s6
	v_mov_b32_e32 v2, s16
	;; [unrolled: 1-line block ×5, first 2 shown]
	s_getpc_b64 s[4:5]
	s_add_u32 s4, s4, _ZN7rocprim17ROCPRIM_400000_NS6detail15block_sort_implIsNS0_10empty_typeELj256ELj16ELNS0_4arch9wavefront6targetE1EvE4sortIN6thrust23THRUST_200600_302600_NS6detail15normal_iteratorINSA_10device_ptrIsEEEESF_PS3_SG_14custom_greaterIsEEEvjbT_T0_T1_T2_T3_RNS7_12storage_typeE@rel32@lo+4
	s_addc_u32 s5, s5, _ZN7rocprim17ROCPRIM_400000_NS6detail15block_sort_implIsNS0_10empty_typeELj256ELj16ELNS0_4arch9wavefront6targetE1EvE4sortIN6thrust23THRUST_200600_302600_NS6detail15normal_iteratorINSA_10device_ptrIsEEEESF_PS3_SG_14custom_greaterIsEEEvjbT_T0_T1_T2_T3_RNS7_12storage_typeE@rel32@hi+12
	s_swappc_b64 s[30:31], s[4:5]
.LBB2930_2:
	s_endpgm
	.section	.rodata,"a",@progbits
	.p2align	6, 0x0
	.amdhsa_kernel _ZN7rocprim17ROCPRIM_400000_NS6detail17trampoline_kernelINS0_14default_configENS1_37merge_sort_block_sort_config_selectorIsNS0_10empty_typeEEEZNS1_21merge_sort_block_sortIS3_N6thrust23THRUST_200600_302600_NS6detail15normal_iteratorINS9_10device_ptrIsEEEESE_PS5_SF_14custom_greaterIsEEE10hipError_tT0_T1_T2_T3_mRjT4_P12ihipStream_tbNS1_7vsmem_tEEUlT_E_NS1_11comp_targetILNS1_3genE4ELNS1_11target_archE910ELNS1_3gpuE8ELNS1_3repE0EEENS1_30default_config_static_selectorELNS0_4arch9wavefront6targetE1EEEvSK_
		.amdhsa_group_segment_fixed_size 8448
		.amdhsa_private_segment_fixed_size 8
		.amdhsa_kernarg_size 320
		.amdhsa_user_sgpr_count 8
		.amdhsa_user_sgpr_private_segment_buffer 1
		.amdhsa_user_sgpr_dispatch_ptr 0
		.amdhsa_user_sgpr_queue_ptr 0
		.amdhsa_user_sgpr_kernarg_segment_ptr 1
		.amdhsa_user_sgpr_dispatch_id 0
		.amdhsa_user_sgpr_flat_scratch_init 1
		.amdhsa_user_sgpr_kernarg_preload_length 0
		.amdhsa_user_sgpr_kernarg_preload_offset 0
		.amdhsa_user_sgpr_private_segment_size 0
		.amdhsa_uses_dynamic_stack 0
		.amdhsa_system_sgpr_private_segment_wavefront_offset 1
		.amdhsa_system_sgpr_workgroup_id_x 1
		.amdhsa_system_sgpr_workgroup_id_y 1
		.amdhsa_system_sgpr_workgroup_id_z 1
		.amdhsa_system_sgpr_workgroup_info 0
		.amdhsa_system_vgpr_workitem_id 2
		.amdhsa_next_free_vgpr 87
		.amdhsa_next_free_sgpr 76
		.amdhsa_accum_offset 88
		.amdhsa_reserve_vcc 1
		.amdhsa_reserve_flat_scratch 1
		.amdhsa_float_round_mode_32 0
		.amdhsa_float_round_mode_16_64 0
		.amdhsa_float_denorm_mode_32 3
		.amdhsa_float_denorm_mode_16_64 3
		.amdhsa_dx10_clamp 1
		.amdhsa_ieee_mode 1
		.amdhsa_fp16_overflow 0
		.amdhsa_tg_split 0
		.amdhsa_exception_fp_ieee_invalid_op 0
		.amdhsa_exception_fp_denorm_src 0
		.amdhsa_exception_fp_ieee_div_zero 0
		.amdhsa_exception_fp_ieee_overflow 0
		.amdhsa_exception_fp_ieee_underflow 0
		.amdhsa_exception_fp_ieee_inexact 0
		.amdhsa_exception_int_div_zero 0
	.end_amdhsa_kernel
	.section	.text._ZN7rocprim17ROCPRIM_400000_NS6detail17trampoline_kernelINS0_14default_configENS1_37merge_sort_block_sort_config_selectorIsNS0_10empty_typeEEEZNS1_21merge_sort_block_sortIS3_N6thrust23THRUST_200600_302600_NS6detail15normal_iteratorINS9_10device_ptrIsEEEESE_PS5_SF_14custom_greaterIsEEE10hipError_tT0_T1_T2_T3_mRjT4_P12ihipStream_tbNS1_7vsmem_tEEUlT_E_NS1_11comp_targetILNS1_3genE4ELNS1_11target_archE910ELNS1_3gpuE8ELNS1_3repE0EEENS1_30default_config_static_selectorELNS0_4arch9wavefront6targetE1EEEvSK_,"axG",@progbits,_ZN7rocprim17ROCPRIM_400000_NS6detail17trampoline_kernelINS0_14default_configENS1_37merge_sort_block_sort_config_selectorIsNS0_10empty_typeEEEZNS1_21merge_sort_block_sortIS3_N6thrust23THRUST_200600_302600_NS6detail15normal_iteratorINS9_10device_ptrIsEEEESE_PS5_SF_14custom_greaterIsEEE10hipError_tT0_T1_T2_T3_mRjT4_P12ihipStream_tbNS1_7vsmem_tEEUlT_E_NS1_11comp_targetILNS1_3genE4ELNS1_11target_archE910ELNS1_3gpuE8ELNS1_3repE0EEENS1_30default_config_static_selectorELNS0_4arch9wavefront6targetE1EEEvSK_,comdat
.Lfunc_end2930:
	.size	_ZN7rocprim17ROCPRIM_400000_NS6detail17trampoline_kernelINS0_14default_configENS1_37merge_sort_block_sort_config_selectorIsNS0_10empty_typeEEEZNS1_21merge_sort_block_sortIS3_N6thrust23THRUST_200600_302600_NS6detail15normal_iteratorINS9_10device_ptrIsEEEESE_PS5_SF_14custom_greaterIsEEE10hipError_tT0_T1_T2_T3_mRjT4_P12ihipStream_tbNS1_7vsmem_tEEUlT_E_NS1_11comp_targetILNS1_3genE4ELNS1_11target_archE910ELNS1_3gpuE8ELNS1_3repE0EEENS1_30default_config_static_selectorELNS0_4arch9wavefront6targetE1EEEvSK_, .Lfunc_end2930-_ZN7rocprim17ROCPRIM_400000_NS6detail17trampoline_kernelINS0_14default_configENS1_37merge_sort_block_sort_config_selectorIsNS0_10empty_typeEEEZNS1_21merge_sort_block_sortIS3_N6thrust23THRUST_200600_302600_NS6detail15normal_iteratorINS9_10device_ptrIsEEEESE_PS5_SF_14custom_greaterIsEEE10hipError_tT0_T1_T2_T3_mRjT4_P12ihipStream_tbNS1_7vsmem_tEEUlT_E_NS1_11comp_targetILNS1_3genE4ELNS1_11target_archE910ELNS1_3gpuE8ELNS1_3repE0EEENS1_30default_config_static_selectorELNS0_4arch9wavefront6targetE1EEEvSK_
                                        ; -- End function
	.section	.AMDGPU.csdata,"",@progbits
; Kernel info:
; codeLenInByte = 204
; NumSgprs: 82
; NumVgprs: 87
; NumAgprs: 0
; TotalNumVgprs: 87
; ScratchSize: 8
; MemoryBound: 0
; FloatMode: 240
; IeeeMode: 1
; LDSByteSize: 8448 bytes/workgroup (compile time only)
; SGPRBlocks: 10
; VGPRBlocks: 10
; NumSGPRsForWavesPerEU: 82
; NumVGPRsForWavesPerEU: 87
; AccumOffset: 88
; Occupancy: 5
; WaveLimiterHint : 1
; COMPUTE_PGM_RSRC2:SCRATCH_EN: 1
; COMPUTE_PGM_RSRC2:USER_SGPR: 8
; COMPUTE_PGM_RSRC2:TRAP_HANDLER: 0
; COMPUTE_PGM_RSRC2:TGID_X_EN: 1
; COMPUTE_PGM_RSRC2:TGID_Y_EN: 1
; COMPUTE_PGM_RSRC2:TGID_Z_EN: 1
; COMPUTE_PGM_RSRC2:TIDIG_COMP_CNT: 2
; COMPUTE_PGM_RSRC3_GFX90A:ACCUM_OFFSET: 21
; COMPUTE_PGM_RSRC3_GFX90A:TG_SPLIT: 0
	.section	.text._ZN7rocprim17ROCPRIM_400000_NS6detail17trampoline_kernelINS0_14default_configENS1_37merge_sort_block_sort_config_selectorIsNS0_10empty_typeEEEZNS1_21merge_sort_block_sortIS3_N6thrust23THRUST_200600_302600_NS6detail15normal_iteratorINS9_10device_ptrIsEEEESE_PS5_SF_14custom_greaterIsEEE10hipError_tT0_T1_T2_T3_mRjT4_P12ihipStream_tbNS1_7vsmem_tEEUlT_E_NS1_11comp_targetILNS1_3genE3ELNS1_11target_archE908ELNS1_3gpuE7ELNS1_3repE0EEENS1_30default_config_static_selectorELNS0_4arch9wavefront6targetE1EEEvSK_,"axG",@progbits,_ZN7rocprim17ROCPRIM_400000_NS6detail17trampoline_kernelINS0_14default_configENS1_37merge_sort_block_sort_config_selectorIsNS0_10empty_typeEEEZNS1_21merge_sort_block_sortIS3_N6thrust23THRUST_200600_302600_NS6detail15normal_iteratorINS9_10device_ptrIsEEEESE_PS5_SF_14custom_greaterIsEEE10hipError_tT0_T1_T2_T3_mRjT4_P12ihipStream_tbNS1_7vsmem_tEEUlT_E_NS1_11comp_targetILNS1_3genE3ELNS1_11target_archE908ELNS1_3gpuE7ELNS1_3repE0EEENS1_30default_config_static_selectorELNS0_4arch9wavefront6targetE1EEEvSK_,comdat
	.protected	_ZN7rocprim17ROCPRIM_400000_NS6detail17trampoline_kernelINS0_14default_configENS1_37merge_sort_block_sort_config_selectorIsNS0_10empty_typeEEEZNS1_21merge_sort_block_sortIS3_N6thrust23THRUST_200600_302600_NS6detail15normal_iteratorINS9_10device_ptrIsEEEESE_PS5_SF_14custom_greaterIsEEE10hipError_tT0_T1_T2_T3_mRjT4_P12ihipStream_tbNS1_7vsmem_tEEUlT_E_NS1_11comp_targetILNS1_3genE3ELNS1_11target_archE908ELNS1_3gpuE7ELNS1_3repE0EEENS1_30default_config_static_selectorELNS0_4arch9wavefront6targetE1EEEvSK_ ; -- Begin function _ZN7rocprim17ROCPRIM_400000_NS6detail17trampoline_kernelINS0_14default_configENS1_37merge_sort_block_sort_config_selectorIsNS0_10empty_typeEEEZNS1_21merge_sort_block_sortIS3_N6thrust23THRUST_200600_302600_NS6detail15normal_iteratorINS9_10device_ptrIsEEEESE_PS5_SF_14custom_greaterIsEEE10hipError_tT0_T1_T2_T3_mRjT4_P12ihipStream_tbNS1_7vsmem_tEEUlT_E_NS1_11comp_targetILNS1_3genE3ELNS1_11target_archE908ELNS1_3gpuE7ELNS1_3repE0EEENS1_30default_config_static_selectorELNS0_4arch9wavefront6targetE1EEEvSK_
	.globl	_ZN7rocprim17ROCPRIM_400000_NS6detail17trampoline_kernelINS0_14default_configENS1_37merge_sort_block_sort_config_selectorIsNS0_10empty_typeEEEZNS1_21merge_sort_block_sortIS3_N6thrust23THRUST_200600_302600_NS6detail15normal_iteratorINS9_10device_ptrIsEEEESE_PS5_SF_14custom_greaterIsEEE10hipError_tT0_T1_T2_T3_mRjT4_P12ihipStream_tbNS1_7vsmem_tEEUlT_E_NS1_11comp_targetILNS1_3genE3ELNS1_11target_archE908ELNS1_3gpuE7ELNS1_3repE0EEENS1_30default_config_static_selectorELNS0_4arch9wavefront6targetE1EEEvSK_
	.p2align	8
	.type	_ZN7rocprim17ROCPRIM_400000_NS6detail17trampoline_kernelINS0_14default_configENS1_37merge_sort_block_sort_config_selectorIsNS0_10empty_typeEEEZNS1_21merge_sort_block_sortIS3_N6thrust23THRUST_200600_302600_NS6detail15normal_iteratorINS9_10device_ptrIsEEEESE_PS5_SF_14custom_greaterIsEEE10hipError_tT0_T1_T2_T3_mRjT4_P12ihipStream_tbNS1_7vsmem_tEEUlT_E_NS1_11comp_targetILNS1_3genE3ELNS1_11target_archE908ELNS1_3gpuE7ELNS1_3repE0EEENS1_30default_config_static_selectorELNS0_4arch9wavefront6targetE1EEEvSK_,@function
_ZN7rocprim17ROCPRIM_400000_NS6detail17trampoline_kernelINS0_14default_configENS1_37merge_sort_block_sort_config_selectorIsNS0_10empty_typeEEEZNS1_21merge_sort_block_sortIS3_N6thrust23THRUST_200600_302600_NS6detail15normal_iteratorINS9_10device_ptrIsEEEESE_PS5_SF_14custom_greaterIsEEE10hipError_tT0_T1_T2_T3_mRjT4_P12ihipStream_tbNS1_7vsmem_tEEUlT_E_NS1_11comp_targetILNS1_3genE3ELNS1_11target_archE908ELNS1_3gpuE7ELNS1_3repE0EEENS1_30default_config_static_selectorELNS0_4arch9wavefront6targetE1EEEvSK_: ; @_ZN7rocprim17ROCPRIM_400000_NS6detail17trampoline_kernelINS0_14default_configENS1_37merge_sort_block_sort_config_selectorIsNS0_10empty_typeEEEZNS1_21merge_sort_block_sortIS3_N6thrust23THRUST_200600_302600_NS6detail15normal_iteratorINS9_10device_ptrIsEEEESE_PS5_SF_14custom_greaterIsEEE10hipError_tT0_T1_T2_T3_mRjT4_P12ihipStream_tbNS1_7vsmem_tEEUlT_E_NS1_11comp_targetILNS1_3genE3ELNS1_11target_archE908ELNS1_3gpuE7ELNS1_3repE0EEENS1_30default_config_static_selectorELNS0_4arch9wavefront6targetE1EEEvSK_
; %bb.0:
	.section	.rodata,"a",@progbits
	.p2align	6, 0x0
	.amdhsa_kernel _ZN7rocprim17ROCPRIM_400000_NS6detail17trampoline_kernelINS0_14default_configENS1_37merge_sort_block_sort_config_selectorIsNS0_10empty_typeEEEZNS1_21merge_sort_block_sortIS3_N6thrust23THRUST_200600_302600_NS6detail15normal_iteratorINS9_10device_ptrIsEEEESE_PS5_SF_14custom_greaterIsEEE10hipError_tT0_T1_T2_T3_mRjT4_P12ihipStream_tbNS1_7vsmem_tEEUlT_E_NS1_11comp_targetILNS1_3genE3ELNS1_11target_archE908ELNS1_3gpuE7ELNS1_3repE0EEENS1_30default_config_static_selectorELNS0_4arch9wavefront6targetE1EEEvSK_
		.amdhsa_group_segment_fixed_size 0
		.amdhsa_private_segment_fixed_size 0
		.amdhsa_kernarg_size 64
		.amdhsa_user_sgpr_count 6
		.amdhsa_user_sgpr_private_segment_buffer 1
		.amdhsa_user_sgpr_dispatch_ptr 0
		.amdhsa_user_sgpr_queue_ptr 0
		.amdhsa_user_sgpr_kernarg_segment_ptr 1
		.amdhsa_user_sgpr_dispatch_id 0
		.amdhsa_user_sgpr_flat_scratch_init 0
		.amdhsa_user_sgpr_kernarg_preload_length 0
		.amdhsa_user_sgpr_kernarg_preload_offset 0
		.amdhsa_user_sgpr_private_segment_size 0
		.amdhsa_uses_dynamic_stack 0
		.amdhsa_system_sgpr_private_segment_wavefront_offset 0
		.amdhsa_system_sgpr_workgroup_id_x 1
		.amdhsa_system_sgpr_workgroup_id_y 0
		.amdhsa_system_sgpr_workgroup_id_z 0
		.amdhsa_system_sgpr_workgroup_info 0
		.amdhsa_system_vgpr_workitem_id 0
		.amdhsa_next_free_vgpr 1
		.amdhsa_next_free_sgpr 0
		.amdhsa_accum_offset 4
		.amdhsa_reserve_vcc 0
		.amdhsa_reserve_flat_scratch 0
		.amdhsa_float_round_mode_32 0
		.amdhsa_float_round_mode_16_64 0
		.amdhsa_float_denorm_mode_32 3
		.amdhsa_float_denorm_mode_16_64 3
		.amdhsa_dx10_clamp 1
		.amdhsa_ieee_mode 1
		.amdhsa_fp16_overflow 0
		.amdhsa_tg_split 0
		.amdhsa_exception_fp_ieee_invalid_op 0
		.amdhsa_exception_fp_denorm_src 0
		.amdhsa_exception_fp_ieee_div_zero 0
		.amdhsa_exception_fp_ieee_overflow 0
		.amdhsa_exception_fp_ieee_underflow 0
		.amdhsa_exception_fp_ieee_inexact 0
		.amdhsa_exception_int_div_zero 0
	.end_amdhsa_kernel
	.section	.text._ZN7rocprim17ROCPRIM_400000_NS6detail17trampoline_kernelINS0_14default_configENS1_37merge_sort_block_sort_config_selectorIsNS0_10empty_typeEEEZNS1_21merge_sort_block_sortIS3_N6thrust23THRUST_200600_302600_NS6detail15normal_iteratorINS9_10device_ptrIsEEEESE_PS5_SF_14custom_greaterIsEEE10hipError_tT0_T1_T2_T3_mRjT4_P12ihipStream_tbNS1_7vsmem_tEEUlT_E_NS1_11comp_targetILNS1_3genE3ELNS1_11target_archE908ELNS1_3gpuE7ELNS1_3repE0EEENS1_30default_config_static_selectorELNS0_4arch9wavefront6targetE1EEEvSK_,"axG",@progbits,_ZN7rocprim17ROCPRIM_400000_NS6detail17trampoline_kernelINS0_14default_configENS1_37merge_sort_block_sort_config_selectorIsNS0_10empty_typeEEEZNS1_21merge_sort_block_sortIS3_N6thrust23THRUST_200600_302600_NS6detail15normal_iteratorINS9_10device_ptrIsEEEESE_PS5_SF_14custom_greaterIsEEE10hipError_tT0_T1_T2_T3_mRjT4_P12ihipStream_tbNS1_7vsmem_tEEUlT_E_NS1_11comp_targetILNS1_3genE3ELNS1_11target_archE908ELNS1_3gpuE7ELNS1_3repE0EEENS1_30default_config_static_selectorELNS0_4arch9wavefront6targetE1EEEvSK_,comdat
.Lfunc_end2931:
	.size	_ZN7rocprim17ROCPRIM_400000_NS6detail17trampoline_kernelINS0_14default_configENS1_37merge_sort_block_sort_config_selectorIsNS0_10empty_typeEEEZNS1_21merge_sort_block_sortIS3_N6thrust23THRUST_200600_302600_NS6detail15normal_iteratorINS9_10device_ptrIsEEEESE_PS5_SF_14custom_greaterIsEEE10hipError_tT0_T1_T2_T3_mRjT4_P12ihipStream_tbNS1_7vsmem_tEEUlT_E_NS1_11comp_targetILNS1_3genE3ELNS1_11target_archE908ELNS1_3gpuE7ELNS1_3repE0EEENS1_30default_config_static_selectorELNS0_4arch9wavefront6targetE1EEEvSK_, .Lfunc_end2931-_ZN7rocprim17ROCPRIM_400000_NS6detail17trampoline_kernelINS0_14default_configENS1_37merge_sort_block_sort_config_selectorIsNS0_10empty_typeEEEZNS1_21merge_sort_block_sortIS3_N6thrust23THRUST_200600_302600_NS6detail15normal_iteratorINS9_10device_ptrIsEEEESE_PS5_SF_14custom_greaterIsEEE10hipError_tT0_T1_T2_T3_mRjT4_P12ihipStream_tbNS1_7vsmem_tEEUlT_E_NS1_11comp_targetILNS1_3genE3ELNS1_11target_archE908ELNS1_3gpuE7ELNS1_3repE0EEENS1_30default_config_static_selectorELNS0_4arch9wavefront6targetE1EEEvSK_
                                        ; -- End function
	.section	.AMDGPU.csdata,"",@progbits
; Kernel info:
; codeLenInByte = 0
; NumSgprs: 4
; NumVgprs: 0
; NumAgprs: 0
; TotalNumVgprs: 0
; ScratchSize: 0
; MemoryBound: 0
; FloatMode: 240
; IeeeMode: 1
; LDSByteSize: 0 bytes/workgroup (compile time only)
; SGPRBlocks: 0
; VGPRBlocks: 0
; NumSGPRsForWavesPerEU: 4
; NumVGPRsForWavesPerEU: 1
; AccumOffset: 4
; Occupancy: 8
; WaveLimiterHint : 0
; COMPUTE_PGM_RSRC2:SCRATCH_EN: 0
; COMPUTE_PGM_RSRC2:USER_SGPR: 6
; COMPUTE_PGM_RSRC2:TRAP_HANDLER: 0
; COMPUTE_PGM_RSRC2:TGID_X_EN: 1
; COMPUTE_PGM_RSRC2:TGID_Y_EN: 0
; COMPUTE_PGM_RSRC2:TGID_Z_EN: 0
; COMPUTE_PGM_RSRC2:TIDIG_COMP_CNT: 0
; COMPUTE_PGM_RSRC3_GFX90A:ACCUM_OFFSET: 0
; COMPUTE_PGM_RSRC3_GFX90A:TG_SPLIT: 0
	.section	.text._ZN7rocprim17ROCPRIM_400000_NS6detail17trampoline_kernelINS0_14default_configENS1_37merge_sort_block_sort_config_selectorIsNS0_10empty_typeEEEZNS1_21merge_sort_block_sortIS3_N6thrust23THRUST_200600_302600_NS6detail15normal_iteratorINS9_10device_ptrIsEEEESE_PS5_SF_14custom_greaterIsEEE10hipError_tT0_T1_T2_T3_mRjT4_P12ihipStream_tbNS1_7vsmem_tEEUlT_E_NS1_11comp_targetILNS1_3genE2ELNS1_11target_archE906ELNS1_3gpuE6ELNS1_3repE0EEENS1_30default_config_static_selectorELNS0_4arch9wavefront6targetE1EEEvSK_,"axG",@progbits,_ZN7rocprim17ROCPRIM_400000_NS6detail17trampoline_kernelINS0_14default_configENS1_37merge_sort_block_sort_config_selectorIsNS0_10empty_typeEEEZNS1_21merge_sort_block_sortIS3_N6thrust23THRUST_200600_302600_NS6detail15normal_iteratorINS9_10device_ptrIsEEEESE_PS5_SF_14custom_greaterIsEEE10hipError_tT0_T1_T2_T3_mRjT4_P12ihipStream_tbNS1_7vsmem_tEEUlT_E_NS1_11comp_targetILNS1_3genE2ELNS1_11target_archE906ELNS1_3gpuE6ELNS1_3repE0EEENS1_30default_config_static_selectorELNS0_4arch9wavefront6targetE1EEEvSK_,comdat
	.protected	_ZN7rocprim17ROCPRIM_400000_NS6detail17trampoline_kernelINS0_14default_configENS1_37merge_sort_block_sort_config_selectorIsNS0_10empty_typeEEEZNS1_21merge_sort_block_sortIS3_N6thrust23THRUST_200600_302600_NS6detail15normal_iteratorINS9_10device_ptrIsEEEESE_PS5_SF_14custom_greaterIsEEE10hipError_tT0_T1_T2_T3_mRjT4_P12ihipStream_tbNS1_7vsmem_tEEUlT_E_NS1_11comp_targetILNS1_3genE2ELNS1_11target_archE906ELNS1_3gpuE6ELNS1_3repE0EEENS1_30default_config_static_selectorELNS0_4arch9wavefront6targetE1EEEvSK_ ; -- Begin function _ZN7rocprim17ROCPRIM_400000_NS6detail17trampoline_kernelINS0_14default_configENS1_37merge_sort_block_sort_config_selectorIsNS0_10empty_typeEEEZNS1_21merge_sort_block_sortIS3_N6thrust23THRUST_200600_302600_NS6detail15normal_iteratorINS9_10device_ptrIsEEEESE_PS5_SF_14custom_greaterIsEEE10hipError_tT0_T1_T2_T3_mRjT4_P12ihipStream_tbNS1_7vsmem_tEEUlT_E_NS1_11comp_targetILNS1_3genE2ELNS1_11target_archE906ELNS1_3gpuE6ELNS1_3repE0EEENS1_30default_config_static_selectorELNS0_4arch9wavefront6targetE1EEEvSK_
	.globl	_ZN7rocprim17ROCPRIM_400000_NS6detail17trampoline_kernelINS0_14default_configENS1_37merge_sort_block_sort_config_selectorIsNS0_10empty_typeEEEZNS1_21merge_sort_block_sortIS3_N6thrust23THRUST_200600_302600_NS6detail15normal_iteratorINS9_10device_ptrIsEEEESE_PS5_SF_14custom_greaterIsEEE10hipError_tT0_T1_T2_T3_mRjT4_P12ihipStream_tbNS1_7vsmem_tEEUlT_E_NS1_11comp_targetILNS1_3genE2ELNS1_11target_archE906ELNS1_3gpuE6ELNS1_3repE0EEENS1_30default_config_static_selectorELNS0_4arch9wavefront6targetE1EEEvSK_
	.p2align	8
	.type	_ZN7rocprim17ROCPRIM_400000_NS6detail17trampoline_kernelINS0_14default_configENS1_37merge_sort_block_sort_config_selectorIsNS0_10empty_typeEEEZNS1_21merge_sort_block_sortIS3_N6thrust23THRUST_200600_302600_NS6detail15normal_iteratorINS9_10device_ptrIsEEEESE_PS5_SF_14custom_greaterIsEEE10hipError_tT0_T1_T2_T3_mRjT4_P12ihipStream_tbNS1_7vsmem_tEEUlT_E_NS1_11comp_targetILNS1_3genE2ELNS1_11target_archE906ELNS1_3gpuE6ELNS1_3repE0EEENS1_30default_config_static_selectorELNS0_4arch9wavefront6targetE1EEEvSK_,@function
_ZN7rocprim17ROCPRIM_400000_NS6detail17trampoline_kernelINS0_14default_configENS1_37merge_sort_block_sort_config_selectorIsNS0_10empty_typeEEEZNS1_21merge_sort_block_sortIS3_N6thrust23THRUST_200600_302600_NS6detail15normal_iteratorINS9_10device_ptrIsEEEESE_PS5_SF_14custom_greaterIsEEE10hipError_tT0_T1_T2_T3_mRjT4_P12ihipStream_tbNS1_7vsmem_tEEUlT_E_NS1_11comp_targetILNS1_3genE2ELNS1_11target_archE906ELNS1_3gpuE6ELNS1_3repE0EEENS1_30default_config_static_selectorELNS0_4arch9wavefront6targetE1EEEvSK_: ; @_ZN7rocprim17ROCPRIM_400000_NS6detail17trampoline_kernelINS0_14default_configENS1_37merge_sort_block_sort_config_selectorIsNS0_10empty_typeEEEZNS1_21merge_sort_block_sortIS3_N6thrust23THRUST_200600_302600_NS6detail15normal_iteratorINS9_10device_ptrIsEEEESE_PS5_SF_14custom_greaterIsEEE10hipError_tT0_T1_T2_T3_mRjT4_P12ihipStream_tbNS1_7vsmem_tEEUlT_E_NS1_11comp_targetILNS1_3genE2ELNS1_11target_archE906ELNS1_3gpuE6ELNS1_3repE0EEENS1_30default_config_static_selectorELNS0_4arch9wavefront6targetE1EEEvSK_
; %bb.0:
	.section	.rodata,"a",@progbits
	.p2align	6, 0x0
	.amdhsa_kernel _ZN7rocprim17ROCPRIM_400000_NS6detail17trampoline_kernelINS0_14default_configENS1_37merge_sort_block_sort_config_selectorIsNS0_10empty_typeEEEZNS1_21merge_sort_block_sortIS3_N6thrust23THRUST_200600_302600_NS6detail15normal_iteratorINS9_10device_ptrIsEEEESE_PS5_SF_14custom_greaterIsEEE10hipError_tT0_T1_T2_T3_mRjT4_P12ihipStream_tbNS1_7vsmem_tEEUlT_E_NS1_11comp_targetILNS1_3genE2ELNS1_11target_archE906ELNS1_3gpuE6ELNS1_3repE0EEENS1_30default_config_static_selectorELNS0_4arch9wavefront6targetE1EEEvSK_
		.amdhsa_group_segment_fixed_size 0
		.amdhsa_private_segment_fixed_size 0
		.amdhsa_kernarg_size 64
		.amdhsa_user_sgpr_count 6
		.amdhsa_user_sgpr_private_segment_buffer 1
		.amdhsa_user_sgpr_dispatch_ptr 0
		.amdhsa_user_sgpr_queue_ptr 0
		.amdhsa_user_sgpr_kernarg_segment_ptr 1
		.amdhsa_user_sgpr_dispatch_id 0
		.amdhsa_user_sgpr_flat_scratch_init 0
		.amdhsa_user_sgpr_kernarg_preload_length 0
		.amdhsa_user_sgpr_kernarg_preload_offset 0
		.amdhsa_user_sgpr_private_segment_size 0
		.amdhsa_uses_dynamic_stack 0
		.amdhsa_system_sgpr_private_segment_wavefront_offset 0
		.amdhsa_system_sgpr_workgroup_id_x 1
		.amdhsa_system_sgpr_workgroup_id_y 0
		.amdhsa_system_sgpr_workgroup_id_z 0
		.amdhsa_system_sgpr_workgroup_info 0
		.amdhsa_system_vgpr_workitem_id 0
		.amdhsa_next_free_vgpr 1
		.amdhsa_next_free_sgpr 0
		.amdhsa_accum_offset 4
		.amdhsa_reserve_vcc 0
		.amdhsa_reserve_flat_scratch 0
		.amdhsa_float_round_mode_32 0
		.amdhsa_float_round_mode_16_64 0
		.amdhsa_float_denorm_mode_32 3
		.amdhsa_float_denorm_mode_16_64 3
		.amdhsa_dx10_clamp 1
		.amdhsa_ieee_mode 1
		.amdhsa_fp16_overflow 0
		.amdhsa_tg_split 0
		.amdhsa_exception_fp_ieee_invalid_op 0
		.amdhsa_exception_fp_denorm_src 0
		.amdhsa_exception_fp_ieee_div_zero 0
		.amdhsa_exception_fp_ieee_overflow 0
		.amdhsa_exception_fp_ieee_underflow 0
		.amdhsa_exception_fp_ieee_inexact 0
		.amdhsa_exception_int_div_zero 0
	.end_amdhsa_kernel
	.section	.text._ZN7rocprim17ROCPRIM_400000_NS6detail17trampoline_kernelINS0_14default_configENS1_37merge_sort_block_sort_config_selectorIsNS0_10empty_typeEEEZNS1_21merge_sort_block_sortIS3_N6thrust23THRUST_200600_302600_NS6detail15normal_iteratorINS9_10device_ptrIsEEEESE_PS5_SF_14custom_greaterIsEEE10hipError_tT0_T1_T2_T3_mRjT4_P12ihipStream_tbNS1_7vsmem_tEEUlT_E_NS1_11comp_targetILNS1_3genE2ELNS1_11target_archE906ELNS1_3gpuE6ELNS1_3repE0EEENS1_30default_config_static_selectorELNS0_4arch9wavefront6targetE1EEEvSK_,"axG",@progbits,_ZN7rocprim17ROCPRIM_400000_NS6detail17trampoline_kernelINS0_14default_configENS1_37merge_sort_block_sort_config_selectorIsNS0_10empty_typeEEEZNS1_21merge_sort_block_sortIS3_N6thrust23THRUST_200600_302600_NS6detail15normal_iteratorINS9_10device_ptrIsEEEESE_PS5_SF_14custom_greaterIsEEE10hipError_tT0_T1_T2_T3_mRjT4_P12ihipStream_tbNS1_7vsmem_tEEUlT_E_NS1_11comp_targetILNS1_3genE2ELNS1_11target_archE906ELNS1_3gpuE6ELNS1_3repE0EEENS1_30default_config_static_selectorELNS0_4arch9wavefront6targetE1EEEvSK_,comdat
.Lfunc_end2932:
	.size	_ZN7rocprim17ROCPRIM_400000_NS6detail17trampoline_kernelINS0_14default_configENS1_37merge_sort_block_sort_config_selectorIsNS0_10empty_typeEEEZNS1_21merge_sort_block_sortIS3_N6thrust23THRUST_200600_302600_NS6detail15normal_iteratorINS9_10device_ptrIsEEEESE_PS5_SF_14custom_greaterIsEEE10hipError_tT0_T1_T2_T3_mRjT4_P12ihipStream_tbNS1_7vsmem_tEEUlT_E_NS1_11comp_targetILNS1_3genE2ELNS1_11target_archE906ELNS1_3gpuE6ELNS1_3repE0EEENS1_30default_config_static_selectorELNS0_4arch9wavefront6targetE1EEEvSK_, .Lfunc_end2932-_ZN7rocprim17ROCPRIM_400000_NS6detail17trampoline_kernelINS0_14default_configENS1_37merge_sort_block_sort_config_selectorIsNS0_10empty_typeEEEZNS1_21merge_sort_block_sortIS3_N6thrust23THRUST_200600_302600_NS6detail15normal_iteratorINS9_10device_ptrIsEEEESE_PS5_SF_14custom_greaterIsEEE10hipError_tT0_T1_T2_T3_mRjT4_P12ihipStream_tbNS1_7vsmem_tEEUlT_E_NS1_11comp_targetILNS1_3genE2ELNS1_11target_archE906ELNS1_3gpuE6ELNS1_3repE0EEENS1_30default_config_static_selectorELNS0_4arch9wavefront6targetE1EEEvSK_
                                        ; -- End function
	.section	.AMDGPU.csdata,"",@progbits
; Kernel info:
; codeLenInByte = 0
; NumSgprs: 4
; NumVgprs: 0
; NumAgprs: 0
; TotalNumVgprs: 0
; ScratchSize: 0
; MemoryBound: 0
; FloatMode: 240
; IeeeMode: 1
; LDSByteSize: 0 bytes/workgroup (compile time only)
; SGPRBlocks: 0
; VGPRBlocks: 0
; NumSGPRsForWavesPerEU: 4
; NumVGPRsForWavesPerEU: 1
; AccumOffset: 4
; Occupancy: 8
; WaveLimiterHint : 0
; COMPUTE_PGM_RSRC2:SCRATCH_EN: 0
; COMPUTE_PGM_RSRC2:USER_SGPR: 6
; COMPUTE_PGM_RSRC2:TRAP_HANDLER: 0
; COMPUTE_PGM_RSRC2:TGID_X_EN: 1
; COMPUTE_PGM_RSRC2:TGID_Y_EN: 0
; COMPUTE_PGM_RSRC2:TGID_Z_EN: 0
; COMPUTE_PGM_RSRC2:TIDIG_COMP_CNT: 0
; COMPUTE_PGM_RSRC3_GFX90A:ACCUM_OFFSET: 0
; COMPUTE_PGM_RSRC3_GFX90A:TG_SPLIT: 0
	.section	.text._ZN7rocprim17ROCPRIM_400000_NS6detail17trampoline_kernelINS0_14default_configENS1_37merge_sort_block_sort_config_selectorIsNS0_10empty_typeEEEZNS1_21merge_sort_block_sortIS3_N6thrust23THRUST_200600_302600_NS6detail15normal_iteratorINS9_10device_ptrIsEEEESE_PS5_SF_14custom_greaterIsEEE10hipError_tT0_T1_T2_T3_mRjT4_P12ihipStream_tbNS1_7vsmem_tEEUlT_E_NS1_11comp_targetILNS1_3genE10ELNS1_11target_archE1201ELNS1_3gpuE5ELNS1_3repE0EEENS1_30default_config_static_selectorELNS0_4arch9wavefront6targetE1EEEvSK_,"axG",@progbits,_ZN7rocprim17ROCPRIM_400000_NS6detail17trampoline_kernelINS0_14default_configENS1_37merge_sort_block_sort_config_selectorIsNS0_10empty_typeEEEZNS1_21merge_sort_block_sortIS3_N6thrust23THRUST_200600_302600_NS6detail15normal_iteratorINS9_10device_ptrIsEEEESE_PS5_SF_14custom_greaterIsEEE10hipError_tT0_T1_T2_T3_mRjT4_P12ihipStream_tbNS1_7vsmem_tEEUlT_E_NS1_11comp_targetILNS1_3genE10ELNS1_11target_archE1201ELNS1_3gpuE5ELNS1_3repE0EEENS1_30default_config_static_selectorELNS0_4arch9wavefront6targetE1EEEvSK_,comdat
	.protected	_ZN7rocprim17ROCPRIM_400000_NS6detail17trampoline_kernelINS0_14default_configENS1_37merge_sort_block_sort_config_selectorIsNS0_10empty_typeEEEZNS1_21merge_sort_block_sortIS3_N6thrust23THRUST_200600_302600_NS6detail15normal_iteratorINS9_10device_ptrIsEEEESE_PS5_SF_14custom_greaterIsEEE10hipError_tT0_T1_T2_T3_mRjT4_P12ihipStream_tbNS1_7vsmem_tEEUlT_E_NS1_11comp_targetILNS1_3genE10ELNS1_11target_archE1201ELNS1_3gpuE5ELNS1_3repE0EEENS1_30default_config_static_selectorELNS0_4arch9wavefront6targetE1EEEvSK_ ; -- Begin function _ZN7rocprim17ROCPRIM_400000_NS6detail17trampoline_kernelINS0_14default_configENS1_37merge_sort_block_sort_config_selectorIsNS0_10empty_typeEEEZNS1_21merge_sort_block_sortIS3_N6thrust23THRUST_200600_302600_NS6detail15normal_iteratorINS9_10device_ptrIsEEEESE_PS5_SF_14custom_greaterIsEEE10hipError_tT0_T1_T2_T3_mRjT4_P12ihipStream_tbNS1_7vsmem_tEEUlT_E_NS1_11comp_targetILNS1_3genE10ELNS1_11target_archE1201ELNS1_3gpuE5ELNS1_3repE0EEENS1_30default_config_static_selectorELNS0_4arch9wavefront6targetE1EEEvSK_
	.globl	_ZN7rocprim17ROCPRIM_400000_NS6detail17trampoline_kernelINS0_14default_configENS1_37merge_sort_block_sort_config_selectorIsNS0_10empty_typeEEEZNS1_21merge_sort_block_sortIS3_N6thrust23THRUST_200600_302600_NS6detail15normal_iteratorINS9_10device_ptrIsEEEESE_PS5_SF_14custom_greaterIsEEE10hipError_tT0_T1_T2_T3_mRjT4_P12ihipStream_tbNS1_7vsmem_tEEUlT_E_NS1_11comp_targetILNS1_3genE10ELNS1_11target_archE1201ELNS1_3gpuE5ELNS1_3repE0EEENS1_30default_config_static_selectorELNS0_4arch9wavefront6targetE1EEEvSK_
	.p2align	8
	.type	_ZN7rocprim17ROCPRIM_400000_NS6detail17trampoline_kernelINS0_14default_configENS1_37merge_sort_block_sort_config_selectorIsNS0_10empty_typeEEEZNS1_21merge_sort_block_sortIS3_N6thrust23THRUST_200600_302600_NS6detail15normal_iteratorINS9_10device_ptrIsEEEESE_PS5_SF_14custom_greaterIsEEE10hipError_tT0_T1_T2_T3_mRjT4_P12ihipStream_tbNS1_7vsmem_tEEUlT_E_NS1_11comp_targetILNS1_3genE10ELNS1_11target_archE1201ELNS1_3gpuE5ELNS1_3repE0EEENS1_30default_config_static_selectorELNS0_4arch9wavefront6targetE1EEEvSK_,@function
_ZN7rocprim17ROCPRIM_400000_NS6detail17trampoline_kernelINS0_14default_configENS1_37merge_sort_block_sort_config_selectorIsNS0_10empty_typeEEEZNS1_21merge_sort_block_sortIS3_N6thrust23THRUST_200600_302600_NS6detail15normal_iteratorINS9_10device_ptrIsEEEESE_PS5_SF_14custom_greaterIsEEE10hipError_tT0_T1_T2_T3_mRjT4_P12ihipStream_tbNS1_7vsmem_tEEUlT_E_NS1_11comp_targetILNS1_3genE10ELNS1_11target_archE1201ELNS1_3gpuE5ELNS1_3repE0EEENS1_30default_config_static_selectorELNS0_4arch9wavefront6targetE1EEEvSK_: ; @_ZN7rocprim17ROCPRIM_400000_NS6detail17trampoline_kernelINS0_14default_configENS1_37merge_sort_block_sort_config_selectorIsNS0_10empty_typeEEEZNS1_21merge_sort_block_sortIS3_N6thrust23THRUST_200600_302600_NS6detail15normal_iteratorINS9_10device_ptrIsEEEESE_PS5_SF_14custom_greaterIsEEE10hipError_tT0_T1_T2_T3_mRjT4_P12ihipStream_tbNS1_7vsmem_tEEUlT_E_NS1_11comp_targetILNS1_3genE10ELNS1_11target_archE1201ELNS1_3gpuE5ELNS1_3repE0EEENS1_30default_config_static_selectorELNS0_4arch9wavefront6targetE1EEEvSK_
; %bb.0:
	.section	.rodata,"a",@progbits
	.p2align	6, 0x0
	.amdhsa_kernel _ZN7rocprim17ROCPRIM_400000_NS6detail17trampoline_kernelINS0_14default_configENS1_37merge_sort_block_sort_config_selectorIsNS0_10empty_typeEEEZNS1_21merge_sort_block_sortIS3_N6thrust23THRUST_200600_302600_NS6detail15normal_iteratorINS9_10device_ptrIsEEEESE_PS5_SF_14custom_greaterIsEEE10hipError_tT0_T1_T2_T3_mRjT4_P12ihipStream_tbNS1_7vsmem_tEEUlT_E_NS1_11comp_targetILNS1_3genE10ELNS1_11target_archE1201ELNS1_3gpuE5ELNS1_3repE0EEENS1_30default_config_static_selectorELNS0_4arch9wavefront6targetE1EEEvSK_
		.amdhsa_group_segment_fixed_size 0
		.amdhsa_private_segment_fixed_size 0
		.amdhsa_kernarg_size 64
		.amdhsa_user_sgpr_count 6
		.amdhsa_user_sgpr_private_segment_buffer 1
		.amdhsa_user_sgpr_dispatch_ptr 0
		.amdhsa_user_sgpr_queue_ptr 0
		.amdhsa_user_sgpr_kernarg_segment_ptr 1
		.amdhsa_user_sgpr_dispatch_id 0
		.amdhsa_user_sgpr_flat_scratch_init 0
		.amdhsa_user_sgpr_kernarg_preload_length 0
		.amdhsa_user_sgpr_kernarg_preload_offset 0
		.amdhsa_user_sgpr_private_segment_size 0
		.amdhsa_uses_dynamic_stack 0
		.amdhsa_system_sgpr_private_segment_wavefront_offset 0
		.amdhsa_system_sgpr_workgroup_id_x 1
		.amdhsa_system_sgpr_workgroup_id_y 0
		.amdhsa_system_sgpr_workgroup_id_z 0
		.amdhsa_system_sgpr_workgroup_info 0
		.amdhsa_system_vgpr_workitem_id 0
		.amdhsa_next_free_vgpr 1
		.amdhsa_next_free_sgpr 0
		.amdhsa_accum_offset 4
		.amdhsa_reserve_vcc 0
		.amdhsa_reserve_flat_scratch 0
		.amdhsa_float_round_mode_32 0
		.amdhsa_float_round_mode_16_64 0
		.amdhsa_float_denorm_mode_32 3
		.amdhsa_float_denorm_mode_16_64 3
		.amdhsa_dx10_clamp 1
		.amdhsa_ieee_mode 1
		.amdhsa_fp16_overflow 0
		.amdhsa_tg_split 0
		.amdhsa_exception_fp_ieee_invalid_op 0
		.amdhsa_exception_fp_denorm_src 0
		.amdhsa_exception_fp_ieee_div_zero 0
		.amdhsa_exception_fp_ieee_overflow 0
		.amdhsa_exception_fp_ieee_underflow 0
		.amdhsa_exception_fp_ieee_inexact 0
		.amdhsa_exception_int_div_zero 0
	.end_amdhsa_kernel
	.section	.text._ZN7rocprim17ROCPRIM_400000_NS6detail17trampoline_kernelINS0_14default_configENS1_37merge_sort_block_sort_config_selectorIsNS0_10empty_typeEEEZNS1_21merge_sort_block_sortIS3_N6thrust23THRUST_200600_302600_NS6detail15normal_iteratorINS9_10device_ptrIsEEEESE_PS5_SF_14custom_greaterIsEEE10hipError_tT0_T1_T2_T3_mRjT4_P12ihipStream_tbNS1_7vsmem_tEEUlT_E_NS1_11comp_targetILNS1_3genE10ELNS1_11target_archE1201ELNS1_3gpuE5ELNS1_3repE0EEENS1_30default_config_static_selectorELNS0_4arch9wavefront6targetE1EEEvSK_,"axG",@progbits,_ZN7rocprim17ROCPRIM_400000_NS6detail17trampoline_kernelINS0_14default_configENS1_37merge_sort_block_sort_config_selectorIsNS0_10empty_typeEEEZNS1_21merge_sort_block_sortIS3_N6thrust23THRUST_200600_302600_NS6detail15normal_iteratorINS9_10device_ptrIsEEEESE_PS5_SF_14custom_greaterIsEEE10hipError_tT0_T1_T2_T3_mRjT4_P12ihipStream_tbNS1_7vsmem_tEEUlT_E_NS1_11comp_targetILNS1_3genE10ELNS1_11target_archE1201ELNS1_3gpuE5ELNS1_3repE0EEENS1_30default_config_static_selectorELNS0_4arch9wavefront6targetE1EEEvSK_,comdat
.Lfunc_end2933:
	.size	_ZN7rocprim17ROCPRIM_400000_NS6detail17trampoline_kernelINS0_14default_configENS1_37merge_sort_block_sort_config_selectorIsNS0_10empty_typeEEEZNS1_21merge_sort_block_sortIS3_N6thrust23THRUST_200600_302600_NS6detail15normal_iteratorINS9_10device_ptrIsEEEESE_PS5_SF_14custom_greaterIsEEE10hipError_tT0_T1_T2_T3_mRjT4_P12ihipStream_tbNS1_7vsmem_tEEUlT_E_NS1_11comp_targetILNS1_3genE10ELNS1_11target_archE1201ELNS1_3gpuE5ELNS1_3repE0EEENS1_30default_config_static_selectorELNS0_4arch9wavefront6targetE1EEEvSK_, .Lfunc_end2933-_ZN7rocprim17ROCPRIM_400000_NS6detail17trampoline_kernelINS0_14default_configENS1_37merge_sort_block_sort_config_selectorIsNS0_10empty_typeEEEZNS1_21merge_sort_block_sortIS3_N6thrust23THRUST_200600_302600_NS6detail15normal_iteratorINS9_10device_ptrIsEEEESE_PS5_SF_14custom_greaterIsEEE10hipError_tT0_T1_T2_T3_mRjT4_P12ihipStream_tbNS1_7vsmem_tEEUlT_E_NS1_11comp_targetILNS1_3genE10ELNS1_11target_archE1201ELNS1_3gpuE5ELNS1_3repE0EEENS1_30default_config_static_selectorELNS0_4arch9wavefront6targetE1EEEvSK_
                                        ; -- End function
	.section	.AMDGPU.csdata,"",@progbits
; Kernel info:
; codeLenInByte = 0
; NumSgprs: 4
; NumVgprs: 0
; NumAgprs: 0
; TotalNumVgprs: 0
; ScratchSize: 0
; MemoryBound: 0
; FloatMode: 240
; IeeeMode: 1
; LDSByteSize: 0 bytes/workgroup (compile time only)
; SGPRBlocks: 0
; VGPRBlocks: 0
; NumSGPRsForWavesPerEU: 4
; NumVGPRsForWavesPerEU: 1
; AccumOffset: 4
; Occupancy: 8
; WaveLimiterHint : 0
; COMPUTE_PGM_RSRC2:SCRATCH_EN: 0
; COMPUTE_PGM_RSRC2:USER_SGPR: 6
; COMPUTE_PGM_RSRC2:TRAP_HANDLER: 0
; COMPUTE_PGM_RSRC2:TGID_X_EN: 1
; COMPUTE_PGM_RSRC2:TGID_Y_EN: 0
; COMPUTE_PGM_RSRC2:TGID_Z_EN: 0
; COMPUTE_PGM_RSRC2:TIDIG_COMP_CNT: 0
; COMPUTE_PGM_RSRC3_GFX90A:ACCUM_OFFSET: 0
; COMPUTE_PGM_RSRC3_GFX90A:TG_SPLIT: 0
	.section	.text._ZN7rocprim17ROCPRIM_400000_NS6detail17trampoline_kernelINS0_14default_configENS1_37merge_sort_block_sort_config_selectorIsNS0_10empty_typeEEEZNS1_21merge_sort_block_sortIS3_N6thrust23THRUST_200600_302600_NS6detail15normal_iteratorINS9_10device_ptrIsEEEESE_PS5_SF_14custom_greaterIsEEE10hipError_tT0_T1_T2_T3_mRjT4_P12ihipStream_tbNS1_7vsmem_tEEUlT_E_NS1_11comp_targetILNS1_3genE10ELNS1_11target_archE1200ELNS1_3gpuE4ELNS1_3repE0EEENS1_30default_config_static_selectorELNS0_4arch9wavefront6targetE1EEEvSK_,"axG",@progbits,_ZN7rocprim17ROCPRIM_400000_NS6detail17trampoline_kernelINS0_14default_configENS1_37merge_sort_block_sort_config_selectorIsNS0_10empty_typeEEEZNS1_21merge_sort_block_sortIS3_N6thrust23THRUST_200600_302600_NS6detail15normal_iteratorINS9_10device_ptrIsEEEESE_PS5_SF_14custom_greaterIsEEE10hipError_tT0_T1_T2_T3_mRjT4_P12ihipStream_tbNS1_7vsmem_tEEUlT_E_NS1_11comp_targetILNS1_3genE10ELNS1_11target_archE1200ELNS1_3gpuE4ELNS1_3repE0EEENS1_30default_config_static_selectorELNS0_4arch9wavefront6targetE1EEEvSK_,comdat
	.protected	_ZN7rocprim17ROCPRIM_400000_NS6detail17trampoline_kernelINS0_14default_configENS1_37merge_sort_block_sort_config_selectorIsNS0_10empty_typeEEEZNS1_21merge_sort_block_sortIS3_N6thrust23THRUST_200600_302600_NS6detail15normal_iteratorINS9_10device_ptrIsEEEESE_PS5_SF_14custom_greaterIsEEE10hipError_tT0_T1_T2_T3_mRjT4_P12ihipStream_tbNS1_7vsmem_tEEUlT_E_NS1_11comp_targetILNS1_3genE10ELNS1_11target_archE1200ELNS1_3gpuE4ELNS1_3repE0EEENS1_30default_config_static_selectorELNS0_4arch9wavefront6targetE1EEEvSK_ ; -- Begin function _ZN7rocprim17ROCPRIM_400000_NS6detail17trampoline_kernelINS0_14default_configENS1_37merge_sort_block_sort_config_selectorIsNS0_10empty_typeEEEZNS1_21merge_sort_block_sortIS3_N6thrust23THRUST_200600_302600_NS6detail15normal_iteratorINS9_10device_ptrIsEEEESE_PS5_SF_14custom_greaterIsEEE10hipError_tT0_T1_T2_T3_mRjT4_P12ihipStream_tbNS1_7vsmem_tEEUlT_E_NS1_11comp_targetILNS1_3genE10ELNS1_11target_archE1200ELNS1_3gpuE4ELNS1_3repE0EEENS1_30default_config_static_selectorELNS0_4arch9wavefront6targetE1EEEvSK_
	.globl	_ZN7rocprim17ROCPRIM_400000_NS6detail17trampoline_kernelINS0_14default_configENS1_37merge_sort_block_sort_config_selectorIsNS0_10empty_typeEEEZNS1_21merge_sort_block_sortIS3_N6thrust23THRUST_200600_302600_NS6detail15normal_iteratorINS9_10device_ptrIsEEEESE_PS5_SF_14custom_greaterIsEEE10hipError_tT0_T1_T2_T3_mRjT4_P12ihipStream_tbNS1_7vsmem_tEEUlT_E_NS1_11comp_targetILNS1_3genE10ELNS1_11target_archE1200ELNS1_3gpuE4ELNS1_3repE0EEENS1_30default_config_static_selectorELNS0_4arch9wavefront6targetE1EEEvSK_
	.p2align	8
	.type	_ZN7rocprim17ROCPRIM_400000_NS6detail17trampoline_kernelINS0_14default_configENS1_37merge_sort_block_sort_config_selectorIsNS0_10empty_typeEEEZNS1_21merge_sort_block_sortIS3_N6thrust23THRUST_200600_302600_NS6detail15normal_iteratorINS9_10device_ptrIsEEEESE_PS5_SF_14custom_greaterIsEEE10hipError_tT0_T1_T2_T3_mRjT4_P12ihipStream_tbNS1_7vsmem_tEEUlT_E_NS1_11comp_targetILNS1_3genE10ELNS1_11target_archE1200ELNS1_3gpuE4ELNS1_3repE0EEENS1_30default_config_static_selectorELNS0_4arch9wavefront6targetE1EEEvSK_,@function
_ZN7rocprim17ROCPRIM_400000_NS6detail17trampoline_kernelINS0_14default_configENS1_37merge_sort_block_sort_config_selectorIsNS0_10empty_typeEEEZNS1_21merge_sort_block_sortIS3_N6thrust23THRUST_200600_302600_NS6detail15normal_iteratorINS9_10device_ptrIsEEEESE_PS5_SF_14custom_greaterIsEEE10hipError_tT0_T1_T2_T3_mRjT4_P12ihipStream_tbNS1_7vsmem_tEEUlT_E_NS1_11comp_targetILNS1_3genE10ELNS1_11target_archE1200ELNS1_3gpuE4ELNS1_3repE0EEENS1_30default_config_static_selectorELNS0_4arch9wavefront6targetE1EEEvSK_: ; @_ZN7rocprim17ROCPRIM_400000_NS6detail17trampoline_kernelINS0_14default_configENS1_37merge_sort_block_sort_config_selectorIsNS0_10empty_typeEEEZNS1_21merge_sort_block_sortIS3_N6thrust23THRUST_200600_302600_NS6detail15normal_iteratorINS9_10device_ptrIsEEEESE_PS5_SF_14custom_greaterIsEEE10hipError_tT0_T1_T2_T3_mRjT4_P12ihipStream_tbNS1_7vsmem_tEEUlT_E_NS1_11comp_targetILNS1_3genE10ELNS1_11target_archE1200ELNS1_3gpuE4ELNS1_3repE0EEENS1_30default_config_static_selectorELNS0_4arch9wavefront6targetE1EEEvSK_
; %bb.0:
	.section	.rodata,"a",@progbits
	.p2align	6, 0x0
	.amdhsa_kernel _ZN7rocprim17ROCPRIM_400000_NS6detail17trampoline_kernelINS0_14default_configENS1_37merge_sort_block_sort_config_selectorIsNS0_10empty_typeEEEZNS1_21merge_sort_block_sortIS3_N6thrust23THRUST_200600_302600_NS6detail15normal_iteratorINS9_10device_ptrIsEEEESE_PS5_SF_14custom_greaterIsEEE10hipError_tT0_T1_T2_T3_mRjT4_P12ihipStream_tbNS1_7vsmem_tEEUlT_E_NS1_11comp_targetILNS1_3genE10ELNS1_11target_archE1200ELNS1_3gpuE4ELNS1_3repE0EEENS1_30default_config_static_selectorELNS0_4arch9wavefront6targetE1EEEvSK_
		.amdhsa_group_segment_fixed_size 0
		.amdhsa_private_segment_fixed_size 0
		.amdhsa_kernarg_size 64
		.amdhsa_user_sgpr_count 6
		.amdhsa_user_sgpr_private_segment_buffer 1
		.amdhsa_user_sgpr_dispatch_ptr 0
		.amdhsa_user_sgpr_queue_ptr 0
		.amdhsa_user_sgpr_kernarg_segment_ptr 1
		.amdhsa_user_sgpr_dispatch_id 0
		.amdhsa_user_sgpr_flat_scratch_init 0
		.amdhsa_user_sgpr_kernarg_preload_length 0
		.amdhsa_user_sgpr_kernarg_preload_offset 0
		.amdhsa_user_sgpr_private_segment_size 0
		.amdhsa_uses_dynamic_stack 0
		.amdhsa_system_sgpr_private_segment_wavefront_offset 0
		.amdhsa_system_sgpr_workgroup_id_x 1
		.amdhsa_system_sgpr_workgroup_id_y 0
		.amdhsa_system_sgpr_workgroup_id_z 0
		.amdhsa_system_sgpr_workgroup_info 0
		.amdhsa_system_vgpr_workitem_id 0
		.amdhsa_next_free_vgpr 1
		.amdhsa_next_free_sgpr 0
		.amdhsa_accum_offset 4
		.amdhsa_reserve_vcc 0
		.amdhsa_reserve_flat_scratch 0
		.amdhsa_float_round_mode_32 0
		.amdhsa_float_round_mode_16_64 0
		.amdhsa_float_denorm_mode_32 3
		.amdhsa_float_denorm_mode_16_64 3
		.amdhsa_dx10_clamp 1
		.amdhsa_ieee_mode 1
		.amdhsa_fp16_overflow 0
		.amdhsa_tg_split 0
		.amdhsa_exception_fp_ieee_invalid_op 0
		.amdhsa_exception_fp_denorm_src 0
		.amdhsa_exception_fp_ieee_div_zero 0
		.amdhsa_exception_fp_ieee_overflow 0
		.amdhsa_exception_fp_ieee_underflow 0
		.amdhsa_exception_fp_ieee_inexact 0
		.amdhsa_exception_int_div_zero 0
	.end_amdhsa_kernel
	.section	.text._ZN7rocprim17ROCPRIM_400000_NS6detail17trampoline_kernelINS0_14default_configENS1_37merge_sort_block_sort_config_selectorIsNS0_10empty_typeEEEZNS1_21merge_sort_block_sortIS3_N6thrust23THRUST_200600_302600_NS6detail15normal_iteratorINS9_10device_ptrIsEEEESE_PS5_SF_14custom_greaterIsEEE10hipError_tT0_T1_T2_T3_mRjT4_P12ihipStream_tbNS1_7vsmem_tEEUlT_E_NS1_11comp_targetILNS1_3genE10ELNS1_11target_archE1200ELNS1_3gpuE4ELNS1_3repE0EEENS1_30default_config_static_selectorELNS0_4arch9wavefront6targetE1EEEvSK_,"axG",@progbits,_ZN7rocprim17ROCPRIM_400000_NS6detail17trampoline_kernelINS0_14default_configENS1_37merge_sort_block_sort_config_selectorIsNS0_10empty_typeEEEZNS1_21merge_sort_block_sortIS3_N6thrust23THRUST_200600_302600_NS6detail15normal_iteratorINS9_10device_ptrIsEEEESE_PS5_SF_14custom_greaterIsEEE10hipError_tT0_T1_T2_T3_mRjT4_P12ihipStream_tbNS1_7vsmem_tEEUlT_E_NS1_11comp_targetILNS1_3genE10ELNS1_11target_archE1200ELNS1_3gpuE4ELNS1_3repE0EEENS1_30default_config_static_selectorELNS0_4arch9wavefront6targetE1EEEvSK_,comdat
.Lfunc_end2934:
	.size	_ZN7rocprim17ROCPRIM_400000_NS6detail17trampoline_kernelINS0_14default_configENS1_37merge_sort_block_sort_config_selectorIsNS0_10empty_typeEEEZNS1_21merge_sort_block_sortIS3_N6thrust23THRUST_200600_302600_NS6detail15normal_iteratorINS9_10device_ptrIsEEEESE_PS5_SF_14custom_greaterIsEEE10hipError_tT0_T1_T2_T3_mRjT4_P12ihipStream_tbNS1_7vsmem_tEEUlT_E_NS1_11comp_targetILNS1_3genE10ELNS1_11target_archE1200ELNS1_3gpuE4ELNS1_3repE0EEENS1_30default_config_static_selectorELNS0_4arch9wavefront6targetE1EEEvSK_, .Lfunc_end2934-_ZN7rocprim17ROCPRIM_400000_NS6detail17trampoline_kernelINS0_14default_configENS1_37merge_sort_block_sort_config_selectorIsNS0_10empty_typeEEEZNS1_21merge_sort_block_sortIS3_N6thrust23THRUST_200600_302600_NS6detail15normal_iteratorINS9_10device_ptrIsEEEESE_PS5_SF_14custom_greaterIsEEE10hipError_tT0_T1_T2_T3_mRjT4_P12ihipStream_tbNS1_7vsmem_tEEUlT_E_NS1_11comp_targetILNS1_3genE10ELNS1_11target_archE1200ELNS1_3gpuE4ELNS1_3repE0EEENS1_30default_config_static_selectorELNS0_4arch9wavefront6targetE1EEEvSK_
                                        ; -- End function
	.section	.AMDGPU.csdata,"",@progbits
; Kernel info:
; codeLenInByte = 0
; NumSgprs: 4
; NumVgprs: 0
; NumAgprs: 0
; TotalNumVgprs: 0
; ScratchSize: 0
; MemoryBound: 0
; FloatMode: 240
; IeeeMode: 1
; LDSByteSize: 0 bytes/workgroup (compile time only)
; SGPRBlocks: 0
; VGPRBlocks: 0
; NumSGPRsForWavesPerEU: 4
; NumVGPRsForWavesPerEU: 1
; AccumOffset: 4
; Occupancy: 8
; WaveLimiterHint : 0
; COMPUTE_PGM_RSRC2:SCRATCH_EN: 0
; COMPUTE_PGM_RSRC2:USER_SGPR: 6
; COMPUTE_PGM_RSRC2:TRAP_HANDLER: 0
; COMPUTE_PGM_RSRC2:TGID_X_EN: 1
; COMPUTE_PGM_RSRC2:TGID_Y_EN: 0
; COMPUTE_PGM_RSRC2:TGID_Z_EN: 0
; COMPUTE_PGM_RSRC2:TIDIG_COMP_CNT: 0
; COMPUTE_PGM_RSRC3_GFX90A:ACCUM_OFFSET: 0
; COMPUTE_PGM_RSRC3_GFX90A:TG_SPLIT: 0
	.section	.text._ZN7rocprim17ROCPRIM_400000_NS6detail17trampoline_kernelINS0_14default_configENS1_37merge_sort_block_sort_config_selectorIsNS0_10empty_typeEEEZNS1_21merge_sort_block_sortIS3_N6thrust23THRUST_200600_302600_NS6detail15normal_iteratorINS9_10device_ptrIsEEEESE_PS5_SF_14custom_greaterIsEEE10hipError_tT0_T1_T2_T3_mRjT4_P12ihipStream_tbNS1_7vsmem_tEEUlT_E_NS1_11comp_targetILNS1_3genE9ELNS1_11target_archE1100ELNS1_3gpuE3ELNS1_3repE0EEENS1_30default_config_static_selectorELNS0_4arch9wavefront6targetE1EEEvSK_,"axG",@progbits,_ZN7rocprim17ROCPRIM_400000_NS6detail17trampoline_kernelINS0_14default_configENS1_37merge_sort_block_sort_config_selectorIsNS0_10empty_typeEEEZNS1_21merge_sort_block_sortIS3_N6thrust23THRUST_200600_302600_NS6detail15normal_iteratorINS9_10device_ptrIsEEEESE_PS5_SF_14custom_greaterIsEEE10hipError_tT0_T1_T2_T3_mRjT4_P12ihipStream_tbNS1_7vsmem_tEEUlT_E_NS1_11comp_targetILNS1_3genE9ELNS1_11target_archE1100ELNS1_3gpuE3ELNS1_3repE0EEENS1_30default_config_static_selectorELNS0_4arch9wavefront6targetE1EEEvSK_,comdat
	.protected	_ZN7rocprim17ROCPRIM_400000_NS6detail17trampoline_kernelINS0_14default_configENS1_37merge_sort_block_sort_config_selectorIsNS0_10empty_typeEEEZNS1_21merge_sort_block_sortIS3_N6thrust23THRUST_200600_302600_NS6detail15normal_iteratorINS9_10device_ptrIsEEEESE_PS5_SF_14custom_greaterIsEEE10hipError_tT0_T1_T2_T3_mRjT4_P12ihipStream_tbNS1_7vsmem_tEEUlT_E_NS1_11comp_targetILNS1_3genE9ELNS1_11target_archE1100ELNS1_3gpuE3ELNS1_3repE0EEENS1_30default_config_static_selectorELNS0_4arch9wavefront6targetE1EEEvSK_ ; -- Begin function _ZN7rocprim17ROCPRIM_400000_NS6detail17trampoline_kernelINS0_14default_configENS1_37merge_sort_block_sort_config_selectorIsNS0_10empty_typeEEEZNS1_21merge_sort_block_sortIS3_N6thrust23THRUST_200600_302600_NS6detail15normal_iteratorINS9_10device_ptrIsEEEESE_PS5_SF_14custom_greaterIsEEE10hipError_tT0_T1_T2_T3_mRjT4_P12ihipStream_tbNS1_7vsmem_tEEUlT_E_NS1_11comp_targetILNS1_3genE9ELNS1_11target_archE1100ELNS1_3gpuE3ELNS1_3repE0EEENS1_30default_config_static_selectorELNS0_4arch9wavefront6targetE1EEEvSK_
	.globl	_ZN7rocprim17ROCPRIM_400000_NS6detail17trampoline_kernelINS0_14default_configENS1_37merge_sort_block_sort_config_selectorIsNS0_10empty_typeEEEZNS1_21merge_sort_block_sortIS3_N6thrust23THRUST_200600_302600_NS6detail15normal_iteratorINS9_10device_ptrIsEEEESE_PS5_SF_14custom_greaterIsEEE10hipError_tT0_T1_T2_T3_mRjT4_P12ihipStream_tbNS1_7vsmem_tEEUlT_E_NS1_11comp_targetILNS1_3genE9ELNS1_11target_archE1100ELNS1_3gpuE3ELNS1_3repE0EEENS1_30default_config_static_selectorELNS0_4arch9wavefront6targetE1EEEvSK_
	.p2align	8
	.type	_ZN7rocprim17ROCPRIM_400000_NS6detail17trampoline_kernelINS0_14default_configENS1_37merge_sort_block_sort_config_selectorIsNS0_10empty_typeEEEZNS1_21merge_sort_block_sortIS3_N6thrust23THRUST_200600_302600_NS6detail15normal_iteratorINS9_10device_ptrIsEEEESE_PS5_SF_14custom_greaterIsEEE10hipError_tT0_T1_T2_T3_mRjT4_P12ihipStream_tbNS1_7vsmem_tEEUlT_E_NS1_11comp_targetILNS1_3genE9ELNS1_11target_archE1100ELNS1_3gpuE3ELNS1_3repE0EEENS1_30default_config_static_selectorELNS0_4arch9wavefront6targetE1EEEvSK_,@function
_ZN7rocprim17ROCPRIM_400000_NS6detail17trampoline_kernelINS0_14default_configENS1_37merge_sort_block_sort_config_selectorIsNS0_10empty_typeEEEZNS1_21merge_sort_block_sortIS3_N6thrust23THRUST_200600_302600_NS6detail15normal_iteratorINS9_10device_ptrIsEEEESE_PS5_SF_14custom_greaterIsEEE10hipError_tT0_T1_T2_T3_mRjT4_P12ihipStream_tbNS1_7vsmem_tEEUlT_E_NS1_11comp_targetILNS1_3genE9ELNS1_11target_archE1100ELNS1_3gpuE3ELNS1_3repE0EEENS1_30default_config_static_selectorELNS0_4arch9wavefront6targetE1EEEvSK_: ; @_ZN7rocprim17ROCPRIM_400000_NS6detail17trampoline_kernelINS0_14default_configENS1_37merge_sort_block_sort_config_selectorIsNS0_10empty_typeEEEZNS1_21merge_sort_block_sortIS3_N6thrust23THRUST_200600_302600_NS6detail15normal_iteratorINS9_10device_ptrIsEEEESE_PS5_SF_14custom_greaterIsEEE10hipError_tT0_T1_T2_T3_mRjT4_P12ihipStream_tbNS1_7vsmem_tEEUlT_E_NS1_11comp_targetILNS1_3genE9ELNS1_11target_archE1100ELNS1_3gpuE3ELNS1_3repE0EEENS1_30default_config_static_selectorELNS0_4arch9wavefront6targetE1EEEvSK_
; %bb.0:
	.section	.rodata,"a",@progbits
	.p2align	6, 0x0
	.amdhsa_kernel _ZN7rocprim17ROCPRIM_400000_NS6detail17trampoline_kernelINS0_14default_configENS1_37merge_sort_block_sort_config_selectorIsNS0_10empty_typeEEEZNS1_21merge_sort_block_sortIS3_N6thrust23THRUST_200600_302600_NS6detail15normal_iteratorINS9_10device_ptrIsEEEESE_PS5_SF_14custom_greaterIsEEE10hipError_tT0_T1_T2_T3_mRjT4_P12ihipStream_tbNS1_7vsmem_tEEUlT_E_NS1_11comp_targetILNS1_3genE9ELNS1_11target_archE1100ELNS1_3gpuE3ELNS1_3repE0EEENS1_30default_config_static_selectorELNS0_4arch9wavefront6targetE1EEEvSK_
		.amdhsa_group_segment_fixed_size 0
		.amdhsa_private_segment_fixed_size 0
		.amdhsa_kernarg_size 64
		.amdhsa_user_sgpr_count 6
		.amdhsa_user_sgpr_private_segment_buffer 1
		.amdhsa_user_sgpr_dispatch_ptr 0
		.amdhsa_user_sgpr_queue_ptr 0
		.amdhsa_user_sgpr_kernarg_segment_ptr 1
		.amdhsa_user_sgpr_dispatch_id 0
		.amdhsa_user_sgpr_flat_scratch_init 0
		.amdhsa_user_sgpr_kernarg_preload_length 0
		.amdhsa_user_sgpr_kernarg_preload_offset 0
		.amdhsa_user_sgpr_private_segment_size 0
		.amdhsa_uses_dynamic_stack 0
		.amdhsa_system_sgpr_private_segment_wavefront_offset 0
		.amdhsa_system_sgpr_workgroup_id_x 1
		.amdhsa_system_sgpr_workgroup_id_y 0
		.amdhsa_system_sgpr_workgroup_id_z 0
		.amdhsa_system_sgpr_workgroup_info 0
		.amdhsa_system_vgpr_workitem_id 0
		.amdhsa_next_free_vgpr 1
		.amdhsa_next_free_sgpr 0
		.amdhsa_accum_offset 4
		.amdhsa_reserve_vcc 0
		.amdhsa_reserve_flat_scratch 0
		.amdhsa_float_round_mode_32 0
		.amdhsa_float_round_mode_16_64 0
		.amdhsa_float_denorm_mode_32 3
		.amdhsa_float_denorm_mode_16_64 3
		.amdhsa_dx10_clamp 1
		.amdhsa_ieee_mode 1
		.amdhsa_fp16_overflow 0
		.amdhsa_tg_split 0
		.amdhsa_exception_fp_ieee_invalid_op 0
		.amdhsa_exception_fp_denorm_src 0
		.amdhsa_exception_fp_ieee_div_zero 0
		.amdhsa_exception_fp_ieee_overflow 0
		.amdhsa_exception_fp_ieee_underflow 0
		.amdhsa_exception_fp_ieee_inexact 0
		.amdhsa_exception_int_div_zero 0
	.end_amdhsa_kernel
	.section	.text._ZN7rocprim17ROCPRIM_400000_NS6detail17trampoline_kernelINS0_14default_configENS1_37merge_sort_block_sort_config_selectorIsNS0_10empty_typeEEEZNS1_21merge_sort_block_sortIS3_N6thrust23THRUST_200600_302600_NS6detail15normal_iteratorINS9_10device_ptrIsEEEESE_PS5_SF_14custom_greaterIsEEE10hipError_tT0_T1_T2_T3_mRjT4_P12ihipStream_tbNS1_7vsmem_tEEUlT_E_NS1_11comp_targetILNS1_3genE9ELNS1_11target_archE1100ELNS1_3gpuE3ELNS1_3repE0EEENS1_30default_config_static_selectorELNS0_4arch9wavefront6targetE1EEEvSK_,"axG",@progbits,_ZN7rocprim17ROCPRIM_400000_NS6detail17trampoline_kernelINS0_14default_configENS1_37merge_sort_block_sort_config_selectorIsNS0_10empty_typeEEEZNS1_21merge_sort_block_sortIS3_N6thrust23THRUST_200600_302600_NS6detail15normal_iteratorINS9_10device_ptrIsEEEESE_PS5_SF_14custom_greaterIsEEE10hipError_tT0_T1_T2_T3_mRjT4_P12ihipStream_tbNS1_7vsmem_tEEUlT_E_NS1_11comp_targetILNS1_3genE9ELNS1_11target_archE1100ELNS1_3gpuE3ELNS1_3repE0EEENS1_30default_config_static_selectorELNS0_4arch9wavefront6targetE1EEEvSK_,comdat
.Lfunc_end2935:
	.size	_ZN7rocprim17ROCPRIM_400000_NS6detail17trampoline_kernelINS0_14default_configENS1_37merge_sort_block_sort_config_selectorIsNS0_10empty_typeEEEZNS1_21merge_sort_block_sortIS3_N6thrust23THRUST_200600_302600_NS6detail15normal_iteratorINS9_10device_ptrIsEEEESE_PS5_SF_14custom_greaterIsEEE10hipError_tT0_T1_T2_T3_mRjT4_P12ihipStream_tbNS1_7vsmem_tEEUlT_E_NS1_11comp_targetILNS1_3genE9ELNS1_11target_archE1100ELNS1_3gpuE3ELNS1_3repE0EEENS1_30default_config_static_selectorELNS0_4arch9wavefront6targetE1EEEvSK_, .Lfunc_end2935-_ZN7rocprim17ROCPRIM_400000_NS6detail17trampoline_kernelINS0_14default_configENS1_37merge_sort_block_sort_config_selectorIsNS0_10empty_typeEEEZNS1_21merge_sort_block_sortIS3_N6thrust23THRUST_200600_302600_NS6detail15normal_iteratorINS9_10device_ptrIsEEEESE_PS5_SF_14custom_greaterIsEEE10hipError_tT0_T1_T2_T3_mRjT4_P12ihipStream_tbNS1_7vsmem_tEEUlT_E_NS1_11comp_targetILNS1_3genE9ELNS1_11target_archE1100ELNS1_3gpuE3ELNS1_3repE0EEENS1_30default_config_static_selectorELNS0_4arch9wavefront6targetE1EEEvSK_
                                        ; -- End function
	.section	.AMDGPU.csdata,"",@progbits
; Kernel info:
; codeLenInByte = 0
; NumSgprs: 4
; NumVgprs: 0
; NumAgprs: 0
; TotalNumVgprs: 0
; ScratchSize: 0
; MemoryBound: 0
; FloatMode: 240
; IeeeMode: 1
; LDSByteSize: 0 bytes/workgroup (compile time only)
; SGPRBlocks: 0
; VGPRBlocks: 0
; NumSGPRsForWavesPerEU: 4
; NumVGPRsForWavesPerEU: 1
; AccumOffset: 4
; Occupancy: 8
; WaveLimiterHint : 0
; COMPUTE_PGM_RSRC2:SCRATCH_EN: 0
; COMPUTE_PGM_RSRC2:USER_SGPR: 6
; COMPUTE_PGM_RSRC2:TRAP_HANDLER: 0
; COMPUTE_PGM_RSRC2:TGID_X_EN: 1
; COMPUTE_PGM_RSRC2:TGID_Y_EN: 0
; COMPUTE_PGM_RSRC2:TGID_Z_EN: 0
; COMPUTE_PGM_RSRC2:TIDIG_COMP_CNT: 0
; COMPUTE_PGM_RSRC3_GFX90A:ACCUM_OFFSET: 0
; COMPUTE_PGM_RSRC3_GFX90A:TG_SPLIT: 0
	.section	.text._ZN7rocprim17ROCPRIM_400000_NS6detail17trampoline_kernelINS0_14default_configENS1_37merge_sort_block_sort_config_selectorIsNS0_10empty_typeEEEZNS1_21merge_sort_block_sortIS3_N6thrust23THRUST_200600_302600_NS6detail15normal_iteratorINS9_10device_ptrIsEEEESE_PS5_SF_14custom_greaterIsEEE10hipError_tT0_T1_T2_T3_mRjT4_P12ihipStream_tbNS1_7vsmem_tEEUlT_E_NS1_11comp_targetILNS1_3genE8ELNS1_11target_archE1030ELNS1_3gpuE2ELNS1_3repE0EEENS1_30default_config_static_selectorELNS0_4arch9wavefront6targetE1EEEvSK_,"axG",@progbits,_ZN7rocprim17ROCPRIM_400000_NS6detail17trampoline_kernelINS0_14default_configENS1_37merge_sort_block_sort_config_selectorIsNS0_10empty_typeEEEZNS1_21merge_sort_block_sortIS3_N6thrust23THRUST_200600_302600_NS6detail15normal_iteratorINS9_10device_ptrIsEEEESE_PS5_SF_14custom_greaterIsEEE10hipError_tT0_T1_T2_T3_mRjT4_P12ihipStream_tbNS1_7vsmem_tEEUlT_E_NS1_11comp_targetILNS1_3genE8ELNS1_11target_archE1030ELNS1_3gpuE2ELNS1_3repE0EEENS1_30default_config_static_selectorELNS0_4arch9wavefront6targetE1EEEvSK_,comdat
	.protected	_ZN7rocprim17ROCPRIM_400000_NS6detail17trampoline_kernelINS0_14default_configENS1_37merge_sort_block_sort_config_selectorIsNS0_10empty_typeEEEZNS1_21merge_sort_block_sortIS3_N6thrust23THRUST_200600_302600_NS6detail15normal_iteratorINS9_10device_ptrIsEEEESE_PS5_SF_14custom_greaterIsEEE10hipError_tT0_T1_T2_T3_mRjT4_P12ihipStream_tbNS1_7vsmem_tEEUlT_E_NS1_11comp_targetILNS1_3genE8ELNS1_11target_archE1030ELNS1_3gpuE2ELNS1_3repE0EEENS1_30default_config_static_selectorELNS0_4arch9wavefront6targetE1EEEvSK_ ; -- Begin function _ZN7rocprim17ROCPRIM_400000_NS6detail17trampoline_kernelINS0_14default_configENS1_37merge_sort_block_sort_config_selectorIsNS0_10empty_typeEEEZNS1_21merge_sort_block_sortIS3_N6thrust23THRUST_200600_302600_NS6detail15normal_iteratorINS9_10device_ptrIsEEEESE_PS5_SF_14custom_greaterIsEEE10hipError_tT0_T1_T2_T3_mRjT4_P12ihipStream_tbNS1_7vsmem_tEEUlT_E_NS1_11comp_targetILNS1_3genE8ELNS1_11target_archE1030ELNS1_3gpuE2ELNS1_3repE0EEENS1_30default_config_static_selectorELNS0_4arch9wavefront6targetE1EEEvSK_
	.globl	_ZN7rocprim17ROCPRIM_400000_NS6detail17trampoline_kernelINS0_14default_configENS1_37merge_sort_block_sort_config_selectorIsNS0_10empty_typeEEEZNS1_21merge_sort_block_sortIS3_N6thrust23THRUST_200600_302600_NS6detail15normal_iteratorINS9_10device_ptrIsEEEESE_PS5_SF_14custom_greaterIsEEE10hipError_tT0_T1_T2_T3_mRjT4_P12ihipStream_tbNS1_7vsmem_tEEUlT_E_NS1_11comp_targetILNS1_3genE8ELNS1_11target_archE1030ELNS1_3gpuE2ELNS1_3repE0EEENS1_30default_config_static_selectorELNS0_4arch9wavefront6targetE1EEEvSK_
	.p2align	8
	.type	_ZN7rocprim17ROCPRIM_400000_NS6detail17trampoline_kernelINS0_14default_configENS1_37merge_sort_block_sort_config_selectorIsNS0_10empty_typeEEEZNS1_21merge_sort_block_sortIS3_N6thrust23THRUST_200600_302600_NS6detail15normal_iteratorINS9_10device_ptrIsEEEESE_PS5_SF_14custom_greaterIsEEE10hipError_tT0_T1_T2_T3_mRjT4_P12ihipStream_tbNS1_7vsmem_tEEUlT_E_NS1_11comp_targetILNS1_3genE8ELNS1_11target_archE1030ELNS1_3gpuE2ELNS1_3repE0EEENS1_30default_config_static_selectorELNS0_4arch9wavefront6targetE1EEEvSK_,@function
_ZN7rocprim17ROCPRIM_400000_NS6detail17trampoline_kernelINS0_14default_configENS1_37merge_sort_block_sort_config_selectorIsNS0_10empty_typeEEEZNS1_21merge_sort_block_sortIS3_N6thrust23THRUST_200600_302600_NS6detail15normal_iteratorINS9_10device_ptrIsEEEESE_PS5_SF_14custom_greaterIsEEE10hipError_tT0_T1_T2_T3_mRjT4_P12ihipStream_tbNS1_7vsmem_tEEUlT_E_NS1_11comp_targetILNS1_3genE8ELNS1_11target_archE1030ELNS1_3gpuE2ELNS1_3repE0EEENS1_30default_config_static_selectorELNS0_4arch9wavefront6targetE1EEEvSK_: ; @_ZN7rocprim17ROCPRIM_400000_NS6detail17trampoline_kernelINS0_14default_configENS1_37merge_sort_block_sort_config_selectorIsNS0_10empty_typeEEEZNS1_21merge_sort_block_sortIS3_N6thrust23THRUST_200600_302600_NS6detail15normal_iteratorINS9_10device_ptrIsEEEESE_PS5_SF_14custom_greaterIsEEE10hipError_tT0_T1_T2_T3_mRjT4_P12ihipStream_tbNS1_7vsmem_tEEUlT_E_NS1_11comp_targetILNS1_3genE8ELNS1_11target_archE1030ELNS1_3gpuE2ELNS1_3repE0EEENS1_30default_config_static_selectorELNS0_4arch9wavefront6targetE1EEEvSK_
; %bb.0:
	.section	.rodata,"a",@progbits
	.p2align	6, 0x0
	.amdhsa_kernel _ZN7rocprim17ROCPRIM_400000_NS6detail17trampoline_kernelINS0_14default_configENS1_37merge_sort_block_sort_config_selectorIsNS0_10empty_typeEEEZNS1_21merge_sort_block_sortIS3_N6thrust23THRUST_200600_302600_NS6detail15normal_iteratorINS9_10device_ptrIsEEEESE_PS5_SF_14custom_greaterIsEEE10hipError_tT0_T1_T2_T3_mRjT4_P12ihipStream_tbNS1_7vsmem_tEEUlT_E_NS1_11comp_targetILNS1_3genE8ELNS1_11target_archE1030ELNS1_3gpuE2ELNS1_3repE0EEENS1_30default_config_static_selectorELNS0_4arch9wavefront6targetE1EEEvSK_
		.amdhsa_group_segment_fixed_size 0
		.amdhsa_private_segment_fixed_size 0
		.amdhsa_kernarg_size 64
		.amdhsa_user_sgpr_count 6
		.amdhsa_user_sgpr_private_segment_buffer 1
		.amdhsa_user_sgpr_dispatch_ptr 0
		.amdhsa_user_sgpr_queue_ptr 0
		.amdhsa_user_sgpr_kernarg_segment_ptr 1
		.amdhsa_user_sgpr_dispatch_id 0
		.amdhsa_user_sgpr_flat_scratch_init 0
		.amdhsa_user_sgpr_kernarg_preload_length 0
		.amdhsa_user_sgpr_kernarg_preload_offset 0
		.amdhsa_user_sgpr_private_segment_size 0
		.amdhsa_uses_dynamic_stack 0
		.amdhsa_system_sgpr_private_segment_wavefront_offset 0
		.amdhsa_system_sgpr_workgroup_id_x 1
		.amdhsa_system_sgpr_workgroup_id_y 0
		.amdhsa_system_sgpr_workgroup_id_z 0
		.amdhsa_system_sgpr_workgroup_info 0
		.amdhsa_system_vgpr_workitem_id 0
		.amdhsa_next_free_vgpr 1
		.amdhsa_next_free_sgpr 0
		.amdhsa_accum_offset 4
		.amdhsa_reserve_vcc 0
		.amdhsa_reserve_flat_scratch 0
		.amdhsa_float_round_mode_32 0
		.amdhsa_float_round_mode_16_64 0
		.amdhsa_float_denorm_mode_32 3
		.amdhsa_float_denorm_mode_16_64 3
		.amdhsa_dx10_clamp 1
		.amdhsa_ieee_mode 1
		.amdhsa_fp16_overflow 0
		.amdhsa_tg_split 0
		.amdhsa_exception_fp_ieee_invalid_op 0
		.amdhsa_exception_fp_denorm_src 0
		.amdhsa_exception_fp_ieee_div_zero 0
		.amdhsa_exception_fp_ieee_overflow 0
		.amdhsa_exception_fp_ieee_underflow 0
		.amdhsa_exception_fp_ieee_inexact 0
		.amdhsa_exception_int_div_zero 0
	.end_amdhsa_kernel
	.section	.text._ZN7rocprim17ROCPRIM_400000_NS6detail17trampoline_kernelINS0_14default_configENS1_37merge_sort_block_sort_config_selectorIsNS0_10empty_typeEEEZNS1_21merge_sort_block_sortIS3_N6thrust23THRUST_200600_302600_NS6detail15normal_iteratorINS9_10device_ptrIsEEEESE_PS5_SF_14custom_greaterIsEEE10hipError_tT0_T1_T2_T3_mRjT4_P12ihipStream_tbNS1_7vsmem_tEEUlT_E_NS1_11comp_targetILNS1_3genE8ELNS1_11target_archE1030ELNS1_3gpuE2ELNS1_3repE0EEENS1_30default_config_static_selectorELNS0_4arch9wavefront6targetE1EEEvSK_,"axG",@progbits,_ZN7rocprim17ROCPRIM_400000_NS6detail17trampoline_kernelINS0_14default_configENS1_37merge_sort_block_sort_config_selectorIsNS0_10empty_typeEEEZNS1_21merge_sort_block_sortIS3_N6thrust23THRUST_200600_302600_NS6detail15normal_iteratorINS9_10device_ptrIsEEEESE_PS5_SF_14custom_greaterIsEEE10hipError_tT0_T1_T2_T3_mRjT4_P12ihipStream_tbNS1_7vsmem_tEEUlT_E_NS1_11comp_targetILNS1_3genE8ELNS1_11target_archE1030ELNS1_3gpuE2ELNS1_3repE0EEENS1_30default_config_static_selectorELNS0_4arch9wavefront6targetE1EEEvSK_,comdat
.Lfunc_end2936:
	.size	_ZN7rocprim17ROCPRIM_400000_NS6detail17trampoline_kernelINS0_14default_configENS1_37merge_sort_block_sort_config_selectorIsNS0_10empty_typeEEEZNS1_21merge_sort_block_sortIS3_N6thrust23THRUST_200600_302600_NS6detail15normal_iteratorINS9_10device_ptrIsEEEESE_PS5_SF_14custom_greaterIsEEE10hipError_tT0_T1_T2_T3_mRjT4_P12ihipStream_tbNS1_7vsmem_tEEUlT_E_NS1_11comp_targetILNS1_3genE8ELNS1_11target_archE1030ELNS1_3gpuE2ELNS1_3repE0EEENS1_30default_config_static_selectorELNS0_4arch9wavefront6targetE1EEEvSK_, .Lfunc_end2936-_ZN7rocprim17ROCPRIM_400000_NS6detail17trampoline_kernelINS0_14default_configENS1_37merge_sort_block_sort_config_selectorIsNS0_10empty_typeEEEZNS1_21merge_sort_block_sortIS3_N6thrust23THRUST_200600_302600_NS6detail15normal_iteratorINS9_10device_ptrIsEEEESE_PS5_SF_14custom_greaterIsEEE10hipError_tT0_T1_T2_T3_mRjT4_P12ihipStream_tbNS1_7vsmem_tEEUlT_E_NS1_11comp_targetILNS1_3genE8ELNS1_11target_archE1030ELNS1_3gpuE2ELNS1_3repE0EEENS1_30default_config_static_selectorELNS0_4arch9wavefront6targetE1EEEvSK_
                                        ; -- End function
	.section	.AMDGPU.csdata,"",@progbits
; Kernel info:
; codeLenInByte = 0
; NumSgprs: 4
; NumVgprs: 0
; NumAgprs: 0
; TotalNumVgprs: 0
; ScratchSize: 0
; MemoryBound: 0
; FloatMode: 240
; IeeeMode: 1
; LDSByteSize: 0 bytes/workgroup (compile time only)
; SGPRBlocks: 0
; VGPRBlocks: 0
; NumSGPRsForWavesPerEU: 4
; NumVGPRsForWavesPerEU: 1
; AccumOffset: 4
; Occupancy: 8
; WaveLimiterHint : 0
; COMPUTE_PGM_RSRC2:SCRATCH_EN: 0
; COMPUTE_PGM_RSRC2:USER_SGPR: 6
; COMPUTE_PGM_RSRC2:TRAP_HANDLER: 0
; COMPUTE_PGM_RSRC2:TGID_X_EN: 1
; COMPUTE_PGM_RSRC2:TGID_Y_EN: 0
; COMPUTE_PGM_RSRC2:TGID_Z_EN: 0
; COMPUTE_PGM_RSRC2:TIDIG_COMP_CNT: 0
; COMPUTE_PGM_RSRC3_GFX90A:ACCUM_OFFSET: 0
; COMPUTE_PGM_RSRC3_GFX90A:TG_SPLIT: 0
	.section	.text._ZN7rocprim17ROCPRIM_400000_NS6detail17trampoline_kernelINS0_14default_configENS1_38merge_sort_block_merge_config_selectorIsNS0_10empty_typeEEEZZNS1_27merge_sort_block_merge_implIS3_N6thrust23THRUST_200600_302600_NS6detail15normal_iteratorINS9_10device_ptrIsEEEEPS5_m14custom_greaterIsEEE10hipError_tT0_T1_T2_jT3_P12ihipStream_tbPNSt15iterator_traitsISJ_E10value_typeEPNSP_ISK_E10value_typeEPSL_NS1_7vsmem_tEENKUlT_SJ_SK_SL_E_clIPsSE_SF_SF_EESI_SY_SJ_SK_SL_EUlSY_E_NS1_11comp_targetILNS1_3genE0ELNS1_11target_archE4294967295ELNS1_3gpuE0ELNS1_3repE0EEENS1_48merge_mergepath_partition_config_static_selectorELNS0_4arch9wavefront6targetE1EEEvSK_,"axG",@progbits,_ZN7rocprim17ROCPRIM_400000_NS6detail17trampoline_kernelINS0_14default_configENS1_38merge_sort_block_merge_config_selectorIsNS0_10empty_typeEEEZZNS1_27merge_sort_block_merge_implIS3_N6thrust23THRUST_200600_302600_NS6detail15normal_iteratorINS9_10device_ptrIsEEEEPS5_m14custom_greaterIsEEE10hipError_tT0_T1_T2_jT3_P12ihipStream_tbPNSt15iterator_traitsISJ_E10value_typeEPNSP_ISK_E10value_typeEPSL_NS1_7vsmem_tEENKUlT_SJ_SK_SL_E_clIPsSE_SF_SF_EESI_SY_SJ_SK_SL_EUlSY_E_NS1_11comp_targetILNS1_3genE0ELNS1_11target_archE4294967295ELNS1_3gpuE0ELNS1_3repE0EEENS1_48merge_mergepath_partition_config_static_selectorELNS0_4arch9wavefront6targetE1EEEvSK_,comdat
	.protected	_ZN7rocprim17ROCPRIM_400000_NS6detail17trampoline_kernelINS0_14default_configENS1_38merge_sort_block_merge_config_selectorIsNS0_10empty_typeEEEZZNS1_27merge_sort_block_merge_implIS3_N6thrust23THRUST_200600_302600_NS6detail15normal_iteratorINS9_10device_ptrIsEEEEPS5_m14custom_greaterIsEEE10hipError_tT0_T1_T2_jT3_P12ihipStream_tbPNSt15iterator_traitsISJ_E10value_typeEPNSP_ISK_E10value_typeEPSL_NS1_7vsmem_tEENKUlT_SJ_SK_SL_E_clIPsSE_SF_SF_EESI_SY_SJ_SK_SL_EUlSY_E_NS1_11comp_targetILNS1_3genE0ELNS1_11target_archE4294967295ELNS1_3gpuE0ELNS1_3repE0EEENS1_48merge_mergepath_partition_config_static_selectorELNS0_4arch9wavefront6targetE1EEEvSK_ ; -- Begin function _ZN7rocprim17ROCPRIM_400000_NS6detail17trampoline_kernelINS0_14default_configENS1_38merge_sort_block_merge_config_selectorIsNS0_10empty_typeEEEZZNS1_27merge_sort_block_merge_implIS3_N6thrust23THRUST_200600_302600_NS6detail15normal_iteratorINS9_10device_ptrIsEEEEPS5_m14custom_greaterIsEEE10hipError_tT0_T1_T2_jT3_P12ihipStream_tbPNSt15iterator_traitsISJ_E10value_typeEPNSP_ISK_E10value_typeEPSL_NS1_7vsmem_tEENKUlT_SJ_SK_SL_E_clIPsSE_SF_SF_EESI_SY_SJ_SK_SL_EUlSY_E_NS1_11comp_targetILNS1_3genE0ELNS1_11target_archE4294967295ELNS1_3gpuE0ELNS1_3repE0EEENS1_48merge_mergepath_partition_config_static_selectorELNS0_4arch9wavefront6targetE1EEEvSK_
	.globl	_ZN7rocprim17ROCPRIM_400000_NS6detail17trampoline_kernelINS0_14default_configENS1_38merge_sort_block_merge_config_selectorIsNS0_10empty_typeEEEZZNS1_27merge_sort_block_merge_implIS3_N6thrust23THRUST_200600_302600_NS6detail15normal_iteratorINS9_10device_ptrIsEEEEPS5_m14custom_greaterIsEEE10hipError_tT0_T1_T2_jT3_P12ihipStream_tbPNSt15iterator_traitsISJ_E10value_typeEPNSP_ISK_E10value_typeEPSL_NS1_7vsmem_tEENKUlT_SJ_SK_SL_E_clIPsSE_SF_SF_EESI_SY_SJ_SK_SL_EUlSY_E_NS1_11comp_targetILNS1_3genE0ELNS1_11target_archE4294967295ELNS1_3gpuE0ELNS1_3repE0EEENS1_48merge_mergepath_partition_config_static_selectorELNS0_4arch9wavefront6targetE1EEEvSK_
	.p2align	8
	.type	_ZN7rocprim17ROCPRIM_400000_NS6detail17trampoline_kernelINS0_14default_configENS1_38merge_sort_block_merge_config_selectorIsNS0_10empty_typeEEEZZNS1_27merge_sort_block_merge_implIS3_N6thrust23THRUST_200600_302600_NS6detail15normal_iteratorINS9_10device_ptrIsEEEEPS5_m14custom_greaterIsEEE10hipError_tT0_T1_T2_jT3_P12ihipStream_tbPNSt15iterator_traitsISJ_E10value_typeEPNSP_ISK_E10value_typeEPSL_NS1_7vsmem_tEENKUlT_SJ_SK_SL_E_clIPsSE_SF_SF_EESI_SY_SJ_SK_SL_EUlSY_E_NS1_11comp_targetILNS1_3genE0ELNS1_11target_archE4294967295ELNS1_3gpuE0ELNS1_3repE0EEENS1_48merge_mergepath_partition_config_static_selectorELNS0_4arch9wavefront6targetE1EEEvSK_,@function
_ZN7rocprim17ROCPRIM_400000_NS6detail17trampoline_kernelINS0_14default_configENS1_38merge_sort_block_merge_config_selectorIsNS0_10empty_typeEEEZZNS1_27merge_sort_block_merge_implIS3_N6thrust23THRUST_200600_302600_NS6detail15normal_iteratorINS9_10device_ptrIsEEEEPS5_m14custom_greaterIsEEE10hipError_tT0_T1_T2_jT3_P12ihipStream_tbPNSt15iterator_traitsISJ_E10value_typeEPNSP_ISK_E10value_typeEPSL_NS1_7vsmem_tEENKUlT_SJ_SK_SL_E_clIPsSE_SF_SF_EESI_SY_SJ_SK_SL_EUlSY_E_NS1_11comp_targetILNS1_3genE0ELNS1_11target_archE4294967295ELNS1_3gpuE0ELNS1_3repE0EEENS1_48merge_mergepath_partition_config_static_selectorELNS0_4arch9wavefront6targetE1EEEvSK_: ; @_ZN7rocprim17ROCPRIM_400000_NS6detail17trampoline_kernelINS0_14default_configENS1_38merge_sort_block_merge_config_selectorIsNS0_10empty_typeEEEZZNS1_27merge_sort_block_merge_implIS3_N6thrust23THRUST_200600_302600_NS6detail15normal_iteratorINS9_10device_ptrIsEEEEPS5_m14custom_greaterIsEEE10hipError_tT0_T1_T2_jT3_P12ihipStream_tbPNSt15iterator_traitsISJ_E10value_typeEPNSP_ISK_E10value_typeEPSL_NS1_7vsmem_tEENKUlT_SJ_SK_SL_E_clIPsSE_SF_SF_EESI_SY_SJ_SK_SL_EUlSY_E_NS1_11comp_targetILNS1_3genE0ELNS1_11target_archE4294967295ELNS1_3gpuE0ELNS1_3repE0EEENS1_48merge_mergepath_partition_config_static_selectorELNS0_4arch9wavefront6targetE1EEEvSK_
; %bb.0:
	.section	.rodata,"a",@progbits
	.p2align	6, 0x0
	.amdhsa_kernel _ZN7rocprim17ROCPRIM_400000_NS6detail17trampoline_kernelINS0_14default_configENS1_38merge_sort_block_merge_config_selectorIsNS0_10empty_typeEEEZZNS1_27merge_sort_block_merge_implIS3_N6thrust23THRUST_200600_302600_NS6detail15normal_iteratorINS9_10device_ptrIsEEEEPS5_m14custom_greaterIsEEE10hipError_tT0_T1_T2_jT3_P12ihipStream_tbPNSt15iterator_traitsISJ_E10value_typeEPNSP_ISK_E10value_typeEPSL_NS1_7vsmem_tEENKUlT_SJ_SK_SL_E_clIPsSE_SF_SF_EESI_SY_SJ_SK_SL_EUlSY_E_NS1_11comp_targetILNS1_3genE0ELNS1_11target_archE4294967295ELNS1_3gpuE0ELNS1_3repE0EEENS1_48merge_mergepath_partition_config_static_selectorELNS0_4arch9wavefront6targetE1EEEvSK_
		.amdhsa_group_segment_fixed_size 0
		.amdhsa_private_segment_fixed_size 0
		.amdhsa_kernarg_size 48
		.amdhsa_user_sgpr_count 6
		.amdhsa_user_sgpr_private_segment_buffer 1
		.amdhsa_user_sgpr_dispatch_ptr 0
		.amdhsa_user_sgpr_queue_ptr 0
		.amdhsa_user_sgpr_kernarg_segment_ptr 1
		.amdhsa_user_sgpr_dispatch_id 0
		.amdhsa_user_sgpr_flat_scratch_init 0
		.amdhsa_user_sgpr_kernarg_preload_length 0
		.amdhsa_user_sgpr_kernarg_preload_offset 0
		.amdhsa_user_sgpr_private_segment_size 0
		.amdhsa_uses_dynamic_stack 0
		.amdhsa_system_sgpr_private_segment_wavefront_offset 0
		.amdhsa_system_sgpr_workgroup_id_x 1
		.amdhsa_system_sgpr_workgroup_id_y 0
		.amdhsa_system_sgpr_workgroup_id_z 0
		.amdhsa_system_sgpr_workgroup_info 0
		.amdhsa_system_vgpr_workitem_id 0
		.amdhsa_next_free_vgpr 1
		.amdhsa_next_free_sgpr 0
		.amdhsa_accum_offset 4
		.amdhsa_reserve_vcc 0
		.amdhsa_reserve_flat_scratch 0
		.amdhsa_float_round_mode_32 0
		.amdhsa_float_round_mode_16_64 0
		.amdhsa_float_denorm_mode_32 3
		.amdhsa_float_denorm_mode_16_64 3
		.amdhsa_dx10_clamp 1
		.amdhsa_ieee_mode 1
		.amdhsa_fp16_overflow 0
		.amdhsa_tg_split 0
		.amdhsa_exception_fp_ieee_invalid_op 0
		.amdhsa_exception_fp_denorm_src 0
		.amdhsa_exception_fp_ieee_div_zero 0
		.amdhsa_exception_fp_ieee_overflow 0
		.amdhsa_exception_fp_ieee_underflow 0
		.amdhsa_exception_fp_ieee_inexact 0
		.amdhsa_exception_int_div_zero 0
	.end_amdhsa_kernel
	.section	.text._ZN7rocprim17ROCPRIM_400000_NS6detail17trampoline_kernelINS0_14default_configENS1_38merge_sort_block_merge_config_selectorIsNS0_10empty_typeEEEZZNS1_27merge_sort_block_merge_implIS3_N6thrust23THRUST_200600_302600_NS6detail15normal_iteratorINS9_10device_ptrIsEEEEPS5_m14custom_greaterIsEEE10hipError_tT0_T1_T2_jT3_P12ihipStream_tbPNSt15iterator_traitsISJ_E10value_typeEPNSP_ISK_E10value_typeEPSL_NS1_7vsmem_tEENKUlT_SJ_SK_SL_E_clIPsSE_SF_SF_EESI_SY_SJ_SK_SL_EUlSY_E_NS1_11comp_targetILNS1_3genE0ELNS1_11target_archE4294967295ELNS1_3gpuE0ELNS1_3repE0EEENS1_48merge_mergepath_partition_config_static_selectorELNS0_4arch9wavefront6targetE1EEEvSK_,"axG",@progbits,_ZN7rocprim17ROCPRIM_400000_NS6detail17trampoline_kernelINS0_14default_configENS1_38merge_sort_block_merge_config_selectorIsNS0_10empty_typeEEEZZNS1_27merge_sort_block_merge_implIS3_N6thrust23THRUST_200600_302600_NS6detail15normal_iteratorINS9_10device_ptrIsEEEEPS5_m14custom_greaterIsEEE10hipError_tT0_T1_T2_jT3_P12ihipStream_tbPNSt15iterator_traitsISJ_E10value_typeEPNSP_ISK_E10value_typeEPSL_NS1_7vsmem_tEENKUlT_SJ_SK_SL_E_clIPsSE_SF_SF_EESI_SY_SJ_SK_SL_EUlSY_E_NS1_11comp_targetILNS1_3genE0ELNS1_11target_archE4294967295ELNS1_3gpuE0ELNS1_3repE0EEENS1_48merge_mergepath_partition_config_static_selectorELNS0_4arch9wavefront6targetE1EEEvSK_,comdat
.Lfunc_end2937:
	.size	_ZN7rocprim17ROCPRIM_400000_NS6detail17trampoline_kernelINS0_14default_configENS1_38merge_sort_block_merge_config_selectorIsNS0_10empty_typeEEEZZNS1_27merge_sort_block_merge_implIS3_N6thrust23THRUST_200600_302600_NS6detail15normal_iteratorINS9_10device_ptrIsEEEEPS5_m14custom_greaterIsEEE10hipError_tT0_T1_T2_jT3_P12ihipStream_tbPNSt15iterator_traitsISJ_E10value_typeEPNSP_ISK_E10value_typeEPSL_NS1_7vsmem_tEENKUlT_SJ_SK_SL_E_clIPsSE_SF_SF_EESI_SY_SJ_SK_SL_EUlSY_E_NS1_11comp_targetILNS1_3genE0ELNS1_11target_archE4294967295ELNS1_3gpuE0ELNS1_3repE0EEENS1_48merge_mergepath_partition_config_static_selectorELNS0_4arch9wavefront6targetE1EEEvSK_, .Lfunc_end2937-_ZN7rocprim17ROCPRIM_400000_NS6detail17trampoline_kernelINS0_14default_configENS1_38merge_sort_block_merge_config_selectorIsNS0_10empty_typeEEEZZNS1_27merge_sort_block_merge_implIS3_N6thrust23THRUST_200600_302600_NS6detail15normal_iteratorINS9_10device_ptrIsEEEEPS5_m14custom_greaterIsEEE10hipError_tT0_T1_T2_jT3_P12ihipStream_tbPNSt15iterator_traitsISJ_E10value_typeEPNSP_ISK_E10value_typeEPSL_NS1_7vsmem_tEENKUlT_SJ_SK_SL_E_clIPsSE_SF_SF_EESI_SY_SJ_SK_SL_EUlSY_E_NS1_11comp_targetILNS1_3genE0ELNS1_11target_archE4294967295ELNS1_3gpuE0ELNS1_3repE0EEENS1_48merge_mergepath_partition_config_static_selectorELNS0_4arch9wavefront6targetE1EEEvSK_
                                        ; -- End function
	.section	.AMDGPU.csdata,"",@progbits
; Kernel info:
; codeLenInByte = 0
; NumSgprs: 4
; NumVgprs: 0
; NumAgprs: 0
; TotalNumVgprs: 0
; ScratchSize: 0
; MemoryBound: 0
; FloatMode: 240
; IeeeMode: 1
; LDSByteSize: 0 bytes/workgroup (compile time only)
; SGPRBlocks: 0
; VGPRBlocks: 0
; NumSGPRsForWavesPerEU: 4
; NumVGPRsForWavesPerEU: 1
; AccumOffset: 4
; Occupancy: 8
; WaveLimiterHint : 0
; COMPUTE_PGM_RSRC2:SCRATCH_EN: 0
; COMPUTE_PGM_RSRC2:USER_SGPR: 6
; COMPUTE_PGM_RSRC2:TRAP_HANDLER: 0
; COMPUTE_PGM_RSRC2:TGID_X_EN: 1
; COMPUTE_PGM_RSRC2:TGID_Y_EN: 0
; COMPUTE_PGM_RSRC2:TGID_Z_EN: 0
; COMPUTE_PGM_RSRC2:TIDIG_COMP_CNT: 0
; COMPUTE_PGM_RSRC3_GFX90A:ACCUM_OFFSET: 0
; COMPUTE_PGM_RSRC3_GFX90A:TG_SPLIT: 0
	.section	.text._ZN7rocprim17ROCPRIM_400000_NS6detail17trampoline_kernelINS0_14default_configENS1_38merge_sort_block_merge_config_selectorIsNS0_10empty_typeEEEZZNS1_27merge_sort_block_merge_implIS3_N6thrust23THRUST_200600_302600_NS6detail15normal_iteratorINS9_10device_ptrIsEEEEPS5_m14custom_greaterIsEEE10hipError_tT0_T1_T2_jT3_P12ihipStream_tbPNSt15iterator_traitsISJ_E10value_typeEPNSP_ISK_E10value_typeEPSL_NS1_7vsmem_tEENKUlT_SJ_SK_SL_E_clIPsSE_SF_SF_EESI_SY_SJ_SK_SL_EUlSY_E_NS1_11comp_targetILNS1_3genE10ELNS1_11target_archE1201ELNS1_3gpuE5ELNS1_3repE0EEENS1_48merge_mergepath_partition_config_static_selectorELNS0_4arch9wavefront6targetE1EEEvSK_,"axG",@progbits,_ZN7rocprim17ROCPRIM_400000_NS6detail17trampoline_kernelINS0_14default_configENS1_38merge_sort_block_merge_config_selectorIsNS0_10empty_typeEEEZZNS1_27merge_sort_block_merge_implIS3_N6thrust23THRUST_200600_302600_NS6detail15normal_iteratorINS9_10device_ptrIsEEEEPS5_m14custom_greaterIsEEE10hipError_tT0_T1_T2_jT3_P12ihipStream_tbPNSt15iterator_traitsISJ_E10value_typeEPNSP_ISK_E10value_typeEPSL_NS1_7vsmem_tEENKUlT_SJ_SK_SL_E_clIPsSE_SF_SF_EESI_SY_SJ_SK_SL_EUlSY_E_NS1_11comp_targetILNS1_3genE10ELNS1_11target_archE1201ELNS1_3gpuE5ELNS1_3repE0EEENS1_48merge_mergepath_partition_config_static_selectorELNS0_4arch9wavefront6targetE1EEEvSK_,comdat
	.protected	_ZN7rocprim17ROCPRIM_400000_NS6detail17trampoline_kernelINS0_14default_configENS1_38merge_sort_block_merge_config_selectorIsNS0_10empty_typeEEEZZNS1_27merge_sort_block_merge_implIS3_N6thrust23THRUST_200600_302600_NS6detail15normal_iteratorINS9_10device_ptrIsEEEEPS5_m14custom_greaterIsEEE10hipError_tT0_T1_T2_jT3_P12ihipStream_tbPNSt15iterator_traitsISJ_E10value_typeEPNSP_ISK_E10value_typeEPSL_NS1_7vsmem_tEENKUlT_SJ_SK_SL_E_clIPsSE_SF_SF_EESI_SY_SJ_SK_SL_EUlSY_E_NS1_11comp_targetILNS1_3genE10ELNS1_11target_archE1201ELNS1_3gpuE5ELNS1_3repE0EEENS1_48merge_mergepath_partition_config_static_selectorELNS0_4arch9wavefront6targetE1EEEvSK_ ; -- Begin function _ZN7rocprim17ROCPRIM_400000_NS6detail17trampoline_kernelINS0_14default_configENS1_38merge_sort_block_merge_config_selectorIsNS0_10empty_typeEEEZZNS1_27merge_sort_block_merge_implIS3_N6thrust23THRUST_200600_302600_NS6detail15normal_iteratorINS9_10device_ptrIsEEEEPS5_m14custom_greaterIsEEE10hipError_tT0_T1_T2_jT3_P12ihipStream_tbPNSt15iterator_traitsISJ_E10value_typeEPNSP_ISK_E10value_typeEPSL_NS1_7vsmem_tEENKUlT_SJ_SK_SL_E_clIPsSE_SF_SF_EESI_SY_SJ_SK_SL_EUlSY_E_NS1_11comp_targetILNS1_3genE10ELNS1_11target_archE1201ELNS1_3gpuE5ELNS1_3repE0EEENS1_48merge_mergepath_partition_config_static_selectorELNS0_4arch9wavefront6targetE1EEEvSK_
	.globl	_ZN7rocprim17ROCPRIM_400000_NS6detail17trampoline_kernelINS0_14default_configENS1_38merge_sort_block_merge_config_selectorIsNS0_10empty_typeEEEZZNS1_27merge_sort_block_merge_implIS3_N6thrust23THRUST_200600_302600_NS6detail15normal_iteratorINS9_10device_ptrIsEEEEPS5_m14custom_greaterIsEEE10hipError_tT0_T1_T2_jT3_P12ihipStream_tbPNSt15iterator_traitsISJ_E10value_typeEPNSP_ISK_E10value_typeEPSL_NS1_7vsmem_tEENKUlT_SJ_SK_SL_E_clIPsSE_SF_SF_EESI_SY_SJ_SK_SL_EUlSY_E_NS1_11comp_targetILNS1_3genE10ELNS1_11target_archE1201ELNS1_3gpuE5ELNS1_3repE0EEENS1_48merge_mergepath_partition_config_static_selectorELNS0_4arch9wavefront6targetE1EEEvSK_
	.p2align	8
	.type	_ZN7rocprim17ROCPRIM_400000_NS6detail17trampoline_kernelINS0_14default_configENS1_38merge_sort_block_merge_config_selectorIsNS0_10empty_typeEEEZZNS1_27merge_sort_block_merge_implIS3_N6thrust23THRUST_200600_302600_NS6detail15normal_iteratorINS9_10device_ptrIsEEEEPS5_m14custom_greaterIsEEE10hipError_tT0_T1_T2_jT3_P12ihipStream_tbPNSt15iterator_traitsISJ_E10value_typeEPNSP_ISK_E10value_typeEPSL_NS1_7vsmem_tEENKUlT_SJ_SK_SL_E_clIPsSE_SF_SF_EESI_SY_SJ_SK_SL_EUlSY_E_NS1_11comp_targetILNS1_3genE10ELNS1_11target_archE1201ELNS1_3gpuE5ELNS1_3repE0EEENS1_48merge_mergepath_partition_config_static_selectorELNS0_4arch9wavefront6targetE1EEEvSK_,@function
_ZN7rocprim17ROCPRIM_400000_NS6detail17trampoline_kernelINS0_14default_configENS1_38merge_sort_block_merge_config_selectorIsNS0_10empty_typeEEEZZNS1_27merge_sort_block_merge_implIS3_N6thrust23THRUST_200600_302600_NS6detail15normal_iteratorINS9_10device_ptrIsEEEEPS5_m14custom_greaterIsEEE10hipError_tT0_T1_T2_jT3_P12ihipStream_tbPNSt15iterator_traitsISJ_E10value_typeEPNSP_ISK_E10value_typeEPSL_NS1_7vsmem_tEENKUlT_SJ_SK_SL_E_clIPsSE_SF_SF_EESI_SY_SJ_SK_SL_EUlSY_E_NS1_11comp_targetILNS1_3genE10ELNS1_11target_archE1201ELNS1_3gpuE5ELNS1_3repE0EEENS1_48merge_mergepath_partition_config_static_selectorELNS0_4arch9wavefront6targetE1EEEvSK_: ; @_ZN7rocprim17ROCPRIM_400000_NS6detail17trampoline_kernelINS0_14default_configENS1_38merge_sort_block_merge_config_selectorIsNS0_10empty_typeEEEZZNS1_27merge_sort_block_merge_implIS3_N6thrust23THRUST_200600_302600_NS6detail15normal_iteratorINS9_10device_ptrIsEEEEPS5_m14custom_greaterIsEEE10hipError_tT0_T1_T2_jT3_P12ihipStream_tbPNSt15iterator_traitsISJ_E10value_typeEPNSP_ISK_E10value_typeEPSL_NS1_7vsmem_tEENKUlT_SJ_SK_SL_E_clIPsSE_SF_SF_EESI_SY_SJ_SK_SL_EUlSY_E_NS1_11comp_targetILNS1_3genE10ELNS1_11target_archE1201ELNS1_3gpuE5ELNS1_3repE0EEENS1_48merge_mergepath_partition_config_static_selectorELNS0_4arch9wavefront6targetE1EEEvSK_
; %bb.0:
	.section	.rodata,"a",@progbits
	.p2align	6, 0x0
	.amdhsa_kernel _ZN7rocprim17ROCPRIM_400000_NS6detail17trampoline_kernelINS0_14default_configENS1_38merge_sort_block_merge_config_selectorIsNS0_10empty_typeEEEZZNS1_27merge_sort_block_merge_implIS3_N6thrust23THRUST_200600_302600_NS6detail15normal_iteratorINS9_10device_ptrIsEEEEPS5_m14custom_greaterIsEEE10hipError_tT0_T1_T2_jT3_P12ihipStream_tbPNSt15iterator_traitsISJ_E10value_typeEPNSP_ISK_E10value_typeEPSL_NS1_7vsmem_tEENKUlT_SJ_SK_SL_E_clIPsSE_SF_SF_EESI_SY_SJ_SK_SL_EUlSY_E_NS1_11comp_targetILNS1_3genE10ELNS1_11target_archE1201ELNS1_3gpuE5ELNS1_3repE0EEENS1_48merge_mergepath_partition_config_static_selectorELNS0_4arch9wavefront6targetE1EEEvSK_
		.amdhsa_group_segment_fixed_size 0
		.amdhsa_private_segment_fixed_size 0
		.amdhsa_kernarg_size 48
		.amdhsa_user_sgpr_count 6
		.amdhsa_user_sgpr_private_segment_buffer 1
		.amdhsa_user_sgpr_dispatch_ptr 0
		.amdhsa_user_sgpr_queue_ptr 0
		.amdhsa_user_sgpr_kernarg_segment_ptr 1
		.amdhsa_user_sgpr_dispatch_id 0
		.amdhsa_user_sgpr_flat_scratch_init 0
		.amdhsa_user_sgpr_kernarg_preload_length 0
		.amdhsa_user_sgpr_kernarg_preload_offset 0
		.amdhsa_user_sgpr_private_segment_size 0
		.amdhsa_uses_dynamic_stack 0
		.amdhsa_system_sgpr_private_segment_wavefront_offset 0
		.amdhsa_system_sgpr_workgroup_id_x 1
		.amdhsa_system_sgpr_workgroup_id_y 0
		.amdhsa_system_sgpr_workgroup_id_z 0
		.amdhsa_system_sgpr_workgroup_info 0
		.amdhsa_system_vgpr_workitem_id 0
		.amdhsa_next_free_vgpr 1
		.amdhsa_next_free_sgpr 0
		.amdhsa_accum_offset 4
		.amdhsa_reserve_vcc 0
		.amdhsa_reserve_flat_scratch 0
		.amdhsa_float_round_mode_32 0
		.amdhsa_float_round_mode_16_64 0
		.amdhsa_float_denorm_mode_32 3
		.amdhsa_float_denorm_mode_16_64 3
		.amdhsa_dx10_clamp 1
		.amdhsa_ieee_mode 1
		.amdhsa_fp16_overflow 0
		.amdhsa_tg_split 0
		.amdhsa_exception_fp_ieee_invalid_op 0
		.amdhsa_exception_fp_denorm_src 0
		.amdhsa_exception_fp_ieee_div_zero 0
		.amdhsa_exception_fp_ieee_overflow 0
		.amdhsa_exception_fp_ieee_underflow 0
		.amdhsa_exception_fp_ieee_inexact 0
		.amdhsa_exception_int_div_zero 0
	.end_amdhsa_kernel
	.section	.text._ZN7rocprim17ROCPRIM_400000_NS6detail17trampoline_kernelINS0_14default_configENS1_38merge_sort_block_merge_config_selectorIsNS0_10empty_typeEEEZZNS1_27merge_sort_block_merge_implIS3_N6thrust23THRUST_200600_302600_NS6detail15normal_iteratorINS9_10device_ptrIsEEEEPS5_m14custom_greaterIsEEE10hipError_tT0_T1_T2_jT3_P12ihipStream_tbPNSt15iterator_traitsISJ_E10value_typeEPNSP_ISK_E10value_typeEPSL_NS1_7vsmem_tEENKUlT_SJ_SK_SL_E_clIPsSE_SF_SF_EESI_SY_SJ_SK_SL_EUlSY_E_NS1_11comp_targetILNS1_3genE10ELNS1_11target_archE1201ELNS1_3gpuE5ELNS1_3repE0EEENS1_48merge_mergepath_partition_config_static_selectorELNS0_4arch9wavefront6targetE1EEEvSK_,"axG",@progbits,_ZN7rocprim17ROCPRIM_400000_NS6detail17trampoline_kernelINS0_14default_configENS1_38merge_sort_block_merge_config_selectorIsNS0_10empty_typeEEEZZNS1_27merge_sort_block_merge_implIS3_N6thrust23THRUST_200600_302600_NS6detail15normal_iteratorINS9_10device_ptrIsEEEEPS5_m14custom_greaterIsEEE10hipError_tT0_T1_T2_jT3_P12ihipStream_tbPNSt15iterator_traitsISJ_E10value_typeEPNSP_ISK_E10value_typeEPSL_NS1_7vsmem_tEENKUlT_SJ_SK_SL_E_clIPsSE_SF_SF_EESI_SY_SJ_SK_SL_EUlSY_E_NS1_11comp_targetILNS1_3genE10ELNS1_11target_archE1201ELNS1_3gpuE5ELNS1_3repE0EEENS1_48merge_mergepath_partition_config_static_selectorELNS0_4arch9wavefront6targetE1EEEvSK_,comdat
.Lfunc_end2938:
	.size	_ZN7rocprim17ROCPRIM_400000_NS6detail17trampoline_kernelINS0_14default_configENS1_38merge_sort_block_merge_config_selectorIsNS0_10empty_typeEEEZZNS1_27merge_sort_block_merge_implIS3_N6thrust23THRUST_200600_302600_NS6detail15normal_iteratorINS9_10device_ptrIsEEEEPS5_m14custom_greaterIsEEE10hipError_tT0_T1_T2_jT3_P12ihipStream_tbPNSt15iterator_traitsISJ_E10value_typeEPNSP_ISK_E10value_typeEPSL_NS1_7vsmem_tEENKUlT_SJ_SK_SL_E_clIPsSE_SF_SF_EESI_SY_SJ_SK_SL_EUlSY_E_NS1_11comp_targetILNS1_3genE10ELNS1_11target_archE1201ELNS1_3gpuE5ELNS1_3repE0EEENS1_48merge_mergepath_partition_config_static_selectorELNS0_4arch9wavefront6targetE1EEEvSK_, .Lfunc_end2938-_ZN7rocprim17ROCPRIM_400000_NS6detail17trampoline_kernelINS0_14default_configENS1_38merge_sort_block_merge_config_selectorIsNS0_10empty_typeEEEZZNS1_27merge_sort_block_merge_implIS3_N6thrust23THRUST_200600_302600_NS6detail15normal_iteratorINS9_10device_ptrIsEEEEPS5_m14custom_greaterIsEEE10hipError_tT0_T1_T2_jT3_P12ihipStream_tbPNSt15iterator_traitsISJ_E10value_typeEPNSP_ISK_E10value_typeEPSL_NS1_7vsmem_tEENKUlT_SJ_SK_SL_E_clIPsSE_SF_SF_EESI_SY_SJ_SK_SL_EUlSY_E_NS1_11comp_targetILNS1_3genE10ELNS1_11target_archE1201ELNS1_3gpuE5ELNS1_3repE0EEENS1_48merge_mergepath_partition_config_static_selectorELNS0_4arch9wavefront6targetE1EEEvSK_
                                        ; -- End function
	.section	.AMDGPU.csdata,"",@progbits
; Kernel info:
; codeLenInByte = 0
; NumSgprs: 4
; NumVgprs: 0
; NumAgprs: 0
; TotalNumVgprs: 0
; ScratchSize: 0
; MemoryBound: 0
; FloatMode: 240
; IeeeMode: 1
; LDSByteSize: 0 bytes/workgroup (compile time only)
; SGPRBlocks: 0
; VGPRBlocks: 0
; NumSGPRsForWavesPerEU: 4
; NumVGPRsForWavesPerEU: 1
; AccumOffset: 4
; Occupancy: 8
; WaveLimiterHint : 0
; COMPUTE_PGM_RSRC2:SCRATCH_EN: 0
; COMPUTE_PGM_RSRC2:USER_SGPR: 6
; COMPUTE_PGM_RSRC2:TRAP_HANDLER: 0
; COMPUTE_PGM_RSRC2:TGID_X_EN: 1
; COMPUTE_PGM_RSRC2:TGID_Y_EN: 0
; COMPUTE_PGM_RSRC2:TGID_Z_EN: 0
; COMPUTE_PGM_RSRC2:TIDIG_COMP_CNT: 0
; COMPUTE_PGM_RSRC3_GFX90A:ACCUM_OFFSET: 0
; COMPUTE_PGM_RSRC3_GFX90A:TG_SPLIT: 0
	.section	.text._ZN7rocprim17ROCPRIM_400000_NS6detail17trampoline_kernelINS0_14default_configENS1_38merge_sort_block_merge_config_selectorIsNS0_10empty_typeEEEZZNS1_27merge_sort_block_merge_implIS3_N6thrust23THRUST_200600_302600_NS6detail15normal_iteratorINS9_10device_ptrIsEEEEPS5_m14custom_greaterIsEEE10hipError_tT0_T1_T2_jT3_P12ihipStream_tbPNSt15iterator_traitsISJ_E10value_typeEPNSP_ISK_E10value_typeEPSL_NS1_7vsmem_tEENKUlT_SJ_SK_SL_E_clIPsSE_SF_SF_EESI_SY_SJ_SK_SL_EUlSY_E_NS1_11comp_targetILNS1_3genE5ELNS1_11target_archE942ELNS1_3gpuE9ELNS1_3repE0EEENS1_48merge_mergepath_partition_config_static_selectorELNS0_4arch9wavefront6targetE1EEEvSK_,"axG",@progbits,_ZN7rocprim17ROCPRIM_400000_NS6detail17trampoline_kernelINS0_14default_configENS1_38merge_sort_block_merge_config_selectorIsNS0_10empty_typeEEEZZNS1_27merge_sort_block_merge_implIS3_N6thrust23THRUST_200600_302600_NS6detail15normal_iteratorINS9_10device_ptrIsEEEEPS5_m14custom_greaterIsEEE10hipError_tT0_T1_T2_jT3_P12ihipStream_tbPNSt15iterator_traitsISJ_E10value_typeEPNSP_ISK_E10value_typeEPSL_NS1_7vsmem_tEENKUlT_SJ_SK_SL_E_clIPsSE_SF_SF_EESI_SY_SJ_SK_SL_EUlSY_E_NS1_11comp_targetILNS1_3genE5ELNS1_11target_archE942ELNS1_3gpuE9ELNS1_3repE0EEENS1_48merge_mergepath_partition_config_static_selectorELNS0_4arch9wavefront6targetE1EEEvSK_,comdat
	.protected	_ZN7rocprim17ROCPRIM_400000_NS6detail17trampoline_kernelINS0_14default_configENS1_38merge_sort_block_merge_config_selectorIsNS0_10empty_typeEEEZZNS1_27merge_sort_block_merge_implIS3_N6thrust23THRUST_200600_302600_NS6detail15normal_iteratorINS9_10device_ptrIsEEEEPS5_m14custom_greaterIsEEE10hipError_tT0_T1_T2_jT3_P12ihipStream_tbPNSt15iterator_traitsISJ_E10value_typeEPNSP_ISK_E10value_typeEPSL_NS1_7vsmem_tEENKUlT_SJ_SK_SL_E_clIPsSE_SF_SF_EESI_SY_SJ_SK_SL_EUlSY_E_NS1_11comp_targetILNS1_3genE5ELNS1_11target_archE942ELNS1_3gpuE9ELNS1_3repE0EEENS1_48merge_mergepath_partition_config_static_selectorELNS0_4arch9wavefront6targetE1EEEvSK_ ; -- Begin function _ZN7rocprim17ROCPRIM_400000_NS6detail17trampoline_kernelINS0_14default_configENS1_38merge_sort_block_merge_config_selectorIsNS0_10empty_typeEEEZZNS1_27merge_sort_block_merge_implIS3_N6thrust23THRUST_200600_302600_NS6detail15normal_iteratorINS9_10device_ptrIsEEEEPS5_m14custom_greaterIsEEE10hipError_tT0_T1_T2_jT3_P12ihipStream_tbPNSt15iterator_traitsISJ_E10value_typeEPNSP_ISK_E10value_typeEPSL_NS1_7vsmem_tEENKUlT_SJ_SK_SL_E_clIPsSE_SF_SF_EESI_SY_SJ_SK_SL_EUlSY_E_NS1_11comp_targetILNS1_3genE5ELNS1_11target_archE942ELNS1_3gpuE9ELNS1_3repE0EEENS1_48merge_mergepath_partition_config_static_selectorELNS0_4arch9wavefront6targetE1EEEvSK_
	.globl	_ZN7rocprim17ROCPRIM_400000_NS6detail17trampoline_kernelINS0_14default_configENS1_38merge_sort_block_merge_config_selectorIsNS0_10empty_typeEEEZZNS1_27merge_sort_block_merge_implIS3_N6thrust23THRUST_200600_302600_NS6detail15normal_iteratorINS9_10device_ptrIsEEEEPS5_m14custom_greaterIsEEE10hipError_tT0_T1_T2_jT3_P12ihipStream_tbPNSt15iterator_traitsISJ_E10value_typeEPNSP_ISK_E10value_typeEPSL_NS1_7vsmem_tEENKUlT_SJ_SK_SL_E_clIPsSE_SF_SF_EESI_SY_SJ_SK_SL_EUlSY_E_NS1_11comp_targetILNS1_3genE5ELNS1_11target_archE942ELNS1_3gpuE9ELNS1_3repE0EEENS1_48merge_mergepath_partition_config_static_selectorELNS0_4arch9wavefront6targetE1EEEvSK_
	.p2align	8
	.type	_ZN7rocprim17ROCPRIM_400000_NS6detail17trampoline_kernelINS0_14default_configENS1_38merge_sort_block_merge_config_selectorIsNS0_10empty_typeEEEZZNS1_27merge_sort_block_merge_implIS3_N6thrust23THRUST_200600_302600_NS6detail15normal_iteratorINS9_10device_ptrIsEEEEPS5_m14custom_greaterIsEEE10hipError_tT0_T1_T2_jT3_P12ihipStream_tbPNSt15iterator_traitsISJ_E10value_typeEPNSP_ISK_E10value_typeEPSL_NS1_7vsmem_tEENKUlT_SJ_SK_SL_E_clIPsSE_SF_SF_EESI_SY_SJ_SK_SL_EUlSY_E_NS1_11comp_targetILNS1_3genE5ELNS1_11target_archE942ELNS1_3gpuE9ELNS1_3repE0EEENS1_48merge_mergepath_partition_config_static_selectorELNS0_4arch9wavefront6targetE1EEEvSK_,@function
_ZN7rocprim17ROCPRIM_400000_NS6detail17trampoline_kernelINS0_14default_configENS1_38merge_sort_block_merge_config_selectorIsNS0_10empty_typeEEEZZNS1_27merge_sort_block_merge_implIS3_N6thrust23THRUST_200600_302600_NS6detail15normal_iteratorINS9_10device_ptrIsEEEEPS5_m14custom_greaterIsEEE10hipError_tT0_T1_T2_jT3_P12ihipStream_tbPNSt15iterator_traitsISJ_E10value_typeEPNSP_ISK_E10value_typeEPSL_NS1_7vsmem_tEENKUlT_SJ_SK_SL_E_clIPsSE_SF_SF_EESI_SY_SJ_SK_SL_EUlSY_E_NS1_11comp_targetILNS1_3genE5ELNS1_11target_archE942ELNS1_3gpuE9ELNS1_3repE0EEENS1_48merge_mergepath_partition_config_static_selectorELNS0_4arch9wavefront6targetE1EEEvSK_: ; @_ZN7rocprim17ROCPRIM_400000_NS6detail17trampoline_kernelINS0_14default_configENS1_38merge_sort_block_merge_config_selectorIsNS0_10empty_typeEEEZZNS1_27merge_sort_block_merge_implIS3_N6thrust23THRUST_200600_302600_NS6detail15normal_iteratorINS9_10device_ptrIsEEEEPS5_m14custom_greaterIsEEE10hipError_tT0_T1_T2_jT3_P12ihipStream_tbPNSt15iterator_traitsISJ_E10value_typeEPNSP_ISK_E10value_typeEPSL_NS1_7vsmem_tEENKUlT_SJ_SK_SL_E_clIPsSE_SF_SF_EESI_SY_SJ_SK_SL_EUlSY_E_NS1_11comp_targetILNS1_3genE5ELNS1_11target_archE942ELNS1_3gpuE9ELNS1_3repE0EEENS1_48merge_mergepath_partition_config_static_selectorELNS0_4arch9wavefront6targetE1EEEvSK_
; %bb.0:
	.section	.rodata,"a",@progbits
	.p2align	6, 0x0
	.amdhsa_kernel _ZN7rocprim17ROCPRIM_400000_NS6detail17trampoline_kernelINS0_14default_configENS1_38merge_sort_block_merge_config_selectorIsNS0_10empty_typeEEEZZNS1_27merge_sort_block_merge_implIS3_N6thrust23THRUST_200600_302600_NS6detail15normal_iteratorINS9_10device_ptrIsEEEEPS5_m14custom_greaterIsEEE10hipError_tT0_T1_T2_jT3_P12ihipStream_tbPNSt15iterator_traitsISJ_E10value_typeEPNSP_ISK_E10value_typeEPSL_NS1_7vsmem_tEENKUlT_SJ_SK_SL_E_clIPsSE_SF_SF_EESI_SY_SJ_SK_SL_EUlSY_E_NS1_11comp_targetILNS1_3genE5ELNS1_11target_archE942ELNS1_3gpuE9ELNS1_3repE0EEENS1_48merge_mergepath_partition_config_static_selectorELNS0_4arch9wavefront6targetE1EEEvSK_
		.amdhsa_group_segment_fixed_size 0
		.amdhsa_private_segment_fixed_size 0
		.amdhsa_kernarg_size 48
		.amdhsa_user_sgpr_count 6
		.amdhsa_user_sgpr_private_segment_buffer 1
		.amdhsa_user_sgpr_dispatch_ptr 0
		.amdhsa_user_sgpr_queue_ptr 0
		.amdhsa_user_sgpr_kernarg_segment_ptr 1
		.amdhsa_user_sgpr_dispatch_id 0
		.amdhsa_user_sgpr_flat_scratch_init 0
		.amdhsa_user_sgpr_kernarg_preload_length 0
		.amdhsa_user_sgpr_kernarg_preload_offset 0
		.amdhsa_user_sgpr_private_segment_size 0
		.amdhsa_uses_dynamic_stack 0
		.amdhsa_system_sgpr_private_segment_wavefront_offset 0
		.amdhsa_system_sgpr_workgroup_id_x 1
		.amdhsa_system_sgpr_workgroup_id_y 0
		.amdhsa_system_sgpr_workgroup_id_z 0
		.amdhsa_system_sgpr_workgroup_info 0
		.amdhsa_system_vgpr_workitem_id 0
		.amdhsa_next_free_vgpr 1
		.amdhsa_next_free_sgpr 0
		.amdhsa_accum_offset 4
		.amdhsa_reserve_vcc 0
		.amdhsa_reserve_flat_scratch 0
		.amdhsa_float_round_mode_32 0
		.amdhsa_float_round_mode_16_64 0
		.amdhsa_float_denorm_mode_32 3
		.amdhsa_float_denorm_mode_16_64 3
		.amdhsa_dx10_clamp 1
		.amdhsa_ieee_mode 1
		.amdhsa_fp16_overflow 0
		.amdhsa_tg_split 0
		.amdhsa_exception_fp_ieee_invalid_op 0
		.amdhsa_exception_fp_denorm_src 0
		.amdhsa_exception_fp_ieee_div_zero 0
		.amdhsa_exception_fp_ieee_overflow 0
		.amdhsa_exception_fp_ieee_underflow 0
		.amdhsa_exception_fp_ieee_inexact 0
		.amdhsa_exception_int_div_zero 0
	.end_amdhsa_kernel
	.section	.text._ZN7rocprim17ROCPRIM_400000_NS6detail17trampoline_kernelINS0_14default_configENS1_38merge_sort_block_merge_config_selectorIsNS0_10empty_typeEEEZZNS1_27merge_sort_block_merge_implIS3_N6thrust23THRUST_200600_302600_NS6detail15normal_iteratorINS9_10device_ptrIsEEEEPS5_m14custom_greaterIsEEE10hipError_tT0_T1_T2_jT3_P12ihipStream_tbPNSt15iterator_traitsISJ_E10value_typeEPNSP_ISK_E10value_typeEPSL_NS1_7vsmem_tEENKUlT_SJ_SK_SL_E_clIPsSE_SF_SF_EESI_SY_SJ_SK_SL_EUlSY_E_NS1_11comp_targetILNS1_3genE5ELNS1_11target_archE942ELNS1_3gpuE9ELNS1_3repE0EEENS1_48merge_mergepath_partition_config_static_selectorELNS0_4arch9wavefront6targetE1EEEvSK_,"axG",@progbits,_ZN7rocprim17ROCPRIM_400000_NS6detail17trampoline_kernelINS0_14default_configENS1_38merge_sort_block_merge_config_selectorIsNS0_10empty_typeEEEZZNS1_27merge_sort_block_merge_implIS3_N6thrust23THRUST_200600_302600_NS6detail15normal_iteratorINS9_10device_ptrIsEEEEPS5_m14custom_greaterIsEEE10hipError_tT0_T1_T2_jT3_P12ihipStream_tbPNSt15iterator_traitsISJ_E10value_typeEPNSP_ISK_E10value_typeEPSL_NS1_7vsmem_tEENKUlT_SJ_SK_SL_E_clIPsSE_SF_SF_EESI_SY_SJ_SK_SL_EUlSY_E_NS1_11comp_targetILNS1_3genE5ELNS1_11target_archE942ELNS1_3gpuE9ELNS1_3repE0EEENS1_48merge_mergepath_partition_config_static_selectorELNS0_4arch9wavefront6targetE1EEEvSK_,comdat
.Lfunc_end2939:
	.size	_ZN7rocprim17ROCPRIM_400000_NS6detail17trampoline_kernelINS0_14default_configENS1_38merge_sort_block_merge_config_selectorIsNS0_10empty_typeEEEZZNS1_27merge_sort_block_merge_implIS3_N6thrust23THRUST_200600_302600_NS6detail15normal_iteratorINS9_10device_ptrIsEEEEPS5_m14custom_greaterIsEEE10hipError_tT0_T1_T2_jT3_P12ihipStream_tbPNSt15iterator_traitsISJ_E10value_typeEPNSP_ISK_E10value_typeEPSL_NS1_7vsmem_tEENKUlT_SJ_SK_SL_E_clIPsSE_SF_SF_EESI_SY_SJ_SK_SL_EUlSY_E_NS1_11comp_targetILNS1_3genE5ELNS1_11target_archE942ELNS1_3gpuE9ELNS1_3repE0EEENS1_48merge_mergepath_partition_config_static_selectorELNS0_4arch9wavefront6targetE1EEEvSK_, .Lfunc_end2939-_ZN7rocprim17ROCPRIM_400000_NS6detail17trampoline_kernelINS0_14default_configENS1_38merge_sort_block_merge_config_selectorIsNS0_10empty_typeEEEZZNS1_27merge_sort_block_merge_implIS3_N6thrust23THRUST_200600_302600_NS6detail15normal_iteratorINS9_10device_ptrIsEEEEPS5_m14custom_greaterIsEEE10hipError_tT0_T1_T2_jT3_P12ihipStream_tbPNSt15iterator_traitsISJ_E10value_typeEPNSP_ISK_E10value_typeEPSL_NS1_7vsmem_tEENKUlT_SJ_SK_SL_E_clIPsSE_SF_SF_EESI_SY_SJ_SK_SL_EUlSY_E_NS1_11comp_targetILNS1_3genE5ELNS1_11target_archE942ELNS1_3gpuE9ELNS1_3repE0EEENS1_48merge_mergepath_partition_config_static_selectorELNS0_4arch9wavefront6targetE1EEEvSK_
                                        ; -- End function
	.section	.AMDGPU.csdata,"",@progbits
; Kernel info:
; codeLenInByte = 0
; NumSgprs: 4
; NumVgprs: 0
; NumAgprs: 0
; TotalNumVgprs: 0
; ScratchSize: 0
; MemoryBound: 0
; FloatMode: 240
; IeeeMode: 1
; LDSByteSize: 0 bytes/workgroup (compile time only)
; SGPRBlocks: 0
; VGPRBlocks: 0
; NumSGPRsForWavesPerEU: 4
; NumVGPRsForWavesPerEU: 1
; AccumOffset: 4
; Occupancy: 8
; WaveLimiterHint : 0
; COMPUTE_PGM_RSRC2:SCRATCH_EN: 0
; COMPUTE_PGM_RSRC2:USER_SGPR: 6
; COMPUTE_PGM_RSRC2:TRAP_HANDLER: 0
; COMPUTE_PGM_RSRC2:TGID_X_EN: 1
; COMPUTE_PGM_RSRC2:TGID_Y_EN: 0
; COMPUTE_PGM_RSRC2:TGID_Z_EN: 0
; COMPUTE_PGM_RSRC2:TIDIG_COMP_CNT: 0
; COMPUTE_PGM_RSRC3_GFX90A:ACCUM_OFFSET: 0
; COMPUTE_PGM_RSRC3_GFX90A:TG_SPLIT: 0
	.section	.text._ZN7rocprim17ROCPRIM_400000_NS6detail17trampoline_kernelINS0_14default_configENS1_38merge_sort_block_merge_config_selectorIsNS0_10empty_typeEEEZZNS1_27merge_sort_block_merge_implIS3_N6thrust23THRUST_200600_302600_NS6detail15normal_iteratorINS9_10device_ptrIsEEEEPS5_m14custom_greaterIsEEE10hipError_tT0_T1_T2_jT3_P12ihipStream_tbPNSt15iterator_traitsISJ_E10value_typeEPNSP_ISK_E10value_typeEPSL_NS1_7vsmem_tEENKUlT_SJ_SK_SL_E_clIPsSE_SF_SF_EESI_SY_SJ_SK_SL_EUlSY_E_NS1_11comp_targetILNS1_3genE4ELNS1_11target_archE910ELNS1_3gpuE8ELNS1_3repE0EEENS1_48merge_mergepath_partition_config_static_selectorELNS0_4arch9wavefront6targetE1EEEvSK_,"axG",@progbits,_ZN7rocprim17ROCPRIM_400000_NS6detail17trampoline_kernelINS0_14default_configENS1_38merge_sort_block_merge_config_selectorIsNS0_10empty_typeEEEZZNS1_27merge_sort_block_merge_implIS3_N6thrust23THRUST_200600_302600_NS6detail15normal_iteratorINS9_10device_ptrIsEEEEPS5_m14custom_greaterIsEEE10hipError_tT0_T1_T2_jT3_P12ihipStream_tbPNSt15iterator_traitsISJ_E10value_typeEPNSP_ISK_E10value_typeEPSL_NS1_7vsmem_tEENKUlT_SJ_SK_SL_E_clIPsSE_SF_SF_EESI_SY_SJ_SK_SL_EUlSY_E_NS1_11comp_targetILNS1_3genE4ELNS1_11target_archE910ELNS1_3gpuE8ELNS1_3repE0EEENS1_48merge_mergepath_partition_config_static_selectorELNS0_4arch9wavefront6targetE1EEEvSK_,comdat
	.protected	_ZN7rocprim17ROCPRIM_400000_NS6detail17trampoline_kernelINS0_14default_configENS1_38merge_sort_block_merge_config_selectorIsNS0_10empty_typeEEEZZNS1_27merge_sort_block_merge_implIS3_N6thrust23THRUST_200600_302600_NS6detail15normal_iteratorINS9_10device_ptrIsEEEEPS5_m14custom_greaterIsEEE10hipError_tT0_T1_T2_jT3_P12ihipStream_tbPNSt15iterator_traitsISJ_E10value_typeEPNSP_ISK_E10value_typeEPSL_NS1_7vsmem_tEENKUlT_SJ_SK_SL_E_clIPsSE_SF_SF_EESI_SY_SJ_SK_SL_EUlSY_E_NS1_11comp_targetILNS1_3genE4ELNS1_11target_archE910ELNS1_3gpuE8ELNS1_3repE0EEENS1_48merge_mergepath_partition_config_static_selectorELNS0_4arch9wavefront6targetE1EEEvSK_ ; -- Begin function _ZN7rocprim17ROCPRIM_400000_NS6detail17trampoline_kernelINS0_14default_configENS1_38merge_sort_block_merge_config_selectorIsNS0_10empty_typeEEEZZNS1_27merge_sort_block_merge_implIS3_N6thrust23THRUST_200600_302600_NS6detail15normal_iteratorINS9_10device_ptrIsEEEEPS5_m14custom_greaterIsEEE10hipError_tT0_T1_T2_jT3_P12ihipStream_tbPNSt15iterator_traitsISJ_E10value_typeEPNSP_ISK_E10value_typeEPSL_NS1_7vsmem_tEENKUlT_SJ_SK_SL_E_clIPsSE_SF_SF_EESI_SY_SJ_SK_SL_EUlSY_E_NS1_11comp_targetILNS1_3genE4ELNS1_11target_archE910ELNS1_3gpuE8ELNS1_3repE0EEENS1_48merge_mergepath_partition_config_static_selectorELNS0_4arch9wavefront6targetE1EEEvSK_
	.globl	_ZN7rocprim17ROCPRIM_400000_NS6detail17trampoline_kernelINS0_14default_configENS1_38merge_sort_block_merge_config_selectorIsNS0_10empty_typeEEEZZNS1_27merge_sort_block_merge_implIS3_N6thrust23THRUST_200600_302600_NS6detail15normal_iteratorINS9_10device_ptrIsEEEEPS5_m14custom_greaterIsEEE10hipError_tT0_T1_T2_jT3_P12ihipStream_tbPNSt15iterator_traitsISJ_E10value_typeEPNSP_ISK_E10value_typeEPSL_NS1_7vsmem_tEENKUlT_SJ_SK_SL_E_clIPsSE_SF_SF_EESI_SY_SJ_SK_SL_EUlSY_E_NS1_11comp_targetILNS1_3genE4ELNS1_11target_archE910ELNS1_3gpuE8ELNS1_3repE0EEENS1_48merge_mergepath_partition_config_static_selectorELNS0_4arch9wavefront6targetE1EEEvSK_
	.p2align	8
	.type	_ZN7rocprim17ROCPRIM_400000_NS6detail17trampoline_kernelINS0_14default_configENS1_38merge_sort_block_merge_config_selectorIsNS0_10empty_typeEEEZZNS1_27merge_sort_block_merge_implIS3_N6thrust23THRUST_200600_302600_NS6detail15normal_iteratorINS9_10device_ptrIsEEEEPS5_m14custom_greaterIsEEE10hipError_tT0_T1_T2_jT3_P12ihipStream_tbPNSt15iterator_traitsISJ_E10value_typeEPNSP_ISK_E10value_typeEPSL_NS1_7vsmem_tEENKUlT_SJ_SK_SL_E_clIPsSE_SF_SF_EESI_SY_SJ_SK_SL_EUlSY_E_NS1_11comp_targetILNS1_3genE4ELNS1_11target_archE910ELNS1_3gpuE8ELNS1_3repE0EEENS1_48merge_mergepath_partition_config_static_selectorELNS0_4arch9wavefront6targetE1EEEvSK_,@function
_ZN7rocprim17ROCPRIM_400000_NS6detail17trampoline_kernelINS0_14default_configENS1_38merge_sort_block_merge_config_selectorIsNS0_10empty_typeEEEZZNS1_27merge_sort_block_merge_implIS3_N6thrust23THRUST_200600_302600_NS6detail15normal_iteratorINS9_10device_ptrIsEEEEPS5_m14custom_greaterIsEEE10hipError_tT0_T1_T2_jT3_P12ihipStream_tbPNSt15iterator_traitsISJ_E10value_typeEPNSP_ISK_E10value_typeEPSL_NS1_7vsmem_tEENKUlT_SJ_SK_SL_E_clIPsSE_SF_SF_EESI_SY_SJ_SK_SL_EUlSY_E_NS1_11comp_targetILNS1_3genE4ELNS1_11target_archE910ELNS1_3gpuE8ELNS1_3repE0EEENS1_48merge_mergepath_partition_config_static_selectorELNS0_4arch9wavefront6targetE1EEEvSK_: ; @_ZN7rocprim17ROCPRIM_400000_NS6detail17trampoline_kernelINS0_14default_configENS1_38merge_sort_block_merge_config_selectorIsNS0_10empty_typeEEEZZNS1_27merge_sort_block_merge_implIS3_N6thrust23THRUST_200600_302600_NS6detail15normal_iteratorINS9_10device_ptrIsEEEEPS5_m14custom_greaterIsEEE10hipError_tT0_T1_T2_jT3_P12ihipStream_tbPNSt15iterator_traitsISJ_E10value_typeEPNSP_ISK_E10value_typeEPSL_NS1_7vsmem_tEENKUlT_SJ_SK_SL_E_clIPsSE_SF_SF_EESI_SY_SJ_SK_SL_EUlSY_E_NS1_11comp_targetILNS1_3genE4ELNS1_11target_archE910ELNS1_3gpuE8ELNS1_3repE0EEENS1_48merge_mergepath_partition_config_static_selectorELNS0_4arch9wavefront6targetE1EEEvSK_
; %bb.0:
	s_load_dword s0, s[4:5], 0x0
	v_lshl_or_b32 v0, s6, 7, v0
	s_waitcnt lgkmcnt(0)
	v_cmp_gt_u32_e32 vcc, s0, v0
	s_and_saveexec_b64 s[0:1], vcc
	s_cbranch_execz .LBB2940_6
; %bb.1:
	s_load_dwordx4 s[0:3], s[4:5], 0x8
	s_load_dwordx2 s[6:7], s[4:5], 0x28
	v_mov_b32_e32 v5, 0
	s_waitcnt lgkmcnt(0)
	v_mov_b32_e32 v1, s0
	v_alignbit_b32 v1, s1, v1, 9
	v_and_b32_e32 v1, -2, v1
	v_add_u32_e32 v2, -1, v1
	v_sub_u32_e32 v1, 0, v1
	v_and_b32_e32 v4, v0, v1
	v_lshlrev_b64 v[8:9], 10, v[4:5]
	v_mov_b32_e32 v1, s3
	v_cmp_lt_u64_e32 vcc, s[2:3], v[8:9]
	v_mov_b32_e32 v4, s2
	v_and_b32_e32 v6, v2, v0
	v_cndmask_b32_e32 v3, v9, v1, vcc
	v_cndmask_b32_e32 v2, v8, v4, vcc
	v_mov_b32_e32 v7, s1
	v_add_co_u32_e32 v8, vcc, s0, v8
	v_addc_co_u32_e32 v9, vcc, v9, v7, vcc
	v_cmp_lt_u64_e32 vcc, s[2:3], v[8:9]
	v_cndmask_b32_e32 v8, v8, v4, vcc
	v_cndmask_b32_e32 v9, v9, v1, vcc
	v_add_co_u32_e32 v10, vcc, s0, v8
	v_addc_co_u32_e32 v11, vcc, v9, v7, vcc
	v_cmp_lt_u64_e32 vcc, s[2:3], v[10:11]
	v_cndmask_b32_e32 v12, v10, v4, vcc
	v_cndmask_b32_e32 v1, v11, v1, vcc
	v_sub_co_u32_e32 v10, vcc, v12, v2
	v_mov_b32_e32 v7, v5
	v_subb_co_u32_e32 v11, vcc, v1, v3, vcc
	v_lshlrev_b64 v[4:5], 10, v[6:7]
	v_cmp_lt_u64_e32 vcc, v[10:11], v[4:5]
	v_cndmask_b32_e32 v11, v5, v11, vcc
	v_cndmask_b32_e32 v10, v4, v10, vcc
	v_sub_co_u32_e32 v6, vcc, v8, v2
	v_subb_co_u32_e32 v7, vcc, v9, v3, vcc
	v_sub_co_u32_e32 v4, vcc, v8, v12
	v_subb_co_u32_e32 v1, vcc, v9, v1, vcc
	v_add_co_u32_e32 v4, vcc, v10, v4
	v_addc_co_u32_e32 v5, vcc, v11, v1, vcc
	v_cmp_gt_u64_e32 vcc, v[4:5], v[10:11]
	v_cndmask_b32_e64 v5, v5, 0, vcc
	v_cndmask_b32_e64 v4, v4, 0, vcc
	v_cmp_lt_u64_e32 vcc, v[10:11], v[6:7]
	v_cndmask_b32_e32 v7, v7, v11, vcc
	v_cndmask_b32_e32 v6, v6, v10, vcc
	v_cmp_lt_u64_e32 vcc, v[4:5], v[6:7]
	s_and_saveexec_b64 s[0:1], vcc
	s_cbranch_execz .LBB2940_5
; %bb.2:
	s_load_dwordx2 s[2:3], s[4:5], 0x18
	v_lshlrev_b64 v[12:13], 1, v[2:3]
	v_lshlrev_b64 v[8:9], 1, v[8:9]
	s_waitcnt lgkmcnt(0)
	v_mov_b32_e32 v14, s3
	v_add_co_u32_e32 v1, vcc, s2, v12
	v_addc_co_u32_e32 v12, vcc, v14, v13, vcc
	v_add_co_u32_e32 v13, vcc, s2, v8
	v_addc_co_u32_e32 v14, vcc, v14, v9, vcc
	v_lshlrev_b64 v[8:9], 1, v[10:11]
	v_add_co_u32_e32 v8, vcc, v13, v8
	v_addc_co_u32_e32 v9, vcc, v14, v9, vcc
	s_mov_b64 s[2:3], 0
.LBB2940_3:                             ; =>This Inner Loop Header: Depth=1
	v_add_co_u32_e32 v10, vcc, v6, v4
	v_addc_co_u32_e32 v11, vcc, v7, v5, vcc
	v_lshrrev_b64 v[14:15], 1, v[10:11]
	v_and_b32_e32 v10, -2, v10
	v_add_co_u32_e32 v10, vcc, v1, v10
	v_not_b32_e32 v17, v15
	v_not_b32_e32 v16, v14
	v_addc_co_u32_e32 v11, vcc, v12, v11, vcc
	global_load_ushort v13, v[10:11], off
	v_lshlrev_b64 v[10:11], 1, v[16:17]
	v_add_co_u32_e32 v10, vcc, v8, v10
	v_addc_co_u32_e32 v11, vcc, v9, v11, vcc
	global_load_ushort v10, v[10:11], off
	v_add_co_u32_e32 v11, vcc, 1, v14
	v_addc_co_u32_e32 v16, vcc, 0, v15, vcc
	s_waitcnt vmcnt(0)
	v_cmp_gt_i16_e32 vcc, v13, v10
	v_cndmask_b32_e32 v7, v7, v15, vcc
	v_cndmask_b32_e32 v6, v6, v14, vcc
	;; [unrolled: 1-line block ×4, first 2 shown]
	v_cmp_ge_u64_e32 vcc, v[4:5], v[6:7]
	s_or_b64 s[2:3], vcc, s[2:3]
	s_andn2_b64 exec, exec, s[2:3]
	s_cbranch_execnz .LBB2940_3
; %bb.4:
	s_or_b64 exec, exec, s[2:3]
.LBB2940_5:
	s_or_b64 exec, exec, s[0:1]
	v_add_co_u32_e32 v2, vcc, v4, v2
	v_mov_b32_e32 v1, 0
	v_addc_co_u32_e32 v3, vcc, v5, v3, vcc
	v_lshlrev_b64 v[0:1], 3, v[0:1]
	v_mov_b32_e32 v4, s7
	v_add_co_u32_e32 v0, vcc, s6, v0
	v_addc_co_u32_e32 v1, vcc, v4, v1, vcc
	global_store_dwordx2 v[0:1], v[2:3], off
.LBB2940_6:
	s_endpgm
	.section	.rodata,"a",@progbits
	.p2align	6, 0x0
	.amdhsa_kernel _ZN7rocprim17ROCPRIM_400000_NS6detail17trampoline_kernelINS0_14default_configENS1_38merge_sort_block_merge_config_selectorIsNS0_10empty_typeEEEZZNS1_27merge_sort_block_merge_implIS3_N6thrust23THRUST_200600_302600_NS6detail15normal_iteratorINS9_10device_ptrIsEEEEPS5_m14custom_greaterIsEEE10hipError_tT0_T1_T2_jT3_P12ihipStream_tbPNSt15iterator_traitsISJ_E10value_typeEPNSP_ISK_E10value_typeEPSL_NS1_7vsmem_tEENKUlT_SJ_SK_SL_E_clIPsSE_SF_SF_EESI_SY_SJ_SK_SL_EUlSY_E_NS1_11comp_targetILNS1_3genE4ELNS1_11target_archE910ELNS1_3gpuE8ELNS1_3repE0EEENS1_48merge_mergepath_partition_config_static_selectorELNS0_4arch9wavefront6targetE1EEEvSK_
		.amdhsa_group_segment_fixed_size 0
		.amdhsa_private_segment_fixed_size 0
		.amdhsa_kernarg_size 48
		.amdhsa_user_sgpr_count 6
		.amdhsa_user_sgpr_private_segment_buffer 1
		.amdhsa_user_sgpr_dispatch_ptr 0
		.amdhsa_user_sgpr_queue_ptr 0
		.amdhsa_user_sgpr_kernarg_segment_ptr 1
		.amdhsa_user_sgpr_dispatch_id 0
		.amdhsa_user_sgpr_flat_scratch_init 0
		.amdhsa_user_sgpr_kernarg_preload_length 0
		.amdhsa_user_sgpr_kernarg_preload_offset 0
		.amdhsa_user_sgpr_private_segment_size 0
		.amdhsa_uses_dynamic_stack 0
		.amdhsa_system_sgpr_private_segment_wavefront_offset 0
		.amdhsa_system_sgpr_workgroup_id_x 1
		.amdhsa_system_sgpr_workgroup_id_y 0
		.amdhsa_system_sgpr_workgroup_id_z 0
		.amdhsa_system_sgpr_workgroup_info 0
		.amdhsa_system_vgpr_workitem_id 0
		.amdhsa_next_free_vgpr 18
		.amdhsa_next_free_sgpr 8
		.amdhsa_accum_offset 20
		.amdhsa_reserve_vcc 1
		.amdhsa_reserve_flat_scratch 0
		.amdhsa_float_round_mode_32 0
		.amdhsa_float_round_mode_16_64 0
		.amdhsa_float_denorm_mode_32 3
		.amdhsa_float_denorm_mode_16_64 3
		.amdhsa_dx10_clamp 1
		.amdhsa_ieee_mode 1
		.amdhsa_fp16_overflow 0
		.amdhsa_tg_split 0
		.amdhsa_exception_fp_ieee_invalid_op 0
		.amdhsa_exception_fp_denorm_src 0
		.amdhsa_exception_fp_ieee_div_zero 0
		.amdhsa_exception_fp_ieee_overflow 0
		.amdhsa_exception_fp_ieee_underflow 0
		.amdhsa_exception_fp_ieee_inexact 0
		.amdhsa_exception_int_div_zero 0
	.end_amdhsa_kernel
	.section	.text._ZN7rocprim17ROCPRIM_400000_NS6detail17trampoline_kernelINS0_14default_configENS1_38merge_sort_block_merge_config_selectorIsNS0_10empty_typeEEEZZNS1_27merge_sort_block_merge_implIS3_N6thrust23THRUST_200600_302600_NS6detail15normal_iteratorINS9_10device_ptrIsEEEEPS5_m14custom_greaterIsEEE10hipError_tT0_T1_T2_jT3_P12ihipStream_tbPNSt15iterator_traitsISJ_E10value_typeEPNSP_ISK_E10value_typeEPSL_NS1_7vsmem_tEENKUlT_SJ_SK_SL_E_clIPsSE_SF_SF_EESI_SY_SJ_SK_SL_EUlSY_E_NS1_11comp_targetILNS1_3genE4ELNS1_11target_archE910ELNS1_3gpuE8ELNS1_3repE0EEENS1_48merge_mergepath_partition_config_static_selectorELNS0_4arch9wavefront6targetE1EEEvSK_,"axG",@progbits,_ZN7rocprim17ROCPRIM_400000_NS6detail17trampoline_kernelINS0_14default_configENS1_38merge_sort_block_merge_config_selectorIsNS0_10empty_typeEEEZZNS1_27merge_sort_block_merge_implIS3_N6thrust23THRUST_200600_302600_NS6detail15normal_iteratorINS9_10device_ptrIsEEEEPS5_m14custom_greaterIsEEE10hipError_tT0_T1_T2_jT3_P12ihipStream_tbPNSt15iterator_traitsISJ_E10value_typeEPNSP_ISK_E10value_typeEPSL_NS1_7vsmem_tEENKUlT_SJ_SK_SL_E_clIPsSE_SF_SF_EESI_SY_SJ_SK_SL_EUlSY_E_NS1_11comp_targetILNS1_3genE4ELNS1_11target_archE910ELNS1_3gpuE8ELNS1_3repE0EEENS1_48merge_mergepath_partition_config_static_selectorELNS0_4arch9wavefront6targetE1EEEvSK_,comdat
.Lfunc_end2940:
	.size	_ZN7rocprim17ROCPRIM_400000_NS6detail17trampoline_kernelINS0_14default_configENS1_38merge_sort_block_merge_config_selectorIsNS0_10empty_typeEEEZZNS1_27merge_sort_block_merge_implIS3_N6thrust23THRUST_200600_302600_NS6detail15normal_iteratorINS9_10device_ptrIsEEEEPS5_m14custom_greaterIsEEE10hipError_tT0_T1_T2_jT3_P12ihipStream_tbPNSt15iterator_traitsISJ_E10value_typeEPNSP_ISK_E10value_typeEPSL_NS1_7vsmem_tEENKUlT_SJ_SK_SL_E_clIPsSE_SF_SF_EESI_SY_SJ_SK_SL_EUlSY_E_NS1_11comp_targetILNS1_3genE4ELNS1_11target_archE910ELNS1_3gpuE8ELNS1_3repE0EEENS1_48merge_mergepath_partition_config_static_selectorELNS0_4arch9wavefront6targetE1EEEvSK_, .Lfunc_end2940-_ZN7rocprim17ROCPRIM_400000_NS6detail17trampoline_kernelINS0_14default_configENS1_38merge_sort_block_merge_config_selectorIsNS0_10empty_typeEEEZZNS1_27merge_sort_block_merge_implIS3_N6thrust23THRUST_200600_302600_NS6detail15normal_iteratorINS9_10device_ptrIsEEEEPS5_m14custom_greaterIsEEE10hipError_tT0_T1_T2_jT3_P12ihipStream_tbPNSt15iterator_traitsISJ_E10value_typeEPNSP_ISK_E10value_typeEPSL_NS1_7vsmem_tEENKUlT_SJ_SK_SL_E_clIPsSE_SF_SF_EESI_SY_SJ_SK_SL_EUlSY_E_NS1_11comp_targetILNS1_3genE4ELNS1_11target_archE910ELNS1_3gpuE8ELNS1_3repE0EEENS1_48merge_mergepath_partition_config_static_selectorELNS0_4arch9wavefront6targetE1EEEvSK_
                                        ; -- End function
	.section	.AMDGPU.csdata,"",@progbits
; Kernel info:
; codeLenInByte = 496
; NumSgprs: 12
; NumVgprs: 18
; NumAgprs: 0
; TotalNumVgprs: 18
; ScratchSize: 0
; MemoryBound: 0
; FloatMode: 240
; IeeeMode: 1
; LDSByteSize: 0 bytes/workgroup (compile time only)
; SGPRBlocks: 1
; VGPRBlocks: 2
; NumSGPRsForWavesPerEU: 12
; NumVGPRsForWavesPerEU: 18
; AccumOffset: 20
; Occupancy: 8
; WaveLimiterHint : 0
; COMPUTE_PGM_RSRC2:SCRATCH_EN: 0
; COMPUTE_PGM_RSRC2:USER_SGPR: 6
; COMPUTE_PGM_RSRC2:TRAP_HANDLER: 0
; COMPUTE_PGM_RSRC2:TGID_X_EN: 1
; COMPUTE_PGM_RSRC2:TGID_Y_EN: 0
; COMPUTE_PGM_RSRC2:TGID_Z_EN: 0
; COMPUTE_PGM_RSRC2:TIDIG_COMP_CNT: 0
; COMPUTE_PGM_RSRC3_GFX90A:ACCUM_OFFSET: 4
; COMPUTE_PGM_RSRC3_GFX90A:TG_SPLIT: 0
	.section	.text._ZN7rocprim17ROCPRIM_400000_NS6detail17trampoline_kernelINS0_14default_configENS1_38merge_sort_block_merge_config_selectorIsNS0_10empty_typeEEEZZNS1_27merge_sort_block_merge_implIS3_N6thrust23THRUST_200600_302600_NS6detail15normal_iteratorINS9_10device_ptrIsEEEEPS5_m14custom_greaterIsEEE10hipError_tT0_T1_T2_jT3_P12ihipStream_tbPNSt15iterator_traitsISJ_E10value_typeEPNSP_ISK_E10value_typeEPSL_NS1_7vsmem_tEENKUlT_SJ_SK_SL_E_clIPsSE_SF_SF_EESI_SY_SJ_SK_SL_EUlSY_E_NS1_11comp_targetILNS1_3genE3ELNS1_11target_archE908ELNS1_3gpuE7ELNS1_3repE0EEENS1_48merge_mergepath_partition_config_static_selectorELNS0_4arch9wavefront6targetE1EEEvSK_,"axG",@progbits,_ZN7rocprim17ROCPRIM_400000_NS6detail17trampoline_kernelINS0_14default_configENS1_38merge_sort_block_merge_config_selectorIsNS0_10empty_typeEEEZZNS1_27merge_sort_block_merge_implIS3_N6thrust23THRUST_200600_302600_NS6detail15normal_iteratorINS9_10device_ptrIsEEEEPS5_m14custom_greaterIsEEE10hipError_tT0_T1_T2_jT3_P12ihipStream_tbPNSt15iterator_traitsISJ_E10value_typeEPNSP_ISK_E10value_typeEPSL_NS1_7vsmem_tEENKUlT_SJ_SK_SL_E_clIPsSE_SF_SF_EESI_SY_SJ_SK_SL_EUlSY_E_NS1_11comp_targetILNS1_3genE3ELNS1_11target_archE908ELNS1_3gpuE7ELNS1_3repE0EEENS1_48merge_mergepath_partition_config_static_selectorELNS0_4arch9wavefront6targetE1EEEvSK_,comdat
	.protected	_ZN7rocprim17ROCPRIM_400000_NS6detail17trampoline_kernelINS0_14default_configENS1_38merge_sort_block_merge_config_selectorIsNS0_10empty_typeEEEZZNS1_27merge_sort_block_merge_implIS3_N6thrust23THRUST_200600_302600_NS6detail15normal_iteratorINS9_10device_ptrIsEEEEPS5_m14custom_greaterIsEEE10hipError_tT0_T1_T2_jT3_P12ihipStream_tbPNSt15iterator_traitsISJ_E10value_typeEPNSP_ISK_E10value_typeEPSL_NS1_7vsmem_tEENKUlT_SJ_SK_SL_E_clIPsSE_SF_SF_EESI_SY_SJ_SK_SL_EUlSY_E_NS1_11comp_targetILNS1_3genE3ELNS1_11target_archE908ELNS1_3gpuE7ELNS1_3repE0EEENS1_48merge_mergepath_partition_config_static_selectorELNS0_4arch9wavefront6targetE1EEEvSK_ ; -- Begin function _ZN7rocprim17ROCPRIM_400000_NS6detail17trampoline_kernelINS0_14default_configENS1_38merge_sort_block_merge_config_selectorIsNS0_10empty_typeEEEZZNS1_27merge_sort_block_merge_implIS3_N6thrust23THRUST_200600_302600_NS6detail15normal_iteratorINS9_10device_ptrIsEEEEPS5_m14custom_greaterIsEEE10hipError_tT0_T1_T2_jT3_P12ihipStream_tbPNSt15iterator_traitsISJ_E10value_typeEPNSP_ISK_E10value_typeEPSL_NS1_7vsmem_tEENKUlT_SJ_SK_SL_E_clIPsSE_SF_SF_EESI_SY_SJ_SK_SL_EUlSY_E_NS1_11comp_targetILNS1_3genE3ELNS1_11target_archE908ELNS1_3gpuE7ELNS1_3repE0EEENS1_48merge_mergepath_partition_config_static_selectorELNS0_4arch9wavefront6targetE1EEEvSK_
	.globl	_ZN7rocprim17ROCPRIM_400000_NS6detail17trampoline_kernelINS0_14default_configENS1_38merge_sort_block_merge_config_selectorIsNS0_10empty_typeEEEZZNS1_27merge_sort_block_merge_implIS3_N6thrust23THRUST_200600_302600_NS6detail15normal_iteratorINS9_10device_ptrIsEEEEPS5_m14custom_greaterIsEEE10hipError_tT0_T1_T2_jT3_P12ihipStream_tbPNSt15iterator_traitsISJ_E10value_typeEPNSP_ISK_E10value_typeEPSL_NS1_7vsmem_tEENKUlT_SJ_SK_SL_E_clIPsSE_SF_SF_EESI_SY_SJ_SK_SL_EUlSY_E_NS1_11comp_targetILNS1_3genE3ELNS1_11target_archE908ELNS1_3gpuE7ELNS1_3repE0EEENS1_48merge_mergepath_partition_config_static_selectorELNS0_4arch9wavefront6targetE1EEEvSK_
	.p2align	8
	.type	_ZN7rocprim17ROCPRIM_400000_NS6detail17trampoline_kernelINS0_14default_configENS1_38merge_sort_block_merge_config_selectorIsNS0_10empty_typeEEEZZNS1_27merge_sort_block_merge_implIS3_N6thrust23THRUST_200600_302600_NS6detail15normal_iteratorINS9_10device_ptrIsEEEEPS5_m14custom_greaterIsEEE10hipError_tT0_T1_T2_jT3_P12ihipStream_tbPNSt15iterator_traitsISJ_E10value_typeEPNSP_ISK_E10value_typeEPSL_NS1_7vsmem_tEENKUlT_SJ_SK_SL_E_clIPsSE_SF_SF_EESI_SY_SJ_SK_SL_EUlSY_E_NS1_11comp_targetILNS1_3genE3ELNS1_11target_archE908ELNS1_3gpuE7ELNS1_3repE0EEENS1_48merge_mergepath_partition_config_static_selectorELNS0_4arch9wavefront6targetE1EEEvSK_,@function
_ZN7rocprim17ROCPRIM_400000_NS6detail17trampoline_kernelINS0_14default_configENS1_38merge_sort_block_merge_config_selectorIsNS0_10empty_typeEEEZZNS1_27merge_sort_block_merge_implIS3_N6thrust23THRUST_200600_302600_NS6detail15normal_iteratorINS9_10device_ptrIsEEEEPS5_m14custom_greaterIsEEE10hipError_tT0_T1_T2_jT3_P12ihipStream_tbPNSt15iterator_traitsISJ_E10value_typeEPNSP_ISK_E10value_typeEPSL_NS1_7vsmem_tEENKUlT_SJ_SK_SL_E_clIPsSE_SF_SF_EESI_SY_SJ_SK_SL_EUlSY_E_NS1_11comp_targetILNS1_3genE3ELNS1_11target_archE908ELNS1_3gpuE7ELNS1_3repE0EEENS1_48merge_mergepath_partition_config_static_selectorELNS0_4arch9wavefront6targetE1EEEvSK_: ; @_ZN7rocprim17ROCPRIM_400000_NS6detail17trampoline_kernelINS0_14default_configENS1_38merge_sort_block_merge_config_selectorIsNS0_10empty_typeEEEZZNS1_27merge_sort_block_merge_implIS3_N6thrust23THRUST_200600_302600_NS6detail15normal_iteratorINS9_10device_ptrIsEEEEPS5_m14custom_greaterIsEEE10hipError_tT0_T1_T2_jT3_P12ihipStream_tbPNSt15iterator_traitsISJ_E10value_typeEPNSP_ISK_E10value_typeEPSL_NS1_7vsmem_tEENKUlT_SJ_SK_SL_E_clIPsSE_SF_SF_EESI_SY_SJ_SK_SL_EUlSY_E_NS1_11comp_targetILNS1_3genE3ELNS1_11target_archE908ELNS1_3gpuE7ELNS1_3repE0EEENS1_48merge_mergepath_partition_config_static_selectorELNS0_4arch9wavefront6targetE1EEEvSK_
; %bb.0:
	.section	.rodata,"a",@progbits
	.p2align	6, 0x0
	.amdhsa_kernel _ZN7rocprim17ROCPRIM_400000_NS6detail17trampoline_kernelINS0_14default_configENS1_38merge_sort_block_merge_config_selectorIsNS0_10empty_typeEEEZZNS1_27merge_sort_block_merge_implIS3_N6thrust23THRUST_200600_302600_NS6detail15normal_iteratorINS9_10device_ptrIsEEEEPS5_m14custom_greaterIsEEE10hipError_tT0_T1_T2_jT3_P12ihipStream_tbPNSt15iterator_traitsISJ_E10value_typeEPNSP_ISK_E10value_typeEPSL_NS1_7vsmem_tEENKUlT_SJ_SK_SL_E_clIPsSE_SF_SF_EESI_SY_SJ_SK_SL_EUlSY_E_NS1_11comp_targetILNS1_3genE3ELNS1_11target_archE908ELNS1_3gpuE7ELNS1_3repE0EEENS1_48merge_mergepath_partition_config_static_selectorELNS0_4arch9wavefront6targetE1EEEvSK_
		.amdhsa_group_segment_fixed_size 0
		.amdhsa_private_segment_fixed_size 0
		.amdhsa_kernarg_size 48
		.amdhsa_user_sgpr_count 6
		.amdhsa_user_sgpr_private_segment_buffer 1
		.amdhsa_user_sgpr_dispatch_ptr 0
		.amdhsa_user_sgpr_queue_ptr 0
		.amdhsa_user_sgpr_kernarg_segment_ptr 1
		.amdhsa_user_sgpr_dispatch_id 0
		.amdhsa_user_sgpr_flat_scratch_init 0
		.amdhsa_user_sgpr_kernarg_preload_length 0
		.amdhsa_user_sgpr_kernarg_preload_offset 0
		.amdhsa_user_sgpr_private_segment_size 0
		.amdhsa_uses_dynamic_stack 0
		.amdhsa_system_sgpr_private_segment_wavefront_offset 0
		.amdhsa_system_sgpr_workgroup_id_x 1
		.amdhsa_system_sgpr_workgroup_id_y 0
		.amdhsa_system_sgpr_workgroup_id_z 0
		.amdhsa_system_sgpr_workgroup_info 0
		.amdhsa_system_vgpr_workitem_id 0
		.amdhsa_next_free_vgpr 1
		.amdhsa_next_free_sgpr 0
		.amdhsa_accum_offset 4
		.amdhsa_reserve_vcc 0
		.amdhsa_reserve_flat_scratch 0
		.amdhsa_float_round_mode_32 0
		.amdhsa_float_round_mode_16_64 0
		.amdhsa_float_denorm_mode_32 3
		.amdhsa_float_denorm_mode_16_64 3
		.amdhsa_dx10_clamp 1
		.amdhsa_ieee_mode 1
		.amdhsa_fp16_overflow 0
		.amdhsa_tg_split 0
		.amdhsa_exception_fp_ieee_invalid_op 0
		.amdhsa_exception_fp_denorm_src 0
		.amdhsa_exception_fp_ieee_div_zero 0
		.amdhsa_exception_fp_ieee_overflow 0
		.amdhsa_exception_fp_ieee_underflow 0
		.amdhsa_exception_fp_ieee_inexact 0
		.amdhsa_exception_int_div_zero 0
	.end_amdhsa_kernel
	.section	.text._ZN7rocprim17ROCPRIM_400000_NS6detail17trampoline_kernelINS0_14default_configENS1_38merge_sort_block_merge_config_selectorIsNS0_10empty_typeEEEZZNS1_27merge_sort_block_merge_implIS3_N6thrust23THRUST_200600_302600_NS6detail15normal_iteratorINS9_10device_ptrIsEEEEPS5_m14custom_greaterIsEEE10hipError_tT0_T1_T2_jT3_P12ihipStream_tbPNSt15iterator_traitsISJ_E10value_typeEPNSP_ISK_E10value_typeEPSL_NS1_7vsmem_tEENKUlT_SJ_SK_SL_E_clIPsSE_SF_SF_EESI_SY_SJ_SK_SL_EUlSY_E_NS1_11comp_targetILNS1_3genE3ELNS1_11target_archE908ELNS1_3gpuE7ELNS1_3repE0EEENS1_48merge_mergepath_partition_config_static_selectorELNS0_4arch9wavefront6targetE1EEEvSK_,"axG",@progbits,_ZN7rocprim17ROCPRIM_400000_NS6detail17trampoline_kernelINS0_14default_configENS1_38merge_sort_block_merge_config_selectorIsNS0_10empty_typeEEEZZNS1_27merge_sort_block_merge_implIS3_N6thrust23THRUST_200600_302600_NS6detail15normal_iteratorINS9_10device_ptrIsEEEEPS5_m14custom_greaterIsEEE10hipError_tT0_T1_T2_jT3_P12ihipStream_tbPNSt15iterator_traitsISJ_E10value_typeEPNSP_ISK_E10value_typeEPSL_NS1_7vsmem_tEENKUlT_SJ_SK_SL_E_clIPsSE_SF_SF_EESI_SY_SJ_SK_SL_EUlSY_E_NS1_11comp_targetILNS1_3genE3ELNS1_11target_archE908ELNS1_3gpuE7ELNS1_3repE0EEENS1_48merge_mergepath_partition_config_static_selectorELNS0_4arch9wavefront6targetE1EEEvSK_,comdat
.Lfunc_end2941:
	.size	_ZN7rocprim17ROCPRIM_400000_NS6detail17trampoline_kernelINS0_14default_configENS1_38merge_sort_block_merge_config_selectorIsNS0_10empty_typeEEEZZNS1_27merge_sort_block_merge_implIS3_N6thrust23THRUST_200600_302600_NS6detail15normal_iteratorINS9_10device_ptrIsEEEEPS5_m14custom_greaterIsEEE10hipError_tT0_T1_T2_jT3_P12ihipStream_tbPNSt15iterator_traitsISJ_E10value_typeEPNSP_ISK_E10value_typeEPSL_NS1_7vsmem_tEENKUlT_SJ_SK_SL_E_clIPsSE_SF_SF_EESI_SY_SJ_SK_SL_EUlSY_E_NS1_11comp_targetILNS1_3genE3ELNS1_11target_archE908ELNS1_3gpuE7ELNS1_3repE0EEENS1_48merge_mergepath_partition_config_static_selectorELNS0_4arch9wavefront6targetE1EEEvSK_, .Lfunc_end2941-_ZN7rocprim17ROCPRIM_400000_NS6detail17trampoline_kernelINS0_14default_configENS1_38merge_sort_block_merge_config_selectorIsNS0_10empty_typeEEEZZNS1_27merge_sort_block_merge_implIS3_N6thrust23THRUST_200600_302600_NS6detail15normal_iteratorINS9_10device_ptrIsEEEEPS5_m14custom_greaterIsEEE10hipError_tT0_T1_T2_jT3_P12ihipStream_tbPNSt15iterator_traitsISJ_E10value_typeEPNSP_ISK_E10value_typeEPSL_NS1_7vsmem_tEENKUlT_SJ_SK_SL_E_clIPsSE_SF_SF_EESI_SY_SJ_SK_SL_EUlSY_E_NS1_11comp_targetILNS1_3genE3ELNS1_11target_archE908ELNS1_3gpuE7ELNS1_3repE0EEENS1_48merge_mergepath_partition_config_static_selectorELNS0_4arch9wavefront6targetE1EEEvSK_
                                        ; -- End function
	.section	.AMDGPU.csdata,"",@progbits
; Kernel info:
; codeLenInByte = 0
; NumSgprs: 4
; NumVgprs: 0
; NumAgprs: 0
; TotalNumVgprs: 0
; ScratchSize: 0
; MemoryBound: 0
; FloatMode: 240
; IeeeMode: 1
; LDSByteSize: 0 bytes/workgroup (compile time only)
; SGPRBlocks: 0
; VGPRBlocks: 0
; NumSGPRsForWavesPerEU: 4
; NumVGPRsForWavesPerEU: 1
; AccumOffset: 4
; Occupancy: 8
; WaveLimiterHint : 0
; COMPUTE_PGM_RSRC2:SCRATCH_EN: 0
; COMPUTE_PGM_RSRC2:USER_SGPR: 6
; COMPUTE_PGM_RSRC2:TRAP_HANDLER: 0
; COMPUTE_PGM_RSRC2:TGID_X_EN: 1
; COMPUTE_PGM_RSRC2:TGID_Y_EN: 0
; COMPUTE_PGM_RSRC2:TGID_Z_EN: 0
; COMPUTE_PGM_RSRC2:TIDIG_COMP_CNT: 0
; COMPUTE_PGM_RSRC3_GFX90A:ACCUM_OFFSET: 0
; COMPUTE_PGM_RSRC3_GFX90A:TG_SPLIT: 0
	.section	.text._ZN7rocprim17ROCPRIM_400000_NS6detail17trampoline_kernelINS0_14default_configENS1_38merge_sort_block_merge_config_selectorIsNS0_10empty_typeEEEZZNS1_27merge_sort_block_merge_implIS3_N6thrust23THRUST_200600_302600_NS6detail15normal_iteratorINS9_10device_ptrIsEEEEPS5_m14custom_greaterIsEEE10hipError_tT0_T1_T2_jT3_P12ihipStream_tbPNSt15iterator_traitsISJ_E10value_typeEPNSP_ISK_E10value_typeEPSL_NS1_7vsmem_tEENKUlT_SJ_SK_SL_E_clIPsSE_SF_SF_EESI_SY_SJ_SK_SL_EUlSY_E_NS1_11comp_targetILNS1_3genE2ELNS1_11target_archE906ELNS1_3gpuE6ELNS1_3repE0EEENS1_48merge_mergepath_partition_config_static_selectorELNS0_4arch9wavefront6targetE1EEEvSK_,"axG",@progbits,_ZN7rocprim17ROCPRIM_400000_NS6detail17trampoline_kernelINS0_14default_configENS1_38merge_sort_block_merge_config_selectorIsNS0_10empty_typeEEEZZNS1_27merge_sort_block_merge_implIS3_N6thrust23THRUST_200600_302600_NS6detail15normal_iteratorINS9_10device_ptrIsEEEEPS5_m14custom_greaterIsEEE10hipError_tT0_T1_T2_jT3_P12ihipStream_tbPNSt15iterator_traitsISJ_E10value_typeEPNSP_ISK_E10value_typeEPSL_NS1_7vsmem_tEENKUlT_SJ_SK_SL_E_clIPsSE_SF_SF_EESI_SY_SJ_SK_SL_EUlSY_E_NS1_11comp_targetILNS1_3genE2ELNS1_11target_archE906ELNS1_3gpuE6ELNS1_3repE0EEENS1_48merge_mergepath_partition_config_static_selectorELNS0_4arch9wavefront6targetE1EEEvSK_,comdat
	.protected	_ZN7rocprim17ROCPRIM_400000_NS6detail17trampoline_kernelINS0_14default_configENS1_38merge_sort_block_merge_config_selectorIsNS0_10empty_typeEEEZZNS1_27merge_sort_block_merge_implIS3_N6thrust23THRUST_200600_302600_NS6detail15normal_iteratorINS9_10device_ptrIsEEEEPS5_m14custom_greaterIsEEE10hipError_tT0_T1_T2_jT3_P12ihipStream_tbPNSt15iterator_traitsISJ_E10value_typeEPNSP_ISK_E10value_typeEPSL_NS1_7vsmem_tEENKUlT_SJ_SK_SL_E_clIPsSE_SF_SF_EESI_SY_SJ_SK_SL_EUlSY_E_NS1_11comp_targetILNS1_3genE2ELNS1_11target_archE906ELNS1_3gpuE6ELNS1_3repE0EEENS1_48merge_mergepath_partition_config_static_selectorELNS0_4arch9wavefront6targetE1EEEvSK_ ; -- Begin function _ZN7rocprim17ROCPRIM_400000_NS6detail17trampoline_kernelINS0_14default_configENS1_38merge_sort_block_merge_config_selectorIsNS0_10empty_typeEEEZZNS1_27merge_sort_block_merge_implIS3_N6thrust23THRUST_200600_302600_NS6detail15normal_iteratorINS9_10device_ptrIsEEEEPS5_m14custom_greaterIsEEE10hipError_tT0_T1_T2_jT3_P12ihipStream_tbPNSt15iterator_traitsISJ_E10value_typeEPNSP_ISK_E10value_typeEPSL_NS1_7vsmem_tEENKUlT_SJ_SK_SL_E_clIPsSE_SF_SF_EESI_SY_SJ_SK_SL_EUlSY_E_NS1_11comp_targetILNS1_3genE2ELNS1_11target_archE906ELNS1_3gpuE6ELNS1_3repE0EEENS1_48merge_mergepath_partition_config_static_selectorELNS0_4arch9wavefront6targetE1EEEvSK_
	.globl	_ZN7rocprim17ROCPRIM_400000_NS6detail17trampoline_kernelINS0_14default_configENS1_38merge_sort_block_merge_config_selectorIsNS0_10empty_typeEEEZZNS1_27merge_sort_block_merge_implIS3_N6thrust23THRUST_200600_302600_NS6detail15normal_iteratorINS9_10device_ptrIsEEEEPS5_m14custom_greaterIsEEE10hipError_tT0_T1_T2_jT3_P12ihipStream_tbPNSt15iterator_traitsISJ_E10value_typeEPNSP_ISK_E10value_typeEPSL_NS1_7vsmem_tEENKUlT_SJ_SK_SL_E_clIPsSE_SF_SF_EESI_SY_SJ_SK_SL_EUlSY_E_NS1_11comp_targetILNS1_3genE2ELNS1_11target_archE906ELNS1_3gpuE6ELNS1_3repE0EEENS1_48merge_mergepath_partition_config_static_selectorELNS0_4arch9wavefront6targetE1EEEvSK_
	.p2align	8
	.type	_ZN7rocprim17ROCPRIM_400000_NS6detail17trampoline_kernelINS0_14default_configENS1_38merge_sort_block_merge_config_selectorIsNS0_10empty_typeEEEZZNS1_27merge_sort_block_merge_implIS3_N6thrust23THRUST_200600_302600_NS6detail15normal_iteratorINS9_10device_ptrIsEEEEPS5_m14custom_greaterIsEEE10hipError_tT0_T1_T2_jT3_P12ihipStream_tbPNSt15iterator_traitsISJ_E10value_typeEPNSP_ISK_E10value_typeEPSL_NS1_7vsmem_tEENKUlT_SJ_SK_SL_E_clIPsSE_SF_SF_EESI_SY_SJ_SK_SL_EUlSY_E_NS1_11comp_targetILNS1_3genE2ELNS1_11target_archE906ELNS1_3gpuE6ELNS1_3repE0EEENS1_48merge_mergepath_partition_config_static_selectorELNS0_4arch9wavefront6targetE1EEEvSK_,@function
_ZN7rocprim17ROCPRIM_400000_NS6detail17trampoline_kernelINS0_14default_configENS1_38merge_sort_block_merge_config_selectorIsNS0_10empty_typeEEEZZNS1_27merge_sort_block_merge_implIS3_N6thrust23THRUST_200600_302600_NS6detail15normal_iteratorINS9_10device_ptrIsEEEEPS5_m14custom_greaterIsEEE10hipError_tT0_T1_T2_jT3_P12ihipStream_tbPNSt15iterator_traitsISJ_E10value_typeEPNSP_ISK_E10value_typeEPSL_NS1_7vsmem_tEENKUlT_SJ_SK_SL_E_clIPsSE_SF_SF_EESI_SY_SJ_SK_SL_EUlSY_E_NS1_11comp_targetILNS1_3genE2ELNS1_11target_archE906ELNS1_3gpuE6ELNS1_3repE0EEENS1_48merge_mergepath_partition_config_static_selectorELNS0_4arch9wavefront6targetE1EEEvSK_: ; @_ZN7rocprim17ROCPRIM_400000_NS6detail17trampoline_kernelINS0_14default_configENS1_38merge_sort_block_merge_config_selectorIsNS0_10empty_typeEEEZZNS1_27merge_sort_block_merge_implIS3_N6thrust23THRUST_200600_302600_NS6detail15normal_iteratorINS9_10device_ptrIsEEEEPS5_m14custom_greaterIsEEE10hipError_tT0_T1_T2_jT3_P12ihipStream_tbPNSt15iterator_traitsISJ_E10value_typeEPNSP_ISK_E10value_typeEPSL_NS1_7vsmem_tEENKUlT_SJ_SK_SL_E_clIPsSE_SF_SF_EESI_SY_SJ_SK_SL_EUlSY_E_NS1_11comp_targetILNS1_3genE2ELNS1_11target_archE906ELNS1_3gpuE6ELNS1_3repE0EEENS1_48merge_mergepath_partition_config_static_selectorELNS0_4arch9wavefront6targetE1EEEvSK_
; %bb.0:
	.section	.rodata,"a",@progbits
	.p2align	6, 0x0
	.amdhsa_kernel _ZN7rocprim17ROCPRIM_400000_NS6detail17trampoline_kernelINS0_14default_configENS1_38merge_sort_block_merge_config_selectorIsNS0_10empty_typeEEEZZNS1_27merge_sort_block_merge_implIS3_N6thrust23THRUST_200600_302600_NS6detail15normal_iteratorINS9_10device_ptrIsEEEEPS5_m14custom_greaterIsEEE10hipError_tT0_T1_T2_jT3_P12ihipStream_tbPNSt15iterator_traitsISJ_E10value_typeEPNSP_ISK_E10value_typeEPSL_NS1_7vsmem_tEENKUlT_SJ_SK_SL_E_clIPsSE_SF_SF_EESI_SY_SJ_SK_SL_EUlSY_E_NS1_11comp_targetILNS1_3genE2ELNS1_11target_archE906ELNS1_3gpuE6ELNS1_3repE0EEENS1_48merge_mergepath_partition_config_static_selectorELNS0_4arch9wavefront6targetE1EEEvSK_
		.amdhsa_group_segment_fixed_size 0
		.amdhsa_private_segment_fixed_size 0
		.amdhsa_kernarg_size 48
		.amdhsa_user_sgpr_count 6
		.amdhsa_user_sgpr_private_segment_buffer 1
		.amdhsa_user_sgpr_dispatch_ptr 0
		.amdhsa_user_sgpr_queue_ptr 0
		.amdhsa_user_sgpr_kernarg_segment_ptr 1
		.amdhsa_user_sgpr_dispatch_id 0
		.amdhsa_user_sgpr_flat_scratch_init 0
		.amdhsa_user_sgpr_kernarg_preload_length 0
		.amdhsa_user_sgpr_kernarg_preload_offset 0
		.amdhsa_user_sgpr_private_segment_size 0
		.amdhsa_uses_dynamic_stack 0
		.amdhsa_system_sgpr_private_segment_wavefront_offset 0
		.amdhsa_system_sgpr_workgroup_id_x 1
		.amdhsa_system_sgpr_workgroup_id_y 0
		.amdhsa_system_sgpr_workgroup_id_z 0
		.amdhsa_system_sgpr_workgroup_info 0
		.amdhsa_system_vgpr_workitem_id 0
		.amdhsa_next_free_vgpr 1
		.amdhsa_next_free_sgpr 0
		.amdhsa_accum_offset 4
		.amdhsa_reserve_vcc 0
		.amdhsa_reserve_flat_scratch 0
		.amdhsa_float_round_mode_32 0
		.amdhsa_float_round_mode_16_64 0
		.amdhsa_float_denorm_mode_32 3
		.amdhsa_float_denorm_mode_16_64 3
		.amdhsa_dx10_clamp 1
		.amdhsa_ieee_mode 1
		.amdhsa_fp16_overflow 0
		.amdhsa_tg_split 0
		.amdhsa_exception_fp_ieee_invalid_op 0
		.amdhsa_exception_fp_denorm_src 0
		.amdhsa_exception_fp_ieee_div_zero 0
		.amdhsa_exception_fp_ieee_overflow 0
		.amdhsa_exception_fp_ieee_underflow 0
		.amdhsa_exception_fp_ieee_inexact 0
		.amdhsa_exception_int_div_zero 0
	.end_amdhsa_kernel
	.section	.text._ZN7rocprim17ROCPRIM_400000_NS6detail17trampoline_kernelINS0_14default_configENS1_38merge_sort_block_merge_config_selectorIsNS0_10empty_typeEEEZZNS1_27merge_sort_block_merge_implIS3_N6thrust23THRUST_200600_302600_NS6detail15normal_iteratorINS9_10device_ptrIsEEEEPS5_m14custom_greaterIsEEE10hipError_tT0_T1_T2_jT3_P12ihipStream_tbPNSt15iterator_traitsISJ_E10value_typeEPNSP_ISK_E10value_typeEPSL_NS1_7vsmem_tEENKUlT_SJ_SK_SL_E_clIPsSE_SF_SF_EESI_SY_SJ_SK_SL_EUlSY_E_NS1_11comp_targetILNS1_3genE2ELNS1_11target_archE906ELNS1_3gpuE6ELNS1_3repE0EEENS1_48merge_mergepath_partition_config_static_selectorELNS0_4arch9wavefront6targetE1EEEvSK_,"axG",@progbits,_ZN7rocprim17ROCPRIM_400000_NS6detail17trampoline_kernelINS0_14default_configENS1_38merge_sort_block_merge_config_selectorIsNS0_10empty_typeEEEZZNS1_27merge_sort_block_merge_implIS3_N6thrust23THRUST_200600_302600_NS6detail15normal_iteratorINS9_10device_ptrIsEEEEPS5_m14custom_greaterIsEEE10hipError_tT0_T1_T2_jT3_P12ihipStream_tbPNSt15iterator_traitsISJ_E10value_typeEPNSP_ISK_E10value_typeEPSL_NS1_7vsmem_tEENKUlT_SJ_SK_SL_E_clIPsSE_SF_SF_EESI_SY_SJ_SK_SL_EUlSY_E_NS1_11comp_targetILNS1_3genE2ELNS1_11target_archE906ELNS1_3gpuE6ELNS1_3repE0EEENS1_48merge_mergepath_partition_config_static_selectorELNS0_4arch9wavefront6targetE1EEEvSK_,comdat
.Lfunc_end2942:
	.size	_ZN7rocprim17ROCPRIM_400000_NS6detail17trampoline_kernelINS0_14default_configENS1_38merge_sort_block_merge_config_selectorIsNS0_10empty_typeEEEZZNS1_27merge_sort_block_merge_implIS3_N6thrust23THRUST_200600_302600_NS6detail15normal_iteratorINS9_10device_ptrIsEEEEPS5_m14custom_greaterIsEEE10hipError_tT0_T1_T2_jT3_P12ihipStream_tbPNSt15iterator_traitsISJ_E10value_typeEPNSP_ISK_E10value_typeEPSL_NS1_7vsmem_tEENKUlT_SJ_SK_SL_E_clIPsSE_SF_SF_EESI_SY_SJ_SK_SL_EUlSY_E_NS1_11comp_targetILNS1_3genE2ELNS1_11target_archE906ELNS1_3gpuE6ELNS1_3repE0EEENS1_48merge_mergepath_partition_config_static_selectorELNS0_4arch9wavefront6targetE1EEEvSK_, .Lfunc_end2942-_ZN7rocprim17ROCPRIM_400000_NS6detail17trampoline_kernelINS0_14default_configENS1_38merge_sort_block_merge_config_selectorIsNS0_10empty_typeEEEZZNS1_27merge_sort_block_merge_implIS3_N6thrust23THRUST_200600_302600_NS6detail15normal_iteratorINS9_10device_ptrIsEEEEPS5_m14custom_greaterIsEEE10hipError_tT0_T1_T2_jT3_P12ihipStream_tbPNSt15iterator_traitsISJ_E10value_typeEPNSP_ISK_E10value_typeEPSL_NS1_7vsmem_tEENKUlT_SJ_SK_SL_E_clIPsSE_SF_SF_EESI_SY_SJ_SK_SL_EUlSY_E_NS1_11comp_targetILNS1_3genE2ELNS1_11target_archE906ELNS1_3gpuE6ELNS1_3repE0EEENS1_48merge_mergepath_partition_config_static_selectorELNS0_4arch9wavefront6targetE1EEEvSK_
                                        ; -- End function
	.section	.AMDGPU.csdata,"",@progbits
; Kernel info:
; codeLenInByte = 0
; NumSgprs: 4
; NumVgprs: 0
; NumAgprs: 0
; TotalNumVgprs: 0
; ScratchSize: 0
; MemoryBound: 0
; FloatMode: 240
; IeeeMode: 1
; LDSByteSize: 0 bytes/workgroup (compile time only)
; SGPRBlocks: 0
; VGPRBlocks: 0
; NumSGPRsForWavesPerEU: 4
; NumVGPRsForWavesPerEU: 1
; AccumOffset: 4
; Occupancy: 8
; WaveLimiterHint : 0
; COMPUTE_PGM_RSRC2:SCRATCH_EN: 0
; COMPUTE_PGM_RSRC2:USER_SGPR: 6
; COMPUTE_PGM_RSRC2:TRAP_HANDLER: 0
; COMPUTE_PGM_RSRC2:TGID_X_EN: 1
; COMPUTE_PGM_RSRC2:TGID_Y_EN: 0
; COMPUTE_PGM_RSRC2:TGID_Z_EN: 0
; COMPUTE_PGM_RSRC2:TIDIG_COMP_CNT: 0
; COMPUTE_PGM_RSRC3_GFX90A:ACCUM_OFFSET: 0
; COMPUTE_PGM_RSRC3_GFX90A:TG_SPLIT: 0
	.section	.text._ZN7rocprim17ROCPRIM_400000_NS6detail17trampoline_kernelINS0_14default_configENS1_38merge_sort_block_merge_config_selectorIsNS0_10empty_typeEEEZZNS1_27merge_sort_block_merge_implIS3_N6thrust23THRUST_200600_302600_NS6detail15normal_iteratorINS9_10device_ptrIsEEEEPS5_m14custom_greaterIsEEE10hipError_tT0_T1_T2_jT3_P12ihipStream_tbPNSt15iterator_traitsISJ_E10value_typeEPNSP_ISK_E10value_typeEPSL_NS1_7vsmem_tEENKUlT_SJ_SK_SL_E_clIPsSE_SF_SF_EESI_SY_SJ_SK_SL_EUlSY_E_NS1_11comp_targetILNS1_3genE9ELNS1_11target_archE1100ELNS1_3gpuE3ELNS1_3repE0EEENS1_48merge_mergepath_partition_config_static_selectorELNS0_4arch9wavefront6targetE1EEEvSK_,"axG",@progbits,_ZN7rocprim17ROCPRIM_400000_NS6detail17trampoline_kernelINS0_14default_configENS1_38merge_sort_block_merge_config_selectorIsNS0_10empty_typeEEEZZNS1_27merge_sort_block_merge_implIS3_N6thrust23THRUST_200600_302600_NS6detail15normal_iteratorINS9_10device_ptrIsEEEEPS5_m14custom_greaterIsEEE10hipError_tT0_T1_T2_jT3_P12ihipStream_tbPNSt15iterator_traitsISJ_E10value_typeEPNSP_ISK_E10value_typeEPSL_NS1_7vsmem_tEENKUlT_SJ_SK_SL_E_clIPsSE_SF_SF_EESI_SY_SJ_SK_SL_EUlSY_E_NS1_11comp_targetILNS1_3genE9ELNS1_11target_archE1100ELNS1_3gpuE3ELNS1_3repE0EEENS1_48merge_mergepath_partition_config_static_selectorELNS0_4arch9wavefront6targetE1EEEvSK_,comdat
	.protected	_ZN7rocprim17ROCPRIM_400000_NS6detail17trampoline_kernelINS0_14default_configENS1_38merge_sort_block_merge_config_selectorIsNS0_10empty_typeEEEZZNS1_27merge_sort_block_merge_implIS3_N6thrust23THRUST_200600_302600_NS6detail15normal_iteratorINS9_10device_ptrIsEEEEPS5_m14custom_greaterIsEEE10hipError_tT0_T1_T2_jT3_P12ihipStream_tbPNSt15iterator_traitsISJ_E10value_typeEPNSP_ISK_E10value_typeEPSL_NS1_7vsmem_tEENKUlT_SJ_SK_SL_E_clIPsSE_SF_SF_EESI_SY_SJ_SK_SL_EUlSY_E_NS1_11comp_targetILNS1_3genE9ELNS1_11target_archE1100ELNS1_3gpuE3ELNS1_3repE0EEENS1_48merge_mergepath_partition_config_static_selectorELNS0_4arch9wavefront6targetE1EEEvSK_ ; -- Begin function _ZN7rocprim17ROCPRIM_400000_NS6detail17trampoline_kernelINS0_14default_configENS1_38merge_sort_block_merge_config_selectorIsNS0_10empty_typeEEEZZNS1_27merge_sort_block_merge_implIS3_N6thrust23THRUST_200600_302600_NS6detail15normal_iteratorINS9_10device_ptrIsEEEEPS5_m14custom_greaterIsEEE10hipError_tT0_T1_T2_jT3_P12ihipStream_tbPNSt15iterator_traitsISJ_E10value_typeEPNSP_ISK_E10value_typeEPSL_NS1_7vsmem_tEENKUlT_SJ_SK_SL_E_clIPsSE_SF_SF_EESI_SY_SJ_SK_SL_EUlSY_E_NS1_11comp_targetILNS1_3genE9ELNS1_11target_archE1100ELNS1_3gpuE3ELNS1_3repE0EEENS1_48merge_mergepath_partition_config_static_selectorELNS0_4arch9wavefront6targetE1EEEvSK_
	.globl	_ZN7rocprim17ROCPRIM_400000_NS6detail17trampoline_kernelINS0_14default_configENS1_38merge_sort_block_merge_config_selectorIsNS0_10empty_typeEEEZZNS1_27merge_sort_block_merge_implIS3_N6thrust23THRUST_200600_302600_NS6detail15normal_iteratorINS9_10device_ptrIsEEEEPS5_m14custom_greaterIsEEE10hipError_tT0_T1_T2_jT3_P12ihipStream_tbPNSt15iterator_traitsISJ_E10value_typeEPNSP_ISK_E10value_typeEPSL_NS1_7vsmem_tEENKUlT_SJ_SK_SL_E_clIPsSE_SF_SF_EESI_SY_SJ_SK_SL_EUlSY_E_NS1_11comp_targetILNS1_3genE9ELNS1_11target_archE1100ELNS1_3gpuE3ELNS1_3repE0EEENS1_48merge_mergepath_partition_config_static_selectorELNS0_4arch9wavefront6targetE1EEEvSK_
	.p2align	8
	.type	_ZN7rocprim17ROCPRIM_400000_NS6detail17trampoline_kernelINS0_14default_configENS1_38merge_sort_block_merge_config_selectorIsNS0_10empty_typeEEEZZNS1_27merge_sort_block_merge_implIS3_N6thrust23THRUST_200600_302600_NS6detail15normal_iteratorINS9_10device_ptrIsEEEEPS5_m14custom_greaterIsEEE10hipError_tT0_T1_T2_jT3_P12ihipStream_tbPNSt15iterator_traitsISJ_E10value_typeEPNSP_ISK_E10value_typeEPSL_NS1_7vsmem_tEENKUlT_SJ_SK_SL_E_clIPsSE_SF_SF_EESI_SY_SJ_SK_SL_EUlSY_E_NS1_11comp_targetILNS1_3genE9ELNS1_11target_archE1100ELNS1_3gpuE3ELNS1_3repE0EEENS1_48merge_mergepath_partition_config_static_selectorELNS0_4arch9wavefront6targetE1EEEvSK_,@function
_ZN7rocprim17ROCPRIM_400000_NS6detail17trampoline_kernelINS0_14default_configENS1_38merge_sort_block_merge_config_selectorIsNS0_10empty_typeEEEZZNS1_27merge_sort_block_merge_implIS3_N6thrust23THRUST_200600_302600_NS6detail15normal_iteratorINS9_10device_ptrIsEEEEPS5_m14custom_greaterIsEEE10hipError_tT0_T1_T2_jT3_P12ihipStream_tbPNSt15iterator_traitsISJ_E10value_typeEPNSP_ISK_E10value_typeEPSL_NS1_7vsmem_tEENKUlT_SJ_SK_SL_E_clIPsSE_SF_SF_EESI_SY_SJ_SK_SL_EUlSY_E_NS1_11comp_targetILNS1_3genE9ELNS1_11target_archE1100ELNS1_3gpuE3ELNS1_3repE0EEENS1_48merge_mergepath_partition_config_static_selectorELNS0_4arch9wavefront6targetE1EEEvSK_: ; @_ZN7rocprim17ROCPRIM_400000_NS6detail17trampoline_kernelINS0_14default_configENS1_38merge_sort_block_merge_config_selectorIsNS0_10empty_typeEEEZZNS1_27merge_sort_block_merge_implIS3_N6thrust23THRUST_200600_302600_NS6detail15normal_iteratorINS9_10device_ptrIsEEEEPS5_m14custom_greaterIsEEE10hipError_tT0_T1_T2_jT3_P12ihipStream_tbPNSt15iterator_traitsISJ_E10value_typeEPNSP_ISK_E10value_typeEPSL_NS1_7vsmem_tEENKUlT_SJ_SK_SL_E_clIPsSE_SF_SF_EESI_SY_SJ_SK_SL_EUlSY_E_NS1_11comp_targetILNS1_3genE9ELNS1_11target_archE1100ELNS1_3gpuE3ELNS1_3repE0EEENS1_48merge_mergepath_partition_config_static_selectorELNS0_4arch9wavefront6targetE1EEEvSK_
; %bb.0:
	.section	.rodata,"a",@progbits
	.p2align	6, 0x0
	.amdhsa_kernel _ZN7rocprim17ROCPRIM_400000_NS6detail17trampoline_kernelINS0_14default_configENS1_38merge_sort_block_merge_config_selectorIsNS0_10empty_typeEEEZZNS1_27merge_sort_block_merge_implIS3_N6thrust23THRUST_200600_302600_NS6detail15normal_iteratorINS9_10device_ptrIsEEEEPS5_m14custom_greaterIsEEE10hipError_tT0_T1_T2_jT3_P12ihipStream_tbPNSt15iterator_traitsISJ_E10value_typeEPNSP_ISK_E10value_typeEPSL_NS1_7vsmem_tEENKUlT_SJ_SK_SL_E_clIPsSE_SF_SF_EESI_SY_SJ_SK_SL_EUlSY_E_NS1_11comp_targetILNS1_3genE9ELNS1_11target_archE1100ELNS1_3gpuE3ELNS1_3repE0EEENS1_48merge_mergepath_partition_config_static_selectorELNS0_4arch9wavefront6targetE1EEEvSK_
		.amdhsa_group_segment_fixed_size 0
		.amdhsa_private_segment_fixed_size 0
		.amdhsa_kernarg_size 48
		.amdhsa_user_sgpr_count 6
		.amdhsa_user_sgpr_private_segment_buffer 1
		.amdhsa_user_sgpr_dispatch_ptr 0
		.amdhsa_user_sgpr_queue_ptr 0
		.amdhsa_user_sgpr_kernarg_segment_ptr 1
		.amdhsa_user_sgpr_dispatch_id 0
		.amdhsa_user_sgpr_flat_scratch_init 0
		.amdhsa_user_sgpr_kernarg_preload_length 0
		.amdhsa_user_sgpr_kernarg_preload_offset 0
		.amdhsa_user_sgpr_private_segment_size 0
		.amdhsa_uses_dynamic_stack 0
		.amdhsa_system_sgpr_private_segment_wavefront_offset 0
		.amdhsa_system_sgpr_workgroup_id_x 1
		.amdhsa_system_sgpr_workgroup_id_y 0
		.amdhsa_system_sgpr_workgroup_id_z 0
		.amdhsa_system_sgpr_workgroup_info 0
		.amdhsa_system_vgpr_workitem_id 0
		.amdhsa_next_free_vgpr 1
		.amdhsa_next_free_sgpr 0
		.amdhsa_accum_offset 4
		.amdhsa_reserve_vcc 0
		.amdhsa_reserve_flat_scratch 0
		.amdhsa_float_round_mode_32 0
		.amdhsa_float_round_mode_16_64 0
		.amdhsa_float_denorm_mode_32 3
		.amdhsa_float_denorm_mode_16_64 3
		.amdhsa_dx10_clamp 1
		.amdhsa_ieee_mode 1
		.amdhsa_fp16_overflow 0
		.amdhsa_tg_split 0
		.amdhsa_exception_fp_ieee_invalid_op 0
		.amdhsa_exception_fp_denorm_src 0
		.amdhsa_exception_fp_ieee_div_zero 0
		.amdhsa_exception_fp_ieee_overflow 0
		.amdhsa_exception_fp_ieee_underflow 0
		.amdhsa_exception_fp_ieee_inexact 0
		.amdhsa_exception_int_div_zero 0
	.end_amdhsa_kernel
	.section	.text._ZN7rocprim17ROCPRIM_400000_NS6detail17trampoline_kernelINS0_14default_configENS1_38merge_sort_block_merge_config_selectorIsNS0_10empty_typeEEEZZNS1_27merge_sort_block_merge_implIS3_N6thrust23THRUST_200600_302600_NS6detail15normal_iteratorINS9_10device_ptrIsEEEEPS5_m14custom_greaterIsEEE10hipError_tT0_T1_T2_jT3_P12ihipStream_tbPNSt15iterator_traitsISJ_E10value_typeEPNSP_ISK_E10value_typeEPSL_NS1_7vsmem_tEENKUlT_SJ_SK_SL_E_clIPsSE_SF_SF_EESI_SY_SJ_SK_SL_EUlSY_E_NS1_11comp_targetILNS1_3genE9ELNS1_11target_archE1100ELNS1_3gpuE3ELNS1_3repE0EEENS1_48merge_mergepath_partition_config_static_selectorELNS0_4arch9wavefront6targetE1EEEvSK_,"axG",@progbits,_ZN7rocprim17ROCPRIM_400000_NS6detail17trampoline_kernelINS0_14default_configENS1_38merge_sort_block_merge_config_selectorIsNS0_10empty_typeEEEZZNS1_27merge_sort_block_merge_implIS3_N6thrust23THRUST_200600_302600_NS6detail15normal_iteratorINS9_10device_ptrIsEEEEPS5_m14custom_greaterIsEEE10hipError_tT0_T1_T2_jT3_P12ihipStream_tbPNSt15iterator_traitsISJ_E10value_typeEPNSP_ISK_E10value_typeEPSL_NS1_7vsmem_tEENKUlT_SJ_SK_SL_E_clIPsSE_SF_SF_EESI_SY_SJ_SK_SL_EUlSY_E_NS1_11comp_targetILNS1_3genE9ELNS1_11target_archE1100ELNS1_3gpuE3ELNS1_3repE0EEENS1_48merge_mergepath_partition_config_static_selectorELNS0_4arch9wavefront6targetE1EEEvSK_,comdat
.Lfunc_end2943:
	.size	_ZN7rocprim17ROCPRIM_400000_NS6detail17trampoline_kernelINS0_14default_configENS1_38merge_sort_block_merge_config_selectorIsNS0_10empty_typeEEEZZNS1_27merge_sort_block_merge_implIS3_N6thrust23THRUST_200600_302600_NS6detail15normal_iteratorINS9_10device_ptrIsEEEEPS5_m14custom_greaterIsEEE10hipError_tT0_T1_T2_jT3_P12ihipStream_tbPNSt15iterator_traitsISJ_E10value_typeEPNSP_ISK_E10value_typeEPSL_NS1_7vsmem_tEENKUlT_SJ_SK_SL_E_clIPsSE_SF_SF_EESI_SY_SJ_SK_SL_EUlSY_E_NS1_11comp_targetILNS1_3genE9ELNS1_11target_archE1100ELNS1_3gpuE3ELNS1_3repE0EEENS1_48merge_mergepath_partition_config_static_selectorELNS0_4arch9wavefront6targetE1EEEvSK_, .Lfunc_end2943-_ZN7rocprim17ROCPRIM_400000_NS6detail17trampoline_kernelINS0_14default_configENS1_38merge_sort_block_merge_config_selectorIsNS0_10empty_typeEEEZZNS1_27merge_sort_block_merge_implIS3_N6thrust23THRUST_200600_302600_NS6detail15normal_iteratorINS9_10device_ptrIsEEEEPS5_m14custom_greaterIsEEE10hipError_tT0_T1_T2_jT3_P12ihipStream_tbPNSt15iterator_traitsISJ_E10value_typeEPNSP_ISK_E10value_typeEPSL_NS1_7vsmem_tEENKUlT_SJ_SK_SL_E_clIPsSE_SF_SF_EESI_SY_SJ_SK_SL_EUlSY_E_NS1_11comp_targetILNS1_3genE9ELNS1_11target_archE1100ELNS1_3gpuE3ELNS1_3repE0EEENS1_48merge_mergepath_partition_config_static_selectorELNS0_4arch9wavefront6targetE1EEEvSK_
                                        ; -- End function
	.section	.AMDGPU.csdata,"",@progbits
; Kernel info:
; codeLenInByte = 0
; NumSgprs: 4
; NumVgprs: 0
; NumAgprs: 0
; TotalNumVgprs: 0
; ScratchSize: 0
; MemoryBound: 0
; FloatMode: 240
; IeeeMode: 1
; LDSByteSize: 0 bytes/workgroup (compile time only)
; SGPRBlocks: 0
; VGPRBlocks: 0
; NumSGPRsForWavesPerEU: 4
; NumVGPRsForWavesPerEU: 1
; AccumOffset: 4
; Occupancy: 8
; WaveLimiterHint : 0
; COMPUTE_PGM_RSRC2:SCRATCH_EN: 0
; COMPUTE_PGM_RSRC2:USER_SGPR: 6
; COMPUTE_PGM_RSRC2:TRAP_HANDLER: 0
; COMPUTE_PGM_RSRC2:TGID_X_EN: 1
; COMPUTE_PGM_RSRC2:TGID_Y_EN: 0
; COMPUTE_PGM_RSRC2:TGID_Z_EN: 0
; COMPUTE_PGM_RSRC2:TIDIG_COMP_CNT: 0
; COMPUTE_PGM_RSRC3_GFX90A:ACCUM_OFFSET: 0
; COMPUTE_PGM_RSRC3_GFX90A:TG_SPLIT: 0
	.section	.text._ZN7rocprim17ROCPRIM_400000_NS6detail17trampoline_kernelINS0_14default_configENS1_38merge_sort_block_merge_config_selectorIsNS0_10empty_typeEEEZZNS1_27merge_sort_block_merge_implIS3_N6thrust23THRUST_200600_302600_NS6detail15normal_iteratorINS9_10device_ptrIsEEEEPS5_m14custom_greaterIsEEE10hipError_tT0_T1_T2_jT3_P12ihipStream_tbPNSt15iterator_traitsISJ_E10value_typeEPNSP_ISK_E10value_typeEPSL_NS1_7vsmem_tEENKUlT_SJ_SK_SL_E_clIPsSE_SF_SF_EESI_SY_SJ_SK_SL_EUlSY_E_NS1_11comp_targetILNS1_3genE8ELNS1_11target_archE1030ELNS1_3gpuE2ELNS1_3repE0EEENS1_48merge_mergepath_partition_config_static_selectorELNS0_4arch9wavefront6targetE1EEEvSK_,"axG",@progbits,_ZN7rocprim17ROCPRIM_400000_NS6detail17trampoline_kernelINS0_14default_configENS1_38merge_sort_block_merge_config_selectorIsNS0_10empty_typeEEEZZNS1_27merge_sort_block_merge_implIS3_N6thrust23THRUST_200600_302600_NS6detail15normal_iteratorINS9_10device_ptrIsEEEEPS5_m14custom_greaterIsEEE10hipError_tT0_T1_T2_jT3_P12ihipStream_tbPNSt15iterator_traitsISJ_E10value_typeEPNSP_ISK_E10value_typeEPSL_NS1_7vsmem_tEENKUlT_SJ_SK_SL_E_clIPsSE_SF_SF_EESI_SY_SJ_SK_SL_EUlSY_E_NS1_11comp_targetILNS1_3genE8ELNS1_11target_archE1030ELNS1_3gpuE2ELNS1_3repE0EEENS1_48merge_mergepath_partition_config_static_selectorELNS0_4arch9wavefront6targetE1EEEvSK_,comdat
	.protected	_ZN7rocprim17ROCPRIM_400000_NS6detail17trampoline_kernelINS0_14default_configENS1_38merge_sort_block_merge_config_selectorIsNS0_10empty_typeEEEZZNS1_27merge_sort_block_merge_implIS3_N6thrust23THRUST_200600_302600_NS6detail15normal_iteratorINS9_10device_ptrIsEEEEPS5_m14custom_greaterIsEEE10hipError_tT0_T1_T2_jT3_P12ihipStream_tbPNSt15iterator_traitsISJ_E10value_typeEPNSP_ISK_E10value_typeEPSL_NS1_7vsmem_tEENKUlT_SJ_SK_SL_E_clIPsSE_SF_SF_EESI_SY_SJ_SK_SL_EUlSY_E_NS1_11comp_targetILNS1_3genE8ELNS1_11target_archE1030ELNS1_3gpuE2ELNS1_3repE0EEENS1_48merge_mergepath_partition_config_static_selectorELNS0_4arch9wavefront6targetE1EEEvSK_ ; -- Begin function _ZN7rocprim17ROCPRIM_400000_NS6detail17trampoline_kernelINS0_14default_configENS1_38merge_sort_block_merge_config_selectorIsNS0_10empty_typeEEEZZNS1_27merge_sort_block_merge_implIS3_N6thrust23THRUST_200600_302600_NS6detail15normal_iteratorINS9_10device_ptrIsEEEEPS5_m14custom_greaterIsEEE10hipError_tT0_T1_T2_jT3_P12ihipStream_tbPNSt15iterator_traitsISJ_E10value_typeEPNSP_ISK_E10value_typeEPSL_NS1_7vsmem_tEENKUlT_SJ_SK_SL_E_clIPsSE_SF_SF_EESI_SY_SJ_SK_SL_EUlSY_E_NS1_11comp_targetILNS1_3genE8ELNS1_11target_archE1030ELNS1_3gpuE2ELNS1_3repE0EEENS1_48merge_mergepath_partition_config_static_selectorELNS0_4arch9wavefront6targetE1EEEvSK_
	.globl	_ZN7rocprim17ROCPRIM_400000_NS6detail17trampoline_kernelINS0_14default_configENS1_38merge_sort_block_merge_config_selectorIsNS0_10empty_typeEEEZZNS1_27merge_sort_block_merge_implIS3_N6thrust23THRUST_200600_302600_NS6detail15normal_iteratorINS9_10device_ptrIsEEEEPS5_m14custom_greaterIsEEE10hipError_tT0_T1_T2_jT3_P12ihipStream_tbPNSt15iterator_traitsISJ_E10value_typeEPNSP_ISK_E10value_typeEPSL_NS1_7vsmem_tEENKUlT_SJ_SK_SL_E_clIPsSE_SF_SF_EESI_SY_SJ_SK_SL_EUlSY_E_NS1_11comp_targetILNS1_3genE8ELNS1_11target_archE1030ELNS1_3gpuE2ELNS1_3repE0EEENS1_48merge_mergepath_partition_config_static_selectorELNS0_4arch9wavefront6targetE1EEEvSK_
	.p2align	8
	.type	_ZN7rocprim17ROCPRIM_400000_NS6detail17trampoline_kernelINS0_14default_configENS1_38merge_sort_block_merge_config_selectorIsNS0_10empty_typeEEEZZNS1_27merge_sort_block_merge_implIS3_N6thrust23THRUST_200600_302600_NS6detail15normal_iteratorINS9_10device_ptrIsEEEEPS5_m14custom_greaterIsEEE10hipError_tT0_T1_T2_jT3_P12ihipStream_tbPNSt15iterator_traitsISJ_E10value_typeEPNSP_ISK_E10value_typeEPSL_NS1_7vsmem_tEENKUlT_SJ_SK_SL_E_clIPsSE_SF_SF_EESI_SY_SJ_SK_SL_EUlSY_E_NS1_11comp_targetILNS1_3genE8ELNS1_11target_archE1030ELNS1_3gpuE2ELNS1_3repE0EEENS1_48merge_mergepath_partition_config_static_selectorELNS0_4arch9wavefront6targetE1EEEvSK_,@function
_ZN7rocprim17ROCPRIM_400000_NS6detail17trampoline_kernelINS0_14default_configENS1_38merge_sort_block_merge_config_selectorIsNS0_10empty_typeEEEZZNS1_27merge_sort_block_merge_implIS3_N6thrust23THRUST_200600_302600_NS6detail15normal_iteratorINS9_10device_ptrIsEEEEPS5_m14custom_greaterIsEEE10hipError_tT0_T1_T2_jT3_P12ihipStream_tbPNSt15iterator_traitsISJ_E10value_typeEPNSP_ISK_E10value_typeEPSL_NS1_7vsmem_tEENKUlT_SJ_SK_SL_E_clIPsSE_SF_SF_EESI_SY_SJ_SK_SL_EUlSY_E_NS1_11comp_targetILNS1_3genE8ELNS1_11target_archE1030ELNS1_3gpuE2ELNS1_3repE0EEENS1_48merge_mergepath_partition_config_static_selectorELNS0_4arch9wavefront6targetE1EEEvSK_: ; @_ZN7rocprim17ROCPRIM_400000_NS6detail17trampoline_kernelINS0_14default_configENS1_38merge_sort_block_merge_config_selectorIsNS0_10empty_typeEEEZZNS1_27merge_sort_block_merge_implIS3_N6thrust23THRUST_200600_302600_NS6detail15normal_iteratorINS9_10device_ptrIsEEEEPS5_m14custom_greaterIsEEE10hipError_tT0_T1_T2_jT3_P12ihipStream_tbPNSt15iterator_traitsISJ_E10value_typeEPNSP_ISK_E10value_typeEPSL_NS1_7vsmem_tEENKUlT_SJ_SK_SL_E_clIPsSE_SF_SF_EESI_SY_SJ_SK_SL_EUlSY_E_NS1_11comp_targetILNS1_3genE8ELNS1_11target_archE1030ELNS1_3gpuE2ELNS1_3repE0EEENS1_48merge_mergepath_partition_config_static_selectorELNS0_4arch9wavefront6targetE1EEEvSK_
; %bb.0:
	.section	.rodata,"a",@progbits
	.p2align	6, 0x0
	.amdhsa_kernel _ZN7rocprim17ROCPRIM_400000_NS6detail17trampoline_kernelINS0_14default_configENS1_38merge_sort_block_merge_config_selectorIsNS0_10empty_typeEEEZZNS1_27merge_sort_block_merge_implIS3_N6thrust23THRUST_200600_302600_NS6detail15normal_iteratorINS9_10device_ptrIsEEEEPS5_m14custom_greaterIsEEE10hipError_tT0_T1_T2_jT3_P12ihipStream_tbPNSt15iterator_traitsISJ_E10value_typeEPNSP_ISK_E10value_typeEPSL_NS1_7vsmem_tEENKUlT_SJ_SK_SL_E_clIPsSE_SF_SF_EESI_SY_SJ_SK_SL_EUlSY_E_NS1_11comp_targetILNS1_3genE8ELNS1_11target_archE1030ELNS1_3gpuE2ELNS1_3repE0EEENS1_48merge_mergepath_partition_config_static_selectorELNS0_4arch9wavefront6targetE1EEEvSK_
		.amdhsa_group_segment_fixed_size 0
		.amdhsa_private_segment_fixed_size 0
		.amdhsa_kernarg_size 48
		.amdhsa_user_sgpr_count 6
		.amdhsa_user_sgpr_private_segment_buffer 1
		.amdhsa_user_sgpr_dispatch_ptr 0
		.amdhsa_user_sgpr_queue_ptr 0
		.amdhsa_user_sgpr_kernarg_segment_ptr 1
		.amdhsa_user_sgpr_dispatch_id 0
		.amdhsa_user_sgpr_flat_scratch_init 0
		.amdhsa_user_sgpr_kernarg_preload_length 0
		.amdhsa_user_sgpr_kernarg_preload_offset 0
		.amdhsa_user_sgpr_private_segment_size 0
		.amdhsa_uses_dynamic_stack 0
		.amdhsa_system_sgpr_private_segment_wavefront_offset 0
		.amdhsa_system_sgpr_workgroup_id_x 1
		.amdhsa_system_sgpr_workgroup_id_y 0
		.amdhsa_system_sgpr_workgroup_id_z 0
		.amdhsa_system_sgpr_workgroup_info 0
		.amdhsa_system_vgpr_workitem_id 0
		.amdhsa_next_free_vgpr 1
		.amdhsa_next_free_sgpr 0
		.amdhsa_accum_offset 4
		.amdhsa_reserve_vcc 0
		.amdhsa_reserve_flat_scratch 0
		.amdhsa_float_round_mode_32 0
		.amdhsa_float_round_mode_16_64 0
		.amdhsa_float_denorm_mode_32 3
		.amdhsa_float_denorm_mode_16_64 3
		.amdhsa_dx10_clamp 1
		.amdhsa_ieee_mode 1
		.amdhsa_fp16_overflow 0
		.amdhsa_tg_split 0
		.amdhsa_exception_fp_ieee_invalid_op 0
		.amdhsa_exception_fp_denorm_src 0
		.amdhsa_exception_fp_ieee_div_zero 0
		.amdhsa_exception_fp_ieee_overflow 0
		.amdhsa_exception_fp_ieee_underflow 0
		.amdhsa_exception_fp_ieee_inexact 0
		.amdhsa_exception_int_div_zero 0
	.end_amdhsa_kernel
	.section	.text._ZN7rocprim17ROCPRIM_400000_NS6detail17trampoline_kernelINS0_14default_configENS1_38merge_sort_block_merge_config_selectorIsNS0_10empty_typeEEEZZNS1_27merge_sort_block_merge_implIS3_N6thrust23THRUST_200600_302600_NS6detail15normal_iteratorINS9_10device_ptrIsEEEEPS5_m14custom_greaterIsEEE10hipError_tT0_T1_T2_jT3_P12ihipStream_tbPNSt15iterator_traitsISJ_E10value_typeEPNSP_ISK_E10value_typeEPSL_NS1_7vsmem_tEENKUlT_SJ_SK_SL_E_clIPsSE_SF_SF_EESI_SY_SJ_SK_SL_EUlSY_E_NS1_11comp_targetILNS1_3genE8ELNS1_11target_archE1030ELNS1_3gpuE2ELNS1_3repE0EEENS1_48merge_mergepath_partition_config_static_selectorELNS0_4arch9wavefront6targetE1EEEvSK_,"axG",@progbits,_ZN7rocprim17ROCPRIM_400000_NS6detail17trampoline_kernelINS0_14default_configENS1_38merge_sort_block_merge_config_selectorIsNS0_10empty_typeEEEZZNS1_27merge_sort_block_merge_implIS3_N6thrust23THRUST_200600_302600_NS6detail15normal_iteratorINS9_10device_ptrIsEEEEPS5_m14custom_greaterIsEEE10hipError_tT0_T1_T2_jT3_P12ihipStream_tbPNSt15iterator_traitsISJ_E10value_typeEPNSP_ISK_E10value_typeEPSL_NS1_7vsmem_tEENKUlT_SJ_SK_SL_E_clIPsSE_SF_SF_EESI_SY_SJ_SK_SL_EUlSY_E_NS1_11comp_targetILNS1_3genE8ELNS1_11target_archE1030ELNS1_3gpuE2ELNS1_3repE0EEENS1_48merge_mergepath_partition_config_static_selectorELNS0_4arch9wavefront6targetE1EEEvSK_,comdat
.Lfunc_end2944:
	.size	_ZN7rocprim17ROCPRIM_400000_NS6detail17trampoline_kernelINS0_14default_configENS1_38merge_sort_block_merge_config_selectorIsNS0_10empty_typeEEEZZNS1_27merge_sort_block_merge_implIS3_N6thrust23THRUST_200600_302600_NS6detail15normal_iteratorINS9_10device_ptrIsEEEEPS5_m14custom_greaterIsEEE10hipError_tT0_T1_T2_jT3_P12ihipStream_tbPNSt15iterator_traitsISJ_E10value_typeEPNSP_ISK_E10value_typeEPSL_NS1_7vsmem_tEENKUlT_SJ_SK_SL_E_clIPsSE_SF_SF_EESI_SY_SJ_SK_SL_EUlSY_E_NS1_11comp_targetILNS1_3genE8ELNS1_11target_archE1030ELNS1_3gpuE2ELNS1_3repE0EEENS1_48merge_mergepath_partition_config_static_selectorELNS0_4arch9wavefront6targetE1EEEvSK_, .Lfunc_end2944-_ZN7rocprim17ROCPRIM_400000_NS6detail17trampoline_kernelINS0_14default_configENS1_38merge_sort_block_merge_config_selectorIsNS0_10empty_typeEEEZZNS1_27merge_sort_block_merge_implIS3_N6thrust23THRUST_200600_302600_NS6detail15normal_iteratorINS9_10device_ptrIsEEEEPS5_m14custom_greaterIsEEE10hipError_tT0_T1_T2_jT3_P12ihipStream_tbPNSt15iterator_traitsISJ_E10value_typeEPNSP_ISK_E10value_typeEPSL_NS1_7vsmem_tEENKUlT_SJ_SK_SL_E_clIPsSE_SF_SF_EESI_SY_SJ_SK_SL_EUlSY_E_NS1_11comp_targetILNS1_3genE8ELNS1_11target_archE1030ELNS1_3gpuE2ELNS1_3repE0EEENS1_48merge_mergepath_partition_config_static_selectorELNS0_4arch9wavefront6targetE1EEEvSK_
                                        ; -- End function
	.section	.AMDGPU.csdata,"",@progbits
; Kernel info:
; codeLenInByte = 0
; NumSgprs: 4
; NumVgprs: 0
; NumAgprs: 0
; TotalNumVgprs: 0
; ScratchSize: 0
; MemoryBound: 0
; FloatMode: 240
; IeeeMode: 1
; LDSByteSize: 0 bytes/workgroup (compile time only)
; SGPRBlocks: 0
; VGPRBlocks: 0
; NumSGPRsForWavesPerEU: 4
; NumVGPRsForWavesPerEU: 1
; AccumOffset: 4
; Occupancy: 8
; WaveLimiterHint : 0
; COMPUTE_PGM_RSRC2:SCRATCH_EN: 0
; COMPUTE_PGM_RSRC2:USER_SGPR: 6
; COMPUTE_PGM_RSRC2:TRAP_HANDLER: 0
; COMPUTE_PGM_RSRC2:TGID_X_EN: 1
; COMPUTE_PGM_RSRC2:TGID_Y_EN: 0
; COMPUTE_PGM_RSRC2:TGID_Z_EN: 0
; COMPUTE_PGM_RSRC2:TIDIG_COMP_CNT: 0
; COMPUTE_PGM_RSRC3_GFX90A:ACCUM_OFFSET: 0
; COMPUTE_PGM_RSRC3_GFX90A:TG_SPLIT: 0
	.section	.text._ZN7rocprim17ROCPRIM_400000_NS6detail17trampoline_kernelINS0_14default_configENS1_38merge_sort_block_merge_config_selectorIsNS0_10empty_typeEEEZZNS1_27merge_sort_block_merge_implIS3_N6thrust23THRUST_200600_302600_NS6detail15normal_iteratorINS9_10device_ptrIsEEEEPS5_m14custom_greaterIsEEE10hipError_tT0_T1_T2_jT3_P12ihipStream_tbPNSt15iterator_traitsISJ_E10value_typeEPNSP_ISK_E10value_typeEPSL_NS1_7vsmem_tEENKUlT_SJ_SK_SL_E_clIPsSE_SF_SF_EESI_SY_SJ_SK_SL_EUlSY_E0_NS1_11comp_targetILNS1_3genE0ELNS1_11target_archE4294967295ELNS1_3gpuE0ELNS1_3repE0EEENS1_38merge_mergepath_config_static_selectorELNS0_4arch9wavefront6targetE1EEEvSK_,"axG",@progbits,_ZN7rocprim17ROCPRIM_400000_NS6detail17trampoline_kernelINS0_14default_configENS1_38merge_sort_block_merge_config_selectorIsNS0_10empty_typeEEEZZNS1_27merge_sort_block_merge_implIS3_N6thrust23THRUST_200600_302600_NS6detail15normal_iteratorINS9_10device_ptrIsEEEEPS5_m14custom_greaterIsEEE10hipError_tT0_T1_T2_jT3_P12ihipStream_tbPNSt15iterator_traitsISJ_E10value_typeEPNSP_ISK_E10value_typeEPSL_NS1_7vsmem_tEENKUlT_SJ_SK_SL_E_clIPsSE_SF_SF_EESI_SY_SJ_SK_SL_EUlSY_E0_NS1_11comp_targetILNS1_3genE0ELNS1_11target_archE4294967295ELNS1_3gpuE0ELNS1_3repE0EEENS1_38merge_mergepath_config_static_selectorELNS0_4arch9wavefront6targetE1EEEvSK_,comdat
	.protected	_ZN7rocprim17ROCPRIM_400000_NS6detail17trampoline_kernelINS0_14default_configENS1_38merge_sort_block_merge_config_selectorIsNS0_10empty_typeEEEZZNS1_27merge_sort_block_merge_implIS3_N6thrust23THRUST_200600_302600_NS6detail15normal_iteratorINS9_10device_ptrIsEEEEPS5_m14custom_greaterIsEEE10hipError_tT0_T1_T2_jT3_P12ihipStream_tbPNSt15iterator_traitsISJ_E10value_typeEPNSP_ISK_E10value_typeEPSL_NS1_7vsmem_tEENKUlT_SJ_SK_SL_E_clIPsSE_SF_SF_EESI_SY_SJ_SK_SL_EUlSY_E0_NS1_11comp_targetILNS1_3genE0ELNS1_11target_archE4294967295ELNS1_3gpuE0ELNS1_3repE0EEENS1_38merge_mergepath_config_static_selectorELNS0_4arch9wavefront6targetE1EEEvSK_ ; -- Begin function _ZN7rocprim17ROCPRIM_400000_NS6detail17trampoline_kernelINS0_14default_configENS1_38merge_sort_block_merge_config_selectorIsNS0_10empty_typeEEEZZNS1_27merge_sort_block_merge_implIS3_N6thrust23THRUST_200600_302600_NS6detail15normal_iteratorINS9_10device_ptrIsEEEEPS5_m14custom_greaterIsEEE10hipError_tT0_T1_T2_jT3_P12ihipStream_tbPNSt15iterator_traitsISJ_E10value_typeEPNSP_ISK_E10value_typeEPSL_NS1_7vsmem_tEENKUlT_SJ_SK_SL_E_clIPsSE_SF_SF_EESI_SY_SJ_SK_SL_EUlSY_E0_NS1_11comp_targetILNS1_3genE0ELNS1_11target_archE4294967295ELNS1_3gpuE0ELNS1_3repE0EEENS1_38merge_mergepath_config_static_selectorELNS0_4arch9wavefront6targetE1EEEvSK_
	.globl	_ZN7rocprim17ROCPRIM_400000_NS6detail17trampoline_kernelINS0_14default_configENS1_38merge_sort_block_merge_config_selectorIsNS0_10empty_typeEEEZZNS1_27merge_sort_block_merge_implIS3_N6thrust23THRUST_200600_302600_NS6detail15normal_iteratorINS9_10device_ptrIsEEEEPS5_m14custom_greaterIsEEE10hipError_tT0_T1_T2_jT3_P12ihipStream_tbPNSt15iterator_traitsISJ_E10value_typeEPNSP_ISK_E10value_typeEPSL_NS1_7vsmem_tEENKUlT_SJ_SK_SL_E_clIPsSE_SF_SF_EESI_SY_SJ_SK_SL_EUlSY_E0_NS1_11comp_targetILNS1_3genE0ELNS1_11target_archE4294967295ELNS1_3gpuE0ELNS1_3repE0EEENS1_38merge_mergepath_config_static_selectorELNS0_4arch9wavefront6targetE1EEEvSK_
	.p2align	8
	.type	_ZN7rocprim17ROCPRIM_400000_NS6detail17trampoline_kernelINS0_14default_configENS1_38merge_sort_block_merge_config_selectorIsNS0_10empty_typeEEEZZNS1_27merge_sort_block_merge_implIS3_N6thrust23THRUST_200600_302600_NS6detail15normal_iteratorINS9_10device_ptrIsEEEEPS5_m14custom_greaterIsEEE10hipError_tT0_T1_T2_jT3_P12ihipStream_tbPNSt15iterator_traitsISJ_E10value_typeEPNSP_ISK_E10value_typeEPSL_NS1_7vsmem_tEENKUlT_SJ_SK_SL_E_clIPsSE_SF_SF_EESI_SY_SJ_SK_SL_EUlSY_E0_NS1_11comp_targetILNS1_3genE0ELNS1_11target_archE4294967295ELNS1_3gpuE0ELNS1_3repE0EEENS1_38merge_mergepath_config_static_selectorELNS0_4arch9wavefront6targetE1EEEvSK_,@function
_ZN7rocprim17ROCPRIM_400000_NS6detail17trampoline_kernelINS0_14default_configENS1_38merge_sort_block_merge_config_selectorIsNS0_10empty_typeEEEZZNS1_27merge_sort_block_merge_implIS3_N6thrust23THRUST_200600_302600_NS6detail15normal_iteratorINS9_10device_ptrIsEEEEPS5_m14custom_greaterIsEEE10hipError_tT0_T1_T2_jT3_P12ihipStream_tbPNSt15iterator_traitsISJ_E10value_typeEPNSP_ISK_E10value_typeEPSL_NS1_7vsmem_tEENKUlT_SJ_SK_SL_E_clIPsSE_SF_SF_EESI_SY_SJ_SK_SL_EUlSY_E0_NS1_11comp_targetILNS1_3genE0ELNS1_11target_archE4294967295ELNS1_3gpuE0ELNS1_3repE0EEENS1_38merge_mergepath_config_static_selectorELNS0_4arch9wavefront6targetE1EEEvSK_: ; @_ZN7rocprim17ROCPRIM_400000_NS6detail17trampoline_kernelINS0_14default_configENS1_38merge_sort_block_merge_config_selectorIsNS0_10empty_typeEEEZZNS1_27merge_sort_block_merge_implIS3_N6thrust23THRUST_200600_302600_NS6detail15normal_iteratorINS9_10device_ptrIsEEEEPS5_m14custom_greaterIsEEE10hipError_tT0_T1_T2_jT3_P12ihipStream_tbPNSt15iterator_traitsISJ_E10value_typeEPNSP_ISK_E10value_typeEPSL_NS1_7vsmem_tEENKUlT_SJ_SK_SL_E_clIPsSE_SF_SF_EESI_SY_SJ_SK_SL_EUlSY_E0_NS1_11comp_targetILNS1_3genE0ELNS1_11target_archE4294967295ELNS1_3gpuE0ELNS1_3repE0EEENS1_38merge_mergepath_config_static_selectorELNS0_4arch9wavefront6targetE1EEEvSK_
; %bb.0:
	.section	.rodata,"a",@progbits
	.p2align	6, 0x0
	.amdhsa_kernel _ZN7rocprim17ROCPRIM_400000_NS6detail17trampoline_kernelINS0_14default_configENS1_38merge_sort_block_merge_config_selectorIsNS0_10empty_typeEEEZZNS1_27merge_sort_block_merge_implIS3_N6thrust23THRUST_200600_302600_NS6detail15normal_iteratorINS9_10device_ptrIsEEEEPS5_m14custom_greaterIsEEE10hipError_tT0_T1_T2_jT3_P12ihipStream_tbPNSt15iterator_traitsISJ_E10value_typeEPNSP_ISK_E10value_typeEPSL_NS1_7vsmem_tEENKUlT_SJ_SK_SL_E_clIPsSE_SF_SF_EESI_SY_SJ_SK_SL_EUlSY_E0_NS1_11comp_targetILNS1_3genE0ELNS1_11target_archE4294967295ELNS1_3gpuE0ELNS1_3repE0EEENS1_38merge_mergepath_config_static_selectorELNS0_4arch9wavefront6targetE1EEEvSK_
		.amdhsa_group_segment_fixed_size 0
		.amdhsa_private_segment_fixed_size 0
		.amdhsa_kernarg_size 72
		.amdhsa_user_sgpr_count 6
		.amdhsa_user_sgpr_private_segment_buffer 1
		.amdhsa_user_sgpr_dispatch_ptr 0
		.amdhsa_user_sgpr_queue_ptr 0
		.amdhsa_user_sgpr_kernarg_segment_ptr 1
		.amdhsa_user_sgpr_dispatch_id 0
		.amdhsa_user_sgpr_flat_scratch_init 0
		.amdhsa_user_sgpr_kernarg_preload_length 0
		.amdhsa_user_sgpr_kernarg_preload_offset 0
		.amdhsa_user_sgpr_private_segment_size 0
		.amdhsa_uses_dynamic_stack 0
		.amdhsa_system_sgpr_private_segment_wavefront_offset 0
		.amdhsa_system_sgpr_workgroup_id_x 1
		.amdhsa_system_sgpr_workgroup_id_y 0
		.amdhsa_system_sgpr_workgroup_id_z 0
		.amdhsa_system_sgpr_workgroup_info 0
		.amdhsa_system_vgpr_workitem_id 0
		.amdhsa_next_free_vgpr 1
		.amdhsa_next_free_sgpr 0
		.amdhsa_accum_offset 4
		.amdhsa_reserve_vcc 0
		.amdhsa_reserve_flat_scratch 0
		.amdhsa_float_round_mode_32 0
		.amdhsa_float_round_mode_16_64 0
		.amdhsa_float_denorm_mode_32 3
		.amdhsa_float_denorm_mode_16_64 3
		.amdhsa_dx10_clamp 1
		.amdhsa_ieee_mode 1
		.amdhsa_fp16_overflow 0
		.amdhsa_tg_split 0
		.amdhsa_exception_fp_ieee_invalid_op 0
		.amdhsa_exception_fp_denorm_src 0
		.amdhsa_exception_fp_ieee_div_zero 0
		.amdhsa_exception_fp_ieee_overflow 0
		.amdhsa_exception_fp_ieee_underflow 0
		.amdhsa_exception_fp_ieee_inexact 0
		.amdhsa_exception_int_div_zero 0
	.end_amdhsa_kernel
	.section	.text._ZN7rocprim17ROCPRIM_400000_NS6detail17trampoline_kernelINS0_14default_configENS1_38merge_sort_block_merge_config_selectorIsNS0_10empty_typeEEEZZNS1_27merge_sort_block_merge_implIS3_N6thrust23THRUST_200600_302600_NS6detail15normal_iteratorINS9_10device_ptrIsEEEEPS5_m14custom_greaterIsEEE10hipError_tT0_T1_T2_jT3_P12ihipStream_tbPNSt15iterator_traitsISJ_E10value_typeEPNSP_ISK_E10value_typeEPSL_NS1_7vsmem_tEENKUlT_SJ_SK_SL_E_clIPsSE_SF_SF_EESI_SY_SJ_SK_SL_EUlSY_E0_NS1_11comp_targetILNS1_3genE0ELNS1_11target_archE4294967295ELNS1_3gpuE0ELNS1_3repE0EEENS1_38merge_mergepath_config_static_selectorELNS0_4arch9wavefront6targetE1EEEvSK_,"axG",@progbits,_ZN7rocprim17ROCPRIM_400000_NS6detail17trampoline_kernelINS0_14default_configENS1_38merge_sort_block_merge_config_selectorIsNS0_10empty_typeEEEZZNS1_27merge_sort_block_merge_implIS3_N6thrust23THRUST_200600_302600_NS6detail15normal_iteratorINS9_10device_ptrIsEEEEPS5_m14custom_greaterIsEEE10hipError_tT0_T1_T2_jT3_P12ihipStream_tbPNSt15iterator_traitsISJ_E10value_typeEPNSP_ISK_E10value_typeEPSL_NS1_7vsmem_tEENKUlT_SJ_SK_SL_E_clIPsSE_SF_SF_EESI_SY_SJ_SK_SL_EUlSY_E0_NS1_11comp_targetILNS1_3genE0ELNS1_11target_archE4294967295ELNS1_3gpuE0ELNS1_3repE0EEENS1_38merge_mergepath_config_static_selectorELNS0_4arch9wavefront6targetE1EEEvSK_,comdat
.Lfunc_end2945:
	.size	_ZN7rocprim17ROCPRIM_400000_NS6detail17trampoline_kernelINS0_14default_configENS1_38merge_sort_block_merge_config_selectorIsNS0_10empty_typeEEEZZNS1_27merge_sort_block_merge_implIS3_N6thrust23THRUST_200600_302600_NS6detail15normal_iteratorINS9_10device_ptrIsEEEEPS5_m14custom_greaterIsEEE10hipError_tT0_T1_T2_jT3_P12ihipStream_tbPNSt15iterator_traitsISJ_E10value_typeEPNSP_ISK_E10value_typeEPSL_NS1_7vsmem_tEENKUlT_SJ_SK_SL_E_clIPsSE_SF_SF_EESI_SY_SJ_SK_SL_EUlSY_E0_NS1_11comp_targetILNS1_3genE0ELNS1_11target_archE4294967295ELNS1_3gpuE0ELNS1_3repE0EEENS1_38merge_mergepath_config_static_selectorELNS0_4arch9wavefront6targetE1EEEvSK_, .Lfunc_end2945-_ZN7rocprim17ROCPRIM_400000_NS6detail17trampoline_kernelINS0_14default_configENS1_38merge_sort_block_merge_config_selectorIsNS0_10empty_typeEEEZZNS1_27merge_sort_block_merge_implIS3_N6thrust23THRUST_200600_302600_NS6detail15normal_iteratorINS9_10device_ptrIsEEEEPS5_m14custom_greaterIsEEE10hipError_tT0_T1_T2_jT3_P12ihipStream_tbPNSt15iterator_traitsISJ_E10value_typeEPNSP_ISK_E10value_typeEPSL_NS1_7vsmem_tEENKUlT_SJ_SK_SL_E_clIPsSE_SF_SF_EESI_SY_SJ_SK_SL_EUlSY_E0_NS1_11comp_targetILNS1_3genE0ELNS1_11target_archE4294967295ELNS1_3gpuE0ELNS1_3repE0EEENS1_38merge_mergepath_config_static_selectorELNS0_4arch9wavefront6targetE1EEEvSK_
                                        ; -- End function
	.section	.AMDGPU.csdata,"",@progbits
; Kernel info:
; codeLenInByte = 0
; NumSgprs: 4
; NumVgprs: 0
; NumAgprs: 0
; TotalNumVgprs: 0
; ScratchSize: 0
; MemoryBound: 0
; FloatMode: 240
; IeeeMode: 1
; LDSByteSize: 0 bytes/workgroup (compile time only)
; SGPRBlocks: 0
; VGPRBlocks: 0
; NumSGPRsForWavesPerEU: 4
; NumVGPRsForWavesPerEU: 1
; AccumOffset: 4
; Occupancy: 8
; WaveLimiterHint : 0
; COMPUTE_PGM_RSRC2:SCRATCH_EN: 0
; COMPUTE_PGM_RSRC2:USER_SGPR: 6
; COMPUTE_PGM_RSRC2:TRAP_HANDLER: 0
; COMPUTE_PGM_RSRC2:TGID_X_EN: 1
; COMPUTE_PGM_RSRC2:TGID_Y_EN: 0
; COMPUTE_PGM_RSRC2:TGID_Z_EN: 0
; COMPUTE_PGM_RSRC2:TIDIG_COMP_CNT: 0
; COMPUTE_PGM_RSRC3_GFX90A:ACCUM_OFFSET: 0
; COMPUTE_PGM_RSRC3_GFX90A:TG_SPLIT: 0
	.section	.text._ZN7rocprim17ROCPRIM_400000_NS6detail17trampoline_kernelINS0_14default_configENS1_38merge_sort_block_merge_config_selectorIsNS0_10empty_typeEEEZZNS1_27merge_sort_block_merge_implIS3_N6thrust23THRUST_200600_302600_NS6detail15normal_iteratorINS9_10device_ptrIsEEEEPS5_m14custom_greaterIsEEE10hipError_tT0_T1_T2_jT3_P12ihipStream_tbPNSt15iterator_traitsISJ_E10value_typeEPNSP_ISK_E10value_typeEPSL_NS1_7vsmem_tEENKUlT_SJ_SK_SL_E_clIPsSE_SF_SF_EESI_SY_SJ_SK_SL_EUlSY_E0_NS1_11comp_targetILNS1_3genE10ELNS1_11target_archE1201ELNS1_3gpuE5ELNS1_3repE0EEENS1_38merge_mergepath_config_static_selectorELNS0_4arch9wavefront6targetE1EEEvSK_,"axG",@progbits,_ZN7rocprim17ROCPRIM_400000_NS6detail17trampoline_kernelINS0_14default_configENS1_38merge_sort_block_merge_config_selectorIsNS0_10empty_typeEEEZZNS1_27merge_sort_block_merge_implIS3_N6thrust23THRUST_200600_302600_NS6detail15normal_iteratorINS9_10device_ptrIsEEEEPS5_m14custom_greaterIsEEE10hipError_tT0_T1_T2_jT3_P12ihipStream_tbPNSt15iterator_traitsISJ_E10value_typeEPNSP_ISK_E10value_typeEPSL_NS1_7vsmem_tEENKUlT_SJ_SK_SL_E_clIPsSE_SF_SF_EESI_SY_SJ_SK_SL_EUlSY_E0_NS1_11comp_targetILNS1_3genE10ELNS1_11target_archE1201ELNS1_3gpuE5ELNS1_3repE0EEENS1_38merge_mergepath_config_static_selectorELNS0_4arch9wavefront6targetE1EEEvSK_,comdat
	.protected	_ZN7rocprim17ROCPRIM_400000_NS6detail17trampoline_kernelINS0_14default_configENS1_38merge_sort_block_merge_config_selectorIsNS0_10empty_typeEEEZZNS1_27merge_sort_block_merge_implIS3_N6thrust23THRUST_200600_302600_NS6detail15normal_iteratorINS9_10device_ptrIsEEEEPS5_m14custom_greaterIsEEE10hipError_tT0_T1_T2_jT3_P12ihipStream_tbPNSt15iterator_traitsISJ_E10value_typeEPNSP_ISK_E10value_typeEPSL_NS1_7vsmem_tEENKUlT_SJ_SK_SL_E_clIPsSE_SF_SF_EESI_SY_SJ_SK_SL_EUlSY_E0_NS1_11comp_targetILNS1_3genE10ELNS1_11target_archE1201ELNS1_3gpuE5ELNS1_3repE0EEENS1_38merge_mergepath_config_static_selectorELNS0_4arch9wavefront6targetE1EEEvSK_ ; -- Begin function _ZN7rocprim17ROCPRIM_400000_NS6detail17trampoline_kernelINS0_14default_configENS1_38merge_sort_block_merge_config_selectorIsNS0_10empty_typeEEEZZNS1_27merge_sort_block_merge_implIS3_N6thrust23THRUST_200600_302600_NS6detail15normal_iteratorINS9_10device_ptrIsEEEEPS5_m14custom_greaterIsEEE10hipError_tT0_T1_T2_jT3_P12ihipStream_tbPNSt15iterator_traitsISJ_E10value_typeEPNSP_ISK_E10value_typeEPSL_NS1_7vsmem_tEENKUlT_SJ_SK_SL_E_clIPsSE_SF_SF_EESI_SY_SJ_SK_SL_EUlSY_E0_NS1_11comp_targetILNS1_3genE10ELNS1_11target_archE1201ELNS1_3gpuE5ELNS1_3repE0EEENS1_38merge_mergepath_config_static_selectorELNS0_4arch9wavefront6targetE1EEEvSK_
	.globl	_ZN7rocprim17ROCPRIM_400000_NS6detail17trampoline_kernelINS0_14default_configENS1_38merge_sort_block_merge_config_selectorIsNS0_10empty_typeEEEZZNS1_27merge_sort_block_merge_implIS3_N6thrust23THRUST_200600_302600_NS6detail15normal_iteratorINS9_10device_ptrIsEEEEPS5_m14custom_greaterIsEEE10hipError_tT0_T1_T2_jT3_P12ihipStream_tbPNSt15iterator_traitsISJ_E10value_typeEPNSP_ISK_E10value_typeEPSL_NS1_7vsmem_tEENKUlT_SJ_SK_SL_E_clIPsSE_SF_SF_EESI_SY_SJ_SK_SL_EUlSY_E0_NS1_11comp_targetILNS1_3genE10ELNS1_11target_archE1201ELNS1_3gpuE5ELNS1_3repE0EEENS1_38merge_mergepath_config_static_selectorELNS0_4arch9wavefront6targetE1EEEvSK_
	.p2align	8
	.type	_ZN7rocprim17ROCPRIM_400000_NS6detail17trampoline_kernelINS0_14default_configENS1_38merge_sort_block_merge_config_selectorIsNS0_10empty_typeEEEZZNS1_27merge_sort_block_merge_implIS3_N6thrust23THRUST_200600_302600_NS6detail15normal_iteratorINS9_10device_ptrIsEEEEPS5_m14custom_greaterIsEEE10hipError_tT0_T1_T2_jT3_P12ihipStream_tbPNSt15iterator_traitsISJ_E10value_typeEPNSP_ISK_E10value_typeEPSL_NS1_7vsmem_tEENKUlT_SJ_SK_SL_E_clIPsSE_SF_SF_EESI_SY_SJ_SK_SL_EUlSY_E0_NS1_11comp_targetILNS1_3genE10ELNS1_11target_archE1201ELNS1_3gpuE5ELNS1_3repE0EEENS1_38merge_mergepath_config_static_selectorELNS0_4arch9wavefront6targetE1EEEvSK_,@function
_ZN7rocprim17ROCPRIM_400000_NS6detail17trampoline_kernelINS0_14default_configENS1_38merge_sort_block_merge_config_selectorIsNS0_10empty_typeEEEZZNS1_27merge_sort_block_merge_implIS3_N6thrust23THRUST_200600_302600_NS6detail15normal_iteratorINS9_10device_ptrIsEEEEPS5_m14custom_greaterIsEEE10hipError_tT0_T1_T2_jT3_P12ihipStream_tbPNSt15iterator_traitsISJ_E10value_typeEPNSP_ISK_E10value_typeEPSL_NS1_7vsmem_tEENKUlT_SJ_SK_SL_E_clIPsSE_SF_SF_EESI_SY_SJ_SK_SL_EUlSY_E0_NS1_11comp_targetILNS1_3genE10ELNS1_11target_archE1201ELNS1_3gpuE5ELNS1_3repE0EEENS1_38merge_mergepath_config_static_selectorELNS0_4arch9wavefront6targetE1EEEvSK_: ; @_ZN7rocprim17ROCPRIM_400000_NS6detail17trampoline_kernelINS0_14default_configENS1_38merge_sort_block_merge_config_selectorIsNS0_10empty_typeEEEZZNS1_27merge_sort_block_merge_implIS3_N6thrust23THRUST_200600_302600_NS6detail15normal_iteratorINS9_10device_ptrIsEEEEPS5_m14custom_greaterIsEEE10hipError_tT0_T1_T2_jT3_P12ihipStream_tbPNSt15iterator_traitsISJ_E10value_typeEPNSP_ISK_E10value_typeEPSL_NS1_7vsmem_tEENKUlT_SJ_SK_SL_E_clIPsSE_SF_SF_EESI_SY_SJ_SK_SL_EUlSY_E0_NS1_11comp_targetILNS1_3genE10ELNS1_11target_archE1201ELNS1_3gpuE5ELNS1_3repE0EEENS1_38merge_mergepath_config_static_selectorELNS0_4arch9wavefront6targetE1EEEvSK_
; %bb.0:
	.section	.rodata,"a",@progbits
	.p2align	6, 0x0
	.amdhsa_kernel _ZN7rocprim17ROCPRIM_400000_NS6detail17trampoline_kernelINS0_14default_configENS1_38merge_sort_block_merge_config_selectorIsNS0_10empty_typeEEEZZNS1_27merge_sort_block_merge_implIS3_N6thrust23THRUST_200600_302600_NS6detail15normal_iteratorINS9_10device_ptrIsEEEEPS5_m14custom_greaterIsEEE10hipError_tT0_T1_T2_jT3_P12ihipStream_tbPNSt15iterator_traitsISJ_E10value_typeEPNSP_ISK_E10value_typeEPSL_NS1_7vsmem_tEENKUlT_SJ_SK_SL_E_clIPsSE_SF_SF_EESI_SY_SJ_SK_SL_EUlSY_E0_NS1_11comp_targetILNS1_3genE10ELNS1_11target_archE1201ELNS1_3gpuE5ELNS1_3repE0EEENS1_38merge_mergepath_config_static_selectorELNS0_4arch9wavefront6targetE1EEEvSK_
		.amdhsa_group_segment_fixed_size 0
		.amdhsa_private_segment_fixed_size 0
		.amdhsa_kernarg_size 72
		.amdhsa_user_sgpr_count 6
		.amdhsa_user_sgpr_private_segment_buffer 1
		.amdhsa_user_sgpr_dispatch_ptr 0
		.amdhsa_user_sgpr_queue_ptr 0
		.amdhsa_user_sgpr_kernarg_segment_ptr 1
		.amdhsa_user_sgpr_dispatch_id 0
		.amdhsa_user_sgpr_flat_scratch_init 0
		.amdhsa_user_sgpr_kernarg_preload_length 0
		.amdhsa_user_sgpr_kernarg_preload_offset 0
		.amdhsa_user_sgpr_private_segment_size 0
		.amdhsa_uses_dynamic_stack 0
		.amdhsa_system_sgpr_private_segment_wavefront_offset 0
		.amdhsa_system_sgpr_workgroup_id_x 1
		.amdhsa_system_sgpr_workgroup_id_y 0
		.amdhsa_system_sgpr_workgroup_id_z 0
		.amdhsa_system_sgpr_workgroup_info 0
		.amdhsa_system_vgpr_workitem_id 0
		.amdhsa_next_free_vgpr 1
		.amdhsa_next_free_sgpr 0
		.amdhsa_accum_offset 4
		.amdhsa_reserve_vcc 0
		.amdhsa_reserve_flat_scratch 0
		.amdhsa_float_round_mode_32 0
		.amdhsa_float_round_mode_16_64 0
		.amdhsa_float_denorm_mode_32 3
		.amdhsa_float_denorm_mode_16_64 3
		.amdhsa_dx10_clamp 1
		.amdhsa_ieee_mode 1
		.amdhsa_fp16_overflow 0
		.amdhsa_tg_split 0
		.amdhsa_exception_fp_ieee_invalid_op 0
		.amdhsa_exception_fp_denorm_src 0
		.amdhsa_exception_fp_ieee_div_zero 0
		.amdhsa_exception_fp_ieee_overflow 0
		.amdhsa_exception_fp_ieee_underflow 0
		.amdhsa_exception_fp_ieee_inexact 0
		.amdhsa_exception_int_div_zero 0
	.end_amdhsa_kernel
	.section	.text._ZN7rocprim17ROCPRIM_400000_NS6detail17trampoline_kernelINS0_14default_configENS1_38merge_sort_block_merge_config_selectorIsNS0_10empty_typeEEEZZNS1_27merge_sort_block_merge_implIS3_N6thrust23THRUST_200600_302600_NS6detail15normal_iteratorINS9_10device_ptrIsEEEEPS5_m14custom_greaterIsEEE10hipError_tT0_T1_T2_jT3_P12ihipStream_tbPNSt15iterator_traitsISJ_E10value_typeEPNSP_ISK_E10value_typeEPSL_NS1_7vsmem_tEENKUlT_SJ_SK_SL_E_clIPsSE_SF_SF_EESI_SY_SJ_SK_SL_EUlSY_E0_NS1_11comp_targetILNS1_3genE10ELNS1_11target_archE1201ELNS1_3gpuE5ELNS1_3repE0EEENS1_38merge_mergepath_config_static_selectorELNS0_4arch9wavefront6targetE1EEEvSK_,"axG",@progbits,_ZN7rocprim17ROCPRIM_400000_NS6detail17trampoline_kernelINS0_14default_configENS1_38merge_sort_block_merge_config_selectorIsNS0_10empty_typeEEEZZNS1_27merge_sort_block_merge_implIS3_N6thrust23THRUST_200600_302600_NS6detail15normal_iteratorINS9_10device_ptrIsEEEEPS5_m14custom_greaterIsEEE10hipError_tT0_T1_T2_jT3_P12ihipStream_tbPNSt15iterator_traitsISJ_E10value_typeEPNSP_ISK_E10value_typeEPSL_NS1_7vsmem_tEENKUlT_SJ_SK_SL_E_clIPsSE_SF_SF_EESI_SY_SJ_SK_SL_EUlSY_E0_NS1_11comp_targetILNS1_3genE10ELNS1_11target_archE1201ELNS1_3gpuE5ELNS1_3repE0EEENS1_38merge_mergepath_config_static_selectorELNS0_4arch9wavefront6targetE1EEEvSK_,comdat
.Lfunc_end2946:
	.size	_ZN7rocprim17ROCPRIM_400000_NS6detail17trampoline_kernelINS0_14default_configENS1_38merge_sort_block_merge_config_selectorIsNS0_10empty_typeEEEZZNS1_27merge_sort_block_merge_implIS3_N6thrust23THRUST_200600_302600_NS6detail15normal_iteratorINS9_10device_ptrIsEEEEPS5_m14custom_greaterIsEEE10hipError_tT0_T1_T2_jT3_P12ihipStream_tbPNSt15iterator_traitsISJ_E10value_typeEPNSP_ISK_E10value_typeEPSL_NS1_7vsmem_tEENKUlT_SJ_SK_SL_E_clIPsSE_SF_SF_EESI_SY_SJ_SK_SL_EUlSY_E0_NS1_11comp_targetILNS1_3genE10ELNS1_11target_archE1201ELNS1_3gpuE5ELNS1_3repE0EEENS1_38merge_mergepath_config_static_selectorELNS0_4arch9wavefront6targetE1EEEvSK_, .Lfunc_end2946-_ZN7rocprim17ROCPRIM_400000_NS6detail17trampoline_kernelINS0_14default_configENS1_38merge_sort_block_merge_config_selectorIsNS0_10empty_typeEEEZZNS1_27merge_sort_block_merge_implIS3_N6thrust23THRUST_200600_302600_NS6detail15normal_iteratorINS9_10device_ptrIsEEEEPS5_m14custom_greaterIsEEE10hipError_tT0_T1_T2_jT3_P12ihipStream_tbPNSt15iterator_traitsISJ_E10value_typeEPNSP_ISK_E10value_typeEPSL_NS1_7vsmem_tEENKUlT_SJ_SK_SL_E_clIPsSE_SF_SF_EESI_SY_SJ_SK_SL_EUlSY_E0_NS1_11comp_targetILNS1_3genE10ELNS1_11target_archE1201ELNS1_3gpuE5ELNS1_3repE0EEENS1_38merge_mergepath_config_static_selectorELNS0_4arch9wavefront6targetE1EEEvSK_
                                        ; -- End function
	.section	.AMDGPU.csdata,"",@progbits
; Kernel info:
; codeLenInByte = 0
; NumSgprs: 4
; NumVgprs: 0
; NumAgprs: 0
; TotalNumVgprs: 0
; ScratchSize: 0
; MemoryBound: 0
; FloatMode: 240
; IeeeMode: 1
; LDSByteSize: 0 bytes/workgroup (compile time only)
; SGPRBlocks: 0
; VGPRBlocks: 0
; NumSGPRsForWavesPerEU: 4
; NumVGPRsForWavesPerEU: 1
; AccumOffset: 4
; Occupancy: 8
; WaveLimiterHint : 0
; COMPUTE_PGM_RSRC2:SCRATCH_EN: 0
; COMPUTE_PGM_RSRC2:USER_SGPR: 6
; COMPUTE_PGM_RSRC2:TRAP_HANDLER: 0
; COMPUTE_PGM_RSRC2:TGID_X_EN: 1
; COMPUTE_PGM_RSRC2:TGID_Y_EN: 0
; COMPUTE_PGM_RSRC2:TGID_Z_EN: 0
; COMPUTE_PGM_RSRC2:TIDIG_COMP_CNT: 0
; COMPUTE_PGM_RSRC3_GFX90A:ACCUM_OFFSET: 0
; COMPUTE_PGM_RSRC3_GFX90A:TG_SPLIT: 0
	.section	.text._ZN7rocprim17ROCPRIM_400000_NS6detail17trampoline_kernelINS0_14default_configENS1_38merge_sort_block_merge_config_selectorIsNS0_10empty_typeEEEZZNS1_27merge_sort_block_merge_implIS3_N6thrust23THRUST_200600_302600_NS6detail15normal_iteratorINS9_10device_ptrIsEEEEPS5_m14custom_greaterIsEEE10hipError_tT0_T1_T2_jT3_P12ihipStream_tbPNSt15iterator_traitsISJ_E10value_typeEPNSP_ISK_E10value_typeEPSL_NS1_7vsmem_tEENKUlT_SJ_SK_SL_E_clIPsSE_SF_SF_EESI_SY_SJ_SK_SL_EUlSY_E0_NS1_11comp_targetILNS1_3genE5ELNS1_11target_archE942ELNS1_3gpuE9ELNS1_3repE0EEENS1_38merge_mergepath_config_static_selectorELNS0_4arch9wavefront6targetE1EEEvSK_,"axG",@progbits,_ZN7rocprim17ROCPRIM_400000_NS6detail17trampoline_kernelINS0_14default_configENS1_38merge_sort_block_merge_config_selectorIsNS0_10empty_typeEEEZZNS1_27merge_sort_block_merge_implIS3_N6thrust23THRUST_200600_302600_NS6detail15normal_iteratorINS9_10device_ptrIsEEEEPS5_m14custom_greaterIsEEE10hipError_tT0_T1_T2_jT3_P12ihipStream_tbPNSt15iterator_traitsISJ_E10value_typeEPNSP_ISK_E10value_typeEPSL_NS1_7vsmem_tEENKUlT_SJ_SK_SL_E_clIPsSE_SF_SF_EESI_SY_SJ_SK_SL_EUlSY_E0_NS1_11comp_targetILNS1_3genE5ELNS1_11target_archE942ELNS1_3gpuE9ELNS1_3repE0EEENS1_38merge_mergepath_config_static_selectorELNS0_4arch9wavefront6targetE1EEEvSK_,comdat
	.protected	_ZN7rocprim17ROCPRIM_400000_NS6detail17trampoline_kernelINS0_14default_configENS1_38merge_sort_block_merge_config_selectorIsNS0_10empty_typeEEEZZNS1_27merge_sort_block_merge_implIS3_N6thrust23THRUST_200600_302600_NS6detail15normal_iteratorINS9_10device_ptrIsEEEEPS5_m14custom_greaterIsEEE10hipError_tT0_T1_T2_jT3_P12ihipStream_tbPNSt15iterator_traitsISJ_E10value_typeEPNSP_ISK_E10value_typeEPSL_NS1_7vsmem_tEENKUlT_SJ_SK_SL_E_clIPsSE_SF_SF_EESI_SY_SJ_SK_SL_EUlSY_E0_NS1_11comp_targetILNS1_3genE5ELNS1_11target_archE942ELNS1_3gpuE9ELNS1_3repE0EEENS1_38merge_mergepath_config_static_selectorELNS0_4arch9wavefront6targetE1EEEvSK_ ; -- Begin function _ZN7rocprim17ROCPRIM_400000_NS6detail17trampoline_kernelINS0_14default_configENS1_38merge_sort_block_merge_config_selectorIsNS0_10empty_typeEEEZZNS1_27merge_sort_block_merge_implIS3_N6thrust23THRUST_200600_302600_NS6detail15normal_iteratorINS9_10device_ptrIsEEEEPS5_m14custom_greaterIsEEE10hipError_tT0_T1_T2_jT3_P12ihipStream_tbPNSt15iterator_traitsISJ_E10value_typeEPNSP_ISK_E10value_typeEPSL_NS1_7vsmem_tEENKUlT_SJ_SK_SL_E_clIPsSE_SF_SF_EESI_SY_SJ_SK_SL_EUlSY_E0_NS1_11comp_targetILNS1_3genE5ELNS1_11target_archE942ELNS1_3gpuE9ELNS1_3repE0EEENS1_38merge_mergepath_config_static_selectorELNS0_4arch9wavefront6targetE1EEEvSK_
	.globl	_ZN7rocprim17ROCPRIM_400000_NS6detail17trampoline_kernelINS0_14default_configENS1_38merge_sort_block_merge_config_selectorIsNS0_10empty_typeEEEZZNS1_27merge_sort_block_merge_implIS3_N6thrust23THRUST_200600_302600_NS6detail15normal_iteratorINS9_10device_ptrIsEEEEPS5_m14custom_greaterIsEEE10hipError_tT0_T1_T2_jT3_P12ihipStream_tbPNSt15iterator_traitsISJ_E10value_typeEPNSP_ISK_E10value_typeEPSL_NS1_7vsmem_tEENKUlT_SJ_SK_SL_E_clIPsSE_SF_SF_EESI_SY_SJ_SK_SL_EUlSY_E0_NS1_11comp_targetILNS1_3genE5ELNS1_11target_archE942ELNS1_3gpuE9ELNS1_3repE0EEENS1_38merge_mergepath_config_static_selectorELNS0_4arch9wavefront6targetE1EEEvSK_
	.p2align	8
	.type	_ZN7rocprim17ROCPRIM_400000_NS6detail17trampoline_kernelINS0_14default_configENS1_38merge_sort_block_merge_config_selectorIsNS0_10empty_typeEEEZZNS1_27merge_sort_block_merge_implIS3_N6thrust23THRUST_200600_302600_NS6detail15normal_iteratorINS9_10device_ptrIsEEEEPS5_m14custom_greaterIsEEE10hipError_tT0_T1_T2_jT3_P12ihipStream_tbPNSt15iterator_traitsISJ_E10value_typeEPNSP_ISK_E10value_typeEPSL_NS1_7vsmem_tEENKUlT_SJ_SK_SL_E_clIPsSE_SF_SF_EESI_SY_SJ_SK_SL_EUlSY_E0_NS1_11comp_targetILNS1_3genE5ELNS1_11target_archE942ELNS1_3gpuE9ELNS1_3repE0EEENS1_38merge_mergepath_config_static_selectorELNS0_4arch9wavefront6targetE1EEEvSK_,@function
_ZN7rocprim17ROCPRIM_400000_NS6detail17trampoline_kernelINS0_14default_configENS1_38merge_sort_block_merge_config_selectorIsNS0_10empty_typeEEEZZNS1_27merge_sort_block_merge_implIS3_N6thrust23THRUST_200600_302600_NS6detail15normal_iteratorINS9_10device_ptrIsEEEEPS5_m14custom_greaterIsEEE10hipError_tT0_T1_T2_jT3_P12ihipStream_tbPNSt15iterator_traitsISJ_E10value_typeEPNSP_ISK_E10value_typeEPSL_NS1_7vsmem_tEENKUlT_SJ_SK_SL_E_clIPsSE_SF_SF_EESI_SY_SJ_SK_SL_EUlSY_E0_NS1_11comp_targetILNS1_3genE5ELNS1_11target_archE942ELNS1_3gpuE9ELNS1_3repE0EEENS1_38merge_mergepath_config_static_selectorELNS0_4arch9wavefront6targetE1EEEvSK_: ; @_ZN7rocprim17ROCPRIM_400000_NS6detail17trampoline_kernelINS0_14default_configENS1_38merge_sort_block_merge_config_selectorIsNS0_10empty_typeEEEZZNS1_27merge_sort_block_merge_implIS3_N6thrust23THRUST_200600_302600_NS6detail15normal_iteratorINS9_10device_ptrIsEEEEPS5_m14custom_greaterIsEEE10hipError_tT0_T1_T2_jT3_P12ihipStream_tbPNSt15iterator_traitsISJ_E10value_typeEPNSP_ISK_E10value_typeEPSL_NS1_7vsmem_tEENKUlT_SJ_SK_SL_E_clIPsSE_SF_SF_EESI_SY_SJ_SK_SL_EUlSY_E0_NS1_11comp_targetILNS1_3genE5ELNS1_11target_archE942ELNS1_3gpuE9ELNS1_3repE0EEENS1_38merge_mergepath_config_static_selectorELNS0_4arch9wavefront6targetE1EEEvSK_
; %bb.0:
	.section	.rodata,"a",@progbits
	.p2align	6, 0x0
	.amdhsa_kernel _ZN7rocprim17ROCPRIM_400000_NS6detail17trampoline_kernelINS0_14default_configENS1_38merge_sort_block_merge_config_selectorIsNS0_10empty_typeEEEZZNS1_27merge_sort_block_merge_implIS3_N6thrust23THRUST_200600_302600_NS6detail15normal_iteratorINS9_10device_ptrIsEEEEPS5_m14custom_greaterIsEEE10hipError_tT0_T1_T2_jT3_P12ihipStream_tbPNSt15iterator_traitsISJ_E10value_typeEPNSP_ISK_E10value_typeEPSL_NS1_7vsmem_tEENKUlT_SJ_SK_SL_E_clIPsSE_SF_SF_EESI_SY_SJ_SK_SL_EUlSY_E0_NS1_11comp_targetILNS1_3genE5ELNS1_11target_archE942ELNS1_3gpuE9ELNS1_3repE0EEENS1_38merge_mergepath_config_static_selectorELNS0_4arch9wavefront6targetE1EEEvSK_
		.amdhsa_group_segment_fixed_size 0
		.amdhsa_private_segment_fixed_size 0
		.amdhsa_kernarg_size 72
		.amdhsa_user_sgpr_count 6
		.amdhsa_user_sgpr_private_segment_buffer 1
		.amdhsa_user_sgpr_dispatch_ptr 0
		.amdhsa_user_sgpr_queue_ptr 0
		.amdhsa_user_sgpr_kernarg_segment_ptr 1
		.amdhsa_user_sgpr_dispatch_id 0
		.amdhsa_user_sgpr_flat_scratch_init 0
		.amdhsa_user_sgpr_kernarg_preload_length 0
		.amdhsa_user_sgpr_kernarg_preload_offset 0
		.amdhsa_user_sgpr_private_segment_size 0
		.amdhsa_uses_dynamic_stack 0
		.amdhsa_system_sgpr_private_segment_wavefront_offset 0
		.amdhsa_system_sgpr_workgroup_id_x 1
		.amdhsa_system_sgpr_workgroup_id_y 0
		.amdhsa_system_sgpr_workgroup_id_z 0
		.amdhsa_system_sgpr_workgroup_info 0
		.amdhsa_system_vgpr_workitem_id 0
		.amdhsa_next_free_vgpr 1
		.amdhsa_next_free_sgpr 0
		.amdhsa_accum_offset 4
		.amdhsa_reserve_vcc 0
		.amdhsa_reserve_flat_scratch 0
		.amdhsa_float_round_mode_32 0
		.amdhsa_float_round_mode_16_64 0
		.amdhsa_float_denorm_mode_32 3
		.amdhsa_float_denorm_mode_16_64 3
		.amdhsa_dx10_clamp 1
		.amdhsa_ieee_mode 1
		.amdhsa_fp16_overflow 0
		.amdhsa_tg_split 0
		.amdhsa_exception_fp_ieee_invalid_op 0
		.amdhsa_exception_fp_denorm_src 0
		.amdhsa_exception_fp_ieee_div_zero 0
		.amdhsa_exception_fp_ieee_overflow 0
		.amdhsa_exception_fp_ieee_underflow 0
		.amdhsa_exception_fp_ieee_inexact 0
		.amdhsa_exception_int_div_zero 0
	.end_amdhsa_kernel
	.section	.text._ZN7rocprim17ROCPRIM_400000_NS6detail17trampoline_kernelINS0_14default_configENS1_38merge_sort_block_merge_config_selectorIsNS0_10empty_typeEEEZZNS1_27merge_sort_block_merge_implIS3_N6thrust23THRUST_200600_302600_NS6detail15normal_iteratorINS9_10device_ptrIsEEEEPS5_m14custom_greaterIsEEE10hipError_tT0_T1_T2_jT3_P12ihipStream_tbPNSt15iterator_traitsISJ_E10value_typeEPNSP_ISK_E10value_typeEPSL_NS1_7vsmem_tEENKUlT_SJ_SK_SL_E_clIPsSE_SF_SF_EESI_SY_SJ_SK_SL_EUlSY_E0_NS1_11comp_targetILNS1_3genE5ELNS1_11target_archE942ELNS1_3gpuE9ELNS1_3repE0EEENS1_38merge_mergepath_config_static_selectorELNS0_4arch9wavefront6targetE1EEEvSK_,"axG",@progbits,_ZN7rocprim17ROCPRIM_400000_NS6detail17trampoline_kernelINS0_14default_configENS1_38merge_sort_block_merge_config_selectorIsNS0_10empty_typeEEEZZNS1_27merge_sort_block_merge_implIS3_N6thrust23THRUST_200600_302600_NS6detail15normal_iteratorINS9_10device_ptrIsEEEEPS5_m14custom_greaterIsEEE10hipError_tT0_T1_T2_jT3_P12ihipStream_tbPNSt15iterator_traitsISJ_E10value_typeEPNSP_ISK_E10value_typeEPSL_NS1_7vsmem_tEENKUlT_SJ_SK_SL_E_clIPsSE_SF_SF_EESI_SY_SJ_SK_SL_EUlSY_E0_NS1_11comp_targetILNS1_3genE5ELNS1_11target_archE942ELNS1_3gpuE9ELNS1_3repE0EEENS1_38merge_mergepath_config_static_selectorELNS0_4arch9wavefront6targetE1EEEvSK_,comdat
.Lfunc_end2947:
	.size	_ZN7rocprim17ROCPRIM_400000_NS6detail17trampoline_kernelINS0_14default_configENS1_38merge_sort_block_merge_config_selectorIsNS0_10empty_typeEEEZZNS1_27merge_sort_block_merge_implIS3_N6thrust23THRUST_200600_302600_NS6detail15normal_iteratorINS9_10device_ptrIsEEEEPS5_m14custom_greaterIsEEE10hipError_tT0_T1_T2_jT3_P12ihipStream_tbPNSt15iterator_traitsISJ_E10value_typeEPNSP_ISK_E10value_typeEPSL_NS1_7vsmem_tEENKUlT_SJ_SK_SL_E_clIPsSE_SF_SF_EESI_SY_SJ_SK_SL_EUlSY_E0_NS1_11comp_targetILNS1_3genE5ELNS1_11target_archE942ELNS1_3gpuE9ELNS1_3repE0EEENS1_38merge_mergepath_config_static_selectorELNS0_4arch9wavefront6targetE1EEEvSK_, .Lfunc_end2947-_ZN7rocprim17ROCPRIM_400000_NS6detail17trampoline_kernelINS0_14default_configENS1_38merge_sort_block_merge_config_selectorIsNS0_10empty_typeEEEZZNS1_27merge_sort_block_merge_implIS3_N6thrust23THRUST_200600_302600_NS6detail15normal_iteratorINS9_10device_ptrIsEEEEPS5_m14custom_greaterIsEEE10hipError_tT0_T1_T2_jT3_P12ihipStream_tbPNSt15iterator_traitsISJ_E10value_typeEPNSP_ISK_E10value_typeEPSL_NS1_7vsmem_tEENKUlT_SJ_SK_SL_E_clIPsSE_SF_SF_EESI_SY_SJ_SK_SL_EUlSY_E0_NS1_11comp_targetILNS1_3genE5ELNS1_11target_archE942ELNS1_3gpuE9ELNS1_3repE0EEENS1_38merge_mergepath_config_static_selectorELNS0_4arch9wavefront6targetE1EEEvSK_
                                        ; -- End function
	.section	.AMDGPU.csdata,"",@progbits
; Kernel info:
; codeLenInByte = 0
; NumSgprs: 4
; NumVgprs: 0
; NumAgprs: 0
; TotalNumVgprs: 0
; ScratchSize: 0
; MemoryBound: 0
; FloatMode: 240
; IeeeMode: 1
; LDSByteSize: 0 bytes/workgroup (compile time only)
; SGPRBlocks: 0
; VGPRBlocks: 0
; NumSGPRsForWavesPerEU: 4
; NumVGPRsForWavesPerEU: 1
; AccumOffset: 4
; Occupancy: 8
; WaveLimiterHint : 0
; COMPUTE_PGM_RSRC2:SCRATCH_EN: 0
; COMPUTE_PGM_RSRC2:USER_SGPR: 6
; COMPUTE_PGM_RSRC2:TRAP_HANDLER: 0
; COMPUTE_PGM_RSRC2:TGID_X_EN: 1
; COMPUTE_PGM_RSRC2:TGID_Y_EN: 0
; COMPUTE_PGM_RSRC2:TGID_Z_EN: 0
; COMPUTE_PGM_RSRC2:TIDIG_COMP_CNT: 0
; COMPUTE_PGM_RSRC3_GFX90A:ACCUM_OFFSET: 0
; COMPUTE_PGM_RSRC3_GFX90A:TG_SPLIT: 0
	.section	.text._ZN7rocprim17ROCPRIM_400000_NS6detail17trampoline_kernelINS0_14default_configENS1_38merge_sort_block_merge_config_selectorIsNS0_10empty_typeEEEZZNS1_27merge_sort_block_merge_implIS3_N6thrust23THRUST_200600_302600_NS6detail15normal_iteratorINS9_10device_ptrIsEEEEPS5_m14custom_greaterIsEEE10hipError_tT0_T1_T2_jT3_P12ihipStream_tbPNSt15iterator_traitsISJ_E10value_typeEPNSP_ISK_E10value_typeEPSL_NS1_7vsmem_tEENKUlT_SJ_SK_SL_E_clIPsSE_SF_SF_EESI_SY_SJ_SK_SL_EUlSY_E0_NS1_11comp_targetILNS1_3genE4ELNS1_11target_archE910ELNS1_3gpuE8ELNS1_3repE0EEENS1_38merge_mergepath_config_static_selectorELNS0_4arch9wavefront6targetE1EEEvSK_,"axG",@progbits,_ZN7rocprim17ROCPRIM_400000_NS6detail17trampoline_kernelINS0_14default_configENS1_38merge_sort_block_merge_config_selectorIsNS0_10empty_typeEEEZZNS1_27merge_sort_block_merge_implIS3_N6thrust23THRUST_200600_302600_NS6detail15normal_iteratorINS9_10device_ptrIsEEEEPS5_m14custom_greaterIsEEE10hipError_tT0_T1_T2_jT3_P12ihipStream_tbPNSt15iterator_traitsISJ_E10value_typeEPNSP_ISK_E10value_typeEPSL_NS1_7vsmem_tEENKUlT_SJ_SK_SL_E_clIPsSE_SF_SF_EESI_SY_SJ_SK_SL_EUlSY_E0_NS1_11comp_targetILNS1_3genE4ELNS1_11target_archE910ELNS1_3gpuE8ELNS1_3repE0EEENS1_38merge_mergepath_config_static_selectorELNS0_4arch9wavefront6targetE1EEEvSK_,comdat
	.protected	_ZN7rocprim17ROCPRIM_400000_NS6detail17trampoline_kernelINS0_14default_configENS1_38merge_sort_block_merge_config_selectorIsNS0_10empty_typeEEEZZNS1_27merge_sort_block_merge_implIS3_N6thrust23THRUST_200600_302600_NS6detail15normal_iteratorINS9_10device_ptrIsEEEEPS5_m14custom_greaterIsEEE10hipError_tT0_T1_T2_jT3_P12ihipStream_tbPNSt15iterator_traitsISJ_E10value_typeEPNSP_ISK_E10value_typeEPSL_NS1_7vsmem_tEENKUlT_SJ_SK_SL_E_clIPsSE_SF_SF_EESI_SY_SJ_SK_SL_EUlSY_E0_NS1_11comp_targetILNS1_3genE4ELNS1_11target_archE910ELNS1_3gpuE8ELNS1_3repE0EEENS1_38merge_mergepath_config_static_selectorELNS0_4arch9wavefront6targetE1EEEvSK_ ; -- Begin function _ZN7rocprim17ROCPRIM_400000_NS6detail17trampoline_kernelINS0_14default_configENS1_38merge_sort_block_merge_config_selectorIsNS0_10empty_typeEEEZZNS1_27merge_sort_block_merge_implIS3_N6thrust23THRUST_200600_302600_NS6detail15normal_iteratorINS9_10device_ptrIsEEEEPS5_m14custom_greaterIsEEE10hipError_tT0_T1_T2_jT3_P12ihipStream_tbPNSt15iterator_traitsISJ_E10value_typeEPNSP_ISK_E10value_typeEPSL_NS1_7vsmem_tEENKUlT_SJ_SK_SL_E_clIPsSE_SF_SF_EESI_SY_SJ_SK_SL_EUlSY_E0_NS1_11comp_targetILNS1_3genE4ELNS1_11target_archE910ELNS1_3gpuE8ELNS1_3repE0EEENS1_38merge_mergepath_config_static_selectorELNS0_4arch9wavefront6targetE1EEEvSK_
	.globl	_ZN7rocprim17ROCPRIM_400000_NS6detail17trampoline_kernelINS0_14default_configENS1_38merge_sort_block_merge_config_selectorIsNS0_10empty_typeEEEZZNS1_27merge_sort_block_merge_implIS3_N6thrust23THRUST_200600_302600_NS6detail15normal_iteratorINS9_10device_ptrIsEEEEPS5_m14custom_greaterIsEEE10hipError_tT0_T1_T2_jT3_P12ihipStream_tbPNSt15iterator_traitsISJ_E10value_typeEPNSP_ISK_E10value_typeEPSL_NS1_7vsmem_tEENKUlT_SJ_SK_SL_E_clIPsSE_SF_SF_EESI_SY_SJ_SK_SL_EUlSY_E0_NS1_11comp_targetILNS1_3genE4ELNS1_11target_archE910ELNS1_3gpuE8ELNS1_3repE0EEENS1_38merge_mergepath_config_static_selectorELNS0_4arch9wavefront6targetE1EEEvSK_
	.p2align	8
	.type	_ZN7rocprim17ROCPRIM_400000_NS6detail17trampoline_kernelINS0_14default_configENS1_38merge_sort_block_merge_config_selectorIsNS0_10empty_typeEEEZZNS1_27merge_sort_block_merge_implIS3_N6thrust23THRUST_200600_302600_NS6detail15normal_iteratorINS9_10device_ptrIsEEEEPS5_m14custom_greaterIsEEE10hipError_tT0_T1_T2_jT3_P12ihipStream_tbPNSt15iterator_traitsISJ_E10value_typeEPNSP_ISK_E10value_typeEPSL_NS1_7vsmem_tEENKUlT_SJ_SK_SL_E_clIPsSE_SF_SF_EESI_SY_SJ_SK_SL_EUlSY_E0_NS1_11comp_targetILNS1_3genE4ELNS1_11target_archE910ELNS1_3gpuE8ELNS1_3repE0EEENS1_38merge_mergepath_config_static_selectorELNS0_4arch9wavefront6targetE1EEEvSK_,@function
_ZN7rocprim17ROCPRIM_400000_NS6detail17trampoline_kernelINS0_14default_configENS1_38merge_sort_block_merge_config_selectorIsNS0_10empty_typeEEEZZNS1_27merge_sort_block_merge_implIS3_N6thrust23THRUST_200600_302600_NS6detail15normal_iteratorINS9_10device_ptrIsEEEEPS5_m14custom_greaterIsEEE10hipError_tT0_T1_T2_jT3_P12ihipStream_tbPNSt15iterator_traitsISJ_E10value_typeEPNSP_ISK_E10value_typeEPSL_NS1_7vsmem_tEENKUlT_SJ_SK_SL_E_clIPsSE_SF_SF_EESI_SY_SJ_SK_SL_EUlSY_E0_NS1_11comp_targetILNS1_3genE4ELNS1_11target_archE910ELNS1_3gpuE8ELNS1_3repE0EEENS1_38merge_mergepath_config_static_selectorELNS0_4arch9wavefront6targetE1EEEvSK_: ; @_ZN7rocprim17ROCPRIM_400000_NS6detail17trampoline_kernelINS0_14default_configENS1_38merge_sort_block_merge_config_selectorIsNS0_10empty_typeEEEZZNS1_27merge_sort_block_merge_implIS3_N6thrust23THRUST_200600_302600_NS6detail15normal_iteratorINS9_10device_ptrIsEEEEPS5_m14custom_greaterIsEEE10hipError_tT0_T1_T2_jT3_P12ihipStream_tbPNSt15iterator_traitsISJ_E10value_typeEPNSP_ISK_E10value_typeEPSL_NS1_7vsmem_tEENKUlT_SJ_SK_SL_E_clIPsSE_SF_SF_EESI_SY_SJ_SK_SL_EUlSY_E0_NS1_11comp_targetILNS1_3genE4ELNS1_11target_archE910ELNS1_3gpuE8ELNS1_3repE0EEENS1_38merge_mergepath_config_static_selectorELNS0_4arch9wavefront6targetE1EEEvSK_
; %bb.0:
	s_load_dwordx2 s[22:23], s[4:5], 0x48
	s_load_dword s0, s[4:5], 0x38
	s_add_u32 s10, s4, 0x48
	s_addc_u32 s11, s5, 0
	s_waitcnt lgkmcnt(0)
	s_mul_i32 s1, s23, s8
	s_add_i32 s1, s1, s7
	s_mul_i32 s1, s1, s22
	s_add_i32 s8, s1, s6
	s_cmp_ge_u32 s8, s0
	s_cbranch_scc1 .LBB2948_45
; %bb.1:
	s_load_dwordx2 s[0:1], s[4:5], 0x40
	s_load_dwordx4 s[12:15], s[4:5], 0x8
	s_load_dwordx4 s[16:19], s[4:5], 0x28
	s_mov_b32 s9, 0
	s_lshl_b64 s[2:3], s[8:9], 3
	s_waitcnt lgkmcnt(0)
	s_add_u32 s0, s0, s2
	s_addc_u32 s1, s1, s3
	v_mov_b32_e32 v1, s18
	v_alignbit_b32 v1, s19, v1, 9
	v_readfirstlane_b32 s4, v1
	s_and_b32 s4, s4, -2
	s_sub_i32 s30, 0, s4
	s_and_b32 s24, s8, s30
	s_mov_b32 s25, s9
	s_lshl_b64 s[4:5], s[24:25], 10
	s_lshl_b64 s[20:21], s[8:9], 10
	s_sub_u32 s7, s20, s4
	s_load_dwordx4 s[0:3], s[0:1], 0x0
	s_subb_u32 s23, s21, s5
	s_lshl_b64 s[24:25], s[24:25], 11
	s_add_u32 s24, s24, s18
	s_addc_u32 s25, s25, s19
	s_add_u32 s7, s24, s7
	s_addc_u32 s23, s25, s23
	s_waitcnt lgkmcnt(0)
	s_sub_u32 s26, s7, s2
	s_subb_u32 s3, s23, s3
	s_add_u32 s26, s26, 0x400
	s_addc_u32 s27, s3, 0
	v_pk_mov_b32 v[2:3], s[26:27], s[26:27] op_sel:[0,1]
	v_cmp_lt_u64_e32 vcc, s[16:17], v[2:3]
	s_and_b64 s[28:29], vcc, exec
	s_cselect_b32 s3, s16, s26
	s_or_b32 s26, s8, s30
	s_cmp_lg_u32 s26, -1
	s_cbranch_scc1 .LBB2948_3
; %bb.2:
	s_sub_u32 s4, s24, s4
	s_subb_u32 s5, s25, s5
	v_pk_mov_b32 v[2:3], s[4:5], s[4:5] op_sel:[0,1]
	v_cmp_lt_u64_e32 vcc, s[16:17], v[2:3]
	s_and_b64 s[2:3], vcc, exec
	s_cselect_b32 s2, s16, s4
	s_add_u32 s4, s4, s18
	s_addc_u32 s5, s5, s19
	v_pk_mov_b32 v[2:3], s[4:5], s[4:5] op_sel:[0,1]
	v_cmp_lt_u64_e32 vcc, s[16:17], v[2:3]
	s_and_b64 s[18:19], vcc, exec
	s_cselect_b32 s3, s16, s4
.LBB2948_3:
	s_lshr_b64 s[26:27], s[16:17], 10
	s_cmp_lg_u64 s[26:27], s[8:9]
	s_cselect_b64 s[18:19], -1, 0
	s_sub_u32 s4, s7, s0
	s_subb_u32 s5, s23, s1
	v_pk_mov_b32 v[2:3], s[4:5], s[4:5] op_sel:[0,1]
	v_cmp_lt_u64_e32 vcc, s[16:17], v[2:3]
	s_and_b64 s[24:25], vcc, exec
	s_cselect_b32 s28, s16, s4
	s_cselect_b32 s29, s17, s5
	s_sub_i32 s17, s2, s0
	s_sub_i32 s4, s3, s28
	s_lshl_b64 s[0:1], s[0:1], 1
	s_add_u32 s23, s12, s0
	s_addc_u32 s25, s13, s1
	s_lshl_b64 s[0:1], s[28:29], 1
	s_add_u32 s5, s12, s0
	s_addc_u32 s7, s13, s1
	s_cmp_lt_u32 s6, s22
	v_mov_b32_e32 v3, 0
	s_cselect_b32 s0, 12, 18
	global_load_dword v1, v3, s[10:11] offset:14
	s_add_u32 s0, s10, s0
	s_addc_u32 s1, s11, 0
	global_load_ushort v2, v3, s[0:1]
	s_cmp_eq_u64 s[26:27], s[8:9]
	s_waitcnt vmcnt(1)
	v_lshrrev_b32_e32 v4, 16, v1
	v_and_b32_e32 v1, 0xffff, v1
	v_mul_lo_u32 v1, v1, v4
	s_waitcnt vmcnt(0)
	v_mul_lo_u32 v10, v1, v2
	v_add_u32_e32 v8, v10, v0
	v_lshlrev_b32_e32 v1, 1, v0
	v_add_u32_e32 v6, v8, v10
	s_cbranch_scc1 .LBB2948_5
; %bb.4:
	v_mov_b32_e32 v2, s25
	v_add_co_u32_e32 v7, vcc, s23, v1
	v_addc_co_u32_e32 v9, vcc, 0, v2, vcc
	v_subrev_u32_e32 v2, s17, v0
	v_lshlrev_b64 v[4:5], 1, v[2:3]
	v_mov_b32_e32 v2, s7
	v_add_co_u32_e32 v4, vcc, s5, v4
	v_addc_co_u32_e32 v2, vcc, v2, v5, vcc
	v_cmp_gt_u32_e32 vcc, s17, v0
	v_cndmask_b32_e32 v5, v2, v9, vcc
	v_cndmask_b32_e32 v4, v4, v7, vcc
	v_mov_b32_e32 v9, v3
	global_load_ushort v11, v[4:5], off
	v_lshlrev_b64 v[4:5], 1, v[8:9]
	v_mov_b32_e32 v2, s25
	v_add_co_u32_e32 v7, vcc, s23, v4
	v_addc_co_u32_e32 v9, vcc, v2, v5, vcc
	v_subrev_u32_e32 v2, s17, v8
	v_lshlrev_b64 v[4:5], 1, v[2:3]
	v_mov_b32_e32 v2, s7
	v_add_co_u32_e32 v4, vcc, s5, v4
	v_addc_co_u32_e32 v2, vcc, v2, v5, vcc
	v_cmp_gt_u32_e32 vcc, s17, v8
	v_cndmask_b32_e32 v5, v2, v9, vcc
	v_cndmask_b32_e32 v4, v4, v7, vcc
	v_mov_b32_e32 v7, v3
	global_load_ushort v9, v[4:5], off
	v_lshlrev_b64 v[4:5], 1, v[6:7]
	v_mov_b32_e32 v2, s25
	v_add_co_u32_e32 v7, vcc, s23, v4
	v_addc_co_u32_e32 v12, vcc, v2, v5, vcc
	v_subrev_u32_e32 v2, s17, v6
	v_lshlrev_b64 v[4:5], 1, v[2:3]
	v_mov_b32_e32 v2, s7
	v_add_co_u32_e32 v4, vcc, s5, v4
	v_addc_co_u32_e32 v2, vcc, v2, v5, vcc
	v_cmp_gt_u32_e32 vcc, s17, v6
	v_cndmask_b32_e32 v5, v2, v12, vcc
	v_cndmask_b32_e32 v4, v4, v7, vcc
	v_add_u32_e32 v2, v6, v10
	global_load_ushort v7, v[4:5], off
	v_lshlrev_b64 v[4:5], 1, v[2:3]
	v_mov_b32_e32 v12, s25
	v_add_co_u32_e32 v13, vcc, s23, v4
	v_addc_co_u32_e32 v12, vcc, v12, v5, vcc
	v_subrev_u32_e32 v4, s17, v2
	v_mov_b32_e32 v5, v3
	v_lshlrev_b64 v[4:5], 1, v[4:5]
	v_mov_b32_e32 v14, s7
	v_add_co_u32_e32 v4, vcc, s5, v4
	v_addc_co_u32_e32 v5, vcc, v14, v5, vcc
	v_cmp_gt_u32_e32 vcc, s17, v2
	v_cndmask_b32_e32 v5, v5, v12, vcc
	v_cndmask_b32_e32 v4, v4, v13, vcc
	v_add_u32_e32 v2, v2, v10
	global_load_ushort v12, v[4:5], off
	v_lshlrev_b64 v[4:5], 1, v[2:3]
	v_mov_b32_e32 v13, s25
	v_add_co_u32_e32 v14, vcc, s23, v4
	v_addc_co_u32_e32 v13, vcc, v13, v5, vcc
	v_subrev_u32_e32 v4, s17, v2
	v_mov_b32_e32 v5, v3
	;; [unrolled: 15-line block ×4, first 2 shown]
	v_lshlrev_b64 v[4:5], 1, v[4:5]
	v_mov_b32_e32 v17, s7
	v_add_co_u32_e32 v4, vcc, s5, v4
	v_addc_co_u32_e32 v5, vcc, v17, v5, vcc
	v_cmp_gt_u32_e32 vcc, s17, v2
	v_cndmask_b32_e32 v5, v5, v15, vcc
	v_cndmask_b32_e32 v4, v4, v16, vcc
	v_add_u32_e32 v2, v2, v10
	global_load_ushort v15, v[4:5], off
	v_lshlrev_b64 v[4:5], 1, v[2:3]
	v_mov_b32_e32 v16, s25
	v_add_co_u32_e32 v4, vcc, s23, v4
	v_addc_co_u32_e32 v5, vcc, v16, v5, vcc
	v_cmp_gt_u32_e32 vcc, s17, v2
	v_subrev_u32_e32 v2, s17, v2
	v_lshlrev_b64 v[2:3], 1, v[2:3]
	v_mov_b32_e32 v16, s7
	v_add_co_u32_e64 v2, s[0:1], s5, v2
	v_addc_co_u32_e64 v3, s[0:1], v16, v3, s[0:1]
	v_cndmask_b32_e32 v3, v3, v5, vcc
	v_cndmask_b32_e32 v2, v2, v4, vcc
	global_load_ushort v5, v[2:3], off
	s_mov_b32 s0, 0x5040100
	s_waitcnt vmcnt(6)
	v_perm_b32 v2, v9, v11, s0
	s_add_i32 s24, s17, s4
	s_waitcnt vmcnt(4)
	v_perm_b32 v3, v12, v7, s0
	s_waitcnt vmcnt(2)
	v_perm_b32 v4, v14, v13, s0
	;; [unrolled: 2-line block ×3, first 2 shown]
	s_cbranch_execz .LBB2948_6
	s_branch .LBB2948_21
.LBB2948_5:
                                        ; implicit-def: $vgpr2_vgpr3_vgpr4_vgpr5
                                        ; implicit-def: $sgpr24
.LBB2948_6:
	s_add_i32 s24, s17, s4
	v_cmp_gt_u32_e32 vcc, s24, v0
                                        ; implicit-def: $vgpr2_vgpr3_vgpr4_vgpr5
	s_and_saveexec_b64 s[0:1], vcc
	s_cbranch_execnz .LBB2948_46
; %bb.7:
	s_or_b64 exec, exec, s[0:1]
	v_cmp_gt_u32_e32 vcc, s24, v8
	s_and_saveexec_b64 s[2:3], vcc
	s_cbranch_execnz .LBB2948_47
.LBB2948_8:
	s_or_b64 exec, exec, s[2:3]
	v_cmp_gt_u32_e32 vcc, s24, v6
	s_and_saveexec_b64 s[0:1], vcc
	s_cbranch_execz .LBB2948_10
.LBB2948_9:
	v_mov_b32_e32 v7, 0
	v_lshlrev_b64 v[8:9], 1, v[6:7]
	v_mov_b32_e32 v11, s25
	v_add_co_u32_e32 v12, vcc, s23, v8
	v_addc_co_u32_e32 v11, vcc, v11, v9, vcc
	v_subrev_u32_e32 v8, s17, v6
	v_mov_b32_e32 v9, v7
	v_lshlrev_b64 v[8:9], 1, v[8:9]
	v_mov_b32_e32 v7, s7
	v_add_co_u32_e32 v8, vcc, s5, v8
	v_addc_co_u32_e32 v7, vcc, v7, v9, vcc
	v_cmp_gt_u32_e32 vcc, s17, v6
	v_cndmask_b32_e32 v9, v7, v11, vcc
	v_cndmask_b32_e32 v8, v8, v12, vcc
	global_load_ushort v7, v[8:9], off
	s_mov_b32 s2, 0xffff
	s_waitcnt vmcnt(0)
	v_bfi_b32 v3, s2, v7, v3
.LBB2948_10:
	s_or_b64 exec, exec, s[0:1]
	v_add_u32_e32 v6, v6, v10
	v_cmp_gt_u32_e32 vcc, s24, v6
	s_and_saveexec_b64 s[0:1], vcc
	s_cbranch_execz .LBB2948_12
; %bb.11:
	v_mov_b32_e32 v7, 0
	v_lshlrev_b64 v[8:9], 1, v[6:7]
	v_mov_b32_e32 v11, s25
	v_add_co_u32_e32 v12, vcc, s23, v8
	v_addc_co_u32_e32 v11, vcc, v11, v9, vcc
	v_subrev_u32_e32 v8, s17, v6
	v_mov_b32_e32 v9, v7
	v_lshlrev_b64 v[8:9], 1, v[8:9]
	v_mov_b32_e32 v7, s7
	v_add_co_u32_e32 v8, vcc, s5, v8
	v_addc_co_u32_e32 v7, vcc, v7, v9, vcc
	v_cmp_gt_u32_e32 vcc, s17, v6
	v_cndmask_b32_e32 v9, v7, v11, vcc
	v_cndmask_b32_e32 v8, v8, v12, vcc
	global_load_ushort v7, v[8:9], off
	s_mov_b32 s2, 0x5040100
	s_waitcnt vmcnt(0)
	v_perm_b32 v3, v7, v3, s2
.LBB2948_12:
	s_or_b64 exec, exec, s[0:1]
	v_add_u32_e32 v6, v6, v10
	v_cmp_gt_u32_e32 vcc, s24, v6
	s_and_saveexec_b64 s[0:1], vcc
	s_cbranch_execz .LBB2948_14
; %bb.13:
	v_mov_b32_e32 v7, 0
	v_lshlrev_b64 v[8:9], 1, v[6:7]
	v_mov_b32_e32 v11, s25
	v_add_co_u32_e32 v12, vcc, s23, v8
	v_addc_co_u32_e32 v11, vcc, v11, v9, vcc
	v_subrev_u32_e32 v8, s17, v6
	v_mov_b32_e32 v9, v7
	v_lshlrev_b64 v[8:9], 1, v[8:9]
	v_mov_b32_e32 v7, s7
	v_add_co_u32_e32 v8, vcc, s5, v8
	v_addc_co_u32_e32 v7, vcc, v7, v9, vcc
	v_cmp_gt_u32_e32 vcc, s17, v6
	v_cndmask_b32_e32 v9, v7, v11, vcc
	v_cndmask_b32_e32 v8, v8, v12, vcc
	global_load_ushort v7, v[8:9], off
	s_mov_b32 s2, 0xffff
	s_waitcnt vmcnt(0)
	v_bfi_b32 v4, s2, v7, v4
.LBB2948_14:
	s_or_b64 exec, exec, s[0:1]
	v_add_u32_e32 v6, v6, v10
	v_cmp_gt_u32_e32 vcc, s24, v6
	s_and_saveexec_b64 s[0:1], vcc
	s_cbranch_execz .LBB2948_16
; %bb.15:
	v_mov_b32_e32 v7, 0
	v_lshlrev_b64 v[8:9], 1, v[6:7]
	v_mov_b32_e32 v11, s25
	v_add_co_u32_e32 v12, vcc, s23, v8
	v_addc_co_u32_e32 v11, vcc, v11, v9, vcc
	v_subrev_u32_e32 v8, s17, v6
	v_mov_b32_e32 v9, v7
	v_lshlrev_b64 v[8:9], 1, v[8:9]
	v_mov_b32_e32 v7, s7
	v_add_co_u32_e32 v8, vcc, s5, v8
	v_addc_co_u32_e32 v7, vcc, v7, v9, vcc
	v_cmp_gt_u32_e32 vcc, s17, v6
	v_cndmask_b32_e32 v9, v7, v11, vcc
	v_cndmask_b32_e32 v8, v8, v12, vcc
	global_load_ushort v7, v[8:9], off
	s_mov_b32 s2, 0x5040100
	s_waitcnt vmcnt(0)
	v_perm_b32 v4, v7, v4, s2
.LBB2948_16:
	s_or_b64 exec, exec, s[0:1]
	v_add_u32_e32 v6, v6, v10
	v_cmp_gt_u32_e32 vcc, s24, v6
	s_and_saveexec_b64 s[0:1], vcc
	s_cbranch_execz .LBB2948_18
; %bb.17:
	v_mov_b32_e32 v7, 0
	v_lshlrev_b64 v[8:9], 1, v[6:7]
	v_mov_b32_e32 v11, s25
	v_add_co_u32_e32 v12, vcc, s23, v8
	v_addc_co_u32_e32 v11, vcc, v11, v9, vcc
	v_subrev_u32_e32 v8, s17, v6
	v_mov_b32_e32 v9, v7
	v_lshlrev_b64 v[8:9], 1, v[8:9]
	v_mov_b32_e32 v7, s7
	v_add_co_u32_e32 v8, vcc, s5, v8
	v_addc_co_u32_e32 v7, vcc, v7, v9, vcc
	v_cmp_gt_u32_e32 vcc, s17, v6
	v_cndmask_b32_e32 v9, v7, v11, vcc
	v_cndmask_b32_e32 v8, v8, v12, vcc
	global_load_ushort v7, v[8:9], off
	s_mov_b32 s2, 0xffff
	s_waitcnt vmcnt(0)
	v_bfi_b32 v5, s2, v7, v5
.LBB2948_18:
	s_or_b64 exec, exec, s[0:1]
	v_add_u32_e32 v6, v6, v10
	v_cmp_gt_u32_e32 vcc, s24, v6
	s_and_saveexec_b64 s[2:3], vcc
	s_cbranch_execz .LBB2948_20
; %bb.19:
	v_mov_b32_e32 v7, 0
	v_lshlrev_b64 v[8:9], 1, v[6:7]
	v_mov_b32_e32 v10, s25
	v_add_co_u32_e32 v8, vcc, s23, v8
	v_addc_co_u32_e32 v9, vcc, v10, v9, vcc
	v_cmp_gt_u32_e32 vcc, s17, v6
	v_subrev_u32_e32 v6, s17, v6
	v_lshlrev_b64 v[6:7], 1, v[6:7]
	v_mov_b32_e32 v10, s7
	v_add_co_u32_e64 v6, s[0:1], s5, v6
	v_addc_co_u32_e64 v7, s[0:1], v10, v7, s[0:1]
	v_cndmask_b32_e32 v7, v7, v9, vcc
	v_cndmask_b32_e32 v6, v6, v8, vcc
	global_load_ushort v6, v[6:7], off
	s_mov_b32 s0, 0x5040100
	s_waitcnt vmcnt(0)
	v_perm_b32 v5, v6, v5, s0
.LBB2948_20:
	s_or_b64 exec, exec, s[2:3]
.LBB2948_21:
	v_lshlrev_b32_e32 v6, 3, v0
	v_min_u32_e32 v12, s24, v6
	v_sub_u32_e64 v10, v12, s4 clamp
	v_min_u32_e32 v13, s17, v12
	s_waitcnt vmcnt(0)
	v_lshrrev_b32_e32 v7, 16, v2
	v_lshrrev_b32_e32 v8, 16, v3
	;; [unrolled: 1-line block ×4, first 2 shown]
	v_cmp_lt_u32_e32 vcc, v10, v13
	ds_write_b16 v1, v2
	ds_write_b16 v1, v7 offset:256
	ds_write_b16 v1, v3 offset:512
	;; [unrolled: 1-line block ×7, first 2 shown]
	s_waitcnt lgkmcnt(0)
	s_barrier
	s_and_saveexec_b64 s[0:1], vcc
	s_cbranch_execz .LBB2948_25
; %bb.22:
	v_lshlrev_b32_e32 v14, 1, v12
	v_lshl_add_u32 v14, s17, 1, v14
	s_mov_b64 s[2:3], 0
.LBB2948_23:                            ; =>This Inner Loop Header: Depth=1
	v_add_u32_e32 v15, v13, v10
	v_lshrrev_b32_e32 v16, 1, v15
	v_not_b32_e32 v17, v16
	v_and_b32_e32 v15, -2, v15
	v_lshl_add_u32 v17, v17, 1, v14
	ds_read_u16 v15, v15
	ds_read_u16 v17, v17
	v_add_u32_e32 v18, 1, v16
	s_waitcnt lgkmcnt(0)
	v_cmp_gt_i16_e32 vcc, v15, v17
	v_cndmask_b32_e32 v13, v13, v16, vcc
	v_cndmask_b32_e32 v10, v18, v10, vcc
	v_cmp_ge_u32_e32 vcc, v10, v13
	s_or_b64 s[2:3], vcc, s[2:3]
	s_andn2_b64 exec, exec, s[2:3]
	s_cbranch_execnz .LBB2948_23
; %bb.24:
	s_or_b64 exec, exec, s[2:3]
.LBB2948_25:
	s_or_b64 exec, exec, s[0:1]
	v_sub_u32_e32 v12, v12, v10
	v_add_u32_e32 v12, s17, v12
	v_cmp_ge_u32_e32 vcc, s17, v10
	v_cmp_ge_u32_e64 s[0:1], s24, v12
	s_or_b64 s[0:1], vcc, s[0:1]
	s_and_saveexec_b64 s[22:23], s[0:1]
	s_cbranch_execz .LBB2948_31
; %bb.26:
	v_cmp_gt_u32_e32 vcc, s17, v10
                                        ; implicit-def: $vgpr2
	s_and_saveexec_b64 s[0:1], vcc
	s_cbranch_execz .LBB2948_28
; %bb.27:
	v_lshlrev_b32_e32 v2, 1, v10
	ds_read_u16 v2, v2
.LBB2948_28:
	s_or_b64 exec, exec, s[0:1]
	v_cmp_le_u32_e64 s[0:1], s24, v12
	v_cmp_gt_u32_e64 s[2:3], s24, v12
                                        ; implicit-def: $vgpr3
	s_and_saveexec_b64 s[4:5], s[2:3]
	s_cbranch_execz .LBB2948_30
; %bb.29:
	v_lshlrev_b32_e32 v3, 1, v12
	ds_read_u16 v3, v3
.LBB2948_30:
	s_or_b64 exec, exec, s[4:5]
	s_waitcnt lgkmcnt(0)
	v_cmp_le_i16_e64 s[2:3], v2, v3
	s_and_b64 s[2:3], vcc, s[2:3]
	s_or_b64 vcc, s[0:1], s[2:3]
	v_mov_b32_e32 v5, s24
	v_mov_b32_e32 v8, s17
	v_cndmask_b32_e32 v4, v12, v10, vcc
	v_cndmask_b32_e32 v7, v5, v8, vcc
	v_add_u32_e32 v4, 1, v4
	v_add_u32_e32 v7, -1, v7
	v_min_u32_e32 v7, v4, v7
	v_lshlrev_b32_e32 v7, 1, v7
	ds_read_u16 v7, v7
	v_cndmask_b32_e32 v11, v4, v12, vcc
	v_cndmask_b32_e32 v4, v10, v4, vcc
	v_cmp_gt_u32_e64 s[2:3], s17, v4
	v_cmp_le_u32_e64 s[0:1], s24, v11
	s_waitcnt lgkmcnt(0)
	v_cndmask_b32_e32 v9, v7, v3, vcc
	v_cndmask_b32_e32 v7, v2, v7, vcc
	v_cmp_le_i16_e64 s[4:5], v7, v9
	s_and_b64 s[2:3], s[2:3], s[4:5]
	s_or_b64 s[0:1], s[0:1], s[2:3]
	v_cndmask_b32_e64 v10, v11, v4, s[0:1]
	v_cndmask_b32_e64 v12, v5, v8, s[0:1]
	v_add_u32_e32 v10, 1, v10
	v_add_u32_e32 v12, -1, v12
	v_min_u32_e32 v12, v10, v12
	v_lshlrev_b32_e32 v12, 1, v12
	ds_read_u16 v12, v12
	v_cndmask_b32_e64 v4, v4, v10, s[0:1]
	v_cndmask_b32_e64 v11, v10, v11, s[0:1]
	v_cmp_gt_u32_e64 s[4:5], s17, v4
	v_cmp_le_u32_e64 s[2:3], s24, v11
	s_waitcnt lgkmcnt(0)
	v_cndmask_b32_e64 v13, v12, v9, s[0:1]
	v_cndmask_b32_e64 v12, v7, v12, s[0:1]
	v_cmp_le_i16_e64 s[6:7], v12, v13
	s_and_b64 s[4:5], s[4:5], s[6:7]
	s_or_b64 s[2:3], s[2:3], s[4:5]
	v_cndmask_b32_e64 v10, v11, v4, s[2:3]
	v_cndmask_b32_e64 v14, v5, v8, s[2:3]
	v_add_u32_e32 v10, 1, v10
	v_add_u32_e32 v14, -1, v14
	v_min_u32_e32 v14, v10, v14
	v_lshlrev_b32_e32 v14, 1, v14
	ds_read_u16 v14, v14
	v_cndmask_b32_e64 v4, v4, v10, s[2:3]
	v_cndmask_b32_e64 v11, v10, v11, s[2:3]
	v_cmp_gt_u32_e64 s[6:7], s17, v4
	v_cmp_le_u32_e64 s[4:5], s24, v11
	s_waitcnt lgkmcnt(0)
	v_cndmask_b32_e64 v15, v14, v13, s[2:3]
	v_cndmask_b32_e64 v14, v12, v14, s[2:3]
	;; [unrolled: 17-line block ×4, first 2 shown]
	v_cmp_le_i16_e64 s[12:13], v18, v19
	s_and_b64 s[10:11], s[10:11], s[12:13]
	s_or_b64 s[8:9], s[8:9], s[10:11]
	v_cndmask_b32_e64 v10, v11, v4, s[8:9]
	v_cndmask_b32_e64 v20, v5, v8, s[8:9]
	v_add_u32_e32 v10, 1, v10
	v_add_u32_e32 v20, -1, v20
	v_min_u32_e32 v20, v10, v20
	v_lshlrev_b32_e32 v20, 1, v20
	ds_read_u16 v20, v20
	v_cndmask_b32_e32 v2, v3, v2, vcc
	v_cndmask_b32_e64 v3, v13, v12, s[2:3]
	v_cndmask_b32_e64 v11, v10, v11, s[8:9]
	;; [unrolled: 1-line block ×3, first 2 shown]
	s_waitcnt lgkmcnt(0)
	v_cndmask_b32_e64 v12, v20, v19, s[8:9]
	v_cndmask_b32_e64 v13, v18, v20, s[8:9]
	;; [unrolled: 1-line block ×3, first 2 shown]
	v_cmp_gt_u32_e64 s[0:1], s17, v10
	v_cmp_le_i16_e64 s[2:3], v13, v12
	v_cmp_le_u32_e32 vcc, s24, v11
	s_and_b64 s[0:1], s[0:1], s[2:3]
	s_or_b64 vcc, vcc, s[0:1]
	v_cndmask_b32_e32 v4, v11, v10, vcc
	v_cndmask_b32_e32 v5, v5, v8, vcc
	v_add_u32_e32 v20, 1, v4
	v_add_u32_e32 v4, -1, v5
	v_min_u32_e32 v4, v20, v4
	v_lshlrev_b32_e32 v4, 1, v4
	ds_read_u16 v21, v4
	v_cndmask_b32_e32 v5, v12, v13, vcc
	v_cndmask_b32_e32 v10, v10, v20, vcc
	;; [unrolled: 1-line block ×3, first 2 shown]
	v_cmp_gt_u32_e64 s[0:1], s17, v10
	s_waitcnt lgkmcnt(0)
	v_cndmask_b32_e32 v12, v21, v12, vcc
	v_cndmask_b32_e32 v13, v13, v21, vcc
	v_cmp_le_i16_e64 s[2:3], v13, v12
	v_cmp_le_u32_e32 vcc, s24, v11
	s_and_b64 s[0:1], s[0:1], s[2:3]
	s_or_b64 vcc, vcc, s[0:1]
	v_cndmask_b32_e64 v8, v15, v14, s[4:5]
	v_cndmask_b32_e64 v4, v17, v16, s[6:7]
	;; [unrolled: 1-line block ×3, first 2 shown]
	v_cndmask_b32_e32 v11, v12, v13, vcc
.LBB2948_31:
	s_or_b64 exec, exec, s[22:23]
	s_lshl_b64 s[0:1], s[20:21], 1
	v_lshrrev_b32_e32 v10, 2, v0
	s_add_u32 s2, s14, s0
	v_and_b32_e32 v10, 30, v10
	s_mov_b32 s0, 0x5040100
	v_add_lshl_u32 v6, v10, v6, 1
	v_perm_b32 v3, v8, v3, s0
	v_perm_b32 v2, v7, v2, s0
	s_barrier
	s_barrier
	ds_write2_b32 v6, v2, v3 offset1:1
	v_perm_b32 v2, v11, v5, s0
	v_perm_b32 v3, v9, v4, s0
	ds_write2_b32 v6, v3, v2 offset0:2 offset1:3
	v_lshrrev_b32_e32 v2, 4, v0
	v_and_b32_e32 v2, 4, v2
	v_or_b32_e32 v10, 0x80, v0
	v_add_u32_e32 v11, v1, v2
	v_lshrrev_b32_e32 v2, 4, v10
	v_and_b32_e32 v2, 12, v2
	v_or_b32_e32 v9, 0x100, v0
	v_add_u32_e32 v12, v1, v2
	;; [unrolled: 4-line block ×7, first 2 shown]
	v_lshrrev_b32_e32 v2, 4, v4
	s_addc_u32 s1, s15, s1
	v_and_b32_e32 v2, 60, v2
	v_add_u32_e32 v18, v1, v2
	v_mov_b32_e32 v3, s1
	v_add_co_u32_e32 v2, vcc, s2, v1
	v_addc_co_u32_e32 v3, vcc, 0, v3, vcc
	s_and_b64 vcc, exec, s[18:19]
	s_waitcnt lgkmcnt(0)
	s_cbranch_vccz .LBB2948_33
; %bb.32:
	s_barrier
	ds_read_u16 v1, v11
	ds_read_u16 v19, v12 offset:256
	ds_read_u16 v20, v13 offset:512
	;; [unrolled: 1-line block ×7, first 2 shown]
	s_waitcnt lgkmcnt(7)
	global_store_short v[2:3], v1, off
	s_waitcnt lgkmcnt(6)
	global_store_short v[2:3], v19, off offset:256
	s_waitcnt lgkmcnt(5)
	global_store_short v[2:3], v20, off offset:512
	;; [unrolled: 2-line block ×6, first 2 shown]
	s_waitcnt lgkmcnt(0)
	v_perm_b32 v1, v25, v24, s0
	s_mov_b64 s[0:1], -1
	s_cbranch_execz .LBB2948_34
	s_branch .LBB2948_43
.LBB2948_33:
	s_mov_b64 s[0:1], 0
                                        ; implicit-def: $vgpr1
.LBB2948_34:
	s_barrier
	ds_read_u16 v21, v11
	ds_read_u16 v20, v12 offset:256
	ds_read_u16 v19, v13 offset:512
	;; [unrolled: 1-line block ×7, first 2 shown]
	s_sub_i32 s2, s16, s20
	v_cmp_gt_u32_e32 vcc, s2, v0
	s_and_saveexec_b64 s[0:1], vcc
	s_cbranch_execnz .LBB2948_48
; %bb.35:
	s_or_b64 exec, exec, s[0:1]
	v_cmp_gt_u32_e32 vcc, s2, v10
	s_and_saveexec_b64 s[0:1], vcc
	s_cbranch_execnz .LBB2948_49
.LBB2948_36:
	s_or_b64 exec, exec, s[0:1]
	v_cmp_gt_u32_e32 vcc, s2, v9
	s_and_saveexec_b64 s[0:1], vcc
	s_cbranch_execnz .LBB2948_50
.LBB2948_37:
	s_or_b64 exec, exec, s[0:1]
	v_cmp_gt_u32_e32 vcc, s2, v8
	s_and_saveexec_b64 s[0:1], vcc
	s_cbranch_execnz .LBB2948_51
.LBB2948_38:
	s_or_b64 exec, exec, s[0:1]
	v_cmp_gt_u32_e32 vcc, s2, v7
	s_and_saveexec_b64 s[0:1], vcc
	s_cbranch_execnz .LBB2948_52
.LBB2948_39:
	s_or_b64 exec, exec, s[0:1]
	v_cmp_gt_u32_e32 vcc, s2, v6
	s_and_saveexec_b64 s[0:1], vcc
	s_cbranch_execnz .LBB2948_53
.LBB2948_40:
	s_or_b64 exec, exec, s[0:1]
	v_cmp_gt_u32_e32 vcc, s2, v5
	s_and_saveexec_b64 s[0:1], vcc
	s_cbranch_execz .LBB2948_42
.LBB2948_41:
	s_waitcnt lgkmcnt(1)
	global_store_short v[2:3], v1, off offset:1536
.LBB2948_42:
	s_or_b64 exec, exec, s[0:1]
	v_cmp_gt_u32_e64 s[0:1], s2, v4
	s_mov_b32 s2, 0x5040100
	s_waitcnt lgkmcnt(0)
	v_perm_b32 v1, v11, v1, s2
.LBB2948_43:
	s_and_saveexec_b64 s[2:3], s[0:1]
	s_cbranch_execz .LBB2948_45
; %bb.44:
	global_store_short_d16_hi v[2:3], v1, off offset:1792
.LBB2948_45:
	s_endpgm
.LBB2948_46:
	v_mov_b32_e32 v2, s25
	v_add_co_u32_e32 v4, vcc, s23, v1
	v_mov_b32_e32 v3, 0
	v_addc_co_u32_e32 v5, vcc, 0, v2, vcc
	v_subrev_u32_e32 v2, s17, v0
	v_lshlrev_b64 v[2:3], 1, v[2:3]
	v_mov_b32_e32 v7, s7
	v_add_co_u32_e32 v2, vcc, s5, v2
	v_addc_co_u32_e32 v3, vcc, v7, v3, vcc
	v_cmp_gt_u32_e32 vcc, s17, v0
	v_cndmask_b32_e32 v3, v3, v5, vcc
	v_cndmask_b32_e32 v2, v2, v4, vcc
	global_load_ushort v2, v[2:3], off
	s_or_b64 exec, exec, s[0:1]
	v_cmp_gt_u32_e32 vcc, s24, v8
	s_and_saveexec_b64 s[2:3], vcc
	s_cbranch_execz .LBB2948_8
.LBB2948_47:
	v_mov_b32_e32 v9, 0
	v_lshlrev_b64 v[12:13], 1, v[8:9]
	v_mov_b32_e32 v7, s25
	v_add_co_u32_e32 v11, vcc, s23, v12
	v_addc_co_u32_e32 v7, vcc, v7, v13, vcc
	v_cmp_gt_u32_e32 vcc, s17, v8
	v_subrev_u32_e32 v8, s17, v8
	v_lshlrev_b64 v[8:9], 1, v[8:9]
	v_mov_b32_e32 v12, s7
	v_add_co_u32_e64 v8, s[0:1], s5, v8
	v_addc_co_u32_e64 v9, s[0:1], v12, v9, s[0:1]
	v_cndmask_b32_e32 v9, v9, v7, vcc
	v_cndmask_b32_e32 v8, v8, v11, vcc
	global_load_ushort v7, v[8:9], off
	s_mov_b32 s0, 0x5040100
	s_waitcnt vmcnt(0)
	v_perm_b32 v2, v7, v2, s0
	s_or_b64 exec, exec, s[2:3]
	v_cmp_gt_u32_e32 vcc, s24, v6
	s_and_saveexec_b64 s[0:1], vcc
	s_cbranch_execnz .LBB2948_9
	s_branch .LBB2948_10
.LBB2948_48:
	s_waitcnt lgkmcnt(7)
	global_store_short v[2:3], v21, off
	s_or_b64 exec, exec, s[0:1]
	v_cmp_gt_u32_e32 vcc, s2, v10
	s_and_saveexec_b64 s[0:1], vcc
	s_cbranch_execz .LBB2948_36
.LBB2948_49:
	s_waitcnt lgkmcnt(6)
	global_store_short v[2:3], v20, off offset:256
	s_or_b64 exec, exec, s[0:1]
	v_cmp_gt_u32_e32 vcc, s2, v9
	s_and_saveexec_b64 s[0:1], vcc
	s_cbranch_execz .LBB2948_37
.LBB2948_50:
	s_waitcnt lgkmcnt(5)
	global_store_short v[2:3], v19, off offset:512
	s_or_b64 exec, exec, s[0:1]
	v_cmp_gt_u32_e32 vcc, s2, v8
	s_and_saveexec_b64 s[0:1], vcc
	s_cbranch_execz .LBB2948_38
.LBB2948_51:
	s_waitcnt lgkmcnt(4)
	global_store_short v[2:3], v14, off offset:768
	s_or_b64 exec, exec, s[0:1]
	v_cmp_gt_u32_e32 vcc, s2, v7
	s_and_saveexec_b64 s[0:1], vcc
	s_cbranch_execz .LBB2948_39
.LBB2948_52:
	s_waitcnt lgkmcnt(3)
	global_store_short v[2:3], v13, off offset:1024
	s_or_b64 exec, exec, s[0:1]
	v_cmp_gt_u32_e32 vcc, s2, v6
	s_and_saveexec_b64 s[0:1], vcc
	s_cbranch_execz .LBB2948_40
.LBB2948_53:
	s_waitcnt lgkmcnt(2)
	global_store_short v[2:3], v12, off offset:1280
	s_or_b64 exec, exec, s[0:1]
	v_cmp_gt_u32_e32 vcc, s2, v5
	s_and_saveexec_b64 s[0:1], vcc
	s_cbranch_execnz .LBB2948_41
	s_branch .LBB2948_42
	.section	.rodata,"a",@progbits
	.p2align	6, 0x0
	.amdhsa_kernel _ZN7rocprim17ROCPRIM_400000_NS6detail17trampoline_kernelINS0_14default_configENS1_38merge_sort_block_merge_config_selectorIsNS0_10empty_typeEEEZZNS1_27merge_sort_block_merge_implIS3_N6thrust23THRUST_200600_302600_NS6detail15normal_iteratorINS9_10device_ptrIsEEEEPS5_m14custom_greaterIsEEE10hipError_tT0_T1_T2_jT3_P12ihipStream_tbPNSt15iterator_traitsISJ_E10value_typeEPNSP_ISK_E10value_typeEPSL_NS1_7vsmem_tEENKUlT_SJ_SK_SL_E_clIPsSE_SF_SF_EESI_SY_SJ_SK_SL_EUlSY_E0_NS1_11comp_targetILNS1_3genE4ELNS1_11target_archE910ELNS1_3gpuE8ELNS1_3repE0EEENS1_38merge_mergepath_config_static_selectorELNS0_4arch9wavefront6targetE1EEEvSK_
		.amdhsa_group_segment_fixed_size 2112
		.amdhsa_private_segment_fixed_size 0
		.amdhsa_kernarg_size 328
		.amdhsa_user_sgpr_count 6
		.amdhsa_user_sgpr_private_segment_buffer 1
		.amdhsa_user_sgpr_dispatch_ptr 0
		.amdhsa_user_sgpr_queue_ptr 0
		.amdhsa_user_sgpr_kernarg_segment_ptr 1
		.amdhsa_user_sgpr_dispatch_id 0
		.amdhsa_user_sgpr_flat_scratch_init 0
		.amdhsa_user_sgpr_kernarg_preload_length 0
		.amdhsa_user_sgpr_kernarg_preload_offset 0
		.amdhsa_user_sgpr_private_segment_size 0
		.amdhsa_uses_dynamic_stack 0
		.amdhsa_system_sgpr_private_segment_wavefront_offset 0
		.amdhsa_system_sgpr_workgroup_id_x 1
		.amdhsa_system_sgpr_workgroup_id_y 1
		.amdhsa_system_sgpr_workgroup_id_z 1
		.amdhsa_system_sgpr_workgroup_info 0
		.amdhsa_system_vgpr_workitem_id 0
		.amdhsa_next_free_vgpr 26
		.amdhsa_next_free_sgpr 31
		.amdhsa_accum_offset 28
		.amdhsa_reserve_vcc 1
		.amdhsa_reserve_flat_scratch 0
		.amdhsa_float_round_mode_32 0
		.amdhsa_float_round_mode_16_64 0
		.amdhsa_float_denorm_mode_32 3
		.amdhsa_float_denorm_mode_16_64 3
		.amdhsa_dx10_clamp 1
		.amdhsa_ieee_mode 1
		.amdhsa_fp16_overflow 0
		.amdhsa_tg_split 0
		.amdhsa_exception_fp_ieee_invalid_op 0
		.amdhsa_exception_fp_denorm_src 0
		.amdhsa_exception_fp_ieee_div_zero 0
		.amdhsa_exception_fp_ieee_overflow 0
		.amdhsa_exception_fp_ieee_underflow 0
		.amdhsa_exception_fp_ieee_inexact 0
		.amdhsa_exception_int_div_zero 0
	.end_amdhsa_kernel
	.section	.text._ZN7rocprim17ROCPRIM_400000_NS6detail17trampoline_kernelINS0_14default_configENS1_38merge_sort_block_merge_config_selectorIsNS0_10empty_typeEEEZZNS1_27merge_sort_block_merge_implIS3_N6thrust23THRUST_200600_302600_NS6detail15normal_iteratorINS9_10device_ptrIsEEEEPS5_m14custom_greaterIsEEE10hipError_tT0_T1_T2_jT3_P12ihipStream_tbPNSt15iterator_traitsISJ_E10value_typeEPNSP_ISK_E10value_typeEPSL_NS1_7vsmem_tEENKUlT_SJ_SK_SL_E_clIPsSE_SF_SF_EESI_SY_SJ_SK_SL_EUlSY_E0_NS1_11comp_targetILNS1_3genE4ELNS1_11target_archE910ELNS1_3gpuE8ELNS1_3repE0EEENS1_38merge_mergepath_config_static_selectorELNS0_4arch9wavefront6targetE1EEEvSK_,"axG",@progbits,_ZN7rocprim17ROCPRIM_400000_NS6detail17trampoline_kernelINS0_14default_configENS1_38merge_sort_block_merge_config_selectorIsNS0_10empty_typeEEEZZNS1_27merge_sort_block_merge_implIS3_N6thrust23THRUST_200600_302600_NS6detail15normal_iteratorINS9_10device_ptrIsEEEEPS5_m14custom_greaterIsEEE10hipError_tT0_T1_T2_jT3_P12ihipStream_tbPNSt15iterator_traitsISJ_E10value_typeEPNSP_ISK_E10value_typeEPSL_NS1_7vsmem_tEENKUlT_SJ_SK_SL_E_clIPsSE_SF_SF_EESI_SY_SJ_SK_SL_EUlSY_E0_NS1_11comp_targetILNS1_3genE4ELNS1_11target_archE910ELNS1_3gpuE8ELNS1_3repE0EEENS1_38merge_mergepath_config_static_selectorELNS0_4arch9wavefront6targetE1EEEvSK_,comdat
.Lfunc_end2948:
	.size	_ZN7rocprim17ROCPRIM_400000_NS6detail17trampoline_kernelINS0_14default_configENS1_38merge_sort_block_merge_config_selectorIsNS0_10empty_typeEEEZZNS1_27merge_sort_block_merge_implIS3_N6thrust23THRUST_200600_302600_NS6detail15normal_iteratorINS9_10device_ptrIsEEEEPS5_m14custom_greaterIsEEE10hipError_tT0_T1_T2_jT3_P12ihipStream_tbPNSt15iterator_traitsISJ_E10value_typeEPNSP_ISK_E10value_typeEPSL_NS1_7vsmem_tEENKUlT_SJ_SK_SL_E_clIPsSE_SF_SF_EESI_SY_SJ_SK_SL_EUlSY_E0_NS1_11comp_targetILNS1_3genE4ELNS1_11target_archE910ELNS1_3gpuE8ELNS1_3repE0EEENS1_38merge_mergepath_config_static_selectorELNS0_4arch9wavefront6targetE1EEEvSK_, .Lfunc_end2948-_ZN7rocprim17ROCPRIM_400000_NS6detail17trampoline_kernelINS0_14default_configENS1_38merge_sort_block_merge_config_selectorIsNS0_10empty_typeEEEZZNS1_27merge_sort_block_merge_implIS3_N6thrust23THRUST_200600_302600_NS6detail15normal_iteratorINS9_10device_ptrIsEEEEPS5_m14custom_greaterIsEEE10hipError_tT0_T1_T2_jT3_P12ihipStream_tbPNSt15iterator_traitsISJ_E10value_typeEPNSP_ISK_E10value_typeEPSL_NS1_7vsmem_tEENKUlT_SJ_SK_SL_E_clIPsSE_SF_SF_EESI_SY_SJ_SK_SL_EUlSY_E0_NS1_11comp_targetILNS1_3genE4ELNS1_11target_archE910ELNS1_3gpuE8ELNS1_3repE0EEENS1_38merge_mergepath_config_static_selectorELNS0_4arch9wavefront6targetE1EEEvSK_
                                        ; -- End function
	.section	.AMDGPU.csdata,"",@progbits
; Kernel info:
; codeLenInByte = 3952
; NumSgprs: 35
; NumVgprs: 26
; NumAgprs: 0
; TotalNumVgprs: 26
; ScratchSize: 0
; MemoryBound: 0
; FloatMode: 240
; IeeeMode: 1
; LDSByteSize: 2112 bytes/workgroup (compile time only)
; SGPRBlocks: 4
; VGPRBlocks: 3
; NumSGPRsForWavesPerEU: 35
; NumVGPRsForWavesPerEU: 26
; AccumOffset: 28
; Occupancy: 8
; WaveLimiterHint : 1
; COMPUTE_PGM_RSRC2:SCRATCH_EN: 0
; COMPUTE_PGM_RSRC2:USER_SGPR: 6
; COMPUTE_PGM_RSRC2:TRAP_HANDLER: 0
; COMPUTE_PGM_RSRC2:TGID_X_EN: 1
; COMPUTE_PGM_RSRC2:TGID_Y_EN: 1
; COMPUTE_PGM_RSRC2:TGID_Z_EN: 1
; COMPUTE_PGM_RSRC2:TIDIG_COMP_CNT: 0
; COMPUTE_PGM_RSRC3_GFX90A:ACCUM_OFFSET: 6
; COMPUTE_PGM_RSRC3_GFX90A:TG_SPLIT: 0
	.section	.text._ZN7rocprim17ROCPRIM_400000_NS6detail17trampoline_kernelINS0_14default_configENS1_38merge_sort_block_merge_config_selectorIsNS0_10empty_typeEEEZZNS1_27merge_sort_block_merge_implIS3_N6thrust23THRUST_200600_302600_NS6detail15normal_iteratorINS9_10device_ptrIsEEEEPS5_m14custom_greaterIsEEE10hipError_tT0_T1_T2_jT3_P12ihipStream_tbPNSt15iterator_traitsISJ_E10value_typeEPNSP_ISK_E10value_typeEPSL_NS1_7vsmem_tEENKUlT_SJ_SK_SL_E_clIPsSE_SF_SF_EESI_SY_SJ_SK_SL_EUlSY_E0_NS1_11comp_targetILNS1_3genE3ELNS1_11target_archE908ELNS1_3gpuE7ELNS1_3repE0EEENS1_38merge_mergepath_config_static_selectorELNS0_4arch9wavefront6targetE1EEEvSK_,"axG",@progbits,_ZN7rocprim17ROCPRIM_400000_NS6detail17trampoline_kernelINS0_14default_configENS1_38merge_sort_block_merge_config_selectorIsNS0_10empty_typeEEEZZNS1_27merge_sort_block_merge_implIS3_N6thrust23THRUST_200600_302600_NS6detail15normal_iteratorINS9_10device_ptrIsEEEEPS5_m14custom_greaterIsEEE10hipError_tT0_T1_T2_jT3_P12ihipStream_tbPNSt15iterator_traitsISJ_E10value_typeEPNSP_ISK_E10value_typeEPSL_NS1_7vsmem_tEENKUlT_SJ_SK_SL_E_clIPsSE_SF_SF_EESI_SY_SJ_SK_SL_EUlSY_E0_NS1_11comp_targetILNS1_3genE3ELNS1_11target_archE908ELNS1_3gpuE7ELNS1_3repE0EEENS1_38merge_mergepath_config_static_selectorELNS0_4arch9wavefront6targetE1EEEvSK_,comdat
	.protected	_ZN7rocprim17ROCPRIM_400000_NS6detail17trampoline_kernelINS0_14default_configENS1_38merge_sort_block_merge_config_selectorIsNS0_10empty_typeEEEZZNS1_27merge_sort_block_merge_implIS3_N6thrust23THRUST_200600_302600_NS6detail15normal_iteratorINS9_10device_ptrIsEEEEPS5_m14custom_greaterIsEEE10hipError_tT0_T1_T2_jT3_P12ihipStream_tbPNSt15iterator_traitsISJ_E10value_typeEPNSP_ISK_E10value_typeEPSL_NS1_7vsmem_tEENKUlT_SJ_SK_SL_E_clIPsSE_SF_SF_EESI_SY_SJ_SK_SL_EUlSY_E0_NS1_11comp_targetILNS1_3genE3ELNS1_11target_archE908ELNS1_3gpuE7ELNS1_3repE0EEENS1_38merge_mergepath_config_static_selectorELNS0_4arch9wavefront6targetE1EEEvSK_ ; -- Begin function _ZN7rocprim17ROCPRIM_400000_NS6detail17trampoline_kernelINS0_14default_configENS1_38merge_sort_block_merge_config_selectorIsNS0_10empty_typeEEEZZNS1_27merge_sort_block_merge_implIS3_N6thrust23THRUST_200600_302600_NS6detail15normal_iteratorINS9_10device_ptrIsEEEEPS5_m14custom_greaterIsEEE10hipError_tT0_T1_T2_jT3_P12ihipStream_tbPNSt15iterator_traitsISJ_E10value_typeEPNSP_ISK_E10value_typeEPSL_NS1_7vsmem_tEENKUlT_SJ_SK_SL_E_clIPsSE_SF_SF_EESI_SY_SJ_SK_SL_EUlSY_E0_NS1_11comp_targetILNS1_3genE3ELNS1_11target_archE908ELNS1_3gpuE7ELNS1_3repE0EEENS1_38merge_mergepath_config_static_selectorELNS0_4arch9wavefront6targetE1EEEvSK_
	.globl	_ZN7rocprim17ROCPRIM_400000_NS6detail17trampoline_kernelINS0_14default_configENS1_38merge_sort_block_merge_config_selectorIsNS0_10empty_typeEEEZZNS1_27merge_sort_block_merge_implIS3_N6thrust23THRUST_200600_302600_NS6detail15normal_iteratorINS9_10device_ptrIsEEEEPS5_m14custom_greaterIsEEE10hipError_tT0_T1_T2_jT3_P12ihipStream_tbPNSt15iterator_traitsISJ_E10value_typeEPNSP_ISK_E10value_typeEPSL_NS1_7vsmem_tEENKUlT_SJ_SK_SL_E_clIPsSE_SF_SF_EESI_SY_SJ_SK_SL_EUlSY_E0_NS1_11comp_targetILNS1_3genE3ELNS1_11target_archE908ELNS1_3gpuE7ELNS1_3repE0EEENS1_38merge_mergepath_config_static_selectorELNS0_4arch9wavefront6targetE1EEEvSK_
	.p2align	8
	.type	_ZN7rocprim17ROCPRIM_400000_NS6detail17trampoline_kernelINS0_14default_configENS1_38merge_sort_block_merge_config_selectorIsNS0_10empty_typeEEEZZNS1_27merge_sort_block_merge_implIS3_N6thrust23THRUST_200600_302600_NS6detail15normal_iteratorINS9_10device_ptrIsEEEEPS5_m14custom_greaterIsEEE10hipError_tT0_T1_T2_jT3_P12ihipStream_tbPNSt15iterator_traitsISJ_E10value_typeEPNSP_ISK_E10value_typeEPSL_NS1_7vsmem_tEENKUlT_SJ_SK_SL_E_clIPsSE_SF_SF_EESI_SY_SJ_SK_SL_EUlSY_E0_NS1_11comp_targetILNS1_3genE3ELNS1_11target_archE908ELNS1_3gpuE7ELNS1_3repE0EEENS1_38merge_mergepath_config_static_selectorELNS0_4arch9wavefront6targetE1EEEvSK_,@function
_ZN7rocprim17ROCPRIM_400000_NS6detail17trampoline_kernelINS0_14default_configENS1_38merge_sort_block_merge_config_selectorIsNS0_10empty_typeEEEZZNS1_27merge_sort_block_merge_implIS3_N6thrust23THRUST_200600_302600_NS6detail15normal_iteratorINS9_10device_ptrIsEEEEPS5_m14custom_greaterIsEEE10hipError_tT0_T1_T2_jT3_P12ihipStream_tbPNSt15iterator_traitsISJ_E10value_typeEPNSP_ISK_E10value_typeEPSL_NS1_7vsmem_tEENKUlT_SJ_SK_SL_E_clIPsSE_SF_SF_EESI_SY_SJ_SK_SL_EUlSY_E0_NS1_11comp_targetILNS1_3genE3ELNS1_11target_archE908ELNS1_3gpuE7ELNS1_3repE0EEENS1_38merge_mergepath_config_static_selectorELNS0_4arch9wavefront6targetE1EEEvSK_: ; @_ZN7rocprim17ROCPRIM_400000_NS6detail17trampoline_kernelINS0_14default_configENS1_38merge_sort_block_merge_config_selectorIsNS0_10empty_typeEEEZZNS1_27merge_sort_block_merge_implIS3_N6thrust23THRUST_200600_302600_NS6detail15normal_iteratorINS9_10device_ptrIsEEEEPS5_m14custom_greaterIsEEE10hipError_tT0_T1_T2_jT3_P12ihipStream_tbPNSt15iterator_traitsISJ_E10value_typeEPNSP_ISK_E10value_typeEPSL_NS1_7vsmem_tEENKUlT_SJ_SK_SL_E_clIPsSE_SF_SF_EESI_SY_SJ_SK_SL_EUlSY_E0_NS1_11comp_targetILNS1_3genE3ELNS1_11target_archE908ELNS1_3gpuE7ELNS1_3repE0EEENS1_38merge_mergepath_config_static_selectorELNS0_4arch9wavefront6targetE1EEEvSK_
; %bb.0:
	.section	.rodata,"a",@progbits
	.p2align	6, 0x0
	.amdhsa_kernel _ZN7rocprim17ROCPRIM_400000_NS6detail17trampoline_kernelINS0_14default_configENS1_38merge_sort_block_merge_config_selectorIsNS0_10empty_typeEEEZZNS1_27merge_sort_block_merge_implIS3_N6thrust23THRUST_200600_302600_NS6detail15normal_iteratorINS9_10device_ptrIsEEEEPS5_m14custom_greaterIsEEE10hipError_tT0_T1_T2_jT3_P12ihipStream_tbPNSt15iterator_traitsISJ_E10value_typeEPNSP_ISK_E10value_typeEPSL_NS1_7vsmem_tEENKUlT_SJ_SK_SL_E_clIPsSE_SF_SF_EESI_SY_SJ_SK_SL_EUlSY_E0_NS1_11comp_targetILNS1_3genE3ELNS1_11target_archE908ELNS1_3gpuE7ELNS1_3repE0EEENS1_38merge_mergepath_config_static_selectorELNS0_4arch9wavefront6targetE1EEEvSK_
		.amdhsa_group_segment_fixed_size 0
		.amdhsa_private_segment_fixed_size 0
		.amdhsa_kernarg_size 72
		.amdhsa_user_sgpr_count 6
		.amdhsa_user_sgpr_private_segment_buffer 1
		.amdhsa_user_sgpr_dispatch_ptr 0
		.amdhsa_user_sgpr_queue_ptr 0
		.amdhsa_user_sgpr_kernarg_segment_ptr 1
		.amdhsa_user_sgpr_dispatch_id 0
		.amdhsa_user_sgpr_flat_scratch_init 0
		.amdhsa_user_sgpr_kernarg_preload_length 0
		.amdhsa_user_sgpr_kernarg_preload_offset 0
		.amdhsa_user_sgpr_private_segment_size 0
		.amdhsa_uses_dynamic_stack 0
		.amdhsa_system_sgpr_private_segment_wavefront_offset 0
		.amdhsa_system_sgpr_workgroup_id_x 1
		.amdhsa_system_sgpr_workgroup_id_y 0
		.amdhsa_system_sgpr_workgroup_id_z 0
		.amdhsa_system_sgpr_workgroup_info 0
		.amdhsa_system_vgpr_workitem_id 0
		.amdhsa_next_free_vgpr 1
		.amdhsa_next_free_sgpr 0
		.amdhsa_accum_offset 4
		.amdhsa_reserve_vcc 0
		.amdhsa_reserve_flat_scratch 0
		.amdhsa_float_round_mode_32 0
		.amdhsa_float_round_mode_16_64 0
		.amdhsa_float_denorm_mode_32 3
		.amdhsa_float_denorm_mode_16_64 3
		.amdhsa_dx10_clamp 1
		.amdhsa_ieee_mode 1
		.amdhsa_fp16_overflow 0
		.amdhsa_tg_split 0
		.amdhsa_exception_fp_ieee_invalid_op 0
		.amdhsa_exception_fp_denorm_src 0
		.amdhsa_exception_fp_ieee_div_zero 0
		.amdhsa_exception_fp_ieee_overflow 0
		.amdhsa_exception_fp_ieee_underflow 0
		.amdhsa_exception_fp_ieee_inexact 0
		.amdhsa_exception_int_div_zero 0
	.end_amdhsa_kernel
	.section	.text._ZN7rocprim17ROCPRIM_400000_NS6detail17trampoline_kernelINS0_14default_configENS1_38merge_sort_block_merge_config_selectorIsNS0_10empty_typeEEEZZNS1_27merge_sort_block_merge_implIS3_N6thrust23THRUST_200600_302600_NS6detail15normal_iteratorINS9_10device_ptrIsEEEEPS5_m14custom_greaterIsEEE10hipError_tT0_T1_T2_jT3_P12ihipStream_tbPNSt15iterator_traitsISJ_E10value_typeEPNSP_ISK_E10value_typeEPSL_NS1_7vsmem_tEENKUlT_SJ_SK_SL_E_clIPsSE_SF_SF_EESI_SY_SJ_SK_SL_EUlSY_E0_NS1_11comp_targetILNS1_3genE3ELNS1_11target_archE908ELNS1_3gpuE7ELNS1_3repE0EEENS1_38merge_mergepath_config_static_selectorELNS0_4arch9wavefront6targetE1EEEvSK_,"axG",@progbits,_ZN7rocprim17ROCPRIM_400000_NS6detail17trampoline_kernelINS0_14default_configENS1_38merge_sort_block_merge_config_selectorIsNS0_10empty_typeEEEZZNS1_27merge_sort_block_merge_implIS3_N6thrust23THRUST_200600_302600_NS6detail15normal_iteratorINS9_10device_ptrIsEEEEPS5_m14custom_greaterIsEEE10hipError_tT0_T1_T2_jT3_P12ihipStream_tbPNSt15iterator_traitsISJ_E10value_typeEPNSP_ISK_E10value_typeEPSL_NS1_7vsmem_tEENKUlT_SJ_SK_SL_E_clIPsSE_SF_SF_EESI_SY_SJ_SK_SL_EUlSY_E0_NS1_11comp_targetILNS1_3genE3ELNS1_11target_archE908ELNS1_3gpuE7ELNS1_3repE0EEENS1_38merge_mergepath_config_static_selectorELNS0_4arch9wavefront6targetE1EEEvSK_,comdat
.Lfunc_end2949:
	.size	_ZN7rocprim17ROCPRIM_400000_NS6detail17trampoline_kernelINS0_14default_configENS1_38merge_sort_block_merge_config_selectorIsNS0_10empty_typeEEEZZNS1_27merge_sort_block_merge_implIS3_N6thrust23THRUST_200600_302600_NS6detail15normal_iteratorINS9_10device_ptrIsEEEEPS5_m14custom_greaterIsEEE10hipError_tT0_T1_T2_jT3_P12ihipStream_tbPNSt15iterator_traitsISJ_E10value_typeEPNSP_ISK_E10value_typeEPSL_NS1_7vsmem_tEENKUlT_SJ_SK_SL_E_clIPsSE_SF_SF_EESI_SY_SJ_SK_SL_EUlSY_E0_NS1_11comp_targetILNS1_3genE3ELNS1_11target_archE908ELNS1_3gpuE7ELNS1_3repE0EEENS1_38merge_mergepath_config_static_selectorELNS0_4arch9wavefront6targetE1EEEvSK_, .Lfunc_end2949-_ZN7rocprim17ROCPRIM_400000_NS6detail17trampoline_kernelINS0_14default_configENS1_38merge_sort_block_merge_config_selectorIsNS0_10empty_typeEEEZZNS1_27merge_sort_block_merge_implIS3_N6thrust23THRUST_200600_302600_NS6detail15normal_iteratorINS9_10device_ptrIsEEEEPS5_m14custom_greaterIsEEE10hipError_tT0_T1_T2_jT3_P12ihipStream_tbPNSt15iterator_traitsISJ_E10value_typeEPNSP_ISK_E10value_typeEPSL_NS1_7vsmem_tEENKUlT_SJ_SK_SL_E_clIPsSE_SF_SF_EESI_SY_SJ_SK_SL_EUlSY_E0_NS1_11comp_targetILNS1_3genE3ELNS1_11target_archE908ELNS1_3gpuE7ELNS1_3repE0EEENS1_38merge_mergepath_config_static_selectorELNS0_4arch9wavefront6targetE1EEEvSK_
                                        ; -- End function
	.section	.AMDGPU.csdata,"",@progbits
; Kernel info:
; codeLenInByte = 0
; NumSgprs: 4
; NumVgprs: 0
; NumAgprs: 0
; TotalNumVgprs: 0
; ScratchSize: 0
; MemoryBound: 0
; FloatMode: 240
; IeeeMode: 1
; LDSByteSize: 0 bytes/workgroup (compile time only)
; SGPRBlocks: 0
; VGPRBlocks: 0
; NumSGPRsForWavesPerEU: 4
; NumVGPRsForWavesPerEU: 1
; AccumOffset: 4
; Occupancy: 8
; WaveLimiterHint : 0
; COMPUTE_PGM_RSRC2:SCRATCH_EN: 0
; COMPUTE_PGM_RSRC2:USER_SGPR: 6
; COMPUTE_PGM_RSRC2:TRAP_HANDLER: 0
; COMPUTE_PGM_RSRC2:TGID_X_EN: 1
; COMPUTE_PGM_RSRC2:TGID_Y_EN: 0
; COMPUTE_PGM_RSRC2:TGID_Z_EN: 0
; COMPUTE_PGM_RSRC2:TIDIG_COMP_CNT: 0
; COMPUTE_PGM_RSRC3_GFX90A:ACCUM_OFFSET: 0
; COMPUTE_PGM_RSRC3_GFX90A:TG_SPLIT: 0
	.section	.text._ZN7rocprim17ROCPRIM_400000_NS6detail17trampoline_kernelINS0_14default_configENS1_38merge_sort_block_merge_config_selectorIsNS0_10empty_typeEEEZZNS1_27merge_sort_block_merge_implIS3_N6thrust23THRUST_200600_302600_NS6detail15normal_iteratorINS9_10device_ptrIsEEEEPS5_m14custom_greaterIsEEE10hipError_tT0_T1_T2_jT3_P12ihipStream_tbPNSt15iterator_traitsISJ_E10value_typeEPNSP_ISK_E10value_typeEPSL_NS1_7vsmem_tEENKUlT_SJ_SK_SL_E_clIPsSE_SF_SF_EESI_SY_SJ_SK_SL_EUlSY_E0_NS1_11comp_targetILNS1_3genE2ELNS1_11target_archE906ELNS1_3gpuE6ELNS1_3repE0EEENS1_38merge_mergepath_config_static_selectorELNS0_4arch9wavefront6targetE1EEEvSK_,"axG",@progbits,_ZN7rocprim17ROCPRIM_400000_NS6detail17trampoline_kernelINS0_14default_configENS1_38merge_sort_block_merge_config_selectorIsNS0_10empty_typeEEEZZNS1_27merge_sort_block_merge_implIS3_N6thrust23THRUST_200600_302600_NS6detail15normal_iteratorINS9_10device_ptrIsEEEEPS5_m14custom_greaterIsEEE10hipError_tT0_T1_T2_jT3_P12ihipStream_tbPNSt15iterator_traitsISJ_E10value_typeEPNSP_ISK_E10value_typeEPSL_NS1_7vsmem_tEENKUlT_SJ_SK_SL_E_clIPsSE_SF_SF_EESI_SY_SJ_SK_SL_EUlSY_E0_NS1_11comp_targetILNS1_3genE2ELNS1_11target_archE906ELNS1_3gpuE6ELNS1_3repE0EEENS1_38merge_mergepath_config_static_selectorELNS0_4arch9wavefront6targetE1EEEvSK_,comdat
	.protected	_ZN7rocprim17ROCPRIM_400000_NS6detail17trampoline_kernelINS0_14default_configENS1_38merge_sort_block_merge_config_selectorIsNS0_10empty_typeEEEZZNS1_27merge_sort_block_merge_implIS3_N6thrust23THRUST_200600_302600_NS6detail15normal_iteratorINS9_10device_ptrIsEEEEPS5_m14custom_greaterIsEEE10hipError_tT0_T1_T2_jT3_P12ihipStream_tbPNSt15iterator_traitsISJ_E10value_typeEPNSP_ISK_E10value_typeEPSL_NS1_7vsmem_tEENKUlT_SJ_SK_SL_E_clIPsSE_SF_SF_EESI_SY_SJ_SK_SL_EUlSY_E0_NS1_11comp_targetILNS1_3genE2ELNS1_11target_archE906ELNS1_3gpuE6ELNS1_3repE0EEENS1_38merge_mergepath_config_static_selectorELNS0_4arch9wavefront6targetE1EEEvSK_ ; -- Begin function _ZN7rocprim17ROCPRIM_400000_NS6detail17trampoline_kernelINS0_14default_configENS1_38merge_sort_block_merge_config_selectorIsNS0_10empty_typeEEEZZNS1_27merge_sort_block_merge_implIS3_N6thrust23THRUST_200600_302600_NS6detail15normal_iteratorINS9_10device_ptrIsEEEEPS5_m14custom_greaterIsEEE10hipError_tT0_T1_T2_jT3_P12ihipStream_tbPNSt15iterator_traitsISJ_E10value_typeEPNSP_ISK_E10value_typeEPSL_NS1_7vsmem_tEENKUlT_SJ_SK_SL_E_clIPsSE_SF_SF_EESI_SY_SJ_SK_SL_EUlSY_E0_NS1_11comp_targetILNS1_3genE2ELNS1_11target_archE906ELNS1_3gpuE6ELNS1_3repE0EEENS1_38merge_mergepath_config_static_selectorELNS0_4arch9wavefront6targetE1EEEvSK_
	.globl	_ZN7rocprim17ROCPRIM_400000_NS6detail17trampoline_kernelINS0_14default_configENS1_38merge_sort_block_merge_config_selectorIsNS0_10empty_typeEEEZZNS1_27merge_sort_block_merge_implIS3_N6thrust23THRUST_200600_302600_NS6detail15normal_iteratorINS9_10device_ptrIsEEEEPS5_m14custom_greaterIsEEE10hipError_tT0_T1_T2_jT3_P12ihipStream_tbPNSt15iterator_traitsISJ_E10value_typeEPNSP_ISK_E10value_typeEPSL_NS1_7vsmem_tEENKUlT_SJ_SK_SL_E_clIPsSE_SF_SF_EESI_SY_SJ_SK_SL_EUlSY_E0_NS1_11comp_targetILNS1_3genE2ELNS1_11target_archE906ELNS1_3gpuE6ELNS1_3repE0EEENS1_38merge_mergepath_config_static_selectorELNS0_4arch9wavefront6targetE1EEEvSK_
	.p2align	8
	.type	_ZN7rocprim17ROCPRIM_400000_NS6detail17trampoline_kernelINS0_14default_configENS1_38merge_sort_block_merge_config_selectorIsNS0_10empty_typeEEEZZNS1_27merge_sort_block_merge_implIS3_N6thrust23THRUST_200600_302600_NS6detail15normal_iteratorINS9_10device_ptrIsEEEEPS5_m14custom_greaterIsEEE10hipError_tT0_T1_T2_jT3_P12ihipStream_tbPNSt15iterator_traitsISJ_E10value_typeEPNSP_ISK_E10value_typeEPSL_NS1_7vsmem_tEENKUlT_SJ_SK_SL_E_clIPsSE_SF_SF_EESI_SY_SJ_SK_SL_EUlSY_E0_NS1_11comp_targetILNS1_3genE2ELNS1_11target_archE906ELNS1_3gpuE6ELNS1_3repE0EEENS1_38merge_mergepath_config_static_selectorELNS0_4arch9wavefront6targetE1EEEvSK_,@function
_ZN7rocprim17ROCPRIM_400000_NS6detail17trampoline_kernelINS0_14default_configENS1_38merge_sort_block_merge_config_selectorIsNS0_10empty_typeEEEZZNS1_27merge_sort_block_merge_implIS3_N6thrust23THRUST_200600_302600_NS6detail15normal_iteratorINS9_10device_ptrIsEEEEPS5_m14custom_greaterIsEEE10hipError_tT0_T1_T2_jT3_P12ihipStream_tbPNSt15iterator_traitsISJ_E10value_typeEPNSP_ISK_E10value_typeEPSL_NS1_7vsmem_tEENKUlT_SJ_SK_SL_E_clIPsSE_SF_SF_EESI_SY_SJ_SK_SL_EUlSY_E0_NS1_11comp_targetILNS1_3genE2ELNS1_11target_archE906ELNS1_3gpuE6ELNS1_3repE0EEENS1_38merge_mergepath_config_static_selectorELNS0_4arch9wavefront6targetE1EEEvSK_: ; @_ZN7rocprim17ROCPRIM_400000_NS6detail17trampoline_kernelINS0_14default_configENS1_38merge_sort_block_merge_config_selectorIsNS0_10empty_typeEEEZZNS1_27merge_sort_block_merge_implIS3_N6thrust23THRUST_200600_302600_NS6detail15normal_iteratorINS9_10device_ptrIsEEEEPS5_m14custom_greaterIsEEE10hipError_tT0_T1_T2_jT3_P12ihipStream_tbPNSt15iterator_traitsISJ_E10value_typeEPNSP_ISK_E10value_typeEPSL_NS1_7vsmem_tEENKUlT_SJ_SK_SL_E_clIPsSE_SF_SF_EESI_SY_SJ_SK_SL_EUlSY_E0_NS1_11comp_targetILNS1_3genE2ELNS1_11target_archE906ELNS1_3gpuE6ELNS1_3repE0EEENS1_38merge_mergepath_config_static_selectorELNS0_4arch9wavefront6targetE1EEEvSK_
; %bb.0:
	.section	.rodata,"a",@progbits
	.p2align	6, 0x0
	.amdhsa_kernel _ZN7rocprim17ROCPRIM_400000_NS6detail17trampoline_kernelINS0_14default_configENS1_38merge_sort_block_merge_config_selectorIsNS0_10empty_typeEEEZZNS1_27merge_sort_block_merge_implIS3_N6thrust23THRUST_200600_302600_NS6detail15normal_iteratorINS9_10device_ptrIsEEEEPS5_m14custom_greaterIsEEE10hipError_tT0_T1_T2_jT3_P12ihipStream_tbPNSt15iterator_traitsISJ_E10value_typeEPNSP_ISK_E10value_typeEPSL_NS1_7vsmem_tEENKUlT_SJ_SK_SL_E_clIPsSE_SF_SF_EESI_SY_SJ_SK_SL_EUlSY_E0_NS1_11comp_targetILNS1_3genE2ELNS1_11target_archE906ELNS1_3gpuE6ELNS1_3repE0EEENS1_38merge_mergepath_config_static_selectorELNS0_4arch9wavefront6targetE1EEEvSK_
		.amdhsa_group_segment_fixed_size 0
		.amdhsa_private_segment_fixed_size 0
		.amdhsa_kernarg_size 72
		.amdhsa_user_sgpr_count 6
		.amdhsa_user_sgpr_private_segment_buffer 1
		.amdhsa_user_sgpr_dispatch_ptr 0
		.amdhsa_user_sgpr_queue_ptr 0
		.amdhsa_user_sgpr_kernarg_segment_ptr 1
		.amdhsa_user_sgpr_dispatch_id 0
		.amdhsa_user_sgpr_flat_scratch_init 0
		.amdhsa_user_sgpr_kernarg_preload_length 0
		.amdhsa_user_sgpr_kernarg_preload_offset 0
		.amdhsa_user_sgpr_private_segment_size 0
		.amdhsa_uses_dynamic_stack 0
		.amdhsa_system_sgpr_private_segment_wavefront_offset 0
		.amdhsa_system_sgpr_workgroup_id_x 1
		.amdhsa_system_sgpr_workgroup_id_y 0
		.amdhsa_system_sgpr_workgroup_id_z 0
		.amdhsa_system_sgpr_workgroup_info 0
		.amdhsa_system_vgpr_workitem_id 0
		.amdhsa_next_free_vgpr 1
		.amdhsa_next_free_sgpr 0
		.amdhsa_accum_offset 4
		.amdhsa_reserve_vcc 0
		.amdhsa_reserve_flat_scratch 0
		.amdhsa_float_round_mode_32 0
		.amdhsa_float_round_mode_16_64 0
		.amdhsa_float_denorm_mode_32 3
		.amdhsa_float_denorm_mode_16_64 3
		.amdhsa_dx10_clamp 1
		.amdhsa_ieee_mode 1
		.amdhsa_fp16_overflow 0
		.amdhsa_tg_split 0
		.amdhsa_exception_fp_ieee_invalid_op 0
		.amdhsa_exception_fp_denorm_src 0
		.amdhsa_exception_fp_ieee_div_zero 0
		.amdhsa_exception_fp_ieee_overflow 0
		.amdhsa_exception_fp_ieee_underflow 0
		.amdhsa_exception_fp_ieee_inexact 0
		.amdhsa_exception_int_div_zero 0
	.end_amdhsa_kernel
	.section	.text._ZN7rocprim17ROCPRIM_400000_NS6detail17trampoline_kernelINS0_14default_configENS1_38merge_sort_block_merge_config_selectorIsNS0_10empty_typeEEEZZNS1_27merge_sort_block_merge_implIS3_N6thrust23THRUST_200600_302600_NS6detail15normal_iteratorINS9_10device_ptrIsEEEEPS5_m14custom_greaterIsEEE10hipError_tT0_T1_T2_jT3_P12ihipStream_tbPNSt15iterator_traitsISJ_E10value_typeEPNSP_ISK_E10value_typeEPSL_NS1_7vsmem_tEENKUlT_SJ_SK_SL_E_clIPsSE_SF_SF_EESI_SY_SJ_SK_SL_EUlSY_E0_NS1_11comp_targetILNS1_3genE2ELNS1_11target_archE906ELNS1_3gpuE6ELNS1_3repE0EEENS1_38merge_mergepath_config_static_selectorELNS0_4arch9wavefront6targetE1EEEvSK_,"axG",@progbits,_ZN7rocprim17ROCPRIM_400000_NS6detail17trampoline_kernelINS0_14default_configENS1_38merge_sort_block_merge_config_selectorIsNS0_10empty_typeEEEZZNS1_27merge_sort_block_merge_implIS3_N6thrust23THRUST_200600_302600_NS6detail15normal_iteratorINS9_10device_ptrIsEEEEPS5_m14custom_greaterIsEEE10hipError_tT0_T1_T2_jT3_P12ihipStream_tbPNSt15iterator_traitsISJ_E10value_typeEPNSP_ISK_E10value_typeEPSL_NS1_7vsmem_tEENKUlT_SJ_SK_SL_E_clIPsSE_SF_SF_EESI_SY_SJ_SK_SL_EUlSY_E0_NS1_11comp_targetILNS1_3genE2ELNS1_11target_archE906ELNS1_3gpuE6ELNS1_3repE0EEENS1_38merge_mergepath_config_static_selectorELNS0_4arch9wavefront6targetE1EEEvSK_,comdat
.Lfunc_end2950:
	.size	_ZN7rocprim17ROCPRIM_400000_NS6detail17trampoline_kernelINS0_14default_configENS1_38merge_sort_block_merge_config_selectorIsNS0_10empty_typeEEEZZNS1_27merge_sort_block_merge_implIS3_N6thrust23THRUST_200600_302600_NS6detail15normal_iteratorINS9_10device_ptrIsEEEEPS5_m14custom_greaterIsEEE10hipError_tT0_T1_T2_jT3_P12ihipStream_tbPNSt15iterator_traitsISJ_E10value_typeEPNSP_ISK_E10value_typeEPSL_NS1_7vsmem_tEENKUlT_SJ_SK_SL_E_clIPsSE_SF_SF_EESI_SY_SJ_SK_SL_EUlSY_E0_NS1_11comp_targetILNS1_3genE2ELNS1_11target_archE906ELNS1_3gpuE6ELNS1_3repE0EEENS1_38merge_mergepath_config_static_selectorELNS0_4arch9wavefront6targetE1EEEvSK_, .Lfunc_end2950-_ZN7rocprim17ROCPRIM_400000_NS6detail17trampoline_kernelINS0_14default_configENS1_38merge_sort_block_merge_config_selectorIsNS0_10empty_typeEEEZZNS1_27merge_sort_block_merge_implIS3_N6thrust23THRUST_200600_302600_NS6detail15normal_iteratorINS9_10device_ptrIsEEEEPS5_m14custom_greaterIsEEE10hipError_tT0_T1_T2_jT3_P12ihipStream_tbPNSt15iterator_traitsISJ_E10value_typeEPNSP_ISK_E10value_typeEPSL_NS1_7vsmem_tEENKUlT_SJ_SK_SL_E_clIPsSE_SF_SF_EESI_SY_SJ_SK_SL_EUlSY_E0_NS1_11comp_targetILNS1_3genE2ELNS1_11target_archE906ELNS1_3gpuE6ELNS1_3repE0EEENS1_38merge_mergepath_config_static_selectorELNS0_4arch9wavefront6targetE1EEEvSK_
                                        ; -- End function
	.section	.AMDGPU.csdata,"",@progbits
; Kernel info:
; codeLenInByte = 0
; NumSgprs: 4
; NumVgprs: 0
; NumAgprs: 0
; TotalNumVgprs: 0
; ScratchSize: 0
; MemoryBound: 0
; FloatMode: 240
; IeeeMode: 1
; LDSByteSize: 0 bytes/workgroup (compile time only)
; SGPRBlocks: 0
; VGPRBlocks: 0
; NumSGPRsForWavesPerEU: 4
; NumVGPRsForWavesPerEU: 1
; AccumOffset: 4
; Occupancy: 8
; WaveLimiterHint : 0
; COMPUTE_PGM_RSRC2:SCRATCH_EN: 0
; COMPUTE_PGM_RSRC2:USER_SGPR: 6
; COMPUTE_PGM_RSRC2:TRAP_HANDLER: 0
; COMPUTE_PGM_RSRC2:TGID_X_EN: 1
; COMPUTE_PGM_RSRC2:TGID_Y_EN: 0
; COMPUTE_PGM_RSRC2:TGID_Z_EN: 0
; COMPUTE_PGM_RSRC2:TIDIG_COMP_CNT: 0
; COMPUTE_PGM_RSRC3_GFX90A:ACCUM_OFFSET: 0
; COMPUTE_PGM_RSRC3_GFX90A:TG_SPLIT: 0
	.section	.text._ZN7rocprim17ROCPRIM_400000_NS6detail17trampoline_kernelINS0_14default_configENS1_38merge_sort_block_merge_config_selectorIsNS0_10empty_typeEEEZZNS1_27merge_sort_block_merge_implIS3_N6thrust23THRUST_200600_302600_NS6detail15normal_iteratorINS9_10device_ptrIsEEEEPS5_m14custom_greaterIsEEE10hipError_tT0_T1_T2_jT3_P12ihipStream_tbPNSt15iterator_traitsISJ_E10value_typeEPNSP_ISK_E10value_typeEPSL_NS1_7vsmem_tEENKUlT_SJ_SK_SL_E_clIPsSE_SF_SF_EESI_SY_SJ_SK_SL_EUlSY_E0_NS1_11comp_targetILNS1_3genE9ELNS1_11target_archE1100ELNS1_3gpuE3ELNS1_3repE0EEENS1_38merge_mergepath_config_static_selectorELNS0_4arch9wavefront6targetE1EEEvSK_,"axG",@progbits,_ZN7rocprim17ROCPRIM_400000_NS6detail17trampoline_kernelINS0_14default_configENS1_38merge_sort_block_merge_config_selectorIsNS0_10empty_typeEEEZZNS1_27merge_sort_block_merge_implIS3_N6thrust23THRUST_200600_302600_NS6detail15normal_iteratorINS9_10device_ptrIsEEEEPS5_m14custom_greaterIsEEE10hipError_tT0_T1_T2_jT3_P12ihipStream_tbPNSt15iterator_traitsISJ_E10value_typeEPNSP_ISK_E10value_typeEPSL_NS1_7vsmem_tEENKUlT_SJ_SK_SL_E_clIPsSE_SF_SF_EESI_SY_SJ_SK_SL_EUlSY_E0_NS1_11comp_targetILNS1_3genE9ELNS1_11target_archE1100ELNS1_3gpuE3ELNS1_3repE0EEENS1_38merge_mergepath_config_static_selectorELNS0_4arch9wavefront6targetE1EEEvSK_,comdat
	.protected	_ZN7rocprim17ROCPRIM_400000_NS6detail17trampoline_kernelINS0_14default_configENS1_38merge_sort_block_merge_config_selectorIsNS0_10empty_typeEEEZZNS1_27merge_sort_block_merge_implIS3_N6thrust23THRUST_200600_302600_NS6detail15normal_iteratorINS9_10device_ptrIsEEEEPS5_m14custom_greaterIsEEE10hipError_tT0_T1_T2_jT3_P12ihipStream_tbPNSt15iterator_traitsISJ_E10value_typeEPNSP_ISK_E10value_typeEPSL_NS1_7vsmem_tEENKUlT_SJ_SK_SL_E_clIPsSE_SF_SF_EESI_SY_SJ_SK_SL_EUlSY_E0_NS1_11comp_targetILNS1_3genE9ELNS1_11target_archE1100ELNS1_3gpuE3ELNS1_3repE0EEENS1_38merge_mergepath_config_static_selectorELNS0_4arch9wavefront6targetE1EEEvSK_ ; -- Begin function _ZN7rocprim17ROCPRIM_400000_NS6detail17trampoline_kernelINS0_14default_configENS1_38merge_sort_block_merge_config_selectorIsNS0_10empty_typeEEEZZNS1_27merge_sort_block_merge_implIS3_N6thrust23THRUST_200600_302600_NS6detail15normal_iteratorINS9_10device_ptrIsEEEEPS5_m14custom_greaterIsEEE10hipError_tT0_T1_T2_jT3_P12ihipStream_tbPNSt15iterator_traitsISJ_E10value_typeEPNSP_ISK_E10value_typeEPSL_NS1_7vsmem_tEENKUlT_SJ_SK_SL_E_clIPsSE_SF_SF_EESI_SY_SJ_SK_SL_EUlSY_E0_NS1_11comp_targetILNS1_3genE9ELNS1_11target_archE1100ELNS1_3gpuE3ELNS1_3repE0EEENS1_38merge_mergepath_config_static_selectorELNS0_4arch9wavefront6targetE1EEEvSK_
	.globl	_ZN7rocprim17ROCPRIM_400000_NS6detail17trampoline_kernelINS0_14default_configENS1_38merge_sort_block_merge_config_selectorIsNS0_10empty_typeEEEZZNS1_27merge_sort_block_merge_implIS3_N6thrust23THRUST_200600_302600_NS6detail15normal_iteratorINS9_10device_ptrIsEEEEPS5_m14custom_greaterIsEEE10hipError_tT0_T1_T2_jT3_P12ihipStream_tbPNSt15iterator_traitsISJ_E10value_typeEPNSP_ISK_E10value_typeEPSL_NS1_7vsmem_tEENKUlT_SJ_SK_SL_E_clIPsSE_SF_SF_EESI_SY_SJ_SK_SL_EUlSY_E0_NS1_11comp_targetILNS1_3genE9ELNS1_11target_archE1100ELNS1_3gpuE3ELNS1_3repE0EEENS1_38merge_mergepath_config_static_selectorELNS0_4arch9wavefront6targetE1EEEvSK_
	.p2align	8
	.type	_ZN7rocprim17ROCPRIM_400000_NS6detail17trampoline_kernelINS0_14default_configENS1_38merge_sort_block_merge_config_selectorIsNS0_10empty_typeEEEZZNS1_27merge_sort_block_merge_implIS3_N6thrust23THRUST_200600_302600_NS6detail15normal_iteratorINS9_10device_ptrIsEEEEPS5_m14custom_greaterIsEEE10hipError_tT0_T1_T2_jT3_P12ihipStream_tbPNSt15iterator_traitsISJ_E10value_typeEPNSP_ISK_E10value_typeEPSL_NS1_7vsmem_tEENKUlT_SJ_SK_SL_E_clIPsSE_SF_SF_EESI_SY_SJ_SK_SL_EUlSY_E0_NS1_11comp_targetILNS1_3genE9ELNS1_11target_archE1100ELNS1_3gpuE3ELNS1_3repE0EEENS1_38merge_mergepath_config_static_selectorELNS0_4arch9wavefront6targetE1EEEvSK_,@function
_ZN7rocprim17ROCPRIM_400000_NS6detail17trampoline_kernelINS0_14default_configENS1_38merge_sort_block_merge_config_selectorIsNS0_10empty_typeEEEZZNS1_27merge_sort_block_merge_implIS3_N6thrust23THRUST_200600_302600_NS6detail15normal_iteratorINS9_10device_ptrIsEEEEPS5_m14custom_greaterIsEEE10hipError_tT0_T1_T2_jT3_P12ihipStream_tbPNSt15iterator_traitsISJ_E10value_typeEPNSP_ISK_E10value_typeEPSL_NS1_7vsmem_tEENKUlT_SJ_SK_SL_E_clIPsSE_SF_SF_EESI_SY_SJ_SK_SL_EUlSY_E0_NS1_11comp_targetILNS1_3genE9ELNS1_11target_archE1100ELNS1_3gpuE3ELNS1_3repE0EEENS1_38merge_mergepath_config_static_selectorELNS0_4arch9wavefront6targetE1EEEvSK_: ; @_ZN7rocprim17ROCPRIM_400000_NS6detail17trampoline_kernelINS0_14default_configENS1_38merge_sort_block_merge_config_selectorIsNS0_10empty_typeEEEZZNS1_27merge_sort_block_merge_implIS3_N6thrust23THRUST_200600_302600_NS6detail15normal_iteratorINS9_10device_ptrIsEEEEPS5_m14custom_greaterIsEEE10hipError_tT0_T1_T2_jT3_P12ihipStream_tbPNSt15iterator_traitsISJ_E10value_typeEPNSP_ISK_E10value_typeEPSL_NS1_7vsmem_tEENKUlT_SJ_SK_SL_E_clIPsSE_SF_SF_EESI_SY_SJ_SK_SL_EUlSY_E0_NS1_11comp_targetILNS1_3genE9ELNS1_11target_archE1100ELNS1_3gpuE3ELNS1_3repE0EEENS1_38merge_mergepath_config_static_selectorELNS0_4arch9wavefront6targetE1EEEvSK_
; %bb.0:
	.section	.rodata,"a",@progbits
	.p2align	6, 0x0
	.amdhsa_kernel _ZN7rocprim17ROCPRIM_400000_NS6detail17trampoline_kernelINS0_14default_configENS1_38merge_sort_block_merge_config_selectorIsNS0_10empty_typeEEEZZNS1_27merge_sort_block_merge_implIS3_N6thrust23THRUST_200600_302600_NS6detail15normal_iteratorINS9_10device_ptrIsEEEEPS5_m14custom_greaterIsEEE10hipError_tT0_T1_T2_jT3_P12ihipStream_tbPNSt15iterator_traitsISJ_E10value_typeEPNSP_ISK_E10value_typeEPSL_NS1_7vsmem_tEENKUlT_SJ_SK_SL_E_clIPsSE_SF_SF_EESI_SY_SJ_SK_SL_EUlSY_E0_NS1_11comp_targetILNS1_3genE9ELNS1_11target_archE1100ELNS1_3gpuE3ELNS1_3repE0EEENS1_38merge_mergepath_config_static_selectorELNS0_4arch9wavefront6targetE1EEEvSK_
		.amdhsa_group_segment_fixed_size 0
		.amdhsa_private_segment_fixed_size 0
		.amdhsa_kernarg_size 72
		.amdhsa_user_sgpr_count 6
		.amdhsa_user_sgpr_private_segment_buffer 1
		.amdhsa_user_sgpr_dispatch_ptr 0
		.amdhsa_user_sgpr_queue_ptr 0
		.amdhsa_user_sgpr_kernarg_segment_ptr 1
		.amdhsa_user_sgpr_dispatch_id 0
		.amdhsa_user_sgpr_flat_scratch_init 0
		.amdhsa_user_sgpr_kernarg_preload_length 0
		.amdhsa_user_sgpr_kernarg_preload_offset 0
		.amdhsa_user_sgpr_private_segment_size 0
		.amdhsa_uses_dynamic_stack 0
		.amdhsa_system_sgpr_private_segment_wavefront_offset 0
		.amdhsa_system_sgpr_workgroup_id_x 1
		.amdhsa_system_sgpr_workgroup_id_y 0
		.amdhsa_system_sgpr_workgroup_id_z 0
		.amdhsa_system_sgpr_workgroup_info 0
		.amdhsa_system_vgpr_workitem_id 0
		.amdhsa_next_free_vgpr 1
		.amdhsa_next_free_sgpr 0
		.amdhsa_accum_offset 4
		.amdhsa_reserve_vcc 0
		.amdhsa_reserve_flat_scratch 0
		.amdhsa_float_round_mode_32 0
		.amdhsa_float_round_mode_16_64 0
		.amdhsa_float_denorm_mode_32 3
		.amdhsa_float_denorm_mode_16_64 3
		.amdhsa_dx10_clamp 1
		.amdhsa_ieee_mode 1
		.amdhsa_fp16_overflow 0
		.amdhsa_tg_split 0
		.amdhsa_exception_fp_ieee_invalid_op 0
		.amdhsa_exception_fp_denorm_src 0
		.amdhsa_exception_fp_ieee_div_zero 0
		.amdhsa_exception_fp_ieee_overflow 0
		.amdhsa_exception_fp_ieee_underflow 0
		.amdhsa_exception_fp_ieee_inexact 0
		.amdhsa_exception_int_div_zero 0
	.end_amdhsa_kernel
	.section	.text._ZN7rocprim17ROCPRIM_400000_NS6detail17trampoline_kernelINS0_14default_configENS1_38merge_sort_block_merge_config_selectorIsNS0_10empty_typeEEEZZNS1_27merge_sort_block_merge_implIS3_N6thrust23THRUST_200600_302600_NS6detail15normal_iteratorINS9_10device_ptrIsEEEEPS5_m14custom_greaterIsEEE10hipError_tT0_T1_T2_jT3_P12ihipStream_tbPNSt15iterator_traitsISJ_E10value_typeEPNSP_ISK_E10value_typeEPSL_NS1_7vsmem_tEENKUlT_SJ_SK_SL_E_clIPsSE_SF_SF_EESI_SY_SJ_SK_SL_EUlSY_E0_NS1_11comp_targetILNS1_3genE9ELNS1_11target_archE1100ELNS1_3gpuE3ELNS1_3repE0EEENS1_38merge_mergepath_config_static_selectorELNS0_4arch9wavefront6targetE1EEEvSK_,"axG",@progbits,_ZN7rocprim17ROCPRIM_400000_NS6detail17trampoline_kernelINS0_14default_configENS1_38merge_sort_block_merge_config_selectorIsNS0_10empty_typeEEEZZNS1_27merge_sort_block_merge_implIS3_N6thrust23THRUST_200600_302600_NS6detail15normal_iteratorINS9_10device_ptrIsEEEEPS5_m14custom_greaterIsEEE10hipError_tT0_T1_T2_jT3_P12ihipStream_tbPNSt15iterator_traitsISJ_E10value_typeEPNSP_ISK_E10value_typeEPSL_NS1_7vsmem_tEENKUlT_SJ_SK_SL_E_clIPsSE_SF_SF_EESI_SY_SJ_SK_SL_EUlSY_E0_NS1_11comp_targetILNS1_3genE9ELNS1_11target_archE1100ELNS1_3gpuE3ELNS1_3repE0EEENS1_38merge_mergepath_config_static_selectorELNS0_4arch9wavefront6targetE1EEEvSK_,comdat
.Lfunc_end2951:
	.size	_ZN7rocprim17ROCPRIM_400000_NS6detail17trampoline_kernelINS0_14default_configENS1_38merge_sort_block_merge_config_selectorIsNS0_10empty_typeEEEZZNS1_27merge_sort_block_merge_implIS3_N6thrust23THRUST_200600_302600_NS6detail15normal_iteratorINS9_10device_ptrIsEEEEPS5_m14custom_greaterIsEEE10hipError_tT0_T1_T2_jT3_P12ihipStream_tbPNSt15iterator_traitsISJ_E10value_typeEPNSP_ISK_E10value_typeEPSL_NS1_7vsmem_tEENKUlT_SJ_SK_SL_E_clIPsSE_SF_SF_EESI_SY_SJ_SK_SL_EUlSY_E0_NS1_11comp_targetILNS1_3genE9ELNS1_11target_archE1100ELNS1_3gpuE3ELNS1_3repE0EEENS1_38merge_mergepath_config_static_selectorELNS0_4arch9wavefront6targetE1EEEvSK_, .Lfunc_end2951-_ZN7rocprim17ROCPRIM_400000_NS6detail17trampoline_kernelINS0_14default_configENS1_38merge_sort_block_merge_config_selectorIsNS0_10empty_typeEEEZZNS1_27merge_sort_block_merge_implIS3_N6thrust23THRUST_200600_302600_NS6detail15normal_iteratorINS9_10device_ptrIsEEEEPS5_m14custom_greaterIsEEE10hipError_tT0_T1_T2_jT3_P12ihipStream_tbPNSt15iterator_traitsISJ_E10value_typeEPNSP_ISK_E10value_typeEPSL_NS1_7vsmem_tEENKUlT_SJ_SK_SL_E_clIPsSE_SF_SF_EESI_SY_SJ_SK_SL_EUlSY_E0_NS1_11comp_targetILNS1_3genE9ELNS1_11target_archE1100ELNS1_3gpuE3ELNS1_3repE0EEENS1_38merge_mergepath_config_static_selectorELNS0_4arch9wavefront6targetE1EEEvSK_
                                        ; -- End function
	.section	.AMDGPU.csdata,"",@progbits
; Kernel info:
; codeLenInByte = 0
; NumSgprs: 4
; NumVgprs: 0
; NumAgprs: 0
; TotalNumVgprs: 0
; ScratchSize: 0
; MemoryBound: 0
; FloatMode: 240
; IeeeMode: 1
; LDSByteSize: 0 bytes/workgroup (compile time only)
; SGPRBlocks: 0
; VGPRBlocks: 0
; NumSGPRsForWavesPerEU: 4
; NumVGPRsForWavesPerEU: 1
; AccumOffset: 4
; Occupancy: 8
; WaveLimiterHint : 0
; COMPUTE_PGM_RSRC2:SCRATCH_EN: 0
; COMPUTE_PGM_RSRC2:USER_SGPR: 6
; COMPUTE_PGM_RSRC2:TRAP_HANDLER: 0
; COMPUTE_PGM_RSRC2:TGID_X_EN: 1
; COMPUTE_PGM_RSRC2:TGID_Y_EN: 0
; COMPUTE_PGM_RSRC2:TGID_Z_EN: 0
; COMPUTE_PGM_RSRC2:TIDIG_COMP_CNT: 0
; COMPUTE_PGM_RSRC3_GFX90A:ACCUM_OFFSET: 0
; COMPUTE_PGM_RSRC3_GFX90A:TG_SPLIT: 0
	.section	.text._ZN7rocprim17ROCPRIM_400000_NS6detail17trampoline_kernelINS0_14default_configENS1_38merge_sort_block_merge_config_selectorIsNS0_10empty_typeEEEZZNS1_27merge_sort_block_merge_implIS3_N6thrust23THRUST_200600_302600_NS6detail15normal_iteratorINS9_10device_ptrIsEEEEPS5_m14custom_greaterIsEEE10hipError_tT0_T1_T2_jT3_P12ihipStream_tbPNSt15iterator_traitsISJ_E10value_typeEPNSP_ISK_E10value_typeEPSL_NS1_7vsmem_tEENKUlT_SJ_SK_SL_E_clIPsSE_SF_SF_EESI_SY_SJ_SK_SL_EUlSY_E0_NS1_11comp_targetILNS1_3genE8ELNS1_11target_archE1030ELNS1_3gpuE2ELNS1_3repE0EEENS1_38merge_mergepath_config_static_selectorELNS0_4arch9wavefront6targetE1EEEvSK_,"axG",@progbits,_ZN7rocprim17ROCPRIM_400000_NS6detail17trampoline_kernelINS0_14default_configENS1_38merge_sort_block_merge_config_selectorIsNS0_10empty_typeEEEZZNS1_27merge_sort_block_merge_implIS3_N6thrust23THRUST_200600_302600_NS6detail15normal_iteratorINS9_10device_ptrIsEEEEPS5_m14custom_greaterIsEEE10hipError_tT0_T1_T2_jT3_P12ihipStream_tbPNSt15iterator_traitsISJ_E10value_typeEPNSP_ISK_E10value_typeEPSL_NS1_7vsmem_tEENKUlT_SJ_SK_SL_E_clIPsSE_SF_SF_EESI_SY_SJ_SK_SL_EUlSY_E0_NS1_11comp_targetILNS1_3genE8ELNS1_11target_archE1030ELNS1_3gpuE2ELNS1_3repE0EEENS1_38merge_mergepath_config_static_selectorELNS0_4arch9wavefront6targetE1EEEvSK_,comdat
	.protected	_ZN7rocprim17ROCPRIM_400000_NS6detail17trampoline_kernelINS0_14default_configENS1_38merge_sort_block_merge_config_selectorIsNS0_10empty_typeEEEZZNS1_27merge_sort_block_merge_implIS3_N6thrust23THRUST_200600_302600_NS6detail15normal_iteratorINS9_10device_ptrIsEEEEPS5_m14custom_greaterIsEEE10hipError_tT0_T1_T2_jT3_P12ihipStream_tbPNSt15iterator_traitsISJ_E10value_typeEPNSP_ISK_E10value_typeEPSL_NS1_7vsmem_tEENKUlT_SJ_SK_SL_E_clIPsSE_SF_SF_EESI_SY_SJ_SK_SL_EUlSY_E0_NS1_11comp_targetILNS1_3genE8ELNS1_11target_archE1030ELNS1_3gpuE2ELNS1_3repE0EEENS1_38merge_mergepath_config_static_selectorELNS0_4arch9wavefront6targetE1EEEvSK_ ; -- Begin function _ZN7rocprim17ROCPRIM_400000_NS6detail17trampoline_kernelINS0_14default_configENS1_38merge_sort_block_merge_config_selectorIsNS0_10empty_typeEEEZZNS1_27merge_sort_block_merge_implIS3_N6thrust23THRUST_200600_302600_NS6detail15normal_iteratorINS9_10device_ptrIsEEEEPS5_m14custom_greaterIsEEE10hipError_tT0_T1_T2_jT3_P12ihipStream_tbPNSt15iterator_traitsISJ_E10value_typeEPNSP_ISK_E10value_typeEPSL_NS1_7vsmem_tEENKUlT_SJ_SK_SL_E_clIPsSE_SF_SF_EESI_SY_SJ_SK_SL_EUlSY_E0_NS1_11comp_targetILNS1_3genE8ELNS1_11target_archE1030ELNS1_3gpuE2ELNS1_3repE0EEENS1_38merge_mergepath_config_static_selectorELNS0_4arch9wavefront6targetE1EEEvSK_
	.globl	_ZN7rocprim17ROCPRIM_400000_NS6detail17trampoline_kernelINS0_14default_configENS1_38merge_sort_block_merge_config_selectorIsNS0_10empty_typeEEEZZNS1_27merge_sort_block_merge_implIS3_N6thrust23THRUST_200600_302600_NS6detail15normal_iteratorINS9_10device_ptrIsEEEEPS5_m14custom_greaterIsEEE10hipError_tT0_T1_T2_jT3_P12ihipStream_tbPNSt15iterator_traitsISJ_E10value_typeEPNSP_ISK_E10value_typeEPSL_NS1_7vsmem_tEENKUlT_SJ_SK_SL_E_clIPsSE_SF_SF_EESI_SY_SJ_SK_SL_EUlSY_E0_NS1_11comp_targetILNS1_3genE8ELNS1_11target_archE1030ELNS1_3gpuE2ELNS1_3repE0EEENS1_38merge_mergepath_config_static_selectorELNS0_4arch9wavefront6targetE1EEEvSK_
	.p2align	8
	.type	_ZN7rocprim17ROCPRIM_400000_NS6detail17trampoline_kernelINS0_14default_configENS1_38merge_sort_block_merge_config_selectorIsNS0_10empty_typeEEEZZNS1_27merge_sort_block_merge_implIS3_N6thrust23THRUST_200600_302600_NS6detail15normal_iteratorINS9_10device_ptrIsEEEEPS5_m14custom_greaterIsEEE10hipError_tT0_T1_T2_jT3_P12ihipStream_tbPNSt15iterator_traitsISJ_E10value_typeEPNSP_ISK_E10value_typeEPSL_NS1_7vsmem_tEENKUlT_SJ_SK_SL_E_clIPsSE_SF_SF_EESI_SY_SJ_SK_SL_EUlSY_E0_NS1_11comp_targetILNS1_3genE8ELNS1_11target_archE1030ELNS1_3gpuE2ELNS1_3repE0EEENS1_38merge_mergepath_config_static_selectorELNS0_4arch9wavefront6targetE1EEEvSK_,@function
_ZN7rocprim17ROCPRIM_400000_NS6detail17trampoline_kernelINS0_14default_configENS1_38merge_sort_block_merge_config_selectorIsNS0_10empty_typeEEEZZNS1_27merge_sort_block_merge_implIS3_N6thrust23THRUST_200600_302600_NS6detail15normal_iteratorINS9_10device_ptrIsEEEEPS5_m14custom_greaterIsEEE10hipError_tT0_T1_T2_jT3_P12ihipStream_tbPNSt15iterator_traitsISJ_E10value_typeEPNSP_ISK_E10value_typeEPSL_NS1_7vsmem_tEENKUlT_SJ_SK_SL_E_clIPsSE_SF_SF_EESI_SY_SJ_SK_SL_EUlSY_E0_NS1_11comp_targetILNS1_3genE8ELNS1_11target_archE1030ELNS1_3gpuE2ELNS1_3repE0EEENS1_38merge_mergepath_config_static_selectorELNS0_4arch9wavefront6targetE1EEEvSK_: ; @_ZN7rocprim17ROCPRIM_400000_NS6detail17trampoline_kernelINS0_14default_configENS1_38merge_sort_block_merge_config_selectorIsNS0_10empty_typeEEEZZNS1_27merge_sort_block_merge_implIS3_N6thrust23THRUST_200600_302600_NS6detail15normal_iteratorINS9_10device_ptrIsEEEEPS5_m14custom_greaterIsEEE10hipError_tT0_T1_T2_jT3_P12ihipStream_tbPNSt15iterator_traitsISJ_E10value_typeEPNSP_ISK_E10value_typeEPSL_NS1_7vsmem_tEENKUlT_SJ_SK_SL_E_clIPsSE_SF_SF_EESI_SY_SJ_SK_SL_EUlSY_E0_NS1_11comp_targetILNS1_3genE8ELNS1_11target_archE1030ELNS1_3gpuE2ELNS1_3repE0EEENS1_38merge_mergepath_config_static_selectorELNS0_4arch9wavefront6targetE1EEEvSK_
; %bb.0:
	.section	.rodata,"a",@progbits
	.p2align	6, 0x0
	.amdhsa_kernel _ZN7rocprim17ROCPRIM_400000_NS6detail17trampoline_kernelINS0_14default_configENS1_38merge_sort_block_merge_config_selectorIsNS0_10empty_typeEEEZZNS1_27merge_sort_block_merge_implIS3_N6thrust23THRUST_200600_302600_NS6detail15normal_iteratorINS9_10device_ptrIsEEEEPS5_m14custom_greaterIsEEE10hipError_tT0_T1_T2_jT3_P12ihipStream_tbPNSt15iterator_traitsISJ_E10value_typeEPNSP_ISK_E10value_typeEPSL_NS1_7vsmem_tEENKUlT_SJ_SK_SL_E_clIPsSE_SF_SF_EESI_SY_SJ_SK_SL_EUlSY_E0_NS1_11comp_targetILNS1_3genE8ELNS1_11target_archE1030ELNS1_3gpuE2ELNS1_3repE0EEENS1_38merge_mergepath_config_static_selectorELNS0_4arch9wavefront6targetE1EEEvSK_
		.amdhsa_group_segment_fixed_size 0
		.amdhsa_private_segment_fixed_size 0
		.amdhsa_kernarg_size 72
		.amdhsa_user_sgpr_count 6
		.amdhsa_user_sgpr_private_segment_buffer 1
		.amdhsa_user_sgpr_dispatch_ptr 0
		.amdhsa_user_sgpr_queue_ptr 0
		.amdhsa_user_sgpr_kernarg_segment_ptr 1
		.amdhsa_user_sgpr_dispatch_id 0
		.amdhsa_user_sgpr_flat_scratch_init 0
		.amdhsa_user_sgpr_kernarg_preload_length 0
		.amdhsa_user_sgpr_kernarg_preload_offset 0
		.amdhsa_user_sgpr_private_segment_size 0
		.amdhsa_uses_dynamic_stack 0
		.amdhsa_system_sgpr_private_segment_wavefront_offset 0
		.amdhsa_system_sgpr_workgroup_id_x 1
		.amdhsa_system_sgpr_workgroup_id_y 0
		.amdhsa_system_sgpr_workgroup_id_z 0
		.amdhsa_system_sgpr_workgroup_info 0
		.amdhsa_system_vgpr_workitem_id 0
		.amdhsa_next_free_vgpr 1
		.amdhsa_next_free_sgpr 0
		.amdhsa_accum_offset 4
		.amdhsa_reserve_vcc 0
		.amdhsa_reserve_flat_scratch 0
		.amdhsa_float_round_mode_32 0
		.amdhsa_float_round_mode_16_64 0
		.amdhsa_float_denorm_mode_32 3
		.amdhsa_float_denorm_mode_16_64 3
		.amdhsa_dx10_clamp 1
		.amdhsa_ieee_mode 1
		.amdhsa_fp16_overflow 0
		.amdhsa_tg_split 0
		.amdhsa_exception_fp_ieee_invalid_op 0
		.amdhsa_exception_fp_denorm_src 0
		.amdhsa_exception_fp_ieee_div_zero 0
		.amdhsa_exception_fp_ieee_overflow 0
		.amdhsa_exception_fp_ieee_underflow 0
		.amdhsa_exception_fp_ieee_inexact 0
		.amdhsa_exception_int_div_zero 0
	.end_amdhsa_kernel
	.section	.text._ZN7rocprim17ROCPRIM_400000_NS6detail17trampoline_kernelINS0_14default_configENS1_38merge_sort_block_merge_config_selectorIsNS0_10empty_typeEEEZZNS1_27merge_sort_block_merge_implIS3_N6thrust23THRUST_200600_302600_NS6detail15normal_iteratorINS9_10device_ptrIsEEEEPS5_m14custom_greaterIsEEE10hipError_tT0_T1_T2_jT3_P12ihipStream_tbPNSt15iterator_traitsISJ_E10value_typeEPNSP_ISK_E10value_typeEPSL_NS1_7vsmem_tEENKUlT_SJ_SK_SL_E_clIPsSE_SF_SF_EESI_SY_SJ_SK_SL_EUlSY_E0_NS1_11comp_targetILNS1_3genE8ELNS1_11target_archE1030ELNS1_3gpuE2ELNS1_3repE0EEENS1_38merge_mergepath_config_static_selectorELNS0_4arch9wavefront6targetE1EEEvSK_,"axG",@progbits,_ZN7rocprim17ROCPRIM_400000_NS6detail17trampoline_kernelINS0_14default_configENS1_38merge_sort_block_merge_config_selectorIsNS0_10empty_typeEEEZZNS1_27merge_sort_block_merge_implIS3_N6thrust23THRUST_200600_302600_NS6detail15normal_iteratorINS9_10device_ptrIsEEEEPS5_m14custom_greaterIsEEE10hipError_tT0_T1_T2_jT3_P12ihipStream_tbPNSt15iterator_traitsISJ_E10value_typeEPNSP_ISK_E10value_typeEPSL_NS1_7vsmem_tEENKUlT_SJ_SK_SL_E_clIPsSE_SF_SF_EESI_SY_SJ_SK_SL_EUlSY_E0_NS1_11comp_targetILNS1_3genE8ELNS1_11target_archE1030ELNS1_3gpuE2ELNS1_3repE0EEENS1_38merge_mergepath_config_static_selectorELNS0_4arch9wavefront6targetE1EEEvSK_,comdat
.Lfunc_end2952:
	.size	_ZN7rocprim17ROCPRIM_400000_NS6detail17trampoline_kernelINS0_14default_configENS1_38merge_sort_block_merge_config_selectorIsNS0_10empty_typeEEEZZNS1_27merge_sort_block_merge_implIS3_N6thrust23THRUST_200600_302600_NS6detail15normal_iteratorINS9_10device_ptrIsEEEEPS5_m14custom_greaterIsEEE10hipError_tT0_T1_T2_jT3_P12ihipStream_tbPNSt15iterator_traitsISJ_E10value_typeEPNSP_ISK_E10value_typeEPSL_NS1_7vsmem_tEENKUlT_SJ_SK_SL_E_clIPsSE_SF_SF_EESI_SY_SJ_SK_SL_EUlSY_E0_NS1_11comp_targetILNS1_3genE8ELNS1_11target_archE1030ELNS1_3gpuE2ELNS1_3repE0EEENS1_38merge_mergepath_config_static_selectorELNS0_4arch9wavefront6targetE1EEEvSK_, .Lfunc_end2952-_ZN7rocprim17ROCPRIM_400000_NS6detail17trampoline_kernelINS0_14default_configENS1_38merge_sort_block_merge_config_selectorIsNS0_10empty_typeEEEZZNS1_27merge_sort_block_merge_implIS3_N6thrust23THRUST_200600_302600_NS6detail15normal_iteratorINS9_10device_ptrIsEEEEPS5_m14custom_greaterIsEEE10hipError_tT0_T1_T2_jT3_P12ihipStream_tbPNSt15iterator_traitsISJ_E10value_typeEPNSP_ISK_E10value_typeEPSL_NS1_7vsmem_tEENKUlT_SJ_SK_SL_E_clIPsSE_SF_SF_EESI_SY_SJ_SK_SL_EUlSY_E0_NS1_11comp_targetILNS1_3genE8ELNS1_11target_archE1030ELNS1_3gpuE2ELNS1_3repE0EEENS1_38merge_mergepath_config_static_selectorELNS0_4arch9wavefront6targetE1EEEvSK_
                                        ; -- End function
	.section	.AMDGPU.csdata,"",@progbits
; Kernel info:
; codeLenInByte = 0
; NumSgprs: 4
; NumVgprs: 0
; NumAgprs: 0
; TotalNumVgprs: 0
; ScratchSize: 0
; MemoryBound: 0
; FloatMode: 240
; IeeeMode: 1
; LDSByteSize: 0 bytes/workgroup (compile time only)
; SGPRBlocks: 0
; VGPRBlocks: 0
; NumSGPRsForWavesPerEU: 4
; NumVGPRsForWavesPerEU: 1
; AccumOffset: 4
; Occupancy: 8
; WaveLimiterHint : 0
; COMPUTE_PGM_RSRC2:SCRATCH_EN: 0
; COMPUTE_PGM_RSRC2:USER_SGPR: 6
; COMPUTE_PGM_RSRC2:TRAP_HANDLER: 0
; COMPUTE_PGM_RSRC2:TGID_X_EN: 1
; COMPUTE_PGM_RSRC2:TGID_Y_EN: 0
; COMPUTE_PGM_RSRC2:TGID_Z_EN: 0
; COMPUTE_PGM_RSRC2:TIDIG_COMP_CNT: 0
; COMPUTE_PGM_RSRC3_GFX90A:ACCUM_OFFSET: 0
; COMPUTE_PGM_RSRC3_GFX90A:TG_SPLIT: 0
	.section	.text._ZN7rocprim17ROCPRIM_400000_NS6detail17trampoline_kernelINS0_14default_configENS1_38merge_sort_block_merge_config_selectorIsNS0_10empty_typeEEEZZNS1_27merge_sort_block_merge_implIS3_N6thrust23THRUST_200600_302600_NS6detail15normal_iteratorINS9_10device_ptrIsEEEEPS5_m14custom_greaterIsEEE10hipError_tT0_T1_T2_jT3_P12ihipStream_tbPNSt15iterator_traitsISJ_E10value_typeEPNSP_ISK_E10value_typeEPSL_NS1_7vsmem_tEENKUlT_SJ_SK_SL_E_clIPsSE_SF_SF_EESI_SY_SJ_SK_SL_EUlSY_E1_NS1_11comp_targetILNS1_3genE0ELNS1_11target_archE4294967295ELNS1_3gpuE0ELNS1_3repE0EEENS1_36merge_oddeven_config_static_selectorELNS0_4arch9wavefront6targetE1EEEvSK_,"axG",@progbits,_ZN7rocprim17ROCPRIM_400000_NS6detail17trampoline_kernelINS0_14default_configENS1_38merge_sort_block_merge_config_selectorIsNS0_10empty_typeEEEZZNS1_27merge_sort_block_merge_implIS3_N6thrust23THRUST_200600_302600_NS6detail15normal_iteratorINS9_10device_ptrIsEEEEPS5_m14custom_greaterIsEEE10hipError_tT0_T1_T2_jT3_P12ihipStream_tbPNSt15iterator_traitsISJ_E10value_typeEPNSP_ISK_E10value_typeEPSL_NS1_7vsmem_tEENKUlT_SJ_SK_SL_E_clIPsSE_SF_SF_EESI_SY_SJ_SK_SL_EUlSY_E1_NS1_11comp_targetILNS1_3genE0ELNS1_11target_archE4294967295ELNS1_3gpuE0ELNS1_3repE0EEENS1_36merge_oddeven_config_static_selectorELNS0_4arch9wavefront6targetE1EEEvSK_,comdat
	.protected	_ZN7rocprim17ROCPRIM_400000_NS6detail17trampoline_kernelINS0_14default_configENS1_38merge_sort_block_merge_config_selectorIsNS0_10empty_typeEEEZZNS1_27merge_sort_block_merge_implIS3_N6thrust23THRUST_200600_302600_NS6detail15normal_iteratorINS9_10device_ptrIsEEEEPS5_m14custom_greaterIsEEE10hipError_tT0_T1_T2_jT3_P12ihipStream_tbPNSt15iterator_traitsISJ_E10value_typeEPNSP_ISK_E10value_typeEPSL_NS1_7vsmem_tEENKUlT_SJ_SK_SL_E_clIPsSE_SF_SF_EESI_SY_SJ_SK_SL_EUlSY_E1_NS1_11comp_targetILNS1_3genE0ELNS1_11target_archE4294967295ELNS1_3gpuE0ELNS1_3repE0EEENS1_36merge_oddeven_config_static_selectorELNS0_4arch9wavefront6targetE1EEEvSK_ ; -- Begin function _ZN7rocprim17ROCPRIM_400000_NS6detail17trampoline_kernelINS0_14default_configENS1_38merge_sort_block_merge_config_selectorIsNS0_10empty_typeEEEZZNS1_27merge_sort_block_merge_implIS3_N6thrust23THRUST_200600_302600_NS6detail15normal_iteratorINS9_10device_ptrIsEEEEPS5_m14custom_greaterIsEEE10hipError_tT0_T1_T2_jT3_P12ihipStream_tbPNSt15iterator_traitsISJ_E10value_typeEPNSP_ISK_E10value_typeEPSL_NS1_7vsmem_tEENKUlT_SJ_SK_SL_E_clIPsSE_SF_SF_EESI_SY_SJ_SK_SL_EUlSY_E1_NS1_11comp_targetILNS1_3genE0ELNS1_11target_archE4294967295ELNS1_3gpuE0ELNS1_3repE0EEENS1_36merge_oddeven_config_static_selectorELNS0_4arch9wavefront6targetE1EEEvSK_
	.globl	_ZN7rocprim17ROCPRIM_400000_NS6detail17trampoline_kernelINS0_14default_configENS1_38merge_sort_block_merge_config_selectorIsNS0_10empty_typeEEEZZNS1_27merge_sort_block_merge_implIS3_N6thrust23THRUST_200600_302600_NS6detail15normal_iteratorINS9_10device_ptrIsEEEEPS5_m14custom_greaterIsEEE10hipError_tT0_T1_T2_jT3_P12ihipStream_tbPNSt15iterator_traitsISJ_E10value_typeEPNSP_ISK_E10value_typeEPSL_NS1_7vsmem_tEENKUlT_SJ_SK_SL_E_clIPsSE_SF_SF_EESI_SY_SJ_SK_SL_EUlSY_E1_NS1_11comp_targetILNS1_3genE0ELNS1_11target_archE4294967295ELNS1_3gpuE0ELNS1_3repE0EEENS1_36merge_oddeven_config_static_selectorELNS0_4arch9wavefront6targetE1EEEvSK_
	.p2align	8
	.type	_ZN7rocprim17ROCPRIM_400000_NS6detail17trampoline_kernelINS0_14default_configENS1_38merge_sort_block_merge_config_selectorIsNS0_10empty_typeEEEZZNS1_27merge_sort_block_merge_implIS3_N6thrust23THRUST_200600_302600_NS6detail15normal_iteratorINS9_10device_ptrIsEEEEPS5_m14custom_greaterIsEEE10hipError_tT0_T1_T2_jT3_P12ihipStream_tbPNSt15iterator_traitsISJ_E10value_typeEPNSP_ISK_E10value_typeEPSL_NS1_7vsmem_tEENKUlT_SJ_SK_SL_E_clIPsSE_SF_SF_EESI_SY_SJ_SK_SL_EUlSY_E1_NS1_11comp_targetILNS1_3genE0ELNS1_11target_archE4294967295ELNS1_3gpuE0ELNS1_3repE0EEENS1_36merge_oddeven_config_static_selectorELNS0_4arch9wavefront6targetE1EEEvSK_,@function
_ZN7rocprim17ROCPRIM_400000_NS6detail17trampoline_kernelINS0_14default_configENS1_38merge_sort_block_merge_config_selectorIsNS0_10empty_typeEEEZZNS1_27merge_sort_block_merge_implIS3_N6thrust23THRUST_200600_302600_NS6detail15normal_iteratorINS9_10device_ptrIsEEEEPS5_m14custom_greaterIsEEE10hipError_tT0_T1_T2_jT3_P12ihipStream_tbPNSt15iterator_traitsISJ_E10value_typeEPNSP_ISK_E10value_typeEPSL_NS1_7vsmem_tEENKUlT_SJ_SK_SL_E_clIPsSE_SF_SF_EESI_SY_SJ_SK_SL_EUlSY_E1_NS1_11comp_targetILNS1_3genE0ELNS1_11target_archE4294967295ELNS1_3gpuE0ELNS1_3repE0EEENS1_36merge_oddeven_config_static_selectorELNS0_4arch9wavefront6targetE1EEEvSK_: ; @_ZN7rocprim17ROCPRIM_400000_NS6detail17trampoline_kernelINS0_14default_configENS1_38merge_sort_block_merge_config_selectorIsNS0_10empty_typeEEEZZNS1_27merge_sort_block_merge_implIS3_N6thrust23THRUST_200600_302600_NS6detail15normal_iteratorINS9_10device_ptrIsEEEEPS5_m14custom_greaterIsEEE10hipError_tT0_T1_T2_jT3_P12ihipStream_tbPNSt15iterator_traitsISJ_E10value_typeEPNSP_ISK_E10value_typeEPSL_NS1_7vsmem_tEENKUlT_SJ_SK_SL_E_clIPsSE_SF_SF_EESI_SY_SJ_SK_SL_EUlSY_E1_NS1_11comp_targetILNS1_3genE0ELNS1_11target_archE4294967295ELNS1_3gpuE0ELNS1_3repE0EEENS1_36merge_oddeven_config_static_selectorELNS0_4arch9wavefront6targetE1EEEvSK_
; %bb.0:
	.section	.rodata,"a",@progbits
	.p2align	6, 0x0
	.amdhsa_kernel _ZN7rocprim17ROCPRIM_400000_NS6detail17trampoline_kernelINS0_14default_configENS1_38merge_sort_block_merge_config_selectorIsNS0_10empty_typeEEEZZNS1_27merge_sort_block_merge_implIS3_N6thrust23THRUST_200600_302600_NS6detail15normal_iteratorINS9_10device_ptrIsEEEEPS5_m14custom_greaterIsEEE10hipError_tT0_T1_T2_jT3_P12ihipStream_tbPNSt15iterator_traitsISJ_E10value_typeEPNSP_ISK_E10value_typeEPSL_NS1_7vsmem_tEENKUlT_SJ_SK_SL_E_clIPsSE_SF_SF_EESI_SY_SJ_SK_SL_EUlSY_E1_NS1_11comp_targetILNS1_3genE0ELNS1_11target_archE4294967295ELNS1_3gpuE0ELNS1_3repE0EEENS1_36merge_oddeven_config_static_selectorELNS0_4arch9wavefront6targetE1EEEvSK_
		.amdhsa_group_segment_fixed_size 0
		.amdhsa_private_segment_fixed_size 0
		.amdhsa_kernarg_size 56
		.amdhsa_user_sgpr_count 6
		.amdhsa_user_sgpr_private_segment_buffer 1
		.amdhsa_user_sgpr_dispatch_ptr 0
		.amdhsa_user_sgpr_queue_ptr 0
		.amdhsa_user_sgpr_kernarg_segment_ptr 1
		.amdhsa_user_sgpr_dispatch_id 0
		.amdhsa_user_sgpr_flat_scratch_init 0
		.amdhsa_user_sgpr_kernarg_preload_length 0
		.amdhsa_user_sgpr_kernarg_preload_offset 0
		.amdhsa_user_sgpr_private_segment_size 0
		.amdhsa_uses_dynamic_stack 0
		.amdhsa_system_sgpr_private_segment_wavefront_offset 0
		.amdhsa_system_sgpr_workgroup_id_x 1
		.amdhsa_system_sgpr_workgroup_id_y 0
		.amdhsa_system_sgpr_workgroup_id_z 0
		.amdhsa_system_sgpr_workgroup_info 0
		.amdhsa_system_vgpr_workitem_id 0
		.amdhsa_next_free_vgpr 1
		.amdhsa_next_free_sgpr 0
		.amdhsa_accum_offset 4
		.amdhsa_reserve_vcc 0
		.amdhsa_reserve_flat_scratch 0
		.amdhsa_float_round_mode_32 0
		.amdhsa_float_round_mode_16_64 0
		.amdhsa_float_denorm_mode_32 3
		.amdhsa_float_denorm_mode_16_64 3
		.amdhsa_dx10_clamp 1
		.amdhsa_ieee_mode 1
		.amdhsa_fp16_overflow 0
		.amdhsa_tg_split 0
		.amdhsa_exception_fp_ieee_invalid_op 0
		.amdhsa_exception_fp_denorm_src 0
		.amdhsa_exception_fp_ieee_div_zero 0
		.amdhsa_exception_fp_ieee_overflow 0
		.amdhsa_exception_fp_ieee_underflow 0
		.amdhsa_exception_fp_ieee_inexact 0
		.amdhsa_exception_int_div_zero 0
	.end_amdhsa_kernel
	.section	.text._ZN7rocprim17ROCPRIM_400000_NS6detail17trampoline_kernelINS0_14default_configENS1_38merge_sort_block_merge_config_selectorIsNS0_10empty_typeEEEZZNS1_27merge_sort_block_merge_implIS3_N6thrust23THRUST_200600_302600_NS6detail15normal_iteratorINS9_10device_ptrIsEEEEPS5_m14custom_greaterIsEEE10hipError_tT0_T1_T2_jT3_P12ihipStream_tbPNSt15iterator_traitsISJ_E10value_typeEPNSP_ISK_E10value_typeEPSL_NS1_7vsmem_tEENKUlT_SJ_SK_SL_E_clIPsSE_SF_SF_EESI_SY_SJ_SK_SL_EUlSY_E1_NS1_11comp_targetILNS1_3genE0ELNS1_11target_archE4294967295ELNS1_3gpuE0ELNS1_3repE0EEENS1_36merge_oddeven_config_static_selectorELNS0_4arch9wavefront6targetE1EEEvSK_,"axG",@progbits,_ZN7rocprim17ROCPRIM_400000_NS6detail17trampoline_kernelINS0_14default_configENS1_38merge_sort_block_merge_config_selectorIsNS0_10empty_typeEEEZZNS1_27merge_sort_block_merge_implIS3_N6thrust23THRUST_200600_302600_NS6detail15normal_iteratorINS9_10device_ptrIsEEEEPS5_m14custom_greaterIsEEE10hipError_tT0_T1_T2_jT3_P12ihipStream_tbPNSt15iterator_traitsISJ_E10value_typeEPNSP_ISK_E10value_typeEPSL_NS1_7vsmem_tEENKUlT_SJ_SK_SL_E_clIPsSE_SF_SF_EESI_SY_SJ_SK_SL_EUlSY_E1_NS1_11comp_targetILNS1_3genE0ELNS1_11target_archE4294967295ELNS1_3gpuE0ELNS1_3repE0EEENS1_36merge_oddeven_config_static_selectorELNS0_4arch9wavefront6targetE1EEEvSK_,comdat
.Lfunc_end2953:
	.size	_ZN7rocprim17ROCPRIM_400000_NS6detail17trampoline_kernelINS0_14default_configENS1_38merge_sort_block_merge_config_selectorIsNS0_10empty_typeEEEZZNS1_27merge_sort_block_merge_implIS3_N6thrust23THRUST_200600_302600_NS6detail15normal_iteratorINS9_10device_ptrIsEEEEPS5_m14custom_greaterIsEEE10hipError_tT0_T1_T2_jT3_P12ihipStream_tbPNSt15iterator_traitsISJ_E10value_typeEPNSP_ISK_E10value_typeEPSL_NS1_7vsmem_tEENKUlT_SJ_SK_SL_E_clIPsSE_SF_SF_EESI_SY_SJ_SK_SL_EUlSY_E1_NS1_11comp_targetILNS1_3genE0ELNS1_11target_archE4294967295ELNS1_3gpuE0ELNS1_3repE0EEENS1_36merge_oddeven_config_static_selectorELNS0_4arch9wavefront6targetE1EEEvSK_, .Lfunc_end2953-_ZN7rocprim17ROCPRIM_400000_NS6detail17trampoline_kernelINS0_14default_configENS1_38merge_sort_block_merge_config_selectorIsNS0_10empty_typeEEEZZNS1_27merge_sort_block_merge_implIS3_N6thrust23THRUST_200600_302600_NS6detail15normal_iteratorINS9_10device_ptrIsEEEEPS5_m14custom_greaterIsEEE10hipError_tT0_T1_T2_jT3_P12ihipStream_tbPNSt15iterator_traitsISJ_E10value_typeEPNSP_ISK_E10value_typeEPSL_NS1_7vsmem_tEENKUlT_SJ_SK_SL_E_clIPsSE_SF_SF_EESI_SY_SJ_SK_SL_EUlSY_E1_NS1_11comp_targetILNS1_3genE0ELNS1_11target_archE4294967295ELNS1_3gpuE0ELNS1_3repE0EEENS1_36merge_oddeven_config_static_selectorELNS0_4arch9wavefront6targetE1EEEvSK_
                                        ; -- End function
	.section	.AMDGPU.csdata,"",@progbits
; Kernel info:
; codeLenInByte = 0
; NumSgprs: 4
; NumVgprs: 0
; NumAgprs: 0
; TotalNumVgprs: 0
; ScratchSize: 0
; MemoryBound: 0
; FloatMode: 240
; IeeeMode: 1
; LDSByteSize: 0 bytes/workgroup (compile time only)
; SGPRBlocks: 0
; VGPRBlocks: 0
; NumSGPRsForWavesPerEU: 4
; NumVGPRsForWavesPerEU: 1
; AccumOffset: 4
; Occupancy: 8
; WaveLimiterHint : 0
; COMPUTE_PGM_RSRC2:SCRATCH_EN: 0
; COMPUTE_PGM_RSRC2:USER_SGPR: 6
; COMPUTE_PGM_RSRC2:TRAP_HANDLER: 0
; COMPUTE_PGM_RSRC2:TGID_X_EN: 1
; COMPUTE_PGM_RSRC2:TGID_Y_EN: 0
; COMPUTE_PGM_RSRC2:TGID_Z_EN: 0
; COMPUTE_PGM_RSRC2:TIDIG_COMP_CNT: 0
; COMPUTE_PGM_RSRC3_GFX90A:ACCUM_OFFSET: 0
; COMPUTE_PGM_RSRC3_GFX90A:TG_SPLIT: 0
	.section	.text._ZN7rocprim17ROCPRIM_400000_NS6detail17trampoline_kernelINS0_14default_configENS1_38merge_sort_block_merge_config_selectorIsNS0_10empty_typeEEEZZNS1_27merge_sort_block_merge_implIS3_N6thrust23THRUST_200600_302600_NS6detail15normal_iteratorINS9_10device_ptrIsEEEEPS5_m14custom_greaterIsEEE10hipError_tT0_T1_T2_jT3_P12ihipStream_tbPNSt15iterator_traitsISJ_E10value_typeEPNSP_ISK_E10value_typeEPSL_NS1_7vsmem_tEENKUlT_SJ_SK_SL_E_clIPsSE_SF_SF_EESI_SY_SJ_SK_SL_EUlSY_E1_NS1_11comp_targetILNS1_3genE10ELNS1_11target_archE1201ELNS1_3gpuE5ELNS1_3repE0EEENS1_36merge_oddeven_config_static_selectorELNS0_4arch9wavefront6targetE1EEEvSK_,"axG",@progbits,_ZN7rocprim17ROCPRIM_400000_NS6detail17trampoline_kernelINS0_14default_configENS1_38merge_sort_block_merge_config_selectorIsNS0_10empty_typeEEEZZNS1_27merge_sort_block_merge_implIS3_N6thrust23THRUST_200600_302600_NS6detail15normal_iteratorINS9_10device_ptrIsEEEEPS5_m14custom_greaterIsEEE10hipError_tT0_T1_T2_jT3_P12ihipStream_tbPNSt15iterator_traitsISJ_E10value_typeEPNSP_ISK_E10value_typeEPSL_NS1_7vsmem_tEENKUlT_SJ_SK_SL_E_clIPsSE_SF_SF_EESI_SY_SJ_SK_SL_EUlSY_E1_NS1_11comp_targetILNS1_3genE10ELNS1_11target_archE1201ELNS1_3gpuE5ELNS1_3repE0EEENS1_36merge_oddeven_config_static_selectorELNS0_4arch9wavefront6targetE1EEEvSK_,comdat
	.protected	_ZN7rocprim17ROCPRIM_400000_NS6detail17trampoline_kernelINS0_14default_configENS1_38merge_sort_block_merge_config_selectorIsNS0_10empty_typeEEEZZNS1_27merge_sort_block_merge_implIS3_N6thrust23THRUST_200600_302600_NS6detail15normal_iteratorINS9_10device_ptrIsEEEEPS5_m14custom_greaterIsEEE10hipError_tT0_T1_T2_jT3_P12ihipStream_tbPNSt15iterator_traitsISJ_E10value_typeEPNSP_ISK_E10value_typeEPSL_NS1_7vsmem_tEENKUlT_SJ_SK_SL_E_clIPsSE_SF_SF_EESI_SY_SJ_SK_SL_EUlSY_E1_NS1_11comp_targetILNS1_3genE10ELNS1_11target_archE1201ELNS1_3gpuE5ELNS1_3repE0EEENS1_36merge_oddeven_config_static_selectorELNS0_4arch9wavefront6targetE1EEEvSK_ ; -- Begin function _ZN7rocprim17ROCPRIM_400000_NS6detail17trampoline_kernelINS0_14default_configENS1_38merge_sort_block_merge_config_selectorIsNS0_10empty_typeEEEZZNS1_27merge_sort_block_merge_implIS3_N6thrust23THRUST_200600_302600_NS6detail15normal_iteratorINS9_10device_ptrIsEEEEPS5_m14custom_greaterIsEEE10hipError_tT0_T1_T2_jT3_P12ihipStream_tbPNSt15iterator_traitsISJ_E10value_typeEPNSP_ISK_E10value_typeEPSL_NS1_7vsmem_tEENKUlT_SJ_SK_SL_E_clIPsSE_SF_SF_EESI_SY_SJ_SK_SL_EUlSY_E1_NS1_11comp_targetILNS1_3genE10ELNS1_11target_archE1201ELNS1_3gpuE5ELNS1_3repE0EEENS1_36merge_oddeven_config_static_selectorELNS0_4arch9wavefront6targetE1EEEvSK_
	.globl	_ZN7rocprim17ROCPRIM_400000_NS6detail17trampoline_kernelINS0_14default_configENS1_38merge_sort_block_merge_config_selectorIsNS0_10empty_typeEEEZZNS1_27merge_sort_block_merge_implIS3_N6thrust23THRUST_200600_302600_NS6detail15normal_iteratorINS9_10device_ptrIsEEEEPS5_m14custom_greaterIsEEE10hipError_tT0_T1_T2_jT3_P12ihipStream_tbPNSt15iterator_traitsISJ_E10value_typeEPNSP_ISK_E10value_typeEPSL_NS1_7vsmem_tEENKUlT_SJ_SK_SL_E_clIPsSE_SF_SF_EESI_SY_SJ_SK_SL_EUlSY_E1_NS1_11comp_targetILNS1_3genE10ELNS1_11target_archE1201ELNS1_3gpuE5ELNS1_3repE0EEENS1_36merge_oddeven_config_static_selectorELNS0_4arch9wavefront6targetE1EEEvSK_
	.p2align	8
	.type	_ZN7rocprim17ROCPRIM_400000_NS6detail17trampoline_kernelINS0_14default_configENS1_38merge_sort_block_merge_config_selectorIsNS0_10empty_typeEEEZZNS1_27merge_sort_block_merge_implIS3_N6thrust23THRUST_200600_302600_NS6detail15normal_iteratorINS9_10device_ptrIsEEEEPS5_m14custom_greaterIsEEE10hipError_tT0_T1_T2_jT3_P12ihipStream_tbPNSt15iterator_traitsISJ_E10value_typeEPNSP_ISK_E10value_typeEPSL_NS1_7vsmem_tEENKUlT_SJ_SK_SL_E_clIPsSE_SF_SF_EESI_SY_SJ_SK_SL_EUlSY_E1_NS1_11comp_targetILNS1_3genE10ELNS1_11target_archE1201ELNS1_3gpuE5ELNS1_3repE0EEENS1_36merge_oddeven_config_static_selectorELNS0_4arch9wavefront6targetE1EEEvSK_,@function
_ZN7rocprim17ROCPRIM_400000_NS6detail17trampoline_kernelINS0_14default_configENS1_38merge_sort_block_merge_config_selectorIsNS0_10empty_typeEEEZZNS1_27merge_sort_block_merge_implIS3_N6thrust23THRUST_200600_302600_NS6detail15normal_iteratorINS9_10device_ptrIsEEEEPS5_m14custom_greaterIsEEE10hipError_tT0_T1_T2_jT3_P12ihipStream_tbPNSt15iterator_traitsISJ_E10value_typeEPNSP_ISK_E10value_typeEPSL_NS1_7vsmem_tEENKUlT_SJ_SK_SL_E_clIPsSE_SF_SF_EESI_SY_SJ_SK_SL_EUlSY_E1_NS1_11comp_targetILNS1_3genE10ELNS1_11target_archE1201ELNS1_3gpuE5ELNS1_3repE0EEENS1_36merge_oddeven_config_static_selectorELNS0_4arch9wavefront6targetE1EEEvSK_: ; @_ZN7rocprim17ROCPRIM_400000_NS6detail17trampoline_kernelINS0_14default_configENS1_38merge_sort_block_merge_config_selectorIsNS0_10empty_typeEEEZZNS1_27merge_sort_block_merge_implIS3_N6thrust23THRUST_200600_302600_NS6detail15normal_iteratorINS9_10device_ptrIsEEEEPS5_m14custom_greaterIsEEE10hipError_tT0_T1_T2_jT3_P12ihipStream_tbPNSt15iterator_traitsISJ_E10value_typeEPNSP_ISK_E10value_typeEPSL_NS1_7vsmem_tEENKUlT_SJ_SK_SL_E_clIPsSE_SF_SF_EESI_SY_SJ_SK_SL_EUlSY_E1_NS1_11comp_targetILNS1_3genE10ELNS1_11target_archE1201ELNS1_3gpuE5ELNS1_3repE0EEENS1_36merge_oddeven_config_static_selectorELNS0_4arch9wavefront6targetE1EEEvSK_
; %bb.0:
	.section	.rodata,"a",@progbits
	.p2align	6, 0x0
	.amdhsa_kernel _ZN7rocprim17ROCPRIM_400000_NS6detail17trampoline_kernelINS0_14default_configENS1_38merge_sort_block_merge_config_selectorIsNS0_10empty_typeEEEZZNS1_27merge_sort_block_merge_implIS3_N6thrust23THRUST_200600_302600_NS6detail15normal_iteratorINS9_10device_ptrIsEEEEPS5_m14custom_greaterIsEEE10hipError_tT0_T1_T2_jT3_P12ihipStream_tbPNSt15iterator_traitsISJ_E10value_typeEPNSP_ISK_E10value_typeEPSL_NS1_7vsmem_tEENKUlT_SJ_SK_SL_E_clIPsSE_SF_SF_EESI_SY_SJ_SK_SL_EUlSY_E1_NS1_11comp_targetILNS1_3genE10ELNS1_11target_archE1201ELNS1_3gpuE5ELNS1_3repE0EEENS1_36merge_oddeven_config_static_selectorELNS0_4arch9wavefront6targetE1EEEvSK_
		.amdhsa_group_segment_fixed_size 0
		.amdhsa_private_segment_fixed_size 0
		.amdhsa_kernarg_size 56
		.amdhsa_user_sgpr_count 6
		.amdhsa_user_sgpr_private_segment_buffer 1
		.amdhsa_user_sgpr_dispatch_ptr 0
		.amdhsa_user_sgpr_queue_ptr 0
		.amdhsa_user_sgpr_kernarg_segment_ptr 1
		.amdhsa_user_sgpr_dispatch_id 0
		.amdhsa_user_sgpr_flat_scratch_init 0
		.amdhsa_user_sgpr_kernarg_preload_length 0
		.amdhsa_user_sgpr_kernarg_preload_offset 0
		.amdhsa_user_sgpr_private_segment_size 0
		.amdhsa_uses_dynamic_stack 0
		.amdhsa_system_sgpr_private_segment_wavefront_offset 0
		.amdhsa_system_sgpr_workgroup_id_x 1
		.amdhsa_system_sgpr_workgroup_id_y 0
		.amdhsa_system_sgpr_workgroup_id_z 0
		.amdhsa_system_sgpr_workgroup_info 0
		.amdhsa_system_vgpr_workitem_id 0
		.amdhsa_next_free_vgpr 1
		.amdhsa_next_free_sgpr 0
		.amdhsa_accum_offset 4
		.amdhsa_reserve_vcc 0
		.amdhsa_reserve_flat_scratch 0
		.amdhsa_float_round_mode_32 0
		.amdhsa_float_round_mode_16_64 0
		.amdhsa_float_denorm_mode_32 3
		.amdhsa_float_denorm_mode_16_64 3
		.amdhsa_dx10_clamp 1
		.amdhsa_ieee_mode 1
		.amdhsa_fp16_overflow 0
		.amdhsa_tg_split 0
		.amdhsa_exception_fp_ieee_invalid_op 0
		.amdhsa_exception_fp_denorm_src 0
		.amdhsa_exception_fp_ieee_div_zero 0
		.amdhsa_exception_fp_ieee_overflow 0
		.amdhsa_exception_fp_ieee_underflow 0
		.amdhsa_exception_fp_ieee_inexact 0
		.amdhsa_exception_int_div_zero 0
	.end_amdhsa_kernel
	.section	.text._ZN7rocprim17ROCPRIM_400000_NS6detail17trampoline_kernelINS0_14default_configENS1_38merge_sort_block_merge_config_selectorIsNS0_10empty_typeEEEZZNS1_27merge_sort_block_merge_implIS3_N6thrust23THRUST_200600_302600_NS6detail15normal_iteratorINS9_10device_ptrIsEEEEPS5_m14custom_greaterIsEEE10hipError_tT0_T1_T2_jT3_P12ihipStream_tbPNSt15iterator_traitsISJ_E10value_typeEPNSP_ISK_E10value_typeEPSL_NS1_7vsmem_tEENKUlT_SJ_SK_SL_E_clIPsSE_SF_SF_EESI_SY_SJ_SK_SL_EUlSY_E1_NS1_11comp_targetILNS1_3genE10ELNS1_11target_archE1201ELNS1_3gpuE5ELNS1_3repE0EEENS1_36merge_oddeven_config_static_selectorELNS0_4arch9wavefront6targetE1EEEvSK_,"axG",@progbits,_ZN7rocprim17ROCPRIM_400000_NS6detail17trampoline_kernelINS0_14default_configENS1_38merge_sort_block_merge_config_selectorIsNS0_10empty_typeEEEZZNS1_27merge_sort_block_merge_implIS3_N6thrust23THRUST_200600_302600_NS6detail15normal_iteratorINS9_10device_ptrIsEEEEPS5_m14custom_greaterIsEEE10hipError_tT0_T1_T2_jT3_P12ihipStream_tbPNSt15iterator_traitsISJ_E10value_typeEPNSP_ISK_E10value_typeEPSL_NS1_7vsmem_tEENKUlT_SJ_SK_SL_E_clIPsSE_SF_SF_EESI_SY_SJ_SK_SL_EUlSY_E1_NS1_11comp_targetILNS1_3genE10ELNS1_11target_archE1201ELNS1_3gpuE5ELNS1_3repE0EEENS1_36merge_oddeven_config_static_selectorELNS0_4arch9wavefront6targetE1EEEvSK_,comdat
.Lfunc_end2954:
	.size	_ZN7rocprim17ROCPRIM_400000_NS6detail17trampoline_kernelINS0_14default_configENS1_38merge_sort_block_merge_config_selectorIsNS0_10empty_typeEEEZZNS1_27merge_sort_block_merge_implIS3_N6thrust23THRUST_200600_302600_NS6detail15normal_iteratorINS9_10device_ptrIsEEEEPS5_m14custom_greaterIsEEE10hipError_tT0_T1_T2_jT3_P12ihipStream_tbPNSt15iterator_traitsISJ_E10value_typeEPNSP_ISK_E10value_typeEPSL_NS1_7vsmem_tEENKUlT_SJ_SK_SL_E_clIPsSE_SF_SF_EESI_SY_SJ_SK_SL_EUlSY_E1_NS1_11comp_targetILNS1_3genE10ELNS1_11target_archE1201ELNS1_3gpuE5ELNS1_3repE0EEENS1_36merge_oddeven_config_static_selectorELNS0_4arch9wavefront6targetE1EEEvSK_, .Lfunc_end2954-_ZN7rocprim17ROCPRIM_400000_NS6detail17trampoline_kernelINS0_14default_configENS1_38merge_sort_block_merge_config_selectorIsNS0_10empty_typeEEEZZNS1_27merge_sort_block_merge_implIS3_N6thrust23THRUST_200600_302600_NS6detail15normal_iteratorINS9_10device_ptrIsEEEEPS5_m14custom_greaterIsEEE10hipError_tT0_T1_T2_jT3_P12ihipStream_tbPNSt15iterator_traitsISJ_E10value_typeEPNSP_ISK_E10value_typeEPSL_NS1_7vsmem_tEENKUlT_SJ_SK_SL_E_clIPsSE_SF_SF_EESI_SY_SJ_SK_SL_EUlSY_E1_NS1_11comp_targetILNS1_3genE10ELNS1_11target_archE1201ELNS1_3gpuE5ELNS1_3repE0EEENS1_36merge_oddeven_config_static_selectorELNS0_4arch9wavefront6targetE1EEEvSK_
                                        ; -- End function
	.section	.AMDGPU.csdata,"",@progbits
; Kernel info:
; codeLenInByte = 0
; NumSgprs: 4
; NumVgprs: 0
; NumAgprs: 0
; TotalNumVgprs: 0
; ScratchSize: 0
; MemoryBound: 0
; FloatMode: 240
; IeeeMode: 1
; LDSByteSize: 0 bytes/workgroup (compile time only)
; SGPRBlocks: 0
; VGPRBlocks: 0
; NumSGPRsForWavesPerEU: 4
; NumVGPRsForWavesPerEU: 1
; AccumOffset: 4
; Occupancy: 8
; WaveLimiterHint : 0
; COMPUTE_PGM_RSRC2:SCRATCH_EN: 0
; COMPUTE_PGM_RSRC2:USER_SGPR: 6
; COMPUTE_PGM_RSRC2:TRAP_HANDLER: 0
; COMPUTE_PGM_RSRC2:TGID_X_EN: 1
; COMPUTE_PGM_RSRC2:TGID_Y_EN: 0
; COMPUTE_PGM_RSRC2:TGID_Z_EN: 0
; COMPUTE_PGM_RSRC2:TIDIG_COMP_CNT: 0
; COMPUTE_PGM_RSRC3_GFX90A:ACCUM_OFFSET: 0
; COMPUTE_PGM_RSRC3_GFX90A:TG_SPLIT: 0
	.section	.text._ZN7rocprim17ROCPRIM_400000_NS6detail17trampoline_kernelINS0_14default_configENS1_38merge_sort_block_merge_config_selectorIsNS0_10empty_typeEEEZZNS1_27merge_sort_block_merge_implIS3_N6thrust23THRUST_200600_302600_NS6detail15normal_iteratorINS9_10device_ptrIsEEEEPS5_m14custom_greaterIsEEE10hipError_tT0_T1_T2_jT3_P12ihipStream_tbPNSt15iterator_traitsISJ_E10value_typeEPNSP_ISK_E10value_typeEPSL_NS1_7vsmem_tEENKUlT_SJ_SK_SL_E_clIPsSE_SF_SF_EESI_SY_SJ_SK_SL_EUlSY_E1_NS1_11comp_targetILNS1_3genE5ELNS1_11target_archE942ELNS1_3gpuE9ELNS1_3repE0EEENS1_36merge_oddeven_config_static_selectorELNS0_4arch9wavefront6targetE1EEEvSK_,"axG",@progbits,_ZN7rocprim17ROCPRIM_400000_NS6detail17trampoline_kernelINS0_14default_configENS1_38merge_sort_block_merge_config_selectorIsNS0_10empty_typeEEEZZNS1_27merge_sort_block_merge_implIS3_N6thrust23THRUST_200600_302600_NS6detail15normal_iteratorINS9_10device_ptrIsEEEEPS5_m14custom_greaterIsEEE10hipError_tT0_T1_T2_jT3_P12ihipStream_tbPNSt15iterator_traitsISJ_E10value_typeEPNSP_ISK_E10value_typeEPSL_NS1_7vsmem_tEENKUlT_SJ_SK_SL_E_clIPsSE_SF_SF_EESI_SY_SJ_SK_SL_EUlSY_E1_NS1_11comp_targetILNS1_3genE5ELNS1_11target_archE942ELNS1_3gpuE9ELNS1_3repE0EEENS1_36merge_oddeven_config_static_selectorELNS0_4arch9wavefront6targetE1EEEvSK_,comdat
	.protected	_ZN7rocprim17ROCPRIM_400000_NS6detail17trampoline_kernelINS0_14default_configENS1_38merge_sort_block_merge_config_selectorIsNS0_10empty_typeEEEZZNS1_27merge_sort_block_merge_implIS3_N6thrust23THRUST_200600_302600_NS6detail15normal_iteratorINS9_10device_ptrIsEEEEPS5_m14custom_greaterIsEEE10hipError_tT0_T1_T2_jT3_P12ihipStream_tbPNSt15iterator_traitsISJ_E10value_typeEPNSP_ISK_E10value_typeEPSL_NS1_7vsmem_tEENKUlT_SJ_SK_SL_E_clIPsSE_SF_SF_EESI_SY_SJ_SK_SL_EUlSY_E1_NS1_11comp_targetILNS1_3genE5ELNS1_11target_archE942ELNS1_3gpuE9ELNS1_3repE0EEENS1_36merge_oddeven_config_static_selectorELNS0_4arch9wavefront6targetE1EEEvSK_ ; -- Begin function _ZN7rocprim17ROCPRIM_400000_NS6detail17trampoline_kernelINS0_14default_configENS1_38merge_sort_block_merge_config_selectorIsNS0_10empty_typeEEEZZNS1_27merge_sort_block_merge_implIS3_N6thrust23THRUST_200600_302600_NS6detail15normal_iteratorINS9_10device_ptrIsEEEEPS5_m14custom_greaterIsEEE10hipError_tT0_T1_T2_jT3_P12ihipStream_tbPNSt15iterator_traitsISJ_E10value_typeEPNSP_ISK_E10value_typeEPSL_NS1_7vsmem_tEENKUlT_SJ_SK_SL_E_clIPsSE_SF_SF_EESI_SY_SJ_SK_SL_EUlSY_E1_NS1_11comp_targetILNS1_3genE5ELNS1_11target_archE942ELNS1_3gpuE9ELNS1_3repE0EEENS1_36merge_oddeven_config_static_selectorELNS0_4arch9wavefront6targetE1EEEvSK_
	.globl	_ZN7rocprim17ROCPRIM_400000_NS6detail17trampoline_kernelINS0_14default_configENS1_38merge_sort_block_merge_config_selectorIsNS0_10empty_typeEEEZZNS1_27merge_sort_block_merge_implIS3_N6thrust23THRUST_200600_302600_NS6detail15normal_iteratorINS9_10device_ptrIsEEEEPS5_m14custom_greaterIsEEE10hipError_tT0_T1_T2_jT3_P12ihipStream_tbPNSt15iterator_traitsISJ_E10value_typeEPNSP_ISK_E10value_typeEPSL_NS1_7vsmem_tEENKUlT_SJ_SK_SL_E_clIPsSE_SF_SF_EESI_SY_SJ_SK_SL_EUlSY_E1_NS1_11comp_targetILNS1_3genE5ELNS1_11target_archE942ELNS1_3gpuE9ELNS1_3repE0EEENS1_36merge_oddeven_config_static_selectorELNS0_4arch9wavefront6targetE1EEEvSK_
	.p2align	8
	.type	_ZN7rocprim17ROCPRIM_400000_NS6detail17trampoline_kernelINS0_14default_configENS1_38merge_sort_block_merge_config_selectorIsNS0_10empty_typeEEEZZNS1_27merge_sort_block_merge_implIS3_N6thrust23THRUST_200600_302600_NS6detail15normal_iteratorINS9_10device_ptrIsEEEEPS5_m14custom_greaterIsEEE10hipError_tT0_T1_T2_jT3_P12ihipStream_tbPNSt15iterator_traitsISJ_E10value_typeEPNSP_ISK_E10value_typeEPSL_NS1_7vsmem_tEENKUlT_SJ_SK_SL_E_clIPsSE_SF_SF_EESI_SY_SJ_SK_SL_EUlSY_E1_NS1_11comp_targetILNS1_3genE5ELNS1_11target_archE942ELNS1_3gpuE9ELNS1_3repE0EEENS1_36merge_oddeven_config_static_selectorELNS0_4arch9wavefront6targetE1EEEvSK_,@function
_ZN7rocprim17ROCPRIM_400000_NS6detail17trampoline_kernelINS0_14default_configENS1_38merge_sort_block_merge_config_selectorIsNS0_10empty_typeEEEZZNS1_27merge_sort_block_merge_implIS3_N6thrust23THRUST_200600_302600_NS6detail15normal_iteratorINS9_10device_ptrIsEEEEPS5_m14custom_greaterIsEEE10hipError_tT0_T1_T2_jT3_P12ihipStream_tbPNSt15iterator_traitsISJ_E10value_typeEPNSP_ISK_E10value_typeEPSL_NS1_7vsmem_tEENKUlT_SJ_SK_SL_E_clIPsSE_SF_SF_EESI_SY_SJ_SK_SL_EUlSY_E1_NS1_11comp_targetILNS1_3genE5ELNS1_11target_archE942ELNS1_3gpuE9ELNS1_3repE0EEENS1_36merge_oddeven_config_static_selectorELNS0_4arch9wavefront6targetE1EEEvSK_: ; @_ZN7rocprim17ROCPRIM_400000_NS6detail17trampoline_kernelINS0_14default_configENS1_38merge_sort_block_merge_config_selectorIsNS0_10empty_typeEEEZZNS1_27merge_sort_block_merge_implIS3_N6thrust23THRUST_200600_302600_NS6detail15normal_iteratorINS9_10device_ptrIsEEEEPS5_m14custom_greaterIsEEE10hipError_tT0_T1_T2_jT3_P12ihipStream_tbPNSt15iterator_traitsISJ_E10value_typeEPNSP_ISK_E10value_typeEPSL_NS1_7vsmem_tEENKUlT_SJ_SK_SL_E_clIPsSE_SF_SF_EESI_SY_SJ_SK_SL_EUlSY_E1_NS1_11comp_targetILNS1_3genE5ELNS1_11target_archE942ELNS1_3gpuE9ELNS1_3repE0EEENS1_36merge_oddeven_config_static_selectorELNS0_4arch9wavefront6targetE1EEEvSK_
; %bb.0:
	.section	.rodata,"a",@progbits
	.p2align	6, 0x0
	.amdhsa_kernel _ZN7rocprim17ROCPRIM_400000_NS6detail17trampoline_kernelINS0_14default_configENS1_38merge_sort_block_merge_config_selectorIsNS0_10empty_typeEEEZZNS1_27merge_sort_block_merge_implIS3_N6thrust23THRUST_200600_302600_NS6detail15normal_iteratorINS9_10device_ptrIsEEEEPS5_m14custom_greaterIsEEE10hipError_tT0_T1_T2_jT3_P12ihipStream_tbPNSt15iterator_traitsISJ_E10value_typeEPNSP_ISK_E10value_typeEPSL_NS1_7vsmem_tEENKUlT_SJ_SK_SL_E_clIPsSE_SF_SF_EESI_SY_SJ_SK_SL_EUlSY_E1_NS1_11comp_targetILNS1_3genE5ELNS1_11target_archE942ELNS1_3gpuE9ELNS1_3repE0EEENS1_36merge_oddeven_config_static_selectorELNS0_4arch9wavefront6targetE1EEEvSK_
		.amdhsa_group_segment_fixed_size 0
		.amdhsa_private_segment_fixed_size 0
		.amdhsa_kernarg_size 56
		.amdhsa_user_sgpr_count 6
		.amdhsa_user_sgpr_private_segment_buffer 1
		.amdhsa_user_sgpr_dispatch_ptr 0
		.amdhsa_user_sgpr_queue_ptr 0
		.amdhsa_user_sgpr_kernarg_segment_ptr 1
		.amdhsa_user_sgpr_dispatch_id 0
		.amdhsa_user_sgpr_flat_scratch_init 0
		.amdhsa_user_sgpr_kernarg_preload_length 0
		.amdhsa_user_sgpr_kernarg_preload_offset 0
		.amdhsa_user_sgpr_private_segment_size 0
		.amdhsa_uses_dynamic_stack 0
		.amdhsa_system_sgpr_private_segment_wavefront_offset 0
		.amdhsa_system_sgpr_workgroup_id_x 1
		.amdhsa_system_sgpr_workgroup_id_y 0
		.amdhsa_system_sgpr_workgroup_id_z 0
		.amdhsa_system_sgpr_workgroup_info 0
		.amdhsa_system_vgpr_workitem_id 0
		.amdhsa_next_free_vgpr 1
		.amdhsa_next_free_sgpr 0
		.amdhsa_accum_offset 4
		.amdhsa_reserve_vcc 0
		.amdhsa_reserve_flat_scratch 0
		.amdhsa_float_round_mode_32 0
		.amdhsa_float_round_mode_16_64 0
		.amdhsa_float_denorm_mode_32 3
		.amdhsa_float_denorm_mode_16_64 3
		.amdhsa_dx10_clamp 1
		.amdhsa_ieee_mode 1
		.amdhsa_fp16_overflow 0
		.amdhsa_tg_split 0
		.amdhsa_exception_fp_ieee_invalid_op 0
		.amdhsa_exception_fp_denorm_src 0
		.amdhsa_exception_fp_ieee_div_zero 0
		.amdhsa_exception_fp_ieee_overflow 0
		.amdhsa_exception_fp_ieee_underflow 0
		.amdhsa_exception_fp_ieee_inexact 0
		.amdhsa_exception_int_div_zero 0
	.end_amdhsa_kernel
	.section	.text._ZN7rocprim17ROCPRIM_400000_NS6detail17trampoline_kernelINS0_14default_configENS1_38merge_sort_block_merge_config_selectorIsNS0_10empty_typeEEEZZNS1_27merge_sort_block_merge_implIS3_N6thrust23THRUST_200600_302600_NS6detail15normal_iteratorINS9_10device_ptrIsEEEEPS5_m14custom_greaterIsEEE10hipError_tT0_T1_T2_jT3_P12ihipStream_tbPNSt15iterator_traitsISJ_E10value_typeEPNSP_ISK_E10value_typeEPSL_NS1_7vsmem_tEENKUlT_SJ_SK_SL_E_clIPsSE_SF_SF_EESI_SY_SJ_SK_SL_EUlSY_E1_NS1_11comp_targetILNS1_3genE5ELNS1_11target_archE942ELNS1_3gpuE9ELNS1_3repE0EEENS1_36merge_oddeven_config_static_selectorELNS0_4arch9wavefront6targetE1EEEvSK_,"axG",@progbits,_ZN7rocprim17ROCPRIM_400000_NS6detail17trampoline_kernelINS0_14default_configENS1_38merge_sort_block_merge_config_selectorIsNS0_10empty_typeEEEZZNS1_27merge_sort_block_merge_implIS3_N6thrust23THRUST_200600_302600_NS6detail15normal_iteratorINS9_10device_ptrIsEEEEPS5_m14custom_greaterIsEEE10hipError_tT0_T1_T2_jT3_P12ihipStream_tbPNSt15iterator_traitsISJ_E10value_typeEPNSP_ISK_E10value_typeEPSL_NS1_7vsmem_tEENKUlT_SJ_SK_SL_E_clIPsSE_SF_SF_EESI_SY_SJ_SK_SL_EUlSY_E1_NS1_11comp_targetILNS1_3genE5ELNS1_11target_archE942ELNS1_3gpuE9ELNS1_3repE0EEENS1_36merge_oddeven_config_static_selectorELNS0_4arch9wavefront6targetE1EEEvSK_,comdat
.Lfunc_end2955:
	.size	_ZN7rocprim17ROCPRIM_400000_NS6detail17trampoline_kernelINS0_14default_configENS1_38merge_sort_block_merge_config_selectorIsNS0_10empty_typeEEEZZNS1_27merge_sort_block_merge_implIS3_N6thrust23THRUST_200600_302600_NS6detail15normal_iteratorINS9_10device_ptrIsEEEEPS5_m14custom_greaterIsEEE10hipError_tT0_T1_T2_jT3_P12ihipStream_tbPNSt15iterator_traitsISJ_E10value_typeEPNSP_ISK_E10value_typeEPSL_NS1_7vsmem_tEENKUlT_SJ_SK_SL_E_clIPsSE_SF_SF_EESI_SY_SJ_SK_SL_EUlSY_E1_NS1_11comp_targetILNS1_3genE5ELNS1_11target_archE942ELNS1_3gpuE9ELNS1_3repE0EEENS1_36merge_oddeven_config_static_selectorELNS0_4arch9wavefront6targetE1EEEvSK_, .Lfunc_end2955-_ZN7rocprim17ROCPRIM_400000_NS6detail17trampoline_kernelINS0_14default_configENS1_38merge_sort_block_merge_config_selectorIsNS0_10empty_typeEEEZZNS1_27merge_sort_block_merge_implIS3_N6thrust23THRUST_200600_302600_NS6detail15normal_iteratorINS9_10device_ptrIsEEEEPS5_m14custom_greaterIsEEE10hipError_tT0_T1_T2_jT3_P12ihipStream_tbPNSt15iterator_traitsISJ_E10value_typeEPNSP_ISK_E10value_typeEPSL_NS1_7vsmem_tEENKUlT_SJ_SK_SL_E_clIPsSE_SF_SF_EESI_SY_SJ_SK_SL_EUlSY_E1_NS1_11comp_targetILNS1_3genE5ELNS1_11target_archE942ELNS1_3gpuE9ELNS1_3repE0EEENS1_36merge_oddeven_config_static_selectorELNS0_4arch9wavefront6targetE1EEEvSK_
                                        ; -- End function
	.section	.AMDGPU.csdata,"",@progbits
; Kernel info:
; codeLenInByte = 0
; NumSgprs: 4
; NumVgprs: 0
; NumAgprs: 0
; TotalNumVgprs: 0
; ScratchSize: 0
; MemoryBound: 0
; FloatMode: 240
; IeeeMode: 1
; LDSByteSize: 0 bytes/workgroup (compile time only)
; SGPRBlocks: 0
; VGPRBlocks: 0
; NumSGPRsForWavesPerEU: 4
; NumVGPRsForWavesPerEU: 1
; AccumOffset: 4
; Occupancy: 8
; WaveLimiterHint : 0
; COMPUTE_PGM_RSRC2:SCRATCH_EN: 0
; COMPUTE_PGM_RSRC2:USER_SGPR: 6
; COMPUTE_PGM_RSRC2:TRAP_HANDLER: 0
; COMPUTE_PGM_RSRC2:TGID_X_EN: 1
; COMPUTE_PGM_RSRC2:TGID_Y_EN: 0
; COMPUTE_PGM_RSRC2:TGID_Z_EN: 0
; COMPUTE_PGM_RSRC2:TIDIG_COMP_CNT: 0
; COMPUTE_PGM_RSRC3_GFX90A:ACCUM_OFFSET: 0
; COMPUTE_PGM_RSRC3_GFX90A:TG_SPLIT: 0
	.section	.text._ZN7rocprim17ROCPRIM_400000_NS6detail17trampoline_kernelINS0_14default_configENS1_38merge_sort_block_merge_config_selectorIsNS0_10empty_typeEEEZZNS1_27merge_sort_block_merge_implIS3_N6thrust23THRUST_200600_302600_NS6detail15normal_iteratorINS9_10device_ptrIsEEEEPS5_m14custom_greaterIsEEE10hipError_tT0_T1_T2_jT3_P12ihipStream_tbPNSt15iterator_traitsISJ_E10value_typeEPNSP_ISK_E10value_typeEPSL_NS1_7vsmem_tEENKUlT_SJ_SK_SL_E_clIPsSE_SF_SF_EESI_SY_SJ_SK_SL_EUlSY_E1_NS1_11comp_targetILNS1_3genE4ELNS1_11target_archE910ELNS1_3gpuE8ELNS1_3repE0EEENS1_36merge_oddeven_config_static_selectorELNS0_4arch9wavefront6targetE1EEEvSK_,"axG",@progbits,_ZN7rocprim17ROCPRIM_400000_NS6detail17trampoline_kernelINS0_14default_configENS1_38merge_sort_block_merge_config_selectorIsNS0_10empty_typeEEEZZNS1_27merge_sort_block_merge_implIS3_N6thrust23THRUST_200600_302600_NS6detail15normal_iteratorINS9_10device_ptrIsEEEEPS5_m14custom_greaterIsEEE10hipError_tT0_T1_T2_jT3_P12ihipStream_tbPNSt15iterator_traitsISJ_E10value_typeEPNSP_ISK_E10value_typeEPSL_NS1_7vsmem_tEENKUlT_SJ_SK_SL_E_clIPsSE_SF_SF_EESI_SY_SJ_SK_SL_EUlSY_E1_NS1_11comp_targetILNS1_3genE4ELNS1_11target_archE910ELNS1_3gpuE8ELNS1_3repE0EEENS1_36merge_oddeven_config_static_selectorELNS0_4arch9wavefront6targetE1EEEvSK_,comdat
	.protected	_ZN7rocprim17ROCPRIM_400000_NS6detail17trampoline_kernelINS0_14default_configENS1_38merge_sort_block_merge_config_selectorIsNS0_10empty_typeEEEZZNS1_27merge_sort_block_merge_implIS3_N6thrust23THRUST_200600_302600_NS6detail15normal_iteratorINS9_10device_ptrIsEEEEPS5_m14custom_greaterIsEEE10hipError_tT0_T1_T2_jT3_P12ihipStream_tbPNSt15iterator_traitsISJ_E10value_typeEPNSP_ISK_E10value_typeEPSL_NS1_7vsmem_tEENKUlT_SJ_SK_SL_E_clIPsSE_SF_SF_EESI_SY_SJ_SK_SL_EUlSY_E1_NS1_11comp_targetILNS1_3genE4ELNS1_11target_archE910ELNS1_3gpuE8ELNS1_3repE0EEENS1_36merge_oddeven_config_static_selectorELNS0_4arch9wavefront6targetE1EEEvSK_ ; -- Begin function _ZN7rocprim17ROCPRIM_400000_NS6detail17trampoline_kernelINS0_14default_configENS1_38merge_sort_block_merge_config_selectorIsNS0_10empty_typeEEEZZNS1_27merge_sort_block_merge_implIS3_N6thrust23THRUST_200600_302600_NS6detail15normal_iteratorINS9_10device_ptrIsEEEEPS5_m14custom_greaterIsEEE10hipError_tT0_T1_T2_jT3_P12ihipStream_tbPNSt15iterator_traitsISJ_E10value_typeEPNSP_ISK_E10value_typeEPSL_NS1_7vsmem_tEENKUlT_SJ_SK_SL_E_clIPsSE_SF_SF_EESI_SY_SJ_SK_SL_EUlSY_E1_NS1_11comp_targetILNS1_3genE4ELNS1_11target_archE910ELNS1_3gpuE8ELNS1_3repE0EEENS1_36merge_oddeven_config_static_selectorELNS0_4arch9wavefront6targetE1EEEvSK_
	.globl	_ZN7rocprim17ROCPRIM_400000_NS6detail17trampoline_kernelINS0_14default_configENS1_38merge_sort_block_merge_config_selectorIsNS0_10empty_typeEEEZZNS1_27merge_sort_block_merge_implIS3_N6thrust23THRUST_200600_302600_NS6detail15normal_iteratorINS9_10device_ptrIsEEEEPS5_m14custom_greaterIsEEE10hipError_tT0_T1_T2_jT3_P12ihipStream_tbPNSt15iterator_traitsISJ_E10value_typeEPNSP_ISK_E10value_typeEPSL_NS1_7vsmem_tEENKUlT_SJ_SK_SL_E_clIPsSE_SF_SF_EESI_SY_SJ_SK_SL_EUlSY_E1_NS1_11comp_targetILNS1_3genE4ELNS1_11target_archE910ELNS1_3gpuE8ELNS1_3repE0EEENS1_36merge_oddeven_config_static_selectorELNS0_4arch9wavefront6targetE1EEEvSK_
	.p2align	8
	.type	_ZN7rocprim17ROCPRIM_400000_NS6detail17trampoline_kernelINS0_14default_configENS1_38merge_sort_block_merge_config_selectorIsNS0_10empty_typeEEEZZNS1_27merge_sort_block_merge_implIS3_N6thrust23THRUST_200600_302600_NS6detail15normal_iteratorINS9_10device_ptrIsEEEEPS5_m14custom_greaterIsEEE10hipError_tT0_T1_T2_jT3_P12ihipStream_tbPNSt15iterator_traitsISJ_E10value_typeEPNSP_ISK_E10value_typeEPSL_NS1_7vsmem_tEENKUlT_SJ_SK_SL_E_clIPsSE_SF_SF_EESI_SY_SJ_SK_SL_EUlSY_E1_NS1_11comp_targetILNS1_3genE4ELNS1_11target_archE910ELNS1_3gpuE8ELNS1_3repE0EEENS1_36merge_oddeven_config_static_selectorELNS0_4arch9wavefront6targetE1EEEvSK_,@function
_ZN7rocprim17ROCPRIM_400000_NS6detail17trampoline_kernelINS0_14default_configENS1_38merge_sort_block_merge_config_selectorIsNS0_10empty_typeEEEZZNS1_27merge_sort_block_merge_implIS3_N6thrust23THRUST_200600_302600_NS6detail15normal_iteratorINS9_10device_ptrIsEEEEPS5_m14custom_greaterIsEEE10hipError_tT0_T1_T2_jT3_P12ihipStream_tbPNSt15iterator_traitsISJ_E10value_typeEPNSP_ISK_E10value_typeEPSL_NS1_7vsmem_tEENKUlT_SJ_SK_SL_E_clIPsSE_SF_SF_EESI_SY_SJ_SK_SL_EUlSY_E1_NS1_11comp_targetILNS1_3genE4ELNS1_11target_archE910ELNS1_3gpuE8ELNS1_3repE0EEENS1_36merge_oddeven_config_static_selectorELNS0_4arch9wavefront6targetE1EEEvSK_: ; @_ZN7rocprim17ROCPRIM_400000_NS6detail17trampoline_kernelINS0_14default_configENS1_38merge_sort_block_merge_config_selectorIsNS0_10empty_typeEEEZZNS1_27merge_sort_block_merge_implIS3_N6thrust23THRUST_200600_302600_NS6detail15normal_iteratorINS9_10device_ptrIsEEEEPS5_m14custom_greaterIsEEE10hipError_tT0_T1_T2_jT3_P12ihipStream_tbPNSt15iterator_traitsISJ_E10value_typeEPNSP_ISK_E10value_typeEPSL_NS1_7vsmem_tEENKUlT_SJ_SK_SL_E_clIPsSE_SF_SF_EESI_SY_SJ_SK_SL_EUlSY_E1_NS1_11comp_targetILNS1_3genE4ELNS1_11target_archE910ELNS1_3gpuE8ELNS1_3repE0EEENS1_36merge_oddeven_config_static_selectorELNS0_4arch9wavefront6targetE1EEEvSK_
; %bb.0:
	s_load_dword s18, s[4:5], 0x20
	s_waitcnt lgkmcnt(0)
	s_lshr_b32 s0, s18, 8
	s_cmp_lg_u32 s6, s0
	s_cselect_b64 s[14:15], -1, 0
	s_cmp_eq_u32 s6, s0
	s_cselect_b64 s[12:13], -1, 0
	s_lshl_b32 s16, s6, 8
	s_sub_i32 s0, s18, s16
	v_cmp_gt_u32_e64 s[2:3], s0, v0
	s_or_b64 s[0:1], s[14:15], s[2:3]
	s_and_saveexec_b64 s[8:9], s[0:1]
	s_cbranch_execz .LBB2956_20
; %bb.1:
	s_load_dwordx4 s[8:11], s[4:5], 0x0
	s_load_dword s19, s[4:5], 0x28
	s_mov_b32 s17, 0
	s_lshl_b64 s[0:1], s[16:17], 1
	v_lshlrev_b32_e32 v1, 1, v0
	s_waitcnt lgkmcnt(0)
	s_add_u32 s0, s8, s0
	s_addc_u32 s1, s9, s1
	global_load_ushort v2, v1, s[0:1]
	s_lshr_b32 s0, s19, 8
	s_sub_i32 s1, 0, s0
	s_and_b32 s1, s6, s1
	s_and_b32 s0, s1, s0
	s_lshl_b32 s20, s1, 8
	s_sub_i32 s6, 0, s19
	s_cmp_eq_u32 s0, 0
	s_cselect_b64 s[0:1], -1, 0
	s_and_b64 s[4:5], s[0:1], exec
	s_cselect_b32 s17, s19, s6
	s_add_i32 s17, s17, s20
	s_cmp_lt_u32 s17, s18
	v_add_u32_e32 v0, s16, v0
	s_cbranch_scc1 .LBB2956_3
; %bb.2:
	v_cmp_gt_u32_e32 vcc, s18, v0
	s_or_b64 s[4:5], vcc, s[14:15]
	s_and_b64 s[4:5], s[4:5], exec
	s_cbranch_execz .LBB2956_4
	s_branch .LBB2956_18
.LBB2956_3:
	s_mov_b64 s[4:5], 0
.LBB2956_4:
	s_min_u32 s14, s17, s18
	s_add_i32 s6, s14, s19
	s_min_u32 s15, s6, s18
	s_min_u32 s6, s20, s14
	s_add_i32 s20, s20, s14
	v_subrev_u32_e32 v0, s20, v0
	v_add_u32_e32 v1, s6, v0
	s_and_b64 vcc, exec, s[12:13]
	s_cbranch_vccz .LBB2956_12
; %bb.5:
                                        ; implicit-def: $vgpr0
	s_and_saveexec_b64 s[6:7], s[2:3]
	s_cbranch_execz .LBB2956_11
; %bb.6:
	s_cmp_ge_u32 s17, s15
	v_mov_b32_e32 v0, s14
	s_cbranch_scc1 .LBB2956_10
; %bb.7:
	s_mov_b64 s[2:3], 0
	v_mov_b32_e32 v3, s15
	v_mov_b32_e32 v0, s14
.LBB2956_8:                             ; =>This Inner Loop Header: Depth=1
	v_add_u32_e32 v4, v0, v3
	v_and_b32_e32 v5, -2, v4
	global_load_ushort v5, v5, s[8:9]
	v_lshrrev_b32_e32 v4, 1, v4
	v_add_u32_e32 v6, 1, v4
	s_waitcnt vmcnt(0)
	v_cmp_gt_i16_e32 vcc, v2, v5
	v_cndmask_b32_e64 v7, 0, 1, vcc
	v_cmp_le_i16_e32 vcc, v5, v2
	v_cndmask_b32_e64 v5, 0, 1, vcc
	v_cndmask_b32_e64 v5, v5, v7, s[0:1]
	v_and_b32_e32 v5, 1, v5
	v_cmp_eq_u32_e32 vcc, 1, v5
	v_cndmask_b32_e32 v3, v4, v3, vcc
	v_cndmask_b32_e32 v0, v0, v6, vcc
	v_cmp_ge_u32_e32 vcc, v0, v3
	s_or_b64 s[2:3], vcc, s[2:3]
	s_andn2_b64 exec, exec, s[2:3]
	s_cbranch_execnz .LBB2956_8
; %bb.9:
	s_or_b64 exec, exec, s[2:3]
.LBB2956_10:
	v_add_u32_e32 v0, v0, v1
	s_or_b64 s[4:5], s[4:5], exec
.LBB2956_11:
	s_or_b64 exec, exec, s[6:7]
	s_branch .LBB2956_18
.LBB2956_12:
                                        ; implicit-def: $vgpr0
	s_cbranch_execz .LBB2956_18
; %bb.13:
	s_cmp_ge_u32 s17, s15
	v_mov_b32_e32 v0, s14
	s_cbranch_scc1 .LBB2956_17
; %bb.14:
	s_mov_b64 s[2:3], 0
	v_mov_b32_e32 v3, s15
	v_mov_b32_e32 v0, s14
.LBB2956_15:                            ; =>This Inner Loop Header: Depth=1
	v_add_u32_e32 v4, v0, v3
	v_and_b32_e32 v5, -2, v4
	global_load_ushort v5, v5, s[8:9]
	v_lshrrev_b32_e32 v4, 1, v4
	v_add_u32_e32 v6, 1, v4
	s_waitcnt vmcnt(0)
	v_cmp_gt_i16_e32 vcc, v2, v5
	v_cndmask_b32_e64 v7, 0, 1, vcc
	v_cmp_le_i16_e32 vcc, v5, v2
	v_cndmask_b32_e64 v5, 0, 1, vcc
	v_cndmask_b32_e64 v5, v5, v7, s[0:1]
	v_and_b32_e32 v5, 1, v5
	v_cmp_eq_u32_e32 vcc, 1, v5
	v_cndmask_b32_e32 v3, v4, v3, vcc
	v_cndmask_b32_e32 v0, v0, v6, vcc
	v_cmp_ge_u32_e32 vcc, v0, v3
	s_or_b64 s[2:3], vcc, s[2:3]
	s_andn2_b64 exec, exec, s[2:3]
	s_cbranch_execnz .LBB2956_15
; %bb.16:
	s_or_b64 exec, exec, s[2:3]
.LBB2956_17:
	v_add_u32_e32 v0, v0, v1
	s_mov_b64 s[4:5], -1
.LBB2956_18:
	s_and_b64 exec, exec, s[4:5]
	s_cbranch_execz .LBB2956_20
; %bb.19:
	v_mov_b32_e32 v1, 0
	v_lshlrev_b64 v[0:1], 1, v[0:1]
	v_mov_b32_e32 v3, s11
	v_add_co_u32_e32 v0, vcc, s10, v0
	v_addc_co_u32_e32 v1, vcc, v3, v1, vcc
	s_waitcnt vmcnt(0)
	global_store_short v[0:1], v2, off
.LBB2956_20:
	s_endpgm
	.section	.rodata,"a",@progbits
	.p2align	6, 0x0
	.amdhsa_kernel _ZN7rocprim17ROCPRIM_400000_NS6detail17trampoline_kernelINS0_14default_configENS1_38merge_sort_block_merge_config_selectorIsNS0_10empty_typeEEEZZNS1_27merge_sort_block_merge_implIS3_N6thrust23THRUST_200600_302600_NS6detail15normal_iteratorINS9_10device_ptrIsEEEEPS5_m14custom_greaterIsEEE10hipError_tT0_T1_T2_jT3_P12ihipStream_tbPNSt15iterator_traitsISJ_E10value_typeEPNSP_ISK_E10value_typeEPSL_NS1_7vsmem_tEENKUlT_SJ_SK_SL_E_clIPsSE_SF_SF_EESI_SY_SJ_SK_SL_EUlSY_E1_NS1_11comp_targetILNS1_3genE4ELNS1_11target_archE910ELNS1_3gpuE8ELNS1_3repE0EEENS1_36merge_oddeven_config_static_selectorELNS0_4arch9wavefront6targetE1EEEvSK_
		.amdhsa_group_segment_fixed_size 0
		.amdhsa_private_segment_fixed_size 0
		.amdhsa_kernarg_size 56
		.amdhsa_user_sgpr_count 6
		.amdhsa_user_sgpr_private_segment_buffer 1
		.amdhsa_user_sgpr_dispatch_ptr 0
		.amdhsa_user_sgpr_queue_ptr 0
		.amdhsa_user_sgpr_kernarg_segment_ptr 1
		.amdhsa_user_sgpr_dispatch_id 0
		.amdhsa_user_sgpr_flat_scratch_init 0
		.amdhsa_user_sgpr_kernarg_preload_length 0
		.amdhsa_user_sgpr_kernarg_preload_offset 0
		.amdhsa_user_sgpr_private_segment_size 0
		.amdhsa_uses_dynamic_stack 0
		.amdhsa_system_sgpr_private_segment_wavefront_offset 0
		.amdhsa_system_sgpr_workgroup_id_x 1
		.amdhsa_system_sgpr_workgroup_id_y 0
		.amdhsa_system_sgpr_workgroup_id_z 0
		.amdhsa_system_sgpr_workgroup_info 0
		.amdhsa_system_vgpr_workitem_id 0
		.amdhsa_next_free_vgpr 8
		.amdhsa_next_free_sgpr 21
		.amdhsa_accum_offset 8
		.amdhsa_reserve_vcc 1
		.amdhsa_reserve_flat_scratch 0
		.amdhsa_float_round_mode_32 0
		.amdhsa_float_round_mode_16_64 0
		.amdhsa_float_denorm_mode_32 3
		.amdhsa_float_denorm_mode_16_64 3
		.amdhsa_dx10_clamp 1
		.amdhsa_ieee_mode 1
		.amdhsa_fp16_overflow 0
		.amdhsa_tg_split 0
		.amdhsa_exception_fp_ieee_invalid_op 0
		.amdhsa_exception_fp_denorm_src 0
		.amdhsa_exception_fp_ieee_div_zero 0
		.amdhsa_exception_fp_ieee_overflow 0
		.amdhsa_exception_fp_ieee_underflow 0
		.amdhsa_exception_fp_ieee_inexact 0
		.amdhsa_exception_int_div_zero 0
	.end_amdhsa_kernel
	.section	.text._ZN7rocprim17ROCPRIM_400000_NS6detail17trampoline_kernelINS0_14default_configENS1_38merge_sort_block_merge_config_selectorIsNS0_10empty_typeEEEZZNS1_27merge_sort_block_merge_implIS3_N6thrust23THRUST_200600_302600_NS6detail15normal_iteratorINS9_10device_ptrIsEEEEPS5_m14custom_greaterIsEEE10hipError_tT0_T1_T2_jT3_P12ihipStream_tbPNSt15iterator_traitsISJ_E10value_typeEPNSP_ISK_E10value_typeEPSL_NS1_7vsmem_tEENKUlT_SJ_SK_SL_E_clIPsSE_SF_SF_EESI_SY_SJ_SK_SL_EUlSY_E1_NS1_11comp_targetILNS1_3genE4ELNS1_11target_archE910ELNS1_3gpuE8ELNS1_3repE0EEENS1_36merge_oddeven_config_static_selectorELNS0_4arch9wavefront6targetE1EEEvSK_,"axG",@progbits,_ZN7rocprim17ROCPRIM_400000_NS6detail17trampoline_kernelINS0_14default_configENS1_38merge_sort_block_merge_config_selectorIsNS0_10empty_typeEEEZZNS1_27merge_sort_block_merge_implIS3_N6thrust23THRUST_200600_302600_NS6detail15normal_iteratorINS9_10device_ptrIsEEEEPS5_m14custom_greaterIsEEE10hipError_tT0_T1_T2_jT3_P12ihipStream_tbPNSt15iterator_traitsISJ_E10value_typeEPNSP_ISK_E10value_typeEPSL_NS1_7vsmem_tEENKUlT_SJ_SK_SL_E_clIPsSE_SF_SF_EESI_SY_SJ_SK_SL_EUlSY_E1_NS1_11comp_targetILNS1_3genE4ELNS1_11target_archE910ELNS1_3gpuE8ELNS1_3repE0EEENS1_36merge_oddeven_config_static_selectorELNS0_4arch9wavefront6targetE1EEEvSK_,comdat
.Lfunc_end2956:
	.size	_ZN7rocprim17ROCPRIM_400000_NS6detail17trampoline_kernelINS0_14default_configENS1_38merge_sort_block_merge_config_selectorIsNS0_10empty_typeEEEZZNS1_27merge_sort_block_merge_implIS3_N6thrust23THRUST_200600_302600_NS6detail15normal_iteratorINS9_10device_ptrIsEEEEPS5_m14custom_greaterIsEEE10hipError_tT0_T1_T2_jT3_P12ihipStream_tbPNSt15iterator_traitsISJ_E10value_typeEPNSP_ISK_E10value_typeEPSL_NS1_7vsmem_tEENKUlT_SJ_SK_SL_E_clIPsSE_SF_SF_EESI_SY_SJ_SK_SL_EUlSY_E1_NS1_11comp_targetILNS1_3genE4ELNS1_11target_archE910ELNS1_3gpuE8ELNS1_3repE0EEENS1_36merge_oddeven_config_static_selectorELNS0_4arch9wavefront6targetE1EEEvSK_, .Lfunc_end2956-_ZN7rocprim17ROCPRIM_400000_NS6detail17trampoline_kernelINS0_14default_configENS1_38merge_sort_block_merge_config_selectorIsNS0_10empty_typeEEEZZNS1_27merge_sort_block_merge_implIS3_N6thrust23THRUST_200600_302600_NS6detail15normal_iteratorINS9_10device_ptrIsEEEEPS5_m14custom_greaterIsEEE10hipError_tT0_T1_T2_jT3_P12ihipStream_tbPNSt15iterator_traitsISJ_E10value_typeEPNSP_ISK_E10value_typeEPSL_NS1_7vsmem_tEENKUlT_SJ_SK_SL_E_clIPsSE_SF_SF_EESI_SY_SJ_SK_SL_EUlSY_E1_NS1_11comp_targetILNS1_3genE4ELNS1_11target_archE910ELNS1_3gpuE8ELNS1_3repE0EEENS1_36merge_oddeven_config_static_selectorELNS0_4arch9wavefront6targetE1EEEvSK_
                                        ; -- End function
	.section	.AMDGPU.csdata,"",@progbits
; Kernel info:
; codeLenInByte = 548
; NumSgprs: 25
; NumVgprs: 8
; NumAgprs: 0
; TotalNumVgprs: 8
; ScratchSize: 0
; MemoryBound: 0
; FloatMode: 240
; IeeeMode: 1
; LDSByteSize: 0 bytes/workgroup (compile time only)
; SGPRBlocks: 3
; VGPRBlocks: 0
; NumSGPRsForWavesPerEU: 25
; NumVGPRsForWavesPerEU: 8
; AccumOffset: 8
; Occupancy: 8
; WaveLimiterHint : 0
; COMPUTE_PGM_RSRC2:SCRATCH_EN: 0
; COMPUTE_PGM_RSRC2:USER_SGPR: 6
; COMPUTE_PGM_RSRC2:TRAP_HANDLER: 0
; COMPUTE_PGM_RSRC2:TGID_X_EN: 1
; COMPUTE_PGM_RSRC2:TGID_Y_EN: 0
; COMPUTE_PGM_RSRC2:TGID_Z_EN: 0
; COMPUTE_PGM_RSRC2:TIDIG_COMP_CNT: 0
; COMPUTE_PGM_RSRC3_GFX90A:ACCUM_OFFSET: 1
; COMPUTE_PGM_RSRC3_GFX90A:TG_SPLIT: 0
	.section	.text._ZN7rocprim17ROCPRIM_400000_NS6detail17trampoline_kernelINS0_14default_configENS1_38merge_sort_block_merge_config_selectorIsNS0_10empty_typeEEEZZNS1_27merge_sort_block_merge_implIS3_N6thrust23THRUST_200600_302600_NS6detail15normal_iteratorINS9_10device_ptrIsEEEEPS5_m14custom_greaterIsEEE10hipError_tT0_T1_T2_jT3_P12ihipStream_tbPNSt15iterator_traitsISJ_E10value_typeEPNSP_ISK_E10value_typeEPSL_NS1_7vsmem_tEENKUlT_SJ_SK_SL_E_clIPsSE_SF_SF_EESI_SY_SJ_SK_SL_EUlSY_E1_NS1_11comp_targetILNS1_3genE3ELNS1_11target_archE908ELNS1_3gpuE7ELNS1_3repE0EEENS1_36merge_oddeven_config_static_selectorELNS0_4arch9wavefront6targetE1EEEvSK_,"axG",@progbits,_ZN7rocprim17ROCPRIM_400000_NS6detail17trampoline_kernelINS0_14default_configENS1_38merge_sort_block_merge_config_selectorIsNS0_10empty_typeEEEZZNS1_27merge_sort_block_merge_implIS3_N6thrust23THRUST_200600_302600_NS6detail15normal_iteratorINS9_10device_ptrIsEEEEPS5_m14custom_greaterIsEEE10hipError_tT0_T1_T2_jT3_P12ihipStream_tbPNSt15iterator_traitsISJ_E10value_typeEPNSP_ISK_E10value_typeEPSL_NS1_7vsmem_tEENKUlT_SJ_SK_SL_E_clIPsSE_SF_SF_EESI_SY_SJ_SK_SL_EUlSY_E1_NS1_11comp_targetILNS1_3genE3ELNS1_11target_archE908ELNS1_3gpuE7ELNS1_3repE0EEENS1_36merge_oddeven_config_static_selectorELNS0_4arch9wavefront6targetE1EEEvSK_,comdat
	.protected	_ZN7rocprim17ROCPRIM_400000_NS6detail17trampoline_kernelINS0_14default_configENS1_38merge_sort_block_merge_config_selectorIsNS0_10empty_typeEEEZZNS1_27merge_sort_block_merge_implIS3_N6thrust23THRUST_200600_302600_NS6detail15normal_iteratorINS9_10device_ptrIsEEEEPS5_m14custom_greaterIsEEE10hipError_tT0_T1_T2_jT3_P12ihipStream_tbPNSt15iterator_traitsISJ_E10value_typeEPNSP_ISK_E10value_typeEPSL_NS1_7vsmem_tEENKUlT_SJ_SK_SL_E_clIPsSE_SF_SF_EESI_SY_SJ_SK_SL_EUlSY_E1_NS1_11comp_targetILNS1_3genE3ELNS1_11target_archE908ELNS1_3gpuE7ELNS1_3repE0EEENS1_36merge_oddeven_config_static_selectorELNS0_4arch9wavefront6targetE1EEEvSK_ ; -- Begin function _ZN7rocprim17ROCPRIM_400000_NS6detail17trampoline_kernelINS0_14default_configENS1_38merge_sort_block_merge_config_selectorIsNS0_10empty_typeEEEZZNS1_27merge_sort_block_merge_implIS3_N6thrust23THRUST_200600_302600_NS6detail15normal_iteratorINS9_10device_ptrIsEEEEPS5_m14custom_greaterIsEEE10hipError_tT0_T1_T2_jT3_P12ihipStream_tbPNSt15iterator_traitsISJ_E10value_typeEPNSP_ISK_E10value_typeEPSL_NS1_7vsmem_tEENKUlT_SJ_SK_SL_E_clIPsSE_SF_SF_EESI_SY_SJ_SK_SL_EUlSY_E1_NS1_11comp_targetILNS1_3genE3ELNS1_11target_archE908ELNS1_3gpuE7ELNS1_3repE0EEENS1_36merge_oddeven_config_static_selectorELNS0_4arch9wavefront6targetE1EEEvSK_
	.globl	_ZN7rocprim17ROCPRIM_400000_NS6detail17trampoline_kernelINS0_14default_configENS1_38merge_sort_block_merge_config_selectorIsNS0_10empty_typeEEEZZNS1_27merge_sort_block_merge_implIS3_N6thrust23THRUST_200600_302600_NS6detail15normal_iteratorINS9_10device_ptrIsEEEEPS5_m14custom_greaterIsEEE10hipError_tT0_T1_T2_jT3_P12ihipStream_tbPNSt15iterator_traitsISJ_E10value_typeEPNSP_ISK_E10value_typeEPSL_NS1_7vsmem_tEENKUlT_SJ_SK_SL_E_clIPsSE_SF_SF_EESI_SY_SJ_SK_SL_EUlSY_E1_NS1_11comp_targetILNS1_3genE3ELNS1_11target_archE908ELNS1_3gpuE7ELNS1_3repE0EEENS1_36merge_oddeven_config_static_selectorELNS0_4arch9wavefront6targetE1EEEvSK_
	.p2align	8
	.type	_ZN7rocprim17ROCPRIM_400000_NS6detail17trampoline_kernelINS0_14default_configENS1_38merge_sort_block_merge_config_selectorIsNS0_10empty_typeEEEZZNS1_27merge_sort_block_merge_implIS3_N6thrust23THRUST_200600_302600_NS6detail15normal_iteratorINS9_10device_ptrIsEEEEPS5_m14custom_greaterIsEEE10hipError_tT0_T1_T2_jT3_P12ihipStream_tbPNSt15iterator_traitsISJ_E10value_typeEPNSP_ISK_E10value_typeEPSL_NS1_7vsmem_tEENKUlT_SJ_SK_SL_E_clIPsSE_SF_SF_EESI_SY_SJ_SK_SL_EUlSY_E1_NS1_11comp_targetILNS1_3genE3ELNS1_11target_archE908ELNS1_3gpuE7ELNS1_3repE0EEENS1_36merge_oddeven_config_static_selectorELNS0_4arch9wavefront6targetE1EEEvSK_,@function
_ZN7rocprim17ROCPRIM_400000_NS6detail17trampoline_kernelINS0_14default_configENS1_38merge_sort_block_merge_config_selectorIsNS0_10empty_typeEEEZZNS1_27merge_sort_block_merge_implIS3_N6thrust23THRUST_200600_302600_NS6detail15normal_iteratorINS9_10device_ptrIsEEEEPS5_m14custom_greaterIsEEE10hipError_tT0_T1_T2_jT3_P12ihipStream_tbPNSt15iterator_traitsISJ_E10value_typeEPNSP_ISK_E10value_typeEPSL_NS1_7vsmem_tEENKUlT_SJ_SK_SL_E_clIPsSE_SF_SF_EESI_SY_SJ_SK_SL_EUlSY_E1_NS1_11comp_targetILNS1_3genE3ELNS1_11target_archE908ELNS1_3gpuE7ELNS1_3repE0EEENS1_36merge_oddeven_config_static_selectorELNS0_4arch9wavefront6targetE1EEEvSK_: ; @_ZN7rocprim17ROCPRIM_400000_NS6detail17trampoline_kernelINS0_14default_configENS1_38merge_sort_block_merge_config_selectorIsNS0_10empty_typeEEEZZNS1_27merge_sort_block_merge_implIS3_N6thrust23THRUST_200600_302600_NS6detail15normal_iteratorINS9_10device_ptrIsEEEEPS5_m14custom_greaterIsEEE10hipError_tT0_T1_T2_jT3_P12ihipStream_tbPNSt15iterator_traitsISJ_E10value_typeEPNSP_ISK_E10value_typeEPSL_NS1_7vsmem_tEENKUlT_SJ_SK_SL_E_clIPsSE_SF_SF_EESI_SY_SJ_SK_SL_EUlSY_E1_NS1_11comp_targetILNS1_3genE3ELNS1_11target_archE908ELNS1_3gpuE7ELNS1_3repE0EEENS1_36merge_oddeven_config_static_selectorELNS0_4arch9wavefront6targetE1EEEvSK_
; %bb.0:
	.section	.rodata,"a",@progbits
	.p2align	6, 0x0
	.amdhsa_kernel _ZN7rocprim17ROCPRIM_400000_NS6detail17trampoline_kernelINS0_14default_configENS1_38merge_sort_block_merge_config_selectorIsNS0_10empty_typeEEEZZNS1_27merge_sort_block_merge_implIS3_N6thrust23THRUST_200600_302600_NS6detail15normal_iteratorINS9_10device_ptrIsEEEEPS5_m14custom_greaterIsEEE10hipError_tT0_T1_T2_jT3_P12ihipStream_tbPNSt15iterator_traitsISJ_E10value_typeEPNSP_ISK_E10value_typeEPSL_NS1_7vsmem_tEENKUlT_SJ_SK_SL_E_clIPsSE_SF_SF_EESI_SY_SJ_SK_SL_EUlSY_E1_NS1_11comp_targetILNS1_3genE3ELNS1_11target_archE908ELNS1_3gpuE7ELNS1_3repE0EEENS1_36merge_oddeven_config_static_selectorELNS0_4arch9wavefront6targetE1EEEvSK_
		.amdhsa_group_segment_fixed_size 0
		.amdhsa_private_segment_fixed_size 0
		.amdhsa_kernarg_size 56
		.amdhsa_user_sgpr_count 6
		.amdhsa_user_sgpr_private_segment_buffer 1
		.amdhsa_user_sgpr_dispatch_ptr 0
		.amdhsa_user_sgpr_queue_ptr 0
		.amdhsa_user_sgpr_kernarg_segment_ptr 1
		.amdhsa_user_sgpr_dispatch_id 0
		.amdhsa_user_sgpr_flat_scratch_init 0
		.amdhsa_user_sgpr_kernarg_preload_length 0
		.amdhsa_user_sgpr_kernarg_preload_offset 0
		.amdhsa_user_sgpr_private_segment_size 0
		.amdhsa_uses_dynamic_stack 0
		.amdhsa_system_sgpr_private_segment_wavefront_offset 0
		.amdhsa_system_sgpr_workgroup_id_x 1
		.amdhsa_system_sgpr_workgroup_id_y 0
		.amdhsa_system_sgpr_workgroup_id_z 0
		.amdhsa_system_sgpr_workgroup_info 0
		.amdhsa_system_vgpr_workitem_id 0
		.amdhsa_next_free_vgpr 1
		.amdhsa_next_free_sgpr 0
		.amdhsa_accum_offset 4
		.amdhsa_reserve_vcc 0
		.amdhsa_reserve_flat_scratch 0
		.amdhsa_float_round_mode_32 0
		.amdhsa_float_round_mode_16_64 0
		.amdhsa_float_denorm_mode_32 3
		.amdhsa_float_denorm_mode_16_64 3
		.amdhsa_dx10_clamp 1
		.amdhsa_ieee_mode 1
		.amdhsa_fp16_overflow 0
		.amdhsa_tg_split 0
		.amdhsa_exception_fp_ieee_invalid_op 0
		.amdhsa_exception_fp_denorm_src 0
		.amdhsa_exception_fp_ieee_div_zero 0
		.amdhsa_exception_fp_ieee_overflow 0
		.amdhsa_exception_fp_ieee_underflow 0
		.amdhsa_exception_fp_ieee_inexact 0
		.amdhsa_exception_int_div_zero 0
	.end_amdhsa_kernel
	.section	.text._ZN7rocprim17ROCPRIM_400000_NS6detail17trampoline_kernelINS0_14default_configENS1_38merge_sort_block_merge_config_selectorIsNS0_10empty_typeEEEZZNS1_27merge_sort_block_merge_implIS3_N6thrust23THRUST_200600_302600_NS6detail15normal_iteratorINS9_10device_ptrIsEEEEPS5_m14custom_greaterIsEEE10hipError_tT0_T1_T2_jT3_P12ihipStream_tbPNSt15iterator_traitsISJ_E10value_typeEPNSP_ISK_E10value_typeEPSL_NS1_7vsmem_tEENKUlT_SJ_SK_SL_E_clIPsSE_SF_SF_EESI_SY_SJ_SK_SL_EUlSY_E1_NS1_11comp_targetILNS1_3genE3ELNS1_11target_archE908ELNS1_3gpuE7ELNS1_3repE0EEENS1_36merge_oddeven_config_static_selectorELNS0_4arch9wavefront6targetE1EEEvSK_,"axG",@progbits,_ZN7rocprim17ROCPRIM_400000_NS6detail17trampoline_kernelINS0_14default_configENS1_38merge_sort_block_merge_config_selectorIsNS0_10empty_typeEEEZZNS1_27merge_sort_block_merge_implIS3_N6thrust23THRUST_200600_302600_NS6detail15normal_iteratorINS9_10device_ptrIsEEEEPS5_m14custom_greaterIsEEE10hipError_tT0_T1_T2_jT3_P12ihipStream_tbPNSt15iterator_traitsISJ_E10value_typeEPNSP_ISK_E10value_typeEPSL_NS1_7vsmem_tEENKUlT_SJ_SK_SL_E_clIPsSE_SF_SF_EESI_SY_SJ_SK_SL_EUlSY_E1_NS1_11comp_targetILNS1_3genE3ELNS1_11target_archE908ELNS1_3gpuE7ELNS1_3repE0EEENS1_36merge_oddeven_config_static_selectorELNS0_4arch9wavefront6targetE1EEEvSK_,comdat
.Lfunc_end2957:
	.size	_ZN7rocprim17ROCPRIM_400000_NS6detail17trampoline_kernelINS0_14default_configENS1_38merge_sort_block_merge_config_selectorIsNS0_10empty_typeEEEZZNS1_27merge_sort_block_merge_implIS3_N6thrust23THRUST_200600_302600_NS6detail15normal_iteratorINS9_10device_ptrIsEEEEPS5_m14custom_greaterIsEEE10hipError_tT0_T1_T2_jT3_P12ihipStream_tbPNSt15iterator_traitsISJ_E10value_typeEPNSP_ISK_E10value_typeEPSL_NS1_7vsmem_tEENKUlT_SJ_SK_SL_E_clIPsSE_SF_SF_EESI_SY_SJ_SK_SL_EUlSY_E1_NS1_11comp_targetILNS1_3genE3ELNS1_11target_archE908ELNS1_3gpuE7ELNS1_3repE0EEENS1_36merge_oddeven_config_static_selectorELNS0_4arch9wavefront6targetE1EEEvSK_, .Lfunc_end2957-_ZN7rocprim17ROCPRIM_400000_NS6detail17trampoline_kernelINS0_14default_configENS1_38merge_sort_block_merge_config_selectorIsNS0_10empty_typeEEEZZNS1_27merge_sort_block_merge_implIS3_N6thrust23THRUST_200600_302600_NS6detail15normal_iteratorINS9_10device_ptrIsEEEEPS5_m14custom_greaterIsEEE10hipError_tT0_T1_T2_jT3_P12ihipStream_tbPNSt15iterator_traitsISJ_E10value_typeEPNSP_ISK_E10value_typeEPSL_NS1_7vsmem_tEENKUlT_SJ_SK_SL_E_clIPsSE_SF_SF_EESI_SY_SJ_SK_SL_EUlSY_E1_NS1_11comp_targetILNS1_3genE3ELNS1_11target_archE908ELNS1_3gpuE7ELNS1_3repE0EEENS1_36merge_oddeven_config_static_selectorELNS0_4arch9wavefront6targetE1EEEvSK_
                                        ; -- End function
	.section	.AMDGPU.csdata,"",@progbits
; Kernel info:
; codeLenInByte = 0
; NumSgprs: 4
; NumVgprs: 0
; NumAgprs: 0
; TotalNumVgprs: 0
; ScratchSize: 0
; MemoryBound: 0
; FloatMode: 240
; IeeeMode: 1
; LDSByteSize: 0 bytes/workgroup (compile time only)
; SGPRBlocks: 0
; VGPRBlocks: 0
; NumSGPRsForWavesPerEU: 4
; NumVGPRsForWavesPerEU: 1
; AccumOffset: 4
; Occupancy: 8
; WaveLimiterHint : 0
; COMPUTE_PGM_RSRC2:SCRATCH_EN: 0
; COMPUTE_PGM_RSRC2:USER_SGPR: 6
; COMPUTE_PGM_RSRC2:TRAP_HANDLER: 0
; COMPUTE_PGM_RSRC2:TGID_X_EN: 1
; COMPUTE_PGM_RSRC2:TGID_Y_EN: 0
; COMPUTE_PGM_RSRC2:TGID_Z_EN: 0
; COMPUTE_PGM_RSRC2:TIDIG_COMP_CNT: 0
; COMPUTE_PGM_RSRC3_GFX90A:ACCUM_OFFSET: 0
; COMPUTE_PGM_RSRC3_GFX90A:TG_SPLIT: 0
	.section	.text._ZN7rocprim17ROCPRIM_400000_NS6detail17trampoline_kernelINS0_14default_configENS1_38merge_sort_block_merge_config_selectorIsNS0_10empty_typeEEEZZNS1_27merge_sort_block_merge_implIS3_N6thrust23THRUST_200600_302600_NS6detail15normal_iteratorINS9_10device_ptrIsEEEEPS5_m14custom_greaterIsEEE10hipError_tT0_T1_T2_jT3_P12ihipStream_tbPNSt15iterator_traitsISJ_E10value_typeEPNSP_ISK_E10value_typeEPSL_NS1_7vsmem_tEENKUlT_SJ_SK_SL_E_clIPsSE_SF_SF_EESI_SY_SJ_SK_SL_EUlSY_E1_NS1_11comp_targetILNS1_3genE2ELNS1_11target_archE906ELNS1_3gpuE6ELNS1_3repE0EEENS1_36merge_oddeven_config_static_selectorELNS0_4arch9wavefront6targetE1EEEvSK_,"axG",@progbits,_ZN7rocprim17ROCPRIM_400000_NS6detail17trampoline_kernelINS0_14default_configENS1_38merge_sort_block_merge_config_selectorIsNS0_10empty_typeEEEZZNS1_27merge_sort_block_merge_implIS3_N6thrust23THRUST_200600_302600_NS6detail15normal_iteratorINS9_10device_ptrIsEEEEPS5_m14custom_greaterIsEEE10hipError_tT0_T1_T2_jT3_P12ihipStream_tbPNSt15iterator_traitsISJ_E10value_typeEPNSP_ISK_E10value_typeEPSL_NS1_7vsmem_tEENKUlT_SJ_SK_SL_E_clIPsSE_SF_SF_EESI_SY_SJ_SK_SL_EUlSY_E1_NS1_11comp_targetILNS1_3genE2ELNS1_11target_archE906ELNS1_3gpuE6ELNS1_3repE0EEENS1_36merge_oddeven_config_static_selectorELNS0_4arch9wavefront6targetE1EEEvSK_,comdat
	.protected	_ZN7rocprim17ROCPRIM_400000_NS6detail17trampoline_kernelINS0_14default_configENS1_38merge_sort_block_merge_config_selectorIsNS0_10empty_typeEEEZZNS1_27merge_sort_block_merge_implIS3_N6thrust23THRUST_200600_302600_NS6detail15normal_iteratorINS9_10device_ptrIsEEEEPS5_m14custom_greaterIsEEE10hipError_tT0_T1_T2_jT3_P12ihipStream_tbPNSt15iterator_traitsISJ_E10value_typeEPNSP_ISK_E10value_typeEPSL_NS1_7vsmem_tEENKUlT_SJ_SK_SL_E_clIPsSE_SF_SF_EESI_SY_SJ_SK_SL_EUlSY_E1_NS1_11comp_targetILNS1_3genE2ELNS1_11target_archE906ELNS1_3gpuE6ELNS1_3repE0EEENS1_36merge_oddeven_config_static_selectorELNS0_4arch9wavefront6targetE1EEEvSK_ ; -- Begin function _ZN7rocprim17ROCPRIM_400000_NS6detail17trampoline_kernelINS0_14default_configENS1_38merge_sort_block_merge_config_selectorIsNS0_10empty_typeEEEZZNS1_27merge_sort_block_merge_implIS3_N6thrust23THRUST_200600_302600_NS6detail15normal_iteratorINS9_10device_ptrIsEEEEPS5_m14custom_greaterIsEEE10hipError_tT0_T1_T2_jT3_P12ihipStream_tbPNSt15iterator_traitsISJ_E10value_typeEPNSP_ISK_E10value_typeEPSL_NS1_7vsmem_tEENKUlT_SJ_SK_SL_E_clIPsSE_SF_SF_EESI_SY_SJ_SK_SL_EUlSY_E1_NS1_11comp_targetILNS1_3genE2ELNS1_11target_archE906ELNS1_3gpuE6ELNS1_3repE0EEENS1_36merge_oddeven_config_static_selectorELNS0_4arch9wavefront6targetE1EEEvSK_
	.globl	_ZN7rocprim17ROCPRIM_400000_NS6detail17trampoline_kernelINS0_14default_configENS1_38merge_sort_block_merge_config_selectorIsNS0_10empty_typeEEEZZNS1_27merge_sort_block_merge_implIS3_N6thrust23THRUST_200600_302600_NS6detail15normal_iteratorINS9_10device_ptrIsEEEEPS5_m14custom_greaterIsEEE10hipError_tT0_T1_T2_jT3_P12ihipStream_tbPNSt15iterator_traitsISJ_E10value_typeEPNSP_ISK_E10value_typeEPSL_NS1_7vsmem_tEENKUlT_SJ_SK_SL_E_clIPsSE_SF_SF_EESI_SY_SJ_SK_SL_EUlSY_E1_NS1_11comp_targetILNS1_3genE2ELNS1_11target_archE906ELNS1_3gpuE6ELNS1_3repE0EEENS1_36merge_oddeven_config_static_selectorELNS0_4arch9wavefront6targetE1EEEvSK_
	.p2align	8
	.type	_ZN7rocprim17ROCPRIM_400000_NS6detail17trampoline_kernelINS0_14default_configENS1_38merge_sort_block_merge_config_selectorIsNS0_10empty_typeEEEZZNS1_27merge_sort_block_merge_implIS3_N6thrust23THRUST_200600_302600_NS6detail15normal_iteratorINS9_10device_ptrIsEEEEPS5_m14custom_greaterIsEEE10hipError_tT0_T1_T2_jT3_P12ihipStream_tbPNSt15iterator_traitsISJ_E10value_typeEPNSP_ISK_E10value_typeEPSL_NS1_7vsmem_tEENKUlT_SJ_SK_SL_E_clIPsSE_SF_SF_EESI_SY_SJ_SK_SL_EUlSY_E1_NS1_11comp_targetILNS1_3genE2ELNS1_11target_archE906ELNS1_3gpuE6ELNS1_3repE0EEENS1_36merge_oddeven_config_static_selectorELNS0_4arch9wavefront6targetE1EEEvSK_,@function
_ZN7rocprim17ROCPRIM_400000_NS6detail17trampoline_kernelINS0_14default_configENS1_38merge_sort_block_merge_config_selectorIsNS0_10empty_typeEEEZZNS1_27merge_sort_block_merge_implIS3_N6thrust23THRUST_200600_302600_NS6detail15normal_iteratorINS9_10device_ptrIsEEEEPS5_m14custom_greaterIsEEE10hipError_tT0_T1_T2_jT3_P12ihipStream_tbPNSt15iterator_traitsISJ_E10value_typeEPNSP_ISK_E10value_typeEPSL_NS1_7vsmem_tEENKUlT_SJ_SK_SL_E_clIPsSE_SF_SF_EESI_SY_SJ_SK_SL_EUlSY_E1_NS1_11comp_targetILNS1_3genE2ELNS1_11target_archE906ELNS1_3gpuE6ELNS1_3repE0EEENS1_36merge_oddeven_config_static_selectorELNS0_4arch9wavefront6targetE1EEEvSK_: ; @_ZN7rocprim17ROCPRIM_400000_NS6detail17trampoline_kernelINS0_14default_configENS1_38merge_sort_block_merge_config_selectorIsNS0_10empty_typeEEEZZNS1_27merge_sort_block_merge_implIS3_N6thrust23THRUST_200600_302600_NS6detail15normal_iteratorINS9_10device_ptrIsEEEEPS5_m14custom_greaterIsEEE10hipError_tT0_T1_T2_jT3_P12ihipStream_tbPNSt15iterator_traitsISJ_E10value_typeEPNSP_ISK_E10value_typeEPSL_NS1_7vsmem_tEENKUlT_SJ_SK_SL_E_clIPsSE_SF_SF_EESI_SY_SJ_SK_SL_EUlSY_E1_NS1_11comp_targetILNS1_3genE2ELNS1_11target_archE906ELNS1_3gpuE6ELNS1_3repE0EEENS1_36merge_oddeven_config_static_selectorELNS0_4arch9wavefront6targetE1EEEvSK_
; %bb.0:
	.section	.rodata,"a",@progbits
	.p2align	6, 0x0
	.amdhsa_kernel _ZN7rocprim17ROCPRIM_400000_NS6detail17trampoline_kernelINS0_14default_configENS1_38merge_sort_block_merge_config_selectorIsNS0_10empty_typeEEEZZNS1_27merge_sort_block_merge_implIS3_N6thrust23THRUST_200600_302600_NS6detail15normal_iteratorINS9_10device_ptrIsEEEEPS5_m14custom_greaterIsEEE10hipError_tT0_T1_T2_jT3_P12ihipStream_tbPNSt15iterator_traitsISJ_E10value_typeEPNSP_ISK_E10value_typeEPSL_NS1_7vsmem_tEENKUlT_SJ_SK_SL_E_clIPsSE_SF_SF_EESI_SY_SJ_SK_SL_EUlSY_E1_NS1_11comp_targetILNS1_3genE2ELNS1_11target_archE906ELNS1_3gpuE6ELNS1_3repE0EEENS1_36merge_oddeven_config_static_selectorELNS0_4arch9wavefront6targetE1EEEvSK_
		.amdhsa_group_segment_fixed_size 0
		.amdhsa_private_segment_fixed_size 0
		.amdhsa_kernarg_size 56
		.amdhsa_user_sgpr_count 6
		.amdhsa_user_sgpr_private_segment_buffer 1
		.amdhsa_user_sgpr_dispatch_ptr 0
		.amdhsa_user_sgpr_queue_ptr 0
		.amdhsa_user_sgpr_kernarg_segment_ptr 1
		.amdhsa_user_sgpr_dispatch_id 0
		.amdhsa_user_sgpr_flat_scratch_init 0
		.amdhsa_user_sgpr_kernarg_preload_length 0
		.amdhsa_user_sgpr_kernarg_preload_offset 0
		.amdhsa_user_sgpr_private_segment_size 0
		.amdhsa_uses_dynamic_stack 0
		.amdhsa_system_sgpr_private_segment_wavefront_offset 0
		.amdhsa_system_sgpr_workgroup_id_x 1
		.amdhsa_system_sgpr_workgroup_id_y 0
		.amdhsa_system_sgpr_workgroup_id_z 0
		.amdhsa_system_sgpr_workgroup_info 0
		.amdhsa_system_vgpr_workitem_id 0
		.amdhsa_next_free_vgpr 1
		.amdhsa_next_free_sgpr 0
		.amdhsa_accum_offset 4
		.amdhsa_reserve_vcc 0
		.amdhsa_reserve_flat_scratch 0
		.amdhsa_float_round_mode_32 0
		.amdhsa_float_round_mode_16_64 0
		.amdhsa_float_denorm_mode_32 3
		.amdhsa_float_denorm_mode_16_64 3
		.amdhsa_dx10_clamp 1
		.amdhsa_ieee_mode 1
		.amdhsa_fp16_overflow 0
		.amdhsa_tg_split 0
		.amdhsa_exception_fp_ieee_invalid_op 0
		.amdhsa_exception_fp_denorm_src 0
		.amdhsa_exception_fp_ieee_div_zero 0
		.amdhsa_exception_fp_ieee_overflow 0
		.amdhsa_exception_fp_ieee_underflow 0
		.amdhsa_exception_fp_ieee_inexact 0
		.amdhsa_exception_int_div_zero 0
	.end_amdhsa_kernel
	.section	.text._ZN7rocprim17ROCPRIM_400000_NS6detail17trampoline_kernelINS0_14default_configENS1_38merge_sort_block_merge_config_selectorIsNS0_10empty_typeEEEZZNS1_27merge_sort_block_merge_implIS3_N6thrust23THRUST_200600_302600_NS6detail15normal_iteratorINS9_10device_ptrIsEEEEPS5_m14custom_greaterIsEEE10hipError_tT0_T1_T2_jT3_P12ihipStream_tbPNSt15iterator_traitsISJ_E10value_typeEPNSP_ISK_E10value_typeEPSL_NS1_7vsmem_tEENKUlT_SJ_SK_SL_E_clIPsSE_SF_SF_EESI_SY_SJ_SK_SL_EUlSY_E1_NS1_11comp_targetILNS1_3genE2ELNS1_11target_archE906ELNS1_3gpuE6ELNS1_3repE0EEENS1_36merge_oddeven_config_static_selectorELNS0_4arch9wavefront6targetE1EEEvSK_,"axG",@progbits,_ZN7rocprim17ROCPRIM_400000_NS6detail17trampoline_kernelINS0_14default_configENS1_38merge_sort_block_merge_config_selectorIsNS0_10empty_typeEEEZZNS1_27merge_sort_block_merge_implIS3_N6thrust23THRUST_200600_302600_NS6detail15normal_iteratorINS9_10device_ptrIsEEEEPS5_m14custom_greaterIsEEE10hipError_tT0_T1_T2_jT3_P12ihipStream_tbPNSt15iterator_traitsISJ_E10value_typeEPNSP_ISK_E10value_typeEPSL_NS1_7vsmem_tEENKUlT_SJ_SK_SL_E_clIPsSE_SF_SF_EESI_SY_SJ_SK_SL_EUlSY_E1_NS1_11comp_targetILNS1_3genE2ELNS1_11target_archE906ELNS1_3gpuE6ELNS1_3repE0EEENS1_36merge_oddeven_config_static_selectorELNS0_4arch9wavefront6targetE1EEEvSK_,comdat
.Lfunc_end2958:
	.size	_ZN7rocprim17ROCPRIM_400000_NS6detail17trampoline_kernelINS0_14default_configENS1_38merge_sort_block_merge_config_selectorIsNS0_10empty_typeEEEZZNS1_27merge_sort_block_merge_implIS3_N6thrust23THRUST_200600_302600_NS6detail15normal_iteratorINS9_10device_ptrIsEEEEPS5_m14custom_greaterIsEEE10hipError_tT0_T1_T2_jT3_P12ihipStream_tbPNSt15iterator_traitsISJ_E10value_typeEPNSP_ISK_E10value_typeEPSL_NS1_7vsmem_tEENKUlT_SJ_SK_SL_E_clIPsSE_SF_SF_EESI_SY_SJ_SK_SL_EUlSY_E1_NS1_11comp_targetILNS1_3genE2ELNS1_11target_archE906ELNS1_3gpuE6ELNS1_3repE0EEENS1_36merge_oddeven_config_static_selectorELNS0_4arch9wavefront6targetE1EEEvSK_, .Lfunc_end2958-_ZN7rocprim17ROCPRIM_400000_NS6detail17trampoline_kernelINS0_14default_configENS1_38merge_sort_block_merge_config_selectorIsNS0_10empty_typeEEEZZNS1_27merge_sort_block_merge_implIS3_N6thrust23THRUST_200600_302600_NS6detail15normal_iteratorINS9_10device_ptrIsEEEEPS5_m14custom_greaterIsEEE10hipError_tT0_T1_T2_jT3_P12ihipStream_tbPNSt15iterator_traitsISJ_E10value_typeEPNSP_ISK_E10value_typeEPSL_NS1_7vsmem_tEENKUlT_SJ_SK_SL_E_clIPsSE_SF_SF_EESI_SY_SJ_SK_SL_EUlSY_E1_NS1_11comp_targetILNS1_3genE2ELNS1_11target_archE906ELNS1_3gpuE6ELNS1_3repE0EEENS1_36merge_oddeven_config_static_selectorELNS0_4arch9wavefront6targetE1EEEvSK_
                                        ; -- End function
	.section	.AMDGPU.csdata,"",@progbits
; Kernel info:
; codeLenInByte = 0
; NumSgprs: 4
; NumVgprs: 0
; NumAgprs: 0
; TotalNumVgprs: 0
; ScratchSize: 0
; MemoryBound: 0
; FloatMode: 240
; IeeeMode: 1
; LDSByteSize: 0 bytes/workgroup (compile time only)
; SGPRBlocks: 0
; VGPRBlocks: 0
; NumSGPRsForWavesPerEU: 4
; NumVGPRsForWavesPerEU: 1
; AccumOffset: 4
; Occupancy: 8
; WaveLimiterHint : 0
; COMPUTE_PGM_RSRC2:SCRATCH_EN: 0
; COMPUTE_PGM_RSRC2:USER_SGPR: 6
; COMPUTE_PGM_RSRC2:TRAP_HANDLER: 0
; COMPUTE_PGM_RSRC2:TGID_X_EN: 1
; COMPUTE_PGM_RSRC2:TGID_Y_EN: 0
; COMPUTE_PGM_RSRC2:TGID_Z_EN: 0
; COMPUTE_PGM_RSRC2:TIDIG_COMP_CNT: 0
; COMPUTE_PGM_RSRC3_GFX90A:ACCUM_OFFSET: 0
; COMPUTE_PGM_RSRC3_GFX90A:TG_SPLIT: 0
	.section	.text._ZN7rocprim17ROCPRIM_400000_NS6detail17trampoline_kernelINS0_14default_configENS1_38merge_sort_block_merge_config_selectorIsNS0_10empty_typeEEEZZNS1_27merge_sort_block_merge_implIS3_N6thrust23THRUST_200600_302600_NS6detail15normal_iteratorINS9_10device_ptrIsEEEEPS5_m14custom_greaterIsEEE10hipError_tT0_T1_T2_jT3_P12ihipStream_tbPNSt15iterator_traitsISJ_E10value_typeEPNSP_ISK_E10value_typeEPSL_NS1_7vsmem_tEENKUlT_SJ_SK_SL_E_clIPsSE_SF_SF_EESI_SY_SJ_SK_SL_EUlSY_E1_NS1_11comp_targetILNS1_3genE9ELNS1_11target_archE1100ELNS1_3gpuE3ELNS1_3repE0EEENS1_36merge_oddeven_config_static_selectorELNS0_4arch9wavefront6targetE1EEEvSK_,"axG",@progbits,_ZN7rocprim17ROCPRIM_400000_NS6detail17trampoline_kernelINS0_14default_configENS1_38merge_sort_block_merge_config_selectorIsNS0_10empty_typeEEEZZNS1_27merge_sort_block_merge_implIS3_N6thrust23THRUST_200600_302600_NS6detail15normal_iteratorINS9_10device_ptrIsEEEEPS5_m14custom_greaterIsEEE10hipError_tT0_T1_T2_jT3_P12ihipStream_tbPNSt15iterator_traitsISJ_E10value_typeEPNSP_ISK_E10value_typeEPSL_NS1_7vsmem_tEENKUlT_SJ_SK_SL_E_clIPsSE_SF_SF_EESI_SY_SJ_SK_SL_EUlSY_E1_NS1_11comp_targetILNS1_3genE9ELNS1_11target_archE1100ELNS1_3gpuE3ELNS1_3repE0EEENS1_36merge_oddeven_config_static_selectorELNS0_4arch9wavefront6targetE1EEEvSK_,comdat
	.protected	_ZN7rocprim17ROCPRIM_400000_NS6detail17trampoline_kernelINS0_14default_configENS1_38merge_sort_block_merge_config_selectorIsNS0_10empty_typeEEEZZNS1_27merge_sort_block_merge_implIS3_N6thrust23THRUST_200600_302600_NS6detail15normal_iteratorINS9_10device_ptrIsEEEEPS5_m14custom_greaterIsEEE10hipError_tT0_T1_T2_jT3_P12ihipStream_tbPNSt15iterator_traitsISJ_E10value_typeEPNSP_ISK_E10value_typeEPSL_NS1_7vsmem_tEENKUlT_SJ_SK_SL_E_clIPsSE_SF_SF_EESI_SY_SJ_SK_SL_EUlSY_E1_NS1_11comp_targetILNS1_3genE9ELNS1_11target_archE1100ELNS1_3gpuE3ELNS1_3repE0EEENS1_36merge_oddeven_config_static_selectorELNS0_4arch9wavefront6targetE1EEEvSK_ ; -- Begin function _ZN7rocprim17ROCPRIM_400000_NS6detail17trampoline_kernelINS0_14default_configENS1_38merge_sort_block_merge_config_selectorIsNS0_10empty_typeEEEZZNS1_27merge_sort_block_merge_implIS3_N6thrust23THRUST_200600_302600_NS6detail15normal_iteratorINS9_10device_ptrIsEEEEPS5_m14custom_greaterIsEEE10hipError_tT0_T1_T2_jT3_P12ihipStream_tbPNSt15iterator_traitsISJ_E10value_typeEPNSP_ISK_E10value_typeEPSL_NS1_7vsmem_tEENKUlT_SJ_SK_SL_E_clIPsSE_SF_SF_EESI_SY_SJ_SK_SL_EUlSY_E1_NS1_11comp_targetILNS1_3genE9ELNS1_11target_archE1100ELNS1_3gpuE3ELNS1_3repE0EEENS1_36merge_oddeven_config_static_selectorELNS0_4arch9wavefront6targetE1EEEvSK_
	.globl	_ZN7rocprim17ROCPRIM_400000_NS6detail17trampoline_kernelINS0_14default_configENS1_38merge_sort_block_merge_config_selectorIsNS0_10empty_typeEEEZZNS1_27merge_sort_block_merge_implIS3_N6thrust23THRUST_200600_302600_NS6detail15normal_iteratorINS9_10device_ptrIsEEEEPS5_m14custom_greaterIsEEE10hipError_tT0_T1_T2_jT3_P12ihipStream_tbPNSt15iterator_traitsISJ_E10value_typeEPNSP_ISK_E10value_typeEPSL_NS1_7vsmem_tEENKUlT_SJ_SK_SL_E_clIPsSE_SF_SF_EESI_SY_SJ_SK_SL_EUlSY_E1_NS1_11comp_targetILNS1_3genE9ELNS1_11target_archE1100ELNS1_3gpuE3ELNS1_3repE0EEENS1_36merge_oddeven_config_static_selectorELNS0_4arch9wavefront6targetE1EEEvSK_
	.p2align	8
	.type	_ZN7rocprim17ROCPRIM_400000_NS6detail17trampoline_kernelINS0_14default_configENS1_38merge_sort_block_merge_config_selectorIsNS0_10empty_typeEEEZZNS1_27merge_sort_block_merge_implIS3_N6thrust23THRUST_200600_302600_NS6detail15normal_iteratorINS9_10device_ptrIsEEEEPS5_m14custom_greaterIsEEE10hipError_tT0_T1_T2_jT3_P12ihipStream_tbPNSt15iterator_traitsISJ_E10value_typeEPNSP_ISK_E10value_typeEPSL_NS1_7vsmem_tEENKUlT_SJ_SK_SL_E_clIPsSE_SF_SF_EESI_SY_SJ_SK_SL_EUlSY_E1_NS1_11comp_targetILNS1_3genE9ELNS1_11target_archE1100ELNS1_3gpuE3ELNS1_3repE0EEENS1_36merge_oddeven_config_static_selectorELNS0_4arch9wavefront6targetE1EEEvSK_,@function
_ZN7rocprim17ROCPRIM_400000_NS6detail17trampoline_kernelINS0_14default_configENS1_38merge_sort_block_merge_config_selectorIsNS0_10empty_typeEEEZZNS1_27merge_sort_block_merge_implIS3_N6thrust23THRUST_200600_302600_NS6detail15normal_iteratorINS9_10device_ptrIsEEEEPS5_m14custom_greaterIsEEE10hipError_tT0_T1_T2_jT3_P12ihipStream_tbPNSt15iterator_traitsISJ_E10value_typeEPNSP_ISK_E10value_typeEPSL_NS1_7vsmem_tEENKUlT_SJ_SK_SL_E_clIPsSE_SF_SF_EESI_SY_SJ_SK_SL_EUlSY_E1_NS1_11comp_targetILNS1_3genE9ELNS1_11target_archE1100ELNS1_3gpuE3ELNS1_3repE0EEENS1_36merge_oddeven_config_static_selectorELNS0_4arch9wavefront6targetE1EEEvSK_: ; @_ZN7rocprim17ROCPRIM_400000_NS6detail17trampoline_kernelINS0_14default_configENS1_38merge_sort_block_merge_config_selectorIsNS0_10empty_typeEEEZZNS1_27merge_sort_block_merge_implIS3_N6thrust23THRUST_200600_302600_NS6detail15normal_iteratorINS9_10device_ptrIsEEEEPS5_m14custom_greaterIsEEE10hipError_tT0_T1_T2_jT3_P12ihipStream_tbPNSt15iterator_traitsISJ_E10value_typeEPNSP_ISK_E10value_typeEPSL_NS1_7vsmem_tEENKUlT_SJ_SK_SL_E_clIPsSE_SF_SF_EESI_SY_SJ_SK_SL_EUlSY_E1_NS1_11comp_targetILNS1_3genE9ELNS1_11target_archE1100ELNS1_3gpuE3ELNS1_3repE0EEENS1_36merge_oddeven_config_static_selectorELNS0_4arch9wavefront6targetE1EEEvSK_
; %bb.0:
	.section	.rodata,"a",@progbits
	.p2align	6, 0x0
	.amdhsa_kernel _ZN7rocprim17ROCPRIM_400000_NS6detail17trampoline_kernelINS0_14default_configENS1_38merge_sort_block_merge_config_selectorIsNS0_10empty_typeEEEZZNS1_27merge_sort_block_merge_implIS3_N6thrust23THRUST_200600_302600_NS6detail15normal_iteratorINS9_10device_ptrIsEEEEPS5_m14custom_greaterIsEEE10hipError_tT0_T1_T2_jT3_P12ihipStream_tbPNSt15iterator_traitsISJ_E10value_typeEPNSP_ISK_E10value_typeEPSL_NS1_7vsmem_tEENKUlT_SJ_SK_SL_E_clIPsSE_SF_SF_EESI_SY_SJ_SK_SL_EUlSY_E1_NS1_11comp_targetILNS1_3genE9ELNS1_11target_archE1100ELNS1_3gpuE3ELNS1_3repE0EEENS1_36merge_oddeven_config_static_selectorELNS0_4arch9wavefront6targetE1EEEvSK_
		.amdhsa_group_segment_fixed_size 0
		.amdhsa_private_segment_fixed_size 0
		.amdhsa_kernarg_size 56
		.amdhsa_user_sgpr_count 6
		.amdhsa_user_sgpr_private_segment_buffer 1
		.amdhsa_user_sgpr_dispatch_ptr 0
		.amdhsa_user_sgpr_queue_ptr 0
		.amdhsa_user_sgpr_kernarg_segment_ptr 1
		.amdhsa_user_sgpr_dispatch_id 0
		.amdhsa_user_sgpr_flat_scratch_init 0
		.amdhsa_user_sgpr_kernarg_preload_length 0
		.amdhsa_user_sgpr_kernarg_preload_offset 0
		.amdhsa_user_sgpr_private_segment_size 0
		.amdhsa_uses_dynamic_stack 0
		.amdhsa_system_sgpr_private_segment_wavefront_offset 0
		.amdhsa_system_sgpr_workgroup_id_x 1
		.amdhsa_system_sgpr_workgroup_id_y 0
		.amdhsa_system_sgpr_workgroup_id_z 0
		.amdhsa_system_sgpr_workgroup_info 0
		.amdhsa_system_vgpr_workitem_id 0
		.amdhsa_next_free_vgpr 1
		.amdhsa_next_free_sgpr 0
		.amdhsa_accum_offset 4
		.amdhsa_reserve_vcc 0
		.amdhsa_reserve_flat_scratch 0
		.amdhsa_float_round_mode_32 0
		.amdhsa_float_round_mode_16_64 0
		.amdhsa_float_denorm_mode_32 3
		.amdhsa_float_denorm_mode_16_64 3
		.amdhsa_dx10_clamp 1
		.amdhsa_ieee_mode 1
		.amdhsa_fp16_overflow 0
		.amdhsa_tg_split 0
		.amdhsa_exception_fp_ieee_invalid_op 0
		.amdhsa_exception_fp_denorm_src 0
		.amdhsa_exception_fp_ieee_div_zero 0
		.amdhsa_exception_fp_ieee_overflow 0
		.amdhsa_exception_fp_ieee_underflow 0
		.amdhsa_exception_fp_ieee_inexact 0
		.amdhsa_exception_int_div_zero 0
	.end_amdhsa_kernel
	.section	.text._ZN7rocprim17ROCPRIM_400000_NS6detail17trampoline_kernelINS0_14default_configENS1_38merge_sort_block_merge_config_selectorIsNS0_10empty_typeEEEZZNS1_27merge_sort_block_merge_implIS3_N6thrust23THRUST_200600_302600_NS6detail15normal_iteratorINS9_10device_ptrIsEEEEPS5_m14custom_greaterIsEEE10hipError_tT0_T1_T2_jT3_P12ihipStream_tbPNSt15iterator_traitsISJ_E10value_typeEPNSP_ISK_E10value_typeEPSL_NS1_7vsmem_tEENKUlT_SJ_SK_SL_E_clIPsSE_SF_SF_EESI_SY_SJ_SK_SL_EUlSY_E1_NS1_11comp_targetILNS1_3genE9ELNS1_11target_archE1100ELNS1_3gpuE3ELNS1_3repE0EEENS1_36merge_oddeven_config_static_selectorELNS0_4arch9wavefront6targetE1EEEvSK_,"axG",@progbits,_ZN7rocprim17ROCPRIM_400000_NS6detail17trampoline_kernelINS0_14default_configENS1_38merge_sort_block_merge_config_selectorIsNS0_10empty_typeEEEZZNS1_27merge_sort_block_merge_implIS3_N6thrust23THRUST_200600_302600_NS6detail15normal_iteratorINS9_10device_ptrIsEEEEPS5_m14custom_greaterIsEEE10hipError_tT0_T1_T2_jT3_P12ihipStream_tbPNSt15iterator_traitsISJ_E10value_typeEPNSP_ISK_E10value_typeEPSL_NS1_7vsmem_tEENKUlT_SJ_SK_SL_E_clIPsSE_SF_SF_EESI_SY_SJ_SK_SL_EUlSY_E1_NS1_11comp_targetILNS1_3genE9ELNS1_11target_archE1100ELNS1_3gpuE3ELNS1_3repE0EEENS1_36merge_oddeven_config_static_selectorELNS0_4arch9wavefront6targetE1EEEvSK_,comdat
.Lfunc_end2959:
	.size	_ZN7rocprim17ROCPRIM_400000_NS6detail17trampoline_kernelINS0_14default_configENS1_38merge_sort_block_merge_config_selectorIsNS0_10empty_typeEEEZZNS1_27merge_sort_block_merge_implIS3_N6thrust23THRUST_200600_302600_NS6detail15normal_iteratorINS9_10device_ptrIsEEEEPS5_m14custom_greaterIsEEE10hipError_tT0_T1_T2_jT3_P12ihipStream_tbPNSt15iterator_traitsISJ_E10value_typeEPNSP_ISK_E10value_typeEPSL_NS1_7vsmem_tEENKUlT_SJ_SK_SL_E_clIPsSE_SF_SF_EESI_SY_SJ_SK_SL_EUlSY_E1_NS1_11comp_targetILNS1_3genE9ELNS1_11target_archE1100ELNS1_3gpuE3ELNS1_3repE0EEENS1_36merge_oddeven_config_static_selectorELNS0_4arch9wavefront6targetE1EEEvSK_, .Lfunc_end2959-_ZN7rocprim17ROCPRIM_400000_NS6detail17trampoline_kernelINS0_14default_configENS1_38merge_sort_block_merge_config_selectorIsNS0_10empty_typeEEEZZNS1_27merge_sort_block_merge_implIS3_N6thrust23THRUST_200600_302600_NS6detail15normal_iteratorINS9_10device_ptrIsEEEEPS5_m14custom_greaterIsEEE10hipError_tT0_T1_T2_jT3_P12ihipStream_tbPNSt15iterator_traitsISJ_E10value_typeEPNSP_ISK_E10value_typeEPSL_NS1_7vsmem_tEENKUlT_SJ_SK_SL_E_clIPsSE_SF_SF_EESI_SY_SJ_SK_SL_EUlSY_E1_NS1_11comp_targetILNS1_3genE9ELNS1_11target_archE1100ELNS1_3gpuE3ELNS1_3repE0EEENS1_36merge_oddeven_config_static_selectorELNS0_4arch9wavefront6targetE1EEEvSK_
                                        ; -- End function
	.section	.AMDGPU.csdata,"",@progbits
; Kernel info:
; codeLenInByte = 0
; NumSgprs: 4
; NumVgprs: 0
; NumAgprs: 0
; TotalNumVgprs: 0
; ScratchSize: 0
; MemoryBound: 0
; FloatMode: 240
; IeeeMode: 1
; LDSByteSize: 0 bytes/workgroup (compile time only)
; SGPRBlocks: 0
; VGPRBlocks: 0
; NumSGPRsForWavesPerEU: 4
; NumVGPRsForWavesPerEU: 1
; AccumOffset: 4
; Occupancy: 8
; WaveLimiterHint : 0
; COMPUTE_PGM_RSRC2:SCRATCH_EN: 0
; COMPUTE_PGM_RSRC2:USER_SGPR: 6
; COMPUTE_PGM_RSRC2:TRAP_HANDLER: 0
; COMPUTE_PGM_RSRC2:TGID_X_EN: 1
; COMPUTE_PGM_RSRC2:TGID_Y_EN: 0
; COMPUTE_PGM_RSRC2:TGID_Z_EN: 0
; COMPUTE_PGM_RSRC2:TIDIG_COMP_CNT: 0
; COMPUTE_PGM_RSRC3_GFX90A:ACCUM_OFFSET: 0
; COMPUTE_PGM_RSRC3_GFX90A:TG_SPLIT: 0
	.section	.text._ZN7rocprim17ROCPRIM_400000_NS6detail17trampoline_kernelINS0_14default_configENS1_38merge_sort_block_merge_config_selectorIsNS0_10empty_typeEEEZZNS1_27merge_sort_block_merge_implIS3_N6thrust23THRUST_200600_302600_NS6detail15normal_iteratorINS9_10device_ptrIsEEEEPS5_m14custom_greaterIsEEE10hipError_tT0_T1_T2_jT3_P12ihipStream_tbPNSt15iterator_traitsISJ_E10value_typeEPNSP_ISK_E10value_typeEPSL_NS1_7vsmem_tEENKUlT_SJ_SK_SL_E_clIPsSE_SF_SF_EESI_SY_SJ_SK_SL_EUlSY_E1_NS1_11comp_targetILNS1_3genE8ELNS1_11target_archE1030ELNS1_3gpuE2ELNS1_3repE0EEENS1_36merge_oddeven_config_static_selectorELNS0_4arch9wavefront6targetE1EEEvSK_,"axG",@progbits,_ZN7rocprim17ROCPRIM_400000_NS6detail17trampoline_kernelINS0_14default_configENS1_38merge_sort_block_merge_config_selectorIsNS0_10empty_typeEEEZZNS1_27merge_sort_block_merge_implIS3_N6thrust23THRUST_200600_302600_NS6detail15normal_iteratorINS9_10device_ptrIsEEEEPS5_m14custom_greaterIsEEE10hipError_tT0_T1_T2_jT3_P12ihipStream_tbPNSt15iterator_traitsISJ_E10value_typeEPNSP_ISK_E10value_typeEPSL_NS1_7vsmem_tEENKUlT_SJ_SK_SL_E_clIPsSE_SF_SF_EESI_SY_SJ_SK_SL_EUlSY_E1_NS1_11comp_targetILNS1_3genE8ELNS1_11target_archE1030ELNS1_3gpuE2ELNS1_3repE0EEENS1_36merge_oddeven_config_static_selectorELNS0_4arch9wavefront6targetE1EEEvSK_,comdat
	.protected	_ZN7rocprim17ROCPRIM_400000_NS6detail17trampoline_kernelINS0_14default_configENS1_38merge_sort_block_merge_config_selectorIsNS0_10empty_typeEEEZZNS1_27merge_sort_block_merge_implIS3_N6thrust23THRUST_200600_302600_NS6detail15normal_iteratorINS9_10device_ptrIsEEEEPS5_m14custom_greaterIsEEE10hipError_tT0_T1_T2_jT3_P12ihipStream_tbPNSt15iterator_traitsISJ_E10value_typeEPNSP_ISK_E10value_typeEPSL_NS1_7vsmem_tEENKUlT_SJ_SK_SL_E_clIPsSE_SF_SF_EESI_SY_SJ_SK_SL_EUlSY_E1_NS1_11comp_targetILNS1_3genE8ELNS1_11target_archE1030ELNS1_3gpuE2ELNS1_3repE0EEENS1_36merge_oddeven_config_static_selectorELNS0_4arch9wavefront6targetE1EEEvSK_ ; -- Begin function _ZN7rocprim17ROCPRIM_400000_NS6detail17trampoline_kernelINS0_14default_configENS1_38merge_sort_block_merge_config_selectorIsNS0_10empty_typeEEEZZNS1_27merge_sort_block_merge_implIS3_N6thrust23THRUST_200600_302600_NS6detail15normal_iteratorINS9_10device_ptrIsEEEEPS5_m14custom_greaterIsEEE10hipError_tT0_T1_T2_jT3_P12ihipStream_tbPNSt15iterator_traitsISJ_E10value_typeEPNSP_ISK_E10value_typeEPSL_NS1_7vsmem_tEENKUlT_SJ_SK_SL_E_clIPsSE_SF_SF_EESI_SY_SJ_SK_SL_EUlSY_E1_NS1_11comp_targetILNS1_3genE8ELNS1_11target_archE1030ELNS1_3gpuE2ELNS1_3repE0EEENS1_36merge_oddeven_config_static_selectorELNS0_4arch9wavefront6targetE1EEEvSK_
	.globl	_ZN7rocprim17ROCPRIM_400000_NS6detail17trampoline_kernelINS0_14default_configENS1_38merge_sort_block_merge_config_selectorIsNS0_10empty_typeEEEZZNS1_27merge_sort_block_merge_implIS3_N6thrust23THRUST_200600_302600_NS6detail15normal_iteratorINS9_10device_ptrIsEEEEPS5_m14custom_greaterIsEEE10hipError_tT0_T1_T2_jT3_P12ihipStream_tbPNSt15iterator_traitsISJ_E10value_typeEPNSP_ISK_E10value_typeEPSL_NS1_7vsmem_tEENKUlT_SJ_SK_SL_E_clIPsSE_SF_SF_EESI_SY_SJ_SK_SL_EUlSY_E1_NS1_11comp_targetILNS1_3genE8ELNS1_11target_archE1030ELNS1_3gpuE2ELNS1_3repE0EEENS1_36merge_oddeven_config_static_selectorELNS0_4arch9wavefront6targetE1EEEvSK_
	.p2align	8
	.type	_ZN7rocprim17ROCPRIM_400000_NS6detail17trampoline_kernelINS0_14default_configENS1_38merge_sort_block_merge_config_selectorIsNS0_10empty_typeEEEZZNS1_27merge_sort_block_merge_implIS3_N6thrust23THRUST_200600_302600_NS6detail15normal_iteratorINS9_10device_ptrIsEEEEPS5_m14custom_greaterIsEEE10hipError_tT0_T1_T2_jT3_P12ihipStream_tbPNSt15iterator_traitsISJ_E10value_typeEPNSP_ISK_E10value_typeEPSL_NS1_7vsmem_tEENKUlT_SJ_SK_SL_E_clIPsSE_SF_SF_EESI_SY_SJ_SK_SL_EUlSY_E1_NS1_11comp_targetILNS1_3genE8ELNS1_11target_archE1030ELNS1_3gpuE2ELNS1_3repE0EEENS1_36merge_oddeven_config_static_selectorELNS0_4arch9wavefront6targetE1EEEvSK_,@function
_ZN7rocprim17ROCPRIM_400000_NS6detail17trampoline_kernelINS0_14default_configENS1_38merge_sort_block_merge_config_selectorIsNS0_10empty_typeEEEZZNS1_27merge_sort_block_merge_implIS3_N6thrust23THRUST_200600_302600_NS6detail15normal_iteratorINS9_10device_ptrIsEEEEPS5_m14custom_greaterIsEEE10hipError_tT0_T1_T2_jT3_P12ihipStream_tbPNSt15iterator_traitsISJ_E10value_typeEPNSP_ISK_E10value_typeEPSL_NS1_7vsmem_tEENKUlT_SJ_SK_SL_E_clIPsSE_SF_SF_EESI_SY_SJ_SK_SL_EUlSY_E1_NS1_11comp_targetILNS1_3genE8ELNS1_11target_archE1030ELNS1_3gpuE2ELNS1_3repE0EEENS1_36merge_oddeven_config_static_selectorELNS0_4arch9wavefront6targetE1EEEvSK_: ; @_ZN7rocprim17ROCPRIM_400000_NS6detail17trampoline_kernelINS0_14default_configENS1_38merge_sort_block_merge_config_selectorIsNS0_10empty_typeEEEZZNS1_27merge_sort_block_merge_implIS3_N6thrust23THRUST_200600_302600_NS6detail15normal_iteratorINS9_10device_ptrIsEEEEPS5_m14custom_greaterIsEEE10hipError_tT0_T1_T2_jT3_P12ihipStream_tbPNSt15iterator_traitsISJ_E10value_typeEPNSP_ISK_E10value_typeEPSL_NS1_7vsmem_tEENKUlT_SJ_SK_SL_E_clIPsSE_SF_SF_EESI_SY_SJ_SK_SL_EUlSY_E1_NS1_11comp_targetILNS1_3genE8ELNS1_11target_archE1030ELNS1_3gpuE2ELNS1_3repE0EEENS1_36merge_oddeven_config_static_selectorELNS0_4arch9wavefront6targetE1EEEvSK_
; %bb.0:
	.section	.rodata,"a",@progbits
	.p2align	6, 0x0
	.amdhsa_kernel _ZN7rocprim17ROCPRIM_400000_NS6detail17trampoline_kernelINS0_14default_configENS1_38merge_sort_block_merge_config_selectorIsNS0_10empty_typeEEEZZNS1_27merge_sort_block_merge_implIS3_N6thrust23THRUST_200600_302600_NS6detail15normal_iteratorINS9_10device_ptrIsEEEEPS5_m14custom_greaterIsEEE10hipError_tT0_T1_T2_jT3_P12ihipStream_tbPNSt15iterator_traitsISJ_E10value_typeEPNSP_ISK_E10value_typeEPSL_NS1_7vsmem_tEENKUlT_SJ_SK_SL_E_clIPsSE_SF_SF_EESI_SY_SJ_SK_SL_EUlSY_E1_NS1_11comp_targetILNS1_3genE8ELNS1_11target_archE1030ELNS1_3gpuE2ELNS1_3repE0EEENS1_36merge_oddeven_config_static_selectorELNS0_4arch9wavefront6targetE1EEEvSK_
		.amdhsa_group_segment_fixed_size 0
		.amdhsa_private_segment_fixed_size 0
		.amdhsa_kernarg_size 56
		.amdhsa_user_sgpr_count 6
		.amdhsa_user_sgpr_private_segment_buffer 1
		.amdhsa_user_sgpr_dispatch_ptr 0
		.amdhsa_user_sgpr_queue_ptr 0
		.amdhsa_user_sgpr_kernarg_segment_ptr 1
		.amdhsa_user_sgpr_dispatch_id 0
		.amdhsa_user_sgpr_flat_scratch_init 0
		.amdhsa_user_sgpr_kernarg_preload_length 0
		.amdhsa_user_sgpr_kernarg_preload_offset 0
		.amdhsa_user_sgpr_private_segment_size 0
		.amdhsa_uses_dynamic_stack 0
		.amdhsa_system_sgpr_private_segment_wavefront_offset 0
		.amdhsa_system_sgpr_workgroup_id_x 1
		.amdhsa_system_sgpr_workgroup_id_y 0
		.amdhsa_system_sgpr_workgroup_id_z 0
		.amdhsa_system_sgpr_workgroup_info 0
		.amdhsa_system_vgpr_workitem_id 0
		.amdhsa_next_free_vgpr 1
		.amdhsa_next_free_sgpr 0
		.amdhsa_accum_offset 4
		.amdhsa_reserve_vcc 0
		.amdhsa_reserve_flat_scratch 0
		.amdhsa_float_round_mode_32 0
		.amdhsa_float_round_mode_16_64 0
		.amdhsa_float_denorm_mode_32 3
		.amdhsa_float_denorm_mode_16_64 3
		.amdhsa_dx10_clamp 1
		.amdhsa_ieee_mode 1
		.amdhsa_fp16_overflow 0
		.amdhsa_tg_split 0
		.amdhsa_exception_fp_ieee_invalid_op 0
		.amdhsa_exception_fp_denorm_src 0
		.amdhsa_exception_fp_ieee_div_zero 0
		.amdhsa_exception_fp_ieee_overflow 0
		.amdhsa_exception_fp_ieee_underflow 0
		.amdhsa_exception_fp_ieee_inexact 0
		.amdhsa_exception_int_div_zero 0
	.end_amdhsa_kernel
	.section	.text._ZN7rocprim17ROCPRIM_400000_NS6detail17trampoline_kernelINS0_14default_configENS1_38merge_sort_block_merge_config_selectorIsNS0_10empty_typeEEEZZNS1_27merge_sort_block_merge_implIS3_N6thrust23THRUST_200600_302600_NS6detail15normal_iteratorINS9_10device_ptrIsEEEEPS5_m14custom_greaterIsEEE10hipError_tT0_T1_T2_jT3_P12ihipStream_tbPNSt15iterator_traitsISJ_E10value_typeEPNSP_ISK_E10value_typeEPSL_NS1_7vsmem_tEENKUlT_SJ_SK_SL_E_clIPsSE_SF_SF_EESI_SY_SJ_SK_SL_EUlSY_E1_NS1_11comp_targetILNS1_3genE8ELNS1_11target_archE1030ELNS1_3gpuE2ELNS1_3repE0EEENS1_36merge_oddeven_config_static_selectorELNS0_4arch9wavefront6targetE1EEEvSK_,"axG",@progbits,_ZN7rocprim17ROCPRIM_400000_NS6detail17trampoline_kernelINS0_14default_configENS1_38merge_sort_block_merge_config_selectorIsNS0_10empty_typeEEEZZNS1_27merge_sort_block_merge_implIS3_N6thrust23THRUST_200600_302600_NS6detail15normal_iteratorINS9_10device_ptrIsEEEEPS5_m14custom_greaterIsEEE10hipError_tT0_T1_T2_jT3_P12ihipStream_tbPNSt15iterator_traitsISJ_E10value_typeEPNSP_ISK_E10value_typeEPSL_NS1_7vsmem_tEENKUlT_SJ_SK_SL_E_clIPsSE_SF_SF_EESI_SY_SJ_SK_SL_EUlSY_E1_NS1_11comp_targetILNS1_3genE8ELNS1_11target_archE1030ELNS1_3gpuE2ELNS1_3repE0EEENS1_36merge_oddeven_config_static_selectorELNS0_4arch9wavefront6targetE1EEEvSK_,comdat
.Lfunc_end2960:
	.size	_ZN7rocprim17ROCPRIM_400000_NS6detail17trampoline_kernelINS0_14default_configENS1_38merge_sort_block_merge_config_selectorIsNS0_10empty_typeEEEZZNS1_27merge_sort_block_merge_implIS3_N6thrust23THRUST_200600_302600_NS6detail15normal_iteratorINS9_10device_ptrIsEEEEPS5_m14custom_greaterIsEEE10hipError_tT0_T1_T2_jT3_P12ihipStream_tbPNSt15iterator_traitsISJ_E10value_typeEPNSP_ISK_E10value_typeEPSL_NS1_7vsmem_tEENKUlT_SJ_SK_SL_E_clIPsSE_SF_SF_EESI_SY_SJ_SK_SL_EUlSY_E1_NS1_11comp_targetILNS1_3genE8ELNS1_11target_archE1030ELNS1_3gpuE2ELNS1_3repE0EEENS1_36merge_oddeven_config_static_selectorELNS0_4arch9wavefront6targetE1EEEvSK_, .Lfunc_end2960-_ZN7rocprim17ROCPRIM_400000_NS6detail17trampoline_kernelINS0_14default_configENS1_38merge_sort_block_merge_config_selectorIsNS0_10empty_typeEEEZZNS1_27merge_sort_block_merge_implIS3_N6thrust23THRUST_200600_302600_NS6detail15normal_iteratorINS9_10device_ptrIsEEEEPS5_m14custom_greaterIsEEE10hipError_tT0_T1_T2_jT3_P12ihipStream_tbPNSt15iterator_traitsISJ_E10value_typeEPNSP_ISK_E10value_typeEPSL_NS1_7vsmem_tEENKUlT_SJ_SK_SL_E_clIPsSE_SF_SF_EESI_SY_SJ_SK_SL_EUlSY_E1_NS1_11comp_targetILNS1_3genE8ELNS1_11target_archE1030ELNS1_3gpuE2ELNS1_3repE0EEENS1_36merge_oddeven_config_static_selectorELNS0_4arch9wavefront6targetE1EEEvSK_
                                        ; -- End function
	.section	.AMDGPU.csdata,"",@progbits
; Kernel info:
; codeLenInByte = 0
; NumSgprs: 4
; NumVgprs: 0
; NumAgprs: 0
; TotalNumVgprs: 0
; ScratchSize: 0
; MemoryBound: 0
; FloatMode: 240
; IeeeMode: 1
; LDSByteSize: 0 bytes/workgroup (compile time only)
; SGPRBlocks: 0
; VGPRBlocks: 0
; NumSGPRsForWavesPerEU: 4
; NumVGPRsForWavesPerEU: 1
; AccumOffset: 4
; Occupancy: 8
; WaveLimiterHint : 0
; COMPUTE_PGM_RSRC2:SCRATCH_EN: 0
; COMPUTE_PGM_RSRC2:USER_SGPR: 6
; COMPUTE_PGM_RSRC2:TRAP_HANDLER: 0
; COMPUTE_PGM_RSRC2:TGID_X_EN: 1
; COMPUTE_PGM_RSRC2:TGID_Y_EN: 0
; COMPUTE_PGM_RSRC2:TGID_Z_EN: 0
; COMPUTE_PGM_RSRC2:TIDIG_COMP_CNT: 0
; COMPUTE_PGM_RSRC3_GFX90A:ACCUM_OFFSET: 0
; COMPUTE_PGM_RSRC3_GFX90A:TG_SPLIT: 0
	.section	.text._ZN7rocprim17ROCPRIM_400000_NS6detail17trampoline_kernelINS0_14default_configENS1_38merge_sort_block_merge_config_selectorIsNS0_10empty_typeEEEZZNS1_27merge_sort_block_merge_implIS3_N6thrust23THRUST_200600_302600_NS6detail15normal_iteratorINS9_10device_ptrIsEEEEPS5_m14custom_greaterIsEEE10hipError_tT0_T1_T2_jT3_P12ihipStream_tbPNSt15iterator_traitsISJ_E10value_typeEPNSP_ISK_E10value_typeEPSL_NS1_7vsmem_tEENKUlT_SJ_SK_SL_E_clISE_PsSF_SF_EESI_SY_SJ_SK_SL_EUlSY_E_NS1_11comp_targetILNS1_3genE0ELNS1_11target_archE4294967295ELNS1_3gpuE0ELNS1_3repE0EEENS1_48merge_mergepath_partition_config_static_selectorELNS0_4arch9wavefront6targetE1EEEvSK_,"axG",@progbits,_ZN7rocprim17ROCPRIM_400000_NS6detail17trampoline_kernelINS0_14default_configENS1_38merge_sort_block_merge_config_selectorIsNS0_10empty_typeEEEZZNS1_27merge_sort_block_merge_implIS3_N6thrust23THRUST_200600_302600_NS6detail15normal_iteratorINS9_10device_ptrIsEEEEPS5_m14custom_greaterIsEEE10hipError_tT0_T1_T2_jT3_P12ihipStream_tbPNSt15iterator_traitsISJ_E10value_typeEPNSP_ISK_E10value_typeEPSL_NS1_7vsmem_tEENKUlT_SJ_SK_SL_E_clISE_PsSF_SF_EESI_SY_SJ_SK_SL_EUlSY_E_NS1_11comp_targetILNS1_3genE0ELNS1_11target_archE4294967295ELNS1_3gpuE0ELNS1_3repE0EEENS1_48merge_mergepath_partition_config_static_selectorELNS0_4arch9wavefront6targetE1EEEvSK_,comdat
	.protected	_ZN7rocprim17ROCPRIM_400000_NS6detail17trampoline_kernelINS0_14default_configENS1_38merge_sort_block_merge_config_selectorIsNS0_10empty_typeEEEZZNS1_27merge_sort_block_merge_implIS3_N6thrust23THRUST_200600_302600_NS6detail15normal_iteratorINS9_10device_ptrIsEEEEPS5_m14custom_greaterIsEEE10hipError_tT0_T1_T2_jT3_P12ihipStream_tbPNSt15iterator_traitsISJ_E10value_typeEPNSP_ISK_E10value_typeEPSL_NS1_7vsmem_tEENKUlT_SJ_SK_SL_E_clISE_PsSF_SF_EESI_SY_SJ_SK_SL_EUlSY_E_NS1_11comp_targetILNS1_3genE0ELNS1_11target_archE4294967295ELNS1_3gpuE0ELNS1_3repE0EEENS1_48merge_mergepath_partition_config_static_selectorELNS0_4arch9wavefront6targetE1EEEvSK_ ; -- Begin function _ZN7rocprim17ROCPRIM_400000_NS6detail17trampoline_kernelINS0_14default_configENS1_38merge_sort_block_merge_config_selectorIsNS0_10empty_typeEEEZZNS1_27merge_sort_block_merge_implIS3_N6thrust23THRUST_200600_302600_NS6detail15normal_iteratorINS9_10device_ptrIsEEEEPS5_m14custom_greaterIsEEE10hipError_tT0_T1_T2_jT3_P12ihipStream_tbPNSt15iterator_traitsISJ_E10value_typeEPNSP_ISK_E10value_typeEPSL_NS1_7vsmem_tEENKUlT_SJ_SK_SL_E_clISE_PsSF_SF_EESI_SY_SJ_SK_SL_EUlSY_E_NS1_11comp_targetILNS1_3genE0ELNS1_11target_archE4294967295ELNS1_3gpuE0ELNS1_3repE0EEENS1_48merge_mergepath_partition_config_static_selectorELNS0_4arch9wavefront6targetE1EEEvSK_
	.globl	_ZN7rocprim17ROCPRIM_400000_NS6detail17trampoline_kernelINS0_14default_configENS1_38merge_sort_block_merge_config_selectorIsNS0_10empty_typeEEEZZNS1_27merge_sort_block_merge_implIS3_N6thrust23THRUST_200600_302600_NS6detail15normal_iteratorINS9_10device_ptrIsEEEEPS5_m14custom_greaterIsEEE10hipError_tT0_T1_T2_jT3_P12ihipStream_tbPNSt15iterator_traitsISJ_E10value_typeEPNSP_ISK_E10value_typeEPSL_NS1_7vsmem_tEENKUlT_SJ_SK_SL_E_clISE_PsSF_SF_EESI_SY_SJ_SK_SL_EUlSY_E_NS1_11comp_targetILNS1_3genE0ELNS1_11target_archE4294967295ELNS1_3gpuE0ELNS1_3repE0EEENS1_48merge_mergepath_partition_config_static_selectorELNS0_4arch9wavefront6targetE1EEEvSK_
	.p2align	8
	.type	_ZN7rocprim17ROCPRIM_400000_NS6detail17trampoline_kernelINS0_14default_configENS1_38merge_sort_block_merge_config_selectorIsNS0_10empty_typeEEEZZNS1_27merge_sort_block_merge_implIS3_N6thrust23THRUST_200600_302600_NS6detail15normal_iteratorINS9_10device_ptrIsEEEEPS5_m14custom_greaterIsEEE10hipError_tT0_T1_T2_jT3_P12ihipStream_tbPNSt15iterator_traitsISJ_E10value_typeEPNSP_ISK_E10value_typeEPSL_NS1_7vsmem_tEENKUlT_SJ_SK_SL_E_clISE_PsSF_SF_EESI_SY_SJ_SK_SL_EUlSY_E_NS1_11comp_targetILNS1_3genE0ELNS1_11target_archE4294967295ELNS1_3gpuE0ELNS1_3repE0EEENS1_48merge_mergepath_partition_config_static_selectorELNS0_4arch9wavefront6targetE1EEEvSK_,@function
_ZN7rocprim17ROCPRIM_400000_NS6detail17trampoline_kernelINS0_14default_configENS1_38merge_sort_block_merge_config_selectorIsNS0_10empty_typeEEEZZNS1_27merge_sort_block_merge_implIS3_N6thrust23THRUST_200600_302600_NS6detail15normal_iteratorINS9_10device_ptrIsEEEEPS5_m14custom_greaterIsEEE10hipError_tT0_T1_T2_jT3_P12ihipStream_tbPNSt15iterator_traitsISJ_E10value_typeEPNSP_ISK_E10value_typeEPSL_NS1_7vsmem_tEENKUlT_SJ_SK_SL_E_clISE_PsSF_SF_EESI_SY_SJ_SK_SL_EUlSY_E_NS1_11comp_targetILNS1_3genE0ELNS1_11target_archE4294967295ELNS1_3gpuE0ELNS1_3repE0EEENS1_48merge_mergepath_partition_config_static_selectorELNS0_4arch9wavefront6targetE1EEEvSK_: ; @_ZN7rocprim17ROCPRIM_400000_NS6detail17trampoline_kernelINS0_14default_configENS1_38merge_sort_block_merge_config_selectorIsNS0_10empty_typeEEEZZNS1_27merge_sort_block_merge_implIS3_N6thrust23THRUST_200600_302600_NS6detail15normal_iteratorINS9_10device_ptrIsEEEEPS5_m14custom_greaterIsEEE10hipError_tT0_T1_T2_jT3_P12ihipStream_tbPNSt15iterator_traitsISJ_E10value_typeEPNSP_ISK_E10value_typeEPSL_NS1_7vsmem_tEENKUlT_SJ_SK_SL_E_clISE_PsSF_SF_EESI_SY_SJ_SK_SL_EUlSY_E_NS1_11comp_targetILNS1_3genE0ELNS1_11target_archE4294967295ELNS1_3gpuE0ELNS1_3repE0EEENS1_48merge_mergepath_partition_config_static_selectorELNS0_4arch9wavefront6targetE1EEEvSK_
; %bb.0:
	.section	.rodata,"a",@progbits
	.p2align	6, 0x0
	.amdhsa_kernel _ZN7rocprim17ROCPRIM_400000_NS6detail17trampoline_kernelINS0_14default_configENS1_38merge_sort_block_merge_config_selectorIsNS0_10empty_typeEEEZZNS1_27merge_sort_block_merge_implIS3_N6thrust23THRUST_200600_302600_NS6detail15normal_iteratorINS9_10device_ptrIsEEEEPS5_m14custom_greaterIsEEE10hipError_tT0_T1_T2_jT3_P12ihipStream_tbPNSt15iterator_traitsISJ_E10value_typeEPNSP_ISK_E10value_typeEPSL_NS1_7vsmem_tEENKUlT_SJ_SK_SL_E_clISE_PsSF_SF_EESI_SY_SJ_SK_SL_EUlSY_E_NS1_11comp_targetILNS1_3genE0ELNS1_11target_archE4294967295ELNS1_3gpuE0ELNS1_3repE0EEENS1_48merge_mergepath_partition_config_static_selectorELNS0_4arch9wavefront6targetE1EEEvSK_
		.amdhsa_group_segment_fixed_size 0
		.amdhsa_private_segment_fixed_size 0
		.amdhsa_kernarg_size 48
		.amdhsa_user_sgpr_count 6
		.amdhsa_user_sgpr_private_segment_buffer 1
		.amdhsa_user_sgpr_dispatch_ptr 0
		.amdhsa_user_sgpr_queue_ptr 0
		.amdhsa_user_sgpr_kernarg_segment_ptr 1
		.amdhsa_user_sgpr_dispatch_id 0
		.amdhsa_user_sgpr_flat_scratch_init 0
		.amdhsa_user_sgpr_kernarg_preload_length 0
		.amdhsa_user_sgpr_kernarg_preload_offset 0
		.amdhsa_user_sgpr_private_segment_size 0
		.amdhsa_uses_dynamic_stack 0
		.amdhsa_system_sgpr_private_segment_wavefront_offset 0
		.amdhsa_system_sgpr_workgroup_id_x 1
		.amdhsa_system_sgpr_workgroup_id_y 0
		.amdhsa_system_sgpr_workgroup_id_z 0
		.amdhsa_system_sgpr_workgroup_info 0
		.amdhsa_system_vgpr_workitem_id 0
		.amdhsa_next_free_vgpr 1
		.amdhsa_next_free_sgpr 0
		.amdhsa_accum_offset 4
		.amdhsa_reserve_vcc 0
		.amdhsa_reserve_flat_scratch 0
		.amdhsa_float_round_mode_32 0
		.amdhsa_float_round_mode_16_64 0
		.amdhsa_float_denorm_mode_32 3
		.amdhsa_float_denorm_mode_16_64 3
		.amdhsa_dx10_clamp 1
		.amdhsa_ieee_mode 1
		.amdhsa_fp16_overflow 0
		.amdhsa_tg_split 0
		.amdhsa_exception_fp_ieee_invalid_op 0
		.amdhsa_exception_fp_denorm_src 0
		.amdhsa_exception_fp_ieee_div_zero 0
		.amdhsa_exception_fp_ieee_overflow 0
		.amdhsa_exception_fp_ieee_underflow 0
		.amdhsa_exception_fp_ieee_inexact 0
		.amdhsa_exception_int_div_zero 0
	.end_amdhsa_kernel
	.section	.text._ZN7rocprim17ROCPRIM_400000_NS6detail17trampoline_kernelINS0_14default_configENS1_38merge_sort_block_merge_config_selectorIsNS0_10empty_typeEEEZZNS1_27merge_sort_block_merge_implIS3_N6thrust23THRUST_200600_302600_NS6detail15normal_iteratorINS9_10device_ptrIsEEEEPS5_m14custom_greaterIsEEE10hipError_tT0_T1_T2_jT3_P12ihipStream_tbPNSt15iterator_traitsISJ_E10value_typeEPNSP_ISK_E10value_typeEPSL_NS1_7vsmem_tEENKUlT_SJ_SK_SL_E_clISE_PsSF_SF_EESI_SY_SJ_SK_SL_EUlSY_E_NS1_11comp_targetILNS1_3genE0ELNS1_11target_archE4294967295ELNS1_3gpuE0ELNS1_3repE0EEENS1_48merge_mergepath_partition_config_static_selectorELNS0_4arch9wavefront6targetE1EEEvSK_,"axG",@progbits,_ZN7rocprim17ROCPRIM_400000_NS6detail17trampoline_kernelINS0_14default_configENS1_38merge_sort_block_merge_config_selectorIsNS0_10empty_typeEEEZZNS1_27merge_sort_block_merge_implIS3_N6thrust23THRUST_200600_302600_NS6detail15normal_iteratorINS9_10device_ptrIsEEEEPS5_m14custom_greaterIsEEE10hipError_tT0_T1_T2_jT3_P12ihipStream_tbPNSt15iterator_traitsISJ_E10value_typeEPNSP_ISK_E10value_typeEPSL_NS1_7vsmem_tEENKUlT_SJ_SK_SL_E_clISE_PsSF_SF_EESI_SY_SJ_SK_SL_EUlSY_E_NS1_11comp_targetILNS1_3genE0ELNS1_11target_archE4294967295ELNS1_3gpuE0ELNS1_3repE0EEENS1_48merge_mergepath_partition_config_static_selectorELNS0_4arch9wavefront6targetE1EEEvSK_,comdat
.Lfunc_end2961:
	.size	_ZN7rocprim17ROCPRIM_400000_NS6detail17trampoline_kernelINS0_14default_configENS1_38merge_sort_block_merge_config_selectorIsNS0_10empty_typeEEEZZNS1_27merge_sort_block_merge_implIS3_N6thrust23THRUST_200600_302600_NS6detail15normal_iteratorINS9_10device_ptrIsEEEEPS5_m14custom_greaterIsEEE10hipError_tT0_T1_T2_jT3_P12ihipStream_tbPNSt15iterator_traitsISJ_E10value_typeEPNSP_ISK_E10value_typeEPSL_NS1_7vsmem_tEENKUlT_SJ_SK_SL_E_clISE_PsSF_SF_EESI_SY_SJ_SK_SL_EUlSY_E_NS1_11comp_targetILNS1_3genE0ELNS1_11target_archE4294967295ELNS1_3gpuE0ELNS1_3repE0EEENS1_48merge_mergepath_partition_config_static_selectorELNS0_4arch9wavefront6targetE1EEEvSK_, .Lfunc_end2961-_ZN7rocprim17ROCPRIM_400000_NS6detail17trampoline_kernelINS0_14default_configENS1_38merge_sort_block_merge_config_selectorIsNS0_10empty_typeEEEZZNS1_27merge_sort_block_merge_implIS3_N6thrust23THRUST_200600_302600_NS6detail15normal_iteratorINS9_10device_ptrIsEEEEPS5_m14custom_greaterIsEEE10hipError_tT0_T1_T2_jT3_P12ihipStream_tbPNSt15iterator_traitsISJ_E10value_typeEPNSP_ISK_E10value_typeEPSL_NS1_7vsmem_tEENKUlT_SJ_SK_SL_E_clISE_PsSF_SF_EESI_SY_SJ_SK_SL_EUlSY_E_NS1_11comp_targetILNS1_3genE0ELNS1_11target_archE4294967295ELNS1_3gpuE0ELNS1_3repE0EEENS1_48merge_mergepath_partition_config_static_selectorELNS0_4arch9wavefront6targetE1EEEvSK_
                                        ; -- End function
	.section	.AMDGPU.csdata,"",@progbits
; Kernel info:
; codeLenInByte = 0
; NumSgprs: 4
; NumVgprs: 0
; NumAgprs: 0
; TotalNumVgprs: 0
; ScratchSize: 0
; MemoryBound: 0
; FloatMode: 240
; IeeeMode: 1
; LDSByteSize: 0 bytes/workgroup (compile time only)
; SGPRBlocks: 0
; VGPRBlocks: 0
; NumSGPRsForWavesPerEU: 4
; NumVGPRsForWavesPerEU: 1
; AccumOffset: 4
; Occupancy: 8
; WaveLimiterHint : 0
; COMPUTE_PGM_RSRC2:SCRATCH_EN: 0
; COMPUTE_PGM_RSRC2:USER_SGPR: 6
; COMPUTE_PGM_RSRC2:TRAP_HANDLER: 0
; COMPUTE_PGM_RSRC2:TGID_X_EN: 1
; COMPUTE_PGM_RSRC2:TGID_Y_EN: 0
; COMPUTE_PGM_RSRC2:TGID_Z_EN: 0
; COMPUTE_PGM_RSRC2:TIDIG_COMP_CNT: 0
; COMPUTE_PGM_RSRC3_GFX90A:ACCUM_OFFSET: 0
; COMPUTE_PGM_RSRC3_GFX90A:TG_SPLIT: 0
	.section	.text._ZN7rocprim17ROCPRIM_400000_NS6detail17trampoline_kernelINS0_14default_configENS1_38merge_sort_block_merge_config_selectorIsNS0_10empty_typeEEEZZNS1_27merge_sort_block_merge_implIS3_N6thrust23THRUST_200600_302600_NS6detail15normal_iteratorINS9_10device_ptrIsEEEEPS5_m14custom_greaterIsEEE10hipError_tT0_T1_T2_jT3_P12ihipStream_tbPNSt15iterator_traitsISJ_E10value_typeEPNSP_ISK_E10value_typeEPSL_NS1_7vsmem_tEENKUlT_SJ_SK_SL_E_clISE_PsSF_SF_EESI_SY_SJ_SK_SL_EUlSY_E_NS1_11comp_targetILNS1_3genE10ELNS1_11target_archE1201ELNS1_3gpuE5ELNS1_3repE0EEENS1_48merge_mergepath_partition_config_static_selectorELNS0_4arch9wavefront6targetE1EEEvSK_,"axG",@progbits,_ZN7rocprim17ROCPRIM_400000_NS6detail17trampoline_kernelINS0_14default_configENS1_38merge_sort_block_merge_config_selectorIsNS0_10empty_typeEEEZZNS1_27merge_sort_block_merge_implIS3_N6thrust23THRUST_200600_302600_NS6detail15normal_iteratorINS9_10device_ptrIsEEEEPS5_m14custom_greaterIsEEE10hipError_tT0_T1_T2_jT3_P12ihipStream_tbPNSt15iterator_traitsISJ_E10value_typeEPNSP_ISK_E10value_typeEPSL_NS1_7vsmem_tEENKUlT_SJ_SK_SL_E_clISE_PsSF_SF_EESI_SY_SJ_SK_SL_EUlSY_E_NS1_11comp_targetILNS1_3genE10ELNS1_11target_archE1201ELNS1_3gpuE5ELNS1_3repE0EEENS1_48merge_mergepath_partition_config_static_selectorELNS0_4arch9wavefront6targetE1EEEvSK_,comdat
	.protected	_ZN7rocprim17ROCPRIM_400000_NS6detail17trampoline_kernelINS0_14default_configENS1_38merge_sort_block_merge_config_selectorIsNS0_10empty_typeEEEZZNS1_27merge_sort_block_merge_implIS3_N6thrust23THRUST_200600_302600_NS6detail15normal_iteratorINS9_10device_ptrIsEEEEPS5_m14custom_greaterIsEEE10hipError_tT0_T1_T2_jT3_P12ihipStream_tbPNSt15iterator_traitsISJ_E10value_typeEPNSP_ISK_E10value_typeEPSL_NS1_7vsmem_tEENKUlT_SJ_SK_SL_E_clISE_PsSF_SF_EESI_SY_SJ_SK_SL_EUlSY_E_NS1_11comp_targetILNS1_3genE10ELNS1_11target_archE1201ELNS1_3gpuE5ELNS1_3repE0EEENS1_48merge_mergepath_partition_config_static_selectorELNS0_4arch9wavefront6targetE1EEEvSK_ ; -- Begin function _ZN7rocprim17ROCPRIM_400000_NS6detail17trampoline_kernelINS0_14default_configENS1_38merge_sort_block_merge_config_selectorIsNS0_10empty_typeEEEZZNS1_27merge_sort_block_merge_implIS3_N6thrust23THRUST_200600_302600_NS6detail15normal_iteratorINS9_10device_ptrIsEEEEPS5_m14custom_greaterIsEEE10hipError_tT0_T1_T2_jT3_P12ihipStream_tbPNSt15iterator_traitsISJ_E10value_typeEPNSP_ISK_E10value_typeEPSL_NS1_7vsmem_tEENKUlT_SJ_SK_SL_E_clISE_PsSF_SF_EESI_SY_SJ_SK_SL_EUlSY_E_NS1_11comp_targetILNS1_3genE10ELNS1_11target_archE1201ELNS1_3gpuE5ELNS1_3repE0EEENS1_48merge_mergepath_partition_config_static_selectorELNS0_4arch9wavefront6targetE1EEEvSK_
	.globl	_ZN7rocprim17ROCPRIM_400000_NS6detail17trampoline_kernelINS0_14default_configENS1_38merge_sort_block_merge_config_selectorIsNS0_10empty_typeEEEZZNS1_27merge_sort_block_merge_implIS3_N6thrust23THRUST_200600_302600_NS6detail15normal_iteratorINS9_10device_ptrIsEEEEPS5_m14custom_greaterIsEEE10hipError_tT0_T1_T2_jT3_P12ihipStream_tbPNSt15iterator_traitsISJ_E10value_typeEPNSP_ISK_E10value_typeEPSL_NS1_7vsmem_tEENKUlT_SJ_SK_SL_E_clISE_PsSF_SF_EESI_SY_SJ_SK_SL_EUlSY_E_NS1_11comp_targetILNS1_3genE10ELNS1_11target_archE1201ELNS1_3gpuE5ELNS1_3repE0EEENS1_48merge_mergepath_partition_config_static_selectorELNS0_4arch9wavefront6targetE1EEEvSK_
	.p2align	8
	.type	_ZN7rocprim17ROCPRIM_400000_NS6detail17trampoline_kernelINS0_14default_configENS1_38merge_sort_block_merge_config_selectorIsNS0_10empty_typeEEEZZNS1_27merge_sort_block_merge_implIS3_N6thrust23THRUST_200600_302600_NS6detail15normal_iteratorINS9_10device_ptrIsEEEEPS5_m14custom_greaterIsEEE10hipError_tT0_T1_T2_jT3_P12ihipStream_tbPNSt15iterator_traitsISJ_E10value_typeEPNSP_ISK_E10value_typeEPSL_NS1_7vsmem_tEENKUlT_SJ_SK_SL_E_clISE_PsSF_SF_EESI_SY_SJ_SK_SL_EUlSY_E_NS1_11comp_targetILNS1_3genE10ELNS1_11target_archE1201ELNS1_3gpuE5ELNS1_3repE0EEENS1_48merge_mergepath_partition_config_static_selectorELNS0_4arch9wavefront6targetE1EEEvSK_,@function
_ZN7rocprim17ROCPRIM_400000_NS6detail17trampoline_kernelINS0_14default_configENS1_38merge_sort_block_merge_config_selectorIsNS0_10empty_typeEEEZZNS1_27merge_sort_block_merge_implIS3_N6thrust23THRUST_200600_302600_NS6detail15normal_iteratorINS9_10device_ptrIsEEEEPS5_m14custom_greaterIsEEE10hipError_tT0_T1_T2_jT3_P12ihipStream_tbPNSt15iterator_traitsISJ_E10value_typeEPNSP_ISK_E10value_typeEPSL_NS1_7vsmem_tEENKUlT_SJ_SK_SL_E_clISE_PsSF_SF_EESI_SY_SJ_SK_SL_EUlSY_E_NS1_11comp_targetILNS1_3genE10ELNS1_11target_archE1201ELNS1_3gpuE5ELNS1_3repE0EEENS1_48merge_mergepath_partition_config_static_selectorELNS0_4arch9wavefront6targetE1EEEvSK_: ; @_ZN7rocprim17ROCPRIM_400000_NS6detail17trampoline_kernelINS0_14default_configENS1_38merge_sort_block_merge_config_selectorIsNS0_10empty_typeEEEZZNS1_27merge_sort_block_merge_implIS3_N6thrust23THRUST_200600_302600_NS6detail15normal_iteratorINS9_10device_ptrIsEEEEPS5_m14custom_greaterIsEEE10hipError_tT0_T1_T2_jT3_P12ihipStream_tbPNSt15iterator_traitsISJ_E10value_typeEPNSP_ISK_E10value_typeEPSL_NS1_7vsmem_tEENKUlT_SJ_SK_SL_E_clISE_PsSF_SF_EESI_SY_SJ_SK_SL_EUlSY_E_NS1_11comp_targetILNS1_3genE10ELNS1_11target_archE1201ELNS1_3gpuE5ELNS1_3repE0EEENS1_48merge_mergepath_partition_config_static_selectorELNS0_4arch9wavefront6targetE1EEEvSK_
; %bb.0:
	.section	.rodata,"a",@progbits
	.p2align	6, 0x0
	.amdhsa_kernel _ZN7rocprim17ROCPRIM_400000_NS6detail17trampoline_kernelINS0_14default_configENS1_38merge_sort_block_merge_config_selectorIsNS0_10empty_typeEEEZZNS1_27merge_sort_block_merge_implIS3_N6thrust23THRUST_200600_302600_NS6detail15normal_iteratorINS9_10device_ptrIsEEEEPS5_m14custom_greaterIsEEE10hipError_tT0_T1_T2_jT3_P12ihipStream_tbPNSt15iterator_traitsISJ_E10value_typeEPNSP_ISK_E10value_typeEPSL_NS1_7vsmem_tEENKUlT_SJ_SK_SL_E_clISE_PsSF_SF_EESI_SY_SJ_SK_SL_EUlSY_E_NS1_11comp_targetILNS1_3genE10ELNS1_11target_archE1201ELNS1_3gpuE5ELNS1_3repE0EEENS1_48merge_mergepath_partition_config_static_selectorELNS0_4arch9wavefront6targetE1EEEvSK_
		.amdhsa_group_segment_fixed_size 0
		.amdhsa_private_segment_fixed_size 0
		.amdhsa_kernarg_size 48
		.amdhsa_user_sgpr_count 6
		.amdhsa_user_sgpr_private_segment_buffer 1
		.amdhsa_user_sgpr_dispatch_ptr 0
		.amdhsa_user_sgpr_queue_ptr 0
		.amdhsa_user_sgpr_kernarg_segment_ptr 1
		.amdhsa_user_sgpr_dispatch_id 0
		.amdhsa_user_sgpr_flat_scratch_init 0
		.amdhsa_user_sgpr_kernarg_preload_length 0
		.amdhsa_user_sgpr_kernarg_preload_offset 0
		.amdhsa_user_sgpr_private_segment_size 0
		.amdhsa_uses_dynamic_stack 0
		.amdhsa_system_sgpr_private_segment_wavefront_offset 0
		.amdhsa_system_sgpr_workgroup_id_x 1
		.amdhsa_system_sgpr_workgroup_id_y 0
		.amdhsa_system_sgpr_workgroup_id_z 0
		.amdhsa_system_sgpr_workgroup_info 0
		.amdhsa_system_vgpr_workitem_id 0
		.amdhsa_next_free_vgpr 1
		.amdhsa_next_free_sgpr 0
		.amdhsa_accum_offset 4
		.amdhsa_reserve_vcc 0
		.amdhsa_reserve_flat_scratch 0
		.amdhsa_float_round_mode_32 0
		.amdhsa_float_round_mode_16_64 0
		.amdhsa_float_denorm_mode_32 3
		.amdhsa_float_denorm_mode_16_64 3
		.amdhsa_dx10_clamp 1
		.amdhsa_ieee_mode 1
		.amdhsa_fp16_overflow 0
		.amdhsa_tg_split 0
		.amdhsa_exception_fp_ieee_invalid_op 0
		.amdhsa_exception_fp_denorm_src 0
		.amdhsa_exception_fp_ieee_div_zero 0
		.amdhsa_exception_fp_ieee_overflow 0
		.amdhsa_exception_fp_ieee_underflow 0
		.amdhsa_exception_fp_ieee_inexact 0
		.amdhsa_exception_int_div_zero 0
	.end_amdhsa_kernel
	.section	.text._ZN7rocprim17ROCPRIM_400000_NS6detail17trampoline_kernelINS0_14default_configENS1_38merge_sort_block_merge_config_selectorIsNS0_10empty_typeEEEZZNS1_27merge_sort_block_merge_implIS3_N6thrust23THRUST_200600_302600_NS6detail15normal_iteratorINS9_10device_ptrIsEEEEPS5_m14custom_greaterIsEEE10hipError_tT0_T1_T2_jT3_P12ihipStream_tbPNSt15iterator_traitsISJ_E10value_typeEPNSP_ISK_E10value_typeEPSL_NS1_7vsmem_tEENKUlT_SJ_SK_SL_E_clISE_PsSF_SF_EESI_SY_SJ_SK_SL_EUlSY_E_NS1_11comp_targetILNS1_3genE10ELNS1_11target_archE1201ELNS1_3gpuE5ELNS1_3repE0EEENS1_48merge_mergepath_partition_config_static_selectorELNS0_4arch9wavefront6targetE1EEEvSK_,"axG",@progbits,_ZN7rocprim17ROCPRIM_400000_NS6detail17trampoline_kernelINS0_14default_configENS1_38merge_sort_block_merge_config_selectorIsNS0_10empty_typeEEEZZNS1_27merge_sort_block_merge_implIS3_N6thrust23THRUST_200600_302600_NS6detail15normal_iteratorINS9_10device_ptrIsEEEEPS5_m14custom_greaterIsEEE10hipError_tT0_T1_T2_jT3_P12ihipStream_tbPNSt15iterator_traitsISJ_E10value_typeEPNSP_ISK_E10value_typeEPSL_NS1_7vsmem_tEENKUlT_SJ_SK_SL_E_clISE_PsSF_SF_EESI_SY_SJ_SK_SL_EUlSY_E_NS1_11comp_targetILNS1_3genE10ELNS1_11target_archE1201ELNS1_3gpuE5ELNS1_3repE0EEENS1_48merge_mergepath_partition_config_static_selectorELNS0_4arch9wavefront6targetE1EEEvSK_,comdat
.Lfunc_end2962:
	.size	_ZN7rocprim17ROCPRIM_400000_NS6detail17trampoline_kernelINS0_14default_configENS1_38merge_sort_block_merge_config_selectorIsNS0_10empty_typeEEEZZNS1_27merge_sort_block_merge_implIS3_N6thrust23THRUST_200600_302600_NS6detail15normal_iteratorINS9_10device_ptrIsEEEEPS5_m14custom_greaterIsEEE10hipError_tT0_T1_T2_jT3_P12ihipStream_tbPNSt15iterator_traitsISJ_E10value_typeEPNSP_ISK_E10value_typeEPSL_NS1_7vsmem_tEENKUlT_SJ_SK_SL_E_clISE_PsSF_SF_EESI_SY_SJ_SK_SL_EUlSY_E_NS1_11comp_targetILNS1_3genE10ELNS1_11target_archE1201ELNS1_3gpuE5ELNS1_3repE0EEENS1_48merge_mergepath_partition_config_static_selectorELNS0_4arch9wavefront6targetE1EEEvSK_, .Lfunc_end2962-_ZN7rocprim17ROCPRIM_400000_NS6detail17trampoline_kernelINS0_14default_configENS1_38merge_sort_block_merge_config_selectorIsNS0_10empty_typeEEEZZNS1_27merge_sort_block_merge_implIS3_N6thrust23THRUST_200600_302600_NS6detail15normal_iteratorINS9_10device_ptrIsEEEEPS5_m14custom_greaterIsEEE10hipError_tT0_T1_T2_jT3_P12ihipStream_tbPNSt15iterator_traitsISJ_E10value_typeEPNSP_ISK_E10value_typeEPSL_NS1_7vsmem_tEENKUlT_SJ_SK_SL_E_clISE_PsSF_SF_EESI_SY_SJ_SK_SL_EUlSY_E_NS1_11comp_targetILNS1_3genE10ELNS1_11target_archE1201ELNS1_3gpuE5ELNS1_3repE0EEENS1_48merge_mergepath_partition_config_static_selectorELNS0_4arch9wavefront6targetE1EEEvSK_
                                        ; -- End function
	.section	.AMDGPU.csdata,"",@progbits
; Kernel info:
; codeLenInByte = 0
; NumSgprs: 4
; NumVgprs: 0
; NumAgprs: 0
; TotalNumVgprs: 0
; ScratchSize: 0
; MemoryBound: 0
; FloatMode: 240
; IeeeMode: 1
; LDSByteSize: 0 bytes/workgroup (compile time only)
; SGPRBlocks: 0
; VGPRBlocks: 0
; NumSGPRsForWavesPerEU: 4
; NumVGPRsForWavesPerEU: 1
; AccumOffset: 4
; Occupancy: 8
; WaveLimiterHint : 0
; COMPUTE_PGM_RSRC2:SCRATCH_EN: 0
; COMPUTE_PGM_RSRC2:USER_SGPR: 6
; COMPUTE_PGM_RSRC2:TRAP_HANDLER: 0
; COMPUTE_PGM_RSRC2:TGID_X_EN: 1
; COMPUTE_PGM_RSRC2:TGID_Y_EN: 0
; COMPUTE_PGM_RSRC2:TGID_Z_EN: 0
; COMPUTE_PGM_RSRC2:TIDIG_COMP_CNT: 0
; COMPUTE_PGM_RSRC3_GFX90A:ACCUM_OFFSET: 0
; COMPUTE_PGM_RSRC3_GFX90A:TG_SPLIT: 0
	.section	.text._ZN7rocprim17ROCPRIM_400000_NS6detail17trampoline_kernelINS0_14default_configENS1_38merge_sort_block_merge_config_selectorIsNS0_10empty_typeEEEZZNS1_27merge_sort_block_merge_implIS3_N6thrust23THRUST_200600_302600_NS6detail15normal_iteratorINS9_10device_ptrIsEEEEPS5_m14custom_greaterIsEEE10hipError_tT0_T1_T2_jT3_P12ihipStream_tbPNSt15iterator_traitsISJ_E10value_typeEPNSP_ISK_E10value_typeEPSL_NS1_7vsmem_tEENKUlT_SJ_SK_SL_E_clISE_PsSF_SF_EESI_SY_SJ_SK_SL_EUlSY_E_NS1_11comp_targetILNS1_3genE5ELNS1_11target_archE942ELNS1_3gpuE9ELNS1_3repE0EEENS1_48merge_mergepath_partition_config_static_selectorELNS0_4arch9wavefront6targetE1EEEvSK_,"axG",@progbits,_ZN7rocprim17ROCPRIM_400000_NS6detail17trampoline_kernelINS0_14default_configENS1_38merge_sort_block_merge_config_selectorIsNS0_10empty_typeEEEZZNS1_27merge_sort_block_merge_implIS3_N6thrust23THRUST_200600_302600_NS6detail15normal_iteratorINS9_10device_ptrIsEEEEPS5_m14custom_greaterIsEEE10hipError_tT0_T1_T2_jT3_P12ihipStream_tbPNSt15iterator_traitsISJ_E10value_typeEPNSP_ISK_E10value_typeEPSL_NS1_7vsmem_tEENKUlT_SJ_SK_SL_E_clISE_PsSF_SF_EESI_SY_SJ_SK_SL_EUlSY_E_NS1_11comp_targetILNS1_3genE5ELNS1_11target_archE942ELNS1_3gpuE9ELNS1_3repE0EEENS1_48merge_mergepath_partition_config_static_selectorELNS0_4arch9wavefront6targetE1EEEvSK_,comdat
	.protected	_ZN7rocprim17ROCPRIM_400000_NS6detail17trampoline_kernelINS0_14default_configENS1_38merge_sort_block_merge_config_selectorIsNS0_10empty_typeEEEZZNS1_27merge_sort_block_merge_implIS3_N6thrust23THRUST_200600_302600_NS6detail15normal_iteratorINS9_10device_ptrIsEEEEPS5_m14custom_greaterIsEEE10hipError_tT0_T1_T2_jT3_P12ihipStream_tbPNSt15iterator_traitsISJ_E10value_typeEPNSP_ISK_E10value_typeEPSL_NS1_7vsmem_tEENKUlT_SJ_SK_SL_E_clISE_PsSF_SF_EESI_SY_SJ_SK_SL_EUlSY_E_NS1_11comp_targetILNS1_3genE5ELNS1_11target_archE942ELNS1_3gpuE9ELNS1_3repE0EEENS1_48merge_mergepath_partition_config_static_selectorELNS0_4arch9wavefront6targetE1EEEvSK_ ; -- Begin function _ZN7rocprim17ROCPRIM_400000_NS6detail17trampoline_kernelINS0_14default_configENS1_38merge_sort_block_merge_config_selectorIsNS0_10empty_typeEEEZZNS1_27merge_sort_block_merge_implIS3_N6thrust23THRUST_200600_302600_NS6detail15normal_iteratorINS9_10device_ptrIsEEEEPS5_m14custom_greaterIsEEE10hipError_tT0_T1_T2_jT3_P12ihipStream_tbPNSt15iterator_traitsISJ_E10value_typeEPNSP_ISK_E10value_typeEPSL_NS1_7vsmem_tEENKUlT_SJ_SK_SL_E_clISE_PsSF_SF_EESI_SY_SJ_SK_SL_EUlSY_E_NS1_11comp_targetILNS1_3genE5ELNS1_11target_archE942ELNS1_3gpuE9ELNS1_3repE0EEENS1_48merge_mergepath_partition_config_static_selectorELNS0_4arch9wavefront6targetE1EEEvSK_
	.globl	_ZN7rocprim17ROCPRIM_400000_NS6detail17trampoline_kernelINS0_14default_configENS1_38merge_sort_block_merge_config_selectorIsNS0_10empty_typeEEEZZNS1_27merge_sort_block_merge_implIS3_N6thrust23THRUST_200600_302600_NS6detail15normal_iteratorINS9_10device_ptrIsEEEEPS5_m14custom_greaterIsEEE10hipError_tT0_T1_T2_jT3_P12ihipStream_tbPNSt15iterator_traitsISJ_E10value_typeEPNSP_ISK_E10value_typeEPSL_NS1_7vsmem_tEENKUlT_SJ_SK_SL_E_clISE_PsSF_SF_EESI_SY_SJ_SK_SL_EUlSY_E_NS1_11comp_targetILNS1_3genE5ELNS1_11target_archE942ELNS1_3gpuE9ELNS1_3repE0EEENS1_48merge_mergepath_partition_config_static_selectorELNS0_4arch9wavefront6targetE1EEEvSK_
	.p2align	8
	.type	_ZN7rocprim17ROCPRIM_400000_NS6detail17trampoline_kernelINS0_14default_configENS1_38merge_sort_block_merge_config_selectorIsNS0_10empty_typeEEEZZNS1_27merge_sort_block_merge_implIS3_N6thrust23THRUST_200600_302600_NS6detail15normal_iteratorINS9_10device_ptrIsEEEEPS5_m14custom_greaterIsEEE10hipError_tT0_T1_T2_jT3_P12ihipStream_tbPNSt15iterator_traitsISJ_E10value_typeEPNSP_ISK_E10value_typeEPSL_NS1_7vsmem_tEENKUlT_SJ_SK_SL_E_clISE_PsSF_SF_EESI_SY_SJ_SK_SL_EUlSY_E_NS1_11comp_targetILNS1_3genE5ELNS1_11target_archE942ELNS1_3gpuE9ELNS1_3repE0EEENS1_48merge_mergepath_partition_config_static_selectorELNS0_4arch9wavefront6targetE1EEEvSK_,@function
_ZN7rocprim17ROCPRIM_400000_NS6detail17trampoline_kernelINS0_14default_configENS1_38merge_sort_block_merge_config_selectorIsNS0_10empty_typeEEEZZNS1_27merge_sort_block_merge_implIS3_N6thrust23THRUST_200600_302600_NS6detail15normal_iteratorINS9_10device_ptrIsEEEEPS5_m14custom_greaterIsEEE10hipError_tT0_T1_T2_jT3_P12ihipStream_tbPNSt15iterator_traitsISJ_E10value_typeEPNSP_ISK_E10value_typeEPSL_NS1_7vsmem_tEENKUlT_SJ_SK_SL_E_clISE_PsSF_SF_EESI_SY_SJ_SK_SL_EUlSY_E_NS1_11comp_targetILNS1_3genE5ELNS1_11target_archE942ELNS1_3gpuE9ELNS1_3repE0EEENS1_48merge_mergepath_partition_config_static_selectorELNS0_4arch9wavefront6targetE1EEEvSK_: ; @_ZN7rocprim17ROCPRIM_400000_NS6detail17trampoline_kernelINS0_14default_configENS1_38merge_sort_block_merge_config_selectorIsNS0_10empty_typeEEEZZNS1_27merge_sort_block_merge_implIS3_N6thrust23THRUST_200600_302600_NS6detail15normal_iteratorINS9_10device_ptrIsEEEEPS5_m14custom_greaterIsEEE10hipError_tT0_T1_T2_jT3_P12ihipStream_tbPNSt15iterator_traitsISJ_E10value_typeEPNSP_ISK_E10value_typeEPSL_NS1_7vsmem_tEENKUlT_SJ_SK_SL_E_clISE_PsSF_SF_EESI_SY_SJ_SK_SL_EUlSY_E_NS1_11comp_targetILNS1_3genE5ELNS1_11target_archE942ELNS1_3gpuE9ELNS1_3repE0EEENS1_48merge_mergepath_partition_config_static_selectorELNS0_4arch9wavefront6targetE1EEEvSK_
; %bb.0:
	.section	.rodata,"a",@progbits
	.p2align	6, 0x0
	.amdhsa_kernel _ZN7rocprim17ROCPRIM_400000_NS6detail17trampoline_kernelINS0_14default_configENS1_38merge_sort_block_merge_config_selectorIsNS0_10empty_typeEEEZZNS1_27merge_sort_block_merge_implIS3_N6thrust23THRUST_200600_302600_NS6detail15normal_iteratorINS9_10device_ptrIsEEEEPS5_m14custom_greaterIsEEE10hipError_tT0_T1_T2_jT3_P12ihipStream_tbPNSt15iterator_traitsISJ_E10value_typeEPNSP_ISK_E10value_typeEPSL_NS1_7vsmem_tEENKUlT_SJ_SK_SL_E_clISE_PsSF_SF_EESI_SY_SJ_SK_SL_EUlSY_E_NS1_11comp_targetILNS1_3genE5ELNS1_11target_archE942ELNS1_3gpuE9ELNS1_3repE0EEENS1_48merge_mergepath_partition_config_static_selectorELNS0_4arch9wavefront6targetE1EEEvSK_
		.amdhsa_group_segment_fixed_size 0
		.amdhsa_private_segment_fixed_size 0
		.amdhsa_kernarg_size 48
		.amdhsa_user_sgpr_count 6
		.amdhsa_user_sgpr_private_segment_buffer 1
		.amdhsa_user_sgpr_dispatch_ptr 0
		.amdhsa_user_sgpr_queue_ptr 0
		.amdhsa_user_sgpr_kernarg_segment_ptr 1
		.amdhsa_user_sgpr_dispatch_id 0
		.amdhsa_user_sgpr_flat_scratch_init 0
		.amdhsa_user_sgpr_kernarg_preload_length 0
		.amdhsa_user_sgpr_kernarg_preload_offset 0
		.amdhsa_user_sgpr_private_segment_size 0
		.amdhsa_uses_dynamic_stack 0
		.amdhsa_system_sgpr_private_segment_wavefront_offset 0
		.amdhsa_system_sgpr_workgroup_id_x 1
		.amdhsa_system_sgpr_workgroup_id_y 0
		.amdhsa_system_sgpr_workgroup_id_z 0
		.amdhsa_system_sgpr_workgroup_info 0
		.amdhsa_system_vgpr_workitem_id 0
		.amdhsa_next_free_vgpr 1
		.amdhsa_next_free_sgpr 0
		.amdhsa_accum_offset 4
		.amdhsa_reserve_vcc 0
		.amdhsa_reserve_flat_scratch 0
		.amdhsa_float_round_mode_32 0
		.amdhsa_float_round_mode_16_64 0
		.amdhsa_float_denorm_mode_32 3
		.amdhsa_float_denorm_mode_16_64 3
		.amdhsa_dx10_clamp 1
		.amdhsa_ieee_mode 1
		.amdhsa_fp16_overflow 0
		.amdhsa_tg_split 0
		.amdhsa_exception_fp_ieee_invalid_op 0
		.amdhsa_exception_fp_denorm_src 0
		.amdhsa_exception_fp_ieee_div_zero 0
		.amdhsa_exception_fp_ieee_overflow 0
		.amdhsa_exception_fp_ieee_underflow 0
		.amdhsa_exception_fp_ieee_inexact 0
		.amdhsa_exception_int_div_zero 0
	.end_amdhsa_kernel
	.section	.text._ZN7rocprim17ROCPRIM_400000_NS6detail17trampoline_kernelINS0_14default_configENS1_38merge_sort_block_merge_config_selectorIsNS0_10empty_typeEEEZZNS1_27merge_sort_block_merge_implIS3_N6thrust23THRUST_200600_302600_NS6detail15normal_iteratorINS9_10device_ptrIsEEEEPS5_m14custom_greaterIsEEE10hipError_tT0_T1_T2_jT3_P12ihipStream_tbPNSt15iterator_traitsISJ_E10value_typeEPNSP_ISK_E10value_typeEPSL_NS1_7vsmem_tEENKUlT_SJ_SK_SL_E_clISE_PsSF_SF_EESI_SY_SJ_SK_SL_EUlSY_E_NS1_11comp_targetILNS1_3genE5ELNS1_11target_archE942ELNS1_3gpuE9ELNS1_3repE0EEENS1_48merge_mergepath_partition_config_static_selectorELNS0_4arch9wavefront6targetE1EEEvSK_,"axG",@progbits,_ZN7rocprim17ROCPRIM_400000_NS6detail17trampoline_kernelINS0_14default_configENS1_38merge_sort_block_merge_config_selectorIsNS0_10empty_typeEEEZZNS1_27merge_sort_block_merge_implIS3_N6thrust23THRUST_200600_302600_NS6detail15normal_iteratorINS9_10device_ptrIsEEEEPS5_m14custom_greaterIsEEE10hipError_tT0_T1_T2_jT3_P12ihipStream_tbPNSt15iterator_traitsISJ_E10value_typeEPNSP_ISK_E10value_typeEPSL_NS1_7vsmem_tEENKUlT_SJ_SK_SL_E_clISE_PsSF_SF_EESI_SY_SJ_SK_SL_EUlSY_E_NS1_11comp_targetILNS1_3genE5ELNS1_11target_archE942ELNS1_3gpuE9ELNS1_3repE0EEENS1_48merge_mergepath_partition_config_static_selectorELNS0_4arch9wavefront6targetE1EEEvSK_,comdat
.Lfunc_end2963:
	.size	_ZN7rocprim17ROCPRIM_400000_NS6detail17trampoline_kernelINS0_14default_configENS1_38merge_sort_block_merge_config_selectorIsNS0_10empty_typeEEEZZNS1_27merge_sort_block_merge_implIS3_N6thrust23THRUST_200600_302600_NS6detail15normal_iteratorINS9_10device_ptrIsEEEEPS5_m14custom_greaterIsEEE10hipError_tT0_T1_T2_jT3_P12ihipStream_tbPNSt15iterator_traitsISJ_E10value_typeEPNSP_ISK_E10value_typeEPSL_NS1_7vsmem_tEENKUlT_SJ_SK_SL_E_clISE_PsSF_SF_EESI_SY_SJ_SK_SL_EUlSY_E_NS1_11comp_targetILNS1_3genE5ELNS1_11target_archE942ELNS1_3gpuE9ELNS1_3repE0EEENS1_48merge_mergepath_partition_config_static_selectorELNS0_4arch9wavefront6targetE1EEEvSK_, .Lfunc_end2963-_ZN7rocprim17ROCPRIM_400000_NS6detail17trampoline_kernelINS0_14default_configENS1_38merge_sort_block_merge_config_selectorIsNS0_10empty_typeEEEZZNS1_27merge_sort_block_merge_implIS3_N6thrust23THRUST_200600_302600_NS6detail15normal_iteratorINS9_10device_ptrIsEEEEPS5_m14custom_greaterIsEEE10hipError_tT0_T1_T2_jT3_P12ihipStream_tbPNSt15iterator_traitsISJ_E10value_typeEPNSP_ISK_E10value_typeEPSL_NS1_7vsmem_tEENKUlT_SJ_SK_SL_E_clISE_PsSF_SF_EESI_SY_SJ_SK_SL_EUlSY_E_NS1_11comp_targetILNS1_3genE5ELNS1_11target_archE942ELNS1_3gpuE9ELNS1_3repE0EEENS1_48merge_mergepath_partition_config_static_selectorELNS0_4arch9wavefront6targetE1EEEvSK_
                                        ; -- End function
	.section	.AMDGPU.csdata,"",@progbits
; Kernel info:
; codeLenInByte = 0
; NumSgprs: 4
; NumVgprs: 0
; NumAgprs: 0
; TotalNumVgprs: 0
; ScratchSize: 0
; MemoryBound: 0
; FloatMode: 240
; IeeeMode: 1
; LDSByteSize: 0 bytes/workgroup (compile time only)
; SGPRBlocks: 0
; VGPRBlocks: 0
; NumSGPRsForWavesPerEU: 4
; NumVGPRsForWavesPerEU: 1
; AccumOffset: 4
; Occupancy: 8
; WaveLimiterHint : 0
; COMPUTE_PGM_RSRC2:SCRATCH_EN: 0
; COMPUTE_PGM_RSRC2:USER_SGPR: 6
; COMPUTE_PGM_RSRC2:TRAP_HANDLER: 0
; COMPUTE_PGM_RSRC2:TGID_X_EN: 1
; COMPUTE_PGM_RSRC2:TGID_Y_EN: 0
; COMPUTE_PGM_RSRC2:TGID_Z_EN: 0
; COMPUTE_PGM_RSRC2:TIDIG_COMP_CNT: 0
; COMPUTE_PGM_RSRC3_GFX90A:ACCUM_OFFSET: 0
; COMPUTE_PGM_RSRC3_GFX90A:TG_SPLIT: 0
	.section	.text._ZN7rocprim17ROCPRIM_400000_NS6detail17trampoline_kernelINS0_14default_configENS1_38merge_sort_block_merge_config_selectorIsNS0_10empty_typeEEEZZNS1_27merge_sort_block_merge_implIS3_N6thrust23THRUST_200600_302600_NS6detail15normal_iteratorINS9_10device_ptrIsEEEEPS5_m14custom_greaterIsEEE10hipError_tT0_T1_T2_jT3_P12ihipStream_tbPNSt15iterator_traitsISJ_E10value_typeEPNSP_ISK_E10value_typeEPSL_NS1_7vsmem_tEENKUlT_SJ_SK_SL_E_clISE_PsSF_SF_EESI_SY_SJ_SK_SL_EUlSY_E_NS1_11comp_targetILNS1_3genE4ELNS1_11target_archE910ELNS1_3gpuE8ELNS1_3repE0EEENS1_48merge_mergepath_partition_config_static_selectorELNS0_4arch9wavefront6targetE1EEEvSK_,"axG",@progbits,_ZN7rocprim17ROCPRIM_400000_NS6detail17trampoline_kernelINS0_14default_configENS1_38merge_sort_block_merge_config_selectorIsNS0_10empty_typeEEEZZNS1_27merge_sort_block_merge_implIS3_N6thrust23THRUST_200600_302600_NS6detail15normal_iteratorINS9_10device_ptrIsEEEEPS5_m14custom_greaterIsEEE10hipError_tT0_T1_T2_jT3_P12ihipStream_tbPNSt15iterator_traitsISJ_E10value_typeEPNSP_ISK_E10value_typeEPSL_NS1_7vsmem_tEENKUlT_SJ_SK_SL_E_clISE_PsSF_SF_EESI_SY_SJ_SK_SL_EUlSY_E_NS1_11comp_targetILNS1_3genE4ELNS1_11target_archE910ELNS1_3gpuE8ELNS1_3repE0EEENS1_48merge_mergepath_partition_config_static_selectorELNS0_4arch9wavefront6targetE1EEEvSK_,comdat
	.protected	_ZN7rocprim17ROCPRIM_400000_NS6detail17trampoline_kernelINS0_14default_configENS1_38merge_sort_block_merge_config_selectorIsNS0_10empty_typeEEEZZNS1_27merge_sort_block_merge_implIS3_N6thrust23THRUST_200600_302600_NS6detail15normal_iteratorINS9_10device_ptrIsEEEEPS5_m14custom_greaterIsEEE10hipError_tT0_T1_T2_jT3_P12ihipStream_tbPNSt15iterator_traitsISJ_E10value_typeEPNSP_ISK_E10value_typeEPSL_NS1_7vsmem_tEENKUlT_SJ_SK_SL_E_clISE_PsSF_SF_EESI_SY_SJ_SK_SL_EUlSY_E_NS1_11comp_targetILNS1_3genE4ELNS1_11target_archE910ELNS1_3gpuE8ELNS1_3repE0EEENS1_48merge_mergepath_partition_config_static_selectorELNS0_4arch9wavefront6targetE1EEEvSK_ ; -- Begin function _ZN7rocprim17ROCPRIM_400000_NS6detail17trampoline_kernelINS0_14default_configENS1_38merge_sort_block_merge_config_selectorIsNS0_10empty_typeEEEZZNS1_27merge_sort_block_merge_implIS3_N6thrust23THRUST_200600_302600_NS6detail15normal_iteratorINS9_10device_ptrIsEEEEPS5_m14custom_greaterIsEEE10hipError_tT0_T1_T2_jT3_P12ihipStream_tbPNSt15iterator_traitsISJ_E10value_typeEPNSP_ISK_E10value_typeEPSL_NS1_7vsmem_tEENKUlT_SJ_SK_SL_E_clISE_PsSF_SF_EESI_SY_SJ_SK_SL_EUlSY_E_NS1_11comp_targetILNS1_3genE4ELNS1_11target_archE910ELNS1_3gpuE8ELNS1_3repE0EEENS1_48merge_mergepath_partition_config_static_selectorELNS0_4arch9wavefront6targetE1EEEvSK_
	.globl	_ZN7rocprim17ROCPRIM_400000_NS6detail17trampoline_kernelINS0_14default_configENS1_38merge_sort_block_merge_config_selectorIsNS0_10empty_typeEEEZZNS1_27merge_sort_block_merge_implIS3_N6thrust23THRUST_200600_302600_NS6detail15normal_iteratorINS9_10device_ptrIsEEEEPS5_m14custom_greaterIsEEE10hipError_tT0_T1_T2_jT3_P12ihipStream_tbPNSt15iterator_traitsISJ_E10value_typeEPNSP_ISK_E10value_typeEPSL_NS1_7vsmem_tEENKUlT_SJ_SK_SL_E_clISE_PsSF_SF_EESI_SY_SJ_SK_SL_EUlSY_E_NS1_11comp_targetILNS1_3genE4ELNS1_11target_archE910ELNS1_3gpuE8ELNS1_3repE0EEENS1_48merge_mergepath_partition_config_static_selectorELNS0_4arch9wavefront6targetE1EEEvSK_
	.p2align	8
	.type	_ZN7rocprim17ROCPRIM_400000_NS6detail17trampoline_kernelINS0_14default_configENS1_38merge_sort_block_merge_config_selectorIsNS0_10empty_typeEEEZZNS1_27merge_sort_block_merge_implIS3_N6thrust23THRUST_200600_302600_NS6detail15normal_iteratorINS9_10device_ptrIsEEEEPS5_m14custom_greaterIsEEE10hipError_tT0_T1_T2_jT3_P12ihipStream_tbPNSt15iterator_traitsISJ_E10value_typeEPNSP_ISK_E10value_typeEPSL_NS1_7vsmem_tEENKUlT_SJ_SK_SL_E_clISE_PsSF_SF_EESI_SY_SJ_SK_SL_EUlSY_E_NS1_11comp_targetILNS1_3genE4ELNS1_11target_archE910ELNS1_3gpuE8ELNS1_3repE0EEENS1_48merge_mergepath_partition_config_static_selectorELNS0_4arch9wavefront6targetE1EEEvSK_,@function
_ZN7rocprim17ROCPRIM_400000_NS6detail17trampoline_kernelINS0_14default_configENS1_38merge_sort_block_merge_config_selectorIsNS0_10empty_typeEEEZZNS1_27merge_sort_block_merge_implIS3_N6thrust23THRUST_200600_302600_NS6detail15normal_iteratorINS9_10device_ptrIsEEEEPS5_m14custom_greaterIsEEE10hipError_tT0_T1_T2_jT3_P12ihipStream_tbPNSt15iterator_traitsISJ_E10value_typeEPNSP_ISK_E10value_typeEPSL_NS1_7vsmem_tEENKUlT_SJ_SK_SL_E_clISE_PsSF_SF_EESI_SY_SJ_SK_SL_EUlSY_E_NS1_11comp_targetILNS1_3genE4ELNS1_11target_archE910ELNS1_3gpuE8ELNS1_3repE0EEENS1_48merge_mergepath_partition_config_static_selectorELNS0_4arch9wavefront6targetE1EEEvSK_: ; @_ZN7rocprim17ROCPRIM_400000_NS6detail17trampoline_kernelINS0_14default_configENS1_38merge_sort_block_merge_config_selectorIsNS0_10empty_typeEEEZZNS1_27merge_sort_block_merge_implIS3_N6thrust23THRUST_200600_302600_NS6detail15normal_iteratorINS9_10device_ptrIsEEEEPS5_m14custom_greaterIsEEE10hipError_tT0_T1_T2_jT3_P12ihipStream_tbPNSt15iterator_traitsISJ_E10value_typeEPNSP_ISK_E10value_typeEPSL_NS1_7vsmem_tEENKUlT_SJ_SK_SL_E_clISE_PsSF_SF_EESI_SY_SJ_SK_SL_EUlSY_E_NS1_11comp_targetILNS1_3genE4ELNS1_11target_archE910ELNS1_3gpuE8ELNS1_3repE0EEENS1_48merge_mergepath_partition_config_static_selectorELNS0_4arch9wavefront6targetE1EEEvSK_
; %bb.0:
	s_load_dword s0, s[4:5], 0x0
	v_lshl_or_b32 v0, s6, 7, v0
	s_waitcnt lgkmcnt(0)
	v_cmp_gt_u32_e32 vcc, s0, v0
	s_and_saveexec_b64 s[0:1], vcc
	s_cbranch_execz .LBB2964_6
; %bb.1:
	s_load_dwordx4 s[0:3], s[4:5], 0x8
	s_load_dwordx2 s[6:7], s[4:5], 0x28
	v_mov_b32_e32 v5, 0
	s_waitcnt lgkmcnt(0)
	v_mov_b32_e32 v1, s0
	v_alignbit_b32 v1, s1, v1, 9
	v_and_b32_e32 v1, -2, v1
	v_add_u32_e32 v2, -1, v1
	v_sub_u32_e32 v1, 0, v1
	v_and_b32_e32 v4, v0, v1
	v_lshlrev_b64 v[8:9], 10, v[4:5]
	v_mov_b32_e32 v1, s3
	v_cmp_lt_u64_e32 vcc, s[2:3], v[8:9]
	v_mov_b32_e32 v4, s2
	v_and_b32_e32 v6, v2, v0
	v_cndmask_b32_e32 v3, v9, v1, vcc
	v_cndmask_b32_e32 v2, v8, v4, vcc
	v_mov_b32_e32 v7, s1
	v_add_co_u32_e32 v8, vcc, s0, v8
	v_addc_co_u32_e32 v9, vcc, v9, v7, vcc
	v_cmp_lt_u64_e32 vcc, s[2:3], v[8:9]
	v_cndmask_b32_e32 v8, v8, v4, vcc
	v_cndmask_b32_e32 v9, v9, v1, vcc
	v_add_co_u32_e32 v10, vcc, s0, v8
	v_addc_co_u32_e32 v11, vcc, v9, v7, vcc
	v_cmp_lt_u64_e32 vcc, s[2:3], v[10:11]
	v_cndmask_b32_e32 v12, v10, v4, vcc
	v_cndmask_b32_e32 v1, v11, v1, vcc
	v_sub_co_u32_e32 v10, vcc, v12, v2
	v_mov_b32_e32 v7, v5
	v_subb_co_u32_e32 v11, vcc, v1, v3, vcc
	v_lshlrev_b64 v[4:5], 10, v[6:7]
	v_cmp_lt_u64_e32 vcc, v[10:11], v[4:5]
	v_cndmask_b32_e32 v11, v5, v11, vcc
	v_cndmask_b32_e32 v10, v4, v10, vcc
	v_sub_co_u32_e32 v6, vcc, v8, v2
	v_subb_co_u32_e32 v7, vcc, v9, v3, vcc
	v_sub_co_u32_e32 v4, vcc, v8, v12
	v_subb_co_u32_e32 v1, vcc, v9, v1, vcc
	v_add_co_u32_e32 v4, vcc, v10, v4
	v_addc_co_u32_e32 v5, vcc, v11, v1, vcc
	v_cmp_gt_u64_e32 vcc, v[4:5], v[10:11]
	v_cndmask_b32_e64 v5, v5, 0, vcc
	v_cndmask_b32_e64 v4, v4, 0, vcc
	v_cmp_lt_u64_e32 vcc, v[10:11], v[6:7]
	v_cndmask_b32_e32 v7, v7, v11, vcc
	v_cndmask_b32_e32 v6, v6, v10, vcc
	v_cmp_lt_u64_e32 vcc, v[4:5], v[6:7]
	s_and_saveexec_b64 s[0:1], vcc
	s_cbranch_execz .LBB2964_5
; %bb.2:
	s_load_dwordx2 s[2:3], s[4:5], 0x18
	v_lshlrev_b64 v[12:13], 1, v[2:3]
	v_lshlrev_b64 v[8:9], 1, v[8:9]
	s_waitcnt lgkmcnt(0)
	v_mov_b32_e32 v14, s3
	v_add_co_u32_e32 v1, vcc, s2, v12
	v_addc_co_u32_e32 v12, vcc, v14, v13, vcc
	v_add_co_u32_e32 v13, vcc, s2, v8
	v_addc_co_u32_e32 v14, vcc, v14, v9, vcc
	v_lshlrev_b64 v[8:9], 1, v[10:11]
	v_add_co_u32_e32 v8, vcc, v13, v8
	v_addc_co_u32_e32 v9, vcc, v14, v9, vcc
	s_mov_b64 s[2:3], 0
.LBB2964_3:                             ; =>This Inner Loop Header: Depth=1
	v_add_co_u32_e32 v10, vcc, v6, v4
	v_addc_co_u32_e32 v11, vcc, v7, v5, vcc
	v_lshrrev_b64 v[14:15], 1, v[10:11]
	v_and_b32_e32 v10, -2, v10
	v_add_co_u32_e32 v10, vcc, v1, v10
	v_not_b32_e32 v17, v15
	v_not_b32_e32 v16, v14
	v_addc_co_u32_e32 v11, vcc, v12, v11, vcc
	flat_load_ushort v13, v[10:11]
	v_lshlrev_b64 v[10:11], 1, v[16:17]
	v_add_co_u32_e32 v10, vcc, v8, v10
	v_addc_co_u32_e32 v11, vcc, v9, v11, vcc
	flat_load_ushort v10, v[10:11]
	v_add_co_u32_e32 v11, vcc, 1, v14
	v_addc_co_u32_e32 v16, vcc, 0, v15, vcc
	s_waitcnt vmcnt(0) lgkmcnt(0)
	v_cmp_gt_i16_e32 vcc, v13, v10
	v_cndmask_b32_e32 v7, v7, v15, vcc
	v_cndmask_b32_e32 v6, v6, v14, vcc
	;; [unrolled: 1-line block ×4, first 2 shown]
	v_cmp_ge_u64_e32 vcc, v[4:5], v[6:7]
	s_or_b64 s[2:3], vcc, s[2:3]
	s_andn2_b64 exec, exec, s[2:3]
	s_cbranch_execnz .LBB2964_3
; %bb.4:
	s_or_b64 exec, exec, s[2:3]
.LBB2964_5:
	s_or_b64 exec, exec, s[0:1]
	v_add_co_u32_e32 v2, vcc, v4, v2
	v_mov_b32_e32 v1, 0
	v_addc_co_u32_e32 v3, vcc, v5, v3, vcc
	v_lshlrev_b64 v[0:1], 3, v[0:1]
	v_mov_b32_e32 v4, s7
	v_add_co_u32_e32 v0, vcc, s6, v0
	v_addc_co_u32_e32 v1, vcc, v4, v1, vcc
	global_store_dwordx2 v[0:1], v[2:3], off
.LBB2964_6:
	s_endpgm
	.section	.rodata,"a",@progbits
	.p2align	6, 0x0
	.amdhsa_kernel _ZN7rocprim17ROCPRIM_400000_NS6detail17trampoline_kernelINS0_14default_configENS1_38merge_sort_block_merge_config_selectorIsNS0_10empty_typeEEEZZNS1_27merge_sort_block_merge_implIS3_N6thrust23THRUST_200600_302600_NS6detail15normal_iteratorINS9_10device_ptrIsEEEEPS5_m14custom_greaterIsEEE10hipError_tT0_T1_T2_jT3_P12ihipStream_tbPNSt15iterator_traitsISJ_E10value_typeEPNSP_ISK_E10value_typeEPSL_NS1_7vsmem_tEENKUlT_SJ_SK_SL_E_clISE_PsSF_SF_EESI_SY_SJ_SK_SL_EUlSY_E_NS1_11comp_targetILNS1_3genE4ELNS1_11target_archE910ELNS1_3gpuE8ELNS1_3repE0EEENS1_48merge_mergepath_partition_config_static_selectorELNS0_4arch9wavefront6targetE1EEEvSK_
		.amdhsa_group_segment_fixed_size 0
		.amdhsa_private_segment_fixed_size 0
		.amdhsa_kernarg_size 48
		.amdhsa_user_sgpr_count 6
		.amdhsa_user_sgpr_private_segment_buffer 1
		.amdhsa_user_sgpr_dispatch_ptr 0
		.amdhsa_user_sgpr_queue_ptr 0
		.amdhsa_user_sgpr_kernarg_segment_ptr 1
		.amdhsa_user_sgpr_dispatch_id 0
		.amdhsa_user_sgpr_flat_scratch_init 0
		.amdhsa_user_sgpr_kernarg_preload_length 0
		.amdhsa_user_sgpr_kernarg_preload_offset 0
		.amdhsa_user_sgpr_private_segment_size 0
		.amdhsa_uses_dynamic_stack 0
		.amdhsa_system_sgpr_private_segment_wavefront_offset 0
		.amdhsa_system_sgpr_workgroup_id_x 1
		.amdhsa_system_sgpr_workgroup_id_y 0
		.amdhsa_system_sgpr_workgroup_id_z 0
		.amdhsa_system_sgpr_workgroup_info 0
		.amdhsa_system_vgpr_workitem_id 0
		.amdhsa_next_free_vgpr 18
		.amdhsa_next_free_sgpr 8
		.amdhsa_accum_offset 20
		.amdhsa_reserve_vcc 1
		.amdhsa_reserve_flat_scratch 0
		.amdhsa_float_round_mode_32 0
		.amdhsa_float_round_mode_16_64 0
		.amdhsa_float_denorm_mode_32 3
		.amdhsa_float_denorm_mode_16_64 3
		.amdhsa_dx10_clamp 1
		.amdhsa_ieee_mode 1
		.amdhsa_fp16_overflow 0
		.amdhsa_tg_split 0
		.amdhsa_exception_fp_ieee_invalid_op 0
		.amdhsa_exception_fp_denorm_src 0
		.amdhsa_exception_fp_ieee_div_zero 0
		.amdhsa_exception_fp_ieee_overflow 0
		.amdhsa_exception_fp_ieee_underflow 0
		.amdhsa_exception_fp_ieee_inexact 0
		.amdhsa_exception_int_div_zero 0
	.end_amdhsa_kernel
	.section	.text._ZN7rocprim17ROCPRIM_400000_NS6detail17trampoline_kernelINS0_14default_configENS1_38merge_sort_block_merge_config_selectorIsNS0_10empty_typeEEEZZNS1_27merge_sort_block_merge_implIS3_N6thrust23THRUST_200600_302600_NS6detail15normal_iteratorINS9_10device_ptrIsEEEEPS5_m14custom_greaterIsEEE10hipError_tT0_T1_T2_jT3_P12ihipStream_tbPNSt15iterator_traitsISJ_E10value_typeEPNSP_ISK_E10value_typeEPSL_NS1_7vsmem_tEENKUlT_SJ_SK_SL_E_clISE_PsSF_SF_EESI_SY_SJ_SK_SL_EUlSY_E_NS1_11comp_targetILNS1_3genE4ELNS1_11target_archE910ELNS1_3gpuE8ELNS1_3repE0EEENS1_48merge_mergepath_partition_config_static_selectorELNS0_4arch9wavefront6targetE1EEEvSK_,"axG",@progbits,_ZN7rocprim17ROCPRIM_400000_NS6detail17trampoline_kernelINS0_14default_configENS1_38merge_sort_block_merge_config_selectorIsNS0_10empty_typeEEEZZNS1_27merge_sort_block_merge_implIS3_N6thrust23THRUST_200600_302600_NS6detail15normal_iteratorINS9_10device_ptrIsEEEEPS5_m14custom_greaterIsEEE10hipError_tT0_T1_T2_jT3_P12ihipStream_tbPNSt15iterator_traitsISJ_E10value_typeEPNSP_ISK_E10value_typeEPSL_NS1_7vsmem_tEENKUlT_SJ_SK_SL_E_clISE_PsSF_SF_EESI_SY_SJ_SK_SL_EUlSY_E_NS1_11comp_targetILNS1_3genE4ELNS1_11target_archE910ELNS1_3gpuE8ELNS1_3repE0EEENS1_48merge_mergepath_partition_config_static_selectorELNS0_4arch9wavefront6targetE1EEEvSK_,comdat
.Lfunc_end2964:
	.size	_ZN7rocprim17ROCPRIM_400000_NS6detail17trampoline_kernelINS0_14default_configENS1_38merge_sort_block_merge_config_selectorIsNS0_10empty_typeEEEZZNS1_27merge_sort_block_merge_implIS3_N6thrust23THRUST_200600_302600_NS6detail15normal_iteratorINS9_10device_ptrIsEEEEPS5_m14custom_greaterIsEEE10hipError_tT0_T1_T2_jT3_P12ihipStream_tbPNSt15iterator_traitsISJ_E10value_typeEPNSP_ISK_E10value_typeEPSL_NS1_7vsmem_tEENKUlT_SJ_SK_SL_E_clISE_PsSF_SF_EESI_SY_SJ_SK_SL_EUlSY_E_NS1_11comp_targetILNS1_3genE4ELNS1_11target_archE910ELNS1_3gpuE8ELNS1_3repE0EEENS1_48merge_mergepath_partition_config_static_selectorELNS0_4arch9wavefront6targetE1EEEvSK_, .Lfunc_end2964-_ZN7rocprim17ROCPRIM_400000_NS6detail17trampoline_kernelINS0_14default_configENS1_38merge_sort_block_merge_config_selectorIsNS0_10empty_typeEEEZZNS1_27merge_sort_block_merge_implIS3_N6thrust23THRUST_200600_302600_NS6detail15normal_iteratorINS9_10device_ptrIsEEEEPS5_m14custom_greaterIsEEE10hipError_tT0_T1_T2_jT3_P12ihipStream_tbPNSt15iterator_traitsISJ_E10value_typeEPNSP_ISK_E10value_typeEPSL_NS1_7vsmem_tEENKUlT_SJ_SK_SL_E_clISE_PsSF_SF_EESI_SY_SJ_SK_SL_EUlSY_E_NS1_11comp_targetILNS1_3genE4ELNS1_11target_archE910ELNS1_3gpuE8ELNS1_3repE0EEENS1_48merge_mergepath_partition_config_static_selectorELNS0_4arch9wavefront6targetE1EEEvSK_
                                        ; -- End function
	.section	.AMDGPU.csdata,"",@progbits
; Kernel info:
; codeLenInByte = 496
; NumSgprs: 12
; NumVgprs: 18
; NumAgprs: 0
; TotalNumVgprs: 18
; ScratchSize: 0
; MemoryBound: 0
; FloatMode: 240
; IeeeMode: 1
; LDSByteSize: 0 bytes/workgroup (compile time only)
; SGPRBlocks: 1
; VGPRBlocks: 2
; NumSGPRsForWavesPerEU: 12
; NumVGPRsForWavesPerEU: 18
; AccumOffset: 20
; Occupancy: 8
; WaveLimiterHint : 0
; COMPUTE_PGM_RSRC2:SCRATCH_EN: 0
; COMPUTE_PGM_RSRC2:USER_SGPR: 6
; COMPUTE_PGM_RSRC2:TRAP_HANDLER: 0
; COMPUTE_PGM_RSRC2:TGID_X_EN: 1
; COMPUTE_PGM_RSRC2:TGID_Y_EN: 0
; COMPUTE_PGM_RSRC2:TGID_Z_EN: 0
; COMPUTE_PGM_RSRC2:TIDIG_COMP_CNT: 0
; COMPUTE_PGM_RSRC3_GFX90A:ACCUM_OFFSET: 4
; COMPUTE_PGM_RSRC3_GFX90A:TG_SPLIT: 0
	.section	.text._ZN7rocprim17ROCPRIM_400000_NS6detail17trampoline_kernelINS0_14default_configENS1_38merge_sort_block_merge_config_selectorIsNS0_10empty_typeEEEZZNS1_27merge_sort_block_merge_implIS3_N6thrust23THRUST_200600_302600_NS6detail15normal_iteratorINS9_10device_ptrIsEEEEPS5_m14custom_greaterIsEEE10hipError_tT0_T1_T2_jT3_P12ihipStream_tbPNSt15iterator_traitsISJ_E10value_typeEPNSP_ISK_E10value_typeEPSL_NS1_7vsmem_tEENKUlT_SJ_SK_SL_E_clISE_PsSF_SF_EESI_SY_SJ_SK_SL_EUlSY_E_NS1_11comp_targetILNS1_3genE3ELNS1_11target_archE908ELNS1_3gpuE7ELNS1_3repE0EEENS1_48merge_mergepath_partition_config_static_selectorELNS0_4arch9wavefront6targetE1EEEvSK_,"axG",@progbits,_ZN7rocprim17ROCPRIM_400000_NS6detail17trampoline_kernelINS0_14default_configENS1_38merge_sort_block_merge_config_selectorIsNS0_10empty_typeEEEZZNS1_27merge_sort_block_merge_implIS3_N6thrust23THRUST_200600_302600_NS6detail15normal_iteratorINS9_10device_ptrIsEEEEPS5_m14custom_greaterIsEEE10hipError_tT0_T1_T2_jT3_P12ihipStream_tbPNSt15iterator_traitsISJ_E10value_typeEPNSP_ISK_E10value_typeEPSL_NS1_7vsmem_tEENKUlT_SJ_SK_SL_E_clISE_PsSF_SF_EESI_SY_SJ_SK_SL_EUlSY_E_NS1_11comp_targetILNS1_3genE3ELNS1_11target_archE908ELNS1_3gpuE7ELNS1_3repE0EEENS1_48merge_mergepath_partition_config_static_selectorELNS0_4arch9wavefront6targetE1EEEvSK_,comdat
	.protected	_ZN7rocprim17ROCPRIM_400000_NS6detail17trampoline_kernelINS0_14default_configENS1_38merge_sort_block_merge_config_selectorIsNS0_10empty_typeEEEZZNS1_27merge_sort_block_merge_implIS3_N6thrust23THRUST_200600_302600_NS6detail15normal_iteratorINS9_10device_ptrIsEEEEPS5_m14custom_greaterIsEEE10hipError_tT0_T1_T2_jT3_P12ihipStream_tbPNSt15iterator_traitsISJ_E10value_typeEPNSP_ISK_E10value_typeEPSL_NS1_7vsmem_tEENKUlT_SJ_SK_SL_E_clISE_PsSF_SF_EESI_SY_SJ_SK_SL_EUlSY_E_NS1_11comp_targetILNS1_3genE3ELNS1_11target_archE908ELNS1_3gpuE7ELNS1_3repE0EEENS1_48merge_mergepath_partition_config_static_selectorELNS0_4arch9wavefront6targetE1EEEvSK_ ; -- Begin function _ZN7rocprim17ROCPRIM_400000_NS6detail17trampoline_kernelINS0_14default_configENS1_38merge_sort_block_merge_config_selectorIsNS0_10empty_typeEEEZZNS1_27merge_sort_block_merge_implIS3_N6thrust23THRUST_200600_302600_NS6detail15normal_iteratorINS9_10device_ptrIsEEEEPS5_m14custom_greaterIsEEE10hipError_tT0_T1_T2_jT3_P12ihipStream_tbPNSt15iterator_traitsISJ_E10value_typeEPNSP_ISK_E10value_typeEPSL_NS1_7vsmem_tEENKUlT_SJ_SK_SL_E_clISE_PsSF_SF_EESI_SY_SJ_SK_SL_EUlSY_E_NS1_11comp_targetILNS1_3genE3ELNS1_11target_archE908ELNS1_3gpuE7ELNS1_3repE0EEENS1_48merge_mergepath_partition_config_static_selectorELNS0_4arch9wavefront6targetE1EEEvSK_
	.globl	_ZN7rocprim17ROCPRIM_400000_NS6detail17trampoline_kernelINS0_14default_configENS1_38merge_sort_block_merge_config_selectorIsNS0_10empty_typeEEEZZNS1_27merge_sort_block_merge_implIS3_N6thrust23THRUST_200600_302600_NS6detail15normal_iteratorINS9_10device_ptrIsEEEEPS5_m14custom_greaterIsEEE10hipError_tT0_T1_T2_jT3_P12ihipStream_tbPNSt15iterator_traitsISJ_E10value_typeEPNSP_ISK_E10value_typeEPSL_NS1_7vsmem_tEENKUlT_SJ_SK_SL_E_clISE_PsSF_SF_EESI_SY_SJ_SK_SL_EUlSY_E_NS1_11comp_targetILNS1_3genE3ELNS1_11target_archE908ELNS1_3gpuE7ELNS1_3repE0EEENS1_48merge_mergepath_partition_config_static_selectorELNS0_4arch9wavefront6targetE1EEEvSK_
	.p2align	8
	.type	_ZN7rocprim17ROCPRIM_400000_NS6detail17trampoline_kernelINS0_14default_configENS1_38merge_sort_block_merge_config_selectorIsNS0_10empty_typeEEEZZNS1_27merge_sort_block_merge_implIS3_N6thrust23THRUST_200600_302600_NS6detail15normal_iteratorINS9_10device_ptrIsEEEEPS5_m14custom_greaterIsEEE10hipError_tT0_T1_T2_jT3_P12ihipStream_tbPNSt15iterator_traitsISJ_E10value_typeEPNSP_ISK_E10value_typeEPSL_NS1_7vsmem_tEENKUlT_SJ_SK_SL_E_clISE_PsSF_SF_EESI_SY_SJ_SK_SL_EUlSY_E_NS1_11comp_targetILNS1_3genE3ELNS1_11target_archE908ELNS1_3gpuE7ELNS1_3repE0EEENS1_48merge_mergepath_partition_config_static_selectorELNS0_4arch9wavefront6targetE1EEEvSK_,@function
_ZN7rocprim17ROCPRIM_400000_NS6detail17trampoline_kernelINS0_14default_configENS1_38merge_sort_block_merge_config_selectorIsNS0_10empty_typeEEEZZNS1_27merge_sort_block_merge_implIS3_N6thrust23THRUST_200600_302600_NS6detail15normal_iteratorINS9_10device_ptrIsEEEEPS5_m14custom_greaterIsEEE10hipError_tT0_T1_T2_jT3_P12ihipStream_tbPNSt15iterator_traitsISJ_E10value_typeEPNSP_ISK_E10value_typeEPSL_NS1_7vsmem_tEENKUlT_SJ_SK_SL_E_clISE_PsSF_SF_EESI_SY_SJ_SK_SL_EUlSY_E_NS1_11comp_targetILNS1_3genE3ELNS1_11target_archE908ELNS1_3gpuE7ELNS1_3repE0EEENS1_48merge_mergepath_partition_config_static_selectorELNS0_4arch9wavefront6targetE1EEEvSK_: ; @_ZN7rocprim17ROCPRIM_400000_NS6detail17trampoline_kernelINS0_14default_configENS1_38merge_sort_block_merge_config_selectorIsNS0_10empty_typeEEEZZNS1_27merge_sort_block_merge_implIS3_N6thrust23THRUST_200600_302600_NS6detail15normal_iteratorINS9_10device_ptrIsEEEEPS5_m14custom_greaterIsEEE10hipError_tT0_T1_T2_jT3_P12ihipStream_tbPNSt15iterator_traitsISJ_E10value_typeEPNSP_ISK_E10value_typeEPSL_NS1_7vsmem_tEENKUlT_SJ_SK_SL_E_clISE_PsSF_SF_EESI_SY_SJ_SK_SL_EUlSY_E_NS1_11comp_targetILNS1_3genE3ELNS1_11target_archE908ELNS1_3gpuE7ELNS1_3repE0EEENS1_48merge_mergepath_partition_config_static_selectorELNS0_4arch9wavefront6targetE1EEEvSK_
; %bb.0:
	.section	.rodata,"a",@progbits
	.p2align	6, 0x0
	.amdhsa_kernel _ZN7rocprim17ROCPRIM_400000_NS6detail17trampoline_kernelINS0_14default_configENS1_38merge_sort_block_merge_config_selectorIsNS0_10empty_typeEEEZZNS1_27merge_sort_block_merge_implIS3_N6thrust23THRUST_200600_302600_NS6detail15normal_iteratorINS9_10device_ptrIsEEEEPS5_m14custom_greaterIsEEE10hipError_tT0_T1_T2_jT3_P12ihipStream_tbPNSt15iterator_traitsISJ_E10value_typeEPNSP_ISK_E10value_typeEPSL_NS1_7vsmem_tEENKUlT_SJ_SK_SL_E_clISE_PsSF_SF_EESI_SY_SJ_SK_SL_EUlSY_E_NS1_11comp_targetILNS1_3genE3ELNS1_11target_archE908ELNS1_3gpuE7ELNS1_3repE0EEENS1_48merge_mergepath_partition_config_static_selectorELNS0_4arch9wavefront6targetE1EEEvSK_
		.amdhsa_group_segment_fixed_size 0
		.amdhsa_private_segment_fixed_size 0
		.amdhsa_kernarg_size 48
		.amdhsa_user_sgpr_count 6
		.amdhsa_user_sgpr_private_segment_buffer 1
		.amdhsa_user_sgpr_dispatch_ptr 0
		.amdhsa_user_sgpr_queue_ptr 0
		.amdhsa_user_sgpr_kernarg_segment_ptr 1
		.amdhsa_user_sgpr_dispatch_id 0
		.amdhsa_user_sgpr_flat_scratch_init 0
		.amdhsa_user_sgpr_kernarg_preload_length 0
		.amdhsa_user_sgpr_kernarg_preload_offset 0
		.amdhsa_user_sgpr_private_segment_size 0
		.amdhsa_uses_dynamic_stack 0
		.amdhsa_system_sgpr_private_segment_wavefront_offset 0
		.amdhsa_system_sgpr_workgroup_id_x 1
		.amdhsa_system_sgpr_workgroup_id_y 0
		.amdhsa_system_sgpr_workgroup_id_z 0
		.amdhsa_system_sgpr_workgroup_info 0
		.amdhsa_system_vgpr_workitem_id 0
		.amdhsa_next_free_vgpr 1
		.amdhsa_next_free_sgpr 0
		.amdhsa_accum_offset 4
		.amdhsa_reserve_vcc 0
		.amdhsa_reserve_flat_scratch 0
		.amdhsa_float_round_mode_32 0
		.amdhsa_float_round_mode_16_64 0
		.amdhsa_float_denorm_mode_32 3
		.amdhsa_float_denorm_mode_16_64 3
		.amdhsa_dx10_clamp 1
		.amdhsa_ieee_mode 1
		.amdhsa_fp16_overflow 0
		.amdhsa_tg_split 0
		.amdhsa_exception_fp_ieee_invalid_op 0
		.amdhsa_exception_fp_denorm_src 0
		.amdhsa_exception_fp_ieee_div_zero 0
		.amdhsa_exception_fp_ieee_overflow 0
		.amdhsa_exception_fp_ieee_underflow 0
		.amdhsa_exception_fp_ieee_inexact 0
		.amdhsa_exception_int_div_zero 0
	.end_amdhsa_kernel
	.section	.text._ZN7rocprim17ROCPRIM_400000_NS6detail17trampoline_kernelINS0_14default_configENS1_38merge_sort_block_merge_config_selectorIsNS0_10empty_typeEEEZZNS1_27merge_sort_block_merge_implIS3_N6thrust23THRUST_200600_302600_NS6detail15normal_iteratorINS9_10device_ptrIsEEEEPS5_m14custom_greaterIsEEE10hipError_tT0_T1_T2_jT3_P12ihipStream_tbPNSt15iterator_traitsISJ_E10value_typeEPNSP_ISK_E10value_typeEPSL_NS1_7vsmem_tEENKUlT_SJ_SK_SL_E_clISE_PsSF_SF_EESI_SY_SJ_SK_SL_EUlSY_E_NS1_11comp_targetILNS1_3genE3ELNS1_11target_archE908ELNS1_3gpuE7ELNS1_3repE0EEENS1_48merge_mergepath_partition_config_static_selectorELNS0_4arch9wavefront6targetE1EEEvSK_,"axG",@progbits,_ZN7rocprim17ROCPRIM_400000_NS6detail17trampoline_kernelINS0_14default_configENS1_38merge_sort_block_merge_config_selectorIsNS0_10empty_typeEEEZZNS1_27merge_sort_block_merge_implIS3_N6thrust23THRUST_200600_302600_NS6detail15normal_iteratorINS9_10device_ptrIsEEEEPS5_m14custom_greaterIsEEE10hipError_tT0_T1_T2_jT3_P12ihipStream_tbPNSt15iterator_traitsISJ_E10value_typeEPNSP_ISK_E10value_typeEPSL_NS1_7vsmem_tEENKUlT_SJ_SK_SL_E_clISE_PsSF_SF_EESI_SY_SJ_SK_SL_EUlSY_E_NS1_11comp_targetILNS1_3genE3ELNS1_11target_archE908ELNS1_3gpuE7ELNS1_3repE0EEENS1_48merge_mergepath_partition_config_static_selectorELNS0_4arch9wavefront6targetE1EEEvSK_,comdat
.Lfunc_end2965:
	.size	_ZN7rocprim17ROCPRIM_400000_NS6detail17trampoline_kernelINS0_14default_configENS1_38merge_sort_block_merge_config_selectorIsNS0_10empty_typeEEEZZNS1_27merge_sort_block_merge_implIS3_N6thrust23THRUST_200600_302600_NS6detail15normal_iteratorINS9_10device_ptrIsEEEEPS5_m14custom_greaterIsEEE10hipError_tT0_T1_T2_jT3_P12ihipStream_tbPNSt15iterator_traitsISJ_E10value_typeEPNSP_ISK_E10value_typeEPSL_NS1_7vsmem_tEENKUlT_SJ_SK_SL_E_clISE_PsSF_SF_EESI_SY_SJ_SK_SL_EUlSY_E_NS1_11comp_targetILNS1_3genE3ELNS1_11target_archE908ELNS1_3gpuE7ELNS1_3repE0EEENS1_48merge_mergepath_partition_config_static_selectorELNS0_4arch9wavefront6targetE1EEEvSK_, .Lfunc_end2965-_ZN7rocprim17ROCPRIM_400000_NS6detail17trampoline_kernelINS0_14default_configENS1_38merge_sort_block_merge_config_selectorIsNS0_10empty_typeEEEZZNS1_27merge_sort_block_merge_implIS3_N6thrust23THRUST_200600_302600_NS6detail15normal_iteratorINS9_10device_ptrIsEEEEPS5_m14custom_greaterIsEEE10hipError_tT0_T1_T2_jT3_P12ihipStream_tbPNSt15iterator_traitsISJ_E10value_typeEPNSP_ISK_E10value_typeEPSL_NS1_7vsmem_tEENKUlT_SJ_SK_SL_E_clISE_PsSF_SF_EESI_SY_SJ_SK_SL_EUlSY_E_NS1_11comp_targetILNS1_3genE3ELNS1_11target_archE908ELNS1_3gpuE7ELNS1_3repE0EEENS1_48merge_mergepath_partition_config_static_selectorELNS0_4arch9wavefront6targetE1EEEvSK_
                                        ; -- End function
	.section	.AMDGPU.csdata,"",@progbits
; Kernel info:
; codeLenInByte = 0
; NumSgprs: 4
; NumVgprs: 0
; NumAgprs: 0
; TotalNumVgprs: 0
; ScratchSize: 0
; MemoryBound: 0
; FloatMode: 240
; IeeeMode: 1
; LDSByteSize: 0 bytes/workgroup (compile time only)
; SGPRBlocks: 0
; VGPRBlocks: 0
; NumSGPRsForWavesPerEU: 4
; NumVGPRsForWavesPerEU: 1
; AccumOffset: 4
; Occupancy: 8
; WaveLimiterHint : 0
; COMPUTE_PGM_RSRC2:SCRATCH_EN: 0
; COMPUTE_PGM_RSRC2:USER_SGPR: 6
; COMPUTE_PGM_RSRC2:TRAP_HANDLER: 0
; COMPUTE_PGM_RSRC2:TGID_X_EN: 1
; COMPUTE_PGM_RSRC2:TGID_Y_EN: 0
; COMPUTE_PGM_RSRC2:TGID_Z_EN: 0
; COMPUTE_PGM_RSRC2:TIDIG_COMP_CNT: 0
; COMPUTE_PGM_RSRC3_GFX90A:ACCUM_OFFSET: 0
; COMPUTE_PGM_RSRC3_GFX90A:TG_SPLIT: 0
	.section	.text._ZN7rocprim17ROCPRIM_400000_NS6detail17trampoline_kernelINS0_14default_configENS1_38merge_sort_block_merge_config_selectorIsNS0_10empty_typeEEEZZNS1_27merge_sort_block_merge_implIS3_N6thrust23THRUST_200600_302600_NS6detail15normal_iteratorINS9_10device_ptrIsEEEEPS5_m14custom_greaterIsEEE10hipError_tT0_T1_T2_jT3_P12ihipStream_tbPNSt15iterator_traitsISJ_E10value_typeEPNSP_ISK_E10value_typeEPSL_NS1_7vsmem_tEENKUlT_SJ_SK_SL_E_clISE_PsSF_SF_EESI_SY_SJ_SK_SL_EUlSY_E_NS1_11comp_targetILNS1_3genE2ELNS1_11target_archE906ELNS1_3gpuE6ELNS1_3repE0EEENS1_48merge_mergepath_partition_config_static_selectorELNS0_4arch9wavefront6targetE1EEEvSK_,"axG",@progbits,_ZN7rocprim17ROCPRIM_400000_NS6detail17trampoline_kernelINS0_14default_configENS1_38merge_sort_block_merge_config_selectorIsNS0_10empty_typeEEEZZNS1_27merge_sort_block_merge_implIS3_N6thrust23THRUST_200600_302600_NS6detail15normal_iteratorINS9_10device_ptrIsEEEEPS5_m14custom_greaterIsEEE10hipError_tT0_T1_T2_jT3_P12ihipStream_tbPNSt15iterator_traitsISJ_E10value_typeEPNSP_ISK_E10value_typeEPSL_NS1_7vsmem_tEENKUlT_SJ_SK_SL_E_clISE_PsSF_SF_EESI_SY_SJ_SK_SL_EUlSY_E_NS1_11comp_targetILNS1_3genE2ELNS1_11target_archE906ELNS1_3gpuE6ELNS1_3repE0EEENS1_48merge_mergepath_partition_config_static_selectorELNS0_4arch9wavefront6targetE1EEEvSK_,comdat
	.protected	_ZN7rocprim17ROCPRIM_400000_NS6detail17trampoline_kernelINS0_14default_configENS1_38merge_sort_block_merge_config_selectorIsNS0_10empty_typeEEEZZNS1_27merge_sort_block_merge_implIS3_N6thrust23THRUST_200600_302600_NS6detail15normal_iteratorINS9_10device_ptrIsEEEEPS5_m14custom_greaterIsEEE10hipError_tT0_T1_T2_jT3_P12ihipStream_tbPNSt15iterator_traitsISJ_E10value_typeEPNSP_ISK_E10value_typeEPSL_NS1_7vsmem_tEENKUlT_SJ_SK_SL_E_clISE_PsSF_SF_EESI_SY_SJ_SK_SL_EUlSY_E_NS1_11comp_targetILNS1_3genE2ELNS1_11target_archE906ELNS1_3gpuE6ELNS1_3repE0EEENS1_48merge_mergepath_partition_config_static_selectorELNS0_4arch9wavefront6targetE1EEEvSK_ ; -- Begin function _ZN7rocprim17ROCPRIM_400000_NS6detail17trampoline_kernelINS0_14default_configENS1_38merge_sort_block_merge_config_selectorIsNS0_10empty_typeEEEZZNS1_27merge_sort_block_merge_implIS3_N6thrust23THRUST_200600_302600_NS6detail15normal_iteratorINS9_10device_ptrIsEEEEPS5_m14custom_greaterIsEEE10hipError_tT0_T1_T2_jT3_P12ihipStream_tbPNSt15iterator_traitsISJ_E10value_typeEPNSP_ISK_E10value_typeEPSL_NS1_7vsmem_tEENKUlT_SJ_SK_SL_E_clISE_PsSF_SF_EESI_SY_SJ_SK_SL_EUlSY_E_NS1_11comp_targetILNS1_3genE2ELNS1_11target_archE906ELNS1_3gpuE6ELNS1_3repE0EEENS1_48merge_mergepath_partition_config_static_selectorELNS0_4arch9wavefront6targetE1EEEvSK_
	.globl	_ZN7rocprim17ROCPRIM_400000_NS6detail17trampoline_kernelINS0_14default_configENS1_38merge_sort_block_merge_config_selectorIsNS0_10empty_typeEEEZZNS1_27merge_sort_block_merge_implIS3_N6thrust23THRUST_200600_302600_NS6detail15normal_iteratorINS9_10device_ptrIsEEEEPS5_m14custom_greaterIsEEE10hipError_tT0_T1_T2_jT3_P12ihipStream_tbPNSt15iterator_traitsISJ_E10value_typeEPNSP_ISK_E10value_typeEPSL_NS1_7vsmem_tEENKUlT_SJ_SK_SL_E_clISE_PsSF_SF_EESI_SY_SJ_SK_SL_EUlSY_E_NS1_11comp_targetILNS1_3genE2ELNS1_11target_archE906ELNS1_3gpuE6ELNS1_3repE0EEENS1_48merge_mergepath_partition_config_static_selectorELNS0_4arch9wavefront6targetE1EEEvSK_
	.p2align	8
	.type	_ZN7rocprim17ROCPRIM_400000_NS6detail17trampoline_kernelINS0_14default_configENS1_38merge_sort_block_merge_config_selectorIsNS0_10empty_typeEEEZZNS1_27merge_sort_block_merge_implIS3_N6thrust23THRUST_200600_302600_NS6detail15normal_iteratorINS9_10device_ptrIsEEEEPS5_m14custom_greaterIsEEE10hipError_tT0_T1_T2_jT3_P12ihipStream_tbPNSt15iterator_traitsISJ_E10value_typeEPNSP_ISK_E10value_typeEPSL_NS1_7vsmem_tEENKUlT_SJ_SK_SL_E_clISE_PsSF_SF_EESI_SY_SJ_SK_SL_EUlSY_E_NS1_11comp_targetILNS1_3genE2ELNS1_11target_archE906ELNS1_3gpuE6ELNS1_3repE0EEENS1_48merge_mergepath_partition_config_static_selectorELNS0_4arch9wavefront6targetE1EEEvSK_,@function
_ZN7rocprim17ROCPRIM_400000_NS6detail17trampoline_kernelINS0_14default_configENS1_38merge_sort_block_merge_config_selectorIsNS0_10empty_typeEEEZZNS1_27merge_sort_block_merge_implIS3_N6thrust23THRUST_200600_302600_NS6detail15normal_iteratorINS9_10device_ptrIsEEEEPS5_m14custom_greaterIsEEE10hipError_tT0_T1_T2_jT3_P12ihipStream_tbPNSt15iterator_traitsISJ_E10value_typeEPNSP_ISK_E10value_typeEPSL_NS1_7vsmem_tEENKUlT_SJ_SK_SL_E_clISE_PsSF_SF_EESI_SY_SJ_SK_SL_EUlSY_E_NS1_11comp_targetILNS1_3genE2ELNS1_11target_archE906ELNS1_3gpuE6ELNS1_3repE0EEENS1_48merge_mergepath_partition_config_static_selectorELNS0_4arch9wavefront6targetE1EEEvSK_: ; @_ZN7rocprim17ROCPRIM_400000_NS6detail17trampoline_kernelINS0_14default_configENS1_38merge_sort_block_merge_config_selectorIsNS0_10empty_typeEEEZZNS1_27merge_sort_block_merge_implIS3_N6thrust23THRUST_200600_302600_NS6detail15normal_iteratorINS9_10device_ptrIsEEEEPS5_m14custom_greaterIsEEE10hipError_tT0_T1_T2_jT3_P12ihipStream_tbPNSt15iterator_traitsISJ_E10value_typeEPNSP_ISK_E10value_typeEPSL_NS1_7vsmem_tEENKUlT_SJ_SK_SL_E_clISE_PsSF_SF_EESI_SY_SJ_SK_SL_EUlSY_E_NS1_11comp_targetILNS1_3genE2ELNS1_11target_archE906ELNS1_3gpuE6ELNS1_3repE0EEENS1_48merge_mergepath_partition_config_static_selectorELNS0_4arch9wavefront6targetE1EEEvSK_
; %bb.0:
	.section	.rodata,"a",@progbits
	.p2align	6, 0x0
	.amdhsa_kernel _ZN7rocprim17ROCPRIM_400000_NS6detail17trampoline_kernelINS0_14default_configENS1_38merge_sort_block_merge_config_selectorIsNS0_10empty_typeEEEZZNS1_27merge_sort_block_merge_implIS3_N6thrust23THRUST_200600_302600_NS6detail15normal_iteratorINS9_10device_ptrIsEEEEPS5_m14custom_greaterIsEEE10hipError_tT0_T1_T2_jT3_P12ihipStream_tbPNSt15iterator_traitsISJ_E10value_typeEPNSP_ISK_E10value_typeEPSL_NS1_7vsmem_tEENKUlT_SJ_SK_SL_E_clISE_PsSF_SF_EESI_SY_SJ_SK_SL_EUlSY_E_NS1_11comp_targetILNS1_3genE2ELNS1_11target_archE906ELNS1_3gpuE6ELNS1_3repE0EEENS1_48merge_mergepath_partition_config_static_selectorELNS0_4arch9wavefront6targetE1EEEvSK_
		.amdhsa_group_segment_fixed_size 0
		.amdhsa_private_segment_fixed_size 0
		.amdhsa_kernarg_size 48
		.amdhsa_user_sgpr_count 6
		.amdhsa_user_sgpr_private_segment_buffer 1
		.amdhsa_user_sgpr_dispatch_ptr 0
		.amdhsa_user_sgpr_queue_ptr 0
		.amdhsa_user_sgpr_kernarg_segment_ptr 1
		.amdhsa_user_sgpr_dispatch_id 0
		.amdhsa_user_sgpr_flat_scratch_init 0
		.amdhsa_user_sgpr_kernarg_preload_length 0
		.amdhsa_user_sgpr_kernarg_preload_offset 0
		.amdhsa_user_sgpr_private_segment_size 0
		.amdhsa_uses_dynamic_stack 0
		.amdhsa_system_sgpr_private_segment_wavefront_offset 0
		.amdhsa_system_sgpr_workgroup_id_x 1
		.amdhsa_system_sgpr_workgroup_id_y 0
		.amdhsa_system_sgpr_workgroup_id_z 0
		.amdhsa_system_sgpr_workgroup_info 0
		.amdhsa_system_vgpr_workitem_id 0
		.amdhsa_next_free_vgpr 1
		.amdhsa_next_free_sgpr 0
		.amdhsa_accum_offset 4
		.amdhsa_reserve_vcc 0
		.amdhsa_reserve_flat_scratch 0
		.amdhsa_float_round_mode_32 0
		.amdhsa_float_round_mode_16_64 0
		.amdhsa_float_denorm_mode_32 3
		.amdhsa_float_denorm_mode_16_64 3
		.amdhsa_dx10_clamp 1
		.amdhsa_ieee_mode 1
		.amdhsa_fp16_overflow 0
		.amdhsa_tg_split 0
		.amdhsa_exception_fp_ieee_invalid_op 0
		.amdhsa_exception_fp_denorm_src 0
		.amdhsa_exception_fp_ieee_div_zero 0
		.amdhsa_exception_fp_ieee_overflow 0
		.amdhsa_exception_fp_ieee_underflow 0
		.amdhsa_exception_fp_ieee_inexact 0
		.amdhsa_exception_int_div_zero 0
	.end_amdhsa_kernel
	.section	.text._ZN7rocprim17ROCPRIM_400000_NS6detail17trampoline_kernelINS0_14default_configENS1_38merge_sort_block_merge_config_selectorIsNS0_10empty_typeEEEZZNS1_27merge_sort_block_merge_implIS3_N6thrust23THRUST_200600_302600_NS6detail15normal_iteratorINS9_10device_ptrIsEEEEPS5_m14custom_greaterIsEEE10hipError_tT0_T1_T2_jT3_P12ihipStream_tbPNSt15iterator_traitsISJ_E10value_typeEPNSP_ISK_E10value_typeEPSL_NS1_7vsmem_tEENKUlT_SJ_SK_SL_E_clISE_PsSF_SF_EESI_SY_SJ_SK_SL_EUlSY_E_NS1_11comp_targetILNS1_3genE2ELNS1_11target_archE906ELNS1_3gpuE6ELNS1_3repE0EEENS1_48merge_mergepath_partition_config_static_selectorELNS0_4arch9wavefront6targetE1EEEvSK_,"axG",@progbits,_ZN7rocprim17ROCPRIM_400000_NS6detail17trampoline_kernelINS0_14default_configENS1_38merge_sort_block_merge_config_selectorIsNS0_10empty_typeEEEZZNS1_27merge_sort_block_merge_implIS3_N6thrust23THRUST_200600_302600_NS6detail15normal_iteratorINS9_10device_ptrIsEEEEPS5_m14custom_greaterIsEEE10hipError_tT0_T1_T2_jT3_P12ihipStream_tbPNSt15iterator_traitsISJ_E10value_typeEPNSP_ISK_E10value_typeEPSL_NS1_7vsmem_tEENKUlT_SJ_SK_SL_E_clISE_PsSF_SF_EESI_SY_SJ_SK_SL_EUlSY_E_NS1_11comp_targetILNS1_3genE2ELNS1_11target_archE906ELNS1_3gpuE6ELNS1_3repE0EEENS1_48merge_mergepath_partition_config_static_selectorELNS0_4arch9wavefront6targetE1EEEvSK_,comdat
.Lfunc_end2966:
	.size	_ZN7rocprim17ROCPRIM_400000_NS6detail17trampoline_kernelINS0_14default_configENS1_38merge_sort_block_merge_config_selectorIsNS0_10empty_typeEEEZZNS1_27merge_sort_block_merge_implIS3_N6thrust23THRUST_200600_302600_NS6detail15normal_iteratorINS9_10device_ptrIsEEEEPS5_m14custom_greaterIsEEE10hipError_tT0_T1_T2_jT3_P12ihipStream_tbPNSt15iterator_traitsISJ_E10value_typeEPNSP_ISK_E10value_typeEPSL_NS1_7vsmem_tEENKUlT_SJ_SK_SL_E_clISE_PsSF_SF_EESI_SY_SJ_SK_SL_EUlSY_E_NS1_11comp_targetILNS1_3genE2ELNS1_11target_archE906ELNS1_3gpuE6ELNS1_3repE0EEENS1_48merge_mergepath_partition_config_static_selectorELNS0_4arch9wavefront6targetE1EEEvSK_, .Lfunc_end2966-_ZN7rocprim17ROCPRIM_400000_NS6detail17trampoline_kernelINS0_14default_configENS1_38merge_sort_block_merge_config_selectorIsNS0_10empty_typeEEEZZNS1_27merge_sort_block_merge_implIS3_N6thrust23THRUST_200600_302600_NS6detail15normal_iteratorINS9_10device_ptrIsEEEEPS5_m14custom_greaterIsEEE10hipError_tT0_T1_T2_jT3_P12ihipStream_tbPNSt15iterator_traitsISJ_E10value_typeEPNSP_ISK_E10value_typeEPSL_NS1_7vsmem_tEENKUlT_SJ_SK_SL_E_clISE_PsSF_SF_EESI_SY_SJ_SK_SL_EUlSY_E_NS1_11comp_targetILNS1_3genE2ELNS1_11target_archE906ELNS1_3gpuE6ELNS1_3repE0EEENS1_48merge_mergepath_partition_config_static_selectorELNS0_4arch9wavefront6targetE1EEEvSK_
                                        ; -- End function
	.section	.AMDGPU.csdata,"",@progbits
; Kernel info:
; codeLenInByte = 0
; NumSgprs: 4
; NumVgprs: 0
; NumAgprs: 0
; TotalNumVgprs: 0
; ScratchSize: 0
; MemoryBound: 0
; FloatMode: 240
; IeeeMode: 1
; LDSByteSize: 0 bytes/workgroup (compile time only)
; SGPRBlocks: 0
; VGPRBlocks: 0
; NumSGPRsForWavesPerEU: 4
; NumVGPRsForWavesPerEU: 1
; AccumOffset: 4
; Occupancy: 8
; WaveLimiterHint : 0
; COMPUTE_PGM_RSRC2:SCRATCH_EN: 0
; COMPUTE_PGM_RSRC2:USER_SGPR: 6
; COMPUTE_PGM_RSRC2:TRAP_HANDLER: 0
; COMPUTE_PGM_RSRC2:TGID_X_EN: 1
; COMPUTE_PGM_RSRC2:TGID_Y_EN: 0
; COMPUTE_PGM_RSRC2:TGID_Z_EN: 0
; COMPUTE_PGM_RSRC2:TIDIG_COMP_CNT: 0
; COMPUTE_PGM_RSRC3_GFX90A:ACCUM_OFFSET: 0
; COMPUTE_PGM_RSRC3_GFX90A:TG_SPLIT: 0
	.section	.text._ZN7rocprim17ROCPRIM_400000_NS6detail17trampoline_kernelINS0_14default_configENS1_38merge_sort_block_merge_config_selectorIsNS0_10empty_typeEEEZZNS1_27merge_sort_block_merge_implIS3_N6thrust23THRUST_200600_302600_NS6detail15normal_iteratorINS9_10device_ptrIsEEEEPS5_m14custom_greaterIsEEE10hipError_tT0_T1_T2_jT3_P12ihipStream_tbPNSt15iterator_traitsISJ_E10value_typeEPNSP_ISK_E10value_typeEPSL_NS1_7vsmem_tEENKUlT_SJ_SK_SL_E_clISE_PsSF_SF_EESI_SY_SJ_SK_SL_EUlSY_E_NS1_11comp_targetILNS1_3genE9ELNS1_11target_archE1100ELNS1_3gpuE3ELNS1_3repE0EEENS1_48merge_mergepath_partition_config_static_selectorELNS0_4arch9wavefront6targetE1EEEvSK_,"axG",@progbits,_ZN7rocprim17ROCPRIM_400000_NS6detail17trampoline_kernelINS0_14default_configENS1_38merge_sort_block_merge_config_selectorIsNS0_10empty_typeEEEZZNS1_27merge_sort_block_merge_implIS3_N6thrust23THRUST_200600_302600_NS6detail15normal_iteratorINS9_10device_ptrIsEEEEPS5_m14custom_greaterIsEEE10hipError_tT0_T1_T2_jT3_P12ihipStream_tbPNSt15iterator_traitsISJ_E10value_typeEPNSP_ISK_E10value_typeEPSL_NS1_7vsmem_tEENKUlT_SJ_SK_SL_E_clISE_PsSF_SF_EESI_SY_SJ_SK_SL_EUlSY_E_NS1_11comp_targetILNS1_3genE9ELNS1_11target_archE1100ELNS1_3gpuE3ELNS1_3repE0EEENS1_48merge_mergepath_partition_config_static_selectorELNS0_4arch9wavefront6targetE1EEEvSK_,comdat
	.protected	_ZN7rocprim17ROCPRIM_400000_NS6detail17trampoline_kernelINS0_14default_configENS1_38merge_sort_block_merge_config_selectorIsNS0_10empty_typeEEEZZNS1_27merge_sort_block_merge_implIS3_N6thrust23THRUST_200600_302600_NS6detail15normal_iteratorINS9_10device_ptrIsEEEEPS5_m14custom_greaterIsEEE10hipError_tT0_T1_T2_jT3_P12ihipStream_tbPNSt15iterator_traitsISJ_E10value_typeEPNSP_ISK_E10value_typeEPSL_NS1_7vsmem_tEENKUlT_SJ_SK_SL_E_clISE_PsSF_SF_EESI_SY_SJ_SK_SL_EUlSY_E_NS1_11comp_targetILNS1_3genE9ELNS1_11target_archE1100ELNS1_3gpuE3ELNS1_3repE0EEENS1_48merge_mergepath_partition_config_static_selectorELNS0_4arch9wavefront6targetE1EEEvSK_ ; -- Begin function _ZN7rocprim17ROCPRIM_400000_NS6detail17trampoline_kernelINS0_14default_configENS1_38merge_sort_block_merge_config_selectorIsNS0_10empty_typeEEEZZNS1_27merge_sort_block_merge_implIS3_N6thrust23THRUST_200600_302600_NS6detail15normal_iteratorINS9_10device_ptrIsEEEEPS5_m14custom_greaterIsEEE10hipError_tT0_T1_T2_jT3_P12ihipStream_tbPNSt15iterator_traitsISJ_E10value_typeEPNSP_ISK_E10value_typeEPSL_NS1_7vsmem_tEENKUlT_SJ_SK_SL_E_clISE_PsSF_SF_EESI_SY_SJ_SK_SL_EUlSY_E_NS1_11comp_targetILNS1_3genE9ELNS1_11target_archE1100ELNS1_3gpuE3ELNS1_3repE0EEENS1_48merge_mergepath_partition_config_static_selectorELNS0_4arch9wavefront6targetE1EEEvSK_
	.globl	_ZN7rocprim17ROCPRIM_400000_NS6detail17trampoline_kernelINS0_14default_configENS1_38merge_sort_block_merge_config_selectorIsNS0_10empty_typeEEEZZNS1_27merge_sort_block_merge_implIS3_N6thrust23THRUST_200600_302600_NS6detail15normal_iteratorINS9_10device_ptrIsEEEEPS5_m14custom_greaterIsEEE10hipError_tT0_T1_T2_jT3_P12ihipStream_tbPNSt15iterator_traitsISJ_E10value_typeEPNSP_ISK_E10value_typeEPSL_NS1_7vsmem_tEENKUlT_SJ_SK_SL_E_clISE_PsSF_SF_EESI_SY_SJ_SK_SL_EUlSY_E_NS1_11comp_targetILNS1_3genE9ELNS1_11target_archE1100ELNS1_3gpuE3ELNS1_3repE0EEENS1_48merge_mergepath_partition_config_static_selectorELNS0_4arch9wavefront6targetE1EEEvSK_
	.p2align	8
	.type	_ZN7rocprim17ROCPRIM_400000_NS6detail17trampoline_kernelINS0_14default_configENS1_38merge_sort_block_merge_config_selectorIsNS0_10empty_typeEEEZZNS1_27merge_sort_block_merge_implIS3_N6thrust23THRUST_200600_302600_NS6detail15normal_iteratorINS9_10device_ptrIsEEEEPS5_m14custom_greaterIsEEE10hipError_tT0_T1_T2_jT3_P12ihipStream_tbPNSt15iterator_traitsISJ_E10value_typeEPNSP_ISK_E10value_typeEPSL_NS1_7vsmem_tEENKUlT_SJ_SK_SL_E_clISE_PsSF_SF_EESI_SY_SJ_SK_SL_EUlSY_E_NS1_11comp_targetILNS1_3genE9ELNS1_11target_archE1100ELNS1_3gpuE3ELNS1_3repE0EEENS1_48merge_mergepath_partition_config_static_selectorELNS0_4arch9wavefront6targetE1EEEvSK_,@function
_ZN7rocprim17ROCPRIM_400000_NS6detail17trampoline_kernelINS0_14default_configENS1_38merge_sort_block_merge_config_selectorIsNS0_10empty_typeEEEZZNS1_27merge_sort_block_merge_implIS3_N6thrust23THRUST_200600_302600_NS6detail15normal_iteratorINS9_10device_ptrIsEEEEPS5_m14custom_greaterIsEEE10hipError_tT0_T1_T2_jT3_P12ihipStream_tbPNSt15iterator_traitsISJ_E10value_typeEPNSP_ISK_E10value_typeEPSL_NS1_7vsmem_tEENKUlT_SJ_SK_SL_E_clISE_PsSF_SF_EESI_SY_SJ_SK_SL_EUlSY_E_NS1_11comp_targetILNS1_3genE9ELNS1_11target_archE1100ELNS1_3gpuE3ELNS1_3repE0EEENS1_48merge_mergepath_partition_config_static_selectorELNS0_4arch9wavefront6targetE1EEEvSK_: ; @_ZN7rocprim17ROCPRIM_400000_NS6detail17trampoline_kernelINS0_14default_configENS1_38merge_sort_block_merge_config_selectorIsNS0_10empty_typeEEEZZNS1_27merge_sort_block_merge_implIS3_N6thrust23THRUST_200600_302600_NS6detail15normal_iteratorINS9_10device_ptrIsEEEEPS5_m14custom_greaterIsEEE10hipError_tT0_T1_T2_jT3_P12ihipStream_tbPNSt15iterator_traitsISJ_E10value_typeEPNSP_ISK_E10value_typeEPSL_NS1_7vsmem_tEENKUlT_SJ_SK_SL_E_clISE_PsSF_SF_EESI_SY_SJ_SK_SL_EUlSY_E_NS1_11comp_targetILNS1_3genE9ELNS1_11target_archE1100ELNS1_3gpuE3ELNS1_3repE0EEENS1_48merge_mergepath_partition_config_static_selectorELNS0_4arch9wavefront6targetE1EEEvSK_
; %bb.0:
	.section	.rodata,"a",@progbits
	.p2align	6, 0x0
	.amdhsa_kernel _ZN7rocprim17ROCPRIM_400000_NS6detail17trampoline_kernelINS0_14default_configENS1_38merge_sort_block_merge_config_selectorIsNS0_10empty_typeEEEZZNS1_27merge_sort_block_merge_implIS3_N6thrust23THRUST_200600_302600_NS6detail15normal_iteratorINS9_10device_ptrIsEEEEPS5_m14custom_greaterIsEEE10hipError_tT0_T1_T2_jT3_P12ihipStream_tbPNSt15iterator_traitsISJ_E10value_typeEPNSP_ISK_E10value_typeEPSL_NS1_7vsmem_tEENKUlT_SJ_SK_SL_E_clISE_PsSF_SF_EESI_SY_SJ_SK_SL_EUlSY_E_NS1_11comp_targetILNS1_3genE9ELNS1_11target_archE1100ELNS1_3gpuE3ELNS1_3repE0EEENS1_48merge_mergepath_partition_config_static_selectorELNS0_4arch9wavefront6targetE1EEEvSK_
		.amdhsa_group_segment_fixed_size 0
		.amdhsa_private_segment_fixed_size 0
		.amdhsa_kernarg_size 48
		.amdhsa_user_sgpr_count 6
		.amdhsa_user_sgpr_private_segment_buffer 1
		.amdhsa_user_sgpr_dispatch_ptr 0
		.amdhsa_user_sgpr_queue_ptr 0
		.amdhsa_user_sgpr_kernarg_segment_ptr 1
		.amdhsa_user_sgpr_dispatch_id 0
		.amdhsa_user_sgpr_flat_scratch_init 0
		.amdhsa_user_sgpr_kernarg_preload_length 0
		.amdhsa_user_sgpr_kernarg_preload_offset 0
		.amdhsa_user_sgpr_private_segment_size 0
		.amdhsa_uses_dynamic_stack 0
		.amdhsa_system_sgpr_private_segment_wavefront_offset 0
		.amdhsa_system_sgpr_workgroup_id_x 1
		.amdhsa_system_sgpr_workgroup_id_y 0
		.amdhsa_system_sgpr_workgroup_id_z 0
		.amdhsa_system_sgpr_workgroup_info 0
		.amdhsa_system_vgpr_workitem_id 0
		.amdhsa_next_free_vgpr 1
		.amdhsa_next_free_sgpr 0
		.amdhsa_accum_offset 4
		.amdhsa_reserve_vcc 0
		.amdhsa_reserve_flat_scratch 0
		.amdhsa_float_round_mode_32 0
		.amdhsa_float_round_mode_16_64 0
		.amdhsa_float_denorm_mode_32 3
		.amdhsa_float_denorm_mode_16_64 3
		.amdhsa_dx10_clamp 1
		.amdhsa_ieee_mode 1
		.amdhsa_fp16_overflow 0
		.amdhsa_tg_split 0
		.amdhsa_exception_fp_ieee_invalid_op 0
		.amdhsa_exception_fp_denorm_src 0
		.amdhsa_exception_fp_ieee_div_zero 0
		.amdhsa_exception_fp_ieee_overflow 0
		.amdhsa_exception_fp_ieee_underflow 0
		.amdhsa_exception_fp_ieee_inexact 0
		.amdhsa_exception_int_div_zero 0
	.end_amdhsa_kernel
	.section	.text._ZN7rocprim17ROCPRIM_400000_NS6detail17trampoline_kernelINS0_14default_configENS1_38merge_sort_block_merge_config_selectorIsNS0_10empty_typeEEEZZNS1_27merge_sort_block_merge_implIS3_N6thrust23THRUST_200600_302600_NS6detail15normal_iteratorINS9_10device_ptrIsEEEEPS5_m14custom_greaterIsEEE10hipError_tT0_T1_T2_jT3_P12ihipStream_tbPNSt15iterator_traitsISJ_E10value_typeEPNSP_ISK_E10value_typeEPSL_NS1_7vsmem_tEENKUlT_SJ_SK_SL_E_clISE_PsSF_SF_EESI_SY_SJ_SK_SL_EUlSY_E_NS1_11comp_targetILNS1_3genE9ELNS1_11target_archE1100ELNS1_3gpuE3ELNS1_3repE0EEENS1_48merge_mergepath_partition_config_static_selectorELNS0_4arch9wavefront6targetE1EEEvSK_,"axG",@progbits,_ZN7rocprim17ROCPRIM_400000_NS6detail17trampoline_kernelINS0_14default_configENS1_38merge_sort_block_merge_config_selectorIsNS0_10empty_typeEEEZZNS1_27merge_sort_block_merge_implIS3_N6thrust23THRUST_200600_302600_NS6detail15normal_iteratorINS9_10device_ptrIsEEEEPS5_m14custom_greaterIsEEE10hipError_tT0_T1_T2_jT3_P12ihipStream_tbPNSt15iterator_traitsISJ_E10value_typeEPNSP_ISK_E10value_typeEPSL_NS1_7vsmem_tEENKUlT_SJ_SK_SL_E_clISE_PsSF_SF_EESI_SY_SJ_SK_SL_EUlSY_E_NS1_11comp_targetILNS1_3genE9ELNS1_11target_archE1100ELNS1_3gpuE3ELNS1_3repE0EEENS1_48merge_mergepath_partition_config_static_selectorELNS0_4arch9wavefront6targetE1EEEvSK_,comdat
.Lfunc_end2967:
	.size	_ZN7rocprim17ROCPRIM_400000_NS6detail17trampoline_kernelINS0_14default_configENS1_38merge_sort_block_merge_config_selectorIsNS0_10empty_typeEEEZZNS1_27merge_sort_block_merge_implIS3_N6thrust23THRUST_200600_302600_NS6detail15normal_iteratorINS9_10device_ptrIsEEEEPS5_m14custom_greaterIsEEE10hipError_tT0_T1_T2_jT3_P12ihipStream_tbPNSt15iterator_traitsISJ_E10value_typeEPNSP_ISK_E10value_typeEPSL_NS1_7vsmem_tEENKUlT_SJ_SK_SL_E_clISE_PsSF_SF_EESI_SY_SJ_SK_SL_EUlSY_E_NS1_11comp_targetILNS1_3genE9ELNS1_11target_archE1100ELNS1_3gpuE3ELNS1_3repE0EEENS1_48merge_mergepath_partition_config_static_selectorELNS0_4arch9wavefront6targetE1EEEvSK_, .Lfunc_end2967-_ZN7rocprim17ROCPRIM_400000_NS6detail17trampoline_kernelINS0_14default_configENS1_38merge_sort_block_merge_config_selectorIsNS0_10empty_typeEEEZZNS1_27merge_sort_block_merge_implIS3_N6thrust23THRUST_200600_302600_NS6detail15normal_iteratorINS9_10device_ptrIsEEEEPS5_m14custom_greaterIsEEE10hipError_tT0_T1_T2_jT3_P12ihipStream_tbPNSt15iterator_traitsISJ_E10value_typeEPNSP_ISK_E10value_typeEPSL_NS1_7vsmem_tEENKUlT_SJ_SK_SL_E_clISE_PsSF_SF_EESI_SY_SJ_SK_SL_EUlSY_E_NS1_11comp_targetILNS1_3genE9ELNS1_11target_archE1100ELNS1_3gpuE3ELNS1_3repE0EEENS1_48merge_mergepath_partition_config_static_selectorELNS0_4arch9wavefront6targetE1EEEvSK_
                                        ; -- End function
	.section	.AMDGPU.csdata,"",@progbits
; Kernel info:
; codeLenInByte = 0
; NumSgprs: 4
; NumVgprs: 0
; NumAgprs: 0
; TotalNumVgprs: 0
; ScratchSize: 0
; MemoryBound: 0
; FloatMode: 240
; IeeeMode: 1
; LDSByteSize: 0 bytes/workgroup (compile time only)
; SGPRBlocks: 0
; VGPRBlocks: 0
; NumSGPRsForWavesPerEU: 4
; NumVGPRsForWavesPerEU: 1
; AccumOffset: 4
; Occupancy: 8
; WaveLimiterHint : 0
; COMPUTE_PGM_RSRC2:SCRATCH_EN: 0
; COMPUTE_PGM_RSRC2:USER_SGPR: 6
; COMPUTE_PGM_RSRC2:TRAP_HANDLER: 0
; COMPUTE_PGM_RSRC2:TGID_X_EN: 1
; COMPUTE_PGM_RSRC2:TGID_Y_EN: 0
; COMPUTE_PGM_RSRC2:TGID_Z_EN: 0
; COMPUTE_PGM_RSRC2:TIDIG_COMP_CNT: 0
; COMPUTE_PGM_RSRC3_GFX90A:ACCUM_OFFSET: 0
; COMPUTE_PGM_RSRC3_GFX90A:TG_SPLIT: 0
	.section	.text._ZN7rocprim17ROCPRIM_400000_NS6detail17trampoline_kernelINS0_14default_configENS1_38merge_sort_block_merge_config_selectorIsNS0_10empty_typeEEEZZNS1_27merge_sort_block_merge_implIS3_N6thrust23THRUST_200600_302600_NS6detail15normal_iteratorINS9_10device_ptrIsEEEEPS5_m14custom_greaterIsEEE10hipError_tT0_T1_T2_jT3_P12ihipStream_tbPNSt15iterator_traitsISJ_E10value_typeEPNSP_ISK_E10value_typeEPSL_NS1_7vsmem_tEENKUlT_SJ_SK_SL_E_clISE_PsSF_SF_EESI_SY_SJ_SK_SL_EUlSY_E_NS1_11comp_targetILNS1_3genE8ELNS1_11target_archE1030ELNS1_3gpuE2ELNS1_3repE0EEENS1_48merge_mergepath_partition_config_static_selectorELNS0_4arch9wavefront6targetE1EEEvSK_,"axG",@progbits,_ZN7rocprim17ROCPRIM_400000_NS6detail17trampoline_kernelINS0_14default_configENS1_38merge_sort_block_merge_config_selectorIsNS0_10empty_typeEEEZZNS1_27merge_sort_block_merge_implIS3_N6thrust23THRUST_200600_302600_NS6detail15normal_iteratorINS9_10device_ptrIsEEEEPS5_m14custom_greaterIsEEE10hipError_tT0_T1_T2_jT3_P12ihipStream_tbPNSt15iterator_traitsISJ_E10value_typeEPNSP_ISK_E10value_typeEPSL_NS1_7vsmem_tEENKUlT_SJ_SK_SL_E_clISE_PsSF_SF_EESI_SY_SJ_SK_SL_EUlSY_E_NS1_11comp_targetILNS1_3genE8ELNS1_11target_archE1030ELNS1_3gpuE2ELNS1_3repE0EEENS1_48merge_mergepath_partition_config_static_selectorELNS0_4arch9wavefront6targetE1EEEvSK_,comdat
	.protected	_ZN7rocprim17ROCPRIM_400000_NS6detail17trampoline_kernelINS0_14default_configENS1_38merge_sort_block_merge_config_selectorIsNS0_10empty_typeEEEZZNS1_27merge_sort_block_merge_implIS3_N6thrust23THRUST_200600_302600_NS6detail15normal_iteratorINS9_10device_ptrIsEEEEPS5_m14custom_greaterIsEEE10hipError_tT0_T1_T2_jT3_P12ihipStream_tbPNSt15iterator_traitsISJ_E10value_typeEPNSP_ISK_E10value_typeEPSL_NS1_7vsmem_tEENKUlT_SJ_SK_SL_E_clISE_PsSF_SF_EESI_SY_SJ_SK_SL_EUlSY_E_NS1_11comp_targetILNS1_3genE8ELNS1_11target_archE1030ELNS1_3gpuE2ELNS1_3repE0EEENS1_48merge_mergepath_partition_config_static_selectorELNS0_4arch9wavefront6targetE1EEEvSK_ ; -- Begin function _ZN7rocprim17ROCPRIM_400000_NS6detail17trampoline_kernelINS0_14default_configENS1_38merge_sort_block_merge_config_selectorIsNS0_10empty_typeEEEZZNS1_27merge_sort_block_merge_implIS3_N6thrust23THRUST_200600_302600_NS6detail15normal_iteratorINS9_10device_ptrIsEEEEPS5_m14custom_greaterIsEEE10hipError_tT0_T1_T2_jT3_P12ihipStream_tbPNSt15iterator_traitsISJ_E10value_typeEPNSP_ISK_E10value_typeEPSL_NS1_7vsmem_tEENKUlT_SJ_SK_SL_E_clISE_PsSF_SF_EESI_SY_SJ_SK_SL_EUlSY_E_NS1_11comp_targetILNS1_3genE8ELNS1_11target_archE1030ELNS1_3gpuE2ELNS1_3repE0EEENS1_48merge_mergepath_partition_config_static_selectorELNS0_4arch9wavefront6targetE1EEEvSK_
	.globl	_ZN7rocprim17ROCPRIM_400000_NS6detail17trampoline_kernelINS0_14default_configENS1_38merge_sort_block_merge_config_selectorIsNS0_10empty_typeEEEZZNS1_27merge_sort_block_merge_implIS3_N6thrust23THRUST_200600_302600_NS6detail15normal_iteratorINS9_10device_ptrIsEEEEPS5_m14custom_greaterIsEEE10hipError_tT0_T1_T2_jT3_P12ihipStream_tbPNSt15iterator_traitsISJ_E10value_typeEPNSP_ISK_E10value_typeEPSL_NS1_7vsmem_tEENKUlT_SJ_SK_SL_E_clISE_PsSF_SF_EESI_SY_SJ_SK_SL_EUlSY_E_NS1_11comp_targetILNS1_3genE8ELNS1_11target_archE1030ELNS1_3gpuE2ELNS1_3repE0EEENS1_48merge_mergepath_partition_config_static_selectorELNS0_4arch9wavefront6targetE1EEEvSK_
	.p2align	8
	.type	_ZN7rocprim17ROCPRIM_400000_NS6detail17trampoline_kernelINS0_14default_configENS1_38merge_sort_block_merge_config_selectorIsNS0_10empty_typeEEEZZNS1_27merge_sort_block_merge_implIS3_N6thrust23THRUST_200600_302600_NS6detail15normal_iteratorINS9_10device_ptrIsEEEEPS5_m14custom_greaterIsEEE10hipError_tT0_T1_T2_jT3_P12ihipStream_tbPNSt15iterator_traitsISJ_E10value_typeEPNSP_ISK_E10value_typeEPSL_NS1_7vsmem_tEENKUlT_SJ_SK_SL_E_clISE_PsSF_SF_EESI_SY_SJ_SK_SL_EUlSY_E_NS1_11comp_targetILNS1_3genE8ELNS1_11target_archE1030ELNS1_3gpuE2ELNS1_3repE0EEENS1_48merge_mergepath_partition_config_static_selectorELNS0_4arch9wavefront6targetE1EEEvSK_,@function
_ZN7rocprim17ROCPRIM_400000_NS6detail17trampoline_kernelINS0_14default_configENS1_38merge_sort_block_merge_config_selectorIsNS0_10empty_typeEEEZZNS1_27merge_sort_block_merge_implIS3_N6thrust23THRUST_200600_302600_NS6detail15normal_iteratorINS9_10device_ptrIsEEEEPS5_m14custom_greaterIsEEE10hipError_tT0_T1_T2_jT3_P12ihipStream_tbPNSt15iterator_traitsISJ_E10value_typeEPNSP_ISK_E10value_typeEPSL_NS1_7vsmem_tEENKUlT_SJ_SK_SL_E_clISE_PsSF_SF_EESI_SY_SJ_SK_SL_EUlSY_E_NS1_11comp_targetILNS1_3genE8ELNS1_11target_archE1030ELNS1_3gpuE2ELNS1_3repE0EEENS1_48merge_mergepath_partition_config_static_selectorELNS0_4arch9wavefront6targetE1EEEvSK_: ; @_ZN7rocprim17ROCPRIM_400000_NS6detail17trampoline_kernelINS0_14default_configENS1_38merge_sort_block_merge_config_selectorIsNS0_10empty_typeEEEZZNS1_27merge_sort_block_merge_implIS3_N6thrust23THRUST_200600_302600_NS6detail15normal_iteratorINS9_10device_ptrIsEEEEPS5_m14custom_greaterIsEEE10hipError_tT0_T1_T2_jT3_P12ihipStream_tbPNSt15iterator_traitsISJ_E10value_typeEPNSP_ISK_E10value_typeEPSL_NS1_7vsmem_tEENKUlT_SJ_SK_SL_E_clISE_PsSF_SF_EESI_SY_SJ_SK_SL_EUlSY_E_NS1_11comp_targetILNS1_3genE8ELNS1_11target_archE1030ELNS1_3gpuE2ELNS1_3repE0EEENS1_48merge_mergepath_partition_config_static_selectorELNS0_4arch9wavefront6targetE1EEEvSK_
; %bb.0:
	.section	.rodata,"a",@progbits
	.p2align	6, 0x0
	.amdhsa_kernel _ZN7rocprim17ROCPRIM_400000_NS6detail17trampoline_kernelINS0_14default_configENS1_38merge_sort_block_merge_config_selectorIsNS0_10empty_typeEEEZZNS1_27merge_sort_block_merge_implIS3_N6thrust23THRUST_200600_302600_NS6detail15normal_iteratorINS9_10device_ptrIsEEEEPS5_m14custom_greaterIsEEE10hipError_tT0_T1_T2_jT3_P12ihipStream_tbPNSt15iterator_traitsISJ_E10value_typeEPNSP_ISK_E10value_typeEPSL_NS1_7vsmem_tEENKUlT_SJ_SK_SL_E_clISE_PsSF_SF_EESI_SY_SJ_SK_SL_EUlSY_E_NS1_11comp_targetILNS1_3genE8ELNS1_11target_archE1030ELNS1_3gpuE2ELNS1_3repE0EEENS1_48merge_mergepath_partition_config_static_selectorELNS0_4arch9wavefront6targetE1EEEvSK_
		.amdhsa_group_segment_fixed_size 0
		.amdhsa_private_segment_fixed_size 0
		.amdhsa_kernarg_size 48
		.amdhsa_user_sgpr_count 6
		.amdhsa_user_sgpr_private_segment_buffer 1
		.amdhsa_user_sgpr_dispatch_ptr 0
		.amdhsa_user_sgpr_queue_ptr 0
		.amdhsa_user_sgpr_kernarg_segment_ptr 1
		.amdhsa_user_sgpr_dispatch_id 0
		.amdhsa_user_sgpr_flat_scratch_init 0
		.amdhsa_user_sgpr_kernarg_preload_length 0
		.amdhsa_user_sgpr_kernarg_preload_offset 0
		.amdhsa_user_sgpr_private_segment_size 0
		.amdhsa_uses_dynamic_stack 0
		.amdhsa_system_sgpr_private_segment_wavefront_offset 0
		.amdhsa_system_sgpr_workgroup_id_x 1
		.amdhsa_system_sgpr_workgroup_id_y 0
		.amdhsa_system_sgpr_workgroup_id_z 0
		.amdhsa_system_sgpr_workgroup_info 0
		.amdhsa_system_vgpr_workitem_id 0
		.amdhsa_next_free_vgpr 1
		.amdhsa_next_free_sgpr 0
		.amdhsa_accum_offset 4
		.amdhsa_reserve_vcc 0
		.amdhsa_reserve_flat_scratch 0
		.amdhsa_float_round_mode_32 0
		.amdhsa_float_round_mode_16_64 0
		.amdhsa_float_denorm_mode_32 3
		.amdhsa_float_denorm_mode_16_64 3
		.amdhsa_dx10_clamp 1
		.amdhsa_ieee_mode 1
		.amdhsa_fp16_overflow 0
		.amdhsa_tg_split 0
		.amdhsa_exception_fp_ieee_invalid_op 0
		.amdhsa_exception_fp_denorm_src 0
		.amdhsa_exception_fp_ieee_div_zero 0
		.amdhsa_exception_fp_ieee_overflow 0
		.amdhsa_exception_fp_ieee_underflow 0
		.amdhsa_exception_fp_ieee_inexact 0
		.amdhsa_exception_int_div_zero 0
	.end_amdhsa_kernel
	.section	.text._ZN7rocprim17ROCPRIM_400000_NS6detail17trampoline_kernelINS0_14default_configENS1_38merge_sort_block_merge_config_selectorIsNS0_10empty_typeEEEZZNS1_27merge_sort_block_merge_implIS3_N6thrust23THRUST_200600_302600_NS6detail15normal_iteratorINS9_10device_ptrIsEEEEPS5_m14custom_greaterIsEEE10hipError_tT0_T1_T2_jT3_P12ihipStream_tbPNSt15iterator_traitsISJ_E10value_typeEPNSP_ISK_E10value_typeEPSL_NS1_7vsmem_tEENKUlT_SJ_SK_SL_E_clISE_PsSF_SF_EESI_SY_SJ_SK_SL_EUlSY_E_NS1_11comp_targetILNS1_3genE8ELNS1_11target_archE1030ELNS1_3gpuE2ELNS1_3repE0EEENS1_48merge_mergepath_partition_config_static_selectorELNS0_4arch9wavefront6targetE1EEEvSK_,"axG",@progbits,_ZN7rocprim17ROCPRIM_400000_NS6detail17trampoline_kernelINS0_14default_configENS1_38merge_sort_block_merge_config_selectorIsNS0_10empty_typeEEEZZNS1_27merge_sort_block_merge_implIS3_N6thrust23THRUST_200600_302600_NS6detail15normal_iteratorINS9_10device_ptrIsEEEEPS5_m14custom_greaterIsEEE10hipError_tT0_T1_T2_jT3_P12ihipStream_tbPNSt15iterator_traitsISJ_E10value_typeEPNSP_ISK_E10value_typeEPSL_NS1_7vsmem_tEENKUlT_SJ_SK_SL_E_clISE_PsSF_SF_EESI_SY_SJ_SK_SL_EUlSY_E_NS1_11comp_targetILNS1_3genE8ELNS1_11target_archE1030ELNS1_3gpuE2ELNS1_3repE0EEENS1_48merge_mergepath_partition_config_static_selectorELNS0_4arch9wavefront6targetE1EEEvSK_,comdat
.Lfunc_end2968:
	.size	_ZN7rocprim17ROCPRIM_400000_NS6detail17trampoline_kernelINS0_14default_configENS1_38merge_sort_block_merge_config_selectorIsNS0_10empty_typeEEEZZNS1_27merge_sort_block_merge_implIS3_N6thrust23THRUST_200600_302600_NS6detail15normal_iteratorINS9_10device_ptrIsEEEEPS5_m14custom_greaterIsEEE10hipError_tT0_T1_T2_jT3_P12ihipStream_tbPNSt15iterator_traitsISJ_E10value_typeEPNSP_ISK_E10value_typeEPSL_NS1_7vsmem_tEENKUlT_SJ_SK_SL_E_clISE_PsSF_SF_EESI_SY_SJ_SK_SL_EUlSY_E_NS1_11comp_targetILNS1_3genE8ELNS1_11target_archE1030ELNS1_3gpuE2ELNS1_3repE0EEENS1_48merge_mergepath_partition_config_static_selectorELNS0_4arch9wavefront6targetE1EEEvSK_, .Lfunc_end2968-_ZN7rocprim17ROCPRIM_400000_NS6detail17trampoline_kernelINS0_14default_configENS1_38merge_sort_block_merge_config_selectorIsNS0_10empty_typeEEEZZNS1_27merge_sort_block_merge_implIS3_N6thrust23THRUST_200600_302600_NS6detail15normal_iteratorINS9_10device_ptrIsEEEEPS5_m14custom_greaterIsEEE10hipError_tT0_T1_T2_jT3_P12ihipStream_tbPNSt15iterator_traitsISJ_E10value_typeEPNSP_ISK_E10value_typeEPSL_NS1_7vsmem_tEENKUlT_SJ_SK_SL_E_clISE_PsSF_SF_EESI_SY_SJ_SK_SL_EUlSY_E_NS1_11comp_targetILNS1_3genE8ELNS1_11target_archE1030ELNS1_3gpuE2ELNS1_3repE0EEENS1_48merge_mergepath_partition_config_static_selectorELNS0_4arch9wavefront6targetE1EEEvSK_
                                        ; -- End function
	.section	.AMDGPU.csdata,"",@progbits
; Kernel info:
; codeLenInByte = 0
; NumSgprs: 4
; NumVgprs: 0
; NumAgprs: 0
; TotalNumVgprs: 0
; ScratchSize: 0
; MemoryBound: 0
; FloatMode: 240
; IeeeMode: 1
; LDSByteSize: 0 bytes/workgroup (compile time only)
; SGPRBlocks: 0
; VGPRBlocks: 0
; NumSGPRsForWavesPerEU: 4
; NumVGPRsForWavesPerEU: 1
; AccumOffset: 4
; Occupancy: 8
; WaveLimiterHint : 0
; COMPUTE_PGM_RSRC2:SCRATCH_EN: 0
; COMPUTE_PGM_RSRC2:USER_SGPR: 6
; COMPUTE_PGM_RSRC2:TRAP_HANDLER: 0
; COMPUTE_PGM_RSRC2:TGID_X_EN: 1
; COMPUTE_PGM_RSRC2:TGID_Y_EN: 0
; COMPUTE_PGM_RSRC2:TGID_Z_EN: 0
; COMPUTE_PGM_RSRC2:TIDIG_COMP_CNT: 0
; COMPUTE_PGM_RSRC3_GFX90A:ACCUM_OFFSET: 0
; COMPUTE_PGM_RSRC3_GFX90A:TG_SPLIT: 0
	.section	.text._ZN7rocprim17ROCPRIM_400000_NS6detail17trampoline_kernelINS0_14default_configENS1_38merge_sort_block_merge_config_selectorIsNS0_10empty_typeEEEZZNS1_27merge_sort_block_merge_implIS3_N6thrust23THRUST_200600_302600_NS6detail15normal_iteratorINS9_10device_ptrIsEEEEPS5_m14custom_greaterIsEEE10hipError_tT0_T1_T2_jT3_P12ihipStream_tbPNSt15iterator_traitsISJ_E10value_typeEPNSP_ISK_E10value_typeEPSL_NS1_7vsmem_tEENKUlT_SJ_SK_SL_E_clISE_PsSF_SF_EESI_SY_SJ_SK_SL_EUlSY_E0_NS1_11comp_targetILNS1_3genE0ELNS1_11target_archE4294967295ELNS1_3gpuE0ELNS1_3repE0EEENS1_38merge_mergepath_config_static_selectorELNS0_4arch9wavefront6targetE1EEEvSK_,"axG",@progbits,_ZN7rocprim17ROCPRIM_400000_NS6detail17trampoline_kernelINS0_14default_configENS1_38merge_sort_block_merge_config_selectorIsNS0_10empty_typeEEEZZNS1_27merge_sort_block_merge_implIS3_N6thrust23THRUST_200600_302600_NS6detail15normal_iteratorINS9_10device_ptrIsEEEEPS5_m14custom_greaterIsEEE10hipError_tT0_T1_T2_jT3_P12ihipStream_tbPNSt15iterator_traitsISJ_E10value_typeEPNSP_ISK_E10value_typeEPSL_NS1_7vsmem_tEENKUlT_SJ_SK_SL_E_clISE_PsSF_SF_EESI_SY_SJ_SK_SL_EUlSY_E0_NS1_11comp_targetILNS1_3genE0ELNS1_11target_archE4294967295ELNS1_3gpuE0ELNS1_3repE0EEENS1_38merge_mergepath_config_static_selectorELNS0_4arch9wavefront6targetE1EEEvSK_,comdat
	.protected	_ZN7rocprim17ROCPRIM_400000_NS6detail17trampoline_kernelINS0_14default_configENS1_38merge_sort_block_merge_config_selectorIsNS0_10empty_typeEEEZZNS1_27merge_sort_block_merge_implIS3_N6thrust23THRUST_200600_302600_NS6detail15normal_iteratorINS9_10device_ptrIsEEEEPS5_m14custom_greaterIsEEE10hipError_tT0_T1_T2_jT3_P12ihipStream_tbPNSt15iterator_traitsISJ_E10value_typeEPNSP_ISK_E10value_typeEPSL_NS1_7vsmem_tEENKUlT_SJ_SK_SL_E_clISE_PsSF_SF_EESI_SY_SJ_SK_SL_EUlSY_E0_NS1_11comp_targetILNS1_3genE0ELNS1_11target_archE4294967295ELNS1_3gpuE0ELNS1_3repE0EEENS1_38merge_mergepath_config_static_selectorELNS0_4arch9wavefront6targetE1EEEvSK_ ; -- Begin function _ZN7rocprim17ROCPRIM_400000_NS6detail17trampoline_kernelINS0_14default_configENS1_38merge_sort_block_merge_config_selectorIsNS0_10empty_typeEEEZZNS1_27merge_sort_block_merge_implIS3_N6thrust23THRUST_200600_302600_NS6detail15normal_iteratorINS9_10device_ptrIsEEEEPS5_m14custom_greaterIsEEE10hipError_tT0_T1_T2_jT3_P12ihipStream_tbPNSt15iterator_traitsISJ_E10value_typeEPNSP_ISK_E10value_typeEPSL_NS1_7vsmem_tEENKUlT_SJ_SK_SL_E_clISE_PsSF_SF_EESI_SY_SJ_SK_SL_EUlSY_E0_NS1_11comp_targetILNS1_3genE0ELNS1_11target_archE4294967295ELNS1_3gpuE0ELNS1_3repE0EEENS1_38merge_mergepath_config_static_selectorELNS0_4arch9wavefront6targetE1EEEvSK_
	.globl	_ZN7rocprim17ROCPRIM_400000_NS6detail17trampoline_kernelINS0_14default_configENS1_38merge_sort_block_merge_config_selectorIsNS0_10empty_typeEEEZZNS1_27merge_sort_block_merge_implIS3_N6thrust23THRUST_200600_302600_NS6detail15normal_iteratorINS9_10device_ptrIsEEEEPS5_m14custom_greaterIsEEE10hipError_tT0_T1_T2_jT3_P12ihipStream_tbPNSt15iterator_traitsISJ_E10value_typeEPNSP_ISK_E10value_typeEPSL_NS1_7vsmem_tEENKUlT_SJ_SK_SL_E_clISE_PsSF_SF_EESI_SY_SJ_SK_SL_EUlSY_E0_NS1_11comp_targetILNS1_3genE0ELNS1_11target_archE4294967295ELNS1_3gpuE0ELNS1_3repE0EEENS1_38merge_mergepath_config_static_selectorELNS0_4arch9wavefront6targetE1EEEvSK_
	.p2align	8
	.type	_ZN7rocprim17ROCPRIM_400000_NS6detail17trampoline_kernelINS0_14default_configENS1_38merge_sort_block_merge_config_selectorIsNS0_10empty_typeEEEZZNS1_27merge_sort_block_merge_implIS3_N6thrust23THRUST_200600_302600_NS6detail15normal_iteratorINS9_10device_ptrIsEEEEPS5_m14custom_greaterIsEEE10hipError_tT0_T1_T2_jT3_P12ihipStream_tbPNSt15iterator_traitsISJ_E10value_typeEPNSP_ISK_E10value_typeEPSL_NS1_7vsmem_tEENKUlT_SJ_SK_SL_E_clISE_PsSF_SF_EESI_SY_SJ_SK_SL_EUlSY_E0_NS1_11comp_targetILNS1_3genE0ELNS1_11target_archE4294967295ELNS1_3gpuE0ELNS1_3repE0EEENS1_38merge_mergepath_config_static_selectorELNS0_4arch9wavefront6targetE1EEEvSK_,@function
_ZN7rocprim17ROCPRIM_400000_NS6detail17trampoline_kernelINS0_14default_configENS1_38merge_sort_block_merge_config_selectorIsNS0_10empty_typeEEEZZNS1_27merge_sort_block_merge_implIS3_N6thrust23THRUST_200600_302600_NS6detail15normal_iteratorINS9_10device_ptrIsEEEEPS5_m14custom_greaterIsEEE10hipError_tT0_T1_T2_jT3_P12ihipStream_tbPNSt15iterator_traitsISJ_E10value_typeEPNSP_ISK_E10value_typeEPSL_NS1_7vsmem_tEENKUlT_SJ_SK_SL_E_clISE_PsSF_SF_EESI_SY_SJ_SK_SL_EUlSY_E0_NS1_11comp_targetILNS1_3genE0ELNS1_11target_archE4294967295ELNS1_3gpuE0ELNS1_3repE0EEENS1_38merge_mergepath_config_static_selectorELNS0_4arch9wavefront6targetE1EEEvSK_: ; @_ZN7rocprim17ROCPRIM_400000_NS6detail17trampoline_kernelINS0_14default_configENS1_38merge_sort_block_merge_config_selectorIsNS0_10empty_typeEEEZZNS1_27merge_sort_block_merge_implIS3_N6thrust23THRUST_200600_302600_NS6detail15normal_iteratorINS9_10device_ptrIsEEEEPS5_m14custom_greaterIsEEE10hipError_tT0_T1_T2_jT3_P12ihipStream_tbPNSt15iterator_traitsISJ_E10value_typeEPNSP_ISK_E10value_typeEPSL_NS1_7vsmem_tEENKUlT_SJ_SK_SL_E_clISE_PsSF_SF_EESI_SY_SJ_SK_SL_EUlSY_E0_NS1_11comp_targetILNS1_3genE0ELNS1_11target_archE4294967295ELNS1_3gpuE0ELNS1_3repE0EEENS1_38merge_mergepath_config_static_selectorELNS0_4arch9wavefront6targetE1EEEvSK_
; %bb.0:
	.section	.rodata,"a",@progbits
	.p2align	6, 0x0
	.amdhsa_kernel _ZN7rocprim17ROCPRIM_400000_NS6detail17trampoline_kernelINS0_14default_configENS1_38merge_sort_block_merge_config_selectorIsNS0_10empty_typeEEEZZNS1_27merge_sort_block_merge_implIS3_N6thrust23THRUST_200600_302600_NS6detail15normal_iteratorINS9_10device_ptrIsEEEEPS5_m14custom_greaterIsEEE10hipError_tT0_T1_T2_jT3_P12ihipStream_tbPNSt15iterator_traitsISJ_E10value_typeEPNSP_ISK_E10value_typeEPSL_NS1_7vsmem_tEENKUlT_SJ_SK_SL_E_clISE_PsSF_SF_EESI_SY_SJ_SK_SL_EUlSY_E0_NS1_11comp_targetILNS1_3genE0ELNS1_11target_archE4294967295ELNS1_3gpuE0ELNS1_3repE0EEENS1_38merge_mergepath_config_static_selectorELNS0_4arch9wavefront6targetE1EEEvSK_
		.amdhsa_group_segment_fixed_size 0
		.amdhsa_private_segment_fixed_size 0
		.amdhsa_kernarg_size 72
		.amdhsa_user_sgpr_count 6
		.amdhsa_user_sgpr_private_segment_buffer 1
		.amdhsa_user_sgpr_dispatch_ptr 0
		.amdhsa_user_sgpr_queue_ptr 0
		.amdhsa_user_sgpr_kernarg_segment_ptr 1
		.amdhsa_user_sgpr_dispatch_id 0
		.amdhsa_user_sgpr_flat_scratch_init 0
		.amdhsa_user_sgpr_kernarg_preload_length 0
		.amdhsa_user_sgpr_kernarg_preload_offset 0
		.amdhsa_user_sgpr_private_segment_size 0
		.amdhsa_uses_dynamic_stack 0
		.amdhsa_system_sgpr_private_segment_wavefront_offset 0
		.amdhsa_system_sgpr_workgroup_id_x 1
		.amdhsa_system_sgpr_workgroup_id_y 0
		.amdhsa_system_sgpr_workgroup_id_z 0
		.amdhsa_system_sgpr_workgroup_info 0
		.amdhsa_system_vgpr_workitem_id 0
		.amdhsa_next_free_vgpr 1
		.amdhsa_next_free_sgpr 0
		.amdhsa_accum_offset 4
		.amdhsa_reserve_vcc 0
		.amdhsa_reserve_flat_scratch 0
		.amdhsa_float_round_mode_32 0
		.amdhsa_float_round_mode_16_64 0
		.amdhsa_float_denorm_mode_32 3
		.amdhsa_float_denorm_mode_16_64 3
		.amdhsa_dx10_clamp 1
		.amdhsa_ieee_mode 1
		.amdhsa_fp16_overflow 0
		.amdhsa_tg_split 0
		.amdhsa_exception_fp_ieee_invalid_op 0
		.amdhsa_exception_fp_denorm_src 0
		.amdhsa_exception_fp_ieee_div_zero 0
		.amdhsa_exception_fp_ieee_overflow 0
		.amdhsa_exception_fp_ieee_underflow 0
		.amdhsa_exception_fp_ieee_inexact 0
		.amdhsa_exception_int_div_zero 0
	.end_amdhsa_kernel
	.section	.text._ZN7rocprim17ROCPRIM_400000_NS6detail17trampoline_kernelINS0_14default_configENS1_38merge_sort_block_merge_config_selectorIsNS0_10empty_typeEEEZZNS1_27merge_sort_block_merge_implIS3_N6thrust23THRUST_200600_302600_NS6detail15normal_iteratorINS9_10device_ptrIsEEEEPS5_m14custom_greaterIsEEE10hipError_tT0_T1_T2_jT3_P12ihipStream_tbPNSt15iterator_traitsISJ_E10value_typeEPNSP_ISK_E10value_typeEPSL_NS1_7vsmem_tEENKUlT_SJ_SK_SL_E_clISE_PsSF_SF_EESI_SY_SJ_SK_SL_EUlSY_E0_NS1_11comp_targetILNS1_3genE0ELNS1_11target_archE4294967295ELNS1_3gpuE0ELNS1_3repE0EEENS1_38merge_mergepath_config_static_selectorELNS0_4arch9wavefront6targetE1EEEvSK_,"axG",@progbits,_ZN7rocprim17ROCPRIM_400000_NS6detail17trampoline_kernelINS0_14default_configENS1_38merge_sort_block_merge_config_selectorIsNS0_10empty_typeEEEZZNS1_27merge_sort_block_merge_implIS3_N6thrust23THRUST_200600_302600_NS6detail15normal_iteratorINS9_10device_ptrIsEEEEPS5_m14custom_greaterIsEEE10hipError_tT0_T1_T2_jT3_P12ihipStream_tbPNSt15iterator_traitsISJ_E10value_typeEPNSP_ISK_E10value_typeEPSL_NS1_7vsmem_tEENKUlT_SJ_SK_SL_E_clISE_PsSF_SF_EESI_SY_SJ_SK_SL_EUlSY_E0_NS1_11comp_targetILNS1_3genE0ELNS1_11target_archE4294967295ELNS1_3gpuE0ELNS1_3repE0EEENS1_38merge_mergepath_config_static_selectorELNS0_4arch9wavefront6targetE1EEEvSK_,comdat
.Lfunc_end2969:
	.size	_ZN7rocprim17ROCPRIM_400000_NS6detail17trampoline_kernelINS0_14default_configENS1_38merge_sort_block_merge_config_selectorIsNS0_10empty_typeEEEZZNS1_27merge_sort_block_merge_implIS3_N6thrust23THRUST_200600_302600_NS6detail15normal_iteratorINS9_10device_ptrIsEEEEPS5_m14custom_greaterIsEEE10hipError_tT0_T1_T2_jT3_P12ihipStream_tbPNSt15iterator_traitsISJ_E10value_typeEPNSP_ISK_E10value_typeEPSL_NS1_7vsmem_tEENKUlT_SJ_SK_SL_E_clISE_PsSF_SF_EESI_SY_SJ_SK_SL_EUlSY_E0_NS1_11comp_targetILNS1_3genE0ELNS1_11target_archE4294967295ELNS1_3gpuE0ELNS1_3repE0EEENS1_38merge_mergepath_config_static_selectorELNS0_4arch9wavefront6targetE1EEEvSK_, .Lfunc_end2969-_ZN7rocprim17ROCPRIM_400000_NS6detail17trampoline_kernelINS0_14default_configENS1_38merge_sort_block_merge_config_selectorIsNS0_10empty_typeEEEZZNS1_27merge_sort_block_merge_implIS3_N6thrust23THRUST_200600_302600_NS6detail15normal_iteratorINS9_10device_ptrIsEEEEPS5_m14custom_greaterIsEEE10hipError_tT0_T1_T2_jT3_P12ihipStream_tbPNSt15iterator_traitsISJ_E10value_typeEPNSP_ISK_E10value_typeEPSL_NS1_7vsmem_tEENKUlT_SJ_SK_SL_E_clISE_PsSF_SF_EESI_SY_SJ_SK_SL_EUlSY_E0_NS1_11comp_targetILNS1_3genE0ELNS1_11target_archE4294967295ELNS1_3gpuE0ELNS1_3repE0EEENS1_38merge_mergepath_config_static_selectorELNS0_4arch9wavefront6targetE1EEEvSK_
                                        ; -- End function
	.section	.AMDGPU.csdata,"",@progbits
; Kernel info:
; codeLenInByte = 0
; NumSgprs: 4
; NumVgprs: 0
; NumAgprs: 0
; TotalNumVgprs: 0
; ScratchSize: 0
; MemoryBound: 0
; FloatMode: 240
; IeeeMode: 1
; LDSByteSize: 0 bytes/workgroup (compile time only)
; SGPRBlocks: 0
; VGPRBlocks: 0
; NumSGPRsForWavesPerEU: 4
; NumVGPRsForWavesPerEU: 1
; AccumOffset: 4
; Occupancy: 8
; WaveLimiterHint : 0
; COMPUTE_PGM_RSRC2:SCRATCH_EN: 0
; COMPUTE_PGM_RSRC2:USER_SGPR: 6
; COMPUTE_PGM_RSRC2:TRAP_HANDLER: 0
; COMPUTE_PGM_RSRC2:TGID_X_EN: 1
; COMPUTE_PGM_RSRC2:TGID_Y_EN: 0
; COMPUTE_PGM_RSRC2:TGID_Z_EN: 0
; COMPUTE_PGM_RSRC2:TIDIG_COMP_CNT: 0
; COMPUTE_PGM_RSRC3_GFX90A:ACCUM_OFFSET: 0
; COMPUTE_PGM_RSRC3_GFX90A:TG_SPLIT: 0
	.section	.text._ZN7rocprim17ROCPRIM_400000_NS6detail17trampoline_kernelINS0_14default_configENS1_38merge_sort_block_merge_config_selectorIsNS0_10empty_typeEEEZZNS1_27merge_sort_block_merge_implIS3_N6thrust23THRUST_200600_302600_NS6detail15normal_iteratorINS9_10device_ptrIsEEEEPS5_m14custom_greaterIsEEE10hipError_tT0_T1_T2_jT3_P12ihipStream_tbPNSt15iterator_traitsISJ_E10value_typeEPNSP_ISK_E10value_typeEPSL_NS1_7vsmem_tEENKUlT_SJ_SK_SL_E_clISE_PsSF_SF_EESI_SY_SJ_SK_SL_EUlSY_E0_NS1_11comp_targetILNS1_3genE10ELNS1_11target_archE1201ELNS1_3gpuE5ELNS1_3repE0EEENS1_38merge_mergepath_config_static_selectorELNS0_4arch9wavefront6targetE1EEEvSK_,"axG",@progbits,_ZN7rocprim17ROCPRIM_400000_NS6detail17trampoline_kernelINS0_14default_configENS1_38merge_sort_block_merge_config_selectorIsNS0_10empty_typeEEEZZNS1_27merge_sort_block_merge_implIS3_N6thrust23THRUST_200600_302600_NS6detail15normal_iteratorINS9_10device_ptrIsEEEEPS5_m14custom_greaterIsEEE10hipError_tT0_T1_T2_jT3_P12ihipStream_tbPNSt15iterator_traitsISJ_E10value_typeEPNSP_ISK_E10value_typeEPSL_NS1_7vsmem_tEENKUlT_SJ_SK_SL_E_clISE_PsSF_SF_EESI_SY_SJ_SK_SL_EUlSY_E0_NS1_11comp_targetILNS1_3genE10ELNS1_11target_archE1201ELNS1_3gpuE5ELNS1_3repE0EEENS1_38merge_mergepath_config_static_selectorELNS0_4arch9wavefront6targetE1EEEvSK_,comdat
	.protected	_ZN7rocprim17ROCPRIM_400000_NS6detail17trampoline_kernelINS0_14default_configENS1_38merge_sort_block_merge_config_selectorIsNS0_10empty_typeEEEZZNS1_27merge_sort_block_merge_implIS3_N6thrust23THRUST_200600_302600_NS6detail15normal_iteratorINS9_10device_ptrIsEEEEPS5_m14custom_greaterIsEEE10hipError_tT0_T1_T2_jT3_P12ihipStream_tbPNSt15iterator_traitsISJ_E10value_typeEPNSP_ISK_E10value_typeEPSL_NS1_7vsmem_tEENKUlT_SJ_SK_SL_E_clISE_PsSF_SF_EESI_SY_SJ_SK_SL_EUlSY_E0_NS1_11comp_targetILNS1_3genE10ELNS1_11target_archE1201ELNS1_3gpuE5ELNS1_3repE0EEENS1_38merge_mergepath_config_static_selectorELNS0_4arch9wavefront6targetE1EEEvSK_ ; -- Begin function _ZN7rocprim17ROCPRIM_400000_NS6detail17trampoline_kernelINS0_14default_configENS1_38merge_sort_block_merge_config_selectorIsNS0_10empty_typeEEEZZNS1_27merge_sort_block_merge_implIS3_N6thrust23THRUST_200600_302600_NS6detail15normal_iteratorINS9_10device_ptrIsEEEEPS5_m14custom_greaterIsEEE10hipError_tT0_T1_T2_jT3_P12ihipStream_tbPNSt15iterator_traitsISJ_E10value_typeEPNSP_ISK_E10value_typeEPSL_NS1_7vsmem_tEENKUlT_SJ_SK_SL_E_clISE_PsSF_SF_EESI_SY_SJ_SK_SL_EUlSY_E0_NS1_11comp_targetILNS1_3genE10ELNS1_11target_archE1201ELNS1_3gpuE5ELNS1_3repE0EEENS1_38merge_mergepath_config_static_selectorELNS0_4arch9wavefront6targetE1EEEvSK_
	.globl	_ZN7rocprim17ROCPRIM_400000_NS6detail17trampoline_kernelINS0_14default_configENS1_38merge_sort_block_merge_config_selectorIsNS0_10empty_typeEEEZZNS1_27merge_sort_block_merge_implIS3_N6thrust23THRUST_200600_302600_NS6detail15normal_iteratorINS9_10device_ptrIsEEEEPS5_m14custom_greaterIsEEE10hipError_tT0_T1_T2_jT3_P12ihipStream_tbPNSt15iterator_traitsISJ_E10value_typeEPNSP_ISK_E10value_typeEPSL_NS1_7vsmem_tEENKUlT_SJ_SK_SL_E_clISE_PsSF_SF_EESI_SY_SJ_SK_SL_EUlSY_E0_NS1_11comp_targetILNS1_3genE10ELNS1_11target_archE1201ELNS1_3gpuE5ELNS1_3repE0EEENS1_38merge_mergepath_config_static_selectorELNS0_4arch9wavefront6targetE1EEEvSK_
	.p2align	8
	.type	_ZN7rocprim17ROCPRIM_400000_NS6detail17trampoline_kernelINS0_14default_configENS1_38merge_sort_block_merge_config_selectorIsNS0_10empty_typeEEEZZNS1_27merge_sort_block_merge_implIS3_N6thrust23THRUST_200600_302600_NS6detail15normal_iteratorINS9_10device_ptrIsEEEEPS5_m14custom_greaterIsEEE10hipError_tT0_T1_T2_jT3_P12ihipStream_tbPNSt15iterator_traitsISJ_E10value_typeEPNSP_ISK_E10value_typeEPSL_NS1_7vsmem_tEENKUlT_SJ_SK_SL_E_clISE_PsSF_SF_EESI_SY_SJ_SK_SL_EUlSY_E0_NS1_11comp_targetILNS1_3genE10ELNS1_11target_archE1201ELNS1_3gpuE5ELNS1_3repE0EEENS1_38merge_mergepath_config_static_selectorELNS0_4arch9wavefront6targetE1EEEvSK_,@function
_ZN7rocprim17ROCPRIM_400000_NS6detail17trampoline_kernelINS0_14default_configENS1_38merge_sort_block_merge_config_selectorIsNS0_10empty_typeEEEZZNS1_27merge_sort_block_merge_implIS3_N6thrust23THRUST_200600_302600_NS6detail15normal_iteratorINS9_10device_ptrIsEEEEPS5_m14custom_greaterIsEEE10hipError_tT0_T1_T2_jT3_P12ihipStream_tbPNSt15iterator_traitsISJ_E10value_typeEPNSP_ISK_E10value_typeEPSL_NS1_7vsmem_tEENKUlT_SJ_SK_SL_E_clISE_PsSF_SF_EESI_SY_SJ_SK_SL_EUlSY_E0_NS1_11comp_targetILNS1_3genE10ELNS1_11target_archE1201ELNS1_3gpuE5ELNS1_3repE0EEENS1_38merge_mergepath_config_static_selectorELNS0_4arch9wavefront6targetE1EEEvSK_: ; @_ZN7rocprim17ROCPRIM_400000_NS6detail17trampoline_kernelINS0_14default_configENS1_38merge_sort_block_merge_config_selectorIsNS0_10empty_typeEEEZZNS1_27merge_sort_block_merge_implIS3_N6thrust23THRUST_200600_302600_NS6detail15normal_iteratorINS9_10device_ptrIsEEEEPS5_m14custom_greaterIsEEE10hipError_tT0_T1_T2_jT3_P12ihipStream_tbPNSt15iterator_traitsISJ_E10value_typeEPNSP_ISK_E10value_typeEPSL_NS1_7vsmem_tEENKUlT_SJ_SK_SL_E_clISE_PsSF_SF_EESI_SY_SJ_SK_SL_EUlSY_E0_NS1_11comp_targetILNS1_3genE10ELNS1_11target_archE1201ELNS1_3gpuE5ELNS1_3repE0EEENS1_38merge_mergepath_config_static_selectorELNS0_4arch9wavefront6targetE1EEEvSK_
; %bb.0:
	.section	.rodata,"a",@progbits
	.p2align	6, 0x0
	.amdhsa_kernel _ZN7rocprim17ROCPRIM_400000_NS6detail17trampoline_kernelINS0_14default_configENS1_38merge_sort_block_merge_config_selectorIsNS0_10empty_typeEEEZZNS1_27merge_sort_block_merge_implIS3_N6thrust23THRUST_200600_302600_NS6detail15normal_iteratorINS9_10device_ptrIsEEEEPS5_m14custom_greaterIsEEE10hipError_tT0_T1_T2_jT3_P12ihipStream_tbPNSt15iterator_traitsISJ_E10value_typeEPNSP_ISK_E10value_typeEPSL_NS1_7vsmem_tEENKUlT_SJ_SK_SL_E_clISE_PsSF_SF_EESI_SY_SJ_SK_SL_EUlSY_E0_NS1_11comp_targetILNS1_3genE10ELNS1_11target_archE1201ELNS1_3gpuE5ELNS1_3repE0EEENS1_38merge_mergepath_config_static_selectorELNS0_4arch9wavefront6targetE1EEEvSK_
		.amdhsa_group_segment_fixed_size 0
		.amdhsa_private_segment_fixed_size 0
		.amdhsa_kernarg_size 72
		.amdhsa_user_sgpr_count 6
		.amdhsa_user_sgpr_private_segment_buffer 1
		.amdhsa_user_sgpr_dispatch_ptr 0
		.amdhsa_user_sgpr_queue_ptr 0
		.amdhsa_user_sgpr_kernarg_segment_ptr 1
		.amdhsa_user_sgpr_dispatch_id 0
		.amdhsa_user_sgpr_flat_scratch_init 0
		.amdhsa_user_sgpr_kernarg_preload_length 0
		.amdhsa_user_sgpr_kernarg_preload_offset 0
		.amdhsa_user_sgpr_private_segment_size 0
		.amdhsa_uses_dynamic_stack 0
		.amdhsa_system_sgpr_private_segment_wavefront_offset 0
		.amdhsa_system_sgpr_workgroup_id_x 1
		.amdhsa_system_sgpr_workgroup_id_y 0
		.amdhsa_system_sgpr_workgroup_id_z 0
		.amdhsa_system_sgpr_workgroup_info 0
		.amdhsa_system_vgpr_workitem_id 0
		.amdhsa_next_free_vgpr 1
		.amdhsa_next_free_sgpr 0
		.amdhsa_accum_offset 4
		.amdhsa_reserve_vcc 0
		.amdhsa_reserve_flat_scratch 0
		.amdhsa_float_round_mode_32 0
		.amdhsa_float_round_mode_16_64 0
		.amdhsa_float_denorm_mode_32 3
		.amdhsa_float_denorm_mode_16_64 3
		.amdhsa_dx10_clamp 1
		.amdhsa_ieee_mode 1
		.amdhsa_fp16_overflow 0
		.amdhsa_tg_split 0
		.amdhsa_exception_fp_ieee_invalid_op 0
		.amdhsa_exception_fp_denorm_src 0
		.amdhsa_exception_fp_ieee_div_zero 0
		.amdhsa_exception_fp_ieee_overflow 0
		.amdhsa_exception_fp_ieee_underflow 0
		.amdhsa_exception_fp_ieee_inexact 0
		.amdhsa_exception_int_div_zero 0
	.end_amdhsa_kernel
	.section	.text._ZN7rocprim17ROCPRIM_400000_NS6detail17trampoline_kernelINS0_14default_configENS1_38merge_sort_block_merge_config_selectorIsNS0_10empty_typeEEEZZNS1_27merge_sort_block_merge_implIS3_N6thrust23THRUST_200600_302600_NS6detail15normal_iteratorINS9_10device_ptrIsEEEEPS5_m14custom_greaterIsEEE10hipError_tT0_T1_T2_jT3_P12ihipStream_tbPNSt15iterator_traitsISJ_E10value_typeEPNSP_ISK_E10value_typeEPSL_NS1_7vsmem_tEENKUlT_SJ_SK_SL_E_clISE_PsSF_SF_EESI_SY_SJ_SK_SL_EUlSY_E0_NS1_11comp_targetILNS1_3genE10ELNS1_11target_archE1201ELNS1_3gpuE5ELNS1_3repE0EEENS1_38merge_mergepath_config_static_selectorELNS0_4arch9wavefront6targetE1EEEvSK_,"axG",@progbits,_ZN7rocprim17ROCPRIM_400000_NS6detail17trampoline_kernelINS0_14default_configENS1_38merge_sort_block_merge_config_selectorIsNS0_10empty_typeEEEZZNS1_27merge_sort_block_merge_implIS3_N6thrust23THRUST_200600_302600_NS6detail15normal_iteratorINS9_10device_ptrIsEEEEPS5_m14custom_greaterIsEEE10hipError_tT0_T1_T2_jT3_P12ihipStream_tbPNSt15iterator_traitsISJ_E10value_typeEPNSP_ISK_E10value_typeEPSL_NS1_7vsmem_tEENKUlT_SJ_SK_SL_E_clISE_PsSF_SF_EESI_SY_SJ_SK_SL_EUlSY_E0_NS1_11comp_targetILNS1_3genE10ELNS1_11target_archE1201ELNS1_3gpuE5ELNS1_3repE0EEENS1_38merge_mergepath_config_static_selectorELNS0_4arch9wavefront6targetE1EEEvSK_,comdat
.Lfunc_end2970:
	.size	_ZN7rocprim17ROCPRIM_400000_NS6detail17trampoline_kernelINS0_14default_configENS1_38merge_sort_block_merge_config_selectorIsNS0_10empty_typeEEEZZNS1_27merge_sort_block_merge_implIS3_N6thrust23THRUST_200600_302600_NS6detail15normal_iteratorINS9_10device_ptrIsEEEEPS5_m14custom_greaterIsEEE10hipError_tT0_T1_T2_jT3_P12ihipStream_tbPNSt15iterator_traitsISJ_E10value_typeEPNSP_ISK_E10value_typeEPSL_NS1_7vsmem_tEENKUlT_SJ_SK_SL_E_clISE_PsSF_SF_EESI_SY_SJ_SK_SL_EUlSY_E0_NS1_11comp_targetILNS1_3genE10ELNS1_11target_archE1201ELNS1_3gpuE5ELNS1_3repE0EEENS1_38merge_mergepath_config_static_selectorELNS0_4arch9wavefront6targetE1EEEvSK_, .Lfunc_end2970-_ZN7rocprim17ROCPRIM_400000_NS6detail17trampoline_kernelINS0_14default_configENS1_38merge_sort_block_merge_config_selectorIsNS0_10empty_typeEEEZZNS1_27merge_sort_block_merge_implIS3_N6thrust23THRUST_200600_302600_NS6detail15normal_iteratorINS9_10device_ptrIsEEEEPS5_m14custom_greaterIsEEE10hipError_tT0_T1_T2_jT3_P12ihipStream_tbPNSt15iterator_traitsISJ_E10value_typeEPNSP_ISK_E10value_typeEPSL_NS1_7vsmem_tEENKUlT_SJ_SK_SL_E_clISE_PsSF_SF_EESI_SY_SJ_SK_SL_EUlSY_E0_NS1_11comp_targetILNS1_3genE10ELNS1_11target_archE1201ELNS1_3gpuE5ELNS1_3repE0EEENS1_38merge_mergepath_config_static_selectorELNS0_4arch9wavefront6targetE1EEEvSK_
                                        ; -- End function
	.section	.AMDGPU.csdata,"",@progbits
; Kernel info:
; codeLenInByte = 0
; NumSgprs: 4
; NumVgprs: 0
; NumAgprs: 0
; TotalNumVgprs: 0
; ScratchSize: 0
; MemoryBound: 0
; FloatMode: 240
; IeeeMode: 1
; LDSByteSize: 0 bytes/workgroup (compile time only)
; SGPRBlocks: 0
; VGPRBlocks: 0
; NumSGPRsForWavesPerEU: 4
; NumVGPRsForWavesPerEU: 1
; AccumOffset: 4
; Occupancy: 8
; WaveLimiterHint : 0
; COMPUTE_PGM_RSRC2:SCRATCH_EN: 0
; COMPUTE_PGM_RSRC2:USER_SGPR: 6
; COMPUTE_PGM_RSRC2:TRAP_HANDLER: 0
; COMPUTE_PGM_RSRC2:TGID_X_EN: 1
; COMPUTE_PGM_RSRC2:TGID_Y_EN: 0
; COMPUTE_PGM_RSRC2:TGID_Z_EN: 0
; COMPUTE_PGM_RSRC2:TIDIG_COMP_CNT: 0
; COMPUTE_PGM_RSRC3_GFX90A:ACCUM_OFFSET: 0
; COMPUTE_PGM_RSRC3_GFX90A:TG_SPLIT: 0
	.section	.text._ZN7rocprim17ROCPRIM_400000_NS6detail17trampoline_kernelINS0_14default_configENS1_38merge_sort_block_merge_config_selectorIsNS0_10empty_typeEEEZZNS1_27merge_sort_block_merge_implIS3_N6thrust23THRUST_200600_302600_NS6detail15normal_iteratorINS9_10device_ptrIsEEEEPS5_m14custom_greaterIsEEE10hipError_tT0_T1_T2_jT3_P12ihipStream_tbPNSt15iterator_traitsISJ_E10value_typeEPNSP_ISK_E10value_typeEPSL_NS1_7vsmem_tEENKUlT_SJ_SK_SL_E_clISE_PsSF_SF_EESI_SY_SJ_SK_SL_EUlSY_E0_NS1_11comp_targetILNS1_3genE5ELNS1_11target_archE942ELNS1_3gpuE9ELNS1_3repE0EEENS1_38merge_mergepath_config_static_selectorELNS0_4arch9wavefront6targetE1EEEvSK_,"axG",@progbits,_ZN7rocprim17ROCPRIM_400000_NS6detail17trampoline_kernelINS0_14default_configENS1_38merge_sort_block_merge_config_selectorIsNS0_10empty_typeEEEZZNS1_27merge_sort_block_merge_implIS3_N6thrust23THRUST_200600_302600_NS6detail15normal_iteratorINS9_10device_ptrIsEEEEPS5_m14custom_greaterIsEEE10hipError_tT0_T1_T2_jT3_P12ihipStream_tbPNSt15iterator_traitsISJ_E10value_typeEPNSP_ISK_E10value_typeEPSL_NS1_7vsmem_tEENKUlT_SJ_SK_SL_E_clISE_PsSF_SF_EESI_SY_SJ_SK_SL_EUlSY_E0_NS1_11comp_targetILNS1_3genE5ELNS1_11target_archE942ELNS1_3gpuE9ELNS1_3repE0EEENS1_38merge_mergepath_config_static_selectorELNS0_4arch9wavefront6targetE1EEEvSK_,comdat
	.protected	_ZN7rocprim17ROCPRIM_400000_NS6detail17trampoline_kernelINS0_14default_configENS1_38merge_sort_block_merge_config_selectorIsNS0_10empty_typeEEEZZNS1_27merge_sort_block_merge_implIS3_N6thrust23THRUST_200600_302600_NS6detail15normal_iteratorINS9_10device_ptrIsEEEEPS5_m14custom_greaterIsEEE10hipError_tT0_T1_T2_jT3_P12ihipStream_tbPNSt15iterator_traitsISJ_E10value_typeEPNSP_ISK_E10value_typeEPSL_NS1_7vsmem_tEENKUlT_SJ_SK_SL_E_clISE_PsSF_SF_EESI_SY_SJ_SK_SL_EUlSY_E0_NS1_11comp_targetILNS1_3genE5ELNS1_11target_archE942ELNS1_3gpuE9ELNS1_3repE0EEENS1_38merge_mergepath_config_static_selectorELNS0_4arch9wavefront6targetE1EEEvSK_ ; -- Begin function _ZN7rocprim17ROCPRIM_400000_NS6detail17trampoline_kernelINS0_14default_configENS1_38merge_sort_block_merge_config_selectorIsNS0_10empty_typeEEEZZNS1_27merge_sort_block_merge_implIS3_N6thrust23THRUST_200600_302600_NS6detail15normal_iteratorINS9_10device_ptrIsEEEEPS5_m14custom_greaterIsEEE10hipError_tT0_T1_T2_jT3_P12ihipStream_tbPNSt15iterator_traitsISJ_E10value_typeEPNSP_ISK_E10value_typeEPSL_NS1_7vsmem_tEENKUlT_SJ_SK_SL_E_clISE_PsSF_SF_EESI_SY_SJ_SK_SL_EUlSY_E0_NS1_11comp_targetILNS1_3genE5ELNS1_11target_archE942ELNS1_3gpuE9ELNS1_3repE0EEENS1_38merge_mergepath_config_static_selectorELNS0_4arch9wavefront6targetE1EEEvSK_
	.globl	_ZN7rocprim17ROCPRIM_400000_NS6detail17trampoline_kernelINS0_14default_configENS1_38merge_sort_block_merge_config_selectorIsNS0_10empty_typeEEEZZNS1_27merge_sort_block_merge_implIS3_N6thrust23THRUST_200600_302600_NS6detail15normal_iteratorINS9_10device_ptrIsEEEEPS5_m14custom_greaterIsEEE10hipError_tT0_T1_T2_jT3_P12ihipStream_tbPNSt15iterator_traitsISJ_E10value_typeEPNSP_ISK_E10value_typeEPSL_NS1_7vsmem_tEENKUlT_SJ_SK_SL_E_clISE_PsSF_SF_EESI_SY_SJ_SK_SL_EUlSY_E0_NS1_11comp_targetILNS1_3genE5ELNS1_11target_archE942ELNS1_3gpuE9ELNS1_3repE0EEENS1_38merge_mergepath_config_static_selectorELNS0_4arch9wavefront6targetE1EEEvSK_
	.p2align	8
	.type	_ZN7rocprim17ROCPRIM_400000_NS6detail17trampoline_kernelINS0_14default_configENS1_38merge_sort_block_merge_config_selectorIsNS0_10empty_typeEEEZZNS1_27merge_sort_block_merge_implIS3_N6thrust23THRUST_200600_302600_NS6detail15normal_iteratorINS9_10device_ptrIsEEEEPS5_m14custom_greaterIsEEE10hipError_tT0_T1_T2_jT3_P12ihipStream_tbPNSt15iterator_traitsISJ_E10value_typeEPNSP_ISK_E10value_typeEPSL_NS1_7vsmem_tEENKUlT_SJ_SK_SL_E_clISE_PsSF_SF_EESI_SY_SJ_SK_SL_EUlSY_E0_NS1_11comp_targetILNS1_3genE5ELNS1_11target_archE942ELNS1_3gpuE9ELNS1_3repE0EEENS1_38merge_mergepath_config_static_selectorELNS0_4arch9wavefront6targetE1EEEvSK_,@function
_ZN7rocprim17ROCPRIM_400000_NS6detail17trampoline_kernelINS0_14default_configENS1_38merge_sort_block_merge_config_selectorIsNS0_10empty_typeEEEZZNS1_27merge_sort_block_merge_implIS3_N6thrust23THRUST_200600_302600_NS6detail15normal_iteratorINS9_10device_ptrIsEEEEPS5_m14custom_greaterIsEEE10hipError_tT0_T1_T2_jT3_P12ihipStream_tbPNSt15iterator_traitsISJ_E10value_typeEPNSP_ISK_E10value_typeEPSL_NS1_7vsmem_tEENKUlT_SJ_SK_SL_E_clISE_PsSF_SF_EESI_SY_SJ_SK_SL_EUlSY_E0_NS1_11comp_targetILNS1_3genE5ELNS1_11target_archE942ELNS1_3gpuE9ELNS1_3repE0EEENS1_38merge_mergepath_config_static_selectorELNS0_4arch9wavefront6targetE1EEEvSK_: ; @_ZN7rocprim17ROCPRIM_400000_NS6detail17trampoline_kernelINS0_14default_configENS1_38merge_sort_block_merge_config_selectorIsNS0_10empty_typeEEEZZNS1_27merge_sort_block_merge_implIS3_N6thrust23THRUST_200600_302600_NS6detail15normal_iteratorINS9_10device_ptrIsEEEEPS5_m14custom_greaterIsEEE10hipError_tT0_T1_T2_jT3_P12ihipStream_tbPNSt15iterator_traitsISJ_E10value_typeEPNSP_ISK_E10value_typeEPSL_NS1_7vsmem_tEENKUlT_SJ_SK_SL_E_clISE_PsSF_SF_EESI_SY_SJ_SK_SL_EUlSY_E0_NS1_11comp_targetILNS1_3genE5ELNS1_11target_archE942ELNS1_3gpuE9ELNS1_3repE0EEENS1_38merge_mergepath_config_static_selectorELNS0_4arch9wavefront6targetE1EEEvSK_
; %bb.0:
	.section	.rodata,"a",@progbits
	.p2align	6, 0x0
	.amdhsa_kernel _ZN7rocprim17ROCPRIM_400000_NS6detail17trampoline_kernelINS0_14default_configENS1_38merge_sort_block_merge_config_selectorIsNS0_10empty_typeEEEZZNS1_27merge_sort_block_merge_implIS3_N6thrust23THRUST_200600_302600_NS6detail15normal_iteratorINS9_10device_ptrIsEEEEPS5_m14custom_greaterIsEEE10hipError_tT0_T1_T2_jT3_P12ihipStream_tbPNSt15iterator_traitsISJ_E10value_typeEPNSP_ISK_E10value_typeEPSL_NS1_7vsmem_tEENKUlT_SJ_SK_SL_E_clISE_PsSF_SF_EESI_SY_SJ_SK_SL_EUlSY_E0_NS1_11comp_targetILNS1_3genE5ELNS1_11target_archE942ELNS1_3gpuE9ELNS1_3repE0EEENS1_38merge_mergepath_config_static_selectorELNS0_4arch9wavefront6targetE1EEEvSK_
		.amdhsa_group_segment_fixed_size 0
		.amdhsa_private_segment_fixed_size 0
		.amdhsa_kernarg_size 72
		.amdhsa_user_sgpr_count 6
		.amdhsa_user_sgpr_private_segment_buffer 1
		.amdhsa_user_sgpr_dispatch_ptr 0
		.amdhsa_user_sgpr_queue_ptr 0
		.amdhsa_user_sgpr_kernarg_segment_ptr 1
		.amdhsa_user_sgpr_dispatch_id 0
		.amdhsa_user_sgpr_flat_scratch_init 0
		.amdhsa_user_sgpr_kernarg_preload_length 0
		.amdhsa_user_sgpr_kernarg_preload_offset 0
		.amdhsa_user_sgpr_private_segment_size 0
		.amdhsa_uses_dynamic_stack 0
		.amdhsa_system_sgpr_private_segment_wavefront_offset 0
		.amdhsa_system_sgpr_workgroup_id_x 1
		.amdhsa_system_sgpr_workgroup_id_y 0
		.amdhsa_system_sgpr_workgroup_id_z 0
		.amdhsa_system_sgpr_workgroup_info 0
		.amdhsa_system_vgpr_workitem_id 0
		.amdhsa_next_free_vgpr 1
		.amdhsa_next_free_sgpr 0
		.amdhsa_accum_offset 4
		.amdhsa_reserve_vcc 0
		.amdhsa_reserve_flat_scratch 0
		.amdhsa_float_round_mode_32 0
		.amdhsa_float_round_mode_16_64 0
		.amdhsa_float_denorm_mode_32 3
		.amdhsa_float_denorm_mode_16_64 3
		.amdhsa_dx10_clamp 1
		.amdhsa_ieee_mode 1
		.amdhsa_fp16_overflow 0
		.amdhsa_tg_split 0
		.amdhsa_exception_fp_ieee_invalid_op 0
		.amdhsa_exception_fp_denorm_src 0
		.amdhsa_exception_fp_ieee_div_zero 0
		.amdhsa_exception_fp_ieee_overflow 0
		.amdhsa_exception_fp_ieee_underflow 0
		.amdhsa_exception_fp_ieee_inexact 0
		.amdhsa_exception_int_div_zero 0
	.end_amdhsa_kernel
	.section	.text._ZN7rocprim17ROCPRIM_400000_NS6detail17trampoline_kernelINS0_14default_configENS1_38merge_sort_block_merge_config_selectorIsNS0_10empty_typeEEEZZNS1_27merge_sort_block_merge_implIS3_N6thrust23THRUST_200600_302600_NS6detail15normal_iteratorINS9_10device_ptrIsEEEEPS5_m14custom_greaterIsEEE10hipError_tT0_T1_T2_jT3_P12ihipStream_tbPNSt15iterator_traitsISJ_E10value_typeEPNSP_ISK_E10value_typeEPSL_NS1_7vsmem_tEENKUlT_SJ_SK_SL_E_clISE_PsSF_SF_EESI_SY_SJ_SK_SL_EUlSY_E0_NS1_11comp_targetILNS1_3genE5ELNS1_11target_archE942ELNS1_3gpuE9ELNS1_3repE0EEENS1_38merge_mergepath_config_static_selectorELNS0_4arch9wavefront6targetE1EEEvSK_,"axG",@progbits,_ZN7rocprim17ROCPRIM_400000_NS6detail17trampoline_kernelINS0_14default_configENS1_38merge_sort_block_merge_config_selectorIsNS0_10empty_typeEEEZZNS1_27merge_sort_block_merge_implIS3_N6thrust23THRUST_200600_302600_NS6detail15normal_iteratorINS9_10device_ptrIsEEEEPS5_m14custom_greaterIsEEE10hipError_tT0_T1_T2_jT3_P12ihipStream_tbPNSt15iterator_traitsISJ_E10value_typeEPNSP_ISK_E10value_typeEPSL_NS1_7vsmem_tEENKUlT_SJ_SK_SL_E_clISE_PsSF_SF_EESI_SY_SJ_SK_SL_EUlSY_E0_NS1_11comp_targetILNS1_3genE5ELNS1_11target_archE942ELNS1_3gpuE9ELNS1_3repE0EEENS1_38merge_mergepath_config_static_selectorELNS0_4arch9wavefront6targetE1EEEvSK_,comdat
.Lfunc_end2971:
	.size	_ZN7rocprim17ROCPRIM_400000_NS6detail17trampoline_kernelINS0_14default_configENS1_38merge_sort_block_merge_config_selectorIsNS0_10empty_typeEEEZZNS1_27merge_sort_block_merge_implIS3_N6thrust23THRUST_200600_302600_NS6detail15normal_iteratorINS9_10device_ptrIsEEEEPS5_m14custom_greaterIsEEE10hipError_tT0_T1_T2_jT3_P12ihipStream_tbPNSt15iterator_traitsISJ_E10value_typeEPNSP_ISK_E10value_typeEPSL_NS1_7vsmem_tEENKUlT_SJ_SK_SL_E_clISE_PsSF_SF_EESI_SY_SJ_SK_SL_EUlSY_E0_NS1_11comp_targetILNS1_3genE5ELNS1_11target_archE942ELNS1_3gpuE9ELNS1_3repE0EEENS1_38merge_mergepath_config_static_selectorELNS0_4arch9wavefront6targetE1EEEvSK_, .Lfunc_end2971-_ZN7rocprim17ROCPRIM_400000_NS6detail17trampoline_kernelINS0_14default_configENS1_38merge_sort_block_merge_config_selectorIsNS0_10empty_typeEEEZZNS1_27merge_sort_block_merge_implIS3_N6thrust23THRUST_200600_302600_NS6detail15normal_iteratorINS9_10device_ptrIsEEEEPS5_m14custom_greaterIsEEE10hipError_tT0_T1_T2_jT3_P12ihipStream_tbPNSt15iterator_traitsISJ_E10value_typeEPNSP_ISK_E10value_typeEPSL_NS1_7vsmem_tEENKUlT_SJ_SK_SL_E_clISE_PsSF_SF_EESI_SY_SJ_SK_SL_EUlSY_E0_NS1_11comp_targetILNS1_3genE5ELNS1_11target_archE942ELNS1_3gpuE9ELNS1_3repE0EEENS1_38merge_mergepath_config_static_selectorELNS0_4arch9wavefront6targetE1EEEvSK_
                                        ; -- End function
	.section	.AMDGPU.csdata,"",@progbits
; Kernel info:
; codeLenInByte = 0
; NumSgprs: 4
; NumVgprs: 0
; NumAgprs: 0
; TotalNumVgprs: 0
; ScratchSize: 0
; MemoryBound: 0
; FloatMode: 240
; IeeeMode: 1
; LDSByteSize: 0 bytes/workgroup (compile time only)
; SGPRBlocks: 0
; VGPRBlocks: 0
; NumSGPRsForWavesPerEU: 4
; NumVGPRsForWavesPerEU: 1
; AccumOffset: 4
; Occupancy: 8
; WaveLimiterHint : 0
; COMPUTE_PGM_RSRC2:SCRATCH_EN: 0
; COMPUTE_PGM_RSRC2:USER_SGPR: 6
; COMPUTE_PGM_RSRC2:TRAP_HANDLER: 0
; COMPUTE_PGM_RSRC2:TGID_X_EN: 1
; COMPUTE_PGM_RSRC2:TGID_Y_EN: 0
; COMPUTE_PGM_RSRC2:TGID_Z_EN: 0
; COMPUTE_PGM_RSRC2:TIDIG_COMP_CNT: 0
; COMPUTE_PGM_RSRC3_GFX90A:ACCUM_OFFSET: 0
; COMPUTE_PGM_RSRC3_GFX90A:TG_SPLIT: 0
	.section	.text._ZN7rocprim17ROCPRIM_400000_NS6detail17trampoline_kernelINS0_14default_configENS1_38merge_sort_block_merge_config_selectorIsNS0_10empty_typeEEEZZNS1_27merge_sort_block_merge_implIS3_N6thrust23THRUST_200600_302600_NS6detail15normal_iteratorINS9_10device_ptrIsEEEEPS5_m14custom_greaterIsEEE10hipError_tT0_T1_T2_jT3_P12ihipStream_tbPNSt15iterator_traitsISJ_E10value_typeEPNSP_ISK_E10value_typeEPSL_NS1_7vsmem_tEENKUlT_SJ_SK_SL_E_clISE_PsSF_SF_EESI_SY_SJ_SK_SL_EUlSY_E0_NS1_11comp_targetILNS1_3genE4ELNS1_11target_archE910ELNS1_3gpuE8ELNS1_3repE0EEENS1_38merge_mergepath_config_static_selectorELNS0_4arch9wavefront6targetE1EEEvSK_,"axG",@progbits,_ZN7rocprim17ROCPRIM_400000_NS6detail17trampoline_kernelINS0_14default_configENS1_38merge_sort_block_merge_config_selectorIsNS0_10empty_typeEEEZZNS1_27merge_sort_block_merge_implIS3_N6thrust23THRUST_200600_302600_NS6detail15normal_iteratorINS9_10device_ptrIsEEEEPS5_m14custom_greaterIsEEE10hipError_tT0_T1_T2_jT3_P12ihipStream_tbPNSt15iterator_traitsISJ_E10value_typeEPNSP_ISK_E10value_typeEPSL_NS1_7vsmem_tEENKUlT_SJ_SK_SL_E_clISE_PsSF_SF_EESI_SY_SJ_SK_SL_EUlSY_E0_NS1_11comp_targetILNS1_3genE4ELNS1_11target_archE910ELNS1_3gpuE8ELNS1_3repE0EEENS1_38merge_mergepath_config_static_selectorELNS0_4arch9wavefront6targetE1EEEvSK_,comdat
	.protected	_ZN7rocprim17ROCPRIM_400000_NS6detail17trampoline_kernelINS0_14default_configENS1_38merge_sort_block_merge_config_selectorIsNS0_10empty_typeEEEZZNS1_27merge_sort_block_merge_implIS3_N6thrust23THRUST_200600_302600_NS6detail15normal_iteratorINS9_10device_ptrIsEEEEPS5_m14custom_greaterIsEEE10hipError_tT0_T1_T2_jT3_P12ihipStream_tbPNSt15iterator_traitsISJ_E10value_typeEPNSP_ISK_E10value_typeEPSL_NS1_7vsmem_tEENKUlT_SJ_SK_SL_E_clISE_PsSF_SF_EESI_SY_SJ_SK_SL_EUlSY_E0_NS1_11comp_targetILNS1_3genE4ELNS1_11target_archE910ELNS1_3gpuE8ELNS1_3repE0EEENS1_38merge_mergepath_config_static_selectorELNS0_4arch9wavefront6targetE1EEEvSK_ ; -- Begin function _ZN7rocprim17ROCPRIM_400000_NS6detail17trampoline_kernelINS0_14default_configENS1_38merge_sort_block_merge_config_selectorIsNS0_10empty_typeEEEZZNS1_27merge_sort_block_merge_implIS3_N6thrust23THRUST_200600_302600_NS6detail15normal_iteratorINS9_10device_ptrIsEEEEPS5_m14custom_greaterIsEEE10hipError_tT0_T1_T2_jT3_P12ihipStream_tbPNSt15iterator_traitsISJ_E10value_typeEPNSP_ISK_E10value_typeEPSL_NS1_7vsmem_tEENKUlT_SJ_SK_SL_E_clISE_PsSF_SF_EESI_SY_SJ_SK_SL_EUlSY_E0_NS1_11comp_targetILNS1_3genE4ELNS1_11target_archE910ELNS1_3gpuE8ELNS1_3repE0EEENS1_38merge_mergepath_config_static_selectorELNS0_4arch9wavefront6targetE1EEEvSK_
	.globl	_ZN7rocprim17ROCPRIM_400000_NS6detail17trampoline_kernelINS0_14default_configENS1_38merge_sort_block_merge_config_selectorIsNS0_10empty_typeEEEZZNS1_27merge_sort_block_merge_implIS3_N6thrust23THRUST_200600_302600_NS6detail15normal_iteratorINS9_10device_ptrIsEEEEPS5_m14custom_greaterIsEEE10hipError_tT0_T1_T2_jT3_P12ihipStream_tbPNSt15iterator_traitsISJ_E10value_typeEPNSP_ISK_E10value_typeEPSL_NS1_7vsmem_tEENKUlT_SJ_SK_SL_E_clISE_PsSF_SF_EESI_SY_SJ_SK_SL_EUlSY_E0_NS1_11comp_targetILNS1_3genE4ELNS1_11target_archE910ELNS1_3gpuE8ELNS1_3repE0EEENS1_38merge_mergepath_config_static_selectorELNS0_4arch9wavefront6targetE1EEEvSK_
	.p2align	8
	.type	_ZN7rocprim17ROCPRIM_400000_NS6detail17trampoline_kernelINS0_14default_configENS1_38merge_sort_block_merge_config_selectorIsNS0_10empty_typeEEEZZNS1_27merge_sort_block_merge_implIS3_N6thrust23THRUST_200600_302600_NS6detail15normal_iteratorINS9_10device_ptrIsEEEEPS5_m14custom_greaterIsEEE10hipError_tT0_T1_T2_jT3_P12ihipStream_tbPNSt15iterator_traitsISJ_E10value_typeEPNSP_ISK_E10value_typeEPSL_NS1_7vsmem_tEENKUlT_SJ_SK_SL_E_clISE_PsSF_SF_EESI_SY_SJ_SK_SL_EUlSY_E0_NS1_11comp_targetILNS1_3genE4ELNS1_11target_archE910ELNS1_3gpuE8ELNS1_3repE0EEENS1_38merge_mergepath_config_static_selectorELNS0_4arch9wavefront6targetE1EEEvSK_,@function
_ZN7rocprim17ROCPRIM_400000_NS6detail17trampoline_kernelINS0_14default_configENS1_38merge_sort_block_merge_config_selectorIsNS0_10empty_typeEEEZZNS1_27merge_sort_block_merge_implIS3_N6thrust23THRUST_200600_302600_NS6detail15normal_iteratorINS9_10device_ptrIsEEEEPS5_m14custom_greaterIsEEE10hipError_tT0_T1_T2_jT3_P12ihipStream_tbPNSt15iterator_traitsISJ_E10value_typeEPNSP_ISK_E10value_typeEPSL_NS1_7vsmem_tEENKUlT_SJ_SK_SL_E_clISE_PsSF_SF_EESI_SY_SJ_SK_SL_EUlSY_E0_NS1_11comp_targetILNS1_3genE4ELNS1_11target_archE910ELNS1_3gpuE8ELNS1_3repE0EEENS1_38merge_mergepath_config_static_selectorELNS0_4arch9wavefront6targetE1EEEvSK_: ; @_ZN7rocprim17ROCPRIM_400000_NS6detail17trampoline_kernelINS0_14default_configENS1_38merge_sort_block_merge_config_selectorIsNS0_10empty_typeEEEZZNS1_27merge_sort_block_merge_implIS3_N6thrust23THRUST_200600_302600_NS6detail15normal_iteratorINS9_10device_ptrIsEEEEPS5_m14custom_greaterIsEEE10hipError_tT0_T1_T2_jT3_P12ihipStream_tbPNSt15iterator_traitsISJ_E10value_typeEPNSP_ISK_E10value_typeEPSL_NS1_7vsmem_tEENKUlT_SJ_SK_SL_E_clISE_PsSF_SF_EESI_SY_SJ_SK_SL_EUlSY_E0_NS1_11comp_targetILNS1_3genE4ELNS1_11target_archE910ELNS1_3gpuE8ELNS1_3repE0EEENS1_38merge_mergepath_config_static_selectorELNS0_4arch9wavefront6targetE1EEEvSK_
; %bb.0:
	s_load_dwordx2 s[22:23], s[4:5], 0x48
	s_load_dword s0, s[4:5], 0x38
	s_add_u32 s10, s4, 0x48
	s_addc_u32 s11, s5, 0
	s_waitcnt lgkmcnt(0)
	s_mul_i32 s1, s23, s8
	s_add_i32 s1, s1, s7
	s_mul_i32 s1, s1, s22
	s_add_i32 s8, s1, s6
	s_cmp_ge_u32 s8, s0
	s_cbranch_scc1 .LBB2972_45
; %bb.1:
	s_load_dwordx2 s[0:1], s[4:5], 0x40
	s_load_dwordx4 s[12:15], s[4:5], 0x8
	s_load_dwordx4 s[16:19], s[4:5], 0x28
	s_mov_b32 s9, 0
	s_lshl_b64 s[2:3], s[8:9], 3
	s_waitcnt lgkmcnt(0)
	s_add_u32 s0, s0, s2
	s_addc_u32 s1, s1, s3
	v_mov_b32_e32 v1, s18
	v_alignbit_b32 v1, s19, v1, 9
	v_readfirstlane_b32 s4, v1
	s_and_b32 s4, s4, -2
	s_sub_i32 s30, 0, s4
	s_and_b32 s24, s8, s30
	s_mov_b32 s25, s9
	s_lshl_b64 s[4:5], s[24:25], 10
	s_lshl_b64 s[20:21], s[8:9], 10
	s_sub_u32 s7, s20, s4
	s_load_dwordx4 s[0:3], s[0:1], 0x0
	s_subb_u32 s23, s21, s5
	s_lshl_b64 s[24:25], s[24:25], 11
	s_add_u32 s24, s24, s18
	s_addc_u32 s25, s25, s19
	s_add_u32 s7, s24, s7
	s_addc_u32 s23, s25, s23
	s_waitcnt lgkmcnt(0)
	s_sub_u32 s26, s7, s2
	s_subb_u32 s3, s23, s3
	s_add_u32 s26, s26, 0x400
	s_addc_u32 s27, s3, 0
	v_pk_mov_b32 v[2:3], s[26:27], s[26:27] op_sel:[0,1]
	v_cmp_lt_u64_e32 vcc, s[16:17], v[2:3]
	s_and_b64 s[28:29], vcc, exec
	s_cselect_b32 s3, s16, s26
	s_or_b32 s26, s8, s30
	s_cmp_lg_u32 s26, -1
	s_cbranch_scc1 .LBB2972_3
; %bb.2:
	s_sub_u32 s4, s24, s4
	s_subb_u32 s5, s25, s5
	v_pk_mov_b32 v[2:3], s[4:5], s[4:5] op_sel:[0,1]
	v_cmp_lt_u64_e32 vcc, s[16:17], v[2:3]
	s_and_b64 s[2:3], vcc, exec
	s_cselect_b32 s2, s16, s4
	s_add_u32 s4, s4, s18
	s_addc_u32 s5, s5, s19
	v_pk_mov_b32 v[2:3], s[4:5], s[4:5] op_sel:[0,1]
	v_cmp_lt_u64_e32 vcc, s[16:17], v[2:3]
	s_and_b64 s[18:19], vcc, exec
	s_cselect_b32 s3, s16, s4
.LBB2972_3:
	s_lshr_b64 s[24:25], s[16:17], 10
	s_cmp_lg_u64 s[24:25], s[8:9]
	s_cselect_b64 s[18:19], -1, 0
	s_sub_u32 s4, s7, s0
	s_subb_u32 s5, s23, s1
	v_pk_mov_b32 v[2:3], s[4:5], s[4:5] op_sel:[0,1]
	v_cmp_lt_u64_e32 vcc, s[16:17], v[2:3]
	s_and_b64 s[26:27], vcc, exec
	s_cselect_b32 s26, s16, s4
	s_cselect_b32 s27, s17, s5
	s_sub_i32 s17, s2, s0
	s_sub_i32 s4, s3, s26
	s_lshl_b64 s[0:1], s[0:1], 1
	s_add_u32 s5, s12, s0
	s_addc_u32 s7, s13, s1
	s_lshl_b64 s[0:1], s[26:27], 1
	s_add_u32 s12, s12, s0
	s_addc_u32 s13, s13, s1
	s_cmp_lt_u32 s6, s22
	v_mov_b32_e32 v3, 0
	s_cselect_b32 s0, 12, 18
	global_load_dword v1, v3, s[10:11] offset:14
	s_add_u32 s0, s10, s0
	s_addc_u32 s1, s11, 0
	global_load_ushort v2, v3, s[0:1]
	s_cmp_eq_u64 s[24:25], s[8:9]
	s_waitcnt vmcnt(1)
	v_lshrrev_b32_e32 v4, 16, v1
	v_and_b32_e32 v1, 0xffff, v1
	v_mul_lo_u32 v1, v1, v4
	s_waitcnt vmcnt(0)
	v_mul_lo_u32 v11, v1, v2
	v_add_u32_e32 v8, v11, v0
	v_lshlrev_b32_e32 v1, 1, v0
	v_add_u32_e32 v6, v8, v11
	s_cbranch_scc1 .LBB2972_5
; %bb.4:
	v_subrev_u32_e32 v2, s17, v0
	v_lshlrev_b64 v[4:5], 1, v[2:3]
	v_mov_b32_e32 v2, s13
	v_add_co_u32_e32 v4, vcc, s12, v4
	v_addc_co_u32_e32 v2, vcc, v2, v5, vcc
	v_mov_b32_e32 v5, s7
	v_add_co_u32_e32 v7, vcc, s5, v1
	v_addc_co_u32_e32 v5, vcc, 0, v5, vcc
	v_cmp_gt_u32_e32 vcc, s17, v0
	v_cndmask_b32_e32 v5, v2, v5, vcc
	v_cndmask_b32_e32 v4, v4, v7, vcc
	v_subrev_u32_e32 v2, s17, v8
	global_load_ushort v10, v[4:5], off
	v_lshlrev_b64 v[4:5], 1, v[2:3]
	v_mov_b32_e32 v2, s13
	v_add_co_u32_e32 v7, vcc, s12, v4
	v_mov_b32_e32 v9, v3
	v_addc_co_u32_e32 v2, vcc, v2, v5, vcc
	v_lshlrev_b64 v[4:5], 1, v[8:9]
	v_mov_b32_e32 v9, s7
	v_add_co_u32_e32 v4, vcc, s5, v4
	v_addc_co_u32_e32 v5, vcc, v9, v5, vcc
	v_cmp_gt_u32_e32 vcc, s17, v8
	v_cndmask_b32_e32 v5, v2, v5, vcc
	v_cndmask_b32_e32 v4, v7, v4, vcc
	v_subrev_u32_e32 v2, s17, v6
	global_load_ushort v9, v[4:5], off
	v_lshlrev_b64 v[4:5], 1, v[2:3]
	v_mov_b32_e32 v2, s13
	v_add_co_u32_e32 v12, vcc, s12, v4
	v_mov_b32_e32 v7, v3
	v_addc_co_u32_e32 v2, vcc, v2, v5, vcc
	v_lshlrev_b64 v[4:5], 1, v[6:7]
	v_mov_b32_e32 v7, s7
	v_add_co_u32_e32 v4, vcc, s5, v4
	v_addc_co_u32_e32 v5, vcc, v7, v5, vcc
	v_cmp_gt_u32_e32 vcc, s17, v6
	v_cndmask_b32_e32 v5, v2, v5, vcc
	v_cndmask_b32_e32 v4, v12, v4, vcc
	global_load_ushort v7, v[4:5], off
	v_add_u32_e32 v4, v6, v11
	v_subrev_u32_e32 v2, s17, v4
	v_lshlrev_b64 v[12:13], 1, v[2:3]
	v_mov_b32_e32 v2, s13
	v_add_co_u32_e32 v14, vcc, s12, v12
	v_mov_b32_e32 v5, v3
	v_addc_co_u32_e32 v2, vcc, v2, v13, vcc
	v_lshlrev_b64 v[12:13], 1, v[4:5]
	v_mov_b32_e32 v5, s7
	v_add_co_u32_e32 v12, vcc, s5, v12
	v_addc_co_u32_e32 v5, vcc, v5, v13, vcc
	v_cmp_gt_u32_e32 vcc, s17, v4
	v_add_u32_e32 v4, v4, v11
	v_cndmask_b32_e32 v13, v2, v5, vcc
	v_cndmask_b32_e32 v12, v14, v12, vcc
	v_subrev_u32_e32 v2, s17, v4
	global_load_ushort v14, v[12:13], off
	v_lshlrev_b64 v[12:13], 1, v[2:3]
	v_mov_b32_e32 v2, s13
	v_add_co_u32_e32 v15, vcc, s12, v12
	v_mov_b32_e32 v5, v3
	v_addc_co_u32_e32 v2, vcc, v2, v13, vcc
	v_lshlrev_b64 v[12:13], 1, v[4:5]
	v_mov_b32_e32 v5, s7
	v_add_co_u32_e32 v12, vcc, s5, v12
	v_addc_co_u32_e32 v5, vcc, v5, v13, vcc
	v_cmp_gt_u32_e32 vcc, s17, v4
	v_add_u32_e32 v4, v4, v11
	v_cndmask_b32_e32 v13, v2, v5, vcc
	v_cndmask_b32_e32 v12, v15, v12, vcc
	v_subrev_u32_e32 v2, s17, v4
	global_load_ushort v15, v[12:13], off
	v_lshlrev_b64 v[12:13], 1, v[2:3]
	v_mov_b32_e32 v2, s13
	v_add_co_u32_e32 v16, vcc, s12, v12
	v_mov_b32_e32 v5, v3
	v_addc_co_u32_e32 v2, vcc, v2, v13, vcc
	v_lshlrev_b64 v[12:13], 1, v[4:5]
	v_mov_b32_e32 v5, s7
	v_add_co_u32_e32 v12, vcc, s5, v12
	v_addc_co_u32_e32 v5, vcc, v5, v13, vcc
	v_cmp_gt_u32_e32 vcc, s17, v4
	v_cndmask_b32_e32 v13, v2, v5, vcc
	v_cndmask_b32_e32 v12, v16, v12, vcc
	global_load_ushort v16, v[12:13], off
	v_add_u32_e32 v12, v4, v11
	v_subrev_u32_e32 v2, s17, v12
	v_lshlrev_b64 v[4:5], 1, v[2:3]
	v_mov_b32_e32 v2, s13
	v_add_co_u32_e32 v4, vcc, s12, v4
	v_mov_b32_e32 v13, v3
	v_addc_co_u32_e32 v5, vcc, v2, v5, vcc
	v_lshlrev_b64 v[2:3], 1, v[12:13]
	v_mov_b32_e32 v13, s7
	v_add_co_u32_e32 v2, vcc, s5, v2
	v_addc_co_u32_e32 v3, vcc, v13, v3, vcc
	v_cmp_gt_u32_e32 vcc, s17, v12
	v_cndmask_b32_e32 v3, v5, v3, vcc
	v_cndmask_b32_e32 v2, v4, v2, vcc
	global_load_ushort v5, v[2:3], off
	s_mov_b32 s0, 0x5040100
	s_waitcnt vmcnt(5)
	v_perm_b32 v2, v9, v10, s0
	v_add_u32_e32 v10, v12, v11
	s_add_i32 s6, s17, s4
	s_waitcnt vmcnt(3)
	v_perm_b32 v3, v14, v7, s0
	s_waitcnt vmcnt(1)
	v_perm_b32 v4, v16, v15, s0
	s_mov_b64 s[0:1], -1
	s_cbranch_execz .LBB2972_6
	s_branch .LBB2972_19
.LBB2972_5:
	s_mov_b64 s[0:1], 0
                                        ; implicit-def: $vgpr10
                                        ; implicit-def: $vgpr2_vgpr3_vgpr4_vgpr5
                                        ; implicit-def: $sgpr6
.LBB2972_6:
	s_add_i32 s6, s17, s4
	v_cmp_gt_u32_e32 vcc, s6, v0
                                        ; implicit-def: $vgpr2_vgpr3_vgpr4_vgpr5
	s_and_saveexec_b64 s[0:1], vcc
	s_cbranch_execnz .LBB2972_46
; %bb.7:
	s_or_b64 exec, exec, s[0:1]
	v_cmp_gt_u32_e32 vcc, s6, v8
	s_and_saveexec_b64 s[2:3], vcc
	s_cbranch_execnz .LBB2972_47
.LBB2972_8:
	s_or_b64 exec, exec, s[2:3]
	v_cmp_gt_u32_e32 vcc, s6, v6
	s_and_saveexec_b64 s[0:1], vcc
	s_cbranch_execz .LBB2972_10
.LBB2972_9:
	v_mov_b32_e32 v7, 0
	v_lshlrev_b64 v[8:9], 1, v[6:7]
	v_mov_b32_e32 v10, s7
	v_add_co_u32_e32 v12, vcc, s5, v8
	v_addc_co_u32_e32 v10, vcc, v10, v9, vcc
	v_subrev_u32_e32 v8, s17, v6
	v_mov_b32_e32 v9, v7
	v_lshlrev_b64 v[8:9], 1, v[8:9]
	v_mov_b32_e32 v7, s13
	v_add_co_u32_e32 v8, vcc, s12, v8
	v_addc_co_u32_e32 v7, vcc, v7, v9, vcc
	v_cmp_gt_u32_e32 vcc, s17, v6
	v_cndmask_b32_e32 v9, v7, v10, vcc
	v_cndmask_b32_e32 v8, v8, v12, vcc
	global_load_ushort v7, v[8:9], off
	s_mov_b32 s2, 0xffff
	s_waitcnt vmcnt(0)
	v_bfi_b32 v3, s2, v7, v3
.LBB2972_10:
	s_or_b64 exec, exec, s[0:1]
	v_add_u32_e32 v6, v6, v11
	v_cmp_gt_u32_e32 vcc, s6, v6
	s_and_saveexec_b64 s[0:1], vcc
	s_cbranch_execz .LBB2972_12
; %bb.11:
	v_mov_b32_e32 v7, 0
	v_lshlrev_b64 v[8:9], 1, v[6:7]
	v_mov_b32_e32 v10, s7
	v_add_co_u32_e32 v12, vcc, s5, v8
	v_addc_co_u32_e32 v10, vcc, v10, v9, vcc
	v_subrev_u32_e32 v8, s17, v6
	v_mov_b32_e32 v9, v7
	v_lshlrev_b64 v[8:9], 1, v[8:9]
	v_mov_b32_e32 v7, s13
	v_add_co_u32_e32 v8, vcc, s12, v8
	v_addc_co_u32_e32 v7, vcc, v7, v9, vcc
	v_cmp_gt_u32_e32 vcc, s17, v6
	v_cndmask_b32_e32 v9, v7, v10, vcc
	v_cndmask_b32_e32 v8, v8, v12, vcc
	global_load_ushort v7, v[8:9], off
	s_mov_b32 s2, 0x5040100
	s_waitcnt vmcnt(0)
	v_perm_b32 v3, v7, v3, s2
.LBB2972_12:
	s_or_b64 exec, exec, s[0:1]
	v_add_u32_e32 v6, v6, v11
	v_cmp_gt_u32_e32 vcc, s6, v6
	s_and_saveexec_b64 s[0:1], vcc
	s_cbranch_execz .LBB2972_14
; %bb.13:
	v_mov_b32_e32 v7, 0
	v_lshlrev_b64 v[8:9], 1, v[6:7]
	v_mov_b32_e32 v10, s7
	v_add_co_u32_e32 v12, vcc, s5, v8
	v_addc_co_u32_e32 v10, vcc, v10, v9, vcc
	v_subrev_u32_e32 v8, s17, v6
	v_mov_b32_e32 v9, v7
	v_lshlrev_b64 v[8:9], 1, v[8:9]
	v_mov_b32_e32 v7, s13
	v_add_co_u32_e32 v8, vcc, s12, v8
	v_addc_co_u32_e32 v7, vcc, v7, v9, vcc
	v_cmp_gt_u32_e32 vcc, s17, v6
	v_cndmask_b32_e32 v9, v7, v10, vcc
	v_cndmask_b32_e32 v8, v8, v12, vcc
	global_load_ushort v7, v[8:9], off
	s_mov_b32 s2, 0xffff
	s_waitcnt vmcnt(0)
	v_bfi_b32 v4, s2, v7, v4
.LBB2972_14:
	s_or_b64 exec, exec, s[0:1]
	v_add_u32_e32 v6, v6, v11
	v_cmp_gt_u32_e32 vcc, s6, v6
	s_and_saveexec_b64 s[0:1], vcc
	s_cbranch_execz .LBB2972_16
; %bb.15:
	v_mov_b32_e32 v7, 0
	v_lshlrev_b64 v[8:9], 1, v[6:7]
	v_mov_b32_e32 v10, s7
	v_add_co_u32_e32 v12, vcc, s5, v8
	v_addc_co_u32_e32 v10, vcc, v10, v9, vcc
	v_subrev_u32_e32 v8, s17, v6
	v_mov_b32_e32 v9, v7
	v_lshlrev_b64 v[8:9], 1, v[8:9]
	v_mov_b32_e32 v7, s13
	v_add_co_u32_e32 v8, vcc, s12, v8
	v_addc_co_u32_e32 v7, vcc, v7, v9, vcc
	v_cmp_gt_u32_e32 vcc, s17, v6
	v_cndmask_b32_e32 v9, v7, v10, vcc
	v_cndmask_b32_e32 v8, v8, v12, vcc
	global_load_ushort v7, v[8:9], off
	s_mov_b32 s2, 0x5040100
	s_waitcnt vmcnt(0)
	v_perm_b32 v4, v7, v4, s2
.LBB2972_16:
	s_or_b64 exec, exec, s[0:1]
	v_add_u32_e32 v6, v6, v11
	v_cmp_gt_u32_e32 vcc, s6, v6
	s_and_saveexec_b64 s[0:1], vcc
	s_cbranch_execz .LBB2972_18
; %bb.17:
	v_mov_b32_e32 v7, 0
	v_lshlrev_b64 v[8:9], 1, v[6:7]
	v_mov_b32_e32 v10, s7
	v_add_co_u32_e32 v12, vcc, s5, v8
	v_addc_co_u32_e32 v10, vcc, v10, v9, vcc
	v_subrev_u32_e32 v8, s17, v6
	v_mov_b32_e32 v9, v7
	v_lshlrev_b64 v[8:9], 1, v[8:9]
	v_mov_b32_e32 v7, s13
	v_add_co_u32_e32 v8, vcc, s12, v8
	v_addc_co_u32_e32 v7, vcc, v7, v9, vcc
	v_cmp_gt_u32_e32 vcc, s17, v6
	v_cndmask_b32_e32 v9, v7, v10, vcc
	v_cndmask_b32_e32 v8, v8, v12, vcc
	global_load_ushort v7, v[8:9], off
	s_mov_b32 s2, 0xffff
	s_waitcnt vmcnt(0)
	v_bfi_b32 v5, s2, v7, v5
.LBB2972_18:
	s_or_b64 exec, exec, s[0:1]
	v_add_u32_e32 v10, v6, v11
	v_cmp_gt_u32_e64 s[0:1], s6, v10
.LBB2972_19:
	v_mov_b32_e32 v7, s6
	s_and_saveexec_b64 s[2:3], s[0:1]
	s_cbranch_execz .LBB2972_21
; %bb.20:
	v_subrev_u32_e32 v6, s17, v10
	v_mov_b32_e32 v7, 0
	v_lshlrev_b64 v[8:9], 1, v[6:7]
	v_mov_b32_e32 v6, s13
	v_add_co_u32_e32 v8, vcc, s12, v8
	v_mov_b32_e32 v11, v7
	v_addc_co_u32_e32 v9, vcc, v6, v9, vcc
	v_lshlrev_b64 v[6:7], 1, v[10:11]
	v_mov_b32_e32 v11, s7
	v_add_co_u32_e32 v6, vcc, s5, v6
	v_addc_co_u32_e32 v7, vcc, v11, v7, vcc
	v_cmp_gt_u32_e32 vcc, s17, v10
	v_cndmask_b32_e32 v7, v9, v7, vcc
	v_cndmask_b32_e32 v6, v8, v6, vcc
	global_load_ushort v6, v[6:7], off
	s_mov_b32 s0, 0x5040100
	v_mov_b32_e32 v7, s6
	s_waitcnt vmcnt(0)
	v_perm_b32 v5, v6, v5, s0
.LBB2972_21:
	s_or_b64 exec, exec, s[2:3]
	v_lshlrev_b32_e32 v6, 3, v0
	v_min_u32_e32 v13, v7, v6
	v_sub_u32_e64 v11, v13, s4 clamp
	v_min_u32_e32 v14, s17, v13
	s_waitcnt vmcnt(0)
	v_lshrrev_b32_e32 v8, 16, v2
	v_lshrrev_b32_e32 v9, 16, v3
	;; [unrolled: 1-line block ×4, first 2 shown]
	v_cmp_lt_u32_e32 vcc, v11, v14
	ds_write_b16 v1, v2
	ds_write_b16 v1, v8 offset:256
	ds_write_b16 v1, v3 offset:512
	;; [unrolled: 1-line block ×7, first 2 shown]
	s_waitcnt lgkmcnt(0)
	s_barrier
	s_and_saveexec_b64 s[0:1], vcc
	s_cbranch_execz .LBB2972_25
; %bb.22:
	v_lshlrev_b32_e32 v15, 1, v13
	v_lshl_add_u32 v15, s17, 1, v15
	s_mov_b64 s[2:3], 0
.LBB2972_23:                            ; =>This Inner Loop Header: Depth=1
	v_add_u32_e32 v16, v14, v11
	v_lshrrev_b32_e32 v17, 1, v16
	v_not_b32_e32 v18, v17
	v_and_b32_e32 v16, -2, v16
	v_lshl_add_u32 v18, v18, 1, v15
	ds_read_u16 v16, v16
	ds_read_u16 v18, v18
	v_add_u32_e32 v19, 1, v17
	s_waitcnt lgkmcnt(0)
	v_cmp_gt_i16_e32 vcc, v16, v18
	v_cndmask_b32_e32 v14, v14, v17, vcc
	v_cndmask_b32_e32 v11, v19, v11, vcc
	v_cmp_ge_u32_e32 vcc, v11, v14
	s_or_b64 s[2:3], vcc, s[2:3]
	s_andn2_b64 exec, exec, s[2:3]
	s_cbranch_execnz .LBB2972_23
; %bb.24:
	s_or_b64 exec, exec, s[2:3]
.LBB2972_25:
	s_or_b64 exec, exec, s[0:1]
	v_sub_u32_e32 v13, v13, v11
	v_add_u32_e32 v13, s17, v13
	v_cmp_ge_u32_e32 vcc, s17, v11
	v_cmp_le_u32_e64 s[0:1], v13, v7
	s_or_b64 s[0:1], vcc, s[0:1]
	s_and_saveexec_b64 s[22:23], s[0:1]
	s_cbranch_execz .LBB2972_31
; %bb.26:
	v_cmp_gt_u32_e32 vcc, s17, v11
                                        ; implicit-def: $vgpr2
	s_and_saveexec_b64 s[0:1], vcc
	s_cbranch_execz .LBB2972_28
; %bb.27:
	v_lshlrev_b32_e32 v2, 1, v11
	ds_read_u16 v2, v2
.LBB2972_28:
	s_or_b64 exec, exec, s[0:1]
	v_cmp_ge_u32_e64 s[0:1], v13, v7
	v_cmp_lt_u32_e64 s[2:3], v13, v7
                                        ; implicit-def: $vgpr3
	s_and_saveexec_b64 s[4:5], s[2:3]
	s_cbranch_execz .LBB2972_30
; %bb.29:
	v_lshlrev_b32_e32 v3, 1, v13
	ds_read_u16 v3, v3
.LBB2972_30:
	s_or_b64 exec, exec, s[4:5]
	s_waitcnt lgkmcnt(0)
	v_cmp_le_i16_e64 s[2:3], v2, v3
	s_and_b64 s[2:3], vcc, s[2:3]
	s_or_b64 vcc, s[0:1], s[2:3]
	v_mov_b32_e32 v5, s17
	v_cndmask_b32_e32 v4, v13, v11, vcc
	v_cndmask_b32_e32 v8, v7, v5, vcc
	v_add_u32_e32 v4, 1, v4
	v_add_u32_e32 v8, -1, v8
	v_min_u32_e32 v8, v4, v8
	v_lshlrev_b32_e32 v8, 1, v8
	ds_read_u16 v8, v8
	v_cndmask_b32_e32 v10, v4, v13, vcc
	v_cndmask_b32_e32 v4, v11, v4, vcc
	v_cmp_gt_u32_e64 s[2:3], s17, v4
	v_cmp_ge_u32_e64 s[0:1], v10, v7
	s_waitcnt lgkmcnt(0)
	v_cndmask_b32_e32 v9, v8, v3, vcc
	v_cndmask_b32_e32 v8, v2, v8, vcc
	v_cmp_le_i16_e64 s[4:5], v8, v9
	s_and_b64 s[2:3], s[2:3], s[4:5]
	s_or_b64 s[0:1], s[0:1], s[2:3]
	v_cndmask_b32_e64 v11, v10, v4, s[0:1]
	v_cndmask_b32_e64 v12, v7, v5, s[0:1]
	v_add_u32_e32 v11, 1, v11
	v_add_u32_e32 v12, -1, v12
	v_min_u32_e32 v12, v11, v12
	v_lshlrev_b32_e32 v12, 1, v12
	ds_read_u16 v12, v12
	v_cndmask_b32_e64 v4, v4, v11, s[0:1]
	v_cndmask_b32_e64 v10, v11, v10, s[0:1]
	v_cmp_gt_u32_e64 s[4:5], s17, v4
	v_cmp_ge_u32_e64 s[2:3], v10, v7
	s_waitcnt lgkmcnt(0)
	v_cndmask_b32_e64 v13, v12, v9, s[0:1]
	v_cndmask_b32_e64 v12, v8, v12, s[0:1]
	v_cmp_le_i16_e64 s[6:7], v12, v13
	s_and_b64 s[4:5], s[4:5], s[6:7]
	s_or_b64 s[2:3], s[2:3], s[4:5]
	v_cndmask_b32_e64 v11, v10, v4, s[2:3]
	v_cndmask_b32_e64 v14, v7, v5, s[2:3]
	v_add_u32_e32 v11, 1, v11
	v_add_u32_e32 v14, -1, v14
	v_min_u32_e32 v14, v11, v14
	v_lshlrev_b32_e32 v14, 1, v14
	ds_read_u16 v14, v14
	v_cndmask_b32_e64 v4, v4, v11, s[2:3]
	v_cndmask_b32_e64 v10, v11, v10, s[2:3]
	v_cmp_gt_u32_e64 s[6:7], s17, v4
	v_cmp_ge_u32_e64 s[4:5], v10, v7
	s_waitcnt lgkmcnt(0)
	v_cndmask_b32_e64 v15, v14, v13, s[2:3]
	v_cndmask_b32_e64 v14, v12, v14, s[2:3]
	;; [unrolled: 17-line block ×4, first 2 shown]
	v_cmp_le_i16_e64 s[12:13], v18, v19
	s_and_b64 s[10:11], s[10:11], s[12:13]
	s_or_b64 s[8:9], s[8:9], s[10:11]
	v_cndmask_b32_e64 v11, v10, v4, s[8:9]
	v_cndmask_b32_e64 v20, v7, v5, s[8:9]
	v_add_u32_e32 v11, 1, v11
	v_add_u32_e32 v20, -1, v20
	v_min_u32_e32 v20, v11, v20
	v_lshlrev_b32_e32 v20, 1, v20
	ds_read_u16 v20, v20
	v_cndmask_b32_e32 v2, v3, v2, vcc
	v_cndmask_b32_e64 v3, v13, v12, s[2:3]
	v_cndmask_b32_e64 v8, v9, v8, s[0:1]
	v_cndmask_b32_e64 v9, v15, v14, s[4:5]
	s_waitcnt lgkmcnt(0)
	v_cndmask_b32_e64 v12, v20, v19, s[8:9]
	v_cndmask_b32_e64 v13, v18, v20, s[8:9]
	;; [unrolled: 1-line block ×4, first 2 shown]
	v_cmp_gt_u32_e64 s[0:1], s17, v11
	v_cmp_le_i16_e64 s[2:3], v13, v12
	v_cmp_ge_u32_e32 vcc, v20, v7
	s_and_b64 s[0:1], s[0:1], s[2:3]
	s_or_b64 vcc, vcc, s[0:1]
	v_cndmask_b32_e32 v4, v20, v11, vcc
	v_cndmask_b32_e32 v5, v7, v5, vcc
	v_add_u32_e32 v21, 1, v4
	v_add_u32_e32 v4, -1, v5
	v_min_u32_e32 v4, v21, v4
	v_lshlrev_b32_e32 v4, 1, v4
	ds_read_u16 v22, v4
	v_cndmask_b32_e32 v5, v12, v13, vcc
	v_cndmask_b32_e32 v11, v11, v21, vcc
	;; [unrolled: 1-line block ×3, first 2 shown]
	v_cmp_gt_u32_e64 s[0:1], s17, v11
	s_waitcnt lgkmcnt(0)
	v_cndmask_b32_e32 v12, v22, v12, vcc
	v_cndmask_b32_e32 v13, v13, v22, vcc
	v_cmp_le_i16_e64 s[2:3], v13, v12
	v_cmp_ge_u32_e32 vcc, v14, v7
	s_and_b64 s[0:1], s[0:1], s[2:3]
	s_or_b64 vcc, vcc, s[0:1]
	v_cndmask_b32_e64 v4, v17, v16, s[6:7]
	v_cndmask_b32_e64 v10, v19, v18, s[8:9]
	v_cndmask_b32_e32 v12, v12, v13, vcc
.LBB2972_31:
	s_or_b64 exec, exec, s[22:23]
	v_lshrrev_b32_e32 v7, 2, v0
	v_and_b32_e32 v7, 30, v7
	s_mov_b32 s2, 0x5040100
	v_add_lshl_u32 v6, v7, v6, 1
	v_perm_b32 v3, v9, v3, s2
	v_perm_b32 v2, v8, v2, s2
	s_barrier
	s_barrier
	ds_write2_b32 v6, v2, v3 offset1:1
	v_perm_b32 v2, v12, v5, s2
	v_perm_b32 v3, v10, v4, s2
	ds_write2_b32 v6, v3, v2 offset0:2 offset1:3
	v_lshrrev_b32_e32 v2, 4, v0
	v_and_b32_e32 v2, 4, v2
	v_or_b32_e32 v10, 0x80, v0
	v_add_u32_e32 v11, v1, v2
	v_lshrrev_b32_e32 v2, 4, v10
	v_and_b32_e32 v2, 12, v2
	v_or_b32_e32 v9, 0x100, v0
	v_add_u32_e32 v12, v1, v2
	;; [unrolled: 4-line block ×6, first 2 shown]
	v_lshrrev_b32_e32 v2, 4, v5
	s_lshl_b64 s[0:1], s[20:21], 1
	v_and_b32_e32 v2, 52, v2
	v_or_b32_e32 v4, 0x380, v0
	s_add_u32 s0, s14, s0
	v_add_u32_e32 v17, v1, v2
	v_lshrrev_b32_e32 v2, 4, v4
	s_addc_u32 s1, s15, s1
	v_and_b32_e32 v2, 60, v2
	v_add_u32_e32 v18, v1, v2
	v_mov_b32_e32 v3, s1
	v_add_co_u32_e32 v2, vcc, s0, v1
	v_addc_co_u32_e32 v3, vcc, 0, v3, vcc
	s_and_b64 vcc, exec, s[18:19]
	s_waitcnt lgkmcnt(0)
	s_cbranch_vccz .LBB2972_33
; %bb.32:
	s_barrier
	ds_read_u16 v19, v11
	ds_read_u16 v20, v12 offset:256
	ds_read_u16 v21, v13 offset:512
	;; [unrolled: 1-line block ×7, first 2 shown]
	s_waitcnt lgkmcnt(7)
	global_store_short v[2:3], v19, off
	s_waitcnt lgkmcnt(6)
	global_store_short v[2:3], v20, off offset:256
	s_waitcnt lgkmcnt(5)
	global_store_short v[2:3], v21, off offset:512
	;; [unrolled: 2-line block ×6, first 2 shown]
	s_mov_b64 s[0:1], -1
	s_cbranch_execz .LBB2972_34
	s_branch .LBB2972_43
.LBB2972_33:
	s_mov_b64 s[0:1], 0
                                        ; implicit-def: $vgpr1
.LBB2972_34:
	s_barrier
	s_waitcnt lgkmcnt(0)
	ds_read_u16 v21, v12 offset:256
	ds_read_u16 v20, v13 offset:512
	;; [unrolled: 1-line block ×7, first 2 shown]
	s_sub_i32 s2, s16, s20
	v_cmp_gt_u32_e32 vcc, s2, v0
	s_and_saveexec_b64 s[0:1], vcc
	s_cbranch_execnz .LBB2972_48
; %bb.35:
	s_or_b64 exec, exec, s[0:1]
	v_cmp_gt_u32_e32 vcc, s2, v10
	s_and_saveexec_b64 s[0:1], vcc
	s_cbranch_execnz .LBB2972_49
.LBB2972_36:
	s_or_b64 exec, exec, s[0:1]
	v_cmp_gt_u32_e32 vcc, s2, v9
	s_and_saveexec_b64 s[0:1], vcc
	s_cbranch_execnz .LBB2972_50
.LBB2972_37:
	s_or_b64 exec, exec, s[0:1]
	v_cmp_gt_u32_e32 vcc, s2, v8
	s_and_saveexec_b64 s[0:1], vcc
	s_cbranch_execnz .LBB2972_51
.LBB2972_38:
	s_or_b64 exec, exec, s[0:1]
	v_cmp_gt_u32_e32 vcc, s2, v7
	s_and_saveexec_b64 s[0:1], vcc
	s_cbranch_execnz .LBB2972_52
.LBB2972_39:
	s_or_b64 exec, exec, s[0:1]
	v_cmp_gt_u32_e32 vcc, s2, v6
	s_and_saveexec_b64 s[0:1], vcc
	s_cbranch_execnz .LBB2972_53
.LBB2972_40:
	s_or_b64 exec, exec, s[0:1]
	v_cmp_gt_u32_e32 vcc, s2, v5
	s_and_saveexec_b64 s[0:1], vcc
	s_cbranch_execz .LBB2972_42
.LBB2972_41:
	s_waitcnt lgkmcnt(1)
	global_store_short v[2:3], v12, off offset:1536
.LBB2972_42:
	s_or_b64 exec, exec, s[0:1]
	v_cmp_gt_u32_e64 s[0:1], s2, v4
.LBB2972_43:
	s_and_saveexec_b64 s[2:3], s[0:1]
	s_cbranch_execz .LBB2972_45
; %bb.44:
	s_waitcnt lgkmcnt(0)
	global_store_short v[2:3], v1, off offset:1792
.LBB2972_45:
	s_endpgm
.LBB2972_46:
	v_mov_b32_e32 v2, s7
	v_add_co_u32_e32 v4, vcc, s5, v1
	v_mov_b32_e32 v3, 0
	s_waitcnt vmcnt(0)
	v_addc_co_u32_e32 v5, vcc, 0, v2, vcc
	v_subrev_u32_e32 v2, s17, v0
	v_lshlrev_b64 v[2:3], 1, v[2:3]
	v_mov_b32_e32 v7, s13
	v_add_co_u32_e32 v2, vcc, s12, v2
	v_addc_co_u32_e32 v3, vcc, v7, v3, vcc
	v_cmp_gt_u32_e32 vcc, s17, v0
	v_cndmask_b32_e32 v3, v3, v5, vcc
	v_cndmask_b32_e32 v2, v2, v4, vcc
	global_load_ushort v2, v[2:3], off
	s_or_b64 exec, exec, s[0:1]
	v_cmp_gt_u32_e32 vcc, s6, v8
	s_and_saveexec_b64 s[2:3], vcc
	s_cbranch_execz .LBB2972_8
.LBB2972_47:
	v_mov_b32_e32 v9, 0
	v_lshlrev_b64 v[12:13], 1, v[8:9]
	v_mov_b32_e32 v7, s7
	v_add_co_u32_e32 v10, vcc, s5, v12
	v_addc_co_u32_e32 v7, vcc, v7, v13, vcc
	v_cmp_gt_u32_e32 vcc, s17, v8
	v_subrev_u32_e32 v8, s17, v8
	v_lshlrev_b64 v[8:9], 1, v[8:9]
	v_mov_b32_e32 v12, s13
	v_add_co_u32_e64 v8, s[0:1], s12, v8
	v_addc_co_u32_e64 v9, s[0:1], v12, v9, s[0:1]
	v_cndmask_b32_e32 v9, v9, v7, vcc
	v_cndmask_b32_e32 v8, v8, v10, vcc
	global_load_ushort v7, v[8:9], off
	s_mov_b32 s0, 0x5040100
	s_waitcnt vmcnt(0)
	v_perm_b32 v2, v7, v2, s0
	s_or_b64 exec, exec, s[2:3]
	v_cmp_gt_u32_e32 vcc, s6, v6
	s_and_saveexec_b64 s[0:1], vcc
	s_cbranch_execnz .LBB2972_9
	s_branch .LBB2972_10
.LBB2972_48:
	ds_read_u16 v0, v11
	s_waitcnt lgkmcnt(0)
	global_store_short v[2:3], v0, off
	s_or_b64 exec, exec, s[0:1]
	v_cmp_gt_u32_e32 vcc, s2, v10
	s_and_saveexec_b64 s[0:1], vcc
	s_cbranch_execz .LBB2972_36
.LBB2972_49:
	s_waitcnt lgkmcnt(6)
	global_store_short v[2:3], v21, off offset:256
	s_or_b64 exec, exec, s[0:1]
	v_cmp_gt_u32_e32 vcc, s2, v9
	s_and_saveexec_b64 s[0:1], vcc
	s_cbranch_execz .LBB2972_37
.LBB2972_50:
	s_waitcnt lgkmcnt(5)
	global_store_short v[2:3], v20, off offset:512
	s_or_b64 exec, exec, s[0:1]
	v_cmp_gt_u32_e32 vcc, s2, v8
	s_and_saveexec_b64 s[0:1], vcc
	s_cbranch_execz .LBB2972_38
.LBB2972_51:
	s_waitcnt lgkmcnt(4)
	global_store_short v[2:3], v19, off offset:768
	s_or_b64 exec, exec, s[0:1]
	v_cmp_gt_u32_e32 vcc, s2, v7
	s_and_saveexec_b64 s[0:1], vcc
	s_cbranch_execz .LBB2972_39
.LBB2972_52:
	s_waitcnt lgkmcnt(3)
	global_store_short v[2:3], v14, off offset:1024
	s_or_b64 exec, exec, s[0:1]
	v_cmp_gt_u32_e32 vcc, s2, v6
	s_and_saveexec_b64 s[0:1], vcc
	s_cbranch_execz .LBB2972_40
.LBB2972_53:
	s_waitcnt lgkmcnt(2)
	global_store_short v[2:3], v13, off offset:1280
	s_or_b64 exec, exec, s[0:1]
	v_cmp_gt_u32_e32 vcc, s2, v5
	s_and_saveexec_b64 s[0:1], vcc
	s_cbranch_execnz .LBB2972_41
	s_branch .LBB2972_42
	.section	.rodata,"a",@progbits
	.p2align	6, 0x0
	.amdhsa_kernel _ZN7rocprim17ROCPRIM_400000_NS6detail17trampoline_kernelINS0_14default_configENS1_38merge_sort_block_merge_config_selectorIsNS0_10empty_typeEEEZZNS1_27merge_sort_block_merge_implIS3_N6thrust23THRUST_200600_302600_NS6detail15normal_iteratorINS9_10device_ptrIsEEEEPS5_m14custom_greaterIsEEE10hipError_tT0_T1_T2_jT3_P12ihipStream_tbPNSt15iterator_traitsISJ_E10value_typeEPNSP_ISK_E10value_typeEPSL_NS1_7vsmem_tEENKUlT_SJ_SK_SL_E_clISE_PsSF_SF_EESI_SY_SJ_SK_SL_EUlSY_E0_NS1_11comp_targetILNS1_3genE4ELNS1_11target_archE910ELNS1_3gpuE8ELNS1_3repE0EEENS1_38merge_mergepath_config_static_selectorELNS0_4arch9wavefront6targetE1EEEvSK_
		.amdhsa_group_segment_fixed_size 2112
		.amdhsa_private_segment_fixed_size 0
		.amdhsa_kernarg_size 328
		.amdhsa_user_sgpr_count 6
		.amdhsa_user_sgpr_private_segment_buffer 1
		.amdhsa_user_sgpr_dispatch_ptr 0
		.amdhsa_user_sgpr_queue_ptr 0
		.amdhsa_user_sgpr_kernarg_segment_ptr 1
		.amdhsa_user_sgpr_dispatch_id 0
		.amdhsa_user_sgpr_flat_scratch_init 0
		.amdhsa_user_sgpr_kernarg_preload_length 0
		.amdhsa_user_sgpr_kernarg_preload_offset 0
		.amdhsa_user_sgpr_private_segment_size 0
		.amdhsa_uses_dynamic_stack 0
		.amdhsa_system_sgpr_private_segment_wavefront_offset 0
		.amdhsa_system_sgpr_workgroup_id_x 1
		.amdhsa_system_sgpr_workgroup_id_y 1
		.amdhsa_system_sgpr_workgroup_id_z 1
		.amdhsa_system_sgpr_workgroup_info 0
		.amdhsa_system_vgpr_workitem_id 0
		.amdhsa_next_free_vgpr 26
		.amdhsa_next_free_sgpr 31
		.amdhsa_accum_offset 28
		.amdhsa_reserve_vcc 1
		.amdhsa_reserve_flat_scratch 0
		.amdhsa_float_round_mode_32 0
		.amdhsa_float_round_mode_16_64 0
		.amdhsa_float_denorm_mode_32 3
		.amdhsa_float_denorm_mode_16_64 3
		.amdhsa_dx10_clamp 1
		.amdhsa_ieee_mode 1
		.amdhsa_fp16_overflow 0
		.amdhsa_tg_split 0
		.amdhsa_exception_fp_ieee_invalid_op 0
		.amdhsa_exception_fp_denorm_src 0
		.amdhsa_exception_fp_ieee_div_zero 0
		.amdhsa_exception_fp_ieee_overflow 0
		.amdhsa_exception_fp_ieee_underflow 0
		.amdhsa_exception_fp_ieee_inexact 0
		.amdhsa_exception_int_div_zero 0
	.end_amdhsa_kernel
	.section	.text._ZN7rocprim17ROCPRIM_400000_NS6detail17trampoline_kernelINS0_14default_configENS1_38merge_sort_block_merge_config_selectorIsNS0_10empty_typeEEEZZNS1_27merge_sort_block_merge_implIS3_N6thrust23THRUST_200600_302600_NS6detail15normal_iteratorINS9_10device_ptrIsEEEEPS5_m14custom_greaterIsEEE10hipError_tT0_T1_T2_jT3_P12ihipStream_tbPNSt15iterator_traitsISJ_E10value_typeEPNSP_ISK_E10value_typeEPSL_NS1_7vsmem_tEENKUlT_SJ_SK_SL_E_clISE_PsSF_SF_EESI_SY_SJ_SK_SL_EUlSY_E0_NS1_11comp_targetILNS1_3genE4ELNS1_11target_archE910ELNS1_3gpuE8ELNS1_3repE0EEENS1_38merge_mergepath_config_static_selectorELNS0_4arch9wavefront6targetE1EEEvSK_,"axG",@progbits,_ZN7rocprim17ROCPRIM_400000_NS6detail17trampoline_kernelINS0_14default_configENS1_38merge_sort_block_merge_config_selectorIsNS0_10empty_typeEEEZZNS1_27merge_sort_block_merge_implIS3_N6thrust23THRUST_200600_302600_NS6detail15normal_iteratorINS9_10device_ptrIsEEEEPS5_m14custom_greaterIsEEE10hipError_tT0_T1_T2_jT3_P12ihipStream_tbPNSt15iterator_traitsISJ_E10value_typeEPNSP_ISK_E10value_typeEPSL_NS1_7vsmem_tEENKUlT_SJ_SK_SL_E_clISE_PsSF_SF_EESI_SY_SJ_SK_SL_EUlSY_E0_NS1_11comp_targetILNS1_3genE4ELNS1_11target_archE910ELNS1_3gpuE8ELNS1_3repE0EEENS1_38merge_mergepath_config_static_selectorELNS0_4arch9wavefront6targetE1EEEvSK_,comdat
.Lfunc_end2972:
	.size	_ZN7rocprim17ROCPRIM_400000_NS6detail17trampoline_kernelINS0_14default_configENS1_38merge_sort_block_merge_config_selectorIsNS0_10empty_typeEEEZZNS1_27merge_sort_block_merge_implIS3_N6thrust23THRUST_200600_302600_NS6detail15normal_iteratorINS9_10device_ptrIsEEEEPS5_m14custom_greaterIsEEE10hipError_tT0_T1_T2_jT3_P12ihipStream_tbPNSt15iterator_traitsISJ_E10value_typeEPNSP_ISK_E10value_typeEPSL_NS1_7vsmem_tEENKUlT_SJ_SK_SL_E_clISE_PsSF_SF_EESI_SY_SJ_SK_SL_EUlSY_E0_NS1_11comp_targetILNS1_3genE4ELNS1_11target_archE910ELNS1_3gpuE8ELNS1_3repE0EEENS1_38merge_mergepath_config_static_selectorELNS0_4arch9wavefront6targetE1EEEvSK_, .Lfunc_end2972-_ZN7rocprim17ROCPRIM_400000_NS6detail17trampoline_kernelINS0_14default_configENS1_38merge_sort_block_merge_config_selectorIsNS0_10empty_typeEEEZZNS1_27merge_sort_block_merge_implIS3_N6thrust23THRUST_200600_302600_NS6detail15normal_iteratorINS9_10device_ptrIsEEEEPS5_m14custom_greaterIsEEE10hipError_tT0_T1_T2_jT3_P12ihipStream_tbPNSt15iterator_traitsISJ_E10value_typeEPNSP_ISK_E10value_typeEPSL_NS1_7vsmem_tEENKUlT_SJ_SK_SL_E_clISE_PsSF_SF_EESI_SY_SJ_SK_SL_EUlSY_E0_NS1_11comp_targetILNS1_3genE4ELNS1_11target_archE910ELNS1_3gpuE8ELNS1_3repE0EEENS1_38merge_mergepath_config_static_selectorELNS0_4arch9wavefront6targetE1EEEvSK_
                                        ; -- End function
	.section	.AMDGPU.csdata,"",@progbits
; Kernel info:
; codeLenInByte = 3860
; NumSgprs: 35
; NumVgprs: 26
; NumAgprs: 0
; TotalNumVgprs: 26
; ScratchSize: 0
; MemoryBound: 0
; FloatMode: 240
; IeeeMode: 1
; LDSByteSize: 2112 bytes/workgroup (compile time only)
; SGPRBlocks: 4
; VGPRBlocks: 3
; NumSGPRsForWavesPerEU: 35
; NumVGPRsForWavesPerEU: 26
; AccumOffset: 28
; Occupancy: 8
; WaveLimiterHint : 1
; COMPUTE_PGM_RSRC2:SCRATCH_EN: 0
; COMPUTE_PGM_RSRC2:USER_SGPR: 6
; COMPUTE_PGM_RSRC2:TRAP_HANDLER: 0
; COMPUTE_PGM_RSRC2:TGID_X_EN: 1
; COMPUTE_PGM_RSRC2:TGID_Y_EN: 1
; COMPUTE_PGM_RSRC2:TGID_Z_EN: 1
; COMPUTE_PGM_RSRC2:TIDIG_COMP_CNT: 0
; COMPUTE_PGM_RSRC3_GFX90A:ACCUM_OFFSET: 6
; COMPUTE_PGM_RSRC3_GFX90A:TG_SPLIT: 0
	.section	.text._ZN7rocprim17ROCPRIM_400000_NS6detail17trampoline_kernelINS0_14default_configENS1_38merge_sort_block_merge_config_selectorIsNS0_10empty_typeEEEZZNS1_27merge_sort_block_merge_implIS3_N6thrust23THRUST_200600_302600_NS6detail15normal_iteratorINS9_10device_ptrIsEEEEPS5_m14custom_greaterIsEEE10hipError_tT0_T1_T2_jT3_P12ihipStream_tbPNSt15iterator_traitsISJ_E10value_typeEPNSP_ISK_E10value_typeEPSL_NS1_7vsmem_tEENKUlT_SJ_SK_SL_E_clISE_PsSF_SF_EESI_SY_SJ_SK_SL_EUlSY_E0_NS1_11comp_targetILNS1_3genE3ELNS1_11target_archE908ELNS1_3gpuE7ELNS1_3repE0EEENS1_38merge_mergepath_config_static_selectorELNS0_4arch9wavefront6targetE1EEEvSK_,"axG",@progbits,_ZN7rocprim17ROCPRIM_400000_NS6detail17trampoline_kernelINS0_14default_configENS1_38merge_sort_block_merge_config_selectorIsNS0_10empty_typeEEEZZNS1_27merge_sort_block_merge_implIS3_N6thrust23THRUST_200600_302600_NS6detail15normal_iteratorINS9_10device_ptrIsEEEEPS5_m14custom_greaterIsEEE10hipError_tT0_T1_T2_jT3_P12ihipStream_tbPNSt15iterator_traitsISJ_E10value_typeEPNSP_ISK_E10value_typeEPSL_NS1_7vsmem_tEENKUlT_SJ_SK_SL_E_clISE_PsSF_SF_EESI_SY_SJ_SK_SL_EUlSY_E0_NS1_11comp_targetILNS1_3genE3ELNS1_11target_archE908ELNS1_3gpuE7ELNS1_3repE0EEENS1_38merge_mergepath_config_static_selectorELNS0_4arch9wavefront6targetE1EEEvSK_,comdat
	.protected	_ZN7rocprim17ROCPRIM_400000_NS6detail17trampoline_kernelINS0_14default_configENS1_38merge_sort_block_merge_config_selectorIsNS0_10empty_typeEEEZZNS1_27merge_sort_block_merge_implIS3_N6thrust23THRUST_200600_302600_NS6detail15normal_iteratorINS9_10device_ptrIsEEEEPS5_m14custom_greaterIsEEE10hipError_tT0_T1_T2_jT3_P12ihipStream_tbPNSt15iterator_traitsISJ_E10value_typeEPNSP_ISK_E10value_typeEPSL_NS1_7vsmem_tEENKUlT_SJ_SK_SL_E_clISE_PsSF_SF_EESI_SY_SJ_SK_SL_EUlSY_E0_NS1_11comp_targetILNS1_3genE3ELNS1_11target_archE908ELNS1_3gpuE7ELNS1_3repE0EEENS1_38merge_mergepath_config_static_selectorELNS0_4arch9wavefront6targetE1EEEvSK_ ; -- Begin function _ZN7rocprim17ROCPRIM_400000_NS6detail17trampoline_kernelINS0_14default_configENS1_38merge_sort_block_merge_config_selectorIsNS0_10empty_typeEEEZZNS1_27merge_sort_block_merge_implIS3_N6thrust23THRUST_200600_302600_NS6detail15normal_iteratorINS9_10device_ptrIsEEEEPS5_m14custom_greaterIsEEE10hipError_tT0_T1_T2_jT3_P12ihipStream_tbPNSt15iterator_traitsISJ_E10value_typeEPNSP_ISK_E10value_typeEPSL_NS1_7vsmem_tEENKUlT_SJ_SK_SL_E_clISE_PsSF_SF_EESI_SY_SJ_SK_SL_EUlSY_E0_NS1_11comp_targetILNS1_3genE3ELNS1_11target_archE908ELNS1_3gpuE7ELNS1_3repE0EEENS1_38merge_mergepath_config_static_selectorELNS0_4arch9wavefront6targetE1EEEvSK_
	.globl	_ZN7rocprim17ROCPRIM_400000_NS6detail17trampoline_kernelINS0_14default_configENS1_38merge_sort_block_merge_config_selectorIsNS0_10empty_typeEEEZZNS1_27merge_sort_block_merge_implIS3_N6thrust23THRUST_200600_302600_NS6detail15normal_iteratorINS9_10device_ptrIsEEEEPS5_m14custom_greaterIsEEE10hipError_tT0_T1_T2_jT3_P12ihipStream_tbPNSt15iterator_traitsISJ_E10value_typeEPNSP_ISK_E10value_typeEPSL_NS1_7vsmem_tEENKUlT_SJ_SK_SL_E_clISE_PsSF_SF_EESI_SY_SJ_SK_SL_EUlSY_E0_NS1_11comp_targetILNS1_3genE3ELNS1_11target_archE908ELNS1_3gpuE7ELNS1_3repE0EEENS1_38merge_mergepath_config_static_selectorELNS0_4arch9wavefront6targetE1EEEvSK_
	.p2align	8
	.type	_ZN7rocprim17ROCPRIM_400000_NS6detail17trampoline_kernelINS0_14default_configENS1_38merge_sort_block_merge_config_selectorIsNS0_10empty_typeEEEZZNS1_27merge_sort_block_merge_implIS3_N6thrust23THRUST_200600_302600_NS6detail15normal_iteratorINS9_10device_ptrIsEEEEPS5_m14custom_greaterIsEEE10hipError_tT0_T1_T2_jT3_P12ihipStream_tbPNSt15iterator_traitsISJ_E10value_typeEPNSP_ISK_E10value_typeEPSL_NS1_7vsmem_tEENKUlT_SJ_SK_SL_E_clISE_PsSF_SF_EESI_SY_SJ_SK_SL_EUlSY_E0_NS1_11comp_targetILNS1_3genE3ELNS1_11target_archE908ELNS1_3gpuE7ELNS1_3repE0EEENS1_38merge_mergepath_config_static_selectorELNS0_4arch9wavefront6targetE1EEEvSK_,@function
_ZN7rocprim17ROCPRIM_400000_NS6detail17trampoline_kernelINS0_14default_configENS1_38merge_sort_block_merge_config_selectorIsNS0_10empty_typeEEEZZNS1_27merge_sort_block_merge_implIS3_N6thrust23THRUST_200600_302600_NS6detail15normal_iteratorINS9_10device_ptrIsEEEEPS5_m14custom_greaterIsEEE10hipError_tT0_T1_T2_jT3_P12ihipStream_tbPNSt15iterator_traitsISJ_E10value_typeEPNSP_ISK_E10value_typeEPSL_NS1_7vsmem_tEENKUlT_SJ_SK_SL_E_clISE_PsSF_SF_EESI_SY_SJ_SK_SL_EUlSY_E0_NS1_11comp_targetILNS1_3genE3ELNS1_11target_archE908ELNS1_3gpuE7ELNS1_3repE0EEENS1_38merge_mergepath_config_static_selectorELNS0_4arch9wavefront6targetE1EEEvSK_: ; @_ZN7rocprim17ROCPRIM_400000_NS6detail17trampoline_kernelINS0_14default_configENS1_38merge_sort_block_merge_config_selectorIsNS0_10empty_typeEEEZZNS1_27merge_sort_block_merge_implIS3_N6thrust23THRUST_200600_302600_NS6detail15normal_iteratorINS9_10device_ptrIsEEEEPS5_m14custom_greaterIsEEE10hipError_tT0_T1_T2_jT3_P12ihipStream_tbPNSt15iterator_traitsISJ_E10value_typeEPNSP_ISK_E10value_typeEPSL_NS1_7vsmem_tEENKUlT_SJ_SK_SL_E_clISE_PsSF_SF_EESI_SY_SJ_SK_SL_EUlSY_E0_NS1_11comp_targetILNS1_3genE3ELNS1_11target_archE908ELNS1_3gpuE7ELNS1_3repE0EEENS1_38merge_mergepath_config_static_selectorELNS0_4arch9wavefront6targetE1EEEvSK_
; %bb.0:
	.section	.rodata,"a",@progbits
	.p2align	6, 0x0
	.amdhsa_kernel _ZN7rocprim17ROCPRIM_400000_NS6detail17trampoline_kernelINS0_14default_configENS1_38merge_sort_block_merge_config_selectorIsNS0_10empty_typeEEEZZNS1_27merge_sort_block_merge_implIS3_N6thrust23THRUST_200600_302600_NS6detail15normal_iteratorINS9_10device_ptrIsEEEEPS5_m14custom_greaterIsEEE10hipError_tT0_T1_T2_jT3_P12ihipStream_tbPNSt15iterator_traitsISJ_E10value_typeEPNSP_ISK_E10value_typeEPSL_NS1_7vsmem_tEENKUlT_SJ_SK_SL_E_clISE_PsSF_SF_EESI_SY_SJ_SK_SL_EUlSY_E0_NS1_11comp_targetILNS1_3genE3ELNS1_11target_archE908ELNS1_3gpuE7ELNS1_3repE0EEENS1_38merge_mergepath_config_static_selectorELNS0_4arch9wavefront6targetE1EEEvSK_
		.amdhsa_group_segment_fixed_size 0
		.amdhsa_private_segment_fixed_size 0
		.amdhsa_kernarg_size 72
		.amdhsa_user_sgpr_count 6
		.amdhsa_user_sgpr_private_segment_buffer 1
		.amdhsa_user_sgpr_dispatch_ptr 0
		.amdhsa_user_sgpr_queue_ptr 0
		.amdhsa_user_sgpr_kernarg_segment_ptr 1
		.amdhsa_user_sgpr_dispatch_id 0
		.amdhsa_user_sgpr_flat_scratch_init 0
		.amdhsa_user_sgpr_kernarg_preload_length 0
		.amdhsa_user_sgpr_kernarg_preload_offset 0
		.amdhsa_user_sgpr_private_segment_size 0
		.amdhsa_uses_dynamic_stack 0
		.amdhsa_system_sgpr_private_segment_wavefront_offset 0
		.amdhsa_system_sgpr_workgroup_id_x 1
		.amdhsa_system_sgpr_workgroup_id_y 0
		.amdhsa_system_sgpr_workgroup_id_z 0
		.amdhsa_system_sgpr_workgroup_info 0
		.amdhsa_system_vgpr_workitem_id 0
		.amdhsa_next_free_vgpr 1
		.amdhsa_next_free_sgpr 0
		.amdhsa_accum_offset 4
		.amdhsa_reserve_vcc 0
		.amdhsa_reserve_flat_scratch 0
		.amdhsa_float_round_mode_32 0
		.amdhsa_float_round_mode_16_64 0
		.amdhsa_float_denorm_mode_32 3
		.amdhsa_float_denorm_mode_16_64 3
		.amdhsa_dx10_clamp 1
		.amdhsa_ieee_mode 1
		.amdhsa_fp16_overflow 0
		.amdhsa_tg_split 0
		.amdhsa_exception_fp_ieee_invalid_op 0
		.amdhsa_exception_fp_denorm_src 0
		.amdhsa_exception_fp_ieee_div_zero 0
		.amdhsa_exception_fp_ieee_overflow 0
		.amdhsa_exception_fp_ieee_underflow 0
		.amdhsa_exception_fp_ieee_inexact 0
		.amdhsa_exception_int_div_zero 0
	.end_amdhsa_kernel
	.section	.text._ZN7rocprim17ROCPRIM_400000_NS6detail17trampoline_kernelINS0_14default_configENS1_38merge_sort_block_merge_config_selectorIsNS0_10empty_typeEEEZZNS1_27merge_sort_block_merge_implIS3_N6thrust23THRUST_200600_302600_NS6detail15normal_iteratorINS9_10device_ptrIsEEEEPS5_m14custom_greaterIsEEE10hipError_tT0_T1_T2_jT3_P12ihipStream_tbPNSt15iterator_traitsISJ_E10value_typeEPNSP_ISK_E10value_typeEPSL_NS1_7vsmem_tEENKUlT_SJ_SK_SL_E_clISE_PsSF_SF_EESI_SY_SJ_SK_SL_EUlSY_E0_NS1_11comp_targetILNS1_3genE3ELNS1_11target_archE908ELNS1_3gpuE7ELNS1_3repE0EEENS1_38merge_mergepath_config_static_selectorELNS0_4arch9wavefront6targetE1EEEvSK_,"axG",@progbits,_ZN7rocprim17ROCPRIM_400000_NS6detail17trampoline_kernelINS0_14default_configENS1_38merge_sort_block_merge_config_selectorIsNS0_10empty_typeEEEZZNS1_27merge_sort_block_merge_implIS3_N6thrust23THRUST_200600_302600_NS6detail15normal_iteratorINS9_10device_ptrIsEEEEPS5_m14custom_greaterIsEEE10hipError_tT0_T1_T2_jT3_P12ihipStream_tbPNSt15iterator_traitsISJ_E10value_typeEPNSP_ISK_E10value_typeEPSL_NS1_7vsmem_tEENKUlT_SJ_SK_SL_E_clISE_PsSF_SF_EESI_SY_SJ_SK_SL_EUlSY_E0_NS1_11comp_targetILNS1_3genE3ELNS1_11target_archE908ELNS1_3gpuE7ELNS1_3repE0EEENS1_38merge_mergepath_config_static_selectorELNS0_4arch9wavefront6targetE1EEEvSK_,comdat
.Lfunc_end2973:
	.size	_ZN7rocprim17ROCPRIM_400000_NS6detail17trampoline_kernelINS0_14default_configENS1_38merge_sort_block_merge_config_selectorIsNS0_10empty_typeEEEZZNS1_27merge_sort_block_merge_implIS3_N6thrust23THRUST_200600_302600_NS6detail15normal_iteratorINS9_10device_ptrIsEEEEPS5_m14custom_greaterIsEEE10hipError_tT0_T1_T2_jT3_P12ihipStream_tbPNSt15iterator_traitsISJ_E10value_typeEPNSP_ISK_E10value_typeEPSL_NS1_7vsmem_tEENKUlT_SJ_SK_SL_E_clISE_PsSF_SF_EESI_SY_SJ_SK_SL_EUlSY_E0_NS1_11comp_targetILNS1_3genE3ELNS1_11target_archE908ELNS1_3gpuE7ELNS1_3repE0EEENS1_38merge_mergepath_config_static_selectorELNS0_4arch9wavefront6targetE1EEEvSK_, .Lfunc_end2973-_ZN7rocprim17ROCPRIM_400000_NS6detail17trampoline_kernelINS0_14default_configENS1_38merge_sort_block_merge_config_selectorIsNS0_10empty_typeEEEZZNS1_27merge_sort_block_merge_implIS3_N6thrust23THRUST_200600_302600_NS6detail15normal_iteratorINS9_10device_ptrIsEEEEPS5_m14custom_greaterIsEEE10hipError_tT0_T1_T2_jT3_P12ihipStream_tbPNSt15iterator_traitsISJ_E10value_typeEPNSP_ISK_E10value_typeEPSL_NS1_7vsmem_tEENKUlT_SJ_SK_SL_E_clISE_PsSF_SF_EESI_SY_SJ_SK_SL_EUlSY_E0_NS1_11comp_targetILNS1_3genE3ELNS1_11target_archE908ELNS1_3gpuE7ELNS1_3repE0EEENS1_38merge_mergepath_config_static_selectorELNS0_4arch9wavefront6targetE1EEEvSK_
                                        ; -- End function
	.section	.AMDGPU.csdata,"",@progbits
; Kernel info:
; codeLenInByte = 0
; NumSgprs: 4
; NumVgprs: 0
; NumAgprs: 0
; TotalNumVgprs: 0
; ScratchSize: 0
; MemoryBound: 0
; FloatMode: 240
; IeeeMode: 1
; LDSByteSize: 0 bytes/workgroup (compile time only)
; SGPRBlocks: 0
; VGPRBlocks: 0
; NumSGPRsForWavesPerEU: 4
; NumVGPRsForWavesPerEU: 1
; AccumOffset: 4
; Occupancy: 8
; WaveLimiterHint : 0
; COMPUTE_PGM_RSRC2:SCRATCH_EN: 0
; COMPUTE_PGM_RSRC2:USER_SGPR: 6
; COMPUTE_PGM_RSRC2:TRAP_HANDLER: 0
; COMPUTE_PGM_RSRC2:TGID_X_EN: 1
; COMPUTE_PGM_RSRC2:TGID_Y_EN: 0
; COMPUTE_PGM_RSRC2:TGID_Z_EN: 0
; COMPUTE_PGM_RSRC2:TIDIG_COMP_CNT: 0
; COMPUTE_PGM_RSRC3_GFX90A:ACCUM_OFFSET: 0
; COMPUTE_PGM_RSRC3_GFX90A:TG_SPLIT: 0
	.section	.text._ZN7rocprim17ROCPRIM_400000_NS6detail17trampoline_kernelINS0_14default_configENS1_38merge_sort_block_merge_config_selectorIsNS0_10empty_typeEEEZZNS1_27merge_sort_block_merge_implIS3_N6thrust23THRUST_200600_302600_NS6detail15normal_iteratorINS9_10device_ptrIsEEEEPS5_m14custom_greaterIsEEE10hipError_tT0_T1_T2_jT3_P12ihipStream_tbPNSt15iterator_traitsISJ_E10value_typeEPNSP_ISK_E10value_typeEPSL_NS1_7vsmem_tEENKUlT_SJ_SK_SL_E_clISE_PsSF_SF_EESI_SY_SJ_SK_SL_EUlSY_E0_NS1_11comp_targetILNS1_3genE2ELNS1_11target_archE906ELNS1_3gpuE6ELNS1_3repE0EEENS1_38merge_mergepath_config_static_selectorELNS0_4arch9wavefront6targetE1EEEvSK_,"axG",@progbits,_ZN7rocprim17ROCPRIM_400000_NS6detail17trampoline_kernelINS0_14default_configENS1_38merge_sort_block_merge_config_selectorIsNS0_10empty_typeEEEZZNS1_27merge_sort_block_merge_implIS3_N6thrust23THRUST_200600_302600_NS6detail15normal_iteratorINS9_10device_ptrIsEEEEPS5_m14custom_greaterIsEEE10hipError_tT0_T1_T2_jT3_P12ihipStream_tbPNSt15iterator_traitsISJ_E10value_typeEPNSP_ISK_E10value_typeEPSL_NS1_7vsmem_tEENKUlT_SJ_SK_SL_E_clISE_PsSF_SF_EESI_SY_SJ_SK_SL_EUlSY_E0_NS1_11comp_targetILNS1_3genE2ELNS1_11target_archE906ELNS1_3gpuE6ELNS1_3repE0EEENS1_38merge_mergepath_config_static_selectorELNS0_4arch9wavefront6targetE1EEEvSK_,comdat
	.protected	_ZN7rocprim17ROCPRIM_400000_NS6detail17trampoline_kernelINS0_14default_configENS1_38merge_sort_block_merge_config_selectorIsNS0_10empty_typeEEEZZNS1_27merge_sort_block_merge_implIS3_N6thrust23THRUST_200600_302600_NS6detail15normal_iteratorINS9_10device_ptrIsEEEEPS5_m14custom_greaterIsEEE10hipError_tT0_T1_T2_jT3_P12ihipStream_tbPNSt15iterator_traitsISJ_E10value_typeEPNSP_ISK_E10value_typeEPSL_NS1_7vsmem_tEENKUlT_SJ_SK_SL_E_clISE_PsSF_SF_EESI_SY_SJ_SK_SL_EUlSY_E0_NS1_11comp_targetILNS1_3genE2ELNS1_11target_archE906ELNS1_3gpuE6ELNS1_3repE0EEENS1_38merge_mergepath_config_static_selectorELNS0_4arch9wavefront6targetE1EEEvSK_ ; -- Begin function _ZN7rocprim17ROCPRIM_400000_NS6detail17trampoline_kernelINS0_14default_configENS1_38merge_sort_block_merge_config_selectorIsNS0_10empty_typeEEEZZNS1_27merge_sort_block_merge_implIS3_N6thrust23THRUST_200600_302600_NS6detail15normal_iteratorINS9_10device_ptrIsEEEEPS5_m14custom_greaterIsEEE10hipError_tT0_T1_T2_jT3_P12ihipStream_tbPNSt15iterator_traitsISJ_E10value_typeEPNSP_ISK_E10value_typeEPSL_NS1_7vsmem_tEENKUlT_SJ_SK_SL_E_clISE_PsSF_SF_EESI_SY_SJ_SK_SL_EUlSY_E0_NS1_11comp_targetILNS1_3genE2ELNS1_11target_archE906ELNS1_3gpuE6ELNS1_3repE0EEENS1_38merge_mergepath_config_static_selectorELNS0_4arch9wavefront6targetE1EEEvSK_
	.globl	_ZN7rocprim17ROCPRIM_400000_NS6detail17trampoline_kernelINS0_14default_configENS1_38merge_sort_block_merge_config_selectorIsNS0_10empty_typeEEEZZNS1_27merge_sort_block_merge_implIS3_N6thrust23THRUST_200600_302600_NS6detail15normal_iteratorINS9_10device_ptrIsEEEEPS5_m14custom_greaterIsEEE10hipError_tT0_T1_T2_jT3_P12ihipStream_tbPNSt15iterator_traitsISJ_E10value_typeEPNSP_ISK_E10value_typeEPSL_NS1_7vsmem_tEENKUlT_SJ_SK_SL_E_clISE_PsSF_SF_EESI_SY_SJ_SK_SL_EUlSY_E0_NS1_11comp_targetILNS1_3genE2ELNS1_11target_archE906ELNS1_3gpuE6ELNS1_3repE0EEENS1_38merge_mergepath_config_static_selectorELNS0_4arch9wavefront6targetE1EEEvSK_
	.p2align	8
	.type	_ZN7rocprim17ROCPRIM_400000_NS6detail17trampoline_kernelINS0_14default_configENS1_38merge_sort_block_merge_config_selectorIsNS0_10empty_typeEEEZZNS1_27merge_sort_block_merge_implIS3_N6thrust23THRUST_200600_302600_NS6detail15normal_iteratorINS9_10device_ptrIsEEEEPS5_m14custom_greaterIsEEE10hipError_tT0_T1_T2_jT3_P12ihipStream_tbPNSt15iterator_traitsISJ_E10value_typeEPNSP_ISK_E10value_typeEPSL_NS1_7vsmem_tEENKUlT_SJ_SK_SL_E_clISE_PsSF_SF_EESI_SY_SJ_SK_SL_EUlSY_E0_NS1_11comp_targetILNS1_3genE2ELNS1_11target_archE906ELNS1_3gpuE6ELNS1_3repE0EEENS1_38merge_mergepath_config_static_selectorELNS0_4arch9wavefront6targetE1EEEvSK_,@function
_ZN7rocprim17ROCPRIM_400000_NS6detail17trampoline_kernelINS0_14default_configENS1_38merge_sort_block_merge_config_selectorIsNS0_10empty_typeEEEZZNS1_27merge_sort_block_merge_implIS3_N6thrust23THRUST_200600_302600_NS6detail15normal_iteratorINS9_10device_ptrIsEEEEPS5_m14custom_greaterIsEEE10hipError_tT0_T1_T2_jT3_P12ihipStream_tbPNSt15iterator_traitsISJ_E10value_typeEPNSP_ISK_E10value_typeEPSL_NS1_7vsmem_tEENKUlT_SJ_SK_SL_E_clISE_PsSF_SF_EESI_SY_SJ_SK_SL_EUlSY_E0_NS1_11comp_targetILNS1_3genE2ELNS1_11target_archE906ELNS1_3gpuE6ELNS1_3repE0EEENS1_38merge_mergepath_config_static_selectorELNS0_4arch9wavefront6targetE1EEEvSK_: ; @_ZN7rocprim17ROCPRIM_400000_NS6detail17trampoline_kernelINS0_14default_configENS1_38merge_sort_block_merge_config_selectorIsNS0_10empty_typeEEEZZNS1_27merge_sort_block_merge_implIS3_N6thrust23THRUST_200600_302600_NS6detail15normal_iteratorINS9_10device_ptrIsEEEEPS5_m14custom_greaterIsEEE10hipError_tT0_T1_T2_jT3_P12ihipStream_tbPNSt15iterator_traitsISJ_E10value_typeEPNSP_ISK_E10value_typeEPSL_NS1_7vsmem_tEENKUlT_SJ_SK_SL_E_clISE_PsSF_SF_EESI_SY_SJ_SK_SL_EUlSY_E0_NS1_11comp_targetILNS1_3genE2ELNS1_11target_archE906ELNS1_3gpuE6ELNS1_3repE0EEENS1_38merge_mergepath_config_static_selectorELNS0_4arch9wavefront6targetE1EEEvSK_
; %bb.0:
	.section	.rodata,"a",@progbits
	.p2align	6, 0x0
	.amdhsa_kernel _ZN7rocprim17ROCPRIM_400000_NS6detail17trampoline_kernelINS0_14default_configENS1_38merge_sort_block_merge_config_selectorIsNS0_10empty_typeEEEZZNS1_27merge_sort_block_merge_implIS3_N6thrust23THRUST_200600_302600_NS6detail15normal_iteratorINS9_10device_ptrIsEEEEPS5_m14custom_greaterIsEEE10hipError_tT0_T1_T2_jT3_P12ihipStream_tbPNSt15iterator_traitsISJ_E10value_typeEPNSP_ISK_E10value_typeEPSL_NS1_7vsmem_tEENKUlT_SJ_SK_SL_E_clISE_PsSF_SF_EESI_SY_SJ_SK_SL_EUlSY_E0_NS1_11comp_targetILNS1_3genE2ELNS1_11target_archE906ELNS1_3gpuE6ELNS1_3repE0EEENS1_38merge_mergepath_config_static_selectorELNS0_4arch9wavefront6targetE1EEEvSK_
		.amdhsa_group_segment_fixed_size 0
		.amdhsa_private_segment_fixed_size 0
		.amdhsa_kernarg_size 72
		.amdhsa_user_sgpr_count 6
		.amdhsa_user_sgpr_private_segment_buffer 1
		.amdhsa_user_sgpr_dispatch_ptr 0
		.amdhsa_user_sgpr_queue_ptr 0
		.amdhsa_user_sgpr_kernarg_segment_ptr 1
		.amdhsa_user_sgpr_dispatch_id 0
		.amdhsa_user_sgpr_flat_scratch_init 0
		.amdhsa_user_sgpr_kernarg_preload_length 0
		.amdhsa_user_sgpr_kernarg_preload_offset 0
		.amdhsa_user_sgpr_private_segment_size 0
		.amdhsa_uses_dynamic_stack 0
		.amdhsa_system_sgpr_private_segment_wavefront_offset 0
		.amdhsa_system_sgpr_workgroup_id_x 1
		.amdhsa_system_sgpr_workgroup_id_y 0
		.amdhsa_system_sgpr_workgroup_id_z 0
		.amdhsa_system_sgpr_workgroup_info 0
		.amdhsa_system_vgpr_workitem_id 0
		.amdhsa_next_free_vgpr 1
		.amdhsa_next_free_sgpr 0
		.amdhsa_accum_offset 4
		.amdhsa_reserve_vcc 0
		.amdhsa_reserve_flat_scratch 0
		.amdhsa_float_round_mode_32 0
		.amdhsa_float_round_mode_16_64 0
		.amdhsa_float_denorm_mode_32 3
		.amdhsa_float_denorm_mode_16_64 3
		.amdhsa_dx10_clamp 1
		.amdhsa_ieee_mode 1
		.amdhsa_fp16_overflow 0
		.amdhsa_tg_split 0
		.amdhsa_exception_fp_ieee_invalid_op 0
		.amdhsa_exception_fp_denorm_src 0
		.amdhsa_exception_fp_ieee_div_zero 0
		.amdhsa_exception_fp_ieee_overflow 0
		.amdhsa_exception_fp_ieee_underflow 0
		.amdhsa_exception_fp_ieee_inexact 0
		.amdhsa_exception_int_div_zero 0
	.end_amdhsa_kernel
	.section	.text._ZN7rocprim17ROCPRIM_400000_NS6detail17trampoline_kernelINS0_14default_configENS1_38merge_sort_block_merge_config_selectorIsNS0_10empty_typeEEEZZNS1_27merge_sort_block_merge_implIS3_N6thrust23THRUST_200600_302600_NS6detail15normal_iteratorINS9_10device_ptrIsEEEEPS5_m14custom_greaterIsEEE10hipError_tT0_T1_T2_jT3_P12ihipStream_tbPNSt15iterator_traitsISJ_E10value_typeEPNSP_ISK_E10value_typeEPSL_NS1_7vsmem_tEENKUlT_SJ_SK_SL_E_clISE_PsSF_SF_EESI_SY_SJ_SK_SL_EUlSY_E0_NS1_11comp_targetILNS1_3genE2ELNS1_11target_archE906ELNS1_3gpuE6ELNS1_3repE0EEENS1_38merge_mergepath_config_static_selectorELNS0_4arch9wavefront6targetE1EEEvSK_,"axG",@progbits,_ZN7rocprim17ROCPRIM_400000_NS6detail17trampoline_kernelINS0_14default_configENS1_38merge_sort_block_merge_config_selectorIsNS0_10empty_typeEEEZZNS1_27merge_sort_block_merge_implIS3_N6thrust23THRUST_200600_302600_NS6detail15normal_iteratorINS9_10device_ptrIsEEEEPS5_m14custom_greaterIsEEE10hipError_tT0_T1_T2_jT3_P12ihipStream_tbPNSt15iterator_traitsISJ_E10value_typeEPNSP_ISK_E10value_typeEPSL_NS1_7vsmem_tEENKUlT_SJ_SK_SL_E_clISE_PsSF_SF_EESI_SY_SJ_SK_SL_EUlSY_E0_NS1_11comp_targetILNS1_3genE2ELNS1_11target_archE906ELNS1_3gpuE6ELNS1_3repE0EEENS1_38merge_mergepath_config_static_selectorELNS0_4arch9wavefront6targetE1EEEvSK_,comdat
.Lfunc_end2974:
	.size	_ZN7rocprim17ROCPRIM_400000_NS6detail17trampoline_kernelINS0_14default_configENS1_38merge_sort_block_merge_config_selectorIsNS0_10empty_typeEEEZZNS1_27merge_sort_block_merge_implIS3_N6thrust23THRUST_200600_302600_NS6detail15normal_iteratorINS9_10device_ptrIsEEEEPS5_m14custom_greaterIsEEE10hipError_tT0_T1_T2_jT3_P12ihipStream_tbPNSt15iterator_traitsISJ_E10value_typeEPNSP_ISK_E10value_typeEPSL_NS1_7vsmem_tEENKUlT_SJ_SK_SL_E_clISE_PsSF_SF_EESI_SY_SJ_SK_SL_EUlSY_E0_NS1_11comp_targetILNS1_3genE2ELNS1_11target_archE906ELNS1_3gpuE6ELNS1_3repE0EEENS1_38merge_mergepath_config_static_selectorELNS0_4arch9wavefront6targetE1EEEvSK_, .Lfunc_end2974-_ZN7rocprim17ROCPRIM_400000_NS6detail17trampoline_kernelINS0_14default_configENS1_38merge_sort_block_merge_config_selectorIsNS0_10empty_typeEEEZZNS1_27merge_sort_block_merge_implIS3_N6thrust23THRUST_200600_302600_NS6detail15normal_iteratorINS9_10device_ptrIsEEEEPS5_m14custom_greaterIsEEE10hipError_tT0_T1_T2_jT3_P12ihipStream_tbPNSt15iterator_traitsISJ_E10value_typeEPNSP_ISK_E10value_typeEPSL_NS1_7vsmem_tEENKUlT_SJ_SK_SL_E_clISE_PsSF_SF_EESI_SY_SJ_SK_SL_EUlSY_E0_NS1_11comp_targetILNS1_3genE2ELNS1_11target_archE906ELNS1_3gpuE6ELNS1_3repE0EEENS1_38merge_mergepath_config_static_selectorELNS0_4arch9wavefront6targetE1EEEvSK_
                                        ; -- End function
	.section	.AMDGPU.csdata,"",@progbits
; Kernel info:
; codeLenInByte = 0
; NumSgprs: 4
; NumVgprs: 0
; NumAgprs: 0
; TotalNumVgprs: 0
; ScratchSize: 0
; MemoryBound: 0
; FloatMode: 240
; IeeeMode: 1
; LDSByteSize: 0 bytes/workgroup (compile time only)
; SGPRBlocks: 0
; VGPRBlocks: 0
; NumSGPRsForWavesPerEU: 4
; NumVGPRsForWavesPerEU: 1
; AccumOffset: 4
; Occupancy: 8
; WaveLimiterHint : 0
; COMPUTE_PGM_RSRC2:SCRATCH_EN: 0
; COMPUTE_PGM_RSRC2:USER_SGPR: 6
; COMPUTE_PGM_RSRC2:TRAP_HANDLER: 0
; COMPUTE_PGM_RSRC2:TGID_X_EN: 1
; COMPUTE_PGM_RSRC2:TGID_Y_EN: 0
; COMPUTE_PGM_RSRC2:TGID_Z_EN: 0
; COMPUTE_PGM_RSRC2:TIDIG_COMP_CNT: 0
; COMPUTE_PGM_RSRC3_GFX90A:ACCUM_OFFSET: 0
; COMPUTE_PGM_RSRC3_GFX90A:TG_SPLIT: 0
	.section	.text._ZN7rocprim17ROCPRIM_400000_NS6detail17trampoline_kernelINS0_14default_configENS1_38merge_sort_block_merge_config_selectorIsNS0_10empty_typeEEEZZNS1_27merge_sort_block_merge_implIS3_N6thrust23THRUST_200600_302600_NS6detail15normal_iteratorINS9_10device_ptrIsEEEEPS5_m14custom_greaterIsEEE10hipError_tT0_T1_T2_jT3_P12ihipStream_tbPNSt15iterator_traitsISJ_E10value_typeEPNSP_ISK_E10value_typeEPSL_NS1_7vsmem_tEENKUlT_SJ_SK_SL_E_clISE_PsSF_SF_EESI_SY_SJ_SK_SL_EUlSY_E0_NS1_11comp_targetILNS1_3genE9ELNS1_11target_archE1100ELNS1_3gpuE3ELNS1_3repE0EEENS1_38merge_mergepath_config_static_selectorELNS0_4arch9wavefront6targetE1EEEvSK_,"axG",@progbits,_ZN7rocprim17ROCPRIM_400000_NS6detail17trampoline_kernelINS0_14default_configENS1_38merge_sort_block_merge_config_selectorIsNS0_10empty_typeEEEZZNS1_27merge_sort_block_merge_implIS3_N6thrust23THRUST_200600_302600_NS6detail15normal_iteratorINS9_10device_ptrIsEEEEPS5_m14custom_greaterIsEEE10hipError_tT0_T1_T2_jT3_P12ihipStream_tbPNSt15iterator_traitsISJ_E10value_typeEPNSP_ISK_E10value_typeEPSL_NS1_7vsmem_tEENKUlT_SJ_SK_SL_E_clISE_PsSF_SF_EESI_SY_SJ_SK_SL_EUlSY_E0_NS1_11comp_targetILNS1_3genE9ELNS1_11target_archE1100ELNS1_3gpuE3ELNS1_3repE0EEENS1_38merge_mergepath_config_static_selectorELNS0_4arch9wavefront6targetE1EEEvSK_,comdat
	.protected	_ZN7rocprim17ROCPRIM_400000_NS6detail17trampoline_kernelINS0_14default_configENS1_38merge_sort_block_merge_config_selectorIsNS0_10empty_typeEEEZZNS1_27merge_sort_block_merge_implIS3_N6thrust23THRUST_200600_302600_NS6detail15normal_iteratorINS9_10device_ptrIsEEEEPS5_m14custom_greaterIsEEE10hipError_tT0_T1_T2_jT3_P12ihipStream_tbPNSt15iterator_traitsISJ_E10value_typeEPNSP_ISK_E10value_typeEPSL_NS1_7vsmem_tEENKUlT_SJ_SK_SL_E_clISE_PsSF_SF_EESI_SY_SJ_SK_SL_EUlSY_E0_NS1_11comp_targetILNS1_3genE9ELNS1_11target_archE1100ELNS1_3gpuE3ELNS1_3repE0EEENS1_38merge_mergepath_config_static_selectorELNS0_4arch9wavefront6targetE1EEEvSK_ ; -- Begin function _ZN7rocprim17ROCPRIM_400000_NS6detail17trampoline_kernelINS0_14default_configENS1_38merge_sort_block_merge_config_selectorIsNS0_10empty_typeEEEZZNS1_27merge_sort_block_merge_implIS3_N6thrust23THRUST_200600_302600_NS6detail15normal_iteratorINS9_10device_ptrIsEEEEPS5_m14custom_greaterIsEEE10hipError_tT0_T1_T2_jT3_P12ihipStream_tbPNSt15iterator_traitsISJ_E10value_typeEPNSP_ISK_E10value_typeEPSL_NS1_7vsmem_tEENKUlT_SJ_SK_SL_E_clISE_PsSF_SF_EESI_SY_SJ_SK_SL_EUlSY_E0_NS1_11comp_targetILNS1_3genE9ELNS1_11target_archE1100ELNS1_3gpuE3ELNS1_3repE0EEENS1_38merge_mergepath_config_static_selectorELNS0_4arch9wavefront6targetE1EEEvSK_
	.globl	_ZN7rocprim17ROCPRIM_400000_NS6detail17trampoline_kernelINS0_14default_configENS1_38merge_sort_block_merge_config_selectorIsNS0_10empty_typeEEEZZNS1_27merge_sort_block_merge_implIS3_N6thrust23THRUST_200600_302600_NS6detail15normal_iteratorINS9_10device_ptrIsEEEEPS5_m14custom_greaterIsEEE10hipError_tT0_T1_T2_jT3_P12ihipStream_tbPNSt15iterator_traitsISJ_E10value_typeEPNSP_ISK_E10value_typeEPSL_NS1_7vsmem_tEENKUlT_SJ_SK_SL_E_clISE_PsSF_SF_EESI_SY_SJ_SK_SL_EUlSY_E0_NS1_11comp_targetILNS1_3genE9ELNS1_11target_archE1100ELNS1_3gpuE3ELNS1_3repE0EEENS1_38merge_mergepath_config_static_selectorELNS0_4arch9wavefront6targetE1EEEvSK_
	.p2align	8
	.type	_ZN7rocprim17ROCPRIM_400000_NS6detail17trampoline_kernelINS0_14default_configENS1_38merge_sort_block_merge_config_selectorIsNS0_10empty_typeEEEZZNS1_27merge_sort_block_merge_implIS3_N6thrust23THRUST_200600_302600_NS6detail15normal_iteratorINS9_10device_ptrIsEEEEPS5_m14custom_greaterIsEEE10hipError_tT0_T1_T2_jT3_P12ihipStream_tbPNSt15iterator_traitsISJ_E10value_typeEPNSP_ISK_E10value_typeEPSL_NS1_7vsmem_tEENKUlT_SJ_SK_SL_E_clISE_PsSF_SF_EESI_SY_SJ_SK_SL_EUlSY_E0_NS1_11comp_targetILNS1_3genE9ELNS1_11target_archE1100ELNS1_3gpuE3ELNS1_3repE0EEENS1_38merge_mergepath_config_static_selectorELNS0_4arch9wavefront6targetE1EEEvSK_,@function
_ZN7rocprim17ROCPRIM_400000_NS6detail17trampoline_kernelINS0_14default_configENS1_38merge_sort_block_merge_config_selectorIsNS0_10empty_typeEEEZZNS1_27merge_sort_block_merge_implIS3_N6thrust23THRUST_200600_302600_NS6detail15normal_iteratorINS9_10device_ptrIsEEEEPS5_m14custom_greaterIsEEE10hipError_tT0_T1_T2_jT3_P12ihipStream_tbPNSt15iterator_traitsISJ_E10value_typeEPNSP_ISK_E10value_typeEPSL_NS1_7vsmem_tEENKUlT_SJ_SK_SL_E_clISE_PsSF_SF_EESI_SY_SJ_SK_SL_EUlSY_E0_NS1_11comp_targetILNS1_3genE9ELNS1_11target_archE1100ELNS1_3gpuE3ELNS1_3repE0EEENS1_38merge_mergepath_config_static_selectorELNS0_4arch9wavefront6targetE1EEEvSK_: ; @_ZN7rocprim17ROCPRIM_400000_NS6detail17trampoline_kernelINS0_14default_configENS1_38merge_sort_block_merge_config_selectorIsNS0_10empty_typeEEEZZNS1_27merge_sort_block_merge_implIS3_N6thrust23THRUST_200600_302600_NS6detail15normal_iteratorINS9_10device_ptrIsEEEEPS5_m14custom_greaterIsEEE10hipError_tT0_T1_T2_jT3_P12ihipStream_tbPNSt15iterator_traitsISJ_E10value_typeEPNSP_ISK_E10value_typeEPSL_NS1_7vsmem_tEENKUlT_SJ_SK_SL_E_clISE_PsSF_SF_EESI_SY_SJ_SK_SL_EUlSY_E0_NS1_11comp_targetILNS1_3genE9ELNS1_11target_archE1100ELNS1_3gpuE3ELNS1_3repE0EEENS1_38merge_mergepath_config_static_selectorELNS0_4arch9wavefront6targetE1EEEvSK_
; %bb.0:
	.section	.rodata,"a",@progbits
	.p2align	6, 0x0
	.amdhsa_kernel _ZN7rocprim17ROCPRIM_400000_NS6detail17trampoline_kernelINS0_14default_configENS1_38merge_sort_block_merge_config_selectorIsNS0_10empty_typeEEEZZNS1_27merge_sort_block_merge_implIS3_N6thrust23THRUST_200600_302600_NS6detail15normal_iteratorINS9_10device_ptrIsEEEEPS5_m14custom_greaterIsEEE10hipError_tT0_T1_T2_jT3_P12ihipStream_tbPNSt15iterator_traitsISJ_E10value_typeEPNSP_ISK_E10value_typeEPSL_NS1_7vsmem_tEENKUlT_SJ_SK_SL_E_clISE_PsSF_SF_EESI_SY_SJ_SK_SL_EUlSY_E0_NS1_11comp_targetILNS1_3genE9ELNS1_11target_archE1100ELNS1_3gpuE3ELNS1_3repE0EEENS1_38merge_mergepath_config_static_selectorELNS0_4arch9wavefront6targetE1EEEvSK_
		.amdhsa_group_segment_fixed_size 0
		.amdhsa_private_segment_fixed_size 0
		.amdhsa_kernarg_size 72
		.amdhsa_user_sgpr_count 6
		.amdhsa_user_sgpr_private_segment_buffer 1
		.amdhsa_user_sgpr_dispatch_ptr 0
		.amdhsa_user_sgpr_queue_ptr 0
		.amdhsa_user_sgpr_kernarg_segment_ptr 1
		.amdhsa_user_sgpr_dispatch_id 0
		.amdhsa_user_sgpr_flat_scratch_init 0
		.amdhsa_user_sgpr_kernarg_preload_length 0
		.amdhsa_user_sgpr_kernarg_preload_offset 0
		.amdhsa_user_sgpr_private_segment_size 0
		.amdhsa_uses_dynamic_stack 0
		.amdhsa_system_sgpr_private_segment_wavefront_offset 0
		.amdhsa_system_sgpr_workgroup_id_x 1
		.amdhsa_system_sgpr_workgroup_id_y 0
		.amdhsa_system_sgpr_workgroup_id_z 0
		.amdhsa_system_sgpr_workgroup_info 0
		.amdhsa_system_vgpr_workitem_id 0
		.amdhsa_next_free_vgpr 1
		.amdhsa_next_free_sgpr 0
		.amdhsa_accum_offset 4
		.amdhsa_reserve_vcc 0
		.amdhsa_reserve_flat_scratch 0
		.amdhsa_float_round_mode_32 0
		.amdhsa_float_round_mode_16_64 0
		.amdhsa_float_denorm_mode_32 3
		.amdhsa_float_denorm_mode_16_64 3
		.amdhsa_dx10_clamp 1
		.amdhsa_ieee_mode 1
		.amdhsa_fp16_overflow 0
		.amdhsa_tg_split 0
		.amdhsa_exception_fp_ieee_invalid_op 0
		.amdhsa_exception_fp_denorm_src 0
		.amdhsa_exception_fp_ieee_div_zero 0
		.amdhsa_exception_fp_ieee_overflow 0
		.amdhsa_exception_fp_ieee_underflow 0
		.amdhsa_exception_fp_ieee_inexact 0
		.amdhsa_exception_int_div_zero 0
	.end_amdhsa_kernel
	.section	.text._ZN7rocprim17ROCPRIM_400000_NS6detail17trampoline_kernelINS0_14default_configENS1_38merge_sort_block_merge_config_selectorIsNS0_10empty_typeEEEZZNS1_27merge_sort_block_merge_implIS3_N6thrust23THRUST_200600_302600_NS6detail15normal_iteratorINS9_10device_ptrIsEEEEPS5_m14custom_greaterIsEEE10hipError_tT0_T1_T2_jT3_P12ihipStream_tbPNSt15iterator_traitsISJ_E10value_typeEPNSP_ISK_E10value_typeEPSL_NS1_7vsmem_tEENKUlT_SJ_SK_SL_E_clISE_PsSF_SF_EESI_SY_SJ_SK_SL_EUlSY_E0_NS1_11comp_targetILNS1_3genE9ELNS1_11target_archE1100ELNS1_3gpuE3ELNS1_3repE0EEENS1_38merge_mergepath_config_static_selectorELNS0_4arch9wavefront6targetE1EEEvSK_,"axG",@progbits,_ZN7rocprim17ROCPRIM_400000_NS6detail17trampoline_kernelINS0_14default_configENS1_38merge_sort_block_merge_config_selectorIsNS0_10empty_typeEEEZZNS1_27merge_sort_block_merge_implIS3_N6thrust23THRUST_200600_302600_NS6detail15normal_iteratorINS9_10device_ptrIsEEEEPS5_m14custom_greaterIsEEE10hipError_tT0_T1_T2_jT3_P12ihipStream_tbPNSt15iterator_traitsISJ_E10value_typeEPNSP_ISK_E10value_typeEPSL_NS1_7vsmem_tEENKUlT_SJ_SK_SL_E_clISE_PsSF_SF_EESI_SY_SJ_SK_SL_EUlSY_E0_NS1_11comp_targetILNS1_3genE9ELNS1_11target_archE1100ELNS1_3gpuE3ELNS1_3repE0EEENS1_38merge_mergepath_config_static_selectorELNS0_4arch9wavefront6targetE1EEEvSK_,comdat
.Lfunc_end2975:
	.size	_ZN7rocprim17ROCPRIM_400000_NS6detail17trampoline_kernelINS0_14default_configENS1_38merge_sort_block_merge_config_selectorIsNS0_10empty_typeEEEZZNS1_27merge_sort_block_merge_implIS3_N6thrust23THRUST_200600_302600_NS6detail15normal_iteratorINS9_10device_ptrIsEEEEPS5_m14custom_greaterIsEEE10hipError_tT0_T1_T2_jT3_P12ihipStream_tbPNSt15iterator_traitsISJ_E10value_typeEPNSP_ISK_E10value_typeEPSL_NS1_7vsmem_tEENKUlT_SJ_SK_SL_E_clISE_PsSF_SF_EESI_SY_SJ_SK_SL_EUlSY_E0_NS1_11comp_targetILNS1_3genE9ELNS1_11target_archE1100ELNS1_3gpuE3ELNS1_3repE0EEENS1_38merge_mergepath_config_static_selectorELNS0_4arch9wavefront6targetE1EEEvSK_, .Lfunc_end2975-_ZN7rocprim17ROCPRIM_400000_NS6detail17trampoline_kernelINS0_14default_configENS1_38merge_sort_block_merge_config_selectorIsNS0_10empty_typeEEEZZNS1_27merge_sort_block_merge_implIS3_N6thrust23THRUST_200600_302600_NS6detail15normal_iteratorINS9_10device_ptrIsEEEEPS5_m14custom_greaterIsEEE10hipError_tT0_T1_T2_jT3_P12ihipStream_tbPNSt15iterator_traitsISJ_E10value_typeEPNSP_ISK_E10value_typeEPSL_NS1_7vsmem_tEENKUlT_SJ_SK_SL_E_clISE_PsSF_SF_EESI_SY_SJ_SK_SL_EUlSY_E0_NS1_11comp_targetILNS1_3genE9ELNS1_11target_archE1100ELNS1_3gpuE3ELNS1_3repE0EEENS1_38merge_mergepath_config_static_selectorELNS0_4arch9wavefront6targetE1EEEvSK_
                                        ; -- End function
	.section	.AMDGPU.csdata,"",@progbits
; Kernel info:
; codeLenInByte = 0
; NumSgprs: 4
; NumVgprs: 0
; NumAgprs: 0
; TotalNumVgprs: 0
; ScratchSize: 0
; MemoryBound: 0
; FloatMode: 240
; IeeeMode: 1
; LDSByteSize: 0 bytes/workgroup (compile time only)
; SGPRBlocks: 0
; VGPRBlocks: 0
; NumSGPRsForWavesPerEU: 4
; NumVGPRsForWavesPerEU: 1
; AccumOffset: 4
; Occupancy: 8
; WaveLimiterHint : 0
; COMPUTE_PGM_RSRC2:SCRATCH_EN: 0
; COMPUTE_PGM_RSRC2:USER_SGPR: 6
; COMPUTE_PGM_RSRC2:TRAP_HANDLER: 0
; COMPUTE_PGM_RSRC2:TGID_X_EN: 1
; COMPUTE_PGM_RSRC2:TGID_Y_EN: 0
; COMPUTE_PGM_RSRC2:TGID_Z_EN: 0
; COMPUTE_PGM_RSRC2:TIDIG_COMP_CNT: 0
; COMPUTE_PGM_RSRC3_GFX90A:ACCUM_OFFSET: 0
; COMPUTE_PGM_RSRC3_GFX90A:TG_SPLIT: 0
	.section	.text._ZN7rocprim17ROCPRIM_400000_NS6detail17trampoline_kernelINS0_14default_configENS1_38merge_sort_block_merge_config_selectorIsNS0_10empty_typeEEEZZNS1_27merge_sort_block_merge_implIS3_N6thrust23THRUST_200600_302600_NS6detail15normal_iteratorINS9_10device_ptrIsEEEEPS5_m14custom_greaterIsEEE10hipError_tT0_T1_T2_jT3_P12ihipStream_tbPNSt15iterator_traitsISJ_E10value_typeEPNSP_ISK_E10value_typeEPSL_NS1_7vsmem_tEENKUlT_SJ_SK_SL_E_clISE_PsSF_SF_EESI_SY_SJ_SK_SL_EUlSY_E0_NS1_11comp_targetILNS1_3genE8ELNS1_11target_archE1030ELNS1_3gpuE2ELNS1_3repE0EEENS1_38merge_mergepath_config_static_selectorELNS0_4arch9wavefront6targetE1EEEvSK_,"axG",@progbits,_ZN7rocprim17ROCPRIM_400000_NS6detail17trampoline_kernelINS0_14default_configENS1_38merge_sort_block_merge_config_selectorIsNS0_10empty_typeEEEZZNS1_27merge_sort_block_merge_implIS3_N6thrust23THRUST_200600_302600_NS6detail15normal_iteratorINS9_10device_ptrIsEEEEPS5_m14custom_greaterIsEEE10hipError_tT0_T1_T2_jT3_P12ihipStream_tbPNSt15iterator_traitsISJ_E10value_typeEPNSP_ISK_E10value_typeEPSL_NS1_7vsmem_tEENKUlT_SJ_SK_SL_E_clISE_PsSF_SF_EESI_SY_SJ_SK_SL_EUlSY_E0_NS1_11comp_targetILNS1_3genE8ELNS1_11target_archE1030ELNS1_3gpuE2ELNS1_3repE0EEENS1_38merge_mergepath_config_static_selectorELNS0_4arch9wavefront6targetE1EEEvSK_,comdat
	.protected	_ZN7rocprim17ROCPRIM_400000_NS6detail17trampoline_kernelINS0_14default_configENS1_38merge_sort_block_merge_config_selectorIsNS0_10empty_typeEEEZZNS1_27merge_sort_block_merge_implIS3_N6thrust23THRUST_200600_302600_NS6detail15normal_iteratorINS9_10device_ptrIsEEEEPS5_m14custom_greaterIsEEE10hipError_tT0_T1_T2_jT3_P12ihipStream_tbPNSt15iterator_traitsISJ_E10value_typeEPNSP_ISK_E10value_typeEPSL_NS1_7vsmem_tEENKUlT_SJ_SK_SL_E_clISE_PsSF_SF_EESI_SY_SJ_SK_SL_EUlSY_E0_NS1_11comp_targetILNS1_3genE8ELNS1_11target_archE1030ELNS1_3gpuE2ELNS1_3repE0EEENS1_38merge_mergepath_config_static_selectorELNS0_4arch9wavefront6targetE1EEEvSK_ ; -- Begin function _ZN7rocprim17ROCPRIM_400000_NS6detail17trampoline_kernelINS0_14default_configENS1_38merge_sort_block_merge_config_selectorIsNS0_10empty_typeEEEZZNS1_27merge_sort_block_merge_implIS3_N6thrust23THRUST_200600_302600_NS6detail15normal_iteratorINS9_10device_ptrIsEEEEPS5_m14custom_greaterIsEEE10hipError_tT0_T1_T2_jT3_P12ihipStream_tbPNSt15iterator_traitsISJ_E10value_typeEPNSP_ISK_E10value_typeEPSL_NS1_7vsmem_tEENKUlT_SJ_SK_SL_E_clISE_PsSF_SF_EESI_SY_SJ_SK_SL_EUlSY_E0_NS1_11comp_targetILNS1_3genE8ELNS1_11target_archE1030ELNS1_3gpuE2ELNS1_3repE0EEENS1_38merge_mergepath_config_static_selectorELNS0_4arch9wavefront6targetE1EEEvSK_
	.globl	_ZN7rocprim17ROCPRIM_400000_NS6detail17trampoline_kernelINS0_14default_configENS1_38merge_sort_block_merge_config_selectorIsNS0_10empty_typeEEEZZNS1_27merge_sort_block_merge_implIS3_N6thrust23THRUST_200600_302600_NS6detail15normal_iteratorINS9_10device_ptrIsEEEEPS5_m14custom_greaterIsEEE10hipError_tT0_T1_T2_jT3_P12ihipStream_tbPNSt15iterator_traitsISJ_E10value_typeEPNSP_ISK_E10value_typeEPSL_NS1_7vsmem_tEENKUlT_SJ_SK_SL_E_clISE_PsSF_SF_EESI_SY_SJ_SK_SL_EUlSY_E0_NS1_11comp_targetILNS1_3genE8ELNS1_11target_archE1030ELNS1_3gpuE2ELNS1_3repE0EEENS1_38merge_mergepath_config_static_selectorELNS0_4arch9wavefront6targetE1EEEvSK_
	.p2align	8
	.type	_ZN7rocprim17ROCPRIM_400000_NS6detail17trampoline_kernelINS0_14default_configENS1_38merge_sort_block_merge_config_selectorIsNS0_10empty_typeEEEZZNS1_27merge_sort_block_merge_implIS3_N6thrust23THRUST_200600_302600_NS6detail15normal_iteratorINS9_10device_ptrIsEEEEPS5_m14custom_greaterIsEEE10hipError_tT0_T1_T2_jT3_P12ihipStream_tbPNSt15iterator_traitsISJ_E10value_typeEPNSP_ISK_E10value_typeEPSL_NS1_7vsmem_tEENKUlT_SJ_SK_SL_E_clISE_PsSF_SF_EESI_SY_SJ_SK_SL_EUlSY_E0_NS1_11comp_targetILNS1_3genE8ELNS1_11target_archE1030ELNS1_3gpuE2ELNS1_3repE0EEENS1_38merge_mergepath_config_static_selectorELNS0_4arch9wavefront6targetE1EEEvSK_,@function
_ZN7rocprim17ROCPRIM_400000_NS6detail17trampoline_kernelINS0_14default_configENS1_38merge_sort_block_merge_config_selectorIsNS0_10empty_typeEEEZZNS1_27merge_sort_block_merge_implIS3_N6thrust23THRUST_200600_302600_NS6detail15normal_iteratorINS9_10device_ptrIsEEEEPS5_m14custom_greaterIsEEE10hipError_tT0_T1_T2_jT3_P12ihipStream_tbPNSt15iterator_traitsISJ_E10value_typeEPNSP_ISK_E10value_typeEPSL_NS1_7vsmem_tEENKUlT_SJ_SK_SL_E_clISE_PsSF_SF_EESI_SY_SJ_SK_SL_EUlSY_E0_NS1_11comp_targetILNS1_3genE8ELNS1_11target_archE1030ELNS1_3gpuE2ELNS1_3repE0EEENS1_38merge_mergepath_config_static_selectorELNS0_4arch9wavefront6targetE1EEEvSK_: ; @_ZN7rocprim17ROCPRIM_400000_NS6detail17trampoline_kernelINS0_14default_configENS1_38merge_sort_block_merge_config_selectorIsNS0_10empty_typeEEEZZNS1_27merge_sort_block_merge_implIS3_N6thrust23THRUST_200600_302600_NS6detail15normal_iteratorINS9_10device_ptrIsEEEEPS5_m14custom_greaterIsEEE10hipError_tT0_T1_T2_jT3_P12ihipStream_tbPNSt15iterator_traitsISJ_E10value_typeEPNSP_ISK_E10value_typeEPSL_NS1_7vsmem_tEENKUlT_SJ_SK_SL_E_clISE_PsSF_SF_EESI_SY_SJ_SK_SL_EUlSY_E0_NS1_11comp_targetILNS1_3genE8ELNS1_11target_archE1030ELNS1_3gpuE2ELNS1_3repE0EEENS1_38merge_mergepath_config_static_selectorELNS0_4arch9wavefront6targetE1EEEvSK_
; %bb.0:
	.section	.rodata,"a",@progbits
	.p2align	6, 0x0
	.amdhsa_kernel _ZN7rocprim17ROCPRIM_400000_NS6detail17trampoline_kernelINS0_14default_configENS1_38merge_sort_block_merge_config_selectorIsNS0_10empty_typeEEEZZNS1_27merge_sort_block_merge_implIS3_N6thrust23THRUST_200600_302600_NS6detail15normal_iteratorINS9_10device_ptrIsEEEEPS5_m14custom_greaterIsEEE10hipError_tT0_T1_T2_jT3_P12ihipStream_tbPNSt15iterator_traitsISJ_E10value_typeEPNSP_ISK_E10value_typeEPSL_NS1_7vsmem_tEENKUlT_SJ_SK_SL_E_clISE_PsSF_SF_EESI_SY_SJ_SK_SL_EUlSY_E0_NS1_11comp_targetILNS1_3genE8ELNS1_11target_archE1030ELNS1_3gpuE2ELNS1_3repE0EEENS1_38merge_mergepath_config_static_selectorELNS0_4arch9wavefront6targetE1EEEvSK_
		.amdhsa_group_segment_fixed_size 0
		.amdhsa_private_segment_fixed_size 0
		.amdhsa_kernarg_size 72
		.amdhsa_user_sgpr_count 6
		.amdhsa_user_sgpr_private_segment_buffer 1
		.amdhsa_user_sgpr_dispatch_ptr 0
		.amdhsa_user_sgpr_queue_ptr 0
		.amdhsa_user_sgpr_kernarg_segment_ptr 1
		.amdhsa_user_sgpr_dispatch_id 0
		.amdhsa_user_sgpr_flat_scratch_init 0
		.amdhsa_user_sgpr_kernarg_preload_length 0
		.amdhsa_user_sgpr_kernarg_preload_offset 0
		.amdhsa_user_sgpr_private_segment_size 0
		.amdhsa_uses_dynamic_stack 0
		.amdhsa_system_sgpr_private_segment_wavefront_offset 0
		.amdhsa_system_sgpr_workgroup_id_x 1
		.amdhsa_system_sgpr_workgroup_id_y 0
		.amdhsa_system_sgpr_workgroup_id_z 0
		.amdhsa_system_sgpr_workgroup_info 0
		.amdhsa_system_vgpr_workitem_id 0
		.amdhsa_next_free_vgpr 1
		.amdhsa_next_free_sgpr 0
		.amdhsa_accum_offset 4
		.amdhsa_reserve_vcc 0
		.amdhsa_reserve_flat_scratch 0
		.amdhsa_float_round_mode_32 0
		.amdhsa_float_round_mode_16_64 0
		.amdhsa_float_denorm_mode_32 3
		.amdhsa_float_denorm_mode_16_64 3
		.amdhsa_dx10_clamp 1
		.amdhsa_ieee_mode 1
		.amdhsa_fp16_overflow 0
		.amdhsa_tg_split 0
		.amdhsa_exception_fp_ieee_invalid_op 0
		.amdhsa_exception_fp_denorm_src 0
		.amdhsa_exception_fp_ieee_div_zero 0
		.amdhsa_exception_fp_ieee_overflow 0
		.amdhsa_exception_fp_ieee_underflow 0
		.amdhsa_exception_fp_ieee_inexact 0
		.amdhsa_exception_int_div_zero 0
	.end_amdhsa_kernel
	.section	.text._ZN7rocprim17ROCPRIM_400000_NS6detail17trampoline_kernelINS0_14default_configENS1_38merge_sort_block_merge_config_selectorIsNS0_10empty_typeEEEZZNS1_27merge_sort_block_merge_implIS3_N6thrust23THRUST_200600_302600_NS6detail15normal_iteratorINS9_10device_ptrIsEEEEPS5_m14custom_greaterIsEEE10hipError_tT0_T1_T2_jT3_P12ihipStream_tbPNSt15iterator_traitsISJ_E10value_typeEPNSP_ISK_E10value_typeEPSL_NS1_7vsmem_tEENKUlT_SJ_SK_SL_E_clISE_PsSF_SF_EESI_SY_SJ_SK_SL_EUlSY_E0_NS1_11comp_targetILNS1_3genE8ELNS1_11target_archE1030ELNS1_3gpuE2ELNS1_3repE0EEENS1_38merge_mergepath_config_static_selectorELNS0_4arch9wavefront6targetE1EEEvSK_,"axG",@progbits,_ZN7rocprim17ROCPRIM_400000_NS6detail17trampoline_kernelINS0_14default_configENS1_38merge_sort_block_merge_config_selectorIsNS0_10empty_typeEEEZZNS1_27merge_sort_block_merge_implIS3_N6thrust23THRUST_200600_302600_NS6detail15normal_iteratorINS9_10device_ptrIsEEEEPS5_m14custom_greaterIsEEE10hipError_tT0_T1_T2_jT3_P12ihipStream_tbPNSt15iterator_traitsISJ_E10value_typeEPNSP_ISK_E10value_typeEPSL_NS1_7vsmem_tEENKUlT_SJ_SK_SL_E_clISE_PsSF_SF_EESI_SY_SJ_SK_SL_EUlSY_E0_NS1_11comp_targetILNS1_3genE8ELNS1_11target_archE1030ELNS1_3gpuE2ELNS1_3repE0EEENS1_38merge_mergepath_config_static_selectorELNS0_4arch9wavefront6targetE1EEEvSK_,comdat
.Lfunc_end2976:
	.size	_ZN7rocprim17ROCPRIM_400000_NS6detail17trampoline_kernelINS0_14default_configENS1_38merge_sort_block_merge_config_selectorIsNS0_10empty_typeEEEZZNS1_27merge_sort_block_merge_implIS3_N6thrust23THRUST_200600_302600_NS6detail15normal_iteratorINS9_10device_ptrIsEEEEPS5_m14custom_greaterIsEEE10hipError_tT0_T1_T2_jT3_P12ihipStream_tbPNSt15iterator_traitsISJ_E10value_typeEPNSP_ISK_E10value_typeEPSL_NS1_7vsmem_tEENKUlT_SJ_SK_SL_E_clISE_PsSF_SF_EESI_SY_SJ_SK_SL_EUlSY_E0_NS1_11comp_targetILNS1_3genE8ELNS1_11target_archE1030ELNS1_3gpuE2ELNS1_3repE0EEENS1_38merge_mergepath_config_static_selectorELNS0_4arch9wavefront6targetE1EEEvSK_, .Lfunc_end2976-_ZN7rocprim17ROCPRIM_400000_NS6detail17trampoline_kernelINS0_14default_configENS1_38merge_sort_block_merge_config_selectorIsNS0_10empty_typeEEEZZNS1_27merge_sort_block_merge_implIS3_N6thrust23THRUST_200600_302600_NS6detail15normal_iteratorINS9_10device_ptrIsEEEEPS5_m14custom_greaterIsEEE10hipError_tT0_T1_T2_jT3_P12ihipStream_tbPNSt15iterator_traitsISJ_E10value_typeEPNSP_ISK_E10value_typeEPSL_NS1_7vsmem_tEENKUlT_SJ_SK_SL_E_clISE_PsSF_SF_EESI_SY_SJ_SK_SL_EUlSY_E0_NS1_11comp_targetILNS1_3genE8ELNS1_11target_archE1030ELNS1_3gpuE2ELNS1_3repE0EEENS1_38merge_mergepath_config_static_selectorELNS0_4arch9wavefront6targetE1EEEvSK_
                                        ; -- End function
	.section	.AMDGPU.csdata,"",@progbits
; Kernel info:
; codeLenInByte = 0
; NumSgprs: 4
; NumVgprs: 0
; NumAgprs: 0
; TotalNumVgprs: 0
; ScratchSize: 0
; MemoryBound: 0
; FloatMode: 240
; IeeeMode: 1
; LDSByteSize: 0 bytes/workgroup (compile time only)
; SGPRBlocks: 0
; VGPRBlocks: 0
; NumSGPRsForWavesPerEU: 4
; NumVGPRsForWavesPerEU: 1
; AccumOffset: 4
; Occupancy: 8
; WaveLimiterHint : 0
; COMPUTE_PGM_RSRC2:SCRATCH_EN: 0
; COMPUTE_PGM_RSRC2:USER_SGPR: 6
; COMPUTE_PGM_RSRC2:TRAP_HANDLER: 0
; COMPUTE_PGM_RSRC2:TGID_X_EN: 1
; COMPUTE_PGM_RSRC2:TGID_Y_EN: 0
; COMPUTE_PGM_RSRC2:TGID_Z_EN: 0
; COMPUTE_PGM_RSRC2:TIDIG_COMP_CNT: 0
; COMPUTE_PGM_RSRC3_GFX90A:ACCUM_OFFSET: 0
; COMPUTE_PGM_RSRC3_GFX90A:TG_SPLIT: 0
	.section	.text._ZN7rocprim17ROCPRIM_400000_NS6detail17trampoline_kernelINS0_14default_configENS1_38merge_sort_block_merge_config_selectorIsNS0_10empty_typeEEEZZNS1_27merge_sort_block_merge_implIS3_N6thrust23THRUST_200600_302600_NS6detail15normal_iteratorINS9_10device_ptrIsEEEEPS5_m14custom_greaterIsEEE10hipError_tT0_T1_T2_jT3_P12ihipStream_tbPNSt15iterator_traitsISJ_E10value_typeEPNSP_ISK_E10value_typeEPSL_NS1_7vsmem_tEENKUlT_SJ_SK_SL_E_clISE_PsSF_SF_EESI_SY_SJ_SK_SL_EUlSY_E1_NS1_11comp_targetILNS1_3genE0ELNS1_11target_archE4294967295ELNS1_3gpuE0ELNS1_3repE0EEENS1_36merge_oddeven_config_static_selectorELNS0_4arch9wavefront6targetE1EEEvSK_,"axG",@progbits,_ZN7rocprim17ROCPRIM_400000_NS6detail17trampoline_kernelINS0_14default_configENS1_38merge_sort_block_merge_config_selectorIsNS0_10empty_typeEEEZZNS1_27merge_sort_block_merge_implIS3_N6thrust23THRUST_200600_302600_NS6detail15normal_iteratorINS9_10device_ptrIsEEEEPS5_m14custom_greaterIsEEE10hipError_tT0_T1_T2_jT3_P12ihipStream_tbPNSt15iterator_traitsISJ_E10value_typeEPNSP_ISK_E10value_typeEPSL_NS1_7vsmem_tEENKUlT_SJ_SK_SL_E_clISE_PsSF_SF_EESI_SY_SJ_SK_SL_EUlSY_E1_NS1_11comp_targetILNS1_3genE0ELNS1_11target_archE4294967295ELNS1_3gpuE0ELNS1_3repE0EEENS1_36merge_oddeven_config_static_selectorELNS0_4arch9wavefront6targetE1EEEvSK_,comdat
	.protected	_ZN7rocprim17ROCPRIM_400000_NS6detail17trampoline_kernelINS0_14default_configENS1_38merge_sort_block_merge_config_selectorIsNS0_10empty_typeEEEZZNS1_27merge_sort_block_merge_implIS3_N6thrust23THRUST_200600_302600_NS6detail15normal_iteratorINS9_10device_ptrIsEEEEPS5_m14custom_greaterIsEEE10hipError_tT0_T1_T2_jT3_P12ihipStream_tbPNSt15iterator_traitsISJ_E10value_typeEPNSP_ISK_E10value_typeEPSL_NS1_7vsmem_tEENKUlT_SJ_SK_SL_E_clISE_PsSF_SF_EESI_SY_SJ_SK_SL_EUlSY_E1_NS1_11comp_targetILNS1_3genE0ELNS1_11target_archE4294967295ELNS1_3gpuE0ELNS1_3repE0EEENS1_36merge_oddeven_config_static_selectorELNS0_4arch9wavefront6targetE1EEEvSK_ ; -- Begin function _ZN7rocprim17ROCPRIM_400000_NS6detail17trampoline_kernelINS0_14default_configENS1_38merge_sort_block_merge_config_selectorIsNS0_10empty_typeEEEZZNS1_27merge_sort_block_merge_implIS3_N6thrust23THRUST_200600_302600_NS6detail15normal_iteratorINS9_10device_ptrIsEEEEPS5_m14custom_greaterIsEEE10hipError_tT0_T1_T2_jT3_P12ihipStream_tbPNSt15iterator_traitsISJ_E10value_typeEPNSP_ISK_E10value_typeEPSL_NS1_7vsmem_tEENKUlT_SJ_SK_SL_E_clISE_PsSF_SF_EESI_SY_SJ_SK_SL_EUlSY_E1_NS1_11comp_targetILNS1_3genE0ELNS1_11target_archE4294967295ELNS1_3gpuE0ELNS1_3repE0EEENS1_36merge_oddeven_config_static_selectorELNS0_4arch9wavefront6targetE1EEEvSK_
	.globl	_ZN7rocprim17ROCPRIM_400000_NS6detail17trampoline_kernelINS0_14default_configENS1_38merge_sort_block_merge_config_selectorIsNS0_10empty_typeEEEZZNS1_27merge_sort_block_merge_implIS3_N6thrust23THRUST_200600_302600_NS6detail15normal_iteratorINS9_10device_ptrIsEEEEPS5_m14custom_greaterIsEEE10hipError_tT0_T1_T2_jT3_P12ihipStream_tbPNSt15iterator_traitsISJ_E10value_typeEPNSP_ISK_E10value_typeEPSL_NS1_7vsmem_tEENKUlT_SJ_SK_SL_E_clISE_PsSF_SF_EESI_SY_SJ_SK_SL_EUlSY_E1_NS1_11comp_targetILNS1_3genE0ELNS1_11target_archE4294967295ELNS1_3gpuE0ELNS1_3repE0EEENS1_36merge_oddeven_config_static_selectorELNS0_4arch9wavefront6targetE1EEEvSK_
	.p2align	8
	.type	_ZN7rocprim17ROCPRIM_400000_NS6detail17trampoline_kernelINS0_14default_configENS1_38merge_sort_block_merge_config_selectorIsNS0_10empty_typeEEEZZNS1_27merge_sort_block_merge_implIS3_N6thrust23THRUST_200600_302600_NS6detail15normal_iteratorINS9_10device_ptrIsEEEEPS5_m14custom_greaterIsEEE10hipError_tT0_T1_T2_jT3_P12ihipStream_tbPNSt15iterator_traitsISJ_E10value_typeEPNSP_ISK_E10value_typeEPSL_NS1_7vsmem_tEENKUlT_SJ_SK_SL_E_clISE_PsSF_SF_EESI_SY_SJ_SK_SL_EUlSY_E1_NS1_11comp_targetILNS1_3genE0ELNS1_11target_archE4294967295ELNS1_3gpuE0ELNS1_3repE0EEENS1_36merge_oddeven_config_static_selectorELNS0_4arch9wavefront6targetE1EEEvSK_,@function
_ZN7rocprim17ROCPRIM_400000_NS6detail17trampoline_kernelINS0_14default_configENS1_38merge_sort_block_merge_config_selectorIsNS0_10empty_typeEEEZZNS1_27merge_sort_block_merge_implIS3_N6thrust23THRUST_200600_302600_NS6detail15normal_iteratorINS9_10device_ptrIsEEEEPS5_m14custom_greaterIsEEE10hipError_tT0_T1_T2_jT3_P12ihipStream_tbPNSt15iterator_traitsISJ_E10value_typeEPNSP_ISK_E10value_typeEPSL_NS1_7vsmem_tEENKUlT_SJ_SK_SL_E_clISE_PsSF_SF_EESI_SY_SJ_SK_SL_EUlSY_E1_NS1_11comp_targetILNS1_3genE0ELNS1_11target_archE4294967295ELNS1_3gpuE0ELNS1_3repE0EEENS1_36merge_oddeven_config_static_selectorELNS0_4arch9wavefront6targetE1EEEvSK_: ; @_ZN7rocprim17ROCPRIM_400000_NS6detail17trampoline_kernelINS0_14default_configENS1_38merge_sort_block_merge_config_selectorIsNS0_10empty_typeEEEZZNS1_27merge_sort_block_merge_implIS3_N6thrust23THRUST_200600_302600_NS6detail15normal_iteratorINS9_10device_ptrIsEEEEPS5_m14custom_greaterIsEEE10hipError_tT0_T1_T2_jT3_P12ihipStream_tbPNSt15iterator_traitsISJ_E10value_typeEPNSP_ISK_E10value_typeEPSL_NS1_7vsmem_tEENKUlT_SJ_SK_SL_E_clISE_PsSF_SF_EESI_SY_SJ_SK_SL_EUlSY_E1_NS1_11comp_targetILNS1_3genE0ELNS1_11target_archE4294967295ELNS1_3gpuE0ELNS1_3repE0EEENS1_36merge_oddeven_config_static_selectorELNS0_4arch9wavefront6targetE1EEEvSK_
; %bb.0:
	.section	.rodata,"a",@progbits
	.p2align	6, 0x0
	.amdhsa_kernel _ZN7rocprim17ROCPRIM_400000_NS6detail17trampoline_kernelINS0_14default_configENS1_38merge_sort_block_merge_config_selectorIsNS0_10empty_typeEEEZZNS1_27merge_sort_block_merge_implIS3_N6thrust23THRUST_200600_302600_NS6detail15normal_iteratorINS9_10device_ptrIsEEEEPS5_m14custom_greaterIsEEE10hipError_tT0_T1_T2_jT3_P12ihipStream_tbPNSt15iterator_traitsISJ_E10value_typeEPNSP_ISK_E10value_typeEPSL_NS1_7vsmem_tEENKUlT_SJ_SK_SL_E_clISE_PsSF_SF_EESI_SY_SJ_SK_SL_EUlSY_E1_NS1_11comp_targetILNS1_3genE0ELNS1_11target_archE4294967295ELNS1_3gpuE0ELNS1_3repE0EEENS1_36merge_oddeven_config_static_selectorELNS0_4arch9wavefront6targetE1EEEvSK_
		.amdhsa_group_segment_fixed_size 0
		.amdhsa_private_segment_fixed_size 0
		.amdhsa_kernarg_size 56
		.amdhsa_user_sgpr_count 6
		.amdhsa_user_sgpr_private_segment_buffer 1
		.amdhsa_user_sgpr_dispatch_ptr 0
		.amdhsa_user_sgpr_queue_ptr 0
		.amdhsa_user_sgpr_kernarg_segment_ptr 1
		.amdhsa_user_sgpr_dispatch_id 0
		.amdhsa_user_sgpr_flat_scratch_init 0
		.amdhsa_user_sgpr_kernarg_preload_length 0
		.amdhsa_user_sgpr_kernarg_preload_offset 0
		.amdhsa_user_sgpr_private_segment_size 0
		.amdhsa_uses_dynamic_stack 0
		.amdhsa_system_sgpr_private_segment_wavefront_offset 0
		.amdhsa_system_sgpr_workgroup_id_x 1
		.amdhsa_system_sgpr_workgroup_id_y 0
		.amdhsa_system_sgpr_workgroup_id_z 0
		.amdhsa_system_sgpr_workgroup_info 0
		.amdhsa_system_vgpr_workitem_id 0
		.amdhsa_next_free_vgpr 1
		.amdhsa_next_free_sgpr 0
		.amdhsa_accum_offset 4
		.amdhsa_reserve_vcc 0
		.amdhsa_reserve_flat_scratch 0
		.amdhsa_float_round_mode_32 0
		.amdhsa_float_round_mode_16_64 0
		.amdhsa_float_denorm_mode_32 3
		.amdhsa_float_denorm_mode_16_64 3
		.amdhsa_dx10_clamp 1
		.amdhsa_ieee_mode 1
		.amdhsa_fp16_overflow 0
		.amdhsa_tg_split 0
		.amdhsa_exception_fp_ieee_invalid_op 0
		.amdhsa_exception_fp_denorm_src 0
		.amdhsa_exception_fp_ieee_div_zero 0
		.amdhsa_exception_fp_ieee_overflow 0
		.amdhsa_exception_fp_ieee_underflow 0
		.amdhsa_exception_fp_ieee_inexact 0
		.amdhsa_exception_int_div_zero 0
	.end_amdhsa_kernel
	.section	.text._ZN7rocprim17ROCPRIM_400000_NS6detail17trampoline_kernelINS0_14default_configENS1_38merge_sort_block_merge_config_selectorIsNS0_10empty_typeEEEZZNS1_27merge_sort_block_merge_implIS3_N6thrust23THRUST_200600_302600_NS6detail15normal_iteratorINS9_10device_ptrIsEEEEPS5_m14custom_greaterIsEEE10hipError_tT0_T1_T2_jT3_P12ihipStream_tbPNSt15iterator_traitsISJ_E10value_typeEPNSP_ISK_E10value_typeEPSL_NS1_7vsmem_tEENKUlT_SJ_SK_SL_E_clISE_PsSF_SF_EESI_SY_SJ_SK_SL_EUlSY_E1_NS1_11comp_targetILNS1_3genE0ELNS1_11target_archE4294967295ELNS1_3gpuE0ELNS1_3repE0EEENS1_36merge_oddeven_config_static_selectorELNS0_4arch9wavefront6targetE1EEEvSK_,"axG",@progbits,_ZN7rocprim17ROCPRIM_400000_NS6detail17trampoline_kernelINS0_14default_configENS1_38merge_sort_block_merge_config_selectorIsNS0_10empty_typeEEEZZNS1_27merge_sort_block_merge_implIS3_N6thrust23THRUST_200600_302600_NS6detail15normal_iteratorINS9_10device_ptrIsEEEEPS5_m14custom_greaterIsEEE10hipError_tT0_T1_T2_jT3_P12ihipStream_tbPNSt15iterator_traitsISJ_E10value_typeEPNSP_ISK_E10value_typeEPSL_NS1_7vsmem_tEENKUlT_SJ_SK_SL_E_clISE_PsSF_SF_EESI_SY_SJ_SK_SL_EUlSY_E1_NS1_11comp_targetILNS1_3genE0ELNS1_11target_archE4294967295ELNS1_3gpuE0ELNS1_3repE0EEENS1_36merge_oddeven_config_static_selectorELNS0_4arch9wavefront6targetE1EEEvSK_,comdat
.Lfunc_end2977:
	.size	_ZN7rocprim17ROCPRIM_400000_NS6detail17trampoline_kernelINS0_14default_configENS1_38merge_sort_block_merge_config_selectorIsNS0_10empty_typeEEEZZNS1_27merge_sort_block_merge_implIS3_N6thrust23THRUST_200600_302600_NS6detail15normal_iteratorINS9_10device_ptrIsEEEEPS5_m14custom_greaterIsEEE10hipError_tT0_T1_T2_jT3_P12ihipStream_tbPNSt15iterator_traitsISJ_E10value_typeEPNSP_ISK_E10value_typeEPSL_NS1_7vsmem_tEENKUlT_SJ_SK_SL_E_clISE_PsSF_SF_EESI_SY_SJ_SK_SL_EUlSY_E1_NS1_11comp_targetILNS1_3genE0ELNS1_11target_archE4294967295ELNS1_3gpuE0ELNS1_3repE0EEENS1_36merge_oddeven_config_static_selectorELNS0_4arch9wavefront6targetE1EEEvSK_, .Lfunc_end2977-_ZN7rocprim17ROCPRIM_400000_NS6detail17trampoline_kernelINS0_14default_configENS1_38merge_sort_block_merge_config_selectorIsNS0_10empty_typeEEEZZNS1_27merge_sort_block_merge_implIS3_N6thrust23THRUST_200600_302600_NS6detail15normal_iteratorINS9_10device_ptrIsEEEEPS5_m14custom_greaterIsEEE10hipError_tT0_T1_T2_jT3_P12ihipStream_tbPNSt15iterator_traitsISJ_E10value_typeEPNSP_ISK_E10value_typeEPSL_NS1_7vsmem_tEENKUlT_SJ_SK_SL_E_clISE_PsSF_SF_EESI_SY_SJ_SK_SL_EUlSY_E1_NS1_11comp_targetILNS1_3genE0ELNS1_11target_archE4294967295ELNS1_3gpuE0ELNS1_3repE0EEENS1_36merge_oddeven_config_static_selectorELNS0_4arch9wavefront6targetE1EEEvSK_
                                        ; -- End function
	.section	.AMDGPU.csdata,"",@progbits
; Kernel info:
; codeLenInByte = 0
; NumSgprs: 4
; NumVgprs: 0
; NumAgprs: 0
; TotalNumVgprs: 0
; ScratchSize: 0
; MemoryBound: 0
; FloatMode: 240
; IeeeMode: 1
; LDSByteSize: 0 bytes/workgroup (compile time only)
; SGPRBlocks: 0
; VGPRBlocks: 0
; NumSGPRsForWavesPerEU: 4
; NumVGPRsForWavesPerEU: 1
; AccumOffset: 4
; Occupancy: 8
; WaveLimiterHint : 0
; COMPUTE_PGM_RSRC2:SCRATCH_EN: 0
; COMPUTE_PGM_RSRC2:USER_SGPR: 6
; COMPUTE_PGM_RSRC2:TRAP_HANDLER: 0
; COMPUTE_PGM_RSRC2:TGID_X_EN: 1
; COMPUTE_PGM_RSRC2:TGID_Y_EN: 0
; COMPUTE_PGM_RSRC2:TGID_Z_EN: 0
; COMPUTE_PGM_RSRC2:TIDIG_COMP_CNT: 0
; COMPUTE_PGM_RSRC3_GFX90A:ACCUM_OFFSET: 0
; COMPUTE_PGM_RSRC3_GFX90A:TG_SPLIT: 0
	.section	.text._ZN7rocprim17ROCPRIM_400000_NS6detail17trampoline_kernelINS0_14default_configENS1_38merge_sort_block_merge_config_selectorIsNS0_10empty_typeEEEZZNS1_27merge_sort_block_merge_implIS3_N6thrust23THRUST_200600_302600_NS6detail15normal_iteratorINS9_10device_ptrIsEEEEPS5_m14custom_greaterIsEEE10hipError_tT0_T1_T2_jT3_P12ihipStream_tbPNSt15iterator_traitsISJ_E10value_typeEPNSP_ISK_E10value_typeEPSL_NS1_7vsmem_tEENKUlT_SJ_SK_SL_E_clISE_PsSF_SF_EESI_SY_SJ_SK_SL_EUlSY_E1_NS1_11comp_targetILNS1_3genE10ELNS1_11target_archE1201ELNS1_3gpuE5ELNS1_3repE0EEENS1_36merge_oddeven_config_static_selectorELNS0_4arch9wavefront6targetE1EEEvSK_,"axG",@progbits,_ZN7rocprim17ROCPRIM_400000_NS6detail17trampoline_kernelINS0_14default_configENS1_38merge_sort_block_merge_config_selectorIsNS0_10empty_typeEEEZZNS1_27merge_sort_block_merge_implIS3_N6thrust23THRUST_200600_302600_NS6detail15normal_iteratorINS9_10device_ptrIsEEEEPS5_m14custom_greaterIsEEE10hipError_tT0_T1_T2_jT3_P12ihipStream_tbPNSt15iterator_traitsISJ_E10value_typeEPNSP_ISK_E10value_typeEPSL_NS1_7vsmem_tEENKUlT_SJ_SK_SL_E_clISE_PsSF_SF_EESI_SY_SJ_SK_SL_EUlSY_E1_NS1_11comp_targetILNS1_3genE10ELNS1_11target_archE1201ELNS1_3gpuE5ELNS1_3repE0EEENS1_36merge_oddeven_config_static_selectorELNS0_4arch9wavefront6targetE1EEEvSK_,comdat
	.protected	_ZN7rocprim17ROCPRIM_400000_NS6detail17trampoline_kernelINS0_14default_configENS1_38merge_sort_block_merge_config_selectorIsNS0_10empty_typeEEEZZNS1_27merge_sort_block_merge_implIS3_N6thrust23THRUST_200600_302600_NS6detail15normal_iteratorINS9_10device_ptrIsEEEEPS5_m14custom_greaterIsEEE10hipError_tT0_T1_T2_jT3_P12ihipStream_tbPNSt15iterator_traitsISJ_E10value_typeEPNSP_ISK_E10value_typeEPSL_NS1_7vsmem_tEENKUlT_SJ_SK_SL_E_clISE_PsSF_SF_EESI_SY_SJ_SK_SL_EUlSY_E1_NS1_11comp_targetILNS1_3genE10ELNS1_11target_archE1201ELNS1_3gpuE5ELNS1_3repE0EEENS1_36merge_oddeven_config_static_selectorELNS0_4arch9wavefront6targetE1EEEvSK_ ; -- Begin function _ZN7rocprim17ROCPRIM_400000_NS6detail17trampoline_kernelINS0_14default_configENS1_38merge_sort_block_merge_config_selectorIsNS0_10empty_typeEEEZZNS1_27merge_sort_block_merge_implIS3_N6thrust23THRUST_200600_302600_NS6detail15normal_iteratorINS9_10device_ptrIsEEEEPS5_m14custom_greaterIsEEE10hipError_tT0_T1_T2_jT3_P12ihipStream_tbPNSt15iterator_traitsISJ_E10value_typeEPNSP_ISK_E10value_typeEPSL_NS1_7vsmem_tEENKUlT_SJ_SK_SL_E_clISE_PsSF_SF_EESI_SY_SJ_SK_SL_EUlSY_E1_NS1_11comp_targetILNS1_3genE10ELNS1_11target_archE1201ELNS1_3gpuE5ELNS1_3repE0EEENS1_36merge_oddeven_config_static_selectorELNS0_4arch9wavefront6targetE1EEEvSK_
	.globl	_ZN7rocprim17ROCPRIM_400000_NS6detail17trampoline_kernelINS0_14default_configENS1_38merge_sort_block_merge_config_selectorIsNS0_10empty_typeEEEZZNS1_27merge_sort_block_merge_implIS3_N6thrust23THRUST_200600_302600_NS6detail15normal_iteratorINS9_10device_ptrIsEEEEPS5_m14custom_greaterIsEEE10hipError_tT0_T1_T2_jT3_P12ihipStream_tbPNSt15iterator_traitsISJ_E10value_typeEPNSP_ISK_E10value_typeEPSL_NS1_7vsmem_tEENKUlT_SJ_SK_SL_E_clISE_PsSF_SF_EESI_SY_SJ_SK_SL_EUlSY_E1_NS1_11comp_targetILNS1_3genE10ELNS1_11target_archE1201ELNS1_3gpuE5ELNS1_3repE0EEENS1_36merge_oddeven_config_static_selectorELNS0_4arch9wavefront6targetE1EEEvSK_
	.p2align	8
	.type	_ZN7rocprim17ROCPRIM_400000_NS6detail17trampoline_kernelINS0_14default_configENS1_38merge_sort_block_merge_config_selectorIsNS0_10empty_typeEEEZZNS1_27merge_sort_block_merge_implIS3_N6thrust23THRUST_200600_302600_NS6detail15normal_iteratorINS9_10device_ptrIsEEEEPS5_m14custom_greaterIsEEE10hipError_tT0_T1_T2_jT3_P12ihipStream_tbPNSt15iterator_traitsISJ_E10value_typeEPNSP_ISK_E10value_typeEPSL_NS1_7vsmem_tEENKUlT_SJ_SK_SL_E_clISE_PsSF_SF_EESI_SY_SJ_SK_SL_EUlSY_E1_NS1_11comp_targetILNS1_3genE10ELNS1_11target_archE1201ELNS1_3gpuE5ELNS1_3repE0EEENS1_36merge_oddeven_config_static_selectorELNS0_4arch9wavefront6targetE1EEEvSK_,@function
_ZN7rocprim17ROCPRIM_400000_NS6detail17trampoline_kernelINS0_14default_configENS1_38merge_sort_block_merge_config_selectorIsNS0_10empty_typeEEEZZNS1_27merge_sort_block_merge_implIS3_N6thrust23THRUST_200600_302600_NS6detail15normal_iteratorINS9_10device_ptrIsEEEEPS5_m14custom_greaterIsEEE10hipError_tT0_T1_T2_jT3_P12ihipStream_tbPNSt15iterator_traitsISJ_E10value_typeEPNSP_ISK_E10value_typeEPSL_NS1_7vsmem_tEENKUlT_SJ_SK_SL_E_clISE_PsSF_SF_EESI_SY_SJ_SK_SL_EUlSY_E1_NS1_11comp_targetILNS1_3genE10ELNS1_11target_archE1201ELNS1_3gpuE5ELNS1_3repE0EEENS1_36merge_oddeven_config_static_selectorELNS0_4arch9wavefront6targetE1EEEvSK_: ; @_ZN7rocprim17ROCPRIM_400000_NS6detail17trampoline_kernelINS0_14default_configENS1_38merge_sort_block_merge_config_selectorIsNS0_10empty_typeEEEZZNS1_27merge_sort_block_merge_implIS3_N6thrust23THRUST_200600_302600_NS6detail15normal_iteratorINS9_10device_ptrIsEEEEPS5_m14custom_greaterIsEEE10hipError_tT0_T1_T2_jT3_P12ihipStream_tbPNSt15iterator_traitsISJ_E10value_typeEPNSP_ISK_E10value_typeEPSL_NS1_7vsmem_tEENKUlT_SJ_SK_SL_E_clISE_PsSF_SF_EESI_SY_SJ_SK_SL_EUlSY_E1_NS1_11comp_targetILNS1_3genE10ELNS1_11target_archE1201ELNS1_3gpuE5ELNS1_3repE0EEENS1_36merge_oddeven_config_static_selectorELNS0_4arch9wavefront6targetE1EEEvSK_
; %bb.0:
	.section	.rodata,"a",@progbits
	.p2align	6, 0x0
	.amdhsa_kernel _ZN7rocprim17ROCPRIM_400000_NS6detail17trampoline_kernelINS0_14default_configENS1_38merge_sort_block_merge_config_selectorIsNS0_10empty_typeEEEZZNS1_27merge_sort_block_merge_implIS3_N6thrust23THRUST_200600_302600_NS6detail15normal_iteratorINS9_10device_ptrIsEEEEPS5_m14custom_greaterIsEEE10hipError_tT0_T1_T2_jT3_P12ihipStream_tbPNSt15iterator_traitsISJ_E10value_typeEPNSP_ISK_E10value_typeEPSL_NS1_7vsmem_tEENKUlT_SJ_SK_SL_E_clISE_PsSF_SF_EESI_SY_SJ_SK_SL_EUlSY_E1_NS1_11comp_targetILNS1_3genE10ELNS1_11target_archE1201ELNS1_3gpuE5ELNS1_3repE0EEENS1_36merge_oddeven_config_static_selectorELNS0_4arch9wavefront6targetE1EEEvSK_
		.amdhsa_group_segment_fixed_size 0
		.amdhsa_private_segment_fixed_size 0
		.amdhsa_kernarg_size 56
		.amdhsa_user_sgpr_count 6
		.amdhsa_user_sgpr_private_segment_buffer 1
		.amdhsa_user_sgpr_dispatch_ptr 0
		.amdhsa_user_sgpr_queue_ptr 0
		.amdhsa_user_sgpr_kernarg_segment_ptr 1
		.amdhsa_user_sgpr_dispatch_id 0
		.amdhsa_user_sgpr_flat_scratch_init 0
		.amdhsa_user_sgpr_kernarg_preload_length 0
		.amdhsa_user_sgpr_kernarg_preload_offset 0
		.amdhsa_user_sgpr_private_segment_size 0
		.amdhsa_uses_dynamic_stack 0
		.amdhsa_system_sgpr_private_segment_wavefront_offset 0
		.amdhsa_system_sgpr_workgroup_id_x 1
		.amdhsa_system_sgpr_workgroup_id_y 0
		.amdhsa_system_sgpr_workgroup_id_z 0
		.amdhsa_system_sgpr_workgroup_info 0
		.amdhsa_system_vgpr_workitem_id 0
		.amdhsa_next_free_vgpr 1
		.amdhsa_next_free_sgpr 0
		.amdhsa_accum_offset 4
		.amdhsa_reserve_vcc 0
		.amdhsa_reserve_flat_scratch 0
		.amdhsa_float_round_mode_32 0
		.amdhsa_float_round_mode_16_64 0
		.amdhsa_float_denorm_mode_32 3
		.amdhsa_float_denorm_mode_16_64 3
		.amdhsa_dx10_clamp 1
		.amdhsa_ieee_mode 1
		.amdhsa_fp16_overflow 0
		.amdhsa_tg_split 0
		.amdhsa_exception_fp_ieee_invalid_op 0
		.amdhsa_exception_fp_denorm_src 0
		.amdhsa_exception_fp_ieee_div_zero 0
		.amdhsa_exception_fp_ieee_overflow 0
		.amdhsa_exception_fp_ieee_underflow 0
		.amdhsa_exception_fp_ieee_inexact 0
		.amdhsa_exception_int_div_zero 0
	.end_amdhsa_kernel
	.section	.text._ZN7rocprim17ROCPRIM_400000_NS6detail17trampoline_kernelINS0_14default_configENS1_38merge_sort_block_merge_config_selectorIsNS0_10empty_typeEEEZZNS1_27merge_sort_block_merge_implIS3_N6thrust23THRUST_200600_302600_NS6detail15normal_iteratorINS9_10device_ptrIsEEEEPS5_m14custom_greaterIsEEE10hipError_tT0_T1_T2_jT3_P12ihipStream_tbPNSt15iterator_traitsISJ_E10value_typeEPNSP_ISK_E10value_typeEPSL_NS1_7vsmem_tEENKUlT_SJ_SK_SL_E_clISE_PsSF_SF_EESI_SY_SJ_SK_SL_EUlSY_E1_NS1_11comp_targetILNS1_3genE10ELNS1_11target_archE1201ELNS1_3gpuE5ELNS1_3repE0EEENS1_36merge_oddeven_config_static_selectorELNS0_4arch9wavefront6targetE1EEEvSK_,"axG",@progbits,_ZN7rocprim17ROCPRIM_400000_NS6detail17trampoline_kernelINS0_14default_configENS1_38merge_sort_block_merge_config_selectorIsNS0_10empty_typeEEEZZNS1_27merge_sort_block_merge_implIS3_N6thrust23THRUST_200600_302600_NS6detail15normal_iteratorINS9_10device_ptrIsEEEEPS5_m14custom_greaterIsEEE10hipError_tT0_T1_T2_jT3_P12ihipStream_tbPNSt15iterator_traitsISJ_E10value_typeEPNSP_ISK_E10value_typeEPSL_NS1_7vsmem_tEENKUlT_SJ_SK_SL_E_clISE_PsSF_SF_EESI_SY_SJ_SK_SL_EUlSY_E1_NS1_11comp_targetILNS1_3genE10ELNS1_11target_archE1201ELNS1_3gpuE5ELNS1_3repE0EEENS1_36merge_oddeven_config_static_selectorELNS0_4arch9wavefront6targetE1EEEvSK_,comdat
.Lfunc_end2978:
	.size	_ZN7rocprim17ROCPRIM_400000_NS6detail17trampoline_kernelINS0_14default_configENS1_38merge_sort_block_merge_config_selectorIsNS0_10empty_typeEEEZZNS1_27merge_sort_block_merge_implIS3_N6thrust23THRUST_200600_302600_NS6detail15normal_iteratorINS9_10device_ptrIsEEEEPS5_m14custom_greaterIsEEE10hipError_tT0_T1_T2_jT3_P12ihipStream_tbPNSt15iterator_traitsISJ_E10value_typeEPNSP_ISK_E10value_typeEPSL_NS1_7vsmem_tEENKUlT_SJ_SK_SL_E_clISE_PsSF_SF_EESI_SY_SJ_SK_SL_EUlSY_E1_NS1_11comp_targetILNS1_3genE10ELNS1_11target_archE1201ELNS1_3gpuE5ELNS1_3repE0EEENS1_36merge_oddeven_config_static_selectorELNS0_4arch9wavefront6targetE1EEEvSK_, .Lfunc_end2978-_ZN7rocprim17ROCPRIM_400000_NS6detail17trampoline_kernelINS0_14default_configENS1_38merge_sort_block_merge_config_selectorIsNS0_10empty_typeEEEZZNS1_27merge_sort_block_merge_implIS3_N6thrust23THRUST_200600_302600_NS6detail15normal_iteratorINS9_10device_ptrIsEEEEPS5_m14custom_greaterIsEEE10hipError_tT0_T1_T2_jT3_P12ihipStream_tbPNSt15iterator_traitsISJ_E10value_typeEPNSP_ISK_E10value_typeEPSL_NS1_7vsmem_tEENKUlT_SJ_SK_SL_E_clISE_PsSF_SF_EESI_SY_SJ_SK_SL_EUlSY_E1_NS1_11comp_targetILNS1_3genE10ELNS1_11target_archE1201ELNS1_3gpuE5ELNS1_3repE0EEENS1_36merge_oddeven_config_static_selectorELNS0_4arch9wavefront6targetE1EEEvSK_
                                        ; -- End function
	.section	.AMDGPU.csdata,"",@progbits
; Kernel info:
; codeLenInByte = 0
; NumSgprs: 4
; NumVgprs: 0
; NumAgprs: 0
; TotalNumVgprs: 0
; ScratchSize: 0
; MemoryBound: 0
; FloatMode: 240
; IeeeMode: 1
; LDSByteSize: 0 bytes/workgroup (compile time only)
; SGPRBlocks: 0
; VGPRBlocks: 0
; NumSGPRsForWavesPerEU: 4
; NumVGPRsForWavesPerEU: 1
; AccumOffset: 4
; Occupancy: 8
; WaveLimiterHint : 0
; COMPUTE_PGM_RSRC2:SCRATCH_EN: 0
; COMPUTE_PGM_RSRC2:USER_SGPR: 6
; COMPUTE_PGM_RSRC2:TRAP_HANDLER: 0
; COMPUTE_PGM_RSRC2:TGID_X_EN: 1
; COMPUTE_PGM_RSRC2:TGID_Y_EN: 0
; COMPUTE_PGM_RSRC2:TGID_Z_EN: 0
; COMPUTE_PGM_RSRC2:TIDIG_COMP_CNT: 0
; COMPUTE_PGM_RSRC3_GFX90A:ACCUM_OFFSET: 0
; COMPUTE_PGM_RSRC3_GFX90A:TG_SPLIT: 0
	.section	.text._ZN7rocprim17ROCPRIM_400000_NS6detail17trampoline_kernelINS0_14default_configENS1_38merge_sort_block_merge_config_selectorIsNS0_10empty_typeEEEZZNS1_27merge_sort_block_merge_implIS3_N6thrust23THRUST_200600_302600_NS6detail15normal_iteratorINS9_10device_ptrIsEEEEPS5_m14custom_greaterIsEEE10hipError_tT0_T1_T2_jT3_P12ihipStream_tbPNSt15iterator_traitsISJ_E10value_typeEPNSP_ISK_E10value_typeEPSL_NS1_7vsmem_tEENKUlT_SJ_SK_SL_E_clISE_PsSF_SF_EESI_SY_SJ_SK_SL_EUlSY_E1_NS1_11comp_targetILNS1_3genE5ELNS1_11target_archE942ELNS1_3gpuE9ELNS1_3repE0EEENS1_36merge_oddeven_config_static_selectorELNS0_4arch9wavefront6targetE1EEEvSK_,"axG",@progbits,_ZN7rocprim17ROCPRIM_400000_NS6detail17trampoline_kernelINS0_14default_configENS1_38merge_sort_block_merge_config_selectorIsNS0_10empty_typeEEEZZNS1_27merge_sort_block_merge_implIS3_N6thrust23THRUST_200600_302600_NS6detail15normal_iteratorINS9_10device_ptrIsEEEEPS5_m14custom_greaterIsEEE10hipError_tT0_T1_T2_jT3_P12ihipStream_tbPNSt15iterator_traitsISJ_E10value_typeEPNSP_ISK_E10value_typeEPSL_NS1_7vsmem_tEENKUlT_SJ_SK_SL_E_clISE_PsSF_SF_EESI_SY_SJ_SK_SL_EUlSY_E1_NS1_11comp_targetILNS1_3genE5ELNS1_11target_archE942ELNS1_3gpuE9ELNS1_3repE0EEENS1_36merge_oddeven_config_static_selectorELNS0_4arch9wavefront6targetE1EEEvSK_,comdat
	.protected	_ZN7rocprim17ROCPRIM_400000_NS6detail17trampoline_kernelINS0_14default_configENS1_38merge_sort_block_merge_config_selectorIsNS0_10empty_typeEEEZZNS1_27merge_sort_block_merge_implIS3_N6thrust23THRUST_200600_302600_NS6detail15normal_iteratorINS9_10device_ptrIsEEEEPS5_m14custom_greaterIsEEE10hipError_tT0_T1_T2_jT3_P12ihipStream_tbPNSt15iterator_traitsISJ_E10value_typeEPNSP_ISK_E10value_typeEPSL_NS1_7vsmem_tEENKUlT_SJ_SK_SL_E_clISE_PsSF_SF_EESI_SY_SJ_SK_SL_EUlSY_E1_NS1_11comp_targetILNS1_3genE5ELNS1_11target_archE942ELNS1_3gpuE9ELNS1_3repE0EEENS1_36merge_oddeven_config_static_selectorELNS0_4arch9wavefront6targetE1EEEvSK_ ; -- Begin function _ZN7rocprim17ROCPRIM_400000_NS6detail17trampoline_kernelINS0_14default_configENS1_38merge_sort_block_merge_config_selectorIsNS0_10empty_typeEEEZZNS1_27merge_sort_block_merge_implIS3_N6thrust23THRUST_200600_302600_NS6detail15normal_iteratorINS9_10device_ptrIsEEEEPS5_m14custom_greaterIsEEE10hipError_tT0_T1_T2_jT3_P12ihipStream_tbPNSt15iterator_traitsISJ_E10value_typeEPNSP_ISK_E10value_typeEPSL_NS1_7vsmem_tEENKUlT_SJ_SK_SL_E_clISE_PsSF_SF_EESI_SY_SJ_SK_SL_EUlSY_E1_NS1_11comp_targetILNS1_3genE5ELNS1_11target_archE942ELNS1_3gpuE9ELNS1_3repE0EEENS1_36merge_oddeven_config_static_selectorELNS0_4arch9wavefront6targetE1EEEvSK_
	.globl	_ZN7rocprim17ROCPRIM_400000_NS6detail17trampoline_kernelINS0_14default_configENS1_38merge_sort_block_merge_config_selectorIsNS0_10empty_typeEEEZZNS1_27merge_sort_block_merge_implIS3_N6thrust23THRUST_200600_302600_NS6detail15normal_iteratorINS9_10device_ptrIsEEEEPS5_m14custom_greaterIsEEE10hipError_tT0_T1_T2_jT3_P12ihipStream_tbPNSt15iterator_traitsISJ_E10value_typeEPNSP_ISK_E10value_typeEPSL_NS1_7vsmem_tEENKUlT_SJ_SK_SL_E_clISE_PsSF_SF_EESI_SY_SJ_SK_SL_EUlSY_E1_NS1_11comp_targetILNS1_3genE5ELNS1_11target_archE942ELNS1_3gpuE9ELNS1_3repE0EEENS1_36merge_oddeven_config_static_selectorELNS0_4arch9wavefront6targetE1EEEvSK_
	.p2align	8
	.type	_ZN7rocprim17ROCPRIM_400000_NS6detail17trampoline_kernelINS0_14default_configENS1_38merge_sort_block_merge_config_selectorIsNS0_10empty_typeEEEZZNS1_27merge_sort_block_merge_implIS3_N6thrust23THRUST_200600_302600_NS6detail15normal_iteratorINS9_10device_ptrIsEEEEPS5_m14custom_greaterIsEEE10hipError_tT0_T1_T2_jT3_P12ihipStream_tbPNSt15iterator_traitsISJ_E10value_typeEPNSP_ISK_E10value_typeEPSL_NS1_7vsmem_tEENKUlT_SJ_SK_SL_E_clISE_PsSF_SF_EESI_SY_SJ_SK_SL_EUlSY_E1_NS1_11comp_targetILNS1_3genE5ELNS1_11target_archE942ELNS1_3gpuE9ELNS1_3repE0EEENS1_36merge_oddeven_config_static_selectorELNS0_4arch9wavefront6targetE1EEEvSK_,@function
_ZN7rocprim17ROCPRIM_400000_NS6detail17trampoline_kernelINS0_14default_configENS1_38merge_sort_block_merge_config_selectorIsNS0_10empty_typeEEEZZNS1_27merge_sort_block_merge_implIS3_N6thrust23THRUST_200600_302600_NS6detail15normal_iteratorINS9_10device_ptrIsEEEEPS5_m14custom_greaterIsEEE10hipError_tT0_T1_T2_jT3_P12ihipStream_tbPNSt15iterator_traitsISJ_E10value_typeEPNSP_ISK_E10value_typeEPSL_NS1_7vsmem_tEENKUlT_SJ_SK_SL_E_clISE_PsSF_SF_EESI_SY_SJ_SK_SL_EUlSY_E1_NS1_11comp_targetILNS1_3genE5ELNS1_11target_archE942ELNS1_3gpuE9ELNS1_3repE0EEENS1_36merge_oddeven_config_static_selectorELNS0_4arch9wavefront6targetE1EEEvSK_: ; @_ZN7rocprim17ROCPRIM_400000_NS6detail17trampoline_kernelINS0_14default_configENS1_38merge_sort_block_merge_config_selectorIsNS0_10empty_typeEEEZZNS1_27merge_sort_block_merge_implIS3_N6thrust23THRUST_200600_302600_NS6detail15normal_iteratorINS9_10device_ptrIsEEEEPS5_m14custom_greaterIsEEE10hipError_tT0_T1_T2_jT3_P12ihipStream_tbPNSt15iterator_traitsISJ_E10value_typeEPNSP_ISK_E10value_typeEPSL_NS1_7vsmem_tEENKUlT_SJ_SK_SL_E_clISE_PsSF_SF_EESI_SY_SJ_SK_SL_EUlSY_E1_NS1_11comp_targetILNS1_3genE5ELNS1_11target_archE942ELNS1_3gpuE9ELNS1_3repE0EEENS1_36merge_oddeven_config_static_selectorELNS0_4arch9wavefront6targetE1EEEvSK_
; %bb.0:
	.section	.rodata,"a",@progbits
	.p2align	6, 0x0
	.amdhsa_kernel _ZN7rocprim17ROCPRIM_400000_NS6detail17trampoline_kernelINS0_14default_configENS1_38merge_sort_block_merge_config_selectorIsNS0_10empty_typeEEEZZNS1_27merge_sort_block_merge_implIS3_N6thrust23THRUST_200600_302600_NS6detail15normal_iteratorINS9_10device_ptrIsEEEEPS5_m14custom_greaterIsEEE10hipError_tT0_T1_T2_jT3_P12ihipStream_tbPNSt15iterator_traitsISJ_E10value_typeEPNSP_ISK_E10value_typeEPSL_NS1_7vsmem_tEENKUlT_SJ_SK_SL_E_clISE_PsSF_SF_EESI_SY_SJ_SK_SL_EUlSY_E1_NS1_11comp_targetILNS1_3genE5ELNS1_11target_archE942ELNS1_3gpuE9ELNS1_3repE0EEENS1_36merge_oddeven_config_static_selectorELNS0_4arch9wavefront6targetE1EEEvSK_
		.amdhsa_group_segment_fixed_size 0
		.amdhsa_private_segment_fixed_size 0
		.amdhsa_kernarg_size 56
		.amdhsa_user_sgpr_count 6
		.amdhsa_user_sgpr_private_segment_buffer 1
		.amdhsa_user_sgpr_dispatch_ptr 0
		.amdhsa_user_sgpr_queue_ptr 0
		.amdhsa_user_sgpr_kernarg_segment_ptr 1
		.amdhsa_user_sgpr_dispatch_id 0
		.amdhsa_user_sgpr_flat_scratch_init 0
		.amdhsa_user_sgpr_kernarg_preload_length 0
		.amdhsa_user_sgpr_kernarg_preload_offset 0
		.amdhsa_user_sgpr_private_segment_size 0
		.amdhsa_uses_dynamic_stack 0
		.amdhsa_system_sgpr_private_segment_wavefront_offset 0
		.amdhsa_system_sgpr_workgroup_id_x 1
		.amdhsa_system_sgpr_workgroup_id_y 0
		.amdhsa_system_sgpr_workgroup_id_z 0
		.amdhsa_system_sgpr_workgroup_info 0
		.amdhsa_system_vgpr_workitem_id 0
		.amdhsa_next_free_vgpr 1
		.amdhsa_next_free_sgpr 0
		.amdhsa_accum_offset 4
		.amdhsa_reserve_vcc 0
		.amdhsa_reserve_flat_scratch 0
		.amdhsa_float_round_mode_32 0
		.amdhsa_float_round_mode_16_64 0
		.amdhsa_float_denorm_mode_32 3
		.amdhsa_float_denorm_mode_16_64 3
		.amdhsa_dx10_clamp 1
		.amdhsa_ieee_mode 1
		.amdhsa_fp16_overflow 0
		.amdhsa_tg_split 0
		.amdhsa_exception_fp_ieee_invalid_op 0
		.amdhsa_exception_fp_denorm_src 0
		.amdhsa_exception_fp_ieee_div_zero 0
		.amdhsa_exception_fp_ieee_overflow 0
		.amdhsa_exception_fp_ieee_underflow 0
		.amdhsa_exception_fp_ieee_inexact 0
		.amdhsa_exception_int_div_zero 0
	.end_amdhsa_kernel
	.section	.text._ZN7rocprim17ROCPRIM_400000_NS6detail17trampoline_kernelINS0_14default_configENS1_38merge_sort_block_merge_config_selectorIsNS0_10empty_typeEEEZZNS1_27merge_sort_block_merge_implIS3_N6thrust23THRUST_200600_302600_NS6detail15normal_iteratorINS9_10device_ptrIsEEEEPS5_m14custom_greaterIsEEE10hipError_tT0_T1_T2_jT3_P12ihipStream_tbPNSt15iterator_traitsISJ_E10value_typeEPNSP_ISK_E10value_typeEPSL_NS1_7vsmem_tEENKUlT_SJ_SK_SL_E_clISE_PsSF_SF_EESI_SY_SJ_SK_SL_EUlSY_E1_NS1_11comp_targetILNS1_3genE5ELNS1_11target_archE942ELNS1_3gpuE9ELNS1_3repE0EEENS1_36merge_oddeven_config_static_selectorELNS0_4arch9wavefront6targetE1EEEvSK_,"axG",@progbits,_ZN7rocprim17ROCPRIM_400000_NS6detail17trampoline_kernelINS0_14default_configENS1_38merge_sort_block_merge_config_selectorIsNS0_10empty_typeEEEZZNS1_27merge_sort_block_merge_implIS3_N6thrust23THRUST_200600_302600_NS6detail15normal_iteratorINS9_10device_ptrIsEEEEPS5_m14custom_greaterIsEEE10hipError_tT0_T1_T2_jT3_P12ihipStream_tbPNSt15iterator_traitsISJ_E10value_typeEPNSP_ISK_E10value_typeEPSL_NS1_7vsmem_tEENKUlT_SJ_SK_SL_E_clISE_PsSF_SF_EESI_SY_SJ_SK_SL_EUlSY_E1_NS1_11comp_targetILNS1_3genE5ELNS1_11target_archE942ELNS1_3gpuE9ELNS1_3repE0EEENS1_36merge_oddeven_config_static_selectorELNS0_4arch9wavefront6targetE1EEEvSK_,comdat
.Lfunc_end2979:
	.size	_ZN7rocprim17ROCPRIM_400000_NS6detail17trampoline_kernelINS0_14default_configENS1_38merge_sort_block_merge_config_selectorIsNS0_10empty_typeEEEZZNS1_27merge_sort_block_merge_implIS3_N6thrust23THRUST_200600_302600_NS6detail15normal_iteratorINS9_10device_ptrIsEEEEPS5_m14custom_greaterIsEEE10hipError_tT0_T1_T2_jT3_P12ihipStream_tbPNSt15iterator_traitsISJ_E10value_typeEPNSP_ISK_E10value_typeEPSL_NS1_7vsmem_tEENKUlT_SJ_SK_SL_E_clISE_PsSF_SF_EESI_SY_SJ_SK_SL_EUlSY_E1_NS1_11comp_targetILNS1_3genE5ELNS1_11target_archE942ELNS1_3gpuE9ELNS1_3repE0EEENS1_36merge_oddeven_config_static_selectorELNS0_4arch9wavefront6targetE1EEEvSK_, .Lfunc_end2979-_ZN7rocprim17ROCPRIM_400000_NS6detail17trampoline_kernelINS0_14default_configENS1_38merge_sort_block_merge_config_selectorIsNS0_10empty_typeEEEZZNS1_27merge_sort_block_merge_implIS3_N6thrust23THRUST_200600_302600_NS6detail15normal_iteratorINS9_10device_ptrIsEEEEPS5_m14custom_greaterIsEEE10hipError_tT0_T1_T2_jT3_P12ihipStream_tbPNSt15iterator_traitsISJ_E10value_typeEPNSP_ISK_E10value_typeEPSL_NS1_7vsmem_tEENKUlT_SJ_SK_SL_E_clISE_PsSF_SF_EESI_SY_SJ_SK_SL_EUlSY_E1_NS1_11comp_targetILNS1_3genE5ELNS1_11target_archE942ELNS1_3gpuE9ELNS1_3repE0EEENS1_36merge_oddeven_config_static_selectorELNS0_4arch9wavefront6targetE1EEEvSK_
                                        ; -- End function
	.section	.AMDGPU.csdata,"",@progbits
; Kernel info:
; codeLenInByte = 0
; NumSgprs: 4
; NumVgprs: 0
; NumAgprs: 0
; TotalNumVgprs: 0
; ScratchSize: 0
; MemoryBound: 0
; FloatMode: 240
; IeeeMode: 1
; LDSByteSize: 0 bytes/workgroup (compile time only)
; SGPRBlocks: 0
; VGPRBlocks: 0
; NumSGPRsForWavesPerEU: 4
; NumVGPRsForWavesPerEU: 1
; AccumOffset: 4
; Occupancy: 8
; WaveLimiterHint : 0
; COMPUTE_PGM_RSRC2:SCRATCH_EN: 0
; COMPUTE_PGM_RSRC2:USER_SGPR: 6
; COMPUTE_PGM_RSRC2:TRAP_HANDLER: 0
; COMPUTE_PGM_RSRC2:TGID_X_EN: 1
; COMPUTE_PGM_RSRC2:TGID_Y_EN: 0
; COMPUTE_PGM_RSRC2:TGID_Z_EN: 0
; COMPUTE_PGM_RSRC2:TIDIG_COMP_CNT: 0
; COMPUTE_PGM_RSRC3_GFX90A:ACCUM_OFFSET: 0
; COMPUTE_PGM_RSRC3_GFX90A:TG_SPLIT: 0
	.section	.text._ZN7rocprim17ROCPRIM_400000_NS6detail17trampoline_kernelINS0_14default_configENS1_38merge_sort_block_merge_config_selectorIsNS0_10empty_typeEEEZZNS1_27merge_sort_block_merge_implIS3_N6thrust23THRUST_200600_302600_NS6detail15normal_iteratorINS9_10device_ptrIsEEEEPS5_m14custom_greaterIsEEE10hipError_tT0_T1_T2_jT3_P12ihipStream_tbPNSt15iterator_traitsISJ_E10value_typeEPNSP_ISK_E10value_typeEPSL_NS1_7vsmem_tEENKUlT_SJ_SK_SL_E_clISE_PsSF_SF_EESI_SY_SJ_SK_SL_EUlSY_E1_NS1_11comp_targetILNS1_3genE4ELNS1_11target_archE910ELNS1_3gpuE8ELNS1_3repE0EEENS1_36merge_oddeven_config_static_selectorELNS0_4arch9wavefront6targetE1EEEvSK_,"axG",@progbits,_ZN7rocprim17ROCPRIM_400000_NS6detail17trampoline_kernelINS0_14default_configENS1_38merge_sort_block_merge_config_selectorIsNS0_10empty_typeEEEZZNS1_27merge_sort_block_merge_implIS3_N6thrust23THRUST_200600_302600_NS6detail15normal_iteratorINS9_10device_ptrIsEEEEPS5_m14custom_greaterIsEEE10hipError_tT0_T1_T2_jT3_P12ihipStream_tbPNSt15iterator_traitsISJ_E10value_typeEPNSP_ISK_E10value_typeEPSL_NS1_7vsmem_tEENKUlT_SJ_SK_SL_E_clISE_PsSF_SF_EESI_SY_SJ_SK_SL_EUlSY_E1_NS1_11comp_targetILNS1_3genE4ELNS1_11target_archE910ELNS1_3gpuE8ELNS1_3repE0EEENS1_36merge_oddeven_config_static_selectorELNS0_4arch9wavefront6targetE1EEEvSK_,comdat
	.protected	_ZN7rocprim17ROCPRIM_400000_NS6detail17trampoline_kernelINS0_14default_configENS1_38merge_sort_block_merge_config_selectorIsNS0_10empty_typeEEEZZNS1_27merge_sort_block_merge_implIS3_N6thrust23THRUST_200600_302600_NS6detail15normal_iteratorINS9_10device_ptrIsEEEEPS5_m14custom_greaterIsEEE10hipError_tT0_T1_T2_jT3_P12ihipStream_tbPNSt15iterator_traitsISJ_E10value_typeEPNSP_ISK_E10value_typeEPSL_NS1_7vsmem_tEENKUlT_SJ_SK_SL_E_clISE_PsSF_SF_EESI_SY_SJ_SK_SL_EUlSY_E1_NS1_11comp_targetILNS1_3genE4ELNS1_11target_archE910ELNS1_3gpuE8ELNS1_3repE0EEENS1_36merge_oddeven_config_static_selectorELNS0_4arch9wavefront6targetE1EEEvSK_ ; -- Begin function _ZN7rocprim17ROCPRIM_400000_NS6detail17trampoline_kernelINS0_14default_configENS1_38merge_sort_block_merge_config_selectorIsNS0_10empty_typeEEEZZNS1_27merge_sort_block_merge_implIS3_N6thrust23THRUST_200600_302600_NS6detail15normal_iteratorINS9_10device_ptrIsEEEEPS5_m14custom_greaterIsEEE10hipError_tT0_T1_T2_jT3_P12ihipStream_tbPNSt15iterator_traitsISJ_E10value_typeEPNSP_ISK_E10value_typeEPSL_NS1_7vsmem_tEENKUlT_SJ_SK_SL_E_clISE_PsSF_SF_EESI_SY_SJ_SK_SL_EUlSY_E1_NS1_11comp_targetILNS1_3genE4ELNS1_11target_archE910ELNS1_3gpuE8ELNS1_3repE0EEENS1_36merge_oddeven_config_static_selectorELNS0_4arch9wavefront6targetE1EEEvSK_
	.globl	_ZN7rocprim17ROCPRIM_400000_NS6detail17trampoline_kernelINS0_14default_configENS1_38merge_sort_block_merge_config_selectorIsNS0_10empty_typeEEEZZNS1_27merge_sort_block_merge_implIS3_N6thrust23THRUST_200600_302600_NS6detail15normal_iteratorINS9_10device_ptrIsEEEEPS5_m14custom_greaterIsEEE10hipError_tT0_T1_T2_jT3_P12ihipStream_tbPNSt15iterator_traitsISJ_E10value_typeEPNSP_ISK_E10value_typeEPSL_NS1_7vsmem_tEENKUlT_SJ_SK_SL_E_clISE_PsSF_SF_EESI_SY_SJ_SK_SL_EUlSY_E1_NS1_11comp_targetILNS1_3genE4ELNS1_11target_archE910ELNS1_3gpuE8ELNS1_3repE0EEENS1_36merge_oddeven_config_static_selectorELNS0_4arch9wavefront6targetE1EEEvSK_
	.p2align	8
	.type	_ZN7rocprim17ROCPRIM_400000_NS6detail17trampoline_kernelINS0_14default_configENS1_38merge_sort_block_merge_config_selectorIsNS0_10empty_typeEEEZZNS1_27merge_sort_block_merge_implIS3_N6thrust23THRUST_200600_302600_NS6detail15normal_iteratorINS9_10device_ptrIsEEEEPS5_m14custom_greaterIsEEE10hipError_tT0_T1_T2_jT3_P12ihipStream_tbPNSt15iterator_traitsISJ_E10value_typeEPNSP_ISK_E10value_typeEPSL_NS1_7vsmem_tEENKUlT_SJ_SK_SL_E_clISE_PsSF_SF_EESI_SY_SJ_SK_SL_EUlSY_E1_NS1_11comp_targetILNS1_3genE4ELNS1_11target_archE910ELNS1_3gpuE8ELNS1_3repE0EEENS1_36merge_oddeven_config_static_selectorELNS0_4arch9wavefront6targetE1EEEvSK_,@function
_ZN7rocprim17ROCPRIM_400000_NS6detail17trampoline_kernelINS0_14default_configENS1_38merge_sort_block_merge_config_selectorIsNS0_10empty_typeEEEZZNS1_27merge_sort_block_merge_implIS3_N6thrust23THRUST_200600_302600_NS6detail15normal_iteratorINS9_10device_ptrIsEEEEPS5_m14custom_greaterIsEEE10hipError_tT0_T1_T2_jT3_P12ihipStream_tbPNSt15iterator_traitsISJ_E10value_typeEPNSP_ISK_E10value_typeEPSL_NS1_7vsmem_tEENKUlT_SJ_SK_SL_E_clISE_PsSF_SF_EESI_SY_SJ_SK_SL_EUlSY_E1_NS1_11comp_targetILNS1_3genE4ELNS1_11target_archE910ELNS1_3gpuE8ELNS1_3repE0EEENS1_36merge_oddeven_config_static_selectorELNS0_4arch9wavefront6targetE1EEEvSK_: ; @_ZN7rocprim17ROCPRIM_400000_NS6detail17trampoline_kernelINS0_14default_configENS1_38merge_sort_block_merge_config_selectorIsNS0_10empty_typeEEEZZNS1_27merge_sort_block_merge_implIS3_N6thrust23THRUST_200600_302600_NS6detail15normal_iteratorINS9_10device_ptrIsEEEEPS5_m14custom_greaterIsEEE10hipError_tT0_T1_T2_jT3_P12ihipStream_tbPNSt15iterator_traitsISJ_E10value_typeEPNSP_ISK_E10value_typeEPSL_NS1_7vsmem_tEENKUlT_SJ_SK_SL_E_clISE_PsSF_SF_EESI_SY_SJ_SK_SL_EUlSY_E1_NS1_11comp_targetILNS1_3genE4ELNS1_11target_archE910ELNS1_3gpuE8ELNS1_3repE0EEENS1_36merge_oddeven_config_static_selectorELNS0_4arch9wavefront6targetE1EEEvSK_
; %bb.0:
	s_load_dword s18, s[4:5], 0x20
	s_waitcnt lgkmcnt(0)
	s_lshr_b32 s0, s18, 8
	s_cmp_lg_u32 s6, s0
	s_cselect_b64 s[14:15], -1, 0
	s_cmp_eq_u32 s6, s0
	s_cselect_b64 s[12:13], -1, 0
	s_lshl_b32 s16, s6, 8
	s_sub_i32 s0, s18, s16
	v_cmp_gt_u32_e64 s[2:3], s0, v0
	s_or_b64 s[0:1], s[14:15], s[2:3]
	s_and_saveexec_b64 s[8:9], s[0:1]
	s_cbranch_execz .LBB2980_20
; %bb.1:
	s_load_dwordx4 s[8:11], s[4:5], 0x0
	s_load_dword s19, s[4:5], 0x28
	s_mov_b32 s17, 0
	s_lshl_b64 s[0:1], s[16:17], 1
	v_lshlrev_b32_e32 v1, 1, v0
	s_waitcnt lgkmcnt(0)
	s_add_u32 s0, s8, s0
	s_addc_u32 s1, s9, s1
	global_load_ushort v2, v1, s[0:1]
	s_lshr_b32 s0, s19, 8
	s_sub_i32 s1, 0, s0
	s_and_b32 s1, s6, s1
	s_and_b32 s0, s1, s0
	s_lshl_b32 s20, s1, 8
	s_sub_i32 s6, 0, s19
	s_cmp_eq_u32 s0, 0
	s_cselect_b64 s[0:1], -1, 0
	s_and_b64 s[4:5], s[0:1], exec
	s_cselect_b32 s17, s19, s6
	s_add_i32 s17, s17, s20
	s_cmp_lt_u32 s17, s18
	v_add_u32_e32 v0, s16, v0
	s_cbranch_scc1 .LBB2980_3
; %bb.2:
	v_cmp_gt_u32_e32 vcc, s18, v0
	s_or_b64 s[4:5], vcc, s[14:15]
	s_and_b64 s[4:5], s[4:5], exec
	s_cbranch_execz .LBB2980_4
	s_branch .LBB2980_18
.LBB2980_3:
	s_mov_b64 s[4:5], 0
.LBB2980_4:
	s_min_u32 s14, s17, s18
	s_add_i32 s6, s14, s19
	s_min_u32 s15, s6, s18
	s_min_u32 s6, s20, s14
	s_add_i32 s20, s20, s14
	v_subrev_u32_e32 v0, s20, v0
	v_add_u32_e32 v1, s6, v0
	s_and_b64 vcc, exec, s[12:13]
	s_cbranch_vccz .LBB2980_12
; %bb.5:
                                        ; implicit-def: $vgpr0
	s_and_saveexec_b64 s[6:7], s[2:3]
	s_cbranch_execz .LBB2980_11
; %bb.6:
	s_cmp_ge_u32 s17, s15
	v_mov_b32_e32 v0, s14
	s_cbranch_scc1 .LBB2980_10
; %bb.7:
	s_mov_b64 s[2:3], 0
	v_mov_b32_e32 v3, s15
	v_mov_b32_e32 v0, s14
.LBB2980_8:                             ; =>This Inner Loop Header: Depth=1
	v_add_u32_e32 v4, v0, v3
	v_and_b32_e32 v5, -2, v4
	global_load_ushort v5, v5, s[8:9]
	v_lshrrev_b32_e32 v4, 1, v4
	v_add_u32_e32 v6, 1, v4
	s_waitcnt vmcnt(0)
	v_cmp_gt_i16_e32 vcc, v2, v5
	v_cndmask_b32_e64 v7, 0, 1, vcc
	v_cmp_le_i16_e32 vcc, v5, v2
	v_cndmask_b32_e64 v5, 0, 1, vcc
	v_cndmask_b32_e64 v5, v5, v7, s[0:1]
	v_and_b32_e32 v5, 1, v5
	v_cmp_eq_u32_e32 vcc, 1, v5
	v_cndmask_b32_e32 v3, v4, v3, vcc
	v_cndmask_b32_e32 v0, v0, v6, vcc
	v_cmp_ge_u32_e32 vcc, v0, v3
	s_or_b64 s[2:3], vcc, s[2:3]
	s_andn2_b64 exec, exec, s[2:3]
	s_cbranch_execnz .LBB2980_8
; %bb.9:
	s_or_b64 exec, exec, s[2:3]
.LBB2980_10:
	v_add_u32_e32 v0, v0, v1
	s_or_b64 s[4:5], s[4:5], exec
.LBB2980_11:
	s_or_b64 exec, exec, s[6:7]
	s_branch .LBB2980_18
.LBB2980_12:
                                        ; implicit-def: $vgpr0
	s_cbranch_execz .LBB2980_18
; %bb.13:
	s_cmp_ge_u32 s17, s15
	v_mov_b32_e32 v0, s14
	s_cbranch_scc1 .LBB2980_17
; %bb.14:
	s_mov_b64 s[2:3], 0
	v_mov_b32_e32 v3, s15
	v_mov_b32_e32 v0, s14
.LBB2980_15:                            ; =>This Inner Loop Header: Depth=1
	v_add_u32_e32 v4, v0, v3
	v_and_b32_e32 v5, -2, v4
	global_load_ushort v5, v5, s[8:9]
	v_lshrrev_b32_e32 v4, 1, v4
	v_add_u32_e32 v6, 1, v4
	s_waitcnt vmcnt(0)
	v_cmp_gt_i16_e32 vcc, v2, v5
	v_cndmask_b32_e64 v7, 0, 1, vcc
	v_cmp_le_i16_e32 vcc, v5, v2
	v_cndmask_b32_e64 v5, 0, 1, vcc
	v_cndmask_b32_e64 v5, v5, v7, s[0:1]
	v_and_b32_e32 v5, 1, v5
	v_cmp_eq_u32_e32 vcc, 1, v5
	v_cndmask_b32_e32 v3, v4, v3, vcc
	v_cndmask_b32_e32 v0, v0, v6, vcc
	v_cmp_ge_u32_e32 vcc, v0, v3
	s_or_b64 s[2:3], vcc, s[2:3]
	s_andn2_b64 exec, exec, s[2:3]
	s_cbranch_execnz .LBB2980_15
; %bb.16:
	s_or_b64 exec, exec, s[2:3]
.LBB2980_17:
	v_add_u32_e32 v0, v0, v1
	s_mov_b64 s[4:5], -1
.LBB2980_18:
	s_and_b64 exec, exec, s[4:5]
	s_cbranch_execz .LBB2980_20
; %bb.19:
	v_mov_b32_e32 v1, 0
	v_lshlrev_b64 v[0:1], 1, v[0:1]
	v_mov_b32_e32 v3, s11
	v_add_co_u32_e32 v0, vcc, s10, v0
	v_addc_co_u32_e32 v1, vcc, v3, v1, vcc
	s_waitcnt vmcnt(0)
	global_store_short v[0:1], v2, off
.LBB2980_20:
	s_endpgm
	.section	.rodata,"a",@progbits
	.p2align	6, 0x0
	.amdhsa_kernel _ZN7rocprim17ROCPRIM_400000_NS6detail17trampoline_kernelINS0_14default_configENS1_38merge_sort_block_merge_config_selectorIsNS0_10empty_typeEEEZZNS1_27merge_sort_block_merge_implIS3_N6thrust23THRUST_200600_302600_NS6detail15normal_iteratorINS9_10device_ptrIsEEEEPS5_m14custom_greaterIsEEE10hipError_tT0_T1_T2_jT3_P12ihipStream_tbPNSt15iterator_traitsISJ_E10value_typeEPNSP_ISK_E10value_typeEPSL_NS1_7vsmem_tEENKUlT_SJ_SK_SL_E_clISE_PsSF_SF_EESI_SY_SJ_SK_SL_EUlSY_E1_NS1_11comp_targetILNS1_3genE4ELNS1_11target_archE910ELNS1_3gpuE8ELNS1_3repE0EEENS1_36merge_oddeven_config_static_selectorELNS0_4arch9wavefront6targetE1EEEvSK_
		.amdhsa_group_segment_fixed_size 0
		.amdhsa_private_segment_fixed_size 0
		.amdhsa_kernarg_size 56
		.amdhsa_user_sgpr_count 6
		.amdhsa_user_sgpr_private_segment_buffer 1
		.amdhsa_user_sgpr_dispatch_ptr 0
		.amdhsa_user_sgpr_queue_ptr 0
		.amdhsa_user_sgpr_kernarg_segment_ptr 1
		.amdhsa_user_sgpr_dispatch_id 0
		.amdhsa_user_sgpr_flat_scratch_init 0
		.amdhsa_user_sgpr_kernarg_preload_length 0
		.amdhsa_user_sgpr_kernarg_preload_offset 0
		.amdhsa_user_sgpr_private_segment_size 0
		.amdhsa_uses_dynamic_stack 0
		.amdhsa_system_sgpr_private_segment_wavefront_offset 0
		.amdhsa_system_sgpr_workgroup_id_x 1
		.amdhsa_system_sgpr_workgroup_id_y 0
		.amdhsa_system_sgpr_workgroup_id_z 0
		.amdhsa_system_sgpr_workgroup_info 0
		.amdhsa_system_vgpr_workitem_id 0
		.amdhsa_next_free_vgpr 8
		.amdhsa_next_free_sgpr 21
		.amdhsa_accum_offset 8
		.amdhsa_reserve_vcc 1
		.amdhsa_reserve_flat_scratch 0
		.amdhsa_float_round_mode_32 0
		.amdhsa_float_round_mode_16_64 0
		.amdhsa_float_denorm_mode_32 3
		.amdhsa_float_denorm_mode_16_64 3
		.amdhsa_dx10_clamp 1
		.amdhsa_ieee_mode 1
		.amdhsa_fp16_overflow 0
		.amdhsa_tg_split 0
		.amdhsa_exception_fp_ieee_invalid_op 0
		.amdhsa_exception_fp_denorm_src 0
		.amdhsa_exception_fp_ieee_div_zero 0
		.amdhsa_exception_fp_ieee_overflow 0
		.amdhsa_exception_fp_ieee_underflow 0
		.amdhsa_exception_fp_ieee_inexact 0
		.amdhsa_exception_int_div_zero 0
	.end_amdhsa_kernel
	.section	.text._ZN7rocprim17ROCPRIM_400000_NS6detail17trampoline_kernelINS0_14default_configENS1_38merge_sort_block_merge_config_selectorIsNS0_10empty_typeEEEZZNS1_27merge_sort_block_merge_implIS3_N6thrust23THRUST_200600_302600_NS6detail15normal_iteratorINS9_10device_ptrIsEEEEPS5_m14custom_greaterIsEEE10hipError_tT0_T1_T2_jT3_P12ihipStream_tbPNSt15iterator_traitsISJ_E10value_typeEPNSP_ISK_E10value_typeEPSL_NS1_7vsmem_tEENKUlT_SJ_SK_SL_E_clISE_PsSF_SF_EESI_SY_SJ_SK_SL_EUlSY_E1_NS1_11comp_targetILNS1_3genE4ELNS1_11target_archE910ELNS1_3gpuE8ELNS1_3repE0EEENS1_36merge_oddeven_config_static_selectorELNS0_4arch9wavefront6targetE1EEEvSK_,"axG",@progbits,_ZN7rocprim17ROCPRIM_400000_NS6detail17trampoline_kernelINS0_14default_configENS1_38merge_sort_block_merge_config_selectorIsNS0_10empty_typeEEEZZNS1_27merge_sort_block_merge_implIS3_N6thrust23THRUST_200600_302600_NS6detail15normal_iteratorINS9_10device_ptrIsEEEEPS5_m14custom_greaterIsEEE10hipError_tT0_T1_T2_jT3_P12ihipStream_tbPNSt15iterator_traitsISJ_E10value_typeEPNSP_ISK_E10value_typeEPSL_NS1_7vsmem_tEENKUlT_SJ_SK_SL_E_clISE_PsSF_SF_EESI_SY_SJ_SK_SL_EUlSY_E1_NS1_11comp_targetILNS1_3genE4ELNS1_11target_archE910ELNS1_3gpuE8ELNS1_3repE0EEENS1_36merge_oddeven_config_static_selectorELNS0_4arch9wavefront6targetE1EEEvSK_,comdat
.Lfunc_end2980:
	.size	_ZN7rocprim17ROCPRIM_400000_NS6detail17trampoline_kernelINS0_14default_configENS1_38merge_sort_block_merge_config_selectorIsNS0_10empty_typeEEEZZNS1_27merge_sort_block_merge_implIS3_N6thrust23THRUST_200600_302600_NS6detail15normal_iteratorINS9_10device_ptrIsEEEEPS5_m14custom_greaterIsEEE10hipError_tT0_T1_T2_jT3_P12ihipStream_tbPNSt15iterator_traitsISJ_E10value_typeEPNSP_ISK_E10value_typeEPSL_NS1_7vsmem_tEENKUlT_SJ_SK_SL_E_clISE_PsSF_SF_EESI_SY_SJ_SK_SL_EUlSY_E1_NS1_11comp_targetILNS1_3genE4ELNS1_11target_archE910ELNS1_3gpuE8ELNS1_3repE0EEENS1_36merge_oddeven_config_static_selectorELNS0_4arch9wavefront6targetE1EEEvSK_, .Lfunc_end2980-_ZN7rocprim17ROCPRIM_400000_NS6detail17trampoline_kernelINS0_14default_configENS1_38merge_sort_block_merge_config_selectorIsNS0_10empty_typeEEEZZNS1_27merge_sort_block_merge_implIS3_N6thrust23THRUST_200600_302600_NS6detail15normal_iteratorINS9_10device_ptrIsEEEEPS5_m14custom_greaterIsEEE10hipError_tT0_T1_T2_jT3_P12ihipStream_tbPNSt15iterator_traitsISJ_E10value_typeEPNSP_ISK_E10value_typeEPSL_NS1_7vsmem_tEENKUlT_SJ_SK_SL_E_clISE_PsSF_SF_EESI_SY_SJ_SK_SL_EUlSY_E1_NS1_11comp_targetILNS1_3genE4ELNS1_11target_archE910ELNS1_3gpuE8ELNS1_3repE0EEENS1_36merge_oddeven_config_static_selectorELNS0_4arch9wavefront6targetE1EEEvSK_
                                        ; -- End function
	.section	.AMDGPU.csdata,"",@progbits
; Kernel info:
; codeLenInByte = 548
; NumSgprs: 25
; NumVgprs: 8
; NumAgprs: 0
; TotalNumVgprs: 8
; ScratchSize: 0
; MemoryBound: 0
; FloatMode: 240
; IeeeMode: 1
; LDSByteSize: 0 bytes/workgroup (compile time only)
; SGPRBlocks: 3
; VGPRBlocks: 0
; NumSGPRsForWavesPerEU: 25
; NumVGPRsForWavesPerEU: 8
; AccumOffset: 8
; Occupancy: 8
; WaveLimiterHint : 0
; COMPUTE_PGM_RSRC2:SCRATCH_EN: 0
; COMPUTE_PGM_RSRC2:USER_SGPR: 6
; COMPUTE_PGM_RSRC2:TRAP_HANDLER: 0
; COMPUTE_PGM_RSRC2:TGID_X_EN: 1
; COMPUTE_PGM_RSRC2:TGID_Y_EN: 0
; COMPUTE_PGM_RSRC2:TGID_Z_EN: 0
; COMPUTE_PGM_RSRC2:TIDIG_COMP_CNT: 0
; COMPUTE_PGM_RSRC3_GFX90A:ACCUM_OFFSET: 1
; COMPUTE_PGM_RSRC3_GFX90A:TG_SPLIT: 0
	.section	.text._ZN7rocprim17ROCPRIM_400000_NS6detail17trampoline_kernelINS0_14default_configENS1_38merge_sort_block_merge_config_selectorIsNS0_10empty_typeEEEZZNS1_27merge_sort_block_merge_implIS3_N6thrust23THRUST_200600_302600_NS6detail15normal_iteratorINS9_10device_ptrIsEEEEPS5_m14custom_greaterIsEEE10hipError_tT0_T1_T2_jT3_P12ihipStream_tbPNSt15iterator_traitsISJ_E10value_typeEPNSP_ISK_E10value_typeEPSL_NS1_7vsmem_tEENKUlT_SJ_SK_SL_E_clISE_PsSF_SF_EESI_SY_SJ_SK_SL_EUlSY_E1_NS1_11comp_targetILNS1_3genE3ELNS1_11target_archE908ELNS1_3gpuE7ELNS1_3repE0EEENS1_36merge_oddeven_config_static_selectorELNS0_4arch9wavefront6targetE1EEEvSK_,"axG",@progbits,_ZN7rocprim17ROCPRIM_400000_NS6detail17trampoline_kernelINS0_14default_configENS1_38merge_sort_block_merge_config_selectorIsNS0_10empty_typeEEEZZNS1_27merge_sort_block_merge_implIS3_N6thrust23THRUST_200600_302600_NS6detail15normal_iteratorINS9_10device_ptrIsEEEEPS5_m14custom_greaterIsEEE10hipError_tT0_T1_T2_jT3_P12ihipStream_tbPNSt15iterator_traitsISJ_E10value_typeEPNSP_ISK_E10value_typeEPSL_NS1_7vsmem_tEENKUlT_SJ_SK_SL_E_clISE_PsSF_SF_EESI_SY_SJ_SK_SL_EUlSY_E1_NS1_11comp_targetILNS1_3genE3ELNS1_11target_archE908ELNS1_3gpuE7ELNS1_3repE0EEENS1_36merge_oddeven_config_static_selectorELNS0_4arch9wavefront6targetE1EEEvSK_,comdat
	.protected	_ZN7rocprim17ROCPRIM_400000_NS6detail17trampoline_kernelINS0_14default_configENS1_38merge_sort_block_merge_config_selectorIsNS0_10empty_typeEEEZZNS1_27merge_sort_block_merge_implIS3_N6thrust23THRUST_200600_302600_NS6detail15normal_iteratorINS9_10device_ptrIsEEEEPS5_m14custom_greaterIsEEE10hipError_tT0_T1_T2_jT3_P12ihipStream_tbPNSt15iterator_traitsISJ_E10value_typeEPNSP_ISK_E10value_typeEPSL_NS1_7vsmem_tEENKUlT_SJ_SK_SL_E_clISE_PsSF_SF_EESI_SY_SJ_SK_SL_EUlSY_E1_NS1_11comp_targetILNS1_3genE3ELNS1_11target_archE908ELNS1_3gpuE7ELNS1_3repE0EEENS1_36merge_oddeven_config_static_selectorELNS0_4arch9wavefront6targetE1EEEvSK_ ; -- Begin function _ZN7rocprim17ROCPRIM_400000_NS6detail17trampoline_kernelINS0_14default_configENS1_38merge_sort_block_merge_config_selectorIsNS0_10empty_typeEEEZZNS1_27merge_sort_block_merge_implIS3_N6thrust23THRUST_200600_302600_NS6detail15normal_iteratorINS9_10device_ptrIsEEEEPS5_m14custom_greaterIsEEE10hipError_tT0_T1_T2_jT3_P12ihipStream_tbPNSt15iterator_traitsISJ_E10value_typeEPNSP_ISK_E10value_typeEPSL_NS1_7vsmem_tEENKUlT_SJ_SK_SL_E_clISE_PsSF_SF_EESI_SY_SJ_SK_SL_EUlSY_E1_NS1_11comp_targetILNS1_3genE3ELNS1_11target_archE908ELNS1_3gpuE7ELNS1_3repE0EEENS1_36merge_oddeven_config_static_selectorELNS0_4arch9wavefront6targetE1EEEvSK_
	.globl	_ZN7rocprim17ROCPRIM_400000_NS6detail17trampoline_kernelINS0_14default_configENS1_38merge_sort_block_merge_config_selectorIsNS0_10empty_typeEEEZZNS1_27merge_sort_block_merge_implIS3_N6thrust23THRUST_200600_302600_NS6detail15normal_iteratorINS9_10device_ptrIsEEEEPS5_m14custom_greaterIsEEE10hipError_tT0_T1_T2_jT3_P12ihipStream_tbPNSt15iterator_traitsISJ_E10value_typeEPNSP_ISK_E10value_typeEPSL_NS1_7vsmem_tEENKUlT_SJ_SK_SL_E_clISE_PsSF_SF_EESI_SY_SJ_SK_SL_EUlSY_E1_NS1_11comp_targetILNS1_3genE3ELNS1_11target_archE908ELNS1_3gpuE7ELNS1_3repE0EEENS1_36merge_oddeven_config_static_selectorELNS0_4arch9wavefront6targetE1EEEvSK_
	.p2align	8
	.type	_ZN7rocprim17ROCPRIM_400000_NS6detail17trampoline_kernelINS0_14default_configENS1_38merge_sort_block_merge_config_selectorIsNS0_10empty_typeEEEZZNS1_27merge_sort_block_merge_implIS3_N6thrust23THRUST_200600_302600_NS6detail15normal_iteratorINS9_10device_ptrIsEEEEPS5_m14custom_greaterIsEEE10hipError_tT0_T1_T2_jT3_P12ihipStream_tbPNSt15iterator_traitsISJ_E10value_typeEPNSP_ISK_E10value_typeEPSL_NS1_7vsmem_tEENKUlT_SJ_SK_SL_E_clISE_PsSF_SF_EESI_SY_SJ_SK_SL_EUlSY_E1_NS1_11comp_targetILNS1_3genE3ELNS1_11target_archE908ELNS1_3gpuE7ELNS1_3repE0EEENS1_36merge_oddeven_config_static_selectorELNS0_4arch9wavefront6targetE1EEEvSK_,@function
_ZN7rocprim17ROCPRIM_400000_NS6detail17trampoline_kernelINS0_14default_configENS1_38merge_sort_block_merge_config_selectorIsNS0_10empty_typeEEEZZNS1_27merge_sort_block_merge_implIS3_N6thrust23THRUST_200600_302600_NS6detail15normal_iteratorINS9_10device_ptrIsEEEEPS5_m14custom_greaterIsEEE10hipError_tT0_T1_T2_jT3_P12ihipStream_tbPNSt15iterator_traitsISJ_E10value_typeEPNSP_ISK_E10value_typeEPSL_NS1_7vsmem_tEENKUlT_SJ_SK_SL_E_clISE_PsSF_SF_EESI_SY_SJ_SK_SL_EUlSY_E1_NS1_11comp_targetILNS1_3genE3ELNS1_11target_archE908ELNS1_3gpuE7ELNS1_3repE0EEENS1_36merge_oddeven_config_static_selectorELNS0_4arch9wavefront6targetE1EEEvSK_: ; @_ZN7rocprim17ROCPRIM_400000_NS6detail17trampoline_kernelINS0_14default_configENS1_38merge_sort_block_merge_config_selectorIsNS0_10empty_typeEEEZZNS1_27merge_sort_block_merge_implIS3_N6thrust23THRUST_200600_302600_NS6detail15normal_iteratorINS9_10device_ptrIsEEEEPS5_m14custom_greaterIsEEE10hipError_tT0_T1_T2_jT3_P12ihipStream_tbPNSt15iterator_traitsISJ_E10value_typeEPNSP_ISK_E10value_typeEPSL_NS1_7vsmem_tEENKUlT_SJ_SK_SL_E_clISE_PsSF_SF_EESI_SY_SJ_SK_SL_EUlSY_E1_NS1_11comp_targetILNS1_3genE3ELNS1_11target_archE908ELNS1_3gpuE7ELNS1_3repE0EEENS1_36merge_oddeven_config_static_selectorELNS0_4arch9wavefront6targetE1EEEvSK_
; %bb.0:
	.section	.rodata,"a",@progbits
	.p2align	6, 0x0
	.amdhsa_kernel _ZN7rocprim17ROCPRIM_400000_NS6detail17trampoline_kernelINS0_14default_configENS1_38merge_sort_block_merge_config_selectorIsNS0_10empty_typeEEEZZNS1_27merge_sort_block_merge_implIS3_N6thrust23THRUST_200600_302600_NS6detail15normal_iteratorINS9_10device_ptrIsEEEEPS5_m14custom_greaterIsEEE10hipError_tT0_T1_T2_jT3_P12ihipStream_tbPNSt15iterator_traitsISJ_E10value_typeEPNSP_ISK_E10value_typeEPSL_NS1_7vsmem_tEENKUlT_SJ_SK_SL_E_clISE_PsSF_SF_EESI_SY_SJ_SK_SL_EUlSY_E1_NS1_11comp_targetILNS1_3genE3ELNS1_11target_archE908ELNS1_3gpuE7ELNS1_3repE0EEENS1_36merge_oddeven_config_static_selectorELNS0_4arch9wavefront6targetE1EEEvSK_
		.amdhsa_group_segment_fixed_size 0
		.amdhsa_private_segment_fixed_size 0
		.amdhsa_kernarg_size 56
		.amdhsa_user_sgpr_count 6
		.amdhsa_user_sgpr_private_segment_buffer 1
		.amdhsa_user_sgpr_dispatch_ptr 0
		.amdhsa_user_sgpr_queue_ptr 0
		.amdhsa_user_sgpr_kernarg_segment_ptr 1
		.amdhsa_user_sgpr_dispatch_id 0
		.amdhsa_user_sgpr_flat_scratch_init 0
		.amdhsa_user_sgpr_kernarg_preload_length 0
		.amdhsa_user_sgpr_kernarg_preload_offset 0
		.amdhsa_user_sgpr_private_segment_size 0
		.amdhsa_uses_dynamic_stack 0
		.amdhsa_system_sgpr_private_segment_wavefront_offset 0
		.amdhsa_system_sgpr_workgroup_id_x 1
		.amdhsa_system_sgpr_workgroup_id_y 0
		.amdhsa_system_sgpr_workgroup_id_z 0
		.amdhsa_system_sgpr_workgroup_info 0
		.amdhsa_system_vgpr_workitem_id 0
		.amdhsa_next_free_vgpr 1
		.amdhsa_next_free_sgpr 0
		.amdhsa_accum_offset 4
		.amdhsa_reserve_vcc 0
		.amdhsa_reserve_flat_scratch 0
		.amdhsa_float_round_mode_32 0
		.amdhsa_float_round_mode_16_64 0
		.amdhsa_float_denorm_mode_32 3
		.amdhsa_float_denorm_mode_16_64 3
		.amdhsa_dx10_clamp 1
		.amdhsa_ieee_mode 1
		.amdhsa_fp16_overflow 0
		.amdhsa_tg_split 0
		.amdhsa_exception_fp_ieee_invalid_op 0
		.amdhsa_exception_fp_denorm_src 0
		.amdhsa_exception_fp_ieee_div_zero 0
		.amdhsa_exception_fp_ieee_overflow 0
		.amdhsa_exception_fp_ieee_underflow 0
		.amdhsa_exception_fp_ieee_inexact 0
		.amdhsa_exception_int_div_zero 0
	.end_amdhsa_kernel
	.section	.text._ZN7rocprim17ROCPRIM_400000_NS6detail17trampoline_kernelINS0_14default_configENS1_38merge_sort_block_merge_config_selectorIsNS0_10empty_typeEEEZZNS1_27merge_sort_block_merge_implIS3_N6thrust23THRUST_200600_302600_NS6detail15normal_iteratorINS9_10device_ptrIsEEEEPS5_m14custom_greaterIsEEE10hipError_tT0_T1_T2_jT3_P12ihipStream_tbPNSt15iterator_traitsISJ_E10value_typeEPNSP_ISK_E10value_typeEPSL_NS1_7vsmem_tEENKUlT_SJ_SK_SL_E_clISE_PsSF_SF_EESI_SY_SJ_SK_SL_EUlSY_E1_NS1_11comp_targetILNS1_3genE3ELNS1_11target_archE908ELNS1_3gpuE7ELNS1_3repE0EEENS1_36merge_oddeven_config_static_selectorELNS0_4arch9wavefront6targetE1EEEvSK_,"axG",@progbits,_ZN7rocprim17ROCPRIM_400000_NS6detail17trampoline_kernelINS0_14default_configENS1_38merge_sort_block_merge_config_selectorIsNS0_10empty_typeEEEZZNS1_27merge_sort_block_merge_implIS3_N6thrust23THRUST_200600_302600_NS6detail15normal_iteratorINS9_10device_ptrIsEEEEPS5_m14custom_greaterIsEEE10hipError_tT0_T1_T2_jT3_P12ihipStream_tbPNSt15iterator_traitsISJ_E10value_typeEPNSP_ISK_E10value_typeEPSL_NS1_7vsmem_tEENKUlT_SJ_SK_SL_E_clISE_PsSF_SF_EESI_SY_SJ_SK_SL_EUlSY_E1_NS1_11comp_targetILNS1_3genE3ELNS1_11target_archE908ELNS1_3gpuE7ELNS1_3repE0EEENS1_36merge_oddeven_config_static_selectorELNS0_4arch9wavefront6targetE1EEEvSK_,comdat
.Lfunc_end2981:
	.size	_ZN7rocprim17ROCPRIM_400000_NS6detail17trampoline_kernelINS0_14default_configENS1_38merge_sort_block_merge_config_selectorIsNS0_10empty_typeEEEZZNS1_27merge_sort_block_merge_implIS3_N6thrust23THRUST_200600_302600_NS6detail15normal_iteratorINS9_10device_ptrIsEEEEPS5_m14custom_greaterIsEEE10hipError_tT0_T1_T2_jT3_P12ihipStream_tbPNSt15iterator_traitsISJ_E10value_typeEPNSP_ISK_E10value_typeEPSL_NS1_7vsmem_tEENKUlT_SJ_SK_SL_E_clISE_PsSF_SF_EESI_SY_SJ_SK_SL_EUlSY_E1_NS1_11comp_targetILNS1_3genE3ELNS1_11target_archE908ELNS1_3gpuE7ELNS1_3repE0EEENS1_36merge_oddeven_config_static_selectorELNS0_4arch9wavefront6targetE1EEEvSK_, .Lfunc_end2981-_ZN7rocprim17ROCPRIM_400000_NS6detail17trampoline_kernelINS0_14default_configENS1_38merge_sort_block_merge_config_selectorIsNS0_10empty_typeEEEZZNS1_27merge_sort_block_merge_implIS3_N6thrust23THRUST_200600_302600_NS6detail15normal_iteratorINS9_10device_ptrIsEEEEPS5_m14custom_greaterIsEEE10hipError_tT0_T1_T2_jT3_P12ihipStream_tbPNSt15iterator_traitsISJ_E10value_typeEPNSP_ISK_E10value_typeEPSL_NS1_7vsmem_tEENKUlT_SJ_SK_SL_E_clISE_PsSF_SF_EESI_SY_SJ_SK_SL_EUlSY_E1_NS1_11comp_targetILNS1_3genE3ELNS1_11target_archE908ELNS1_3gpuE7ELNS1_3repE0EEENS1_36merge_oddeven_config_static_selectorELNS0_4arch9wavefront6targetE1EEEvSK_
                                        ; -- End function
	.section	.AMDGPU.csdata,"",@progbits
; Kernel info:
; codeLenInByte = 0
; NumSgprs: 4
; NumVgprs: 0
; NumAgprs: 0
; TotalNumVgprs: 0
; ScratchSize: 0
; MemoryBound: 0
; FloatMode: 240
; IeeeMode: 1
; LDSByteSize: 0 bytes/workgroup (compile time only)
; SGPRBlocks: 0
; VGPRBlocks: 0
; NumSGPRsForWavesPerEU: 4
; NumVGPRsForWavesPerEU: 1
; AccumOffset: 4
; Occupancy: 8
; WaveLimiterHint : 0
; COMPUTE_PGM_RSRC2:SCRATCH_EN: 0
; COMPUTE_PGM_RSRC2:USER_SGPR: 6
; COMPUTE_PGM_RSRC2:TRAP_HANDLER: 0
; COMPUTE_PGM_RSRC2:TGID_X_EN: 1
; COMPUTE_PGM_RSRC2:TGID_Y_EN: 0
; COMPUTE_PGM_RSRC2:TGID_Z_EN: 0
; COMPUTE_PGM_RSRC2:TIDIG_COMP_CNT: 0
; COMPUTE_PGM_RSRC3_GFX90A:ACCUM_OFFSET: 0
; COMPUTE_PGM_RSRC3_GFX90A:TG_SPLIT: 0
	.section	.text._ZN7rocprim17ROCPRIM_400000_NS6detail17trampoline_kernelINS0_14default_configENS1_38merge_sort_block_merge_config_selectorIsNS0_10empty_typeEEEZZNS1_27merge_sort_block_merge_implIS3_N6thrust23THRUST_200600_302600_NS6detail15normal_iteratorINS9_10device_ptrIsEEEEPS5_m14custom_greaterIsEEE10hipError_tT0_T1_T2_jT3_P12ihipStream_tbPNSt15iterator_traitsISJ_E10value_typeEPNSP_ISK_E10value_typeEPSL_NS1_7vsmem_tEENKUlT_SJ_SK_SL_E_clISE_PsSF_SF_EESI_SY_SJ_SK_SL_EUlSY_E1_NS1_11comp_targetILNS1_3genE2ELNS1_11target_archE906ELNS1_3gpuE6ELNS1_3repE0EEENS1_36merge_oddeven_config_static_selectorELNS0_4arch9wavefront6targetE1EEEvSK_,"axG",@progbits,_ZN7rocprim17ROCPRIM_400000_NS6detail17trampoline_kernelINS0_14default_configENS1_38merge_sort_block_merge_config_selectorIsNS0_10empty_typeEEEZZNS1_27merge_sort_block_merge_implIS3_N6thrust23THRUST_200600_302600_NS6detail15normal_iteratorINS9_10device_ptrIsEEEEPS5_m14custom_greaterIsEEE10hipError_tT0_T1_T2_jT3_P12ihipStream_tbPNSt15iterator_traitsISJ_E10value_typeEPNSP_ISK_E10value_typeEPSL_NS1_7vsmem_tEENKUlT_SJ_SK_SL_E_clISE_PsSF_SF_EESI_SY_SJ_SK_SL_EUlSY_E1_NS1_11comp_targetILNS1_3genE2ELNS1_11target_archE906ELNS1_3gpuE6ELNS1_3repE0EEENS1_36merge_oddeven_config_static_selectorELNS0_4arch9wavefront6targetE1EEEvSK_,comdat
	.protected	_ZN7rocprim17ROCPRIM_400000_NS6detail17trampoline_kernelINS0_14default_configENS1_38merge_sort_block_merge_config_selectorIsNS0_10empty_typeEEEZZNS1_27merge_sort_block_merge_implIS3_N6thrust23THRUST_200600_302600_NS6detail15normal_iteratorINS9_10device_ptrIsEEEEPS5_m14custom_greaterIsEEE10hipError_tT0_T1_T2_jT3_P12ihipStream_tbPNSt15iterator_traitsISJ_E10value_typeEPNSP_ISK_E10value_typeEPSL_NS1_7vsmem_tEENKUlT_SJ_SK_SL_E_clISE_PsSF_SF_EESI_SY_SJ_SK_SL_EUlSY_E1_NS1_11comp_targetILNS1_3genE2ELNS1_11target_archE906ELNS1_3gpuE6ELNS1_3repE0EEENS1_36merge_oddeven_config_static_selectorELNS0_4arch9wavefront6targetE1EEEvSK_ ; -- Begin function _ZN7rocprim17ROCPRIM_400000_NS6detail17trampoline_kernelINS0_14default_configENS1_38merge_sort_block_merge_config_selectorIsNS0_10empty_typeEEEZZNS1_27merge_sort_block_merge_implIS3_N6thrust23THRUST_200600_302600_NS6detail15normal_iteratorINS9_10device_ptrIsEEEEPS5_m14custom_greaterIsEEE10hipError_tT0_T1_T2_jT3_P12ihipStream_tbPNSt15iterator_traitsISJ_E10value_typeEPNSP_ISK_E10value_typeEPSL_NS1_7vsmem_tEENKUlT_SJ_SK_SL_E_clISE_PsSF_SF_EESI_SY_SJ_SK_SL_EUlSY_E1_NS1_11comp_targetILNS1_3genE2ELNS1_11target_archE906ELNS1_3gpuE6ELNS1_3repE0EEENS1_36merge_oddeven_config_static_selectorELNS0_4arch9wavefront6targetE1EEEvSK_
	.globl	_ZN7rocprim17ROCPRIM_400000_NS6detail17trampoline_kernelINS0_14default_configENS1_38merge_sort_block_merge_config_selectorIsNS0_10empty_typeEEEZZNS1_27merge_sort_block_merge_implIS3_N6thrust23THRUST_200600_302600_NS6detail15normal_iteratorINS9_10device_ptrIsEEEEPS5_m14custom_greaterIsEEE10hipError_tT0_T1_T2_jT3_P12ihipStream_tbPNSt15iterator_traitsISJ_E10value_typeEPNSP_ISK_E10value_typeEPSL_NS1_7vsmem_tEENKUlT_SJ_SK_SL_E_clISE_PsSF_SF_EESI_SY_SJ_SK_SL_EUlSY_E1_NS1_11comp_targetILNS1_3genE2ELNS1_11target_archE906ELNS1_3gpuE6ELNS1_3repE0EEENS1_36merge_oddeven_config_static_selectorELNS0_4arch9wavefront6targetE1EEEvSK_
	.p2align	8
	.type	_ZN7rocprim17ROCPRIM_400000_NS6detail17trampoline_kernelINS0_14default_configENS1_38merge_sort_block_merge_config_selectorIsNS0_10empty_typeEEEZZNS1_27merge_sort_block_merge_implIS3_N6thrust23THRUST_200600_302600_NS6detail15normal_iteratorINS9_10device_ptrIsEEEEPS5_m14custom_greaterIsEEE10hipError_tT0_T1_T2_jT3_P12ihipStream_tbPNSt15iterator_traitsISJ_E10value_typeEPNSP_ISK_E10value_typeEPSL_NS1_7vsmem_tEENKUlT_SJ_SK_SL_E_clISE_PsSF_SF_EESI_SY_SJ_SK_SL_EUlSY_E1_NS1_11comp_targetILNS1_3genE2ELNS1_11target_archE906ELNS1_3gpuE6ELNS1_3repE0EEENS1_36merge_oddeven_config_static_selectorELNS0_4arch9wavefront6targetE1EEEvSK_,@function
_ZN7rocprim17ROCPRIM_400000_NS6detail17trampoline_kernelINS0_14default_configENS1_38merge_sort_block_merge_config_selectorIsNS0_10empty_typeEEEZZNS1_27merge_sort_block_merge_implIS3_N6thrust23THRUST_200600_302600_NS6detail15normal_iteratorINS9_10device_ptrIsEEEEPS5_m14custom_greaterIsEEE10hipError_tT0_T1_T2_jT3_P12ihipStream_tbPNSt15iterator_traitsISJ_E10value_typeEPNSP_ISK_E10value_typeEPSL_NS1_7vsmem_tEENKUlT_SJ_SK_SL_E_clISE_PsSF_SF_EESI_SY_SJ_SK_SL_EUlSY_E1_NS1_11comp_targetILNS1_3genE2ELNS1_11target_archE906ELNS1_3gpuE6ELNS1_3repE0EEENS1_36merge_oddeven_config_static_selectorELNS0_4arch9wavefront6targetE1EEEvSK_: ; @_ZN7rocprim17ROCPRIM_400000_NS6detail17trampoline_kernelINS0_14default_configENS1_38merge_sort_block_merge_config_selectorIsNS0_10empty_typeEEEZZNS1_27merge_sort_block_merge_implIS3_N6thrust23THRUST_200600_302600_NS6detail15normal_iteratorINS9_10device_ptrIsEEEEPS5_m14custom_greaterIsEEE10hipError_tT0_T1_T2_jT3_P12ihipStream_tbPNSt15iterator_traitsISJ_E10value_typeEPNSP_ISK_E10value_typeEPSL_NS1_7vsmem_tEENKUlT_SJ_SK_SL_E_clISE_PsSF_SF_EESI_SY_SJ_SK_SL_EUlSY_E1_NS1_11comp_targetILNS1_3genE2ELNS1_11target_archE906ELNS1_3gpuE6ELNS1_3repE0EEENS1_36merge_oddeven_config_static_selectorELNS0_4arch9wavefront6targetE1EEEvSK_
; %bb.0:
	.section	.rodata,"a",@progbits
	.p2align	6, 0x0
	.amdhsa_kernel _ZN7rocprim17ROCPRIM_400000_NS6detail17trampoline_kernelINS0_14default_configENS1_38merge_sort_block_merge_config_selectorIsNS0_10empty_typeEEEZZNS1_27merge_sort_block_merge_implIS3_N6thrust23THRUST_200600_302600_NS6detail15normal_iteratorINS9_10device_ptrIsEEEEPS5_m14custom_greaterIsEEE10hipError_tT0_T1_T2_jT3_P12ihipStream_tbPNSt15iterator_traitsISJ_E10value_typeEPNSP_ISK_E10value_typeEPSL_NS1_7vsmem_tEENKUlT_SJ_SK_SL_E_clISE_PsSF_SF_EESI_SY_SJ_SK_SL_EUlSY_E1_NS1_11comp_targetILNS1_3genE2ELNS1_11target_archE906ELNS1_3gpuE6ELNS1_3repE0EEENS1_36merge_oddeven_config_static_selectorELNS0_4arch9wavefront6targetE1EEEvSK_
		.amdhsa_group_segment_fixed_size 0
		.amdhsa_private_segment_fixed_size 0
		.amdhsa_kernarg_size 56
		.amdhsa_user_sgpr_count 6
		.amdhsa_user_sgpr_private_segment_buffer 1
		.amdhsa_user_sgpr_dispatch_ptr 0
		.amdhsa_user_sgpr_queue_ptr 0
		.amdhsa_user_sgpr_kernarg_segment_ptr 1
		.amdhsa_user_sgpr_dispatch_id 0
		.amdhsa_user_sgpr_flat_scratch_init 0
		.amdhsa_user_sgpr_kernarg_preload_length 0
		.amdhsa_user_sgpr_kernarg_preload_offset 0
		.amdhsa_user_sgpr_private_segment_size 0
		.amdhsa_uses_dynamic_stack 0
		.amdhsa_system_sgpr_private_segment_wavefront_offset 0
		.amdhsa_system_sgpr_workgroup_id_x 1
		.amdhsa_system_sgpr_workgroup_id_y 0
		.amdhsa_system_sgpr_workgroup_id_z 0
		.amdhsa_system_sgpr_workgroup_info 0
		.amdhsa_system_vgpr_workitem_id 0
		.amdhsa_next_free_vgpr 1
		.amdhsa_next_free_sgpr 0
		.amdhsa_accum_offset 4
		.amdhsa_reserve_vcc 0
		.amdhsa_reserve_flat_scratch 0
		.amdhsa_float_round_mode_32 0
		.amdhsa_float_round_mode_16_64 0
		.amdhsa_float_denorm_mode_32 3
		.amdhsa_float_denorm_mode_16_64 3
		.amdhsa_dx10_clamp 1
		.amdhsa_ieee_mode 1
		.amdhsa_fp16_overflow 0
		.amdhsa_tg_split 0
		.amdhsa_exception_fp_ieee_invalid_op 0
		.amdhsa_exception_fp_denorm_src 0
		.amdhsa_exception_fp_ieee_div_zero 0
		.amdhsa_exception_fp_ieee_overflow 0
		.amdhsa_exception_fp_ieee_underflow 0
		.amdhsa_exception_fp_ieee_inexact 0
		.amdhsa_exception_int_div_zero 0
	.end_amdhsa_kernel
	.section	.text._ZN7rocprim17ROCPRIM_400000_NS6detail17trampoline_kernelINS0_14default_configENS1_38merge_sort_block_merge_config_selectorIsNS0_10empty_typeEEEZZNS1_27merge_sort_block_merge_implIS3_N6thrust23THRUST_200600_302600_NS6detail15normal_iteratorINS9_10device_ptrIsEEEEPS5_m14custom_greaterIsEEE10hipError_tT0_T1_T2_jT3_P12ihipStream_tbPNSt15iterator_traitsISJ_E10value_typeEPNSP_ISK_E10value_typeEPSL_NS1_7vsmem_tEENKUlT_SJ_SK_SL_E_clISE_PsSF_SF_EESI_SY_SJ_SK_SL_EUlSY_E1_NS1_11comp_targetILNS1_3genE2ELNS1_11target_archE906ELNS1_3gpuE6ELNS1_3repE0EEENS1_36merge_oddeven_config_static_selectorELNS0_4arch9wavefront6targetE1EEEvSK_,"axG",@progbits,_ZN7rocprim17ROCPRIM_400000_NS6detail17trampoline_kernelINS0_14default_configENS1_38merge_sort_block_merge_config_selectorIsNS0_10empty_typeEEEZZNS1_27merge_sort_block_merge_implIS3_N6thrust23THRUST_200600_302600_NS6detail15normal_iteratorINS9_10device_ptrIsEEEEPS5_m14custom_greaterIsEEE10hipError_tT0_T1_T2_jT3_P12ihipStream_tbPNSt15iterator_traitsISJ_E10value_typeEPNSP_ISK_E10value_typeEPSL_NS1_7vsmem_tEENKUlT_SJ_SK_SL_E_clISE_PsSF_SF_EESI_SY_SJ_SK_SL_EUlSY_E1_NS1_11comp_targetILNS1_3genE2ELNS1_11target_archE906ELNS1_3gpuE6ELNS1_3repE0EEENS1_36merge_oddeven_config_static_selectorELNS0_4arch9wavefront6targetE1EEEvSK_,comdat
.Lfunc_end2982:
	.size	_ZN7rocprim17ROCPRIM_400000_NS6detail17trampoline_kernelINS0_14default_configENS1_38merge_sort_block_merge_config_selectorIsNS0_10empty_typeEEEZZNS1_27merge_sort_block_merge_implIS3_N6thrust23THRUST_200600_302600_NS6detail15normal_iteratorINS9_10device_ptrIsEEEEPS5_m14custom_greaterIsEEE10hipError_tT0_T1_T2_jT3_P12ihipStream_tbPNSt15iterator_traitsISJ_E10value_typeEPNSP_ISK_E10value_typeEPSL_NS1_7vsmem_tEENKUlT_SJ_SK_SL_E_clISE_PsSF_SF_EESI_SY_SJ_SK_SL_EUlSY_E1_NS1_11comp_targetILNS1_3genE2ELNS1_11target_archE906ELNS1_3gpuE6ELNS1_3repE0EEENS1_36merge_oddeven_config_static_selectorELNS0_4arch9wavefront6targetE1EEEvSK_, .Lfunc_end2982-_ZN7rocprim17ROCPRIM_400000_NS6detail17trampoline_kernelINS0_14default_configENS1_38merge_sort_block_merge_config_selectorIsNS0_10empty_typeEEEZZNS1_27merge_sort_block_merge_implIS3_N6thrust23THRUST_200600_302600_NS6detail15normal_iteratorINS9_10device_ptrIsEEEEPS5_m14custom_greaterIsEEE10hipError_tT0_T1_T2_jT3_P12ihipStream_tbPNSt15iterator_traitsISJ_E10value_typeEPNSP_ISK_E10value_typeEPSL_NS1_7vsmem_tEENKUlT_SJ_SK_SL_E_clISE_PsSF_SF_EESI_SY_SJ_SK_SL_EUlSY_E1_NS1_11comp_targetILNS1_3genE2ELNS1_11target_archE906ELNS1_3gpuE6ELNS1_3repE0EEENS1_36merge_oddeven_config_static_selectorELNS0_4arch9wavefront6targetE1EEEvSK_
                                        ; -- End function
	.section	.AMDGPU.csdata,"",@progbits
; Kernel info:
; codeLenInByte = 0
; NumSgprs: 4
; NumVgprs: 0
; NumAgprs: 0
; TotalNumVgprs: 0
; ScratchSize: 0
; MemoryBound: 0
; FloatMode: 240
; IeeeMode: 1
; LDSByteSize: 0 bytes/workgroup (compile time only)
; SGPRBlocks: 0
; VGPRBlocks: 0
; NumSGPRsForWavesPerEU: 4
; NumVGPRsForWavesPerEU: 1
; AccumOffset: 4
; Occupancy: 8
; WaveLimiterHint : 0
; COMPUTE_PGM_RSRC2:SCRATCH_EN: 0
; COMPUTE_PGM_RSRC2:USER_SGPR: 6
; COMPUTE_PGM_RSRC2:TRAP_HANDLER: 0
; COMPUTE_PGM_RSRC2:TGID_X_EN: 1
; COMPUTE_PGM_RSRC2:TGID_Y_EN: 0
; COMPUTE_PGM_RSRC2:TGID_Z_EN: 0
; COMPUTE_PGM_RSRC2:TIDIG_COMP_CNT: 0
; COMPUTE_PGM_RSRC3_GFX90A:ACCUM_OFFSET: 0
; COMPUTE_PGM_RSRC3_GFX90A:TG_SPLIT: 0
	.section	.text._ZN7rocprim17ROCPRIM_400000_NS6detail17trampoline_kernelINS0_14default_configENS1_38merge_sort_block_merge_config_selectorIsNS0_10empty_typeEEEZZNS1_27merge_sort_block_merge_implIS3_N6thrust23THRUST_200600_302600_NS6detail15normal_iteratorINS9_10device_ptrIsEEEEPS5_m14custom_greaterIsEEE10hipError_tT0_T1_T2_jT3_P12ihipStream_tbPNSt15iterator_traitsISJ_E10value_typeEPNSP_ISK_E10value_typeEPSL_NS1_7vsmem_tEENKUlT_SJ_SK_SL_E_clISE_PsSF_SF_EESI_SY_SJ_SK_SL_EUlSY_E1_NS1_11comp_targetILNS1_3genE9ELNS1_11target_archE1100ELNS1_3gpuE3ELNS1_3repE0EEENS1_36merge_oddeven_config_static_selectorELNS0_4arch9wavefront6targetE1EEEvSK_,"axG",@progbits,_ZN7rocprim17ROCPRIM_400000_NS6detail17trampoline_kernelINS0_14default_configENS1_38merge_sort_block_merge_config_selectorIsNS0_10empty_typeEEEZZNS1_27merge_sort_block_merge_implIS3_N6thrust23THRUST_200600_302600_NS6detail15normal_iteratorINS9_10device_ptrIsEEEEPS5_m14custom_greaterIsEEE10hipError_tT0_T1_T2_jT3_P12ihipStream_tbPNSt15iterator_traitsISJ_E10value_typeEPNSP_ISK_E10value_typeEPSL_NS1_7vsmem_tEENKUlT_SJ_SK_SL_E_clISE_PsSF_SF_EESI_SY_SJ_SK_SL_EUlSY_E1_NS1_11comp_targetILNS1_3genE9ELNS1_11target_archE1100ELNS1_3gpuE3ELNS1_3repE0EEENS1_36merge_oddeven_config_static_selectorELNS0_4arch9wavefront6targetE1EEEvSK_,comdat
	.protected	_ZN7rocprim17ROCPRIM_400000_NS6detail17trampoline_kernelINS0_14default_configENS1_38merge_sort_block_merge_config_selectorIsNS0_10empty_typeEEEZZNS1_27merge_sort_block_merge_implIS3_N6thrust23THRUST_200600_302600_NS6detail15normal_iteratorINS9_10device_ptrIsEEEEPS5_m14custom_greaterIsEEE10hipError_tT0_T1_T2_jT3_P12ihipStream_tbPNSt15iterator_traitsISJ_E10value_typeEPNSP_ISK_E10value_typeEPSL_NS1_7vsmem_tEENKUlT_SJ_SK_SL_E_clISE_PsSF_SF_EESI_SY_SJ_SK_SL_EUlSY_E1_NS1_11comp_targetILNS1_3genE9ELNS1_11target_archE1100ELNS1_3gpuE3ELNS1_3repE0EEENS1_36merge_oddeven_config_static_selectorELNS0_4arch9wavefront6targetE1EEEvSK_ ; -- Begin function _ZN7rocprim17ROCPRIM_400000_NS6detail17trampoline_kernelINS0_14default_configENS1_38merge_sort_block_merge_config_selectorIsNS0_10empty_typeEEEZZNS1_27merge_sort_block_merge_implIS3_N6thrust23THRUST_200600_302600_NS6detail15normal_iteratorINS9_10device_ptrIsEEEEPS5_m14custom_greaterIsEEE10hipError_tT0_T1_T2_jT3_P12ihipStream_tbPNSt15iterator_traitsISJ_E10value_typeEPNSP_ISK_E10value_typeEPSL_NS1_7vsmem_tEENKUlT_SJ_SK_SL_E_clISE_PsSF_SF_EESI_SY_SJ_SK_SL_EUlSY_E1_NS1_11comp_targetILNS1_3genE9ELNS1_11target_archE1100ELNS1_3gpuE3ELNS1_3repE0EEENS1_36merge_oddeven_config_static_selectorELNS0_4arch9wavefront6targetE1EEEvSK_
	.globl	_ZN7rocprim17ROCPRIM_400000_NS6detail17trampoline_kernelINS0_14default_configENS1_38merge_sort_block_merge_config_selectorIsNS0_10empty_typeEEEZZNS1_27merge_sort_block_merge_implIS3_N6thrust23THRUST_200600_302600_NS6detail15normal_iteratorINS9_10device_ptrIsEEEEPS5_m14custom_greaterIsEEE10hipError_tT0_T1_T2_jT3_P12ihipStream_tbPNSt15iterator_traitsISJ_E10value_typeEPNSP_ISK_E10value_typeEPSL_NS1_7vsmem_tEENKUlT_SJ_SK_SL_E_clISE_PsSF_SF_EESI_SY_SJ_SK_SL_EUlSY_E1_NS1_11comp_targetILNS1_3genE9ELNS1_11target_archE1100ELNS1_3gpuE3ELNS1_3repE0EEENS1_36merge_oddeven_config_static_selectorELNS0_4arch9wavefront6targetE1EEEvSK_
	.p2align	8
	.type	_ZN7rocprim17ROCPRIM_400000_NS6detail17trampoline_kernelINS0_14default_configENS1_38merge_sort_block_merge_config_selectorIsNS0_10empty_typeEEEZZNS1_27merge_sort_block_merge_implIS3_N6thrust23THRUST_200600_302600_NS6detail15normal_iteratorINS9_10device_ptrIsEEEEPS5_m14custom_greaterIsEEE10hipError_tT0_T1_T2_jT3_P12ihipStream_tbPNSt15iterator_traitsISJ_E10value_typeEPNSP_ISK_E10value_typeEPSL_NS1_7vsmem_tEENKUlT_SJ_SK_SL_E_clISE_PsSF_SF_EESI_SY_SJ_SK_SL_EUlSY_E1_NS1_11comp_targetILNS1_3genE9ELNS1_11target_archE1100ELNS1_3gpuE3ELNS1_3repE0EEENS1_36merge_oddeven_config_static_selectorELNS0_4arch9wavefront6targetE1EEEvSK_,@function
_ZN7rocprim17ROCPRIM_400000_NS6detail17trampoline_kernelINS0_14default_configENS1_38merge_sort_block_merge_config_selectorIsNS0_10empty_typeEEEZZNS1_27merge_sort_block_merge_implIS3_N6thrust23THRUST_200600_302600_NS6detail15normal_iteratorINS9_10device_ptrIsEEEEPS5_m14custom_greaterIsEEE10hipError_tT0_T1_T2_jT3_P12ihipStream_tbPNSt15iterator_traitsISJ_E10value_typeEPNSP_ISK_E10value_typeEPSL_NS1_7vsmem_tEENKUlT_SJ_SK_SL_E_clISE_PsSF_SF_EESI_SY_SJ_SK_SL_EUlSY_E1_NS1_11comp_targetILNS1_3genE9ELNS1_11target_archE1100ELNS1_3gpuE3ELNS1_3repE0EEENS1_36merge_oddeven_config_static_selectorELNS0_4arch9wavefront6targetE1EEEvSK_: ; @_ZN7rocprim17ROCPRIM_400000_NS6detail17trampoline_kernelINS0_14default_configENS1_38merge_sort_block_merge_config_selectorIsNS0_10empty_typeEEEZZNS1_27merge_sort_block_merge_implIS3_N6thrust23THRUST_200600_302600_NS6detail15normal_iteratorINS9_10device_ptrIsEEEEPS5_m14custom_greaterIsEEE10hipError_tT0_T1_T2_jT3_P12ihipStream_tbPNSt15iterator_traitsISJ_E10value_typeEPNSP_ISK_E10value_typeEPSL_NS1_7vsmem_tEENKUlT_SJ_SK_SL_E_clISE_PsSF_SF_EESI_SY_SJ_SK_SL_EUlSY_E1_NS1_11comp_targetILNS1_3genE9ELNS1_11target_archE1100ELNS1_3gpuE3ELNS1_3repE0EEENS1_36merge_oddeven_config_static_selectorELNS0_4arch9wavefront6targetE1EEEvSK_
; %bb.0:
	.section	.rodata,"a",@progbits
	.p2align	6, 0x0
	.amdhsa_kernel _ZN7rocprim17ROCPRIM_400000_NS6detail17trampoline_kernelINS0_14default_configENS1_38merge_sort_block_merge_config_selectorIsNS0_10empty_typeEEEZZNS1_27merge_sort_block_merge_implIS3_N6thrust23THRUST_200600_302600_NS6detail15normal_iteratorINS9_10device_ptrIsEEEEPS5_m14custom_greaterIsEEE10hipError_tT0_T1_T2_jT3_P12ihipStream_tbPNSt15iterator_traitsISJ_E10value_typeEPNSP_ISK_E10value_typeEPSL_NS1_7vsmem_tEENKUlT_SJ_SK_SL_E_clISE_PsSF_SF_EESI_SY_SJ_SK_SL_EUlSY_E1_NS1_11comp_targetILNS1_3genE9ELNS1_11target_archE1100ELNS1_3gpuE3ELNS1_3repE0EEENS1_36merge_oddeven_config_static_selectorELNS0_4arch9wavefront6targetE1EEEvSK_
		.amdhsa_group_segment_fixed_size 0
		.amdhsa_private_segment_fixed_size 0
		.amdhsa_kernarg_size 56
		.amdhsa_user_sgpr_count 6
		.amdhsa_user_sgpr_private_segment_buffer 1
		.amdhsa_user_sgpr_dispatch_ptr 0
		.amdhsa_user_sgpr_queue_ptr 0
		.amdhsa_user_sgpr_kernarg_segment_ptr 1
		.amdhsa_user_sgpr_dispatch_id 0
		.amdhsa_user_sgpr_flat_scratch_init 0
		.amdhsa_user_sgpr_kernarg_preload_length 0
		.amdhsa_user_sgpr_kernarg_preload_offset 0
		.amdhsa_user_sgpr_private_segment_size 0
		.amdhsa_uses_dynamic_stack 0
		.amdhsa_system_sgpr_private_segment_wavefront_offset 0
		.amdhsa_system_sgpr_workgroup_id_x 1
		.amdhsa_system_sgpr_workgroup_id_y 0
		.amdhsa_system_sgpr_workgroup_id_z 0
		.amdhsa_system_sgpr_workgroup_info 0
		.amdhsa_system_vgpr_workitem_id 0
		.amdhsa_next_free_vgpr 1
		.amdhsa_next_free_sgpr 0
		.amdhsa_accum_offset 4
		.amdhsa_reserve_vcc 0
		.amdhsa_reserve_flat_scratch 0
		.amdhsa_float_round_mode_32 0
		.amdhsa_float_round_mode_16_64 0
		.amdhsa_float_denorm_mode_32 3
		.amdhsa_float_denorm_mode_16_64 3
		.amdhsa_dx10_clamp 1
		.amdhsa_ieee_mode 1
		.amdhsa_fp16_overflow 0
		.amdhsa_tg_split 0
		.amdhsa_exception_fp_ieee_invalid_op 0
		.amdhsa_exception_fp_denorm_src 0
		.amdhsa_exception_fp_ieee_div_zero 0
		.amdhsa_exception_fp_ieee_overflow 0
		.amdhsa_exception_fp_ieee_underflow 0
		.amdhsa_exception_fp_ieee_inexact 0
		.amdhsa_exception_int_div_zero 0
	.end_amdhsa_kernel
	.section	.text._ZN7rocprim17ROCPRIM_400000_NS6detail17trampoline_kernelINS0_14default_configENS1_38merge_sort_block_merge_config_selectorIsNS0_10empty_typeEEEZZNS1_27merge_sort_block_merge_implIS3_N6thrust23THRUST_200600_302600_NS6detail15normal_iteratorINS9_10device_ptrIsEEEEPS5_m14custom_greaterIsEEE10hipError_tT0_T1_T2_jT3_P12ihipStream_tbPNSt15iterator_traitsISJ_E10value_typeEPNSP_ISK_E10value_typeEPSL_NS1_7vsmem_tEENKUlT_SJ_SK_SL_E_clISE_PsSF_SF_EESI_SY_SJ_SK_SL_EUlSY_E1_NS1_11comp_targetILNS1_3genE9ELNS1_11target_archE1100ELNS1_3gpuE3ELNS1_3repE0EEENS1_36merge_oddeven_config_static_selectorELNS0_4arch9wavefront6targetE1EEEvSK_,"axG",@progbits,_ZN7rocprim17ROCPRIM_400000_NS6detail17trampoline_kernelINS0_14default_configENS1_38merge_sort_block_merge_config_selectorIsNS0_10empty_typeEEEZZNS1_27merge_sort_block_merge_implIS3_N6thrust23THRUST_200600_302600_NS6detail15normal_iteratorINS9_10device_ptrIsEEEEPS5_m14custom_greaterIsEEE10hipError_tT0_T1_T2_jT3_P12ihipStream_tbPNSt15iterator_traitsISJ_E10value_typeEPNSP_ISK_E10value_typeEPSL_NS1_7vsmem_tEENKUlT_SJ_SK_SL_E_clISE_PsSF_SF_EESI_SY_SJ_SK_SL_EUlSY_E1_NS1_11comp_targetILNS1_3genE9ELNS1_11target_archE1100ELNS1_3gpuE3ELNS1_3repE0EEENS1_36merge_oddeven_config_static_selectorELNS0_4arch9wavefront6targetE1EEEvSK_,comdat
.Lfunc_end2983:
	.size	_ZN7rocprim17ROCPRIM_400000_NS6detail17trampoline_kernelINS0_14default_configENS1_38merge_sort_block_merge_config_selectorIsNS0_10empty_typeEEEZZNS1_27merge_sort_block_merge_implIS3_N6thrust23THRUST_200600_302600_NS6detail15normal_iteratorINS9_10device_ptrIsEEEEPS5_m14custom_greaterIsEEE10hipError_tT0_T1_T2_jT3_P12ihipStream_tbPNSt15iterator_traitsISJ_E10value_typeEPNSP_ISK_E10value_typeEPSL_NS1_7vsmem_tEENKUlT_SJ_SK_SL_E_clISE_PsSF_SF_EESI_SY_SJ_SK_SL_EUlSY_E1_NS1_11comp_targetILNS1_3genE9ELNS1_11target_archE1100ELNS1_3gpuE3ELNS1_3repE0EEENS1_36merge_oddeven_config_static_selectorELNS0_4arch9wavefront6targetE1EEEvSK_, .Lfunc_end2983-_ZN7rocprim17ROCPRIM_400000_NS6detail17trampoline_kernelINS0_14default_configENS1_38merge_sort_block_merge_config_selectorIsNS0_10empty_typeEEEZZNS1_27merge_sort_block_merge_implIS3_N6thrust23THRUST_200600_302600_NS6detail15normal_iteratorINS9_10device_ptrIsEEEEPS5_m14custom_greaterIsEEE10hipError_tT0_T1_T2_jT3_P12ihipStream_tbPNSt15iterator_traitsISJ_E10value_typeEPNSP_ISK_E10value_typeEPSL_NS1_7vsmem_tEENKUlT_SJ_SK_SL_E_clISE_PsSF_SF_EESI_SY_SJ_SK_SL_EUlSY_E1_NS1_11comp_targetILNS1_3genE9ELNS1_11target_archE1100ELNS1_3gpuE3ELNS1_3repE0EEENS1_36merge_oddeven_config_static_selectorELNS0_4arch9wavefront6targetE1EEEvSK_
                                        ; -- End function
	.section	.AMDGPU.csdata,"",@progbits
; Kernel info:
; codeLenInByte = 0
; NumSgprs: 4
; NumVgprs: 0
; NumAgprs: 0
; TotalNumVgprs: 0
; ScratchSize: 0
; MemoryBound: 0
; FloatMode: 240
; IeeeMode: 1
; LDSByteSize: 0 bytes/workgroup (compile time only)
; SGPRBlocks: 0
; VGPRBlocks: 0
; NumSGPRsForWavesPerEU: 4
; NumVGPRsForWavesPerEU: 1
; AccumOffset: 4
; Occupancy: 8
; WaveLimiterHint : 0
; COMPUTE_PGM_RSRC2:SCRATCH_EN: 0
; COMPUTE_PGM_RSRC2:USER_SGPR: 6
; COMPUTE_PGM_RSRC2:TRAP_HANDLER: 0
; COMPUTE_PGM_RSRC2:TGID_X_EN: 1
; COMPUTE_PGM_RSRC2:TGID_Y_EN: 0
; COMPUTE_PGM_RSRC2:TGID_Z_EN: 0
; COMPUTE_PGM_RSRC2:TIDIG_COMP_CNT: 0
; COMPUTE_PGM_RSRC3_GFX90A:ACCUM_OFFSET: 0
; COMPUTE_PGM_RSRC3_GFX90A:TG_SPLIT: 0
	.section	.text._ZN7rocprim17ROCPRIM_400000_NS6detail17trampoline_kernelINS0_14default_configENS1_38merge_sort_block_merge_config_selectorIsNS0_10empty_typeEEEZZNS1_27merge_sort_block_merge_implIS3_N6thrust23THRUST_200600_302600_NS6detail15normal_iteratorINS9_10device_ptrIsEEEEPS5_m14custom_greaterIsEEE10hipError_tT0_T1_T2_jT3_P12ihipStream_tbPNSt15iterator_traitsISJ_E10value_typeEPNSP_ISK_E10value_typeEPSL_NS1_7vsmem_tEENKUlT_SJ_SK_SL_E_clISE_PsSF_SF_EESI_SY_SJ_SK_SL_EUlSY_E1_NS1_11comp_targetILNS1_3genE8ELNS1_11target_archE1030ELNS1_3gpuE2ELNS1_3repE0EEENS1_36merge_oddeven_config_static_selectorELNS0_4arch9wavefront6targetE1EEEvSK_,"axG",@progbits,_ZN7rocprim17ROCPRIM_400000_NS6detail17trampoline_kernelINS0_14default_configENS1_38merge_sort_block_merge_config_selectorIsNS0_10empty_typeEEEZZNS1_27merge_sort_block_merge_implIS3_N6thrust23THRUST_200600_302600_NS6detail15normal_iteratorINS9_10device_ptrIsEEEEPS5_m14custom_greaterIsEEE10hipError_tT0_T1_T2_jT3_P12ihipStream_tbPNSt15iterator_traitsISJ_E10value_typeEPNSP_ISK_E10value_typeEPSL_NS1_7vsmem_tEENKUlT_SJ_SK_SL_E_clISE_PsSF_SF_EESI_SY_SJ_SK_SL_EUlSY_E1_NS1_11comp_targetILNS1_3genE8ELNS1_11target_archE1030ELNS1_3gpuE2ELNS1_3repE0EEENS1_36merge_oddeven_config_static_selectorELNS0_4arch9wavefront6targetE1EEEvSK_,comdat
	.protected	_ZN7rocprim17ROCPRIM_400000_NS6detail17trampoline_kernelINS0_14default_configENS1_38merge_sort_block_merge_config_selectorIsNS0_10empty_typeEEEZZNS1_27merge_sort_block_merge_implIS3_N6thrust23THRUST_200600_302600_NS6detail15normal_iteratorINS9_10device_ptrIsEEEEPS5_m14custom_greaterIsEEE10hipError_tT0_T1_T2_jT3_P12ihipStream_tbPNSt15iterator_traitsISJ_E10value_typeEPNSP_ISK_E10value_typeEPSL_NS1_7vsmem_tEENKUlT_SJ_SK_SL_E_clISE_PsSF_SF_EESI_SY_SJ_SK_SL_EUlSY_E1_NS1_11comp_targetILNS1_3genE8ELNS1_11target_archE1030ELNS1_3gpuE2ELNS1_3repE0EEENS1_36merge_oddeven_config_static_selectorELNS0_4arch9wavefront6targetE1EEEvSK_ ; -- Begin function _ZN7rocprim17ROCPRIM_400000_NS6detail17trampoline_kernelINS0_14default_configENS1_38merge_sort_block_merge_config_selectorIsNS0_10empty_typeEEEZZNS1_27merge_sort_block_merge_implIS3_N6thrust23THRUST_200600_302600_NS6detail15normal_iteratorINS9_10device_ptrIsEEEEPS5_m14custom_greaterIsEEE10hipError_tT0_T1_T2_jT3_P12ihipStream_tbPNSt15iterator_traitsISJ_E10value_typeEPNSP_ISK_E10value_typeEPSL_NS1_7vsmem_tEENKUlT_SJ_SK_SL_E_clISE_PsSF_SF_EESI_SY_SJ_SK_SL_EUlSY_E1_NS1_11comp_targetILNS1_3genE8ELNS1_11target_archE1030ELNS1_3gpuE2ELNS1_3repE0EEENS1_36merge_oddeven_config_static_selectorELNS0_4arch9wavefront6targetE1EEEvSK_
	.globl	_ZN7rocprim17ROCPRIM_400000_NS6detail17trampoline_kernelINS0_14default_configENS1_38merge_sort_block_merge_config_selectorIsNS0_10empty_typeEEEZZNS1_27merge_sort_block_merge_implIS3_N6thrust23THRUST_200600_302600_NS6detail15normal_iteratorINS9_10device_ptrIsEEEEPS5_m14custom_greaterIsEEE10hipError_tT0_T1_T2_jT3_P12ihipStream_tbPNSt15iterator_traitsISJ_E10value_typeEPNSP_ISK_E10value_typeEPSL_NS1_7vsmem_tEENKUlT_SJ_SK_SL_E_clISE_PsSF_SF_EESI_SY_SJ_SK_SL_EUlSY_E1_NS1_11comp_targetILNS1_3genE8ELNS1_11target_archE1030ELNS1_3gpuE2ELNS1_3repE0EEENS1_36merge_oddeven_config_static_selectorELNS0_4arch9wavefront6targetE1EEEvSK_
	.p2align	8
	.type	_ZN7rocprim17ROCPRIM_400000_NS6detail17trampoline_kernelINS0_14default_configENS1_38merge_sort_block_merge_config_selectorIsNS0_10empty_typeEEEZZNS1_27merge_sort_block_merge_implIS3_N6thrust23THRUST_200600_302600_NS6detail15normal_iteratorINS9_10device_ptrIsEEEEPS5_m14custom_greaterIsEEE10hipError_tT0_T1_T2_jT3_P12ihipStream_tbPNSt15iterator_traitsISJ_E10value_typeEPNSP_ISK_E10value_typeEPSL_NS1_7vsmem_tEENKUlT_SJ_SK_SL_E_clISE_PsSF_SF_EESI_SY_SJ_SK_SL_EUlSY_E1_NS1_11comp_targetILNS1_3genE8ELNS1_11target_archE1030ELNS1_3gpuE2ELNS1_3repE0EEENS1_36merge_oddeven_config_static_selectorELNS0_4arch9wavefront6targetE1EEEvSK_,@function
_ZN7rocprim17ROCPRIM_400000_NS6detail17trampoline_kernelINS0_14default_configENS1_38merge_sort_block_merge_config_selectorIsNS0_10empty_typeEEEZZNS1_27merge_sort_block_merge_implIS3_N6thrust23THRUST_200600_302600_NS6detail15normal_iteratorINS9_10device_ptrIsEEEEPS5_m14custom_greaterIsEEE10hipError_tT0_T1_T2_jT3_P12ihipStream_tbPNSt15iterator_traitsISJ_E10value_typeEPNSP_ISK_E10value_typeEPSL_NS1_7vsmem_tEENKUlT_SJ_SK_SL_E_clISE_PsSF_SF_EESI_SY_SJ_SK_SL_EUlSY_E1_NS1_11comp_targetILNS1_3genE8ELNS1_11target_archE1030ELNS1_3gpuE2ELNS1_3repE0EEENS1_36merge_oddeven_config_static_selectorELNS0_4arch9wavefront6targetE1EEEvSK_: ; @_ZN7rocprim17ROCPRIM_400000_NS6detail17trampoline_kernelINS0_14default_configENS1_38merge_sort_block_merge_config_selectorIsNS0_10empty_typeEEEZZNS1_27merge_sort_block_merge_implIS3_N6thrust23THRUST_200600_302600_NS6detail15normal_iteratorINS9_10device_ptrIsEEEEPS5_m14custom_greaterIsEEE10hipError_tT0_T1_T2_jT3_P12ihipStream_tbPNSt15iterator_traitsISJ_E10value_typeEPNSP_ISK_E10value_typeEPSL_NS1_7vsmem_tEENKUlT_SJ_SK_SL_E_clISE_PsSF_SF_EESI_SY_SJ_SK_SL_EUlSY_E1_NS1_11comp_targetILNS1_3genE8ELNS1_11target_archE1030ELNS1_3gpuE2ELNS1_3repE0EEENS1_36merge_oddeven_config_static_selectorELNS0_4arch9wavefront6targetE1EEEvSK_
; %bb.0:
	.section	.rodata,"a",@progbits
	.p2align	6, 0x0
	.amdhsa_kernel _ZN7rocprim17ROCPRIM_400000_NS6detail17trampoline_kernelINS0_14default_configENS1_38merge_sort_block_merge_config_selectorIsNS0_10empty_typeEEEZZNS1_27merge_sort_block_merge_implIS3_N6thrust23THRUST_200600_302600_NS6detail15normal_iteratorINS9_10device_ptrIsEEEEPS5_m14custom_greaterIsEEE10hipError_tT0_T1_T2_jT3_P12ihipStream_tbPNSt15iterator_traitsISJ_E10value_typeEPNSP_ISK_E10value_typeEPSL_NS1_7vsmem_tEENKUlT_SJ_SK_SL_E_clISE_PsSF_SF_EESI_SY_SJ_SK_SL_EUlSY_E1_NS1_11comp_targetILNS1_3genE8ELNS1_11target_archE1030ELNS1_3gpuE2ELNS1_3repE0EEENS1_36merge_oddeven_config_static_selectorELNS0_4arch9wavefront6targetE1EEEvSK_
		.amdhsa_group_segment_fixed_size 0
		.amdhsa_private_segment_fixed_size 0
		.amdhsa_kernarg_size 56
		.amdhsa_user_sgpr_count 6
		.amdhsa_user_sgpr_private_segment_buffer 1
		.amdhsa_user_sgpr_dispatch_ptr 0
		.amdhsa_user_sgpr_queue_ptr 0
		.amdhsa_user_sgpr_kernarg_segment_ptr 1
		.amdhsa_user_sgpr_dispatch_id 0
		.amdhsa_user_sgpr_flat_scratch_init 0
		.amdhsa_user_sgpr_kernarg_preload_length 0
		.amdhsa_user_sgpr_kernarg_preload_offset 0
		.amdhsa_user_sgpr_private_segment_size 0
		.amdhsa_uses_dynamic_stack 0
		.amdhsa_system_sgpr_private_segment_wavefront_offset 0
		.amdhsa_system_sgpr_workgroup_id_x 1
		.amdhsa_system_sgpr_workgroup_id_y 0
		.amdhsa_system_sgpr_workgroup_id_z 0
		.amdhsa_system_sgpr_workgroup_info 0
		.amdhsa_system_vgpr_workitem_id 0
		.amdhsa_next_free_vgpr 1
		.amdhsa_next_free_sgpr 0
		.amdhsa_accum_offset 4
		.amdhsa_reserve_vcc 0
		.amdhsa_reserve_flat_scratch 0
		.amdhsa_float_round_mode_32 0
		.amdhsa_float_round_mode_16_64 0
		.amdhsa_float_denorm_mode_32 3
		.amdhsa_float_denorm_mode_16_64 3
		.amdhsa_dx10_clamp 1
		.amdhsa_ieee_mode 1
		.amdhsa_fp16_overflow 0
		.amdhsa_tg_split 0
		.amdhsa_exception_fp_ieee_invalid_op 0
		.amdhsa_exception_fp_denorm_src 0
		.amdhsa_exception_fp_ieee_div_zero 0
		.amdhsa_exception_fp_ieee_overflow 0
		.amdhsa_exception_fp_ieee_underflow 0
		.amdhsa_exception_fp_ieee_inexact 0
		.amdhsa_exception_int_div_zero 0
	.end_amdhsa_kernel
	.section	.text._ZN7rocprim17ROCPRIM_400000_NS6detail17trampoline_kernelINS0_14default_configENS1_38merge_sort_block_merge_config_selectorIsNS0_10empty_typeEEEZZNS1_27merge_sort_block_merge_implIS3_N6thrust23THRUST_200600_302600_NS6detail15normal_iteratorINS9_10device_ptrIsEEEEPS5_m14custom_greaterIsEEE10hipError_tT0_T1_T2_jT3_P12ihipStream_tbPNSt15iterator_traitsISJ_E10value_typeEPNSP_ISK_E10value_typeEPSL_NS1_7vsmem_tEENKUlT_SJ_SK_SL_E_clISE_PsSF_SF_EESI_SY_SJ_SK_SL_EUlSY_E1_NS1_11comp_targetILNS1_3genE8ELNS1_11target_archE1030ELNS1_3gpuE2ELNS1_3repE0EEENS1_36merge_oddeven_config_static_selectorELNS0_4arch9wavefront6targetE1EEEvSK_,"axG",@progbits,_ZN7rocprim17ROCPRIM_400000_NS6detail17trampoline_kernelINS0_14default_configENS1_38merge_sort_block_merge_config_selectorIsNS0_10empty_typeEEEZZNS1_27merge_sort_block_merge_implIS3_N6thrust23THRUST_200600_302600_NS6detail15normal_iteratorINS9_10device_ptrIsEEEEPS5_m14custom_greaterIsEEE10hipError_tT0_T1_T2_jT3_P12ihipStream_tbPNSt15iterator_traitsISJ_E10value_typeEPNSP_ISK_E10value_typeEPSL_NS1_7vsmem_tEENKUlT_SJ_SK_SL_E_clISE_PsSF_SF_EESI_SY_SJ_SK_SL_EUlSY_E1_NS1_11comp_targetILNS1_3genE8ELNS1_11target_archE1030ELNS1_3gpuE2ELNS1_3repE0EEENS1_36merge_oddeven_config_static_selectorELNS0_4arch9wavefront6targetE1EEEvSK_,comdat
.Lfunc_end2984:
	.size	_ZN7rocprim17ROCPRIM_400000_NS6detail17trampoline_kernelINS0_14default_configENS1_38merge_sort_block_merge_config_selectorIsNS0_10empty_typeEEEZZNS1_27merge_sort_block_merge_implIS3_N6thrust23THRUST_200600_302600_NS6detail15normal_iteratorINS9_10device_ptrIsEEEEPS5_m14custom_greaterIsEEE10hipError_tT0_T1_T2_jT3_P12ihipStream_tbPNSt15iterator_traitsISJ_E10value_typeEPNSP_ISK_E10value_typeEPSL_NS1_7vsmem_tEENKUlT_SJ_SK_SL_E_clISE_PsSF_SF_EESI_SY_SJ_SK_SL_EUlSY_E1_NS1_11comp_targetILNS1_3genE8ELNS1_11target_archE1030ELNS1_3gpuE2ELNS1_3repE0EEENS1_36merge_oddeven_config_static_selectorELNS0_4arch9wavefront6targetE1EEEvSK_, .Lfunc_end2984-_ZN7rocprim17ROCPRIM_400000_NS6detail17trampoline_kernelINS0_14default_configENS1_38merge_sort_block_merge_config_selectorIsNS0_10empty_typeEEEZZNS1_27merge_sort_block_merge_implIS3_N6thrust23THRUST_200600_302600_NS6detail15normal_iteratorINS9_10device_ptrIsEEEEPS5_m14custom_greaterIsEEE10hipError_tT0_T1_T2_jT3_P12ihipStream_tbPNSt15iterator_traitsISJ_E10value_typeEPNSP_ISK_E10value_typeEPSL_NS1_7vsmem_tEENKUlT_SJ_SK_SL_E_clISE_PsSF_SF_EESI_SY_SJ_SK_SL_EUlSY_E1_NS1_11comp_targetILNS1_3genE8ELNS1_11target_archE1030ELNS1_3gpuE2ELNS1_3repE0EEENS1_36merge_oddeven_config_static_selectorELNS0_4arch9wavefront6targetE1EEEvSK_
                                        ; -- End function
	.section	.AMDGPU.csdata,"",@progbits
; Kernel info:
; codeLenInByte = 0
; NumSgprs: 4
; NumVgprs: 0
; NumAgprs: 0
; TotalNumVgprs: 0
; ScratchSize: 0
; MemoryBound: 0
; FloatMode: 240
; IeeeMode: 1
; LDSByteSize: 0 bytes/workgroup (compile time only)
; SGPRBlocks: 0
; VGPRBlocks: 0
; NumSGPRsForWavesPerEU: 4
; NumVGPRsForWavesPerEU: 1
; AccumOffset: 4
; Occupancy: 8
; WaveLimiterHint : 0
; COMPUTE_PGM_RSRC2:SCRATCH_EN: 0
; COMPUTE_PGM_RSRC2:USER_SGPR: 6
; COMPUTE_PGM_RSRC2:TRAP_HANDLER: 0
; COMPUTE_PGM_RSRC2:TGID_X_EN: 1
; COMPUTE_PGM_RSRC2:TGID_Y_EN: 0
; COMPUTE_PGM_RSRC2:TGID_Z_EN: 0
; COMPUTE_PGM_RSRC2:TIDIG_COMP_CNT: 0
; COMPUTE_PGM_RSRC3_GFX90A:ACCUM_OFFSET: 0
; COMPUTE_PGM_RSRC3_GFX90A:TG_SPLIT: 0
	.section	.text._ZN7rocprim17ROCPRIM_400000_NS6detail17trampoline_kernelINS0_14default_configENS1_25transform_config_selectorIsLb0EEEZNS1_14transform_implILb0ES3_S5_PsN6thrust23THRUST_200600_302600_NS6detail15normal_iteratorINS9_10device_ptrIsEEEENS0_8identityIsEEEE10hipError_tT2_T3_mT4_P12ihipStream_tbEUlT_E_NS1_11comp_targetILNS1_3genE0ELNS1_11target_archE4294967295ELNS1_3gpuE0ELNS1_3repE0EEENS1_30default_config_static_selectorELNS0_4arch9wavefront6targetE1EEEvT1_,"axG",@progbits,_ZN7rocprim17ROCPRIM_400000_NS6detail17trampoline_kernelINS0_14default_configENS1_25transform_config_selectorIsLb0EEEZNS1_14transform_implILb0ES3_S5_PsN6thrust23THRUST_200600_302600_NS6detail15normal_iteratorINS9_10device_ptrIsEEEENS0_8identityIsEEEE10hipError_tT2_T3_mT4_P12ihipStream_tbEUlT_E_NS1_11comp_targetILNS1_3genE0ELNS1_11target_archE4294967295ELNS1_3gpuE0ELNS1_3repE0EEENS1_30default_config_static_selectorELNS0_4arch9wavefront6targetE1EEEvT1_,comdat
	.protected	_ZN7rocprim17ROCPRIM_400000_NS6detail17trampoline_kernelINS0_14default_configENS1_25transform_config_selectorIsLb0EEEZNS1_14transform_implILb0ES3_S5_PsN6thrust23THRUST_200600_302600_NS6detail15normal_iteratorINS9_10device_ptrIsEEEENS0_8identityIsEEEE10hipError_tT2_T3_mT4_P12ihipStream_tbEUlT_E_NS1_11comp_targetILNS1_3genE0ELNS1_11target_archE4294967295ELNS1_3gpuE0ELNS1_3repE0EEENS1_30default_config_static_selectorELNS0_4arch9wavefront6targetE1EEEvT1_ ; -- Begin function _ZN7rocprim17ROCPRIM_400000_NS6detail17trampoline_kernelINS0_14default_configENS1_25transform_config_selectorIsLb0EEEZNS1_14transform_implILb0ES3_S5_PsN6thrust23THRUST_200600_302600_NS6detail15normal_iteratorINS9_10device_ptrIsEEEENS0_8identityIsEEEE10hipError_tT2_T3_mT4_P12ihipStream_tbEUlT_E_NS1_11comp_targetILNS1_3genE0ELNS1_11target_archE4294967295ELNS1_3gpuE0ELNS1_3repE0EEENS1_30default_config_static_selectorELNS0_4arch9wavefront6targetE1EEEvT1_
	.globl	_ZN7rocprim17ROCPRIM_400000_NS6detail17trampoline_kernelINS0_14default_configENS1_25transform_config_selectorIsLb0EEEZNS1_14transform_implILb0ES3_S5_PsN6thrust23THRUST_200600_302600_NS6detail15normal_iteratorINS9_10device_ptrIsEEEENS0_8identityIsEEEE10hipError_tT2_T3_mT4_P12ihipStream_tbEUlT_E_NS1_11comp_targetILNS1_3genE0ELNS1_11target_archE4294967295ELNS1_3gpuE0ELNS1_3repE0EEENS1_30default_config_static_selectorELNS0_4arch9wavefront6targetE1EEEvT1_
	.p2align	8
	.type	_ZN7rocprim17ROCPRIM_400000_NS6detail17trampoline_kernelINS0_14default_configENS1_25transform_config_selectorIsLb0EEEZNS1_14transform_implILb0ES3_S5_PsN6thrust23THRUST_200600_302600_NS6detail15normal_iteratorINS9_10device_ptrIsEEEENS0_8identityIsEEEE10hipError_tT2_T3_mT4_P12ihipStream_tbEUlT_E_NS1_11comp_targetILNS1_3genE0ELNS1_11target_archE4294967295ELNS1_3gpuE0ELNS1_3repE0EEENS1_30default_config_static_selectorELNS0_4arch9wavefront6targetE1EEEvT1_,@function
_ZN7rocprim17ROCPRIM_400000_NS6detail17trampoline_kernelINS0_14default_configENS1_25transform_config_selectorIsLb0EEEZNS1_14transform_implILb0ES3_S5_PsN6thrust23THRUST_200600_302600_NS6detail15normal_iteratorINS9_10device_ptrIsEEEENS0_8identityIsEEEE10hipError_tT2_T3_mT4_P12ihipStream_tbEUlT_E_NS1_11comp_targetILNS1_3genE0ELNS1_11target_archE4294967295ELNS1_3gpuE0ELNS1_3repE0EEENS1_30default_config_static_selectorELNS0_4arch9wavefront6targetE1EEEvT1_: ; @_ZN7rocprim17ROCPRIM_400000_NS6detail17trampoline_kernelINS0_14default_configENS1_25transform_config_selectorIsLb0EEEZNS1_14transform_implILb0ES3_S5_PsN6thrust23THRUST_200600_302600_NS6detail15normal_iteratorINS9_10device_ptrIsEEEENS0_8identityIsEEEE10hipError_tT2_T3_mT4_P12ihipStream_tbEUlT_E_NS1_11comp_targetILNS1_3genE0ELNS1_11target_archE4294967295ELNS1_3gpuE0ELNS1_3repE0EEENS1_30default_config_static_selectorELNS0_4arch9wavefront6targetE1EEEvT1_
; %bb.0:
	.section	.rodata,"a",@progbits
	.p2align	6, 0x0
	.amdhsa_kernel _ZN7rocprim17ROCPRIM_400000_NS6detail17trampoline_kernelINS0_14default_configENS1_25transform_config_selectorIsLb0EEEZNS1_14transform_implILb0ES3_S5_PsN6thrust23THRUST_200600_302600_NS6detail15normal_iteratorINS9_10device_ptrIsEEEENS0_8identityIsEEEE10hipError_tT2_T3_mT4_P12ihipStream_tbEUlT_E_NS1_11comp_targetILNS1_3genE0ELNS1_11target_archE4294967295ELNS1_3gpuE0ELNS1_3repE0EEENS1_30default_config_static_selectorELNS0_4arch9wavefront6targetE1EEEvT1_
		.amdhsa_group_segment_fixed_size 0
		.amdhsa_private_segment_fixed_size 0
		.amdhsa_kernarg_size 40
		.amdhsa_user_sgpr_count 6
		.amdhsa_user_sgpr_private_segment_buffer 1
		.amdhsa_user_sgpr_dispatch_ptr 0
		.amdhsa_user_sgpr_queue_ptr 0
		.amdhsa_user_sgpr_kernarg_segment_ptr 1
		.amdhsa_user_sgpr_dispatch_id 0
		.amdhsa_user_sgpr_flat_scratch_init 0
		.amdhsa_user_sgpr_kernarg_preload_length 0
		.amdhsa_user_sgpr_kernarg_preload_offset 0
		.amdhsa_user_sgpr_private_segment_size 0
		.amdhsa_uses_dynamic_stack 0
		.amdhsa_system_sgpr_private_segment_wavefront_offset 0
		.amdhsa_system_sgpr_workgroup_id_x 1
		.amdhsa_system_sgpr_workgroup_id_y 0
		.amdhsa_system_sgpr_workgroup_id_z 0
		.amdhsa_system_sgpr_workgroup_info 0
		.amdhsa_system_vgpr_workitem_id 0
		.amdhsa_next_free_vgpr 1
		.amdhsa_next_free_sgpr 0
		.amdhsa_accum_offset 4
		.amdhsa_reserve_vcc 0
		.amdhsa_reserve_flat_scratch 0
		.amdhsa_float_round_mode_32 0
		.amdhsa_float_round_mode_16_64 0
		.amdhsa_float_denorm_mode_32 3
		.amdhsa_float_denorm_mode_16_64 3
		.amdhsa_dx10_clamp 1
		.amdhsa_ieee_mode 1
		.amdhsa_fp16_overflow 0
		.amdhsa_tg_split 0
		.amdhsa_exception_fp_ieee_invalid_op 0
		.amdhsa_exception_fp_denorm_src 0
		.amdhsa_exception_fp_ieee_div_zero 0
		.amdhsa_exception_fp_ieee_overflow 0
		.amdhsa_exception_fp_ieee_underflow 0
		.amdhsa_exception_fp_ieee_inexact 0
		.amdhsa_exception_int_div_zero 0
	.end_amdhsa_kernel
	.section	.text._ZN7rocprim17ROCPRIM_400000_NS6detail17trampoline_kernelINS0_14default_configENS1_25transform_config_selectorIsLb0EEEZNS1_14transform_implILb0ES3_S5_PsN6thrust23THRUST_200600_302600_NS6detail15normal_iteratorINS9_10device_ptrIsEEEENS0_8identityIsEEEE10hipError_tT2_T3_mT4_P12ihipStream_tbEUlT_E_NS1_11comp_targetILNS1_3genE0ELNS1_11target_archE4294967295ELNS1_3gpuE0ELNS1_3repE0EEENS1_30default_config_static_selectorELNS0_4arch9wavefront6targetE1EEEvT1_,"axG",@progbits,_ZN7rocprim17ROCPRIM_400000_NS6detail17trampoline_kernelINS0_14default_configENS1_25transform_config_selectorIsLb0EEEZNS1_14transform_implILb0ES3_S5_PsN6thrust23THRUST_200600_302600_NS6detail15normal_iteratorINS9_10device_ptrIsEEEENS0_8identityIsEEEE10hipError_tT2_T3_mT4_P12ihipStream_tbEUlT_E_NS1_11comp_targetILNS1_3genE0ELNS1_11target_archE4294967295ELNS1_3gpuE0ELNS1_3repE0EEENS1_30default_config_static_selectorELNS0_4arch9wavefront6targetE1EEEvT1_,comdat
.Lfunc_end2985:
	.size	_ZN7rocprim17ROCPRIM_400000_NS6detail17trampoline_kernelINS0_14default_configENS1_25transform_config_selectorIsLb0EEEZNS1_14transform_implILb0ES3_S5_PsN6thrust23THRUST_200600_302600_NS6detail15normal_iteratorINS9_10device_ptrIsEEEENS0_8identityIsEEEE10hipError_tT2_T3_mT4_P12ihipStream_tbEUlT_E_NS1_11comp_targetILNS1_3genE0ELNS1_11target_archE4294967295ELNS1_3gpuE0ELNS1_3repE0EEENS1_30default_config_static_selectorELNS0_4arch9wavefront6targetE1EEEvT1_, .Lfunc_end2985-_ZN7rocprim17ROCPRIM_400000_NS6detail17trampoline_kernelINS0_14default_configENS1_25transform_config_selectorIsLb0EEEZNS1_14transform_implILb0ES3_S5_PsN6thrust23THRUST_200600_302600_NS6detail15normal_iteratorINS9_10device_ptrIsEEEENS0_8identityIsEEEE10hipError_tT2_T3_mT4_P12ihipStream_tbEUlT_E_NS1_11comp_targetILNS1_3genE0ELNS1_11target_archE4294967295ELNS1_3gpuE0ELNS1_3repE0EEENS1_30default_config_static_selectorELNS0_4arch9wavefront6targetE1EEEvT1_
                                        ; -- End function
	.section	.AMDGPU.csdata,"",@progbits
; Kernel info:
; codeLenInByte = 0
; NumSgprs: 4
; NumVgprs: 0
; NumAgprs: 0
; TotalNumVgprs: 0
; ScratchSize: 0
; MemoryBound: 0
; FloatMode: 240
; IeeeMode: 1
; LDSByteSize: 0 bytes/workgroup (compile time only)
; SGPRBlocks: 0
; VGPRBlocks: 0
; NumSGPRsForWavesPerEU: 4
; NumVGPRsForWavesPerEU: 1
; AccumOffset: 4
; Occupancy: 8
; WaveLimiterHint : 0
; COMPUTE_PGM_RSRC2:SCRATCH_EN: 0
; COMPUTE_PGM_RSRC2:USER_SGPR: 6
; COMPUTE_PGM_RSRC2:TRAP_HANDLER: 0
; COMPUTE_PGM_RSRC2:TGID_X_EN: 1
; COMPUTE_PGM_RSRC2:TGID_Y_EN: 0
; COMPUTE_PGM_RSRC2:TGID_Z_EN: 0
; COMPUTE_PGM_RSRC2:TIDIG_COMP_CNT: 0
; COMPUTE_PGM_RSRC3_GFX90A:ACCUM_OFFSET: 0
; COMPUTE_PGM_RSRC3_GFX90A:TG_SPLIT: 0
	.section	.text._ZN7rocprim17ROCPRIM_400000_NS6detail17trampoline_kernelINS0_14default_configENS1_25transform_config_selectorIsLb0EEEZNS1_14transform_implILb0ES3_S5_PsN6thrust23THRUST_200600_302600_NS6detail15normal_iteratorINS9_10device_ptrIsEEEENS0_8identityIsEEEE10hipError_tT2_T3_mT4_P12ihipStream_tbEUlT_E_NS1_11comp_targetILNS1_3genE5ELNS1_11target_archE942ELNS1_3gpuE9ELNS1_3repE0EEENS1_30default_config_static_selectorELNS0_4arch9wavefront6targetE1EEEvT1_,"axG",@progbits,_ZN7rocprim17ROCPRIM_400000_NS6detail17trampoline_kernelINS0_14default_configENS1_25transform_config_selectorIsLb0EEEZNS1_14transform_implILb0ES3_S5_PsN6thrust23THRUST_200600_302600_NS6detail15normal_iteratorINS9_10device_ptrIsEEEENS0_8identityIsEEEE10hipError_tT2_T3_mT4_P12ihipStream_tbEUlT_E_NS1_11comp_targetILNS1_3genE5ELNS1_11target_archE942ELNS1_3gpuE9ELNS1_3repE0EEENS1_30default_config_static_selectorELNS0_4arch9wavefront6targetE1EEEvT1_,comdat
	.protected	_ZN7rocprim17ROCPRIM_400000_NS6detail17trampoline_kernelINS0_14default_configENS1_25transform_config_selectorIsLb0EEEZNS1_14transform_implILb0ES3_S5_PsN6thrust23THRUST_200600_302600_NS6detail15normal_iteratorINS9_10device_ptrIsEEEENS0_8identityIsEEEE10hipError_tT2_T3_mT4_P12ihipStream_tbEUlT_E_NS1_11comp_targetILNS1_3genE5ELNS1_11target_archE942ELNS1_3gpuE9ELNS1_3repE0EEENS1_30default_config_static_selectorELNS0_4arch9wavefront6targetE1EEEvT1_ ; -- Begin function _ZN7rocprim17ROCPRIM_400000_NS6detail17trampoline_kernelINS0_14default_configENS1_25transform_config_selectorIsLb0EEEZNS1_14transform_implILb0ES3_S5_PsN6thrust23THRUST_200600_302600_NS6detail15normal_iteratorINS9_10device_ptrIsEEEENS0_8identityIsEEEE10hipError_tT2_T3_mT4_P12ihipStream_tbEUlT_E_NS1_11comp_targetILNS1_3genE5ELNS1_11target_archE942ELNS1_3gpuE9ELNS1_3repE0EEENS1_30default_config_static_selectorELNS0_4arch9wavefront6targetE1EEEvT1_
	.globl	_ZN7rocprim17ROCPRIM_400000_NS6detail17trampoline_kernelINS0_14default_configENS1_25transform_config_selectorIsLb0EEEZNS1_14transform_implILb0ES3_S5_PsN6thrust23THRUST_200600_302600_NS6detail15normal_iteratorINS9_10device_ptrIsEEEENS0_8identityIsEEEE10hipError_tT2_T3_mT4_P12ihipStream_tbEUlT_E_NS1_11comp_targetILNS1_3genE5ELNS1_11target_archE942ELNS1_3gpuE9ELNS1_3repE0EEENS1_30default_config_static_selectorELNS0_4arch9wavefront6targetE1EEEvT1_
	.p2align	8
	.type	_ZN7rocprim17ROCPRIM_400000_NS6detail17trampoline_kernelINS0_14default_configENS1_25transform_config_selectorIsLb0EEEZNS1_14transform_implILb0ES3_S5_PsN6thrust23THRUST_200600_302600_NS6detail15normal_iteratorINS9_10device_ptrIsEEEENS0_8identityIsEEEE10hipError_tT2_T3_mT4_P12ihipStream_tbEUlT_E_NS1_11comp_targetILNS1_3genE5ELNS1_11target_archE942ELNS1_3gpuE9ELNS1_3repE0EEENS1_30default_config_static_selectorELNS0_4arch9wavefront6targetE1EEEvT1_,@function
_ZN7rocprim17ROCPRIM_400000_NS6detail17trampoline_kernelINS0_14default_configENS1_25transform_config_selectorIsLb0EEEZNS1_14transform_implILb0ES3_S5_PsN6thrust23THRUST_200600_302600_NS6detail15normal_iteratorINS9_10device_ptrIsEEEENS0_8identityIsEEEE10hipError_tT2_T3_mT4_P12ihipStream_tbEUlT_E_NS1_11comp_targetILNS1_3genE5ELNS1_11target_archE942ELNS1_3gpuE9ELNS1_3repE0EEENS1_30default_config_static_selectorELNS0_4arch9wavefront6targetE1EEEvT1_: ; @_ZN7rocprim17ROCPRIM_400000_NS6detail17trampoline_kernelINS0_14default_configENS1_25transform_config_selectorIsLb0EEEZNS1_14transform_implILb0ES3_S5_PsN6thrust23THRUST_200600_302600_NS6detail15normal_iteratorINS9_10device_ptrIsEEEENS0_8identityIsEEEE10hipError_tT2_T3_mT4_P12ihipStream_tbEUlT_E_NS1_11comp_targetILNS1_3genE5ELNS1_11target_archE942ELNS1_3gpuE9ELNS1_3repE0EEENS1_30default_config_static_selectorELNS0_4arch9wavefront6targetE1EEEvT1_
; %bb.0:
	.section	.rodata,"a",@progbits
	.p2align	6, 0x0
	.amdhsa_kernel _ZN7rocprim17ROCPRIM_400000_NS6detail17trampoline_kernelINS0_14default_configENS1_25transform_config_selectorIsLb0EEEZNS1_14transform_implILb0ES3_S5_PsN6thrust23THRUST_200600_302600_NS6detail15normal_iteratorINS9_10device_ptrIsEEEENS0_8identityIsEEEE10hipError_tT2_T3_mT4_P12ihipStream_tbEUlT_E_NS1_11comp_targetILNS1_3genE5ELNS1_11target_archE942ELNS1_3gpuE9ELNS1_3repE0EEENS1_30default_config_static_selectorELNS0_4arch9wavefront6targetE1EEEvT1_
		.amdhsa_group_segment_fixed_size 0
		.amdhsa_private_segment_fixed_size 0
		.amdhsa_kernarg_size 40
		.amdhsa_user_sgpr_count 6
		.amdhsa_user_sgpr_private_segment_buffer 1
		.amdhsa_user_sgpr_dispatch_ptr 0
		.amdhsa_user_sgpr_queue_ptr 0
		.amdhsa_user_sgpr_kernarg_segment_ptr 1
		.amdhsa_user_sgpr_dispatch_id 0
		.amdhsa_user_sgpr_flat_scratch_init 0
		.amdhsa_user_sgpr_kernarg_preload_length 0
		.amdhsa_user_sgpr_kernarg_preload_offset 0
		.amdhsa_user_sgpr_private_segment_size 0
		.amdhsa_uses_dynamic_stack 0
		.amdhsa_system_sgpr_private_segment_wavefront_offset 0
		.amdhsa_system_sgpr_workgroup_id_x 1
		.amdhsa_system_sgpr_workgroup_id_y 0
		.amdhsa_system_sgpr_workgroup_id_z 0
		.amdhsa_system_sgpr_workgroup_info 0
		.amdhsa_system_vgpr_workitem_id 0
		.amdhsa_next_free_vgpr 1
		.amdhsa_next_free_sgpr 0
		.amdhsa_accum_offset 4
		.amdhsa_reserve_vcc 0
		.amdhsa_reserve_flat_scratch 0
		.amdhsa_float_round_mode_32 0
		.amdhsa_float_round_mode_16_64 0
		.amdhsa_float_denorm_mode_32 3
		.amdhsa_float_denorm_mode_16_64 3
		.amdhsa_dx10_clamp 1
		.amdhsa_ieee_mode 1
		.amdhsa_fp16_overflow 0
		.amdhsa_tg_split 0
		.amdhsa_exception_fp_ieee_invalid_op 0
		.amdhsa_exception_fp_denorm_src 0
		.amdhsa_exception_fp_ieee_div_zero 0
		.amdhsa_exception_fp_ieee_overflow 0
		.amdhsa_exception_fp_ieee_underflow 0
		.amdhsa_exception_fp_ieee_inexact 0
		.amdhsa_exception_int_div_zero 0
	.end_amdhsa_kernel
	.section	.text._ZN7rocprim17ROCPRIM_400000_NS6detail17trampoline_kernelINS0_14default_configENS1_25transform_config_selectorIsLb0EEEZNS1_14transform_implILb0ES3_S5_PsN6thrust23THRUST_200600_302600_NS6detail15normal_iteratorINS9_10device_ptrIsEEEENS0_8identityIsEEEE10hipError_tT2_T3_mT4_P12ihipStream_tbEUlT_E_NS1_11comp_targetILNS1_3genE5ELNS1_11target_archE942ELNS1_3gpuE9ELNS1_3repE0EEENS1_30default_config_static_selectorELNS0_4arch9wavefront6targetE1EEEvT1_,"axG",@progbits,_ZN7rocprim17ROCPRIM_400000_NS6detail17trampoline_kernelINS0_14default_configENS1_25transform_config_selectorIsLb0EEEZNS1_14transform_implILb0ES3_S5_PsN6thrust23THRUST_200600_302600_NS6detail15normal_iteratorINS9_10device_ptrIsEEEENS0_8identityIsEEEE10hipError_tT2_T3_mT4_P12ihipStream_tbEUlT_E_NS1_11comp_targetILNS1_3genE5ELNS1_11target_archE942ELNS1_3gpuE9ELNS1_3repE0EEENS1_30default_config_static_selectorELNS0_4arch9wavefront6targetE1EEEvT1_,comdat
.Lfunc_end2986:
	.size	_ZN7rocprim17ROCPRIM_400000_NS6detail17trampoline_kernelINS0_14default_configENS1_25transform_config_selectorIsLb0EEEZNS1_14transform_implILb0ES3_S5_PsN6thrust23THRUST_200600_302600_NS6detail15normal_iteratorINS9_10device_ptrIsEEEENS0_8identityIsEEEE10hipError_tT2_T3_mT4_P12ihipStream_tbEUlT_E_NS1_11comp_targetILNS1_3genE5ELNS1_11target_archE942ELNS1_3gpuE9ELNS1_3repE0EEENS1_30default_config_static_selectorELNS0_4arch9wavefront6targetE1EEEvT1_, .Lfunc_end2986-_ZN7rocprim17ROCPRIM_400000_NS6detail17trampoline_kernelINS0_14default_configENS1_25transform_config_selectorIsLb0EEEZNS1_14transform_implILb0ES3_S5_PsN6thrust23THRUST_200600_302600_NS6detail15normal_iteratorINS9_10device_ptrIsEEEENS0_8identityIsEEEE10hipError_tT2_T3_mT4_P12ihipStream_tbEUlT_E_NS1_11comp_targetILNS1_3genE5ELNS1_11target_archE942ELNS1_3gpuE9ELNS1_3repE0EEENS1_30default_config_static_selectorELNS0_4arch9wavefront6targetE1EEEvT1_
                                        ; -- End function
	.section	.AMDGPU.csdata,"",@progbits
; Kernel info:
; codeLenInByte = 0
; NumSgprs: 4
; NumVgprs: 0
; NumAgprs: 0
; TotalNumVgprs: 0
; ScratchSize: 0
; MemoryBound: 0
; FloatMode: 240
; IeeeMode: 1
; LDSByteSize: 0 bytes/workgroup (compile time only)
; SGPRBlocks: 0
; VGPRBlocks: 0
; NumSGPRsForWavesPerEU: 4
; NumVGPRsForWavesPerEU: 1
; AccumOffset: 4
; Occupancy: 8
; WaveLimiterHint : 0
; COMPUTE_PGM_RSRC2:SCRATCH_EN: 0
; COMPUTE_PGM_RSRC2:USER_SGPR: 6
; COMPUTE_PGM_RSRC2:TRAP_HANDLER: 0
; COMPUTE_PGM_RSRC2:TGID_X_EN: 1
; COMPUTE_PGM_RSRC2:TGID_Y_EN: 0
; COMPUTE_PGM_RSRC2:TGID_Z_EN: 0
; COMPUTE_PGM_RSRC2:TIDIG_COMP_CNT: 0
; COMPUTE_PGM_RSRC3_GFX90A:ACCUM_OFFSET: 0
; COMPUTE_PGM_RSRC3_GFX90A:TG_SPLIT: 0
	.section	.text._ZN7rocprim17ROCPRIM_400000_NS6detail17trampoline_kernelINS0_14default_configENS1_25transform_config_selectorIsLb0EEEZNS1_14transform_implILb0ES3_S5_PsN6thrust23THRUST_200600_302600_NS6detail15normal_iteratorINS9_10device_ptrIsEEEENS0_8identityIsEEEE10hipError_tT2_T3_mT4_P12ihipStream_tbEUlT_E_NS1_11comp_targetILNS1_3genE4ELNS1_11target_archE910ELNS1_3gpuE8ELNS1_3repE0EEENS1_30default_config_static_selectorELNS0_4arch9wavefront6targetE1EEEvT1_,"axG",@progbits,_ZN7rocprim17ROCPRIM_400000_NS6detail17trampoline_kernelINS0_14default_configENS1_25transform_config_selectorIsLb0EEEZNS1_14transform_implILb0ES3_S5_PsN6thrust23THRUST_200600_302600_NS6detail15normal_iteratorINS9_10device_ptrIsEEEENS0_8identityIsEEEE10hipError_tT2_T3_mT4_P12ihipStream_tbEUlT_E_NS1_11comp_targetILNS1_3genE4ELNS1_11target_archE910ELNS1_3gpuE8ELNS1_3repE0EEENS1_30default_config_static_selectorELNS0_4arch9wavefront6targetE1EEEvT1_,comdat
	.protected	_ZN7rocprim17ROCPRIM_400000_NS6detail17trampoline_kernelINS0_14default_configENS1_25transform_config_selectorIsLb0EEEZNS1_14transform_implILb0ES3_S5_PsN6thrust23THRUST_200600_302600_NS6detail15normal_iteratorINS9_10device_ptrIsEEEENS0_8identityIsEEEE10hipError_tT2_T3_mT4_P12ihipStream_tbEUlT_E_NS1_11comp_targetILNS1_3genE4ELNS1_11target_archE910ELNS1_3gpuE8ELNS1_3repE0EEENS1_30default_config_static_selectorELNS0_4arch9wavefront6targetE1EEEvT1_ ; -- Begin function _ZN7rocprim17ROCPRIM_400000_NS6detail17trampoline_kernelINS0_14default_configENS1_25transform_config_selectorIsLb0EEEZNS1_14transform_implILb0ES3_S5_PsN6thrust23THRUST_200600_302600_NS6detail15normal_iteratorINS9_10device_ptrIsEEEENS0_8identityIsEEEE10hipError_tT2_T3_mT4_P12ihipStream_tbEUlT_E_NS1_11comp_targetILNS1_3genE4ELNS1_11target_archE910ELNS1_3gpuE8ELNS1_3repE0EEENS1_30default_config_static_selectorELNS0_4arch9wavefront6targetE1EEEvT1_
	.globl	_ZN7rocprim17ROCPRIM_400000_NS6detail17trampoline_kernelINS0_14default_configENS1_25transform_config_selectorIsLb0EEEZNS1_14transform_implILb0ES3_S5_PsN6thrust23THRUST_200600_302600_NS6detail15normal_iteratorINS9_10device_ptrIsEEEENS0_8identityIsEEEE10hipError_tT2_T3_mT4_P12ihipStream_tbEUlT_E_NS1_11comp_targetILNS1_3genE4ELNS1_11target_archE910ELNS1_3gpuE8ELNS1_3repE0EEENS1_30default_config_static_selectorELNS0_4arch9wavefront6targetE1EEEvT1_
	.p2align	8
	.type	_ZN7rocprim17ROCPRIM_400000_NS6detail17trampoline_kernelINS0_14default_configENS1_25transform_config_selectorIsLb0EEEZNS1_14transform_implILb0ES3_S5_PsN6thrust23THRUST_200600_302600_NS6detail15normal_iteratorINS9_10device_ptrIsEEEENS0_8identityIsEEEE10hipError_tT2_T3_mT4_P12ihipStream_tbEUlT_E_NS1_11comp_targetILNS1_3genE4ELNS1_11target_archE910ELNS1_3gpuE8ELNS1_3repE0EEENS1_30default_config_static_selectorELNS0_4arch9wavefront6targetE1EEEvT1_,@function
_ZN7rocprim17ROCPRIM_400000_NS6detail17trampoline_kernelINS0_14default_configENS1_25transform_config_selectorIsLb0EEEZNS1_14transform_implILb0ES3_S5_PsN6thrust23THRUST_200600_302600_NS6detail15normal_iteratorINS9_10device_ptrIsEEEENS0_8identityIsEEEE10hipError_tT2_T3_mT4_P12ihipStream_tbEUlT_E_NS1_11comp_targetILNS1_3genE4ELNS1_11target_archE910ELNS1_3gpuE8ELNS1_3repE0EEENS1_30default_config_static_selectorELNS0_4arch9wavefront6targetE1EEEvT1_: ; @_ZN7rocprim17ROCPRIM_400000_NS6detail17trampoline_kernelINS0_14default_configENS1_25transform_config_selectorIsLb0EEEZNS1_14transform_implILb0ES3_S5_PsN6thrust23THRUST_200600_302600_NS6detail15normal_iteratorINS9_10device_ptrIsEEEENS0_8identityIsEEEE10hipError_tT2_T3_mT4_P12ihipStream_tbEUlT_E_NS1_11comp_targetILNS1_3genE4ELNS1_11target_archE910ELNS1_3gpuE8ELNS1_3repE0EEENS1_30default_config_static_selectorELNS0_4arch9wavefront6targetE1EEEvT1_
; %bb.0:
	s_load_dwordx8 s[8:15], s[4:5], 0x0
	s_load_dword s2, s[4:5], 0x28
	v_lshlrev_b32_e32 v8, 1, v0
	s_waitcnt lgkmcnt(0)
	s_lshl_b64 s[0:1], s[10:11], 1
	s_add_u32 s3, s8, s0
	s_addc_u32 s4, s9, s1
	s_add_u32 s22, s14, s0
	s_addc_u32 s23, s15, s1
	s_lshl_b32 s0, s6, 9
	s_mov_b32 s1, 0
	s_add_i32 s2, s2, -1
	s_lshl_b64 s[18:19], s[0:1], 1
	s_add_u32 s20, s3, s18
	s_addc_u32 s21, s4, s19
	s_cmp_lg_u32 s6, s2
	s_cbranch_scc0 .LBB2987_2
; %bb.1:
	global_load_ushort v2, v8, s[20:21]
	global_load_ushort v3, v8, s[20:21] offset:128
	global_load_ushort v4, v8, s[20:21] offset:256
	;; [unrolled: 1-line block ×7, first 2 shown]
	s_add_u32 s1, s22, s18
	s_addc_u32 s4, s23, s19
	v_mov_b32_e32 v7, s4
	v_add_co_u32_e32 v6, vcc, s1, v8
	v_addc_co_u32_e32 v7, vcc, 0, v7, vcc
	s_mov_b64 s[16:17], -1
	s_waitcnt vmcnt(7)
	flat_store_short v[6:7], v2
	s_waitcnt vmcnt(0)
	flat_store_short v[6:7], v3 offset:128
	flat_store_short v[6:7], v4 offset:256
	;; [unrolled: 1-line block ×6, first 2 shown]
	s_cbranch_execz .LBB2987_3
	s_branch .LBB2987_34
.LBB2987_2:
	s_mov_b64 s[16:17], 0
                                        ; implicit-def: $vgpr1
                                        ; implicit-def: $vgpr6_vgpr7
.LBB2987_3:
	s_sub_i32 s14, s12, s0
	v_cmp_gt_u32_e32 vcc, s14, v0
                                        ; implicit-def: $vgpr2_vgpr3_vgpr4_vgpr5
	s_and_saveexec_b64 s[0:1], vcc
	s_cbranch_execz .LBB2987_5
; %bb.4:
	global_load_ushort v2, v8, s[20:21]
.LBB2987_5:
	s_or_b64 exec, exec, s[0:1]
	v_or_b32_e32 v1, 64, v0
	v_cmp_gt_u32_e64 s[0:1], s14, v1
	s_and_saveexec_b64 s[2:3], s[0:1]
	s_cbranch_execz .LBB2987_7
; %bb.6:
	global_load_ushort v1, v8, s[20:21] offset:128
	s_mov_b32 s4, 0x5040100
	s_waitcnt vmcnt(0)
	v_perm_b32 v2, v1, v2, s4
.LBB2987_7:
	s_or_b64 exec, exec, s[2:3]
	v_or_b32_e32 v1, 0x80, v0
	v_cmp_gt_u32_e64 s[2:3], s14, v1
	s_and_saveexec_b64 s[4:5], s[2:3]
	s_cbranch_execz .LBB2987_9
; %bb.8:
	global_load_ushort v1, v8, s[20:21] offset:256
	s_mov_b32 s6, 0xffff
	s_waitcnt vmcnt(0)
	v_bfi_b32 v3, s6, v1, v3
.LBB2987_9:
	s_or_b64 exec, exec, s[4:5]
	v_or_b32_e32 v1, 0xc0, v0
	v_cmp_gt_u32_e64 s[4:5], s14, v1
	s_and_saveexec_b64 s[6:7], s[4:5]
	s_cbranch_execz .LBB2987_11
; %bb.10:
	global_load_ushort v1, v8, s[20:21] offset:384
	s_mov_b32 s8, 0x5040100
	s_waitcnt vmcnt(0)
	v_perm_b32 v3, v1, v3, s8
.LBB2987_11:
	s_or_b64 exec, exec, s[6:7]
	v_or_b32_e32 v1, 0x100, v0
	v_cmp_gt_u32_e64 s[6:7], s14, v1
	s_and_saveexec_b64 s[8:9], s[6:7]
	s_cbranch_execz .LBB2987_13
; %bb.12:
	global_load_ushort v1, v8, s[20:21] offset:512
	s_mov_b32 s10, 0xffff
	s_waitcnt vmcnt(0)
	v_bfi_b32 v4, s10, v1, v4
.LBB2987_13:
	;; [unrolled: 22-line block ×3, first 2 shown]
	s_or_b64 exec, exec, s[12:13]
	v_or_b32_e32 v1, 0x1c0, v0
	v_cmp_gt_u32_e64 s[12:13], s14, v1
	v_cmp_le_u32_e64 s[14:15], s14, v1
	s_and_saveexec_b64 s[24:25], s[14:15]
	s_xor_b64 s[14:15], exec, s[24:25]
; %bb.18:
	v_mov_b32_e32 v1, 0
                                        ; implicit-def: $vgpr8
; %bb.19:
	s_andn2_saveexec_b64 s[14:15], s[14:15]
	s_cbranch_execz .LBB2987_21
; %bb.20:
	global_load_ushort v6, v8, s[20:21] offset:896
	s_mov_b32 s20, 0x5040100
	v_mov_b32_e32 v1, 0
	s_waitcnt vmcnt(0)
	v_perm_b32 v5, v6, v5, s20
.LBB2987_21:
	s_or_b64 exec, exec, s[14:15]
	s_add_u32 s14, s22, s18
	s_addc_u32 s15, s23, s19
	v_lshlrev_b64 v[0:1], 1, v[0:1]
	v_mov_b32_e32 v7, s15
	v_add_co_u32_e64 v6, s[14:15], s14, v0
	v_addc_co_u32_e64 v7, s[14:15], v7, v1, s[14:15]
	s_and_saveexec_b64 s[14:15], vcc
	s_cbranch_execnz .LBB2987_37
; %bb.22:
	s_or_b64 exec, exec, s[14:15]
	s_and_saveexec_b64 s[14:15], s[0:1]
	s_cbranch_execnz .LBB2987_38
.LBB2987_23:
	s_or_b64 exec, exec, s[14:15]
	s_mov_b32 s14, 0xffff
	s_and_saveexec_b64 s[0:1], s[2:3]
	s_cbranch_execz .LBB2987_25
.LBB2987_24:
	flat_store_short v[6:7], v3 offset:256
.LBB2987_25:
	s_or_b64 exec, exec, s[0:1]
	v_bfi_b32 v0, s14, v3, v3
	v_cndmask_b32_e64 v0, v0, v3, s[4:5]
	s_and_saveexec_b64 s[0:1], s[4:5]
	s_cbranch_execz .LBB2987_27
; %bb.26:
	flat_store_short_d16_hi v[6:7], v0 offset:384
.LBB2987_27:
	s_or_b64 exec, exec, s[0:1]
	s_mov_b32 s2, 0xffff
	v_cndmask_b32_e64 v0, v4, v4, s[6:7]
	s_and_saveexec_b64 s[0:1], s[6:7]
	s_cbranch_execz .LBB2987_29
; %bb.28:
	flat_store_short v[6:7], v0 offset:512
.LBB2987_29:
	s_or_b64 exec, exec, s[0:1]
	v_bfi_b32 v0, s2, v0, v4
	v_cndmask_b32_e64 v0, v0, v4, s[8:9]
	s_and_saveexec_b64 s[0:1], s[8:9]
	s_cbranch_execnz .LBB2987_39
; %bb.30:
	s_or_b64 exec, exec, s[0:1]
	s_and_saveexec_b64 s[0:1], s[10:11]
	s_cbranch_execnz .LBB2987_40
.LBB2987_31:
	s_or_b64 exec, exec, s[0:1]
                                        ; implicit-def: $vgpr1
	s_and_saveexec_b64 s[0:1], s[12:13]
.LBB2987_32:
	v_cndmask_b32_e64 v0, v5, v5, s[12:13]
	v_lshrrev_b32_e32 v1, 16, v0
	s_or_b64 s[16:17], s[16:17], exec
.LBB2987_33:
	s_or_b64 exec, exec, s[0:1]
.LBB2987_34:
	s_and_saveexec_b64 s[0:1], s[16:17]
	s_cbranch_execnz .LBB2987_36
; %bb.35:
	s_endpgm
.LBB2987_36:
	flat_store_short v[6:7], v1 offset:896
	s_endpgm
.LBB2987_37:
	s_waitcnt vmcnt(0)
	flat_store_short v[6:7], v2
	s_or_b64 exec, exec, s[14:15]
	s_and_saveexec_b64 s[14:15], s[0:1]
	s_cbranch_execz .LBB2987_23
.LBB2987_38:
	s_waitcnt vmcnt(0)
	flat_store_short_d16_hi v[6:7], v2 offset:128
	s_or_b64 exec, exec, s[14:15]
	s_mov_b32 s14, 0xffff
	s_and_saveexec_b64 s[0:1], s[2:3]
	s_cbranch_execnz .LBB2987_24
	s_branch .LBB2987_25
.LBB2987_39:
	flat_store_short_d16_hi v[6:7], v0 offset:640
	s_or_b64 exec, exec, s[0:1]
	s_and_saveexec_b64 s[0:1], s[10:11]
	s_cbranch_execz .LBB2987_31
.LBB2987_40:
	v_cndmask_b32_e64 v0, v5, v5, s[10:11]
	flat_store_short v[6:7], v0 offset:768
	s_or_b64 exec, exec, s[0:1]
                                        ; implicit-def: $vgpr1
	s_and_saveexec_b64 s[0:1], s[12:13]
	s_cbranch_execnz .LBB2987_32
	s_branch .LBB2987_33
	.section	.rodata,"a",@progbits
	.p2align	6, 0x0
	.amdhsa_kernel _ZN7rocprim17ROCPRIM_400000_NS6detail17trampoline_kernelINS0_14default_configENS1_25transform_config_selectorIsLb0EEEZNS1_14transform_implILb0ES3_S5_PsN6thrust23THRUST_200600_302600_NS6detail15normal_iteratorINS9_10device_ptrIsEEEENS0_8identityIsEEEE10hipError_tT2_T3_mT4_P12ihipStream_tbEUlT_E_NS1_11comp_targetILNS1_3genE4ELNS1_11target_archE910ELNS1_3gpuE8ELNS1_3repE0EEENS1_30default_config_static_selectorELNS0_4arch9wavefront6targetE1EEEvT1_
		.amdhsa_group_segment_fixed_size 0
		.amdhsa_private_segment_fixed_size 0
		.amdhsa_kernarg_size 296
		.amdhsa_user_sgpr_count 6
		.amdhsa_user_sgpr_private_segment_buffer 1
		.amdhsa_user_sgpr_dispatch_ptr 0
		.amdhsa_user_sgpr_queue_ptr 0
		.amdhsa_user_sgpr_kernarg_segment_ptr 1
		.amdhsa_user_sgpr_dispatch_id 0
		.amdhsa_user_sgpr_flat_scratch_init 0
		.amdhsa_user_sgpr_kernarg_preload_length 0
		.amdhsa_user_sgpr_kernarg_preload_offset 0
		.amdhsa_user_sgpr_private_segment_size 0
		.amdhsa_uses_dynamic_stack 0
		.amdhsa_system_sgpr_private_segment_wavefront_offset 0
		.amdhsa_system_sgpr_workgroup_id_x 1
		.amdhsa_system_sgpr_workgroup_id_y 0
		.amdhsa_system_sgpr_workgroup_id_z 0
		.amdhsa_system_sgpr_workgroup_info 0
		.amdhsa_system_vgpr_workitem_id 0
		.amdhsa_next_free_vgpr 12
		.amdhsa_next_free_sgpr 26
		.amdhsa_accum_offset 12
		.amdhsa_reserve_vcc 1
		.amdhsa_reserve_flat_scratch 0
		.amdhsa_float_round_mode_32 0
		.amdhsa_float_round_mode_16_64 0
		.amdhsa_float_denorm_mode_32 3
		.amdhsa_float_denorm_mode_16_64 3
		.amdhsa_dx10_clamp 1
		.amdhsa_ieee_mode 1
		.amdhsa_fp16_overflow 0
		.amdhsa_tg_split 0
		.amdhsa_exception_fp_ieee_invalid_op 0
		.amdhsa_exception_fp_denorm_src 0
		.amdhsa_exception_fp_ieee_div_zero 0
		.amdhsa_exception_fp_ieee_overflow 0
		.amdhsa_exception_fp_ieee_underflow 0
		.amdhsa_exception_fp_ieee_inexact 0
		.amdhsa_exception_int_div_zero 0
	.end_amdhsa_kernel
	.section	.text._ZN7rocprim17ROCPRIM_400000_NS6detail17trampoline_kernelINS0_14default_configENS1_25transform_config_selectorIsLb0EEEZNS1_14transform_implILb0ES3_S5_PsN6thrust23THRUST_200600_302600_NS6detail15normal_iteratorINS9_10device_ptrIsEEEENS0_8identityIsEEEE10hipError_tT2_T3_mT4_P12ihipStream_tbEUlT_E_NS1_11comp_targetILNS1_3genE4ELNS1_11target_archE910ELNS1_3gpuE8ELNS1_3repE0EEENS1_30default_config_static_selectorELNS0_4arch9wavefront6targetE1EEEvT1_,"axG",@progbits,_ZN7rocprim17ROCPRIM_400000_NS6detail17trampoline_kernelINS0_14default_configENS1_25transform_config_selectorIsLb0EEEZNS1_14transform_implILb0ES3_S5_PsN6thrust23THRUST_200600_302600_NS6detail15normal_iteratorINS9_10device_ptrIsEEEENS0_8identityIsEEEE10hipError_tT2_T3_mT4_P12ihipStream_tbEUlT_E_NS1_11comp_targetILNS1_3genE4ELNS1_11target_archE910ELNS1_3gpuE8ELNS1_3repE0EEENS1_30default_config_static_selectorELNS0_4arch9wavefront6targetE1EEEvT1_,comdat
.Lfunc_end2987:
	.size	_ZN7rocprim17ROCPRIM_400000_NS6detail17trampoline_kernelINS0_14default_configENS1_25transform_config_selectorIsLb0EEEZNS1_14transform_implILb0ES3_S5_PsN6thrust23THRUST_200600_302600_NS6detail15normal_iteratorINS9_10device_ptrIsEEEENS0_8identityIsEEEE10hipError_tT2_T3_mT4_P12ihipStream_tbEUlT_E_NS1_11comp_targetILNS1_3genE4ELNS1_11target_archE910ELNS1_3gpuE8ELNS1_3repE0EEENS1_30default_config_static_selectorELNS0_4arch9wavefront6targetE1EEEvT1_, .Lfunc_end2987-_ZN7rocprim17ROCPRIM_400000_NS6detail17trampoline_kernelINS0_14default_configENS1_25transform_config_selectorIsLb0EEEZNS1_14transform_implILb0ES3_S5_PsN6thrust23THRUST_200600_302600_NS6detail15normal_iteratorINS9_10device_ptrIsEEEENS0_8identityIsEEEE10hipError_tT2_T3_mT4_P12ihipStream_tbEUlT_E_NS1_11comp_targetILNS1_3genE4ELNS1_11target_archE910ELNS1_3gpuE8ELNS1_3repE0EEENS1_30default_config_static_selectorELNS0_4arch9wavefront6targetE1EEEvT1_
                                        ; -- End function
	.section	.AMDGPU.csdata,"",@progbits
; Kernel info:
; codeLenInByte = 1040
; NumSgprs: 30
; NumVgprs: 12
; NumAgprs: 0
; TotalNumVgprs: 12
; ScratchSize: 0
; MemoryBound: 0
; FloatMode: 240
; IeeeMode: 1
; LDSByteSize: 0 bytes/workgroup (compile time only)
; SGPRBlocks: 3
; VGPRBlocks: 1
; NumSGPRsForWavesPerEU: 30
; NumVGPRsForWavesPerEU: 12
; AccumOffset: 12
; Occupancy: 8
; WaveLimiterHint : 1
; COMPUTE_PGM_RSRC2:SCRATCH_EN: 0
; COMPUTE_PGM_RSRC2:USER_SGPR: 6
; COMPUTE_PGM_RSRC2:TRAP_HANDLER: 0
; COMPUTE_PGM_RSRC2:TGID_X_EN: 1
; COMPUTE_PGM_RSRC2:TGID_Y_EN: 0
; COMPUTE_PGM_RSRC2:TGID_Z_EN: 0
; COMPUTE_PGM_RSRC2:TIDIG_COMP_CNT: 0
; COMPUTE_PGM_RSRC3_GFX90A:ACCUM_OFFSET: 2
; COMPUTE_PGM_RSRC3_GFX90A:TG_SPLIT: 0
	.section	.text._ZN7rocprim17ROCPRIM_400000_NS6detail17trampoline_kernelINS0_14default_configENS1_25transform_config_selectorIsLb0EEEZNS1_14transform_implILb0ES3_S5_PsN6thrust23THRUST_200600_302600_NS6detail15normal_iteratorINS9_10device_ptrIsEEEENS0_8identityIsEEEE10hipError_tT2_T3_mT4_P12ihipStream_tbEUlT_E_NS1_11comp_targetILNS1_3genE3ELNS1_11target_archE908ELNS1_3gpuE7ELNS1_3repE0EEENS1_30default_config_static_selectorELNS0_4arch9wavefront6targetE1EEEvT1_,"axG",@progbits,_ZN7rocprim17ROCPRIM_400000_NS6detail17trampoline_kernelINS0_14default_configENS1_25transform_config_selectorIsLb0EEEZNS1_14transform_implILb0ES3_S5_PsN6thrust23THRUST_200600_302600_NS6detail15normal_iteratorINS9_10device_ptrIsEEEENS0_8identityIsEEEE10hipError_tT2_T3_mT4_P12ihipStream_tbEUlT_E_NS1_11comp_targetILNS1_3genE3ELNS1_11target_archE908ELNS1_3gpuE7ELNS1_3repE0EEENS1_30default_config_static_selectorELNS0_4arch9wavefront6targetE1EEEvT1_,comdat
	.protected	_ZN7rocprim17ROCPRIM_400000_NS6detail17trampoline_kernelINS0_14default_configENS1_25transform_config_selectorIsLb0EEEZNS1_14transform_implILb0ES3_S5_PsN6thrust23THRUST_200600_302600_NS6detail15normal_iteratorINS9_10device_ptrIsEEEENS0_8identityIsEEEE10hipError_tT2_T3_mT4_P12ihipStream_tbEUlT_E_NS1_11comp_targetILNS1_3genE3ELNS1_11target_archE908ELNS1_3gpuE7ELNS1_3repE0EEENS1_30default_config_static_selectorELNS0_4arch9wavefront6targetE1EEEvT1_ ; -- Begin function _ZN7rocprim17ROCPRIM_400000_NS6detail17trampoline_kernelINS0_14default_configENS1_25transform_config_selectorIsLb0EEEZNS1_14transform_implILb0ES3_S5_PsN6thrust23THRUST_200600_302600_NS6detail15normal_iteratorINS9_10device_ptrIsEEEENS0_8identityIsEEEE10hipError_tT2_T3_mT4_P12ihipStream_tbEUlT_E_NS1_11comp_targetILNS1_3genE3ELNS1_11target_archE908ELNS1_3gpuE7ELNS1_3repE0EEENS1_30default_config_static_selectorELNS0_4arch9wavefront6targetE1EEEvT1_
	.globl	_ZN7rocprim17ROCPRIM_400000_NS6detail17trampoline_kernelINS0_14default_configENS1_25transform_config_selectorIsLb0EEEZNS1_14transform_implILb0ES3_S5_PsN6thrust23THRUST_200600_302600_NS6detail15normal_iteratorINS9_10device_ptrIsEEEENS0_8identityIsEEEE10hipError_tT2_T3_mT4_P12ihipStream_tbEUlT_E_NS1_11comp_targetILNS1_3genE3ELNS1_11target_archE908ELNS1_3gpuE7ELNS1_3repE0EEENS1_30default_config_static_selectorELNS0_4arch9wavefront6targetE1EEEvT1_
	.p2align	8
	.type	_ZN7rocprim17ROCPRIM_400000_NS6detail17trampoline_kernelINS0_14default_configENS1_25transform_config_selectorIsLb0EEEZNS1_14transform_implILb0ES3_S5_PsN6thrust23THRUST_200600_302600_NS6detail15normal_iteratorINS9_10device_ptrIsEEEENS0_8identityIsEEEE10hipError_tT2_T3_mT4_P12ihipStream_tbEUlT_E_NS1_11comp_targetILNS1_3genE3ELNS1_11target_archE908ELNS1_3gpuE7ELNS1_3repE0EEENS1_30default_config_static_selectorELNS0_4arch9wavefront6targetE1EEEvT1_,@function
_ZN7rocprim17ROCPRIM_400000_NS6detail17trampoline_kernelINS0_14default_configENS1_25transform_config_selectorIsLb0EEEZNS1_14transform_implILb0ES3_S5_PsN6thrust23THRUST_200600_302600_NS6detail15normal_iteratorINS9_10device_ptrIsEEEENS0_8identityIsEEEE10hipError_tT2_T3_mT4_P12ihipStream_tbEUlT_E_NS1_11comp_targetILNS1_3genE3ELNS1_11target_archE908ELNS1_3gpuE7ELNS1_3repE0EEENS1_30default_config_static_selectorELNS0_4arch9wavefront6targetE1EEEvT1_: ; @_ZN7rocprim17ROCPRIM_400000_NS6detail17trampoline_kernelINS0_14default_configENS1_25transform_config_selectorIsLb0EEEZNS1_14transform_implILb0ES3_S5_PsN6thrust23THRUST_200600_302600_NS6detail15normal_iteratorINS9_10device_ptrIsEEEENS0_8identityIsEEEE10hipError_tT2_T3_mT4_P12ihipStream_tbEUlT_E_NS1_11comp_targetILNS1_3genE3ELNS1_11target_archE908ELNS1_3gpuE7ELNS1_3repE0EEENS1_30default_config_static_selectorELNS0_4arch9wavefront6targetE1EEEvT1_
; %bb.0:
	.section	.rodata,"a",@progbits
	.p2align	6, 0x0
	.amdhsa_kernel _ZN7rocprim17ROCPRIM_400000_NS6detail17trampoline_kernelINS0_14default_configENS1_25transform_config_selectorIsLb0EEEZNS1_14transform_implILb0ES3_S5_PsN6thrust23THRUST_200600_302600_NS6detail15normal_iteratorINS9_10device_ptrIsEEEENS0_8identityIsEEEE10hipError_tT2_T3_mT4_P12ihipStream_tbEUlT_E_NS1_11comp_targetILNS1_3genE3ELNS1_11target_archE908ELNS1_3gpuE7ELNS1_3repE0EEENS1_30default_config_static_selectorELNS0_4arch9wavefront6targetE1EEEvT1_
		.amdhsa_group_segment_fixed_size 0
		.amdhsa_private_segment_fixed_size 0
		.amdhsa_kernarg_size 40
		.amdhsa_user_sgpr_count 6
		.amdhsa_user_sgpr_private_segment_buffer 1
		.amdhsa_user_sgpr_dispatch_ptr 0
		.amdhsa_user_sgpr_queue_ptr 0
		.amdhsa_user_sgpr_kernarg_segment_ptr 1
		.amdhsa_user_sgpr_dispatch_id 0
		.amdhsa_user_sgpr_flat_scratch_init 0
		.amdhsa_user_sgpr_kernarg_preload_length 0
		.amdhsa_user_sgpr_kernarg_preload_offset 0
		.amdhsa_user_sgpr_private_segment_size 0
		.amdhsa_uses_dynamic_stack 0
		.amdhsa_system_sgpr_private_segment_wavefront_offset 0
		.amdhsa_system_sgpr_workgroup_id_x 1
		.amdhsa_system_sgpr_workgroup_id_y 0
		.amdhsa_system_sgpr_workgroup_id_z 0
		.amdhsa_system_sgpr_workgroup_info 0
		.amdhsa_system_vgpr_workitem_id 0
		.amdhsa_next_free_vgpr 1
		.amdhsa_next_free_sgpr 0
		.amdhsa_accum_offset 4
		.amdhsa_reserve_vcc 0
		.amdhsa_reserve_flat_scratch 0
		.amdhsa_float_round_mode_32 0
		.amdhsa_float_round_mode_16_64 0
		.amdhsa_float_denorm_mode_32 3
		.amdhsa_float_denorm_mode_16_64 3
		.amdhsa_dx10_clamp 1
		.amdhsa_ieee_mode 1
		.amdhsa_fp16_overflow 0
		.amdhsa_tg_split 0
		.amdhsa_exception_fp_ieee_invalid_op 0
		.amdhsa_exception_fp_denorm_src 0
		.amdhsa_exception_fp_ieee_div_zero 0
		.amdhsa_exception_fp_ieee_overflow 0
		.amdhsa_exception_fp_ieee_underflow 0
		.amdhsa_exception_fp_ieee_inexact 0
		.amdhsa_exception_int_div_zero 0
	.end_amdhsa_kernel
	.section	.text._ZN7rocprim17ROCPRIM_400000_NS6detail17trampoline_kernelINS0_14default_configENS1_25transform_config_selectorIsLb0EEEZNS1_14transform_implILb0ES3_S5_PsN6thrust23THRUST_200600_302600_NS6detail15normal_iteratorINS9_10device_ptrIsEEEENS0_8identityIsEEEE10hipError_tT2_T3_mT4_P12ihipStream_tbEUlT_E_NS1_11comp_targetILNS1_3genE3ELNS1_11target_archE908ELNS1_3gpuE7ELNS1_3repE0EEENS1_30default_config_static_selectorELNS0_4arch9wavefront6targetE1EEEvT1_,"axG",@progbits,_ZN7rocprim17ROCPRIM_400000_NS6detail17trampoline_kernelINS0_14default_configENS1_25transform_config_selectorIsLb0EEEZNS1_14transform_implILb0ES3_S5_PsN6thrust23THRUST_200600_302600_NS6detail15normal_iteratorINS9_10device_ptrIsEEEENS0_8identityIsEEEE10hipError_tT2_T3_mT4_P12ihipStream_tbEUlT_E_NS1_11comp_targetILNS1_3genE3ELNS1_11target_archE908ELNS1_3gpuE7ELNS1_3repE0EEENS1_30default_config_static_selectorELNS0_4arch9wavefront6targetE1EEEvT1_,comdat
.Lfunc_end2988:
	.size	_ZN7rocprim17ROCPRIM_400000_NS6detail17trampoline_kernelINS0_14default_configENS1_25transform_config_selectorIsLb0EEEZNS1_14transform_implILb0ES3_S5_PsN6thrust23THRUST_200600_302600_NS6detail15normal_iteratorINS9_10device_ptrIsEEEENS0_8identityIsEEEE10hipError_tT2_T3_mT4_P12ihipStream_tbEUlT_E_NS1_11comp_targetILNS1_3genE3ELNS1_11target_archE908ELNS1_3gpuE7ELNS1_3repE0EEENS1_30default_config_static_selectorELNS0_4arch9wavefront6targetE1EEEvT1_, .Lfunc_end2988-_ZN7rocprim17ROCPRIM_400000_NS6detail17trampoline_kernelINS0_14default_configENS1_25transform_config_selectorIsLb0EEEZNS1_14transform_implILb0ES3_S5_PsN6thrust23THRUST_200600_302600_NS6detail15normal_iteratorINS9_10device_ptrIsEEEENS0_8identityIsEEEE10hipError_tT2_T3_mT4_P12ihipStream_tbEUlT_E_NS1_11comp_targetILNS1_3genE3ELNS1_11target_archE908ELNS1_3gpuE7ELNS1_3repE0EEENS1_30default_config_static_selectorELNS0_4arch9wavefront6targetE1EEEvT1_
                                        ; -- End function
	.section	.AMDGPU.csdata,"",@progbits
; Kernel info:
; codeLenInByte = 0
; NumSgprs: 4
; NumVgprs: 0
; NumAgprs: 0
; TotalNumVgprs: 0
; ScratchSize: 0
; MemoryBound: 0
; FloatMode: 240
; IeeeMode: 1
; LDSByteSize: 0 bytes/workgroup (compile time only)
; SGPRBlocks: 0
; VGPRBlocks: 0
; NumSGPRsForWavesPerEU: 4
; NumVGPRsForWavesPerEU: 1
; AccumOffset: 4
; Occupancy: 8
; WaveLimiterHint : 0
; COMPUTE_PGM_RSRC2:SCRATCH_EN: 0
; COMPUTE_PGM_RSRC2:USER_SGPR: 6
; COMPUTE_PGM_RSRC2:TRAP_HANDLER: 0
; COMPUTE_PGM_RSRC2:TGID_X_EN: 1
; COMPUTE_PGM_RSRC2:TGID_Y_EN: 0
; COMPUTE_PGM_RSRC2:TGID_Z_EN: 0
; COMPUTE_PGM_RSRC2:TIDIG_COMP_CNT: 0
; COMPUTE_PGM_RSRC3_GFX90A:ACCUM_OFFSET: 0
; COMPUTE_PGM_RSRC3_GFX90A:TG_SPLIT: 0
	.section	.text._ZN7rocprim17ROCPRIM_400000_NS6detail17trampoline_kernelINS0_14default_configENS1_25transform_config_selectorIsLb0EEEZNS1_14transform_implILb0ES3_S5_PsN6thrust23THRUST_200600_302600_NS6detail15normal_iteratorINS9_10device_ptrIsEEEENS0_8identityIsEEEE10hipError_tT2_T3_mT4_P12ihipStream_tbEUlT_E_NS1_11comp_targetILNS1_3genE2ELNS1_11target_archE906ELNS1_3gpuE6ELNS1_3repE0EEENS1_30default_config_static_selectorELNS0_4arch9wavefront6targetE1EEEvT1_,"axG",@progbits,_ZN7rocprim17ROCPRIM_400000_NS6detail17trampoline_kernelINS0_14default_configENS1_25transform_config_selectorIsLb0EEEZNS1_14transform_implILb0ES3_S5_PsN6thrust23THRUST_200600_302600_NS6detail15normal_iteratorINS9_10device_ptrIsEEEENS0_8identityIsEEEE10hipError_tT2_T3_mT4_P12ihipStream_tbEUlT_E_NS1_11comp_targetILNS1_3genE2ELNS1_11target_archE906ELNS1_3gpuE6ELNS1_3repE0EEENS1_30default_config_static_selectorELNS0_4arch9wavefront6targetE1EEEvT1_,comdat
	.protected	_ZN7rocprim17ROCPRIM_400000_NS6detail17trampoline_kernelINS0_14default_configENS1_25transform_config_selectorIsLb0EEEZNS1_14transform_implILb0ES3_S5_PsN6thrust23THRUST_200600_302600_NS6detail15normal_iteratorINS9_10device_ptrIsEEEENS0_8identityIsEEEE10hipError_tT2_T3_mT4_P12ihipStream_tbEUlT_E_NS1_11comp_targetILNS1_3genE2ELNS1_11target_archE906ELNS1_3gpuE6ELNS1_3repE0EEENS1_30default_config_static_selectorELNS0_4arch9wavefront6targetE1EEEvT1_ ; -- Begin function _ZN7rocprim17ROCPRIM_400000_NS6detail17trampoline_kernelINS0_14default_configENS1_25transform_config_selectorIsLb0EEEZNS1_14transform_implILb0ES3_S5_PsN6thrust23THRUST_200600_302600_NS6detail15normal_iteratorINS9_10device_ptrIsEEEENS0_8identityIsEEEE10hipError_tT2_T3_mT4_P12ihipStream_tbEUlT_E_NS1_11comp_targetILNS1_3genE2ELNS1_11target_archE906ELNS1_3gpuE6ELNS1_3repE0EEENS1_30default_config_static_selectorELNS0_4arch9wavefront6targetE1EEEvT1_
	.globl	_ZN7rocprim17ROCPRIM_400000_NS6detail17trampoline_kernelINS0_14default_configENS1_25transform_config_selectorIsLb0EEEZNS1_14transform_implILb0ES3_S5_PsN6thrust23THRUST_200600_302600_NS6detail15normal_iteratorINS9_10device_ptrIsEEEENS0_8identityIsEEEE10hipError_tT2_T3_mT4_P12ihipStream_tbEUlT_E_NS1_11comp_targetILNS1_3genE2ELNS1_11target_archE906ELNS1_3gpuE6ELNS1_3repE0EEENS1_30default_config_static_selectorELNS0_4arch9wavefront6targetE1EEEvT1_
	.p2align	8
	.type	_ZN7rocprim17ROCPRIM_400000_NS6detail17trampoline_kernelINS0_14default_configENS1_25transform_config_selectorIsLb0EEEZNS1_14transform_implILb0ES3_S5_PsN6thrust23THRUST_200600_302600_NS6detail15normal_iteratorINS9_10device_ptrIsEEEENS0_8identityIsEEEE10hipError_tT2_T3_mT4_P12ihipStream_tbEUlT_E_NS1_11comp_targetILNS1_3genE2ELNS1_11target_archE906ELNS1_3gpuE6ELNS1_3repE0EEENS1_30default_config_static_selectorELNS0_4arch9wavefront6targetE1EEEvT1_,@function
_ZN7rocprim17ROCPRIM_400000_NS6detail17trampoline_kernelINS0_14default_configENS1_25transform_config_selectorIsLb0EEEZNS1_14transform_implILb0ES3_S5_PsN6thrust23THRUST_200600_302600_NS6detail15normal_iteratorINS9_10device_ptrIsEEEENS0_8identityIsEEEE10hipError_tT2_T3_mT4_P12ihipStream_tbEUlT_E_NS1_11comp_targetILNS1_3genE2ELNS1_11target_archE906ELNS1_3gpuE6ELNS1_3repE0EEENS1_30default_config_static_selectorELNS0_4arch9wavefront6targetE1EEEvT1_: ; @_ZN7rocprim17ROCPRIM_400000_NS6detail17trampoline_kernelINS0_14default_configENS1_25transform_config_selectorIsLb0EEEZNS1_14transform_implILb0ES3_S5_PsN6thrust23THRUST_200600_302600_NS6detail15normal_iteratorINS9_10device_ptrIsEEEENS0_8identityIsEEEE10hipError_tT2_T3_mT4_P12ihipStream_tbEUlT_E_NS1_11comp_targetILNS1_3genE2ELNS1_11target_archE906ELNS1_3gpuE6ELNS1_3repE0EEENS1_30default_config_static_selectorELNS0_4arch9wavefront6targetE1EEEvT1_
; %bb.0:
	.section	.rodata,"a",@progbits
	.p2align	6, 0x0
	.amdhsa_kernel _ZN7rocprim17ROCPRIM_400000_NS6detail17trampoline_kernelINS0_14default_configENS1_25transform_config_selectorIsLb0EEEZNS1_14transform_implILb0ES3_S5_PsN6thrust23THRUST_200600_302600_NS6detail15normal_iteratorINS9_10device_ptrIsEEEENS0_8identityIsEEEE10hipError_tT2_T3_mT4_P12ihipStream_tbEUlT_E_NS1_11comp_targetILNS1_3genE2ELNS1_11target_archE906ELNS1_3gpuE6ELNS1_3repE0EEENS1_30default_config_static_selectorELNS0_4arch9wavefront6targetE1EEEvT1_
		.amdhsa_group_segment_fixed_size 0
		.amdhsa_private_segment_fixed_size 0
		.amdhsa_kernarg_size 40
		.amdhsa_user_sgpr_count 6
		.amdhsa_user_sgpr_private_segment_buffer 1
		.amdhsa_user_sgpr_dispatch_ptr 0
		.amdhsa_user_sgpr_queue_ptr 0
		.amdhsa_user_sgpr_kernarg_segment_ptr 1
		.amdhsa_user_sgpr_dispatch_id 0
		.amdhsa_user_sgpr_flat_scratch_init 0
		.amdhsa_user_sgpr_kernarg_preload_length 0
		.amdhsa_user_sgpr_kernarg_preload_offset 0
		.amdhsa_user_sgpr_private_segment_size 0
		.amdhsa_uses_dynamic_stack 0
		.amdhsa_system_sgpr_private_segment_wavefront_offset 0
		.amdhsa_system_sgpr_workgroup_id_x 1
		.amdhsa_system_sgpr_workgroup_id_y 0
		.amdhsa_system_sgpr_workgroup_id_z 0
		.amdhsa_system_sgpr_workgroup_info 0
		.amdhsa_system_vgpr_workitem_id 0
		.amdhsa_next_free_vgpr 1
		.amdhsa_next_free_sgpr 0
		.amdhsa_accum_offset 4
		.amdhsa_reserve_vcc 0
		.amdhsa_reserve_flat_scratch 0
		.amdhsa_float_round_mode_32 0
		.amdhsa_float_round_mode_16_64 0
		.amdhsa_float_denorm_mode_32 3
		.amdhsa_float_denorm_mode_16_64 3
		.amdhsa_dx10_clamp 1
		.amdhsa_ieee_mode 1
		.amdhsa_fp16_overflow 0
		.amdhsa_tg_split 0
		.amdhsa_exception_fp_ieee_invalid_op 0
		.amdhsa_exception_fp_denorm_src 0
		.amdhsa_exception_fp_ieee_div_zero 0
		.amdhsa_exception_fp_ieee_overflow 0
		.amdhsa_exception_fp_ieee_underflow 0
		.amdhsa_exception_fp_ieee_inexact 0
		.amdhsa_exception_int_div_zero 0
	.end_amdhsa_kernel
	.section	.text._ZN7rocprim17ROCPRIM_400000_NS6detail17trampoline_kernelINS0_14default_configENS1_25transform_config_selectorIsLb0EEEZNS1_14transform_implILb0ES3_S5_PsN6thrust23THRUST_200600_302600_NS6detail15normal_iteratorINS9_10device_ptrIsEEEENS0_8identityIsEEEE10hipError_tT2_T3_mT4_P12ihipStream_tbEUlT_E_NS1_11comp_targetILNS1_3genE2ELNS1_11target_archE906ELNS1_3gpuE6ELNS1_3repE0EEENS1_30default_config_static_selectorELNS0_4arch9wavefront6targetE1EEEvT1_,"axG",@progbits,_ZN7rocprim17ROCPRIM_400000_NS6detail17trampoline_kernelINS0_14default_configENS1_25transform_config_selectorIsLb0EEEZNS1_14transform_implILb0ES3_S5_PsN6thrust23THRUST_200600_302600_NS6detail15normal_iteratorINS9_10device_ptrIsEEEENS0_8identityIsEEEE10hipError_tT2_T3_mT4_P12ihipStream_tbEUlT_E_NS1_11comp_targetILNS1_3genE2ELNS1_11target_archE906ELNS1_3gpuE6ELNS1_3repE0EEENS1_30default_config_static_selectorELNS0_4arch9wavefront6targetE1EEEvT1_,comdat
.Lfunc_end2989:
	.size	_ZN7rocprim17ROCPRIM_400000_NS6detail17trampoline_kernelINS0_14default_configENS1_25transform_config_selectorIsLb0EEEZNS1_14transform_implILb0ES3_S5_PsN6thrust23THRUST_200600_302600_NS6detail15normal_iteratorINS9_10device_ptrIsEEEENS0_8identityIsEEEE10hipError_tT2_T3_mT4_P12ihipStream_tbEUlT_E_NS1_11comp_targetILNS1_3genE2ELNS1_11target_archE906ELNS1_3gpuE6ELNS1_3repE0EEENS1_30default_config_static_selectorELNS0_4arch9wavefront6targetE1EEEvT1_, .Lfunc_end2989-_ZN7rocprim17ROCPRIM_400000_NS6detail17trampoline_kernelINS0_14default_configENS1_25transform_config_selectorIsLb0EEEZNS1_14transform_implILb0ES3_S5_PsN6thrust23THRUST_200600_302600_NS6detail15normal_iteratorINS9_10device_ptrIsEEEENS0_8identityIsEEEE10hipError_tT2_T3_mT4_P12ihipStream_tbEUlT_E_NS1_11comp_targetILNS1_3genE2ELNS1_11target_archE906ELNS1_3gpuE6ELNS1_3repE0EEENS1_30default_config_static_selectorELNS0_4arch9wavefront6targetE1EEEvT1_
                                        ; -- End function
	.section	.AMDGPU.csdata,"",@progbits
; Kernel info:
; codeLenInByte = 0
; NumSgprs: 4
; NumVgprs: 0
; NumAgprs: 0
; TotalNumVgprs: 0
; ScratchSize: 0
; MemoryBound: 0
; FloatMode: 240
; IeeeMode: 1
; LDSByteSize: 0 bytes/workgroup (compile time only)
; SGPRBlocks: 0
; VGPRBlocks: 0
; NumSGPRsForWavesPerEU: 4
; NumVGPRsForWavesPerEU: 1
; AccumOffset: 4
; Occupancy: 8
; WaveLimiterHint : 0
; COMPUTE_PGM_RSRC2:SCRATCH_EN: 0
; COMPUTE_PGM_RSRC2:USER_SGPR: 6
; COMPUTE_PGM_RSRC2:TRAP_HANDLER: 0
; COMPUTE_PGM_RSRC2:TGID_X_EN: 1
; COMPUTE_PGM_RSRC2:TGID_Y_EN: 0
; COMPUTE_PGM_RSRC2:TGID_Z_EN: 0
; COMPUTE_PGM_RSRC2:TIDIG_COMP_CNT: 0
; COMPUTE_PGM_RSRC3_GFX90A:ACCUM_OFFSET: 0
; COMPUTE_PGM_RSRC3_GFX90A:TG_SPLIT: 0
	.section	.text._ZN7rocprim17ROCPRIM_400000_NS6detail17trampoline_kernelINS0_14default_configENS1_25transform_config_selectorIsLb0EEEZNS1_14transform_implILb0ES3_S5_PsN6thrust23THRUST_200600_302600_NS6detail15normal_iteratorINS9_10device_ptrIsEEEENS0_8identityIsEEEE10hipError_tT2_T3_mT4_P12ihipStream_tbEUlT_E_NS1_11comp_targetILNS1_3genE10ELNS1_11target_archE1201ELNS1_3gpuE5ELNS1_3repE0EEENS1_30default_config_static_selectorELNS0_4arch9wavefront6targetE1EEEvT1_,"axG",@progbits,_ZN7rocprim17ROCPRIM_400000_NS6detail17trampoline_kernelINS0_14default_configENS1_25transform_config_selectorIsLb0EEEZNS1_14transform_implILb0ES3_S5_PsN6thrust23THRUST_200600_302600_NS6detail15normal_iteratorINS9_10device_ptrIsEEEENS0_8identityIsEEEE10hipError_tT2_T3_mT4_P12ihipStream_tbEUlT_E_NS1_11comp_targetILNS1_3genE10ELNS1_11target_archE1201ELNS1_3gpuE5ELNS1_3repE0EEENS1_30default_config_static_selectorELNS0_4arch9wavefront6targetE1EEEvT1_,comdat
	.protected	_ZN7rocprim17ROCPRIM_400000_NS6detail17trampoline_kernelINS0_14default_configENS1_25transform_config_selectorIsLb0EEEZNS1_14transform_implILb0ES3_S5_PsN6thrust23THRUST_200600_302600_NS6detail15normal_iteratorINS9_10device_ptrIsEEEENS0_8identityIsEEEE10hipError_tT2_T3_mT4_P12ihipStream_tbEUlT_E_NS1_11comp_targetILNS1_3genE10ELNS1_11target_archE1201ELNS1_3gpuE5ELNS1_3repE0EEENS1_30default_config_static_selectorELNS0_4arch9wavefront6targetE1EEEvT1_ ; -- Begin function _ZN7rocprim17ROCPRIM_400000_NS6detail17trampoline_kernelINS0_14default_configENS1_25transform_config_selectorIsLb0EEEZNS1_14transform_implILb0ES3_S5_PsN6thrust23THRUST_200600_302600_NS6detail15normal_iteratorINS9_10device_ptrIsEEEENS0_8identityIsEEEE10hipError_tT2_T3_mT4_P12ihipStream_tbEUlT_E_NS1_11comp_targetILNS1_3genE10ELNS1_11target_archE1201ELNS1_3gpuE5ELNS1_3repE0EEENS1_30default_config_static_selectorELNS0_4arch9wavefront6targetE1EEEvT1_
	.globl	_ZN7rocprim17ROCPRIM_400000_NS6detail17trampoline_kernelINS0_14default_configENS1_25transform_config_selectorIsLb0EEEZNS1_14transform_implILb0ES3_S5_PsN6thrust23THRUST_200600_302600_NS6detail15normal_iteratorINS9_10device_ptrIsEEEENS0_8identityIsEEEE10hipError_tT2_T3_mT4_P12ihipStream_tbEUlT_E_NS1_11comp_targetILNS1_3genE10ELNS1_11target_archE1201ELNS1_3gpuE5ELNS1_3repE0EEENS1_30default_config_static_selectorELNS0_4arch9wavefront6targetE1EEEvT1_
	.p2align	8
	.type	_ZN7rocprim17ROCPRIM_400000_NS6detail17trampoline_kernelINS0_14default_configENS1_25transform_config_selectorIsLb0EEEZNS1_14transform_implILb0ES3_S5_PsN6thrust23THRUST_200600_302600_NS6detail15normal_iteratorINS9_10device_ptrIsEEEENS0_8identityIsEEEE10hipError_tT2_T3_mT4_P12ihipStream_tbEUlT_E_NS1_11comp_targetILNS1_3genE10ELNS1_11target_archE1201ELNS1_3gpuE5ELNS1_3repE0EEENS1_30default_config_static_selectorELNS0_4arch9wavefront6targetE1EEEvT1_,@function
_ZN7rocprim17ROCPRIM_400000_NS6detail17trampoline_kernelINS0_14default_configENS1_25transform_config_selectorIsLb0EEEZNS1_14transform_implILb0ES3_S5_PsN6thrust23THRUST_200600_302600_NS6detail15normal_iteratorINS9_10device_ptrIsEEEENS0_8identityIsEEEE10hipError_tT2_T3_mT4_P12ihipStream_tbEUlT_E_NS1_11comp_targetILNS1_3genE10ELNS1_11target_archE1201ELNS1_3gpuE5ELNS1_3repE0EEENS1_30default_config_static_selectorELNS0_4arch9wavefront6targetE1EEEvT1_: ; @_ZN7rocprim17ROCPRIM_400000_NS6detail17trampoline_kernelINS0_14default_configENS1_25transform_config_selectorIsLb0EEEZNS1_14transform_implILb0ES3_S5_PsN6thrust23THRUST_200600_302600_NS6detail15normal_iteratorINS9_10device_ptrIsEEEENS0_8identityIsEEEE10hipError_tT2_T3_mT4_P12ihipStream_tbEUlT_E_NS1_11comp_targetILNS1_3genE10ELNS1_11target_archE1201ELNS1_3gpuE5ELNS1_3repE0EEENS1_30default_config_static_selectorELNS0_4arch9wavefront6targetE1EEEvT1_
; %bb.0:
	.section	.rodata,"a",@progbits
	.p2align	6, 0x0
	.amdhsa_kernel _ZN7rocprim17ROCPRIM_400000_NS6detail17trampoline_kernelINS0_14default_configENS1_25transform_config_selectorIsLb0EEEZNS1_14transform_implILb0ES3_S5_PsN6thrust23THRUST_200600_302600_NS6detail15normal_iteratorINS9_10device_ptrIsEEEENS0_8identityIsEEEE10hipError_tT2_T3_mT4_P12ihipStream_tbEUlT_E_NS1_11comp_targetILNS1_3genE10ELNS1_11target_archE1201ELNS1_3gpuE5ELNS1_3repE0EEENS1_30default_config_static_selectorELNS0_4arch9wavefront6targetE1EEEvT1_
		.amdhsa_group_segment_fixed_size 0
		.amdhsa_private_segment_fixed_size 0
		.amdhsa_kernarg_size 40
		.amdhsa_user_sgpr_count 6
		.amdhsa_user_sgpr_private_segment_buffer 1
		.amdhsa_user_sgpr_dispatch_ptr 0
		.amdhsa_user_sgpr_queue_ptr 0
		.amdhsa_user_sgpr_kernarg_segment_ptr 1
		.amdhsa_user_sgpr_dispatch_id 0
		.amdhsa_user_sgpr_flat_scratch_init 0
		.amdhsa_user_sgpr_kernarg_preload_length 0
		.amdhsa_user_sgpr_kernarg_preload_offset 0
		.amdhsa_user_sgpr_private_segment_size 0
		.amdhsa_uses_dynamic_stack 0
		.amdhsa_system_sgpr_private_segment_wavefront_offset 0
		.amdhsa_system_sgpr_workgroup_id_x 1
		.amdhsa_system_sgpr_workgroup_id_y 0
		.amdhsa_system_sgpr_workgroup_id_z 0
		.amdhsa_system_sgpr_workgroup_info 0
		.amdhsa_system_vgpr_workitem_id 0
		.amdhsa_next_free_vgpr 1
		.amdhsa_next_free_sgpr 0
		.amdhsa_accum_offset 4
		.amdhsa_reserve_vcc 0
		.amdhsa_reserve_flat_scratch 0
		.amdhsa_float_round_mode_32 0
		.amdhsa_float_round_mode_16_64 0
		.amdhsa_float_denorm_mode_32 3
		.amdhsa_float_denorm_mode_16_64 3
		.amdhsa_dx10_clamp 1
		.amdhsa_ieee_mode 1
		.amdhsa_fp16_overflow 0
		.amdhsa_tg_split 0
		.amdhsa_exception_fp_ieee_invalid_op 0
		.amdhsa_exception_fp_denorm_src 0
		.amdhsa_exception_fp_ieee_div_zero 0
		.amdhsa_exception_fp_ieee_overflow 0
		.amdhsa_exception_fp_ieee_underflow 0
		.amdhsa_exception_fp_ieee_inexact 0
		.amdhsa_exception_int_div_zero 0
	.end_amdhsa_kernel
	.section	.text._ZN7rocprim17ROCPRIM_400000_NS6detail17trampoline_kernelINS0_14default_configENS1_25transform_config_selectorIsLb0EEEZNS1_14transform_implILb0ES3_S5_PsN6thrust23THRUST_200600_302600_NS6detail15normal_iteratorINS9_10device_ptrIsEEEENS0_8identityIsEEEE10hipError_tT2_T3_mT4_P12ihipStream_tbEUlT_E_NS1_11comp_targetILNS1_3genE10ELNS1_11target_archE1201ELNS1_3gpuE5ELNS1_3repE0EEENS1_30default_config_static_selectorELNS0_4arch9wavefront6targetE1EEEvT1_,"axG",@progbits,_ZN7rocprim17ROCPRIM_400000_NS6detail17trampoline_kernelINS0_14default_configENS1_25transform_config_selectorIsLb0EEEZNS1_14transform_implILb0ES3_S5_PsN6thrust23THRUST_200600_302600_NS6detail15normal_iteratorINS9_10device_ptrIsEEEENS0_8identityIsEEEE10hipError_tT2_T3_mT4_P12ihipStream_tbEUlT_E_NS1_11comp_targetILNS1_3genE10ELNS1_11target_archE1201ELNS1_3gpuE5ELNS1_3repE0EEENS1_30default_config_static_selectorELNS0_4arch9wavefront6targetE1EEEvT1_,comdat
.Lfunc_end2990:
	.size	_ZN7rocprim17ROCPRIM_400000_NS6detail17trampoline_kernelINS0_14default_configENS1_25transform_config_selectorIsLb0EEEZNS1_14transform_implILb0ES3_S5_PsN6thrust23THRUST_200600_302600_NS6detail15normal_iteratorINS9_10device_ptrIsEEEENS0_8identityIsEEEE10hipError_tT2_T3_mT4_P12ihipStream_tbEUlT_E_NS1_11comp_targetILNS1_3genE10ELNS1_11target_archE1201ELNS1_3gpuE5ELNS1_3repE0EEENS1_30default_config_static_selectorELNS0_4arch9wavefront6targetE1EEEvT1_, .Lfunc_end2990-_ZN7rocprim17ROCPRIM_400000_NS6detail17trampoline_kernelINS0_14default_configENS1_25transform_config_selectorIsLb0EEEZNS1_14transform_implILb0ES3_S5_PsN6thrust23THRUST_200600_302600_NS6detail15normal_iteratorINS9_10device_ptrIsEEEENS0_8identityIsEEEE10hipError_tT2_T3_mT4_P12ihipStream_tbEUlT_E_NS1_11comp_targetILNS1_3genE10ELNS1_11target_archE1201ELNS1_3gpuE5ELNS1_3repE0EEENS1_30default_config_static_selectorELNS0_4arch9wavefront6targetE1EEEvT1_
                                        ; -- End function
	.section	.AMDGPU.csdata,"",@progbits
; Kernel info:
; codeLenInByte = 0
; NumSgprs: 4
; NumVgprs: 0
; NumAgprs: 0
; TotalNumVgprs: 0
; ScratchSize: 0
; MemoryBound: 0
; FloatMode: 240
; IeeeMode: 1
; LDSByteSize: 0 bytes/workgroup (compile time only)
; SGPRBlocks: 0
; VGPRBlocks: 0
; NumSGPRsForWavesPerEU: 4
; NumVGPRsForWavesPerEU: 1
; AccumOffset: 4
; Occupancy: 8
; WaveLimiterHint : 0
; COMPUTE_PGM_RSRC2:SCRATCH_EN: 0
; COMPUTE_PGM_RSRC2:USER_SGPR: 6
; COMPUTE_PGM_RSRC2:TRAP_HANDLER: 0
; COMPUTE_PGM_RSRC2:TGID_X_EN: 1
; COMPUTE_PGM_RSRC2:TGID_Y_EN: 0
; COMPUTE_PGM_RSRC2:TGID_Z_EN: 0
; COMPUTE_PGM_RSRC2:TIDIG_COMP_CNT: 0
; COMPUTE_PGM_RSRC3_GFX90A:ACCUM_OFFSET: 0
; COMPUTE_PGM_RSRC3_GFX90A:TG_SPLIT: 0
	.section	.text._ZN7rocprim17ROCPRIM_400000_NS6detail17trampoline_kernelINS0_14default_configENS1_25transform_config_selectorIsLb0EEEZNS1_14transform_implILb0ES3_S5_PsN6thrust23THRUST_200600_302600_NS6detail15normal_iteratorINS9_10device_ptrIsEEEENS0_8identityIsEEEE10hipError_tT2_T3_mT4_P12ihipStream_tbEUlT_E_NS1_11comp_targetILNS1_3genE10ELNS1_11target_archE1200ELNS1_3gpuE4ELNS1_3repE0EEENS1_30default_config_static_selectorELNS0_4arch9wavefront6targetE1EEEvT1_,"axG",@progbits,_ZN7rocprim17ROCPRIM_400000_NS6detail17trampoline_kernelINS0_14default_configENS1_25transform_config_selectorIsLb0EEEZNS1_14transform_implILb0ES3_S5_PsN6thrust23THRUST_200600_302600_NS6detail15normal_iteratorINS9_10device_ptrIsEEEENS0_8identityIsEEEE10hipError_tT2_T3_mT4_P12ihipStream_tbEUlT_E_NS1_11comp_targetILNS1_3genE10ELNS1_11target_archE1200ELNS1_3gpuE4ELNS1_3repE0EEENS1_30default_config_static_selectorELNS0_4arch9wavefront6targetE1EEEvT1_,comdat
	.protected	_ZN7rocprim17ROCPRIM_400000_NS6detail17trampoline_kernelINS0_14default_configENS1_25transform_config_selectorIsLb0EEEZNS1_14transform_implILb0ES3_S5_PsN6thrust23THRUST_200600_302600_NS6detail15normal_iteratorINS9_10device_ptrIsEEEENS0_8identityIsEEEE10hipError_tT2_T3_mT4_P12ihipStream_tbEUlT_E_NS1_11comp_targetILNS1_3genE10ELNS1_11target_archE1200ELNS1_3gpuE4ELNS1_3repE0EEENS1_30default_config_static_selectorELNS0_4arch9wavefront6targetE1EEEvT1_ ; -- Begin function _ZN7rocprim17ROCPRIM_400000_NS6detail17trampoline_kernelINS0_14default_configENS1_25transform_config_selectorIsLb0EEEZNS1_14transform_implILb0ES3_S5_PsN6thrust23THRUST_200600_302600_NS6detail15normal_iteratorINS9_10device_ptrIsEEEENS0_8identityIsEEEE10hipError_tT2_T3_mT4_P12ihipStream_tbEUlT_E_NS1_11comp_targetILNS1_3genE10ELNS1_11target_archE1200ELNS1_3gpuE4ELNS1_3repE0EEENS1_30default_config_static_selectorELNS0_4arch9wavefront6targetE1EEEvT1_
	.globl	_ZN7rocprim17ROCPRIM_400000_NS6detail17trampoline_kernelINS0_14default_configENS1_25transform_config_selectorIsLb0EEEZNS1_14transform_implILb0ES3_S5_PsN6thrust23THRUST_200600_302600_NS6detail15normal_iteratorINS9_10device_ptrIsEEEENS0_8identityIsEEEE10hipError_tT2_T3_mT4_P12ihipStream_tbEUlT_E_NS1_11comp_targetILNS1_3genE10ELNS1_11target_archE1200ELNS1_3gpuE4ELNS1_3repE0EEENS1_30default_config_static_selectorELNS0_4arch9wavefront6targetE1EEEvT1_
	.p2align	8
	.type	_ZN7rocprim17ROCPRIM_400000_NS6detail17trampoline_kernelINS0_14default_configENS1_25transform_config_selectorIsLb0EEEZNS1_14transform_implILb0ES3_S5_PsN6thrust23THRUST_200600_302600_NS6detail15normal_iteratorINS9_10device_ptrIsEEEENS0_8identityIsEEEE10hipError_tT2_T3_mT4_P12ihipStream_tbEUlT_E_NS1_11comp_targetILNS1_3genE10ELNS1_11target_archE1200ELNS1_3gpuE4ELNS1_3repE0EEENS1_30default_config_static_selectorELNS0_4arch9wavefront6targetE1EEEvT1_,@function
_ZN7rocprim17ROCPRIM_400000_NS6detail17trampoline_kernelINS0_14default_configENS1_25transform_config_selectorIsLb0EEEZNS1_14transform_implILb0ES3_S5_PsN6thrust23THRUST_200600_302600_NS6detail15normal_iteratorINS9_10device_ptrIsEEEENS0_8identityIsEEEE10hipError_tT2_T3_mT4_P12ihipStream_tbEUlT_E_NS1_11comp_targetILNS1_3genE10ELNS1_11target_archE1200ELNS1_3gpuE4ELNS1_3repE0EEENS1_30default_config_static_selectorELNS0_4arch9wavefront6targetE1EEEvT1_: ; @_ZN7rocprim17ROCPRIM_400000_NS6detail17trampoline_kernelINS0_14default_configENS1_25transform_config_selectorIsLb0EEEZNS1_14transform_implILb0ES3_S5_PsN6thrust23THRUST_200600_302600_NS6detail15normal_iteratorINS9_10device_ptrIsEEEENS0_8identityIsEEEE10hipError_tT2_T3_mT4_P12ihipStream_tbEUlT_E_NS1_11comp_targetILNS1_3genE10ELNS1_11target_archE1200ELNS1_3gpuE4ELNS1_3repE0EEENS1_30default_config_static_selectorELNS0_4arch9wavefront6targetE1EEEvT1_
; %bb.0:
	.section	.rodata,"a",@progbits
	.p2align	6, 0x0
	.amdhsa_kernel _ZN7rocprim17ROCPRIM_400000_NS6detail17trampoline_kernelINS0_14default_configENS1_25transform_config_selectorIsLb0EEEZNS1_14transform_implILb0ES3_S5_PsN6thrust23THRUST_200600_302600_NS6detail15normal_iteratorINS9_10device_ptrIsEEEENS0_8identityIsEEEE10hipError_tT2_T3_mT4_P12ihipStream_tbEUlT_E_NS1_11comp_targetILNS1_3genE10ELNS1_11target_archE1200ELNS1_3gpuE4ELNS1_3repE0EEENS1_30default_config_static_selectorELNS0_4arch9wavefront6targetE1EEEvT1_
		.amdhsa_group_segment_fixed_size 0
		.amdhsa_private_segment_fixed_size 0
		.amdhsa_kernarg_size 40
		.amdhsa_user_sgpr_count 6
		.amdhsa_user_sgpr_private_segment_buffer 1
		.amdhsa_user_sgpr_dispatch_ptr 0
		.amdhsa_user_sgpr_queue_ptr 0
		.amdhsa_user_sgpr_kernarg_segment_ptr 1
		.amdhsa_user_sgpr_dispatch_id 0
		.amdhsa_user_sgpr_flat_scratch_init 0
		.amdhsa_user_sgpr_kernarg_preload_length 0
		.amdhsa_user_sgpr_kernarg_preload_offset 0
		.amdhsa_user_sgpr_private_segment_size 0
		.amdhsa_uses_dynamic_stack 0
		.amdhsa_system_sgpr_private_segment_wavefront_offset 0
		.amdhsa_system_sgpr_workgroup_id_x 1
		.amdhsa_system_sgpr_workgroup_id_y 0
		.amdhsa_system_sgpr_workgroup_id_z 0
		.amdhsa_system_sgpr_workgroup_info 0
		.amdhsa_system_vgpr_workitem_id 0
		.amdhsa_next_free_vgpr 1
		.amdhsa_next_free_sgpr 0
		.amdhsa_accum_offset 4
		.amdhsa_reserve_vcc 0
		.amdhsa_reserve_flat_scratch 0
		.amdhsa_float_round_mode_32 0
		.amdhsa_float_round_mode_16_64 0
		.amdhsa_float_denorm_mode_32 3
		.amdhsa_float_denorm_mode_16_64 3
		.amdhsa_dx10_clamp 1
		.amdhsa_ieee_mode 1
		.amdhsa_fp16_overflow 0
		.amdhsa_tg_split 0
		.amdhsa_exception_fp_ieee_invalid_op 0
		.amdhsa_exception_fp_denorm_src 0
		.amdhsa_exception_fp_ieee_div_zero 0
		.amdhsa_exception_fp_ieee_overflow 0
		.amdhsa_exception_fp_ieee_underflow 0
		.amdhsa_exception_fp_ieee_inexact 0
		.amdhsa_exception_int_div_zero 0
	.end_amdhsa_kernel
	.section	.text._ZN7rocprim17ROCPRIM_400000_NS6detail17trampoline_kernelINS0_14default_configENS1_25transform_config_selectorIsLb0EEEZNS1_14transform_implILb0ES3_S5_PsN6thrust23THRUST_200600_302600_NS6detail15normal_iteratorINS9_10device_ptrIsEEEENS0_8identityIsEEEE10hipError_tT2_T3_mT4_P12ihipStream_tbEUlT_E_NS1_11comp_targetILNS1_3genE10ELNS1_11target_archE1200ELNS1_3gpuE4ELNS1_3repE0EEENS1_30default_config_static_selectorELNS0_4arch9wavefront6targetE1EEEvT1_,"axG",@progbits,_ZN7rocprim17ROCPRIM_400000_NS6detail17trampoline_kernelINS0_14default_configENS1_25transform_config_selectorIsLb0EEEZNS1_14transform_implILb0ES3_S5_PsN6thrust23THRUST_200600_302600_NS6detail15normal_iteratorINS9_10device_ptrIsEEEENS0_8identityIsEEEE10hipError_tT2_T3_mT4_P12ihipStream_tbEUlT_E_NS1_11comp_targetILNS1_3genE10ELNS1_11target_archE1200ELNS1_3gpuE4ELNS1_3repE0EEENS1_30default_config_static_selectorELNS0_4arch9wavefront6targetE1EEEvT1_,comdat
.Lfunc_end2991:
	.size	_ZN7rocprim17ROCPRIM_400000_NS6detail17trampoline_kernelINS0_14default_configENS1_25transform_config_selectorIsLb0EEEZNS1_14transform_implILb0ES3_S5_PsN6thrust23THRUST_200600_302600_NS6detail15normal_iteratorINS9_10device_ptrIsEEEENS0_8identityIsEEEE10hipError_tT2_T3_mT4_P12ihipStream_tbEUlT_E_NS1_11comp_targetILNS1_3genE10ELNS1_11target_archE1200ELNS1_3gpuE4ELNS1_3repE0EEENS1_30default_config_static_selectorELNS0_4arch9wavefront6targetE1EEEvT1_, .Lfunc_end2991-_ZN7rocprim17ROCPRIM_400000_NS6detail17trampoline_kernelINS0_14default_configENS1_25transform_config_selectorIsLb0EEEZNS1_14transform_implILb0ES3_S5_PsN6thrust23THRUST_200600_302600_NS6detail15normal_iteratorINS9_10device_ptrIsEEEENS0_8identityIsEEEE10hipError_tT2_T3_mT4_P12ihipStream_tbEUlT_E_NS1_11comp_targetILNS1_3genE10ELNS1_11target_archE1200ELNS1_3gpuE4ELNS1_3repE0EEENS1_30default_config_static_selectorELNS0_4arch9wavefront6targetE1EEEvT1_
                                        ; -- End function
	.section	.AMDGPU.csdata,"",@progbits
; Kernel info:
; codeLenInByte = 0
; NumSgprs: 4
; NumVgprs: 0
; NumAgprs: 0
; TotalNumVgprs: 0
; ScratchSize: 0
; MemoryBound: 0
; FloatMode: 240
; IeeeMode: 1
; LDSByteSize: 0 bytes/workgroup (compile time only)
; SGPRBlocks: 0
; VGPRBlocks: 0
; NumSGPRsForWavesPerEU: 4
; NumVGPRsForWavesPerEU: 1
; AccumOffset: 4
; Occupancy: 8
; WaveLimiterHint : 0
; COMPUTE_PGM_RSRC2:SCRATCH_EN: 0
; COMPUTE_PGM_RSRC2:USER_SGPR: 6
; COMPUTE_PGM_RSRC2:TRAP_HANDLER: 0
; COMPUTE_PGM_RSRC2:TGID_X_EN: 1
; COMPUTE_PGM_RSRC2:TGID_Y_EN: 0
; COMPUTE_PGM_RSRC2:TGID_Z_EN: 0
; COMPUTE_PGM_RSRC2:TIDIG_COMP_CNT: 0
; COMPUTE_PGM_RSRC3_GFX90A:ACCUM_OFFSET: 0
; COMPUTE_PGM_RSRC3_GFX90A:TG_SPLIT: 0
	.section	.text._ZN7rocprim17ROCPRIM_400000_NS6detail17trampoline_kernelINS0_14default_configENS1_25transform_config_selectorIsLb0EEEZNS1_14transform_implILb0ES3_S5_PsN6thrust23THRUST_200600_302600_NS6detail15normal_iteratorINS9_10device_ptrIsEEEENS0_8identityIsEEEE10hipError_tT2_T3_mT4_P12ihipStream_tbEUlT_E_NS1_11comp_targetILNS1_3genE9ELNS1_11target_archE1100ELNS1_3gpuE3ELNS1_3repE0EEENS1_30default_config_static_selectorELNS0_4arch9wavefront6targetE1EEEvT1_,"axG",@progbits,_ZN7rocprim17ROCPRIM_400000_NS6detail17trampoline_kernelINS0_14default_configENS1_25transform_config_selectorIsLb0EEEZNS1_14transform_implILb0ES3_S5_PsN6thrust23THRUST_200600_302600_NS6detail15normal_iteratorINS9_10device_ptrIsEEEENS0_8identityIsEEEE10hipError_tT2_T3_mT4_P12ihipStream_tbEUlT_E_NS1_11comp_targetILNS1_3genE9ELNS1_11target_archE1100ELNS1_3gpuE3ELNS1_3repE0EEENS1_30default_config_static_selectorELNS0_4arch9wavefront6targetE1EEEvT1_,comdat
	.protected	_ZN7rocprim17ROCPRIM_400000_NS6detail17trampoline_kernelINS0_14default_configENS1_25transform_config_selectorIsLb0EEEZNS1_14transform_implILb0ES3_S5_PsN6thrust23THRUST_200600_302600_NS6detail15normal_iteratorINS9_10device_ptrIsEEEENS0_8identityIsEEEE10hipError_tT2_T3_mT4_P12ihipStream_tbEUlT_E_NS1_11comp_targetILNS1_3genE9ELNS1_11target_archE1100ELNS1_3gpuE3ELNS1_3repE0EEENS1_30default_config_static_selectorELNS0_4arch9wavefront6targetE1EEEvT1_ ; -- Begin function _ZN7rocprim17ROCPRIM_400000_NS6detail17trampoline_kernelINS0_14default_configENS1_25transform_config_selectorIsLb0EEEZNS1_14transform_implILb0ES3_S5_PsN6thrust23THRUST_200600_302600_NS6detail15normal_iteratorINS9_10device_ptrIsEEEENS0_8identityIsEEEE10hipError_tT2_T3_mT4_P12ihipStream_tbEUlT_E_NS1_11comp_targetILNS1_3genE9ELNS1_11target_archE1100ELNS1_3gpuE3ELNS1_3repE0EEENS1_30default_config_static_selectorELNS0_4arch9wavefront6targetE1EEEvT1_
	.globl	_ZN7rocprim17ROCPRIM_400000_NS6detail17trampoline_kernelINS0_14default_configENS1_25transform_config_selectorIsLb0EEEZNS1_14transform_implILb0ES3_S5_PsN6thrust23THRUST_200600_302600_NS6detail15normal_iteratorINS9_10device_ptrIsEEEENS0_8identityIsEEEE10hipError_tT2_T3_mT4_P12ihipStream_tbEUlT_E_NS1_11comp_targetILNS1_3genE9ELNS1_11target_archE1100ELNS1_3gpuE3ELNS1_3repE0EEENS1_30default_config_static_selectorELNS0_4arch9wavefront6targetE1EEEvT1_
	.p2align	8
	.type	_ZN7rocprim17ROCPRIM_400000_NS6detail17trampoline_kernelINS0_14default_configENS1_25transform_config_selectorIsLb0EEEZNS1_14transform_implILb0ES3_S5_PsN6thrust23THRUST_200600_302600_NS6detail15normal_iteratorINS9_10device_ptrIsEEEENS0_8identityIsEEEE10hipError_tT2_T3_mT4_P12ihipStream_tbEUlT_E_NS1_11comp_targetILNS1_3genE9ELNS1_11target_archE1100ELNS1_3gpuE3ELNS1_3repE0EEENS1_30default_config_static_selectorELNS0_4arch9wavefront6targetE1EEEvT1_,@function
_ZN7rocprim17ROCPRIM_400000_NS6detail17trampoline_kernelINS0_14default_configENS1_25transform_config_selectorIsLb0EEEZNS1_14transform_implILb0ES3_S5_PsN6thrust23THRUST_200600_302600_NS6detail15normal_iteratorINS9_10device_ptrIsEEEENS0_8identityIsEEEE10hipError_tT2_T3_mT4_P12ihipStream_tbEUlT_E_NS1_11comp_targetILNS1_3genE9ELNS1_11target_archE1100ELNS1_3gpuE3ELNS1_3repE0EEENS1_30default_config_static_selectorELNS0_4arch9wavefront6targetE1EEEvT1_: ; @_ZN7rocprim17ROCPRIM_400000_NS6detail17trampoline_kernelINS0_14default_configENS1_25transform_config_selectorIsLb0EEEZNS1_14transform_implILb0ES3_S5_PsN6thrust23THRUST_200600_302600_NS6detail15normal_iteratorINS9_10device_ptrIsEEEENS0_8identityIsEEEE10hipError_tT2_T3_mT4_P12ihipStream_tbEUlT_E_NS1_11comp_targetILNS1_3genE9ELNS1_11target_archE1100ELNS1_3gpuE3ELNS1_3repE0EEENS1_30default_config_static_selectorELNS0_4arch9wavefront6targetE1EEEvT1_
; %bb.0:
	.section	.rodata,"a",@progbits
	.p2align	6, 0x0
	.amdhsa_kernel _ZN7rocprim17ROCPRIM_400000_NS6detail17trampoline_kernelINS0_14default_configENS1_25transform_config_selectorIsLb0EEEZNS1_14transform_implILb0ES3_S5_PsN6thrust23THRUST_200600_302600_NS6detail15normal_iteratorINS9_10device_ptrIsEEEENS0_8identityIsEEEE10hipError_tT2_T3_mT4_P12ihipStream_tbEUlT_E_NS1_11comp_targetILNS1_3genE9ELNS1_11target_archE1100ELNS1_3gpuE3ELNS1_3repE0EEENS1_30default_config_static_selectorELNS0_4arch9wavefront6targetE1EEEvT1_
		.amdhsa_group_segment_fixed_size 0
		.amdhsa_private_segment_fixed_size 0
		.amdhsa_kernarg_size 40
		.amdhsa_user_sgpr_count 6
		.amdhsa_user_sgpr_private_segment_buffer 1
		.amdhsa_user_sgpr_dispatch_ptr 0
		.amdhsa_user_sgpr_queue_ptr 0
		.amdhsa_user_sgpr_kernarg_segment_ptr 1
		.amdhsa_user_sgpr_dispatch_id 0
		.amdhsa_user_sgpr_flat_scratch_init 0
		.amdhsa_user_sgpr_kernarg_preload_length 0
		.amdhsa_user_sgpr_kernarg_preload_offset 0
		.amdhsa_user_sgpr_private_segment_size 0
		.amdhsa_uses_dynamic_stack 0
		.amdhsa_system_sgpr_private_segment_wavefront_offset 0
		.amdhsa_system_sgpr_workgroup_id_x 1
		.amdhsa_system_sgpr_workgroup_id_y 0
		.amdhsa_system_sgpr_workgroup_id_z 0
		.amdhsa_system_sgpr_workgroup_info 0
		.amdhsa_system_vgpr_workitem_id 0
		.amdhsa_next_free_vgpr 1
		.amdhsa_next_free_sgpr 0
		.amdhsa_accum_offset 4
		.amdhsa_reserve_vcc 0
		.amdhsa_reserve_flat_scratch 0
		.amdhsa_float_round_mode_32 0
		.amdhsa_float_round_mode_16_64 0
		.amdhsa_float_denorm_mode_32 3
		.amdhsa_float_denorm_mode_16_64 3
		.amdhsa_dx10_clamp 1
		.amdhsa_ieee_mode 1
		.amdhsa_fp16_overflow 0
		.amdhsa_tg_split 0
		.amdhsa_exception_fp_ieee_invalid_op 0
		.amdhsa_exception_fp_denorm_src 0
		.amdhsa_exception_fp_ieee_div_zero 0
		.amdhsa_exception_fp_ieee_overflow 0
		.amdhsa_exception_fp_ieee_underflow 0
		.amdhsa_exception_fp_ieee_inexact 0
		.amdhsa_exception_int_div_zero 0
	.end_amdhsa_kernel
	.section	.text._ZN7rocprim17ROCPRIM_400000_NS6detail17trampoline_kernelINS0_14default_configENS1_25transform_config_selectorIsLb0EEEZNS1_14transform_implILb0ES3_S5_PsN6thrust23THRUST_200600_302600_NS6detail15normal_iteratorINS9_10device_ptrIsEEEENS0_8identityIsEEEE10hipError_tT2_T3_mT4_P12ihipStream_tbEUlT_E_NS1_11comp_targetILNS1_3genE9ELNS1_11target_archE1100ELNS1_3gpuE3ELNS1_3repE0EEENS1_30default_config_static_selectorELNS0_4arch9wavefront6targetE1EEEvT1_,"axG",@progbits,_ZN7rocprim17ROCPRIM_400000_NS6detail17trampoline_kernelINS0_14default_configENS1_25transform_config_selectorIsLb0EEEZNS1_14transform_implILb0ES3_S5_PsN6thrust23THRUST_200600_302600_NS6detail15normal_iteratorINS9_10device_ptrIsEEEENS0_8identityIsEEEE10hipError_tT2_T3_mT4_P12ihipStream_tbEUlT_E_NS1_11comp_targetILNS1_3genE9ELNS1_11target_archE1100ELNS1_3gpuE3ELNS1_3repE0EEENS1_30default_config_static_selectorELNS0_4arch9wavefront6targetE1EEEvT1_,comdat
.Lfunc_end2992:
	.size	_ZN7rocprim17ROCPRIM_400000_NS6detail17trampoline_kernelINS0_14default_configENS1_25transform_config_selectorIsLb0EEEZNS1_14transform_implILb0ES3_S5_PsN6thrust23THRUST_200600_302600_NS6detail15normal_iteratorINS9_10device_ptrIsEEEENS0_8identityIsEEEE10hipError_tT2_T3_mT4_P12ihipStream_tbEUlT_E_NS1_11comp_targetILNS1_3genE9ELNS1_11target_archE1100ELNS1_3gpuE3ELNS1_3repE0EEENS1_30default_config_static_selectorELNS0_4arch9wavefront6targetE1EEEvT1_, .Lfunc_end2992-_ZN7rocprim17ROCPRIM_400000_NS6detail17trampoline_kernelINS0_14default_configENS1_25transform_config_selectorIsLb0EEEZNS1_14transform_implILb0ES3_S5_PsN6thrust23THRUST_200600_302600_NS6detail15normal_iteratorINS9_10device_ptrIsEEEENS0_8identityIsEEEE10hipError_tT2_T3_mT4_P12ihipStream_tbEUlT_E_NS1_11comp_targetILNS1_3genE9ELNS1_11target_archE1100ELNS1_3gpuE3ELNS1_3repE0EEENS1_30default_config_static_selectorELNS0_4arch9wavefront6targetE1EEEvT1_
                                        ; -- End function
	.section	.AMDGPU.csdata,"",@progbits
; Kernel info:
; codeLenInByte = 0
; NumSgprs: 4
; NumVgprs: 0
; NumAgprs: 0
; TotalNumVgprs: 0
; ScratchSize: 0
; MemoryBound: 0
; FloatMode: 240
; IeeeMode: 1
; LDSByteSize: 0 bytes/workgroup (compile time only)
; SGPRBlocks: 0
; VGPRBlocks: 0
; NumSGPRsForWavesPerEU: 4
; NumVGPRsForWavesPerEU: 1
; AccumOffset: 4
; Occupancy: 8
; WaveLimiterHint : 0
; COMPUTE_PGM_RSRC2:SCRATCH_EN: 0
; COMPUTE_PGM_RSRC2:USER_SGPR: 6
; COMPUTE_PGM_RSRC2:TRAP_HANDLER: 0
; COMPUTE_PGM_RSRC2:TGID_X_EN: 1
; COMPUTE_PGM_RSRC2:TGID_Y_EN: 0
; COMPUTE_PGM_RSRC2:TGID_Z_EN: 0
; COMPUTE_PGM_RSRC2:TIDIG_COMP_CNT: 0
; COMPUTE_PGM_RSRC3_GFX90A:ACCUM_OFFSET: 0
; COMPUTE_PGM_RSRC3_GFX90A:TG_SPLIT: 0
	.section	.text._ZN7rocprim17ROCPRIM_400000_NS6detail17trampoline_kernelINS0_14default_configENS1_25transform_config_selectorIsLb0EEEZNS1_14transform_implILb0ES3_S5_PsN6thrust23THRUST_200600_302600_NS6detail15normal_iteratorINS9_10device_ptrIsEEEENS0_8identityIsEEEE10hipError_tT2_T3_mT4_P12ihipStream_tbEUlT_E_NS1_11comp_targetILNS1_3genE8ELNS1_11target_archE1030ELNS1_3gpuE2ELNS1_3repE0EEENS1_30default_config_static_selectorELNS0_4arch9wavefront6targetE1EEEvT1_,"axG",@progbits,_ZN7rocprim17ROCPRIM_400000_NS6detail17trampoline_kernelINS0_14default_configENS1_25transform_config_selectorIsLb0EEEZNS1_14transform_implILb0ES3_S5_PsN6thrust23THRUST_200600_302600_NS6detail15normal_iteratorINS9_10device_ptrIsEEEENS0_8identityIsEEEE10hipError_tT2_T3_mT4_P12ihipStream_tbEUlT_E_NS1_11comp_targetILNS1_3genE8ELNS1_11target_archE1030ELNS1_3gpuE2ELNS1_3repE0EEENS1_30default_config_static_selectorELNS0_4arch9wavefront6targetE1EEEvT1_,comdat
	.protected	_ZN7rocprim17ROCPRIM_400000_NS6detail17trampoline_kernelINS0_14default_configENS1_25transform_config_selectorIsLb0EEEZNS1_14transform_implILb0ES3_S5_PsN6thrust23THRUST_200600_302600_NS6detail15normal_iteratorINS9_10device_ptrIsEEEENS0_8identityIsEEEE10hipError_tT2_T3_mT4_P12ihipStream_tbEUlT_E_NS1_11comp_targetILNS1_3genE8ELNS1_11target_archE1030ELNS1_3gpuE2ELNS1_3repE0EEENS1_30default_config_static_selectorELNS0_4arch9wavefront6targetE1EEEvT1_ ; -- Begin function _ZN7rocprim17ROCPRIM_400000_NS6detail17trampoline_kernelINS0_14default_configENS1_25transform_config_selectorIsLb0EEEZNS1_14transform_implILb0ES3_S5_PsN6thrust23THRUST_200600_302600_NS6detail15normal_iteratorINS9_10device_ptrIsEEEENS0_8identityIsEEEE10hipError_tT2_T3_mT4_P12ihipStream_tbEUlT_E_NS1_11comp_targetILNS1_3genE8ELNS1_11target_archE1030ELNS1_3gpuE2ELNS1_3repE0EEENS1_30default_config_static_selectorELNS0_4arch9wavefront6targetE1EEEvT1_
	.globl	_ZN7rocprim17ROCPRIM_400000_NS6detail17trampoline_kernelINS0_14default_configENS1_25transform_config_selectorIsLb0EEEZNS1_14transform_implILb0ES3_S5_PsN6thrust23THRUST_200600_302600_NS6detail15normal_iteratorINS9_10device_ptrIsEEEENS0_8identityIsEEEE10hipError_tT2_T3_mT4_P12ihipStream_tbEUlT_E_NS1_11comp_targetILNS1_3genE8ELNS1_11target_archE1030ELNS1_3gpuE2ELNS1_3repE0EEENS1_30default_config_static_selectorELNS0_4arch9wavefront6targetE1EEEvT1_
	.p2align	8
	.type	_ZN7rocprim17ROCPRIM_400000_NS6detail17trampoline_kernelINS0_14default_configENS1_25transform_config_selectorIsLb0EEEZNS1_14transform_implILb0ES3_S5_PsN6thrust23THRUST_200600_302600_NS6detail15normal_iteratorINS9_10device_ptrIsEEEENS0_8identityIsEEEE10hipError_tT2_T3_mT4_P12ihipStream_tbEUlT_E_NS1_11comp_targetILNS1_3genE8ELNS1_11target_archE1030ELNS1_3gpuE2ELNS1_3repE0EEENS1_30default_config_static_selectorELNS0_4arch9wavefront6targetE1EEEvT1_,@function
_ZN7rocprim17ROCPRIM_400000_NS6detail17trampoline_kernelINS0_14default_configENS1_25transform_config_selectorIsLb0EEEZNS1_14transform_implILb0ES3_S5_PsN6thrust23THRUST_200600_302600_NS6detail15normal_iteratorINS9_10device_ptrIsEEEENS0_8identityIsEEEE10hipError_tT2_T3_mT4_P12ihipStream_tbEUlT_E_NS1_11comp_targetILNS1_3genE8ELNS1_11target_archE1030ELNS1_3gpuE2ELNS1_3repE0EEENS1_30default_config_static_selectorELNS0_4arch9wavefront6targetE1EEEvT1_: ; @_ZN7rocprim17ROCPRIM_400000_NS6detail17trampoline_kernelINS0_14default_configENS1_25transform_config_selectorIsLb0EEEZNS1_14transform_implILb0ES3_S5_PsN6thrust23THRUST_200600_302600_NS6detail15normal_iteratorINS9_10device_ptrIsEEEENS0_8identityIsEEEE10hipError_tT2_T3_mT4_P12ihipStream_tbEUlT_E_NS1_11comp_targetILNS1_3genE8ELNS1_11target_archE1030ELNS1_3gpuE2ELNS1_3repE0EEENS1_30default_config_static_selectorELNS0_4arch9wavefront6targetE1EEEvT1_
; %bb.0:
	.section	.rodata,"a",@progbits
	.p2align	6, 0x0
	.amdhsa_kernel _ZN7rocprim17ROCPRIM_400000_NS6detail17trampoline_kernelINS0_14default_configENS1_25transform_config_selectorIsLb0EEEZNS1_14transform_implILb0ES3_S5_PsN6thrust23THRUST_200600_302600_NS6detail15normal_iteratorINS9_10device_ptrIsEEEENS0_8identityIsEEEE10hipError_tT2_T3_mT4_P12ihipStream_tbEUlT_E_NS1_11comp_targetILNS1_3genE8ELNS1_11target_archE1030ELNS1_3gpuE2ELNS1_3repE0EEENS1_30default_config_static_selectorELNS0_4arch9wavefront6targetE1EEEvT1_
		.amdhsa_group_segment_fixed_size 0
		.amdhsa_private_segment_fixed_size 0
		.amdhsa_kernarg_size 40
		.amdhsa_user_sgpr_count 6
		.amdhsa_user_sgpr_private_segment_buffer 1
		.amdhsa_user_sgpr_dispatch_ptr 0
		.amdhsa_user_sgpr_queue_ptr 0
		.amdhsa_user_sgpr_kernarg_segment_ptr 1
		.amdhsa_user_sgpr_dispatch_id 0
		.amdhsa_user_sgpr_flat_scratch_init 0
		.amdhsa_user_sgpr_kernarg_preload_length 0
		.amdhsa_user_sgpr_kernarg_preload_offset 0
		.amdhsa_user_sgpr_private_segment_size 0
		.amdhsa_uses_dynamic_stack 0
		.amdhsa_system_sgpr_private_segment_wavefront_offset 0
		.amdhsa_system_sgpr_workgroup_id_x 1
		.amdhsa_system_sgpr_workgroup_id_y 0
		.amdhsa_system_sgpr_workgroup_id_z 0
		.amdhsa_system_sgpr_workgroup_info 0
		.amdhsa_system_vgpr_workitem_id 0
		.amdhsa_next_free_vgpr 1
		.amdhsa_next_free_sgpr 0
		.amdhsa_accum_offset 4
		.amdhsa_reserve_vcc 0
		.amdhsa_reserve_flat_scratch 0
		.amdhsa_float_round_mode_32 0
		.amdhsa_float_round_mode_16_64 0
		.amdhsa_float_denorm_mode_32 3
		.amdhsa_float_denorm_mode_16_64 3
		.amdhsa_dx10_clamp 1
		.amdhsa_ieee_mode 1
		.amdhsa_fp16_overflow 0
		.amdhsa_tg_split 0
		.amdhsa_exception_fp_ieee_invalid_op 0
		.amdhsa_exception_fp_denorm_src 0
		.amdhsa_exception_fp_ieee_div_zero 0
		.amdhsa_exception_fp_ieee_overflow 0
		.amdhsa_exception_fp_ieee_underflow 0
		.amdhsa_exception_fp_ieee_inexact 0
		.amdhsa_exception_int_div_zero 0
	.end_amdhsa_kernel
	.section	.text._ZN7rocprim17ROCPRIM_400000_NS6detail17trampoline_kernelINS0_14default_configENS1_25transform_config_selectorIsLb0EEEZNS1_14transform_implILb0ES3_S5_PsN6thrust23THRUST_200600_302600_NS6detail15normal_iteratorINS9_10device_ptrIsEEEENS0_8identityIsEEEE10hipError_tT2_T3_mT4_P12ihipStream_tbEUlT_E_NS1_11comp_targetILNS1_3genE8ELNS1_11target_archE1030ELNS1_3gpuE2ELNS1_3repE0EEENS1_30default_config_static_selectorELNS0_4arch9wavefront6targetE1EEEvT1_,"axG",@progbits,_ZN7rocprim17ROCPRIM_400000_NS6detail17trampoline_kernelINS0_14default_configENS1_25transform_config_selectorIsLb0EEEZNS1_14transform_implILb0ES3_S5_PsN6thrust23THRUST_200600_302600_NS6detail15normal_iteratorINS9_10device_ptrIsEEEENS0_8identityIsEEEE10hipError_tT2_T3_mT4_P12ihipStream_tbEUlT_E_NS1_11comp_targetILNS1_3genE8ELNS1_11target_archE1030ELNS1_3gpuE2ELNS1_3repE0EEENS1_30default_config_static_selectorELNS0_4arch9wavefront6targetE1EEEvT1_,comdat
.Lfunc_end2993:
	.size	_ZN7rocprim17ROCPRIM_400000_NS6detail17trampoline_kernelINS0_14default_configENS1_25transform_config_selectorIsLb0EEEZNS1_14transform_implILb0ES3_S5_PsN6thrust23THRUST_200600_302600_NS6detail15normal_iteratorINS9_10device_ptrIsEEEENS0_8identityIsEEEE10hipError_tT2_T3_mT4_P12ihipStream_tbEUlT_E_NS1_11comp_targetILNS1_3genE8ELNS1_11target_archE1030ELNS1_3gpuE2ELNS1_3repE0EEENS1_30default_config_static_selectorELNS0_4arch9wavefront6targetE1EEEvT1_, .Lfunc_end2993-_ZN7rocprim17ROCPRIM_400000_NS6detail17trampoline_kernelINS0_14default_configENS1_25transform_config_selectorIsLb0EEEZNS1_14transform_implILb0ES3_S5_PsN6thrust23THRUST_200600_302600_NS6detail15normal_iteratorINS9_10device_ptrIsEEEENS0_8identityIsEEEE10hipError_tT2_T3_mT4_P12ihipStream_tbEUlT_E_NS1_11comp_targetILNS1_3genE8ELNS1_11target_archE1030ELNS1_3gpuE2ELNS1_3repE0EEENS1_30default_config_static_selectorELNS0_4arch9wavefront6targetE1EEEvT1_
                                        ; -- End function
	.section	.AMDGPU.csdata,"",@progbits
; Kernel info:
; codeLenInByte = 0
; NumSgprs: 4
; NumVgprs: 0
; NumAgprs: 0
; TotalNumVgprs: 0
; ScratchSize: 0
; MemoryBound: 0
; FloatMode: 240
; IeeeMode: 1
; LDSByteSize: 0 bytes/workgroup (compile time only)
; SGPRBlocks: 0
; VGPRBlocks: 0
; NumSGPRsForWavesPerEU: 4
; NumVGPRsForWavesPerEU: 1
; AccumOffset: 4
; Occupancy: 8
; WaveLimiterHint : 0
; COMPUTE_PGM_RSRC2:SCRATCH_EN: 0
; COMPUTE_PGM_RSRC2:USER_SGPR: 6
; COMPUTE_PGM_RSRC2:TRAP_HANDLER: 0
; COMPUTE_PGM_RSRC2:TGID_X_EN: 1
; COMPUTE_PGM_RSRC2:TGID_Y_EN: 0
; COMPUTE_PGM_RSRC2:TGID_Z_EN: 0
; COMPUTE_PGM_RSRC2:TIDIG_COMP_CNT: 0
; COMPUTE_PGM_RSRC3_GFX90A:ACCUM_OFFSET: 0
; COMPUTE_PGM_RSRC3_GFX90A:TG_SPLIT: 0
	.section	.text._ZN7rocprim17ROCPRIM_400000_NS6detail44device_merge_sort_compile_time_verifier_archINS1_11comp_targetILNS1_3genE0ELNS1_11target_archE4294967295ELNS1_3gpuE0ELNS1_3repE0EEES8_NS0_14default_configES9_NS1_37merge_sort_block_sort_config_selectorItNS0_10empty_typeEEENS1_38merge_sort_block_merge_config_selectorItSB_EEEEvv,"axG",@progbits,_ZN7rocprim17ROCPRIM_400000_NS6detail44device_merge_sort_compile_time_verifier_archINS1_11comp_targetILNS1_3genE0ELNS1_11target_archE4294967295ELNS1_3gpuE0ELNS1_3repE0EEES8_NS0_14default_configES9_NS1_37merge_sort_block_sort_config_selectorItNS0_10empty_typeEEENS1_38merge_sort_block_merge_config_selectorItSB_EEEEvv,comdat
	.protected	_ZN7rocprim17ROCPRIM_400000_NS6detail44device_merge_sort_compile_time_verifier_archINS1_11comp_targetILNS1_3genE0ELNS1_11target_archE4294967295ELNS1_3gpuE0ELNS1_3repE0EEES8_NS0_14default_configES9_NS1_37merge_sort_block_sort_config_selectorItNS0_10empty_typeEEENS1_38merge_sort_block_merge_config_selectorItSB_EEEEvv ; -- Begin function _ZN7rocprim17ROCPRIM_400000_NS6detail44device_merge_sort_compile_time_verifier_archINS1_11comp_targetILNS1_3genE0ELNS1_11target_archE4294967295ELNS1_3gpuE0ELNS1_3repE0EEES8_NS0_14default_configES9_NS1_37merge_sort_block_sort_config_selectorItNS0_10empty_typeEEENS1_38merge_sort_block_merge_config_selectorItSB_EEEEvv
	.globl	_ZN7rocprim17ROCPRIM_400000_NS6detail44device_merge_sort_compile_time_verifier_archINS1_11comp_targetILNS1_3genE0ELNS1_11target_archE4294967295ELNS1_3gpuE0ELNS1_3repE0EEES8_NS0_14default_configES9_NS1_37merge_sort_block_sort_config_selectorItNS0_10empty_typeEEENS1_38merge_sort_block_merge_config_selectorItSB_EEEEvv
	.p2align	8
	.type	_ZN7rocprim17ROCPRIM_400000_NS6detail44device_merge_sort_compile_time_verifier_archINS1_11comp_targetILNS1_3genE0ELNS1_11target_archE4294967295ELNS1_3gpuE0ELNS1_3repE0EEES8_NS0_14default_configES9_NS1_37merge_sort_block_sort_config_selectorItNS0_10empty_typeEEENS1_38merge_sort_block_merge_config_selectorItSB_EEEEvv,@function
_ZN7rocprim17ROCPRIM_400000_NS6detail44device_merge_sort_compile_time_verifier_archINS1_11comp_targetILNS1_3genE0ELNS1_11target_archE4294967295ELNS1_3gpuE0ELNS1_3repE0EEES8_NS0_14default_configES9_NS1_37merge_sort_block_sort_config_selectorItNS0_10empty_typeEEENS1_38merge_sort_block_merge_config_selectorItSB_EEEEvv: ; @_ZN7rocprim17ROCPRIM_400000_NS6detail44device_merge_sort_compile_time_verifier_archINS1_11comp_targetILNS1_3genE0ELNS1_11target_archE4294967295ELNS1_3gpuE0ELNS1_3repE0EEES8_NS0_14default_configES9_NS1_37merge_sort_block_sort_config_selectorItNS0_10empty_typeEEENS1_38merge_sort_block_merge_config_selectorItSB_EEEEvv
; %bb.0:
	s_endpgm
	.section	.rodata,"a",@progbits
	.p2align	6, 0x0
	.amdhsa_kernel _ZN7rocprim17ROCPRIM_400000_NS6detail44device_merge_sort_compile_time_verifier_archINS1_11comp_targetILNS1_3genE0ELNS1_11target_archE4294967295ELNS1_3gpuE0ELNS1_3repE0EEES8_NS0_14default_configES9_NS1_37merge_sort_block_sort_config_selectorItNS0_10empty_typeEEENS1_38merge_sort_block_merge_config_selectorItSB_EEEEvv
		.amdhsa_group_segment_fixed_size 0
		.amdhsa_private_segment_fixed_size 0
		.amdhsa_kernarg_size 0
		.amdhsa_user_sgpr_count 4
		.amdhsa_user_sgpr_private_segment_buffer 1
		.amdhsa_user_sgpr_dispatch_ptr 0
		.amdhsa_user_sgpr_queue_ptr 0
		.amdhsa_user_sgpr_kernarg_segment_ptr 0
		.amdhsa_user_sgpr_dispatch_id 0
		.amdhsa_user_sgpr_flat_scratch_init 0
		.amdhsa_user_sgpr_kernarg_preload_length 0
		.amdhsa_user_sgpr_kernarg_preload_offset 0
		.amdhsa_user_sgpr_private_segment_size 0
		.amdhsa_uses_dynamic_stack 0
		.amdhsa_system_sgpr_private_segment_wavefront_offset 0
		.amdhsa_system_sgpr_workgroup_id_x 1
		.amdhsa_system_sgpr_workgroup_id_y 0
		.amdhsa_system_sgpr_workgroup_id_z 0
		.amdhsa_system_sgpr_workgroup_info 0
		.amdhsa_system_vgpr_workitem_id 0
		.amdhsa_next_free_vgpr 1
		.amdhsa_next_free_sgpr 0
		.amdhsa_accum_offset 4
		.amdhsa_reserve_vcc 0
		.amdhsa_reserve_flat_scratch 0
		.amdhsa_float_round_mode_32 0
		.amdhsa_float_round_mode_16_64 0
		.amdhsa_float_denorm_mode_32 3
		.amdhsa_float_denorm_mode_16_64 3
		.amdhsa_dx10_clamp 1
		.amdhsa_ieee_mode 1
		.amdhsa_fp16_overflow 0
		.amdhsa_tg_split 0
		.amdhsa_exception_fp_ieee_invalid_op 0
		.amdhsa_exception_fp_denorm_src 0
		.amdhsa_exception_fp_ieee_div_zero 0
		.amdhsa_exception_fp_ieee_overflow 0
		.amdhsa_exception_fp_ieee_underflow 0
		.amdhsa_exception_fp_ieee_inexact 0
		.amdhsa_exception_int_div_zero 0
	.end_amdhsa_kernel
	.section	.text._ZN7rocprim17ROCPRIM_400000_NS6detail44device_merge_sort_compile_time_verifier_archINS1_11comp_targetILNS1_3genE0ELNS1_11target_archE4294967295ELNS1_3gpuE0ELNS1_3repE0EEES8_NS0_14default_configES9_NS1_37merge_sort_block_sort_config_selectorItNS0_10empty_typeEEENS1_38merge_sort_block_merge_config_selectorItSB_EEEEvv,"axG",@progbits,_ZN7rocprim17ROCPRIM_400000_NS6detail44device_merge_sort_compile_time_verifier_archINS1_11comp_targetILNS1_3genE0ELNS1_11target_archE4294967295ELNS1_3gpuE0ELNS1_3repE0EEES8_NS0_14default_configES9_NS1_37merge_sort_block_sort_config_selectorItNS0_10empty_typeEEENS1_38merge_sort_block_merge_config_selectorItSB_EEEEvv,comdat
.Lfunc_end2994:
	.size	_ZN7rocprim17ROCPRIM_400000_NS6detail44device_merge_sort_compile_time_verifier_archINS1_11comp_targetILNS1_3genE0ELNS1_11target_archE4294967295ELNS1_3gpuE0ELNS1_3repE0EEES8_NS0_14default_configES9_NS1_37merge_sort_block_sort_config_selectorItNS0_10empty_typeEEENS1_38merge_sort_block_merge_config_selectorItSB_EEEEvv, .Lfunc_end2994-_ZN7rocprim17ROCPRIM_400000_NS6detail44device_merge_sort_compile_time_verifier_archINS1_11comp_targetILNS1_3genE0ELNS1_11target_archE4294967295ELNS1_3gpuE0ELNS1_3repE0EEES8_NS0_14default_configES9_NS1_37merge_sort_block_sort_config_selectorItNS0_10empty_typeEEENS1_38merge_sort_block_merge_config_selectorItSB_EEEEvv
                                        ; -- End function
	.section	.AMDGPU.csdata,"",@progbits
; Kernel info:
; codeLenInByte = 4
; NumSgprs: 4
; NumVgprs: 0
; NumAgprs: 0
; TotalNumVgprs: 0
; ScratchSize: 0
; MemoryBound: 0
; FloatMode: 240
; IeeeMode: 1
; LDSByteSize: 0 bytes/workgroup (compile time only)
; SGPRBlocks: 0
; VGPRBlocks: 0
; NumSGPRsForWavesPerEU: 4
; NumVGPRsForWavesPerEU: 1
; AccumOffset: 4
; Occupancy: 8
; WaveLimiterHint : 0
; COMPUTE_PGM_RSRC2:SCRATCH_EN: 0
; COMPUTE_PGM_RSRC2:USER_SGPR: 4
; COMPUTE_PGM_RSRC2:TRAP_HANDLER: 0
; COMPUTE_PGM_RSRC2:TGID_X_EN: 1
; COMPUTE_PGM_RSRC2:TGID_Y_EN: 0
; COMPUTE_PGM_RSRC2:TGID_Z_EN: 0
; COMPUTE_PGM_RSRC2:TIDIG_COMP_CNT: 0
; COMPUTE_PGM_RSRC3_GFX90A:ACCUM_OFFSET: 0
; COMPUTE_PGM_RSRC3_GFX90A:TG_SPLIT: 0
	.section	.text._ZN7rocprim17ROCPRIM_400000_NS6detail44device_merge_sort_compile_time_verifier_archINS1_11comp_targetILNS1_3genE5ELNS1_11target_archE942ELNS1_3gpuE9ELNS1_3repE0EEES8_NS0_14default_configES9_NS1_37merge_sort_block_sort_config_selectorItNS0_10empty_typeEEENS1_38merge_sort_block_merge_config_selectorItSB_EEEEvv,"axG",@progbits,_ZN7rocprim17ROCPRIM_400000_NS6detail44device_merge_sort_compile_time_verifier_archINS1_11comp_targetILNS1_3genE5ELNS1_11target_archE942ELNS1_3gpuE9ELNS1_3repE0EEES8_NS0_14default_configES9_NS1_37merge_sort_block_sort_config_selectorItNS0_10empty_typeEEENS1_38merge_sort_block_merge_config_selectorItSB_EEEEvv,comdat
	.protected	_ZN7rocprim17ROCPRIM_400000_NS6detail44device_merge_sort_compile_time_verifier_archINS1_11comp_targetILNS1_3genE5ELNS1_11target_archE942ELNS1_3gpuE9ELNS1_3repE0EEES8_NS0_14default_configES9_NS1_37merge_sort_block_sort_config_selectorItNS0_10empty_typeEEENS1_38merge_sort_block_merge_config_selectorItSB_EEEEvv ; -- Begin function _ZN7rocprim17ROCPRIM_400000_NS6detail44device_merge_sort_compile_time_verifier_archINS1_11comp_targetILNS1_3genE5ELNS1_11target_archE942ELNS1_3gpuE9ELNS1_3repE0EEES8_NS0_14default_configES9_NS1_37merge_sort_block_sort_config_selectorItNS0_10empty_typeEEENS1_38merge_sort_block_merge_config_selectorItSB_EEEEvv
	.globl	_ZN7rocprim17ROCPRIM_400000_NS6detail44device_merge_sort_compile_time_verifier_archINS1_11comp_targetILNS1_3genE5ELNS1_11target_archE942ELNS1_3gpuE9ELNS1_3repE0EEES8_NS0_14default_configES9_NS1_37merge_sort_block_sort_config_selectorItNS0_10empty_typeEEENS1_38merge_sort_block_merge_config_selectorItSB_EEEEvv
	.p2align	8
	.type	_ZN7rocprim17ROCPRIM_400000_NS6detail44device_merge_sort_compile_time_verifier_archINS1_11comp_targetILNS1_3genE5ELNS1_11target_archE942ELNS1_3gpuE9ELNS1_3repE0EEES8_NS0_14default_configES9_NS1_37merge_sort_block_sort_config_selectorItNS0_10empty_typeEEENS1_38merge_sort_block_merge_config_selectorItSB_EEEEvv,@function
_ZN7rocprim17ROCPRIM_400000_NS6detail44device_merge_sort_compile_time_verifier_archINS1_11comp_targetILNS1_3genE5ELNS1_11target_archE942ELNS1_3gpuE9ELNS1_3repE0EEES8_NS0_14default_configES9_NS1_37merge_sort_block_sort_config_selectorItNS0_10empty_typeEEENS1_38merge_sort_block_merge_config_selectorItSB_EEEEvv: ; @_ZN7rocprim17ROCPRIM_400000_NS6detail44device_merge_sort_compile_time_verifier_archINS1_11comp_targetILNS1_3genE5ELNS1_11target_archE942ELNS1_3gpuE9ELNS1_3repE0EEES8_NS0_14default_configES9_NS1_37merge_sort_block_sort_config_selectorItNS0_10empty_typeEEENS1_38merge_sort_block_merge_config_selectorItSB_EEEEvv
; %bb.0:
	s_endpgm
	.section	.rodata,"a",@progbits
	.p2align	6, 0x0
	.amdhsa_kernel _ZN7rocprim17ROCPRIM_400000_NS6detail44device_merge_sort_compile_time_verifier_archINS1_11comp_targetILNS1_3genE5ELNS1_11target_archE942ELNS1_3gpuE9ELNS1_3repE0EEES8_NS0_14default_configES9_NS1_37merge_sort_block_sort_config_selectorItNS0_10empty_typeEEENS1_38merge_sort_block_merge_config_selectorItSB_EEEEvv
		.amdhsa_group_segment_fixed_size 0
		.amdhsa_private_segment_fixed_size 0
		.amdhsa_kernarg_size 0
		.amdhsa_user_sgpr_count 4
		.amdhsa_user_sgpr_private_segment_buffer 1
		.amdhsa_user_sgpr_dispatch_ptr 0
		.amdhsa_user_sgpr_queue_ptr 0
		.amdhsa_user_sgpr_kernarg_segment_ptr 0
		.amdhsa_user_sgpr_dispatch_id 0
		.amdhsa_user_sgpr_flat_scratch_init 0
		.amdhsa_user_sgpr_kernarg_preload_length 0
		.amdhsa_user_sgpr_kernarg_preload_offset 0
		.amdhsa_user_sgpr_private_segment_size 0
		.amdhsa_uses_dynamic_stack 0
		.amdhsa_system_sgpr_private_segment_wavefront_offset 0
		.amdhsa_system_sgpr_workgroup_id_x 1
		.amdhsa_system_sgpr_workgroup_id_y 0
		.amdhsa_system_sgpr_workgroup_id_z 0
		.amdhsa_system_sgpr_workgroup_info 0
		.amdhsa_system_vgpr_workitem_id 0
		.amdhsa_next_free_vgpr 1
		.amdhsa_next_free_sgpr 0
		.amdhsa_accum_offset 4
		.amdhsa_reserve_vcc 0
		.amdhsa_reserve_flat_scratch 0
		.amdhsa_float_round_mode_32 0
		.amdhsa_float_round_mode_16_64 0
		.amdhsa_float_denorm_mode_32 3
		.amdhsa_float_denorm_mode_16_64 3
		.amdhsa_dx10_clamp 1
		.amdhsa_ieee_mode 1
		.amdhsa_fp16_overflow 0
		.amdhsa_tg_split 0
		.amdhsa_exception_fp_ieee_invalid_op 0
		.amdhsa_exception_fp_denorm_src 0
		.amdhsa_exception_fp_ieee_div_zero 0
		.amdhsa_exception_fp_ieee_overflow 0
		.amdhsa_exception_fp_ieee_underflow 0
		.amdhsa_exception_fp_ieee_inexact 0
		.amdhsa_exception_int_div_zero 0
	.end_amdhsa_kernel
	.section	.text._ZN7rocprim17ROCPRIM_400000_NS6detail44device_merge_sort_compile_time_verifier_archINS1_11comp_targetILNS1_3genE5ELNS1_11target_archE942ELNS1_3gpuE9ELNS1_3repE0EEES8_NS0_14default_configES9_NS1_37merge_sort_block_sort_config_selectorItNS0_10empty_typeEEENS1_38merge_sort_block_merge_config_selectorItSB_EEEEvv,"axG",@progbits,_ZN7rocprim17ROCPRIM_400000_NS6detail44device_merge_sort_compile_time_verifier_archINS1_11comp_targetILNS1_3genE5ELNS1_11target_archE942ELNS1_3gpuE9ELNS1_3repE0EEES8_NS0_14default_configES9_NS1_37merge_sort_block_sort_config_selectorItNS0_10empty_typeEEENS1_38merge_sort_block_merge_config_selectorItSB_EEEEvv,comdat
.Lfunc_end2995:
	.size	_ZN7rocprim17ROCPRIM_400000_NS6detail44device_merge_sort_compile_time_verifier_archINS1_11comp_targetILNS1_3genE5ELNS1_11target_archE942ELNS1_3gpuE9ELNS1_3repE0EEES8_NS0_14default_configES9_NS1_37merge_sort_block_sort_config_selectorItNS0_10empty_typeEEENS1_38merge_sort_block_merge_config_selectorItSB_EEEEvv, .Lfunc_end2995-_ZN7rocprim17ROCPRIM_400000_NS6detail44device_merge_sort_compile_time_verifier_archINS1_11comp_targetILNS1_3genE5ELNS1_11target_archE942ELNS1_3gpuE9ELNS1_3repE0EEES8_NS0_14default_configES9_NS1_37merge_sort_block_sort_config_selectorItNS0_10empty_typeEEENS1_38merge_sort_block_merge_config_selectorItSB_EEEEvv
                                        ; -- End function
	.section	.AMDGPU.csdata,"",@progbits
; Kernel info:
; codeLenInByte = 4
; NumSgprs: 4
; NumVgprs: 0
; NumAgprs: 0
; TotalNumVgprs: 0
; ScratchSize: 0
; MemoryBound: 0
; FloatMode: 240
; IeeeMode: 1
; LDSByteSize: 0 bytes/workgroup (compile time only)
; SGPRBlocks: 0
; VGPRBlocks: 0
; NumSGPRsForWavesPerEU: 4
; NumVGPRsForWavesPerEU: 1
; AccumOffset: 4
; Occupancy: 8
; WaveLimiterHint : 0
; COMPUTE_PGM_RSRC2:SCRATCH_EN: 0
; COMPUTE_PGM_RSRC2:USER_SGPR: 4
; COMPUTE_PGM_RSRC2:TRAP_HANDLER: 0
; COMPUTE_PGM_RSRC2:TGID_X_EN: 1
; COMPUTE_PGM_RSRC2:TGID_Y_EN: 0
; COMPUTE_PGM_RSRC2:TGID_Z_EN: 0
; COMPUTE_PGM_RSRC2:TIDIG_COMP_CNT: 0
; COMPUTE_PGM_RSRC3_GFX90A:ACCUM_OFFSET: 0
; COMPUTE_PGM_RSRC3_GFX90A:TG_SPLIT: 0
	.section	.text._ZN7rocprim17ROCPRIM_400000_NS6detail44device_merge_sort_compile_time_verifier_archINS1_11comp_targetILNS1_3genE4ELNS1_11target_archE910ELNS1_3gpuE8ELNS1_3repE0EEES8_NS0_14default_configES9_NS1_37merge_sort_block_sort_config_selectorItNS0_10empty_typeEEENS1_38merge_sort_block_merge_config_selectorItSB_EEEEvv,"axG",@progbits,_ZN7rocprim17ROCPRIM_400000_NS6detail44device_merge_sort_compile_time_verifier_archINS1_11comp_targetILNS1_3genE4ELNS1_11target_archE910ELNS1_3gpuE8ELNS1_3repE0EEES8_NS0_14default_configES9_NS1_37merge_sort_block_sort_config_selectorItNS0_10empty_typeEEENS1_38merge_sort_block_merge_config_selectorItSB_EEEEvv,comdat
	.protected	_ZN7rocprim17ROCPRIM_400000_NS6detail44device_merge_sort_compile_time_verifier_archINS1_11comp_targetILNS1_3genE4ELNS1_11target_archE910ELNS1_3gpuE8ELNS1_3repE0EEES8_NS0_14default_configES9_NS1_37merge_sort_block_sort_config_selectorItNS0_10empty_typeEEENS1_38merge_sort_block_merge_config_selectorItSB_EEEEvv ; -- Begin function _ZN7rocprim17ROCPRIM_400000_NS6detail44device_merge_sort_compile_time_verifier_archINS1_11comp_targetILNS1_3genE4ELNS1_11target_archE910ELNS1_3gpuE8ELNS1_3repE0EEES8_NS0_14default_configES9_NS1_37merge_sort_block_sort_config_selectorItNS0_10empty_typeEEENS1_38merge_sort_block_merge_config_selectorItSB_EEEEvv
	.globl	_ZN7rocprim17ROCPRIM_400000_NS6detail44device_merge_sort_compile_time_verifier_archINS1_11comp_targetILNS1_3genE4ELNS1_11target_archE910ELNS1_3gpuE8ELNS1_3repE0EEES8_NS0_14default_configES9_NS1_37merge_sort_block_sort_config_selectorItNS0_10empty_typeEEENS1_38merge_sort_block_merge_config_selectorItSB_EEEEvv
	.p2align	8
	.type	_ZN7rocprim17ROCPRIM_400000_NS6detail44device_merge_sort_compile_time_verifier_archINS1_11comp_targetILNS1_3genE4ELNS1_11target_archE910ELNS1_3gpuE8ELNS1_3repE0EEES8_NS0_14default_configES9_NS1_37merge_sort_block_sort_config_selectorItNS0_10empty_typeEEENS1_38merge_sort_block_merge_config_selectorItSB_EEEEvv,@function
_ZN7rocprim17ROCPRIM_400000_NS6detail44device_merge_sort_compile_time_verifier_archINS1_11comp_targetILNS1_3genE4ELNS1_11target_archE910ELNS1_3gpuE8ELNS1_3repE0EEES8_NS0_14default_configES9_NS1_37merge_sort_block_sort_config_selectorItNS0_10empty_typeEEENS1_38merge_sort_block_merge_config_selectorItSB_EEEEvv: ; @_ZN7rocprim17ROCPRIM_400000_NS6detail44device_merge_sort_compile_time_verifier_archINS1_11comp_targetILNS1_3genE4ELNS1_11target_archE910ELNS1_3gpuE8ELNS1_3repE0EEES8_NS0_14default_configES9_NS1_37merge_sort_block_sort_config_selectorItNS0_10empty_typeEEENS1_38merge_sort_block_merge_config_selectorItSB_EEEEvv
; %bb.0:
	s_endpgm
	.section	.rodata,"a",@progbits
	.p2align	6, 0x0
	.amdhsa_kernel _ZN7rocprim17ROCPRIM_400000_NS6detail44device_merge_sort_compile_time_verifier_archINS1_11comp_targetILNS1_3genE4ELNS1_11target_archE910ELNS1_3gpuE8ELNS1_3repE0EEES8_NS0_14default_configES9_NS1_37merge_sort_block_sort_config_selectorItNS0_10empty_typeEEENS1_38merge_sort_block_merge_config_selectorItSB_EEEEvv
		.amdhsa_group_segment_fixed_size 0
		.amdhsa_private_segment_fixed_size 0
		.amdhsa_kernarg_size 0
		.amdhsa_user_sgpr_count 4
		.amdhsa_user_sgpr_private_segment_buffer 1
		.amdhsa_user_sgpr_dispatch_ptr 0
		.amdhsa_user_sgpr_queue_ptr 0
		.amdhsa_user_sgpr_kernarg_segment_ptr 0
		.amdhsa_user_sgpr_dispatch_id 0
		.amdhsa_user_sgpr_flat_scratch_init 0
		.amdhsa_user_sgpr_kernarg_preload_length 0
		.amdhsa_user_sgpr_kernarg_preload_offset 0
		.amdhsa_user_sgpr_private_segment_size 0
		.amdhsa_uses_dynamic_stack 0
		.amdhsa_system_sgpr_private_segment_wavefront_offset 0
		.amdhsa_system_sgpr_workgroup_id_x 1
		.amdhsa_system_sgpr_workgroup_id_y 0
		.amdhsa_system_sgpr_workgroup_id_z 0
		.amdhsa_system_sgpr_workgroup_info 0
		.amdhsa_system_vgpr_workitem_id 0
		.amdhsa_next_free_vgpr 1
		.amdhsa_next_free_sgpr 0
		.amdhsa_accum_offset 4
		.amdhsa_reserve_vcc 0
		.amdhsa_reserve_flat_scratch 0
		.amdhsa_float_round_mode_32 0
		.amdhsa_float_round_mode_16_64 0
		.amdhsa_float_denorm_mode_32 3
		.amdhsa_float_denorm_mode_16_64 3
		.amdhsa_dx10_clamp 1
		.amdhsa_ieee_mode 1
		.amdhsa_fp16_overflow 0
		.amdhsa_tg_split 0
		.amdhsa_exception_fp_ieee_invalid_op 0
		.amdhsa_exception_fp_denorm_src 0
		.amdhsa_exception_fp_ieee_div_zero 0
		.amdhsa_exception_fp_ieee_overflow 0
		.amdhsa_exception_fp_ieee_underflow 0
		.amdhsa_exception_fp_ieee_inexact 0
		.amdhsa_exception_int_div_zero 0
	.end_amdhsa_kernel
	.section	.text._ZN7rocprim17ROCPRIM_400000_NS6detail44device_merge_sort_compile_time_verifier_archINS1_11comp_targetILNS1_3genE4ELNS1_11target_archE910ELNS1_3gpuE8ELNS1_3repE0EEES8_NS0_14default_configES9_NS1_37merge_sort_block_sort_config_selectorItNS0_10empty_typeEEENS1_38merge_sort_block_merge_config_selectorItSB_EEEEvv,"axG",@progbits,_ZN7rocprim17ROCPRIM_400000_NS6detail44device_merge_sort_compile_time_verifier_archINS1_11comp_targetILNS1_3genE4ELNS1_11target_archE910ELNS1_3gpuE8ELNS1_3repE0EEES8_NS0_14default_configES9_NS1_37merge_sort_block_sort_config_selectorItNS0_10empty_typeEEENS1_38merge_sort_block_merge_config_selectorItSB_EEEEvv,comdat
.Lfunc_end2996:
	.size	_ZN7rocprim17ROCPRIM_400000_NS6detail44device_merge_sort_compile_time_verifier_archINS1_11comp_targetILNS1_3genE4ELNS1_11target_archE910ELNS1_3gpuE8ELNS1_3repE0EEES8_NS0_14default_configES9_NS1_37merge_sort_block_sort_config_selectorItNS0_10empty_typeEEENS1_38merge_sort_block_merge_config_selectorItSB_EEEEvv, .Lfunc_end2996-_ZN7rocprim17ROCPRIM_400000_NS6detail44device_merge_sort_compile_time_verifier_archINS1_11comp_targetILNS1_3genE4ELNS1_11target_archE910ELNS1_3gpuE8ELNS1_3repE0EEES8_NS0_14default_configES9_NS1_37merge_sort_block_sort_config_selectorItNS0_10empty_typeEEENS1_38merge_sort_block_merge_config_selectorItSB_EEEEvv
                                        ; -- End function
	.section	.AMDGPU.csdata,"",@progbits
; Kernel info:
; codeLenInByte = 4
; NumSgprs: 4
; NumVgprs: 0
; NumAgprs: 0
; TotalNumVgprs: 0
; ScratchSize: 0
; MemoryBound: 0
; FloatMode: 240
; IeeeMode: 1
; LDSByteSize: 0 bytes/workgroup (compile time only)
; SGPRBlocks: 0
; VGPRBlocks: 0
; NumSGPRsForWavesPerEU: 4
; NumVGPRsForWavesPerEU: 1
; AccumOffset: 4
; Occupancy: 8
; WaveLimiterHint : 0
; COMPUTE_PGM_RSRC2:SCRATCH_EN: 0
; COMPUTE_PGM_RSRC2:USER_SGPR: 4
; COMPUTE_PGM_RSRC2:TRAP_HANDLER: 0
; COMPUTE_PGM_RSRC2:TGID_X_EN: 1
; COMPUTE_PGM_RSRC2:TGID_Y_EN: 0
; COMPUTE_PGM_RSRC2:TGID_Z_EN: 0
; COMPUTE_PGM_RSRC2:TIDIG_COMP_CNT: 0
; COMPUTE_PGM_RSRC3_GFX90A:ACCUM_OFFSET: 0
; COMPUTE_PGM_RSRC3_GFX90A:TG_SPLIT: 0
	.section	.text._ZN7rocprim17ROCPRIM_400000_NS6detail44device_merge_sort_compile_time_verifier_archINS1_11comp_targetILNS1_3genE3ELNS1_11target_archE908ELNS1_3gpuE7ELNS1_3repE0EEES8_NS0_14default_configES9_NS1_37merge_sort_block_sort_config_selectorItNS0_10empty_typeEEENS1_38merge_sort_block_merge_config_selectorItSB_EEEEvv,"axG",@progbits,_ZN7rocprim17ROCPRIM_400000_NS6detail44device_merge_sort_compile_time_verifier_archINS1_11comp_targetILNS1_3genE3ELNS1_11target_archE908ELNS1_3gpuE7ELNS1_3repE0EEES8_NS0_14default_configES9_NS1_37merge_sort_block_sort_config_selectorItNS0_10empty_typeEEENS1_38merge_sort_block_merge_config_selectorItSB_EEEEvv,comdat
	.protected	_ZN7rocprim17ROCPRIM_400000_NS6detail44device_merge_sort_compile_time_verifier_archINS1_11comp_targetILNS1_3genE3ELNS1_11target_archE908ELNS1_3gpuE7ELNS1_3repE0EEES8_NS0_14default_configES9_NS1_37merge_sort_block_sort_config_selectorItNS0_10empty_typeEEENS1_38merge_sort_block_merge_config_selectorItSB_EEEEvv ; -- Begin function _ZN7rocprim17ROCPRIM_400000_NS6detail44device_merge_sort_compile_time_verifier_archINS1_11comp_targetILNS1_3genE3ELNS1_11target_archE908ELNS1_3gpuE7ELNS1_3repE0EEES8_NS0_14default_configES9_NS1_37merge_sort_block_sort_config_selectorItNS0_10empty_typeEEENS1_38merge_sort_block_merge_config_selectorItSB_EEEEvv
	.globl	_ZN7rocprim17ROCPRIM_400000_NS6detail44device_merge_sort_compile_time_verifier_archINS1_11comp_targetILNS1_3genE3ELNS1_11target_archE908ELNS1_3gpuE7ELNS1_3repE0EEES8_NS0_14default_configES9_NS1_37merge_sort_block_sort_config_selectorItNS0_10empty_typeEEENS1_38merge_sort_block_merge_config_selectorItSB_EEEEvv
	.p2align	8
	.type	_ZN7rocprim17ROCPRIM_400000_NS6detail44device_merge_sort_compile_time_verifier_archINS1_11comp_targetILNS1_3genE3ELNS1_11target_archE908ELNS1_3gpuE7ELNS1_3repE0EEES8_NS0_14default_configES9_NS1_37merge_sort_block_sort_config_selectorItNS0_10empty_typeEEENS1_38merge_sort_block_merge_config_selectorItSB_EEEEvv,@function
_ZN7rocprim17ROCPRIM_400000_NS6detail44device_merge_sort_compile_time_verifier_archINS1_11comp_targetILNS1_3genE3ELNS1_11target_archE908ELNS1_3gpuE7ELNS1_3repE0EEES8_NS0_14default_configES9_NS1_37merge_sort_block_sort_config_selectorItNS0_10empty_typeEEENS1_38merge_sort_block_merge_config_selectorItSB_EEEEvv: ; @_ZN7rocprim17ROCPRIM_400000_NS6detail44device_merge_sort_compile_time_verifier_archINS1_11comp_targetILNS1_3genE3ELNS1_11target_archE908ELNS1_3gpuE7ELNS1_3repE0EEES8_NS0_14default_configES9_NS1_37merge_sort_block_sort_config_selectorItNS0_10empty_typeEEENS1_38merge_sort_block_merge_config_selectorItSB_EEEEvv
; %bb.0:
	s_endpgm
	.section	.rodata,"a",@progbits
	.p2align	6, 0x0
	.amdhsa_kernel _ZN7rocprim17ROCPRIM_400000_NS6detail44device_merge_sort_compile_time_verifier_archINS1_11comp_targetILNS1_3genE3ELNS1_11target_archE908ELNS1_3gpuE7ELNS1_3repE0EEES8_NS0_14default_configES9_NS1_37merge_sort_block_sort_config_selectorItNS0_10empty_typeEEENS1_38merge_sort_block_merge_config_selectorItSB_EEEEvv
		.amdhsa_group_segment_fixed_size 0
		.amdhsa_private_segment_fixed_size 0
		.amdhsa_kernarg_size 0
		.amdhsa_user_sgpr_count 4
		.amdhsa_user_sgpr_private_segment_buffer 1
		.amdhsa_user_sgpr_dispatch_ptr 0
		.amdhsa_user_sgpr_queue_ptr 0
		.amdhsa_user_sgpr_kernarg_segment_ptr 0
		.amdhsa_user_sgpr_dispatch_id 0
		.amdhsa_user_sgpr_flat_scratch_init 0
		.amdhsa_user_sgpr_kernarg_preload_length 0
		.amdhsa_user_sgpr_kernarg_preload_offset 0
		.amdhsa_user_sgpr_private_segment_size 0
		.amdhsa_uses_dynamic_stack 0
		.amdhsa_system_sgpr_private_segment_wavefront_offset 0
		.amdhsa_system_sgpr_workgroup_id_x 1
		.amdhsa_system_sgpr_workgroup_id_y 0
		.amdhsa_system_sgpr_workgroup_id_z 0
		.amdhsa_system_sgpr_workgroup_info 0
		.amdhsa_system_vgpr_workitem_id 0
		.amdhsa_next_free_vgpr 1
		.amdhsa_next_free_sgpr 0
		.amdhsa_accum_offset 4
		.amdhsa_reserve_vcc 0
		.amdhsa_reserve_flat_scratch 0
		.amdhsa_float_round_mode_32 0
		.amdhsa_float_round_mode_16_64 0
		.amdhsa_float_denorm_mode_32 3
		.amdhsa_float_denorm_mode_16_64 3
		.amdhsa_dx10_clamp 1
		.amdhsa_ieee_mode 1
		.amdhsa_fp16_overflow 0
		.amdhsa_tg_split 0
		.amdhsa_exception_fp_ieee_invalid_op 0
		.amdhsa_exception_fp_denorm_src 0
		.amdhsa_exception_fp_ieee_div_zero 0
		.amdhsa_exception_fp_ieee_overflow 0
		.amdhsa_exception_fp_ieee_underflow 0
		.amdhsa_exception_fp_ieee_inexact 0
		.amdhsa_exception_int_div_zero 0
	.end_amdhsa_kernel
	.section	.text._ZN7rocprim17ROCPRIM_400000_NS6detail44device_merge_sort_compile_time_verifier_archINS1_11comp_targetILNS1_3genE3ELNS1_11target_archE908ELNS1_3gpuE7ELNS1_3repE0EEES8_NS0_14default_configES9_NS1_37merge_sort_block_sort_config_selectorItNS0_10empty_typeEEENS1_38merge_sort_block_merge_config_selectorItSB_EEEEvv,"axG",@progbits,_ZN7rocprim17ROCPRIM_400000_NS6detail44device_merge_sort_compile_time_verifier_archINS1_11comp_targetILNS1_3genE3ELNS1_11target_archE908ELNS1_3gpuE7ELNS1_3repE0EEES8_NS0_14default_configES9_NS1_37merge_sort_block_sort_config_selectorItNS0_10empty_typeEEENS1_38merge_sort_block_merge_config_selectorItSB_EEEEvv,comdat
.Lfunc_end2997:
	.size	_ZN7rocprim17ROCPRIM_400000_NS6detail44device_merge_sort_compile_time_verifier_archINS1_11comp_targetILNS1_3genE3ELNS1_11target_archE908ELNS1_3gpuE7ELNS1_3repE0EEES8_NS0_14default_configES9_NS1_37merge_sort_block_sort_config_selectorItNS0_10empty_typeEEENS1_38merge_sort_block_merge_config_selectorItSB_EEEEvv, .Lfunc_end2997-_ZN7rocprim17ROCPRIM_400000_NS6detail44device_merge_sort_compile_time_verifier_archINS1_11comp_targetILNS1_3genE3ELNS1_11target_archE908ELNS1_3gpuE7ELNS1_3repE0EEES8_NS0_14default_configES9_NS1_37merge_sort_block_sort_config_selectorItNS0_10empty_typeEEENS1_38merge_sort_block_merge_config_selectorItSB_EEEEvv
                                        ; -- End function
	.section	.AMDGPU.csdata,"",@progbits
; Kernel info:
; codeLenInByte = 4
; NumSgprs: 4
; NumVgprs: 0
; NumAgprs: 0
; TotalNumVgprs: 0
; ScratchSize: 0
; MemoryBound: 0
; FloatMode: 240
; IeeeMode: 1
; LDSByteSize: 0 bytes/workgroup (compile time only)
; SGPRBlocks: 0
; VGPRBlocks: 0
; NumSGPRsForWavesPerEU: 4
; NumVGPRsForWavesPerEU: 1
; AccumOffset: 4
; Occupancy: 8
; WaveLimiterHint : 0
; COMPUTE_PGM_RSRC2:SCRATCH_EN: 0
; COMPUTE_PGM_RSRC2:USER_SGPR: 4
; COMPUTE_PGM_RSRC2:TRAP_HANDLER: 0
; COMPUTE_PGM_RSRC2:TGID_X_EN: 1
; COMPUTE_PGM_RSRC2:TGID_Y_EN: 0
; COMPUTE_PGM_RSRC2:TGID_Z_EN: 0
; COMPUTE_PGM_RSRC2:TIDIG_COMP_CNT: 0
; COMPUTE_PGM_RSRC3_GFX90A:ACCUM_OFFSET: 0
; COMPUTE_PGM_RSRC3_GFX90A:TG_SPLIT: 0
	.section	.text._ZN7rocprim17ROCPRIM_400000_NS6detail44device_merge_sort_compile_time_verifier_archINS1_11comp_targetILNS1_3genE2ELNS1_11target_archE906ELNS1_3gpuE6ELNS1_3repE0EEES8_NS0_14default_configES9_NS1_37merge_sort_block_sort_config_selectorItNS0_10empty_typeEEENS1_38merge_sort_block_merge_config_selectorItSB_EEEEvv,"axG",@progbits,_ZN7rocprim17ROCPRIM_400000_NS6detail44device_merge_sort_compile_time_verifier_archINS1_11comp_targetILNS1_3genE2ELNS1_11target_archE906ELNS1_3gpuE6ELNS1_3repE0EEES8_NS0_14default_configES9_NS1_37merge_sort_block_sort_config_selectorItNS0_10empty_typeEEENS1_38merge_sort_block_merge_config_selectorItSB_EEEEvv,comdat
	.protected	_ZN7rocprim17ROCPRIM_400000_NS6detail44device_merge_sort_compile_time_verifier_archINS1_11comp_targetILNS1_3genE2ELNS1_11target_archE906ELNS1_3gpuE6ELNS1_3repE0EEES8_NS0_14default_configES9_NS1_37merge_sort_block_sort_config_selectorItNS0_10empty_typeEEENS1_38merge_sort_block_merge_config_selectorItSB_EEEEvv ; -- Begin function _ZN7rocprim17ROCPRIM_400000_NS6detail44device_merge_sort_compile_time_verifier_archINS1_11comp_targetILNS1_3genE2ELNS1_11target_archE906ELNS1_3gpuE6ELNS1_3repE0EEES8_NS0_14default_configES9_NS1_37merge_sort_block_sort_config_selectorItNS0_10empty_typeEEENS1_38merge_sort_block_merge_config_selectorItSB_EEEEvv
	.globl	_ZN7rocprim17ROCPRIM_400000_NS6detail44device_merge_sort_compile_time_verifier_archINS1_11comp_targetILNS1_3genE2ELNS1_11target_archE906ELNS1_3gpuE6ELNS1_3repE0EEES8_NS0_14default_configES9_NS1_37merge_sort_block_sort_config_selectorItNS0_10empty_typeEEENS1_38merge_sort_block_merge_config_selectorItSB_EEEEvv
	.p2align	8
	.type	_ZN7rocprim17ROCPRIM_400000_NS6detail44device_merge_sort_compile_time_verifier_archINS1_11comp_targetILNS1_3genE2ELNS1_11target_archE906ELNS1_3gpuE6ELNS1_3repE0EEES8_NS0_14default_configES9_NS1_37merge_sort_block_sort_config_selectorItNS0_10empty_typeEEENS1_38merge_sort_block_merge_config_selectorItSB_EEEEvv,@function
_ZN7rocprim17ROCPRIM_400000_NS6detail44device_merge_sort_compile_time_verifier_archINS1_11comp_targetILNS1_3genE2ELNS1_11target_archE906ELNS1_3gpuE6ELNS1_3repE0EEES8_NS0_14default_configES9_NS1_37merge_sort_block_sort_config_selectorItNS0_10empty_typeEEENS1_38merge_sort_block_merge_config_selectorItSB_EEEEvv: ; @_ZN7rocprim17ROCPRIM_400000_NS6detail44device_merge_sort_compile_time_verifier_archINS1_11comp_targetILNS1_3genE2ELNS1_11target_archE906ELNS1_3gpuE6ELNS1_3repE0EEES8_NS0_14default_configES9_NS1_37merge_sort_block_sort_config_selectorItNS0_10empty_typeEEENS1_38merge_sort_block_merge_config_selectorItSB_EEEEvv
; %bb.0:
	s_endpgm
	.section	.rodata,"a",@progbits
	.p2align	6, 0x0
	.amdhsa_kernel _ZN7rocprim17ROCPRIM_400000_NS6detail44device_merge_sort_compile_time_verifier_archINS1_11comp_targetILNS1_3genE2ELNS1_11target_archE906ELNS1_3gpuE6ELNS1_3repE0EEES8_NS0_14default_configES9_NS1_37merge_sort_block_sort_config_selectorItNS0_10empty_typeEEENS1_38merge_sort_block_merge_config_selectorItSB_EEEEvv
		.amdhsa_group_segment_fixed_size 0
		.amdhsa_private_segment_fixed_size 0
		.amdhsa_kernarg_size 0
		.amdhsa_user_sgpr_count 4
		.amdhsa_user_sgpr_private_segment_buffer 1
		.amdhsa_user_sgpr_dispatch_ptr 0
		.amdhsa_user_sgpr_queue_ptr 0
		.amdhsa_user_sgpr_kernarg_segment_ptr 0
		.amdhsa_user_sgpr_dispatch_id 0
		.amdhsa_user_sgpr_flat_scratch_init 0
		.amdhsa_user_sgpr_kernarg_preload_length 0
		.amdhsa_user_sgpr_kernarg_preload_offset 0
		.amdhsa_user_sgpr_private_segment_size 0
		.amdhsa_uses_dynamic_stack 0
		.amdhsa_system_sgpr_private_segment_wavefront_offset 0
		.amdhsa_system_sgpr_workgroup_id_x 1
		.amdhsa_system_sgpr_workgroup_id_y 0
		.amdhsa_system_sgpr_workgroup_id_z 0
		.amdhsa_system_sgpr_workgroup_info 0
		.amdhsa_system_vgpr_workitem_id 0
		.amdhsa_next_free_vgpr 1
		.amdhsa_next_free_sgpr 0
		.amdhsa_accum_offset 4
		.amdhsa_reserve_vcc 0
		.amdhsa_reserve_flat_scratch 0
		.amdhsa_float_round_mode_32 0
		.amdhsa_float_round_mode_16_64 0
		.amdhsa_float_denorm_mode_32 3
		.amdhsa_float_denorm_mode_16_64 3
		.amdhsa_dx10_clamp 1
		.amdhsa_ieee_mode 1
		.amdhsa_fp16_overflow 0
		.amdhsa_tg_split 0
		.amdhsa_exception_fp_ieee_invalid_op 0
		.amdhsa_exception_fp_denorm_src 0
		.amdhsa_exception_fp_ieee_div_zero 0
		.amdhsa_exception_fp_ieee_overflow 0
		.amdhsa_exception_fp_ieee_underflow 0
		.amdhsa_exception_fp_ieee_inexact 0
		.amdhsa_exception_int_div_zero 0
	.end_amdhsa_kernel
	.section	.text._ZN7rocprim17ROCPRIM_400000_NS6detail44device_merge_sort_compile_time_verifier_archINS1_11comp_targetILNS1_3genE2ELNS1_11target_archE906ELNS1_3gpuE6ELNS1_3repE0EEES8_NS0_14default_configES9_NS1_37merge_sort_block_sort_config_selectorItNS0_10empty_typeEEENS1_38merge_sort_block_merge_config_selectorItSB_EEEEvv,"axG",@progbits,_ZN7rocprim17ROCPRIM_400000_NS6detail44device_merge_sort_compile_time_verifier_archINS1_11comp_targetILNS1_3genE2ELNS1_11target_archE906ELNS1_3gpuE6ELNS1_3repE0EEES8_NS0_14default_configES9_NS1_37merge_sort_block_sort_config_selectorItNS0_10empty_typeEEENS1_38merge_sort_block_merge_config_selectorItSB_EEEEvv,comdat
.Lfunc_end2998:
	.size	_ZN7rocprim17ROCPRIM_400000_NS6detail44device_merge_sort_compile_time_verifier_archINS1_11comp_targetILNS1_3genE2ELNS1_11target_archE906ELNS1_3gpuE6ELNS1_3repE0EEES8_NS0_14default_configES9_NS1_37merge_sort_block_sort_config_selectorItNS0_10empty_typeEEENS1_38merge_sort_block_merge_config_selectorItSB_EEEEvv, .Lfunc_end2998-_ZN7rocprim17ROCPRIM_400000_NS6detail44device_merge_sort_compile_time_verifier_archINS1_11comp_targetILNS1_3genE2ELNS1_11target_archE906ELNS1_3gpuE6ELNS1_3repE0EEES8_NS0_14default_configES9_NS1_37merge_sort_block_sort_config_selectorItNS0_10empty_typeEEENS1_38merge_sort_block_merge_config_selectorItSB_EEEEvv
                                        ; -- End function
	.section	.AMDGPU.csdata,"",@progbits
; Kernel info:
; codeLenInByte = 4
; NumSgprs: 4
; NumVgprs: 0
; NumAgprs: 0
; TotalNumVgprs: 0
; ScratchSize: 0
; MemoryBound: 0
; FloatMode: 240
; IeeeMode: 1
; LDSByteSize: 0 bytes/workgroup (compile time only)
; SGPRBlocks: 0
; VGPRBlocks: 0
; NumSGPRsForWavesPerEU: 4
; NumVGPRsForWavesPerEU: 1
; AccumOffset: 4
; Occupancy: 8
; WaveLimiterHint : 0
; COMPUTE_PGM_RSRC2:SCRATCH_EN: 0
; COMPUTE_PGM_RSRC2:USER_SGPR: 4
; COMPUTE_PGM_RSRC2:TRAP_HANDLER: 0
; COMPUTE_PGM_RSRC2:TGID_X_EN: 1
; COMPUTE_PGM_RSRC2:TGID_Y_EN: 0
; COMPUTE_PGM_RSRC2:TGID_Z_EN: 0
; COMPUTE_PGM_RSRC2:TIDIG_COMP_CNT: 0
; COMPUTE_PGM_RSRC3_GFX90A:ACCUM_OFFSET: 0
; COMPUTE_PGM_RSRC3_GFX90A:TG_SPLIT: 0
	.section	.text._ZN7rocprim17ROCPRIM_400000_NS6detail44device_merge_sort_compile_time_verifier_archINS1_11comp_targetILNS1_3genE10ELNS1_11target_archE1201ELNS1_3gpuE5ELNS1_3repE0EEES8_NS0_14default_configES9_NS1_37merge_sort_block_sort_config_selectorItNS0_10empty_typeEEENS1_38merge_sort_block_merge_config_selectorItSB_EEEEvv,"axG",@progbits,_ZN7rocprim17ROCPRIM_400000_NS6detail44device_merge_sort_compile_time_verifier_archINS1_11comp_targetILNS1_3genE10ELNS1_11target_archE1201ELNS1_3gpuE5ELNS1_3repE0EEES8_NS0_14default_configES9_NS1_37merge_sort_block_sort_config_selectorItNS0_10empty_typeEEENS1_38merge_sort_block_merge_config_selectorItSB_EEEEvv,comdat
	.protected	_ZN7rocprim17ROCPRIM_400000_NS6detail44device_merge_sort_compile_time_verifier_archINS1_11comp_targetILNS1_3genE10ELNS1_11target_archE1201ELNS1_3gpuE5ELNS1_3repE0EEES8_NS0_14default_configES9_NS1_37merge_sort_block_sort_config_selectorItNS0_10empty_typeEEENS1_38merge_sort_block_merge_config_selectorItSB_EEEEvv ; -- Begin function _ZN7rocprim17ROCPRIM_400000_NS6detail44device_merge_sort_compile_time_verifier_archINS1_11comp_targetILNS1_3genE10ELNS1_11target_archE1201ELNS1_3gpuE5ELNS1_3repE0EEES8_NS0_14default_configES9_NS1_37merge_sort_block_sort_config_selectorItNS0_10empty_typeEEENS1_38merge_sort_block_merge_config_selectorItSB_EEEEvv
	.globl	_ZN7rocprim17ROCPRIM_400000_NS6detail44device_merge_sort_compile_time_verifier_archINS1_11comp_targetILNS1_3genE10ELNS1_11target_archE1201ELNS1_3gpuE5ELNS1_3repE0EEES8_NS0_14default_configES9_NS1_37merge_sort_block_sort_config_selectorItNS0_10empty_typeEEENS1_38merge_sort_block_merge_config_selectorItSB_EEEEvv
	.p2align	8
	.type	_ZN7rocprim17ROCPRIM_400000_NS6detail44device_merge_sort_compile_time_verifier_archINS1_11comp_targetILNS1_3genE10ELNS1_11target_archE1201ELNS1_3gpuE5ELNS1_3repE0EEES8_NS0_14default_configES9_NS1_37merge_sort_block_sort_config_selectorItNS0_10empty_typeEEENS1_38merge_sort_block_merge_config_selectorItSB_EEEEvv,@function
_ZN7rocprim17ROCPRIM_400000_NS6detail44device_merge_sort_compile_time_verifier_archINS1_11comp_targetILNS1_3genE10ELNS1_11target_archE1201ELNS1_3gpuE5ELNS1_3repE0EEES8_NS0_14default_configES9_NS1_37merge_sort_block_sort_config_selectorItNS0_10empty_typeEEENS1_38merge_sort_block_merge_config_selectorItSB_EEEEvv: ; @_ZN7rocprim17ROCPRIM_400000_NS6detail44device_merge_sort_compile_time_verifier_archINS1_11comp_targetILNS1_3genE10ELNS1_11target_archE1201ELNS1_3gpuE5ELNS1_3repE0EEES8_NS0_14default_configES9_NS1_37merge_sort_block_sort_config_selectorItNS0_10empty_typeEEENS1_38merge_sort_block_merge_config_selectorItSB_EEEEvv
; %bb.0:
	s_endpgm
	.section	.rodata,"a",@progbits
	.p2align	6, 0x0
	.amdhsa_kernel _ZN7rocprim17ROCPRIM_400000_NS6detail44device_merge_sort_compile_time_verifier_archINS1_11comp_targetILNS1_3genE10ELNS1_11target_archE1201ELNS1_3gpuE5ELNS1_3repE0EEES8_NS0_14default_configES9_NS1_37merge_sort_block_sort_config_selectorItNS0_10empty_typeEEENS1_38merge_sort_block_merge_config_selectorItSB_EEEEvv
		.amdhsa_group_segment_fixed_size 0
		.amdhsa_private_segment_fixed_size 0
		.amdhsa_kernarg_size 0
		.amdhsa_user_sgpr_count 4
		.amdhsa_user_sgpr_private_segment_buffer 1
		.amdhsa_user_sgpr_dispatch_ptr 0
		.amdhsa_user_sgpr_queue_ptr 0
		.amdhsa_user_sgpr_kernarg_segment_ptr 0
		.amdhsa_user_sgpr_dispatch_id 0
		.amdhsa_user_sgpr_flat_scratch_init 0
		.amdhsa_user_sgpr_kernarg_preload_length 0
		.amdhsa_user_sgpr_kernarg_preload_offset 0
		.amdhsa_user_sgpr_private_segment_size 0
		.amdhsa_uses_dynamic_stack 0
		.amdhsa_system_sgpr_private_segment_wavefront_offset 0
		.amdhsa_system_sgpr_workgroup_id_x 1
		.amdhsa_system_sgpr_workgroup_id_y 0
		.amdhsa_system_sgpr_workgroup_id_z 0
		.amdhsa_system_sgpr_workgroup_info 0
		.amdhsa_system_vgpr_workitem_id 0
		.amdhsa_next_free_vgpr 1
		.amdhsa_next_free_sgpr 0
		.amdhsa_accum_offset 4
		.amdhsa_reserve_vcc 0
		.amdhsa_reserve_flat_scratch 0
		.amdhsa_float_round_mode_32 0
		.amdhsa_float_round_mode_16_64 0
		.amdhsa_float_denorm_mode_32 3
		.amdhsa_float_denorm_mode_16_64 3
		.amdhsa_dx10_clamp 1
		.amdhsa_ieee_mode 1
		.amdhsa_fp16_overflow 0
		.amdhsa_tg_split 0
		.amdhsa_exception_fp_ieee_invalid_op 0
		.amdhsa_exception_fp_denorm_src 0
		.amdhsa_exception_fp_ieee_div_zero 0
		.amdhsa_exception_fp_ieee_overflow 0
		.amdhsa_exception_fp_ieee_underflow 0
		.amdhsa_exception_fp_ieee_inexact 0
		.amdhsa_exception_int_div_zero 0
	.end_amdhsa_kernel
	.section	.text._ZN7rocprim17ROCPRIM_400000_NS6detail44device_merge_sort_compile_time_verifier_archINS1_11comp_targetILNS1_3genE10ELNS1_11target_archE1201ELNS1_3gpuE5ELNS1_3repE0EEES8_NS0_14default_configES9_NS1_37merge_sort_block_sort_config_selectorItNS0_10empty_typeEEENS1_38merge_sort_block_merge_config_selectorItSB_EEEEvv,"axG",@progbits,_ZN7rocprim17ROCPRIM_400000_NS6detail44device_merge_sort_compile_time_verifier_archINS1_11comp_targetILNS1_3genE10ELNS1_11target_archE1201ELNS1_3gpuE5ELNS1_3repE0EEES8_NS0_14default_configES9_NS1_37merge_sort_block_sort_config_selectorItNS0_10empty_typeEEENS1_38merge_sort_block_merge_config_selectorItSB_EEEEvv,comdat
.Lfunc_end2999:
	.size	_ZN7rocprim17ROCPRIM_400000_NS6detail44device_merge_sort_compile_time_verifier_archINS1_11comp_targetILNS1_3genE10ELNS1_11target_archE1201ELNS1_3gpuE5ELNS1_3repE0EEES8_NS0_14default_configES9_NS1_37merge_sort_block_sort_config_selectorItNS0_10empty_typeEEENS1_38merge_sort_block_merge_config_selectorItSB_EEEEvv, .Lfunc_end2999-_ZN7rocprim17ROCPRIM_400000_NS6detail44device_merge_sort_compile_time_verifier_archINS1_11comp_targetILNS1_3genE10ELNS1_11target_archE1201ELNS1_3gpuE5ELNS1_3repE0EEES8_NS0_14default_configES9_NS1_37merge_sort_block_sort_config_selectorItNS0_10empty_typeEEENS1_38merge_sort_block_merge_config_selectorItSB_EEEEvv
                                        ; -- End function
	.section	.AMDGPU.csdata,"",@progbits
; Kernel info:
; codeLenInByte = 4
; NumSgprs: 4
; NumVgprs: 0
; NumAgprs: 0
; TotalNumVgprs: 0
; ScratchSize: 0
; MemoryBound: 0
; FloatMode: 240
; IeeeMode: 1
; LDSByteSize: 0 bytes/workgroup (compile time only)
; SGPRBlocks: 0
; VGPRBlocks: 0
; NumSGPRsForWavesPerEU: 4
; NumVGPRsForWavesPerEU: 1
; AccumOffset: 4
; Occupancy: 8
; WaveLimiterHint : 0
; COMPUTE_PGM_RSRC2:SCRATCH_EN: 0
; COMPUTE_PGM_RSRC2:USER_SGPR: 4
; COMPUTE_PGM_RSRC2:TRAP_HANDLER: 0
; COMPUTE_PGM_RSRC2:TGID_X_EN: 1
; COMPUTE_PGM_RSRC2:TGID_Y_EN: 0
; COMPUTE_PGM_RSRC2:TGID_Z_EN: 0
; COMPUTE_PGM_RSRC2:TIDIG_COMP_CNT: 0
; COMPUTE_PGM_RSRC3_GFX90A:ACCUM_OFFSET: 0
; COMPUTE_PGM_RSRC3_GFX90A:TG_SPLIT: 0
	.section	.text._ZN7rocprim17ROCPRIM_400000_NS6detail44device_merge_sort_compile_time_verifier_archINS1_11comp_targetILNS1_3genE10ELNS1_11target_archE1200ELNS1_3gpuE4ELNS1_3repE0EEENS3_ILS4_10ELS5_1201ELS6_5ELS7_0EEENS0_14default_configESA_NS1_37merge_sort_block_sort_config_selectorItNS0_10empty_typeEEENS1_38merge_sort_block_merge_config_selectorItSC_EEEEvv,"axG",@progbits,_ZN7rocprim17ROCPRIM_400000_NS6detail44device_merge_sort_compile_time_verifier_archINS1_11comp_targetILNS1_3genE10ELNS1_11target_archE1200ELNS1_3gpuE4ELNS1_3repE0EEENS3_ILS4_10ELS5_1201ELS6_5ELS7_0EEENS0_14default_configESA_NS1_37merge_sort_block_sort_config_selectorItNS0_10empty_typeEEENS1_38merge_sort_block_merge_config_selectorItSC_EEEEvv,comdat
	.protected	_ZN7rocprim17ROCPRIM_400000_NS6detail44device_merge_sort_compile_time_verifier_archINS1_11comp_targetILNS1_3genE10ELNS1_11target_archE1200ELNS1_3gpuE4ELNS1_3repE0EEENS3_ILS4_10ELS5_1201ELS6_5ELS7_0EEENS0_14default_configESA_NS1_37merge_sort_block_sort_config_selectorItNS0_10empty_typeEEENS1_38merge_sort_block_merge_config_selectorItSC_EEEEvv ; -- Begin function _ZN7rocprim17ROCPRIM_400000_NS6detail44device_merge_sort_compile_time_verifier_archINS1_11comp_targetILNS1_3genE10ELNS1_11target_archE1200ELNS1_3gpuE4ELNS1_3repE0EEENS3_ILS4_10ELS5_1201ELS6_5ELS7_0EEENS0_14default_configESA_NS1_37merge_sort_block_sort_config_selectorItNS0_10empty_typeEEENS1_38merge_sort_block_merge_config_selectorItSC_EEEEvv
	.globl	_ZN7rocprim17ROCPRIM_400000_NS6detail44device_merge_sort_compile_time_verifier_archINS1_11comp_targetILNS1_3genE10ELNS1_11target_archE1200ELNS1_3gpuE4ELNS1_3repE0EEENS3_ILS4_10ELS5_1201ELS6_5ELS7_0EEENS0_14default_configESA_NS1_37merge_sort_block_sort_config_selectorItNS0_10empty_typeEEENS1_38merge_sort_block_merge_config_selectorItSC_EEEEvv
	.p2align	8
	.type	_ZN7rocprim17ROCPRIM_400000_NS6detail44device_merge_sort_compile_time_verifier_archINS1_11comp_targetILNS1_3genE10ELNS1_11target_archE1200ELNS1_3gpuE4ELNS1_3repE0EEENS3_ILS4_10ELS5_1201ELS6_5ELS7_0EEENS0_14default_configESA_NS1_37merge_sort_block_sort_config_selectorItNS0_10empty_typeEEENS1_38merge_sort_block_merge_config_selectorItSC_EEEEvv,@function
_ZN7rocprim17ROCPRIM_400000_NS6detail44device_merge_sort_compile_time_verifier_archINS1_11comp_targetILNS1_3genE10ELNS1_11target_archE1200ELNS1_3gpuE4ELNS1_3repE0EEENS3_ILS4_10ELS5_1201ELS6_5ELS7_0EEENS0_14default_configESA_NS1_37merge_sort_block_sort_config_selectorItNS0_10empty_typeEEENS1_38merge_sort_block_merge_config_selectorItSC_EEEEvv: ; @_ZN7rocprim17ROCPRIM_400000_NS6detail44device_merge_sort_compile_time_verifier_archINS1_11comp_targetILNS1_3genE10ELNS1_11target_archE1200ELNS1_3gpuE4ELNS1_3repE0EEENS3_ILS4_10ELS5_1201ELS6_5ELS7_0EEENS0_14default_configESA_NS1_37merge_sort_block_sort_config_selectorItNS0_10empty_typeEEENS1_38merge_sort_block_merge_config_selectorItSC_EEEEvv
; %bb.0:
	s_endpgm
	.section	.rodata,"a",@progbits
	.p2align	6, 0x0
	.amdhsa_kernel _ZN7rocprim17ROCPRIM_400000_NS6detail44device_merge_sort_compile_time_verifier_archINS1_11comp_targetILNS1_3genE10ELNS1_11target_archE1200ELNS1_3gpuE4ELNS1_3repE0EEENS3_ILS4_10ELS5_1201ELS6_5ELS7_0EEENS0_14default_configESA_NS1_37merge_sort_block_sort_config_selectorItNS0_10empty_typeEEENS1_38merge_sort_block_merge_config_selectorItSC_EEEEvv
		.amdhsa_group_segment_fixed_size 0
		.amdhsa_private_segment_fixed_size 0
		.amdhsa_kernarg_size 0
		.amdhsa_user_sgpr_count 4
		.amdhsa_user_sgpr_private_segment_buffer 1
		.amdhsa_user_sgpr_dispatch_ptr 0
		.amdhsa_user_sgpr_queue_ptr 0
		.amdhsa_user_sgpr_kernarg_segment_ptr 0
		.amdhsa_user_sgpr_dispatch_id 0
		.amdhsa_user_sgpr_flat_scratch_init 0
		.amdhsa_user_sgpr_kernarg_preload_length 0
		.amdhsa_user_sgpr_kernarg_preload_offset 0
		.amdhsa_user_sgpr_private_segment_size 0
		.amdhsa_uses_dynamic_stack 0
		.amdhsa_system_sgpr_private_segment_wavefront_offset 0
		.amdhsa_system_sgpr_workgroup_id_x 1
		.amdhsa_system_sgpr_workgroup_id_y 0
		.amdhsa_system_sgpr_workgroup_id_z 0
		.amdhsa_system_sgpr_workgroup_info 0
		.amdhsa_system_vgpr_workitem_id 0
		.amdhsa_next_free_vgpr 1
		.amdhsa_next_free_sgpr 0
		.amdhsa_accum_offset 4
		.amdhsa_reserve_vcc 0
		.amdhsa_reserve_flat_scratch 0
		.amdhsa_float_round_mode_32 0
		.amdhsa_float_round_mode_16_64 0
		.amdhsa_float_denorm_mode_32 3
		.amdhsa_float_denorm_mode_16_64 3
		.amdhsa_dx10_clamp 1
		.amdhsa_ieee_mode 1
		.amdhsa_fp16_overflow 0
		.amdhsa_tg_split 0
		.amdhsa_exception_fp_ieee_invalid_op 0
		.amdhsa_exception_fp_denorm_src 0
		.amdhsa_exception_fp_ieee_div_zero 0
		.amdhsa_exception_fp_ieee_overflow 0
		.amdhsa_exception_fp_ieee_underflow 0
		.amdhsa_exception_fp_ieee_inexact 0
		.amdhsa_exception_int_div_zero 0
	.end_amdhsa_kernel
	.section	.text._ZN7rocprim17ROCPRIM_400000_NS6detail44device_merge_sort_compile_time_verifier_archINS1_11comp_targetILNS1_3genE10ELNS1_11target_archE1200ELNS1_3gpuE4ELNS1_3repE0EEENS3_ILS4_10ELS5_1201ELS6_5ELS7_0EEENS0_14default_configESA_NS1_37merge_sort_block_sort_config_selectorItNS0_10empty_typeEEENS1_38merge_sort_block_merge_config_selectorItSC_EEEEvv,"axG",@progbits,_ZN7rocprim17ROCPRIM_400000_NS6detail44device_merge_sort_compile_time_verifier_archINS1_11comp_targetILNS1_3genE10ELNS1_11target_archE1200ELNS1_3gpuE4ELNS1_3repE0EEENS3_ILS4_10ELS5_1201ELS6_5ELS7_0EEENS0_14default_configESA_NS1_37merge_sort_block_sort_config_selectorItNS0_10empty_typeEEENS1_38merge_sort_block_merge_config_selectorItSC_EEEEvv,comdat
.Lfunc_end3000:
	.size	_ZN7rocprim17ROCPRIM_400000_NS6detail44device_merge_sort_compile_time_verifier_archINS1_11comp_targetILNS1_3genE10ELNS1_11target_archE1200ELNS1_3gpuE4ELNS1_3repE0EEENS3_ILS4_10ELS5_1201ELS6_5ELS7_0EEENS0_14default_configESA_NS1_37merge_sort_block_sort_config_selectorItNS0_10empty_typeEEENS1_38merge_sort_block_merge_config_selectorItSC_EEEEvv, .Lfunc_end3000-_ZN7rocprim17ROCPRIM_400000_NS6detail44device_merge_sort_compile_time_verifier_archINS1_11comp_targetILNS1_3genE10ELNS1_11target_archE1200ELNS1_3gpuE4ELNS1_3repE0EEENS3_ILS4_10ELS5_1201ELS6_5ELS7_0EEENS0_14default_configESA_NS1_37merge_sort_block_sort_config_selectorItNS0_10empty_typeEEENS1_38merge_sort_block_merge_config_selectorItSC_EEEEvv
                                        ; -- End function
	.section	.AMDGPU.csdata,"",@progbits
; Kernel info:
; codeLenInByte = 4
; NumSgprs: 4
; NumVgprs: 0
; NumAgprs: 0
; TotalNumVgprs: 0
; ScratchSize: 0
; MemoryBound: 0
; FloatMode: 240
; IeeeMode: 1
; LDSByteSize: 0 bytes/workgroup (compile time only)
; SGPRBlocks: 0
; VGPRBlocks: 0
; NumSGPRsForWavesPerEU: 4
; NumVGPRsForWavesPerEU: 1
; AccumOffset: 4
; Occupancy: 8
; WaveLimiterHint : 0
; COMPUTE_PGM_RSRC2:SCRATCH_EN: 0
; COMPUTE_PGM_RSRC2:USER_SGPR: 4
; COMPUTE_PGM_RSRC2:TRAP_HANDLER: 0
; COMPUTE_PGM_RSRC2:TGID_X_EN: 1
; COMPUTE_PGM_RSRC2:TGID_Y_EN: 0
; COMPUTE_PGM_RSRC2:TGID_Z_EN: 0
; COMPUTE_PGM_RSRC2:TIDIG_COMP_CNT: 0
; COMPUTE_PGM_RSRC3_GFX90A:ACCUM_OFFSET: 0
; COMPUTE_PGM_RSRC3_GFX90A:TG_SPLIT: 0
	.section	.text._ZN7rocprim17ROCPRIM_400000_NS6detail44device_merge_sort_compile_time_verifier_archINS1_11comp_targetILNS1_3genE9ELNS1_11target_archE1100ELNS1_3gpuE3ELNS1_3repE0EEES8_NS0_14default_configES9_NS1_37merge_sort_block_sort_config_selectorItNS0_10empty_typeEEENS1_38merge_sort_block_merge_config_selectorItSB_EEEEvv,"axG",@progbits,_ZN7rocprim17ROCPRIM_400000_NS6detail44device_merge_sort_compile_time_verifier_archINS1_11comp_targetILNS1_3genE9ELNS1_11target_archE1100ELNS1_3gpuE3ELNS1_3repE0EEES8_NS0_14default_configES9_NS1_37merge_sort_block_sort_config_selectorItNS0_10empty_typeEEENS1_38merge_sort_block_merge_config_selectorItSB_EEEEvv,comdat
	.protected	_ZN7rocprim17ROCPRIM_400000_NS6detail44device_merge_sort_compile_time_verifier_archINS1_11comp_targetILNS1_3genE9ELNS1_11target_archE1100ELNS1_3gpuE3ELNS1_3repE0EEES8_NS0_14default_configES9_NS1_37merge_sort_block_sort_config_selectorItNS0_10empty_typeEEENS1_38merge_sort_block_merge_config_selectorItSB_EEEEvv ; -- Begin function _ZN7rocprim17ROCPRIM_400000_NS6detail44device_merge_sort_compile_time_verifier_archINS1_11comp_targetILNS1_3genE9ELNS1_11target_archE1100ELNS1_3gpuE3ELNS1_3repE0EEES8_NS0_14default_configES9_NS1_37merge_sort_block_sort_config_selectorItNS0_10empty_typeEEENS1_38merge_sort_block_merge_config_selectorItSB_EEEEvv
	.globl	_ZN7rocprim17ROCPRIM_400000_NS6detail44device_merge_sort_compile_time_verifier_archINS1_11comp_targetILNS1_3genE9ELNS1_11target_archE1100ELNS1_3gpuE3ELNS1_3repE0EEES8_NS0_14default_configES9_NS1_37merge_sort_block_sort_config_selectorItNS0_10empty_typeEEENS1_38merge_sort_block_merge_config_selectorItSB_EEEEvv
	.p2align	8
	.type	_ZN7rocprim17ROCPRIM_400000_NS6detail44device_merge_sort_compile_time_verifier_archINS1_11comp_targetILNS1_3genE9ELNS1_11target_archE1100ELNS1_3gpuE3ELNS1_3repE0EEES8_NS0_14default_configES9_NS1_37merge_sort_block_sort_config_selectorItNS0_10empty_typeEEENS1_38merge_sort_block_merge_config_selectorItSB_EEEEvv,@function
_ZN7rocprim17ROCPRIM_400000_NS6detail44device_merge_sort_compile_time_verifier_archINS1_11comp_targetILNS1_3genE9ELNS1_11target_archE1100ELNS1_3gpuE3ELNS1_3repE0EEES8_NS0_14default_configES9_NS1_37merge_sort_block_sort_config_selectorItNS0_10empty_typeEEENS1_38merge_sort_block_merge_config_selectorItSB_EEEEvv: ; @_ZN7rocprim17ROCPRIM_400000_NS6detail44device_merge_sort_compile_time_verifier_archINS1_11comp_targetILNS1_3genE9ELNS1_11target_archE1100ELNS1_3gpuE3ELNS1_3repE0EEES8_NS0_14default_configES9_NS1_37merge_sort_block_sort_config_selectorItNS0_10empty_typeEEENS1_38merge_sort_block_merge_config_selectorItSB_EEEEvv
; %bb.0:
	s_endpgm
	.section	.rodata,"a",@progbits
	.p2align	6, 0x0
	.amdhsa_kernel _ZN7rocprim17ROCPRIM_400000_NS6detail44device_merge_sort_compile_time_verifier_archINS1_11comp_targetILNS1_3genE9ELNS1_11target_archE1100ELNS1_3gpuE3ELNS1_3repE0EEES8_NS0_14default_configES9_NS1_37merge_sort_block_sort_config_selectorItNS0_10empty_typeEEENS1_38merge_sort_block_merge_config_selectorItSB_EEEEvv
		.amdhsa_group_segment_fixed_size 0
		.amdhsa_private_segment_fixed_size 0
		.amdhsa_kernarg_size 0
		.amdhsa_user_sgpr_count 4
		.amdhsa_user_sgpr_private_segment_buffer 1
		.amdhsa_user_sgpr_dispatch_ptr 0
		.amdhsa_user_sgpr_queue_ptr 0
		.amdhsa_user_sgpr_kernarg_segment_ptr 0
		.amdhsa_user_sgpr_dispatch_id 0
		.amdhsa_user_sgpr_flat_scratch_init 0
		.amdhsa_user_sgpr_kernarg_preload_length 0
		.amdhsa_user_sgpr_kernarg_preload_offset 0
		.amdhsa_user_sgpr_private_segment_size 0
		.amdhsa_uses_dynamic_stack 0
		.amdhsa_system_sgpr_private_segment_wavefront_offset 0
		.amdhsa_system_sgpr_workgroup_id_x 1
		.amdhsa_system_sgpr_workgroup_id_y 0
		.amdhsa_system_sgpr_workgroup_id_z 0
		.amdhsa_system_sgpr_workgroup_info 0
		.amdhsa_system_vgpr_workitem_id 0
		.amdhsa_next_free_vgpr 1
		.amdhsa_next_free_sgpr 0
		.amdhsa_accum_offset 4
		.amdhsa_reserve_vcc 0
		.amdhsa_reserve_flat_scratch 0
		.amdhsa_float_round_mode_32 0
		.amdhsa_float_round_mode_16_64 0
		.amdhsa_float_denorm_mode_32 3
		.amdhsa_float_denorm_mode_16_64 3
		.amdhsa_dx10_clamp 1
		.amdhsa_ieee_mode 1
		.amdhsa_fp16_overflow 0
		.amdhsa_tg_split 0
		.amdhsa_exception_fp_ieee_invalid_op 0
		.amdhsa_exception_fp_denorm_src 0
		.amdhsa_exception_fp_ieee_div_zero 0
		.amdhsa_exception_fp_ieee_overflow 0
		.amdhsa_exception_fp_ieee_underflow 0
		.amdhsa_exception_fp_ieee_inexact 0
		.amdhsa_exception_int_div_zero 0
	.end_amdhsa_kernel
	.section	.text._ZN7rocprim17ROCPRIM_400000_NS6detail44device_merge_sort_compile_time_verifier_archINS1_11comp_targetILNS1_3genE9ELNS1_11target_archE1100ELNS1_3gpuE3ELNS1_3repE0EEES8_NS0_14default_configES9_NS1_37merge_sort_block_sort_config_selectorItNS0_10empty_typeEEENS1_38merge_sort_block_merge_config_selectorItSB_EEEEvv,"axG",@progbits,_ZN7rocprim17ROCPRIM_400000_NS6detail44device_merge_sort_compile_time_verifier_archINS1_11comp_targetILNS1_3genE9ELNS1_11target_archE1100ELNS1_3gpuE3ELNS1_3repE0EEES8_NS0_14default_configES9_NS1_37merge_sort_block_sort_config_selectorItNS0_10empty_typeEEENS1_38merge_sort_block_merge_config_selectorItSB_EEEEvv,comdat
.Lfunc_end3001:
	.size	_ZN7rocprim17ROCPRIM_400000_NS6detail44device_merge_sort_compile_time_verifier_archINS1_11comp_targetILNS1_3genE9ELNS1_11target_archE1100ELNS1_3gpuE3ELNS1_3repE0EEES8_NS0_14default_configES9_NS1_37merge_sort_block_sort_config_selectorItNS0_10empty_typeEEENS1_38merge_sort_block_merge_config_selectorItSB_EEEEvv, .Lfunc_end3001-_ZN7rocprim17ROCPRIM_400000_NS6detail44device_merge_sort_compile_time_verifier_archINS1_11comp_targetILNS1_3genE9ELNS1_11target_archE1100ELNS1_3gpuE3ELNS1_3repE0EEES8_NS0_14default_configES9_NS1_37merge_sort_block_sort_config_selectorItNS0_10empty_typeEEENS1_38merge_sort_block_merge_config_selectorItSB_EEEEvv
                                        ; -- End function
	.section	.AMDGPU.csdata,"",@progbits
; Kernel info:
; codeLenInByte = 4
; NumSgprs: 4
; NumVgprs: 0
; NumAgprs: 0
; TotalNumVgprs: 0
; ScratchSize: 0
; MemoryBound: 0
; FloatMode: 240
; IeeeMode: 1
; LDSByteSize: 0 bytes/workgroup (compile time only)
; SGPRBlocks: 0
; VGPRBlocks: 0
; NumSGPRsForWavesPerEU: 4
; NumVGPRsForWavesPerEU: 1
; AccumOffset: 4
; Occupancy: 8
; WaveLimiterHint : 0
; COMPUTE_PGM_RSRC2:SCRATCH_EN: 0
; COMPUTE_PGM_RSRC2:USER_SGPR: 4
; COMPUTE_PGM_RSRC2:TRAP_HANDLER: 0
; COMPUTE_PGM_RSRC2:TGID_X_EN: 1
; COMPUTE_PGM_RSRC2:TGID_Y_EN: 0
; COMPUTE_PGM_RSRC2:TGID_Z_EN: 0
; COMPUTE_PGM_RSRC2:TIDIG_COMP_CNT: 0
; COMPUTE_PGM_RSRC3_GFX90A:ACCUM_OFFSET: 0
; COMPUTE_PGM_RSRC3_GFX90A:TG_SPLIT: 0
	.section	.text._ZN7rocprim17ROCPRIM_400000_NS6detail44device_merge_sort_compile_time_verifier_archINS1_11comp_targetILNS1_3genE8ELNS1_11target_archE1030ELNS1_3gpuE2ELNS1_3repE0EEES8_NS0_14default_configES9_NS1_37merge_sort_block_sort_config_selectorItNS0_10empty_typeEEENS1_38merge_sort_block_merge_config_selectorItSB_EEEEvv,"axG",@progbits,_ZN7rocprim17ROCPRIM_400000_NS6detail44device_merge_sort_compile_time_verifier_archINS1_11comp_targetILNS1_3genE8ELNS1_11target_archE1030ELNS1_3gpuE2ELNS1_3repE0EEES8_NS0_14default_configES9_NS1_37merge_sort_block_sort_config_selectorItNS0_10empty_typeEEENS1_38merge_sort_block_merge_config_selectorItSB_EEEEvv,comdat
	.protected	_ZN7rocprim17ROCPRIM_400000_NS6detail44device_merge_sort_compile_time_verifier_archINS1_11comp_targetILNS1_3genE8ELNS1_11target_archE1030ELNS1_3gpuE2ELNS1_3repE0EEES8_NS0_14default_configES9_NS1_37merge_sort_block_sort_config_selectorItNS0_10empty_typeEEENS1_38merge_sort_block_merge_config_selectorItSB_EEEEvv ; -- Begin function _ZN7rocprim17ROCPRIM_400000_NS6detail44device_merge_sort_compile_time_verifier_archINS1_11comp_targetILNS1_3genE8ELNS1_11target_archE1030ELNS1_3gpuE2ELNS1_3repE0EEES8_NS0_14default_configES9_NS1_37merge_sort_block_sort_config_selectorItNS0_10empty_typeEEENS1_38merge_sort_block_merge_config_selectorItSB_EEEEvv
	.globl	_ZN7rocprim17ROCPRIM_400000_NS6detail44device_merge_sort_compile_time_verifier_archINS1_11comp_targetILNS1_3genE8ELNS1_11target_archE1030ELNS1_3gpuE2ELNS1_3repE0EEES8_NS0_14default_configES9_NS1_37merge_sort_block_sort_config_selectorItNS0_10empty_typeEEENS1_38merge_sort_block_merge_config_selectorItSB_EEEEvv
	.p2align	8
	.type	_ZN7rocprim17ROCPRIM_400000_NS6detail44device_merge_sort_compile_time_verifier_archINS1_11comp_targetILNS1_3genE8ELNS1_11target_archE1030ELNS1_3gpuE2ELNS1_3repE0EEES8_NS0_14default_configES9_NS1_37merge_sort_block_sort_config_selectorItNS0_10empty_typeEEENS1_38merge_sort_block_merge_config_selectorItSB_EEEEvv,@function
_ZN7rocprim17ROCPRIM_400000_NS6detail44device_merge_sort_compile_time_verifier_archINS1_11comp_targetILNS1_3genE8ELNS1_11target_archE1030ELNS1_3gpuE2ELNS1_3repE0EEES8_NS0_14default_configES9_NS1_37merge_sort_block_sort_config_selectorItNS0_10empty_typeEEENS1_38merge_sort_block_merge_config_selectorItSB_EEEEvv: ; @_ZN7rocprim17ROCPRIM_400000_NS6detail44device_merge_sort_compile_time_verifier_archINS1_11comp_targetILNS1_3genE8ELNS1_11target_archE1030ELNS1_3gpuE2ELNS1_3repE0EEES8_NS0_14default_configES9_NS1_37merge_sort_block_sort_config_selectorItNS0_10empty_typeEEENS1_38merge_sort_block_merge_config_selectorItSB_EEEEvv
; %bb.0:
	s_endpgm
	.section	.rodata,"a",@progbits
	.p2align	6, 0x0
	.amdhsa_kernel _ZN7rocprim17ROCPRIM_400000_NS6detail44device_merge_sort_compile_time_verifier_archINS1_11comp_targetILNS1_3genE8ELNS1_11target_archE1030ELNS1_3gpuE2ELNS1_3repE0EEES8_NS0_14default_configES9_NS1_37merge_sort_block_sort_config_selectorItNS0_10empty_typeEEENS1_38merge_sort_block_merge_config_selectorItSB_EEEEvv
		.amdhsa_group_segment_fixed_size 0
		.amdhsa_private_segment_fixed_size 0
		.amdhsa_kernarg_size 0
		.amdhsa_user_sgpr_count 4
		.amdhsa_user_sgpr_private_segment_buffer 1
		.amdhsa_user_sgpr_dispatch_ptr 0
		.amdhsa_user_sgpr_queue_ptr 0
		.amdhsa_user_sgpr_kernarg_segment_ptr 0
		.amdhsa_user_sgpr_dispatch_id 0
		.amdhsa_user_sgpr_flat_scratch_init 0
		.amdhsa_user_sgpr_kernarg_preload_length 0
		.amdhsa_user_sgpr_kernarg_preload_offset 0
		.amdhsa_user_sgpr_private_segment_size 0
		.amdhsa_uses_dynamic_stack 0
		.amdhsa_system_sgpr_private_segment_wavefront_offset 0
		.amdhsa_system_sgpr_workgroup_id_x 1
		.amdhsa_system_sgpr_workgroup_id_y 0
		.amdhsa_system_sgpr_workgroup_id_z 0
		.amdhsa_system_sgpr_workgroup_info 0
		.amdhsa_system_vgpr_workitem_id 0
		.amdhsa_next_free_vgpr 1
		.amdhsa_next_free_sgpr 0
		.amdhsa_accum_offset 4
		.amdhsa_reserve_vcc 0
		.amdhsa_reserve_flat_scratch 0
		.amdhsa_float_round_mode_32 0
		.amdhsa_float_round_mode_16_64 0
		.amdhsa_float_denorm_mode_32 3
		.amdhsa_float_denorm_mode_16_64 3
		.amdhsa_dx10_clamp 1
		.amdhsa_ieee_mode 1
		.amdhsa_fp16_overflow 0
		.amdhsa_tg_split 0
		.amdhsa_exception_fp_ieee_invalid_op 0
		.amdhsa_exception_fp_denorm_src 0
		.amdhsa_exception_fp_ieee_div_zero 0
		.amdhsa_exception_fp_ieee_overflow 0
		.amdhsa_exception_fp_ieee_underflow 0
		.amdhsa_exception_fp_ieee_inexact 0
		.amdhsa_exception_int_div_zero 0
	.end_amdhsa_kernel
	.section	.text._ZN7rocprim17ROCPRIM_400000_NS6detail44device_merge_sort_compile_time_verifier_archINS1_11comp_targetILNS1_3genE8ELNS1_11target_archE1030ELNS1_3gpuE2ELNS1_3repE0EEES8_NS0_14default_configES9_NS1_37merge_sort_block_sort_config_selectorItNS0_10empty_typeEEENS1_38merge_sort_block_merge_config_selectorItSB_EEEEvv,"axG",@progbits,_ZN7rocprim17ROCPRIM_400000_NS6detail44device_merge_sort_compile_time_verifier_archINS1_11comp_targetILNS1_3genE8ELNS1_11target_archE1030ELNS1_3gpuE2ELNS1_3repE0EEES8_NS0_14default_configES9_NS1_37merge_sort_block_sort_config_selectorItNS0_10empty_typeEEENS1_38merge_sort_block_merge_config_selectorItSB_EEEEvv,comdat
.Lfunc_end3002:
	.size	_ZN7rocprim17ROCPRIM_400000_NS6detail44device_merge_sort_compile_time_verifier_archINS1_11comp_targetILNS1_3genE8ELNS1_11target_archE1030ELNS1_3gpuE2ELNS1_3repE0EEES8_NS0_14default_configES9_NS1_37merge_sort_block_sort_config_selectorItNS0_10empty_typeEEENS1_38merge_sort_block_merge_config_selectorItSB_EEEEvv, .Lfunc_end3002-_ZN7rocprim17ROCPRIM_400000_NS6detail44device_merge_sort_compile_time_verifier_archINS1_11comp_targetILNS1_3genE8ELNS1_11target_archE1030ELNS1_3gpuE2ELNS1_3repE0EEES8_NS0_14default_configES9_NS1_37merge_sort_block_sort_config_selectorItNS0_10empty_typeEEENS1_38merge_sort_block_merge_config_selectorItSB_EEEEvv
                                        ; -- End function
	.section	.AMDGPU.csdata,"",@progbits
; Kernel info:
; codeLenInByte = 4
; NumSgprs: 4
; NumVgprs: 0
; NumAgprs: 0
; TotalNumVgprs: 0
; ScratchSize: 0
; MemoryBound: 0
; FloatMode: 240
; IeeeMode: 1
; LDSByteSize: 0 bytes/workgroup (compile time only)
; SGPRBlocks: 0
; VGPRBlocks: 0
; NumSGPRsForWavesPerEU: 4
; NumVGPRsForWavesPerEU: 1
; AccumOffset: 4
; Occupancy: 8
; WaveLimiterHint : 0
; COMPUTE_PGM_RSRC2:SCRATCH_EN: 0
; COMPUTE_PGM_RSRC2:USER_SGPR: 4
; COMPUTE_PGM_RSRC2:TRAP_HANDLER: 0
; COMPUTE_PGM_RSRC2:TGID_X_EN: 1
; COMPUTE_PGM_RSRC2:TGID_Y_EN: 0
; COMPUTE_PGM_RSRC2:TGID_Z_EN: 0
; COMPUTE_PGM_RSRC2:TIDIG_COMP_CNT: 0
; COMPUTE_PGM_RSRC3_GFX90A:ACCUM_OFFSET: 0
; COMPUTE_PGM_RSRC3_GFX90A:TG_SPLIT: 0
	.section	.text._ZN7rocprim17ROCPRIM_400000_NS6detail17trampoline_kernelINS0_14default_configENS1_37merge_sort_block_sort_config_selectorItNS0_10empty_typeEEEZNS1_21merge_sort_block_sortIS3_N6thrust23THRUST_200600_302600_NS6detail15normal_iteratorINS9_10device_ptrItEEEESE_PS5_SF_14custom_greaterItEEE10hipError_tT0_T1_T2_T3_mRjT4_P12ihipStream_tbNS1_7vsmem_tEEUlT_E_NS1_11comp_targetILNS1_3genE0ELNS1_11target_archE4294967295ELNS1_3gpuE0ELNS1_3repE0EEENS1_30default_config_static_selectorELNS0_4arch9wavefront6targetE1EEEvSK_,"axG",@progbits,_ZN7rocprim17ROCPRIM_400000_NS6detail17trampoline_kernelINS0_14default_configENS1_37merge_sort_block_sort_config_selectorItNS0_10empty_typeEEEZNS1_21merge_sort_block_sortIS3_N6thrust23THRUST_200600_302600_NS6detail15normal_iteratorINS9_10device_ptrItEEEESE_PS5_SF_14custom_greaterItEEE10hipError_tT0_T1_T2_T3_mRjT4_P12ihipStream_tbNS1_7vsmem_tEEUlT_E_NS1_11comp_targetILNS1_3genE0ELNS1_11target_archE4294967295ELNS1_3gpuE0ELNS1_3repE0EEENS1_30default_config_static_selectorELNS0_4arch9wavefront6targetE1EEEvSK_,comdat
	.protected	_ZN7rocprim17ROCPRIM_400000_NS6detail17trampoline_kernelINS0_14default_configENS1_37merge_sort_block_sort_config_selectorItNS0_10empty_typeEEEZNS1_21merge_sort_block_sortIS3_N6thrust23THRUST_200600_302600_NS6detail15normal_iteratorINS9_10device_ptrItEEEESE_PS5_SF_14custom_greaterItEEE10hipError_tT0_T1_T2_T3_mRjT4_P12ihipStream_tbNS1_7vsmem_tEEUlT_E_NS1_11comp_targetILNS1_3genE0ELNS1_11target_archE4294967295ELNS1_3gpuE0ELNS1_3repE0EEENS1_30default_config_static_selectorELNS0_4arch9wavefront6targetE1EEEvSK_ ; -- Begin function _ZN7rocprim17ROCPRIM_400000_NS6detail17trampoline_kernelINS0_14default_configENS1_37merge_sort_block_sort_config_selectorItNS0_10empty_typeEEEZNS1_21merge_sort_block_sortIS3_N6thrust23THRUST_200600_302600_NS6detail15normal_iteratorINS9_10device_ptrItEEEESE_PS5_SF_14custom_greaterItEEE10hipError_tT0_T1_T2_T3_mRjT4_P12ihipStream_tbNS1_7vsmem_tEEUlT_E_NS1_11comp_targetILNS1_3genE0ELNS1_11target_archE4294967295ELNS1_3gpuE0ELNS1_3repE0EEENS1_30default_config_static_selectorELNS0_4arch9wavefront6targetE1EEEvSK_
	.globl	_ZN7rocprim17ROCPRIM_400000_NS6detail17trampoline_kernelINS0_14default_configENS1_37merge_sort_block_sort_config_selectorItNS0_10empty_typeEEEZNS1_21merge_sort_block_sortIS3_N6thrust23THRUST_200600_302600_NS6detail15normal_iteratorINS9_10device_ptrItEEEESE_PS5_SF_14custom_greaterItEEE10hipError_tT0_T1_T2_T3_mRjT4_P12ihipStream_tbNS1_7vsmem_tEEUlT_E_NS1_11comp_targetILNS1_3genE0ELNS1_11target_archE4294967295ELNS1_3gpuE0ELNS1_3repE0EEENS1_30default_config_static_selectorELNS0_4arch9wavefront6targetE1EEEvSK_
	.p2align	8
	.type	_ZN7rocprim17ROCPRIM_400000_NS6detail17trampoline_kernelINS0_14default_configENS1_37merge_sort_block_sort_config_selectorItNS0_10empty_typeEEEZNS1_21merge_sort_block_sortIS3_N6thrust23THRUST_200600_302600_NS6detail15normal_iteratorINS9_10device_ptrItEEEESE_PS5_SF_14custom_greaterItEEE10hipError_tT0_T1_T2_T3_mRjT4_P12ihipStream_tbNS1_7vsmem_tEEUlT_E_NS1_11comp_targetILNS1_3genE0ELNS1_11target_archE4294967295ELNS1_3gpuE0ELNS1_3repE0EEENS1_30default_config_static_selectorELNS0_4arch9wavefront6targetE1EEEvSK_,@function
_ZN7rocprim17ROCPRIM_400000_NS6detail17trampoline_kernelINS0_14default_configENS1_37merge_sort_block_sort_config_selectorItNS0_10empty_typeEEEZNS1_21merge_sort_block_sortIS3_N6thrust23THRUST_200600_302600_NS6detail15normal_iteratorINS9_10device_ptrItEEEESE_PS5_SF_14custom_greaterItEEE10hipError_tT0_T1_T2_T3_mRjT4_P12ihipStream_tbNS1_7vsmem_tEEUlT_E_NS1_11comp_targetILNS1_3genE0ELNS1_11target_archE4294967295ELNS1_3gpuE0ELNS1_3repE0EEENS1_30default_config_static_selectorELNS0_4arch9wavefront6targetE1EEEvSK_: ; @_ZN7rocprim17ROCPRIM_400000_NS6detail17trampoline_kernelINS0_14default_configENS1_37merge_sort_block_sort_config_selectorItNS0_10empty_typeEEEZNS1_21merge_sort_block_sortIS3_N6thrust23THRUST_200600_302600_NS6detail15normal_iteratorINS9_10device_ptrItEEEESE_PS5_SF_14custom_greaterItEEE10hipError_tT0_T1_T2_T3_mRjT4_P12ihipStream_tbNS1_7vsmem_tEEUlT_E_NS1_11comp_targetILNS1_3genE0ELNS1_11target_archE4294967295ELNS1_3gpuE0ELNS1_3repE0EEENS1_30default_config_static_selectorELNS0_4arch9wavefront6targetE1EEEvSK_
; %bb.0:
	.section	.rodata,"a",@progbits
	.p2align	6, 0x0
	.amdhsa_kernel _ZN7rocprim17ROCPRIM_400000_NS6detail17trampoline_kernelINS0_14default_configENS1_37merge_sort_block_sort_config_selectorItNS0_10empty_typeEEEZNS1_21merge_sort_block_sortIS3_N6thrust23THRUST_200600_302600_NS6detail15normal_iteratorINS9_10device_ptrItEEEESE_PS5_SF_14custom_greaterItEEE10hipError_tT0_T1_T2_T3_mRjT4_P12ihipStream_tbNS1_7vsmem_tEEUlT_E_NS1_11comp_targetILNS1_3genE0ELNS1_11target_archE4294967295ELNS1_3gpuE0ELNS1_3repE0EEENS1_30default_config_static_selectorELNS0_4arch9wavefront6targetE1EEEvSK_
		.amdhsa_group_segment_fixed_size 0
		.amdhsa_private_segment_fixed_size 0
		.amdhsa_kernarg_size 64
		.amdhsa_user_sgpr_count 6
		.amdhsa_user_sgpr_private_segment_buffer 1
		.amdhsa_user_sgpr_dispatch_ptr 0
		.amdhsa_user_sgpr_queue_ptr 0
		.amdhsa_user_sgpr_kernarg_segment_ptr 1
		.amdhsa_user_sgpr_dispatch_id 0
		.amdhsa_user_sgpr_flat_scratch_init 0
		.amdhsa_user_sgpr_kernarg_preload_length 0
		.amdhsa_user_sgpr_kernarg_preload_offset 0
		.amdhsa_user_sgpr_private_segment_size 0
		.amdhsa_uses_dynamic_stack 0
		.amdhsa_system_sgpr_private_segment_wavefront_offset 0
		.amdhsa_system_sgpr_workgroup_id_x 1
		.amdhsa_system_sgpr_workgroup_id_y 0
		.amdhsa_system_sgpr_workgroup_id_z 0
		.amdhsa_system_sgpr_workgroup_info 0
		.amdhsa_system_vgpr_workitem_id 0
		.amdhsa_next_free_vgpr 1
		.amdhsa_next_free_sgpr 0
		.amdhsa_accum_offset 4
		.amdhsa_reserve_vcc 0
		.amdhsa_reserve_flat_scratch 0
		.amdhsa_float_round_mode_32 0
		.amdhsa_float_round_mode_16_64 0
		.amdhsa_float_denorm_mode_32 3
		.amdhsa_float_denorm_mode_16_64 3
		.amdhsa_dx10_clamp 1
		.amdhsa_ieee_mode 1
		.amdhsa_fp16_overflow 0
		.amdhsa_tg_split 0
		.amdhsa_exception_fp_ieee_invalid_op 0
		.amdhsa_exception_fp_denorm_src 0
		.amdhsa_exception_fp_ieee_div_zero 0
		.amdhsa_exception_fp_ieee_overflow 0
		.amdhsa_exception_fp_ieee_underflow 0
		.amdhsa_exception_fp_ieee_inexact 0
		.amdhsa_exception_int_div_zero 0
	.end_amdhsa_kernel
	.section	.text._ZN7rocprim17ROCPRIM_400000_NS6detail17trampoline_kernelINS0_14default_configENS1_37merge_sort_block_sort_config_selectorItNS0_10empty_typeEEEZNS1_21merge_sort_block_sortIS3_N6thrust23THRUST_200600_302600_NS6detail15normal_iteratorINS9_10device_ptrItEEEESE_PS5_SF_14custom_greaterItEEE10hipError_tT0_T1_T2_T3_mRjT4_P12ihipStream_tbNS1_7vsmem_tEEUlT_E_NS1_11comp_targetILNS1_3genE0ELNS1_11target_archE4294967295ELNS1_3gpuE0ELNS1_3repE0EEENS1_30default_config_static_selectorELNS0_4arch9wavefront6targetE1EEEvSK_,"axG",@progbits,_ZN7rocprim17ROCPRIM_400000_NS6detail17trampoline_kernelINS0_14default_configENS1_37merge_sort_block_sort_config_selectorItNS0_10empty_typeEEEZNS1_21merge_sort_block_sortIS3_N6thrust23THRUST_200600_302600_NS6detail15normal_iteratorINS9_10device_ptrItEEEESE_PS5_SF_14custom_greaterItEEE10hipError_tT0_T1_T2_T3_mRjT4_P12ihipStream_tbNS1_7vsmem_tEEUlT_E_NS1_11comp_targetILNS1_3genE0ELNS1_11target_archE4294967295ELNS1_3gpuE0ELNS1_3repE0EEENS1_30default_config_static_selectorELNS0_4arch9wavefront6targetE1EEEvSK_,comdat
.Lfunc_end3003:
	.size	_ZN7rocprim17ROCPRIM_400000_NS6detail17trampoline_kernelINS0_14default_configENS1_37merge_sort_block_sort_config_selectorItNS0_10empty_typeEEEZNS1_21merge_sort_block_sortIS3_N6thrust23THRUST_200600_302600_NS6detail15normal_iteratorINS9_10device_ptrItEEEESE_PS5_SF_14custom_greaterItEEE10hipError_tT0_T1_T2_T3_mRjT4_P12ihipStream_tbNS1_7vsmem_tEEUlT_E_NS1_11comp_targetILNS1_3genE0ELNS1_11target_archE4294967295ELNS1_3gpuE0ELNS1_3repE0EEENS1_30default_config_static_selectorELNS0_4arch9wavefront6targetE1EEEvSK_, .Lfunc_end3003-_ZN7rocprim17ROCPRIM_400000_NS6detail17trampoline_kernelINS0_14default_configENS1_37merge_sort_block_sort_config_selectorItNS0_10empty_typeEEEZNS1_21merge_sort_block_sortIS3_N6thrust23THRUST_200600_302600_NS6detail15normal_iteratorINS9_10device_ptrItEEEESE_PS5_SF_14custom_greaterItEEE10hipError_tT0_T1_T2_T3_mRjT4_P12ihipStream_tbNS1_7vsmem_tEEUlT_E_NS1_11comp_targetILNS1_3genE0ELNS1_11target_archE4294967295ELNS1_3gpuE0ELNS1_3repE0EEENS1_30default_config_static_selectorELNS0_4arch9wavefront6targetE1EEEvSK_
                                        ; -- End function
	.section	.AMDGPU.csdata,"",@progbits
; Kernel info:
; codeLenInByte = 0
; NumSgprs: 4
; NumVgprs: 0
; NumAgprs: 0
; TotalNumVgprs: 0
; ScratchSize: 0
; MemoryBound: 0
; FloatMode: 240
; IeeeMode: 1
; LDSByteSize: 0 bytes/workgroup (compile time only)
; SGPRBlocks: 0
; VGPRBlocks: 0
; NumSGPRsForWavesPerEU: 4
; NumVGPRsForWavesPerEU: 1
; AccumOffset: 4
; Occupancy: 8
; WaveLimiterHint : 0
; COMPUTE_PGM_RSRC2:SCRATCH_EN: 0
; COMPUTE_PGM_RSRC2:USER_SGPR: 6
; COMPUTE_PGM_RSRC2:TRAP_HANDLER: 0
; COMPUTE_PGM_RSRC2:TGID_X_EN: 1
; COMPUTE_PGM_RSRC2:TGID_Y_EN: 0
; COMPUTE_PGM_RSRC2:TGID_Z_EN: 0
; COMPUTE_PGM_RSRC2:TIDIG_COMP_CNT: 0
; COMPUTE_PGM_RSRC3_GFX90A:ACCUM_OFFSET: 0
; COMPUTE_PGM_RSRC3_GFX90A:TG_SPLIT: 0
	.section	.text._ZN7rocprim17ROCPRIM_400000_NS6detail17trampoline_kernelINS0_14default_configENS1_37merge_sort_block_sort_config_selectorItNS0_10empty_typeEEEZNS1_21merge_sort_block_sortIS3_N6thrust23THRUST_200600_302600_NS6detail15normal_iteratorINS9_10device_ptrItEEEESE_PS5_SF_14custom_greaterItEEE10hipError_tT0_T1_T2_T3_mRjT4_P12ihipStream_tbNS1_7vsmem_tEEUlT_E_NS1_11comp_targetILNS1_3genE5ELNS1_11target_archE942ELNS1_3gpuE9ELNS1_3repE0EEENS1_30default_config_static_selectorELNS0_4arch9wavefront6targetE1EEEvSK_,"axG",@progbits,_ZN7rocprim17ROCPRIM_400000_NS6detail17trampoline_kernelINS0_14default_configENS1_37merge_sort_block_sort_config_selectorItNS0_10empty_typeEEEZNS1_21merge_sort_block_sortIS3_N6thrust23THRUST_200600_302600_NS6detail15normal_iteratorINS9_10device_ptrItEEEESE_PS5_SF_14custom_greaterItEEE10hipError_tT0_T1_T2_T3_mRjT4_P12ihipStream_tbNS1_7vsmem_tEEUlT_E_NS1_11comp_targetILNS1_3genE5ELNS1_11target_archE942ELNS1_3gpuE9ELNS1_3repE0EEENS1_30default_config_static_selectorELNS0_4arch9wavefront6targetE1EEEvSK_,comdat
	.protected	_ZN7rocprim17ROCPRIM_400000_NS6detail17trampoline_kernelINS0_14default_configENS1_37merge_sort_block_sort_config_selectorItNS0_10empty_typeEEEZNS1_21merge_sort_block_sortIS3_N6thrust23THRUST_200600_302600_NS6detail15normal_iteratorINS9_10device_ptrItEEEESE_PS5_SF_14custom_greaterItEEE10hipError_tT0_T1_T2_T3_mRjT4_P12ihipStream_tbNS1_7vsmem_tEEUlT_E_NS1_11comp_targetILNS1_3genE5ELNS1_11target_archE942ELNS1_3gpuE9ELNS1_3repE0EEENS1_30default_config_static_selectorELNS0_4arch9wavefront6targetE1EEEvSK_ ; -- Begin function _ZN7rocprim17ROCPRIM_400000_NS6detail17trampoline_kernelINS0_14default_configENS1_37merge_sort_block_sort_config_selectorItNS0_10empty_typeEEEZNS1_21merge_sort_block_sortIS3_N6thrust23THRUST_200600_302600_NS6detail15normal_iteratorINS9_10device_ptrItEEEESE_PS5_SF_14custom_greaterItEEE10hipError_tT0_T1_T2_T3_mRjT4_P12ihipStream_tbNS1_7vsmem_tEEUlT_E_NS1_11comp_targetILNS1_3genE5ELNS1_11target_archE942ELNS1_3gpuE9ELNS1_3repE0EEENS1_30default_config_static_selectorELNS0_4arch9wavefront6targetE1EEEvSK_
	.globl	_ZN7rocprim17ROCPRIM_400000_NS6detail17trampoline_kernelINS0_14default_configENS1_37merge_sort_block_sort_config_selectorItNS0_10empty_typeEEEZNS1_21merge_sort_block_sortIS3_N6thrust23THRUST_200600_302600_NS6detail15normal_iteratorINS9_10device_ptrItEEEESE_PS5_SF_14custom_greaterItEEE10hipError_tT0_T1_T2_T3_mRjT4_P12ihipStream_tbNS1_7vsmem_tEEUlT_E_NS1_11comp_targetILNS1_3genE5ELNS1_11target_archE942ELNS1_3gpuE9ELNS1_3repE0EEENS1_30default_config_static_selectorELNS0_4arch9wavefront6targetE1EEEvSK_
	.p2align	8
	.type	_ZN7rocprim17ROCPRIM_400000_NS6detail17trampoline_kernelINS0_14default_configENS1_37merge_sort_block_sort_config_selectorItNS0_10empty_typeEEEZNS1_21merge_sort_block_sortIS3_N6thrust23THRUST_200600_302600_NS6detail15normal_iteratorINS9_10device_ptrItEEEESE_PS5_SF_14custom_greaterItEEE10hipError_tT0_T1_T2_T3_mRjT4_P12ihipStream_tbNS1_7vsmem_tEEUlT_E_NS1_11comp_targetILNS1_3genE5ELNS1_11target_archE942ELNS1_3gpuE9ELNS1_3repE0EEENS1_30default_config_static_selectorELNS0_4arch9wavefront6targetE1EEEvSK_,@function
_ZN7rocprim17ROCPRIM_400000_NS6detail17trampoline_kernelINS0_14default_configENS1_37merge_sort_block_sort_config_selectorItNS0_10empty_typeEEEZNS1_21merge_sort_block_sortIS3_N6thrust23THRUST_200600_302600_NS6detail15normal_iteratorINS9_10device_ptrItEEEESE_PS5_SF_14custom_greaterItEEE10hipError_tT0_T1_T2_T3_mRjT4_P12ihipStream_tbNS1_7vsmem_tEEUlT_E_NS1_11comp_targetILNS1_3genE5ELNS1_11target_archE942ELNS1_3gpuE9ELNS1_3repE0EEENS1_30default_config_static_selectorELNS0_4arch9wavefront6targetE1EEEvSK_: ; @_ZN7rocprim17ROCPRIM_400000_NS6detail17trampoline_kernelINS0_14default_configENS1_37merge_sort_block_sort_config_selectorItNS0_10empty_typeEEEZNS1_21merge_sort_block_sortIS3_N6thrust23THRUST_200600_302600_NS6detail15normal_iteratorINS9_10device_ptrItEEEESE_PS5_SF_14custom_greaterItEEE10hipError_tT0_T1_T2_T3_mRjT4_P12ihipStream_tbNS1_7vsmem_tEEUlT_E_NS1_11comp_targetILNS1_3genE5ELNS1_11target_archE942ELNS1_3gpuE9ELNS1_3repE0EEENS1_30default_config_static_selectorELNS0_4arch9wavefront6targetE1EEEvSK_
; %bb.0:
	.section	.rodata,"a",@progbits
	.p2align	6, 0x0
	.amdhsa_kernel _ZN7rocprim17ROCPRIM_400000_NS6detail17trampoline_kernelINS0_14default_configENS1_37merge_sort_block_sort_config_selectorItNS0_10empty_typeEEEZNS1_21merge_sort_block_sortIS3_N6thrust23THRUST_200600_302600_NS6detail15normal_iteratorINS9_10device_ptrItEEEESE_PS5_SF_14custom_greaterItEEE10hipError_tT0_T1_T2_T3_mRjT4_P12ihipStream_tbNS1_7vsmem_tEEUlT_E_NS1_11comp_targetILNS1_3genE5ELNS1_11target_archE942ELNS1_3gpuE9ELNS1_3repE0EEENS1_30default_config_static_selectorELNS0_4arch9wavefront6targetE1EEEvSK_
		.amdhsa_group_segment_fixed_size 0
		.amdhsa_private_segment_fixed_size 0
		.amdhsa_kernarg_size 64
		.amdhsa_user_sgpr_count 6
		.amdhsa_user_sgpr_private_segment_buffer 1
		.amdhsa_user_sgpr_dispatch_ptr 0
		.amdhsa_user_sgpr_queue_ptr 0
		.amdhsa_user_sgpr_kernarg_segment_ptr 1
		.amdhsa_user_sgpr_dispatch_id 0
		.amdhsa_user_sgpr_flat_scratch_init 0
		.amdhsa_user_sgpr_kernarg_preload_length 0
		.amdhsa_user_sgpr_kernarg_preload_offset 0
		.amdhsa_user_sgpr_private_segment_size 0
		.amdhsa_uses_dynamic_stack 0
		.amdhsa_system_sgpr_private_segment_wavefront_offset 0
		.amdhsa_system_sgpr_workgroup_id_x 1
		.amdhsa_system_sgpr_workgroup_id_y 0
		.amdhsa_system_sgpr_workgroup_id_z 0
		.amdhsa_system_sgpr_workgroup_info 0
		.amdhsa_system_vgpr_workitem_id 0
		.amdhsa_next_free_vgpr 1
		.amdhsa_next_free_sgpr 0
		.amdhsa_accum_offset 4
		.amdhsa_reserve_vcc 0
		.amdhsa_reserve_flat_scratch 0
		.amdhsa_float_round_mode_32 0
		.amdhsa_float_round_mode_16_64 0
		.amdhsa_float_denorm_mode_32 3
		.amdhsa_float_denorm_mode_16_64 3
		.amdhsa_dx10_clamp 1
		.amdhsa_ieee_mode 1
		.amdhsa_fp16_overflow 0
		.amdhsa_tg_split 0
		.amdhsa_exception_fp_ieee_invalid_op 0
		.amdhsa_exception_fp_denorm_src 0
		.amdhsa_exception_fp_ieee_div_zero 0
		.amdhsa_exception_fp_ieee_overflow 0
		.amdhsa_exception_fp_ieee_underflow 0
		.amdhsa_exception_fp_ieee_inexact 0
		.amdhsa_exception_int_div_zero 0
	.end_amdhsa_kernel
	.section	.text._ZN7rocprim17ROCPRIM_400000_NS6detail17trampoline_kernelINS0_14default_configENS1_37merge_sort_block_sort_config_selectorItNS0_10empty_typeEEEZNS1_21merge_sort_block_sortIS3_N6thrust23THRUST_200600_302600_NS6detail15normal_iteratorINS9_10device_ptrItEEEESE_PS5_SF_14custom_greaterItEEE10hipError_tT0_T1_T2_T3_mRjT4_P12ihipStream_tbNS1_7vsmem_tEEUlT_E_NS1_11comp_targetILNS1_3genE5ELNS1_11target_archE942ELNS1_3gpuE9ELNS1_3repE0EEENS1_30default_config_static_selectorELNS0_4arch9wavefront6targetE1EEEvSK_,"axG",@progbits,_ZN7rocprim17ROCPRIM_400000_NS6detail17trampoline_kernelINS0_14default_configENS1_37merge_sort_block_sort_config_selectorItNS0_10empty_typeEEEZNS1_21merge_sort_block_sortIS3_N6thrust23THRUST_200600_302600_NS6detail15normal_iteratorINS9_10device_ptrItEEEESE_PS5_SF_14custom_greaterItEEE10hipError_tT0_T1_T2_T3_mRjT4_P12ihipStream_tbNS1_7vsmem_tEEUlT_E_NS1_11comp_targetILNS1_3genE5ELNS1_11target_archE942ELNS1_3gpuE9ELNS1_3repE0EEENS1_30default_config_static_selectorELNS0_4arch9wavefront6targetE1EEEvSK_,comdat
.Lfunc_end3004:
	.size	_ZN7rocprim17ROCPRIM_400000_NS6detail17trampoline_kernelINS0_14default_configENS1_37merge_sort_block_sort_config_selectorItNS0_10empty_typeEEEZNS1_21merge_sort_block_sortIS3_N6thrust23THRUST_200600_302600_NS6detail15normal_iteratorINS9_10device_ptrItEEEESE_PS5_SF_14custom_greaterItEEE10hipError_tT0_T1_T2_T3_mRjT4_P12ihipStream_tbNS1_7vsmem_tEEUlT_E_NS1_11comp_targetILNS1_3genE5ELNS1_11target_archE942ELNS1_3gpuE9ELNS1_3repE0EEENS1_30default_config_static_selectorELNS0_4arch9wavefront6targetE1EEEvSK_, .Lfunc_end3004-_ZN7rocprim17ROCPRIM_400000_NS6detail17trampoline_kernelINS0_14default_configENS1_37merge_sort_block_sort_config_selectorItNS0_10empty_typeEEEZNS1_21merge_sort_block_sortIS3_N6thrust23THRUST_200600_302600_NS6detail15normal_iteratorINS9_10device_ptrItEEEESE_PS5_SF_14custom_greaterItEEE10hipError_tT0_T1_T2_T3_mRjT4_P12ihipStream_tbNS1_7vsmem_tEEUlT_E_NS1_11comp_targetILNS1_3genE5ELNS1_11target_archE942ELNS1_3gpuE9ELNS1_3repE0EEENS1_30default_config_static_selectorELNS0_4arch9wavefront6targetE1EEEvSK_
                                        ; -- End function
	.section	.AMDGPU.csdata,"",@progbits
; Kernel info:
; codeLenInByte = 0
; NumSgprs: 4
; NumVgprs: 0
; NumAgprs: 0
; TotalNumVgprs: 0
; ScratchSize: 0
; MemoryBound: 0
; FloatMode: 240
; IeeeMode: 1
; LDSByteSize: 0 bytes/workgroup (compile time only)
; SGPRBlocks: 0
; VGPRBlocks: 0
; NumSGPRsForWavesPerEU: 4
; NumVGPRsForWavesPerEU: 1
; AccumOffset: 4
; Occupancy: 8
; WaveLimiterHint : 0
; COMPUTE_PGM_RSRC2:SCRATCH_EN: 0
; COMPUTE_PGM_RSRC2:USER_SGPR: 6
; COMPUTE_PGM_RSRC2:TRAP_HANDLER: 0
; COMPUTE_PGM_RSRC2:TGID_X_EN: 1
; COMPUTE_PGM_RSRC2:TGID_Y_EN: 0
; COMPUTE_PGM_RSRC2:TGID_Z_EN: 0
; COMPUTE_PGM_RSRC2:TIDIG_COMP_CNT: 0
; COMPUTE_PGM_RSRC3_GFX90A:ACCUM_OFFSET: 0
; COMPUTE_PGM_RSRC3_GFX90A:TG_SPLIT: 0
	.text
	.p2align	2                               ; -- Begin function _ZN7rocprim17ROCPRIM_400000_NS6detail15block_sort_implItNS0_10empty_typeELj256ELj16ELNS0_4arch9wavefront6targetE1EvE4sortIN6thrust23THRUST_200600_302600_NS6detail15normal_iteratorINSA_10device_ptrItEEEESF_PS3_SG_14custom_greaterItEEEvjbT_T0_T1_T2_T3_RNS7_12storage_typeE
	.type	_ZN7rocprim17ROCPRIM_400000_NS6detail15block_sort_implItNS0_10empty_typeELj256ELj16ELNS0_4arch9wavefront6targetE1EvE4sortIN6thrust23THRUST_200600_302600_NS6detail15normal_iteratorINSA_10device_ptrItEEEESF_PS3_SG_14custom_greaterItEEEvjbT_T0_T1_T2_T3_RNS7_12storage_typeE,@function
_ZN7rocprim17ROCPRIM_400000_NS6detail15block_sort_implItNS0_10empty_typeELj256ELj16ELNS0_4arch9wavefront6targetE1EvE4sortIN6thrust23THRUST_200600_302600_NS6detail15normal_iteratorINSA_10device_ptrItEEEESF_PS3_SG_14custom_greaterItEEEvjbT_T0_T1_T2_T3_RNS7_12storage_typeE: ; @_ZN7rocprim17ROCPRIM_400000_NS6detail15block_sort_implItNS0_10empty_typeELj256ELj16ELNS0_4arch9wavefront6targetE1EvE4sortIN6thrust23THRUST_200600_302600_NS6detail15normal_iteratorINSA_10device_ptrItEEEESF_PS3_SG_14custom_greaterItEEEvjbT_T0_T1_T2_T3_RNS7_12storage_typeE
; %bb.0:
	s_waitcnt vmcnt(0) expcnt(0) lgkmcnt(0)
	s_or_saveexec_b64 s[4:5], -1
	buffer_store_dword v40, off, s[0:3], s32 ; 4-byte Folded Spill
	s_mov_b64 exec, s[4:5]
	v_writelane_b32 v40, s34, 0
	v_writelane_b32 v40, s35, 1
	;; [unrolled: 1-line block ×44, first 2 shown]
	v_and_b32_e32 v1, 1, v1
	v_cmp_eq_u32_e32 vcc, 1, v1
	v_and_b32_e32 v14, 0x3ff, v31
	s_xor_b64 s[4:5], vcc, -1
	s_mov_b64 s[68:69], 0
	v_bfe_u32 v32, v31, 10, 10
	v_bfe_u32 v31, v31, 20, 10
	v_lshlrev_b32_e32 v16, 1, v14
	v_lshrrev_b32_e32 v1, 4, v14
	v_lshlrev_b32_e32 v17, 4, v14
	v_lshrrev_b32_e32 v30, 1, v14
                                        ; implicit-def: $vgpr6
	s_and_saveexec_b64 s[6:7], s[4:5]
	s_xor_b64 s[36:37], exec, s[6:7]
	s_cbranch_execnz .LBB3005_5
; %bb.1:
	s_andn2_saveexec_b64 s[70:71], s[36:37]
	s_cbranch_execnz .LBB3005_88
.LBB3005_2:
	s_or_b64 exec, exec, s[70:71]
	s_and_saveexec_b64 s[4:5], s[68:69]
	s_cbranch_execz .LBB3005_4
.LBB3005_3:
	v_lshlrev_b64 v[0:1], 1, v[14:15]
	v_add_co_u32_e32 v0, vcc, v4, v0
	v_addc_co_u32_e32 v1, vcc, v5, v1, vcc
	v_add_co_u32_e32 v0, vcc, 0x1000, v0
	v_addc_co_u32_e32 v1, vcc, 0, v1, vcc
	s_waitcnt lgkmcnt(0)
	flat_store_short v[0:1], v6 offset:3584
.LBB3005_4:
	s_or_b64 exec, exec, s[4:5]
	v_readlane_b32 s30, v40, 42
	v_readlane_b32 s31, v40, 43
	;; [unrolled: 1-line block ×44, first 2 shown]
	s_or_saveexec_b64 s[4:5], -1
	buffer_load_dword v40, off, s[0:3], s32 ; 4-byte Folded Reload
	s_mov_b64 exec, s[4:5]
	s_waitcnt vmcnt(0) lgkmcnt(0)
	s_setpc_b64 s[30:31]
.LBB3005_5:
	v_add_co_u32_e32 v2, vcc, v2, v16
	v_addc_co_u32_e32 v3, vcc, 0, v3, vcc
	flat_load_ushort v0, v[2:3]
	flat_load_ushort v6, v[2:3] offset:512
	flat_load_ushort v7, v[2:3] offset:1024
	;; [unrolled: 1-line block ×7, first 2 shown]
	v_add_co_u32_e32 v2, vcc, 0x1000, v2
	v_addc_co_u32_e32 v3, vcc, 0, v3, vcc
	flat_load_ushort v28, v[2:3]
	flat_load_ushort v29, v[2:3] offset:512
	flat_load_ushort v33, v[2:3] offset:1024
	;; [unrolled: 1-line block ×7, first 2 shown]
	v_and_b32_e32 v1, 60, v1
	v_add_u32_e32 v2, 0x100, v14
	v_add_u32_e32 v3, 0x200, v14
	;; [unrolled: 1-line block ×3, first 2 shown]
	v_or_b32_e32 v12, 0x400, v14
	v_add_u32_e32 v13, 0x500, v14
	v_add_u32_e32 v18, 0x600, v14
	;; [unrolled: 1-line block ×3, first 2 shown]
	v_or_b32_e32 v20, 0x800, v14
	v_add_u32_e32 v21, 0x900, v14
	v_add_u32_e32 v22, 0xa00, v14
	v_add_u32_e32 v23, 0xb00, v14
	v_add_u32_e32 v10, v1, v16
	v_lshrrev_b32_e32 v1, 4, v2
	v_lshrrev_b32_e32 v2, 4, v3
	;; [unrolled: 1-line block ×11, first 2 shown]
	v_or_b32_e32 v39, 0xc00, v14
	v_and_b32_e32 v1, 0x7c, v1
	v_and_b32_e32 v2, 0x7c, v2
	;; [unrolled: 1-line block ×11, first 2 shown]
	v_add_u32_e32 v11, v1, v16
	v_add_u32_e32 v12, v2, v16
	;; [unrolled: 1-line block ×11, first 2 shown]
	v_and_b32_e32 v30, 0x1fe, v30
	v_add_lshl_u32 v2, v30, v17, 1
	s_waitcnt vmcnt(0) lgkmcnt(0)
	ds_write_b16 v10, v0
	ds_write_b16 v11, v6 offset:512
	ds_write_b16 v12, v7 offset:1024
	;; [unrolled: 1-line block ×11, first 2 shown]
	v_lshrrev_b32_e32 v0, 4, v39
	v_and_b32_e32 v0, 0xfc, v0
	v_add_u32_e32 v26, v0, v16
	v_add_u32_e32 v0, 0xd00, v14
	v_lshrrev_b32_e32 v0, 4, v0
	v_and_b32_e32 v0, 0x1fc, v0
	v_add_u32_e32 v27, v0, v16
	v_add_u32_e32 v0, 0xe00, v14
	;; [unrolled: 4-line block ×3, first 2 shown]
	v_lshrrev_b32_e32 v0, 4, v0
	v_and_b32_e32 v0, 0x1fc, v0
	v_add_u32_e32 v29, v0, v16
	ds_write_b16 v26, v35 offset:6144
	ds_write_b16 v27, v36 offset:6656
	;; [unrolled: 1-line block ×4, first 2 shown]
	s_waitcnt lgkmcnt(0)
	s_barrier
	ds_read2_b32 v[6:7], v2 offset1:1
	ds_read2_b32 v[8:9], v2 offset0:2 offset1:3
	ds_read2_b32 v[0:1], v2 offset0:4 offset1:5
	ds_read2_b32 v[2:3], v2 offset0:6 offset1:7
	s_waitcnt lgkmcnt(0)
	s_barrier
	s_load_dwordx2 s[4:5], s[8:9], 0x0
	v_mov_b32_e32 v15, 0
	s_waitcnt lgkmcnt(0)
	s_cmp_lt_u32 s12, s4
	s_cselect_b32 s6, 12, 18
	s_cmp_lt_u32 s13, s5
	s_cselect_b32 s4, 14, 20
	s_add_u32 s4, s8, s4
	s_addc_u32 s5, s9, 0
	s_add_u32 s6, s8, s6
	s_addc_u32 s7, s9, 0
	global_load_ushort v33, v15, s[4:5]
	global_load_ushort v34, v15, s[6:7]
	s_movk_i32 s6, 0x1000
	s_waitcnt vmcnt(1)
	v_mad_u32_u24 v31, v31, v33, v32
	s_waitcnt vmcnt(0)
	v_mul_lo_u32 v31, v31, v34
	v_add_lshl_u32 v31, v31, v14, 4
	v_cmp_gt_u32_e32 vcc, s6, v31
	v_mov_b32_e32 v32, v6
	s_and_saveexec_b64 s[4:5], vcc
	s_cbranch_execz .LBB3005_7
; %bb.6:
	v_alignbit_b32 v32, v6, v6, 16
	v_cmp_gt_u16_sdwa vcc, v6, v6 src0_sel:DWORD src1_sel:WORD_1
	v_cndmask_b32_e32 v32, v6, v32, vcc
	v_alignbit_b32 v34, v7, v7, 16
	v_cmp_gt_u16_sdwa vcc, v7, v7 src0_sel:DWORD src1_sel:WORD_1
	v_cndmask_b32_e32 v34, v7, v34, vcc
	;; [unrolled: 3-line block ×6, first 2 shown]
	v_alignbit_b32 v52, v2, v2, 16
	v_cmp_gt_u16_sdwa vcc, v2, v2 src0_sel:DWORD src1_sel:WORD_1
	v_min_u16_sdwa v33, v6, v6 dst_sel:DWORD dst_unused:UNUSED_PAD src0_sel:DWORD src1_sel:WORD_1
	v_max_u16_sdwa v6, v6, v6 dst_sel:DWORD dst_unused:UNUSED_PAD src0_sel:DWORD src1_sel:WORD_1
	v_max_u16_sdwa v35, v7, v7 dst_sel:DWORD dst_unused:UNUSED_PAD src0_sel:DWORD src1_sel:WORD_1
	v_min_u16_sdwa v7, v7, v7 dst_sel:DWORD dst_unused:UNUSED_PAD src0_sel:DWORD src1_sel:WORD_1
	v_cndmask_b32_e32 v52, v2, v52, vcc
	v_alignbit_b32 v54, v3, v3, 16
	v_cmp_gt_u16_sdwa vcc, v3, v3 src0_sel:DWORD src1_sel:WORD_1
	s_mov_b32 s7, 0x5040100
	s_mov_b32 s10, 0xffff
	v_max_u16_sdwa v37, v8, v8 dst_sel:DWORD dst_unused:UNUSED_PAD src0_sel:DWORD src1_sel:WORD_1
	v_min_u16_sdwa v8, v8, v8 dst_sel:DWORD dst_unused:UNUSED_PAD src0_sel:DWORD src1_sel:WORD_1
	v_cndmask_b32_e32 v54, v3, v54, vcc
	v_perm_b32 v64, v7, v32, s7
	v_bfi_b32 v65, s10, v6, v34
	v_cmp_gt_u16_e32 vcc, v6, v7
	v_cndmask_b32_e32 v32, v32, v64, vcc
	v_cndmask_b32_e32 v34, v34, v65, vcc
	v_bfi_b32 v66, s10, v35, v36
	v_cmp_gt_u16_e32 vcc, v35, v8
	v_max_u16_sdwa v39, v9, v9 dst_sel:DWORD dst_unused:UNUSED_PAD src0_sel:DWORD src1_sel:WORD_1
	v_min_u16_sdwa v9, v9, v9 dst_sel:DWORD dst_unused:UNUSED_PAD src0_sel:DWORD src1_sel:WORD_1
	v_perm_b32 v65, v8, v34, s7
	v_cndmask_b32_e32 v36, v36, v66, vcc
	v_cndmask_b32_e32 v34, v34, v65, vcc
	v_max_u16_e32 v65, v35, v8
	v_min_u16_e32 v8, v35, v8
	v_perm_b32 v35, v9, v36, s7
	v_bfi_b32 v66, s10, v37, v38
	v_cmp_gt_u16_e32 vcc, v37, v9
	v_max_u16_sdwa v49, v0, v0 dst_sel:DWORD dst_unused:UNUSED_PAD src0_sel:DWORD src1_sel:WORD_1
	v_min_u16_sdwa v0, v0, v0 dst_sel:DWORD dst_unused:UNUSED_PAD src0_sel:DWORD src1_sel:WORD_1
	v_cndmask_b32_e32 v35, v36, v35, vcc
	v_cndmask_b32_e32 v36, v38, v66, vcc
	v_max_u16_e32 v38, v37, v9
	v_min_u16_e32 v9, v37, v9
	v_perm_b32 v37, v0, v36, s7
	v_bfi_b32 v66, s10, v39, v48
	v_cmp_gt_u16_e32 vcc, v39, v0
	v_max_u16_sdwa v51, v1, v1 dst_sel:DWORD dst_unused:UNUSED_PAD src0_sel:DWORD src1_sel:WORD_1
	v_min_u16_sdwa v1, v1, v1 dst_sel:DWORD dst_unused:UNUSED_PAD src0_sel:DWORD src1_sel:WORD_1
	;; [unrolled: 9-line block ×4, first 2 shown]
	v_cndmask_b32_e32 v39, v39, v49, vcc
	v_cndmask_b32_e32 v49, v52, v66, vcc
	v_max_u16_e32 v64, v6, v7
	v_min_u16_e32 v6, v6, v7
	v_max_u16_e32 v52, v51, v2
	v_min_u16_e32 v2, v51, v2
	v_perm_b32 v51, v3, v49, s7
	v_bfi_b32 v66, s10, v53, v54
	v_cmp_gt_u16_e32 vcc, v53, v3
	v_cndmask_b32_e32 v49, v49, v51, vcc
	v_cndmask_b32_e32 v51, v54, v66, vcc
	v_perm_b32 v66, v33, v6, s7
	v_cmp_lt_u16_e32 vcc, v7, v33
	v_cndmask_b32_e32 v7, v32, v66, vcc
	v_cndmask_b32_e32 v32, v33, v6, vcc
	;; [unrolled: 1-line block ×3, first 2 shown]
	v_perm_b32 v33, v64, v8, s7
	v_cmp_gt_u16_e32 vcc, v64, v8
	v_cndmask_b32_e32 v33, v34, v33, vcc
	v_max_u16_e32 v34, v64, v8
	v_min_u16_e32 v8, v64, v8
	v_perm_b32 v64, v65, v9, s7
	v_cmp_gt_u16_e32 vcc, v65, v9
	v_cndmask_b32_e32 v35, v35, v64, vcc
	v_max_u16_e32 v64, v65, v9
	v_min_u16_e32 v9, v65, v9
	;; [unrolled: 5-line block ×3, first 2 shown]
	v_perm_b32 v38, v48, v1, s7
	v_cmp_gt_u16_e32 vcc, v48, v1
	v_max_u16_e32 v54, v53, v3
	v_min_u16_e32 v3, v53, v3
	v_cndmask_b32_e32 v37, v37, v38, vcc
	v_max_u16_e32 v38, v48, v1
	v_min_u16_e32 v1, v48, v1
	v_perm_b32 v48, v50, v2, s7
	v_cmp_gt_u16_e32 vcc, v50, v2
	v_cndmask_b32_e32 v39, v39, v48, vcc
	v_max_u16_e32 v48, v50, v2
	v_min_u16_e32 v2, v50, v2
	v_perm_b32 v50, v52, v3, s7
	v_cmp_gt_u16_e32 vcc, v52, v3
	;; [unrolled: 5-line block ×3, first 2 shown]
	v_cndmask_b32_e32 v51, v51, v52, vcc
	v_cndmask_b32_e32 v52, v55, v54, vcc
	;; [unrolled: 1-line block ×3, first 2 shown]
	v_bfi_b32 v55, s10, v6, v33
	v_cmp_gt_u16_e32 vcc, v6, v8
	v_perm_b32 v54, v8, v7, s7
	v_cndmask_b32_e32 v33, v33, v55, vcc
	v_cndmask_b32_e32 v7, v7, v54, vcc
	v_max_u16_e32 v54, v6, v8
	v_min_u16_e32 v6, v6, v8
	v_perm_b32 v8, v9, v33, s7
	v_bfi_b32 v55, s10, v34, v35
	v_cmp_gt_u16_e32 vcc, v34, v9
	v_cndmask_b32_e32 v8, v33, v8, vcc
	v_cndmask_b32_e32 v33, v35, v55, vcc
	v_max_u16_e32 v35, v34, v9
	v_min_u16_e32 v9, v34, v9
	v_perm_b32 v34, v0, v33, s7
	v_bfi_b32 v55, s10, v64, v36
	v_cmp_gt_u16_e32 vcc, v64, v0
	;; [unrolled: 7-line block ×3, first 2 shown]
	v_cndmask_b32_e32 v34, v34, v55, vcc
	v_cndmask_b32_e32 v37, v37, v64, vcc
	v_max_u16_e32 v55, v65, v1
	v_min_u16_e32 v1, v65, v1
	v_bfi_b32 v65, s10, v38, v39
	v_cmp_gt_u16_e32 vcc, v38, v2
	v_perm_b32 v64, v2, v37, s7
	v_cndmask_b32_e32 v39, v39, v65, vcc
	v_cndmask_b32_e32 v37, v37, v64, vcc
	v_max_u16_e32 v64, v38, v2
	v_min_u16_e32 v2, v38, v2
	v_perm_b32 v38, v3, v39, s7
	v_bfi_b32 v65, s10, v48, v49
	v_cmp_gt_u16_e32 vcc, v48, v3
	v_cndmask_b32_e32 v38, v39, v38, vcc
	v_cndmask_b32_e32 v39, v49, v65, vcc
	v_max_u16_e32 v49, v48, v3
	v_min_u16_e32 v3, v48, v3
	v_perm_b32 v48, v53, v39, s7
	v_bfi_b32 v65, s10, v50, v51
	v_cmp_gt_u16_e32 vcc, v50, v53
	v_cndmask_b32_e32 v39, v39, v48, vcc
	v_cndmask_b32_e32 v48, v51, v65, vcc
	v_max_u16_e32 v51, v50, v53
	v_min_u16_e32 v50, v50, v53
	v_perm_b32 v53, v32, v6, s7
	v_cmp_gt_u16_e32 vcc, v32, v6
	v_cndmask_b32_e32 v7, v7, v53, vcc
	v_min_u16_e32 v53, v32, v6
	v_max_u16_e32 v6, v32, v6
	v_perm_b32 v32, v54, v9, s7
	v_cmp_gt_u16_e32 vcc, v54, v9
	v_cndmask_b32_e32 v8, v8, v32, vcc
	v_max_u16_e32 v32, v54, v9
	v_min_u16_e32 v9, v54, v9
	v_perm_b32 v54, v35, v0, s7
	v_cmp_gt_u16_e32 vcc, v35, v0
	v_cndmask_b32_e32 v33, v33, v54, vcc
	v_max_u16_e32 v54, v35, v0
	v_min_u16_e32 v0, v35, v0
	;; [unrolled: 5-line block ×7, first 2 shown]
	v_perm_b32 v52, v9, v7, s7
	v_bfi_b32 v65, s10, v6, v8
	v_cmp_gt_u16_e32 vcc, v6, v9
	v_cndmask_b32_e32 v8, v8, v65, vcc
	v_cndmask_b32_e32 v7, v7, v52, vcc
	v_bfi_b32 v66, s10, v32, v33
	v_cmp_gt_u16_e32 vcc, v32, v0
	v_perm_b32 v65, v0, v8, s7
	v_cndmask_b32_e32 v33, v33, v66, vcc
	v_cndmask_b32_e32 v8, v8, v65, vcc
	v_max_u16_e32 v65, v32, v0
	v_min_u16_e32 v0, v32, v0
	v_perm_b32 v32, v1, v33, s7
	v_bfi_b32 v66, s10, v54, v34
	v_cmp_gt_u16_e32 vcc, v54, v1
	v_cndmask_b32_e32 v32, v33, v32, vcc
	v_cndmask_b32_e32 v33, v34, v66, vcc
	v_bfi_b32 v66, s10, v35, v36
	v_cmp_gt_u16_e32 vcc, v35, v2
	v_max_u16_e32 v34, v54, v1
	v_min_u16_e32 v1, v54, v1
	v_perm_b32 v54, v2, v33, s7
	v_cndmask_b32_e32 v36, v36, v66, vcc
	v_cndmask_b32_e32 v33, v33, v54, vcc
	v_max_u16_e32 v54, v35, v2
	v_min_u16_e32 v2, v35, v2
	v_perm_b32 v35, v3, v36, s7
	v_bfi_b32 v66, s10, v37, v38
	v_cmp_gt_u16_e32 vcc, v37, v3
	v_cndmask_b32_e32 v35, v36, v35, vcc
	v_cndmask_b32_e32 v36, v38, v66, vcc
	v_max_u16_e32 v38, v37, v3
	v_min_u16_e32 v3, v37, v3
	v_perm_b32 v37, v49, v36, s7
	v_bfi_b32 v66, s10, v55, v39
	v_cmp_gt_u16_e32 vcc, v55, v49
	v_cndmask_b32_e32 v36, v36, v37, vcc
	v_cndmask_b32_e32 v37, v39, v66, vcc
	v_max_u16_e32 v52, v6, v9
	v_min_u16_e32 v6, v6, v9
	v_max_u16_e32 v39, v55, v49
	v_min_u16_e32 v49, v55, v49
	v_perm_b32 v55, v51, v37, s7
	v_bfi_b32 v66, s10, v64, v48
	v_cmp_gt_u16_e32 vcc, v64, v51
	v_cndmask_b32_e32 v37, v37, v55, vcc
	v_cndmask_b32_e32 v48, v48, v66, vcc
	v_perm_b32 v66, v53, v6, s7
	v_cmp_lt_u16_e32 vcc, v9, v53
	v_cndmask_b32_e32 v7, v7, v66, vcc
	v_cndmask_b32_e32 v9, v53, v6, vcc
	;; [unrolled: 1-line block ×3, first 2 shown]
	v_perm_b32 v53, v52, v0, s7
	v_cmp_gt_u16_e32 vcc, v52, v0
	v_cndmask_b32_e32 v8, v8, v53, vcc
	v_max_u16_e32 v53, v52, v0
	v_min_u16_e32 v0, v52, v0
	v_perm_b32 v52, v65, v1, s7
	v_cmp_gt_u16_e32 vcc, v65, v1
	v_cndmask_b32_e32 v32, v32, v52, vcc
	v_max_u16_e32 v52, v65, v1
	v_min_u16_e32 v1, v65, v1
	v_perm_b32 v65, v34, v2, s7
	v_cmp_gt_u16_e32 vcc, v34, v2
	v_cndmask_b32_e32 v33, v33, v65, vcc
	v_max_u16_e32 v65, v34, v2
	v_min_u16_e32 v2, v34, v2
	v_perm_b32 v34, v54, v3, s7
	v_cmp_gt_u16_e32 vcc, v54, v3
	v_max_u16_e32 v55, v64, v51
	v_min_u16_e32 v51, v64, v51
	v_cndmask_b32_e32 v34, v35, v34, vcc
	v_max_u16_e32 v35, v54, v3
	v_min_u16_e32 v3, v54, v3
	v_perm_b32 v54, v38, v49, s7
	v_cmp_gt_u16_e32 vcc, v38, v49
	v_cndmask_b32_e32 v36, v36, v54, vcc
	v_max_u16_e32 v54, v38, v49
	v_min_u16_e32 v38, v38, v49
	v_perm_b32 v49, v39, v51, s7
	v_cmp_gt_u16_e32 vcc, v39, v51
	;; [unrolled: 5-line block ×3, first 2 shown]
	v_cndmask_b32_e32 v48, v48, v51, vcc
	v_cndmask_b32_e32 v51, v50, v55, vcc
	;; [unrolled: 1-line block ×3, first 2 shown]
	v_bfi_b32 v64, s10, v6, v8
	v_cmp_gt_u16_e32 vcc, v6, v0
	v_perm_b32 v55, v0, v7, s7
	v_cndmask_b32_e32 v8, v8, v64, vcc
	v_cndmask_b32_e32 v7, v7, v55, vcc
	v_max_u16_e32 v55, v6, v0
	v_min_u16_e32 v0, v6, v0
	v_perm_b32 v6, v1, v8, s7
	v_bfi_b32 v64, s10, v53, v32
	v_cmp_gt_u16_e32 vcc, v53, v1
	v_cndmask_b32_e32 v6, v8, v6, vcc
	v_cndmask_b32_e32 v8, v32, v64, vcc
	v_max_u16_e32 v32, v53, v1
	v_min_u16_e32 v1, v53, v1
	v_perm_b32 v53, v2, v8, s7
	v_bfi_b32 v64, s10, v52, v33
	v_cmp_gt_u16_e32 vcc, v52, v2
	v_cndmask_b32_e32 v8, v8, v53, vcc
	v_cndmask_b32_e32 v33, v33, v64, vcc
	v_bfi_b32 v64, s10, v65, v34
	v_cmp_gt_u16_e32 vcc, v65, v3
	v_max_u16_e32 v53, v52, v2
	v_min_u16_e32 v2, v52, v2
	v_perm_b32 v52, v3, v33, s7
	v_cndmask_b32_e32 v34, v34, v64, vcc
	v_cndmask_b32_e32 v33, v33, v52, vcc
	v_max_u16_e32 v52, v65, v3
	v_min_u16_e32 v3, v65, v3
	v_perm_b32 v64, v38, v34, s7
	v_bfi_b32 v65, s10, v35, v36
	v_cmp_gt_u16_e32 vcc, v35, v38
	v_cndmask_b32_e32 v34, v34, v64, vcc
	v_cndmask_b32_e32 v36, v36, v65, vcc
	v_bfi_b32 v65, s10, v54, v37
	v_cmp_gt_u16_e32 vcc, v54, v39
	v_max_u16_e32 v64, v35, v38
	v_min_u16_e32 v35, v35, v38
	v_perm_b32 v38, v39, v36, s7
	v_cndmask_b32_e32 v37, v37, v65, vcc
	v_cndmask_b32_e32 v36, v36, v38, vcc
	v_max_u16_e32 v38, v54, v39
	v_min_u16_e32 v39, v54, v39
	v_perm_b32 v54, v50, v37, s7
	v_bfi_b32 v65, s10, v49, v48
	v_cmp_gt_u16_e32 vcc, v49, v50
	v_cndmask_b32_e32 v37, v37, v54, vcc
	v_cndmask_b32_e32 v48, v48, v65, vcc
	v_max_u16_e32 v54, v49, v50
	v_min_u16_e32 v49, v49, v50
	v_perm_b32 v50, v9, v0, s7
	v_cmp_gt_u16_e32 vcc, v9, v0
	v_cndmask_b32_e32 v7, v7, v50, vcc
	v_min_u16_e32 v50, v9, v0
	v_max_u16_e32 v0, v9, v0
	v_perm_b32 v9, v55, v1, s7
	v_cmp_gt_u16_e32 vcc, v55, v1
	v_cndmask_b32_e32 v6, v6, v9, vcc
	v_max_u16_e32 v9, v55, v1
	v_min_u16_e32 v1, v55, v1
	v_perm_b32 v55, v32, v2, s7
	v_cmp_gt_u16_e32 vcc, v32, v2
	v_cndmask_b32_e32 v8, v8, v55, vcc
	v_max_u16_e32 v55, v32, v2
	v_min_u16_e32 v2, v32, v2
	;; [unrolled: 5-line block ×7, first 2 shown]
	v_perm_b32 v54, v1, v7, s7
	v_bfi_b32 v65, s10, v0, v6
	v_cmp_gt_u16_e32 vcc, v0, v1
	v_cndmask_b32_e32 v6, v6, v65, vcc
	v_cndmask_b32_e32 v7, v7, v54, vcc
	v_bfi_b32 v66, s10, v9, v8
	v_cmp_gt_u16_e32 vcc, v9, v2
	v_perm_b32 v65, v2, v6, s7
	v_cndmask_b32_e32 v8, v8, v66, vcc
	v_cndmask_b32_e32 v6, v6, v65, vcc
	v_max_u16_e32 v65, v9, v2
	v_min_u16_e32 v2, v9, v2
	v_perm_b32 v9, v3, v8, s7
	v_bfi_b32 v66, s10, v55, v32
	v_cmp_gt_u16_e32 vcc, v55, v3
	v_cndmask_b32_e32 v8, v8, v9, vcc
	v_cndmask_b32_e32 v9, v32, v66, vcc
	v_bfi_b32 v66, s10, v33, v34
	v_cmp_gt_u16_e32 vcc, v33, v35
	v_max_u16_e32 v32, v55, v3
	v_min_u16_e32 v3, v55, v3
	v_perm_b32 v55, v35, v9, s7
	v_cndmask_b32_e32 v34, v34, v66, vcc
	v_cndmask_b32_e32 v9, v9, v55, vcc
	v_max_u16_e32 v55, v33, v35
	v_min_u16_e32 v33, v33, v35
	v_perm_b32 v35, v39, v34, s7
	v_bfi_b32 v66, s10, v53, v36
	v_cmp_gt_u16_e32 vcc, v53, v39
	v_cndmask_b32_e32 v34, v34, v35, vcc
	v_cndmask_b32_e32 v35, v36, v66, vcc
	v_bfi_b32 v66, s10, v52, v37
	v_cmp_gt_u16_e32 vcc, v52, v38
	v_max_u16_e32 v36, v53, v39
	v_min_u16_e32 v39, v53, v39
	v_perm_b32 v53, v38, v35, s7
	v_cndmask_b32_e32 v37, v37, v66, vcc
	v_max_u16_e32 v54, v0, v1
	v_min_u16_e32 v0, v0, v1
	v_cndmask_b32_e32 v35, v35, v53, vcc
	v_max_u16_e32 v53, v52, v38
	v_min_u16_e32 v38, v52, v38
	v_perm_b32 v52, v51, v37, s7
	v_bfi_b32 v66, s10, v64, v48
	v_cmp_gt_u16_e32 vcc, v64, v51
	v_cndmask_b32_e32 v37, v37, v52, vcc
	v_cndmask_b32_e32 v48, v48, v66, vcc
	v_perm_b32 v66, v50, v0, s7
	v_cmp_lt_u16_e32 vcc, v1, v50
	v_cndmask_b32_e32 v1, v7, v66, vcc
	v_cndmask_b32_e32 v7, v50, v0, vcc
	;; [unrolled: 1-line block ×3, first 2 shown]
	v_perm_b32 v50, v54, v2, s7
	v_cmp_gt_u16_e32 vcc, v54, v2
	v_cndmask_b32_e32 v6, v6, v50, vcc
	v_max_u16_e32 v50, v54, v2
	v_min_u16_e32 v2, v54, v2
	v_perm_b32 v54, v65, v3, s7
	v_cmp_gt_u16_e32 vcc, v65, v3
	v_cndmask_b32_e32 v8, v8, v54, vcc
	v_max_u16_e32 v54, v65, v3
	v_min_u16_e32 v3, v65, v3
	;; [unrolled: 5-line block ×3, first 2 shown]
	v_perm_b32 v33, v55, v39, s7
	v_cmp_gt_u16_e32 vcc, v55, v39
	v_max_u16_e32 v52, v64, v51
	v_min_u16_e32 v51, v64, v51
	v_cndmask_b32_e32 v33, v34, v33, vcc
	v_max_u16_e32 v34, v55, v39
	v_min_u16_e32 v39, v55, v39
	v_perm_b32 v55, v36, v38, s7
	v_cmp_gt_u16_e32 vcc, v36, v38
	v_cndmask_b32_e32 v35, v35, v55, vcc
	v_max_u16_e32 v55, v36, v38
	v_min_u16_e32 v36, v36, v38
	v_perm_b32 v38, v53, v51, s7
	v_cmp_gt_u16_e32 vcc, v53, v51
	;; [unrolled: 5-line block ×3, first 2 shown]
	v_cndmask_b32_e32 v48, v48, v53, vcc
	v_cndmask_b32_e32 v53, v49, v52, vcc
	;; [unrolled: 1-line block ×3, first 2 shown]
	v_bfi_b32 v64, s10, v0, v6
	v_cmp_gt_u16_e32 vcc, v0, v2
	v_perm_b32 v52, v2, v1, s7
	v_cndmask_b32_e32 v6, v6, v64, vcc
	v_cndmask_b32_e32 v1, v1, v52, vcc
	v_max_u16_e32 v52, v0, v2
	v_min_u16_e32 v0, v0, v2
	v_perm_b32 v2, v3, v6, s7
	v_bfi_b32 v64, s10, v50, v8
	v_cmp_gt_u16_e32 vcc, v50, v3
	v_cndmask_b32_e32 v2, v6, v2, vcc
	v_cndmask_b32_e32 v6, v8, v64, vcc
	v_bfi_b32 v64, s10, v54, v9
	v_cmp_gt_u16_e32 vcc, v54, v32
	v_max_u16_e32 v8, v50, v3
	v_min_u16_e32 v3, v50, v3
	v_perm_b32 v50, v32, v6, s7
	v_cndmask_b32_e32 v9, v9, v64, vcc
	v_cndmask_b32_e32 v6, v6, v50, vcc
	v_max_u16_e32 v50, v54, v32
	v_min_u16_e32 v32, v54, v32
	v_perm_b32 v54, v39, v9, s7
	v_bfi_b32 v64, s10, v65, v33
	v_cmp_gt_u16_e32 vcc, v65, v39
	v_cndmask_b32_e32 v9, v9, v54, vcc
	v_cndmask_b32_e32 v33, v33, v64, vcc
	v_max_u16_e32 v54, v65, v39
	v_min_u16_e32 v39, v65, v39
	v_bfi_b32 v65, s10, v34, v35
	v_cmp_gt_u16_e32 vcc, v34, v36
	v_perm_b32 v64, v36, v33, s7
	v_cndmask_b32_e32 v35, v35, v65, vcc
	v_cndmask_b32_e32 v33, v33, v64, vcc
	v_max_u16_e32 v64, v34, v36
	v_min_u16_e32 v34, v34, v36
	v_perm_b32 v36, v51, v35, s7
	v_bfi_b32 v65, s10, v55, v37
	v_cmp_gt_u16_e32 vcc, v55, v51
	v_cndmask_b32_e32 v35, v35, v36, vcc
	v_cndmask_b32_e32 v36, v37, v65, vcc
	v_max_u16_e32 v37, v55, v51
	v_min_u16_e32 v51, v55, v51
	v_perm_b32 v55, v49, v36, s7
	v_bfi_b32 v65, s10, v38, v48
	v_cmp_gt_u16_e32 vcc, v38, v49
	v_cndmask_b32_e32 v36, v36, v55, vcc
	v_cndmask_b32_e32 v48, v48, v65, vcc
	v_max_u16_e32 v55, v38, v49
	v_min_u16_e32 v38, v38, v49
	v_perm_b32 v49, v7, v0, s7
	v_cmp_gt_u16_e32 vcc, v7, v0
	v_cndmask_b32_e32 v1, v1, v49, vcc
	v_max_u16_e32 v0, v7, v0
	v_perm_b32 v7, v52, v3, s7
	v_cmp_gt_u16_e32 vcc, v52, v3
	v_cndmask_b32_e32 v2, v2, v7, vcc
	v_perm_b32 v49, v8, v32, s7
	v_cmp_gt_u16_e32 vcc, v8, v32
	v_cndmask_b32_e32 v6, v6, v49, vcc
	v_max_u16_e32 v49, v8, v32
	v_min_u16_e32 v8, v8, v32
	v_perm_b32 v32, v50, v39, s7
	v_cmp_gt_u16_e32 vcc, v50, v39
	v_cndmask_b32_e32 v9, v9, v32, vcc
	v_max_u16_e32 v32, v50, v39
	v_min_u16_e32 v39, v50, v39
	v_perm_b32 v50, v54, v34, s7
	v_cmp_gt_u16_e32 vcc, v54, v34
	v_max_u16_e32 v7, v52, v3
	v_min_u16_e32 v3, v52, v3
	v_cndmask_b32_e32 v33, v33, v50, vcc
	v_perm_b32 v52, v64, v51, s7
	v_cmp_gt_u16_e32 vcc, v64, v51
	v_max_u16_e32 v50, v54, v34
	v_min_u16_e32 v34, v54, v34
	v_cndmask_b32_e32 v35, v35, v52, vcc
	v_perm_b32 v54, v37, v38, s7
	v_cmp_gt_u16_e32 vcc, v37, v38
	v_cndmask_b32_e32 v36, v36, v54, vcc
	v_max_u16_e32 v54, v37, v38
	v_min_u16_e32 v37, v37, v38
	v_perm_b32 v38, v55, v53, s7
	v_cmp_gt_u16_e32 vcc, v55, v53
	v_cndmask_b32_e32 v38, v48, v38, vcc
	v_min_u16_e32 v48, v55, v53
	v_bfi_b32 v55, s10, v0, v2
	v_cmp_gt_u16_e32 vcc, v0, v3
	v_perm_b32 v53, v3, v1, s7
	v_cndmask_b32_e32 v0, v2, v55, vcc
	v_cndmask_b32_e32 v1, v1, v53, vcc
	v_perm_b32 v2, v8, v0, s7
	v_bfi_b32 v3, s10, v7, v6
	v_cmp_gt_u16_e32 vcc, v7, v8
	v_cndmask_b32_e32 v0, v0, v2, vcc
	v_cndmask_b32_e32 v2, v6, v3, vcc
	v_perm_b32 v3, v39, v2, s7
	v_bfi_b32 v6, s10, v49, v9
	v_cmp_gt_u16_e32 vcc, v49, v39
	;; [unrolled: 5-line block ×3, first 2 shown]
	v_max_u16_e32 v52, v64, v51
	v_min_u16_e32 v51, v64, v51
	v_cndmask_b32_e32 v3, v3, v6, vcc
	v_cndmask_b32_e32 v6, v33, v7, vcc
	v_perm_b32 v7, v51, v6, s7
	v_bfi_b32 v8, s10, v50, v35
	v_cmp_gt_u16_e32 vcc, v50, v51
	v_cndmask_b32_e32 v6, v6, v7, vcc
	v_cndmask_b32_e32 v7, v35, v8, vcc
	v_perm_b32 v8, v37, v7, s7
	v_bfi_b32 v9, s10, v52, v36
	v_cmp_gt_u16_e32 vcc, v52, v37
	;; [unrolled: 5-line block ×3, first 2 shown]
	v_cndmask_b32_e32 v8, v8, v9, vcc
	v_cndmask_b32_e32 v9, v38, v32, vcc
	v_alignbit_b32 v32, v1, v1, 16
	v_cmp_gt_u16_sdwa vcc, v1, v1 src0_sel:DWORD src1_sel:WORD_1
	v_cndmask_b32_e32 v33, v1, v32, vcc
	v_alignbit_b32 v34, v0, v0, 16
	v_cmp_gt_u16_sdwa vcc, v0, v0 src0_sel:DWORD src1_sel:WORD_1
	;; [unrolled: 3-line block ×5, first 2 shown]
	v_cndmask_b32_e32 v48, v6, v48, vcc
	v_max_u16_sdwa v49, v6, v6 dst_sel:DWORD dst_unused:UNUSED_PAD src0_sel:DWORD src1_sel:WORD_1
	v_min_u16_sdwa v50, v6, v6 dst_sel:DWORD dst_unused:UNUSED_PAD src0_sel:DWORD src1_sel:WORD_1
	v_alignbit_b32 v6, v7, v7, 16
	v_cmp_gt_u16_sdwa vcc, v7, v7 src0_sel:DWORD src1_sel:WORD_1
	v_cndmask_b32_e32 v51, v7, v6, vcc
	v_alignbit_b32 v6, v8, v8, 16
	v_cmp_gt_u16_sdwa vcc, v8, v8 src0_sel:DWORD src1_sel:WORD_1
	v_min_u16_sdwa v32, v1, v1 dst_sel:DWORD dst_unused:UNUSED_PAD src0_sel:DWORD src1_sel:WORD_1
	v_max_u16_sdwa v1, v1, v1 dst_sel:DWORD dst_unused:UNUSED_PAD src0_sel:DWORD src1_sel:WORD_1
	v_max_u16_sdwa v35, v0, v0 dst_sel:DWORD dst_unused:UNUSED_PAD src0_sel:DWORD src1_sel:WORD_1
	v_min_u16_sdwa v0, v0, v0 dst_sel:DWORD dst_unused:UNUSED_PAD src0_sel:DWORD src1_sel:WORD_1
	v_cndmask_b32_e32 v54, v8, v6, vcc
	v_alignbit_b32 v6, v9, v9, 16
	v_cmp_gt_u16_sdwa vcc, v9, v9 src0_sel:DWORD src1_sel:WORD_1
	v_max_u16_sdwa v52, v7, v7 dst_sel:DWORD dst_unused:UNUSED_PAD src0_sel:DWORD src1_sel:WORD_1
	v_min_u16_sdwa v53, v7, v7 dst_sel:DWORD dst_unused:UNUSED_PAD src0_sel:DWORD src1_sel:WORD_1
	v_cndmask_b32_e32 v65, v9, v6, vcc
	v_bfi_b32 v7, s10, v1, v34
	v_cmp_gt_u16_e32 vcc, v1, v0
	v_max_u16_sdwa v37, v2, v2 dst_sel:DWORD dst_unused:UNUSED_PAD src0_sel:DWORD src1_sel:WORD_1
	v_min_u16_sdwa v2, v2, v2 dst_sel:DWORD dst_unused:UNUSED_PAD src0_sel:DWORD src1_sel:WORD_1
	v_perm_b32 v6, v0, v33, s7
	v_cndmask_b32_e32 v0, v34, v7, vcc
	v_max_u16_sdwa v55, v8, v8 dst_sel:DWORD dst_unused:UNUSED_PAD src0_sel:DWORD src1_sel:WORD_1
	v_min_u16_sdwa v64, v8, v8 dst_sel:DWORD dst_unused:UNUSED_PAD src0_sel:DWORD src1_sel:WORD_1
	v_cndmask_b32_e32 v6, v33, v6, vcc
	v_perm_b32 v1, v2, v0, s7
	v_bfi_b32 v8, s10, v35, v36
	v_cmp_gt_u16_e32 vcc, v35, v2
	v_max_u16_sdwa v39, v3, v3 dst_sel:DWORD dst_unused:UNUSED_PAD src0_sel:DWORD src1_sel:WORD_1
	v_min_u16_sdwa v3, v3, v3 dst_sel:DWORD dst_unused:UNUSED_PAD src0_sel:DWORD src1_sel:WORD_1
	v_cndmask_b32_e32 v7, v0, v1, vcc
	v_cndmask_b32_e32 v0, v36, v8, vcc
	v_perm_b32 v1, v3, v0, s7
	v_bfi_b32 v2, s10, v37, v38
	v_cmp_gt_u16_e32 vcc, v37, v3
	v_cndmask_b32_e32 v8, v0, v1, vcc
	v_cndmask_b32_e32 v0, v38, v2, vcc
	v_perm_b32 v1, v50, v0, s7
	v_bfi_b32 v2, s10, v39, v48
	v_cmp_gt_u16_e32 vcc, v39, v50
	v_min_u16_sdwa v66, v9, v9 dst_sel:DWORD dst_unused:UNUSED_PAD src0_sel:DWORD src1_sel:WORD_1
	v_cndmask_b32_e32 v9, v0, v1, vcc
	v_cndmask_b32_e32 v0, v48, v2, vcc
	v_perm_b32 v1, v53, v0, s7
	v_bfi_b32 v2, s10, v49, v51
	v_cmp_gt_u16_e32 vcc, v49, v53
	v_cndmask_b32_e32 v0, v0, v1, vcc
	v_cndmask_b32_e32 v1, v51, v2, vcc
	v_perm_b32 v2, v64, v1, s7
	v_bfi_b32 v3, s10, v52, v54
	v_cmp_gt_u16_e32 vcc, v52, v64
	;; [unrolled: 5-line block ×3, first 2 shown]
	v_cndmask_b32_e32 v2, v2, v3, vcc
	v_cndmask_b32_e32 v3, v65, v33, vcc
.LBB3005_7:
	s_or_b64 exec, exec, s[4:5]
	v_mbcnt_lo_u32_b32 v33, -1, 0
	v_mbcnt_hi_u32_b32 v37, -1, v33
	v_and_b32_e32 v31, 0xfffffc00, v31
	v_sub_u32_e64 v36, s6, v31 clamp
	v_lshlrev_b32_e32 v31, 1, v31
	v_lshlrev_b32_e32 v33, 5, v37
	s_mov_b32 s4, 0xffff
	v_add_u32_e32 v38, v31, v33
	v_bfi_b32 v32, s4, v32, v6
	v_mov_b32_e32 v33, v7
	v_mov_b32_e32 v34, v8
	;; [unrolled: 1-line block ×3, first 2 shown]
	v_lshlrev_b32_e32 v39, 4, v37
	ds_write_b128 v38, v[32:35]
	ds_write_b128 v38, v[0:3] offset:16
	v_or_b32_e32 v32, 16, v39
	v_min_u32_e32 v51, v36, v32
	v_add_u32_e32 v32, 16, v51
	v_and_b32_e32 v55, 0x7e0, v39
	v_min_u32_e32 v52, v36, v32
	v_and_b32_e32 v32, 16, v39
	v_min_u32_e32 v64, v36, v32
	v_sub_u32_e32 v32, v51, v55
	v_sub_u32_e32 v33, v52, v51
	v_sub_u32_e64 v54, v64, v33 clamp
	v_min_u32_e32 v32, v64, v32
	v_lshl_add_u32 v53, v55, 1, v31
	v_cmp_lt_u32_e32 vcc, v54, v32
	; wave barrier
	s_and_saveexec_b64 s[4:5], vcc
	s_cbranch_execz .LBB3005_11
; %bb.8:
	v_lshlrev_b32_e32 v33, 1, v51
	v_lshlrev_b32_e32 v34, 1, v64
	v_add3_u32 v33, v31, v33, v34
	s_mov_b64 s[6:7], 0
.LBB3005_9:                             ; =>This Inner Loop Header: Depth=1
	v_add_u32_e32 v34, v32, v54
	v_lshrrev_b32_e32 v35, 1, v34
	v_and_b32_e32 v34, -2, v34
	v_not_b32_e32 v37, v35
	v_add_u32_e32 v34, v53, v34
	v_lshl_add_u32 v37, v37, 1, v33
	ds_read_u16 v34, v34
	ds_read_u16 v37, v37
	v_add_u32_e32 v48, 1, v35
	s_waitcnt lgkmcnt(0)
	v_cmp_gt_u16_e32 vcc, v34, v37
	v_cndmask_b32_e32 v32, v32, v35, vcc
	v_cndmask_b32_e32 v54, v48, v54, vcc
	v_cmp_ge_u32_e32 vcc, v54, v32
	s_or_b64 s[6:7], vcc, s[6:7]
	s_andn2_b64 exec, exec, s[6:7]
	s_cbranch_execnz .LBB3005_9
; %bb.10:
	s_or_b64 exec, exec, s[6:7]
.LBB3005_11:
	s_or_b64 exec, exec, s[4:5]
	v_add_u32_e32 v64, v51, v64
	v_add_u32_e32 v55, v54, v55
	v_sub_u32_e32 v64, v64, v54
	v_cmp_le_u32_e32 vcc, v55, v51
	v_cmp_le_u32_e64 s[4:5], v64, v52
	v_lshrrev_b32_e32 v32, 16, v6
	v_lshrrev_b32_e32 v33, 16, v7
	;; [unrolled: 1-line block ×8, first 2 shown]
	s_or_b64 s[4:5], vcc, s[4:5]
	s_and_saveexec_b64 s[38:39], s[4:5]
	s_cbranch_execz .LBB3005_17
; %bb.12:
	v_cmp_lt_u32_e32 vcc, v55, v51
                                        ; implicit-def: $vgpr0
	s_and_saveexec_b64 s[4:5], vcc
	s_cbranch_execz .LBB3005_14
; %bb.13:
	v_lshl_add_u32 v0, v54, 1, v53
	ds_read_u16 v0, v0
.LBB3005_14:
	s_or_b64 exec, exec, s[4:5]
	v_cmp_ge_u32_e64 s[4:5], v64, v52
	v_cmp_lt_u32_e64 s[6:7], v64, v52
                                        ; implicit-def: $vgpr1
	s_and_saveexec_b64 s[10:11], s[6:7]
	s_cbranch_execz .LBB3005_16
; %bb.15:
	v_lshl_add_u32 v1, v64, 1, v31
	ds_read_u16 v1, v1
.LBB3005_16:
	s_or_b64 exec, exec, s[10:11]
	s_waitcnt lgkmcnt(0)
	v_cmp_le_u16_e64 s[6:7], v0, v1
	s_and_b64 s[6:7], vcc, s[6:7]
	s_or_b64 vcc, s[4:5], s[6:7]
	v_cndmask_b32_e32 v2, v64, v55, vcc
	v_cndmask_b32_e32 v3, v52, v51, vcc
	v_add_u32_e32 v2, 1, v2
	v_add_u32_e32 v3, -1, v3
	v_min_u32_e32 v3, v2, v3
	v_lshl_add_u32 v3, v3, 1, v31
	ds_read_u16 v3, v3
	v_cndmask_b32_e32 v6, v2, v64, vcc
	v_cndmask_b32_e32 v2, v55, v2, vcc
	v_cmp_lt_u32_e64 s[6:7], v2, v51
	v_cmp_ge_u32_e64 s[4:5], v6, v52
	s_waitcnt lgkmcnt(0)
	v_cndmask_b32_e32 v7, v3, v1, vcc
	v_cndmask_b32_e32 v3, v0, v3, vcc
	v_cmp_le_u16_e64 s[10:11], v3, v7
	s_and_b64 s[6:7], s[6:7], s[10:11]
	s_or_b64 s[4:5], s[4:5], s[6:7]
	v_cndmask_b32_e64 v8, v6, v2, s[4:5]
	v_cndmask_b32_e64 v9, v52, v51, s[4:5]
	v_add_u32_e32 v8, 1, v8
	v_add_u32_e32 v9, -1, v9
	v_min_u32_e32 v9, v8, v9
	v_lshl_add_u32 v9, v9, 1, v31
	ds_read_u16 v9, v9
	v_cndmask_b32_e64 v2, v2, v8, s[4:5]
	v_cndmask_b32_e64 v6, v8, v6, s[4:5]
	v_cmp_lt_u32_e64 s[10:11], v2, v51
	v_cmp_ge_u32_e64 s[6:7], v6, v52
	s_waitcnt lgkmcnt(0)
	v_cndmask_b32_e64 v33, v9, v7, s[4:5]
	v_cndmask_b32_e64 v9, v3, v9, s[4:5]
	v_cmp_le_u16_e64 s[14:15], v9, v33
	s_and_b64 s[10:11], s[10:11], s[14:15]
	s_or_b64 s[10:11], s[6:7], s[10:11]
	v_cndmask_b32_e64 v8, v6, v2, s[10:11]
	v_cndmask_b32_e64 v32, v52, v51, s[10:11]
	v_add_u32_e32 v8, 1, v8
	v_add_u32_e32 v32, -1, v32
	v_min_u32_e32 v32, v8, v32
	v_lshl_add_u32 v32, v32, 1, v31
	ds_read_u16 v32, v32
	v_cndmask_b32_e64 v2, v2, v8, s[10:11]
	v_cndmask_b32_e64 v6, v8, v6, s[10:11]
	v_cmp_lt_u32_e64 s[14:15], v2, v51
	v_cmp_ge_u32_e64 s[6:7], v6, v52
	s_waitcnt lgkmcnt(0)
	v_cndmask_b32_e64 v34, v32, v33, s[10:11]
	v_cndmask_b32_e64 v35, v9, v32, s[10:11]
	v_cmp_le_u16_e64 s[16:17], v35, v34
	s_and_b64 s[14:15], s[14:15], s[16:17]
	s_or_b64 s[6:7], s[6:7], s[14:15]
	v_cndmask_b32_e64 v8, v6, v2, s[6:7]
	v_cndmask_b32_e64 v32, v52, v51, s[6:7]
	v_add_u32_e32 v8, 1, v8
	v_add_u32_e32 v32, -1, v32
	v_min_u32_e32 v32, v8, v32
	v_lshl_add_u32 v32, v32, 1, v31
	ds_read_u16 v32, v32
	v_cndmask_b32_e64 v2, v2, v8, s[6:7]
	v_cndmask_b32_e64 v6, v8, v6, s[6:7]
	v_cmp_lt_u32_e64 s[16:17], v2, v51
	v_cmp_ge_u32_e64 s[14:15], v6, v52
	s_waitcnt lgkmcnt(0)
	v_cndmask_b32_e64 v37, v32, v34, s[6:7]
	v_cndmask_b32_e64 v48, v35, v32, s[6:7]
	v_cmp_le_u16_e64 s[18:19], v48, v37
	s_and_b64 s[16:17], s[16:17], s[18:19]
	s_or_b64 s[22:23], s[14:15], s[16:17]
	v_cndmask_b32_e64 v8, v6, v2, s[22:23]
	v_cndmask_b32_e64 v32, v52, v51, s[22:23]
	v_add_u32_e32 v8, 1, v8
	v_add_u32_e32 v32, -1, v32
	v_min_u32_e32 v32, v8, v32
	v_lshl_add_u32 v32, v32, 1, v31
	ds_read_u16 v32, v32
	v_cndmask_b32_e64 v2, v2, v8, s[22:23]
	v_cndmask_b32_e64 v6, v8, v6, s[22:23]
	v_cmp_lt_u32_e64 s[16:17], v2, v51
	v_cmp_ge_u32_e64 s[14:15], v6, v52
	s_waitcnt lgkmcnt(0)
	v_cndmask_b32_e64 v49, v32, v37, s[22:23]
	v_cndmask_b32_e64 v50, v48, v32, s[22:23]
	v_cmp_le_u16_e64 s[18:19], v50, v49
	s_and_b64 s[16:17], s[16:17], s[18:19]
	s_or_b64 s[14:15], s[14:15], s[16:17]
	v_cndmask_b32_e64 v8, v6, v2, s[14:15]
	v_cndmask_b32_e64 v32, v52, v51, s[14:15]
	v_add_u32_e32 v8, 1, v8
	v_add_u32_e32 v32, -1, v32
	v_min_u32_e32 v32, v8, v32
	v_lshl_add_u32 v32, v32, 1, v31
	ds_read_u16 v32, v32
	v_cndmask_b32_e64 v2, v2, v8, s[14:15]
	v_cndmask_b32_e64 v6, v8, v6, s[14:15]
	v_cmp_lt_u32_e64 s[18:19], v2, v51
	v_cmp_ge_u32_e64 s[16:17], v6, v52
	s_waitcnt lgkmcnt(0)
	v_cndmask_b32_e64 v53, v32, v49, s[14:15]
	v_cndmask_b32_e64 v54, v50, v32, s[14:15]
	v_cmp_le_u16_e64 s[20:21], v54, v53
	s_and_b64 s[18:19], s[18:19], s[20:21]
	s_or_b64 s[18:19], s[16:17], s[18:19]
	v_cndmask_b32_e64 v8, v6, v2, s[18:19]
	v_cndmask_b32_e64 v32, v52, v51, s[18:19]
	v_add_u32_e32 v8, 1, v8
	v_add_u32_e32 v32, -1, v32
	v_min_u32_e32 v32, v8, v32
	v_lshl_add_u32 v32, v32, 1, v31
	ds_read_u16 v32, v32
	v_cndmask_b32_e64 v2, v2, v8, s[18:19]
	v_cndmask_b32_e64 v6, v8, v6, s[18:19]
	v_cmp_lt_u32_e64 s[20:21], v2, v51
	v_cmp_ge_u32_e64 s[16:17], v6, v52
	s_waitcnt lgkmcnt(0)
	v_cndmask_b32_e64 v55, v32, v53, s[18:19]
	v_cndmask_b32_e64 v64, v54, v32, s[18:19]
	v_cmp_le_u16_e64 s[24:25], v64, v55
	s_and_b64 s[20:21], s[20:21], s[24:25]
	s_or_b64 s[16:17], s[16:17], s[20:21]
	v_cndmask_b32_e64 v8, v6, v2, s[16:17]
	v_cndmask_b32_e64 v32, v52, v51, s[16:17]
	v_add_u32_e32 v8, 1, v8
	v_add_u32_e32 v32, -1, v32
	v_min_u32_e32 v32, v8, v32
	v_lshl_add_u32 v32, v32, 1, v31
	ds_read_u16 v32, v32
	v_cndmask_b32_e64 v2, v2, v8, s[16:17]
	v_cndmask_b32_e64 v6, v8, v6, s[16:17]
	v_cmp_lt_u32_e64 s[24:25], v2, v51
	v_cmp_ge_u32_e64 s[20:21], v6, v52
	s_waitcnt lgkmcnt(0)
	v_cndmask_b32_e64 v65, v32, v55, s[16:17]
	v_cndmask_b32_e64 v66, v64, v32, s[16:17]
	v_cmp_le_u16_e64 s[26:27], v66, v65
	s_and_b64 s[24:25], s[24:25], s[26:27]
	s_or_b64 s[20:21], s[20:21], s[24:25]
	v_cndmask_b32_e64 v8, v6, v2, s[20:21]
	v_cndmask_b32_e64 v32, v52, v51, s[20:21]
	v_add_u32_e32 v8, 1, v8
	v_add_u32_e32 v32, -1, v32
	v_min_u32_e32 v32, v8, v32
	v_lshl_add_u32 v32, v32, 1, v31
	ds_read_u16 v32, v32
	v_cndmask_b32_e64 v2, v2, v8, s[20:21]
	v_cndmask_b32_e64 v6, v8, v6, s[20:21]
	v_cmp_lt_u32_e64 s[26:27], v2, v51
	v_cmp_ge_u32_e64 s[24:25], v6, v52
	s_waitcnt lgkmcnt(0)
	v_cndmask_b32_e64 v67, v32, v65, s[20:21]
	v_cndmask_b32_e64 v68, v66, v32, s[20:21]
	v_cmp_le_u16_e64 s[28:29], v68, v67
	s_and_b64 s[26:27], s[26:27], s[28:29]
	s_or_b64 s[24:25], s[24:25], s[26:27]
	v_cndmask_b32_e64 v8, v6, v2, s[24:25]
	v_cndmask_b32_e64 v32, v52, v51, s[24:25]
	v_add_u32_e32 v8, 1, v8
	v_add_u32_e32 v32, -1, v32
	v_min_u32_e32 v32, v8, v32
	v_lshl_add_u32 v32, v32, 1, v31
	ds_read_u16 v32, v32
	v_cndmask_b32_e64 v2, v2, v8, s[24:25]
	v_cndmask_b32_e64 v6, v8, v6, s[24:25]
	v_cmp_lt_u32_e64 s[28:29], v2, v51
	v_cmp_ge_u32_e64 s[26:27], v6, v52
	s_waitcnt lgkmcnt(0)
	v_cndmask_b32_e64 v69, v32, v67, s[24:25]
	v_cndmask_b32_e64 v70, v68, v32, s[24:25]
	v_cmp_le_u16_e64 s[30:31], v70, v69
	s_and_b64 s[28:29], s[28:29], s[30:31]
	s_or_b64 s[26:27], s[26:27], s[28:29]
	v_cndmask_b32_e64 v8, v6, v2, s[26:27]
	v_cndmask_b32_e64 v32, v52, v51, s[26:27]
	v_add_u32_e32 v8, 1, v8
	v_add_u32_e32 v32, -1, v32
	v_min_u32_e32 v32, v8, v32
	v_lshl_add_u32 v32, v32, 1, v31
	ds_read_u16 v32, v32
	v_cndmask_b32_e64 v2, v2, v8, s[26:27]
	v_cndmask_b32_e64 v6, v8, v6, s[26:27]
	v_cmp_lt_u32_e64 s[30:31], v2, v51
	v_cmp_ge_u32_e64 s[28:29], v6, v52
	s_waitcnt lgkmcnt(0)
	v_cndmask_b32_e64 v71, v32, v69, s[26:27]
	v_cndmask_b32_e64 v80, v70, v32, s[26:27]
	v_cmp_le_u16_e64 s[34:35], v80, v71
	s_and_b64 s[30:31], s[30:31], s[34:35]
	s_or_b64 s[28:29], s[28:29], s[30:31]
	v_cndmask_b32_e64 v8, v6, v2, s[28:29]
	v_cndmask_b32_e64 v32, v52, v51, s[28:29]
	v_add_u32_e32 v8, 1, v8
	v_add_u32_e32 v32, -1, v32
	v_min_u32_e32 v32, v8, v32
	v_lshl_add_u32 v32, v32, 1, v31
	ds_read_u16 v81, v32
	v_cndmask_b32_e32 v82, v1, v0, vcc
	v_cndmask_b32_e64 v32, v7, v3, s[4:5]
	v_cndmask_b32_e64 v1, v2, v8, s[28:29]
	;; [unrolled: 1-line block ×3, first 2 shown]
	s_waitcnt lgkmcnt(0)
	v_cndmask_b32_e64 v3, v81, v71, s[28:29]
	v_cndmask_b32_e64 v81, v80, v81, s[28:29]
	;; [unrolled: 1-line block ×3, first 2 shown]
	v_cmp_lt_u32_e64 s[4:5], v1, v51
	v_cmp_le_u16_e64 s[10:11], v81, v3
	v_cmp_ge_u32_e32 vcc, v0, v52
	s_and_b64 s[4:5], s[4:5], s[10:11]
	s_or_b64 vcc, vcc, s[4:5]
	v_cndmask_b32_e32 v2, v0, v1, vcc
	v_cndmask_b32_e32 v6, v52, v51, vcc
	v_add_u32_e32 v2, 1, v2
	v_add_u32_e32 v6, -1, v6
	v_min_u32_e32 v6, v2, v6
	v_lshl_add_u32 v6, v6, 1, v31
	ds_read_u16 v6, v6
	v_cndmask_b32_e64 v33, v34, v35, s[6:7]
	v_cndmask_b32_e64 v8, v37, v48, s[22:23]
	;; [unrolled: 1-line block ×3, first 2 shown]
	v_cndmask_b32_e32 v48, v2, v0, vcc
	s_waitcnt lgkmcnt(0)
	v_cndmask_b32_e32 v49, v6, v3, vcc
	v_cndmask_b32_e32 v6, v81, v6, vcc
	v_cndmask_b32_e32 v2, v1, v2, vcc
	v_cmp_lt_u32_e64 s[6:7], v2, v51
	v_cmp_le_u16_e64 s[10:11], v6, v49
	v_cmp_ge_u32_e64 s[4:5], v48, v52
	s_and_b64 s[6:7], s[6:7], s[10:11]
	s_or_b64 s[4:5], s[4:5], s[6:7]
	v_cndmask_b32_e64 v0, v48, v2, s[4:5]
	v_cndmask_b32_e64 v1, v52, v51, s[4:5]
	v_add_u32_e32 v50, 1, v0
	v_add_u32_e32 v0, -1, v1
	v_min_u32_e32 v0, v50, v0
	v_lshl_add_u32 v0, v0, 1, v31
	v_cndmask_b32_e64 v9, v53, v54, s[18:19]
	ds_read_u16 v53, v0
	v_cndmask_b32_e64 v35, v55, v64, s[16:17]
	v_cndmask_b32_e64 v55, v50, v48, s[4:5]
	;; [unrolled: 1-line block ×3, first 2 shown]
	v_cmp_lt_u32_e64 s[10:11], v50, v51
	s_waitcnt lgkmcnt(0)
	v_cndmask_b32_e64 v54, v53, v49, s[4:5]
	v_cndmask_b32_e64 v53, v6, v53, s[4:5]
	v_cmp_le_u16_e64 s[14:15], v53, v54
	v_cmp_ge_u32_e64 s[6:7], v55, v52
	s_and_b64 s[10:11], s[10:11], s[14:15]
	s_or_b64 s[6:7], s[6:7], s[10:11]
	v_cndmask_b32_e64 v2, v55, v50, s[6:7]
	v_cndmask_b32_e64 v48, v52, v51, s[6:7]
	v_add_u32_e32 v64, 1, v2
	v_add_u32_e32 v2, -1, v48
	v_min_u32_e32 v2, v64, v2
	v_lshl_add_u32 v2, v2, 1, v31
	v_cndmask_b32_e64 v0, v65, v66, s[20:21]
	ds_read_u16 v65, v2
	v_cndmask_b32_e32 v2, v3, v81, vcc
	v_cndmask_b32_e64 v49, v49, v6, s[4:5]
	v_cndmask_b32_e64 v3, v54, v53, s[6:7]
	;; [unrolled: 1-line block ×3, first 2 shown]
	s_waitcnt lgkmcnt(0)
	v_cndmask_b32_e64 v6, v53, v65, s[6:7]
	v_cndmask_b32_e64 v54, v65, v54, s[6:7]
	;; [unrolled: 1-line block ×3, first 2 shown]
	v_min_u16_e32 v55, v6, v54
	v_cmp_lt_u32_e32 vcc, v50, v51
	v_cndmask_b32_e32 v50, v54, v55, vcc
	v_cmp_lt_u32_e32 vcc, v53, v52
	s_mov_b32 s4, 0x5040100
	v_cndmask_b32_e64 v37, v67, v68, s[24:25]
	v_cndmask_b32_e64 v1, v69, v70, s[26:27]
	;; [unrolled: 1-line block ×3, first 2 shown]
	v_cndmask_b32_e32 v50, v6, v50, vcc
	v_perm_b32 v6, v32, v82, s4
.LBB3005_17:
	s_or_b64 exec, exec, s[38:39]
	s_mov_b32 s4, 0x5040100
	v_perm_b32 v55, v35, v9, s4
	v_perm_b32 v54, v34, v8, s4
	;; [unrolled: 1-line block ×4, first 2 shown]
	; wave barrier
	ds_write_b128 v38, v[52:55]
	v_perm_b32 v55, v50, v3, s4
	v_perm_b32 v54, v49, v2, s4
	;; [unrolled: 1-line block ×4, first 2 shown]
	ds_write_b128 v38, v[52:55] offset:16
	v_and_b32_e32 v55, 0x7c0, v39
	v_or_b32_e32 v51, 32, v55
	v_min_u32_e32 v51, v36, v51
	v_add_u32_e32 v52, 32, v51
	v_min_u32_e32 v52, v36, v52
	v_and_b32_e32 v53, 48, v39
	v_min_u32_e32 v64, v36, v53
	v_sub_u32_e32 v65, v51, v55
	v_sub_u32_e32 v54, v52, v51
	v_sub_u32_e64 v54, v64, v54 clamp
	v_min_u32_e32 v65, v64, v65
	v_lshl_add_u32 v53, v55, 1, v31
	v_cmp_lt_u32_e32 vcc, v54, v65
	; wave barrier
	s_and_saveexec_b64 s[4:5], vcc
	s_cbranch_execz .LBB3005_21
; %bb.18:
	v_lshlrev_b32_e32 v66, 1, v51
	v_lshlrev_b32_e32 v67, 1, v64
	v_add3_u32 v66, v31, v66, v67
	s_mov_b64 s[6:7], 0
.LBB3005_19:                            ; =>This Inner Loop Header: Depth=1
	v_add_u32_e32 v67, v65, v54
	v_lshrrev_b32_e32 v68, 1, v67
	v_and_b32_e32 v67, -2, v67
	v_not_b32_e32 v69, v68
	v_add_u32_e32 v67, v53, v67
	v_lshl_add_u32 v69, v69, 1, v66
	ds_read_u16 v67, v67
	ds_read_u16 v69, v69
	v_add_u32_e32 v70, 1, v68
	s_waitcnt lgkmcnt(0)
	v_cmp_gt_u16_e32 vcc, v67, v69
	v_cndmask_b32_e32 v65, v65, v68, vcc
	v_cndmask_b32_e32 v54, v70, v54, vcc
	v_cmp_ge_u32_e32 vcc, v54, v65
	s_or_b64 s[6:7], vcc, s[6:7]
	s_andn2_b64 exec, exec, s[6:7]
	s_cbranch_execnz .LBB3005_19
; %bb.20:
	s_or_b64 exec, exec, s[6:7]
.LBB3005_21:
	s_or_b64 exec, exec, s[4:5]
	v_add_u32_e32 v64, v51, v64
	v_add_u32_e32 v55, v54, v55
	v_sub_u32_e32 v64, v64, v54
	v_cmp_le_u32_e32 vcc, v55, v51
	v_cmp_le_u32_e64 s[4:5], v64, v52
	s_or_b64 s[4:5], vcc, s[4:5]
	s_and_saveexec_b64 s[38:39], s[4:5]
	s_cbranch_execz .LBB3005_27
; %bb.22:
	v_cmp_lt_u32_e32 vcc, v55, v51
                                        ; implicit-def: $vgpr0
	s_and_saveexec_b64 s[4:5], vcc
	s_cbranch_execz .LBB3005_24
; %bb.23:
	v_lshl_add_u32 v0, v54, 1, v53
	ds_read_u16 v0, v0
.LBB3005_24:
	s_or_b64 exec, exec, s[4:5]
	v_cmp_ge_u32_e64 s[4:5], v64, v52
	v_cmp_lt_u32_e64 s[6:7], v64, v52
                                        ; implicit-def: $vgpr1
	s_and_saveexec_b64 s[10:11], s[6:7]
	s_cbranch_execz .LBB3005_26
; %bb.25:
	v_lshl_add_u32 v1, v64, 1, v31
	ds_read_u16 v1, v1
.LBB3005_26:
	s_or_b64 exec, exec, s[10:11]
	s_waitcnt lgkmcnt(0)
	v_cmp_le_u16_e64 s[6:7], v0, v1
	s_and_b64 s[6:7], vcc, s[6:7]
	s_or_b64 vcc, s[4:5], s[6:7]
	v_cndmask_b32_e32 v2, v64, v55, vcc
	v_cndmask_b32_e32 v3, v52, v51, vcc
	v_add_u32_e32 v2, 1, v2
	v_add_u32_e32 v3, -1, v3
	v_min_u32_e32 v3, v2, v3
	v_lshl_add_u32 v3, v3, 1, v31
	ds_read_u16 v3, v3
	v_cndmask_b32_e32 v6, v2, v64, vcc
	v_cndmask_b32_e32 v2, v55, v2, vcc
	v_cmp_lt_u32_e64 s[6:7], v2, v51
	v_cmp_ge_u32_e64 s[4:5], v6, v52
	s_waitcnt lgkmcnt(0)
	v_cndmask_b32_e32 v7, v3, v1, vcc
	v_cndmask_b32_e32 v3, v0, v3, vcc
	v_cmp_le_u16_e64 s[10:11], v3, v7
	s_and_b64 s[6:7], s[6:7], s[10:11]
	s_or_b64 s[4:5], s[4:5], s[6:7]
	v_cndmask_b32_e64 v8, v6, v2, s[4:5]
	v_cndmask_b32_e64 v9, v52, v51, s[4:5]
	v_add_u32_e32 v8, 1, v8
	v_add_u32_e32 v9, -1, v9
	v_min_u32_e32 v9, v8, v9
	v_lshl_add_u32 v9, v9, 1, v31
	ds_read_u16 v9, v9
	v_cndmask_b32_e64 v2, v2, v8, s[4:5]
	v_cndmask_b32_e64 v6, v8, v6, s[4:5]
	v_cmp_lt_u32_e64 s[10:11], v2, v51
	v_cmp_ge_u32_e64 s[6:7], v6, v52
	s_waitcnt lgkmcnt(0)
	v_cndmask_b32_e64 v33, v9, v7, s[4:5]
	v_cndmask_b32_e64 v9, v3, v9, s[4:5]
	v_cmp_le_u16_e64 s[14:15], v9, v33
	s_and_b64 s[10:11], s[10:11], s[14:15]
	s_or_b64 s[10:11], s[6:7], s[10:11]
	v_cndmask_b32_e64 v8, v6, v2, s[10:11]
	v_cndmask_b32_e64 v32, v52, v51, s[10:11]
	v_add_u32_e32 v8, 1, v8
	v_add_u32_e32 v32, -1, v32
	v_min_u32_e32 v32, v8, v32
	v_lshl_add_u32 v32, v32, 1, v31
	ds_read_u16 v32, v32
	v_cndmask_b32_e64 v2, v2, v8, s[10:11]
	v_cndmask_b32_e64 v6, v8, v6, s[10:11]
	v_cmp_lt_u32_e64 s[14:15], v2, v51
	v_cmp_ge_u32_e64 s[6:7], v6, v52
	s_waitcnt lgkmcnt(0)
	v_cndmask_b32_e64 v34, v32, v33, s[10:11]
	v_cndmask_b32_e64 v35, v9, v32, s[10:11]
	;; [unrolled: 17-line block ×10, first 2 shown]
	v_cmp_le_u16_e64 s[34:35], v80, v71
	s_and_b64 s[30:31], s[30:31], s[34:35]
	s_or_b64 s[28:29], s[28:29], s[30:31]
	v_cndmask_b32_e64 v6, v81, v2, s[28:29]
	v_cndmask_b32_e64 v8, v52, v51, s[28:29]
	v_add_u32_e32 v82, 1, v6
	v_add_u32_e32 v6, -1, v8
	v_min_u32_e32 v6, v82, v6
	v_lshl_add_u32 v6, v6, 1, v31
	ds_read_u16 v8, v6
	v_cndmask_b32_e32 v6, v1, v0, vcc
	v_cndmask_b32_e64 v32, v7, v3, s[4:5]
	v_cndmask_b32_e64 v1, v2, v82, s[28:29]
	;; [unrolled: 1-line block ×3, first 2 shown]
	s_waitcnt lgkmcnt(0)
	v_cndmask_b32_e64 v3, v8, v71, s[28:29]
	v_cndmask_b32_e64 v83, v80, v8, s[28:29]
	;; [unrolled: 1-line block ×3, first 2 shown]
	v_cmp_lt_u32_e64 s[4:5], v1, v51
	v_cmp_le_u16_e64 s[10:11], v83, v3
	v_cmp_ge_u32_e32 vcc, v0, v52
	s_and_b64 s[4:5], s[4:5], s[10:11]
	s_or_b64 vcc, vcc, s[4:5]
	v_cndmask_b32_e32 v2, v0, v1, vcc
	v_cndmask_b32_e32 v8, v52, v51, vcc
	v_add_u32_e32 v2, 1, v2
	v_add_u32_e32 v8, -1, v8
	v_min_u32_e32 v8, v2, v8
	v_lshl_add_u32 v8, v8, 1, v31
	ds_read_u16 v81, v8
	v_cndmask_b32_e64 v33, v34, v35, s[6:7]
	v_cndmask_b32_e64 v8, v37, v48, s[22:23]
	;; [unrolled: 1-line block ×3, first 2 shown]
	v_cndmask_b32_e32 v48, v2, v0, vcc
	s_waitcnt lgkmcnt(0)
	v_cndmask_b32_e32 v49, v81, v3, vcc
	v_cndmask_b32_e32 v50, v83, v81, vcc
	v_cndmask_b32_e32 v2, v1, v2, vcc
	v_cmp_lt_u32_e64 s[6:7], v2, v51
	v_cmp_le_u16_e64 s[10:11], v50, v49
	v_cmp_ge_u32_e64 s[4:5], v48, v52
	s_and_b64 s[6:7], s[6:7], s[10:11]
	s_or_b64 s[4:5], s[4:5], s[6:7]
	v_cndmask_b32_e64 v0, v48, v2, s[4:5]
	v_cndmask_b32_e64 v1, v52, v51, s[4:5]
	;; [unrolled: 1-line block ×3, first 2 shown]
	v_add_u32_e32 v53, 1, v0
	v_add_u32_e32 v0, -1, v1
	v_min_u32_e32 v0, v53, v0
	v_lshl_add_u32 v0, v0, 1, v31
	ds_read_u16 v54, v0
	v_cndmask_b32_e64 v35, v55, v64, s[16:17]
	v_cndmask_b32_e64 v64, v53, v48, s[4:5]
	;; [unrolled: 1-line block ×3, first 2 shown]
	v_cmp_lt_u32_e64 s[10:11], v53, v51
	s_waitcnt lgkmcnt(0)
	v_cndmask_b32_e64 v55, v54, v49, s[4:5]
	v_cndmask_b32_e64 v54, v50, v54, s[4:5]
	v_cmp_le_u16_e64 s[14:15], v54, v55
	v_cmp_ge_u32_e64 s[6:7], v64, v52
	s_and_b64 s[10:11], s[10:11], s[14:15]
	s_or_b64 s[6:7], s[6:7], s[10:11]
	v_cndmask_b32_e64 v2, v64, v53, s[6:7]
	v_cndmask_b32_e64 v48, v52, v51, s[6:7]
	;; [unrolled: 1-line block ×3, first 2 shown]
	v_add_u32_e32 v65, 1, v2
	v_add_u32_e32 v2, -1, v48
	v_min_u32_e32 v2, v65, v2
	v_lshl_add_u32 v2, v2, 1, v31
	ds_read_u16 v66, v2
	v_cndmask_b32_e32 v2, v3, v83, vcc
	v_cndmask_b32_e64 v49, v49, v50, s[4:5]
	v_cndmask_b32_e64 v3, v55, v54, s[6:7]
	;; [unrolled: 1-line block ×3, first 2 shown]
	s_waitcnt lgkmcnt(0)
	v_cndmask_b32_e64 v50, v54, v66, s[6:7]
	v_cndmask_b32_e64 v55, v66, v55, s[6:7]
	;; [unrolled: 1-line block ×3, first 2 shown]
	v_min_u16_e32 v64, v50, v55
	v_cmp_lt_u32_e32 vcc, v53, v51
	v_cndmask_b32_e32 v51, v55, v64, vcc
	v_cmp_lt_u32_e32 vcc, v54, v52
	v_cndmask_b32_e64 v37, v67, v68, s[24:25]
	v_cndmask_b32_e64 v1, v69, v70, s[26:27]
	;; [unrolled: 1-line block ×3, first 2 shown]
	v_cndmask_b32_e32 v50, v50, v51, vcc
.LBB3005_27:
	s_or_b64 exec, exec, s[38:39]
	s_mov_b32 s4, 0x5040100
	v_perm_b32 v55, v35, v9, s4
	v_perm_b32 v54, v34, v8, s4
	;; [unrolled: 1-line block ×4, first 2 shown]
	; wave barrier
	ds_write_b128 v38, v[52:55]
	v_perm_b32 v55, v50, v3, s4
	v_perm_b32 v54, v49, v2, s4
	v_perm_b32 v53, v48, v1, s4
	v_perm_b32 v52, v37, v0, s4
	ds_write_b128 v38, v[52:55] offset:16
	v_and_b32_e32 v55, 0x780, v39
	v_or_b32_e32 v51, 64, v55
	v_min_u32_e32 v51, v36, v51
	v_add_u32_e32 v52, 64, v51
	v_min_u32_e32 v52, v36, v52
	v_and_b32_e32 v53, 0x70, v39
	v_min_u32_e32 v64, v36, v53
	v_sub_u32_e32 v65, v51, v55
	v_sub_u32_e32 v54, v52, v51
	v_sub_u32_e64 v54, v64, v54 clamp
	v_min_u32_e32 v65, v64, v65
	v_lshl_add_u32 v53, v55, 1, v31
	v_cmp_lt_u32_e32 vcc, v54, v65
	; wave barrier
	s_and_saveexec_b64 s[4:5], vcc
	s_cbranch_execz .LBB3005_31
; %bb.28:
	v_lshlrev_b32_e32 v66, 1, v51
	v_lshlrev_b32_e32 v67, 1, v64
	v_add3_u32 v66, v31, v66, v67
	s_mov_b64 s[6:7], 0
.LBB3005_29:                            ; =>This Inner Loop Header: Depth=1
	v_add_u32_e32 v67, v65, v54
	v_lshrrev_b32_e32 v68, 1, v67
	v_and_b32_e32 v67, -2, v67
	v_not_b32_e32 v69, v68
	v_add_u32_e32 v67, v53, v67
	v_lshl_add_u32 v69, v69, 1, v66
	ds_read_u16 v67, v67
	ds_read_u16 v69, v69
	v_add_u32_e32 v70, 1, v68
	s_waitcnt lgkmcnt(0)
	v_cmp_gt_u16_e32 vcc, v67, v69
	v_cndmask_b32_e32 v65, v65, v68, vcc
	v_cndmask_b32_e32 v54, v70, v54, vcc
	v_cmp_ge_u32_e32 vcc, v54, v65
	s_or_b64 s[6:7], vcc, s[6:7]
	s_andn2_b64 exec, exec, s[6:7]
	s_cbranch_execnz .LBB3005_29
; %bb.30:
	s_or_b64 exec, exec, s[6:7]
.LBB3005_31:
	s_or_b64 exec, exec, s[4:5]
	v_add_u32_e32 v64, v51, v64
	v_add_u32_e32 v55, v54, v55
	v_sub_u32_e32 v64, v64, v54
	v_cmp_le_u32_e32 vcc, v55, v51
	v_cmp_le_u32_e64 s[4:5], v64, v52
	s_or_b64 s[4:5], vcc, s[4:5]
	s_and_saveexec_b64 s[38:39], s[4:5]
	s_cbranch_execz .LBB3005_37
; %bb.32:
	v_cmp_lt_u32_e32 vcc, v55, v51
                                        ; implicit-def: $vgpr0
	s_and_saveexec_b64 s[4:5], vcc
	s_cbranch_execz .LBB3005_34
; %bb.33:
	v_lshl_add_u32 v0, v54, 1, v53
	ds_read_u16 v0, v0
.LBB3005_34:
	s_or_b64 exec, exec, s[4:5]
	v_cmp_ge_u32_e64 s[4:5], v64, v52
	v_cmp_lt_u32_e64 s[6:7], v64, v52
                                        ; implicit-def: $vgpr1
	s_and_saveexec_b64 s[10:11], s[6:7]
	s_cbranch_execz .LBB3005_36
; %bb.35:
	v_lshl_add_u32 v1, v64, 1, v31
	ds_read_u16 v1, v1
.LBB3005_36:
	s_or_b64 exec, exec, s[10:11]
	s_waitcnt lgkmcnt(0)
	v_cmp_le_u16_e64 s[6:7], v0, v1
	s_and_b64 s[6:7], vcc, s[6:7]
	s_or_b64 vcc, s[4:5], s[6:7]
	v_cndmask_b32_e32 v2, v64, v55, vcc
	v_cndmask_b32_e32 v3, v52, v51, vcc
	v_add_u32_e32 v2, 1, v2
	v_add_u32_e32 v3, -1, v3
	v_min_u32_e32 v3, v2, v3
	v_lshl_add_u32 v3, v3, 1, v31
	ds_read_u16 v3, v3
	v_cndmask_b32_e32 v6, v2, v64, vcc
	v_cndmask_b32_e32 v2, v55, v2, vcc
	v_cmp_lt_u32_e64 s[6:7], v2, v51
	v_cmp_ge_u32_e64 s[4:5], v6, v52
	s_waitcnt lgkmcnt(0)
	v_cndmask_b32_e32 v7, v3, v1, vcc
	v_cndmask_b32_e32 v3, v0, v3, vcc
	v_cmp_le_u16_e64 s[10:11], v3, v7
	s_and_b64 s[6:7], s[6:7], s[10:11]
	s_or_b64 s[4:5], s[4:5], s[6:7]
	v_cndmask_b32_e64 v8, v6, v2, s[4:5]
	v_cndmask_b32_e64 v9, v52, v51, s[4:5]
	v_add_u32_e32 v8, 1, v8
	v_add_u32_e32 v9, -1, v9
	v_min_u32_e32 v9, v8, v9
	v_lshl_add_u32 v9, v9, 1, v31
	ds_read_u16 v9, v9
	v_cndmask_b32_e64 v2, v2, v8, s[4:5]
	v_cndmask_b32_e64 v6, v8, v6, s[4:5]
	v_cmp_lt_u32_e64 s[10:11], v2, v51
	v_cmp_ge_u32_e64 s[6:7], v6, v52
	s_waitcnt lgkmcnt(0)
	v_cndmask_b32_e64 v33, v9, v7, s[4:5]
	v_cndmask_b32_e64 v9, v3, v9, s[4:5]
	v_cmp_le_u16_e64 s[14:15], v9, v33
	s_and_b64 s[10:11], s[10:11], s[14:15]
	s_or_b64 s[10:11], s[6:7], s[10:11]
	v_cndmask_b32_e64 v8, v6, v2, s[10:11]
	v_cndmask_b32_e64 v32, v52, v51, s[10:11]
	v_add_u32_e32 v8, 1, v8
	v_add_u32_e32 v32, -1, v32
	v_min_u32_e32 v32, v8, v32
	v_lshl_add_u32 v32, v32, 1, v31
	ds_read_u16 v32, v32
	v_cndmask_b32_e64 v2, v2, v8, s[10:11]
	v_cndmask_b32_e64 v6, v8, v6, s[10:11]
	v_cmp_lt_u32_e64 s[14:15], v2, v51
	v_cmp_ge_u32_e64 s[6:7], v6, v52
	s_waitcnt lgkmcnt(0)
	v_cndmask_b32_e64 v34, v32, v33, s[10:11]
	v_cndmask_b32_e64 v35, v9, v32, s[10:11]
	;; [unrolled: 17-line block ×10, first 2 shown]
	v_cmp_le_u16_e64 s[34:35], v80, v71
	s_and_b64 s[30:31], s[30:31], s[34:35]
	s_or_b64 s[28:29], s[28:29], s[30:31]
	v_cndmask_b32_e64 v6, v81, v2, s[28:29]
	v_cndmask_b32_e64 v8, v52, v51, s[28:29]
	v_add_u32_e32 v82, 1, v6
	v_add_u32_e32 v6, -1, v8
	v_min_u32_e32 v6, v82, v6
	v_lshl_add_u32 v6, v6, 1, v31
	ds_read_u16 v8, v6
	v_cndmask_b32_e32 v6, v1, v0, vcc
	v_cndmask_b32_e64 v32, v7, v3, s[4:5]
	v_cndmask_b32_e64 v1, v2, v82, s[28:29]
	;; [unrolled: 1-line block ×3, first 2 shown]
	s_waitcnt lgkmcnt(0)
	v_cndmask_b32_e64 v3, v8, v71, s[28:29]
	v_cndmask_b32_e64 v83, v80, v8, s[28:29]
	;; [unrolled: 1-line block ×3, first 2 shown]
	v_cmp_lt_u32_e64 s[4:5], v1, v51
	v_cmp_le_u16_e64 s[10:11], v83, v3
	v_cmp_ge_u32_e32 vcc, v0, v52
	s_and_b64 s[4:5], s[4:5], s[10:11]
	s_or_b64 vcc, vcc, s[4:5]
	v_cndmask_b32_e32 v2, v0, v1, vcc
	v_cndmask_b32_e32 v8, v52, v51, vcc
	v_add_u32_e32 v2, 1, v2
	v_add_u32_e32 v8, -1, v8
	v_min_u32_e32 v8, v2, v8
	v_lshl_add_u32 v8, v8, 1, v31
	ds_read_u16 v81, v8
	v_cndmask_b32_e64 v33, v34, v35, s[6:7]
	v_cndmask_b32_e64 v8, v37, v48, s[22:23]
	;; [unrolled: 1-line block ×3, first 2 shown]
	v_cndmask_b32_e32 v48, v2, v0, vcc
	s_waitcnt lgkmcnt(0)
	v_cndmask_b32_e32 v49, v81, v3, vcc
	v_cndmask_b32_e32 v50, v83, v81, vcc
	;; [unrolled: 1-line block ×3, first 2 shown]
	v_cmp_lt_u32_e64 s[6:7], v2, v51
	v_cmp_le_u16_e64 s[10:11], v50, v49
	v_cmp_ge_u32_e64 s[4:5], v48, v52
	s_and_b64 s[6:7], s[6:7], s[10:11]
	s_or_b64 s[4:5], s[4:5], s[6:7]
	v_cndmask_b32_e64 v0, v48, v2, s[4:5]
	v_cndmask_b32_e64 v1, v52, v51, s[4:5]
	;; [unrolled: 1-line block ×3, first 2 shown]
	v_add_u32_e32 v53, 1, v0
	v_add_u32_e32 v0, -1, v1
	v_min_u32_e32 v0, v53, v0
	v_lshl_add_u32 v0, v0, 1, v31
	ds_read_u16 v54, v0
	v_cndmask_b32_e64 v35, v55, v64, s[16:17]
	v_cndmask_b32_e64 v64, v53, v48, s[4:5]
	;; [unrolled: 1-line block ×3, first 2 shown]
	v_cmp_lt_u32_e64 s[10:11], v53, v51
	s_waitcnt lgkmcnt(0)
	v_cndmask_b32_e64 v55, v54, v49, s[4:5]
	v_cndmask_b32_e64 v54, v50, v54, s[4:5]
	v_cmp_le_u16_e64 s[14:15], v54, v55
	v_cmp_ge_u32_e64 s[6:7], v64, v52
	s_and_b64 s[10:11], s[10:11], s[14:15]
	s_or_b64 s[6:7], s[6:7], s[10:11]
	v_cndmask_b32_e64 v2, v64, v53, s[6:7]
	v_cndmask_b32_e64 v48, v52, v51, s[6:7]
	;; [unrolled: 1-line block ×3, first 2 shown]
	v_add_u32_e32 v65, 1, v2
	v_add_u32_e32 v2, -1, v48
	v_min_u32_e32 v2, v65, v2
	v_lshl_add_u32 v2, v2, 1, v31
	ds_read_u16 v66, v2
	v_cndmask_b32_e32 v2, v3, v83, vcc
	v_cndmask_b32_e64 v49, v49, v50, s[4:5]
	v_cndmask_b32_e64 v3, v55, v54, s[6:7]
	;; [unrolled: 1-line block ×3, first 2 shown]
	s_waitcnt lgkmcnt(0)
	v_cndmask_b32_e64 v50, v54, v66, s[6:7]
	v_cndmask_b32_e64 v55, v66, v55, s[6:7]
	;; [unrolled: 1-line block ×3, first 2 shown]
	v_min_u16_e32 v64, v50, v55
	v_cmp_lt_u32_e32 vcc, v53, v51
	v_cndmask_b32_e32 v51, v55, v64, vcc
	v_cmp_lt_u32_e32 vcc, v54, v52
	v_cndmask_b32_e64 v37, v67, v68, s[24:25]
	v_cndmask_b32_e64 v1, v69, v70, s[26:27]
	;; [unrolled: 1-line block ×3, first 2 shown]
	v_cndmask_b32_e32 v50, v50, v51, vcc
.LBB3005_37:
	s_or_b64 exec, exec, s[38:39]
	s_mov_b32 s4, 0x5040100
	v_perm_b32 v55, v35, v9, s4
	v_perm_b32 v54, v34, v8, s4
	;; [unrolled: 1-line block ×4, first 2 shown]
	; wave barrier
	ds_write_b128 v38, v[52:55]
	v_perm_b32 v55, v50, v3, s4
	v_perm_b32 v54, v49, v2, s4
	;; [unrolled: 1-line block ×4, first 2 shown]
	ds_write_b128 v38, v[52:55] offset:16
	v_and_b32_e32 v52, 0x700, v39
	v_or_b32_e32 v38, 0x80, v52
	v_min_u32_e32 v38, v36, v38
	v_add_u32_e32 v51, 0x80, v38
	v_min_u32_e32 v51, v36, v51
	v_and_b32_e32 v39, 0xf0, v39
	v_min_u32_e32 v53, v36, v39
	v_sub_u32_e32 v54, v38, v52
	v_sub_u32_e32 v39, v51, v38
	v_sub_u32_e64 v39, v53, v39 clamp
	v_min_u32_e32 v54, v53, v54
	v_lshl_add_u32 v36, v52, 1, v31
	v_cmp_lt_u32_e32 vcc, v39, v54
	; wave barrier
	s_and_saveexec_b64 s[4:5], vcc
	s_cbranch_execz .LBB3005_41
; %bb.38:
	v_lshlrev_b32_e32 v55, 1, v38
	v_lshlrev_b32_e32 v64, 1, v53
	v_add3_u32 v55, v31, v55, v64
	s_mov_b64 s[6:7], 0
.LBB3005_39:                            ; =>This Inner Loop Header: Depth=1
	v_add_u32_e32 v64, v54, v39
	v_lshrrev_b32_e32 v65, 1, v64
	v_and_b32_e32 v64, -2, v64
	v_not_b32_e32 v66, v65
	v_add_u32_e32 v64, v36, v64
	v_lshl_add_u32 v66, v66, 1, v55
	ds_read_u16 v64, v64
	ds_read_u16 v66, v66
	v_add_u32_e32 v67, 1, v65
	s_waitcnt lgkmcnt(0)
	v_cmp_gt_u16_e32 vcc, v64, v66
	v_cndmask_b32_e32 v54, v54, v65, vcc
	v_cndmask_b32_e32 v39, v67, v39, vcc
	v_cmp_ge_u32_e32 vcc, v39, v54
	s_or_b64 s[6:7], vcc, s[6:7]
	s_andn2_b64 exec, exec, s[6:7]
	s_cbranch_execnz .LBB3005_39
; %bb.40:
	s_or_b64 exec, exec, s[6:7]
.LBB3005_41:
	s_or_b64 exec, exec, s[4:5]
	v_add_u32_e32 v53, v38, v53
	v_add_u32_e32 v52, v39, v52
	v_sub_u32_e32 v53, v53, v39
	v_cmp_le_u32_e32 vcc, v52, v38
	v_cmp_le_u32_e64 s[4:5], v53, v51
	s_or_b64 s[4:5], vcc, s[4:5]
	s_and_saveexec_b64 s[38:39], s[4:5]
	s_cbranch_execz .LBB3005_47
; %bb.42:
	v_cmp_lt_u32_e32 vcc, v52, v38
                                        ; implicit-def: $vgpr0
	s_and_saveexec_b64 s[4:5], vcc
	s_cbranch_execz .LBB3005_44
; %bb.43:
	v_lshl_add_u32 v0, v39, 1, v36
	ds_read_u16 v0, v0
.LBB3005_44:
	s_or_b64 exec, exec, s[4:5]
	v_cmp_ge_u32_e64 s[4:5], v53, v51
	v_cmp_lt_u32_e64 s[6:7], v53, v51
                                        ; implicit-def: $vgpr1
	s_and_saveexec_b64 s[10:11], s[6:7]
	s_cbranch_execz .LBB3005_46
; %bb.45:
	v_lshl_add_u32 v1, v53, 1, v31
	ds_read_u16 v1, v1
.LBB3005_46:
	s_or_b64 exec, exec, s[10:11]
	s_waitcnt lgkmcnt(0)
	v_cmp_le_u16_e64 s[6:7], v0, v1
	s_and_b64 s[6:7], vcc, s[6:7]
	s_or_b64 vcc, s[4:5], s[6:7]
	v_cndmask_b32_e32 v2, v53, v52, vcc
	v_cndmask_b32_e32 v3, v51, v38, vcc
	v_add_u32_e32 v2, 1, v2
	v_add_u32_e32 v3, -1, v3
	v_min_u32_e32 v3, v2, v3
	v_lshl_add_u32 v3, v3, 1, v31
	ds_read_u16 v3, v3
	v_cndmask_b32_e32 v6, v2, v53, vcc
	v_cndmask_b32_e32 v2, v52, v2, vcc
	v_cmp_lt_u32_e64 s[6:7], v2, v38
	v_cmp_ge_u32_e64 s[4:5], v6, v51
	s_waitcnt lgkmcnt(0)
	v_cndmask_b32_e32 v7, v3, v1, vcc
	v_cndmask_b32_e32 v3, v0, v3, vcc
	v_cmp_le_u16_e64 s[10:11], v3, v7
	s_and_b64 s[6:7], s[6:7], s[10:11]
	s_or_b64 s[4:5], s[4:5], s[6:7]
	v_cndmask_b32_e64 v8, v6, v2, s[4:5]
	v_cndmask_b32_e64 v9, v51, v38, s[4:5]
	v_add_u32_e32 v8, 1, v8
	v_add_u32_e32 v9, -1, v9
	v_min_u32_e32 v9, v8, v9
	v_lshl_add_u32 v9, v9, 1, v31
	ds_read_u16 v9, v9
	v_cndmask_b32_e64 v2, v2, v8, s[4:5]
	v_cndmask_b32_e64 v6, v8, v6, s[4:5]
	v_cmp_lt_u32_e64 s[10:11], v2, v38
	v_cmp_ge_u32_e64 s[6:7], v6, v51
	s_waitcnt lgkmcnt(0)
	v_cndmask_b32_e64 v33, v9, v7, s[4:5]
	v_cndmask_b32_e64 v9, v3, v9, s[4:5]
	v_cmp_le_u16_e64 s[14:15], v9, v33
	s_and_b64 s[10:11], s[10:11], s[14:15]
	s_or_b64 s[10:11], s[6:7], s[10:11]
	v_cndmask_b32_e64 v8, v6, v2, s[10:11]
	v_cndmask_b32_e64 v32, v51, v38, s[10:11]
	v_add_u32_e32 v8, 1, v8
	v_add_u32_e32 v32, -1, v32
	v_min_u32_e32 v32, v8, v32
	v_lshl_add_u32 v32, v32, 1, v31
	ds_read_u16 v32, v32
	v_cndmask_b32_e64 v2, v2, v8, s[10:11]
	v_cndmask_b32_e64 v6, v8, v6, s[10:11]
	v_cmp_lt_u32_e64 s[14:15], v2, v38
	v_cmp_ge_u32_e64 s[6:7], v6, v51
	s_waitcnt lgkmcnt(0)
	v_cndmask_b32_e64 v34, v32, v33, s[10:11]
	v_cndmask_b32_e64 v35, v9, v32, s[10:11]
	;; [unrolled: 17-line block ×10, first 2 shown]
	v_cmp_le_u16_e64 s[34:35], v69, v68
	s_and_b64 s[30:31], s[30:31], s[34:35]
	s_or_b64 s[28:29], s[28:29], s[30:31]
	v_cndmask_b32_e64 v6, v70, v2, s[28:29]
	v_cndmask_b32_e64 v8, v51, v38, s[28:29]
	v_add_u32_e32 v71, 1, v6
	v_add_u32_e32 v6, -1, v8
	v_min_u32_e32 v6, v71, v6
	v_lshl_add_u32 v6, v6, 1, v31
	ds_read_u16 v8, v6
	v_cndmask_b32_e32 v6, v1, v0, vcc
	v_cndmask_b32_e64 v32, v7, v3, s[4:5]
	v_cndmask_b32_e64 v1, v2, v71, s[28:29]
	;; [unrolled: 1-line block ×3, first 2 shown]
	s_waitcnt lgkmcnt(0)
	v_cndmask_b32_e64 v3, v8, v68, s[28:29]
	v_cndmask_b32_e64 v80, v69, v8, s[28:29]
	;; [unrolled: 1-line block ×3, first 2 shown]
	v_cmp_lt_u32_e64 s[4:5], v1, v38
	v_cmp_le_u16_e64 s[10:11], v80, v3
	v_cmp_ge_u32_e32 vcc, v0, v51
	s_and_b64 s[4:5], s[4:5], s[10:11]
	s_or_b64 vcc, vcc, s[4:5]
	v_cndmask_b32_e32 v2, v0, v1, vcc
	v_cndmask_b32_e32 v8, v51, v38, vcc
	v_add_u32_e32 v2, 1, v2
	v_add_u32_e32 v8, -1, v8
	v_min_u32_e32 v8, v2, v8
	v_lshl_add_u32 v8, v8, 1, v31
	ds_read_u16 v70, v8
	v_cndmask_b32_e64 v33, v34, v35, s[6:7]
	v_cndmask_b32_e64 v8, v36, v37, s[22:23]
	v_cndmask_b32_e64 v34, v39, v48, s[14:15]
	v_cndmask_b32_e32 v48, v2, v0, vcc
	s_waitcnt lgkmcnt(0)
	v_cndmask_b32_e32 v36, v70, v3, vcc
	v_cndmask_b32_e32 v39, v80, v70, vcc
	;; [unrolled: 1-line block ×3, first 2 shown]
	v_cmp_lt_u32_e64 s[6:7], v2, v38
	v_cmp_le_u16_e64 s[10:11], v39, v36
	v_cmp_ge_u32_e64 s[4:5], v48, v51
	s_and_b64 s[6:7], s[6:7], s[10:11]
	s_or_b64 s[4:5], s[4:5], s[6:7]
	v_cndmask_b32_e64 v0, v48, v2, s[4:5]
	v_cndmask_b32_e64 v1, v51, v38, s[4:5]
	;; [unrolled: 1-line block ×3, first 2 shown]
	v_add_u32_e32 v49, 1, v0
	v_add_u32_e32 v0, -1, v1
	v_min_u32_e32 v0, v49, v0
	v_lshl_add_u32 v0, v0, 1, v31
	ds_read_u16 v50, v0
	v_cndmask_b32_e64 v35, v52, v53, s[16:17]
	v_cndmask_b32_e64 v0, v54, v55, s[20:21]
	;; [unrolled: 1-line block ×4, first 2 shown]
	s_waitcnt lgkmcnt(0)
	v_cndmask_b32_e64 v52, v50, v36, s[4:5]
	v_cndmask_b32_e64 v50, v39, v50, s[4:5]
	v_cmp_lt_u32_e64 s[10:11], v54, v38
	v_cmp_le_u16_e64 s[14:15], v50, v52
	v_cmp_ge_u32_e64 s[6:7], v53, v51
	s_and_b64 s[10:11], s[10:11], s[14:15]
	s_or_b64 s[6:7], s[6:7], s[10:11]
	v_cndmask_b32_e64 v2, v53, v54, s[6:7]
	v_cndmask_b32_e64 v48, v51, v38, s[6:7]
	v_add_u32_e32 v55, 1, v2
	v_add_u32_e32 v2, -1, v48
	v_min_u32_e32 v2, v55, v2
	v_lshl_add_u32 v2, v2, 1, v31
	ds_read_u16 v31, v2
	v_cndmask_b32_e32 v2, v3, v80, vcc
	v_cndmask_b32_e64 v49, v36, v39, s[4:5]
	v_cndmask_b32_e64 v3, v52, v50, s[6:7]
	;; [unrolled: 1-line block ×3, first 2 shown]
	s_waitcnt lgkmcnt(0)
	v_cndmask_b32_e64 v36, v50, v31, s[6:7]
	v_cndmask_b32_e64 v31, v31, v52, s[6:7]
	;; [unrolled: 1-line block ×3, first 2 shown]
	v_min_u16_e32 v52, v36, v31
	v_cmp_lt_u32_e32 vcc, v50, v38
	v_cndmask_b32_e32 v31, v31, v52, vcc
	v_cmp_lt_u32_e32 vcc, v39, v51
	v_cndmask_b32_e64 v37, v64, v65, s[24:25]
	v_cndmask_b32_e64 v1, v66, v67, s[26:27]
	;; [unrolled: 1-line block ×3, first 2 shown]
	v_cndmask_b32_e32 v50, v36, v31, vcc
.LBB3005_47:
	s_or_b64 exec, exec, s[38:39]
	s_mov_b32 s4, 0x5040100
	v_lshlrev_b32_e32 v31, 5, v14
	v_perm_b32 v55, v35, v9, s4
	v_perm_b32 v54, v34, v8, s4
	v_perm_b32 v53, v33, v7, s4
	v_perm_b32 v52, v32, v6, s4
	; wave barrier
	s_waitcnt lgkmcnt(0)
	s_barrier
	ds_write_b128 v31, v[52:55]
	v_perm_b32 v55, v50, v3, s4
	v_perm_b32 v54, v49, v2, s4
	;; [unrolled: 1-line block ×4, first 2 shown]
	ds_write_b128 v31, v[52:55] offset:16
	v_and_b32_e32 v52, 0x3e00, v17
	v_or_b32_e32 v38, 0x100, v52
	v_min_u32_e32 v36, 0x1000, v38
	v_min_u32_e32 v38, 0xf00, v38
	v_add_u32_e32 v38, 0x100, v38
	v_and_b32_e32 v53, 0x1f0, v17
	v_sub_u32_e32 v54, v36, v52
	v_sub_u32_e32 v51, v38, v36
	v_sub_u32_e64 v51, v53, v51 clamp
	v_min_u32_e32 v54, v53, v54
	v_lshlrev_b32_e32 v39, 1, v52
	v_cmp_lt_u32_e32 vcc, v51, v54
	s_waitcnt lgkmcnt(0)
	s_barrier
	s_and_saveexec_b64 s[4:5], vcc
	s_cbranch_execz .LBB3005_51
; %bb.48:
	v_lshlrev_b32_e32 v55, 1, v53
	v_lshl_add_u32 v55, v36, 1, v55
	s_mov_b64 s[6:7], 0
.LBB3005_49:                            ; =>This Inner Loop Header: Depth=1
	v_add_u32_e32 v64, v54, v51
	v_lshrrev_b32_e32 v65, 1, v64
	v_and_b32_e32 v64, -2, v64
	v_not_b32_e32 v66, v65
	v_add_u32_e32 v64, v39, v64
	v_lshl_add_u32 v66, v66, 1, v55
	ds_read_u16 v64, v64
	ds_read_u16 v66, v66
	v_add_u32_e32 v67, 1, v65
	s_waitcnt lgkmcnt(0)
	v_cmp_gt_u16_e32 vcc, v64, v66
	v_cndmask_b32_e32 v54, v54, v65, vcc
	v_cndmask_b32_e32 v51, v67, v51, vcc
	v_cmp_ge_u32_e32 vcc, v51, v54
	s_or_b64 s[6:7], vcc, s[6:7]
	s_andn2_b64 exec, exec, s[6:7]
	s_cbranch_execnz .LBB3005_49
; %bb.50:
	s_or_b64 exec, exec, s[6:7]
.LBB3005_51:
	s_or_b64 exec, exec, s[4:5]
	v_sub_u32_e32 v53, v53, v51
	v_add_u32_e32 v52, v51, v52
	v_add_u32_e32 v53, v53, v36
	v_cmp_le_u32_e32 vcc, v52, v36
	v_cmp_le_u32_e64 s[4:5], v53, v38
	s_or_b64 s[4:5], vcc, s[4:5]
	s_and_saveexec_b64 s[38:39], s[4:5]
	s_cbranch_execz .LBB3005_57
; %bb.52:
	v_cmp_lt_u32_e32 vcc, v52, v36
                                        ; implicit-def: $vgpr0
	s_and_saveexec_b64 s[4:5], vcc
	s_cbranch_execz .LBB3005_54
; %bb.53:
	v_lshl_add_u32 v0, v51, 1, v39
	ds_read_u16 v0, v0
.LBB3005_54:
	s_or_b64 exec, exec, s[4:5]
	v_cmp_ge_u32_e64 s[4:5], v53, v38
	v_cmp_lt_u32_e64 s[6:7], v53, v38
                                        ; implicit-def: $vgpr1
	s_and_saveexec_b64 s[10:11], s[6:7]
	s_cbranch_execz .LBB3005_56
; %bb.55:
	v_lshlrev_b32_e32 v1, 1, v53
	ds_read_u16 v1, v1
.LBB3005_56:
	s_or_b64 exec, exec, s[10:11]
	s_waitcnt lgkmcnt(0)
	v_cmp_le_u16_e64 s[6:7], v0, v1
	s_and_b64 s[6:7], vcc, s[6:7]
	s_or_b64 vcc, s[4:5], s[6:7]
	v_cndmask_b32_e32 v2, v53, v52, vcc
	v_cndmask_b32_e32 v3, v38, v36, vcc
	v_add_u32_e32 v2, 1, v2
	v_add_u32_e32 v3, -1, v3
	v_min_u32_e32 v3, v2, v3
	v_lshlrev_b32_e32 v3, 1, v3
	ds_read_u16 v3, v3
	v_cndmask_b32_e32 v6, v2, v53, vcc
	v_cndmask_b32_e32 v2, v52, v2, vcc
	v_cmp_lt_u32_e64 s[6:7], v2, v36
	v_cmp_ge_u32_e64 s[4:5], v6, v38
	s_waitcnt lgkmcnt(0)
	v_cndmask_b32_e32 v7, v3, v1, vcc
	v_cndmask_b32_e32 v3, v0, v3, vcc
	v_cmp_le_u16_e64 s[10:11], v3, v7
	s_and_b64 s[6:7], s[6:7], s[10:11]
	s_or_b64 s[4:5], s[4:5], s[6:7]
	v_cndmask_b32_e64 v8, v6, v2, s[4:5]
	v_cndmask_b32_e64 v9, v38, v36, s[4:5]
	v_add_u32_e32 v8, 1, v8
	v_add_u32_e32 v9, -1, v9
	v_min_u32_e32 v9, v8, v9
	v_lshlrev_b32_e32 v9, 1, v9
	ds_read_u16 v9, v9
	v_cndmask_b32_e64 v2, v2, v8, s[4:5]
	v_cndmask_b32_e64 v6, v8, v6, s[4:5]
	v_cmp_lt_u32_e64 s[10:11], v2, v36
	v_cmp_ge_u32_e64 s[6:7], v6, v38
	s_waitcnt lgkmcnt(0)
	v_cndmask_b32_e64 v33, v9, v7, s[4:5]
	v_cndmask_b32_e64 v9, v3, v9, s[4:5]
	v_cmp_le_u16_e64 s[14:15], v9, v33
	s_and_b64 s[10:11], s[10:11], s[14:15]
	s_or_b64 s[10:11], s[6:7], s[10:11]
	v_cndmask_b32_e64 v8, v6, v2, s[10:11]
	v_cndmask_b32_e64 v32, v38, v36, s[10:11]
	v_add_u32_e32 v8, 1, v8
	v_add_u32_e32 v32, -1, v32
	v_min_u32_e32 v32, v8, v32
	v_lshlrev_b32_e32 v32, 1, v32
	ds_read_u16 v32, v32
	v_cndmask_b32_e64 v2, v2, v8, s[10:11]
	v_cndmask_b32_e64 v6, v8, v6, s[10:11]
	v_cmp_lt_u32_e64 s[14:15], v2, v36
	v_cmp_ge_u32_e64 s[6:7], v6, v38
	s_waitcnt lgkmcnt(0)
	v_cndmask_b32_e64 v34, v32, v33, s[10:11]
	v_cndmask_b32_e64 v35, v9, v32, s[10:11]
	;; [unrolled: 17-line block ×10, first 2 shown]
	v_cmp_le_u16_e64 s[34:35], v69, v68
	s_and_b64 s[30:31], s[30:31], s[34:35]
	s_or_b64 s[28:29], s[28:29], s[30:31]
	v_cndmask_b32_e64 v6, v70, v2, s[28:29]
	v_cndmask_b32_e64 v8, v38, v36, s[28:29]
	v_add_u32_e32 v71, 1, v6
	v_add_u32_e32 v6, -1, v8
	v_min_u32_e32 v6, v71, v6
	v_lshlrev_b32_e32 v6, 1, v6
	ds_read_u16 v8, v6
	v_cndmask_b32_e32 v6, v1, v0, vcc
	v_cndmask_b32_e64 v32, v7, v3, s[4:5]
	v_cndmask_b32_e64 v1, v2, v71, s[28:29]
	;; [unrolled: 1-line block ×3, first 2 shown]
	s_waitcnt lgkmcnt(0)
	v_cndmask_b32_e64 v3, v8, v68, s[28:29]
	v_cndmask_b32_e64 v80, v69, v8, s[28:29]
	;; [unrolled: 1-line block ×3, first 2 shown]
	v_cmp_lt_u32_e64 s[4:5], v1, v36
	v_cmp_le_u16_e64 s[10:11], v80, v3
	v_cmp_ge_u32_e32 vcc, v0, v38
	s_and_b64 s[4:5], s[4:5], s[10:11]
	s_or_b64 vcc, vcc, s[4:5]
	v_cndmask_b32_e32 v2, v0, v1, vcc
	v_cndmask_b32_e32 v8, v38, v36, vcc
	v_add_u32_e32 v2, 1, v2
	v_add_u32_e32 v8, -1, v8
	v_min_u32_e32 v8, v2, v8
	v_lshlrev_b32_e32 v8, 1, v8
	ds_read_u16 v70, v8
	v_cndmask_b32_e64 v33, v34, v35, s[6:7]
	v_cndmask_b32_e64 v8, v37, v39, s[22:23]
	;; [unrolled: 1-line block ×3, first 2 shown]
	v_cndmask_b32_e32 v48, v2, v0, vcc
	s_waitcnt lgkmcnt(0)
	v_cndmask_b32_e32 v39, v70, v3, vcc
	v_cndmask_b32_e32 v49, v80, v70, vcc
	;; [unrolled: 1-line block ×3, first 2 shown]
	v_cmp_lt_u32_e64 s[6:7], v2, v36
	v_cmp_le_u16_e64 s[10:11], v49, v39
	v_cmp_ge_u32_e64 s[4:5], v48, v38
	s_and_b64 s[6:7], s[6:7], s[10:11]
	s_or_b64 s[4:5], s[4:5], s[6:7]
	v_cndmask_b32_e64 v0, v48, v2, s[4:5]
	v_cndmask_b32_e64 v1, v38, v36, s[4:5]
	;; [unrolled: 1-line block ×3, first 2 shown]
	v_add_u32_e32 v50, 1, v0
	v_add_u32_e32 v0, -1, v1
	v_min_u32_e32 v0, v50, v0
	v_lshlrev_b32_e32 v0, 1, v0
	ds_read_u16 v51, v0
	v_cndmask_b32_e64 v35, v52, v53, s[16:17]
	v_cndmask_b32_e64 v53, v50, v48, s[4:5]
	;; [unrolled: 1-line block ×3, first 2 shown]
	v_cmp_lt_u32_e64 s[10:11], v50, v36
	s_waitcnt lgkmcnt(0)
	v_cndmask_b32_e64 v52, v51, v39, s[4:5]
	v_cndmask_b32_e64 v51, v49, v51, s[4:5]
	v_cmp_le_u16_e64 s[14:15], v51, v52
	v_cmp_ge_u32_e64 s[6:7], v53, v38
	s_and_b64 s[10:11], s[10:11], s[14:15]
	s_or_b64 s[6:7], s[6:7], s[10:11]
	v_cndmask_b32_e64 v2, v53, v50, s[6:7]
	v_cndmask_b32_e64 v48, v38, v36, s[6:7]
	;; [unrolled: 1-line block ×3, first 2 shown]
	v_add_u32_e32 v54, 1, v2
	v_add_u32_e32 v2, -1, v48
	v_min_u32_e32 v2, v54, v2
	v_lshlrev_b32_e32 v2, 1, v2
	ds_read_u16 v55, v2
	v_cndmask_b32_e32 v2, v3, v80, vcc
	v_cndmask_b32_e64 v49, v39, v49, s[4:5]
	v_cndmask_b32_e64 v3, v52, v51, s[6:7]
	;; [unrolled: 1-line block ×3, first 2 shown]
	s_waitcnt lgkmcnt(0)
	v_cndmask_b32_e64 v39, v51, v55, s[6:7]
	v_cndmask_b32_e64 v52, v55, v52, s[6:7]
	;; [unrolled: 1-line block ×3, first 2 shown]
	v_min_u16_e32 v53, v39, v52
	v_cmp_lt_u32_e32 vcc, v50, v36
	v_cndmask_b32_e32 v36, v52, v53, vcc
	v_cmp_lt_u32_e32 vcc, v51, v38
	v_cndmask_b32_e64 v37, v64, v65, s[24:25]
	v_cndmask_b32_e64 v1, v66, v67, s[26:27]
	;; [unrolled: 1-line block ×3, first 2 shown]
	v_cndmask_b32_e32 v50, v39, v36, vcc
.LBB3005_57:
	s_or_b64 exec, exec, s[38:39]
	s_mov_b32 s4, 0x5040100
	v_perm_b32 v55, v35, v9, s4
	v_perm_b32 v54, v34, v8, s4
	;; [unrolled: 1-line block ×4, first 2 shown]
	s_barrier
	ds_write_b128 v31, v[52:55]
	v_perm_b32 v55, v50, v3, s4
	v_perm_b32 v54, v49, v2, s4
	;; [unrolled: 1-line block ×4, first 2 shown]
	ds_write_b128 v31, v[52:55] offset:16
	v_and_b32_e32 v52, 0x3c00, v17
	v_or_b32_e32 v38, 0x200, v52
	v_min_u32_e32 v36, 0x1000, v38
	v_min_u32_e32 v38, 0xe00, v38
	v_add_u32_e32 v38, 0x200, v38
	v_and_b32_e32 v53, 0x3f0, v17
	v_sub_u32_e32 v54, v36, v52
	v_sub_u32_e32 v51, v38, v36
	v_sub_u32_e64 v51, v53, v51 clamp
	v_min_u32_e32 v54, v53, v54
	v_lshlrev_b32_e32 v39, 1, v52
	v_cmp_lt_u32_e32 vcc, v51, v54
	s_waitcnt lgkmcnt(0)
	s_barrier
	s_and_saveexec_b64 s[4:5], vcc
	s_cbranch_execz .LBB3005_61
; %bb.58:
	v_lshlrev_b32_e32 v55, 1, v53
	v_lshl_add_u32 v55, v36, 1, v55
	s_mov_b64 s[6:7], 0
.LBB3005_59:                            ; =>This Inner Loop Header: Depth=1
	v_add_u32_e32 v64, v54, v51
	v_lshrrev_b32_e32 v65, 1, v64
	v_and_b32_e32 v64, -2, v64
	v_not_b32_e32 v66, v65
	v_add_u32_e32 v64, v39, v64
	v_lshl_add_u32 v66, v66, 1, v55
	ds_read_u16 v64, v64
	ds_read_u16 v66, v66
	v_add_u32_e32 v67, 1, v65
	s_waitcnt lgkmcnt(0)
	v_cmp_gt_u16_e32 vcc, v64, v66
	v_cndmask_b32_e32 v54, v54, v65, vcc
	v_cndmask_b32_e32 v51, v67, v51, vcc
	v_cmp_ge_u32_e32 vcc, v51, v54
	s_or_b64 s[6:7], vcc, s[6:7]
	s_andn2_b64 exec, exec, s[6:7]
	s_cbranch_execnz .LBB3005_59
; %bb.60:
	s_or_b64 exec, exec, s[6:7]
.LBB3005_61:
	s_or_b64 exec, exec, s[4:5]
	v_sub_u32_e32 v53, v53, v51
	v_add_u32_e32 v52, v51, v52
	v_add_u32_e32 v53, v53, v36
	v_cmp_le_u32_e32 vcc, v52, v36
	v_cmp_le_u32_e64 s[4:5], v53, v38
	s_or_b64 s[4:5], vcc, s[4:5]
	s_and_saveexec_b64 s[38:39], s[4:5]
	s_cbranch_execz .LBB3005_67
; %bb.62:
	v_cmp_lt_u32_e32 vcc, v52, v36
                                        ; implicit-def: $vgpr0
	s_and_saveexec_b64 s[4:5], vcc
	s_cbranch_execz .LBB3005_64
; %bb.63:
	v_lshl_add_u32 v0, v51, 1, v39
	ds_read_u16 v0, v0
.LBB3005_64:
	s_or_b64 exec, exec, s[4:5]
	v_cmp_ge_u32_e64 s[4:5], v53, v38
	v_cmp_lt_u32_e64 s[6:7], v53, v38
                                        ; implicit-def: $vgpr1
	s_and_saveexec_b64 s[10:11], s[6:7]
	s_cbranch_execz .LBB3005_66
; %bb.65:
	v_lshlrev_b32_e32 v1, 1, v53
	ds_read_u16 v1, v1
.LBB3005_66:
	s_or_b64 exec, exec, s[10:11]
	s_waitcnt lgkmcnt(0)
	v_cmp_le_u16_e64 s[6:7], v0, v1
	s_and_b64 s[6:7], vcc, s[6:7]
	s_or_b64 vcc, s[4:5], s[6:7]
	v_cndmask_b32_e32 v2, v53, v52, vcc
	v_cndmask_b32_e32 v3, v38, v36, vcc
	v_add_u32_e32 v2, 1, v2
	v_add_u32_e32 v3, -1, v3
	v_min_u32_e32 v3, v2, v3
	v_lshlrev_b32_e32 v3, 1, v3
	ds_read_u16 v3, v3
	v_cndmask_b32_e32 v6, v2, v53, vcc
	v_cndmask_b32_e32 v2, v52, v2, vcc
	v_cmp_lt_u32_e64 s[6:7], v2, v36
	v_cmp_ge_u32_e64 s[4:5], v6, v38
	s_waitcnt lgkmcnt(0)
	v_cndmask_b32_e32 v7, v3, v1, vcc
	v_cndmask_b32_e32 v3, v0, v3, vcc
	v_cmp_le_u16_e64 s[10:11], v3, v7
	s_and_b64 s[6:7], s[6:7], s[10:11]
	s_or_b64 s[4:5], s[4:5], s[6:7]
	v_cndmask_b32_e64 v8, v6, v2, s[4:5]
	v_cndmask_b32_e64 v9, v38, v36, s[4:5]
	v_add_u32_e32 v8, 1, v8
	v_add_u32_e32 v9, -1, v9
	v_min_u32_e32 v9, v8, v9
	v_lshlrev_b32_e32 v9, 1, v9
	ds_read_u16 v9, v9
	v_cndmask_b32_e64 v2, v2, v8, s[4:5]
	v_cndmask_b32_e64 v6, v8, v6, s[4:5]
	v_cmp_lt_u32_e64 s[10:11], v2, v36
	v_cmp_ge_u32_e64 s[6:7], v6, v38
	s_waitcnt lgkmcnt(0)
	v_cndmask_b32_e64 v33, v9, v7, s[4:5]
	v_cndmask_b32_e64 v9, v3, v9, s[4:5]
	v_cmp_le_u16_e64 s[14:15], v9, v33
	s_and_b64 s[10:11], s[10:11], s[14:15]
	s_or_b64 s[10:11], s[6:7], s[10:11]
	v_cndmask_b32_e64 v8, v6, v2, s[10:11]
	v_cndmask_b32_e64 v32, v38, v36, s[10:11]
	v_add_u32_e32 v8, 1, v8
	v_add_u32_e32 v32, -1, v32
	v_min_u32_e32 v32, v8, v32
	v_lshlrev_b32_e32 v32, 1, v32
	ds_read_u16 v32, v32
	v_cndmask_b32_e64 v2, v2, v8, s[10:11]
	v_cndmask_b32_e64 v6, v8, v6, s[10:11]
	v_cmp_lt_u32_e64 s[14:15], v2, v36
	v_cmp_ge_u32_e64 s[6:7], v6, v38
	s_waitcnt lgkmcnt(0)
	v_cndmask_b32_e64 v34, v32, v33, s[10:11]
	v_cndmask_b32_e64 v35, v9, v32, s[10:11]
	;; [unrolled: 17-line block ×10, first 2 shown]
	v_cmp_le_u16_e64 s[34:35], v69, v68
	s_and_b64 s[30:31], s[30:31], s[34:35]
	s_or_b64 s[28:29], s[28:29], s[30:31]
	v_cndmask_b32_e64 v6, v70, v2, s[28:29]
	v_cndmask_b32_e64 v8, v38, v36, s[28:29]
	v_add_u32_e32 v71, 1, v6
	v_add_u32_e32 v6, -1, v8
	v_min_u32_e32 v6, v71, v6
	v_lshlrev_b32_e32 v6, 1, v6
	ds_read_u16 v8, v6
	v_cndmask_b32_e32 v6, v1, v0, vcc
	v_cndmask_b32_e64 v32, v7, v3, s[4:5]
	v_cndmask_b32_e64 v1, v2, v71, s[28:29]
	;; [unrolled: 1-line block ×3, first 2 shown]
	s_waitcnt lgkmcnt(0)
	v_cndmask_b32_e64 v3, v8, v68, s[28:29]
	v_cndmask_b32_e64 v80, v69, v8, s[28:29]
	;; [unrolled: 1-line block ×3, first 2 shown]
	v_cmp_lt_u32_e64 s[4:5], v1, v36
	v_cmp_le_u16_e64 s[10:11], v80, v3
	v_cmp_ge_u32_e32 vcc, v0, v38
	s_and_b64 s[4:5], s[4:5], s[10:11]
	s_or_b64 vcc, vcc, s[4:5]
	v_cndmask_b32_e32 v2, v0, v1, vcc
	v_cndmask_b32_e32 v8, v38, v36, vcc
	v_add_u32_e32 v2, 1, v2
	v_add_u32_e32 v8, -1, v8
	v_min_u32_e32 v8, v2, v8
	v_lshlrev_b32_e32 v8, 1, v8
	ds_read_u16 v70, v8
	v_cndmask_b32_e64 v33, v34, v35, s[6:7]
	v_cndmask_b32_e64 v8, v37, v39, s[22:23]
	;; [unrolled: 1-line block ×3, first 2 shown]
	v_cndmask_b32_e32 v48, v2, v0, vcc
	s_waitcnt lgkmcnt(0)
	v_cndmask_b32_e32 v39, v70, v3, vcc
	v_cndmask_b32_e32 v49, v80, v70, vcc
	;; [unrolled: 1-line block ×3, first 2 shown]
	v_cmp_lt_u32_e64 s[6:7], v2, v36
	v_cmp_le_u16_e64 s[10:11], v49, v39
	v_cmp_ge_u32_e64 s[4:5], v48, v38
	s_and_b64 s[6:7], s[6:7], s[10:11]
	s_or_b64 s[4:5], s[4:5], s[6:7]
	v_cndmask_b32_e64 v0, v48, v2, s[4:5]
	v_cndmask_b32_e64 v1, v38, v36, s[4:5]
	;; [unrolled: 1-line block ×3, first 2 shown]
	v_add_u32_e32 v50, 1, v0
	v_add_u32_e32 v0, -1, v1
	v_min_u32_e32 v0, v50, v0
	v_lshlrev_b32_e32 v0, 1, v0
	ds_read_u16 v51, v0
	v_cndmask_b32_e64 v35, v52, v53, s[16:17]
	v_cndmask_b32_e64 v53, v50, v48, s[4:5]
	;; [unrolled: 1-line block ×3, first 2 shown]
	v_cmp_lt_u32_e64 s[10:11], v50, v36
	s_waitcnt lgkmcnt(0)
	v_cndmask_b32_e64 v52, v51, v39, s[4:5]
	v_cndmask_b32_e64 v51, v49, v51, s[4:5]
	v_cmp_le_u16_e64 s[14:15], v51, v52
	v_cmp_ge_u32_e64 s[6:7], v53, v38
	s_and_b64 s[10:11], s[10:11], s[14:15]
	s_or_b64 s[6:7], s[6:7], s[10:11]
	v_cndmask_b32_e64 v2, v53, v50, s[6:7]
	v_cndmask_b32_e64 v48, v38, v36, s[6:7]
	;; [unrolled: 1-line block ×3, first 2 shown]
	v_add_u32_e32 v54, 1, v2
	v_add_u32_e32 v2, -1, v48
	v_min_u32_e32 v2, v54, v2
	v_lshlrev_b32_e32 v2, 1, v2
	ds_read_u16 v55, v2
	v_cndmask_b32_e32 v2, v3, v80, vcc
	v_cndmask_b32_e64 v49, v39, v49, s[4:5]
	v_cndmask_b32_e64 v3, v52, v51, s[6:7]
	;; [unrolled: 1-line block ×3, first 2 shown]
	s_waitcnt lgkmcnt(0)
	v_cndmask_b32_e64 v39, v51, v55, s[6:7]
	v_cndmask_b32_e64 v52, v55, v52, s[6:7]
	;; [unrolled: 1-line block ×3, first 2 shown]
	v_min_u16_e32 v53, v39, v52
	v_cmp_lt_u32_e32 vcc, v50, v36
	v_cndmask_b32_e32 v36, v52, v53, vcc
	v_cmp_lt_u32_e32 vcc, v51, v38
	v_cndmask_b32_e64 v37, v64, v65, s[24:25]
	v_cndmask_b32_e64 v1, v66, v67, s[26:27]
	;; [unrolled: 1-line block ×3, first 2 shown]
	v_cndmask_b32_e32 v50, v39, v36, vcc
.LBB3005_67:
	s_or_b64 exec, exec, s[38:39]
	s_mov_b32 s4, 0x5040100
	v_perm_b32 v55, v35, v9, s4
	v_perm_b32 v54, v34, v8, s4
	v_perm_b32 v53, v33, v7, s4
	v_perm_b32 v52, v32, v6, s4
	s_barrier
	ds_write_b128 v31, v[52:55]
	v_perm_b32 v55, v50, v3, s4
	v_perm_b32 v54, v49, v2, s4
	;; [unrolled: 1-line block ×4, first 2 shown]
	ds_write_b128 v31, v[52:55] offset:16
	v_and_b32_e32 v52, 0x3800, v17
	v_or_b32_e32 v38, 0x400, v52
	v_min_u32_e32 v36, 0x1000, v38
	v_min_u32_e32 v38, 0xc00, v38
	v_add_u32_e32 v38, 0x400, v38
	v_and_b32_e32 v53, 0x7f0, v17
	v_sub_u32_e32 v54, v36, v52
	v_sub_u32_e32 v51, v38, v36
	v_sub_u32_e64 v51, v53, v51 clamp
	v_min_u32_e32 v54, v53, v54
	v_lshlrev_b32_e32 v39, 1, v52
	v_cmp_lt_u32_e32 vcc, v51, v54
	s_waitcnt lgkmcnt(0)
	s_barrier
	s_and_saveexec_b64 s[4:5], vcc
	s_cbranch_execz .LBB3005_71
; %bb.68:
	v_lshlrev_b32_e32 v55, 1, v53
	v_lshl_add_u32 v55, v36, 1, v55
	s_mov_b64 s[6:7], 0
.LBB3005_69:                            ; =>This Inner Loop Header: Depth=1
	v_add_u32_e32 v64, v54, v51
	v_lshrrev_b32_e32 v65, 1, v64
	v_and_b32_e32 v64, -2, v64
	v_not_b32_e32 v66, v65
	v_add_u32_e32 v64, v39, v64
	v_lshl_add_u32 v66, v66, 1, v55
	ds_read_u16 v64, v64
	ds_read_u16 v66, v66
	v_add_u32_e32 v67, 1, v65
	s_waitcnt lgkmcnt(0)
	v_cmp_gt_u16_e32 vcc, v64, v66
	v_cndmask_b32_e32 v54, v54, v65, vcc
	v_cndmask_b32_e32 v51, v67, v51, vcc
	v_cmp_ge_u32_e32 vcc, v51, v54
	s_or_b64 s[6:7], vcc, s[6:7]
	s_andn2_b64 exec, exec, s[6:7]
	s_cbranch_execnz .LBB3005_69
; %bb.70:
	s_or_b64 exec, exec, s[6:7]
.LBB3005_71:
	s_or_b64 exec, exec, s[4:5]
	v_sub_u32_e32 v53, v53, v51
	v_add_u32_e32 v52, v51, v52
	v_add_u32_e32 v53, v53, v36
	v_cmp_le_u32_e32 vcc, v52, v36
	v_cmp_le_u32_e64 s[4:5], v53, v38
	s_or_b64 s[4:5], vcc, s[4:5]
	s_and_saveexec_b64 s[38:39], s[4:5]
	s_cbranch_execz .LBB3005_77
; %bb.72:
	v_cmp_lt_u32_e32 vcc, v52, v36
                                        ; implicit-def: $vgpr0
	s_and_saveexec_b64 s[4:5], vcc
	s_cbranch_execz .LBB3005_74
; %bb.73:
	v_lshl_add_u32 v0, v51, 1, v39
	ds_read_u16 v0, v0
.LBB3005_74:
	s_or_b64 exec, exec, s[4:5]
	v_cmp_ge_u32_e64 s[4:5], v53, v38
	v_cmp_lt_u32_e64 s[6:7], v53, v38
                                        ; implicit-def: $vgpr1
	s_and_saveexec_b64 s[10:11], s[6:7]
	s_cbranch_execz .LBB3005_76
; %bb.75:
	v_lshlrev_b32_e32 v1, 1, v53
	ds_read_u16 v1, v1
.LBB3005_76:
	s_or_b64 exec, exec, s[10:11]
	s_waitcnt lgkmcnt(0)
	v_cmp_le_u16_e64 s[6:7], v0, v1
	s_and_b64 s[6:7], vcc, s[6:7]
	s_or_b64 vcc, s[4:5], s[6:7]
	v_cndmask_b32_e32 v2, v53, v52, vcc
	v_cndmask_b32_e32 v3, v38, v36, vcc
	v_add_u32_e32 v2, 1, v2
	v_add_u32_e32 v3, -1, v3
	v_min_u32_e32 v3, v2, v3
	v_lshlrev_b32_e32 v3, 1, v3
	ds_read_u16 v3, v3
	v_cndmask_b32_e32 v6, v2, v53, vcc
	v_cndmask_b32_e32 v2, v52, v2, vcc
	v_cmp_lt_u32_e64 s[6:7], v2, v36
	v_cmp_ge_u32_e64 s[4:5], v6, v38
	s_waitcnt lgkmcnt(0)
	v_cndmask_b32_e32 v7, v3, v1, vcc
	v_cndmask_b32_e32 v3, v0, v3, vcc
	v_cmp_le_u16_e64 s[10:11], v3, v7
	s_and_b64 s[6:7], s[6:7], s[10:11]
	s_or_b64 s[4:5], s[4:5], s[6:7]
	v_cndmask_b32_e64 v8, v6, v2, s[4:5]
	v_cndmask_b32_e64 v9, v38, v36, s[4:5]
	v_add_u32_e32 v8, 1, v8
	v_add_u32_e32 v9, -1, v9
	v_min_u32_e32 v9, v8, v9
	v_lshlrev_b32_e32 v9, 1, v9
	ds_read_u16 v9, v9
	v_cndmask_b32_e64 v2, v2, v8, s[4:5]
	v_cndmask_b32_e64 v6, v8, v6, s[4:5]
	v_cmp_lt_u32_e64 s[10:11], v2, v36
	v_cmp_ge_u32_e64 s[6:7], v6, v38
	s_waitcnt lgkmcnt(0)
	v_cndmask_b32_e64 v33, v9, v7, s[4:5]
	v_cndmask_b32_e64 v9, v3, v9, s[4:5]
	v_cmp_le_u16_e64 s[14:15], v9, v33
	s_and_b64 s[10:11], s[10:11], s[14:15]
	s_or_b64 s[10:11], s[6:7], s[10:11]
	v_cndmask_b32_e64 v8, v6, v2, s[10:11]
	v_cndmask_b32_e64 v32, v38, v36, s[10:11]
	v_add_u32_e32 v8, 1, v8
	v_add_u32_e32 v32, -1, v32
	v_min_u32_e32 v32, v8, v32
	v_lshlrev_b32_e32 v32, 1, v32
	ds_read_u16 v32, v32
	v_cndmask_b32_e64 v2, v2, v8, s[10:11]
	v_cndmask_b32_e64 v6, v8, v6, s[10:11]
	v_cmp_lt_u32_e64 s[14:15], v2, v36
	v_cmp_ge_u32_e64 s[6:7], v6, v38
	s_waitcnt lgkmcnt(0)
	v_cndmask_b32_e64 v34, v32, v33, s[10:11]
	v_cndmask_b32_e64 v35, v9, v32, s[10:11]
	;; [unrolled: 17-line block ×10, first 2 shown]
	v_cmp_le_u16_e64 s[34:35], v69, v68
	s_and_b64 s[30:31], s[30:31], s[34:35]
	s_or_b64 s[28:29], s[28:29], s[30:31]
	v_cndmask_b32_e64 v6, v70, v2, s[28:29]
	v_cndmask_b32_e64 v8, v38, v36, s[28:29]
	v_add_u32_e32 v71, 1, v6
	v_add_u32_e32 v6, -1, v8
	v_min_u32_e32 v6, v71, v6
	v_lshlrev_b32_e32 v6, 1, v6
	ds_read_u16 v8, v6
	v_cndmask_b32_e32 v6, v1, v0, vcc
	v_cndmask_b32_e64 v32, v7, v3, s[4:5]
	v_cndmask_b32_e64 v1, v2, v71, s[28:29]
	;; [unrolled: 1-line block ×3, first 2 shown]
	s_waitcnt lgkmcnt(0)
	v_cndmask_b32_e64 v3, v8, v68, s[28:29]
	v_cndmask_b32_e64 v80, v69, v8, s[28:29]
	v_cndmask_b32_e64 v0, v71, v70, s[28:29]
	v_cmp_lt_u32_e64 s[4:5], v1, v36
	v_cmp_le_u16_e64 s[10:11], v80, v3
	v_cmp_ge_u32_e32 vcc, v0, v38
	s_and_b64 s[4:5], s[4:5], s[10:11]
	s_or_b64 vcc, vcc, s[4:5]
	v_cndmask_b32_e32 v2, v0, v1, vcc
	v_cndmask_b32_e32 v8, v38, v36, vcc
	v_add_u32_e32 v2, 1, v2
	v_add_u32_e32 v8, -1, v8
	v_min_u32_e32 v8, v2, v8
	v_lshlrev_b32_e32 v8, 1, v8
	ds_read_u16 v70, v8
	v_cndmask_b32_e64 v33, v34, v35, s[6:7]
	v_cndmask_b32_e64 v8, v37, v39, s[22:23]
	;; [unrolled: 1-line block ×3, first 2 shown]
	v_cndmask_b32_e32 v48, v2, v0, vcc
	s_waitcnt lgkmcnt(0)
	v_cndmask_b32_e32 v39, v70, v3, vcc
	v_cndmask_b32_e32 v49, v80, v70, vcc
	;; [unrolled: 1-line block ×3, first 2 shown]
	v_cmp_lt_u32_e64 s[6:7], v2, v36
	v_cmp_le_u16_e64 s[10:11], v49, v39
	v_cmp_ge_u32_e64 s[4:5], v48, v38
	s_and_b64 s[6:7], s[6:7], s[10:11]
	s_or_b64 s[4:5], s[4:5], s[6:7]
	v_cndmask_b32_e64 v0, v48, v2, s[4:5]
	v_cndmask_b32_e64 v1, v38, v36, s[4:5]
	;; [unrolled: 1-line block ×3, first 2 shown]
	v_add_u32_e32 v50, 1, v0
	v_add_u32_e32 v0, -1, v1
	v_min_u32_e32 v0, v50, v0
	v_lshlrev_b32_e32 v0, 1, v0
	ds_read_u16 v51, v0
	v_cndmask_b32_e64 v35, v52, v53, s[16:17]
	v_cndmask_b32_e64 v53, v50, v48, s[4:5]
	;; [unrolled: 1-line block ×3, first 2 shown]
	v_cmp_lt_u32_e64 s[10:11], v50, v36
	s_waitcnt lgkmcnt(0)
	v_cndmask_b32_e64 v52, v51, v39, s[4:5]
	v_cndmask_b32_e64 v51, v49, v51, s[4:5]
	v_cmp_le_u16_e64 s[14:15], v51, v52
	v_cmp_ge_u32_e64 s[6:7], v53, v38
	s_and_b64 s[10:11], s[10:11], s[14:15]
	s_or_b64 s[6:7], s[6:7], s[10:11]
	v_cndmask_b32_e64 v2, v53, v50, s[6:7]
	v_cndmask_b32_e64 v48, v38, v36, s[6:7]
	;; [unrolled: 1-line block ×3, first 2 shown]
	v_add_u32_e32 v54, 1, v2
	v_add_u32_e32 v2, -1, v48
	v_min_u32_e32 v2, v54, v2
	v_lshlrev_b32_e32 v2, 1, v2
	ds_read_u16 v55, v2
	v_cndmask_b32_e32 v2, v3, v80, vcc
	v_cndmask_b32_e64 v49, v39, v49, s[4:5]
	v_cndmask_b32_e64 v3, v52, v51, s[6:7]
	;; [unrolled: 1-line block ×3, first 2 shown]
	s_waitcnt lgkmcnt(0)
	v_cndmask_b32_e64 v39, v51, v55, s[6:7]
	v_cndmask_b32_e64 v52, v55, v52, s[6:7]
	;; [unrolled: 1-line block ×3, first 2 shown]
	v_min_u16_e32 v53, v39, v52
	v_cmp_lt_u32_e32 vcc, v50, v36
	v_cndmask_b32_e32 v36, v52, v53, vcc
	v_cmp_lt_u32_e32 vcc, v51, v38
	v_cndmask_b32_e64 v37, v64, v65, s[24:25]
	v_cndmask_b32_e64 v1, v66, v67, s[26:27]
	v_cndmask_b32_e64 v48, v68, v69, s[28:29]
	v_cndmask_b32_e32 v50, v39, v36, vcc
.LBB3005_77:
	s_or_b64 exec, exec, s[38:39]
	s_mov_b32 s4, 0x5040100
	v_and_b32_e32 v39, 0x3000, v17
	v_perm_b32 v55, v35, v9, s4
	v_perm_b32 v54, v34, v8, s4
	;; [unrolled: 1-line block ×4, first 2 shown]
	v_or_b32_e32 v36, 0x800, v39
	s_barrier
	ds_write_b128 v31, v[52:55]
	v_perm_b32 v55, v50, v3, s4
	v_perm_b32 v54, v49, v2, s4
	;; [unrolled: 1-line block ×4, first 2 shown]
	v_min_u32_e32 v36, 0x1000, v36
	ds_write_b128 v31, v[52:55] offset:16
	v_and_b32_e32 v51, 0xff0, v17
	v_sub_u32_e32 v52, v36, v39
	v_sub_u32_e32 v38, 0x1000, v36
	v_sub_u32_e64 v38, v51, v38 clamp
	v_min_u32_e32 v52, v51, v52
	v_lshlrev_b32_e32 v17, 1, v39
	v_cmp_lt_u32_e32 vcc, v38, v52
	s_waitcnt lgkmcnt(0)
	s_barrier
	s_and_saveexec_b64 s[4:5], vcc
	s_cbranch_execz .LBB3005_81
; %bb.78:
	v_lshlrev_b32_e32 v53, 1, v51
	v_lshl_add_u32 v53, v36, 1, v53
	s_mov_b64 s[6:7], 0
.LBB3005_79:                            ; =>This Inner Loop Header: Depth=1
	v_add_u32_e32 v54, v52, v38
	v_lshrrev_b32_e32 v55, 1, v54
	v_and_b32_e32 v54, -2, v54
	v_not_b32_e32 v64, v55
	v_add_u32_e32 v54, v17, v54
	v_lshl_add_u32 v64, v64, 1, v53
	ds_read_u16 v54, v54
	ds_read_u16 v64, v64
	v_add_u32_e32 v65, 1, v55
	s_waitcnt lgkmcnt(0)
	v_cmp_gt_u16_e32 vcc, v54, v64
	v_cndmask_b32_e32 v52, v52, v55, vcc
	v_cndmask_b32_e32 v38, v65, v38, vcc
	v_cmp_ge_u32_e32 vcc, v38, v52
	s_or_b64 s[6:7], vcc, s[6:7]
	s_andn2_b64 exec, exec, s[6:7]
	s_cbranch_execnz .LBB3005_79
; %bb.80:
	s_or_b64 exec, exec, s[6:7]
.LBB3005_81:
	s_or_b64 exec, exec, s[4:5]
	v_sub_u32_e32 v51, v51, v38
	v_add_u32_e32 v39, v38, v39
	v_add_u32_e32 v51, v51, v36
	s_movk_i32 s4, 0x1001
	v_cmp_le_u32_e32 vcc, v39, v36
	v_cmp_gt_u32_e64 s[4:5], s4, v51
	s_or_b64 s[4:5], vcc, s[4:5]
	s_and_saveexec_b64 s[38:39], s[4:5]
	s_cbranch_execz .LBB3005_87
; %bb.82:
	v_cmp_lt_u32_e32 vcc, v39, v36
                                        ; implicit-def: $vgpr0
	s_and_saveexec_b64 s[4:5], vcc
	s_cbranch_execz .LBB3005_84
; %bb.83:
	v_lshl_add_u32 v0, v38, 1, v17
	ds_read_u16 v0, v0
.LBB3005_84:
	s_or_b64 exec, exec, s[4:5]
	s_movk_i32 s41, 0xfff
	s_movk_i32 s40, 0x1000
	v_cmp_lt_u32_e64 s[4:5], s41, v51
	v_cmp_gt_u32_e64 s[6:7], s40, v51
                                        ; implicit-def: $vgpr1
	s_and_saveexec_b64 s[10:11], s[6:7]
	s_cbranch_execz .LBB3005_86
; %bb.85:
	v_lshlrev_b32_e32 v1, 1, v51
	ds_read_u16 v1, v1
.LBB3005_86:
	s_or_b64 exec, exec, s[10:11]
	s_waitcnt lgkmcnt(0)
	v_cmp_le_u16_e64 s[6:7], v0, v1
	s_and_b64 s[6:7], vcc, s[6:7]
	s_or_b64 vcc, s[4:5], s[6:7]
	v_cndmask_b32_e32 v2, v51, v39, vcc
	v_add_u32_e32 v3, -1, v36
	v_mov_b32_e32 v17, 0xfff
	v_add_u32_e32 v2, 1, v2
	v_cndmask_b32_e32 v6, v17, v3, vcc
	v_min_u32_e32 v6, v2, v6
	v_lshlrev_b32_e32 v6, 1, v6
	ds_read_u16 v6, v6
	s_waitcnt lgkmcnt(0)
	v_cndmask_b32_e32 v7, v6, v1, vcc
	v_cndmask_b32_e32 v8, v0, v6, vcc
	;; [unrolled: 1-line block ×4, first 2 shown]
	v_cmp_lt_u32_e64 s[6:7], v2, v36
	v_cmp_le_u16_e64 s[10:11], v8, v7
	v_cmp_lt_u32_e64 s[4:5], s41, v6
	s_and_b64 s[6:7], s[6:7], s[10:11]
	s_or_b64 s[4:5], s[4:5], s[6:7]
	v_cndmask_b32_e64 v9, v6, v2, s[4:5]
	v_add_u32_e32 v9, 1, v9
	v_cndmask_b32_e64 v32, v17, v3, s[4:5]
	v_min_u32_e32 v32, v9, v32
	v_lshlrev_b32_e32 v32, 1, v32
	ds_read_u16 v32, v32
	v_cndmask_b32_e64 v2, v2, v9, s[4:5]
	v_cndmask_b32_e64 v6, v9, v6, s[4:5]
	v_cmp_lt_u32_e64 s[10:11], v2, v36
	v_cmp_lt_u32_e64 s[6:7], s41, v6
	s_waitcnt lgkmcnt(0)
	v_cndmask_b32_e64 v33, v32, v7, s[4:5]
	v_cndmask_b32_e64 v34, v8, v32, s[4:5]
	v_cmp_le_u16_e64 s[14:15], v34, v33
	s_and_b64 s[10:11], s[10:11], s[14:15]
	s_or_b64 s[10:11], s[6:7], s[10:11]
	v_cndmask_b32_e64 v9, v6, v2, s[10:11]
	v_add_u32_e32 v9, 1, v9
	v_cndmask_b32_e64 v32, v17, v3, s[10:11]
	v_min_u32_e32 v32, v9, v32
	v_lshlrev_b32_e32 v32, 1, v32
	ds_read_u16 v32, v32
	v_cndmask_b32_e64 v2, v2, v9, s[10:11]
	v_cndmask_b32_e64 v6, v9, v6, s[10:11]
	v_cmp_lt_u32_e64 s[14:15], v2, v36
	v_cmp_lt_u32_e64 s[6:7], s41, v6
	s_waitcnt lgkmcnt(0)
	v_cndmask_b32_e64 v35, v32, v33, s[10:11]
	v_cndmask_b32_e64 v37, v34, v32, s[10:11]
	v_cmp_le_u16_e64 s[16:17], v37, v35
	;; [unrolled: 16-line block ×10, first 2 shown]
	s_and_b64 s[30:31], s[30:31], s[34:35]
	s_or_b64 s[28:29], s[28:29], s[30:31]
	v_cndmask_b32_e64 v6, v70, v2, s[28:29]
	v_add_u32_e32 v9, 1, v6
	v_cndmask_b32_e64 v6, v17, v3, s[28:29]
	v_min_u32_e32 v6, v9, v6
	v_lshlrev_b32_e32 v6, 1, v6
	ds_read_u16 v71, v6
	v_cndmask_b32_e32 v6, v1, v0, vcc
	v_cndmask_b32_e64 v1, v2, v9, s[28:29]
	v_cndmask_b32_e64 v32, v7, v8, s[4:5]
	v_cndmask_b32_e64 v7, v33, v34, s[10:11]
	s_waitcnt lgkmcnt(0)
	v_cndmask_b32_e64 v80, v71, v68, s[28:29]
	v_cndmask_b32_e64 v71, v69, v71, s[28:29]
	v_cndmask_b32_e64 v0, v9, v70, s[28:29]
	v_cmp_lt_u32_e64 s[4:5], v1, v36
	v_cmp_le_u16_e64 s[10:11], v71, v80
	v_cmp_lt_u32_e32 vcc, s41, v0
	s_and_b64 s[4:5], s[4:5], s[10:11]
	s_or_b64 vcc, vcc, s[4:5]
	v_cndmask_b32_e32 v2, v0, v1, vcc
	v_add_u32_e32 v2, 1, v2
	v_cndmask_b32_e32 v8, v17, v3, vcc
	v_min_u32_e32 v8, v2, v8
	v_lshlrev_b32_e32 v8, 1, v8
	ds_read_u16 v70, v8
	v_cndmask_b32_e64 v8, v38, v39, s[20:21]
	v_cndmask_b32_e64 v34, v48, v49, s[14:15]
	v_cndmask_b32_e32 v48, v2, v0, vcc
	v_cndmask_b32_e32 v2, v1, v2, vcc
	s_waitcnt lgkmcnt(0)
	v_cndmask_b32_e32 v38, v70, v80, vcc
	v_cndmask_b32_e32 v39, v71, v70, vcc
	v_cndmask_b32_e64 v33, v35, v37, s[6:7]
	v_cmp_lt_u32_e64 s[6:7], v2, v36
	v_cmp_le_u16_e64 s[10:11], v39, v38
	v_cmp_lt_u32_e64 s[4:5], s41, v48
	s_and_b64 s[6:7], s[6:7], s[10:11]
	s_or_b64 s[4:5], s[4:5], s[6:7]
	v_cndmask_b32_e64 v0, v48, v2, s[4:5]
	v_add_u32_e32 v49, 1, v0
	v_cndmask_b32_e64 v0, v17, v3, s[4:5]
	v_min_u32_e32 v0, v49, v0
	v_lshlrev_b32_e32 v0, 1, v0
	v_cndmask_b32_e64 v9, v50, v51, s[18:19]
	ds_read_u16 v50, v0
	v_cndmask_b32_e64 v35, v52, v53, s[16:17]
	v_cndmask_b32_e64 v53, v2, v49, s[4:5]
	v_cndmask_b32_e64 v52, v49, v48, s[4:5]
	v_cmp_lt_u32_e64 s[10:11], v53, v36
	s_waitcnt lgkmcnt(0)
	v_cndmask_b32_e64 v51, v50, v38, s[4:5]
	v_cndmask_b32_e64 v50, v39, v50, s[4:5]
	v_cmp_le_u16_e64 s[14:15], v50, v51
	v_cmp_lt_u32_e64 s[6:7], s41, v52
	s_and_b64 s[10:11], s[10:11], s[14:15]
	s_or_b64 s[6:7], s[6:7], s[10:11]
	v_cndmask_b32_e64 v2, v52, v53, s[6:7]
	v_cndmask_b32_e64 v0, v54, v55, s[22:23]
	v_add_u32_e32 v54, 1, v2
	v_cndmask_b32_e64 v2, v17, v3, s[6:7]
	v_min_u32_e32 v2, v54, v2
	v_lshlrev_b32_e32 v2, 1, v2
	ds_read_u16 v17, v2
	v_cndmask_b32_e64 v49, v38, v39, s[4:5]
	v_cndmask_b32_e64 v3, v51, v50, s[6:7]
	v_cndmask_b32_e32 v2, v80, v71, vcc
	v_cndmask_b32_e64 v39, v54, v52, s[6:7]
	s_waitcnt lgkmcnt(0)
	v_cndmask_b32_e64 v38, v50, v17, s[6:7]
	v_cndmask_b32_e64 v17, v17, v51, s[6:7]
	;; [unrolled: 1-line block ×3, first 2 shown]
	v_min_u16_e32 v51, v38, v17
	v_cmp_lt_u32_e32 vcc, v50, v36
	v_cndmask_b32_e32 v17, v17, v51, vcc
	v_cmp_gt_u32_e32 vcc, s40, v39
	v_cndmask_b32_e64 v37, v64, v65, s[24:25]
	v_cndmask_b32_e64 v1, v66, v67, s[26:27]
	;; [unrolled: 1-line block ×3, first 2 shown]
	v_cndmask_b32_e32 v50, v38, v17, vcc
.LBB3005_87:
	s_or_b64 exec, exec, s[38:39]
	s_mov_b32 s4, 0x5040100
	v_lshl_add_u32 v17, v30, 1, v31
	v_perm_b32 v7, v33, v7, s4
	v_perm_b32 v6, v32, v6, s4
	;; [unrolled: 1-line block ×4, first 2 shown]
	s_barrier
	s_barrier
	ds_write2_b32 v17, v6, v7 offset1:1
	v_perm_b32 v6, v35, v9, s4
	v_perm_b32 v7, v34, v8, s4
	ds_write2_b32 v17, v0, v1 offset0:4 offset1:5
	v_perm_b32 v0, v50, v3, s4
	v_perm_b32 v1, v49, v2, s4
	ds_write2_b32 v17, v7, v6 offset0:2 offset1:3
	ds_write2_b32 v17, v1, v0 offset0:6 offset1:7
	s_waitcnt lgkmcnt(0)
	s_barrier
	ds_read_u16 v2, v10
	ds_read_u16 v3, v11 offset:512
	ds_read_u16 v7, v12 offset:1024
	;; [unrolled: 1-line block ×15, first 2 shown]
	v_add_co_u32_e32 v0, vcc, v4, v16
	v_addc_co_u32_e32 v1, vcc, 0, v5, vcc
	s_waitcnt lgkmcnt(14)
	flat_store_short v[0:1], v2
	flat_store_short v[0:1], v3 offset:512
	s_waitcnt lgkmcnt(0)
	flat_store_short v[0:1], v7 offset:1024
	flat_store_short v[0:1], v8 offset:1536
	;; [unrolled: 1-line block ×6, first 2 shown]
	v_add_co_u32_e32 v0, vcc, 0x1000, v0
	s_mov_b64 s[68:69], exec
	v_addc_co_u32_e32 v1, vcc, 0, v1, vcc
	flat_store_short v[0:1], v13
	flat_store_short v[0:1], v17 offset:512
	flat_store_short v[0:1], v18 offset:1024
	;; [unrolled: 1-line block ×6, first 2 shown]
                                        ; implicit-def: $vgpr0
                                        ; implicit-def: $vgpr2
                                        ; implicit-def: $vgpr3
                                        ; implicit-def: $vgpr32
                                        ; implicit-def: $vgpr31
                                        ; implicit-def: $vgpr16
                                        ; implicit-def: $vgpr1
                                        ; implicit-def: $vgpr17
                                        ; implicit-def: $vgpr30
	s_andn2_saveexec_b64 s[70:71], s[36:37]
	s_cbranch_execz .LBB3005_2
.LBB3005_88:
	v_cmp_lt_u32_e32 vcc, v14, v0
                                        ; implicit-def: $vgpr6_vgpr7_vgpr8_vgpr9_vgpr10_vgpr11_vgpr12_vgpr13
	s_and_saveexec_b64 s[6:7], vcc
	s_cbranch_execz .LBB3005_90
; %bb.89:
	v_add_co_u32_e64 v6, s[4:5], v2, v16
	v_addc_co_u32_e64 v7, s[4:5], 0, v3, s[4:5]
	flat_load_ushort v6, v[6:7]
.LBB3005_90:
	s_or_b64 exec, exec, s[6:7]
	v_add_u32_e32 v15, 0x100, v14
	v_cmp_lt_u32_e64 s[4:5], v15, v0
	s_and_saveexec_b64 s[10:11], s[4:5]
	s_cbranch_execz .LBB3005_92
; %bb.91:
	v_add_co_u32_e64 v18, s[6:7], v2, v16
	v_addc_co_u32_e64 v19, s[6:7], 0, v3, s[6:7]
	flat_load_ushort v18, v[18:19] offset:512
	s_mov_b32 s6, 0x5040100
	s_waitcnt vmcnt(0) lgkmcnt(0)
	v_perm_b32 v6, v18, v6, s6
.LBB3005_92:
	s_or_b64 exec, exec, s[10:11]
	v_add_u32_e32 v18, 0x200, v14
	v_cmp_lt_u32_e64 s[6:7], v18, v0
	s_and_saveexec_b64 s[14:15], s[6:7]
	s_cbranch_execz .LBB3005_94
; %bb.93:
	v_add_co_u32_e64 v20, s[10:11], v2, v16
	v_addc_co_u32_e64 v21, s[10:11], 0, v3, s[10:11]
	flat_load_ushort v19, v[20:21] offset:1024
	s_mov_b32 s10, 0xffff
	s_waitcnt vmcnt(0) lgkmcnt(0)
	v_bfi_b32 v7, s10, v19, v7
.LBB3005_94:
	s_or_b64 exec, exec, s[14:15]
	v_add_u32_e32 v19, 0x300, v14
	v_cmp_lt_u32_e64 s[36:37], v19, v0
	s_and_saveexec_b64 s[14:15], s[36:37]
	s_cbranch_execz .LBB3005_96
; %bb.95:
	v_add_co_u32_e64 v20, s[10:11], v2, v16
	v_addc_co_u32_e64 v21, s[10:11], 0, v3, s[10:11]
	flat_load_ushort v20, v[20:21] offset:1536
	s_mov_b32 s10, 0x5040100
	s_waitcnt vmcnt(0) lgkmcnt(0)
	v_perm_b32 v7, v20, v7, s10
.LBB3005_96:
	s_or_b64 exec, exec, s[14:15]
	v_or_b32_e32 v20, 0x400, v14
	v_cmp_lt_u32_e64 s[10:11], v20, v0
	s_and_saveexec_b64 s[16:17], s[10:11]
	s_cbranch_execz .LBB3005_98
; %bb.97:
	v_add_co_u32_e64 v22, s[14:15], v2, v16
	v_addc_co_u32_e64 v23, s[14:15], 0, v3, s[14:15]
	flat_load_ushort v21, v[22:23] offset:2048
	s_mov_b32 s14, 0xffff
	s_waitcnt vmcnt(0) lgkmcnt(0)
	v_bfi_b32 v8, s14, v21, v8
.LBB3005_98:
	s_or_b64 exec, exec, s[16:17]
	v_add_u32_e32 v21, 0x500, v14
	v_cmp_lt_u32_e64 s[66:67], v21, v0
	s_and_saveexec_b64 s[16:17], s[66:67]
	s_cbranch_execz .LBB3005_100
; %bb.99:
	v_add_co_u32_e64 v22, s[14:15], v2, v16
	v_addc_co_u32_e64 v23, s[14:15], 0, v3, s[14:15]
	flat_load_ushort v22, v[22:23] offset:2560
	s_mov_b32 s14, 0x5040100
	s_waitcnt vmcnt(0) lgkmcnt(0)
	v_perm_b32 v8, v22, v8, s14
.LBB3005_100:
	s_or_b64 exec, exec, s[16:17]
	v_add_u32_e32 v22, 0x600, v14
	v_cmp_lt_u32_e64 s[14:15], v22, v0
	s_and_saveexec_b64 s[18:19], s[14:15]
	s_cbranch_execz .LBB3005_102
; %bb.101:
	v_add_co_u32_e64 v24, s[16:17], v2, v16
	v_addc_co_u32_e64 v25, s[16:17], 0, v3, s[16:17]
	flat_load_ushort v23, v[24:25] offset:3072
	s_mov_b32 s16, 0xffff
	s_waitcnt vmcnt(0) lgkmcnt(0)
	v_bfi_b32 v9, s16, v23, v9
.LBB3005_102:
	s_or_b64 exec, exec, s[18:19]
	v_add_u32_e32 v23, 0x700, v14
	v_cmp_lt_u32_e64 s[16:17], v23, v0
	s_and_saveexec_b64 s[20:21], s[16:17]
	s_cbranch_execz .LBB3005_104
; %bb.103:
	v_add_co_u32_e64 v24, s[18:19], v2, v16
	v_addc_co_u32_e64 v25, s[18:19], 0, v3, s[18:19]
	flat_load_ushort v24, v[24:25] offset:3584
	s_mov_b32 s18, 0x5040100
	s_waitcnt vmcnt(0) lgkmcnt(0)
	v_perm_b32 v9, v24, v9, s18
.LBB3005_104:
	s_or_b64 exec, exec, s[20:21]
	v_or_b32_e32 v24, 0x800, v14
	v_cmp_lt_u32_e64 s[18:19], v24, v0
	s_and_saveexec_b64 s[22:23], s[18:19]
	s_cbranch_execz .LBB3005_106
; %bb.105:
	v_lshlrev_b32_e32 v25, 1, v24
	v_add_co_u32_e64 v26, s[20:21], v2, v25
	v_addc_co_u32_e64 v27, s[20:21], 0, v3, s[20:21]
	flat_load_ushort v25, v[26:27]
	s_mov_b32 s20, 0xffff
	s_waitcnt vmcnt(0) lgkmcnt(0)
	v_bfi_b32 v10, s20, v25, v10
.LBB3005_106:
	s_or_b64 exec, exec, s[22:23]
	v_add_u32_e32 v25, 0x900, v14
	v_cmp_lt_u32_e64 s[20:21], v25, v0
	s_and_saveexec_b64 s[24:25], s[20:21]
	s_cbranch_execz .LBB3005_108
; %bb.107:
	v_lshlrev_b32_e32 v26, 1, v25
	v_add_co_u32_e64 v26, s[22:23], v2, v26
	v_addc_co_u32_e64 v27, s[22:23], 0, v3, s[22:23]
	flat_load_ushort v26, v[26:27]
	s_mov_b32 s22, 0x5040100
	s_waitcnt vmcnt(0) lgkmcnt(0)
	v_perm_b32 v10, v26, v10, s22
.LBB3005_108:
	s_or_b64 exec, exec, s[24:25]
	v_add_u32_e32 v26, 0xa00, v14
	v_cmp_lt_u32_e64 s[22:23], v26, v0
	s_and_saveexec_b64 s[26:27], s[22:23]
	s_cbranch_execz .LBB3005_110
; %bb.109:
	v_lshlrev_b32_e32 v27, 1, v26
	v_add_co_u32_e64 v28, s[24:25], v2, v27
	v_addc_co_u32_e64 v29, s[24:25], 0, v3, s[24:25]
	flat_load_ushort v27, v[28:29]
	s_mov_b32 s24, 0xffff
	s_waitcnt vmcnt(0) lgkmcnt(0)
	v_bfi_b32 v11, s24, v27, v11
.LBB3005_110:
	s_or_b64 exec, exec, s[26:27]
	v_add_u32_e32 v27, 0xb00, v14
	v_cmp_lt_u32_e64 s[24:25], v27, v0
	s_and_saveexec_b64 s[28:29], s[24:25]
	s_cbranch_execz .LBB3005_112
; %bb.111:
	v_lshlrev_b32_e32 v28, 1, v27
	v_add_co_u32_e64 v28, s[26:27], v2, v28
	v_addc_co_u32_e64 v29, s[26:27], 0, v3, s[26:27]
	flat_load_ushort v28, v[28:29]
	s_mov_b32 s26, 0x5040100
	s_waitcnt vmcnt(0) lgkmcnt(0)
	v_perm_b32 v11, v28, v11, s26
.LBB3005_112:
	s_or_b64 exec, exec, s[28:29]
	v_or_b32_e32 v28, 0xc00, v14
	v_cmp_lt_u32_e64 s[26:27], v28, v0
	s_and_saveexec_b64 s[30:31], s[26:27]
	s_cbranch_execz .LBB3005_114
; %bb.113:
	v_lshlrev_b32_e32 v29, 1, v28
	v_add_co_u32_e64 v34, s[28:29], v2, v29
	v_addc_co_u32_e64 v35, s[28:29], 0, v3, s[28:29]
	flat_load_ushort v29, v[34:35]
	s_mov_b32 s28, 0xffff
	s_waitcnt vmcnt(0) lgkmcnt(0)
	v_bfi_b32 v12, s28, v29, v12
.LBB3005_114:
	s_or_b64 exec, exec, s[30:31]
	v_add_u32_e32 v29, 0xd00, v14
	v_cmp_lt_u32_e64 s[28:29], v29, v0
	s_and_saveexec_b64 s[34:35], s[28:29]
	s_cbranch_execz .LBB3005_116
; %bb.115:
	v_lshlrev_b32_e32 v33, 1, v29
	v_add_co_u32_e64 v34, s[30:31], v2, v33
	v_addc_co_u32_e64 v35, s[30:31], 0, v3, s[30:31]
	flat_load_ushort v33, v[34:35]
	s_mov_b32 s30, 0x5040100
	s_waitcnt vmcnt(0) lgkmcnt(0)
	v_perm_b32 v12, v33, v12, s30
.LBB3005_116:
	s_or_b64 exec, exec, s[34:35]
	v_add_u32_e32 v33, 0xe00, v14
	v_cmp_lt_u32_e64 s[30:31], v33, v0
	s_and_saveexec_b64 s[38:39], s[30:31]
	s_cbranch_execz .LBB3005_118
; %bb.117:
	v_lshlrev_b32_e32 v34, 1, v33
	v_add_co_u32_e64 v34, s[34:35], v2, v34
	v_addc_co_u32_e64 v35, s[34:35], 0, v3, s[34:35]
	flat_load_ushort v34, v[34:35]
	s_mov_b32 s34, 0xffff
	s_waitcnt vmcnt(0) lgkmcnt(0)
	v_bfi_b32 v13, s34, v34, v13
.LBB3005_118:
	s_or_b64 exec, exec, s[38:39]
	v_add_u32_e32 v34, 0xf00, v14
	v_cmp_lt_u32_e64 s[34:35], v34, v0
	s_and_saveexec_b64 s[40:41], s[34:35]
	s_cbranch_execz .LBB3005_120
; %bb.119:
	v_lshlrev_b32_e32 v35, 1, v34
	v_add_co_u32_e64 v2, s[38:39], v2, v35
	v_addc_co_u32_e64 v3, s[38:39], 0, v3, s[38:39]
	flat_load_ushort v2, v[2:3]
	s_mov_b32 s38, 0x5040100
	s_waitcnt vmcnt(0) lgkmcnt(0)
	v_perm_b32 v13, v2, v13, s38
.LBB3005_120:
	s_or_b64 exec, exec, s[40:41]
	v_and_b32_e32 v1, 60, v1
	v_add_u32_e32 v2, v1, v16
	v_lshrrev_b32_e32 v1, 4, v15
	v_and_b32_e32 v1, 0x7c, v1
	v_add_u32_e32 v1, v1, v16
	s_waitcnt vmcnt(0) lgkmcnt(0)
	ds_write_b16 v2, v6
	ds_write_b16_d16_hi v1, v6 offset:512
	v_lshrrev_b32_e32 v6, 4, v19
	v_and_b32_e32 v6, 0x7c, v6
	v_add_u32_e32 v15, v6, v16
	v_lshrrev_b32_e32 v6, 4, v20
	v_and_b32_e32 v6, 0x7c, v6
	v_lshrrev_b32_e32 v3, 4, v18
	v_add_u32_e32 v18, v6, v16
	v_lshrrev_b32_e32 v6, 4, v21
	v_and_b32_e32 v6, 0xfc, v6
	v_add_u32_e32 v19, v6, v16
	v_lshrrev_b32_e32 v6, 4, v22
	v_and_b32_e32 v6, 0xfc, v6
	;; [unrolled: 3-line block ×11, first 2 shown]
	v_and_b32_e32 v6, 0x1fc, v6
	v_and_b32_e32 v30, 0x1fe, v30
	v_add_u32_e32 v3, v3, v16
	ds_write_b16 v26, v12 offset:6144
	ds_write_b16_d16_hi v27, v12 offset:6656
	v_add_u32_e32 v29, v6, v16
	v_add_lshl_u32 v12, v30, v17, 1
	ds_write_b16 v3, v7 offset:1024
	ds_write_b16_d16_hi v15, v7 offset:1536
	ds_write_b16 v18, v8 offset:2048
	ds_write_b16_d16_hi v19, v8 offset:2560
	;; [unrolled: 2-line block ×6, first 2 shown]
	s_waitcnt lgkmcnt(0)
	s_barrier
	ds_read2_b32 v[6:7], v12 offset1:1
	ds_read2_b32 v[8:9], v12 offset0:2 offset1:3
	ds_read2_b32 v[10:11], v12 offset0:4 offset1:5
	;; [unrolled: 1-line block ×3, first 2 shown]
	s_waitcnt lgkmcnt(0)
	s_barrier
	s_load_dwordx2 s[38:39], s[8:9], 0x0
	v_mov_b32_e32 v33, 0
	s_waitcnt lgkmcnt(0)
	s_cmp_lt_u32 s12, s38
	s_cselect_b32 s38, 12, 18
	s_cmp_lt_u32 s13, s39
	s_cselect_b32 s12, 14, 20
	s_add_u32 s12, s8, s12
	s_addc_u32 s13, s9, 0
	s_add_u32 s8, s8, s38
	s_addc_u32 s9, s9, 0
	global_load_ushort v34, v33, s[12:13]
	global_load_ushort v35, v33, s[8:9]
	v_cmp_gt_u16_sdwa s[8:9], v6, v6 src0_sel:DWORD src1_sel:WORD_1
	v_alignbit_b32 v33, v6, v6, 16
	s_waitcnt vmcnt(1)
	v_mad_u32_u24 v31, v31, v34, v32
	s_waitcnt vmcnt(0)
	v_mul_lo_u32 v31, v31, v35
	v_add_lshl_u32 v31, v31, v14, 4
	v_sub_u32_e64 v32, v0, v31 clamp
	v_cmp_lt_u32_e64 s[38:39], 1, v32
	s_and_b64 s[8:9], s[38:39], s[8:9]
	v_cndmask_b32_e64 v6, v6, v33, s[8:9]
	v_cmp_lt_u32_e64 s[8:9], 3, v32
	s_and_saveexec_b64 s[40:41], s[8:9]
	s_cbranch_execnz .LBB3005_294
; %bb.121:
	s_or_b64 exec, exec, s[40:41]
	v_cmp_lt_u32_e64 s[40:41], 5, v32
	s_and_saveexec_b64 s[42:43], s[40:41]
	s_cbranch_execnz .LBB3005_295
.LBB3005_122:
	s_or_b64 exec, exec, s[42:43]
	v_cmp_lt_u32_e64 s[42:43], 7, v32
	s_and_saveexec_b64 s[44:45], s[42:43]
	s_cbranch_execnz .LBB3005_296
.LBB3005_123:
	s_or_b64 exec, exec, s[44:45]
	v_cmp_lt_u32_e64 s[44:45], 9, v32
	s_and_saveexec_b64 s[46:47], s[44:45]
	s_cbranch_execnz .LBB3005_297
.LBB3005_124:
	s_or_b64 exec, exec, s[46:47]
	v_cmp_lt_u32_e64 s[46:47], 11, v32
	s_and_saveexec_b64 s[48:49], s[46:47]
	s_cbranch_execnz .LBB3005_298
.LBB3005_125:
	s_or_b64 exec, exec, s[48:49]
	v_cmp_lt_u32_e64 s[48:49], 13, v32
	s_and_saveexec_b64 s[50:51], s[48:49]
	s_cbranch_execnz .LBB3005_299
.LBB3005_126:
	s_or_b64 exec, exec, s[50:51]
	v_cmp_lt_u32_e64 s[50:51], 15, v32
	s_and_saveexec_b64 s[52:53], s[50:51]
.LBB3005_127:
	v_alignbit_b32 v33, v13, v13, 16
	v_cmp_gt_u16_sdwa s[12:13], v13, v13 src0_sel:DWORD src1_sel:WORD_1
	v_cndmask_b32_e64 v13, v13, v33, s[12:13]
.LBB3005_128:
	s_or_b64 exec, exec, s[52:53]
	v_cmp_lt_u32_e64 s[52:53], 2, v32
	s_and_saveexec_b64 s[12:13], s[52:53]
	s_xor_b64 s[54:55], exec, s[12:13]
	s_cbranch_execnz .LBB3005_300
; %bb.129:
	s_or_b64 exec, exec, s[54:55]
	v_cmp_lt_u32_e64 s[54:55], 4, v32
	s_and_saveexec_b64 s[56:57], s[54:55]
	s_cbranch_execnz .LBB3005_301
.LBB3005_130:
	s_or_b64 exec, exec, s[56:57]
	v_cmp_lt_u32_e64 s[56:57], 6, v32
	s_and_saveexec_b64 s[58:59], s[56:57]
	s_cbranch_execnz .LBB3005_302
.LBB3005_131:
	s_or_b64 exec, exec, s[58:59]
	v_cmp_lt_u32_e64 s[58:59], 8, v32
	s_and_saveexec_b64 s[60:61], s[58:59]
	s_cbranch_execnz .LBB3005_303
.LBB3005_132:
	s_or_b64 exec, exec, s[60:61]
	v_cmp_lt_u32_e64 s[60:61], 10, v32
	s_and_saveexec_b64 s[62:63], s[60:61]
	s_cbranch_execnz .LBB3005_304
.LBB3005_133:
	s_or_b64 exec, exec, s[62:63]
	v_cmp_lt_u32_e64 s[62:63], 12, v32
	s_and_saveexec_b64 s[64:65], s[62:63]
	s_cbranch_execnz .LBB3005_305
.LBB3005_134:
	s_or_b64 exec, exec, s[64:65]
	v_cmp_lt_u32_e64 s[64:65], 14, v32
	s_and_saveexec_b64 s[72:73], s[64:65]
.LBB3005_135:
	s_mov_b32 s12, 0x5040100
	v_perm_b32 v32, v13, v12, s12
	s_mov_b32 s12, 0x7060302
	v_perm_b32 v33, v13, v12, s12
	v_cmp_gt_u16_sdwa s[12:13], v12, v13 src0_sel:WORD_1 src1_sel:DWORD
	v_cndmask_b32_e64 v13, v13, v33, s[12:13]
	v_cndmask_b32_e64 v12, v12, v32, s[12:13]
.LBB3005_136:
	s_or_b64 exec, exec, s[72:73]
	v_cmp_gt_u16_sdwa s[12:13], v6, v6 src0_sel:DWORD src1_sel:WORD_1
	v_alignbit_b32 v32, v6, v6, 16
	s_and_b64 s[12:13], s[38:39], s[12:13]
	v_cndmask_b32_e64 v6, v6, v32, s[12:13]
	s_and_saveexec_b64 s[72:73], s[8:9]
	s_cbranch_execnz .LBB3005_306
; %bb.137:
	s_or_b64 exec, exec, s[72:73]
	s_and_saveexec_b64 s[72:73], s[40:41]
	s_cbranch_execnz .LBB3005_307
.LBB3005_138:
	s_or_b64 exec, exec, s[72:73]
	s_and_saveexec_b64 s[72:73], s[42:43]
	s_cbranch_execnz .LBB3005_308
.LBB3005_139:
	s_or_b64 exec, exec, s[72:73]
	s_and_saveexec_b64 s[72:73], s[44:45]
	s_cbranch_execnz .LBB3005_309
.LBB3005_140:
	s_or_b64 exec, exec, s[72:73]
	s_and_saveexec_b64 s[72:73], s[46:47]
	s_cbranch_execnz .LBB3005_310
.LBB3005_141:
	s_or_b64 exec, exec, s[72:73]
	s_and_saveexec_b64 s[72:73], s[48:49]
	s_cbranch_execnz .LBB3005_311
.LBB3005_142:
	s_or_b64 exec, exec, s[72:73]
	s_and_saveexec_b64 s[72:73], s[50:51]
	s_cbranch_execnz .LBB3005_312
.LBB3005_143:
	s_or_b64 exec, exec, s[72:73]
	s_and_saveexec_b64 s[72:73], s[52:53]
	s_cbranch_execnz .LBB3005_313
.LBB3005_144:
	s_or_b64 exec, exec, s[72:73]
	s_and_saveexec_b64 s[72:73], s[54:55]
	s_cbranch_execnz .LBB3005_314
.LBB3005_145:
	s_or_b64 exec, exec, s[72:73]
	s_and_saveexec_b64 s[72:73], s[56:57]
	s_cbranch_execnz .LBB3005_315
.LBB3005_146:
	s_or_b64 exec, exec, s[72:73]
	s_and_saveexec_b64 s[72:73], s[58:59]
	s_cbranch_execnz .LBB3005_316
.LBB3005_147:
	s_or_b64 exec, exec, s[72:73]
	s_and_saveexec_b64 s[72:73], s[60:61]
	s_cbranch_execnz .LBB3005_317
.LBB3005_148:
	s_or_b64 exec, exec, s[72:73]
	s_and_saveexec_b64 s[72:73], s[62:63]
	s_cbranch_execnz .LBB3005_318
.LBB3005_149:
	s_or_b64 exec, exec, s[72:73]
	s_and_saveexec_b64 s[72:73], s[64:65]
.LBB3005_150:
	s_mov_b32 s12, 0x5040100
	v_perm_b32 v32, v13, v12, s12
	s_mov_b32 s12, 0x7060302
	v_perm_b32 v33, v13, v12, s12
	v_cmp_gt_u16_sdwa s[12:13], v12, v13 src0_sel:WORD_1 src1_sel:DWORD
	v_cndmask_b32_e64 v13, v13, v33, s[12:13]
	v_cndmask_b32_e64 v12, v12, v32, s[12:13]
.LBB3005_151:
	s_or_b64 exec, exec, s[72:73]
	v_cmp_gt_u16_sdwa s[12:13], v6, v6 src0_sel:DWORD src1_sel:WORD_1
	v_alignbit_b32 v32, v6, v6, 16
	s_and_b64 s[12:13], s[38:39], s[12:13]
	v_cndmask_b32_e64 v6, v6, v32, s[12:13]
	s_and_saveexec_b64 s[72:73], s[8:9]
	s_cbranch_execnz .LBB3005_319
; %bb.152:
	s_or_b64 exec, exec, s[72:73]
	s_and_saveexec_b64 s[72:73], s[40:41]
	s_cbranch_execnz .LBB3005_320
.LBB3005_153:
	s_or_b64 exec, exec, s[72:73]
	s_and_saveexec_b64 s[72:73], s[42:43]
	s_cbranch_execnz .LBB3005_321
.LBB3005_154:
	s_or_b64 exec, exec, s[72:73]
	s_and_saveexec_b64 s[72:73], s[44:45]
	s_cbranch_execnz .LBB3005_322
.LBB3005_155:
	s_or_b64 exec, exec, s[72:73]
	s_and_saveexec_b64 s[72:73], s[46:47]
	s_cbranch_execnz .LBB3005_323
.LBB3005_156:
	s_or_b64 exec, exec, s[72:73]
	s_and_saveexec_b64 s[72:73], s[48:49]
	s_cbranch_execnz .LBB3005_324
.LBB3005_157:
	s_or_b64 exec, exec, s[72:73]
	s_and_saveexec_b64 s[72:73], s[50:51]
	s_cbranch_execnz .LBB3005_325
.LBB3005_158:
	s_or_b64 exec, exec, s[72:73]
	s_and_saveexec_b64 s[72:73], s[52:53]
	s_cbranch_execnz .LBB3005_326
.LBB3005_159:
	s_or_b64 exec, exec, s[72:73]
	s_and_saveexec_b64 s[72:73], s[54:55]
	s_cbranch_execnz .LBB3005_327
.LBB3005_160:
	s_or_b64 exec, exec, s[72:73]
	s_and_saveexec_b64 s[72:73], s[56:57]
	s_cbranch_execnz .LBB3005_328
.LBB3005_161:
	s_or_b64 exec, exec, s[72:73]
	s_and_saveexec_b64 s[72:73], s[58:59]
	s_cbranch_execnz .LBB3005_329
.LBB3005_162:
	s_or_b64 exec, exec, s[72:73]
	s_and_saveexec_b64 s[72:73], s[60:61]
	s_cbranch_execnz .LBB3005_330
.LBB3005_163:
	s_or_b64 exec, exec, s[72:73]
	s_and_saveexec_b64 s[72:73], s[62:63]
	s_cbranch_execnz .LBB3005_331
.LBB3005_164:
	s_or_b64 exec, exec, s[72:73]
	s_and_saveexec_b64 s[72:73], s[64:65]
.LBB3005_165:
	s_mov_b32 s12, 0x5040100
	v_perm_b32 v32, v13, v12, s12
	s_mov_b32 s12, 0x7060302
	v_perm_b32 v33, v13, v12, s12
	v_cmp_gt_u16_sdwa s[12:13], v12, v13 src0_sel:WORD_1 src1_sel:DWORD
	v_cndmask_b32_e64 v13, v13, v33, s[12:13]
	v_cndmask_b32_e64 v12, v12, v32, s[12:13]
.LBB3005_166:
	s_or_b64 exec, exec, s[72:73]
	v_cmp_gt_u16_sdwa s[12:13], v6, v6 src0_sel:DWORD src1_sel:WORD_1
	v_alignbit_b32 v32, v6, v6, 16
	s_and_b64 s[12:13], s[38:39], s[12:13]
	v_cndmask_b32_e64 v6, v6, v32, s[12:13]
	s_and_saveexec_b64 s[72:73], s[8:9]
	s_cbranch_execnz .LBB3005_332
; %bb.167:
	s_or_b64 exec, exec, s[72:73]
	s_and_saveexec_b64 s[72:73], s[40:41]
	s_cbranch_execnz .LBB3005_333
.LBB3005_168:
	s_or_b64 exec, exec, s[72:73]
	s_and_saveexec_b64 s[72:73], s[42:43]
	s_cbranch_execnz .LBB3005_334
.LBB3005_169:
	s_or_b64 exec, exec, s[72:73]
	s_and_saveexec_b64 s[72:73], s[44:45]
	s_cbranch_execnz .LBB3005_335
.LBB3005_170:
	s_or_b64 exec, exec, s[72:73]
	s_and_saveexec_b64 s[72:73], s[46:47]
	s_cbranch_execnz .LBB3005_336
.LBB3005_171:
	s_or_b64 exec, exec, s[72:73]
	s_and_saveexec_b64 s[72:73], s[48:49]
	s_cbranch_execnz .LBB3005_337
.LBB3005_172:
	s_or_b64 exec, exec, s[72:73]
	s_and_saveexec_b64 s[72:73], s[50:51]
	s_cbranch_execnz .LBB3005_338
.LBB3005_173:
	s_or_b64 exec, exec, s[72:73]
	s_and_saveexec_b64 s[72:73], s[52:53]
	s_cbranch_execnz .LBB3005_339
.LBB3005_174:
	s_or_b64 exec, exec, s[72:73]
	s_and_saveexec_b64 s[72:73], s[54:55]
	s_cbranch_execnz .LBB3005_340
.LBB3005_175:
	s_or_b64 exec, exec, s[72:73]
	s_and_saveexec_b64 s[72:73], s[56:57]
	s_cbranch_execnz .LBB3005_341
.LBB3005_176:
	s_or_b64 exec, exec, s[72:73]
	s_and_saveexec_b64 s[72:73], s[58:59]
	s_cbranch_execnz .LBB3005_342
.LBB3005_177:
	s_or_b64 exec, exec, s[72:73]
	s_and_saveexec_b64 s[72:73], s[60:61]
	s_cbranch_execnz .LBB3005_343
.LBB3005_178:
	s_or_b64 exec, exec, s[72:73]
	s_and_saveexec_b64 s[72:73], s[62:63]
	s_cbranch_execnz .LBB3005_344
.LBB3005_179:
	s_or_b64 exec, exec, s[72:73]
	s_and_saveexec_b64 s[72:73], s[64:65]
.LBB3005_180:
	s_mov_b32 s12, 0x5040100
	v_perm_b32 v32, v13, v12, s12
	s_mov_b32 s12, 0x7060302
	v_perm_b32 v33, v13, v12, s12
	v_cmp_gt_u16_sdwa s[12:13], v12, v13 src0_sel:WORD_1 src1_sel:DWORD
	v_cndmask_b32_e64 v13, v13, v33, s[12:13]
	v_cndmask_b32_e64 v12, v12, v32, s[12:13]
.LBB3005_181:
	s_or_b64 exec, exec, s[72:73]
	v_cmp_gt_u16_sdwa s[12:13], v6, v6 src0_sel:DWORD src1_sel:WORD_1
	v_alignbit_b32 v32, v6, v6, 16
	s_and_b64 s[12:13], s[38:39], s[12:13]
	v_cndmask_b32_e64 v6, v6, v32, s[12:13]
	s_and_saveexec_b64 s[72:73], s[8:9]
	s_cbranch_execnz .LBB3005_345
; %bb.182:
	s_or_b64 exec, exec, s[72:73]
	s_and_saveexec_b64 s[72:73], s[40:41]
	s_cbranch_execnz .LBB3005_346
.LBB3005_183:
	s_or_b64 exec, exec, s[72:73]
	s_and_saveexec_b64 s[72:73], s[42:43]
	s_cbranch_execnz .LBB3005_347
.LBB3005_184:
	s_or_b64 exec, exec, s[72:73]
	s_and_saveexec_b64 s[72:73], s[44:45]
	s_cbranch_execnz .LBB3005_348
.LBB3005_185:
	s_or_b64 exec, exec, s[72:73]
	s_and_saveexec_b64 s[72:73], s[46:47]
	s_cbranch_execnz .LBB3005_349
.LBB3005_186:
	s_or_b64 exec, exec, s[72:73]
	s_and_saveexec_b64 s[72:73], s[48:49]
	s_cbranch_execnz .LBB3005_350
.LBB3005_187:
	s_or_b64 exec, exec, s[72:73]
	s_and_saveexec_b64 s[72:73], s[50:51]
	s_cbranch_execnz .LBB3005_351
.LBB3005_188:
	s_or_b64 exec, exec, s[72:73]
	s_and_saveexec_b64 s[72:73], s[52:53]
	s_cbranch_execnz .LBB3005_352
.LBB3005_189:
	s_or_b64 exec, exec, s[72:73]
	s_and_saveexec_b64 s[72:73], s[54:55]
	s_cbranch_execnz .LBB3005_353
.LBB3005_190:
	s_or_b64 exec, exec, s[72:73]
	s_and_saveexec_b64 s[72:73], s[56:57]
	s_cbranch_execnz .LBB3005_354
.LBB3005_191:
	s_or_b64 exec, exec, s[72:73]
	s_and_saveexec_b64 s[72:73], s[58:59]
	s_cbranch_execnz .LBB3005_355
.LBB3005_192:
	s_or_b64 exec, exec, s[72:73]
	s_and_saveexec_b64 s[72:73], s[60:61]
	s_cbranch_execnz .LBB3005_356
.LBB3005_193:
	s_or_b64 exec, exec, s[72:73]
	s_and_saveexec_b64 s[72:73], s[62:63]
	s_cbranch_execnz .LBB3005_357
.LBB3005_194:
	s_or_b64 exec, exec, s[72:73]
	s_and_saveexec_b64 s[72:73], s[64:65]
.LBB3005_195:
	s_mov_b32 s12, 0x5040100
	v_perm_b32 v32, v13, v12, s12
	s_mov_b32 s12, 0x7060302
	v_perm_b32 v33, v13, v12, s12
	v_cmp_gt_u16_sdwa s[12:13], v12, v13 src0_sel:WORD_1 src1_sel:DWORD
	v_cndmask_b32_e64 v13, v13, v33, s[12:13]
	v_cndmask_b32_e64 v12, v12, v32, s[12:13]
.LBB3005_196:
	s_or_b64 exec, exec, s[72:73]
	v_cmp_gt_u16_sdwa s[12:13], v6, v6 src0_sel:DWORD src1_sel:WORD_1
	v_alignbit_b32 v32, v6, v6, 16
	s_and_b64 s[12:13], s[38:39], s[12:13]
	v_cndmask_b32_e64 v6, v6, v32, s[12:13]
	s_and_saveexec_b64 s[72:73], s[8:9]
	s_cbranch_execnz .LBB3005_358
; %bb.197:
	s_or_b64 exec, exec, s[72:73]
	s_and_saveexec_b64 s[72:73], s[40:41]
	s_cbranch_execnz .LBB3005_359
.LBB3005_198:
	s_or_b64 exec, exec, s[72:73]
	s_and_saveexec_b64 s[72:73], s[42:43]
	s_cbranch_execnz .LBB3005_360
.LBB3005_199:
	s_or_b64 exec, exec, s[72:73]
	s_and_saveexec_b64 s[72:73], s[44:45]
	s_cbranch_execnz .LBB3005_361
.LBB3005_200:
	s_or_b64 exec, exec, s[72:73]
	s_and_saveexec_b64 s[72:73], s[46:47]
	s_cbranch_execnz .LBB3005_362
.LBB3005_201:
	s_or_b64 exec, exec, s[72:73]
	s_and_saveexec_b64 s[72:73], s[48:49]
	s_cbranch_execnz .LBB3005_363
.LBB3005_202:
	s_or_b64 exec, exec, s[72:73]
	s_and_saveexec_b64 s[72:73], s[50:51]
	s_cbranch_execnz .LBB3005_364
.LBB3005_203:
	s_or_b64 exec, exec, s[72:73]
	s_and_saveexec_b64 s[72:73], s[52:53]
	s_cbranch_execnz .LBB3005_365
.LBB3005_204:
	s_or_b64 exec, exec, s[72:73]
	s_and_saveexec_b64 s[72:73], s[54:55]
	s_cbranch_execnz .LBB3005_366
.LBB3005_205:
	s_or_b64 exec, exec, s[72:73]
	s_and_saveexec_b64 s[72:73], s[56:57]
	s_cbranch_execnz .LBB3005_367
.LBB3005_206:
	s_or_b64 exec, exec, s[72:73]
	s_and_saveexec_b64 s[72:73], s[58:59]
	s_cbranch_execnz .LBB3005_368
.LBB3005_207:
	s_or_b64 exec, exec, s[72:73]
	s_and_saveexec_b64 s[72:73], s[60:61]
	s_cbranch_execnz .LBB3005_369
.LBB3005_208:
	s_or_b64 exec, exec, s[72:73]
	s_and_saveexec_b64 s[72:73], s[62:63]
	s_cbranch_execnz .LBB3005_370
.LBB3005_209:
	s_or_b64 exec, exec, s[72:73]
	s_and_saveexec_b64 s[72:73], s[64:65]
.LBB3005_210:
	s_mov_b32 s12, 0x5040100
	v_perm_b32 v32, v13, v12, s12
	s_mov_b32 s12, 0x7060302
	v_perm_b32 v33, v13, v12, s12
	v_cmp_gt_u16_sdwa s[12:13], v12, v13 src0_sel:WORD_1 src1_sel:DWORD
	v_cndmask_b32_e64 v13, v13, v33, s[12:13]
	v_cndmask_b32_e64 v12, v12, v32, s[12:13]
.LBB3005_211:
	s_or_b64 exec, exec, s[72:73]
	v_cmp_gt_u16_sdwa s[12:13], v6, v6 src0_sel:DWORD src1_sel:WORD_1
	v_alignbit_b32 v32, v6, v6, 16
	s_and_b64 s[12:13], s[38:39], s[12:13]
	v_cndmask_b32_e64 v6, v6, v32, s[12:13]
	s_and_saveexec_b64 s[72:73], s[8:9]
	s_cbranch_execnz .LBB3005_371
; %bb.212:
	s_or_b64 exec, exec, s[72:73]
	s_and_saveexec_b64 s[72:73], s[40:41]
	s_cbranch_execnz .LBB3005_372
.LBB3005_213:
	s_or_b64 exec, exec, s[72:73]
	s_and_saveexec_b64 s[72:73], s[42:43]
	s_cbranch_execnz .LBB3005_373
.LBB3005_214:
	s_or_b64 exec, exec, s[72:73]
	s_and_saveexec_b64 s[72:73], s[44:45]
	s_cbranch_execnz .LBB3005_374
.LBB3005_215:
	s_or_b64 exec, exec, s[72:73]
	s_and_saveexec_b64 s[72:73], s[46:47]
	s_cbranch_execnz .LBB3005_375
.LBB3005_216:
	s_or_b64 exec, exec, s[72:73]
	s_and_saveexec_b64 s[72:73], s[48:49]
	s_cbranch_execnz .LBB3005_376
.LBB3005_217:
	s_or_b64 exec, exec, s[72:73]
	s_and_saveexec_b64 s[72:73], s[50:51]
	s_cbranch_execnz .LBB3005_377
.LBB3005_218:
	s_or_b64 exec, exec, s[72:73]
	s_and_saveexec_b64 s[72:73], s[52:53]
	s_cbranch_execnz .LBB3005_378
.LBB3005_219:
	s_or_b64 exec, exec, s[72:73]
	s_and_saveexec_b64 s[72:73], s[54:55]
	s_cbranch_execnz .LBB3005_379
.LBB3005_220:
	s_or_b64 exec, exec, s[72:73]
	s_and_saveexec_b64 s[72:73], s[56:57]
	s_cbranch_execnz .LBB3005_380
.LBB3005_221:
	s_or_b64 exec, exec, s[72:73]
	s_and_saveexec_b64 s[72:73], s[58:59]
	s_cbranch_execnz .LBB3005_381
.LBB3005_222:
	s_or_b64 exec, exec, s[72:73]
	s_and_saveexec_b64 s[72:73], s[60:61]
	s_cbranch_execnz .LBB3005_382
.LBB3005_223:
	s_or_b64 exec, exec, s[72:73]
	s_and_saveexec_b64 s[72:73], s[62:63]
	s_cbranch_execnz .LBB3005_383
.LBB3005_224:
	s_or_b64 exec, exec, s[72:73]
	s_and_saveexec_b64 s[72:73], s[64:65]
.LBB3005_225:
	s_mov_b32 s12, 0x5040100
	v_perm_b32 v32, v13, v12, s12
	s_mov_b32 s12, 0x7060302
	v_perm_b32 v33, v13, v12, s12
	v_cmp_gt_u16_sdwa s[12:13], v12, v13 src0_sel:WORD_1 src1_sel:DWORD
	v_cndmask_b32_e64 v13, v13, v33, s[12:13]
	v_cndmask_b32_e64 v12, v12, v32, s[12:13]
.LBB3005_226:
	s_or_b64 exec, exec, s[72:73]
	v_cmp_gt_u16_sdwa s[12:13], v6, v6 src0_sel:DWORD src1_sel:WORD_1
	v_alignbit_b32 v32, v6, v6, 16
	s_and_b64 s[12:13], s[38:39], s[12:13]
	v_cndmask_b32_e64 v6, v6, v32, s[12:13]
	s_and_saveexec_b64 s[12:13], s[8:9]
	s_cbranch_execnz .LBB3005_384
; %bb.227:
	s_or_b64 exec, exec, s[12:13]
	s_and_saveexec_b64 s[12:13], s[40:41]
	s_cbranch_execnz .LBB3005_385
.LBB3005_228:
	s_or_b64 exec, exec, s[12:13]
	s_and_saveexec_b64 s[12:13], s[42:43]
	s_cbranch_execnz .LBB3005_386
.LBB3005_229:
	s_or_b64 exec, exec, s[12:13]
	s_and_saveexec_b64 s[12:13], s[44:45]
	s_cbranch_execnz .LBB3005_387
.LBB3005_230:
	s_or_b64 exec, exec, s[12:13]
	s_and_saveexec_b64 s[12:13], s[46:47]
	s_cbranch_execnz .LBB3005_388
.LBB3005_231:
	s_or_b64 exec, exec, s[12:13]
	s_and_saveexec_b64 s[12:13], s[48:49]
	s_cbranch_execnz .LBB3005_389
.LBB3005_232:
	s_or_b64 exec, exec, s[12:13]
	s_and_saveexec_b64 s[12:13], s[50:51]
	s_cbranch_execnz .LBB3005_390
.LBB3005_233:
	s_or_b64 exec, exec, s[12:13]
	s_and_saveexec_b64 s[12:13], s[52:53]
	s_cbranch_execnz .LBB3005_391
.LBB3005_234:
	s_or_b64 exec, exec, s[12:13]
	s_and_saveexec_b64 s[12:13], s[54:55]
	s_cbranch_execnz .LBB3005_392
.LBB3005_235:
	s_or_b64 exec, exec, s[12:13]
	s_and_saveexec_b64 s[12:13], s[56:57]
	s_cbranch_execnz .LBB3005_393
.LBB3005_236:
	s_or_b64 exec, exec, s[12:13]
	s_and_saveexec_b64 s[12:13], s[58:59]
	s_cbranch_execnz .LBB3005_394
.LBB3005_237:
	s_or_b64 exec, exec, s[12:13]
	s_and_saveexec_b64 s[12:13], s[60:61]
	s_cbranch_execnz .LBB3005_395
.LBB3005_238:
	s_or_b64 exec, exec, s[12:13]
	s_and_saveexec_b64 s[12:13], s[62:63]
	s_cbranch_execnz .LBB3005_396
.LBB3005_239:
	s_or_b64 exec, exec, s[12:13]
	s_and_saveexec_b64 s[12:13], s[64:65]
.LBB3005_240:
	s_mov_b32 s8, 0x5040100
	v_perm_b32 v32, v13, v12, s8
	s_mov_b32 s8, 0x7060302
	v_perm_b32 v33, v13, v12, s8
	v_cmp_gt_u16_sdwa s[8:9], v12, v13 src0_sel:WORD_1 src1_sel:DWORD
	v_cndmask_b32_e64 v13, v13, v33, s[8:9]
	v_cndmask_b32_e64 v12, v12, v32, s[8:9]
.LBB3005_241:
	s_or_b64 exec, exec, s[12:13]
	v_mbcnt_lo_u32_b32 v32, -1, 0
	v_mbcnt_hi_u32_b32 v34, -1, v32
	v_and_b32_e32 v31, 0xfffffc00, v31
	v_lshlrev_b32_e32 v33, 5, v34
	v_lshlrev_b32_e32 v34, 4, v34
	v_sub_u32_e64 v32, v0, v31 clamp
	v_or_b32_e32 v35, 16, v34
	v_min_u32_e32 v67, v32, v35
	v_add_u32_e32 v35, 16, v67
	v_and_b32_e32 v36, 0x7e0, v34
	v_min_u32_e32 v68, v32, v35
	v_and_b32_e32 v35, 16, v34
	v_min_u32_e32 v37, v32, v35
	v_sub_u32_e32 v35, v67, v36
	v_sub_u32_e32 v38, v68, v67
	v_lshlrev_b32_e32 v31, 1, v31
	v_sub_u32_e64 v70, v37, v38 clamp
	v_min_u32_e32 v35, v37, v35
	v_add_u32_e32 v33, v31, v33
	v_lshl_add_u32 v69, v36, 1, v31
	v_cmp_lt_u32_e64 s[8:9], v70, v35
	ds_write_b128 v33, v[6:9]
	ds_write_b128 v33, v[10:13] offset:16
	; wave barrier
	s_and_saveexec_b64 s[12:13], s[8:9]
	s_cbranch_execz .LBB3005_245
; %bb.242:
	v_lshlrev_b32_e32 v38, 1, v67
	v_lshlrev_b32_e32 v39, 1, v37
	v_add3_u32 v38, v31, v38, v39
	s_mov_b64 s[38:39], 0
.LBB3005_243:                           ; =>This Inner Loop Header: Depth=1
	v_add_u32_e32 v39, v35, v70
	v_lshrrev_b32_e32 v48, 1, v39
	v_and_b32_e32 v39, -2, v39
	v_not_b32_e32 v49, v48
	v_add_u32_e32 v39, v69, v39
	v_lshl_add_u32 v49, v49, 1, v38
	ds_read_u16 v39, v39
	ds_read_u16 v49, v49
	v_add_u32_e32 v50, 1, v48
	s_waitcnt lgkmcnt(0)
	v_cmp_gt_u16_e64 s[8:9], v39, v49
	v_cndmask_b32_e64 v35, v35, v48, s[8:9]
	v_cndmask_b32_e64 v70, v50, v70, s[8:9]
	v_cmp_ge_u32_e64 s[8:9], v70, v35
	s_or_b64 s[38:39], s[8:9], s[38:39]
	s_andn2_b64 exec, exec, s[38:39]
	s_cbranch_execnz .LBB3005_243
; %bb.244:
	s_or_b64 exec, exec, s[38:39]
.LBB3005_245:
	s_or_b64 exec, exec, s[12:13]
	v_add_u32_e32 v71, v70, v36
	v_add_u32_e32 v36, v67, v37
	v_sub_u32_e32 v80, v36, v70
	v_cmp_le_u32_e64 s[8:9], v71, v67
	v_cmp_le_u32_e64 s[12:13], v80, v68
	v_lshrrev_b32_e32 v35, 16, v6
	v_lshrrev_b32_e32 v38, 16, v7
	;; [unrolled: 1-line block ×8, first 2 shown]
	s_or_b64 s[8:9], s[8:9], s[12:13]
	v_mov_b32_e32 v36, v6
	v_mov_b32_e32 v37, v7
	;; [unrolled: 1-line block ×8, first 2 shown]
	s_and_saveexec_b64 s[62:63], s[8:9]
	s_cbranch_execz .LBB3005_251
; %bb.246:
	v_cmp_lt_u32_e64 s[8:9], v71, v67
                                        ; implicit-def: $vgpr6
	s_and_saveexec_b64 s[12:13], s[8:9]
	s_cbranch_execz .LBB3005_248
; %bb.247:
	v_lshl_add_u32 v6, v70, 1, v69
	ds_read_u16 v6, v6
.LBB3005_248:
	s_or_b64 exec, exec, s[12:13]
	v_cmp_ge_u32_e64 s[38:39], v80, v68
	v_cmp_lt_u32_e64 s[12:13], v80, v68
                                        ; implicit-def: $vgpr7
	s_and_saveexec_b64 s[40:41], s[12:13]
	s_cbranch_execz .LBB3005_250
; %bb.249:
	v_lshl_add_u32 v7, v80, 1, v31
	ds_read_u16 v7, v7
.LBB3005_250:
	s_or_b64 exec, exec, s[40:41]
	s_waitcnt lgkmcnt(0)
	v_cmp_le_u16_e64 s[12:13], v6, v7
	s_and_b64 s[8:9], s[8:9], s[12:13]
	s_or_b64 s[8:9], s[38:39], s[8:9]
	v_cndmask_b32_e64 v8, v80, v71, s[8:9]
	v_cndmask_b32_e64 v9, v68, v67, s[8:9]
	v_add_u32_e32 v8, 1, v8
	v_add_u32_e32 v9, -1, v9
	v_min_u32_e32 v9, v8, v9
	v_lshl_add_u32 v9, v9, 1, v31
	ds_read_u16 v9, v9
	v_cndmask_b32_e64 v10, v8, v80, s[8:9]
	v_cndmask_b32_e64 v8, v71, v8, s[8:9]
	v_cmp_lt_u32_e64 s[38:39], v8, v67
	v_cmp_ge_u32_e64 s[12:13], v10, v68
	s_waitcnt lgkmcnt(0)
	v_cndmask_b32_e64 v11, v9, v7, s[8:9]
	v_cndmask_b32_e64 v9, v6, v9, s[8:9]
	v_cmp_le_u16_e64 s[40:41], v9, v11
	s_and_b64 s[38:39], s[38:39], s[40:41]
	s_or_b64 s[38:39], s[12:13], s[38:39]
	v_cndmask_b32_e64 v12, v10, v8, s[38:39]
	v_cndmask_b32_e64 v13, v68, v67, s[38:39]
	v_add_u32_e32 v12, 1, v12
	v_add_u32_e32 v13, -1, v13
	v_min_u32_e32 v13, v12, v13
	v_lshl_add_u32 v13, v13, 1, v31
	ds_read_u16 v13, v13
	v_cndmask_b32_e64 v8, v8, v12, s[38:39]
	v_cndmask_b32_e64 v10, v12, v10, s[38:39]
	v_cmp_lt_u32_e64 s[40:41], v8, v67
	v_cmp_ge_u32_e64 s[12:13], v10, v68
	s_waitcnt lgkmcnt(0)
	v_cndmask_b32_e64 v37, v13, v11, s[38:39]
	v_cndmask_b32_e64 v13, v9, v13, s[38:39]
	;; [unrolled: 17-line block ×11, first 2 shown]
	v_cmp_le_u16_e64 s[60:61], v81, v80
	s_and_b64 s[58:59], s[58:59], s[60:61]
	s_or_b64 s[56:57], s[56:57], s[58:59]
	v_cndmask_b32_e64 v12, v10, v8, s[56:57]
	v_cndmask_b32_e64 v35, v68, v67, s[56:57]
	v_add_u32_e32 v12, 1, v12
	v_add_u32_e32 v35, -1, v35
	v_min_u32_e32 v35, v12, v35
	v_lshl_add_u32 v35, v35, 1, v31
	ds_read_u16 v82, v35
	v_cndmask_b32_e64 v36, v7, v6, s[8:9]
	v_cndmask_b32_e64 v8, v8, v12, s[56:57]
	v_cndmask_b32_e64 v35, v11, v9, s[38:39]
	v_cndmask_b32_e64 v37, v37, v13, s[42:43]
	s_waitcnt lgkmcnt(0)
	v_cndmask_b32_e64 v6, v82, v80, s[56:57]
	v_cndmask_b32_e64 v7, v81, v82, s[56:57]
	;; [unrolled: 1-line block ×3, first 2 shown]
	v_cmp_lt_u32_e64 s[38:39], v8, v67
	v_cmp_le_u16_e64 s[42:43], v7, v6
	v_cmp_ge_u32_e64 s[8:9], v9, v68
	s_and_b64 s[38:39], s[38:39], s[42:43]
	s_or_b64 s[8:9], s[8:9], s[38:39]
	v_cndmask_b32_e64 v10, v9, v8, s[8:9]
	v_cndmask_b32_e64 v11, v68, v67, s[8:9]
	v_add_u32_e32 v10, 1, v10
	v_add_u32_e32 v11, -1, v11
	v_min_u32_e32 v11, v10, v11
	v_lshl_add_u32 v11, v11, 1, v31
	ds_read_u16 v11, v11
	v_cndmask_b32_e64 v8, v8, v10, s[8:9]
	v_cndmask_b32_e64 v38, v38, v39, s[40:41]
	;; [unrolled: 1-line block ×3, first 2 shown]
	v_cmp_lt_u32_e64 s[40:41], v8, v67
	s_waitcnt lgkmcnt(0)
	v_cndmask_b32_e64 v12, v11, v6, s[8:9]
	v_cndmask_b32_e64 v11, v7, v11, s[8:9]
	v_cmp_le_u16_e64 s[42:43], v11, v12
	v_cmp_ge_u32_e64 s[38:39], v9, v68
	s_and_b64 s[40:41], s[40:41], s[42:43]
	s_or_b64 s[38:39], s[38:39], s[40:41]
	v_cndmask_b32_e64 v10, v9, v8, s[38:39]
	v_cndmask_b32_e64 v13, v68, v67, s[38:39]
	v_add_u32_e32 v10, 1, v10
	v_add_u32_e32 v13, -1, v13
	v_min_u32_e32 v13, v10, v13
	v_lshl_add_u32 v13, v13, 1, v31
	ds_read_u16 v13, v13
	v_cndmask_b32_e64 v39, v50, v51, s[46:47]
	v_cndmask_b32_e64 v50, v66, v69, s[12:13]
	;; [unrolled: 1-line block ×4, first 2 shown]
	s_waitcnt lgkmcnt(0)
	v_cndmask_b32_e64 v66, v13, v12, s[38:39]
	v_cndmask_b32_e64 v13, v11, v13, s[38:39]
	v_cmp_lt_u32_e64 s[40:41], v8, v67
	v_cmp_le_u16_e64 s[42:43], v13, v66
	v_cmp_ge_u32_e64 s[12:13], v9, v68
	s_and_b64 s[40:41], s[40:41], s[42:43]
	s_or_b64 s[12:13], s[12:13], s[40:41]
	v_cndmask_b32_e64 v51, v54, v55, s[48:49]
	v_cndmask_b32_e64 v10, v9, v8, s[12:13]
	;; [unrolled: 1-line block ×3, first 2 shown]
	v_add_u32_e32 v10, 1, v10
	v_add_u32_e32 v54, -1, v54
	v_min_u32_e32 v54, v10, v54
	v_lshl_add_u32 v54, v54, 1, v31
	ds_read_u16 v69, v54
	v_cndmask_b32_e64 v48, v48, v49, s[44:45]
	v_cndmask_b32_e64 v49, v52, v53, s[50:51]
	;; [unrolled: 1-line block ×4, first 2 shown]
	s_waitcnt lgkmcnt(0)
	v_cndmask_b32_e64 v6, v13, v69, s[12:13]
	v_cndmask_b32_e64 v7, v10, v9, s[12:13]
	;; [unrolled: 1-line block ×4, first 2 shown]
	v_min_u16_e32 v10, v6, v9
	v_cmp_lt_u32_e64 s[8:9], v8, v67
	v_cndmask_b32_e64 v8, v9, v10, s[8:9]
	v_cmp_lt_u32_e64 s[8:9], v7, v68
	v_cndmask_b32_e64 v53, v70, v71, s[54:55]
	v_cndmask_b32_e64 v54, v80, v81, s[56:57]
	;; [unrolled: 1-line block ×5, first 2 shown]
	s_mov_b32 s8, 0x5040100
	v_perm_b32 v13, v66, v65, s8
	v_perm_b32 v12, v55, v64, s8
	;; [unrolled: 1-line block ×8, first 2 shown]
.LBB3005_251:
	s_or_b64 exec, exec, s[62:63]
	s_mov_b32 s8, 0x5040100
	v_perm_b32 v71, v51, v49, s8
	v_perm_b32 v70, v39, v48, s8
	;; [unrolled: 1-line block ×4, first 2 shown]
	; wave barrier
	ds_write_b128 v33, v[68:71]
	v_perm_b32 v71, v66, v65, s8
	v_perm_b32 v70, v55, v64, s8
	;; [unrolled: 1-line block ×4, first 2 shown]
	ds_write_b128 v33, v[68:71] offset:16
	v_and_b32_e32 v71, 0x7c0, v34
	v_or_b32_e32 v67, 32, v71
	v_min_u32_e32 v67, v32, v67
	v_add_u32_e32 v68, 32, v67
	v_min_u32_e32 v68, v32, v68
	v_and_b32_e32 v69, 48, v34
	v_min_u32_e32 v80, v32, v69
	v_sub_u32_e32 v81, v67, v71
	v_sub_u32_e32 v70, v68, v67
	v_sub_u32_e64 v70, v80, v70 clamp
	v_min_u32_e32 v81, v80, v81
	v_lshl_add_u32 v69, v71, 1, v31
	v_cmp_lt_u32_e64 s[8:9], v70, v81
	; wave barrier
	s_and_saveexec_b64 s[12:13], s[8:9]
	s_cbranch_execz .LBB3005_255
; %bb.252:
	v_lshlrev_b32_e32 v82, 1, v67
	v_lshlrev_b32_e32 v83, 1, v80
	v_add3_u32 v82, v31, v82, v83
	s_mov_b64 s[38:39], 0
.LBB3005_253:                           ; =>This Inner Loop Header: Depth=1
	v_add_u32_e32 v83, v81, v70
	v_lshrrev_b32_e32 v84, 1, v83
	v_and_b32_e32 v83, -2, v83
	v_not_b32_e32 v85, v84
	v_add_u32_e32 v83, v69, v83
	v_lshl_add_u32 v85, v85, 1, v82
	ds_read_u16 v83, v83
	ds_read_u16 v85, v85
	v_add_u32_e32 v86, 1, v84
	s_waitcnt lgkmcnt(0)
	v_cmp_gt_u16_e64 s[8:9], v83, v85
	v_cndmask_b32_e64 v81, v81, v84, s[8:9]
	v_cndmask_b32_e64 v70, v86, v70, s[8:9]
	v_cmp_ge_u32_e64 s[8:9], v70, v81
	s_or_b64 s[38:39], s[8:9], s[38:39]
	s_andn2_b64 exec, exec, s[38:39]
	s_cbranch_execnz .LBB3005_253
; %bb.254:
	s_or_b64 exec, exec, s[38:39]
.LBB3005_255:
	s_or_b64 exec, exec, s[12:13]
	v_add_u32_e32 v80, v67, v80
	v_add_u32_e32 v71, v70, v71
	v_sub_u32_e32 v80, v80, v70
	v_cmp_le_u32_e64 s[8:9], v71, v67
	v_cmp_le_u32_e64 s[12:13], v80, v68
	s_or_b64 s[8:9], s[8:9], s[12:13]
	s_and_saveexec_b64 s[62:63], s[8:9]
	s_cbranch_execz .LBB3005_261
; %bb.256:
	v_cmp_lt_u32_e64 s[8:9], v71, v67
                                        ; implicit-def: $vgpr6
	s_and_saveexec_b64 s[12:13], s[8:9]
	s_cbranch_execz .LBB3005_258
; %bb.257:
	v_lshl_add_u32 v6, v70, 1, v69
	ds_read_u16 v6, v6
.LBB3005_258:
	s_or_b64 exec, exec, s[12:13]
	v_cmp_ge_u32_e64 s[38:39], v80, v68
	v_cmp_lt_u32_e64 s[12:13], v80, v68
                                        ; implicit-def: $vgpr7
	s_and_saveexec_b64 s[40:41], s[12:13]
	s_cbranch_execz .LBB3005_260
; %bb.259:
	v_lshl_add_u32 v7, v80, 1, v31
	ds_read_u16 v7, v7
.LBB3005_260:
	s_or_b64 exec, exec, s[40:41]
	s_waitcnt lgkmcnt(0)
	v_cmp_le_u16_e64 s[12:13], v6, v7
	s_and_b64 s[8:9], s[8:9], s[12:13]
	s_or_b64 s[8:9], s[38:39], s[8:9]
	v_cndmask_b32_e64 v8, v80, v71, s[8:9]
	v_cndmask_b32_e64 v9, v68, v67, s[8:9]
	v_add_u32_e32 v8, 1, v8
	v_add_u32_e32 v9, -1, v9
	v_min_u32_e32 v9, v8, v9
	v_lshl_add_u32 v9, v9, 1, v31
	ds_read_u16 v9, v9
	v_cndmask_b32_e64 v10, v8, v80, s[8:9]
	v_cndmask_b32_e64 v8, v71, v8, s[8:9]
	v_cmp_lt_u32_e64 s[38:39], v8, v67
	v_cmp_ge_u32_e64 s[12:13], v10, v68
	s_waitcnt lgkmcnt(0)
	v_cndmask_b32_e64 v11, v9, v7, s[8:9]
	v_cndmask_b32_e64 v9, v6, v9, s[8:9]
	v_cmp_le_u16_e64 s[40:41], v9, v11
	s_and_b64 s[38:39], s[38:39], s[40:41]
	s_or_b64 s[38:39], s[12:13], s[38:39]
	v_cndmask_b32_e64 v12, v10, v8, s[38:39]
	v_cndmask_b32_e64 v13, v68, v67, s[38:39]
	v_add_u32_e32 v12, 1, v12
	v_add_u32_e32 v13, -1, v13
	v_min_u32_e32 v13, v12, v13
	v_lshl_add_u32 v13, v13, 1, v31
	ds_read_u16 v13, v13
	v_cndmask_b32_e64 v8, v8, v12, s[38:39]
	v_cndmask_b32_e64 v10, v12, v10, s[38:39]
	v_cmp_lt_u32_e64 s[40:41], v8, v67
	v_cmp_ge_u32_e64 s[12:13], v10, v68
	s_waitcnt lgkmcnt(0)
	v_cndmask_b32_e64 v37, v13, v11, s[38:39]
	v_cndmask_b32_e64 v13, v9, v13, s[38:39]
	v_cmp_le_u16_e64 s[42:43], v13, v37
	s_and_b64 s[40:41], s[40:41], s[42:43]
	s_or_b64 s[42:43], s[12:13], s[40:41]
	v_cndmask_b32_e64 v12, v10, v8, s[42:43]
	v_cndmask_b32_e64 v35, v68, v67, s[42:43]
	v_add_u32_e32 v12, 1, v12
	v_add_u32_e32 v35, -1, v35
	v_min_u32_e32 v35, v12, v35
	v_lshl_add_u32 v35, v35, 1, v31
	ds_read_u16 v35, v35
	v_cndmask_b32_e64 v8, v8, v12, s[42:43]
	v_cndmask_b32_e64 v10, v12, v10, s[42:43]
	v_cmp_lt_u32_e64 s[40:41], v8, v67
	v_cmp_ge_u32_e64 s[12:13], v10, v68
	s_waitcnt lgkmcnt(0)
	v_cndmask_b32_e64 v38, v35, v37, s[42:43]
	v_cndmask_b32_e64 v39, v13, v35, s[42:43]
	v_cmp_le_u16_e64 s[44:45], v39, v38
	s_and_b64 s[40:41], s[40:41], s[44:45]
	s_or_b64 s[40:41], s[12:13], s[40:41]
	v_cndmask_b32_e64 v12, v10, v8, s[40:41]
	v_cndmask_b32_e64 v35, v68, v67, s[40:41]
	v_add_u32_e32 v12, 1, v12
	v_add_u32_e32 v35, -1, v35
	v_min_u32_e32 v35, v12, v35
	v_lshl_add_u32 v35, v35, 1, v31
	ds_read_u16 v35, v35
	v_cndmask_b32_e64 v8, v8, v12, s[40:41]
	v_cndmask_b32_e64 v10, v12, v10, s[40:41]
	v_cmp_lt_u32_e64 s[44:45], v8, v67
	v_cmp_ge_u32_e64 s[12:13], v10, v68
	s_waitcnt lgkmcnt(0)
	v_cndmask_b32_e64 v48, v35, v38, s[40:41]
	v_cndmask_b32_e64 v49, v39, v35, s[40:41]
	v_cmp_le_u16_e64 s[46:47], v49, v48
	s_and_b64 s[44:45], s[44:45], s[46:47]
	s_or_b64 s[44:45], s[12:13], s[44:45]
	v_cndmask_b32_e64 v12, v10, v8, s[44:45]
	v_cndmask_b32_e64 v35, v68, v67, s[44:45]
	v_add_u32_e32 v12, 1, v12
	v_add_u32_e32 v35, -1, v35
	v_min_u32_e32 v35, v12, v35
	v_lshl_add_u32 v35, v35, 1, v31
	ds_read_u16 v35, v35
	v_cndmask_b32_e64 v8, v8, v12, s[44:45]
	v_cndmask_b32_e64 v10, v12, v10, s[44:45]
	v_cmp_lt_u32_e64 s[46:47], v8, v67
	v_cmp_ge_u32_e64 s[12:13], v10, v68
	s_waitcnt lgkmcnt(0)
	v_cndmask_b32_e64 v50, v35, v48, s[44:45]
	v_cndmask_b32_e64 v51, v49, v35, s[44:45]
	v_cmp_le_u16_e64 s[48:49], v51, v50
	s_and_b64 s[46:47], s[46:47], s[48:49]
	s_or_b64 s[46:47], s[12:13], s[46:47]
	v_cndmask_b32_e64 v12, v10, v8, s[46:47]
	v_cndmask_b32_e64 v35, v68, v67, s[46:47]
	v_add_u32_e32 v12, 1, v12
	v_add_u32_e32 v35, -1, v35
	v_min_u32_e32 v35, v12, v35
	v_lshl_add_u32 v35, v35, 1, v31
	ds_read_u16 v35, v35
	v_cndmask_b32_e64 v8, v8, v12, s[46:47]
	v_cndmask_b32_e64 v10, v12, v10, s[46:47]
	v_cmp_lt_u32_e64 s[48:49], v8, v67
	v_cmp_ge_u32_e64 s[12:13], v10, v68
	s_waitcnt lgkmcnt(0)
	v_cndmask_b32_e64 v52, v35, v50, s[46:47]
	v_cndmask_b32_e64 v53, v51, v35, s[46:47]
	v_cmp_le_u16_e64 s[50:51], v53, v52
	s_and_b64 s[48:49], s[48:49], s[50:51]
	s_or_b64 s[50:51], s[12:13], s[48:49]
	v_cndmask_b32_e64 v12, v10, v8, s[50:51]
	v_cndmask_b32_e64 v35, v68, v67, s[50:51]
	v_add_u32_e32 v12, 1, v12
	v_add_u32_e32 v35, -1, v35
	v_min_u32_e32 v35, v12, v35
	v_lshl_add_u32 v35, v35, 1, v31
	ds_read_u16 v35, v35
	v_cndmask_b32_e64 v8, v8, v12, s[50:51]
	v_cndmask_b32_e64 v10, v12, v10, s[50:51]
	v_cmp_lt_u32_e64 s[48:49], v8, v67
	v_cmp_ge_u32_e64 s[12:13], v10, v68
	s_waitcnt lgkmcnt(0)
	v_cndmask_b32_e64 v54, v35, v52, s[50:51]
	v_cndmask_b32_e64 v55, v53, v35, s[50:51]
	v_cmp_le_u16_e64 s[52:53], v55, v54
	s_and_b64 s[48:49], s[48:49], s[52:53]
	s_or_b64 s[48:49], s[12:13], s[48:49]
	v_cndmask_b32_e64 v12, v10, v8, s[48:49]
	v_cndmask_b32_e64 v35, v68, v67, s[48:49]
	v_add_u32_e32 v12, 1, v12
	v_add_u32_e32 v35, -1, v35
	v_min_u32_e32 v35, v12, v35
	v_lshl_add_u32 v35, v35, 1, v31
	ds_read_u16 v35, v35
	v_cndmask_b32_e64 v8, v8, v12, s[48:49]
	v_cndmask_b32_e64 v10, v12, v10, s[48:49]
	v_cmp_lt_u32_e64 s[52:53], v8, v67
	v_cmp_ge_u32_e64 s[12:13], v10, v68
	s_waitcnt lgkmcnt(0)
	v_cndmask_b32_e64 v64, v35, v54, s[48:49]
	v_cndmask_b32_e64 v65, v55, v35, s[48:49]
	v_cmp_le_u16_e64 s[54:55], v65, v64
	s_and_b64 s[52:53], s[52:53], s[54:55]
	s_or_b64 s[52:53], s[12:13], s[52:53]
	v_cndmask_b32_e64 v12, v10, v8, s[52:53]
	v_cndmask_b32_e64 v35, v68, v67, s[52:53]
	v_add_u32_e32 v12, 1, v12
	v_add_u32_e32 v35, -1, v35
	v_min_u32_e32 v35, v12, v35
	v_lshl_add_u32 v35, v35, 1, v31
	ds_read_u16 v35, v35
	v_cndmask_b32_e64 v8, v8, v12, s[52:53]
	v_cndmask_b32_e64 v10, v12, v10, s[52:53]
	v_cmp_lt_u32_e64 s[54:55], v8, v67
	v_cmp_ge_u32_e64 s[12:13], v10, v68
	s_waitcnt lgkmcnt(0)
	v_cndmask_b32_e64 v66, v35, v64, s[52:53]
	v_cndmask_b32_e64 v69, v65, v35, s[52:53]
	v_cmp_le_u16_e64 s[56:57], v69, v66
	s_and_b64 s[54:55], s[54:55], s[56:57]
	s_or_b64 s[12:13], s[12:13], s[54:55]
	v_cndmask_b32_e64 v12, v10, v8, s[12:13]
	v_cndmask_b32_e64 v35, v68, v67, s[12:13]
	v_add_u32_e32 v12, 1, v12
	v_add_u32_e32 v35, -1, v35
	v_min_u32_e32 v35, v12, v35
	v_lshl_add_u32 v35, v35, 1, v31
	ds_read_u16 v35, v35
	v_cndmask_b32_e64 v8, v8, v12, s[12:13]
	v_cndmask_b32_e64 v10, v12, v10, s[12:13]
	v_cmp_lt_u32_e64 s[56:57], v8, v67
	v_cmp_ge_u32_e64 s[54:55], v10, v68
	s_waitcnt lgkmcnt(0)
	v_cndmask_b32_e64 v70, v35, v66, s[12:13]
	v_cndmask_b32_e64 v71, v69, v35, s[12:13]
	v_cmp_le_u16_e64 s[58:59], v71, v70
	s_and_b64 s[56:57], s[56:57], s[58:59]
	s_or_b64 s[54:55], s[54:55], s[56:57]
	v_cndmask_b32_e64 v12, v10, v8, s[54:55]
	v_cndmask_b32_e64 v35, v68, v67, s[54:55]
	v_add_u32_e32 v12, 1, v12
	v_add_u32_e32 v35, -1, v35
	v_min_u32_e32 v35, v12, v35
	v_lshl_add_u32 v35, v35, 1, v31
	ds_read_u16 v35, v35
	v_cndmask_b32_e64 v8, v8, v12, s[54:55]
	v_cndmask_b32_e64 v10, v12, v10, s[54:55]
	v_cmp_lt_u32_e64 s[58:59], v8, v67
	v_cmp_ge_u32_e64 s[56:57], v10, v68
	s_waitcnt lgkmcnt(0)
	v_cndmask_b32_e64 v80, v35, v70, s[54:55]
	v_cndmask_b32_e64 v81, v71, v35, s[54:55]
	v_cmp_le_u16_e64 s[60:61], v81, v80
	s_and_b64 s[58:59], s[58:59], s[60:61]
	s_or_b64 s[56:57], s[56:57], s[58:59]
	v_cndmask_b32_e64 v12, v10, v8, s[56:57]
	v_cndmask_b32_e64 v35, v68, v67, s[56:57]
	v_add_u32_e32 v12, 1, v12
	v_add_u32_e32 v35, -1, v35
	v_min_u32_e32 v35, v12, v35
	v_lshl_add_u32 v35, v35, 1, v31
	ds_read_u16 v82, v35
	v_cndmask_b32_e64 v36, v7, v6, s[8:9]
	v_cndmask_b32_e64 v8, v8, v12, s[56:57]
	v_cndmask_b32_e64 v35, v11, v9, s[38:39]
	v_cndmask_b32_e64 v37, v37, v13, s[42:43]
	s_waitcnt lgkmcnt(0)
	v_cndmask_b32_e64 v6, v82, v80, s[56:57]
	v_cndmask_b32_e64 v7, v81, v82, s[56:57]
	;; [unrolled: 1-line block ×3, first 2 shown]
	v_cmp_lt_u32_e64 s[38:39], v8, v67
	v_cmp_le_u16_e64 s[42:43], v7, v6
	v_cmp_ge_u32_e64 s[8:9], v9, v68
	s_and_b64 s[38:39], s[38:39], s[42:43]
	s_or_b64 s[8:9], s[8:9], s[38:39]
	v_cndmask_b32_e64 v10, v9, v8, s[8:9]
	v_cndmask_b32_e64 v11, v68, v67, s[8:9]
	v_add_u32_e32 v10, 1, v10
	v_add_u32_e32 v11, -1, v11
	v_min_u32_e32 v11, v10, v11
	v_lshl_add_u32 v11, v11, 1, v31
	ds_read_u16 v11, v11
	v_cndmask_b32_e64 v8, v8, v10, s[8:9]
	v_cndmask_b32_e64 v38, v38, v39, s[40:41]
	;; [unrolled: 1-line block ×3, first 2 shown]
	v_cmp_lt_u32_e64 s[40:41], v8, v67
	s_waitcnt lgkmcnt(0)
	v_cndmask_b32_e64 v12, v11, v6, s[8:9]
	v_cndmask_b32_e64 v11, v7, v11, s[8:9]
	v_cmp_le_u16_e64 s[42:43], v11, v12
	v_cmp_ge_u32_e64 s[38:39], v9, v68
	s_and_b64 s[40:41], s[40:41], s[42:43]
	s_or_b64 s[38:39], s[38:39], s[40:41]
	v_cndmask_b32_e64 v10, v9, v8, s[38:39]
	v_cndmask_b32_e64 v13, v68, v67, s[38:39]
	v_add_u32_e32 v10, 1, v10
	v_add_u32_e32 v13, -1, v13
	v_min_u32_e32 v13, v10, v13
	v_lshl_add_u32 v13, v13, 1, v31
	ds_read_u16 v13, v13
	v_cndmask_b32_e64 v39, v50, v51, s[46:47]
	v_cndmask_b32_e64 v50, v66, v69, s[12:13]
	;; [unrolled: 1-line block ×4, first 2 shown]
	s_waitcnt lgkmcnt(0)
	v_cndmask_b32_e64 v66, v13, v12, s[38:39]
	v_cndmask_b32_e64 v13, v11, v13, s[38:39]
	v_cmp_lt_u32_e64 s[40:41], v8, v67
	v_cmp_le_u16_e64 s[42:43], v13, v66
	v_cmp_ge_u32_e64 s[12:13], v9, v68
	s_and_b64 s[40:41], s[40:41], s[42:43]
	s_or_b64 s[12:13], s[12:13], s[40:41]
	v_cndmask_b32_e64 v51, v54, v55, s[48:49]
	v_cndmask_b32_e64 v10, v9, v8, s[12:13]
	;; [unrolled: 1-line block ×3, first 2 shown]
	v_add_u32_e32 v10, 1, v10
	v_add_u32_e32 v54, -1, v54
	v_min_u32_e32 v54, v10, v54
	v_lshl_add_u32 v54, v54, 1, v31
	ds_read_u16 v69, v54
	v_cndmask_b32_e64 v48, v48, v49, s[44:45]
	v_cndmask_b32_e64 v49, v52, v53, s[50:51]
	;; [unrolled: 1-line block ×4, first 2 shown]
	s_waitcnt lgkmcnt(0)
	v_cndmask_b32_e64 v6, v13, v69, s[12:13]
	v_cndmask_b32_e64 v7, v10, v9, s[12:13]
	;; [unrolled: 1-line block ×4, first 2 shown]
	v_min_u16_e32 v10, v6, v9
	v_cmp_lt_u32_e64 s[8:9], v8, v67
	v_cndmask_b32_e64 v8, v9, v10, s[8:9]
	v_cmp_lt_u32_e64 s[8:9], v7, v68
	v_cndmask_b32_e64 v53, v70, v71, s[54:55]
	v_cndmask_b32_e64 v54, v80, v81, s[56:57]
	;; [unrolled: 1-line block ×5, first 2 shown]
	s_mov_b32 s8, 0x5040100
	v_perm_b32 v13, v66, v65, s8
	v_perm_b32 v12, v55, v64, s8
	;; [unrolled: 1-line block ×8, first 2 shown]
.LBB3005_261:
	s_or_b64 exec, exec, s[62:63]
	s_mov_b32 s8, 0x5040100
	v_perm_b32 v71, v51, v49, s8
	v_perm_b32 v70, v39, v48, s8
	;; [unrolled: 1-line block ×4, first 2 shown]
	; wave barrier
	ds_write_b128 v33, v[68:71]
	v_perm_b32 v71, v66, v65, s8
	v_perm_b32 v70, v55, v64, s8
	;; [unrolled: 1-line block ×4, first 2 shown]
	ds_write_b128 v33, v[68:71] offset:16
	v_and_b32_e32 v71, 0x780, v34
	v_or_b32_e32 v67, 64, v71
	v_min_u32_e32 v67, v32, v67
	v_add_u32_e32 v68, 64, v67
	v_min_u32_e32 v68, v32, v68
	v_and_b32_e32 v69, 0x70, v34
	v_min_u32_e32 v80, v32, v69
	v_sub_u32_e32 v81, v67, v71
	v_sub_u32_e32 v70, v68, v67
	v_sub_u32_e64 v70, v80, v70 clamp
	v_min_u32_e32 v81, v80, v81
	v_lshl_add_u32 v69, v71, 1, v31
	v_cmp_lt_u32_e64 s[8:9], v70, v81
	; wave barrier
	s_and_saveexec_b64 s[12:13], s[8:9]
	s_cbranch_execz .LBB3005_265
; %bb.262:
	v_lshlrev_b32_e32 v82, 1, v67
	v_lshlrev_b32_e32 v83, 1, v80
	v_add3_u32 v82, v31, v82, v83
	s_mov_b64 s[38:39], 0
.LBB3005_263:                           ; =>This Inner Loop Header: Depth=1
	v_add_u32_e32 v83, v81, v70
	v_lshrrev_b32_e32 v84, 1, v83
	v_and_b32_e32 v83, -2, v83
	v_not_b32_e32 v85, v84
	v_add_u32_e32 v83, v69, v83
	v_lshl_add_u32 v85, v85, 1, v82
	ds_read_u16 v83, v83
	ds_read_u16 v85, v85
	v_add_u32_e32 v86, 1, v84
	s_waitcnt lgkmcnt(0)
	v_cmp_gt_u16_e64 s[8:9], v83, v85
	v_cndmask_b32_e64 v81, v81, v84, s[8:9]
	v_cndmask_b32_e64 v70, v86, v70, s[8:9]
	v_cmp_ge_u32_e64 s[8:9], v70, v81
	s_or_b64 s[38:39], s[8:9], s[38:39]
	s_andn2_b64 exec, exec, s[38:39]
	s_cbranch_execnz .LBB3005_263
; %bb.264:
	s_or_b64 exec, exec, s[38:39]
.LBB3005_265:
	s_or_b64 exec, exec, s[12:13]
	v_add_u32_e32 v80, v67, v80
	v_add_u32_e32 v71, v70, v71
	v_sub_u32_e32 v80, v80, v70
	v_cmp_le_u32_e64 s[8:9], v71, v67
	v_cmp_le_u32_e64 s[12:13], v80, v68
	s_or_b64 s[8:9], s[8:9], s[12:13]
	s_and_saveexec_b64 s[62:63], s[8:9]
	s_cbranch_execz .LBB3005_271
; %bb.266:
	v_cmp_lt_u32_e64 s[8:9], v71, v67
                                        ; implicit-def: $vgpr6
	s_and_saveexec_b64 s[12:13], s[8:9]
	s_cbranch_execz .LBB3005_268
; %bb.267:
	v_lshl_add_u32 v6, v70, 1, v69
	ds_read_u16 v6, v6
.LBB3005_268:
	s_or_b64 exec, exec, s[12:13]
	v_cmp_ge_u32_e64 s[38:39], v80, v68
	v_cmp_lt_u32_e64 s[12:13], v80, v68
                                        ; implicit-def: $vgpr7
	s_and_saveexec_b64 s[40:41], s[12:13]
	s_cbranch_execz .LBB3005_270
; %bb.269:
	v_lshl_add_u32 v7, v80, 1, v31
	ds_read_u16 v7, v7
.LBB3005_270:
	s_or_b64 exec, exec, s[40:41]
	s_waitcnt lgkmcnt(0)
	v_cmp_le_u16_e64 s[12:13], v6, v7
	s_and_b64 s[8:9], s[8:9], s[12:13]
	s_or_b64 s[8:9], s[38:39], s[8:9]
	v_cndmask_b32_e64 v8, v80, v71, s[8:9]
	v_cndmask_b32_e64 v9, v68, v67, s[8:9]
	v_add_u32_e32 v8, 1, v8
	v_add_u32_e32 v9, -1, v9
	v_min_u32_e32 v9, v8, v9
	v_lshl_add_u32 v9, v9, 1, v31
	ds_read_u16 v9, v9
	v_cndmask_b32_e64 v10, v8, v80, s[8:9]
	v_cndmask_b32_e64 v8, v71, v8, s[8:9]
	v_cmp_lt_u32_e64 s[38:39], v8, v67
	v_cmp_ge_u32_e64 s[12:13], v10, v68
	s_waitcnt lgkmcnt(0)
	v_cndmask_b32_e64 v11, v9, v7, s[8:9]
	v_cndmask_b32_e64 v9, v6, v9, s[8:9]
	v_cmp_le_u16_e64 s[40:41], v9, v11
	s_and_b64 s[38:39], s[38:39], s[40:41]
	s_or_b64 s[38:39], s[12:13], s[38:39]
	v_cndmask_b32_e64 v12, v10, v8, s[38:39]
	v_cndmask_b32_e64 v13, v68, v67, s[38:39]
	v_add_u32_e32 v12, 1, v12
	v_add_u32_e32 v13, -1, v13
	v_min_u32_e32 v13, v12, v13
	v_lshl_add_u32 v13, v13, 1, v31
	ds_read_u16 v13, v13
	v_cndmask_b32_e64 v8, v8, v12, s[38:39]
	v_cndmask_b32_e64 v10, v12, v10, s[38:39]
	v_cmp_lt_u32_e64 s[40:41], v8, v67
	v_cmp_ge_u32_e64 s[12:13], v10, v68
	s_waitcnt lgkmcnt(0)
	v_cndmask_b32_e64 v37, v13, v11, s[38:39]
	v_cndmask_b32_e64 v13, v9, v13, s[38:39]
	;; [unrolled: 17-line block ×11, first 2 shown]
	v_cmp_le_u16_e64 s[60:61], v81, v80
	s_and_b64 s[58:59], s[58:59], s[60:61]
	s_or_b64 s[56:57], s[56:57], s[58:59]
	v_cndmask_b32_e64 v12, v10, v8, s[56:57]
	v_cndmask_b32_e64 v35, v68, v67, s[56:57]
	v_add_u32_e32 v12, 1, v12
	v_add_u32_e32 v35, -1, v35
	v_min_u32_e32 v35, v12, v35
	v_lshl_add_u32 v35, v35, 1, v31
	ds_read_u16 v82, v35
	v_cndmask_b32_e64 v36, v7, v6, s[8:9]
	v_cndmask_b32_e64 v8, v8, v12, s[56:57]
	;; [unrolled: 1-line block ×4, first 2 shown]
	s_waitcnt lgkmcnt(0)
	v_cndmask_b32_e64 v6, v82, v80, s[56:57]
	v_cndmask_b32_e64 v7, v81, v82, s[56:57]
	;; [unrolled: 1-line block ×3, first 2 shown]
	v_cmp_lt_u32_e64 s[38:39], v8, v67
	v_cmp_le_u16_e64 s[42:43], v7, v6
	v_cmp_ge_u32_e64 s[8:9], v9, v68
	s_and_b64 s[38:39], s[38:39], s[42:43]
	s_or_b64 s[8:9], s[8:9], s[38:39]
	v_cndmask_b32_e64 v10, v9, v8, s[8:9]
	v_cndmask_b32_e64 v11, v68, v67, s[8:9]
	v_add_u32_e32 v10, 1, v10
	v_add_u32_e32 v11, -1, v11
	v_min_u32_e32 v11, v10, v11
	v_lshl_add_u32 v11, v11, 1, v31
	ds_read_u16 v11, v11
	v_cndmask_b32_e64 v8, v8, v10, s[8:9]
	v_cndmask_b32_e64 v38, v38, v39, s[40:41]
	;; [unrolled: 1-line block ×3, first 2 shown]
	v_cmp_lt_u32_e64 s[40:41], v8, v67
	s_waitcnt lgkmcnt(0)
	v_cndmask_b32_e64 v12, v11, v6, s[8:9]
	v_cndmask_b32_e64 v11, v7, v11, s[8:9]
	v_cmp_le_u16_e64 s[42:43], v11, v12
	v_cmp_ge_u32_e64 s[38:39], v9, v68
	s_and_b64 s[40:41], s[40:41], s[42:43]
	s_or_b64 s[38:39], s[38:39], s[40:41]
	v_cndmask_b32_e64 v10, v9, v8, s[38:39]
	v_cndmask_b32_e64 v13, v68, v67, s[38:39]
	v_add_u32_e32 v10, 1, v10
	v_add_u32_e32 v13, -1, v13
	v_min_u32_e32 v13, v10, v13
	v_lshl_add_u32 v13, v13, 1, v31
	ds_read_u16 v13, v13
	v_cndmask_b32_e64 v39, v50, v51, s[46:47]
	v_cndmask_b32_e64 v50, v66, v69, s[12:13]
	;; [unrolled: 1-line block ×4, first 2 shown]
	s_waitcnt lgkmcnt(0)
	v_cndmask_b32_e64 v66, v13, v12, s[38:39]
	v_cndmask_b32_e64 v13, v11, v13, s[38:39]
	v_cmp_lt_u32_e64 s[40:41], v8, v67
	v_cmp_le_u16_e64 s[42:43], v13, v66
	v_cmp_ge_u32_e64 s[12:13], v9, v68
	s_and_b64 s[40:41], s[40:41], s[42:43]
	s_or_b64 s[12:13], s[12:13], s[40:41]
	v_cndmask_b32_e64 v51, v54, v55, s[48:49]
	v_cndmask_b32_e64 v10, v9, v8, s[12:13]
	;; [unrolled: 1-line block ×3, first 2 shown]
	v_add_u32_e32 v10, 1, v10
	v_add_u32_e32 v54, -1, v54
	v_min_u32_e32 v54, v10, v54
	v_lshl_add_u32 v54, v54, 1, v31
	ds_read_u16 v69, v54
	v_cndmask_b32_e64 v48, v48, v49, s[44:45]
	v_cndmask_b32_e64 v49, v52, v53, s[50:51]
	;; [unrolled: 1-line block ×4, first 2 shown]
	s_waitcnt lgkmcnt(0)
	v_cndmask_b32_e64 v6, v13, v69, s[12:13]
	v_cndmask_b32_e64 v7, v10, v9, s[12:13]
	;; [unrolled: 1-line block ×4, first 2 shown]
	v_min_u16_e32 v10, v6, v9
	v_cmp_lt_u32_e64 s[8:9], v8, v67
	v_cndmask_b32_e64 v8, v9, v10, s[8:9]
	v_cmp_lt_u32_e64 s[8:9], v7, v68
	v_cndmask_b32_e64 v53, v70, v71, s[54:55]
	v_cndmask_b32_e64 v54, v80, v81, s[56:57]
	v_cndmask_b32_e64 v55, v12, v11, s[38:39]
	v_cndmask_b32_e64 v65, v66, v13, s[12:13]
	v_cndmask_b32_e64 v66, v6, v8, s[8:9]
	s_mov_b32 s8, 0x5040100
	v_perm_b32 v13, v66, v65, s8
	v_perm_b32 v12, v55, v64, s8
	v_perm_b32 v11, v54, v53, s8
	v_perm_b32 v10, v50, v52, s8
	v_perm_b32 v9, v51, v49, s8
	v_perm_b32 v8, v39, v48, s8
	v_perm_b32 v7, v38, v37, s8
	v_perm_b32 v6, v35, v36, s8
.LBB3005_271:
	s_or_b64 exec, exec, s[62:63]
	s_mov_b32 s8, 0x5040100
	v_perm_b32 v70, v39, v48, s8
	v_perm_b32 v69, v38, v37, s8
	;; [unrolled: 1-line block ×7, first 2 shown]
	; wave barrier
	v_perm_b32 v71, v51, v49, s8
	ds_write_b128 v33, v[36:39] offset:16
	v_and_b32_e32 v36, 0x700, v34
	ds_write_b128 v33, v[68:71]
	v_or_b32_e32 v33, 0x80, v36
	v_min_u32_e32 v33, v32, v33
	v_add_u32_e32 v35, 0x80, v33
	v_min_u32_e32 v35, v32, v35
	v_and_b32_e32 v34, 0xf0, v34
	v_min_u32_e32 v37, v32, v34
	v_sub_u32_e32 v38, v33, v36
	v_sub_u32_e32 v34, v35, v33
	v_sub_u32_e64 v34, v37, v34 clamp
	v_min_u32_e32 v38, v37, v38
	v_lshl_add_u32 v32, v36, 1, v31
	v_cmp_lt_u32_e64 s[8:9], v34, v38
	; wave barrier
	s_and_saveexec_b64 s[12:13], s[8:9]
	s_cbranch_execz .LBB3005_275
; %bb.272:
	v_lshlrev_b32_e32 v39, 1, v33
	v_lshlrev_b32_e32 v48, 1, v37
	v_add3_u32 v39, v31, v39, v48
	s_mov_b64 s[38:39], 0
.LBB3005_273:                           ; =>This Inner Loop Header: Depth=1
	v_add_u32_e32 v48, v38, v34
	v_lshrrev_b32_e32 v49, 1, v48
	v_and_b32_e32 v48, -2, v48
	v_not_b32_e32 v50, v49
	v_add_u32_e32 v48, v32, v48
	v_lshl_add_u32 v50, v50, 1, v39
	ds_read_u16 v48, v48
	ds_read_u16 v50, v50
	v_add_u32_e32 v51, 1, v49
	s_waitcnt lgkmcnt(0)
	v_cmp_gt_u16_e64 s[8:9], v48, v50
	v_cndmask_b32_e64 v38, v38, v49, s[8:9]
	v_cndmask_b32_e64 v34, v51, v34, s[8:9]
	v_cmp_ge_u32_e64 s[8:9], v34, v38
	s_or_b64 s[38:39], s[8:9], s[38:39]
	s_andn2_b64 exec, exec, s[38:39]
	s_cbranch_execnz .LBB3005_273
; %bb.274:
	s_or_b64 exec, exec, s[38:39]
.LBB3005_275:
	s_or_b64 exec, exec, s[12:13]
	v_add_u32_e32 v37, v33, v37
	v_add_u32_e32 v36, v34, v36
	v_sub_u32_e32 v37, v37, v34
	v_cmp_le_u32_e64 s[8:9], v36, v33
	v_cmp_le_u32_e64 s[12:13], v37, v35
	s_or_b64 s[8:9], s[8:9], s[12:13]
	s_and_saveexec_b64 s[62:63], s[8:9]
	s_cbranch_execz .LBB3005_281
; %bb.276:
	v_cmp_lt_u32_e64 s[8:9], v36, v33
                                        ; implicit-def: $vgpr6
	s_and_saveexec_b64 s[12:13], s[8:9]
	s_cbranch_execz .LBB3005_278
; %bb.277:
	v_lshl_add_u32 v6, v34, 1, v32
	ds_read_u16 v6, v6
.LBB3005_278:
	s_or_b64 exec, exec, s[12:13]
	v_cmp_ge_u32_e64 s[38:39], v37, v35
	v_cmp_lt_u32_e64 s[12:13], v37, v35
                                        ; implicit-def: $vgpr7
	s_and_saveexec_b64 s[40:41], s[12:13]
	s_cbranch_execz .LBB3005_280
; %bb.279:
	v_lshl_add_u32 v7, v37, 1, v31
	ds_read_u16 v7, v7
.LBB3005_280:
	s_or_b64 exec, exec, s[40:41]
	s_waitcnt lgkmcnt(0)
	v_cmp_le_u16_e64 s[12:13], v6, v7
	s_and_b64 s[8:9], s[8:9], s[12:13]
	s_or_b64 s[8:9], s[38:39], s[8:9]
	v_cndmask_b32_e64 v8, v37, v36, s[8:9]
	v_cndmask_b32_e64 v9, v35, v33, s[8:9]
	v_add_u32_e32 v8, 1, v8
	v_add_u32_e32 v9, -1, v9
	v_min_u32_e32 v9, v8, v9
	v_lshl_add_u32 v9, v9, 1, v31
	ds_read_u16 v9, v9
	v_cndmask_b32_e64 v10, v8, v37, s[8:9]
	v_cndmask_b32_e64 v8, v36, v8, s[8:9]
	v_cmp_lt_u32_e64 s[38:39], v8, v33
	v_cmp_ge_u32_e64 s[12:13], v10, v35
	s_waitcnt lgkmcnt(0)
	v_cndmask_b32_e64 v11, v9, v7, s[8:9]
	v_cndmask_b32_e64 v9, v6, v9, s[8:9]
	v_cmp_le_u16_e64 s[40:41], v9, v11
	s_and_b64 s[38:39], s[38:39], s[40:41]
	s_or_b64 s[38:39], s[12:13], s[38:39]
	v_cndmask_b32_e64 v12, v10, v8, s[38:39]
	v_cndmask_b32_e64 v13, v35, v33, s[38:39]
	v_add_u32_e32 v12, 1, v12
	v_add_u32_e32 v13, -1, v13
	v_min_u32_e32 v13, v12, v13
	v_lshl_add_u32 v13, v13, 1, v31
	ds_read_u16 v13, v13
	v_cndmask_b32_e64 v8, v8, v12, s[38:39]
	v_cndmask_b32_e64 v10, v12, v10, s[38:39]
	v_cmp_lt_u32_e64 s[40:41], v8, v33
	v_cmp_ge_u32_e64 s[12:13], v10, v35
	s_waitcnt lgkmcnt(0)
	v_cndmask_b32_e64 v32, v13, v11, s[38:39]
	v_cndmask_b32_e64 v13, v9, v13, s[38:39]
	;; [unrolled: 17-line block ×11, first 2 shown]
	v_cmp_le_u16_e64 s[60:61], v67, v68
	s_and_b64 s[58:59], s[58:59], s[60:61]
	s_or_b64 s[56:57], s[56:57], s[58:59]
	v_cndmask_b32_e64 v12, v10, v8, s[56:57]
	v_cndmask_b32_e64 v69, v35, v33, s[56:57]
	v_add_u32_e32 v12, 1, v12
	v_add_u32_e32 v69, -1, v69
	v_min_u32_e32 v69, v12, v69
	v_lshl_add_u32 v69, v69, 1, v31
	ds_read_u16 v69, v69
	v_cndmask_b32_e64 v70, v11, v9, s[38:39]
	v_cndmask_b32_e64 v8, v8, v12, s[56:57]
	v_cndmask_b32_e64 v6, v7, v6, s[8:9]
	v_cndmask_b32_e64 v7, v32, v13, s[42:43]
	s_waitcnt lgkmcnt(0)
	v_cndmask_b32_e64 v9, v69, v68, s[56:57]
	v_cndmask_b32_e64 v11, v67, v69, s[56:57]
	;; [unrolled: 1-line block ×3, first 2 shown]
	v_cmp_lt_u32_e64 s[38:39], v8, v33
	v_cmp_le_u16_e64 s[42:43], v11, v9
	v_cmp_ge_u32_e64 s[8:9], v10, v35
	s_and_b64 s[38:39], s[38:39], s[42:43]
	s_or_b64 s[8:9], s[8:9], s[38:39]
	v_cndmask_b32_e64 v12, v10, v8, s[8:9]
	v_cndmask_b32_e64 v13, v35, v33, s[8:9]
	v_add_u32_e32 v12, 1, v12
	v_add_u32_e32 v13, -1, v13
	v_min_u32_e32 v13, v12, v13
	v_lshl_add_u32 v13, v13, 1, v31
	ds_read_u16 v13, v13
	v_cndmask_b32_e64 v32, v36, v34, s[40:41]
	v_cndmask_b32_e64 v34, v38, v37, s[44:45]
	;; [unrolled: 1-line block ×4, first 2 shown]
	s_waitcnt lgkmcnt(0)
	v_cndmask_b32_e64 v38, v13, v9, s[8:9]
	v_cndmask_b32_e64 v13, v11, v13, s[8:9]
	v_cmp_lt_u32_e64 s[40:41], v8, v33
	v_cmp_le_u16_e64 s[42:43], v13, v38
	v_cmp_ge_u32_e64 s[38:39], v10, v35
	s_and_b64 s[40:41], s[40:41], s[42:43]
	s_or_b64 s[38:39], s[38:39], s[40:41]
	v_cndmask_b32_e64 v36, v48, v39, s[46:47]
	v_cndmask_b32_e64 v12, v10, v8, s[38:39]
	;; [unrolled: 1-line block ×3, first 2 shown]
	v_add_u32_e32 v12, 1, v12
	v_add_u32_e32 v39, -1, v39
	v_min_u32_e32 v39, v12, v39
	v_lshl_add_u32 v39, v39, 1, v31
	ds_read_u16 v39, v39
	v_cndmask_b32_e64 v48, v52, v51, s[48:49]
	v_cndmask_b32_e64 v8, v8, v12, s[38:39]
	;; [unrolled: 1-line block ×3, first 2 shown]
	v_cmp_lt_u32_e64 s[40:41], v8, v33
	s_waitcnt lgkmcnt(0)
	v_cndmask_b32_e64 v52, v39, v38, s[38:39]
	v_cndmask_b32_e64 v39, v13, v39, s[38:39]
	v_cmp_le_u16_e64 s[42:43], v39, v52
	v_cndmask_b32_e64 v37, v50, v49, s[50:51]
	v_cndmask_b32_e64 v50, v64, v55, s[12:13]
	v_cmp_ge_u32_e64 s[12:13], v10, v35
	s_and_b64 s[40:41], s[40:41], s[42:43]
	s_or_b64 s[12:13], s[12:13], s[40:41]
	v_cndmask_b32_e64 v49, v54, v53, s[52:53]
	v_cndmask_b32_e64 v12, v10, v8, s[12:13]
	;; [unrolled: 1-line block ×3, first 2 shown]
	v_add_u32_e32 v12, 1, v12
	v_add_u32_e32 v53, -1, v53
	v_min_u32_e32 v53, v12, v53
	v_lshl_add_u32 v31, v53, 1, v31
	ds_read_u16 v31, v31
	v_cndmask_b32_e64 v9, v9, v11, s[8:9]
	v_cndmask_b32_e64 v11, v38, v13, s[38:39]
	v_cndmask_b32_e64 v8, v8, v12, s[12:13]
	v_cndmask_b32_e64 v10, v12, v10, s[12:13]
	s_waitcnt lgkmcnt(0)
	v_cndmask_b32_e64 v38, v39, v31, s[12:13]
	v_cndmask_b32_e64 v31, v31, v52, s[12:13]
	v_min_u16_e32 v12, v38, v31
	v_cmp_lt_u32_e64 s[8:9], v8, v33
	v_cndmask_b32_e64 v8, v31, v12, s[8:9]
	v_cmp_lt_u32_e64 s[8:9], v10, v35
	v_cndmask_b32_e64 v51, v66, v65, s[54:55]
	v_cndmask_b32_e64 v53, v68, v67, s[56:57]
	v_cndmask_b32_e64 v13, v52, v39, s[12:13]
	v_cndmask_b32_e64 v8, v38, v8, s[8:9]
	s_mov_b32 s8, 0x5040100
	v_perm_b32 v13, v8, v13, s8
	v_perm_b32 v12, v11, v9, s8
	;; [unrolled: 1-line block ×8, first 2 shown]
.LBB3005_281:
	s_or_b64 exec, exec, s[62:63]
	s_movk_i32 s74, 0x100
	v_cmp_lt_u32_e64 s[8:9], s74, v0
	v_lshlrev_b32_e32 v31, 5, v14
	; wave barrier
	s_waitcnt lgkmcnt(0)
	s_barrier
	s_and_saveexec_b64 s[62:63], s[8:9]
	s_cbranch_execz .LBB3005_398
; %bb.282:
	s_mov_b64 s[64:65], 0
	s_mov_b32 s75, 0x5040100
	s_branch .LBB3005_285
.LBB3005_283:                           ;   in Loop: Header=BB3005_285 Depth=1
	s_or_b64 exec, exec, s[40:41]
	s_waitcnt lgkmcnt(0)
	v_cmp_le_u16_e64 s[12:13], v6, v7
	s_and_b64 s[8:9], s[8:9], s[12:13]
	s_or_b64 s[8:9], s[38:39], s[8:9]
	v_cndmask_b32_e64 v8, v37, v36, s[8:9]
	v_cndmask_b32_e64 v9, v33, v32, s[8:9]
	v_add_u32_e32 v8, 1, v8
	v_add_u32_e32 v9, -1, v9
	v_min_u32_e32 v9, v8, v9
	v_lshlrev_b32_e32 v9, 1, v9
	ds_read_u16 v9, v9
	v_cndmask_b32_e64 v10, v8, v37, s[8:9]
	v_cndmask_b32_e64 v8, v36, v8, s[8:9]
	v_cmp_lt_u32_e64 s[38:39], v8, v32
	v_cmp_ge_u32_e64 s[12:13], v10, v33
	s_waitcnt lgkmcnt(0)
	v_cndmask_b32_e64 v11, v9, v7, s[8:9]
	v_cndmask_b32_e64 v9, v6, v9, s[8:9]
	v_cmp_le_u16_e64 s[40:41], v9, v11
	s_and_b64 s[38:39], s[38:39], s[40:41]
	s_or_b64 s[38:39], s[12:13], s[38:39]
	v_cndmask_b32_e64 v12, v10, v8, s[38:39]
	v_cndmask_b32_e64 v13, v33, v32, s[38:39]
	v_add_u32_e32 v12, 1, v12
	v_add_u32_e32 v13, -1, v13
	v_min_u32_e32 v13, v12, v13
	v_lshlrev_b32_e32 v13, 1, v13
	ds_read_u16 v13, v13
	v_cndmask_b32_e64 v8, v8, v12, s[38:39]
	v_cndmask_b32_e64 v10, v12, v10, s[38:39]
	v_cmp_lt_u32_e64 s[40:41], v8, v32
	v_cmp_ge_u32_e64 s[12:13], v10, v33
	s_waitcnt lgkmcnt(0)
	v_cndmask_b32_e64 v34, v13, v11, s[38:39]
	v_cndmask_b32_e64 v13, v9, v13, s[38:39]
	;; [unrolled: 17-line block ×11, first 2 shown]
	v_cmp_le_u16_e64 s[60:61], v67, v68
	s_and_b64 s[58:59], s[58:59], s[60:61]
	s_or_b64 s[56:57], s[56:57], s[58:59]
	v_cndmask_b32_e64 v12, v10, v8, s[56:57]
	v_cndmask_b32_e64 v69, v33, v32, s[56:57]
	v_add_u32_e32 v12, 1, v12
	v_add_u32_e32 v69, -1, v69
	v_min_u32_e32 v69, v12, v69
	v_lshlrev_b32_e32 v69, 1, v69
	ds_read_u16 v69, v69
	v_cndmask_b32_e64 v70, v11, v9, s[38:39]
	v_cndmask_b32_e64 v8, v8, v12, s[56:57]
	;; [unrolled: 1-line block ×4, first 2 shown]
	s_waitcnt lgkmcnt(0)
	v_cndmask_b32_e64 v9, v69, v68, s[56:57]
	v_cndmask_b32_e64 v11, v67, v69, s[56:57]
	;; [unrolled: 1-line block ×3, first 2 shown]
	v_cmp_lt_u32_e64 s[38:39], v8, v32
	v_cmp_le_u16_e64 s[42:43], v11, v9
	v_cmp_ge_u32_e64 s[8:9], v10, v33
	s_and_b64 s[38:39], s[38:39], s[42:43]
	s_or_b64 s[8:9], s[8:9], s[38:39]
	v_cndmask_b32_e64 v12, v10, v8, s[8:9]
	v_cndmask_b32_e64 v13, v33, v32, s[8:9]
	v_add_u32_e32 v12, 1, v12
	v_add_u32_e32 v13, -1, v13
	v_min_u32_e32 v13, v12, v13
	v_lshlrev_b32_e32 v13, 1, v13
	ds_read_u16 v13, v13
	v_cndmask_b32_e64 v34, v36, v35, s[40:41]
	v_cndmask_b32_e64 v35, v38, v37, s[44:45]
	;; [unrolled: 1-line block ×4, first 2 shown]
	s_waitcnt lgkmcnt(0)
	v_cndmask_b32_e64 v38, v13, v9, s[8:9]
	v_cndmask_b32_e64 v13, v11, v13, s[8:9]
	v_cmp_lt_u32_e64 s[40:41], v8, v32
	v_cmp_le_u16_e64 s[42:43], v13, v38
	v_cmp_ge_u32_e64 s[38:39], v10, v33
	s_and_b64 s[40:41], s[40:41], s[42:43]
	s_or_b64 s[38:39], s[38:39], s[40:41]
	v_cndmask_b32_e64 v36, v48, v39, s[46:47]
	v_cndmask_b32_e64 v12, v10, v8, s[38:39]
	;; [unrolled: 1-line block ×3, first 2 shown]
	v_add_u32_e32 v12, 1, v12
	v_add_u32_e32 v39, -1, v39
	v_min_u32_e32 v39, v12, v39
	v_lshlrev_b32_e32 v39, 1, v39
	ds_read_u16 v39, v39
	v_cndmask_b32_e64 v48, v52, v51, s[48:49]
	v_cndmask_b32_e64 v8, v8, v12, s[38:39]
	;; [unrolled: 1-line block ×3, first 2 shown]
	v_cmp_lt_u32_e64 s[40:41], v8, v32
	s_waitcnt lgkmcnt(0)
	v_cndmask_b32_e64 v52, v39, v38, s[38:39]
	v_cndmask_b32_e64 v39, v13, v39, s[38:39]
	v_cmp_le_u16_e64 s[42:43], v39, v52
	v_cndmask_b32_e64 v37, v50, v49, s[50:51]
	v_cndmask_b32_e64 v50, v64, v55, s[12:13]
	v_cmp_ge_u32_e64 s[12:13], v10, v33
	s_and_b64 s[40:41], s[40:41], s[42:43]
	s_or_b64 s[12:13], s[12:13], s[40:41]
	v_cndmask_b32_e64 v49, v54, v53, s[52:53]
	v_cndmask_b32_e64 v12, v10, v8, s[12:13]
	;; [unrolled: 1-line block ×3, first 2 shown]
	v_add_u32_e32 v12, 1, v12
	v_add_u32_e32 v53, -1, v53
	v_min_u32_e32 v53, v12, v53
	v_lshlrev_b32_e32 v53, 1, v53
	ds_read_u16 v53, v53
	v_cndmask_b32_e64 v9, v9, v11, s[8:9]
	v_cndmask_b32_e64 v11, v38, v13, s[38:39]
	v_cndmask_b32_e64 v13, v52, v39, s[12:13]
	v_cndmask_b32_e64 v8, v8, v12, s[12:13]
	s_waitcnt lgkmcnt(0)
	v_cndmask_b32_e64 v38, v39, v53, s[12:13]
	v_cndmask_b32_e64 v39, v53, v52, s[12:13]
	;; [unrolled: 1-line block ×3, first 2 shown]
	v_min_u16_e32 v12, v38, v39
	v_cmp_lt_u32_e64 s[8:9], v8, v32
	v_cndmask_b32_e64 v8, v39, v12, s[8:9]
	v_cmp_lt_u32_e64 s[8:9], v10, v33
	v_cndmask_b32_e64 v51, v66, v65, s[54:55]
	v_cndmask_b32_e64 v54, v68, v67, s[56:57]
	;; [unrolled: 1-line block ×3, first 2 shown]
	v_perm_b32 v13, v8, v13, s75
	v_perm_b32 v12, v11, v9, s75
	;; [unrolled: 1-line block ×8, first 2 shown]
.LBB3005_284:                           ;   in Loop: Header=BB3005_285 Depth=1
	s_or_b64 exec, exec, s[72:73]
	v_cmp_ge_u32_e64 s[8:9], s74, v0
	s_or_b64 s[64:65], s[8:9], s[64:65]
	s_barrier
	s_andn2_b64 exec, exec, s[64:65]
	s_cbranch_execz .LBB3005_397
.LBB3005_285:                           ; =>This Loop Header: Depth=1
                                        ;     Child Loop BB3005_287 Depth 2
	s_mov_b32 s8, s74
	s_lshl_b32 s74, s74, 1
	s_sub_i32 s12, 0, s74
	v_and_b32_e32 v36, s12, v17
	v_add_u32_e32 v32, s8, v36
	v_min_u32_e32 v32, v32, v0
	s_add_i32 s9, s74, -1
	v_add_u32_e32 v33, s8, v32
	v_min_u32_e32 v33, v33, v0
	v_and_b32_e32 v34, s9, v17
	v_min_u32_e32 v37, v34, v0
	v_sub_u32_e32 v38, v32, v36
	v_sub_u32_e32 v35, v33, v32
	v_sub_u32_e64 v35, v37, v35 clamp
	v_min_u32_e32 v38, v37, v38
	v_lshlrev_b32_e32 v34, 1, v36
	v_cmp_lt_u32_e64 s[8:9], v35, v38
	ds_write_b128 v31, v[6:9]
	ds_write_b128 v31, v[10:13] offset:16
	s_waitcnt lgkmcnt(0)
	s_barrier
	s_and_saveexec_b64 s[12:13], s[8:9]
	s_cbranch_execz .LBB3005_289
; %bb.286:                              ;   in Loop: Header=BB3005_285 Depth=1
	v_lshlrev_b32_e32 v39, 1, v37
	v_lshl_add_u32 v39, v32, 1, v39
	s_mov_b64 s[38:39], 0
.LBB3005_287:                           ;   Parent Loop BB3005_285 Depth=1
                                        ; =>  This Inner Loop Header: Depth=2
	v_add_u32_e32 v48, v38, v35
	v_lshrrev_b32_e32 v49, 1, v48
	v_and_b32_e32 v48, -2, v48
	v_not_b32_e32 v50, v49
	v_add_u32_e32 v48, v34, v48
	v_lshl_add_u32 v50, v50, 1, v39
	ds_read_u16 v48, v48
	ds_read_u16 v50, v50
	v_add_u32_e32 v51, 1, v49
	s_waitcnt lgkmcnt(0)
	v_cmp_gt_u16_e64 s[8:9], v48, v50
	v_cndmask_b32_e64 v38, v38, v49, s[8:9]
	v_cndmask_b32_e64 v35, v51, v35, s[8:9]
	v_cmp_ge_u32_e64 s[8:9], v35, v38
	s_or_b64 s[38:39], s[8:9], s[38:39]
	s_andn2_b64 exec, exec, s[38:39]
	s_cbranch_execnz .LBB3005_287
; %bb.288:                              ;   in Loop: Header=BB3005_285 Depth=1
	s_or_b64 exec, exec, s[38:39]
.LBB3005_289:                           ;   in Loop: Header=BB3005_285 Depth=1
	s_or_b64 exec, exec, s[12:13]
	v_sub_u32_e32 v37, v37, v35
	v_add_u32_e32 v36, v35, v36
	v_add_u32_e32 v37, v37, v32
	v_cmp_le_u32_e64 s[8:9], v36, v32
	v_cmp_le_u32_e64 s[12:13], v37, v33
	s_or_b64 s[8:9], s[8:9], s[12:13]
	s_and_saveexec_b64 s[72:73], s[8:9]
	s_cbranch_execz .LBB3005_284
; %bb.290:                              ;   in Loop: Header=BB3005_285 Depth=1
	v_cmp_lt_u32_e64 s[8:9], v36, v32
                                        ; implicit-def: $vgpr6
	s_and_saveexec_b64 s[12:13], s[8:9]
	s_cbranch_execz .LBB3005_292
; %bb.291:                              ;   in Loop: Header=BB3005_285 Depth=1
	v_lshl_add_u32 v6, v35, 1, v34
	ds_read_u16 v6, v6
.LBB3005_292:                           ;   in Loop: Header=BB3005_285 Depth=1
	s_or_b64 exec, exec, s[12:13]
	v_cmp_ge_u32_e64 s[38:39], v37, v33
	v_cmp_lt_u32_e64 s[12:13], v37, v33
                                        ; implicit-def: $vgpr7
	s_and_saveexec_b64 s[40:41], s[12:13]
	s_cbranch_execz .LBB3005_283
; %bb.293:                              ;   in Loop: Header=BB3005_285 Depth=1
	v_lshlrev_b32_e32 v7, 1, v37
	ds_read_u16 v7, v7
	s_branch .LBB3005_283
.LBB3005_294:
	v_alignbit_b32 v33, v7, v7, 16
	v_cmp_gt_u16_sdwa s[12:13], v7, v7 src0_sel:DWORD src1_sel:WORD_1
	v_cndmask_b32_e64 v7, v7, v33, s[12:13]
	s_or_b64 exec, exec, s[40:41]
	v_cmp_lt_u32_e64 s[40:41], 5, v32
	s_and_saveexec_b64 s[42:43], s[40:41]
	s_cbranch_execz .LBB3005_122
.LBB3005_295:
	v_alignbit_b32 v33, v8, v8, 16
	v_cmp_gt_u16_sdwa s[12:13], v8, v8 src0_sel:DWORD src1_sel:WORD_1
	v_cndmask_b32_e64 v8, v8, v33, s[12:13]
	s_or_b64 exec, exec, s[42:43]
	v_cmp_lt_u32_e64 s[42:43], 7, v32
	s_and_saveexec_b64 s[44:45], s[42:43]
	s_cbranch_execz .LBB3005_123
.LBB3005_296:
	v_alignbit_b32 v33, v9, v9, 16
	v_cmp_gt_u16_sdwa s[12:13], v9, v9 src0_sel:DWORD src1_sel:WORD_1
	v_cndmask_b32_e64 v9, v9, v33, s[12:13]
	s_or_b64 exec, exec, s[44:45]
	v_cmp_lt_u32_e64 s[44:45], 9, v32
	s_and_saveexec_b64 s[46:47], s[44:45]
	s_cbranch_execz .LBB3005_124
.LBB3005_297:
	v_alignbit_b32 v33, v10, v10, 16
	v_cmp_gt_u16_sdwa s[12:13], v10, v10 src0_sel:DWORD src1_sel:WORD_1
	v_cndmask_b32_e64 v10, v10, v33, s[12:13]
	s_or_b64 exec, exec, s[46:47]
	v_cmp_lt_u32_e64 s[46:47], 11, v32
	s_and_saveexec_b64 s[48:49], s[46:47]
	s_cbranch_execz .LBB3005_125
.LBB3005_298:
	v_alignbit_b32 v33, v11, v11, 16
	v_cmp_gt_u16_sdwa s[12:13], v11, v11 src0_sel:DWORD src1_sel:WORD_1
	v_cndmask_b32_e64 v11, v11, v33, s[12:13]
	s_or_b64 exec, exec, s[48:49]
	v_cmp_lt_u32_e64 s[48:49], 13, v32
	s_and_saveexec_b64 s[50:51], s[48:49]
	s_cbranch_execz .LBB3005_126
.LBB3005_299:
	v_alignbit_b32 v33, v12, v12, 16
	v_cmp_gt_u16_sdwa s[12:13], v12, v12 src0_sel:DWORD src1_sel:WORD_1
	v_cndmask_b32_e64 v12, v12, v33, s[12:13]
	s_or_b64 exec, exec, s[50:51]
	v_cmp_lt_u32_e64 s[50:51], 15, v32
	s_and_saveexec_b64 s[52:53], s[50:51]
	s_cbranch_execnz .LBB3005_127
	s_branch .LBB3005_128
.LBB3005_300:
	s_mov_b32 s12, 0x7060302
	v_perm_b32 v33, v7, v6, s12
	v_cmp_gt_u16_sdwa s[12:13], v6, v7 src0_sel:WORD_1 src1_sel:DWORD
	s_mov_b32 s56, 0x5040100
	v_cndmask_b32_e64 v49, v7, v33, s[12:13]
	v_perm_b32 v7, v7, v6, s56
	v_cndmask_b32_e64 v48, v6, v7, s[12:13]
	v_mov_b32_e32 v50, v8
	v_mov_b32_e32 v51, v9
	;; [unrolled: 1-line block ×6, first 2 shown]
	v_pk_mov_b32 v[6:7], v[48:49], v[48:49] op_sel:[0,1]
	v_pk_mov_b32 v[8:9], v[50:51], v[50:51] op_sel:[0,1]
	v_pk_mov_b32 v[10:11], v[52:53], v[52:53] op_sel:[0,1]
	v_pk_mov_b32 v[12:13], v[54:55], v[54:55] op_sel:[0,1]
	s_or_b64 exec, exec, s[54:55]
	v_cmp_lt_u32_e64 s[54:55], 4, v32
	s_and_saveexec_b64 s[56:57], s[54:55]
	s_cbranch_execz .LBB3005_130
.LBB3005_301:
	s_mov_b32 s12, 0x7060302
	v_perm_b32 v33, v8, v7, s12
	v_cmp_gt_u16_sdwa s[12:13], v7, v8 src0_sel:WORD_1 src1_sel:DWORD
	s_mov_b32 s58, 0x5040100
	v_cndmask_b32_e64 v33, v8, v33, s[12:13]
	v_perm_b32 v8, v8, v7, s58
	v_cndmask_b32_e64 v7, v7, v8, s[12:13]
	v_mov_b32_e32 v8, v33
	s_or_b64 exec, exec, s[56:57]
	v_cmp_lt_u32_e64 s[56:57], 6, v32
	s_and_saveexec_b64 s[58:59], s[56:57]
	s_cbranch_execz .LBB3005_131
.LBB3005_302:
	s_mov_b32 s12, 0x7060302
	v_perm_b32 v33, v9, v8, s12
	v_cmp_gt_u16_sdwa s[12:13], v8, v9 src0_sel:WORD_1 src1_sel:DWORD
	s_mov_b32 s60, 0x5040100
	v_cndmask_b32_e64 v33, v9, v33, s[12:13]
	v_perm_b32 v9, v9, v8, s60
	v_cndmask_b32_e64 v8, v8, v9, s[12:13]
	v_mov_b32_e32 v9, v33
	s_or_b64 exec, exec, s[58:59]
	v_cmp_lt_u32_e64 s[58:59], 8, v32
	s_and_saveexec_b64 s[60:61], s[58:59]
	s_cbranch_execz .LBB3005_132
.LBB3005_303:
	s_mov_b32 s12, 0x5040100
	v_perm_b32 v33, v10, v9, s12
	s_mov_b32 s12, 0x7060302
	v_perm_b32 v34, v10, v9, s12
	v_cmp_gt_u16_sdwa s[12:13], v9, v10 src0_sel:WORD_1 src1_sel:DWORD
	v_cndmask_b32_e64 v10, v10, v34, s[12:13]
	v_cndmask_b32_e64 v9, v9, v33, s[12:13]
	s_or_b64 exec, exec, s[60:61]
	v_cmp_lt_u32_e64 s[60:61], 10, v32
	s_and_saveexec_b64 s[62:63], s[60:61]
	s_cbranch_execz .LBB3005_133
.LBB3005_304:
	s_mov_b32 s12, 0x5040100
	v_perm_b32 v33, v11, v10, s12
	s_mov_b32 s12, 0x7060302
	v_perm_b32 v34, v11, v10, s12
	v_cmp_gt_u16_sdwa s[12:13], v10, v11 src0_sel:WORD_1 src1_sel:DWORD
	v_cndmask_b32_e64 v11, v11, v34, s[12:13]
	v_cndmask_b32_e64 v10, v10, v33, s[12:13]
	s_or_b64 exec, exec, s[62:63]
	v_cmp_lt_u32_e64 s[62:63], 12, v32
	s_and_saveexec_b64 s[64:65], s[62:63]
	s_cbranch_execz .LBB3005_134
.LBB3005_305:
	s_mov_b32 s12, 0x5040100
	v_perm_b32 v33, v12, v11, s12
	s_mov_b32 s12, 0x7060302
	v_perm_b32 v34, v12, v11, s12
	v_cmp_gt_u16_sdwa s[12:13], v11, v12 src0_sel:WORD_1 src1_sel:DWORD
	v_cndmask_b32_e64 v12, v12, v34, s[12:13]
	v_cndmask_b32_e64 v11, v11, v33, s[12:13]
	s_or_b64 exec, exec, s[64:65]
	v_cmp_lt_u32_e64 s[64:65], 14, v32
	s_and_saveexec_b64 s[72:73], s[64:65]
	s_cbranch_execnz .LBB3005_135
	s_branch .LBB3005_136
.LBB3005_306:
	v_alignbit_b32 v32, v7, v7, 16
	v_cmp_gt_u16_sdwa s[12:13], v7, v7 src0_sel:DWORD src1_sel:WORD_1
	v_cndmask_b32_e64 v7, v7, v32, s[12:13]
	s_or_b64 exec, exec, s[72:73]
	s_and_saveexec_b64 s[72:73], s[40:41]
	s_cbranch_execz .LBB3005_138
.LBB3005_307:
	v_alignbit_b32 v32, v8, v8, 16
	v_cmp_gt_u16_sdwa s[12:13], v8, v8 src0_sel:DWORD src1_sel:WORD_1
	v_cndmask_b32_e64 v8, v8, v32, s[12:13]
	s_or_b64 exec, exec, s[72:73]
	s_and_saveexec_b64 s[72:73], s[42:43]
	s_cbranch_execz .LBB3005_139
.LBB3005_308:
	v_alignbit_b32 v32, v9, v9, 16
	v_cmp_gt_u16_sdwa s[12:13], v9, v9 src0_sel:DWORD src1_sel:WORD_1
	v_cndmask_b32_e64 v9, v9, v32, s[12:13]
	s_or_b64 exec, exec, s[72:73]
	s_and_saveexec_b64 s[72:73], s[44:45]
	s_cbranch_execz .LBB3005_140
.LBB3005_309:
	v_alignbit_b32 v32, v10, v10, 16
	v_cmp_gt_u16_sdwa s[12:13], v10, v10 src0_sel:DWORD src1_sel:WORD_1
	v_cndmask_b32_e64 v10, v10, v32, s[12:13]
	s_or_b64 exec, exec, s[72:73]
	s_and_saveexec_b64 s[72:73], s[46:47]
	s_cbranch_execz .LBB3005_141
.LBB3005_310:
	v_alignbit_b32 v32, v11, v11, 16
	v_cmp_gt_u16_sdwa s[12:13], v11, v11 src0_sel:DWORD src1_sel:WORD_1
	v_cndmask_b32_e64 v11, v11, v32, s[12:13]
	s_or_b64 exec, exec, s[72:73]
	s_and_saveexec_b64 s[72:73], s[48:49]
	s_cbranch_execz .LBB3005_142
.LBB3005_311:
	v_alignbit_b32 v32, v12, v12, 16
	v_cmp_gt_u16_sdwa s[12:13], v12, v12 src0_sel:DWORD src1_sel:WORD_1
	v_cndmask_b32_e64 v12, v12, v32, s[12:13]
	s_or_b64 exec, exec, s[72:73]
	s_and_saveexec_b64 s[72:73], s[50:51]
	s_cbranch_execz .LBB3005_143
.LBB3005_312:
	v_alignbit_b32 v32, v13, v13, 16
	v_cmp_gt_u16_sdwa s[12:13], v13, v13 src0_sel:DWORD src1_sel:WORD_1
	v_cndmask_b32_e64 v13, v13, v32, s[12:13]
	s_or_b64 exec, exec, s[72:73]
	s_and_saveexec_b64 s[72:73], s[52:53]
	s_cbranch_execz .LBB3005_144
.LBB3005_313:
	s_mov_b32 s12, 0x7060302
	v_perm_b32 v32, v7, v6, s12
	v_cmp_gt_u16_sdwa s[12:13], v6, v7 src0_sel:WORD_1 src1_sel:DWORD
	s_mov_b32 s74, 0x5040100
	v_cndmask_b32_e64 v33, v7, v32, s[12:13]
	v_perm_b32 v7, v7, v6, s74
	v_cndmask_b32_e64 v32, v6, v7, s[12:13]
	v_mov_b32_e32 v34, v8
	v_mov_b32_e32 v35, v9
	v_mov_b32_e32 v36, v10
	v_mov_b32_e32 v37, v11
	v_mov_b32_e32 v38, v12
	v_mov_b32_e32 v39, v13
	v_pk_mov_b32 v[6:7], v[32:33], v[32:33] op_sel:[0,1]
	v_pk_mov_b32 v[8:9], v[34:35], v[34:35] op_sel:[0,1]
	;; [unrolled: 1-line block ×4, first 2 shown]
	s_or_b64 exec, exec, s[72:73]
	s_and_saveexec_b64 s[72:73], s[54:55]
	s_cbranch_execz .LBB3005_145
.LBB3005_314:
	s_mov_b32 s12, 0x7060302
	v_perm_b32 v32, v8, v7, s12
	v_cmp_gt_u16_sdwa s[12:13], v7, v8 src0_sel:WORD_1 src1_sel:DWORD
	s_mov_b32 s74, 0x5040100
	v_cndmask_b32_e64 v32, v8, v32, s[12:13]
	v_perm_b32 v8, v8, v7, s74
	v_cndmask_b32_e64 v7, v7, v8, s[12:13]
	v_mov_b32_e32 v8, v32
	s_or_b64 exec, exec, s[72:73]
	s_and_saveexec_b64 s[72:73], s[56:57]
	s_cbranch_execz .LBB3005_146
.LBB3005_315:
	s_mov_b32 s12, 0x7060302
	v_perm_b32 v32, v9, v8, s12
	v_cmp_gt_u16_sdwa s[12:13], v8, v9 src0_sel:WORD_1 src1_sel:DWORD
	s_mov_b32 s74, 0x5040100
	v_cndmask_b32_e64 v32, v9, v32, s[12:13]
	v_perm_b32 v9, v9, v8, s74
	v_cndmask_b32_e64 v8, v8, v9, s[12:13]
	v_mov_b32_e32 v9, v32
	s_or_b64 exec, exec, s[72:73]
	s_and_saveexec_b64 s[72:73], s[58:59]
	s_cbranch_execz .LBB3005_147
.LBB3005_316:
	s_mov_b32 s12, 0x5040100
	v_perm_b32 v32, v10, v9, s12
	s_mov_b32 s12, 0x7060302
	v_perm_b32 v33, v10, v9, s12
	v_cmp_gt_u16_sdwa s[12:13], v9, v10 src0_sel:WORD_1 src1_sel:DWORD
	v_cndmask_b32_e64 v10, v10, v33, s[12:13]
	v_cndmask_b32_e64 v9, v9, v32, s[12:13]
	s_or_b64 exec, exec, s[72:73]
	s_and_saveexec_b64 s[72:73], s[60:61]
	s_cbranch_execz .LBB3005_148
.LBB3005_317:
	s_mov_b32 s12, 0x5040100
	v_perm_b32 v32, v11, v10, s12
	s_mov_b32 s12, 0x7060302
	v_perm_b32 v33, v11, v10, s12
	v_cmp_gt_u16_sdwa s[12:13], v10, v11 src0_sel:WORD_1 src1_sel:DWORD
	v_cndmask_b32_e64 v11, v11, v33, s[12:13]
	v_cndmask_b32_e64 v10, v10, v32, s[12:13]
	s_or_b64 exec, exec, s[72:73]
	s_and_saveexec_b64 s[72:73], s[62:63]
	s_cbranch_execz .LBB3005_149
.LBB3005_318:
	s_mov_b32 s12, 0x5040100
	v_perm_b32 v32, v12, v11, s12
	s_mov_b32 s12, 0x7060302
	v_perm_b32 v33, v12, v11, s12
	v_cmp_gt_u16_sdwa s[12:13], v11, v12 src0_sel:WORD_1 src1_sel:DWORD
	v_cndmask_b32_e64 v12, v12, v33, s[12:13]
	v_cndmask_b32_e64 v11, v11, v32, s[12:13]
	s_or_b64 exec, exec, s[72:73]
	s_and_saveexec_b64 s[72:73], s[64:65]
	s_cbranch_execnz .LBB3005_150
	s_branch .LBB3005_151
.LBB3005_319:
	v_alignbit_b32 v32, v7, v7, 16
	v_cmp_gt_u16_sdwa s[12:13], v7, v7 src0_sel:DWORD src1_sel:WORD_1
	v_cndmask_b32_e64 v7, v7, v32, s[12:13]
	s_or_b64 exec, exec, s[72:73]
	s_and_saveexec_b64 s[72:73], s[40:41]
	s_cbranch_execz .LBB3005_153
.LBB3005_320:
	v_alignbit_b32 v32, v8, v8, 16
	v_cmp_gt_u16_sdwa s[12:13], v8, v8 src0_sel:DWORD src1_sel:WORD_1
	v_cndmask_b32_e64 v8, v8, v32, s[12:13]
	s_or_b64 exec, exec, s[72:73]
	s_and_saveexec_b64 s[72:73], s[42:43]
	s_cbranch_execz .LBB3005_154
.LBB3005_321:
	v_alignbit_b32 v32, v9, v9, 16
	v_cmp_gt_u16_sdwa s[12:13], v9, v9 src0_sel:DWORD src1_sel:WORD_1
	v_cndmask_b32_e64 v9, v9, v32, s[12:13]
	s_or_b64 exec, exec, s[72:73]
	s_and_saveexec_b64 s[72:73], s[44:45]
	s_cbranch_execz .LBB3005_155
.LBB3005_322:
	v_alignbit_b32 v32, v10, v10, 16
	v_cmp_gt_u16_sdwa s[12:13], v10, v10 src0_sel:DWORD src1_sel:WORD_1
	v_cndmask_b32_e64 v10, v10, v32, s[12:13]
	s_or_b64 exec, exec, s[72:73]
	s_and_saveexec_b64 s[72:73], s[46:47]
	s_cbranch_execz .LBB3005_156
.LBB3005_323:
	v_alignbit_b32 v32, v11, v11, 16
	v_cmp_gt_u16_sdwa s[12:13], v11, v11 src0_sel:DWORD src1_sel:WORD_1
	v_cndmask_b32_e64 v11, v11, v32, s[12:13]
	s_or_b64 exec, exec, s[72:73]
	s_and_saveexec_b64 s[72:73], s[48:49]
	s_cbranch_execz .LBB3005_157
.LBB3005_324:
	v_alignbit_b32 v32, v12, v12, 16
	v_cmp_gt_u16_sdwa s[12:13], v12, v12 src0_sel:DWORD src1_sel:WORD_1
	v_cndmask_b32_e64 v12, v12, v32, s[12:13]
	s_or_b64 exec, exec, s[72:73]
	s_and_saveexec_b64 s[72:73], s[50:51]
	s_cbranch_execz .LBB3005_158
.LBB3005_325:
	v_alignbit_b32 v32, v13, v13, 16
	v_cmp_gt_u16_sdwa s[12:13], v13, v13 src0_sel:DWORD src1_sel:WORD_1
	v_cndmask_b32_e64 v13, v13, v32, s[12:13]
	s_or_b64 exec, exec, s[72:73]
	s_and_saveexec_b64 s[72:73], s[52:53]
	s_cbranch_execz .LBB3005_159
.LBB3005_326:
	s_mov_b32 s12, 0x7060302
	v_perm_b32 v32, v7, v6, s12
	v_cmp_gt_u16_sdwa s[12:13], v6, v7 src0_sel:WORD_1 src1_sel:DWORD
	s_mov_b32 s74, 0x5040100
	v_cndmask_b32_e64 v33, v7, v32, s[12:13]
	v_perm_b32 v7, v7, v6, s74
	v_cndmask_b32_e64 v32, v6, v7, s[12:13]
	v_mov_b32_e32 v34, v8
	v_mov_b32_e32 v35, v9
	;; [unrolled: 1-line block ×6, first 2 shown]
	v_pk_mov_b32 v[6:7], v[32:33], v[32:33] op_sel:[0,1]
	v_pk_mov_b32 v[8:9], v[34:35], v[34:35] op_sel:[0,1]
	;; [unrolled: 1-line block ×4, first 2 shown]
	s_or_b64 exec, exec, s[72:73]
	s_and_saveexec_b64 s[72:73], s[54:55]
	s_cbranch_execz .LBB3005_160
.LBB3005_327:
	s_mov_b32 s12, 0x7060302
	v_perm_b32 v32, v8, v7, s12
	v_cmp_gt_u16_sdwa s[12:13], v7, v8 src0_sel:WORD_1 src1_sel:DWORD
	s_mov_b32 s74, 0x5040100
	v_cndmask_b32_e64 v32, v8, v32, s[12:13]
	v_perm_b32 v8, v8, v7, s74
	v_cndmask_b32_e64 v7, v7, v8, s[12:13]
	v_mov_b32_e32 v8, v32
	s_or_b64 exec, exec, s[72:73]
	s_and_saveexec_b64 s[72:73], s[56:57]
	s_cbranch_execz .LBB3005_161
.LBB3005_328:
	s_mov_b32 s12, 0x7060302
	v_perm_b32 v32, v9, v8, s12
	v_cmp_gt_u16_sdwa s[12:13], v8, v9 src0_sel:WORD_1 src1_sel:DWORD
	s_mov_b32 s74, 0x5040100
	v_cndmask_b32_e64 v32, v9, v32, s[12:13]
	v_perm_b32 v9, v9, v8, s74
	v_cndmask_b32_e64 v8, v8, v9, s[12:13]
	v_mov_b32_e32 v9, v32
	s_or_b64 exec, exec, s[72:73]
	s_and_saveexec_b64 s[72:73], s[58:59]
	s_cbranch_execz .LBB3005_162
.LBB3005_329:
	s_mov_b32 s12, 0x5040100
	v_perm_b32 v32, v10, v9, s12
	s_mov_b32 s12, 0x7060302
	v_perm_b32 v33, v10, v9, s12
	v_cmp_gt_u16_sdwa s[12:13], v9, v10 src0_sel:WORD_1 src1_sel:DWORD
	v_cndmask_b32_e64 v10, v10, v33, s[12:13]
	v_cndmask_b32_e64 v9, v9, v32, s[12:13]
	s_or_b64 exec, exec, s[72:73]
	s_and_saveexec_b64 s[72:73], s[60:61]
	s_cbranch_execz .LBB3005_163
.LBB3005_330:
	s_mov_b32 s12, 0x5040100
	v_perm_b32 v32, v11, v10, s12
	s_mov_b32 s12, 0x7060302
	v_perm_b32 v33, v11, v10, s12
	v_cmp_gt_u16_sdwa s[12:13], v10, v11 src0_sel:WORD_1 src1_sel:DWORD
	v_cndmask_b32_e64 v11, v11, v33, s[12:13]
	v_cndmask_b32_e64 v10, v10, v32, s[12:13]
	s_or_b64 exec, exec, s[72:73]
	s_and_saveexec_b64 s[72:73], s[62:63]
	s_cbranch_execz .LBB3005_164
.LBB3005_331:
	s_mov_b32 s12, 0x5040100
	v_perm_b32 v32, v12, v11, s12
	s_mov_b32 s12, 0x7060302
	v_perm_b32 v33, v12, v11, s12
	v_cmp_gt_u16_sdwa s[12:13], v11, v12 src0_sel:WORD_1 src1_sel:DWORD
	v_cndmask_b32_e64 v12, v12, v33, s[12:13]
	v_cndmask_b32_e64 v11, v11, v32, s[12:13]
	s_or_b64 exec, exec, s[72:73]
	s_and_saveexec_b64 s[72:73], s[64:65]
	s_cbranch_execnz .LBB3005_165
	s_branch .LBB3005_166
.LBB3005_332:
	v_alignbit_b32 v32, v7, v7, 16
	v_cmp_gt_u16_sdwa s[12:13], v7, v7 src0_sel:DWORD src1_sel:WORD_1
	v_cndmask_b32_e64 v7, v7, v32, s[12:13]
	s_or_b64 exec, exec, s[72:73]
	s_and_saveexec_b64 s[72:73], s[40:41]
	s_cbranch_execz .LBB3005_168
.LBB3005_333:
	v_alignbit_b32 v32, v8, v8, 16
	v_cmp_gt_u16_sdwa s[12:13], v8, v8 src0_sel:DWORD src1_sel:WORD_1
	v_cndmask_b32_e64 v8, v8, v32, s[12:13]
	s_or_b64 exec, exec, s[72:73]
	s_and_saveexec_b64 s[72:73], s[42:43]
	s_cbranch_execz .LBB3005_169
.LBB3005_334:
	v_alignbit_b32 v32, v9, v9, 16
	v_cmp_gt_u16_sdwa s[12:13], v9, v9 src0_sel:DWORD src1_sel:WORD_1
	v_cndmask_b32_e64 v9, v9, v32, s[12:13]
	s_or_b64 exec, exec, s[72:73]
	s_and_saveexec_b64 s[72:73], s[44:45]
	s_cbranch_execz .LBB3005_170
.LBB3005_335:
	v_alignbit_b32 v32, v10, v10, 16
	v_cmp_gt_u16_sdwa s[12:13], v10, v10 src0_sel:DWORD src1_sel:WORD_1
	v_cndmask_b32_e64 v10, v10, v32, s[12:13]
	s_or_b64 exec, exec, s[72:73]
	s_and_saveexec_b64 s[72:73], s[46:47]
	s_cbranch_execz .LBB3005_171
.LBB3005_336:
	v_alignbit_b32 v32, v11, v11, 16
	v_cmp_gt_u16_sdwa s[12:13], v11, v11 src0_sel:DWORD src1_sel:WORD_1
	v_cndmask_b32_e64 v11, v11, v32, s[12:13]
	s_or_b64 exec, exec, s[72:73]
	s_and_saveexec_b64 s[72:73], s[48:49]
	s_cbranch_execz .LBB3005_172
.LBB3005_337:
	v_alignbit_b32 v32, v12, v12, 16
	v_cmp_gt_u16_sdwa s[12:13], v12, v12 src0_sel:DWORD src1_sel:WORD_1
	v_cndmask_b32_e64 v12, v12, v32, s[12:13]
	s_or_b64 exec, exec, s[72:73]
	s_and_saveexec_b64 s[72:73], s[50:51]
	s_cbranch_execz .LBB3005_173
.LBB3005_338:
	v_alignbit_b32 v32, v13, v13, 16
	v_cmp_gt_u16_sdwa s[12:13], v13, v13 src0_sel:DWORD src1_sel:WORD_1
	v_cndmask_b32_e64 v13, v13, v32, s[12:13]
	s_or_b64 exec, exec, s[72:73]
	s_and_saveexec_b64 s[72:73], s[52:53]
	s_cbranch_execz .LBB3005_174
.LBB3005_339:
	s_mov_b32 s12, 0x7060302
	v_perm_b32 v32, v7, v6, s12
	v_cmp_gt_u16_sdwa s[12:13], v6, v7 src0_sel:WORD_1 src1_sel:DWORD
	s_mov_b32 s74, 0x5040100
	v_cndmask_b32_e64 v33, v7, v32, s[12:13]
	v_perm_b32 v7, v7, v6, s74
	v_cndmask_b32_e64 v32, v6, v7, s[12:13]
	v_mov_b32_e32 v34, v8
	v_mov_b32_e32 v35, v9
	;; [unrolled: 1-line block ×6, first 2 shown]
	v_pk_mov_b32 v[6:7], v[32:33], v[32:33] op_sel:[0,1]
	v_pk_mov_b32 v[8:9], v[34:35], v[34:35] op_sel:[0,1]
	;; [unrolled: 1-line block ×4, first 2 shown]
	s_or_b64 exec, exec, s[72:73]
	s_and_saveexec_b64 s[72:73], s[54:55]
	s_cbranch_execz .LBB3005_175
.LBB3005_340:
	s_mov_b32 s12, 0x7060302
	v_perm_b32 v32, v8, v7, s12
	v_cmp_gt_u16_sdwa s[12:13], v7, v8 src0_sel:WORD_1 src1_sel:DWORD
	s_mov_b32 s74, 0x5040100
	v_cndmask_b32_e64 v32, v8, v32, s[12:13]
	v_perm_b32 v8, v8, v7, s74
	v_cndmask_b32_e64 v7, v7, v8, s[12:13]
	v_mov_b32_e32 v8, v32
	s_or_b64 exec, exec, s[72:73]
	s_and_saveexec_b64 s[72:73], s[56:57]
	s_cbranch_execz .LBB3005_176
.LBB3005_341:
	s_mov_b32 s12, 0x7060302
	v_perm_b32 v32, v9, v8, s12
	v_cmp_gt_u16_sdwa s[12:13], v8, v9 src0_sel:WORD_1 src1_sel:DWORD
	s_mov_b32 s74, 0x5040100
	v_cndmask_b32_e64 v32, v9, v32, s[12:13]
	v_perm_b32 v9, v9, v8, s74
	v_cndmask_b32_e64 v8, v8, v9, s[12:13]
	v_mov_b32_e32 v9, v32
	s_or_b64 exec, exec, s[72:73]
	s_and_saveexec_b64 s[72:73], s[58:59]
	s_cbranch_execz .LBB3005_177
.LBB3005_342:
	s_mov_b32 s12, 0x5040100
	v_perm_b32 v32, v10, v9, s12
	s_mov_b32 s12, 0x7060302
	v_perm_b32 v33, v10, v9, s12
	v_cmp_gt_u16_sdwa s[12:13], v9, v10 src0_sel:WORD_1 src1_sel:DWORD
	v_cndmask_b32_e64 v10, v10, v33, s[12:13]
	v_cndmask_b32_e64 v9, v9, v32, s[12:13]
	s_or_b64 exec, exec, s[72:73]
	s_and_saveexec_b64 s[72:73], s[60:61]
	s_cbranch_execz .LBB3005_178
.LBB3005_343:
	s_mov_b32 s12, 0x5040100
	v_perm_b32 v32, v11, v10, s12
	s_mov_b32 s12, 0x7060302
	v_perm_b32 v33, v11, v10, s12
	v_cmp_gt_u16_sdwa s[12:13], v10, v11 src0_sel:WORD_1 src1_sel:DWORD
	v_cndmask_b32_e64 v11, v11, v33, s[12:13]
	v_cndmask_b32_e64 v10, v10, v32, s[12:13]
	s_or_b64 exec, exec, s[72:73]
	s_and_saveexec_b64 s[72:73], s[62:63]
	s_cbranch_execz .LBB3005_179
.LBB3005_344:
	s_mov_b32 s12, 0x5040100
	v_perm_b32 v32, v12, v11, s12
	s_mov_b32 s12, 0x7060302
	v_perm_b32 v33, v12, v11, s12
	v_cmp_gt_u16_sdwa s[12:13], v11, v12 src0_sel:WORD_1 src1_sel:DWORD
	v_cndmask_b32_e64 v12, v12, v33, s[12:13]
	v_cndmask_b32_e64 v11, v11, v32, s[12:13]
	s_or_b64 exec, exec, s[72:73]
	s_and_saveexec_b64 s[72:73], s[64:65]
	s_cbranch_execnz .LBB3005_180
	s_branch .LBB3005_181
.LBB3005_345:
	v_alignbit_b32 v32, v7, v7, 16
	v_cmp_gt_u16_sdwa s[12:13], v7, v7 src0_sel:DWORD src1_sel:WORD_1
	v_cndmask_b32_e64 v7, v7, v32, s[12:13]
	s_or_b64 exec, exec, s[72:73]
	s_and_saveexec_b64 s[72:73], s[40:41]
	s_cbranch_execz .LBB3005_183
.LBB3005_346:
	v_alignbit_b32 v32, v8, v8, 16
	v_cmp_gt_u16_sdwa s[12:13], v8, v8 src0_sel:DWORD src1_sel:WORD_1
	v_cndmask_b32_e64 v8, v8, v32, s[12:13]
	s_or_b64 exec, exec, s[72:73]
	s_and_saveexec_b64 s[72:73], s[42:43]
	s_cbranch_execz .LBB3005_184
.LBB3005_347:
	v_alignbit_b32 v32, v9, v9, 16
	v_cmp_gt_u16_sdwa s[12:13], v9, v9 src0_sel:DWORD src1_sel:WORD_1
	v_cndmask_b32_e64 v9, v9, v32, s[12:13]
	s_or_b64 exec, exec, s[72:73]
	s_and_saveexec_b64 s[72:73], s[44:45]
	s_cbranch_execz .LBB3005_185
.LBB3005_348:
	v_alignbit_b32 v32, v10, v10, 16
	v_cmp_gt_u16_sdwa s[12:13], v10, v10 src0_sel:DWORD src1_sel:WORD_1
	v_cndmask_b32_e64 v10, v10, v32, s[12:13]
	s_or_b64 exec, exec, s[72:73]
	s_and_saveexec_b64 s[72:73], s[46:47]
	s_cbranch_execz .LBB3005_186
.LBB3005_349:
	v_alignbit_b32 v32, v11, v11, 16
	v_cmp_gt_u16_sdwa s[12:13], v11, v11 src0_sel:DWORD src1_sel:WORD_1
	v_cndmask_b32_e64 v11, v11, v32, s[12:13]
	s_or_b64 exec, exec, s[72:73]
	s_and_saveexec_b64 s[72:73], s[48:49]
	s_cbranch_execz .LBB3005_187
.LBB3005_350:
	v_alignbit_b32 v32, v12, v12, 16
	v_cmp_gt_u16_sdwa s[12:13], v12, v12 src0_sel:DWORD src1_sel:WORD_1
	v_cndmask_b32_e64 v12, v12, v32, s[12:13]
	s_or_b64 exec, exec, s[72:73]
	s_and_saveexec_b64 s[72:73], s[50:51]
	s_cbranch_execz .LBB3005_188
.LBB3005_351:
	v_alignbit_b32 v32, v13, v13, 16
	v_cmp_gt_u16_sdwa s[12:13], v13, v13 src0_sel:DWORD src1_sel:WORD_1
	v_cndmask_b32_e64 v13, v13, v32, s[12:13]
	s_or_b64 exec, exec, s[72:73]
	s_and_saveexec_b64 s[72:73], s[52:53]
	s_cbranch_execz .LBB3005_189
.LBB3005_352:
	s_mov_b32 s12, 0x7060302
	v_perm_b32 v32, v7, v6, s12
	v_cmp_gt_u16_sdwa s[12:13], v6, v7 src0_sel:WORD_1 src1_sel:DWORD
	s_mov_b32 s74, 0x5040100
	v_cndmask_b32_e64 v33, v7, v32, s[12:13]
	v_perm_b32 v7, v7, v6, s74
	v_cndmask_b32_e64 v32, v6, v7, s[12:13]
	v_mov_b32_e32 v34, v8
	v_mov_b32_e32 v35, v9
	;; [unrolled: 1-line block ×6, first 2 shown]
	v_pk_mov_b32 v[6:7], v[32:33], v[32:33] op_sel:[0,1]
	v_pk_mov_b32 v[8:9], v[34:35], v[34:35] op_sel:[0,1]
	v_pk_mov_b32 v[10:11], v[36:37], v[36:37] op_sel:[0,1]
	v_pk_mov_b32 v[12:13], v[38:39], v[38:39] op_sel:[0,1]
	s_or_b64 exec, exec, s[72:73]
	s_and_saveexec_b64 s[72:73], s[54:55]
	s_cbranch_execz .LBB3005_190
.LBB3005_353:
	s_mov_b32 s12, 0x7060302
	v_perm_b32 v32, v8, v7, s12
	v_cmp_gt_u16_sdwa s[12:13], v7, v8 src0_sel:WORD_1 src1_sel:DWORD
	s_mov_b32 s74, 0x5040100
	v_cndmask_b32_e64 v32, v8, v32, s[12:13]
	v_perm_b32 v8, v8, v7, s74
	v_cndmask_b32_e64 v7, v7, v8, s[12:13]
	v_mov_b32_e32 v8, v32
	s_or_b64 exec, exec, s[72:73]
	s_and_saveexec_b64 s[72:73], s[56:57]
	s_cbranch_execz .LBB3005_191
.LBB3005_354:
	s_mov_b32 s12, 0x7060302
	v_perm_b32 v32, v9, v8, s12
	v_cmp_gt_u16_sdwa s[12:13], v8, v9 src0_sel:WORD_1 src1_sel:DWORD
	s_mov_b32 s74, 0x5040100
	v_cndmask_b32_e64 v32, v9, v32, s[12:13]
	v_perm_b32 v9, v9, v8, s74
	v_cndmask_b32_e64 v8, v8, v9, s[12:13]
	v_mov_b32_e32 v9, v32
	s_or_b64 exec, exec, s[72:73]
	s_and_saveexec_b64 s[72:73], s[58:59]
	s_cbranch_execz .LBB3005_192
.LBB3005_355:
	s_mov_b32 s12, 0x5040100
	v_perm_b32 v32, v10, v9, s12
	s_mov_b32 s12, 0x7060302
	v_perm_b32 v33, v10, v9, s12
	v_cmp_gt_u16_sdwa s[12:13], v9, v10 src0_sel:WORD_1 src1_sel:DWORD
	v_cndmask_b32_e64 v10, v10, v33, s[12:13]
	v_cndmask_b32_e64 v9, v9, v32, s[12:13]
	s_or_b64 exec, exec, s[72:73]
	s_and_saveexec_b64 s[72:73], s[60:61]
	s_cbranch_execz .LBB3005_193
.LBB3005_356:
	s_mov_b32 s12, 0x5040100
	v_perm_b32 v32, v11, v10, s12
	s_mov_b32 s12, 0x7060302
	v_perm_b32 v33, v11, v10, s12
	v_cmp_gt_u16_sdwa s[12:13], v10, v11 src0_sel:WORD_1 src1_sel:DWORD
	v_cndmask_b32_e64 v11, v11, v33, s[12:13]
	v_cndmask_b32_e64 v10, v10, v32, s[12:13]
	s_or_b64 exec, exec, s[72:73]
	s_and_saveexec_b64 s[72:73], s[62:63]
	s_cbranch_execz .LBB3005_194
.LBB3005_357:
	s_mov_b32 s12, 0x5040100
	v_perm_b32 v32, v12, v11, s12
	s_mov_b32 s12, 0x7060302
	v_perm_b32 v33, v12, v11, s12
	v_cmp_gt_u16_sdwa s[12:13], v11, v12 src0_sel:WORD_1 src1_sel:DWORD
	v_cndmask_b32_e64 v12, v12, v33, s[12:13]
	v_cndmask_b32_e64 v11, v11, v32, s[12:13]
	s_or_b64 exec, exec, s[72:73]
	s_and_saveexec_b64 s[72:73], s[64:65]
	s_cbranch_execnz .LBB3005_195
	s_branch .LBB3005_196
.LBB3005_358:
	v_alignbit_b32 v32, v7, v7, 16
	v_cmp_gt_u16_sdwa s[12:13], v7, v7 src0_sel:DWORD src1_sel:WORD_1
	v_cndmask_b32_e64 v7, v7, v32, s[12:13]
	s_or_b64 exec, exec, s[72:73]
	s_and_saveexec_b64 s[72:73], s[40:41]
	s_cbranch_execz .LBB3005_198
.LBB3005_359:
	v_alignbit_b32 v32, v8, v8, 16
	v_cmp_gt_u16_sdwa s[12:13], v8, v8 src0_sel:DWORD src1_sel:WORD_1
	v_cndmask_b32_e64 v8, v8, v32, s[12:13]
	s_or_b64 exec, exec, s[72:73]
	s_and_saveexec_b64 s[72:73], s[42:43]
	s_cbranch_execz .LBB3005_199
.LBB3005_360:
	v_alignbit_b32 v32, v9, v9, 16
	v_cmp_gt_u16_sdwa s[12:13], v9, v9 src0_sel:DWORD src1_sel:WORD_1
	v_cndmask_b32_e64 v9, v9, v32, s[12:13]
	s_or_b64 exec, exec, s[72:73]
	s_and_saveexec_b64 s[72:73], s[44:45]
	s_cbranch_execz .LBB3005_200
.LBB3005_361:
	v_alignbit_b32 v32, v10, v10, 16
	v_cmp_gt_u16_sdwa s[12:13], v10, v10 src0_sel:DWORD src1_sel:WORD_1
	v_cndmask_b32_e64 v10, v10, v32, s[12:13]
	s_or_b64 exec, exec, s[72:73]
	s_and_saveexec_b64 s[72:73], s[46:47]
	s_cbranch_execz .LBB3005_201
.LBB3005_362:
	v_alignbit_b32 v32, v11, v11, 16
	v_cmp_gt_u16_sdwa s[12:13], v11, v11 src0_sel:DWORD src1_sel:WORD_1
	v_cndmask_b32_e64 v11, v11, v32, s[12:13]
	s_or_b64 exec, exec, s[72:73]
	s_and_saveexec_b64 s[72:73], s[48:49]
	s_cbranch_execz .LBB3005_202
.LBB3005_363:
	v_alignbit_b32 v32, v12, v12, 16
	v_cmp_gt_u16_sdwa s[12:13], v12, v12 src0_sel:DWORD src1_sel:WORD_1
	v_cndmask_b32_e64 v12, v12, v32, s[12:13]
	s_or_b64 exec, exec, s[72:73]
	s_and_saveexec_b64 s[72:73], s[50:51]
	s_cbranch_execz .LBB3005_203
.LBB3005_364:
	v_alignbit_b32 v32, v13, v13, 16
	v_cmp_gt_u16_sdwa s[12:13], v13, v13 src0_sel:DWORD src1_sel:WORD_1
	v_cndmask_b32_e64 v13, v13, v32, s[12:13]
	s_or_b64 exec, exec, s[72:73]
	s_and_saveexec_b64 s[72:73], s[52:53]
	s_cbranch_execz .LBB3005_204
.LBB3005_365:
	s_mov_b32 s12, 0x7060302
	v_perm_b32 v32, v7, v6, s12
	v_cmp_gt_u16_sdwa s[12:13], v6, v7 src0_sel:WORD_1 src1_sel:DWORD
	s_mov_b32 s74, 0x5040100
	v_cndmask_b32_e64 v33, v7, v32, s[12:13]
	v_perm_b32 v7, v7, v6, s74
	v_cndmask_b32_e64 v32, v6, v7, s[12:13]
	v_mov_b32_e32 v34, v8
	v_mov_b32_e32 v35, v9
	;; [unrolled: 1-line block ×6, first 2 shown]
	v_pk_mov_b32 v[6:7], v[32:33], v[32:33] op_sel:[0,1]
	v_pk_mov_b32 v[8:9], v[34:35], v[34:35] op_sel:[0,1]
	;; [unrolled: 1-line block ×4, first 2 shown]
	s_or_b64 exec, exec, s[72:73]
	s_and_saveexec_b64 s[72:73], s[54:55]
	s_cbranch_execz .LBB3005_205
.LBB3005_366:
	s_mov_b32 s12, 0x7060302
	v_perm_b32 v32, v8, v7, s12
	v_cmp_gt_u16_sdwa s[12:13], v7, v8 src0_sel:WORD_1 src1_sel:DWORD
	s_mov_b32 s74, 0x5040100
	v_cndmask_b32_e64 v32, v8, v32, s[12:13]
	v_perm_b32 v8, v8, v7, s74
	v_cndmask_b32_e64 v7, v7, v8, s[12:13]
	v_mov_b32_e32 v8, v32
	s_or_b64 exec, exec, s[72:73]
	s_and_saveexec_b64 s[72:73], s[56:57]
	s_cbranch_execz .LBB3005_206
.LBB3005_367:
	s_mov_b32 s12, 0x7060302
	v_perm_b32 v32, v9, v8, s12
	v_cmp_gt_u16_sdwa s[12:13], v8, v9 src0_sel:WORD_1 src1_sel:DWORD
	s_mov_b32 s74, 0x5040100
	v_cndmask_b32_e64 v32, v9, v32, s[12:13]
	v_perm_b32 v9, v9, v8, s74
	v_cndmask_b32_e64 v8, v8, v9, s[12:13]
	v_mov_b32_e32 v9, v32
	s_or_b64 exec, exec, s[72:73]
	s_and_saveexec_b64 s[72:73], s[58:59]
	s_cbranch_execz .LBB3005_207
.LBB3005_368:
	s_mov_b32 s12, 0x5040100
	v_perm_b32 v32, v10, v9, s12
	s_mov_b32 s12, 0x7060302
	v_perm_b32 v33, v10, v9, s12
	v_cmp_gt_u16_sdwa s[12:13], v9, v10 src0_sel:WORD_1 src1_sel:DWORD
	v_cndmask_b32_e64 v10, v10, v33, s[12:13]
	v_cndmask_b32_e64 v9, v9, v32, s[12:13]
	s_or_b64 exec, exec, s[72:73]
	s_and_saveexec_b64 s[72:73], s[60:61]
	s_cbranch_execz .LBB3005_208
.LBB3005_369:
	s_mov_b32 s12, 0x5040100
	v_perm_b32 v32, v11, v10, s12
	s_mov_b32 s12, 0x7060302
	v_perm_b32 v33, v11, v10, s12
	v_cmp_gt_u16_sdwa s[12:13], v10, v11 src0_sel:WORD_1 src1_sel:DWORD
	v_cndmask_b32_e64 v11, v11, v33, s[12:13]
	v_cndmask_b32_e64 v10, v10, v32, s[12:13]
	s_or_b64 exec, exec, s[72:73]
	s_and_saveexec_b64 s[72:73], s[62:63]
	s_cbranch_execz .LBB3005_209
.LBB3005_370:
	s_mov_b32 s12, 0x5040100
	v_perm_b32 v32, v12, v11, s12
	s_mov_b32 s12, 0x7060302
	v_perm_b32 v33, v12, v11, s12
	v_cmp_gt_u16_sdwa s[12:13], v11, v12 src0_sel:WORD_1 src1_sel:DWORD
	v_cndmask_b32_e64 v12, v12, v33, s[12:13]
	v_cndmask_b32_e64 v11, v11, v32, s[12:13]
	s_or_b64 exec, exec, s[72:73]
	s_and_saveexec_b64 s[72:73], s[64:65]
	s_cbranch_execnz .LBB3005_210
	s_branch .LBB3005_211
.LBB3005_371:
	v_alignbit_b32 v32, v7, v7, 16
	v_cmp_gt_u16_sdwa s[12:13], v7, v7 src0_sel:DWORD src1_sel:WORD_1
	v_cndmask_b32_e64 v7, v7, v32, s[12:13]
	s_or_b64 exec, exec, s[72:73]
	s_and_saveexec_b64 s[72:73], s[40:41]
	s_cbranch_execz .LBB3005_213
.LBB3005_372:
	v_alignbit_b32 v32, v8, v8, 16
	v_cmp_gt_u16_sdwa s[12:13], v8, v8 src0_sel:DWORD src1_sel:WORD_1
	v_cndmask_b32_e64 v8, v8, v32, s[12:13]
	s_or_b64 exec, exec, s[72:73]
	s_and_saveexec_b64 s[72:73], s[42:43]
	s_cbranch_execz .LBB3005_214
.LBB3005_373:
	v_alignbit_b32 v32, v9, v9, 16
	v_cmp_gt_u16_sdwa s[12:13], v9, v9 src0_sel:DWORD src1_sel:WORD_1
	v_cndmask_b32_e64 v9, v9, v32, s[12:13]
	s_or_b64 exec, exec, s[72:73]
	s_and_saveexec_b64 s[72:73], s[44:45]
	s_cbranch_execz .LBB3005_215
.LBB3005_374:
	v_alignbit_b32 v32, v10, v10, 16
	v_cmp_gt_u16_sdwa s[12:13], v10, v10 src0_sel:DWORD src1_sel:WORD_1
	v_cndmask_b32_e64 v10, v10, v32, s[12:13]
	s_or_b64 exec, exec, s[72:73]
	s_and_saveexec_b64 s[72:73], s[46:47]
	s_cbranch_execz .LBB3005_216
.LBB3005_375:
	v_alignbit_b32 v32, v11, v11, 16
	v_cmp_gt_u16_sdwa s[12:13], v11, v11 src0_sel:DWORD src1_sel:WORD_1
	v_cndmask_b32_e64 v11, v11, v32, s[12:13]
	s_or_b64 exec, exec, s[72:73]
	s_and_saveexec_b64 s[72:73], s[48:49]
	s_cbranch_execz .LBB3005_217
.LBB3005_376:
	v_alignbit_b32 v32, v12, v12, 16
	v_cmp_gt_u16_sdwa s[12:13], v12, v12 src0_sel:DWORD src1_sel:WORD_1
	v_cndmask_b32_e64 v12, v12, v32, s[12:13]
	s_or_b64 exec, exec, s[72:73]
	s_and_saveexec_b64 s[72:73], s[50:51]
	s_cbranch_execz .LBB3005_218
.LBB3005_377:
	v_alignbit_b32 v32, v13, v13, 16
	v_cmp_gt_u16_sdwa s[12:13], v13, v13 src0_sel:DWORD src1_sel:WORD_1
	v_cndmask_b32_e64 v13, v13, v32, s[12:13]
	s_or_b64 exec, exec, s[72:73]
	s_and_saveexec_b64 s[72:73], s[52:53]
	s_cbranch_execz .LBB3005_219
.LBB3005_378:
	s_mov_b32 s12, 0x7060302
	v_perm_b32 v32, v7, v6, s12
	v_cmp_gt_u16_sdwa s[12:13], v6, v7 src0_sel:WORD_1 src1_sel:DWORD
	s_mov_b32 s74, 0x5040100
	v_cndmask_b32_e64 v33, v7, v32, s[12:13]
	v_perm_b32 v7, v7, v6, s74
	v_cndmask_b32_e64 v32, v6, v7, s[12:13]
	v_mov_b32_e32 v34, v8
	v_mov_b32_e32 v35, v9
	v_mov_b32_e32 v36, v10
	v_mov_b32_e32 v37, v11
	v_mov_b32_e32 v38, v12
	v_mov_b32_e32 v39, v13
	v_pk_mov_b32 v[6:7], v[32:33], v[32:33] op_sel:[0,1]
	v_pk_mov_b32 v[8:9], v[34:35], v[34:35] op_sel:[0,1]
	;; [unrolled: 1-line block ×4, first 2 shown]
	s_or_b64 exec, exec, s[72:73]
	s_and_saveexec_b64 s[72:73], s[54:55]
	s_cbranch_execz .LBB3005_220
.LBB3005_379:
	s_mov_b32 s12, 0x7060302
	v_perm_b32 v32, v8, v7, s12
	v_cmp_gt_u16_sdwa s[12:13], v7, v8 src0_sel:WORD_1 src1_sel:DWORD
	s_mov_b32 s74, 0x5040100
	v_cndmask_b32_e64 v32, v8, v32, s[12:13]
	v_perm_b32 v8, v8, v7, s74
	v_cndmask_b32_e64 v7, v7, v8, s[12:13]
	v_mov_b32_e32 v8, v32
	s_or_b64 exec, exec, s[72:73]
	s_and_saveexec_b64 s[72:73], s[56:57]
	s_cbranch_execz .LBB3005_221
.LBB3005_380:
	s_mov_b32 s12, 0x7060302
	v_perm_b32 v32, v9, v8, s12
	v_cmp_gt_u16_sdwa s[12:13], v8, v9 src0_sel:WORD_1 src1_sel:DWORD
	s_mov_b32 s74, 0x5040100
	v_cndmask_b32_e64 v32, v9, v32, s[12:13]
	v_perm_b32 v9, v9, v8, s74
	v_cndmask_b32_e64 v8, v8, v9, s[12:13]
	v_mov_b32_e32 v9, v32
	s_or_b64 exec, exec, s[72:73]
	s_and_saveexec_b64 s[72:73], s[58:59]
	s_cbranch_execz .LBB3005_222
.LBB3005_381:
	s_mov_b32 s12, 0x5040100
	v_perm_b32 v32, v10, v9, s12
	s_mov_b32 s12, 0x7060302
	v_perm_b32 v33, v10, v9, s12
	v_cmp_gt_u16_sdwa s[12:13], v9, v10 src0_sel:WORD_1 src1_sel:DWORD
	v_cndmask_b32_e64 v10, v10, v33, s[12:13]
	v_cndmask_b32_e64 v9, v9, v32, s[12:13]
	s_or_b64 exec, exec, s[72:73]
	s_and_saveexec_b64 s[72:73], s[60:61]
	s_cbranch_execz .LBB3005_223
.LBB3005_382:
	s_mov_b32 s12, 0x5040100
	v_perm_b32 v32, v11, v10, s12
	s_mov_b32 s12, 0x7060302
	v_perm_b32 v33, v11, v10, s12
	v_cmp_gt_u16_sdwa s[12:13], v10, v11 src0_sel:WORD_1 src1_sel:DWORD
	v_cndmask_b32_e64 v11, v11, v33, s[12:13]
	v_cndmask_b32_e64 v10, v10, v32, s[12:13]
	s_or_b64 exec, exec, s[72:73]
	s_and_saveexec_b64 s[72:73], s[62:63]
	s_cbranch_execz .LBB3005_224
.LBB3005_383:
	s_mov_b32 s12, 0x5040100
	v_perm_b32 v32, v12, v11, s12
	s_mov_b32 s12, 0x7060302
	v_perm_b32 v33, v12, v11, s12
	v_cmp_gt_u16_sdwa s[12:13], v11, v12 src0_sel:WORD_1 src1_sel:DWORD
	v_cndmask_b32_e64 v12, v12, v33, s[12:13]
	v_cndmask_b32_e64 v11, v11, v32, s[12:13]
	s_or_b64 exec, exec, s[72:73]
	s_and_saveexec_b64 s[72:73], s[64:65]
	s_cbranch_execnz .LBB3005_225
	s_branch .LBB3005_226
.LBB3005_384:
	v_alignbit_b32 v32, v7, v7, 16
	v_cmp_gt_u16_sdwa s[8:9], v7, v7 src0_sel:DWORD src1_sel:WORD_1
	v_cndmask_b32_e64 v7, v7, v32, s[8:9]
	s_or_b64 exec, exec, s[12:13]
	s_and_saveexec_b64 s[12:13], s[40:41]
	s_cbranch_execz .LBB3005_228
.LBB3005_385:
	v_alignbit_b32 v32, v8, v8, 16
	v_cmp_gt_u16_sdwa s[8:9], v8, v8 src0_sel:DWORD src1_sel:WORD_1
	v_cndmask_b32_e64 v8, v8, v32, s[8:9]
	s_or_b64 exec, exec, s[12:13]
	s_and_saveexec_b64 s[12:13], s[42:43]
	s_cbranch_execz .LBB3005_229
.LBB3005_386:
	v_alignbit_b32 v32, v9, v9, 16
	v_cmp_gt_u16_sdwa s[8:9], v9, v9 src0_sel:DWORD src1_sel:WORD_1
	v_cndmask_b32_e64 v9, v9, v32, s[8:9]
	s_or_b64 exec, exec, s[12:13]
	s_and_saveexec_b64 s[12:13], s[44:45]
	s_cbranch_execz .LBB3005_230
.LBB3005_387:
	v_alignbit_b32 v32, v10, v10, 16
	v_cmp_gt_u16_sdwa s[8:9], v10, v10 src0_sel:DWORD src1_sel:WORD_1
	v_cndmask_b32_e64 v10, v10, v32, s[8:9]
	s_or_b64 exec, exec, s[12:13]
	s_and_saveexec_b64 s[12:13], s[46:47]
	s_cbranch_execz .LBB3005_231
.LBB3005_388:
	v_alignbit_b32 v32, v11, v11, 16
	v_cmp_gt_u16_sdwa s[8:9], v11, v11 src0_sel:DWORD src1_sel:WORD_1
	v_cndmask_b32_e64 v11, v11, v32, s[8:9]
	s_or_b64 exec, exec, s[12:13]
	s_and_saveexec_b64 s[12:13], s[48:49]
	s_cbranch_execz .LBB3005_232
.LBB3005_389:
	v_alignbit_b32 v32, v12, v12, 16
	v_cmp_gt_u16_sdwa s[8:9], v12, v12 src0_sel:DWORD src1_sel:WORD_1
	v_cndmask_b32_e64 v12, v12, v32, s[8:9]
	s_or_b64 exec, exec, s[12:13]
	s_and_saveexec_b64 s[12:13], s[50:51]
	s_cbranch_execz .LBB3005_233
.LBB3005_390:
	v_alignbit_b32 v32, v13, v13, 16
	v_cmp_gt_u16_sdwa s[8:9], v13, v13 src0_sel:DWORD src1_sel:WORD_1
	v_cndmask_b32_e64 v13, v13, v32, s[8:9]
	s_or_b64 exec, exec, s[12:13]
	s_and_saveexec_b64 s[12:13], s[52:53]
	s_cbranch_execz .LBB3005_234
.LBB3005_391:
	s_mov_b32 s8, 0x7060302
	v_perm_b32 v32, v7, v6, s8
	v_cmp_gt_u16_sdwa s[8:9], v6, v7 src0_sel:WORD_1 src1_sel:DWORD
	s_mov_b32 s38, 0x5040100
	v_cndmask_b32_e64 v33, v7, v32, s[8:9]
	v_perm_b32 v7, v7, v6, s38
	v_cndmask_b32_e64 v32, v6, v7, s[8:9]
	v_mov_b32_e32 v34, v8
	v_mov_b32_e32 v35, v9
	;; [unrolled: 1-line block ×6, first 2 shown]
	v_pk_mov_b32 v[6:7], v[32:33], v[32:33] op_sel:[0,1]
	v_pk_mov_b32 v[8:9], v[34:35], v[34:35] op_sel:[0,1]
	;; [unrolled: 1-line block ×4, first 2 shown]
	s_or_b64 exec, exec, s[12:13]
	s_and_saveexec_b64 s[12:13], s[54:55]
	s_cbranch_execz .LBB3005_235
.LBB3005_392:
	s_mov_b32 s8, 0x7060302
	v_perm_b32 v32, v8, v7, s8
	v_cmp_gt_u16_sdwa s[8:9], v7, v8 src0_sel:WORD_1 src1_sel:DWORD
	s_mov_b32 s38, 0x5040100
	v_cndmask_b32_e64 v32, v8, v32, s[8:9]
	v_perm_b32 v8, v8, v7, s38
	v_cndmask_b32_e64 v7, v7, v8, s[8:9]
	v_mov_b32_e32 v8, v32
	s_or_b64 exec, exec, s[12:13]
	s_and_saveexec_b64 s[12:13], s[56:57]
	s_cbranch_execz .LBB3005_236
.LBB3005_393:
	s_mov_b32 s8, 0x7060302
	v_perm_b32 v32, v9, v8, s8
	v_cmp_gt_u16_sdwa s[8:9], v8, v9 src0_sel:WORD_1 src1_sel:DWORD
	s_mov_b32 s38, 0x5040100
	v_cndmask_b32_e64 v32, v9, v32, s[8:9]
	v_perm_b32 v9, v9, v8, s38
	v_cndmask_b32_e64 v8, v8, v9, s[8:9]
	v_mov_b32_e32 v9, v32
	s_or_b64 exec, exec, s[12:13]
	s_and_saveexec_b64 s[12:13], s[58:59]
	s_cbranch_execz .LBB3005_237
.LBB3005_394:
	s_mov_b32 s8, 0x5040100
	v_perm_b32 v32, v10, v9, s8
	s_mov_b32 s8, 0x7060302
	v_perm_b32 v33, v10, v9, s8
	v_cmp_gt_u16_sdwa s[8:9], v9, v10 src0_sel:WORD_1 src1_sel:DWORD
	v_cndmask_b32_e64 v10, v10, v33, s[8:9]
	v_cndmask_b32_e64 v9, v9, v32, s[8:9]
	s_or_b64 exec, exec, s[12:13]
	s_and_saveexec_b64 s[12:13], s[60:61]
	s_cbranch_execz .LBB3005_238
.LBB3005_395:
	s_mov_b32 s8, 0x5040100
	v_perm_b32 v32, v11, v10, s8
	s_mov_b32 s8, 0x7060302
	v_perm_b32 v33, v11, v10, s8
	v_cmp_gt_u16_sdwa s[8:9], v10, v11 src0_sel:WORD_1 src1_sel:DWORD
	v_cndmask_b32_e64 v11, v11, v33, s[8:9]
	v_cndmask_b32_e64 v10, v10, v32, s[8:9]
	s_or_b64 exec, exec, s[12:13]
	s_and_saveexec_b64 s[12:13], s[62:63]
	s_cbranch_execz .LBB3005_239
.LBB3005_396:
	s_mov_b32 s8, 0x5040100
	v_perm_b32 v32, v12, v11, s8
	s_mov_b32 s8, 0x7060302
	v_perm_b32 v33, v12, v11, s8
	v_cmp_gt_u16_sdwa s[8:9], v11, v12 src0_sel:WORD_1 src1_sel:DWORD
	v_cndmask_b32_e64 v12, v12, v33, s[8:9]
	v_cndmask_b32_e64 v11, v11, v32, s[8:9]
	s_or_b64 exec, exec, s[12:13]
	s_and_saveexec_b64 s[12:13], s[64:65]
	s_cbranch_execnz .LBB3005_240
	s_branch .LBB3005_241
.LBB3005_397:
	s_or_b64 exec, exec, s[64:65]
.LBB3005_398:
	s_or_b64 exec, exec, s[62:63]
	v_lshl_add_u32 v0, v30, 1, v31
	s_barrier
	ds_write2_b32 v0, v6, v7 offset1:1
	ds_write2_b32 v0, v8, v9 offset0:2 offset1:3
	ds_write2_b32 v0, v10, v11 offset0:4 offset1:5
	;; [unrolled: 1-line block ×3, first 2 shown]
	s_waitcnt lgkmcnt(0)
	s_barrier
	ds_read_u16 v33, v1 offset:512
	ds_read_u16 v32, v3 offset:1024
	;; [unrolled: 1-line block ×15, first 2 shown]
	v_add_co_u32_e64 v0, s[8:9], v4, v16
	v_mov_b32_e32 v15, 0
	v_addc_co_u32_e64 v1, s[8:9], 0, v5, s[8:9]
	s_and_saveexec_b64 s[8:9], vcc
	s_cbranch_execnz .LBB3005_415
; %bb.399:
	s_or_b64 exec, exec, s[8:9]
	s_and_saveexec_b64 s[8:9], s[4:5]
	s_cbranch_execnz .LBB3005_416
.LBB3005_400:
	s_or_b64 exec, exec, s[8:9]
	s_and_saveexec_b64 s[4:5], s[6:7]
	s_cbranch_execnz .LBB3005_417
.LBB3005_401:
	s_or_b64 exec, exec, s[4:5]
	s_and_saveexec_b64 s[4:5], s[36:37]
	s_cbranch_execnz .LBB3005_418
.LBB3005_402:
	s_or_b64 exec, exec, s[4:5]
	s_and_saveexec_b64 s[4:5], s[10:11]
	s_cbranch_execnz .LBB3005_419
.LBB3005_403:
	s_or_b64 exec, exec, s[4:5]
	s_and_saveexec_b64 s[4:5], s[66:67]
	s_cbranch_execnz .LBB3005_420
.LBB3005_404:
	s_or_b64 exec, exec, s[4:5]
	s_and_saveexec_b64 s[4:5], s[14:15]
	s_cbranch_execnz .LBB3005_421
.LBB3005_405:
	s_or_b64 exec, exec, s[4:5]
	s_and_saveexec_b64 s[4:5], s[16:17]
	s_cbranch_execnz .LBB3005_422
.LBB3005_406:
	s_or_b64 exec, exec, s[4:5]
	s_and_saveexec_b64 s[4:5], s[18:19]
	s_cbranch_execnz .LBB3005_423
.LBB3005_407:
	s_or_b64 exec, exec, s[4:5]
	s_and_saveexec_b64 s[4:5], s[20:21]
	s_cbranch_execnz .LBB3005_424
.LBB3005_408:
	s_or_b64 exec, exec, s[4:5]
	s_and_saveexec_b64 s[4:5], s[22:23]
	s_cbranch_execnz .LBB3005_425
.LBB3005_409:
	s_or_b64 exec, exec, s[4:5]
	s_and_saveexec_b64 s[4:5], s[24:25]
	s_cbranch_execnz .LBB3005_426
.LBB3005_410:
	s_or_b64 exec, exec, s[4:5]
	s_and_saveexec_b64 s[4:5], s[26:27]
	s_cbranch_execnz .LBB3005_427
.LBB3005_411:
	s_or_b64 exec, exec, s[4:5]
	s_and_saveexec_b64 s[4:5], s[28:29]
	s_cbranch_execnz .LBB3005_428
.LBB3005_412:
	s_or_b64 exec, exec, s[4:5]
	s_and_saveexec_b64 s[4:5], s[30:31]
	s_cbranch_execz .LBB3005_414
.LBB3005_413:
	v_add_co_u32_e32 v0, vcc, 0x1000, v0
	v_addc_co_u32_e32 v1, vcc, 0, v1, vcc
	s_waitcnt lgkmcnt(0)
	flat_store_short v[0:1], v3 offset:3072
.LBB3005_414:
	s_or_b64 exec, exec, s[4:5]
	s_andn2_b64 s[4:5], s[68:69], exec
	s_and_b64 s[6:7], s[34:35], exec
	s_or_b64 s[68:69], s[4:5], s[6:7]
	s_or_b64 exec, exec, s[70:71]
	s_and_saveexec_b64 s[4:5], s[68:69]
	s_cbranch_execnz .LBB3005_3
	s_branch .LBB3005_4
.LBB3005_415:
	ds_read_u16 v2, v2
	s_waitcnt lgkmcnt(0)
	flat_store_short v[0:1], v2
	s_or_b64 exec, exec, s[8:9]
	s_and_saveexec_b64 s[8:9], s[4:5]
	s_cbranch_execz .LBB3005_400
.LBB3005_416:
	s_waitcnt lgkmcnt(0)
	flat_store_short v[0:1], v33 offset:512
	s_or_b64 exec, exec, s[8:9]
	s_and_saveexec_b64 s[4:5], s[6:7]
	s_cbranch_execz .LBB3005_401
.LBB3005_417:
	s_waitcnt lgkmcnt(0)
	flat_store_short v[0:1], v32 offset:1024
	s_or_b64 exec, exec, s[4:5]
	s_and_saveexec_b64 s[4:5], s[36:37]
	s_cbranch_execz .LBB3005_402
.LBB3005_418:
	s_waitcnt lgkmcnt(0)
	flat_store_short v[0:1], v31 offset:1536
	s_or_b64 exec, exec, s[4:5]
	s_and_saveexec_b64 s[4:5], s[10:11]
	s_cbranch_execz .LBB3005_403
.LBB3005_419:
	s_waitcnt lgkmcnt(0)
	flat_store_short v[0:1], v30 offset:2048
	s_or_b64 exec, exec, s[4:5]
	s_and_saveexec_b64 s[4:5], s[66:67]
	s_cbranch_execz .LBB3005_404
.LBB3005_420:
	s_waitcnt lgkmcnt(0)
	flat_store_short v[0:1], v18 offset:2560
	s_or_b64 exec, exec, s[4:5]
	s_and_saveexec_b64 s[4:5], s[14:15]
	s_cbranch_execz .LBB3005_405
.LBB3005_421:
	s_waitcnt lgkmcnt(0)
	flat_store_short v[0:1], v17 offset:3072
	s_or_b64 exec, exec, s[4:5]
	s_and_saveexec_b64 s[4:5], s[16:17]
	s_cbranch_execz .LBB3005_406
.LBB3005_422:
	s_waitcnt lgkmcnt(0)
	flat_store_short v[0:1], v13 offset:3584
	s_or_b64 exec, exec, s[4:5]
	s_and_saveexec_b64 s[4:5], s[18:19]
	s_cbranch_execz .LBB3005_407
.LBB3005_423:
	v_add_co_u32_e32 v16, vcc, 0x1000, v0
	s_waitcnt lgkmcnt(0)
	v_addc_co_u32_e32 v17, vcc, 0, v1, vcc
	flat_store_short v[16:17], v12
	s_or_b64 exec, exec, s[4:5]
	s_and_saveexec_b64 s[4:5], s[20:21]
	s_cbranch_execz .LBB3005_408
.LBB3005_424:
	s_waitcnt lgkmcnt(0)
	v_add_co_u32_e32 v12, vcc, 0x1000, v0
	v_addc_co_u32_e32 v13, vcc, 0, v1, vcc
	flat_store_short v[12:13], v11 offset:512
	s_or_b64 exec, exec, s[4:5]
	s_and_saveexec_b64 s[4:5], s[22:23]
	s_cbranch_execz .LBB3005_409
.LBB3005_425:
	s_waitcnt lgkmcnt(0)
	v_add_co_u32_e32 v12, vcc, 0x1000, v0
	v_addc_co_u32_e32 v13, vcc, 0, v1, vcc
	flat_store_short v[12:13], v10 offset:1024
	s_or_b64 exec, exec, s[4:5]
	s_and_saveexec_b64 s[4:5], s[24:25]
	s_cbranch_execz .LBB3005_410
.LBB3005_426:
	s_waitcnt lgkmcnt(0)
	v_add_co_u32_e32 v10, vcc, 0x1000, v0
	v_addc_co_u32_e32 v11, vcc, 0, v1, vcc
	flat_store_short v[10:11], v9 offset:1536
	s_or_b64 exec, exec, s[4:5]
	s_and_saveexec_b64 s[4:5], s[26:27]
	s_cbranch_execz .LBB3005_411
.LBB3005_427:
	s_waitcnt lgkmcnt(0)
	v_add_co_u32_e32 v10, vcc, 0x1000, v0
	v_addc_co_u32_e32 v11, vcc, 0, v1, vcc
	flat_store_short v[10:11], v8 offset:2048
	s_or_b64 exec, exec, s[4:5]
	s_and_saveexec_b64 s[4:5], s[28:29]
	s_cbranch_execz .LBB3005_412
.LBB3005_428:
	s_waitcnt lgkmcnt(0)
	v_add_co_u32_e32 v8, vcc, 0x1000, v0
	v_addc_co_u32_e32 v9, vcc, 0, v1, vcc
	flat_store_short v[8:9], v7 offset:2560
	s_or_b64 exec, exec, s[4:5]
	s_and_saveexec_b64 s[4:5], s[30:31]
	s_cbranch_execnz .LBB3005_413
	s_branch .LBB3005_414
.Lfunc_end3005:
	.size	_ZN7rocprim17ROCPRIM_400000_NS6detail15block_sort_implItNS0_10empty_typeELj256ELj16ELNS0_4arch9wavefront6targetE1EvE4sortIN6thrust23THRUST_200600_302600_NS6detail15normal_iteratorINSA_10device_ptrItEEEESF_PS3_SG_14custom_greaterItEEEvjbT_T0_T1_T2_T3_RNS7_12storage_typeE, .Lfunc_end3005-_ZN7rocprim17ROCPRIM_400000_NS6detail15block_sort_implItNS0_10empty_typeELj256ELj16ELNS0_4arch9wavefront6targetE1EvE4sortIN6thrust23THRUST_200600_302600_NS6detail15normal_iteratorINSA_10device_ptrItEEEESF_PS3_SG_14custom_greaterItEEEvjbT_T0_T1_T2_T3_RNS7_12storage_typeE
                                        ; -- End function
	.section	.AMDGPU.csdata,"",@progbits
; Function info:
; codeLenInByte = 44776
; NumSgprs: 80
; NumVgprs: 87
; NumAgprs: 0
; TotalNumVgprs: 87
; ScratchSize: 8
; MemoryBound: 0
	.section	.text._ZN7rocprim17ROCPRIM_400000_NS6detail17trampoline_kernelINS0_14default_configENS1_37merge_sort_block_sort_config_selectorItNS0_10empty_typeEEEZNS1_21merge_sort_block_sortIS3_N6thrust23THRUST_200600_302600_NS6detail15normal_iteratorINS9_10device_ptrItEEEESE_PS5_SF_14custom_greaterItEEE10hipError_tT0_T1_T2_T3_mRjT4_P12ihipStream_tbNS1_7vsmem_tEEUlT_E_NS1_11comp_targetILNS1_3genE4ELNS1_11target_archE910ELNS1_3gpuE8ELNS1_3repE0EEENS1_30default_config_static_selectorELNS0_4arch9wavefront6targetE1EEEvSK_,"axG",@progbits,_ZN7rocprim17ROCPRIM_400000_NS6detail17trampoline_kernelINS0_14default_configENS1_37merge_sort_block_sort_config_selectorItNS0_10empty_typeEEEZNS1_21merge_sort_block_sortIS3_N6thrust23THRUST_200600_302600_NS6detail15normal_iteratorINS9_10device_ptrItEEEESE_PS5_SF_14custom_greaterItEEE10hipError_tT0_T1_T2_T3_mRjT4_P12ihipStream_tbNS1_7vsmem_tEEUlT_E_NS1_11comp_targetILNS1_3genE4ELNS1_11target_archE910ELNS1_3gpuE8ELNS1_3repE0EEENS1_30default_config_static_selectorELNS0_4arch9wavefront6targetE1EEEvSK_,comdat
	.protected	_ZN7rocprim17ROCPRIM_400000_NS6detail17trampoline_kernelINS0_14default_configENS1_37merge_sort_block_sort_config_selectorItNS0_10empty_typeEEEZNS1_21merge_sort_block_sortIS3_N6thrust23THRUST_200600_302600_NS6detail15normal_iteratorINS9_10device_ptrItEEEESE_PS5_SF_14custom_greaterItEEE10hipError_tT0_T1_T2_T3_mRjT4_P12ihipStream_tbNS1_7vsmem_tEEUlT_E_NS1_11comp_targetILNS1_3genE4ELNS1_11target_archE910ELNS1_3gpuE8ELNS1_3repE0EEENS1_30default_config_static_selectorELNS0_4arch9wavefront6targetE1EEEvSK_ ; -- Begin function _ZN7rocprim17ROCPRIM_400000_NS6detail17trampoline_kernelINS0_14default_configENS1_37merge_sort_block_sort_config_selectorItNS0_10empty_typeEEEZNS1_21merge_sort_block_sortIS3_N6thrust23THRUST_200600_302600_NS6detail15normal_iteratorINS9_10device_ptrItEEEESE_PS5_SF_14custom_greaterItEEE10hipError_tT0_T1_T2_T3_mRjT4_P12ihipStream_tbNS1_7vsmem_tEEUlT_E_NS1_11comp_targetILNS1_3genE4ELNS1_11target_archE910ELNS1_3gpuE8ELNS1_3repE0EEENS1_30default_config_static_selectorELNS0_4arch9wavefront6targetE1EEEvSK_
	.globl	_ZN7rocprim17ROCPRIM_400000_NS6detail17trampoline_kernelINS0_14default_configENS1_37merge_sort_block_sort_config_selectorItNS0_10empty_typeEEEZNS1_21merge_sort_block_sortIS3_N6thrust23THRUST_200600_302600_NS6detail15normal_iteratorINS9_10device_ptrItEEEESE_PS5_SF_14custom_greaterItEEE10hipError_tT0_T1_T2_T3_mRjT4_P12ihipStream_tbNS1_7vsmem_tEEUlT_E_NS1_11comp_targetILNS1_3genE4ELNS1_11target_archE910ELNS1_3gpuE8ELNS1_3repE0EEENS1_30default_config_static_selectorELNS0_4arch9wavefront6targetE1EEEvSK_
	.p2align	8
	.type	_ZN7rocprim17ROCPRIM_400000_NS6detail17trampoline_kernelINS0_14default_configENS1_37merge_sort_block_sort_config_selectorItNS0_10empty_typeEEEZNS1_21merge_sort_block_sortIS3_N6thrust23THRUST_200600_302600_NS6detail15normal_iteratorINS9_10device_ptrItEEEESE_PS5_SF_14custom_greaterItEEE10hipError_tT0_T1_T2_T3_mRjT4_P12ihipStream_tbNS1_7vsmem_tEEUlT_E_NS1_11comp_targetILNS1_3genE4ELNS1_11target_archE910ELNS1_3gpuE8ELNS1_3repE0EEENS1_30default_config_static_selectorELNS0_4arch9wavefront6targetE1EEEvSK_,@function
_ZN7rocprim17ROCPRIM_400000_NS6detail17trampoline_kernelINS0_14default_configENS1_37merge_sort_block_sort_config_selectorItNS0_10empty_typeEEEZNS1_21merge_sort_block_sortIS3_N6thrust23THRUST_200600_302600_NS6detail15normal_iteratorINS9_10device_ptrItEEEESE_PS5_SF_14custom_greaterItEEE10hipError_tT0_T1_T2_T3_mRjT4_P12ihipStream_tbNS1_7vsmem_tEEUlT_E_NS1_11comp_targetILNS1_3genE4ELNS1_11target_archE910ELNS1_3gpuE8ELNS1_3repE0EEENS1_30default_config_static_selectorELNS0_4arch9wavefront6targetE1EEEvSK_: ; @_ZN7rocprim17ROCPRIM_400000_NS6detail17trampoline_kernelINS0_14default_configENS1_37merge_sort_block_sort_config_selectorItNS0_10empty_typeEEEZNS1_21merge_sort_block_sortIS3_N6thrust23THRUST_200600_302600_NS6detail15normal_iteratorINS9_10device_ptrItEEEESE_PS5_SF_14custom_greaterItEEE10hipError_tT0_T1_T2_T3_mRjT4_P12ihipStream_tbNS1_7vsmem_tEEUlT_E_NS1_11comp_targetILNS1_3genE4ELNS1_11target_archE910ELNS1_3gpuE8ELNS1_3repE0EEENS1_30default_config_static_selectorELNS0_4arch9wavefront6targetE1EEEvSK_
; %bb.0:
	s_add_u32 flat_scratch_lo, s6, s11
	s_addc_u32 flat_scratch_hi, s7, 0
	s_mov_b32 s12, s8
	s_load_dwordx2 s[6:7], s[4:5], 0x40
	s_load_dword s8, s[4:5], 0x0
	s_add_u32 s0, s0, s11
	s_addc_u32 s1, s1, 0
	s_mov_b32 s32, 0
	s_waitcnt lgkmcnt(0)
	s_mul_i32 s7, s7, s10
	s_add_i32 s7, s7, s9
	s_mul_i32 s6, s7, s6
	s_add_i32 s6, s6, s12
	s_cmp_ge_u32 s6, s8
	s_cbranch_scc1 .LBB3006_2
; %bb.1:
	s_mov_b32 s13, s9
	s_load_dwordx4 s[8:11], s[4:5], 0x18
	s_load_dwordx2 s[14:15], s[4:5], 0x8
	s_mov_b32 s7, 0
	s_lshl_b64 s[16:17], s[6:7], 13
	v_mov_b32_e32 v31, v0
	s_waitcnt lgkmcnt(0)
	s_add_u32 s10, s10, s16
	s_addc_u32 s11, s11, s17
	s_add_u32 s16, s8, s16
	s_addc_u32 s17, s9, s17
	s_lshr_b64 s[8:9], s[14:15], 12
	s_cmp_eq_u64 s[8:9], s[6:7]
	s_cselect_b64 s[8:9], -1, 0
	s_lshl_b32 s6, s6, 12
	s_sub_i32 s6, s14, s6
	v_cndmask_b32_e64 v1, 0, 1, s[8:9]
	s_add_u32 s8, s4, 64
	s_addc_u32 s9, s5, 0
	v_mov_b32_e32 v0, s6
	v_mov_b32_e32 v2, s16
	;; [unrolled: 1-line block ×5, first 2 shown]
	s_getpc_b64 s[4:5]
	s_add_u32 s4, s4, _ZN7rocprim17ROCPRIM_400000_NS6detail15block_sort_implItNS0_10empty_typeELj256ELj16ELNS0_4arch9wavefront6targetE1EvE4sortIN6thrust23THRUST_200600_302600_NS6detail15normal_iteratorINSA_10device_ptrItEEEESF_PS3_SG_14custom_greaterItEEEvjbT_T0_T1_T2_T3_RNS7_12storage_typeE@rel32@lo+4
	s_addc_u32 s5, s5, _ZN7rocprim17ROCPRIM_400000_NS6detail15block_sort_implItNS0_10empty_typeELj256ELj16ELNS0_4arch9wavefront6targetE1EvE4sortIN6thrust23THRUST_200600_302600_NS6detail15normal_iteratorINSA_10device_ptrItEEEESF_PS3_SG_14custom_greaterItEEEvjbT_T0_T1_T2_T3_RNS7_12storage_typeE@rel32@hi+12
	s_swappc_b64 s[30:31], s[4:5]
.LBB3006_2:
	s_endpgm
	.section	.rodata,"a",@progbits
	.p2align	6, 0x0
	.amdhsa_kernel _ZN7rocprim17ROCPRIM_400000_NS6detail17trampoline_kernelINS0_14default_configENS1_37merge_sort_block_sort_config_selectorItNS0_10empty_typeEEEZNS1_21merge_sort_block_sortIS3_N6thrust23THRUST_200600_302600_NS6detail15normal_iteratorINS9_10device_ptrItEEEESE_PS5_SF_14custom_greaterItEEE10hipError_tT0_T1_T2_T3_mRjT4_P12ihipStream_tbNS1_7vsmem_tEEUlT_E_NS1_11comp_targetILNS1_3genE4ELNS1_11target_archE910ELNS1_3gpuE8ELNS1_3repE0EEENS1_30default_config_static_selectorELNS0_4arch9wavefront6targetE1EEEvSK_
		.amdhsa_group_segment_fixed_size 8448
		.amdhsa_private_segment_fixed_size 8
		.amdhsa_kernarg_size 320
		.amdhsa_user_sgpr_count 8
		.amdhsa_user_sgpr_private_segment_buffer 1
		.amdhsa_user_sgpr_dispatch_ptr 0
		.amdhsa_user_sgpr_queue_ptr 0
		.amdhsa_user_sgpr_kernarg_segment_ptr 1
		.amdhsa_user_sgpr_dispatch_id 0
		.amdhsa_user_sgpr_flat_scratch_init 1
		.amdhsa_user_sgpr_kernarg_preload_length 0
		.amdhsa_user_sgpr_kernarg_preload_offset 0
		.amdhsa_user_sgpr_private_segment_size 0
		.amdhsa_uses_dynamic_stack 0
		.amdhsa_system_sgpr_private_segment_wavefront_offset 1
		.amdhsa_system_sgpr_workgroup_id_x 1
		.amdhsa_system_sgpr_workgroup_id_y 1
		.amdhsa_system_sgpr_workgroup_id_z 1
		.amdhsa_system_sgpr_workgroup_info 0
		.amdhsa_system_vgpr_workitem_id 2
		.amdhsa_next_free_vgpr 87
		.amdhsa_next_free_sgpr 76
		.amdhsa_accum_offset 88
		.amdhsa_reserve_vcc 1
		.amdhsa_reserve_flat_scratch 1
		.amdhsa_float_round_mode_32 0
		.amdhsa_float_round_mode_16_64 0
		.amdhsa_float_denorm_mode_32 3
		.amdhsa_float_denorm_mode_16_64 3
		.amdhsa_dx10_clamp 1
		.amdhsa_ieee_mode 1
		.amdhsa_fp16_overflow 0
		.amdhsa_tg_split 0
		.amdhsa_exception_fp_ieee_invalid_op 0
		.amdhsa_exception_fp_denorm_src 0
		.amdhsa_exception_fp_ieee_div_zero 0
		.amdhsa_exception_fp_ieee_overflow 0
		.amdhsa_exception_fp_ieee_underflow 0
		.amdhsa_exception_fp_ieee_inexact 0
		.amdhsa_exception_int_div_zero 0
	.end_amdhsa_kernel
	.section	.text._ZN7rocprim17ROCPRIM_400000_NS6detail17trampoline_kernelINS0_14default_configENS1_37merge_sort_block_sort_config_selectorItNS0_10empty_typeEEEZNS1_21merge_sort_block_sortIS3_N6thrust23THRUST_200600_302600_NS6detail15normal_iteratorINS9_10device_ptrItEEEESE_PS5_SF_14custom_greaterItEEE10hipError_tT0_T1_T2_T3_mRjT4_P12ihipStream_tbNS1_7vsmem_tEEUlT_E_NS1_11comp_targetILNS1_3genE4ELNS1_11target_archE910ELNS1_3gpuE8ELNS1_3repE0EEENS1_30default_config_static_selectorELNS0_4arch9wavefront6targetE1EEEvSK_,"axG",@progbits,_ZN7rocprim17ROCPRIM_400000_NS6detail17trampoline_kernelINS0_14default_configENS1_37merge_sort_block_sort_config_selectorItNS0_10empty_typeEEEZNS1_21merge_sort_block_sortIS3_N6thrust23THRUST_200600_302600_NS6detail15normal_iteratorINS9_10device_ptrItEEEESE_PS5_SF_14custom_greaterItEEE10hipError_tT0_T1_T2_T3_mRjT4_P12ihipStream_tbNS1_7vsmem_tEEUlT_E_NS1_11comp_targetILNS1_3genE4ELNS1_11target_archE910ELNS1_3gpuE8ELNS1_3repE0EEENS1_30default_config_static_selectorELNS0_4arch9wavefront6targetE1EEEvSK_,comdat
.Lfunc_end3006:
	.size	_ZN7rocprim17ROCPRIM_400000_NS6detail17trampoline_kernelINS0_14default_configENS1_37merge_sort_block_sort_config_selectorItNS0_10empty_typeEEEZNS1_21merge_sort_block_sortIS3_N6thrust23THRUST_200600_302600_NS6detail15normal_iteratorINS9_10device_ptrItEEEESE_PS5_SF_14custom_greaterItEEE10hipError_tT0_T1_T2_T3_mRjT4_P12ihipStream_tbNS1_7vsmem_tEEUlT_E_NS1_11comp_targetILNS1_3genE4ELNS1_11target_archE910ELNS1_3gpuE8ELNS1_3repE0EEENS1_30default_config_static_selectorELNS0_4arch9wavefront6targetE1EEEvSK_, .Lfunc_end3006-_ZN7rocprim17ROCPRIM_400000_NS6detail17trampoline_kernelINS0_14default_configENS1_37merge_sort_block_sort_config_selectorItNS0_10empty_typeEEEZNS1_21merge_sort_block_sortIS3_N6thrust23THRUST_200600_302600_NS6detail15normal_iteratorINS9_10device_ptrItEEEESE_PS5_SF_14custom_greaterItEEE10hipError_tT0_T1_T2_T3_mRjT4_P12ihipStream_tbNS1_7vsmem_tEEUlT_E_NS1_11comp_targetILNS1_3genE4ELNS1_11target_archE910ELNS1_3gpuE8ELNS1_3repE0EEENS1_30default_config_static_selectorELNS0_4arch9wavefront6targetE1EEEvSK_
                                        ; -- End function
	.section	.AMDGPU.csdata,"",@progbits
; Kernel info:
; codeLenInByte = 204
; NumSgprs: 82
; NumVgprs: 87
; NumAgprs: 0
; TotalNumVgprs: 87
; ScratchSize: 8
; MemoryBound: 0
; FloatMode: 240
; IeeeMode: 1
; LDSByteSize: 8448 bytes/workgroup (compile time only)
; SGPRBlocks: 10
; VGPRBlocks: 10
; NumSGPRsForWavesPerEU: 82
; NumVGPRsForWavesPerEU: 87
; AccumOffset: 88
; Occupancy: 5
; WaveLimiterHint : 1
; COMPUTE_PGM_RSRC2:SCRATCH_EN: 1
; COMPUTE_PGM_RSRC2:USER_SGPR: 8
; COMPUTE_PGM_RSRC2:TRAP_HANDLER: 0
; COMPUTE_PGM_RSRC2:TGID_X_EN: 1
; COMPUTE_PGM_RSRC2:TGID_Y_EN: 1
; COMPUTE_PGM_RSRC2:TGID_Z_EN: 1
; COMPUTE_PGM_RSRC2:TIDIG_COMP_CNT: 2
; COMPUTE_PGM_RSRC3_GFX90A:ACCUM_OFFSET: 21
; COMPUTE_PGM_RSRC3_GFX90A:TG_SPLIT: 0
	.section	.text._ZN7rocprim17ROCPRIM_400000_NS6detail17trampoline_kernelINS0_14default_configENS1_37merge_sort_block_sort_config_selectorItNS0_10empty_typeEEEZNS1_21merge_sort_block_sortIS3_N6thrust23THRUST_200600_302600_NS6detail15normal_iteratorINS9_10device_ptrItEEEESE_PS5_SF_14custom_greaterItEEE10hipError_tT0_T1_T2_T3_mRjT4_P12ihipStream_tbNS1_7vsmem_tEEUlT_E_NS1_11comp_targetILNS1_3genE3ELNS1_11target_archE908ELNS1_3gpuE7ELNS1_3repE0EEENS1_30default_config_static_selectorELNS0_4arch9wavefront6targetE1EEEvSK_,"axG",@progbits,_ZN7rocprim17ROCPRIM_400000_NS6detail17trampoline_kernelINS0_14default_configENS1_37merge_sort_block_sort_config_selectorItNS0_10empty_typeEEEZNS1_21merge_sort_block_sortIS3_N6thrust23THRUST_200600_302600_NS6detail15normal_iteratorINS9_10device_ptrItEEEESE_PS5_SF_14custom_greaterItEEE10hipError_tT0_T1_T2_T3_mRjT4_P12ihipStream_tbNS1_7vsmem_tEEUlT_E_NS1_11comp_targetILNS1_3genE3ELNS1_11target_archE908ELNS1_3gpuE7ELNS1_3repE0EEENS1_30default_config_static_selectorELNS0_4arch9wavefront6targetE1EEEvSK_,comdat
	.protected	_ZN7rocprim17ROCPRIM_400000_NS6detail17trampoline_kernelINS0_14default_configENS1_37merge_sort_block_sort_config_selectorItNS0_10empty_typeEEEZNS1_21merge_sort_block_sortIS3_N6thrust23THRUST_200600_302600_NS6detail15normal_iteratorINS9_10device_ptrItEEEESE_PS5_SF_14custom_greaterItEEE10hipError_tT0_T1_T2_T3_mRjT4_P12ihipStream_tbNS1_7vsmem_tEEUlT_E_NS1_11comp_targetILNS1_3genE3ELNS1_11target_archE908ELNS1_3gpuE7ELNS1_3repE0EEENS1_30default_config_static_selectorELNS0_4arch9wavefront6targetE1EEEvSK_ ; -- Begin function _ZN7rocprim17ROCPRIM_400000_NS6detail17trampoline_kernelINS0_14default_configENS1_37merge_sort_block_sort_config_selectorItNS0_10empty_typeEEEZNS1_21merge_sort_block_sortIS3_N6thrust23THRUST_200600_302600_NS6detail15normal_iteratorINS9_10device_ptrItEEEESE_PS5_SF_14custom_greaterItEEE10hipError_tT0_T1_T2_T3_mRjT4_P12ihipStream_tbNS1_7vsmem_tEEUlT_E_NS1_11comp_targetILNS1_3genE3ELNS1_11target_archE908ELNS1_3gpuE7ELNS1_3repE0EEENS1_30default_config_static_selectorELNS0_4arch9wavefront6targetE1EEEvSK_
	.globl	_ZN7rocprim17ROCPRIM_400000_NS6detail17trampoline_kernelINS0_14default_configENS1_37merge_sort_block_sort_config_selectorItNS0_10empty_typeEEEZNS1_21merge_sort_block_sortIS3_N6thrust23THRUST_200600_302600_NS6detail15normal_iteratorINS9_10device_ptrItEEEESE_PS5_SF_14custom_greaterItEEE10hipError_tT0_T1_T2_T3_mRjT4_P12ihipStream_tbNS1_7vsmem_tEEUlT_E_NS1_11comp_targetILNS1_3genE3ELNS1_11target_archE908ELNS1_3gpuE7ELNS1_3repE0EEENS1_30default_config_static_selectorELNS0_4arch9wavefront6targetE1EEEvSK_
	.p2align	8
	.type	_ZN7rocprim17ROCPRIM_400000_NS6detail17trampoline_kernelINS0_14default_configENS1_37merge_sort_block_sort_config_selectorItNS0_10empty_typeEEEZNS1_21merge_sort_block_sortIS3_N6thrust23THRUST_200600_302600_NS6detail15normal_iteratorINS9_10device_ptrItEEEESE_PS5_SF_14custom_greaterItEEE10hipError_tT0_T1_T2_T3_mRjT4_P12ihipStream_tbNS1_7vsmem_tEEUlT_E_NS1_11comp_targetILNS1_3genE3ELNS1_11target_archE908ELNS1_3gpuE7ELNS1_3repE0EEENS1_30default_config_static_selectorELNS0_4arch9wavefront6targetE1EEEvSK_,@function
_ZN7rocprim17ROCPRIM_400000_NS6detail17trampoline_kernelINS0_14default_configENS1_37merge_sort_block_sort_config_selectorItNS0_10empty_typeEEEZNS1_21merge_sort_block_sortIS3_N6thrust23THRUST_200600_302600_NS6detail15normal_iteratorINS9_10device_ptrItEEEESE_PS5_SF_14custom_greaterItEEE10hipError_tT0_T1_T2_T3_mRjT4_P12ihipStream_tbNS1_7vsmem_tEEUlT_E_NS1_11comp_targetILNS1_3genE3ELNS1_11target_archE908ELNS1_3gpuE7ELNS1_3repE0EEENS1_30default_config_static_selectorELNS0_4arch9wavefront6targetE1EEEvSK_: ; @_ZN7rocprim17ROCPRIM_400000_NS6detail17trampoline_kernelINS0_14default_configENS1_37merge_sort_block_sort_config_selectorItNS0_10empty_typeEEEZNS1_21merge_sort_block_sortIS3_N6thrust23THRUST_200600_302600_NS6detail15normal_iteratorINS9_10device_ptrItEEEESE_PS5_SF_14custom_greaterItEEE10hipError_tT0_T1_T2_T3_mRjT4_P12ihipStream_tbNS1_7vsmem_tEEUlT_E_NS1_11comp_targetILNS1_3genE3ELNS1_11target_archE908ELNS1_3gpuE7ELNS1_3repE0EEENS1_30default_config_static_selectorELNS0_4arch9wavefront6targetE1EEEvSK_
; %bb.0:
	.section	.rodata,"a",@progbits
	.p2align	6, 0x0
	.amdhsa_kernel _ZN7rocprim17ROCPRIM_400000_NS6detail17trampoline_kernelINS0_14default_configENS1_37merge_sort_block_sort_config_selectorItNS0_10empty_typeEEEZNS1_21merge_sort_block_sortIS3_N6thrust23THRUST_200600_302600_NS6detail15normal_iteratorINS9_10device_ptrItEEEESE_PS5_SF_14custom_greaterItEEE10hipError_tT0_T1_T2_T3_mRjT4_P12ihipStream_tbNS1_7vsmem_tEEUlT_E_NS1_11comp_targetILNS1_3genE3ELNS1_11target_archE908ELNS1_3gpuE7ELNS1_3repE0EEENS1_30default_config_static_selectorELNS0_4arch9wavefront6targetE1EEEvSK_
		.amdhsa_group_segment_fixed_size 0
		.amdhsa_private_segment_fixed_size 0
		.amdhsa_kernarg_size 64
		.amdhsa_user_sgpr_count 6
		.amdhsa_user_sgpr_private_segment_buffer 1
		.amdhsa_user_sgpr_dispatch_ptr 0
		.amdhsa_user_sgpr_queue_ptr 0
		.amdhsa_user_sgpr_kernarg_segment_ptr 1
		.amdhsa_user_sgpr_dispatch_id 0
		.amdhsa_user_sgpr_flat_scratch_init 0
		.amdhsa_user_sgpr_kernarg_preload_length 0
		.amdhsa_user_sgpr_kernarg_preload_offset 0
		.amdhsa_user_sgpr_private_segment_size 0
		.amdhsa_uses_dynamic_stack 0
		.amdhsa_system_sgpr_private_segment_wavefront_offset 0
		.amdhsa_system_sgpr_workgroup_id_x 1
		.amdhsa_system_sgpr_workgroup_id_y 0
		.amdhsa_system_sgpr_workgroup_id_z 0
		.amdhsa_system_sgpr_workgroup_info 0
		.amdhsa_system_vgpr_workitem_id 0
		.amdhsa_next_free_vgpr 1
		.amdhsa_next_free_sgpr 0
		.amdhsa_accum_offset 4
		.amdhsa_reserve_vcc 0
		.amdhsa_reserve_flat_scratch 0
		.amdhsa_float_round_mode_32 0
		.amdhsa_float_round_mode_16_64 0
		.amdhsa_float_denorm_mode_32 3
		.amdhsa_float_denorm_mode_16_64 3
		.amdhsa_dx10_clamp 1
		.amdhsa_ieee_mode 1
		.amdhsa_fp16_overflow 0
		.amdhsa_tg_split 0
		.amdhsa_exception_fp_ieee_invalid_op 0
		.amdhsa_exception_fp_denorm_src 0
		.amdhsa_exception_fp_ieee_div_zero 0
		.amdhsa_exception_fp_ieee_overflow 0
		.amdhsa_exception_fp_ieee_underflow 0
		.amdhsa_exception_fp_ieee_inexact 0
		.amdhsa_exception_int_div_zero 0
	.end_amdhsa_kernel
	.section	.text._ZN7rocprim17ROCPRIM_400000_NS6detail17trampoline_kernelINS0_14default_configENS1_37merge_sort_block_sort_config_selectorItNS0_10empty_typeEEEZNS1_21merge_sort_block_sortIS3_N6thrust23THRUST_200600_302600_NS6detail15normal_iteratorINS9_10device_ptrItEEEESE_PS5_SF_14custom_greaterItEEE10hipError_tT0_T1_T2_T3_mRjT4_P12ihipStream_tbNS1_7vsmem_tEEUlT_E_NS1_11comp_targetILNS1_3genE3ELNS1_11target_archE908ELNS1_3gpuE7ELNS1_3repE0EEENS1_30default_config_static_selectorELNS0_4arch9wavefront6targetE1EEEvSK_,"axG",@progbits,_ZN7rocprim17ROCPRIM_400000_NS6detail17trampoline_kernelINS0_14default_configENS1_37merge_sort_block_sort_config_selectorItNS0_10empty_typeEEEZNS1_21merge_sort_block_sortIS3_N6thrust23THRUST_200600_302600_NS6detail15normal_iteratorINS9_10device_ptrItEEEESE_PS5_SF_14custom_greaterItEEE10hipError_tT0_T1_T2_T3_mRjT4_P12ihipStream_tbNS1_7vsmem_tEEUlT_E_NS1_11comp_targetILNS1_3genE3ELNS1_11target_archE908ELNS1_3gpuE7ELNS1_3repE0EEENS1_30default_config_static_selectorELNS0_4arch9wavefront6targetE1EEEvSK_,comdat
.Lfunc_end3007:
	.size	_ZN7rocprim17ROCPRIM_400000_NS6detail17trampoline_kernelINS0_14default_configENS1_37merge_sort_block_sort_config_selectorItNS0_10empty_typeEEEZNS1_21merge_sort_block_sortIS3_N6thrust23THRUST_200600_302600_NS6detail15normal_iteratorINS9_10device_ptrItEEEESE_PS5_SF_14custom_greaterItEEE10hipError_tT0_T1_T2_T3_mRjT4_P12ihipStream_tbNS1_7vsmem_tEEUlT_E_NS1_11comp_targetILNS1_3genE3ELNS1_11target_archE908ELNS1_3gpuE7ELNS1_3repE0EEENS1_30default_config_static_selectorELNS0_4arch9wavefront6targetE1EEEvSK_, .Lfunc_end3007-_ZN7rocprim17ROCPRIM_400000_NS6detail17trampoline_kernelINS0_14default_configENS1_37merge_sort_block_sort_config_selectorItNS0_10empty_typeEEEZNS1_21merge_sort_block_sortIS3_N6thrust23THRUST_200600_302600_NS6detail15normal_iteratorINS9_10device_ptrItEEEESE_PS5_SF_14custom_greaterItEEE10hipError_tT0_T1_T2_T3_mRjT4_P12ihipStream_tbNS1_7vsmem_tEEUlT_E_NS1_11comp_targetILNS1_3genE3ELNS1_11target_archE908ELNS1_3gpuE7ELNS1_3repE0EEENS1_30default_config_static_selectorELNS0_4arch9wavefront6targetE1EEEvSK_
                                        ; -- End function
	.section	.AMDGPU.csdata,"",@progbits
; Kernel info:
; codeLenInByte = 0
; NumSgprs: 4
; NumVgprs: 0
; NumAgprs: 0
; TotalNumVgprs: 0
; ScratchSize: 0
; MemoryBound: 0
; FloatMode: 240
; IeeeMode: 1
; LDSByteSize: 0 bytes/workgroup (compile time only)
; SGPRBlocks: 0
; VGPRBlocks: 0
; NumSGPRsForWavesPerEU: 4
; NumVGPRsForWavesPerEU: 1
; AccumOffset: 4
; Occupancy: 8
; WaveLimiterHint : 0
; COMPUTE_PGM_RSRC2:SCRATCH_EN: 0
; COMPUTE_PGM_RSRC2:USER_SGPR: 6
; COMPUTE_PGM_RSRC2:TRAP_HANDLER: 0
; COMPUTE_PGM_RSRC2:TGID_X_EN: 1
; COMPUTE_PGM_RSRC2:TGID_Y_EN: 0
; COMPUTE_PGM_RSRC2:TGID_Z_EN: 0
; COMPUTE_PGM_RSRC2:TIDIG_COMP_CNT: 0
; COMPUTE_PGM_RSRC3_GFX90A:ACCUM_OFFSET: 0
; COMPUTE_PGM_RSRC3_GFX90A:TG_SPLIT: 0
	.section	.text._ZN7rocprim17ROCPRIM_400000_NS6detail17trampoline_kernelINS0_14default_configENS1_37merge_sort_block_sort_config_selectorItNS0_10empty_typeEEEZNS1_21merge_sort_block_sortIS3_N6thrust23THRUST_200600_302600_NS6detail15normal_iteratorINS9_10device_ptrItEEEESE_PS5_SF_14custom_greaterItEEE10hipError_tT0_T1_T2_T3_mRjT4_P12ihipStream_tbNS1_7vsmem_tEEUlT_E_NS1_11comp_targetILNS1_3genE2ELNS1_11target_archE906ELNS1_3gpuE6ELNS1_3repE0EEENS1_30default_config_static_selectorELNS0_4arch9wavefront6targetE1EEEvSK_,"axG",@progbits,_ZN7rocprim17ROCPRIM_400000_NS6detail17trampoline_kernelINS0_14default_configENS1_37merge_sort_block_sort_config_selectorItNS0_10empty_typeEEEZNS1_21merge_sort_block_sortIS3_N6thrust23THRUST_200600_302600_NS6detail15normal_iteratorINS9_10device_ptrItEEEESE_PS5_SF_14custom_greaterItEEE10hipError_tT0_T1_T2_T3_mRjT4_P12ihipStream_tbNS1_7vsmem_tEEUlT_E_NS1_11comp_targetILNS1_3genE2ELNS1_11target_archE906ELNS1_3gpuE6ELNS1_3repE0EEENS1_30default_config_static_selectorELNS0_4arch9wavefront6targetE1EEEvSK_,comdat
	.protected	_ZN7rocprim17ROCPRIM_400000_NS6detail17trampoline_kernelINS0_14default_configENS1_37merge_sort_block_sort_config_selectorItNS0_10empty_typeEEEZNS1_21merge_sort_block_sortIS3_N6thrust23THRUST_200600_302600_NS6detail15normal_iteratorINS9_10device_ptrItEEEESE_PS5_SF_14custom_greaterItEEE10hipError_tT0_T1_T2_T3_mRjT4_P12ihipStream_tbNS1_7vsmem_tEEUlT_E_NS1_11comp_targetILNS1_3genE2ELNS1_11target_archE906ELNS1_3gpuE6ELNS1_3repE0EEENS1_30default_config_static_selectorELNS0_4arch9wavefront6targetE1EEEvSK_ ; -- Begin function _ZN7rocprim17ROCPRIM_400000_NS6detail17trampoline_kernelINS0_14default_configENS1_37merge_sort_block_sort_config_selectorItNS0_10empty_typeEEEZNS1_21merge_sort_block_sortIS3_N6thrust23THRUST_200600_302600_NS6detail15normal_iteratorINS9_10device_ptrItEEEESE_PS5_SF_14custom_greaterItEEE10hipError_tT0_T1_T2_T3_mRjT4_P12ihipStream_tbNS1_7vsmem_tEEUlT_E_NS1_11comp_targetILNS1_3genE2ELNS1_11target_archE906ELNS1_3gpuE6ELNS1_3repE0EEENS1_30default_config_static_selectorELNS0_4arch9wavefront6targetE1EEEvSK_
	.globl	_ZN7rocprim17ROCPRIM_400000_NS6detail17trampoline_kernelINS0_14default_configENS1_37merge_sort_block_sort_config_selectorItNS0_10empty_typeEEEZNS1_21merge_sort_block_sortIS3_N6thrust23THRUST_200600_302600_NS6detail15normal_iteratorINS9_10device_ptrItEEEESE_PS5_SF_14custom_greaterItEEE10hipError_tT0_T1_T2_T3_mRjT4_P12ihipStream_tbNS1_7vsmem_tEEUlT_E_NS1_11comp_targetILNS1_3genE2ELNS1_11target_archE906ELNS1_3gpuE6ELNS1_3repE0EEENS1_30default_config_static_selectorELNS0_4arch9wavefront6targetE1EEEvSK_
	.p2align	8
	.type	_ZN7rocprim17ROCPRIM_400000_NS6detail17trampoline_kernelINS0_14default_configENS1_37merge_sort_block_sort_config_selectorItNS0_10empty_typeEEEZNS1_21merge_sort_block_sortIS3_N6thrust23THRUST_200600_302600_NS6detail15normal_iteratorINS9_10device_ptrItEEEESE_PS5_SF_14custom_greaterItEEE10hipError_tT0_T1_T2_T3_mRjT4_P12ihipStream_tbNS1_7vsmem_tEEUlT_E_NS1_11comp_targetILNS1_3genE2ELNS1_11target_archE906ELNS1_3gpuE6ELNS1_3repE0EEENS1_30default_config_static_selectorELNS0_4arch9wavefront6targetE1EEEvSK_,@function
_ZN7rocprim17ROCPRIM_400000_NS6detail17trampoline_kernelINS0_14default_configENS1_37merge_sort_block_sort_config_selectorItNS0_10empty_typeEEEZNS1_21merge_sort_block_sortIS3_N6thrust23THRUST_200600_302600_NS6detail15normal_iteratorINS9_10device_ptrItEEEESE_PS5_SF_14custom_greaterItEEE10hipError_tT0_T1_T2_T3_mRjT4_P12ihipStream_tbNS1_7vsmem_tEEUlT_E_NS1_11comp_targetILNS1_3genE2ELNS1_11target_archE906ELNS1_3gpuE6ELNS1_3repE0EEENS1_30default_config_static_selectorELNS0_4arch9wavefront6targetE1EEEvSK_: ; @_ZN7rocprim17ROCPRIM_400000_NS6detail17trampoline_kernelINS0_14default_configENS1_37merge_sort_block_sort_config_selectorItNS0_10empty_typeEEEZNS1_21merge_sort_block_sortIS3_N6thrust23THRUST_200600_302600_NS6detail15normal_iteratorINS9_10device_ptrItEEEESE_PS5_SF_14custom_greaterItEEE10hipError_tT0_T1_T2_T3_mRjT4_P12ihipStream_tbNS1_7vsmem_tEEUlT_E_NS1_11comp_targetILNS1_3genE2ELNS1_11target_archE906ELNS1_3gpuE6ELNS1_3repE0EEENS1_30default_config_static_selectorELNS0_4arch9wavefront6targetE1EEEvSK_
; %bb.0:
	.section	.rodata,"a",@progbits
	.p2align	6, 0x0
	.amdhsa_kernel _ZN7rocprim17ROCPRIM_400000_NS6detail17trampoline_kernelINS0_14default_configENS1_37merge_sort_block_sort_config_selectorItNS0_10empty_typeEEEZNS1_21merge_sort_block_sortIS3_N6thrust23THRUST_200600_302600_NS6detail15normal_iteratorINS9_10device_ptrItEEEESE_PS5_SF_14custom_greaterItEEE10hipError_tT0_T1_T2_T3_mRjT4_P12ihipStream_tbNS1_7vsmem_tEEUlT_E_NS1_11comp_targetILNS1_3genE2ELNS1_11target_archE906ELNS1_3gpuE6ELNS1_3repE0EEENS1_30default_config_static_selectorELNS0_4arch9wavefront6targetE1EEEvSK_
		.amdhsa_group_segment_fixed_size 0
		.amdhsa_private_segment_fixed_size 0
		.amdhsa_kernarg_size 64
		.amdhsa_user_sgpr_count 6
		.amdhsa_user_sgpr_private_segment_buffer 1
		.amdhsa_user_sgpr_dispatch_ptr 0
		.amdhsa_user_sgpr_queue_ptr 0
		.amdhsa_user_sgpr_kernarg_segment_ptr 1
		.amdhsa_user_sgpr_dispatch_id 0
		.amdhsa_user_sgpr_flat_scratch_init 0
		.amdhsa_user_sgpr_kernarg_preload_length 0
		.amdhsa_user_sgpr_kernarg_preload_offset 0
		.amdhsa_user_sgpr_private_segment_size 0
		.amdhsa_uses_dynamic_stack 0
		.amdhsa_system_sgpr_private_segment_wavefront_offset 0
		.amdhsa_system_sgpr_workgroup_id_x 1
		.amdhsa_system_sgpr_workgroup_id_y 0
		.amdhsa_system_sgpr_workgroup_id_z 0
		.amdhsa_system_sgpr_workgroup_info 0
		.amdhsa_system_vgpr_workitem_id 0
		.amdhsa_next_free_vgpr 1
		.amdhsa_next_free_sgpr 0
		.amdhsa_accum_offset 4
		.amdhsa_reserve_vcc 0
		.amdhsa_reserve_flat_scratch 0
		.amdhsa_float_round_mode_32 0
		.amdhsa_float_round_mode_16_64 0
		.amdhsa_float_denorm_mode_32 3
		.amdhsa_float_denorm_mode_16_64 3
		.amdhsa_dx10_clamp 1
		.amdhsa_ieee_mode 1
		.amdhsa_fp16_overflow 0
		.amdhsa_tg_split 0
		.amdhsa_exception_fp_ieee_invalid_op 0
		.amdhsa_exception_fp_denorm_src 0
		.amdhsa_exception_fp_ieee_div_zero 0
		.amdhsa_exception_fp_ieee_overflow 0
		.amdhsa_exception_fp_ieee_underflow 0
		.amdhsa_exception_fp_ieee_inexact 0
		.amdhsa_exception_int_div_zero 0
	.end_amdhsa_kernel
	.section	.text._ZN7rocprim17ROCPRIM_400000_NS6detail17trampoline_kernelINS0_14default_configENS1_37merge_sort_block_sort_config_selectorItNS0_10empty_typeEEEZNS1_21merge_sort_block_sortIS3_N6thrust23THRUST_200600_302600_NS6detail15normal_iteratorINS9_10device_ptrItEEEESE_PS5_SF_14custom_greaterItEEE10hipError_tT0_T1_T2_T3_mRjT4_P12ihipStream_tbNS1_7vsmem_tEEUlT_E_NS1_11comp_targetILNS1_3genE2ELNS1_11target_archE906ELNS1_3gpuE6ELNS1_3repE0EEENS1_30default_config_static_selectorELNS0_4arch9wavefront6targetE1EEEvSK_,"axG",@progbits,_ZN7rocprim17ROCPRIM_400000_NS6detail17trampoline_kernelINS0_14default_configENS1_37merge_sort_block_sort_config_selectorItNS0_10empty_typeEEEZNS1_21merge_sort_block_sortIS3_N6thrust23THRUST_200600_302600_NS6detail15normal_iteratorINS9_10device_ptrItEEEESE_PS5_SF_14custom_greaterItEEE10hipError_tT0_T1_T2_T3_mRjT4_P12ihipStream_tbNS1_7vsmem_tEEUlT_E_NS1_11comp_targetILNS1_3genE2ELNS1_11target_archE906ELNS1_3gpuE6ELNS1_3repE0EEENS1_30default_config_static_selectorELNS0_4arch9wavefront6targetE1EEEvSK_,comdat
.Lfunc_end3008:
	.size	_ZN7rocprim17ROCPRIM_400000_NS6detail17trampoline_kernelINS0_14default_configENS1_37merge_sort_block_sort_config_selectorItNS0_10empty_typeEEEZNS1_21merge_sort_block_sortIS3_N6thrust23THRUST_200600_302600_NS6detail15normal_iteratorINS9_10device_ptrItEEEESE_PS5_SF_14custom_greaterItEEE10hipError_tT0_T1_T2_T3_mRjT4_P12ihipStream_tbNS1_7vsmem_tEEUlT_E_NS1_11comp_targetILNS1_3genE2ELNS1_11target_archE906ELNS1_3gpuE6ELNS1_3repE0EEENS1_30default_config_static_selectorELNS0_4arch9wavefront6targetE1EEEvSK_, .Lfunc_end3008-_ZN7rocprim17ROCPRIM_400000_NS6detail17trampoline_kernelINS0_14default_configENS1_37merge_sort_block_sort_config_selectorItNS0_10empty_typeEEEZNS1_21merge_sort_block_sortIS3_N6thrust23THRUST_200600_302600_NS6detail15normal_iteratorINS9_10device_ptrItEEEESE_PS5_SF_14custom_greaterItEEE10hipError_tT0_T1_T2_T3_mRjT4_P12ihipStream_tbNS1_7vsmem_tEEUlT_E_NS1_11comp_targetILNS1_3genE2ELNS1_11target_archE906ELNS1_3gpuE6ELNS1_3repE0EEENS1_30default_config_static_selectorELNS0_4arch9wavefront6targetE1EEEvSK_
                                        ; -- End function
	.section	.AMDGPU.csdata,"",@progbits
; Kernel info:
; codeLenInByte = 0
; NumSgprs: 4
; NumVgprs: 0
; NumAgprs: 0
; TotalNumVgprs: 0
; ScratchSize: 0
; MemoryBound: 0
; FloatMode: 240
; IeeeMode: 1
; LDSByteSize: 0 bytes/workgroup (compile time only)
; SGPRBlocks: 0
; VGPRBlocks: 0
; NumSGPRsForWavesPerEU: 4
; NumVGPRsForWavesPerEU: 1
; AccumOffset: 4
; Occupancy: 8
; WaveLimiterHint : 0
; COMPUTE_PGM_RSRC2:SCRATCH_EN: 0
; COMPUTE_PGM_RSRC2:USER_SGPR: 6
; COMPUTE_PGM_RSRC2:TRAP_HANDLER: 0
; COMPUTE_PGM_RSRC2:TGID_X_EN: 1
; COMPUTE_PGM_RSRC2:TGID_Y_EN: 0
; COMPUTE_PGM_RSRC2:TGID_Z_EN: 0
; COMPUTE_PGM_RSRC2:TIDIG_COMP_CNT: 0
; COMPUTE_PGM_RSRC3_GFX90A:ACCUM_OFFSET: 0
; COMPUTE_PGM_RSRC3_GFX90A:TG_SPLIT: 0
	.section	.text._ZN7rocprim17ROCPRIM_400000_NS6detail17trampoline_kernelINS0_14default_configENS1_37merge_sort_block_sort_config_selectorItNS0_10empty_typeEEEZNS1_21merge_sort_block_sortIS3_N6thrust23THRUST_200600_302600_NS6detail15normal_iteratorINS9_10device_ptrItEEEESE_PS5_SF_14custom_greaterItEEE10hipError_tT0_T1_T2_T3_mRjT4_P12ihipStream_tbNS1_7vsmem_tEEUlT_E_NS1_11comp_targetILNS1_3genE10ELNS1_11target_archE1201ELNS1_3gpuE5ELNS1_3repE0EEENS1_30default_config_static_selectorELNS0_4arch9wavefront6targetE1EEEvSK_,"axG",@progbits,_ZN7rocprim17ROCPRIM_400000_NS6detail17trampoline_kernelINS0_14default_configENS1_37merge_sort_block_sort_config_selectorItNS0_10empty_typeEEEZNS1_21merge_sort_block_sortIS3_N6thrust23THRUST_200600_302600_NS6detail15normal_iteratorINS9_10device_ptrItEEEESE_PS5_SF_14custom_greaterItEEE10hipError_tT0_T1_T2_T3_mRjT4_P12ihipStream_tbNS1_7vsmem_tEEUlT_E_NS1_11comp_targetILNS1_3genE10ELNS1_11target_archE1201ELNS1_3gpuE5ELNS1_3repE0EEENS1_30default_config_static_selectorELNS0_4arch9wavefront6targetE1EEEvSK_,comdat
	.protected	_ZN7rocprim17ROCPRIM_400000_NS6detail17trampoline_kernelINS0_14default_configENS1_37merge_sort_block_sort_config_selectorItNS0_10empty_typeEEEZNS1_21merge_sort_block_sortIS3_N6thrust23THRUST_200600_302600_NS6detail15normal_iteratorINS9_10device_ptrItEEEESE_PS5_SF_14custom_greaterItEEE10hipError_tT0_T1_T2_T3_mRjT4_P12ihipStream_tbNS1_7vsmem_tEEUlT_E_NS1_11comp_targetILNS1_3genE10ELNS1_11target_archE1201ELNS1_3gpuE5ELNS1_3repE0EEENS1_30default_config_static_selectorELNS0_4arch9wavefront6targetE1EEEvSK_ ; -- Begin function _ZN7rocprim17ROCPRIM_400000_NS6detail17trampoline_kernelINS0_14default_configENS1_37merge_sort_block_sort_config_selectorItNS0_10empty_typeEEEZNS1_21merge_sort_block_sortIS3_N6thrust23THRUST_200600_302600_NS6detail15normal_iteratorINS9_10device_ptrItEEEESE_PS5_SF_14custom_greaterItEEE10hipError_tT0_T1_T2_T3_mRjT4_P12ihipStream_tbNS1_7vsmem_tEEUlT_E_NS1_11comp_targetILNS1_3genE10ELNS1_11target_archE1201ELNS1_3gpuE5ELNS1_3repE0EEENS1_30default_config_static_selectorELNS0_4arch9wavefront6targetE1EEEvSK_
	.globl	_ZN7rocprim17ROCPRIM_400000_NS6detail17trampoline_kernelINS0_14default_configENS1_37merge_sort_block_sort_config_selectorItNS0_10empty_typeEEEZNS1_21merge_sort_block_sortIS3_N6thrust23THRUST_200600_302600_NS6detail15normal_iteratorINS9_10device_ptrItEEEESE_PS5_SF_14custom_greaterItEEE10hipError_tT0_T1_T2_T3_mRjT4_P12ihipStream_tbNS1_7vsmem_tEEUlT_E_NS1_11comp_targetILNS1_3genE10ELNS1_11target_archE1201ELNS1_3gpuE5ELNS1_3repE0EEENS1_30default_config_static_selectorELNS0_4arch9wavefront6targetE1EEEvSK_
	.p2align	8
	.type	_ZN7rocprim17ROCPRIM_400000_NS6detail17trampoline_kernelINS0_14default_configENS1_37merge_sort_block_sort_config_selectorItNS0_10empty_typeEEEZNS1_21merge_sort_block_sortIS3_N6thrust23THRUST_200600_302600_NS6detail15normal_iteratorINS9_10device_ptrItEEEESE_PS5_SF_14custom_greaterItEEE10hipError_tT0_T1_T2_T3_mRjT4_P12ihipStream_tbNS1_7vsmem_tEEUlT_E_NS1_11comp_targetILNS1_3genE10ELNS1_11target_archE1201ELNS1_3gpuE5ELNS1_3repE0EEENS1_30default_config_static_selectorELNS0_4arch9wavefront6targetE1EEEvSK_,@function
_ZN7rocprim17ROCPRIM_400000_NS6detail17trampoline_kernelINS0_14default_configENS1_37merge_sort_block_sort_config_selectorItNS0_10empty_typeEEEZNS1_21merge_sort_block_sortIS3_N6thrust23THRUST_200600_302600_NS6detail15normal_iteratorINS9_10device_ptrItEEEESE_PS5_SF_14custom_greaterItEEE10hipError_tT0_T1_T2_T3_mRjT4_P12ihipStream_tbNS1_7vsmem_tEEUlT_E_NS1_11comp_targetILNS1_3genE10ELNS1_11target_archE1201ELNS1_3gpuE5ELNS1_3repE0EEENS1_30default_config_static_selectorELNS0_4arch9wavefront6targetE1EEEvSK_: ; @_ZN7rocprim17ROCPRIM_400000_NS6detail17trampoline_kernelINS0_14default_configENS1_37merge_sort_block_sort_config_selectorItNS0_10empty_typeEEEZNS1_21merge_sort_block_sortIS3_N6thrust23THRUST_200600_302600_NS6detail15normal_iteratorINS9_10device_ptrItEEEESE_PS5_SF_14custom_greaterItEEE10hipError_tT0_T1_T2_T3_mRjT4_P12ihipStream_tbNS1_7vsmem_tEEUlT_E_NS1_11comp_targetILNS1_3genE10ELNS1_11target_archE1201ELNS1_3gpuE5ELNS1_3repE0EEENS1_30default_config_static_selectorELNS0_4arch9wavefront6targetE1EEEvSK_
; %bb.0:
	.section	.rodata,"a",@progbits
	.p2align	6, 0x0
	.amdhsa_kernel _ZN7rocprim17ROCPRIM_400000_NS6detail17trampoline_kernelINS0_14default_configENS1_37merge_sort_block_sort_config_selectorItNS0_10empty_typeEEEZNS1_21merge_sort_block_sortIS3_N6thrust23THRUST_200600_302600_NS6detail15normal_iteratorINS9_10device_ptrItEEEESE_PS5_SF_14custom_greaterItEEE10hipError_tT0_T1_T2_T3_mRjT4_P12ihipStream_tbNS1_7vsmem_tEEUlT_E_NS1_11comp_targetILNS1_3genE10ELNS1_11target_archE1201ELNS1_3gpuE5ELNS1_3repE0EEENS1_30default_config_static_selectorELNS0_4arch9wavefront6targetE1EEEvSK_
		.amdhsa_group_segment_fixed_size 0
		.amdhsa_private_segment_fixed_size 0
		.amdhsa_kernarg_size 64
		.amdhsa_user_sgpr_count 6
		.amdhsa_user_sgpr_private_segment_buffer 1
		.amdhsa_user_sgpr_dispatch_ptr 0
		.amdhsa_user_sgpr_queue_ptr 0
		.amdhsa_user_sgpr_kernarg_segment_ptr 1
		.amdhsa_user_sgpr_dispatch_id 0
		.amdhsa_user_sgpr_flat_scratch_init 0
		.amdhsa_user_sgpr_kernarg_preload_length 0
		.amdhsa_user_sgpr_kernarg_preload_offset 0
		.amdhsa_user_sgpr_private_segment_size 0
		.amdhsa_uses_dynamic_stack 0
		.amdhsa_system_sgpr_private_segment_wavefront_offset 0
		.amdhsa_system_sgpr_workgroup_id_x 1
		.amdhsa_system_sgpr_workgroup_id_y 0
		.amdhsa_system_sgpr_workgroup_id_z 0
		.amdhsa_system_sgpr_workgroup_info 0
		.amdhsa_system_vgpr_workitem_id 0
		.amdhsa_next_free_vgpr 1
		.amdhsa_next_free_sgpr 0
		.amdhsa_accum_offset 4
		.amdhsa_reserve_vcc 0
		.amdhsa_reserve_flat_scratch 0
		.amdhsa_float_round_mode_32 0
		.amdhsa_float_round_mode_16_64 0
		.amdhsa_float_denorm_mode_32 3
		.amdhsa_float_denorm_mode_16_64 3
		.amdhsa_dx10_clamp 1
		.amdhsa_ieee_mode 1
		.amdhsa_fp16_overflow 0
		.amdhsa_tg_split 0
		.amdhsa_exception_fp_ieee_invalid_op 0
		.amdhsa_exception_fp_denorm_src 0
		.amdhsa_exception_fp_ieee_div_zero 0
		.amdhsa_exception_fp_ieee_overflow 0
		.amdhsa_exception_fp_ieee_underflow 0
		.amdhsa_exception_fp_ieee_inexact 0
		.amdhsa_exception_int_div_zero 0
	.end_amdhsa_kernel
	.section	.text._ZN7rocprim17ROCPRIM_400000_NS6detail17trampoline_kernelINS0_14default_configENS1_37merge_sort_block_sort_config_selectorItNS0_10empty_typeEEEZNS1_21merge_sort_block_sortIS3_N6thrust23THRUST_200600_302600_NS6detail15normal_iteratorINS9_10device_ptrItEEEESE_PS5_SF_14custom_greaterItEEE10hipError_tT0_T1_T2_T3_mRjT4_P12ihipStream_tbNS1_7vsmem_tEEUlT_E_NS1_11comp_targetILNS1_3genE10ELNS1_11target_archE1201ELNS1_3gpuE5ELNS1_3repE0EEENS1_30default_config_static_selectorELNS0_4arch9wavefront6targetE1EEEvSK_,"axG",@progbits,_ZN7rocprim17ROCPRIM_400000_NS6detail17trampoline_kernelINS0_14default_configENS1_37merge_sort_block_sort_config_selectorItNS0_10empty_typeEEEZNS1_21merge_sort_block_sortIS3_N6thrust23THRUST_200600_302600_NS6detail15normal_iteratorINS9_10device_ptrItEEEESE_PS5_SF_14custom_greaterItEEE10hipError_tT0_T1_T2_T3_mRjT4_P12ihipStream_tbNS1_7vsmem_tEEUlT_E_NS1_11comp_targetILNS1_3genE10ELNS1_11target_archE1201ELNS1_3gpuE5ELNS1_3repE0EEENS1_30default_config_static_selectorELNS0_4arch9wavefront6targetE1EEEvSK_,comdat
.Lfunc_end3009:
	.size	_ZN7rocprim17ROCPRIM_400000_NS6detail17trampoline_kernelINS0_14default_configENS1_37merge_sort_block_sort_config_selectorItNS0_10empty_typeEEEZNS1_21merge_sort_block_sortIS3_N6thrust23THRUST_200600_302600_NS6detail15normal_iteratorINS9_10device_ptrItEEEESE_PS5_SF_14custom_greaterItEEE10hipError_tT0_T1_T2_T3_mRjT4_P12ihipStream_tbNS1_7vsmem_tEEUlT_E_NS1_11comp_targetILNS1_3genE10ELNS1_11target_archE1201ELNS1_3gpuE5ELNS1_3repE0EEENS1_30default_config_static_selectorELNS0_4arch9wavefront6targetE1EEEvSK_, .Lfunc_end3009-_ZN7rocprim17ROCPRIM_400000_NS6detail17trampoline_kernelINS0_14default_configENS1_37merge_sort_block_sort_config_selectorItNS0_10empty_typeEEEZNS1_21merge_sort_block_sortIS3_N6thrust23THRUST_200600_302600_NS6detail15normal_iteratorINS9_10device_ptrItEEEESE_PS5_SF_14custom_greaterItEEE10hipError_tT0_T1_T2_T3_mRjT4_P12ihipStream_tbNS1_7vsmem_tEEUlT_E_NS1_11comp_targetILNS1_3genE10ELNS1_11target_archE1201ELNS1_3gpuE5ELNS1_3repE0EEENS1_30default_config_static_selectorELNS0_4arch9wavefront6targetE1EEEvSK_
                                        ; -- End function
	.section	.AMDGPU.csdata,"",@progbits
; Kernel info:
; codeLenInByte = 0
; NumSgprs: 4
; NumVgprs: 0
; NumAgprs: 0
; TotalNumVgprs: 0
; ScratchSize: 0
; MemoryBound: 0
; FloatMode: 240
; IeeeMode: 1
; LDSByteSize: 0 bytes/workgroup (compile time only)
; SGPRBlocks: 0
; VGPRBlocks: 0
; NumSGPRsForWavesPerEU: 4
; NumVGPRsForWavesPerEU: 1
; AccumOffset: 4
; Occupancy: 8
; WaveLimiterHint : 0
; COMPUTE_PGM_RSRC2:SCRATCH_EN: 0
; COMPUTE_PGM_RSRC2:USER_SGPR: 6
; COMPUTE_PGM_RSRC2:TRAP_HANDLER: 0
; COMPUTE_PGM_RSRC2:TGID_X_EN: 1
; COMPUTE_PGM_RSRC2:TGID_Y_EN: 0
; COMPUTE_PGM_RSRC2:TGID_Z_EN: 0
; COMPUTE_PGM_RSRC2:TIDIG_COMP_CNT: 0
; COMPUTE_PGM_RSRC3_GFX90A:ACCUM_OFFSET: 0
; COMPUTE_PGM_RSRC3_GFX90A:TG_SPLIT: 0
	.section	.text._ZN7rocprim17ROCPRIM_400000_NS6detail17trampoline_kernelINS0_14default_configENS1_37merge_sort_block_sort_config_selectorItNS0_10empty_typeEEEZNS1_21merge_sort_block_sortIS3_N6thrust23THRUST_200600_302600_NS6detail15normal_iteratorINS9_10device_ptrItEEEESE_PS5_SF_14custom_greaterItEEE10hipError_tT0_T1_T2_T3_mRjT4_P12ihipStream_tbNS1_7vsmem_tEEUlT_E_NS1_11comp_targetILNS1_3genE10ELNS1_11target_archE1200ELNS1_3gpuE4ELNS1_3repE0EEENS1_30default_config_static_selectorELNS0_4arch9wavefront6targetE1EEEvSK_,"axG",@progbits,_ZN7rocprim17ROCPRIM_400000_NS6detail17trampoline_kernelINS0_14default_configENS1_37merge_sort_block_sort_config_selectorItNS0_10empty_typeEEEZNS1_21merge_sort_block_sortIS3_N6thrust23THRUST_200600_302600_NS6detail15normal_iteratorINS9_10device_ptrItEEEESE_PS5_SF_14custom_greaterItEEE10hipError_tT0_T1_T2_T3_mRjT4_P12ihipStream_tbNS1_7vsmem_tEEUlT_E_NS1_11comp_targetILNS1_3genE10ELNS1_11target_archE1200ELNS1_3gpuE4ELNS1_3repE0EEENS1_30default_config_static_selectorELNS0_4arch9wavefront6targetE1EEEvSK_,comdat
	.protected	_ZN7rocprim17ROCPRIM_400000_NS6detail17trampoline_kernelINS0_14default_configENS1_37merge_sort_block_sort_config_selectorItNS0_10empty_typeEEEZNS1_21merge_sort_block_sortIS3_N6thrust23THRUST_200600_302600_NS6detail15normal_iteratorINS9_10device_ptrItEEEESE_PS5_SF_14custom_greaterItEEE10hipError_tT0_T1_T2_T3_mRjT4_P12ihipStream_tbNS1_7vsmem_tEEUlT_E_NS1_11comp_targetILNS1_3genE10ELNS1_11target_archE1200ELNS1_3gpuE4ELNS1_3repE0EEENS1_30default_config_static_selectorELNS0_4arch9wavefront6targetE1EEEvSK_ ; -- Begin function _ZN7rocprim17ROCPRIM_400000_NS6detail17trampoline_kernelINS0_14default_configENS1_37merge_sort_block_sort_config_selectorItNS0_10empty_typeEEEZNS1_21merge_sort_block_sortIS3_N6thrust23THRUST_200600_302600_NS6detail15normal_iteratorINS9_10device_ptrItEEEESE_PS5_SF_14custom_greaterItEEE10hipError_tT0_T1_T2_T3_mRjT4_P12ihipStream_tbNS1_7vsmem_tEEUlT_E_NS1_11comp_targetILNS1_3genE10ELNS1_11target_archE1200ELNS1_3gpuE4ELNS1_3repE0EEENS1_30default_config_static_selectorELNS0_4arch9wavefront6targetE1EEEvSK_
	.globl	_ZN7rocprim17ROCPRIM_400000_NS6detail17trampoline_kernelINS0_14default_configENS1_37merge_sort_block_sort_config_selectorItNS0_10empty_typeEEEZNS1_21merge_sort_block_sortIS3_N6thrust23THRUST_200600_302600_NS6detail15normal_iteratorINS9_10device_ptrItEEEESE_PS5_SF_14custom_greaterItEEE10hipError_tT0_T1_T2_T3_mRjT4_P12ihipStream_tbNS1_7vsmem_tEEUlT_E_NS1_11comp_targetILNS1_3genE10ELNS1_11target_archE1200ELNS1_3gpuE4ELNS1_3repE0EEENS1_30default_config_static_selectorELNS0_4arch9wavefront6targetE1EEEvSK_
	.p2align	8
	.type	_ZN7rocprim17ROCPRIM_400000_NS6detail17trampoline_kernelINS0_14default_configENS1_37merge_sort_block_sort_config_selectorItNS0_10empty_typeEEEZNS1_21merge_sort_block_sortIS3_N6thrust23THRUST_200600_302600_NS6detail15normal_iteratorINS9_10device_ptrItEEEESE_PS5_SF_14custom_greaterItEEE10hipError_tT0_T1_T2_T3_mRjT4_P12ihipStream_tbNS1_7vsmem_tEEUlT_E_NS1_11comp_targetILNS1_3genE10ELNS1_11target_archE1200ELNS1_3gpuE4ELNS1_3repE0EEENS1_30default_config_static_selectorELNS0_4arch9wavefront6targetE1EEEvSK_,@function
_ZN7rocprim17ROCPRIM_400000_NS6detail17trampoline_kernelINS0_14default_configENS1_37merge_sort_block_sort_config_selectorItNS0_10empty_typeEEEZNS1_21merge_sort_block_sortIS3_N6thrust23THRUST_200600_302600_NS6detail15normal_iteratorINS9_10device_ptrItEEEESE_PS5_SF_14custom_greaterItEEE10hipError_tT0_T1_T2_T3_mRjT4_P12ihipStream_tbNS1_7vsmem_tEEUlT_E_NS1_11comp_targetILNS1_3genE10ELNS1_11target_archE1200ELNS1_3gpuE4ELNS1_3repE0EEENS1_30default_config_static_selectorELNS0_4arch9wavefront6targetE1EEEvSK_: ; @_ZN7rocprim17ROCPRIM_400000_NS6detail17trampoline_kernelINS0_14default_configENS1_37merge_sort_block_sort_config_selectorItNS0_10empty_typeEEEZNS1_21merge_sort_block_sortIS3_N6thrust23THRUST_200600_302600_NS6detail15normal_iteratorINS9_10device_ptrItEEEESE_PS5_SF_14custom_greaterItEEE10hipError_tT0_T1_T2_T3_mRjT4_P12ihipStream_tbNS1_7vsmem_tEEUlT_E_NS1_11comp_targetILNS1_3genE10ELNS1_11target_archE1200ELNS1_3gpuE4ELNS1_3repE0EEENS1_30default_config_static_selectorELNS0_4arch9wavefront6targetE1EEEvSK_
; %bb.0:
	.section	.rodata,"a",@progbits
	.p2align	6, 0x0
	.amdhsa_kernel _ZN7rocprim17ROCPRIM_400000_NS6detail17trampoline_kernelINS0_14default_configENS1_37merge_sort_block_sort_config_selectorItNS0_10empty_typeEEEZNS1_21merge_sort_block_sortIS3_N6thrust23THRUST_200600_302600_NS6detail15normal_iteratorINS9_10device_ptrItEEEESE_PS5_SF_14custom_greaterItEEE10hipError_tT0_T1_T2_T3_mRjT4_P12ihipStream_tbNS1_7vsmem_tEEUlT_E_NS1_11comp_targetILNS1_3genE10ELNS1_11target_archE1200ELNS1_3gpuE4ELNS1_3repE0EEENS1_30default_config_static_selectorELNS0_4arch9wavefront6targetE1EEEvSK_
		.amdhsa_group_segment_fixed_size 0
		.amdhsa_private_segment_fixed_size 0
		.amdhsa_kernarg_size 64
		.amdhsa_user_sgpr_count 6
		.amdhsa_user_sgpr_private_segment_buffer 1
		.amdhsa_user_sgpr_dispatch_ptr 0
		.amdhsa_user_sgpr_queue_ptr 0
		.amdhsa_user_sgpr_kernarg_segment_ptr 1
		.amdhsa_user_sgpr_dispatch_id 0
		.amdhsa_user_sgpr_flat_scratch_init 0
		.amdhsa_user_sgpr_kernarg_preload_length 0
		.amdhsa_user_sgpr_kernarg_preload_offset 0
		.amdhsa_user_sgpr_private_segment_size 0
		.amdhsa_uses_dynamic_stack 0
		.amdhsa_system_sgpr_private_segment_wavefront_offset 0
		.amdhsa_system_sgpr_workgroup_id_x 1
		.amdhsa_system_sgpr_workgroup_id_y 0
		.amdhsa_system_sgpr_workgroup_id_z 0
		.amdhsa_system_sgpr_workgroup_info 0
		.amdhsa_system_vgpr_workitem_id 0
		.amdhsa_next_free_vgpr 1
		.amdhsa_next_free_sgpr 0
		.amdhsa_accum_offset 4
		.amdhsa_reserve_vcc 0
		.amdhsa_reserve_flat_scratch 0
		.amdhsa_float_round_mode_32 0
		.amdhsa_float_round_mode_16_64 0
		.amdhsa_float_denorm_mode_32 3
		.amdhsa_float_denorm_mode_16_64 3
		.amdhsa_dx10_clamp 1
		.amdhsa_ieee_mode 1
		.amdhsa_fp16_overflow 0
		.amdhsa_tg_split 0
		.amdhsa_exception_fp_ieee_invalid_op 0
		.amdhsa_exception_fp_denorm_src 0
		.amdhsa_exception_fp_ieee_div_zero 0
		.amdhsa_exception_fp_ieee_overflow 0
		.amdhsa_exception_fp_ieee_underflow 0
		.amdhsa_exception_fp_ieee_inexact 0
		.amdhsa_exception_int_div_zero 0
	.end_amdhsa_kernel
	.section	.text._ZN7rocprim17ROCPRIM_400000_NS6detail17trampoline_kernelINS0_14default_configENS1_37merge_sort_block_sort_config_selectorItNS0_10empty_typeEEEZNS1_21merge_sort_block_sortIS3_N6thrust23THRUST_200600_302600_NS6detail15normal_iteratorINS9_10device_ptrItEEEESE_PS5_SF_14custom_greaterItEEE10hipError_tT0_T1_T2_T3_mRjT4_P12ihipStream_tbNS1_7vsmem_tEEUlT_E_NS1_11comp_targetILNS1_3genE10ELNS1_11target_archE1200ELNS1_3gpuE4ELNS1_3repE0EEENS1_30default_config_static_selectorELNS0_4arch9wavefront6targetE1EEEvSK_,"axG",@progbits,_ZN7rocprim17ROCPRIM_400000_NS6detail17trampoline_kernelINS0_14default_configENS1_37merge_sort_block_sort_config_selectorItNS0_10empty_typeEEEZNS1_21merge_sort_block_sortIS3_N6thrust23THRUST_200600_302600_NS6detail15normal_iteratorINS9_10device_ptrItEEEESE_PS5_SF_14custom_greaterItEEE10hipError_tT0_T1_T2_T3_mRjT4_P12ihipStream_tbNS1_7vsmem_tEEUlT_E_NS1_11comp_targetILNS1_3genE10ELNS1_11target_archE1200ELNS1_3gpuE4ELNS1_3repE0EEENS1_30default_config_static_selectorELNS0_4arch9wavefront6targetE1EEEvSK_,comdat
.Lfunc_end3010:
	.size	_ZN7rocprim17ROCPRIM_400000_NS6detail17trampoline_kernelINS0_14default_configENS1_37merge_sort_block_sort_config_selectorItNS0_10empty_typeEEEZNS1_21merge_sort_block_sortIS3_N6thrust23THRUST_200600_302600_NS6detail15normal_iteratorINS9_10device_ptrItEEEESE_PS5_SF_14custom_greaterItEEE10hipError_tT0_T1_T2_T3_mRjT4_P12ihipStream_tbNS1_7vsmem_tEEUlT_E_NS1_11comp_targetILNS1_3genE10ELNS1_11target_archE1200ELNS1_3gpuE4ELNS1_3repE0EEENS1_30default_config_static_selectorELNS0_4arch9wavefront6targetE1EEEvSK_, .Lfunc_end3010-_ZN7rocprim17ROCPRIM_400000_NS6detail17trampoline_kernelINS0_14default_configENS1_37merge_sort_block_sort_config_selectorItNS0_10empty_typeEEEZNS1_21merge_sort_block_sortIS3_N6thrust23THRUST_200600_302600_NS6detail15normal_iteratorINS9_10device_ptrItEEEESE_PS5_SF_14custom_greaterItEEE10hipError_tT0_T1_T2_T3_mRjT4_P12ihipStream_tbNS1_7vsmem_tEEUlT_E_NS1_11comp_targetILNS1_3genE10ELNS1_11target_archE1200ELNS1_3gpuE4ELNS1_3repE0EEENS1_30default_config_static_selectorELNS0_4arch9wavefront6targetE1EEEvSK_
                                        ; -- End function
	.section	.AMDGPU.csdata,"",@progbits
; Kernel info:
; codeLenInByte = 0
; NumSgprs: 4
; NumVgprs: 0
; NumAgprs: 0
; TotalNumVgprs: 0
; ScratchSize: 0
; MemoryBound: 0
; FloatMode: 240
; IeeeMode: 1
; LDSByteSize: 0 bytes/workgroup (compile time only)
; SGPRBlocks: 0
; VGPRBlocks: 0
; NumSGPRsForWavesPerEU: 4
; NumVGPRsForWavesPerEU: 1
; AccumOffset: 4
; Occupancy: 8
; WaveLimiterHint : 0
; COMPUTE_PGM_RSRC2:SCRATCH_EN: 0
; COMPUTE_PGM_RSRC2:USER_SGPR: 6
; COMPUTE_PGM_RSRC2:TRAP_HANDLER: 0
; COMPUTE_PGM_RSRC2:TGID_X_EN: 1
; COMPUTE_PGM_RSRC2:TGID_Y_EN: 0
; COMPUTE_PGM_RSRC2:TGID_Z_EN: 0
; COMPUTE_PGM_RSRC2:TIDIG_COMP_CNT: 0
; COMPUTE_PGM_RSRC3_GFX90A:ACCUM_OFFSET: 0
; COMPUTE_PGM_RSRC3_GFX90A:TG_SPLIT: 0
	.section	.text._ZN7rocprim17ROCPRIM_400000_NS6detail17trampoline_kernelINS0_14default_configENS1_37merge_sort_block_sort_config_selectorItNS0_10empty_typeEEEZNS1_21merge_sort_block_sortIS3_N6thrust23THRUST_200600_302600_NS6detail15normal_iteratorINS9_10device_ptrItEEEESE_PS5_SF_14custom_greaterItEEE10hipError_tT0_T1_T2_T3_mRjT4_P12ihipStream_tbNS1_7vsmem_tEEUlT_E_NS1_11comp_targetILNS1_3genE9ELNS1_11target_archE1100ELNS1_3gpuE3ELNS1_3repE0EEENS1_30default_config_static_selectorELNS0_4arch9wavefront6targetE1EEEvSK_,"axG",@progbits,_ZN7rocprim17ROCPRIM_400000_NS6detail17trampoline_kernelINS0_14default_configENS1_37merge_sort_block_sort_config_selectorItNS0_10empty_typeEEEZNS1_21merge_sort_block_sortIS3_N6thrust23THRUST_200600_302600_NS6detail15normal_iteratorINS9_10device_ptrItEEEESE_PS5_SF_14custom_greaterItEEE10hipError_tT0_T1_T2_T3_mRjT4_P12ihipStream_tbNS1_7vsmem_tEEUlT_E_NS1_11comp_targetILNS1_3genE9ELNS1_11target_archE1100ELNS1_3gpuE3ELNS1_3repE0EEENS1_30default_config_static_selectorELNS0_4arch9wavefront6targetE1EEEvSK_,comdat
	.protected	_ZN7rocprim17ROCPRIM_400000_NS6detail17trampoline_kernelINS0_14default_configENS1_37merge_sort_block_sort_config_selectorItNS0_10empty_typeEEEZNS1_21merge_sort_block_sortIS3_N6thrust23THRUST_200600_302600_NS6detail15normal_iteratorINS9_10device_ptrItEEEESE_PS5_SF_14custom_greaterItEEE10hipError_tT0_T1_T2_T3_mRjT4_P12ihipStream_tbNS1_7vsmem_tEEUlT_E_NS1_11comp_targetILNS1_3genE9ELNS1_11target_archE1100ELNS1_3gpuE3ELNS1_3repE0EEENS1_30default_config_static_selectorELNS0_4arch9wavefront6targetE1EEEvSK_ ; -- Begin function _ZN7rocprim17ROCPRIM_400000_NS6detail17trampoline_kernelINS0_14default_configENS1_37merge_sort_block_sort_config_selectorItNS0_10empty_typeEEEZNS1_21merge_sort_block_sortIS3_N6thrust23THRUST_200600_302600_NS6detail15normal_iteratorINS9_10device_ptrItEEEESE_PS5_SF_14custom_greaterItEEE10hipError_tT0_T1_T2_T3_mRjT4_P12ihipStream_tbNS1_7vsmem_tEEUlT_E_NS1_11comp_targetILNS1_3genE9ELNS1_11target_archE1100ELNS1_3gpuE3ELNS1_3repE0EEENS1_30default_config_static_selectorELNS0_4arch9wavefront6targetE1EEEvSK_
	.globl	_ZN7rocprim17ROCPRIM_400000_NS6detail17trampoline_kernelINS0_14default_configENS1_37merge_sort_block_sort_config_selectorItNS0_10empty_typeEEEZNS1_21merge_sort_block_sortIS3_N6thrust23THRUST_200600_302600_NS6detail15normal_iteratorINS9_10device_ptrItEEEESE_PS5_SF_14custom_greaterItEEE10hipError_tT0_T1_T2_T3_mRjT4_P12ihipStream_tbNS1_7vsmem_tEEUlT_E_NS1_11comp_targetILNS1_3genE9ELNS1_11target_archE1100ELNS1_3gpuE3ELNS1_3repE0EEENS1_30default_config_static_selectorELNS0_4arch9wavefront6targetE1EEEvSK_
	.p2align	8
	.type	_ZN7rocprim17ROCPRIM_400000_NS6detail17trampoline_kernelINS0_14default_configENS1_37merge_sort_block_sort_config_selectorItNS0_10empty_typeEEEZNS1_21merge_sort_block_sortIS3_N6thrust23THRUST_200600_302600_NS6detail15normal_iteratorINS9_10device_ptrItEEEESE_PS5_SF_14custom_greaterItEEE10hipError_tT0_T1_T2_T3_mRjT4_P12ihipStream_tbNS1_7vsmem_tEEUlT_E_NS1_11comp_targetILNS1_3genE9ELNS1_11target_archE1100ELNS1_3gpuE3ELNS1_3repE0EEENS1_30default_config_static_selectorELNS0_4arch9wavefront6targetE1EEEvSK_,@function
_ZN7rocprim17ROCPRIM_400000_NS6detail17trampoline_kernelINS0_14default_configENS1_37merge_sort_block_sort_config_selectorItNS0_10empty_typeEEEZNS1_21merge_sort_block_sortIS3_N6thrust23THRUST_200600_302600_NS6detail15normal_iteratorINS9_10device_ptrItEEEESE_PS5_SF_14custom_greaterItEEE10hipError_tT0_T1_T2_T3_mRjT4_P12ihipStream_tbNS1_7vsmem_tEEUlT_E_NS1_11comp_targetILNS1_3genE9ELNS1_11target_archE1100ELNS1_3gpuE3ELNS1_3repE0EEENS1_30default_config_static_selectorELNS0_4arch9wavefront6targetE1EEEvSK_: ; @_ZN7rocprim17ROCPRIM_400000_NS6detail17trampoline_kernelINS0_14default_configENS1_37merge_sort_block_sort_config_selectorItNS0_10empty_typeEEEZNS1_21merge_sort_block_sortIS3_N6thrust23THRUST_200600_302600_NS6detail15normal_iteratorINS9_10device_ptrItEEEESE_PS5_SF_14custom_greaterItEEE10hipError_tT0_T1_T2_T3_mRjT4_P12ihipStream_tbNS1_7vsmem_tEEUlT_E_NS1_11comp_targetILNS1_3genE9ELNS1_11target_archE1100ELNS1_3gpuE3ELNS1_3repE0EEENS1_30default_config_static_selectorELNS0_4arch9wavefront6targetE1EEEvSK_
; %bb.0:
	.section	.rodata,"a",@progbits
	.p2align	6, 0x0
	.amdhsa_kernel _ZN7rocprim17ROCPRIM_400000_NS6detail17trampoline_kernelINS0_14default_configENS1_37merge_sort_block_sort_config_selectorItNS0_10empty_typeEEEZNS1_21merge_sort_block_sortIS3_N6thrust23THRUST_200600_302600_NS6detail15normal_iteratorINS9_10device_ptrItEEEESE_PS5_SF_14custom_greaterItEEE10hipError_tT0_T1_T2_T3_mRjT4_P12ihipStream_tbNS1_7vsmem_tEEUlT_E_NS1_11comp_targetILNS1_3genE9ELNS1_11target_archE1100ELNS1_3gpuE3ELNS1_3repE0EEENS1_30default_config_static_selectorELNS0_4arch9wavefront6targetE1EEEvSK_
		.amdhsa_group_segment_fixed_size 0
		.amdhsa_private_segment_fixed_size 0
		.amdhsa_kernarg_size 64
		.amdhsa_user_sgpr_count 6
		.amdhsa_user_sgpr_private_segment_buffer 1
		.amdhsa_user_sgpr_dispatch_ptr 0
		.amdhsa_user_sgpr_queue_ptr 0
		.amdhsa_user_sgpr_kernarg_segment_ptr 1
		.amdhsa_user_sgpr_dispatch_id 0
		.amdhsa_user_sgpr_flat_scratch_init 0
		.amdhsa_user_sgpr_kernarg_preload_length 0
		.amdhsa_user_sgpr_kernarg_preload_offset 0
		.amdhsa_user_sgpr_private_segment_size 0
		.amdhsa_uses_dynamic_stack 0
		.amdhsa_system_sgpr_private_segment_wavefront_offset 0
		.amdhsa_system_sgpr_workgroup_id_x 1
		.amdhsa_system_sgpr_workgroup_id_y 0
		.amdhsa_system_sgpr_workgroup_id_z 0
		.amdhsa_system_sgpr_workgroup_info 0
		.amdhsa_system_vgpr_workitem_id 0
		.amdhsa_next_free_vgpr 1
		.amdhsa_next_free_sgpr 0
		.amdhsa_accum_offset 4
		.amdhsa_reserve_vcc 0
		.amdhsa_reserve_flat_scratch 0
		.amdhsa_float_round_mode_32 0
		.amdhsa_float_round_mode_16_64 0
		.amdhsa_float_denorm_mode_32 3
		.amdhsa_float_denorm_mode_16_64 3
		.amdhsa_dx10_clamp 1
		.amdhsa_ieee_mode 1
		.amdhsa_fp16_overflow 0
		.amdhsa_tg_split 0
		.amdhsa_exception_fp_ieee_invalid_op 0
		.amdhsa_exception_fp_denorm_src 0
		.amdhsa_exception_fp_ieee_div_zero 0
		.amdhsa_exception_fp_ieee_overflow 0
		.amdhsa_exception_fp_ieee_underflow 0
		.amdhsa_exception_fp_ieee_inexact 0
		.amdhsa_exception_int_div_zero 0
	.end_amdhsa_kernel
	.section	.text._ZN7rocprim17ROCPRIM_400000_NS6detail17trampoline_kernelINS0_14default_configENS1_37merge_sort_block_sort_config_selectorItNS0_10empty_typeEEEZNS1_21merge_sort_block_sortIS3_N6thrust23THRUST_200600_302600_NS6detail15normal_iteratorINS9_10device_ptrItEEEESE_PS5_SF_14custom_greaterItEEE10hipError_tT0_T1_T2_T3_mRjT4_P12ihipStream_tbNS1_7vsmem_tEEUlT_E_NS1_11comp_targetILNS1_3genE9ELNS1_11target_archE1100ELNS1_3gpuE3ELNS1_3repE0EEENS1_30default_config_static_selectorELNS0_4arch9wavefront6targetE1EEEvSK_,"axG",@progbits,_ZN7rocprim17ROCPRIM_400000_NS6detail17trampoline_kernelINS0_14default_configENS1_37merge_sort_block_sort_config_selectorItNS0_10empty_typeEEEZNS1_21merge_sort_block_sortIS3_N6thrust23THRUST_200600_302600_NS6detail15normal_iteratorINS9_10device_ptrItEEEESE_PS5_SF_14custom_greaterItEEE10hipError_tT0_T1_T2_T3_mRjT4_P12ihipStream_tbNS1_7vsmem_tEEUlT_E_NS1_11comp_targetILNS1_3genE9ELNS1_11target_archE1100ELNS1_3gpuE3ELNS1_3repE0EEENS1_30default_config_static_selectorELNS0_4arch9wavefront6targetE1EEEvSK_,comdat
.Lfunc_end3011:
	.size	_ZN7rocprim17ROCPRIM_400000_NS6detail17trampoline_kernelINS0_14default_configENS1_37merge_sort_block_sort_config_selectorItNS0_10empty_typeEEEZNS1_21merge_sort_block_sortIS3_N6thrust23THRUST_200600_302600_NS6detail15normal_iteratorINS9_10device_ptrItEEEESE_PS5_SF_14custom_greaterItEEE10hipError_tT0_T1_T2_T3_mRjT4_P12ihipStream_tbNS1_7vsmem_tEEUlT_E_NS1_11comp_targetILNS1_3genE9ELNS1_11target_archE1100ELNS1_3gpuE3ELNS1_3repE0EEENS1_30default_config_static_selectorELNS0_4arch9wavefront6targetE1EEEvSK_, .Lfunc_end3011-_ZN7rocprim17ROCPRIM_400000_NS6detail17trampoline_kernelINS0_14default_configENS1_37merge_sort_block_sort_config_selectorItNS0_10empty_typeEEEZNS1_21merge_sort_block_sortIS3_N6thrust23THRUST_200600_302600_NS6detail15normal_iteratorINS9_10device_ptrItEEEESE_PS5_SF_14custom_greaterItEEE10hipError_tT0_T1_T2_T3_mRjT4_P12ihipStream_tbNS1_7vsmem_tEEUlT_E_NS1_11comp_targetILNS1_3genE9ELNS1_11target_archE1100ELNS1_3gpuE3ELNS1_3repE0EEENS1_30default_config_static_selectorELNS0_4arch9wavefront6targetE1EEEvSK_
                                        ; -- End function
	.section	.AMDGPU.csdata,"",@progbits
; Kernel info:
; codeLenInByte = 0
; NumSgprs: 4
; NumVgprs: 0
; NumAgprs: 0
; TotalNumVgprs: 0
; ScratchSize: 0
; MemoryBound: 0
; FloatMode: 240
; IeeeMode: 1
; LDSByteSize: 0 bytes/workgroup (compile time only)
; SGPRBlocks: 0
; VGPRBlocks: 0
; NumSGPRsForWavesPerEU: 4
; NumVGPRsForWavesPerEU: 1
; AccumOffset: 4
; Occupancy: 8
; WaveLimiterHint : 0
; COMPUTE_PGM_RSRC2:SCRATCH_EN: 0
; COMPUTE_PGM_RSRC2:USER_SGPR: 6
; COMPUTE_PGM_RSRC2:TRAP_HANDLER: 0
; COMPUTE_PGM_RSRC2:TGID_X_EN: 1
; COMPUTE_PGM_RSRC2:TGID_Y_EN: 0
; COMPUTE_PGM_RSRC2:TGID_Z_EN: 0
; COMPUTE_PGM_RSRC2:TIDIG_COMP_CNT: 0
; COMPUTE_PGM_RSRC3_GFX90A:ACCUM_OFFSET: 0
; COMPUTE_PGM_RSRC3_GFX90A:TG_SPLIT: 0
	.section	.text._ZN7rocprim17ROCPRIM_400000_NS6detail17trampoline_kernelINS0_14default_configENS1_37merge_sort_block_sort_config_selectorItNS0_10empty_typeEEEZNS1_21merge_sort_block_sortIS3_N6thrust23THRUST_200600_302600_NS6detail15normal_iteratorINS9_10device_ptrItEEEESE_PS5_SF_14custom_greaterItEEE10hipError_tT0_T1_T2_T3_mRjT4_P12ihipStream_tbNS1_7vsmem_tEEUlT_E_NS1_11comp_targetILNS1_3genE8ELNS1_11target_archE1030ELNS1_3gpuE2ELNS1_3repE0EEENS1_30default_config_static_selectorELNS0_4arch9wavefront6targetE1EEEvSK_,"axG",@progbits,_ZN7rocprim17ROCPRIM_400000_NS6detail17trampoline_kernelINS0_14default_configENS1_37merge_sort_block_sort_config_selectorItNS0_10empty_typeEEEZNS1_21merge_sort_block_sortIS3_N6thrust23THRUST_200600_302600_NS6detail15normal_iteratorINS9_10device_ptrItEEEESE_PS5_SF_14custom_greaterItEEE10hipError_tT0_T1_T2_T3_mRjT4_P12ihipStream_tbNS1_7vsmem_tEEUlT_E_NS1_11comp_targetILNS1_3genE8ELNS1_11target_archE1030ELNS1_3gpuE2ELNS1_3repE0EEENS1_30default_config_static_selectorELNS0_4arch9wavefront6targetE1EEEvSK_,comdat
	.protected	_ZN7rocprim17ROCPRIM_400000_NS6detail17trampoline_kernelINS0_14default_configENS1_37merge_sort_block_sort_config_selectorItNS0_10empty_typeEEEZNS1_21merge_sort_block_sortIS3_N6thrust23THRUST_200600_302600_NS6detail15normal_iteratorINS9_10device_ptrItEEEESE_PS5_SF_14custom_greaterItEEE10hipError_tT0_T1_T2_T3_mRjT4_P12ihipStream_tbNS1_7vsmem_tEEUlT_E_NS1_11comp_targetILNS1_3genE8ELNS1_11target_archE1030ELNS1_3gpuE2ELNS1_3repE0EEENS1_30default_config_static_selectorELNS0_4arch9wavefront6targetE1EEEvSK_ ; -- Begin function _ZN7rocprim17ROCPRIM_400000_NS6detail17trampoline_kernelINS0_14default_configENS1_37merge_sort_block_sort_config_selectorItNS0_10empty_typeEEEZNS1_21merge_sort_block_sortIS3_N6thrust23THRUST_200600_302600_NS6detail15normal_iteratorINS9_10device_ptrItEEEESE_PS5_SF_14custom_greaterItEEE10hipError_tT0_T1_T2_T3_mRjT4_P12ihipStream_tbNS1_7vsmem_tEEUlT_E_NS1_11comp_targetILNS1_3genE8ELNS1_11target_archE1030ELNS1_3gpuE2ELNS1_3repE0EEENS1_30default_config_static_selectorELNS0_4arch9wavefront6targetE1EEEvSK_
	.globl	_ZN7rocprim17ROCPRIM_400000_NS6detail17trampoline_kernelINS0_14default_configENS1_37merge_sort_block_sort_config_selectorItNS0_10empty_typeEEEZNS1_21merge_sort_block_sortIS3_N6thrust23THRUST_200600_302600_NS6detail15normal_iteratorINS9_10device_ptrItEEEESE_PS5_SF_14custom_greaterItEEE10hipError_tT0_T1_T2_T3_mRjT4_P12ihipStream_tbNS1_7vsmem_tEEUlT_E_NS1_11comp_targetILNS1_3genE8ELNS1_11target_archE1030ELNS1_3gpuE2ELNS1_3repE0EEENS1_30default_config_static_selectorELNS0_4arch9wavefront6targetE1EEEvSK_
	.p2align	8
	.type	_ZN7rocprim17ROCPRIM_400000_NS6detail17trampoline_kernelINS0_14default_configENS1_37merge_sort_block_sort_config_selectorItNS0_10empty_typeEEEZNS1_21merge_sort_block_sortIS3_N6thrust23THRUST_200600_302600_NS6detail15normal_iteratorINS9_10device_ptrItEEEESE_PS5_SF_14custom_greaterItEEE10hipError_tT0_T1_T2_T3_mRjT4_P12ihipStream_tbNS1_7vsmem_tEEUlT_E_NS1_11comp_targetILNS1_3genE8ELNS1_11target_archE1030ELNS1_3gpuE2ELNS1_3repE0EEENS1_30default_config_static_selectorELNS0_4arch9wavefront6targetE1EEEvSK_,@function
_ZN7rocprim17ROCPRIM_400000_NS6detail17trampoline_kernelINS0_14default_configENS1_37merge_sort_block_sort_config_selectorItNS0_10empty_typeEEEZNS1_21merge_sort_block_sortIS3_N6thrust23THRUST_200600_302600_NS6detail15normal_iteratorINS9_10device_ptrItEEEESE_PS5_SF_14custom_greaterItEEE10hipError_tT0_T1_T2_T3_mRjT4_P12ihipStream_tbNS1_7vsmem_tEEUlT_E_NS1_11comp_targetILNS1_3genE8ELNS1_11target_archE1030ELNS1_3gpuE2ELNS1_3repE0EEENS1_30default_config_static_selectorELNS0_4arch9wavefront6targetE1EEEvSK_: ; @_ZN7rocprim17ROCPRIM_400000_NS6detail17trampoline_kernelINS0_14default_configENS1_37merge_sort_block_sort_config_selectorItNS0_10empty_typeEEEZNS1_21merge_sort_block_sortIS3_N6thrust23THRUST_200600_302600_NS6detail15normal_iteratorINS9_10device_ptrItEEEESE_PS5_SF_14custom_greaterItEEE10hipError_tT0_T1_T2_T3_mRjT4_P12ihipStream_tbNS1_7vsmem_tEEUlT_E_NS1_11comp_targetILNS1_3genE8ELNS1_11target_archE1030ELNS1_3gpuE2ELNS1_3repE0EEENS1_30default_config_static_selectorELNS0_4arch9wavefront6targetE1EEEvSK_
; %bb.0:
	.section	.rodata,"a",@progbits
	.p2align	6, 0x0
	.amdhsa_kernel _ZN7rocprim17ROCPRIM_400000_NS6detail17trampoline_kernelINS0_14default_configENS1_37merge_sort_block_sort_config_selectorItNS0_10empty_typeEEEZNS1_21merge_sort_block_sortIS3_N6thrust23THRUST_200600_302600_NS6detail15normal_iteratorINS9_10device_ptrItEEEESE_PS5_SF_14custom_greaterItEEE10hipError_tT0_T1_T2_T3_mRjT4_P12ihipStream_tbNS1_7vsmem_tEEUlT_E_NS1_11comp_targetILNS1_3genE8ELNS1_11target_archE1030ELNS1_3gpuE2ELNS1_3repE0EEENS1_30default_config_static_selectorELNS0_4arch9wavefront6targetE1EEEvSK_
		.amdhsa_group_segment_fixed_size 0
		.amdhsa_private_segment_fixed_size 0
		.amdhsa_kernarg_size 64
		.amdhsa_user_sgpr_count 6
		.amdhsa_user_sgpr_private_segment_buffer 1
		.amdhsa_user_sgpr_dispatch_ptr 0
		.amdhsa_user_sgpr_queue_ptr 0
		.amdhsa_user_sgpr_kernarg_segment_ptr 1
		.amdhsa_user_sgpr_dispatch_id 0
		.amdhsa_user_sgpr_flat_scratch_init 0
		.amdhsa_user_sgpr_kernarg_preload_length 0
		.amdhsa_user_sgpr_kernarg_preload_offset 0
		.amdhsa_user_sgpr_private_segment_size 0
		.amdhsa_uses_dynamic_stack 0
		.amdhsa_system_sgpr_private_segment_wavefront_offset 0
		.amdhsa_system_sgpr_workgroup_id_x 1
		.amdhsa_system_sgpr_workgroup_id_y 0
		.amdhsa_system_sgpr_workgroup_id_z 0
		.amdhsa_system_sgpr_workgroup_info 0
		.amdhsa_system_vgpr_workitem_id 0
		.amdhsa_next_free_vgpr 1
		.amdhsa_next_free_sgpr 0
		.amdhsa_accum_offset 4
		.amdhsa_reserve_vcc 0
		.amdhsa_reserve_flat_scratch 0
		.amdhsa_float_round_mode_32 0
		.amdhsa_float_round_mode_16_64 0
		.amdhsa_float_denorm_mode_32 3
		.amdhsa_float_denorm_mode_16_64 3
		.amdhsa_dx10_clamp 1
		.amdhsa_ieee_mode 1
		.amdhsa_fp16_overflow 0
		.amdhsa_tg_split 0
		.amdhsa_exception_fp_ieee_invalid_op 0
		.amdhsa_exception_fp_denorm_src 0
		.amdhsa_exception_fp_ieee_div_zero 0
		.amdhsa_exception_fp_ieee_overflow 0
		.amdhsa_exception_fp_ieee_underflow 0
		.amdhsa_exception_fp_ieee_inexact 0
		.amdhsa_exception_int_div_zero 0
	.end_amdhsa_kernel
	.section	.text._ZN7rocprim17ROCPRIM_400000_NS6detail17trampoline_kernelINS0_14default_configENS1_37merge_sort_block_sort_config_selectorItNS0_10empty_typeEEEZNS1_21merge_sort_block_sortIS3_N6thrust23THRUST_200600_302600_NS6detail15normal_iteratorINS9_10device_ptrItEEEESE_PS5_SF_14custom_greaterItEEE10hipError_tT0_T1_T2_T3_mRjT4_P12ihipStream_tbNS1_7vsmem_tEEUlT_E_NS1_11comp_targetILNS1_3genE8ELNS1_11target_archE1030ELNS1_3gpuE2ELNS1_3repE0EEENS1_30default_config_static_selectorELNS0_4arch9wavefront6targetE1EEEvSK_,"axG",@progbits,_ZN7rocprim17ROCPRIM_400000_NS6detail17trampoline_kernelINS0_14default_configENS1_37merge_sort_block_sort_config_selectorItNS0_10empty_typeEEEZNS1_21merge_sort_block_sortIS3_N6thrust23THRUST_200600_302600_NS6detail15normal_iteratorINS9_10device_ptrItEEEESE_PS5_SF_14custom_greaterItEEE10hipError_tT0_T1_T2_T3_mRjT4_P12ihipStream_tbNS1_7vsmem_tEEUlT_E_NS1_11comp_targetILNS1_3genE8ELNS1_11target_archE1030ELNS1_3gpuE2ELNS1_3repE0EEENS1_30default_config_static_selectorELNS0_4arch9wavefront6targetE1EEEvSK_,comdat
.Lfunc_end3012:
	.size	_ZN7rocprim17ROCPRIM_400000_NS6detail17trampoline_kernelINS0_14default_configENS1_37merge_sort_block_sort_config_selectorItNS0_10empty_typeEEEZNS1_21merge_sort_block_sortIS3_N6thrust23THRUST_200600_302600_NS6detail15normal_iteratorINS9_10device_ptrItEEEESE_PS5_SF_14custom_greaterItEEE10hipError_tT0_T1_T2_T3_mRjT4_P12ihipStream_tbNS1_7vsmem_tEEUlT_E_NS1_11comp_targetILNS1_3genE8ELNS1_11target_archE1030ELNS1_3gpuE2ELNS1_3repE0EEENS1_30default_config_static_selectorELNS0_4arch9wavefront6targetE1EEEvSK_, .Lfunc_end3012-_ZN7rocprim17ROCPRIM_400000_NS6detail17trampoline_kernelINS0_14default_configENS1_37merge_sort_block_sort_config_selectorItNS0_10empty_typeEEEZNS1_21merge_sort_block_sortIS3_N6thrust23THRUST_200600_302600_NS6detail15normal_iteratorINS9_10device_ptrItEEEESE_PS5_SF_14custom_greaterItEEE10hipError_tT0_T1_T2_T3_mRjT4_P12ihipStream_tbNS1_7vsmem_tEEUlT_E_NS1_11comp_targetILNS1_3genE8ELNS1_11target_archE1030ELNS1_3gpuE2ELNS1_3repE0EEENS1_30default_config_static_selectorELNS0_4arch9wavefront6targetE1EEEvSK_
                                        ; -- End function
	.section	.AMDGPU.csdata,"",@progbits
; Kernel info:
; codeLenInByte = 0
; NumSgprs: 4
; NumVgprs: 0
; NumAgprs: 0
; TotalNumVgprs: 0
; ScratchSize: 0
; MemoryBound: 0
; FloatMode: 240
; IeeeMode: 1
; LDSByteSize: 0 bytes/workgroup (compile time only)
; SGPRBlocks: 0
; VGPRBlocks: 0
; NumSGPRsForWavesPerEU: 4
; NumVGPRsForWavesPerEU: 1
; AccumOffset: 4
; Occupancy: 8
; WaveLimiterHint : 0
; COMPUTE_PGM_RSRC2:SCRATCH_EN: 0
; COMPUTE_PGM_RSRC2:USER_SGPR: 6
; COMPUTE_PGM_RSRC2:TRAP_HANDLER: 0
; COMPUTE_PGM_RSRC2:TGID_X_EN: 1
; COMPUTE_PGM_RSRC2:TGID_Y_EN: 0
; COMPUTE_PGM_RSRC2:TGID_Z_EN: 0
; COMPUTE_PGM_RSRC2:TIDIG_COMP_CNT: 0
; COMPUTE_PGM_RSRC3_GFX90A:ACCUM_OFFSET: 0
; COMPUTE_PGM_RSRC3_GFX90A:TG_SPLIT: 0
	.section	.text._ZN7rocprim17ROCPRIM_400000_NS6detail17trampoline_kernelINS0_14default_configENS1_38merge_sort_block_merge_config_selectorItNS0_10empty_typeEEEZZNS1_27merge_sort_block_merge_implIS3_N6thrust23THRUST_200600_302600_NS6detail15normal_iteratorINS9_10device_ptrItEEEEPS5_m14custom_greaterItEEE10hipError_tT0_T1_T2_jT3_P12ihipStream_tbPNSt15iterator_traitsISJ_E10value_typeEPNSP_ISK_E10value_typeEPSL_NS1_7vsmem_tEENKUlT_SJ_SK_SL_E_clIPtSE_SF_SF_EESI_SY_SJ_SK_SL_EUlSY_E_NS1_11comp_targetILNS1_3genE0ELNS1_11target_archE4294967295ELNS1_3gpuE0ELNS1_3repE0EEENS1_48merge_mergepath_partition_config_static_selectorELNS0_4arch9wavefront6targetE1EEEvSK_,"axG",@progbits,_ZN7rocprim17ROCPRIM_400000_NS6detail17trampoline_kernelINS0_14default_configENS1_38merge_sort_block_merge_config_selectorItNS0_10empty_typeEEEZZNS1_27merge_sort_block_merge_implIS3_N6thrust23THRUST_200600_302600_NS6detail15normal_iteratorINS9_10device_ptrItEEEEPS5_m14custom_greaterItEEE10hipError_tT0_T1_T2_jT3_P12ihipStream_tbPNSt15iterator_traitsISJ_E10value_typeEPNSP_ISK_E10value_typeEPSL_NS1_7vsmem_tEENKUlT_SJ_SK_SL_E_clIPtSE_SF_SF_EESI_SY_SJ_SK_SL_EUlSY_E_NS1_11comp_targetILNS1_3genE0ELNS1_11target_archE4294967295ELNS1_3gpuE0ELNS1_3repE0EEENS1_48merge_mergepath_partition_config_static_selectorELNS0_4arch9wavefront6targetE1EEEvSK_,comdat
	.protected	_ZN7rocprim17ROCPRIM_400000_NS6detail17trampoline_kernelINS0_14default_configENS1_38merge_sort_block_merge_config_selectorItNS0_10empty_typeEEEZZNS1_27merge_sort_block_merge_implIS3_N6thrust23THRUST_200600_302600_NS6detail15normal_iteratorINS9_10device_ptrItEEEEPS5_m14custom_greaterItEEE10hipError_tT0_T1_T2_jT3_P12ihipStream_tbPNSt15iterator_traitsISJ_E10value_typeEPNSP_ISK_E10value_typeEPSL_NS1_7vsmem_tEENKUlT_SJ_SK_SL_E_clIPtSE_SF_SF_EESI_SY_SJ_SK_SL_EUlSY_E_NS1_11comp_targetILNS1_3genE0ELNS1_11target_archE4294967295ELNS1_3gpuE0ELNS1_3repE0EEENS1_48merge_mergepath_partition_config_static_selectorELNS0_4arch9wavefront6targetE1EEEvSK_ ; -- Begin function _ZN7rocprim17ROCPRIM_400000_NS6detail17trampoline_kernelINS0_14default_configENS1_38merge_sort_block_merge_config_selectorItNS0_10empty_typeEEEZZNS1_27merge_sort_block_merge_implIS3_N6thrust23THRUST_200600_302600_NS6detail15normal_iteratorINS9_10device_ptrItEEEEPS5_m14custom_greaterItEEE10hipError_tT0_T1_T2_jT3_P12ihipStream_tbPNSt15iterator_traitsISJ_E10value_typeEPNSP_ISK_E10value_typeEPSL_NS1_7vsmem_tEENKUlT_SJ_SK_SL_E_clIPtSE_SF_SF_EESI_SY_SJ_SK_SL_EUlSY_E_NS1_11comp_targetILNS1_3genE0ELNS1_11target_archE4294967295ELNS1_3gpuE0ELNS1_3repE0EEENS1_48merge_mergepath_partition_config_static_selectorELNS0_4arch9wavefront6targetE1EEEvSK_
	.globl	_ZN7rocprim17ROCPRIM_400000_NS6detail17trampoline_kernelINS0_14default_configENS1_38merge_sort_block_merge_config_selectorItNS0_10empty_typeEEEZZNS1_27merge_sort_block_merge_implIS3_N6thrust23THRUST_200600_302600_NS6detail15normal_iteratorINS9_10device_ptrItEEEEPS5_m14custom_greaterItEEE10hipError_tT0_T1_T2_jT3_P12ihipStream_tbPNSt15iterator_traitsISJ_E10value_typeEPNSP_ISK_E10value_typeEPSL_NS1_7vsmem_tEENKUlT_SJ_SK_SL_E_clIPtSE_SF_SF_EESI_SY_SJ_SK_SL_EUlSY_E_NS1_11comp_targetILNS1_3genE0ELNS1_11target_archE4294967295ELNS1_3gpuE0ELNS1_3repE0EEENS1_48merge_mergepath_partition_config_static_selectorELNS0_4arch9wavefront6targetE1EEEvSK_
	.p2align	8
	.type	_ZN7rocprim17ROCPRIM_400000_NS6detail17trampoline_kernelINS0_14default_configENS1_38merge_sort_block_merge_config_selectorItNS0_10empty_typeEEEZZNS1_27merge_sort_block_merge_implIS3_N6thrust23THRUST_200600_302600_NS6detail15normal_iteratorINS9_10device_ptrItEEEEPS5_m14custom_greaterItEEE10hipError_tT0_T1_T2_jT3_P12ihipStream_tbPNSt15iterator_traitsISJ_E10value_typeEPNSP_ISK_E10value_typeEPSL_NS1_7vsmem_tEENKUlT_SJ_SK_SL_E_clIPtSE_SF_SF_EESI_SY_SJ_SK_SL_EUlSY_E_NS1_11comp_targetILNS1_3genE0ELNS1_11target_archE4294967295ELNS1_3gpuE0ELNS1_3repE0EEENS1_48merge_mergepath_partition_config_static_selectorELNS0_4arch9wavefront6targetE1EEEvSK_,@function
_ZN7rocprim17ROCPRIM_400000_NS6detail17trampoline_kernelINS0_14default_configENS1_38merge_sort_block_merge_config_selectorItNS0_10empty_typeEEEZZNS1_27merge_sort_block_merge_implIS3_N6thrust23THRUST_200600_302600_NS6detail15normal_iteratorINS9_10device_ptrItEEEEPS5_m14custom_greaterItEEE10hipError_tT0_T1_T2_jT3_P12ihipStream_tbPNSt15iterator_traitsISJ_E10value_typeEPNSP_ISK_E10value_typeEPSL_NS1_7vsmem_tEENKUlT_SJ_SK_SL_E_clIPtSE_SF_SF_EESI_SY_SJ_SK_SL_EUlSY_E_NS1_11comp_targetILNS1_3genE0ELNS1_11target_archE4294967295ELNS1_3gpuE0ELNS1_3repE0EEENS1_48merge_mergepath_partition_config_static_selectorELNS0_4arch9wavefront6targetE1EEEvSK_: ; @_ZN7rocprim17ROCPRIM_400000_NS6detail17trampoline_kernelINS0_14default_configENS1_38merge_sort_block_merge_config_selectorItNS0_10empty_typeEEEZZNS1_27merge_sort_block_merge_implIS3_N6thrust23THRUST_200600_302600_NS6detail15normal_iteratorINS9_10device_ptrItEEEEPS5_m14custom_greaterItEEE10hipError_tT0_T1_T2_jT3_P12ihipStream_tbPNSt15iterator_traitsISJ_E10value_typeEPNSP_ISK_E10value_typeEPSL_NS1_7vsmem_tEENKUlT_SJ_SK_SL_E_clIPtSE_SF_SF_EESI_SY_SJ_SK_SL_EUlSY_E_NS1_11comp_targetILNS1_3genE0ELNS1_11target_archE4294967295ELNS1_3gpuE0ELNS1_3repE0EEENS1_48merge_mergepath_partition_config_static_selectorELNS0_4arch9wavefront6targetE1EEEvSK_
; %bb.0:
	.section	.rodata,"a",@progbits
	.p2align	6, 0x0
	.amdhsa_kernel _ZN7rocprim17ROCPRIM_400000_NS6detail17trampoline_kernelINS0_14default_configENS1_38merge_sort_block_merge_config_selectorItNS0_10empty_typeEEEZZNS1_27merge_sort_block_merge_implIS3_N6thrust23THRUST_200600_302600_NS6detail15normal_iteratorINS9_10device_ptrItEEEEPS5_m14custom_greaterItEEE10hipError_tT0_T1_T2_jT3_P12ihipStream_tbPNSt15iterator_traitsISJ_E10value_typeEPNSP_ISK_E10value_typeEPSL_NS1_7vsmem_tEENKUlT_SJ_SK_SL_E_clIPtSE_SF_SF_EESI_SY_SJ_SK_SL_EUlSY_E_NS1_11comp_targetILNS1_3genE0ELNS1_11target_archE4294967295ELNS1_3gpuE0ELNS1_3repE0EEENS1_48merge_mergepath_partition_config_static_selectorELNS0_4arch9wavefront6targetE1EEEvSK_
		.amdhsa_group_segment_fixed_size 0
		.amdhsa_private_segment_fixed_size 0
		.amdhsa_kernarg_size 48
		.amdhsa_user_sgpr_count 6
		.amdhsa_user_sgpr_private_segment_buffer 1
		.amdhsa_user_sgpr_dispatch_ptr 0
		.amdhsa_user_sgpr_queue_ptr 0
		.amdhsa_user_sgpr_kernarg_segment_ptr 1
		.amdhsa_user_sgpr_dispatch_id 0
		.amdhsa_user_sgpr_flat_scratch_init 0
		.amdhsa_user_sgpr_kernarg_preload_length 0
		.amdhsa_user_sgpr_kernarg_preload_offset 0
		.amdhsa_user_sgpr_private_segment_size 0
		.amdhsa_uses_dynamic_stack 0
		.amdhsa_system_sgpr_private_segment_wavefront_offset 0
		.amdhsa_system_sgpr_workgroup_id_x 1
		.amdhsa_system_sgpr_workgroup_id_y 0
		.amdhsa_system_sgpr_workgroup_id_z 0
		.amdhsa_system_sgpr_workgroup_info 0
		.amdhsa_system_vgpr_workitem_id 0
		.amdhsa_next_free_vgpr 1
		.amdhsa_next_free_sgpr 0
		.amdhsa_accum_offset 4
		.amdhsa_reserve_vcc 0
		.amdhsa_reserve_flat_scratch 0
		.amdhsa_float_round_mode_32 0
		.amdhsa_float_round_mode_16_64 0
		.amdhsa_float_denorm_mode_32 3
		.amdhsa_float_denorm_mode_16_64 3
		.amdhsa_dx10_clamp 1
		.amdhsa_ieee_mode 1
		.amdhsa_fp16_overflow 0
		.amdhsa_tg_split 0
		.amdhsa_exception_fp_ieee_invalid_op 0
		.amdhsa_exception_fp_denorm_src 0
		.amdhsa_exception_fp_ieee_div_zero 0
		.amdhsa_exception_fp_ieee_overflow 0
		.amdhsa_exception_fp_ieee_underflow 0
		.amdhsa_exception_fp_ieee_inexact 0
		.amdhsa_exception_int_div_zero 0
	.end_amdhsa_kernel
	.section	.text._ZN7rocprim17ROCPRIM_400000_NS6detail17trampoline_kernelINS0_14default_configENS1_38merge_sort_block_merge_config_selectorItNS0_10empty_typeEEEZZNS1_27merge_sort_block_merge_implIS3_N6thrust23THRUST_200600_302600_NS6detail15normal_iteratorINS9_10device_ptrItEEEEPS5_m14custom_greaterItEEE10hipError_tT0_T1_T2_jT3_P12ihipStream_tbPNSt15iterator_traitsISJ_E10value_typeEPNSP_ISK_E10value_typeEPSL_NS1_7vsmem_tEENKUlT_SJ_SK_SL_E_clIPtSE_SF_SF_EESI_SY_SJ_SK_SL_EUlSY_E_NS1_11comp_targetILNS1_3genE0ELNS1_11target_archE4294967295ELNS1_3gpuE0ELNS1_3repE0EEENS1_48merge_mergepath_partition_config_static_selectorELNS0_4arch9wavefront6targetE1EEEvSK_,"axG",@progbits,_ZN7rocprim17ROCPRIM_400000_NS6detail17trampoline_kernelINS0_14default_configENS1_38merge_sort_block_merge_config_selectorItNS0_10empty_typeEEEZZNS1_27merge_sort_block_merge_implIS3_N6thrust23THRUST_200600_302600_NS6detail15normal_iteratorINS9_10device_ptrItEEEEPS5_m14custom_greaterItEEE10hipError_tT0_T1_T2_jT3_P12ihipStream_tbPNSt15iterator_traitsISJ_E10value_typeEPNSP_ISK_E10value_typeEPSL_NS1_7vsmem_tEENKUlT_SJ_SK_SL_E_clIPtSE_SF_SF_EESI_SY_SJ_SK_SL_EUlSY_E_NS1_11comp_targetILNS1_3genE0ELNS1_11target_archE4294967295ELNS1_3gpuE0ELNS1_3repE0EEENS1_48merge_mergepath_partition_config_static_selectorELNS0_4arch9wavefront6targetE1EEEvSK_,comdat
.Lfunc_end3013:
	.size	_ZN7rocprim17ROCPRIM_400000_NS6detail17trampoline_kernelINS0_14default_configENS1_38merge_sort_block_merge_config_selectorItNS0_10empty_typeEEEZZNS1_27merge_sort_block_merge_implIS3_N6thrust23THRUST_200600_302600_NS6detail15normal_iteratorINS9_10device_ptrItEEEEPS5_m14custom_greaterItEEE10hipError_tT0_T1_T2_jT3_P12ihipStream_tbPNSt15iterator_traitsISJ_E10value_typeEPNSP_ISK_E10value_typeEPSL_NS1_7vsmem_tEENKUlT_SJ_SK_SL_E_clIPtSE_SF_SF_EESI_SY_SJ_SK_SL_EUlSY_E_NS1_11comp_targetILNS1_3genE0ELNS1_11target_archE4294967295ELNS1_3gpuE0ELNS1_3repE0EEENS1_48merge_mergepath_partition_config_static_selectorELNS0_4arch9wavefront6targetE1EEEvSK_, .Lfunc_end3013-_ZN7rocprim17ROCPRIM_400000_NS6detail17trampoline_kernelINS0_14default_configENS1_38merge_sort_block_merge_config_selectorItNS0_10empty_typeEEEZZNS1_27merge_sort_block_merge_implIS3_N6thrust23THRUST_200600_302600_NS6detail15normal_iteratorINS9_10device_ptrItEEEEPS5_m14custom_greaterItEEE10hipError_tT0_T1_T2_jT3_P12ihipStream_tbPNSt15iterator_traitsISJ_E10value_typeEPNSP_ISK_E10value_typeEPSL_NS1_7vsmem_tEENKUlT_SJ_SK_SL_E_clIPtSE_SF_SF_EESI_SY_SJ_SK_SL_EUlSY_E_NS1_11comp_targetILNS1_3genE0ELNS1_11target_archE4294967295ELNS1_3gpuE0ELNS1_3repE0EEENS1_48merge_mergepath_partition_config_static_selectorELNS0_4arch9wavefront6targetE1EEEvSK_
                                        ; -- End function
	.section	.AMDGPU.csdata,"",@progbits
; Kernel info:
; codeLenInByte = 0
; NumSgprs: 4
; NumVgprs: 0
; NumAgprs: 0
; TotalNumVgprs: 0
; ScratchSize: 0
; MemoryBound: 0
; FloatMode: 240
; IeeeMode: 1
; LDSByteSize: 0 bytes/workgroup (compile time only)
; SGPRBlocks: 0
; VGPRBlocks: 0
; NumSGPRsForWavesPerEU: 4
; NumVGPRsForWavesPerEU: 1
; AccumOffset: 4
; Occupancy: 8
; WaveLimiterHint : 0
; COMPUTE_PGM_RSRC2:SCRATCH_EN: 0
; COMPUTE_PGM_RSRC2:USER_SGPR: 6
; COMPUTE_PGM_RSRC2:TRAP_HANDLER: 0
; COMPUTE_PGM_RSRC2:TGID_X_EN: 1
; COMPUTE_PGM_RSRC2:TGID_Y_EN: 0
; COMPUTE_PGM_RSRC2:TGID_Z_EN: 0
; COMPUTE_PGM_RSRC2:TIDIG_COMP_CNT: 0
; COMPUTE_PGM_RSRC3_GFX90A:ACCUM_OFFSET: 0
; COMPUTE_PGM_RSRC3_GFX90A:TG_SPLIT: 0
	.section	.text._ZN7rocprim17ROCPRIM_400000_NS6detail17trampoline_kernelINS0_14default_configENS1_38merge_sort_block_merge_config_selectorItNS0_10empty_typeEEEZZNS1_27merge_sort_block_merge_implIS3_N6thrust23THRUST_200600_302600_NS6detail15normal_iteratorINS9_10device_ptrItEEEEPS5_m14custom_greaterItEEE10hipError_tT0_T1_T2_jT3_P12ihipStream_tbPNSt15iterator_traitsISJ_E10value_typeEPNSP_ISK_E10value_typeEPSL_NS1_7vsmem_tEENKUlT_SJ_SK_SL_E_clIPtSE_SF_SF_EESI_SY_SJ_SK_SL_EUlSY_E_NS1_11comp_targetILNS1_3genE10ELNS1_11target_archE1201ELNS1_3gpuE5ELNS1_3repE0EEENS1_48merge_mergepath_partition_config_static_selectorELNS0_4arch9wavefront6targetE1EEEvSK_,"axG",@progbits,_ZN7rocprim17ROCPRIM_400000_NS6detail17trampoline_kernelINS0_14default_configENS1_38merge_sort_block_merge_config_selectorItNS0_10empty_typeEEEZZNS1_27merge_sort_block_merge_implIS3_N6thrust23THRUST_200600_302600_NS6detail15normal_iteratorINS9_10device_ptrItEEEEPS5_m14custom_greaterItEEE10hipError_tT0_T1_T2_jT3_P12ihipStream_tbPNSt15iterator_traitsISJ_E10value_typeEPNSP_ISK_E10value_typeEPSL_NS1_7vsmem_tEENKUlT_SJ_SK_SL_E_clIPtSE_SF_SF_EESI_SY_SJ_SK_SL_EUlSY_E_NS1_11comp_targetILNS1_3genE10ELNS1_11target_archE1201ELNS1_3gpuE5ELNS1_3repE0EEENS1_48merge_mergepath_partition_config_static_selectorELNS0_4arch9wavefront6targetE1EEEvSK_,comdat
	.protected	_ZN7rocprim17ROCPRIM_400000_NS6detail17trampoline_kernelINS0_14default_configENS1_38merge_sort_block_merge_config_selectorItNS0_10empty_typeEEEZZNS1_27merge_sort_block_merge_implIS3_N6thrust23THRUST_200600_302600_NS6detail15normal_iteratorINS9_10device_ptrItEEEEPS5_m14custom_greaterItEEE10hipError_tT0_T1_T2_jT3_P12ihipStream_tbPNSt15iterator_traitsISJ_E10value_typeEPNSP_ISK_E10value_typeEPSL_NS1_7vsmem_tEENKUlT_SJ_SK_SL_E_clIPtSE_SF_SF_EESI_SY_SJ_SK_SL_EUlSY_E_NS1_11comp_targetILNS1_3genE10ELNS1_11target_archE1201ELNS1_3gpuE5ELNS1_3repE0EEENS1_48merge_mergepath_partition_config_static_selectorELNS0_4arch9wavefront6targetE1EEEvSK_ ; -- Begin function _ZN7rocprim17ROCPRIM_400000_NS6detail17trampoline_kernelINS0_14default_configENS1_38merge_sort_block_merge_config_selectorItNS0_10empty_typeEEEZZNS1_27merge_sort_block_merge_implIS3_N6thrust23THRUST_200600_302600_NS6detail15normal_iteratorINS9_10device_ptrItEEEEPS5_m14custom_greaterItEEE10hipError_tT0_T1_T2_jT3_P12ihipStream_tbPNSt15iterator_traitsISJ_E10value_typeEPNSP_ISK_E10value_typeEPSL_NS1_7vsmem_tEENKUlT_SJ_SK_SL_E_clIPtSE_SF_SF_EESI_SY_SJ_SK_SL_EUlSY_E_NS1_11comp_targetILNS1_3genE10ELNS1_11target_archE1201ELNS1_3gpuE5ELNS1_3repE0EEENS1_48merge_mergepath_partition_config_static_selectorELNS0_4arch9wavefront6targetE1EEEvSK_
	.globl	_ZN7rocprim17ROCPRIM_400000_NS6detail17trampoline_kernelINS0_14default_configENS1_38merge_sort_block_merge_config_selectorItNS0_10empty_typeEEEZZNS1_27merge_sort_block_merge_implIS3_N6thrust23THRUST_200600_302600_NS6detail15normal_iteratorINS9_10device_ptrItEEEEPS5_m14custom_greaterItEEE10hipError_tT0_T1_T2_jT3_P12ihipStream_tbPNSt15iterator_traitsISJ_E10value_typeEPNSP_ISK_E10value_typeEPSL_NS1_7vsmem_tEENKUlT_SJ_SK_SL_E_clIPtSE_SF_SF_EESI_SY_SJ_SK_SL_EUlSY_E_NS1_11comp_targetILNS1_3genE10ELNS1_11target_archE1201ELNS1_3gpuE5ELNS1_3repE0EEENS1_48merge_mergepath_partition_config_static_selectorELNS0_4arch9wavefront6targetE1EEEvSK_
	.p2align	8
	.type	_ZN7rocprim17ROCPRIM_400000_NS6detail17trampoline_kernelINS0_14default_configENS1_38merge_sort_block_merge_config_selectorItNS0_10empty_typeEEEZZNS1_27merge_sort_block_merge_implIS3_N6thrust23THRUST_200600_302600_NS6detail15normal_iteratorINS9_10device_ptrItEEEEPS5_m14custom_greaterItEEE10hipError_tT0_T1_T2_jT3_P12ihipStream_tbPNSt15iterator_traitsISJ_E10value_typeEPNSP_ISK_E10value_typeEPSL_NS1_7vsmem_tEENKUlT_SJ_SK_SL_E_clIPtSE_SF_SF_EESI_SY_SJ_SK_SL_EUlSY_E_NS1_11comp_targetILNS1_3genE10ELNS1_11target_archE1201ELNS1_3gpuE5ELNS1_3repE0EEENS1_48merge_mergepath_partition_config_static_selectorELNS0_4arch9wavefront6targetE1EEEvSK_,@function
_ZN7rocprim17ROCPRIM_400000_NS6detail17trampoline_kernelINS0_14default_configENS1_38merge_sort_block_merge_config_selectorItNS0_10empty_typeEEEZZNS1_27merge_sort_block_merge_implIS3_N6thrust23THRUST_200600_302600_NS6detail15normal_iteratorINS9_10device_ptrItEEEEPS5_m14custom_greaterItEEE10hipError_tT0_T1_T2_jT3_P12ihipStream_tbPNSt15iterator_traitsISJ_E10value_typeEPNSP_ISK_E10value_typeEPSL_NS1_7vsmem_tEENKUlT_SJ_SK_SL_E_clIPtSE_SF_SF_EESI_SY_SJ_SK_SL_EUlSY_E_NS1_11comp_targetILNS1_3genE10ELNS1_11target_archE1201ELNS1_3gpuE5ELNS1_3repE0EEENS1_48merge_mergepath_partition_config_static_selectorELNS0_4arch9wavefront6targetE1EEEvSK_: ; @_ZN7rocprim17ROCPRIM_400000_NS6detail17trampoline_kernelINS0_14default_configENS1_38merge_sort_block_merge_config_selectorItNS0_10empty_typeEEEZZNS1_27merge_sort_block_merge_implIS3_N6thrust23THRUST_200600_302600_NS6detail15normal_iteratorINS9_10device_ptrItEEEEPS5_m14custom_greaterItEEE10hipError_tT0_T1_T2_jT3_P12ihipStream_tbPNSt15iterator_traitsISJ_E10value_typeEPNSP_ISK_E10value_typeEPSL_NS1_7vsmem_tEENKUlT_SJ_SK_SL_E_clIPtSE_SF_SF_EESI_SY_SJ_SK_SL_EUlSY_E_NS1_11comp_targetILNS1_3genE10ELNS1_11target_archE1201ELNS1_3gpuE5ELNS1_3repE0EEENS1_48merge_mergepath_partition_config_static_selectorELNS0_4arch9wavefront6targetE1EEEvSK_
; %bb.0:
	.section	.rodata,"a",@progbits
	.p2align	6, 0x0
	.amdhsa_kernel _ZN7rocprim17ROCPRIM_400000_NS6detail17trampoline_kernelINS0_14default_configENS1_38merge_sort_block_merge_config_selectorItNS0_10empty_typeEEEZZNS1_27merge_sort_block_merge_implIS3_N6thrust23THRUST_200600_302600_NS6detail15normal_iteratorINS9_10device_ptrItEEEEPS5_m14custom_greaterItEEE10hipError_tT0_T1_T2_jT3_P12ihipStream_tbPNSt15iterator_traitsISJ_E10value_typeEPNSP_ISK_E10value_typeEPSL_NS1_7vsmem_tEENKUlT_SJ_SK_SL_E_clIPtSE_SF_SF_EESI_SY_SJ_SK_SL_EUlSY_E_NS1_11comp_targetILNS1_3genE10ELNS1_11target_archE1201ELNS1_3gpuE5ELNS1_3repE0EEENS1_48merge_mergepath_partition_config_static_selectorELNS0_4arch9wavefront6targetE1EEEvSK_
		.amdhsa_group_segment_fixed_size 0
		.amdhsa_private_segment_fixed_size 0
		.amdhsa_kernarg_size 48
		.amdhsa_user_sgpr_count 6
		.amdhsa_user_sgpr_private_segment_buffer 1
		.amdhsa_user_sgpr_dispatch_ptr 0
		.amdhsa_user_sgpr_queue_ptr 0
		.amdhsa_user_sgpr_kernarg_segment_ptr 1
		.amdhsa_user_sgpr_dispatch_id 0
		.amdhsa_user_sgpr_flat_scratch_init 0
		.amdhsa_user_sgpr_kernarg_preload_length 0
		.amdhsa_user_sgpr_kernarg_preload_offset 0
		.amdhsa_user_sgpr_private_segment_size 0
		.amdhsa_uses_dynamic_stack 0
		.amdhsa_system_sgpr_private_segment_wavefront_offset 0
		.amdhsa_system_sgpr_workgroup_id_x 1
		.amdhsa_system_sgpr_workgroup_id_y 0
		.amdhsa_system_sgpr_workgroup_id_z 0
		.amdhsa_system_sgpr_workgroup_info 0
		.amdhsa_system_vgpr_workitem_id 0
		.amdhsa_next_free_vgpr 1
		.amdhsa_next_free_sgpr 0
		.amdhsa_accum_offset 4
		.amdhsa_reserve_vcc 0
		.amdhsa_reserve_flat_scratch 0
		.amdhsa_float_round_mode_32 0
		.amdhsa_float_round_mode_16_64 0
		.amdhsa_float_denorm_mode_32 3
		.amdhsa_float_denorm_mode_16_64 3
		.amdhsa_dx10_clamp 1
		.amdhsa_ieee_mode 1
		.amdhsa_fp16_overflow 0
		.amdhsa_tg_split 0
		.amdhsa_exception_fp_ieee_invalid_op 0
		.amdhsa_exception_fp_denorm_src 0
		.amdhsa_exception_fp_ieee_div_zero 0
		.amdhsa_exception_fp_ieee_overflow 0
		.amdhsa_exception_fp_ieee_underflow 0
		.amdhsa_exception_fp_ieee_inexact 0
		.amdhsa_exception_int_div_zero 0
	.end_amdhsa_kernel
	.section	.text._ZN7rocprim17ROCPRIM_400000_NS6detail17trampoline_kernelINS0_14default_configENS1_38merge_sort_block_merge_config_selectorItNS0_10empty_typeEEEZZNS1_27merge_sort_block_merge_implIS3_N6thrust23THRUST_200600_302600_NS6detail15normal_iteratorINS9_10device_ptrItEEEEPS5_m14custom_greaterItEEE10hipError_tT0_T1_T2_jT3_P12ihipStream_tbPNSt15iterator_traitsISJ_E10value_typeEPNSP_ISK_E10value_typeEPSL_NS1_7vsmem_tEENKUlT_SJ_SK_SL_E_clIPtSE_SF_SF_EESI_SY_SJ_SK_SL_EUlSY_E_NS1_11comp_targetILNS1_3genE10ELNS1_11target_archE1201ELNS1_3gpuE5ELNS1_3repE0EEENS1_48merge_mergepath_partition_config_static_selectorELNS0_4arch9wavefront6targetE1EEEvSK_,"axG",@progbits,_ZN7rocprim17ROCPRIM_400000_NS6detail17trampoline_kernelINS0_14default_configENS1_38merge_sort_block_merge_config_selectorItNS0_10empty_typeEEEZZNS1_27merge_sort_block_merge_implIS3_N6thrust23THRUST_200600_302600_NS6detail15normal_iteratorINS9_10device_ptrItEEEEPS5_m14custom_greaterItEEE10hipError_tT0_T1_T2_jT3_P12ihipStream_tbPNSt15iterator_traitsISJ_E10value_typeEPNSP_ISK_E10value_typeEPSL_NS1_7vsmem_tEENKUlT_SJ_SK_SL_E_clIPtSE_SF_SF_EESI_SY_SJ_SK_SL_EUlSY_E_NS1_11comp_targetILNS1_3genE10ELNS1_11target_archE1201ELNS1_3gpuE5ELNS1_3repE0EEENS1_48merge_mergepath_partition_config_static_selectorELNS0_4arch9wavefront6targetE1EEEvSK_,comdat
.Lfunc_end3014:
	.size	_ZN7rocprim17ROCPRIM_400000_NS6detail17trampoline_kernelINS0_14default_configENS1_38merge_sort_block_merge_config_selectorItNS0_10empty_typeEEEZZNS1_27merge_sort_block_merge_implIS3_N6thrust23THRUST_200600_302600_NS6detail15normal_iteratorINS9_10device_ptrItEEEEPS5_m14custom_greaterItEEE10hipError_tT0_T1_T2_jT3_P12ihipStream_tbPNSt15iterator_traitsISJ_E10value_typeEPNSP_ISK_E10value_typeEPSL_NS1_7vsmem_tEENKUlT_SJ_SK_SL_E_clIPtSE_SF_SF_EESI_SY_SJ_SK_SL_EUlSY_E_NS1_11comp_targetILNS1_3genE10ELNS1_11target_archE1201ELNS1_3gpuE5ELNS1_3repE0EEENS1_48merge_mergepath_partition_config_static_selectorELNS0_4arch9wavefront6targetE1EEEvSK_, .Lfunc_end3014-_ZN7rocprim17ROCPRIM_400000_NS6detail17trampoline_kernelINS0_14default_configENS1_38merge_sort_block_merge_config_selectorItNS0_10empty_typeEEEZZNS1_27merge_sort_block_merge_implIS3_N6thrust23THRUST_200600_302600_NS6detail15normal_iteratorINS9_10device_ptrItEEEEPS5_m14custom_greaterItEEE10hipError_tT0_T1_T2_jT3_P12ihipStream_tbPNSt15iterator_traitsISJ_E10value_typeEPNSP_ISK_E10value_typeEPSL_NS1_7vsmem_tEENKUlT_SJ_SK_SL_E_clIPtSE_SF_SF_EESI_SY_SJ_SK_SL_EUlSY_E_NS1_11comp_targetILNS1_3genE10ELNS1_11target_archE1201ELNS1_3gpuE5ELNS1_3repE0EEENS1_48merge_mergepath_partition_config_static_selectorELNS0_4arch9wavefront6targetE1EEEvSK_
                                        ; -- End function
	.section	.AMDGPU.csdata,"",@progbits
; Kernel info:
; codeLenInByte = 0
; NumSgprs: 4
; NumVgprs: 0
; NumAgprs: 0
; TotalNumVgprs: 0
; ScratchSize: 0
; MemoryBound: 0
; FloatMode: 240
; IeeeMode: 1
; LDSByteSize: 0 bytes/workgroup (compile time only)
; SGPRBlocks: 0
; VGPRBlocks: 0
; NumSGPRsForWavesPerEU: 4
; NumVGPRsForWavesPerEU: 1
; AccumOffset: 4
; Occupancy: 8
; WaveLimiterHint : 0
; COMPUTE_PGM_RSRC2:SCRATCH_EN: 0
; COMPUTE_PGM_RSRC2:USER_SGPR: 6
; COMPUTE_PGM_RSRC2:TRAP_HANDLER: 0
; COMPUTE_PGM_RSRC2:TGID_X_EN: 1
; COMPUTE_PGM_RSRC2:TGID_Y_EN: 0
; COMPUTE_PGM_RSRC2:TGID_Z_EN: 0
; COMPUTE_PGM_RSRC2:TIDIG_COMP_CNT: 0
; COMPUTE_PGM_RSRC3_GFX90A:ACCUM_OFFSET: 0
; COMPUTE_PGM_RSRC3_GFX90A:TG_SPLIT: 0
	.section	.text._ZN7rocprim17ROCPRIM_400000_NS6detail17trampoline_kernelINS0_14default_configENS1_38merge_sort_block_merge_config_selectorItNS0_10empty_typeEEEZZNS1_27merge_sort_block_merge_implIS3_N6thrust23THRUST_200600_302600_NS6detail15normal_iteratorINS9_10device_ptrItEEEEPS5_m14custom_greaterItEEE10hipError_tT0_T1_T2_jT3_P12ihipStream_tbPNSt15iterator_traitsISJ_E10value_typeEPNSP_ISK_E10value_typeEPSL_NS1_7vsmem_tEENKUlT_SJ_SK_SL_E_clIPtSE_SF_SF_EESI_SY_SJ_SK_SL_EUlSY_E_NS1_11comp_targetILNS1_3genE5ELNS1_11target_archE942ELNS1_3gpuE9ELNS1_3repE0EEENS1_48merge_mergepath_partition_config_static_selectorELNS0_4arch9wavefront6targetE1EEEvSK_,"axG",@progbits,_ZN7rocprim17ROCPRIM_400000_NS6detail17trampoline_kernelINS0_14default_configENS1_38merge_sort_block_merge_config_selectorItNS0_10empty_typeEEEZZNS1_27merge_sort_block_merge_implIS3_N6thrust23THRUST_200600_302600_NS6detail15normal_iteratorINS9_10device_ptrItEEEEPS5_m14custom_greaterItEEE10hipError_tT0_T1_T2_jT3_P12ihipStream_tbPNSt15iterator_traitsISJ_E10value_typeEPNSP_ISK_E10value_typeEPSL_NS1_7vsmem_tEENKUlT_SJ_SK_SL_E_clIPtSE_SF_SF_EESI_SY_SJ_SK_SL_EUlSY_E_NS1_11comp_targetILNS1_3genE5ELNS1_11target_archE942ELNS1_3gpuE9ELNS1_3repE0EEENS1_48merge_mergepath_partition_config_static_selectorELNS0_4arch9wavefront6targetE1EEEvSK_,comdat
	.protected	_ZN7rocprim17ROCPRIM_400000_NS6detail17trampoline_kernelINS0_14default_configENS1_38merge_sort_block_merge_config_selectorItNS0_10empty_typeEEEZZNS1_27merge_sort_block_merge_implIS3_N6thrust23THRUST_200600_302600_NS6detail15normal_iteratorINS9_10device_ptrItEEEEPS5_m14custom_greaterItEEE10hipError_tT0_T1_T2_jT3_P12ihipStream_tbPNSt15iterator_traitsISJ_E10value_typeEPNSP_ISK_E10value_typeEPSL_NS1_7vsmem_tEENKUlT_SJ_SK_SL_E_clIPtSE_SF_SF_EESI_SY_SJ_SK_SL_EUlSY_E_NS1_11comp_targetILNS1_3genE5ELNS1_11target_archE942ELNS1_3gpuE9ELNS1_3repE0EEENS1_48merge_mergepath_partition_config_static_selectorELNS0_4arch9wavefront6targetE1EEEvSK_ ; -- Begin function _ZN7rocprim17ROCPRIM_400000_NS6detail17trampoline_kernelINS0_14default_configENS1_38merge_sort_block_merge_config_selectorItNS0_10empty_typeEEEZZNS1_27merge_sort_block_merge_implIS3_N6thrust23THRUST_200600_302600_NS6detail15normal_iteratorINS9_10device_ptrItEEEEPS5_m14custom_greaterItEEE10hipError_tT0_T1_T2_jT3_P12ihipStream_tbPNSt15iterator_traitsISJ_E10value_typeEPNSP_ISK_E10value_typeEPSL_NS1_7vsmem_tEENKUlT_SJ_SK_SL_E_clIPtSE_SF_SF_EESI_SY_SJ_SK_SL_EUlSY_E_NS1_11comp_targetILNS1_3genE5ELNS1_11target_archE942ELNS1_3gpuE9ELNS1_3repE0EEENS1_48merge_mergepath_partition_config_static_selectorELNS0_4arch9wavefront6targetE1EEEvSK_
	.globl	_ZN7rocprim17ROCPRIM_400000_NS6detail17trampoline_kernelINS0_14default_configENS1_38merge_sort_block_merge_config_selectorItNS0_10empty_typeEEEZZNS1_27merge_sort_block_merge_implIS3_N6thrust23THRUST_200600_302600_NS6detail15normal_iteratorINS9_10device_ptrItEEEEPS5_m14custom_greaterItEEE10hipError_tT0_T1_T2_jT3_P12ihipStream_tbPNSt15iterator_traitsISJ_E10value_typeEPNSP_ISK_E10value_typeEPSL_NS1_7vsmem_tEENKUlT_SJ_SK_SL_E_clIPtSE_SF_SF_EESI_SY_SJ_SK_SL_EUlSY_E_NS1_11comp_targetILNS1_3genE5ELNS1_11target_archE942ELNS1_3gpuE9ELNS1_3repE0EEENS1_48merge_mergepath_partition_config_static_selectorELNS0_4arch9wavefront6targetE1EEEvSK_
	.p2align	8
	.type	_ZN7rocprim17ROCPRIM_400000_NS6detail17trampoline_kernelINS0_14default_configENS1_38merge_sort_block_merge_config_selectorItNS0_10empty_typeEEEZZNS1_27merge_sort_block_merge_implIS3_N6thrust23THRUST_200600_302600_NS6detail15normal_iteratorINS9_10device_ptrItEEEEPS5_m14custom_greaterItEEE10hipError_tT0_T1_T2_jT3_P12ihipStream_tbPNSt15iterator_traitsISJ_E10value_typeEPNSP_ISK_E10value_typeEPSL_NS1_7vsmem_tEENKUlT_SJ_SK_SL_E_clIPtSE_SF_SF_EESI_SY_SJ_SK_SL_EUlSY_E_NS1_11comp_targetILNS1_3genE5ELNS1_11target_archE942ELNS1_3gpuE9ELNS1_3repE0EEENS1_48merge_mergepath_partition_config_static_selectorELNS0_4arch9wavefront6targetE1EEEvSK_,@function
_ZN7rocprim17ROCPRIM_400000_NS6detail17trampoline_kernelINS0_14default_configENS1_38merge_sort_block_merge_config_selectorItNS0_10empty_typeEEEZZNS1_27merge_sort_block_merge_implIS3_N6thrust23THRUST_200600_302600_NS6detail15normal_iteratorINS9_10device_ptrItEEEEPS5_m14custom_greaterItEEE10hipError_tT0_T1_T2_jT3_P12ihipStream_tbPNSt15iterator_traitsISJ_E10value_typeEPNSP_ISK_E10value_typeEPSL_NS1_7vsmem_tEENKUlT_SJ_SK_SL_E_clIPtSE_SF_SF_EESI_SY_SJ_SK_SL_EUlSY_E_NS1_11comp_targetILNS1_3genE5ELNS1_11target_archE942ELNS1_3gpuE9ELNS1_3repE0EEENS1_48merge_mergepath_partition_config_static_selectorELNS0_4arch9wavefront6targetE1EEEvSK_: ; @_ZN7rocprim17ROCPRIM_400000_NS6detail17trampoline_kernelINS0_14default_configENS1_38merge_sort_block_merge_config_selectorItNS0_10empty_typeEEEZZNS1_27merge_sort_block_merge_implIS3_N6thrust23THRUST_200600_302600_NS6detail15normal_iteratorINS9_10device_ptrItEEEEPS5_m14custom_greaterItEEE10hipError_tT0_T1_T2_jT3_P12ihipStream_tbPNSt15iterator_traitsISJ_E10value_typeEPNSP_ISK_E10value_typeEPSL_NS1_7vsmem_tEENKUlT_SJ_SK_SL_E_clIPtSE_SF_SF_EESI_SY_SJ_SK_SL_EUlSY_E_NS1_11comp_targetILNS1_3genE5ELNS1_11target_archE942ELNS1_3gpuE9ELNS1_3repE0EEENS1_48merge_mergepath_partition_config_static_selectorELNS0_4arch9wavefront6targetE1EEEvSK_
; %bb.0:
	.section	.rodata,"a",@progbits
	.p2align	6, 0x0
	.amdhsa_kernel _ZN7rocprim17ROCPRIM_400000_NS6detail17trampoline_kernelINS0_14default_configENS1_38merge_sort_block_merge_config_selectorItNS0_10empty_typeEEEZZNS1_27merge_sort_block_merge_implIS3_N6thrust23THRUST_200600_302600_NS6detail15normal_iteratorINS9_10device_ptrItEEEEPS5_m14custom_greaterItEEE10hipError_tT0_T1_T2_jT3_P12ihipStream_tbPNSt15iterator_traitsISJ_E10value_typeEPNSP_ISK_E10value_typeEPSL_NS1_7vsmem_tEENKUlT_SJ_SK_SL_E_clIPtSE_SF_SF_EESI_SY_SJ_SK_SL_EUlSY_E_NS1_11comp_targetILNS1_3genE5ELNS1_11target_archE942ELNS1_3gpuE9ELNS1_3repE0EEENS1_48merge_mergepath_partition_config_static_selectorELNS0_4arch9wavefront6targetE1EEEvSK_
		.amdhsa_group_segment_fixed_size 0
		.amdhsa_private_segment_fixed_size 0
		.amdhsa_kernarg_size 48
		.amdhsa_user_sgpr_count 6
		.amdhsa_user_sgpr_private_segment_buffer 1
		.amdhsa_user_sgpr_dispatch_ptr 0
		.amdhsa_user_sgpr_queue_ptr 0
		.amdhsa_user_sgpr_kernarg_segment_ptr 1
		.amdhsa_user_sgpr_dispatch_id 0
		.amdhsa_user_sgpr_flat_scratch_init 0
		.amdhsa_user_sgpr_kernarg_preload_length 0
		.amdhsa_user_sgpr_kernarg_preload_offset 0
		.amdhsa_user_sgpr_private_segment_size 0
		.amdhsa_uses_dynamic_stack 0
		.amdhsa_system_sgpr_private_segment_wavefront_offset 0
		.amdhsa_system_sgpr_workgroup_id_x 1
		.amdhsa_system_sgpr_workgroup_id_y 0
		.amdhsa_system_sgpr_workgroup_id_z 0
		.amdhsa_system_sgpr_workgroup_info 0
		.amdhsa_system_vgpr_workitem_id 0
		.amdhsa_next_free_vgpr 1
		.amdhsa_next_free_sgpr 0
		.amdhsa_accum_offset 4
		.amdhsa_reserve_vcc 0
		.amdhsa_reserve_flat_scratch 0
		.amdhsa_float_round_mode_32 0
		.amdhsa_float_round_mode_16_64 0
		.amdhsa_float_denorm_mode_32 3
		.amdhsa_float_denorm_mode_16_64 3
		.amdhsa_dx10_clamp 1
		.amdhsa_ieee_mode 1
		.amdhsa_fp16_overflow 0
		.amdhsa_tg_split 0
		.amdhsa_exception_fp_ieee_invalid_op 0
		.amdhsa_exception_fp_denorm_src 0
		.amdhsa_exception_fp_ieee_div_zero 0
		.amdhsa_exception_fp_ieee_overflow 0
		.amdhsa_exception_fp_ieee_underflow 0
		.amdhsa_exception_fp_ieee_inexact 0
		.amdhsa_exception_int_div_zero 0
	.end_amdhsa_kernel
	.section	.text._ZN7rocprim17ROCPRIM_400000_NS6detail17trampoline_kernelINS0_14default_configENS1_38merge_sort_block_merge_config_selectorItNS0_10empty_typeEEEZZNS1_27merge_sort_block_merge_implIS3_N6thrust23THRUST_200600_302600_NS6detail15normal_iteratorINS9_10device_ptrItEEEEPS5_m14custom_greaterItEEE10hipError_tT0_T1_T2_jT3_P12ihipStream_tbPNSt15iterator_traitsISJ_E10value_typeEPNSP_ISK_E10value_typeEPSL_NS1_7vsmem_tEENKUlT_SJ_SK_SL_E_clIPtSE_SF_SF_EESI_SY_SJ_SK_SL_EUlSY_E_NS1_11comp_targetILNS1_3genE5ELNS1_11target_archE942ELNS1_3gpuE9ELNS1_3repE0EEENS1_48merge_mergepath_partition_config_static_selectorELNS0_4arch9wavefront6targetE1EEEvSK_,"axG",@progbits,_ZN7rocprim17ROCPRIM_400000_NS6detail17trampoline_kernelINS0_14default_configENS1_38merge_sort_block_merge_config_selectorItNS0_10empty_typeEEEZZNS1_27merge_sort_block_merge_implIS3_N6thrust23THRUST_200600_302600_NS6detail15normal_iteratorINS9_10device_ptrItEEEEPS5_m14custom_greaterItEEE10hipError_tT0_T1_T2_jT3_P12ihipStream_tbPNSt15iterator_traitsISJ_E10value_typeEPNSP_ISK_E10value_typeEPSL_NS1_7vsmem_tEENKUlT_SJ_SK_SL_E_clIPtSE_SF_SF_EESI_SY_SJ_SK_SL_EUlSY_E_NS1_11comp_targetILNS1_3genE5ELNS1_11target_archE942ELNS1_3gpuE9ELNS1_3repE0EEENS1_48merge_mergepath_partition_config_static_selectorELNS0_4arch9wavefront6targetE1EEEvSK_,comdat
.Lfunc_end3015:
	.size	_ZN7rocprim17ROCPRIM_400000_NS6detail17trampoline_kernelINS0_14default_configENS1_38merge_sort_block_merge_config_selectorItNS0_10empty_typeEEEZZNS1_27merge_sort_block_merge_implIS3_N6thrust23THRUST_200600_302600_NS6detail15normal_iteratorINS9_10device_ptrItEEEEPS5_m14custom_greaterItEEE10hipError_tT0_T1_T2_jT3_P12ihipStream_tbPNSt15iterator_traitsISJ_E10value_typeEPNSP_ISK_E10value_typeEPSL_NS1_7vsmem_tEENKUlT_SJ_SK_SL_E_clIPtSE_SF_SF_EESI_SY_SJ_SK_SL_EUlSY_E_NS1_11comp_targetILNS1_3genE5ELNS1_11target_archE942ELNS1_3gpuE9ELNS1_3repE0EEENS1_48merge_mergepath_partition_config_static_selectorELNS0_4arch9wavefront6targetE1EEEvSK_, .Lfunc_end3015-_ZN7rocprim17ROCPRIM_400000_NS6detail17trampoline_kernelINS0_14default_configENS1_38merge_sort_block_merge_config_selectorItNS0_10empty_typeEEEZZNS1_27merge_sort_block_merge_implIS3_N6thrust23THRUST_200600_302600_NS6detail15normal_iteratorINS9_10device_ptrItEEEEPS5_m14custom_greaterItEEE10hipError_tT0_T1_T2_jT3_P12ihipStream_tbPNSt15iterator_traitsISJ_E10value_typeEPNSP_ISK_E10value_typeEPSL_NS1_7vsmem_tEENKUlT_SJ_SK_SL_E_clIPtSE_SF_SF_EESI_SY_SJ_SK_SL_EUlSY_E_NS1_11comp_targetILNS1_3genE5ELNS1_11target_archE942ELNS1_3gpuE9ELNS1_3repE0EEENS1_48merge_mergepath_partition_config_static_selectorELNS0_4arch9wavefront6targetE1EEEvSK_
                                        ; -- End function
	.section	.AMDGPU.csdata,"",@progbits
; Kernel info:
; codeLenInByte = 0
; NumSgprs: 4
; NumVgprs: 0
; NumAgprs: 0
; TotalNumVgprs: 0
; ScratchSize: 0
; MemoryBound: 0
; FloatMode: 240
; IeeeMode: 1
; LDSByteSize: 0 bytes/workgroup (compile time only)
; SGPRBlocks: 0
; VGPRBlocks: 0
; NumSGPRsForWavesPerEU: 4
; NumVGPRsForWavesPerEU: 1
; AccumOffset: 4
; Occupancy: 8
; WaveLimiterHint : 0
; COMPUTE_PGM_RSRC2:SCRATCH_EN: 0
; COMPUTE_PGM_RSRC2:USER_SGPR: 6
; COMPUTE_PGM_RSRC2:TRAP_HANDLER: 0
; COMPUTE_PGM_RSRC2:TGID_X_EN: 1
; COMPUTE_PGM_RSRC2:TGID_Y_EN: 0
; COMPUTE_PGM_RSRC2:TGID_Z_EN: 0
; COMPUTE_PGM_RSRC2:TIDIG_COMP_CNT: 0
; COMPUTE_PGM_RSRC3_GFX90A:ACCUM_OFFSET: 0
; COMPUTE_PGM_RSRC3_GFX90A:TG_SPLIT: 0
	.section	.text._ZN7rocprim17ROCPRIM_400000_NS6detail17trampoline_kernelINS0_14default_configENS1_38merge_sort_block_merge_config_selectorItNS0_10empty_typeEEEZZNS1_27merge_sort_block_merge_implIS3_N6thrust23THRUST_200600_302600_NS6detail15normal_iteratorINS9_10device_ptrItEEEEPS5_m14custom_greaterItEEE10hipError_tT0_T1_T2_jT3_P12ihipStream_tbPNSt15iterator_traitsISJ_E10value_typeEPNSP_ISK_E10value_typeEPSL_NS1_7vsmem_tEENKUlT_SJ_SK_SL_E_clIPtSE_SF_SF_EESI_SY_SJ_SK_SL_EUlSY_E_NS1_11comp_targetILNS1_3genE4ELNS1_11target_archE910ELNS1_3gpuE8ELNS1_3repE0EEENS1_48merge_mergepath_partition_config_static_selectorELNS0_4arch9wavefront6targetE1EEEvSK_,"axG",@progbits,_ZN7rocprim17ROCPRIM_400000_NS6detail17trampoline_kernelINS0_14default_configENS1_38merge_sort_block_merge_config_selectorItNS0_10empty_typeEEEZZNS1_27merge_sort_block_merge_implIS3_N6thrust23THRUST_200600_302600_NS6detail15normal_iteratorINS9_10device_ptrItEEEEPS5_m14custom_greaterItEEE10hipError_tT0_T1_T2_jT3_P12ihipStream_tbPNSt15iterator_traitsISJ_E10value_typeEPNSP_ISK_E10value_typeEPSL_NS1_7vsmem_tEENKUlT_SJ_SK_SL_E_clIPtSE_SF_SF_EESI_SY_SJ_SK_SL_EUlSY_E_NS1_11comp_targetILNS1_3genE4ELNS1_11target_archE910ELNS1_3gpuE8ELNS1_3repE0EEENS1_48merge_mergepath_partition_config_static_selectorELNS0_4arch9wavefront6targetE1EEEvSK_,comdat
	.protected	_ZN7rocprim17ROCPRIM_400000_NS6detail17trampoline_kernelINS0_14default_configENS1_38merge_sort_block_merge_config_selectorItNS0_10empty_typeEEEZZNS1_27merge_sort_block_merge_implIS3_N6thrust23THRUST_200600_302600_NS6detail15normal_iteratorINS9_10device_ptrItEEEEPS5_m14custom_greaterItEEE10hipError_tT0_T1_T2_jT3_P12ihipStream_tbPNSt15iterator_traitsISJ_E10value_typeEPNSP_ISK_E10value_typeEPSL_NS1_7vsmem_tEENKUlT_SJ_SK_SL_E_clIPtSE_SF_SF_EESI_SY_SJ_SK_SL_EUlSY_E_NS1_11comp_targetILNS1_3genE4ELNS1_11target_archE910ELNS1_3gpuE8ELNS1_3repE0EEENS1_48merge_mergepath_partition_config_static_selectorELNS0_4arch9wavefront6targetE1EEEvSK_ ; -- Begin function _ZN7rocprim17ROCPRIM_400000_NS6detail17trampoline_kernelINS0_14default_configENS1_38merge_sort_block_merge_config_selectorItNS0_10empty_typeEEEZZNS1_27merge_sort_block_merge_implIS3_N6thrust23THRUST_200600_302600_NS6detail15normal_iteratorINS9_10device_ptrItEEEEPS5_m14custom_greaterItEEE10hipError_tT0_T1_T2_jT3_P12ihipStream_tbPNSt15iterator_traitsISJ_E10value_typeEPNSP_ISK_E10value_typeEPSL_NS1_7vsmem_tEENKUlT_SJ_SK_SL_E_clIPtSE_SF_SF_EESI_SY_SJ_SK_SL_EUlSY_E_NS1_11comp_targetILNS1_3genE4ELNS1_11target_archE910ELNS1_3gpuE8ELNS1_3repE0EEENS1_48merge_mergepath_partition_config_static_selectorELNS0_4arch9wavefront6targetE1EEEvSK_
	.globl	_ZN7rocprim17ROCPRIM_400000_NS6detail17trampoline_kernelINS0_14default_configENS1_38merge_sort_block_merge_config_selectorItNS0_10empty_typeEEEZZNS1_27merge_sort_block_merge_implIS3_N6thrust23THRUST_200600_302600_NS6detail15normal_iteratorINS9_10device_ptrItEEEEPS5_m14custom_greaterItEEE10hipError_tT0_T1_T2_jT3_P12ihipStream_tbPNSt15iterator_traitsISJ_E10value_typeEPNSP_ISK_E10value_typeEPSL_NS1_7vsmem_tEENKUlT_SJ_SK_SL_E_clIPtSE_SF_SF_EESI_SY_SJ_SK_SL_EUlSY_E_NS1_11comp_targetILNS1_3genE4ELNS1_11target_archE910ELNS1_3gpuE8ELNS1_3repE0EEENS1_48merge_mergepath_partition_config_static_selectorELNS0_4arch9wavefront6targetE1EEEvSK_
	.p2align	8
	.type	_ZN7rocprim17ROCPRIM_400000_NS6detail17trampoline_kernelINS0_14default_configENS1_38merge_sort_block_merge_config_selectorItNS0_10empty_typeEEEZZNS1_27merge_sort_block_merge_implIS3_N6thrust23THRUST_200600_302600_NS6detail15normal_iteratorINS9_10device_ptrItEEEEPS5_m14custom_greaterItEEE10hipError_tT0_T1_T2_jT3_P12ihipStream_tbPNSt15iterator_traitsISJ_E10value_typeEPNSP_ISK_E10value_typeEPSL_NS1_7vsmem_tEENKUlT_SJ_SK_SL_E_clIPtSE_SF_SF_EESI_SY_SJ_SK_SL_EUlSY_E_NS1_11comp_targetILNS1_3genE4ELNS1_11target_archE910ELNS1_3gpuE8ELNS1_3repE0EEENS1_48merge_mergepath_partition_config_static_selectorELNS0_4arch9wavefront6targetE1EEEvSK_,@function
_ZN7rocprim17ROCPRIM_400000_NS6detail17trampoline_kernelINS0_14default_configENS1_38merge_sort_block_merge_config_selectorItNS0_10empty_typeEEEZZNS1_27merge_sort_block_merge_implIS3_N6thrust23THRUST_200600_302600_NS6detail15normal_iteratorINS9_10device_ptrItEEEEPS5_m14custom_greaterItEEE10hipError_tT0_T1_T2_jT3_P12ihipStream_tbPNSt15iterator_traitsISJ_E10value_typeEPNSP_ISK_E10value_typeEPSL_NS1_7vsmem_tEENKUlT_SJ_SK_SL_E_clIPtSE_SF_SF_EESI_SY_SJ_SK_SL_EUlSY_E_NS1_11comp_targetILNS1_3genE4ELNS1_11target_archE910ELNS1_3gpuE8ELNS1_3repE0EEENS1_48merge_mergepath_partition_config_static_selectorELNS0_4arch9wavefront6targetE1EEEvSK_: ; @_ZN7rocprim17ROCPRIM_400000_NS6detail17trampoline_kernelINS0_14default_configENS1_38merge_sort_block_merge_config_selectorItNS0_10empty_typeEEEZZNS1_27merge_sort_block_merge_implIS3_N6thrust23THRUST_200600_302600_NS6detail15normal_iteratorINS9_10device_ptrItEEEEPS5_m14custom_greaterItEEE10hipError_tT0_T1_T2_jT3_P12ihipStream_tbPNSt15iterator_traitsISJ_E10value_typeEPNSP_ISK_E10value_typeEPSL_NS1_7vsmem_tEENKUlT_SJ_SK_SL_E_clIPtSE_SF_SF_EESI_SY_SJ_SK_SL_EUlSY_E_NS1_11comp_targetILNS1_3genE4ELNS1_11target_archE910ELNS1_3gpuE8ELNS1_3repE0EEENS1_48merge_mergepath_partition_config_static_selectorELNS0_4arch9wavefront6targetE1EEEvSK_
; %bb.0:
	s_load_dword s0, s[4:5], 0x0
	v_lshl_or_b32 v0, s6, 7, v0
	s_waitcnt lgkmcnt(0)
	v_cmp_gt_u32_e32 vcc, s0, v0
	s_and_saveexec_b64 s[0:1], vcc
	s_cbranch_execz .LBB3016_6
; %bb.1:
	s_load_dwordx4 s[0:3], s[4:5], 0x8
	s_load_dwordx2 s[6:7], s[4:5], 0x28
	v_mov_b32_e32 v5, 0
	s_waitcnt lgkmcnt(0)
	v_mov_b32_e32 v1, s0
	v_alignbit_b32 v1, s1, v1, 9
	v_and_b32_e32 v1, -2, v1
	v_add_u32_e32 v2, -1, v1
	v_sub_u32_e32 v1, 0, v1
	v_and_b32_e32 v4, v0, v1
	v_lshlrev_b64 v[8:9], 10, v[4:5]
	v_mov_b32_e32 v1, s3
	v_cmp_lt_u64_e32 vcc, s[2:3], v[8:9]
	v_mov_b32_e32 v4, s2
	v_and_b32_e32 v6, v2, v0
	v_cndmask_b32_e32 v3, v9, v1, vcc
	v_cndmask_b32_e32 v2, v8, v4, vcc
	v_mov_b32_e32 v7, s1
	v_add_co_u32_e32 v8, vcc, s0, v8
	v_addc_co_u32_e32 v9, vcc, v9, v7, vcc
	v_cmp_lt_u64_e32 vcc, s[2:3], v[8:9]
	v_cndmask_b32_e32 v8, v8, v4, vcc
	v_cndmask_b32_e32 v9, v9, v1, vcc
	v_add_co_u32_e32 v10, vcc, s0, v8
	v_addc_co_u32_e32 v11, vcc, v9, v7, vcc
	v_cmp_lt_u64_e32 vcc, s[2:3], v[10:11]
	v_cndmask_b32_e32 v12, v10, v4, vcc
	v_cndmask_b32_e32 v1, v11, v1, vcc
	v_sub_co_u32_e32 v10, vcc, v12, v2
	v_mov_b32_e32 v7, v5
	v_subb_co_u32_e32 v11, vcc, v1, v3, vcc
	v_lshlrev_b64 v[4:5], 10, v[6:7]
	v_cmp_lt_u64_e32 vcc, v[10:11], v[4:5]
	v_cndmask_b32_e32 v11, v5, v11, vcc
	v_cndmask_b32_e32 v10, v4, v10, vcc
	v_sub_co_u32_e32 v6, vcc, v8, v2
	v_subb_co_u32_e32 v7, vcc, v9, v3, vcc
	v_sub_co_u32_e32 v4, vcc, v8, v12
	v_subb_co_u32_e32 v1, vcc, v9, v1, vcc
	v_add_co_u32_e32 v4, vcc, v10, v4
	v_addc_co_u32_e32 v5, vcc, v11, v1, vcc
	v_cmp_gt_u64_e32 vcc, v[4:5], v[10:11]
	v_cndmask_b32_e64 v5, v5, 0, vcc
	v_cndmask_b32_e64 v4, v4, 0, vcc
	v_cmp_lt_u64_e32 vcc, v[10:11], v[6:7]
	v_cndmask_b32_e32 v7, v7, v11, vcc
	v_cndmask_b32_e32 v6, v6, v10, vcc
	v_cmp_lt_u64_e32 vcc, v[4:5], v[6:7]
	s_and_saveexec_b64 s[0:1], vcc
	s_cbranch_execz .LBB3016_5
; %bb.2:
	s_load_dwordx2 s[2:3], s[4:5], 0x18
	v_lshlrev_b64 v[12:13], 1, v[2:3]
	v_lshlrev_b64 v[8:9], 1, v[8:9]
	s_waitcnt lgkmcnt(0)
	v_mov_b32_e32 v14, s3
	v_add_co_u32_e32 v1, vcc, s2, v12
	v_addc_co_u32_e32 v12, vcc, v14, v13, vcc
	v_add_co_u32_e32 v13, vcc, s2, v8
	v_addc_co_u32_e32 v14, vcc, v14, v9, vcc
	v_lshlrev_b64 v[8:9], 1, v[10:11]
	v_add_co_u32_e32 v8, vcc, v13, v8
	v_addc_co_u32_e32 v9, vcc, v14, v9, vcc
	s_mov_b64 s[2:3], 0
.LBB3016_3:                             ; =>This Inner Loop Header: Depth=1
	v_add_co_u32_e32 v10, vcc, v6, v4
	v_addc_co_u32_e32 v11, vcc, v7, v5, vcc
	v_lshrrev_b64 v[14:15], 1, v[10:11]
	v_and_b32_e32 v10, -2, v10
	v_add_co_u32_e32 v10, vcc, v1, v10
	v_not_b32_e32 v17, v15
	v_not_b32_e32 v16, v14
	v_addc_co_u32_e32 v11, vcc, v12, v11, vcc
	global_load_ushort v13, v[10:11], off
	v_lshlrev_b64 v[10:11], 1, v[16:17]
	v_add_co_u32_e32 v10, vcc, v8, v10
	v_addc_co_u32_e32 v11, vcc, v9, v11, vcc
	global_load_ushort v10, v[10:11], off
	v_add_co_u32_e32 v11, vcc, 1, v14
	v_addc_co_u32_e32 v16, vcc, 0, v15, vcc
	s_waitcnt vmcnt(0)
	v_cmp_gt_u16_e32 vcc, v13, v10
	v_cndmask_b32_e32 v7, v7, v15, vcc
	v_cndmask_b32_e32 v6, v6, v14, vcc
	;; [unrolled: 1-line block ×4, first 2 shown]
	v_cmp_ge_u64_e32 vcc, v[4:5], v[6:7]
	s_or_b64 s[2:3], vcc, s[2:3]
	s_andn2_b64 exec, exec, s[2:3]
	s_cbranch_execnz .LBB3016_3
; %bb.4:
	s_or_b64 exec, exec, s[2:3]
.LBB3016_5:
	s_or_b64 exec, exec, s[0:1]
	v_add_co_u32_e32 v2, vcc, v4, v2
	v_mov_b32_e32 v1, 0
	v_addc_co_u32_e32 v3, vcc, v5, v3, vcc
	v_lshlrev_b64 v[0:1], 3, v[0:1]
	v_mov_b32_e32 v4, s7
	v_add_co_u32_e32 v0, vcc, s6, v0
	v_addc_co_u32_e32 v1, vcc, v4, v1, vcc
	global_store_dwordx2 v[0:1], v[2:3], off
.LBB3016_6:
	s_endpgm
	.section	.rodata,"a",@progbits
	.p2align	6, 0x0
	.amdhsa_kernel _ZN7rocprim17ROCPRIM_400000_NS6detail17trampoline_kernelINS0_14default_configENS1_38merge_sort_block_merge_config_selectorItNS0_10empty_typeEEEZZNS1_27merge_sort_block_merge_implIS3_N6thrust23THRUST_200600_302600_NS6detail15normal_iteratorINS9_10device_ptrItEEEEPS5_m14custom_greaterItEEE10hipError_tT0_T1_T2_jT3_P12ihipStream_tbPNSt15iterator_traitsISJ_E10value_typeEPNSP_ISK_E10value_typeEPSL_NS1_7vsmem_tEENKUlT_SJ_SK_SL_E_clIPtSE_SF_SF_EESI_SY_SJ_SK_SL_EUlSY_E_NS1_11comp_targetILNS1_3genE4ELNS1_11target_archE910ELNS1_3gpuE8ELNS1_3repE0EEENS1_48merge_mergepath_partition_config_static_selectorELNS0_4arch9wavefront6targetE1EEEvSK_
		.amdhsa_group_segment_fixed_size 0
		.amdhsa_private_segment_fixed_size 0
		.amdhsa_kernarg_size 48
		.amdhsa_user_sgpr_count 6
		.amdhsa_user_sgpr_private_segment_buffer 1
		.amdhsa_user_sgpr_dispatch_ptr 0
		.amdhsa_user_sgpr_queue_ptr 0
		.amdhsa_user_sgpr_kernarg_segment_ptr 1
		.amdhsa_user_sgpr_dispatch_id 0
		.amdhsa_user_sgpr_flat_scratch_init 0
		.amdhsa_user_sgpr_kernarg_preload_length 0
		.amdhsa_user_sgpr_kernarg_preload_offset 0
		.amdhsa_user_sgpr_private_segment_size 0
		.amdhsa_uses_dynamic_stack 0
		.amdhsa_system_sgpr_private_segment_wavefront_offset 0
		.amdhsa_system_sgpr_workgroup_id_x 1
		.amdhsa_system_sgpr_workgroup_id_y 0
		.amdhsa_system_sgpr_workgroup_id_z 0
		.amdhsa_system_sgpr_workgroup_info 0
		.amdhsa_system_vgpr_workitem_id 0
		.amdhsa_next_free_vgpr 18
		.amdhsa_next_free_sgpr 8
		.amdhsa_accum_offset 20
		.amdhsa_reserve_vcc 1
		.amdhsa_reserve_flat_scratch 0
		.amdhsa_float_round_mode_32 0
		.amdhsa_float_round_mode_16_64 0
		.amdhsa_float_denorm_mode_32 3
		.amdhsa_float_denorm_mode_16_64 3
		.amdhsa_dx10_clamp 1
		.amdhsa_ieee_mode 1
		.amdhsa_fp16_overflow 0
		.amdhsa_tg_split 0
		.amdhsa_exception_fp_ieee_invalid_op 0
		.amdhsa_exception_fp_denorm_src 0
		.amdhsa_exception_fp_ieee_div_zero 0
		.amdhsa_exception_fp_ieee_overflow 0
		.amdhsa_exception_fp_ieee_underflow 0
		.amdhsa_exception_fp_ieee_inexact 0
		.amdhsa_exception_int_div_zero 0
	.end_amdhsa_kernel
	.section	.text._ZN7rocprim17ROCPRIM_400000_NS6detail17trampoline_kernelINS0_14default_configENS1_38merge_sort_block_merge_config_selectorItNS0_10empty_typeEEEZZNS1_27merge_sort_block_merge_implIS3_N6thrust23THRUST_200600_302600_NS6detail15normal_iteratorINS9_10device_ptrItEEEEPS5_m14custom_greaterItEEE10hipError_tT0_T1_T2_jT3_P12ihipStream_tbPNSt15iterator_traitsISJ_E10value_typeEPNSP_ISK_E10value_typeEPSL_NS1_7vsmem_tEENKUlT_SJ_SK_SL_E_clIPtSE_SF_SF_EESI_SY_SJ_SK_SL_EUlSY_E_NS1_11comp_targetILNS1_3genE4ELNS1_11target_archE910ELNS1_3gpuE8ELNS1_3repE0EEENS1_48merge_mergepath_partition_config_static_selectorELNS0_4arch9wavefront6targetE1EEEvSK_,"axG",@progbits,_ZN7rocprim17ROCPRIM_400000_NS6detail17trampoline_kernelINS0_14default_configENS1_38merge_sort_block_merge_config_selectorItNS0_10empty_typeEEEZZNS1_27merge_sort_block_merge_implIS3_N6thrust23THRUST_200600_302600_NS6detail15normal_iteratorINS9_10device_ptrItEEEEPS5_m14custom_greaterItEEE10hipError_tT0_T1_T2_jT3_P12ihipStream_tbPNSt15iterator_traitsISJ_E10value_typeEPNSP_ISK_E10value_typeEPSL_NS1_7vsmem_tEENKUlT_SJ_SK_SL_E_clIPtSE_SF_SF_EESI_SY_SJ_SK_SL_EUlSY_E_NS1_11comp_targetILNS1_3genE4ELNS1_11target_archE910ELNS1_3gpuE8ELNS1_3repE0EEENS1_48merge_mergepath_partition_config_static_selectorELNS0_4arch9wavefront6targetE1EEEvSK_,comdat
.Lfunc_end3016:
	.size	_ZN7rocprim17ROCPRIM_400000_NS6detail17trampoline_kernelINS0_14default_configENS1_38merge_sort_block_merge_config_selectorItNS0_10empty_typeEEEZZNS1_27merge_sort_block_merge_implIS3_N6thrust23THRUST_200600_302600_NS6detail15normal_iteratorINS9_10device_ptrItEEEEPS5_m14custom_greaterItEEE10hipError_tT0_T1_T2_jT3_P12ihipStream_tbPNSt15iterator_traitsISJ_E10value_typeEPNSP_ISK_E10value_typeEPSL_NS1_7vsmem_tEENKUlT_SJ_SK_SL_E_clIPtSE_SF_SF_EESI_SY_SJ_SK_SL_EUlSY_E_NS1_11comp_targetILNS1_3genE4ELNS1_11target_archE910ELNS1_3gpuE8ELNS1_3repE0EEENS1_48merge_mergepath_partition_config_static_selectorELNS0_4arch9wavefront6targetE1EEEvSK_, .Lfunc_end3016-_ZN7rocprim17ROCPRIM_400000_NS6detail17trampoline_kernelINS0_14default_configENS1_38merge_sort_block_merge_config_selectorItNS0_10empty_typeEEEZZNS1_27merge_sort_block_merge_implIS3_N6thrust23THRUST_200600_302600_NS6detail15normal_iteratorINS9_10device_ptrItEEEEPS5_m14custom_greaterItEEE10hipError_tT0_T1_T2_jT3_P12ihipStream_tbPNSt15iterator_traitsISJ_E10value_typeEPNSP_ISK_E10value_typeEPSL_NS1_7vsmem_tEENKUlT_SJ_SK_SL_E_clIPtSE_SF_SF_EESI_SY_SJ_SK_SL_EUlSY_E_NS1_11comp_targetILNS1_3genE4ELNS1_11target_archE910ELNS1_3gpuE8ELNS1_3repE0EEENS1_48merge_mergepath_partition_config_static_selectorELNS0_4arch9wavefront6targetE1EEEvSK_
                                        ; -- End function
	.section	.AMDGPU.csdata,"",@progbits
; Kernel info:
; codeLenInByte = 496
; NumSgprs: 12
; NumVgprs: 18
; NumAgprs: 0
; TotalNumVgprs: 18
; ScratchSize: 0
; MemoryBound: 0
; FloatMode: 240
; IeeeMode: 1
; LDSByteSize: 0 bytes/workgroup (compile time only)
; SGPRBlocks: 1
; VGPRBlocks: 2
; NumSGPRsForWavesPerEU: 12
; NumVGPRsForWavesPerEU: 18
; AccumOffset: 20
; Occupancy: 8
; WaveLimiterHint : 0
; COMPUTE_PGM_RSRC2:SCRATCH_EN: 0
; COMPUTE_PGM_RSRC2:USER_SGPR: 6
; COMPUTE_PGM_RSRC2:TRAP_HANDLER: 0
; COMPUTE_PGM_RSRC2:TGID_X_EN: 1
; COMPUTE_PGM_RSRC2:TGID_Y_EN: 0
; COMPUTE_PGM_RSRC2:TGID_Z_EN: 0
; COMPUTE_PGM_RSRC2:TIDIG_COMP_CNT: 0
; COMPUTE_PGM_RSRC3_GFX90A:ACCUM_OFFSET: 4
; COMPUTE_PGM_RSRC3_GFX90A:TG_SPLIT: 0
	.section	.text._ZN7rocprim17ROCPRIM_400000_NS6detail17trampoline_kernelINS0_14default_configENS1_38merge_sort_block_merge_config_selectorItNS0_10empty_typeEEEZZNS1_27merge_sort_block_merge_implIS3_N6thrust23THRUST_200600_302600_NS6detail15normal_iteratorINS9_10device_ptrItEEEEPS5_m14custom_greaterItEEE10hipError_tT0_T1_T2_jT3_P12ihipStream_tbPNSt15iterator_traitsISJ_E10value_typeEPNSP_ISK_E10value_typeEPSL_NS1_7vsmem_tEENKUlT_SJ_SK_SL_E_clIPtSE_SF_SF_EESI_SY_SJ_SK_SL_EUlSY_E_NS1_11comp_targetILNS1_3genE3ELNS1_11target_archE908ELNS1_3gpuE7ELNS1_3repE0EEENS1_48merge_mergepath_partition_config_static_selectorELNS0_4arch9wavefront6targetE1EEEvSK_,"axG",@progbits,_ZN7rocprim17ROCPRIM_400000_NS6detail17trampoline_kernelINS0_14default_configENS1_38merge_sort_block_merge_config_selectorItNS0_10empty_typeEEEZZNS1_27merge_sort_block_merge_implIS3_N6thrust23THRUST_200600_302600_NS6detail15normal_iteratorINS9_10device_ptrItEEEEPS5_m14custom_greaterItEEE10hipError_tT0_T1_T2_jT3_P12ihipStream_tbPNSt15iterator_traitsISJ_E10value_typeEPNSP_ISK_E10value_typeEPSL_NS1_7vsmem_tEENKUlT_SJ_SK_SL_E_clIPtSE_SF_SF_EESI_SY_SJ_SK_SL_EUlSY_E_NS1_11comp_targetILNS1_3genE3ELNS1_11target_archE908ELNS1_3gpuE7ELNS1_3repE0EEENS1_48merge_mergepath_partition_config_static_selectorELNS0_4arch9wavefront6targetE1EEEvSK_,comdat
	.protected	_ZN7rocprim17ROCPRIM_400000_NS6detail17trampoline_kernelINS0_14default_configENS1_38merge_sort_block_merge_config_selectorItNS0_10empty_typeEEEZZNS1_27merge_sort_block_merge_implIS3_N6thrust23THRUST_200600_302600_NS6detail15normal_iteratorINS9_10device_ptrItEEEEPS5_m14custom_greaterItEEE10hipError_tT0_T1_T2_jT3_P12ihipStream_tbPNSt15iterator_traitsISJ_E10value_typeEPNSP_ISK_E10value_typeEPSL_NS1_7vsmem_tEENKUlT_SJ_SK_SL_E_clIPtSE_SF_SF_EESI_SY_SJ_SK_SL_EUlSY_E_NS1_11comp_targetILNS1_3genE3ELNS1_11target_archE908ELNS1_3gpuE7ELNS1_3repE0EEENS1_48merge_mergepath_partition_config_static_selectorELNS0_4arch9wavefront6targetE1EEEvSK_ ; -- Begin function _ZN7rocprim17ROCPRIM_400000_NS6detail17trampoline_kernelINS0_14default_configENS1_38merge_sort_block_merge_config_selectorItNS0_10empty_typeEEEZZNS1_27merge_sort_block_merge_implIS3_N6thrust23THRUST_200600_302600_NS6detail15normal_iteratorINS9_10device_ptrItEEEEPS5_m14custom_greaterItEEE10hipError_tT0_T1_T2_jT3_P12ihipStream_tbPNSt15iterator_traitsISJ_E10value_typeEPNSP_ISK_E10value_typeEPSL_NS1_7vsmem_tEENKUlT_SJ_SK_SL_E_clIPtSE_SF_SF_EESI_SY_SJ_SK_SL_EUlSY_E_NS1_11comp_targetILNS1_3genE3ELNS1_11target_archE908ELNS1_3gpuE7ELNS1_3repE0EEENS1_48merge_mergepath_partition_config_static_selectorELNS0_4arch9wavefront6targetE1EEEvSK_
	.globl	_ZN7rocprim17ROCPRIM_400000_NS6detail17trampoline_kernelINS0_14default_configENS1_38merge_sort_block_merge_config_selectorItNS0_10empty_typeEEEZZNS1_27merge_sort_block_merge_implIS3_N6thrust23THRUST_200600_302600_NS6detail15normal_iteratorINS9_10device_ptrItEEEEPS5_m14custom_greaterItEEE10hipError_tT0_T1_T2_jT3_P12ihipStream_tbPNSt15iterator_traitsISJ_E10value_typeEPNSP_ISK_E10value_typeEPSL_NS1_7vsmem_tEENKUlT_SJ_SK_SL_E_clIPtSE_SF_SF_EESI_SY_SJ_SK_SL_EUlSY_E_NS1_11comp_targetILNS1_3genE3ELNS1_11target_archE908ELNS1_3gpuE7ELNS1_3repE0EEENS1_48merge_mergepath_partition_config_static_selectorELNS0_4arch9wavefront6targetE1EEEvSK_
	.p2align	8
	.type	_ZN7rocprim17ROCPRIM_400000_NS6detail17trampoline_kernelINS0_14default_configENS1_38merge_sort_block_merge_config_selectorItNS0_10empty_typeEEEZZNS1_27merge_sort_block_merge_implIS3_N6thrust23THRUST_200600_302600_NS6detail15normal_iteratorINS9_10device_ptrItEEEEPS5_m14custom_greaterItEEE10hipError_tT0_T1_T2_jT3_P12ihipStream_tbPNSt15iterator_traitsISJ_E10value_typeEPNSP_ISK_E10value_typeEPSL_NS1_7vsmem_tEENKUlT_SJ_SK_SL_E_clIPtSE_SF_SF_EESI_SY_SJ_SK_SL_EUlSY_E_NS1_11comp_targetILNS1_3genE3ELNS1_11target_archE908ELNS1_3gpuE7ELNS1_3repE0EEENS1_48merge_mergepath_partition_config_static_selectorELNS0_4arch9wavefront6targetE1EEEvSK_,@function
_ZN7rocprim17ROCPRIM_400000_NS6detail17trampoline_kernelINS0_14default_configENS1_38merge_sort_block_merge_config_selectorItNS0_10empty_typeEEEZZNS1_27merge_sort_block_merge_implIS3_N6thrust23THRUST_200600_302600_NS6detail15normal_iteratorINS9_10device_ptrItEEEEPS5_m14custom_greaterItEEE10hipError_tT0_T1_T2_jT3_P12ihipStream_tbPNSt15iterator_traitsISJ_E10value_typeEPNSP_ISK_E10value_typeEPSL_NS1_7vsmem_tEENKUlT_SJ_SK_SL_E_clIPtSE_SF_SF_EESI_SY_SJ_SK_SL_EUlSY_E_NS1_11comp_targetILNS1_3genE3ELNS1_11target_archE908ELNS1_3gpuE7ELNS1_3repE0EEENS1_48merge_mergepath_partition_config_static_selectorELNS0_4arch9wavefront6targetE1EEEvSK_: ; @_ZN7rocprim17ROCPRIM_400000_NS6detail17trampoline_kernelINS0_14default_configENS1_38merge_sort_block_merge_config_selectorItNS0_10empty_typeEEEZZNS1_27merge_sort_block_merge_implIS3_N6thrust23THRUST_200600_302600_NS6detail15normal_iteratorINS9_10device_ptrItEEEEPS5_m14custom_greaterItEEE10hipError_tT0_T1_T2_jT3_P12ihipStream_tbPNSt15iterator_traitsISJ_E10value_typeEPNSP_ISK_E10value_typeEPSL_NS1_7vsmem_tEENKUlT_SJ_SK_SL_E_clIPtSE_SF_SF_EESI_SY_SJ_SK_SL_EUlSY_E_NS1_11comp_targetILNS1_3genE3ELNS1_11target_archE908ELNS1_3gpuE7ELNS1_3repE0EEENS1_48merge_mergepath_partition_config_static_selectorELNS0_4arch9wavefront6targetE1EEEvSK_
; %bb.0:
	.section	.rodata,"a",@progbits
	.p2align	6, 0x0
	.amdhsa_kernel _ZN7rocprim17ROCPRIM_400000_NS6detail17trampoline_kernelINS0_14default_configENS1_38merge_sort_block_merge_config_selectorItNS0_10empty_typeEEEZZNS1_27merge_sort_block_merge_implIS3_N6thrust23THRUST_200600_302600_NS6detail15normal_iteratorINS9_10device_ptrItEEEEPS5_m14custom_greaterItEEE10hipError_tT0_T1_T2_jT3_P12ihipStream_tbPNSt15iterator_traitsISJ_E10value_typeEPNSP_ISK_E10value_typeEPSL_NS1_7vsmem_tEENKUlT_SJ_SK_SL_E_clIPtSE_SF_SF_EESI_SY_SJ_SK_SL_EUlSY_E_NS1_11comp_targetILNS1_3genE3ELNS1_11target_archE908ELNS1_3gpuE7ELNS1_3repE0EEENS1_48merge_mergepath_partition_config_static_selectorELNS0_4arch9wavefront6targetE1EEEvSK_
		.amdhsa_group_segment_fixed_size 0
		.amdhsa_private_segment_fixed_size 0
		.amdhsa_kernarg_size 48
		.amdhsa_user_sgpr_count 6
		.amdhsa_user_sgpr_private_segment_buffer 1
		.amdhsa_user_sgpr_dispatch_ptr 0
		.amdhsa_user_sgpr_queue_ptr 0
		.amdhsa_user_sgpr_kernarg_segment_ptr 1
		.amdhsa_user_sgpr_dispatch_id 0
		.amdhsa_user_sgpr_flat_scratch_init 0
		.amdhsa_user_sgpr_kernarg_preload_length 0
		.amdhsa_user_sgpr_kernarg_preload_offset 0
		.amdhsa_user_sgpr_private_segment_size 0
		.amdhsa_uses_dynamic_stack 0
		.amdhsa_system_sgpr_private_segment_wavefront_offset 0
		.amdhsa_system_sgpr_workgroup_id_x 1
		.amdhsa_system_sgpr_workgroup_id_y 0
		.amdhsa_system_sgpr_workgroup_id_z 0
		.amdhsa_system_sgpr_workgroup_info 0
		.amdhsa_system_vgpr_workitem_id 0
		.amdhsa_next_free_vgpr 1
		.amdhsa_next_free_sgpr 0
		.amdhsa_accum_offset 4
		.amdhsa_reserve_vcc 0
		.amdhsa_reserve_flat_scratch 0
		.amdhsa_float_round_mode_32 0
		.amdhsa_float_round_mode_16_64 0
		.amdhsa_float_denorm_mode_32 3
		.amdhsa_float_denorm_mode_16_64 3
		.amdhsa_dx10_clamp 1
		.amdhsa_ieee_mode 1
		.amdhsa_fp16_overflow 0
		.amdhsa_tg_split 0
		.amdhsa_exception_fp_ieee_invalid_op 0
		.amdhsa_exception_fp_denorm_src 0
		.amdhsa_exception_fp_ieee_div_zero 0
		.amdhsa_exception_fp_ieee_overflow 0
		.amdhsa_exception_fp_ieee_underflow 0
		.amdhsa_exception_fp_ieee_inexact 0
		.amdhsa_exception_int_div_zero 0
	.end_amdhsa_kernel
	.section	.text._ZN7rocprim17ROCPRIM_400000_NS6detail17trampoline_kernelINS0_14default_configENS1_38merge_sort_block_merge_config_selectorItNS0_10empty_typeEEEZZNS1_27merge_sort_block_merge_implIS3_N6thrust23THRUST_200600_302600_NS6detail15normal_iteratorINS9_10device_ptrItEEEEPS5_m14custom_greaterItEEE10hipError_tT0_T1_T2_jT3_P12ihipStream_tbPNSt15iterator_traitsISJ_E10value_typeEPNSP_ISK_E10value_typeEPSL_NS1_7vsmem_tEENKUlT_SJ_SK_SL_E_clIPtSE_SF_SF_EESI_SY_SJ_SK_SL_EUlSY_E_NS1_11comp_targetILNS1_3genE3ELNS1_11target_archE908ELNS1_3gpuE7ELNS1_3repE0EEENS1_48merge_mergepath_partition_config_static_selectorELNS0_4arch9wavefront6targetE1EEEvSK_,"axG",@progbits,_ZN7rocprim17ROCPRIM_400000_NS6detail17trampoline_kernelINS0_14default_configENS1_38merge_sort_block_merge_config_selectorItNS0_10empty_typeEEEZZNS1_27merge_sort_block_merge_implIS3_N6thrust23THRUST_200600_302600_NS6detail15normal_iteratorINS9_10device_ptrItEEEEPS5_m14custom_greaterItEEE10hipError_tT0_T1_T2_jT3_P12ihipStream_tbPNSt15iterator_traitsISJ_E10value_typeEPNSP_ISK_E10value_typeEPSL_NS1_7vsmem_tEENKUlT_SJ_SK_SL_E_clIPtSE_SF_SF_EESI_SY_SJ_SK_SL_EUlSY_E_NS1_11comp_targetILNS1_3genE3ELNS1_11target_archE908ELNS1_3gpuE7ELNS1_3repE0EEENS1_48merge_mergepath_partition_config_static_selectorELNS0_4arch9wavefront6targetE1EEEvSK_,comdat
.Lfunc_end3017:
	.size	_ZN7rocprim17ROCPRIM_400000_NS6detail17trampoline_kernelINS0_14default_configENS1_38merge_sort_block_merge_config_selectorItNS0_10empty_typeEEEZZNS1_27merge_sort_block_merge_implIS3_N6thrust23THRUST_200600_302600_NS6detail15normal_iteratorINS9_10device_ptrItEEEEPS5_m14custom_greaterItEEE10hipError_tT0_T1_T2_jT3_P12ihipStream_tbPNSt15iterator_traitsISJ_E10value_typeEPNSP_ISK_E10value_typeEPSL_NS1_7vsmem_tEENKUlT_SJ_SK_SL_E_clIPtSE_SF_SF_EESI_SY_SJ_SK_SL_EUlSY_E_NS1_11comp_targetILNS1_3genE3ELNS1_11target_archE908ELNS1_3gpuE7ELNS1_3repE0EEENS1_48merge_mergepath_partition_config_static_selectorELNS0_4arch9wavefront6targetE1EEEvSK_, .Lfunc_end3017-_ZN7rocprim17ROCPRIM_400000_NS6detail17trampoline_kernelINS0_14default_configENS1_38merge_sort_block_merge_config_selectorItNS0_10empty_typeEEEZZNS1_27merge_sort_block_merge_implIS3_N6thrust23THRUST_200600_302600_NS6detail15normal_iteratorINS9_10device_ptrItEEEEPS5_m14custom_greaterItEEE10hipError_tT0_T1_T2_jT3_P12ihipStream_tbPNSt15iterator_traitsISJ_E10value_typeEPNSP_ISK_E10value_typeEPSL_NS1_7vsmem_tEENKUlT_SJ_SK_SL_E_clIPtSE_SF_SF_EESI_SY_SJ_SK_SL_EUlSY_E_NS1_11comp_targetILNS1_3genE3ELNS1_11target_archE908ELNS1_3gpuE7ELNS1_3repE0EEENS1_48merge_mergepath_partition_config_static_selectorELNS0_4arch9wavefront6targetE1EEEvSK_
                                        ; -- End function
	.section	.AMDGPU.csdata,"",@progbits
; Kernel info:
; codeLenInByte = 0
; NumSgprs: 4
; NumVgprs: 0
; NumAgprs: 0
; TotalNumVgprs: 0
; ScratchSize: 0
; MemoryBound: 0
; FloatMode: 240
; IeeeMode: 1
; LDSByteSize: 0 bytes/workgroup (compile time only)
; SGPRBlocks: 0
; VGPRBlocks: 0
; NumSGPRsForWavesPerEU: 4
; NumVGPRsForWavesPerEU: 1
; AccumOffset: 4
; Occupancy: 8
; WaveLimiterHint : 0
; COMPUTE_PGM_RSRC2:SCRATCH_EN: 0
; COMPUTE_PGM_RSRC2:USER_SGPR: 6
; COMPUTE_PGM_RSRC2:TRAP_HANDLER: 0
; COMPUTE_PGM_RSRC2:TGID_X_EN: 1
; COMPUTE_PGM_RSRC2:TGID_Y_EN: 0
; COMPUTE_PGM_RSRC2:TGID_Z_EN: 0
; COMPUTE_PGM_RSRC2:TIDIG_COMP_CNT: 0
; COMPUTE_PGM_RSRC3_GFX90A:ACCUM_OFFSET: 0
; COMPUTE_PGM_RSRC3_GFX90A:TG_SPLIT: 0
	.section	.text._ZN7rocprim17ROCPRIM_400000_NS6detail17trampoline_kernelINS0_14default_configENS1_38merge_sort_block_merge_config_selectorItNS0_10empty_typeEEEZZNS1_27merge_sort_block_merge_implIS3_N6thrust23THRUST_200600_302600_NS6detail15normal_iteratorINS9_10device_ptrItEEEEPS5_m14custom_greaterItEEE10hipError_tT0_T1_T2_jT3_P12ihipStream_tbPNSt15iterator_traitsISJ_E10value_typeEPNSP_ISK_E10value_typeEPSL_NS1_7vsmem_tEENKUlT_SJ_SK_SL_E_clIPtSE_SF_SF_EESI_SY_SJ_SK_SL_EUlSY_E_NS1_11comp_targetILNS1_3genE2ELNS1_11target_archE906ELNS1_3gpuE6ELNS1_3repE0EEENS1_48merge_mergepath_partition_config_static_selectorELNS0_4arch9wavefront6targetE1EEEvSK_,"axG",@progbits,_ZN7rocprim17ROCPRIM_400000_NS6detail17trampoline_kernelINS0_14default_configENS1_38merge_sort_block_merge_config_selectorItNS0_10empty_typeEEEZZNS1_27merge_sort_block_merge_implIS3_N6thrust23THRUST_200600_302600_NS6detail15normal_iteratorINS9_10device_ptrItEEEEPS5_m14custom_greaterItEEE10hipError_tT0_T1_T2_jT3_P12ihipStream_tbPNSt15iterator_traitsISJ_E10value_typeEPNSP_ISK_E10value_typeEPSL_NS1_7vsmem_tEENKUlT_SJ_SK_SL_E_clIPtSE_SF_SF_EESI_SY_SJ_SK_SL_EUlSY_E_NS1_11comp_targetILNS1_3genE2ELNS1_11target_archE906ELNS1_3gpuE6ELNS1_3repE0EEENS1_48merge_mergepath_partition_config_static_selectorELNS0_4arch9wavefront6targetE1EEEvSK_,comdat
	.protected	_ZN7rocprim17ROCPRIM_400000_NS6detail17trampoline_kernelINS0_14default_configENS1_38merge_sort_block_merge_config_selectorItNS0_10empty_typeEEEZZNS1_27merge_sort_block_merge_implIS3_N6thrust23THRUST_200600_302600_NS6detail15normal_iteratorINS9_10device_ptrItEEEEPS5_m14custom_greaterItEEE10hipError_tT0_T1_T2_jT3_P12ihipStream_tbPNSt15iterator_traitsISJ_E10value_typeEPNSP_ISK_E10value_typeEPSL_NS1_7vsmem_tEENKUlT_SJ_SK_SL_E_clIPtSE_SF_SF_EESI_SY_SJ_SK_SL_EUlSY_E_NS1_11comp_targetILNS1_3genE2ELNS1_11target_archE906ELNS1_3gpuE6ELNS1_3repE0EEENS1_48merge_mergepath_partition_config_static_selectorELNS0_4arch9wavefront6targetE1EEEvSK_ ; -- Begin function _ZN7rocprim17ROCPRIM_400000_NS6detail17trampoline_kernelINS0_14default_configENS1_38merge_sort_block_merge_config_selectorItNS0_10empty_typeEEEZZNS1_27merge_sort_block_merge_implIS3_N6thrust23THRUST_200600_302600_NS6detail15normal_iteratorINS9_10device_ptrItEEEEPS5_m14custom_greaterItEEE10hipError_tT0_T1_T2_jT3_P12ihipStream_tbPNSt15iterator_traitsISJ_E10value_typeEPNSP_ISK_E10value_typeEPSL_NS1_7vsmem_tEENKUlT_SJ_SK_SL_E_clIPtSE_SF_SF_EESI_SY_SJ_SK_SL_EUlSY_E_NS1_11comp_targetILNS1_3genE2ELNS1_11target_archE906ELNS1_3gpuE6ELNS1_3repE0EEENS1_48merge_mergepath_partition_config_static_selectorELNS0_4arch9wavefront6targetE1EEEvSK_
	.globl	_ZN7rocprim17ROCPRIM_400000_NS6detail17trampoline_kernelINS0_14default_configENS1_38merge_sort_block_merge_config_selectorItNS0_10empty_typeEEEZZNS1_27merge_sort_block_merge_implIS3_N6thrust23THRUST_200600_302600_NS6detail15normal_iteratorINS9_10device_ptrItEEEEPS5_m14custom_greaterItEEE10hipError_tT0_T1_T2_jT3_P12ihipStream_tbPNSt15iterator_traitsISJ_E10value_typeEPNSP_ISK_E10value_typeEPSL_NS1_7vsmem_tEENKUlT_SJ_SK_SL_E_clIPtSE_SF_SF_EESI_SY_SJ_SK_SL_EUlSY_E_NS1_11comp_targetILNS1_3genE2ELNS1_11target_archE906ELNS1_3gpuE6ELNS1_3repE0EEENS1_48merge_mergepath_partition_config_static_selectorELNS0_4arch9wavefront6targetE1EEEvSK_
	.p2align	8
	.type	_ZN7rocprim17ROCPRIM_400000_NS6detail17trampoline_kernelINS0_14default_configENS1_38merge_sort_block_merge_config_selectorItNS0_10empty_typeEEEZZNS1_27merge_sort_block_merge_implIS3_N6thrust23THRUST_200600_302600_NS6detail15normal_iteratorINS9_10device_ptrItEEEEPS5_m14custom_greaterItEEE10hipError_tT0_T1_T2_jT3_P12ihipStream_tbPNSt15iterator_traitsISJ_E10value_typeEPNSP_ISK_E10value_typeEPSL_NS1_7vsmem_tEENKUlT_SJ_SK_SL_E_clIPtSE_SF_SF_EESI_SY_SJ_SK_SL_EUlSY_E_NS1_11comp_targetILNS1_3genE2ELNS1_11target_archE906ELNS1_3gpuE6ELNS1_3repE0EEENS1_48merge_mergepath_partition_config_static_selectorELNS0_4arch9wavefront6targetE1EEEvSK_,@function
_ZN7rocprim17ROCPRIM_400000_NS6detail17trampoline_kernelINS0_14default_configENS1_38merge_sort_block_merge_config_selectorItNS0_10empty_typeEEEZZNS1_27merge_sort_block_merge_implIS3_N6thrust23THRUST_200600_302600_NS6detail15normal_iteratorINS9_10device_ptrItEEEEPS5_m14custom_greaterItEEE10hipError_tT0_T1_T2_jT3_P12ihipStream_tbPNSt15iterator_traitsISJ_E10value_typeEPNSP_ISK_E10value_typeEPSL_NS1_7vsmem_tEENKUlT_SJ_SK_SL_E_clIPtSE_SF_SF_EESI_SY_SJ_SK_SL_EUlSY_E_NS1_11comp_targetILNS1_3genE2ELNS1_11target_archE906ELNS1_3gpuE6ELNS1_3repE0EEENS1_48merge_mergepath_partition_config_static_selectorELNS0_4arch9wavefront6targetE1EEEvSK_: ; @_ZN7rocprim17ROCPRIM_400000_NS6detail17trampoline_kernelINS0_14default_configENS1_38merge_sort_block_merge_config_selectorItNS0_10empty_typeEEEZZNS1_27merge_sort_block_merge_implIS3_N6thrust23THRUST_200600_302600_NS6detail15normal_iteratorINS9_10device_ptrItEEEEPS5_m14custom_greaterItEEE10hipError_tT0_T1_T2_jT3_P12ihipStream_tbPNSt15iterator_traitsISJ_E10value_typeEPNSP_ISK_E10value_typeEPSL_NS1_7vsmem_tEENKUlT_SJ_SK_SL_E_clIPtSE_SF_SF_EESI_SY_SJ_SK_SL_EUlSY_E_NS1_11comp_targetILNS1_3genE2ELNS1_11target_archE906ELNS1_3gpuE6ELNS1_3repE0EEENS1_48merge_mergepath_partition_config_static_selectorELNS0_4arch9wavefront6targetE1EEEvSK_
; %bb.0:
	.section	.rodata,"a",@progbits
	.p2align	6, 0x0
	.amdhsa_kernel _ZN7rocprim17ROCPRIM_400000_NS6detail17trampoline_kernelINS0_14default_configENS1_38merge_sort_block_merge_config_selectorItNS0_10empty_typeEEEZZNS1_27merge_sort_block_merge_implIS3_N6thrust23THRUST_200600_302600_NS6detail15normal_iteratorINS9_10device_ptrItEEEEPS5_m14custom_greaterItEEE10hipError_tT0_T1_T2_jT3_P12ihipStream_tbPNSt15iterator_traitsISJ_E10value_typeEPNSP_ISK_E10value_typeEPSL_NS1_7vsmem_tEENKUlT_SJ_SK_SL_E_clIPtSE_SF_SF_EESI_SY_SJ_SK_SL_EUlSY_E_NS1_11comp_targetILNS1_3genE2ELNS1_11target_archE906ELNS1_3gpuE6ELNS1_3repE0EEENS1_48merge_mergepath_partition_config_static_selectorELNS0_4arch9wavefront6targetE1EEEvSK_
		.amdhsa_group_segment_fixed_size 0
		.amdhsa_private_segment_fixed_size 0
		.amdhsa_kernarg_size 48
		.amdhsa_user_sgpr_count 6
		.amdhsa_user_sgpr_private_segment_buffer 1
		.amdhsa_user_sgpr_dispatch_ptr 0
		.amdhsa_user_sgpr_queue_ptr 0
		.amdhsa_user_sgpr_kernarg_segment_ptr 1
		.amdhsa_user_sgpr_dispatch_id 0
		.amdhsa_user_sgpr_flat_scratch_init 0
		.amdhsa_user_sgpr_kernarg_preload_length 0
		.amdhsa_user_sgpr_kernarg_preload_offset 0
		.amdhsa_user_sgpr_private_segment_size 0
		.amdhsa_uses_dynamic_stack 0
		.amdhsa_system_sgpr_private_segment_wavefront_offset 0
		.amdhsa_system_sgpr_workgroup_id_x 1
		.amdhsa_system_sgpr_workgroup_id_y 0
		.amdhsa_system_sgpr_workgroup_id_z 0
		.amdhsa_system_sgpr_workgroup_info 0
		.amdhsa_system_vgpr_workitem_id 0
		.amdhsa_next_free_vgpr 1
		.amdhsa_next_free_sgpr 0
		.amdhsa_accum_offset 4
		.amdhsa_reserve_vcc 0
		.amdhsa_reserve_flat_scratch 0
		.amdhsa_float_round_mode_32 0
		.amdhsa_float_round_mode_16_64 0
		.amdhsa_float_denorm_mode_32 3
		.amdhsa_float_denorm_mode_16_64 3
		.amdhsa_dx10_clamp 1
		.amdhsa_ieee_mode 1
		.amdhsa_fp16_overflow 0
		.amdhsa_tg_split 0
		.amdhsa_exception_fp_ieee_invalid_op 0
		.amdhsa_exception_fp_denorm_src 0
		.amdhsa_exception_fp_ieee_div_zero 0
		.amdhsa_exception_fp_ieee_overflow 0
		.amdhsa_exception_fp_ieee_underflow 0
		.amdhsa_exception_fp_ieee_inexact 0
		.amdhsa_exception_int_div_zero 0
	.end_amdhsa_kernel
	.section	.text._ZN7rocprim17ROCPRIM_400000_NS6detail17trampoline_kernelINS0_14default_configENS1_38merge_sort_block_merge_config_selectorItNS0_10empty_typeEEEZZNS1_27merge_sort_block_merge_implIS3_N6thrust23THRUST_200600_302600_NS6detail15normal_iteratorINS9_10device_ptrItEEEEPS5_m14custom_greaterItEEE10hipError_tT0_T1_T2_jT3_P12ihipStream_tbPNSt15iterator_traitsISJ_E10value_typeEPNSP_ISK_E10value_typeEPSL_NS1_7vsmem_tEENKUlT_SJ_SK_SL_E_clIPtSE_SF_SF_EESI_SY_SJ_SK_SL_EUlSY_E_NS1_11comp_targetILNS1_3genE2ELNS1_11target_archE906ELNS1_3gpuE6ELNS1_3repE0EEENS1_48merge_mergepath_partition_config_static_selectorELNS0_4arch9wavefront6targetE1EEEvSK_,"axG",@progbits,_ZN7rocprim17ROCPRIM_400000_NS6detail17trampoline_kernelINS0_14default_configENS1_38merge_sort_block_merge_config_selectorItNS0_10empty_typeEEEZZNS1_27merge_sort_block_merge_implIS3_N6thrust23THRUST_200600_302600_NS6detail15normal_iteratorINS9_10device_ptrItEEEEPS5_m14custom_greaterItEEE10hipError_tT0_T1_T2_jT3_P12ihipStream_tbPNSt15iterator_traitsISJ_E10value_typeEPNSP_ISK_E10value_typeEPSL_NS1_7vsmem_tEENKUlT_SJ_SK_SL_E_clIPtSE_SF_SF_EESI_SY_SJ_SK_SL_EUlSY_E_NS1_11comp_targetILNS1_3genE2ELNS1_11target_archE906ELNS1_3gpuE6ELNS1_3repE0EEENS1_48merge_mergepath_partition_config_static_selectorELNS0_4arch9wavefront6targetE1EEEvSK_,comdat
.Lfunc_end3018:
	.size	_ZN7rocprim17ROCPRIM_400000_NS6detail17trampoline_kernelINS0_14default_configENS1_38merge_sort_block_merge_config_selectorItNS0_10empty_typeEEEZZNS1_27merge_sort_block_merge_implIS3_N6thrust23THRUST_200600_302600_NS6detail15normal_iteratorINS9_10device_ptrItEEEEPS5_m14custom_greaterItEEE10hipError_tT0_T1_T2_jT3_P12ihipStream_tbPNSt15iterator_traitsISJ_E10value_typeEPNSP_ISK_E10value_typeEPSL_NS1_7vsmem_tEENKUlT_SJ_SK_SL_E_clIPtSE_SF_SF_EESI_SY_SJ_SK_SL_EUlSY_E_NS1_11comp_targetILNS1_3genE2ELNS1_11target_archE906ELNS1_3gpuE6ELNS1_3repE0EEENS1_48merge_mergepath_partition_config_static_selectorELNS0_4arch9wavefront6targetE1EEEvSK_, .Lfunc_end3018-_ZN7rocprim17ROCPRIM_400000_NS6detail17trampoline_kernelINS0_14default_configENS1_38merge_sort_block_merge_config_selectorItNS0_10empty_typeEEEZZNS1_27merge_sort_block_merge_implIS3_N6thrust23THRUST_200600_302600_NS6detail15normal_iteratorINS9_10device_ptrItEEEEPS5_m14custom_greaterItEEE10hipError_tT0_T1_T2_jT3_P12ihipStream_tbPNSt15iterator_traitsISJ_E10value_typeEPNSP_ISK_E10value_typeEPSL_NS1_7vsmem_tEENKUlT_SJ_SK_SL_E_clIPtSE_SF_SF_EESI_SY_SJ_SK_SL_EUlSY_E_NS1_11comp_targetILNS1_3genE2ELNS1_11target_archE906ELNS1_3gpuE6ELNS1_3repE0EEENS1_48merge_mergepath_partition_config_static_selectorELNS0_4arch9wavefront6targetE1EEEvSK_
                                        ; -- End function
	.section	.AMDGPU.csdata,"",@progbits
; Kernel info:
; codeLenInByte = 0
; NumSgprs: 4
; NumVgprs: 0
; NumAgprs: 0
; TotalNumVgprs: 0
; ScratchSize: 0
; MemoryBound: 0
; FloatMode: 240
; IeeeMode: 1
; LDSByteSize: 0 bytes/workgroup (compile time only)
; SGPRBlocks: 0
; VGPRBlocks: 0
; NumSGPRsForWavesPerEU: 4
; NumVGPRsForWavesPerEU: 1
; AccumOffset: 4
; Occupancy: 8
; WaveLimiterHint : 0
; COMPUTE_PGM_RSRC2:SCRATCH_EN: 0
; COMPUTE_PGM_RSRC2:USER_SGPR: 6
; COMPUTE_PGM_RSRC2:TRAP_HANDLER: 0
; COMPUTE_PGM_RSRC2:TGID_X_EN: 1
; COMPUTE_PGM_RSRC2:TGID_Y_EN: 0
; COMPUTE_PGM_RSRC2:TGID_Z_EN: 0
; COMPUTE_PGM_RSRC2:TIDIG_COMP_CNT: 0
; COMPUTE_PGM_RSRC3_GFX90A:ACCUM_OFFSET: 0
; COMPUTE_PGM_RSRC3_GFX90A:TG_SPLIT: 0
	.section	.text._ZN7rocprim17ROCPRIM_400000_NS6detail17trampoline_kernelINS0_14default_configENS1_38merge_sort_block_merge_config_selectorItNS0_10empty_typeEEEZZNS1_27merge_sort_block_merge_implIS3_N6thrust23THRUST_200600_302600_NS6detail15normal_iteratorINS9_10device_ptrItEEEEPS5_m14custom_greaterItEEE10hipError_tT0_T1_T2_jT3_P12ihipStream_tbPNSt15iterator_traitsISJ_E10value_typeEPNSP_ISK_E10value_typeEPSL_NS1_7vsmem_tEENKUlT_SJ_SK_SL_E_clIPtSE_SF_SF_EESI_SY_SJ_SK_SL_EUlSY_E_NS1_11comp_targetILNS1_3genE9ELNS1_11target_archE1100ELNS1_3gpuE3ELNS1_3repE0EEENS1_48merge_mergepath_partition_config_static_selectorELNS0_4arch9wavefront6targetE1EEEvSK_,"axG",@progbits,_ZN7rocprim17ROCPRIM_400000_NS6detail17trampoline_kernelINS0_14default_configENS1_38merge_sort_block_merge_config_selectorItNS0_10empty_typeEEEZZNS1_27merge_sort_block_merge_implIS3_N6thrust23THRUST_200600_302600_NS6detail15normal_iteratorINS9_10device_ptrItEEEEPS5_m14custom_greaterItEEE10hipError_tT0_T1_T2_jT3_P12ihipStream_tbPNSt15iterator_traitsISJ_E10value_typeEPNSP_ISK_E10value_typeEPSL_NS1_7vsmem_tEENKUlT_SJ_SK_SL_E_clIPtSE_SF_SF_EESI_SY_SJ_SK_SL_EUlSY_E_NS1_11comp_targetILNS1_3genE9ELNS1_11target_archE1100ELNS1_3gpuE3ELNS1_3repE0EEENS1_48merge_mergepath_partition_config_static_selectorELNS0_4arch9wavefront6targetE1EEEvSK_,comdat
	.protected	_ZN7rocprim17ROCPRIM_400000_NS6detail17trampoline_kernelINS0_14default_configENS1_38merge_sort_block_merge_config_selectorItNS0_10empty_typeEEEZZNS1_27merge_sort_block_merge_implIS3_N6thrust23THRUST_200600_302600_NS6detail15normal_iteratorINS9_10device_ptrItEEEEPS5_m14custom_greaterItEEE10hipError_tT0_T1_T2_jT3_P12ihipStream_tbPNSt15iterator_traitsISJ_E10value_typeEPNSP_ISK_E10value_typeEPSL_NS1_7vsmem_tEENKUlT_SJ_SK_SL_E_clIPtSE_SF_SF_EESI_SY_SJ_SK_SL_EUlSY_E_NS1_11comp_targetILNS1_3genE9ELNS1_11target_archE1100ELNS1_3gpuE3ELNS1_3repE0EEENS1_48merge_mergepath_partition_config_static_selectorELNS0_4arch9wavefront6targetE1EEEvSK_ ; -- Begin function _ZN7rocprim17ROCPRIM_400000_NS6detail17trampoline_kernelINS0_14default_configENS1_38merge_sort_block_merge_config_selectorItNS0_10empty_typeEEEZZNS1_27merge_sort_block_merge_implIS3_N6thrust23THRUST_200600_302600_NS6detail15normal_iteratorINS9_10device_ptrItEEEEPS5_m14custom_greaterItEEE10hipError_tT0_T1_T2_jT3_P12ihipStream_tbPNSt15iterator_traitsISJ_E10value_typeEPNSP_ISK_E10value_typeEPSL_NS1_7vsmem_tEENKUlT_SJ_SK_SL_E_clIPtSE_SF_SF_EESI_SY_SJ_SK_SL_EUlSY_E_NS1_11comp_targetILNS1_3genE9ELNS1_11target_archE1100ELNS1_3gpuE3ELNS1_3repE0EEENS1_48merge_mergepath_partition_config_static_selectorELNS0_4arch9wavefront6targetE1EEEvSK_
	.globl	_ZN7rocprim17ROCPRIM_400000_NS6detail17trampoline_kernelINS0_14default_configENS1_38merge_sort_block_merge_config_selectorItNS0_10empty_typeEEEZZNS1_27merge_sort_block_merge_implIS3_N6thrust23THRUST_200600_302600_NS6detail15normal_iteratorINS9_10device_ptrItEEEEPS5_m14custom_greaterItEEE10hipError_tT0_T1_T2_jT3_P12ihipStream_tbPNSt15iterator_traitsISJ_E10value_typeEPNSP_ISK_E10value_typeEPSL_NS1_7vsmem_tEENKUlT_SJ_SK_SL_E_clIPtSE_SF_SF_EESI_SY_SJ_SK_SL_EUlSY_E_NS1_11comp_targetILNS1_3genE9ELNS1_11target_archE1100ELNS1_3gpuE3ELNS1_3repE0EEENS1_48merge_mergepath_partition_config_static_selectorELNS0_4arch9wavefront6targetE1EEEvSK_
	.p2align	8
	.type	_ZN7rocprim17ROCPRIM_400000_NS6detail17trampoline_kernelINS0_14default_configENS1_38merge_sort_block_merge_config_selectorItNS0_10empty_typeEEEZZNS1_27merge_sort_block_merge_implIS3_N6thrust23THRUST_200600_302600_NS6detail15normal_iteratorINS9_10device_ptrItEEEEPS5_m14custom_greaterItEEE10hipError_tT0_T1_T2_jT3_P12ihipStream_tbPNSt15iterator_traitsISJ_E10value_typeEPNSP_ISK_E10value_typeEPSL_NS1_7vsmem_tEENKUlT_SJ_SK_SL_E_clIPtSE_SF_SF_EESI_SY_SJ_SK_SL_EUlSY_E_NS1_11comp_targetILNS1_3genE9ELNS1_11target_archE1100ELNS1_3gpuE3ELNS1_3repE0EEENS1_48merge_mergepath_partition_config_static_selectorELNS0_4arch9wavefront6targetE1EEEvSK_,@function
_ZN7rocprim17ROCPRIM_400000_NS6detail17trampoline_kernelINS0_14default_configENS1_38merge_sort_block_merge_config_selectorItNS0_10empty_typeEEEZZNS1_27merge_sort_block_merge_implIS3_N6thrust23THRUST_200600_302600_NS6detail15normal_iteratorINS9_10device_ptrItEEEEPS5_m14custom_greaterItEEE10hipError_tT0_T1_T2_jT3_P12ihipStream_tbPNSt15iterator_traitsISJ_E10value_typeEPNSP_ISK_E10value_typeEPSL_NS1_7vsmem_tEENKUlT_SJ_SK_SL_E_clIPtSE_SF_SF_EESI_SY_SJ_SK_SL_EUlSY_E_NS1_11comp_targetILNS1_3genE9ELNS1_11target_archE1100ELNS1_3gpuE3ELNS1_3repE0EEENS1_48merge_mergepath_partition_config_static_selectorELNS0_4arch9wavefront6targetE1EEEvSK_: ; @_ZN7rocprim17ROCPRIM_400000_NS6detail17trampoline_kernelINS0_14default_configENS1_38merge_sort_block_merge_config_selectorItNS0_10empty_typeEEEZZNS1_27merge_sort_block_merge_implIS3_N6thrust23THRUST_200600_302600_NS6detail15normal_iteratorINS9_10device_ptrItEEEEPS5_m14custom_greaterItEEE10hipError_tT0_T1_T2_jT3_P12ihipStream_tbPNSt15iterator_traitsISJ_E10value_typeEPNSP_ISK_E10value_typeEPSL_NS1_7vsmem_tEENKUlT_SJ_SK_SL_E_clIPtSE_SF_SF_EESI_SY_SJ_SK_SL_EUlSY_E_NS1_11comp_targetILNS1_3genE9ELNS1_11target_archE1100ELNS1_3gpuE3ELNS1_3repE0EEENS1_48merge_mergepath_partition_config_static_selectorELNS0_4arch9wavefront6targetE1EEEvSK_
; %bb.0:
	.section	.rodata,"a",@progbits
	.p2align	6, 0x0
	.amdhsa_kernel _ZN7rocprim17ROCPRIM_400000_NS6detail17trampoline_kernelINS0_14default_configENS1_38merge_sort_block_merge_config_selectorItNS0_10empty_typeEEEZZNS1_27merge_sort_block_merge_implIS3_N6thrust23THRUST_200600_302600_NS6detail15normal_iteratorINS9_10device_ptrItEEEEPS5_m14custom_greaterItEEE10hipError_tT0_T1_T2_jT3_P12ihipStream_tbPNSt15iterator_traitsISJ_E10value_typeEPNSP_ISK_E10value_typeEPSL_NS1_7vsmem_tEENKUlT_SJ_SK_SL_E_clIPtSE_SF_SF_EESI_SY_SJ_SK_SL_EUlSY_E_NS1_11comp_targetILNS1_3genE9ELNS1_11target_archE1100ELNS1_3gpuE3ELNS1_3repE0EEENS1_48merge_mergepath_partition_config_static_selectorELNS0_4arch9wavefront6targetE1EEEvSK_
		.amdhsa_group_segment_fixed_size 0
		.amdhsa_private_segment_fixed_size 0
		.amdhsa_kernarg_size 48
		.amdhsa_user_sgpr_count 6
		.amdhsa_user_sgpr_private_segment_buffer 1
		.amdhsa_user_sgpr_dispatch_ptr 0
		.amdhsa_user_sgpr_queue_ptr 0
		.amdhsa_user_sgpr_kernarg_segment_ptr 1
		.amdhsa_user_sgpr_dispatch_id 0
		.amdhsa_user_sgpr_flat_scratch_init 0
		.amdhsa_user_sgpr_kernarg_preload_length 0
		.amdhsa_user_sgpr_kernarg_preload_offset 0
		.amdhsa_user_sgpr_private_segment_size 0
		.amdhsa_uses_dynamic_stack 0
		.amdhsa_system_sgpr_private_segment_wavefront_offset 0
		.amdhsa_system_sgpr_workgroup_id_x 1
		.amdhsa_system_sgpr_workgroup_id_y 0
		.amdhsa_system_sgpr_workgroup_id_z 0
		.amdhsa_system_sgpr_workgroup_info 0
		.amdhsa_system_vgpr_workitem_id 0
		.amdhsa_next_free_vgpr 1
		.amdhsa_next_free_sgpr 0
		.amdhsa_accum_offset 4
		.amdhsa_reserve_vcc 0
		.amdhsa_reserve_flat_scratch 0
		.amdhsa_float_round_mode_32 0
		.amdhsa_float_round_mode_16_64 0
		.amdhsa_float_denorm_mode_32 3
		.amdhsa_float_denorm_mode_16_64 3
		.amdhsa_dx10_clamp 1
		.amdhsa_ieee_mode 1
		.amdhsa_fp16_overflow 0
		.amdhsa_tg_split 0
		.amdhsa_exception_fp_ieee_invalid_op 0
		.amdhsa_exception_fp_denorm_src 0
		.amdhsa_exception_fp_ieee_div_zero 0
		.amdhsa_exception_fp_ieee_overflow 0
		.amdhsa_exception_fp_ieee_underflow 0
		.amdhsa_exception_fp_ieee_inexact 0
		.amdhsa_exception_int_div_zero 0
	.end_amdhsa_kernel
	.section	.text._ZN7rocprim17ROCPRIM_400000_NS6detail17trampoline_kernelINS0_14default_configENS1_38merge_sort_block_merge_config_selectorItNS0_10empty_typeEEEZZNS1_27merge_sort_block_merge_implIS3_N6thrust23THRUST_200600_302600_NS6detail15normal_iteratorINS9_10device_ptrItEEEEPS5_m14custom_greaterItEEE10hipError_tT0_T1_T2_jT3_P12ihipStream_tbPNSt15iterator_traitsISJ_E10value_typeEPNSP_ISK_E10value_typeEPSL_NS1_7vsmem_tEENKUlT_SJ_SK_SL_E_clIPtSE_SF_SF_EESI_SY_SJ_SK_SL_EUlSY_E_NS1_11comp_targetILNS1_3genE9ELNS1_11target_archE1100ELNS1_3gpuE3ELNS1_3repE0EEENS1_48merge_mergepath_partition_config_static_selectorELNS0_4arch9wavefront6targetE1EEEvSK_,"axG",@progbits,_ZN7rocprim17ROCPRIM_400000_NS6detail17trampoline_kernelINS0_14default_configENS1_38merge_sort_block_merge_config_selectorItNS0_10empty_typeEEEZZNS1_27merge_sort_block_merge_implIS3_N6thrust23THRUST_200600_302600_NS6detail15normal_iteratorINS9_10device_ptrItEEEEPS5_m14custom_greaterItEEE10hipError_tT0_T1_T2_jT3_P12ihipStream_tbPNSt15iterator_traitsISJ_E10value_typeEPNSP_ISK_E10value_typeEPSL_NS1_7vsmem_tEENKUlT_SJ_SK_SL_E_clIPtSE_SF_SF_EESI_SY_SJ_SK_SL_EUlSY_E_NS1_11comp_targetILNS1_3genE9ELNS1_11target_archE1100ELNS1_3gpuE3ELNS1_3repE0EEENS1_48merge_mergepath_partition_config_static_selectorELNS0_4arch9wavefront6targetE1EEEvSK_,comdat
.Lfunc_end3019:
	.size	_ZN7rocprim17ROCPRIM_400000_NS6detail17trampoline_kernelINS0_14default_configENS1_38merge_sort_block_merge_config_selectorItNS0_10empty_typeEEEZZNS1_27merge_sort_block_merge_implIS3_N6thrust23THRUST_200600_302600_NS6detail15normal_iteratorINS9_10device_ptrItEEEEPS5_m14custom_greaterItEEE10hipError_tT0_T1_T2_jT3_P12ihipStream_tbPNSt15iterator_traitsISJ_E10value_typeEPNSP_ISK_E10value_typeEPSL_NS1_7vsmem_tEENKUlT_SJ_SK_SL_E_clIPtSE_SF_SF_EESI_SY_SJ_SK_SL_EUlSY_E_NS1_11comp_targetILNS1_3genE9ELNS1_11target_archE1100ELNS1_3gpuE3ELNS1_3repE0EEENS1_48merge_mergepath_partition_config_static_selectorELNS0_4arch9wavefront6targetE1EEEvSK_, .Lfunc_end3019-_ZN7rocprim17ROCPRIM_400000_NS6detail17trampoline_kernelINS0_14default_configENS1_38merge_sort_block_merge_config_selectorItNS0_10empty_typeEEEZZNS1_27merge_sort_block_merge_implIS3_N6thrust23THRUST_200600_302600_NS6detail15normal_iteratorINS9_10device_ptrItEEEEPS5_m14custom_greaterItEEE10hipError_tT0_T1_T2_jT3_P12ihipStream_tbPNSt15iterator_traitsISJ_E10value_typeEPNSP_ISK_E10value_typeEPSL_NS1_7vsmem_tEENKUlT_SJ_SK_SL_E_clIPtSE_SF_SF_EESI_SY_SJ_SK_SL_EUlSY_E_NS1_11comp_targetILNS1_3genE9ELNS1_11target_archE1100ELNS1_3gpuE3ELNS1_3repE0EEENS1_48merge_mergepath_partition_config_static_selectorELNS0_4arch9wavefront6targetE1EEEvSK_
                                        ; -- End function
	.section	.AMDGPU.csdata,"",@progbits
; Kernel info:
; codeLenInByte = 0
; NumSgprs: 4
; NumVgprs: 0
; NumAgprs: 0
; TotalNumVgprs: 0
; ScratchSize: 0
; MemoryBound: 0
; FloatMode: 240
; IeeeMode: 1
; LDSByteSize: 0 bytes/workgroup (compile time only)
; SGPRBlocks: 0
; VGPRBlocks: 0
; NumSGPRsForWavesPerEU: 4
; NumVGPRsForWavesPerEU: 1
; AccumOffset: 4
; Occupancy: 8
; WaveLimiterHint : 0
; COMPUTE_PGM_RSRC2:SCRATCH_EN: 0
; COMPUTE_PGM_RSRC2:USER_SGPR: 6
; COMPUTE_PGM_RSRC2:TRAP_HANDLER: 0
; COMPUTE_PGM_RSRC2:TGID_X_EN: 1
; COMPUTE_PGM_RSRC2:TGID_Y_EN: 0
; COMPUTE_PGM_RSRC2:TGID_Z_EN: 0
; COMPUTE_PGM_RSRC2:TIDIG_COMP_CNT: 0
; COMPUTE_PGM_RSRC3_GFX90A:ACCUM_OFFSET: 0
; COMPUTE_PGM_RSRC3_GFX90A:TG_SPLIT: 0
	.section	.text._ZN7rocprim17ROCPRIM_400000_NS6detail17trampoline_kernelINS0_14default_configENS1_38merge_sort_block_merge_config_selectorItNS0_10empty_typeEEEZZNS1_27merge_sort_block_merge_implIS3_N6thrust23THRUST_200600_302600_NS6detail15normal_iteratorINS9_10device_ptrItEEEEPS5_m14custom_greaterItEEE10hipError_tT0_T1_T2_jT3_P12ihipStream_tbPNSt15iterator_traitsISJ_E10value_typeEPNSP_ISK_E10value_typeEPSL_NS1_7vsmem_tEENKUlT_SJ_SK_SL_E_clIPtSE_SF_SF_EESI_SY_SJ_SK_SL_EUlSY_E_NS1_11comp_targetILNS1_3genE8ELNS1_11target_archE1030ELNS1_3gpuE2ELNS1_3repE0EEENS1_48merge_mergepath_partition_config_static_selectorELNS0_4arch9wavefront6targetE1EEEvSK_,"axG",@progbits,_ZN7rocprim17ROCPRIM_400000_NS6detail17trampoline_kernelINS0_14default_configENS1_38merge_sort_block_merge_config_selectorItNS0_10empty_typeEEEZZNS1_27merge_sort_block_merge_implIS3_N6thrust23THRUST_200600_302600_NS6detail15normal_iteratorINS9_10device_ptrItEEEEPS5_m14custom_greaterItEEE10hipError_tT0_T1_T2_jT3_P12ihipStream_tbPNSt15iterator_traitsISJ_E10value_typeEPNSP_ISK_E10value_typeEPSL_NS1_7vsmem_tEENKUlT_SJ_SK_SL_E_clIPtSE_SF_SF_EESI_SY_SJ_SK_SL_EUlSY_E_NS1_11comp_targetILNS1_3genE8ELNS1_11target_archE1030ELNS1_3gpuE2ELNS1_3repE0EEENS1_48merge_mergepath_partition_config_static_selectorELNS0_4arch9wavefront6targetE1EEEvSK_,comdat
	.protected	_ZN7rocprim17ROCPRIM_400000_NS6detail17trampoline_kernelINS0_14default_configENS1_38merge_sort_block_merge_config_selectorItNS0_10empty_typeEEEZZNS1_27merge_sort_block_merge_implIS3_N6thrust23THRUST_200600_302600_NS6detail15normal_iteratorINS9_10device_ptrItEEEEPS5_m14custom_greaterItEEE10hipError_tT0_T1_T2_jT3_P12ihipStream_tbPNSt15iterator_traitsISJ_E10value_typeEPNSP_ISK_E10value_typeEPSL_NS1_7vsmem_tEENKUlT_SJ_SK_SL_E_clIPtSE_SF_SF_EESI_SY_SJ_SK_SL_EUlSY_E_NS1_11comp_targetILNS1_3genE8ELNS1_11target_archE1030ELNS1_3gpuE2ELNS1_3repE0EEENS1_48merge_mergepath_partition_config_static_selectorELNS0_4arch9wavefront6targetE1EEEvSK_ ; -- Begin function _ZN7rocprim17ROCPRIM_400000_NS6detail17trampoline_kernelINS0_14default_configENS1_38merge_sort_block_merge_config_selectorItNS0_10empty_typeEEEZZNS1_27merge_sort_block_merge_implIS3_N6thrust23THRUST_200600_302600_NS6detail15normal_iteratorINS9_10device_ptrItEEEEPS5_m14custom_greaterItEEE10hipError_tT0_T1_T2_jT3_P12ihipStream_tbPNSt15iterator_traitsISJ_E10value_typeEPNSP_ISK_E10value_typeEPSL_NS1_7vsmem_tEENKUlT_SJ_SK_SL_E_clIPtSE_SF_SF_EESI_SY_SJ_SK_SL_EUlSY_E_NS1_11comp_targetILNS1_3genE8ELNS1_11target_archE1030ELNS1_3gpuE2ELNS1_3repE0EEENS1_48merge_mergepath_partition_config_static_selectorELNS0_4arch9wavefront6targetE1EEEvSK_
	.globl	_ZN7rocprim17ROCPRIM_400000_NS6detail17trampoline_kernelINS0_14default_configENS1_38merge_sort_block_merge_config_selectorItNS0_10empty_typeEEEZZNS1_27merge_sort_block_merge_implIS3_N6thrust23THRUST_200600_302600_NS6detail15normal_iteratorINS9_10device_ptrItEEEEPS5_m14custom_greaterItEEE10hipError_tT0_T1_T2_jT3_P12ihipStream_tbPNSt15iterator_traitsISJ_E10value_typeEPNSP_ISK_E10value_typeEPSL_NS1_7vsmem_tEENKUlT_SJ_SK_SL_E_clIPtSE_SF_SF_EESI_SY_SJ_SK_SL_EUlSY_E_NS1_11comp_targetILNS1_3genE8ELNS1_11target_archE1030ELNS1_3gpuE2ELNS1_3repE0EEENS1_48merge_mergepath_partition_config_static_selectorELNS0_4arch9wavefront6targetE1EEEvSK_
	.p2align	8
	.type	_ZN7rocprim17ROCPRIM_400000_NS6detail17trampoline_kernelINS0_14default_configENS1_38merge_sort_block_merge_config_selectorItNS0_10empty_typeEEEZZNS1_27merge_sort_block_merge_implIS3_N6thrust23THRUST_200600_302600_NS6detail15normal_iteratorINS9_10device_ptrItEEEEPS5_m14custom_greaterItEEE10hipError_tT0_T1_T2_jT3_P12ihipStream_tbPNSt15iterator_traitsISJ_E10value_typeEPNSP_ISK_E10value_typeEPSL_NS1_7vsmem_tEENKUlT_SJ_SK_SL_E_clIPtSE_SF_SF_EESI_SY_SJ_SK_SL_EUlSY_E_NS1_11comp_targetILNS1_3genE8ELNS1_11target_archE1030ELNS1_3gpuE2ELNS1_3repE0EEENS1_48merge_mergepath_partition_config_static_selectorELNS0_4arch9wavefront6targetE1EEEvSK_,@function
_ZN7rocprim17ROCPRIM_400000_NS6detail17trampoline_kernelINS0_14default_configENS1_38merge_sort_block_merge_config_selectorItNS0_10empty_typeEEEZZNS1_27merge_sort_block_merge_implIS3_N6thrust23THRUST_200600_302600_NS6detail15normal_iteratorINS9_10device_ptrItEEEEPS5_m14custom_greaterItEEE10hipError_tT0_T1_T2_jT3_P12ihipStream_tbPNSt15iterator_traitsISJ_E10value_typeEPNSP_ISK_E10value_typeEPSL_NS1_7vsmem_tEENKUlT_SJ_SK_SL_E_clIPtSE_SF_SF_EESI_SY_SJ_SK_SL_EUlSY_E_NS1_11comp_targetILNS1_3genE8ELNS1_11target_archE1030ELNS1_3gpuE2ELNS1_3repE0EEENS1_48merge_mergepath_partition_config_static_selectorELNS0_4arch9wavefront6targetE1EEEvSK_: ; @_ZN7rocprim17ROCPRIM_400000_NS6detail17trampoline_kernelINS0_14default_configENS1_38merge_sort_block_merge_config_selectorItNS0_10empty_typeEEEZZNS1_27merge_sort_block_merge_implIS3_N6thrust23THRUST_200600_302600_NS6detail15normal_iteratorINS9_10device_ptrItEEEEPS5_m14custom_greaterItEEE10hipError_tT0_T1_T2_jT3_P12ihipStream_tbPNSt15iterator_traitsISJ_E10value_typeEPNSP_ISK_E10value_typeEPSL_NS1_7vsmem_tEENKUlT_SJ_SK_SL_E_clIPtSE_SF_SF_EESI_SY_SJ_SK_SL_EUlSY_E_NS1_11comp_targetILNS1_3genE8ELNS1_11target_archE1030ELNS1_3gpuE2ELNS1_3repE0EEENS1_48merge_mergepath_partition_config_static_selectorELNS0_4arch9wavefront6targetE1EEEvSK_
; %bb.0:
	.section	.rodata,"a",@progbits
	.p2align	6, 0x0
	.amdhsa_kernel _ZN7rocprim17ROCPRIM_400000_NS6detail17trampoline_kernelINS0_14default_configENS1_38merge_sort_block_merge_config_selectorItNS0_10empty_typeEEEZZNS1_27merge_sort_block_merge_implIS3_N6thrust23THRUST_200600_302600_NS6detail15normal_iteratorINS9_10device_ptrItEEEEPS5_m14custom_greaterItEEE10hipError_tT0_T1_T2_jT3_P12ihipStream_tbPNSt15iterator_traitsISJ_E10value_typeEPNSP_ISK_E10value_typeEPSL_NS1_7vsmem_tEENKUlT_SJ_SK_SL_E_clIPtSE_SF_SF_EESI_SY_SJ_SK_SL_EUlSY_E_NS1_11comp_targetILNS1_3genE8ELNS1_11target_archE1030ELNS1_3gpuE2ELNS1_3repE0EEENS1_48merge_mergepath_partition_config_static_selectorELNS0_4arch9wavefront6targetE1EEEvSK_
		.amdhsa_group_segment_fixed_size 0
		.amdhsa_private_segment_fixed_size 0
		.amdhsa_kernarg_size 48
		.amdhsa_user_sgpr_count 6
		.amdhsa_user_sgpr_private_segment_buffer 1
		.amdhsa_user_sgpr_dispatch_ptr 0
		.amdhsa_user_sgpr_queue_ptr 0
		.amdhsa_user_sgpr_kernarg_segment_ptr 1
		.amdhsa_user_sgpr_dispatch_id 0
		.amdhsa_user_sgpr_flat_scratch_init 0
		.amdhsa_user_sgpr_kernarg_preload_length 0
		.amdhsa_user_sgpr_kernarg_preload_offset 0
		.amdhsa_user_sgpr_private_segment_size 0
		.amdhsa_uses_dynamic_stack 0
		.amdhsa_system_sgpr_private_segment_wavefront_offset 0
		.amdhsa_system_sgpr_workgroup_id_x 1
		.amdhsa_system_sgpr_workgroup_id_y 0
		.amdhsa_system_sgpr_workgroup_id_z 0
		.amdhsa_system_sgpr_workgroup_info 0
		.amdhsa_system_vgpr_workitem_id 0
		.amdhsa_next_free_vgpr 1
		.amdhsa_next_free_sgpr 0
		.amdhsa_accum_offset 4
		.amdhsa_reserve_vcc 0
		.amdhsa_reserve_flat_scratch 0
		.amdhsa_float_round_mode_32 0
		.amdhsa_float_round_mode_16_64 0
		.amdhsa_float_denorm_mode_32 3
		.amdhsa_float_denorm_mode_16_64 3
		.amdhsa_dx10_clamp 1
		.amdhsa_ieee_mode 1
		.amdhsa_fp16_overflow 0
		.amdhsa_tg_split 0
		.amdhsa_exception_fp_ieee_invalid_op 0
		.amdhsa_exception_fp_denorm_src 0
		.amdhsa_exception_fp_ieee_div_zero 0
		.amdhsa_exception_fp_ieee_overflow 0
		.amdhsa_exception_fp_ieee_underflow 0
		.amdhsa_exception_fp_ieee_inexact 0
		.amdhsa_exception_int_div_zero 0
	.end_amdhsa_kernel
	.section	.text._ZN7rocprim17ROCPRIM_400000_NS6detail17trampoline_kernelINS0_14default_configENS1_38merge_sort_block_merge_config_selectorItNS0_10empty_typeEEEZZNS1_27merge_sort_block_merge_implIS3_N6thrust23THRUST_200600_302600_NS6detail15normal_iteratorINS9_10device_ptrItEEEEPS5_m14custom_greaterItEEE10hipError_tT0_T1_T2_jT3_P12ihipStream_tbPNSt15iterator_traitsISJ_E10value_typeEPNSP_ISK_E10value_typeEPSL_NS1_7vsmem_tEENKUlT_SJ_SK_SL_E_clIPtSE_SF_SF_EESI_SY_SJ_SK_SL_EUlSY_E_NS1_11comp_targetILNS1_3genE8ELNS1_11target_archE1030ELNS1_3gpuE2ELNS1_3repE0EEENS1_48merge_mergepath_partition_config_static_selectorELNS0_4arch9wavefront6targetE1EEEvSK_,"axG",@progbits,_ZN7rocprim17ROCPRIM_400000_NS6detail17trampoline_kernelINS0_14default_configENS1_38merge_sort_block_merge_config_selectorItNS0_10empty_typeEEEZZNS1_27merge_sort_block_merge_implIS3_N6thrust23THRUST_200600_302600_NS6detail15normal_iteratorINS9_10device_ptrItEEEEPS5_m14custom_greaterItEEE10hipError_tT0_T1_T2_jT3_P12ihipStream_tbPNSt15iterator_traitsISJ_E10value_typeEPNSP_ISK_E10value_typeEPSL_NS1_7vsmem_tEENKUlT_SJ_SK_SL_E_clIPtSE_SF_SF_EESI_SY_SJ_SK_SL_EUlSY_E_NS1_11comp_targetILNS1_3genE8ELNS1_11target_archE1030ELNS1_3gpuE2ELNS1_3repE0EEENS1_48merge_mergepath_partition_config_static_selectorELNS0_4arch9wavefront6targetE1EEEvSK_,comdat
.Lfunc_end3020:
	.size	_ZN7rocprim17ROCPRIM_400000_NS6detail17trampoline_kernelINS0_14default_configENS1_38merge_sort_block_merge_config_selectorItNS0_10empty_typeEEEZZNS1_27merge_sort_block_merge_implIS3_N6thrust23THRUST_200600_302600_NS6detail15normal_iteratorINS9_10device_ptrItEEEEPS5_m14custom_greaterItEEE10hipError_tT0_T1_T2_jT3_P12ihipStream_tbPNSt15iterator_traitsISJ_E10value_typeEPNSP_ISK_E10value_typeEPSL_NS1_7vsmem_tEENKUlT_SJ_SK_SL_E_clIPtSE_SF_SF_EESI_SY_SJ_SK_SL_EUlSY_E_NS1_11comp_targetILNS1_3genE8ELNS1_11target_archE1030ELNS1_3gpuE2ELNS1_3repE0EEENS1_48merge_mergepath_partition_config_static_selectorELNS0_4arch9wavefront6targetE1EEEvSK_, .Lfunc_end3020-_ZN7rocprim17ROCPRIM_400000_NS6detail17trampoline_kernelINS0_14default_configENS1_38merge_sort_block_merge_config_selectorItNS0_10empty_typeEEEZZNS1_27merge_sort_block_merge_implIS3_N6thrust23THRUST_200600_302600_NS6detail15normal_iteratorINS9_10device_ptrItEEEEPS5_m14custom_greaterItEEE10hipError_tT0_T1_T2_jT3_P12ihipStream_tbPNSt15iterator_traitsISJ_E10value_typeEPNSP_ISK_E10value_typeEPSL_NS1_7vsmem_tEENKUlT_SJ_SK_SL_E_clIPtSE_SF_SF_EESI_SY_SJ_SK_SL_EUlSY_E_NS1_11comp_targetILNS1_3genE8ELNS1_11target_archE1030ELNS1_3gpuE2ELNS1_3repE0EEENS1_48merge_mergepath_partition_config_static_selectorELNS0_4arch9wavefront6targetE1EEEvSK_
                                        ; -- End function
	.section	.AMDGPU.csdata,"",@progbits
; Kernel info:
; codeLenInByte = 0
; NumSgprs: 4
; NumVgprs: 0
; NumAgprs: 0
; TotalNumVgprs: 0
; ScratchSize: 0
; MemoryBound: 0
; FloatMode: 240
; IeeeMode: 1
; LDSByteSize: 0 bytes/workgroup (compile time only)
; SGPRBlocks: 0
; VGPRBlocks: 0
; NumSGPRsForWavesPerEU: 4
; NumVGPRsForWavesPerEU: 1
; AccumOffset: 4
; Occupancy: 8
; WaveLimiterHint : 0
; COMPUTE_PGM_RSRC2:SCRATCH_EN: 0
; COMPUTE_PGM_RSRC2:USER_SGPR: 6
; COMPUTE_PGM_RSRC2:TRAP_HANDLER: 0
; COMPUTE_PGM_RSRC2:TGID_X_EN: 1
; COMPUTE_PGM_RSRC2:TGID_Y_EN: 0
; COMPUTE_PGM_RSRC2:TGID_Z_EN: 0
; COMPUTE_PGM_RSRC2:TIDIG_COMP_CNT: 0
; COMPUTE_PGM_RSRC3_GFX90A:ACCUM_OFFSET: 0
; COMPUTE_PGM_RSRC3_GFX90A:TG_SPLIT: 0
	.section	.text._ZN7rocprim17ROCPRIM_400000_NS6detail17trampoline_kernelINS0_14default_configENS1_38merge_sort_block_merge_config_selectorItNS0_10empty_typeEEEZZNS1_27merge_sort_block_merge_implIS3_N6thrust23THRUST_200600_302600_NS6detail15normal_iteratorINS9_10device_ptrItEEEEPS5_m14custom_greaterItEEE10hipError_tT0_T1_T2_jT3_P12ihipStream_tbPNSt15iterator_traitsISJ_E10value_typeEPNSP_ISK_E10value_typeEPSL_NS1_7vsmem_tEENKUlT_SJ_SK_SL_E_clIPtSE_SF_SF_EESI_SY_SJ_SK_SL_EUlSY_E0_NS1_11comp_targetILNS1_3genE0ELNS1_11target_archE4294967295ELNS1_3gpuE0ELNS1_3repE0EEENS1_38merge_mergepath_config_static_selectorELNS0_4arch9wavefront6targetE1EEEvSK_,"axG",@progbits,_ZN7rocprim17ROCPRIM_400000_NS6detail17trampoline_kernelINS0_14default_configENS1_38merge_sort_block_merge_config_selectorItNS0_10empty_typeEEEZZNS1_27merge_sort_block_merge_implIS3_N6thrust23THRUST_200600_302600_NS6detail15normal_iteratorINS9_10device_ptrItEEEEPS5_m14custom_greaterItEEE10hipError_tT0_T1_T2_jT3_P12ihipStream_tbPNSt15iterator_traitsISJ_E10value_typeEPNSP_ISK_E10value_typeEPSL_NS1_7vsmem_tEENKUlT_SJ_SK_SL_E_clIPtSE_SF_SF_EESI_SY_SJ_SK_SL_EUlSY_E0_NS1_11comp_targetILNS1_3genE0ELNS1_11target_archE4294967295ELNS1_3gpuE0ELNS1_3repE0EEENS1_38merge_mergepath_config_static_selectorELNS0_4arch9wavefront6targetE1EEEvSK_,comdat
	.protected	_ZN7rocprim17ROCPRIM_400000_NS6detail17trampoline_kernelINS0_14default_configENS1_38merge_sort_block_merge_config_selectorItNS0_10empty_typeEEEZZNS1_27merge_sort_block_merge_implIS3_N6thrust23THRUST_200600_302600_NS6detail15normal_iteratorINS9_10device_ptrItEEEEPS5_m14custom_greaterItEEE10hipError_tT0_T1_T2_jT3_P12ihipStream_tbPNSt15iterator_traitsISJ_E10value_typeEPNSP_ISK_E10value_typeEPSL_NS1_7vsmem_tEENKUlT_SJ_SK_SL_E_clIPtSE_SF_SF_EESI_SY_SJ_SK_SL_EUlSY_E0_NS1_11comp_targetILNS1_3genE0ELNS1_11target_archE4294967295ELNS1_3gpuE0ELNS1_3repE0EEENS1_38merge_mergepath_config_static_selectorELNS0_4arch9wavefront6targetE1EEEvSK_ ; -- Begin function _ZN7rocprim17ROCPRIM_400000_NS6detail17trampoline_kernelINS0_14default_configENS1_38merge_sort_block_merge_config_selectorItNS0_10empty_typeEEEZZNS1_27merge_sort_block_merge_implIS3_N6thrust23THRUST_200600_302600_NS6detail15normal_iteratorINS9_10device_ptrItEEEEPS5_m14custom_greaterItEEE10hipError_tT0_T1_T2_jT3_P12ihipStream_tbPNSt15iterator_traitsISJ_E10value_typeEPNSP_ISK_E10value_typeEPSL_NS1_7vsmem_tEENKUlT_SJ_SK_SL_E_clIPtSE_SF_SF_EESI_SY_SJ_SK_SL_EUlSY_E0_NS1_11comp_targetILNS1_3genE0ELNS1_11target_archE4294967295ELNS1_3gpuE0ELNS1_3repE0EEENS1_38merge_mergepath_config_static_selectorELNS0_4arch9wavefront6targetE1EEEvSK_
	.globl	_ZN7rocprim17ROCPRIM_400000_NS6detail17trampoline_kernelINS0_14default_configENS1_38merge_sort_block_merge_config_selectorItNS0_10empty_typeEEEZZNS1_27merge_sort_block_merge_implIS3_N6thrust23THRUST_200600_302600_NS6detail15normal_iteratorINS9_10device_ptrItEEEEPS5_m14custom_greaterItEEE10hipError_tT0_T1_T2_jT3_P12ihipStream_tbPNSt15iterator_traitsISJ_E10value_typeEPNSP_ISK_E10value_typeEPSL_NS1_7vsmem_tEENKUlT_SJ_SK_SL_E_clIPtSE_SF_SF_EESI_SY_SJ_SK_SL_EUlSY_E0_NS1_11comp_targetILNS1_3genE0ELNS1_11target_archE4294967295ELNS1_3gpuE0ELNS1_3repE0EEENS1_38merge_mergepath_config_static_selectorELNS0_4arch9wavefront6targetE1EEEvSK_
	.p2align	8
	.type	_ZN7rocprim17ROCPRIM_400000_NS6detail17trampoline_kernelINS0_14default_configENS1_38merge_sort_block_merge_config_selectorItNS0_10empty_typeEEEZZNS1_27merge_sort_block_merge_implIS3_N6thrust23THRUST_200600_302600_NS6detail15normal_iteratorINS9_10device_ptrItEEEEPS5_m14custom_greaterItEEE10hipError_tT0_T1_T2_jT3_P12ihipStream_tbPNSt15iterator_traitsISJ_E10value_typeEPNSP_ISK_E10value_typeEPSL_NS1_7vsmem_tEENKUlT_SJ_SK_SL_E_clIPtSE_SF_SF_EESI_SY_SJ_SK_SL_EUlSY_E0_NS1_11comp_targetILNS1_3genE0ELNS1_11target_archE4294967295ELNS1_3gpuE0ELNS1_3repE0EEENS1_38merge_mergepath_config_static_selectorELNS0_4arch9wavefront6targetE1EEEvSK_,@function
_ZN7rocprim17ROCPRIM_400000_NS6detail17trampoline_kernelINS0_14default_configENS1_38merge_sort_block_merge_config_selectorItNS0_10empty_typeEEEZZNS1_27merge_sort_block_merge_implIS3_N6thrust23THRUST_200600_302600_NS6detail15normal_iteratorINS9_10device_ptrItEEEEPS5_m14custom_greaterItEEE10hipError_tT0_T1_T2_jT3_P12ihipStream_tbPNSt15iterator_traitsISJ_E10value_typeEPNSP_ISK_E10value_typeEPSL_NS1_7vsmem_tEENKUlT_SJ_SK_SL_E_clIPtSE_SF_SF_EESI_SY_SJ_SK_SL_EUlSY_E0_NS1_11comp_targetILNS1_3genE0ELNS1_11target_archE4294967295ELNS1_3gpuE0ELNS1_3repE0EEENS1_38merge_mergepath_config_static_selectorELNS0_4arch9wavefront6targetE1EEEvSK_: ; @_ZN7rocprim17ROCPRIM_400000_NS6detail17trampoline_kernelINS0_14default_configENS1_38merge_sort_block_merge_config_selectorItNS0_10empty_typeEEEZZNS1_27merge_sort_block_merge_implIS3_N6thrust23THRUST_200600_302600_NS6detail15normal_iteratorINS9_10device_ptrItEEEEPS5_m14custom_greaterItEEE10hipError_tT0_T1_T2_jT3_P12ihipStream_tbPNSt15iterator_traitsISJ_E10value_typeEPNSP_ISK_E10value_typeEPSL_NS1_7vsmem_tEENKUlT_SJ_SK_SL_E_clIPtSE_SF_SF_EESI_SY_SJ_SK_SL_EUlSY_E0_NS1_11comp_targetILNS1_3genE0ELNS1_11target_archE4294967295ELNS1_3gpuE0ELNS1_3repE0EEENS1_38merge_mergepath_config_static_selectorELNS0_4arch9wavefront6targetE1EEEvSK_
; %bb.0:
	.section	.rodata,"a",@progbits
	.p2align	6, 0x0
	.amdhsa_kernel _ZN7rocprim17ROCPRIM_400000_NS6detail17trampoline_kernelINS0_14default_configENS1_38merge_sort_block_merge_config_selectorItNS0_10empty_typeEEEZZNS1_27merge_sort_block_merge_implIS3_N6thrust23THRUST_200600_302600_NS6detail15normal_iteratorINS9_10device_ptrItEEEEPS5_m14custom_greaterItEEE10hipError_tT0_T1_T2_jT3_P12ihipStream_tbPNSt15iterator_traitsISJ_E10value_typeEPNSP_ISK_E10value_typeEPSL_NS1_7vsmem_tEENKUlT_SJ_SK_SL_E_clIPtSE_SF_SF_EESI_SY_SJ_SK_SL_EUlSY_E0_NS1_11comp_targetILNS1_3genE0ELNS1_11target_archE4294967295ELNS1_3gpuE0ELNS1_3repE0EEENS1_38merge_mergepath_config_static_selectorELNS0_4arch9wavefront6targetE1EEEvSK_
		.amdhsa_group_segment_fixed_size 0
		.amdhsa_private_segment_fixed_size 0
		.amdhsa_kernarg_size 72
		.amdhsa_user_sgpr_count 6
		.amdhsa_user_sgpr_private_segment_buffer 1
		.amdhsa_user_sgpr_dispatch_ptr 0
		.amdhsa_user_sgpr_queue_ptr 0
		.amdhsa_user_sgpr_kernarg_segment_ptr 1
		.amdhsa_user_sgpr_dispatch_id 0
		.amdhsa_user_sgpr_flat_scratch_init 0
		.amdhsa_user_sgpr_kernarg_preload_length 0
		.amdhsa_user_sgpr_kernarg_preload_offset 0
		.amdhsa_user_sgpr_private_segment_size 0
		.amdhsa_uses_dynamic_stack 0
		.amdhsa_system_sgpr_private_segment_wavefront_offset 0
		.amdhsa_system_sgpr_workgroup_id_x 1
		.amdhsa_system_sgpr_workgroup_id_y 0
		.amdhsa_system_sgpr_workgroup_id_z 0
		.amdhsa_system_sgpr_workgroup_info 0
		.amdhsa_system_vgpr_workitem_id 0
		.amdhsa_next_free_vgpr 1
		.amdhsa_next_free_sgpr 0
		.amdhsa_accum_offset 4
		.amdhsa_reserve_vcc 0
		.amdhsa_reserve_flat_scratch 0
		.amdhsa_float_round_mode_32 0
		.amdhsa_float_round_mode_16_64 0
		.amdhsa_float_denorm_mode_32 3
		.amdhsa_float_denorm_mode_16_64 3
		.amdhsa_dx10_clamp 1
		.amdhsa_ieee_mode 1
		.amdhsa_fp16_overflow 0
		.amdhsa_tg_split 0
		.amdhsa_exception_fp_ieee_invalid_op 0
		.amdhsa_exception_fp_denorm_src 0
		.amdhsa_exception_fp_ieee_div_zero 0
		.amdhsa_exception_fp_ieee_overflow 0
		.amdhsa_exception_fp_ieee_underflow 0
		.amdhsa_exception_fp_ieee_inexact 0
		.amdhsa_exception_int_div_zero 0
	.end_amdhsa_kernel
	.section	.text._ZN7rocprim17ROCPRIM_400000_NS6detail17trampoline_kernelINS0_14default_configENS1_38merge_sort_block_merge_config_selectorItNS0_10empty_typeEEEZZNS1_27merge_sort_block_merge_implIS3_N6thrust23THRUST_200600_302600_NS6detail15normal_iteratorINS9_10device_ptrItEEEEPS5_m14custom_greaterItEEE10hipError_tT0_T1_T2_jT3_P12ihipStream_tbPNSt15iterator_traitsISJ_E10value_typeEPNSP_ISK_E10value_typeEPSL_NS1_7vsmem_tEENKUlT_SJ_SK_SL_E_clIPtSE_SF_SF_EESI_SY_SJ_SK_SL_EUlSY_E0_NS1_11comp_targetILNS1_3genE0ELNS1_11target_archE4294967295ELNS1_3gpuE0ELNS1_3repE0EEENS1_38merge_mergepath_config_static_selectorELNS0_4arch9wavefront6targetE1EEEvSK_,"axG",@progbits,_ZN7rocprim17ROCPRIM_400000_NS6detail17trampoline_kernelINS0_14default_configENS1_38merge_sort_block_merge_config_selectorItNS0_10empty_typeEEEZZNS1_27merge_sort_block_merge_implIS3_N6thrust23THRUST_200600_302600_NS6detail15normal_iteratorINS9_10device_ptrItEEEEPS5_m14custom_greaterItEEE10hipError_tT0_T1_T2_jT3_P12ihipStream_tbPNSt15iterator_traitsISJ_E10value_typeEPNSP_ISK_E10value_typeEPSL_NS1_7vsmem_tEENKUlT_SJ_SK_SL_E_clIPtSE_SF_SF_EESI_SY_SJ_SK_SL_EUlSY_E0_NS1_11comp_targetILNS1_3genE0ELNS1_11target_archE4294967295ELNS1_3gpuE0ELNS1_3repE0EEENS1_38merge_mergepath_config_static_selectorELNS0_4arch9wavefront6targetE1EEEvSK_,comdat
.Lfunc_end3021:
	.size	_ZN7rocprim17ROCPRIM_400000_NS6detail17trampoline_kernelINS0_14default_configENS1_38merge_sort_block_merge_config_selectorItNS0_10empty_typeEEEZZNS1_27merge_sort_block_merge_implIS3_N6thrust23THRUST_200600_302600_NS6detail15normal_iteratorINS9_10device_ptrItEEEEPS5_m14custom_greaterItEEE10hipError_tT0_T1_T2_jT3_P12ihipStream_tbPNSt15iterator_traitsISJ_E10value_typeEPNSP_ISK_E10value_typeEPSL_NS1_7vsmem_tEENKUlT_SJ_SK_SL_E_clIPtSE_SF_SF_EESI_SY_SJ_SK_SL_EUlSY_E0_NS1_11comp_targetILNS1_3genE0ELNS1_11target_archE4294967295ELNS1_3gpuE0ELNS1_3repE0EEENS1_38merge_mergepath_config_static_selectorELNS0_4arch9wavefront6targetE1EEEvSK_, .Lfunc_end3021-_ZN7rocprim17ROCPRIM_400000_NS6detail17trampoline_kernelINS0_14default_configENS1_38merge_sort_block_merge_config_selectorItNS0_10empty_typeEEEZZNS1_27merge_sort_block_merge_implIS3_N6thrust23THRUST_200600_302600_NS6detail15normal_iteratorINS9_10device_ptrItEEEEPS5_m14custom_greaterItEEE10hipError_tT0_T1_T2_jT3_P12ihipStream_tbPNSt15iterator_traitsISJ_E10value_typeEPNSP_ISK_E10value_typeEPSL_NS1_7vsmem_tEENKUlT_SJ_SK_SL_E_clIPtSE_SF_SF_EESI_SY_SJ_SK_SL_EUlSY_E0_NS1_11comp_targetILNS1_3genE0ELNS1_11target_archE4294967295ELNS1_3gpuE0ELNS1_3repE0EEENS1_38merge_mergepath_config_static_selectorELNS0_4arch9wavefront6targetE1EEEvSK_
                                        ; -- End function
	.section	.AMDGPU.csdata,"",@progbits
; Kernel info:
; codeLenInByte = 0
; NumSgprs: 4
; NumVgprs: 0
; NumAgprs: 0
; TotalNumVgprs: 0
; ScratchSize: 0
; MemoryBound: 0
; FloatMode: 240
; IeeeMode: 1
; LDSByteSize: 0 bytes/workgroup (compile time only)
; SGPRBlocks: 0
; VGPRBlocks: 0
; NumSGPRsForWavesPerEU: 4
; NumVGPRsForWavesPerEU: 1
; AccumOffset: 4
; Occupancy: 8
; WaveLimiterHint : 0
; COMPUTE_PGM_RSRC2:SCRATCH_EN: 0
; COMPUTE_PGM_RSRC2:USER_SGPR: 6
; COMPUTE_PGM_RSRC2:TRAP_HANDLER: 0
; COMPUTE_PGM_RSRC2:TGID_X_EN: 1
; COMPUTE_PGM_RSRC2:TGID_Y_EN: 0
; COMPUTE_PGM_RSRC2:TGID_Z_EN: 0
; COMPUTE_PGM_RSRC2:TIDIG_COMP_CNT: 0
; COMPUTE_PGM_RSRC3_GFX90A:ACCUM_OFFSET: 0
; COMPUTE_PGM_RSRC3_GFX90A:TG_SPLIT: 0
	.section	.text._ZN7rocprim17ROCPRIM_400000_NS6detail17trampoline_kernelINS0_14default_configENS1_38merge_sort_block_merge_config_selectorItNS0_10empty_typeEEEZZNS1_27merge_sort_block_merge_implIS3_N6thrust23THRUST_200600_302600_NS6detail15normal_iteratorINS9_10device_ptrItEEEEPS5_m14custom_greaterItEEE10hipError_tT0_T1_T2_jT3_P12ihipStream_tbPNSt15iterator_traitsISJ_E10value_typeEPNSP_ISK_E10value_typeEPSL_NS1_7vsmem_tEENKUlT_SJ_SK_SL_E_clIPtSE_SF_SF_EESI_SY_SJ_SK_SL_EUlSY_E0_NS1_11comp_targetILNS1_3genE10ELNS1_11target_archE1201ELNS1_3gpuE5ELNS1_3repE0EEENS1_38merge_mergepath_config_static_selectorELNS0_4arch9wavefront6targetE1EEEvSK_,"axG",@progbits,_ZN7rocprim17ROCPRIM_400000_NS6detail17trampoline_kernelINS0_14default_configENS1_38merge_sort_block_merge_config_selectorItNS0_10empty_typeEEEZZNS1_27merge_sort_block_merge_implIS3_N6thrust23THRUST_200600_302600_NS6detail15normal_iteratorINS9_10device_ptrItEEEEPS5_m14custom_greaterItEEE10hipError_tT0_T1_T2_jT3_P12ihipStream_tbPNSt15iterator_traitsISJ_E10value_typeEPNSP_ISK_E10value_typeEPSL_NS1_7vsmem_tEENKUlT_SJ_SK_SL_E_clIPtSE_SF_SF_EESI_SY_SJ_SK_SL_EUlSY_E0_NS1_11comp_targetILNS1_3genE10ELNS1_11target_archE1201ELNS1_3gpuE5ELNS1_3repE0EEENS1_38merge_mergepath_config_static_selectorELNS0_4arch9wavefront6targetE1EEEvSK_,comdat
	.protected	_ZN7rocprim17ROCPRIM_400000_NS6detail17trampoline_kernelINS0_14default_configENS1_38merge_sort_block_merge_config_selectorItNS0_10empty_typeEEEZZNS1_27merge_sort_block_merge_implIS3_N6thrust23THRUST_200600_302600_NS6detail15normal_iteratorINS9_10device_ptrItEEEEPS5_m14custom_greaterItEEE10hipError_tT0_T1_T2_jT3_P12ihipStream_tbPNSt15iterator_traitsISJ_E10value_typeEPNSP_ISK_E10value_typeEPSL_NS1_7vsmem_tEENKUlT_SJ_SK_SL_E_clIPtSE_SF_SF_EESI_SY_SJ_SK_SL_EUlSY_E0_NS1_11comp_targetILNS1_3genE10ELNS1_11target_archE1201ELNS1_3gpuE5ELNS1_3repE0EEENS1_38merge_mergepath_config_static_selectorELNS0_4arch9wavefront6targetE1EEEvSK_ ; -- Begin function _ZN7rocprim17ROCPRIM_400000_NS6detail17trampoline_kernelINS0_14default_configENS1_38merge_sort_block_merge_config_selectorItNS0_10empty_typeEEEZZNS1_27merge_sort_block_merge_implIS3_N6thrust23THRUST_200600_302600_NS6detail15normal_iteratorINS9_10device_ptrItEEEEPS5_m14custom_greaterItEEE10hipError_tT0_T1_T2_jT3_P12ihipStream_tbPNSt15iterator_traitsISJ_E10value_typeEPNSP_ISK_E10value_typeEPSL_NS1_7vsmem_tEENKUlT_SJ_SK_SL_E_clIPtSE_SF_SF_EESI_SY_SJ_SK_SL_EUlSY_E0_NS1_11comp_targetILNS1_3genE10ELNS1_11target_archE1201ELNS1_3gpuE5ELNS1_3repE0EEENS1_38merge_mergepath_config_static_selectorELNS0_4arch9wavefront6targetE1EEEvSK_
	.globl	_ZN7rocprim17ROCPRIM_400000_NS6detail17trampoline_kernelINS0_14default_configENS1_38merge_sort_block_merge_config_selectorItNS0_10empty_typeEEEZZNS1_27merge_sort_block_merge_implIS3_N6thrust23THRUST_200600_302600_NS6detail15normal_iteratorINS9_10device_ptrItEEEEPS5_m14custom_greaterItEEE10hipError_tT0_T1_T2_jT3_P12ihipStream_tbPNSt15iterator_traitsISJ_E10value_typeEPNSP_ISK_E10value_typeEPSL_NS1_7vsmem_tEENKUlT_SJ_SK_SL_E_clIPtSE_SF_SF_EESI_SY_SJ_SK_SL_EUlSY_E0_NS1_11comp_targetILNS1_3genE10ELNS1_11target_archE1201ELNS1_3gpuE5ELNS1_3repE0EEENS1_38merge_mergepath_config_static_selectorELNS0_4arch9wavefront6targetE1EEEvSK_
	.p2align	8
	.type	_ZN7rocprim17ROCPRIM_400000_NS6detail17trampoline_kernelINS0_14default_configENS1_38merge_sort_block_merge_config_selectorItNS0_10empty_typeEEEZZNS1_27merge_sort_block_merge_implIS3_N6thrust23THRUST_200600_302600_NS6detail15normal_iteratorINS9_10device_ptrItEEEEPS5_m14custom_greaterItEEE10hipError_tT0_T1_T2_jT3_P12ihipStream_tbPNSt15iterator_traitsISJ_E10value_typeEPNSP_ISK_E10value_typeEPSL_NS1_7vsmem_tEENKUlT_SJ_SK_SL_E_clIPtSE_SF_SF_EESI_SY_SJ_SK_SL_EUlSY_E0_NS1_11comp_targetILNS1_3genE10ELNS1_11target_archE1201ELNS1_3gpuE5ELNS1_3repE0EEENS1_38merge_mergepath_config_static_selectorELNS0_4arch9wavefront6targetE1EEEvSK_,@function
_ZN7rocprim17ROCPRIM_400000_NS6detail17trampoline_kernelINS0_14default_configENS1_38merge_sort_block_merge_config_selectorItNS0_10empty_typeEEEZZNS1_27merge_sort_block_merge_implIS3_N6thrust23THRUST_200600_302600_NS6detail15normal_iteratorINS9_10device_ptrItEEEEPS5_m14custom_greaterItEEE10hipError_tT0_T1_T2_jT3_P12ihipStream_tbPNSt15iterator_traitsISJ_E10value_typeEPNSP_ISK_E10value_typeEPSL_NS1_7vsmem_tEENKUlT_SJ_SK_SL_E_clIPtSE_SF_SF_EESI_SY_SJ_SK_SL_EUlSY_E0_NS1_11comp_targetILNS1_3genE10ELNS1_11target_archE1201ELNS1_3gpuE5ELNS1_3repE0EEENS1_38merge_mergepath_config_static_selectorELNS0_4arch9wavefront6targetE1EEEvSK_: ; @_ZN7rocprim17ROCPRIM_400000_NS6detail17trampoline_kernelINS0_14default_configENS1_38merge_sort_block_merge_config_selectorItNS0_10empty_typeEEEZZNS1_27merge_sort_block_merge_implIS3_N6thrust23THRUST_200600_302600_NS6detail15normal_iteratorINS9_10device_ptrItEEEEPS5_m14custom_greaterItEEE10hipError_tT0_T1_T2_jT3_P12ihipStream_tbPNSt15iterator_traitsISJ_E10value_typeEPNSP_ISK_E10value_typeEPSL_NS1_7vsmem_tEENKUlT_SJ_SK_SL_E_clIPtSE_SF_SF_EESI_SY_SJ_SK_SL_EUlSY_E0_NS1_11comp_targetILNS1_3genE10ELNS1_11target_archE1201ELNS1_3gpuE5ELNS1_3repE0EEENS1_38merge_mergepath_config_static_selectorELNS0_4arch9wavefront6targetE1EEEvSK_
; %bb.0:
	.section	.rodata,"a",@progbits
	.p2align	6, 0x0
	.amdhsa_kernel _ZN7rocprim17ROCPRIM_400000_NS6detail17trampoline_kernelINS0_14default_configENS1_38merge_sort_block_merge_config_selectorItNS0_10empty_typeEEEZZNS1_27merge_sort_block_merge_implIS3_N6thrust23THRUST_200600_302600_NS6detail15normal_iteratorINS9_10device_ptrItEEEEPS5_m14custom_greaterItEEE10hipError_tT0_T1_T2_jT3_P12ihipStream_tbPNSt15iterator_traitsISJ_E10value_typeEPNSP_ISK_E10value_typeEPSL_NS1_7vsmem_tEENKUlT_SJ_SK_SL_E_clIPtSE_SF_SF_EESI_SY_SJ_SK_SL_EUlSY_E0_NS1_11comp_targetILNS1_3genE10ELNS1_11target_archE1201ELNS1_3gpuE5ELNS1_3repE0EEENS1_38merge_mergepath_config_static_selectorELNS0_4arch9wavefront6targetE1EEEvSK_
		.amdhsa_group_segment_fixed_size 0
		.amdhsa_private_segment_fixed_size 0
		.amdhsa_kernarg_size 72
		.amdhsa_user_sgpr_count 6
		.amdhsa_user_sgpr_private_segment_buffer 1
		.amdhsa_user_sgpr_dispatch_ptr 0
		.amdhsa_user_sgpr_queue_ptr 0
		.amdhsa_user_sgpr_kernarg_segment_ptr 1
		.amdhsa_user_sgpr_dispatch_id 0
		.amdhsa_user_sgpr_flat_scratch_init 0
		.amdhsa_user_sgpr_kernarg_preload_length 0
		.amdhsa_user_sgpr_kernarg_preload_offset 0
		.amdhsa_user_sgpr_private_segment_size 0
		.amdhsa_uses_dynamic_stack 0
		.amdhsa_system_sgpr_private_segment_wavefront_offset 0
		.amdhsa_system_sgpr_workgroup_id_x 1
		.amdhsa_system_sgpr_workgroup_id_y 0
		.amdhsa_system_sgpr_workgroup_id_z 0
		.amdhsa_system_sgpr_workgroup_info 0
		.amdhsa_system_vgpr_workitem_id 0
		.amdhsa_next_free_vgpr 1
		.amdhsa_next_free_sgpr 0
		.amdhsa_accum_offset 4
		.amdhsa_reserve_vcc 0
		.amdhsa_reserve_flat_scratch 0
		.amdhsa_float_round_mode_32 0
		.amdhsa_float_round_mode_16_64 0
		.amdhsa_float_denorm_mode_32 3
		.amdhsa_float_denorm_mode_16_64 3
		.amdhsa_dx10_clamp 1
		.amdhsa_ieee_mode 1
		.amdhsa_fp16_overflow 0
		.amdhsa_tg_split 0
		.amdhsa_exception_fp_ieee_invalid_op 0
		.amdhsa_exception_fp_denorm_src 0
		.amdhsa_exception_fp_ieee_div_zero 0
		.amdhsa_exception_fp_ieee_overflow 0
		.amdhsa_exception_fp_ieee_underflow 0
		.amdhsa_exception_fp_ieee_inexact 0
		.amdhsa_exception_int_div_zero 0
	.end_amdhsa_kernel
	.section	.text._ZN7rocprim17ROCPRIM_400000_NS6detail17trampoline_kernelINS0_14default_configENS1_38merge_sort_block_merge_config_selectorItNS0_10empty_typeEEEZZNS1_27merge_sort_block_merge_implIS3_N6thrust23THRUST_200600_302600_NS6detail15normal_iteratorINS9_10device_ptrItEEEEPS5_m14custom_greaterItEEE10hipError_tT0_T1_T2_jT3_P12ihipStream_tbPNSt15iterator_traitsISJ_E10value_typeEPNSP_ISK_E10value_typeEPSL_NS1_7vsmem_tEENKUlT_SJ_SK_SL_E_clIPtSE_SF_SF_EESI_SY_SJ_SK_SL_EUlSY_E0_NS1_11comp_targetILNS1_3genE10ELNS1_11target_archE1201ELNS1_3gpuE5ELNS1_3repE0EEENS1_38merge_mergepath_config_static_selectorELNS0_4arch9wavefront6targetE1EEEvSK_,"axG",@progbits,_ZN7rocprim17ROCPRIM_400000_NS6detail17trampoline_kernelINS0_14default_configENS1_38merge_sort_block_merge_config_selectorItNS0_10empty_typeEEEZZNS1_27merge_sort_block_merge_implIS3_N6thrust23THRUST_200600_302600_NS6detail15normal_iteratorINS9_10device_ptrItEEEEPS5_m14custom_greaterItEEE10hipError_tT0_T1_T2_jT3_P12ihipStream_tbPNSt15iterator_traitsISJ_E10value_typeEPNSP_ISK_E10value_typeEPSL_NS1_7vsmem_tEENKUlT_SJ_SK_SL_E_clIPtSE_SF_SF_EESI_SY_SJ_SK_SL_EUlSY_E0_NS1_11comp_targetILNS1_3genE10ELNS1_11target_archE1201ELNS1_3gpuE5ELNS1_3repE0EEENS1_38merge_mergepath_config_static_selectorELNS0_4arch9wavefront6targetE1EEEvSK_,comdat
.Lfunc_end3022:
	.size	_ZN7rocprim17ROCPRIM_400000_NS6detail17trampoline_kernelINS0_14default_configENS1_38merge_sort_block_merge_config_selectorItNS0_10empty_typeEEEZZNS1_27merge_sort_block_merge_implIS3_N6thrust23THRUST_200600_302600_NS6detail15normal_iteratorINS9_10device_ptrItEEEEPS5_m14custom_greaterItEEE10hipError_tT0_T1_T2_jT3_P12ihipStream_tbPNSt15iterator_traitsISJ_E10value_typeEPNSP_ISK_E10value_typeEPSL_NS1_7vsmem_tEENKUlT_SJ_SK_SL_E_clIPtSE_SF_SF_EESI_SY_SJ_SK_SL_EUlSY_E0_NS1_11comp_targetILNS1_3genE10ELNS1_11target_archE1201ELNS1_3gpuE5ELNS1_3repE0EEENS1_38merge_mergepath_config_static_selectorELNS0_4arch9wavefront6targetE1EEEvSK_, .Lfunc_end3022-_ZN7rocprim17ROCPRIM_400000_NS6detail17trampoline_kernelINS0_14default_configENS1_38merge_sort_block_merge_config_selectorItNS0_10empty_typeEEEZZNS1_27merge_sort_block_merge_implIS3_N6thrust23THRUST_200600_302600_NS6detail15normal_iteratorINS9_10device_ptrItEEEEPS5_m14custom_greaterItEEE10hipError_tT0_T1_T2_jT3_P12ihipStream_tbPNSt15iterator_traitsISJ_E10value_typeEPNSP_ISK_E10value_typeEPSL_NS1_7vsmem_tEENKUlT_SJ_SK_SL_E_clIPtSE_SF_SF_EESI_SY_SJ_SK_SL_EUlSY_E0_NS1_11comp_targetILNS1_3genE10ELNS1_11target_archE1201ELNS1_3gpuE5ELNS1_3repE0EEENS1_38merge_mergepath_config_static_selectorELNS0_4arch9wavefront6targetE1EEEvSK_
                                        ; -- End function
	.section	.AMDGPU.csdata,"",@progbits
; Kernel info:
; codeLenInByte = 0
; NumSgprs: 4
; NumVgprs: 0
; NumAgprs: 0
; TotalNumVgprs: 0
; ScratchSize: 0
; MemoryBound: 0
; FloatMode: 240
; IeeeMode: 1
; LDSByteSize: 0 bytes/workgroup (compile time only)
; SGPRBlocks: 0
; VGPRBlocks: 0
; NumSGPRsForWavesPerEU: 4
; NumVGPRsForWavesPerEU: 1
; AccumOffset: 4
; Occupancy: 8
; WaveLimiterHint : 0
; COMPUTE_PGM_RSRC2:SCRATCH_EN: 0
; COMPUTE_PGM_RSRC2:USER_SGPR: 6
; COMPUTE_PGM_RSRC2:TRAP_HANDLER: 0
; COMPUTE_PGM_RSRC2:TGID_X_EN: 1
; COMPUTE_PGM_RSRC2:TGID_Y_EN: 0
; COMPUTE_PGM_RSRC2:TGID_Z_EN: 0
; COMPUTE_PGM_RSRC2:TIDIG_COMP_CNT: 0
; COMPUTE_PGM_RSRC3_GFX90A:ACCUM_OFFSET: 0
; COMPUTE_PGM_RSRC3_GFX90A:TG_SPLIT: 0
	.section	.text._ZN7rocprim17ROCPRIM_400000_NS6detail17trampoline_kernelINS0_14default_configENS1_38merge_sort_block_merge_config_selectorItNS0_10empty_typeEEEZZNS1_27merge_sort_block_merge_implIS3_N6thrust23THRUST_200600_302600_NS6detail15normal_iteratorINS9_10device_ptrItEEEEPS5_m14custom_greaterItEEE10hipError_tT0_T1_T2_jT3_P12ihipStream_tbPNSt15iterator_traitsISJ_E10value_typeEPNSP_ISK_E10value_typeEPSL_NS1_7vsmem_tEENKUlT_SJ_SK_SL_E_clIPtSE_SF_SF_EESI_SY_SJ_SK_SL_EUlSY_E0_NS1_11comp_targetILNS1_3genE5ELNS1_11target_archE942ELNS1_3gpuE9ELNS1_3repE0EEENS1_38merge_mergepath_config_static_selectorELNS0_4arch9wavefront6targetE1EEEvSK_,"axG",@progbits,_ZN7rocprim17ROCPRIM_400000_NS6detail17trampoline_kernelINS0_14default_configENS1_38merge_sort_block_merge_config_selectorItNS0_10empty_typeEEEZZNS1_27merge_sort_block_merge_implIS3_N6thrust23THRUST_200600_302600_NS6detail15normal_iteratorINS9_10device_ptrItEEEEPS5_m14custom_greaterItEEE10hipError_tT0_T1_T2_jT3_P12ihipStream_tbPNSt15iterator_traitsISJ_E10value_typeEPNSP_ISK_E10value_typeEPSL_NS1_7vsmem_tEENKUlT_SJ_SK_SL_E_clIPtSE_SF_SF_EESI_SY_SJ_SK_SL_EUlSY_E0_NS1_11comp_targetILNS1_3genE5ELNS1_11target_archE942ELNS1_3gpuE9ELNS1_3repE0EEENS1_38merge_mergepath_config_static_selectorELNS0_4arch9wavefront6targetE1EEEvSK_,comdat
	.protected	_ZN7rocprim17ROCPRIM_400000_NS6detail17trampoline_kernelINS0_14default_configENS1_38merge_sort_block_merge_config_selectorItNS0_10empty_typeEEEZZNS1_27merge_sort_block_merge_implIS3_N6thrust23THRUST_200600_302600_NS6detail15normal_iteratorINS9_10device_ptrItEEEEPS5_m14custom_greaterItEEE10hipError_tT0_T1_T2_jT3_P12ihipStream_tbPNSt15iterator_traitsISJ_E10value_typeEPNSP_ISK_E10value_typeEPSL_NS1_7vsmem_tEENKUlT_SJ_SK_SL_E_clIPtSE_SF_SF_EESI_SY_SJ_SK_SL_EUlSY_E0_NS1_11comp_targetILNS1_3genE5ELNS1_11target_archE942ELNS1_3gpuE9ELNS1_3repE0EEENS1_38merge_mergepath_config_static_selectorELNS0_4arch9wavefront6targetE1EEEvSK_ ; -- Begin function _ZN7rocprim17ROCPRIM_400000_NS6detail17trampoline_kernelINS0_14default_configENS1_38merge_sort_block_merge_config_selectorItNS0_10empty_typeEEEZZNS1_27merge_sort_block_merge_implIS3_N6thrust23THRUST_200600_302600_NS6detail15normal_iteratorINS9_10device_ptrItEEEEPS5_m14custom_greaterItEEE10hipError_tT0_T1_T2_jT3_P12ihipStream_tbPNSt15iterator_traitsISJ_E10value_typeEPNSP_ISK_E10value_typeEPSL_NS1_7vsmem_tEENKUlT_SJ_SK_SL_E_clIPtSE_SF_SF_EESI_SY_SJ_SK_SL_EUlSY_E0_NS1_11comp_targetILNS1_3genE5ELNS1_11target_archE942ELNS1_3gpuE9ELNS1_3repE0EEENS1_38merge_mergepath_config_static_selectorELNS0_4arch9wavefront6targetE1EEEvSK_
	.globl	_ZN7rocprim17ROCPRIM_400000_NS6detail17trampoline_kernelINS0_14default_configENS1_38merge_sort_block_merge_config_selectorItNS0_10empty_typeEEEZZNS1_27merge_sort_block_merge_implIS3_N6thrust23THRUST_200600_302600_NS6detail15normal_iteratorINS9_10device_ptrItEEEEPS5_m14custom_greaterItEEE10hipError_tT0_T1_T2_jT3_P12ihipStream_tbPNSt15iterator_traitsISJ_E10value_typeEPNSP_ISK_E10value_typeEPSL_NS1_7vsmem_tEENKUlT_SJ_SK_SL_E_clIPtSE_SF_SF_EESI_SY_SJ_SK_SL_EUlSY_E0_NS1_11comp_targetILNS1_3genE5ELNS1_11target_archE942ELNS1_3gpuE9ELNS1_3repE0EEENS1_38merge_mergepath_config_static_selectorELNS0_4arch9wavefront6targetE1EEEvSK_
	.p2align	8
	.type	_ZN7rocprim17ROCPRIM_400000_NS6detail17trampoline_kernelINS0_14default_configENS1_38merge_sort_block_merge_config_selectorItNS0_10empty_typeEEEZZNS1_27merge_sort_block_merge_implIS3_N6thrust23THRUST_200600_302600_NS6detail15normal_iteratorINS9_10device_ptrItEEEEPS5_m14custom_greaterItEEE10hipError_tT0_T1_T2_jT3_P12ihipStream_tbPNSt15iterator_traitsISJ_E10value_typeEPNSP_ISK_E10value_typeEPSL_NS1_7vsmem_tEENKUlT_SJ_SK_SL_E_clIPtSE_SF_SF_EESI_SY_SJ_SK_SL_EUlSY_E0_NS1_11comp_targetILNS1_3genE5ELNS1_11target_archE942ELNS1_3gpuE9ELNS1_3repE0EEENS1_38merge_mergepath_config_static_selectorELNS0_4arch9wavefront6targetE1EEEvSK_,@function
_ZN7rocprim17ROCPRIM_400000_NS6detail17trampoline_kernelINS0_14default_configENS1_38merge_sort_block_merge_config_selectorItNS0_10empty_typeEEEZZNS1_27merge_sort_block_merge_implIS3_N6thrust23THRUST_200600_302600_NS6detail15normal_iteratorINS9_10device_ptrItEEEEPS5_m14custom_greaterItEEE10hipError_tT0_T1_T2_jT3_P12ihipStream_tbPNSt15iterator_traitsISJ_E10value_typeEPNSP_ISK_E10value_typeEPSL_NS1_7vsmem_tEENKUlT_SJ_SK_SL_E_clIPtSE_SF_SF_EESI_SY_SJ_SK_SL_EUlSY_E0_NS1_11comp_targetILNS1_3genE5ELNS1_11target_archE942ELNS1_3gpuE9ELNS1_3repE0EEENS1_38merge_mergepath_config_static_selectorELNS0_4arch9wavefront6targetE1EEEvSK_: ; @_ZN7rocprim17ROCPRIM_400000_NS6detail17trampoline_kernelINS0_14default_configENS1_38merge_sort_block_merge_config_selectorItNS0_10empty_typeEEEZZNS1_27merge_sort_block_merge_implIS3_N6thrust23THRUST_200600_302600_NS6detail15normal_iteratorINS9_10device_ptrItEEEEPS5_m14custom_greaterItEEE10hipError_tT0_T1_T2_jT3_P12ihipStream_tbPNSt15iterator_traitsISJ_E10value_typeEPNSP_ISK_E10value_typeEPSL_NS1_7vsmem_tEENKUlT_SJ_SK_SL_E_clIPtSE_SF_SF_EESI_SY_SJ_SK_SL_EUlSY_E0_NS1_11comp_targetILNS1_3genE5ELNS1_11target_archE942ELNS1_3gpuE9ELNS1_3repE0EEENS1_38merge_mergepath_config_static_selectorELNS0_4arch9wavefront6targetE1EEEvSK_
; %bb.0:
	.section	.rodata,"a",@progbits
	.p2align	6, 0x0
	.amdhsa_kernel _ZN7rocprim17ROCPRIM_400000_NS6detail17trampoline_kernelINS0_14default_configENS1_38merge_sort_block_merge_config_selectorItNS0_10empty_typeEEEZZNS1_27merge_sort_block_merge_implIS3_N6thrust23THRUST_200600_302600_NS6detail15normal_iteratorINS9_10device_ptrItEEEEPS5_m14custom_greaterItEEE10hipError_tT0_T1_T2_jT3_P12ihipStream_tbPNSt15iterator_traitsISJ_E10value_typeEPNSP_ISK_E10value_typeEPSL_NS1_7vsmem_tEENKUlT_SJ_SK_SL_E_clIPtSE_SF_SF_EESI_SY_SJ_SK_SL_EUlSY_E0_NS1_11comp_targetILNS1_3genE5ELNS1_11target_archE942ELNS1_3gpuE9ELNS1_3repE0EEENS1_38merge_mergepath_config_static_selectorELNS0_4arch9wavefront6targetE1EEEvSK_
		.amdhsa_group_segment_fixed_size 0
		.amdhsa_private_segment_fixed_size 0
		.amdhsa_kernarg_size 72
		.amdhsa_user_sgpr_count 6
		.amdhsa_user_sgpr_private_segment_buffer 1
		.amdhsa_user_sgpr_dispatch_ptr 0
		.amdhsa_user_sgpr_queue_ptr 0
		.amdhsa_user_sgpr_kernarg_segment_ptr 1
		.amdhsa_user_sgpr_dispatch_id 0
		.amdhsa_user_sgpr_flat_scratch_init 0
		.amdhsa_user_sgpr_kernarg_preload_length 0
		.amdhsa_user_sgpr_kernarg_preload_offset 0
		.amdhsa_user_sgpr_private_segment_size 0
		.amdhsa_uses_dynamic_stack 0
		.amdhsa_system_sgpr_private_segment_wavefront_offset 0
		.amdhsa_system_sgpr_workgroup_id_x 1
		.amdhsa_system_sgpr_workgroup_id_y 0
		.amdhsa_system_sgpr_workgroup_id_z 0
		.amdhsa_system_sgpr_workgroup_info 0
		.amdhsa_system_vgpr_workitem_id 0
		.amdhsa_next_free_vgpr 1
		.amdhsa_next_free_sgpr 0
		.amdhsa_accum_offset 4
		.amdhsa_reserve_vcc 0
		.amdhsa_reserve_flat_scratch 0
		.amdhsa_float_round_mode_32 0
		.amdhsa_float_round_mode_16_64 0
		.amdhsa_float_denorm_mode_32 3
		.amdhsa_float_denorm_mode_16_64 3
		.amdhsa_dx10_clamp 1
		.amdhsa_ieee_mode 1
		.amdhsa_fp16_overflow 0
		.amdhsa_tg_split 0
		.amdhsa_exception_fp_ieee_invalid_op 0
		.amdhsa_exception_fp_denorm_src 0
		.amdhsa_exception_fp_ieee_div_zero 0
		.amdhsa_exception_fp_ieee_overflow 0
		.amdhsa_exception_fp_ieee_underflow 0
		.amdhsa_exception_fp_ieee_inexact 0
		.amdhsa_exception_int_div_zero 0
	.end_amdhsa_kernel
	.section	.text._ZN7rocprim17ROCPRIM_400000_NS6detail17trampoline_kernelINS0_14default_configENS1_38merge_sort_block_merge_config_selectorItNS0_10empty_typeEEEZZNS1_27merge_sort_block_merge_implIS3_N6thrust23THRUST_200600_302600_NS6detail15normal_iteratorINS9_10device_ptrItEEEEPS5_m14custom_greaterItEEE10hipError_tT0_T1_T2_jT3_P12ihipStream_tbPNSt15iterator_traitsISJ_E10value_typeEPNSP_ISK_E10value_typeEPSL_NS1_7vsmem_tEENKUlT_SJ_SK_SL_E_clIPtSE_SF_SF_EESI_SY_SJ_SK_SL_EUlSY_E0_NS1_11comp_targetILNS1_3genE5ELNS1_11target_archE942ELNS1_3gpuE9ELNS1_3repE0EEENS1_38merge_mergepath_config_static_selectorELNS0_4arch9wavefront6targetE1EEEvSK_,"axG",@progbits,_ZN7rocprim17ROCPRIM_400000_NS6detail17trampoline_kernelINS0_14default_configENS1_38merge_sort_block_merge_config_selectorItNS0_10empty_typeEEEZZNS1_27merge_sort_block_merge_implIS3_N6thrust23THRUST_200600_302600_NS6detail15normal_iteratorINS9_10device_ptrItEEEEPS5_m14custom_greaterItEEE10hipError_tT0_T1_T2_jT3_P12ihipStream_tbPNSt15iterator_traitsISJ_E10value_typeEPNSP_ISK_E10value_typeEPSL_NS1_7vsmem_tEENKUlT_SJ_SK_SL_E_clIPtSE_SF_SF_EESI_SY_SJ_SK_SL_EUlSY_E0_NS1_11comp_targetILNS1_3genE5ELNS1_11target_archE942ELNS1_3gpuE9ELNS1_3repE0EEENS1_38merge_mergepath_config_static_selectorELNS0_4arch9wavefront6targetE1EEEvSK_,comdat
.Lfunc_end3023:
	.size	_ZN7rocprim17ROCPRIM_400000_NS6detail17trampoline_kernelINS0_14default_configENS1_38merge_sort_block_merge_config_selectorItNS0_10empty_typeEEEZZNS1_27merge_sort_block_merge_implIS3_N6thrust23THRUST_200600_302600_NS6detail15normal_iteratorINS9_10device_ptrItEEEEPS5_m14custom_greaterItEEE10hipError_tT0_T1_T2_jT3_P12ihipStream_tbPNSt15iterator_traitsISJ_E10value_typeEPNSP_ISK_E10value_typeEPSL_NS1_7vsmem_tEENKUlT_SJ_SK_SL_E_clIPtSE_SF_SF_EESI_SY_SJ_SK_SL_EUlSY_E0_NS1_11comp_targetILNS1_3genE5ELNS1_11target_archE942ELNS1_3gpuE9ELNS1_3repE0EEENS1_38merge_mergepath_config_static_selectorELNS0_4arch9wavefront6targetE1EEEvSK_, .Lfunc_end3023-_ZN7rocprim17ROCPRIM_400000_NS6detail17trampoline_kernelINS0_14default_configENS1_38merge_sort_block_merge_config_selectorItNS0_10empty_typeEEEZZNS1_27merge_sort_block_merge_implIS3_N6thrust23THRUST_200600_302600_NS6detail15normal_iteratorINS9_10device_ptrItEEEEPS5_m14custom_greaterItEEE10hipError_tT0_T1_T2_jT3_P12ihipStream_tbPNSt15iterator_traitsISJ_E10value_typeEPNSP_ISK_E10value_typeEPSL_NS1_7vsmem_tEENKUlT_SJ_SK_SL_E_clIPtSE_SF_SF_EESI_SY_SJ_SK_SL_EUlSY_E0_NS1_11comp_targetILNS1_3genE5ELNS1_11target_archE942ELNS1_3gpuE9ELNS1_3repE0EEENS1_38merge_mergepath_config_static_selectorELNS0_4arch9wavefront6targetE1EEEvSK_
                                        ; -- End function
	.section	.AMDGPU.csdata,"",@progbits
; Kernel info:
; codeLenInByte = 0
; NumSgprs: 4
; NumVgprs: 0
; NumAgprs: 0
; TotalNumVgprs: 0
; ScratchSize: 0
; MemoryBound: 0
; FloatMode: 240
; IeeeMode: 1
; LDSByteSize: 0 bytes/workgroup (compile time only)
; SGPRBlocks: 0
; VGPRBlocks: 0
; NumSGPRsForWavesPerEU: 4
; NumVGPRsForWavesPerEU: 1
; AccumOffset: 4
; Occupancy: 8
; WaveLimiterHint : 0
; COMPUTE_PGM_RSRC2:SCRATCH_EN: 0
; COMPUTE_PGM_RSRC2:USER_SGPR: 6
; COMPUTE_PGM_RSRC2:TRAP_HANDLER: 0
; COMPUTE_PGM_RSRC2:TGID_X_EN: 1
; COMPUTE_PGM_RSRC2:TGID_Y_EN: 0
; COMPUTE_PGM_RSRC2:TGID_Z_EN: 0
; COMPUTE_PGM_RSRC2:TIDIG_COMP_CNT: 0
; COMPUTE_PGM_RSRC3_GFX90A:ACCUM_OFFSET: 0
; COMPUTE_PGM_RSRC3_GFX90A:TG_SPLIT: 0
	.section	.text._ZN7rocprim17ROCPRIM_400000_NS6detail17trampoline_kernelINS0_14default_configENS1_38merge_sort_block_merge_config_selectorItNS0_10empty_typeEEEZZNS1_27merge_sort_block_merge_implIS3_N6thrust23THRUST_200600_302600_NS6detail15normal_iteratorINS9_10device_ptrItEEEEPS5_m14custom_greaterItEEE10hipError_tT0_T1_T2_jT3_P12ihipStream_tbPNSt15iterator_traitsISJ_E10value_typeEPNSP_ISK_E10value_typeEPSL_NS1_7vsmem_tEENKUlT_SJ_SK_SL_E_clIPtSE_SF_SF_EESI_SY_SJ_SK_SL_EUlSY_E0_NS1_11comp_targetILNS1_3genE4ELNS1_11target_archE910ELNS1_3gpuE8ELNS1_3repE0EEENS1_38merge_mergepath_config_static_selectorELNS0_4arch9wavefront6targetE1EEEvSK_,"axG",@progbits,_ZN7rocprim17ROCPRIM_400000_NS6detail17trampoline_kernelINS0_14default_configENS1_38merge_sort_block_merge_config_selectorItNS0_10empty_typeEEEZZNS1_27merge_sort_block_merge_implIS3_N6thrust23THRUST_200600_302600_NS6detail15normal_iteratorINS9_10device_ptrItEEEEPS5_m14custom_greaterItEEE10hipError_tT0_T1_T2_jT3_P12ihipStream_tbPNSt15iterator_traitsISJ_E10value_typeEPNSP_ISK_E10value_typeEPSL_NS1_7vsmem_tEENKUlT_SJ_SK_SL_E_clIPtSE_SF_SF_EESI_SY_SJ_SK_SL_EUlSY_E0_NS1_11comp_targetILNS1_3genE4ELNS1_11target_archE910ELNS1_3gpuE8ELNS1_3repE0EEENS1_38merge_mergepath_config_static_selectorELNS0_4arch9wavefront6targetE1EEEvSK_,comdat
	.protected	_ZN7rocprim17ROCPRIM_400000_NS6detail17trampoline_kernelINS0_14default_configENS1_38merge_sort_block_merge_config_selectorItNS0_10empty_typeEEEZZNS1_27merge_sort_block_merge_implIS3_N6thrust23THRUST_200600_302600_NS6detail15normal_iteratorINS9_10device_ptrItEEEEPS5_m14custom_greaterItEEE10hipError_tT0_T1_T2_jT3_P12ihipStream_tbPNSt15iterator_traitsISJ_E10value_typeEPNSP_ISK_E10value_typeEPSL_NS1_7vsmem_tEENKUlT_SJ_SK_SL_E_clIPtSE_SF_SF_EESI_SY_SJ_SK_SL_EUlSY_E0_NS1_11comp_targetILNS1_3genE4ELNS1_11target_archE910ELNS1_3gpuE8ELNS1_3repE0EEENS1_38merge_mergepath_config_static_selectorELNS0_4arch9wavefront6targetE1EEEvSK_ ; -- Begin function _ZN7rocprim17ROCPRIM_400000_NS6detail17trampoline_kernelINS0_14default_configENS1_38merge_sort_block_merge_config_selectorItNS0_10empty_typeEEEZZNS1_27merge_sort_block_merge_implIS3_N6thrust23THRUST_200600_302600_NS6detail15normal_iteratorINS9_10device_ptrItEEEEPS5_m14custom_greaterItEEE10hipError_tT0_T1_T2_jT3_P12ihipStream_tbPNSt15iterator_traitsISJ_E10value_typeEPNSP_ISK_E10value_typeEPSL_NS1_7vsmem_tEENKUlT_SJ_SK_SL_E_clIPtSE_SF_SF_EESI_SY_SJ_SK_SL_EUlSY_E0_NS1_11comp_targetILNS1_3genE4ELNS1_11target_archE910ELNS1_3gpuE8ELNS1_3repE0EEENS1_38merge_mergepath_config_static_selectorELNS0_4arch9wavefront6targetE1EEEvSK_
	.globl	_ZN7rocprim17ROCPRIM_400000_NS6detail17trampoline_kernelINS0_14default_configENS1_38merge_sort_block_merge_config_selectorItNS0_10empty_typeEEEZZNS1_27merge_sort_block_merge_implIS3_N6thrust23THRUST_200600_302600_NS6detail15normal_iteratorINS9_10device_ptrItEEEEPS5_m14custom_greaterItEEE10hipError_tT0_T1_T2_jT3_P12ihipStream_tbPNSt15iterator_traitsISJ_E10value_typeEPNSP_ISK_E10value_typeEPSL_NS1_7vsmem_tEENKUlT_SJ_SK_SL_E_clIPtSE_SF_SF_EESI_SY_SJ_SK_SL_EUlSY_E0_NS1_11comp_targetILNS1_3genE4ELNS1_11target_archE910ELNS1_3gpuE8ELNS1_3repE0EEENS1_38merge_mergepath_config_static_selectorELNS0_4arch9wavefront6targetE1EEEvSK_
	.p2align	8
	.type	_ZN7rocprim17ROCPRIM_400000_NS6detail17trampoline_kernelINS0_14default_configENS1_38merge_sort_block_merge_config_selectorItNS0_10empty_typeEEEZZNS1_27merge_sort_block_merge_implIS3_N6thrust23THRUST_200600_302600_NS6detail15normal_iteratorINS9_10device_ptrItEEEEPS5_m14custom_greaterItEEE10hipError_tT0_T1_T2_jT3_P12ihipStream_tbPNSt15iterator_traitsISJ_E10value_typeEPNSP_ISK_E10value_typeEPSL_NS1_7vsmem_tEENKUlT_SJ_SK_SL_E_clIPtSE_SF_SF_EESI_SY_SJ_SK_SL_EUlSY_E0_NS1_11comp_targetILNS1_3genE4ELNS1_11target_archE910ELNS1_3gpuE8ELNS1_3repE0EEENS1_38merge_mergepath_config_static_selectorELNS0_4arch9wavefront6targetE1EEEvSK_,@function
_ZN7rocprim17ROCPRIM_400000_NS6detail17trampoline_kernelINS0_14default_configENS1_38merge_sort_block_merge_config_selectorItNS0_10empty_typeEEEZZNS1_27merge_sort_block_merge_implIS3_N6thrust23THRUST_200600_302600_NS6detail15normal_iteratorINS9_10device_ptrItEEEEPS5_m14custom_greaterItEEE10hipError_tT0_T1_T2_jT3_P12ihipStream_tbPNSt15iterator_traitsISJ_E10value_typeEPNSP_ISK_E10value_typeEPSL_NS1_7vsmem_tEENKUlT_SJ_SK_SL_E_clIPtSE_SF_SF_EESI_SY_SJ_SK_SL_EUlSY_E0_NS1_11comp_targetILNS1_3genE4ELNS1_11target_archE910ELNS1_3gpuE8ELNS1_3repE0EEENS1_38merge_mergepath_config_static_selectorELNS0_4arch9wavefront6targetE1EEEvSK_: ; @_ZN7rocprim17ROCPRIM_400000_NS6detail17trampoline_kernelINS0_14default_configENS1_38merge_sort_block_merge_config_selectorItNS0_10empty_typeEEEZZNS1_27merge_sort_block_merge_implIS3_N6thrust23THRUST_200600_302600_NS6detail15normal_iteratorINS9_10device_ptrItEEEEPS5_m14custom_greaterItEEE10hipError_tT0_T1_T2_jT3_P12ihipStream_tbPNSt15iterator_traitsISJ_E10value_typeEPNSP_ISK_E10value_typeEPSL_NS1_7vsmem_tEENKUlT_SJ_SK_SL_E_clIPtSE_SF_SF_EESI_SY_SJ_SK_SL_EUlSY_E0_NS1_11comp_targetILNS1_3genE4ELNS1_11target_archE910ELNS1_3gpuE8ELNS1_3repE0EEENS1_38merge_mergepath_config_static_selectorELNS0_4arch9wavefront6targetE1EEEvSK_
; %bb.0:
	s_load_dwordx2 s[22:23], s[4:5], 0x48
	s_load_dword s0, s[4:5], 0x38
	s_add_u32 s10, s4, 0x48
	s_addc_u32 s11, s5, 0
	s_waitcnt lgkmcnt(0)
	s_mul_i32 s1, s23, s8
	s_add_i32 s1, s1, s7
	s_mul_i32 s1, s1, s22
	s_add_i32 s8, s1, s6
	s_cmp_ge_u32 s8, s0
	s_cbranch_scc1 .LBB3024_45
; %bb.1:
	s_load_dwordx2 s[0:1], s[4:5], 0x40
	s_load_dwordx4 s[12:15], s[4:5], 0x8
	s_load_dwordx4 s[16:19], s[4:5], 0x28
	s_mov_b32 s9, 0
	s_lshl_b64 s[2:3], s[8:9], 3
	s_waitcnt lgkmcnt(0)
	s_add_u32 s0, s0, s2
	s_addc_u32 s1, s1, s3
	v_mov_b32_e32 v1, s18
	v_alignbit_b32 v1, s19, v1, 9
	v_readfirstlane_b32 s4, v1
	s_and_b32 s4, s4, -2
	s_sub_i32 s30, 0, s4
	s_and_b32 s24, s8, s30
	s_mov_b32 s25, s9
	s_lshl_b64 s[4:5], s[24:25], 10
	s_lshl_b64 s[20:21], s[8:9], 10
	s_sub_u32 s7, s20, s4
	s_load_dwordx4 s[0:3], s[0:1], 0x0
	s_subb_u32 s23, s21, s5
	s_lshl_b64 s[24:25], s[24:25], 11
	s_add_u32 s24, s24, s18
	s_addc_u32 s25, s25, s19
	s_add_u32 s7, s24, s7
	s_addc_u32 s23, s25, s23
	s_waitcnt lgkmcnt(0)
	s_sub_u32 s26, s7, s2
	s_subb_u32 s3, s23, s3
	s_add_u32 s26, s26, 0x400
	s_addc_u32 s27, s3, 0
	v_pk_mov_b32 v[2:3], s[26:27], s[26:27] op_sel:[0,1]
	v_cmp_lt_u64_e32 vcc, s[16:17], v[2:3]
	s_and_b64 s[28:29], vcc, exec
	s_cselect_b32 s3, s16, s26
	s_or_b32 s26, s8, s30
	s_cmp_lg_u32 s26, -1
	s_cbranch_scc1 .LBB3024_3
; %bb.2:
	s_sub_u32 s4, s24, s4
	s_subb_u32 s5, s25, s5
	v_pk_mov_b32 v[2:3], s[4:5], s[4:5] op_sel:[0,1]
	v_cmp_lt_u64_e32 vcc, s[16:17], v[2:3]
	s_and_b64 s[2:3], vcc, exec
	s_cselect_b32 s2, s16, s4
	s_add_u32 s4, s4, s18
	s_addc_u32 s5, s5, s19
	v_pk_mov_b32 v[2:3], s[4:5], s[4:5] op_sel:[0,1]
	v_cmp_lt_u64_e32 vcc, s[16:17], v[2:3]
	s_and_b64 s[18:19], vcc, exec
	s_cselect_b32 s3, s16, s4
.LBB3024_3:
	s_lshr_b64 s[26:27], s[16:17], 10
	s_cmp_lg_u64 s[26:27], s[8:9]
	s_cselect_b64 s[18:19], -1, 0
	s_sub_u32 s4, s7, s0
	s_subb_u32 s5, s23, s1
	v_pk_mov_b32 v[2:3], s[4:5], s[4:5] op_sel:[0,1]
	v_cmp_lt_u64_e32 vcc, s[16:17], v[2:3]
	s_and_b64 s[24:25], vcc, exec
	s_cselect_b32 s28, s16, s4
	s_cselect_b32 s29, s17, s5
	s_sub_i32 s17, s2, s0
	s_sub_i32 s4, s3, s28
	s_lshl_b64 s[0:1], s[0:1], 1
	s_add_u32 s23, s12, s0
	s_addc_u32 s25, s13, s1
	s_lshl_b64 s[0:1], s[28:29], 1
	s_add_u32 s5, s12, s0
	s_addc_u32 s7, s13, s1
	s_cmp_lt_u32 s6, s22
	v_mov_b32_e32 v3, 0
	s_cselect_b32 s0, 12, 18
	global_load_dword v1, v3, s[10:11] offset:14
	s_add_u32 s0, s10, s0
	s_addc_u32 s1, s11, 0
	global_load_ushort v2, v3, s[0:1]
	s_cmp_eq_u64 s[26:27], s[8:9]
	s_waitcnt vmcnt(1)
	v_lshrrev_b32_e32 v4, 16, v1
	v_and_b32_e32 v1, 0xffff, v1
	v_mul_lo_u32 v1, v1, v4
	s_waitcnt vmcnt(0)
	v_mul_lo_u32 v10, v1, v2
	v_add_u32_e32 v8, v10, v0
	v_lshlrev_b32_e32 v1, 1, v0
	v_add_u32_e32 v6, v8, v10
	s_cbranch_scc1 .LBB3024_5
; %bb.4:
	v_mov_b32_e32 v2, s25
	v_add_co_u32_e32 v7, vcc, s23, v1
	v_addc_co_u32_e32 v9, vcc, 0, v2, vcc
	v_subrev_u32_e32 v2, s17, v0
	v_lshlrev_b64 v[4:5], 1, v[2:3]
	v_mov_b32_e32 v2, s7
	v_add_co_u32_e32 v4, vcc, s5, v4
	v_addc_co_u32_e32 v2, vcc, v2, v5, vcc
	v_cmp_gt_u32_e32 vcc, s17, v0
	v_cndmask_b32_e32 v5, v2, v9, vcc
	v_cndmask_b32_e32 v4, v4, v7, vcc
	v_mov_b32_e32 v9, v3
	global_load_ushort v11, v[4:5], off
	v_lshlrev_b64 v[4:5], 1, v[8:9]
	v_mov_b32_e32 v2, s25
	v_add_co_u32_e32 v7, vcc, s23, v4
	v_addc_co_u32_e32 v9, vcc, v2, v5, vcc
	v_subrev_u32_e32 v2, s17, v8
	v_lshlrev_b64 v[4:5], 1, v[2:3]
	v_mov_b32_e32 v2, s7
	v_add_co_u32_e32 v4, vcc, s5, v4
	v_addc_co_u32_e32 v2, vcc, v2, v5, vcc
	v_cmp_gt_u32_e32 vcc, s17, v8
	v_cndmask_b32_e32 v5, v2, v9, vcc
	v_cndmask_b32_e32 v4, v4, v7, vcc
	v_mov_b32_e32 v7, v3
	global_load_ushort v9, v[4:5], off
	v_lshlrev_b64 v[4:5], 1, v[6:7]
	v_mov_b32_e32 v2, s25
	v_add_co_u32_e32 v7, vcc, s23, v4
	v_addc_co_u32_e32 v12, vcc, v2, v5, vcc
	v_subrev_u32_e32 v2, s17, v6
	v_lshlrev_b64 v[4:5], 1, v[2:3]
	v_mov_b32_e32 v2, s7
	v_add_co_u32_e32 v4, vcc, s5, v4
	v_addc_co_u32_e32 v2, vcc, v2, v5, vcc
	v_cmp_gt_u32_e32 vcc, s17, v6
	v_cndmask_b32_e32 v5, v2, v12, vcc
	v_cndmask_b32_e32 v4, v4, v7, vcc
	v_add_u32_e32 v2, v6, v10
	global_load_ushort v7, v[4:5], off
	v_lshlrev_b64 v[4:5], 1, v[2:3]
	v_mov_b32_e32 v12, s25
	v_add_co_u32_e32 v13, vcc, s23, v4
	v_addc_co_u32_e32 v12, vcc, v12, v5, vcc
	v_subrev_u32_e32 v4, s17, v2
	v_mov_b32_e32 v5, v3
	v_lshlrev_b64 v[4:5], 1, v[4:5]
	v_mov_b32_e32 v14, s7
	v_add_co_u32_e32 v4, vcc, s5, v4
	v_addc_co_u32_e32 v5, vcc, v14, v5, vcc
	v_cmp_gt_u32_e32 vcc, s17, v2
	v_cndmask_b32_e32 v5, v5, v12, vcc
	v_cndmask_b32_e32 v4, v4, v13, vcc
	v_add_u32_e32 v2, v2, v10
	global_load_ushort v12, v[4:5], off
	v_lshlrev_b64 v[4:5], 1, v[2:3]
	v_mov_b32_e32 v13, s25
	v_add_co_u32_e32 v14, vcc, s23, v4
	v_addc_co_u32_e32 v13, vcc, v13, v5, vcc
	v_subrev_u32_e32 v4, s17, v2
	v_mov_b32_e32 v5, v3
	v_lshlrev_b64 v[4:5], 1, v[4:5]
	v_mov_b32_e32 v15, s7
	v_add_co_u32_e32 v4, vcc, s5, v4
	v_addc_co_u32_e32 v5, vcc, v15, v5, vcc
	v_cmp_gt_u32_e32 vcc, s17, v2
	v_cndmask_b32_e32 v5, v5, v13, vcc
	v_cndmask_b32_e32 v4, v4, v14, vcc
	v_add_u32_e32 v2, v2, v10
	global_load_ushort v13, v[4:5], off
	v_lshlrev_b64 v[4:5], 1, v[2:3]
	v_mov_b32_e32 v14, s25
	v_add_co_u32_e32 v15, vcc, s23, v4
	v_addc_co_u32_e32 v14, vcc, v14, v5, vcc
	v_subrev_u32_e32 v4, s17, v2
	v_mov_b32_e32 v5, v3
	v_lshlrev_b64 v[4:5], 1, v[4:5]
	v_mov_b32_e32 v16, s7
	v_add_co_u32_e32 v4, vcc, s5, v4
	v_addc_co_u32_e32 v5, vcc, v16, v5, vcc
	v_cmp_gt_u32_e32 vcc, s17, v2
	v_cndmask_b32_e32 v5, v5, v14, vcc
	v_cndmask_b32_e32 v4, v4, v15, vcc
	v_add_u32_e32 v2, v2, v10
	global_load_ushort v14, v[4:5], off
	v_lshlrev_b64 v[4:5], 1, v[2:3]
	v_mov_b32_e32 v15, s25
	v_add_co_u32_e32 v16, vcc, s23, v4
	v_addc_co_u32_e32 v15, vcc, v15, v5, vcc
	v_subrev_u32_e32 v4, s17, v2
	v_mov_b32_e32 v5, v3
	v_lshlrev_b64 v[4:5], 1, v[4:5]
	v_mov_b32_e32 v17, s7
	v_add_co_u32_e32 v4, vcc, s5, v4
	v_addc_co_u32_e32 v5, vcc, v17, v5, vcc
	v_cmp_gt_u32_e32 vcc, s17, v2
	v_cndmask_b32_e32 v5, v5, v15, vcc
	v_cndmask_b32_e32 v4, v4, v16, vcc
	v_add_u32_e32 v2, v2, v10
	global_load_ushort v15, v[4:5], off
	v_lshlrev_b64 v[4:5], 1, v[2:3]
	v_mov_b32_e32 v16, s25
	v_add_co_u32_e32 v4, vcc, s23, v4
	v_addc_co_u32_e32 v5, vcc, v16, v5, vcc
	v_cmp_gt_u32_e32 vcc, s17, v2
	v_subrev_u32_e32 v2, s17, v2
	v_lshlrev_b64 v[2:3], 1, v[2:3]
	v_mov_b32_e32 v16, s7
	v_add_co_u32_e64 v2, s[0:1], s5, v2
	v_addc_co_u32_e64 v3, s[0:1], v16, v3, s[0:1]
	v_cndmask_b32_e32 v3, v3, v5, vcc
	v_cndmask_b32_e32 v2, v2, v4, vcc
	global_load_ushort v5, v[2:3], off
	s_mov_b32 s0, 0x5040100
	s_waitcnt vmcnt(6)
	v_perm_b32 v2, v9, v11, s0
	s_add_i32 s24, s17, s4
	s_waitcnt vmcnt(4)
	v_perm_b32 v3, v12, v7, s0
	s_waitcnt vmcnt(2)
	v_perm_b32 v4, v14, v13, s0
	;; [unrolled: 2-line block ×3, first 2 shown]
	s_cbranch_execz .LBB3024_6
	s_branch .LBB3024_21
.LBB3024_5:
                                        ; implicit-def: $vgpr2_vgpr3_vgpr4_vgpr5
                                        ; implicit-def: $sgpr24
.LBB3024_6:
	s_add_i32 s24, s17, s4
	v_cmp_gt_u32_e32 vcc, s24, v0
                                        ; implicit-def: $vgpr2_vgpr3_vgpr4_vgpr5
	s_and_saveexec_b64 s[0:1], vcc
	s_cbranch_execnz .LBB3024_46
; %bb.7:
	s_or_b64 exec, exec, s[0:1]
	v_cmp_gt_u32_e32 vcc, s24, v8
	s_and_saveexec_b64 s[2:3], vcc
	s_cbranch_execnz .LBB3024_47
.LBB3024_8:
	s_or_b64 exec, exec, s[2:3]
	v_cmp_gt_u32_e32 vcc, s24, v6
	s_and_saveexec_b64 s[0:1], vcc
	s_cbranch_execz .LBB3024_10
.LBB3024_9:
	v_mov_b32_e32 v7, 0
	v_lshlrev_b64 v[8:9], 1, v[6:7]
	v_mov_b32_e32 v11, s25
	v_add_co_u32_e32 v12, vcc, s23, v8
	v_addc_co_u32_e32 v11, vcc, v11, v9, vcc
	v_subrev_u32_e32 v8, s17, v6
	v_mov_b32_e32 v9, v7
	v_lshlrev_b64 v[8:9], 1, v[8:9]
	v_mov_b32_e32 v7, s7
	v_add_co_u32_e32 v8, vcc, s5, v8
	v_addc_co_u32_e32 v7, vcc, v7, v9, vcc
	v_cmp_gt_u32_e32 vcc, s17, v6
	v_cndmask_b32_e32 v9, v7, v11, vcc
	v_cndmask_b32_e32 v8, v8, v12, vcc
	global_load_ushort v7, v[8:9], off
	s_mov_b32 s2, 0xffff
	s_waitcnt vmcnt(0)
	v_bfi_b32 v3, s2, v7, v3
.LBB3024_10:
	s_or_b64 exec, exec, s[0:1]
	v_add_u32_e32 v6, v6, v10
	v_cmp_gt_u32_e32 vcc, s24, v6
	s_and_saveexec_b64 s[0:1], vcc
	s_cbranch_execz .LBB3024_12
; %bb.11:
	v_mov_b32_e32 v7, 0
	v_lshlrev_b64 v[8:9], 1, v[6:7]
	v_mov_b32_e32 v11, s25
	v_add_co_u32_e32 v12, vcc, s23, v8
	v_addc_co_u32_e32 v11, vcc, v11, v9, vcc
	v_subrev_u32_e32 v8, s17, v6
	v_mov_b32_e32 v9, v7
	v_lshlrev_b64 v[8:9], 1, v[8:9]
	v_mov_b32_e32 v7, s7
	v_add_co_u32_e32 v8, vcc, s5, v8
	v_addc_co_u32_e32 v7, vcc, v7, v9, vcc
	v_cmp_gt_u32_e32 vcc, s17, v6
	v_cndmask_b32_e32 v9, v7, v11, vcc
	v_cndmask_b32_e32 v8, v8, v12, vcc
	global_load_ushort v7, v[8:9], off
	s_mov_b32 s2, 0x5040100
	s_waitcnt vmcnt(0)
	v_perm_b32 v3, v7, v3, s2
.LBB3024_12:
	s_or_b64 exec, exec, s[0:1]
	v_add_u32_e32 v6, v6, v10
	v_cmp_gt_u32_e32 vcc, s24, v6
	s_and_saveexec_b64 s[0:1], vcc
	s_cbranch_execz .LBB3024_14
; %bb.13:
	v_mov_b32_e32 v7, 0
	v_lshlrev_b64 v[8:9], 1, v[6:7]
	v_mov_b32_e32 v11, s25
	v_add_co_u32_e32 v12, vcc, s23, v8
	v_addc_co_u32_e32 v11, vcc, v11, v9, vcc
	v_subrev_u32_e32 v8, s17, v6
	v_mov_b32_e32 v9, v7
	v_lshlrev_b64 v[8:9], 1, v[8:9]
	v_mov_b32_e32 v7, s7
	v_add_co_u32_e32 v8, vcc, s5, v8
	v_addc_co_u32_e32 v7, vcc, v7, v9, vcc
	v_cmp_gt_u32_e32 vcc, s17, v6
	v_cndmask_b32_e32 v9, v7, v11, vcc
	v_cndmask_b32_e32 v8, v8, v12, vcc
	global_load_ushort v7, v[8:9], off
	s_mov_b32 s2, 0xffff
	s_waitcnt vmcnt(0)
	v_bfi_b32 v4, s2, v7, v4
.LBB3024_14:
	s_or_b64 exec, exec, s[0:1]
	v_add_u32_e32 v6, v6, v10
	v_cmp_gt_u32_e32 vcc, s24, v6
	s_and_saveexec_b64 s[0:1], vcc
	s_cbranch_execz .LBB3024_16
; %bb.15:
	v_mov_b32_e32 v7, 0
	v_lshlrev_b64 v[8:9], 1, v[6:7]
	v_mov_b32_e32 v11, s25
	v_add_co_u32_e32 v12, vcc, s23, v8
	v_addc_co_u32_e32 v11, vcc, v11, v9, vcc
	v_subrev_u32_e32 v8, s17, v6
	v_mov_b32_e32 v9, v7
	v_lshlrev_b64 v[8:9], 1, v[8:9]
	v_mov_b32_e32 v7, s7
	v_add_co_u32_e32 v8, vcc, s5, v8
	v_addc_co_u32_e32 v7, vcc, v7, v9, vcc
	v_cmp_gt_u32_e32 vcc, s17, v6
	v_cndmask_b32_e32 v9, v7, v11, vcc
	v_cndmask_b32_e32 v8, v8, v12, vcc
	global_load_ushort v7, v[8:9], off
	s_mov_b32 s2, 0x5040100
	s_waitcnt vmcnt(0)
	v_perm_b32 v4, v7, v4, s2
.LBB3024_16:
	s_or_b64 exec, exec, s[0:1]
	v_add_u32_e32 v6, v6, v10
	v_cmp_gt_u32_e32 vcc, s24, v6
	s_and_saveexec_b64 s[0:1], vcc
	s_cbranch_execz .LBB3024_18
; %bb.17:
	v_mov_b32_e32 v7, 0
	v_lshlrev_b64 v[8:9], 1, v[6:7]
	v_mov_b32_e32 v11, s25
	v_add_co_u32_e32 v12, vcc, s23, v8
	v_addc_co_u32_e32 v11, vcc, v11, v9, vcc
	v_subrev_u32_e32 v8, s17, v6
	v_mov_b32_e32 v9, v7
	v_lshlrev_b64 v[8:9], 1, v[8:9]
	v_mov_b32_e32 v7, s7
	v_add_co_u32_e32 v8, vcc, s5, v8
	v_addc_co_u32_e32 v7, vcc, v7, v9, vcc
	v_cmp_gt_u32_e32 vcc, s17, v6
	v_cndmask_b32_e32 v9, v7, v11, vcc
	v_cndmask_b32_e32 v8, v8, v12, vcc
	global_load_ushort v7, v[8:9], off
	s_mov_b32 s2, 0xffff
	s_waitcnt vmcnt(0)
	v_bfi_b32 v5, s2, v7, v5
.LBB3024_18:
	s_or_b64 exec, exec, s[0:1]
	v_add_u32_e32 v6, v6, v10
	v_cmp_gt_u32_e32 vcc, s24, v6
	s_and_saveexec_b64 s[2:3], vcc
	s_cbranch_execz .LBB3024_20
; %bb.19:
	v_mov_b32_e32 v7, 0
	v_lshlrev_b64 v[8:9], 1, v[6:7]
	v_mov_b32_e32 v10, s25
	v_add_co_u32_e32 v8, vcc, s23, v8
	v_addc_co_u32_e32 v9, vcc, v10, v9, vcc
	v_cmp_gt_u32_e32 vcc, s17, v6
	v_subrev_u32_e32 v6, s17, v6
	v_lshlrev_b64 v[6:7], 1, v[6:7]
	v_mov_b32_e32 v10, s7
	v_add_co_u32_e64 v6, s[0:1], s5, v6
	v_addc_co_u32_e64 v7, s[0:1], v10, v7, s[0:1]
	v_cndmask_b32_e32 v7, v7, v9, vcc
	v_cndmask_b32_e32 v6, v6, v8, vcc
	global_load_ushort v6, v[6:7], off
	s_mov_b32 s0, 0x5040100
	s_waitcnt vmcnt(0)
	v_perm_b32 v5, v6, v5, s0
.LBB3024_20:
	s_or_b64 exec, exec, s[2:3]
.LBB3024_21:
	v_lshlrev_b32_e32 v6, 3, v0
	v_min_u32_e32 v12, s24, v6
	v_sub_u32_e64 v10, v12, s4 clamp
	v_min_u32_e32 v13, s17, v12
	s_waitcnt vmcnt(0)
	v_lshrrev_b32_e32 v7, 16, v2
	v_lshrrev_b32_e32 v8, 16, v3
	;; [unrolled: 1-line block ×4, first 2 shown]
	v_cmp_lt_u32_e32 vcc, v10, v13
	ds_write_b16 v1, v2
	ds_write_b16 v1, v7 offset:256
	ds_write_b16 v1, v3 offset:512
	ds_write_b16 v1, v8 offset:768
	ds_write_b16 v1, v4 offset:1024
	ds_write_b16 v1, v9 offset:1280
	ds_write_b16 v1, v5 offset:1536
	ds_write_b16 v1, v11 offset:1792
	s_waitcnt lgkmcnt(0)
	s_barrier
	s_and_saveexec_b64 s[0:1], vcc
	s_cbranch_execz .LBB3024_25
; %bb.22:
	v_lshlrev_b32_e32 v14, 1, v12
	v_lshl_add_u32 v14, s17, 1, v14
	s_mov_b64 s[2:3], 0
.LBB3024_23:                            ; =>This Inner Loop Header: Depth=1
	v_add_u32_e32 v15, v13, v10
	v_lshrrev_b32_e32 v16, 1, v15
	v_not_b32_e32 v17, v16
	v_and_b32_e32 v15, -2, v15
	v_lshl_add_u32 v17, v17, 1, v14
	ds_read_u16 v15, v15
	ds_read_u16 v17, v17
	v_add_u32_e32 v18, 1, v16
	s_waitcnt lgkmcnt(0)
	v_cmp_gt_u16_e32 vcc, v15, v17
	v_cndmask_b32_e32 v13, v13, v16, vcc
	v_cndmask_b32_e32 v10, v18, v10, vcc
	v_cmp_ge_u32_e32 vcc, v10, v13
	s_or_b64 s[2:3], vcc, s[2:3]
	s_andn2_b64 exec, exec, s[2:3]
	s_cbranch_execnz .LBB3024_23
; %bb.24:
	s_or_b64 exec, exec, s[2:3]
.LBB3024_25:
	s_or_b64 exec, exec, s[0:1]
	v_sub_u32_e32 v12, v12, v10
	v_add_u32_e32 v12, s17, v12
	v_cmp_ge_u32_e32 vcc, s17, v10
	v_cmp_ge_u32_e64 s[0:1], s24, v12
	s_or_b64 s[0:1], vcc, s[0:1]
	s_and_saveexec_b64 s[22:23], s[0:1]
	s_cbranch_execz .LBB3024_31
; %bb.26:
	v_cmp_gt_u32_e32 vcc, s17, v10
                                        ; implicit-def: $vgpr2
	s_and_saveexec_b64 s[0:1], vcc
	s_cbranch_execz .LBB3024_28
; %bb.27:
	v_lshlrev_b32_e32 v2, 1, v10
	ds_read_u16 v2, v2
.LBB3024_28:
	s_or_b64 exec, exec, s[0:1]
	v_cmp_le_u32_e64 s[0:1], s24, v12
	v_cmp_gt_u32_e64 s[2:3], s24, v12
                                        ; implicit-def: $vgpr3
	s_and_saveexec_b64 s[4:5], s[2:3]
	s_cbranch_execz .LBB3024_30
; %bb.29:
	v_lshlrev_b32_e32 v3, 1, v12
	ds_read_u16 v3, v3
.LBB3024_30:
	s_or_b64 exec, exec, s[4:5]
	s_waitcnt lgkmcnt(0)
	v_cmp_le_u16_e64 s[2:3], v2, v3
	s_and_b64 s[2:3], vcc, s[2:3]
	s_or_b64 vcc, s[0:1], s[2:3]
	v_mov_b32_e32 v5, s24
	v_mov_b32_e32 v8, s17
	v_cndmask_b32_e32 v4, v12, v10, vcc
	v_cndmask_b32_e32 v7, v5, v8, vcc
	v_add_u32_e32 v4, 1, v4
	v_add_u32_e32 v7, -1, v7
	v_min_u32_e32 v7, v4, v7
	v_lshlrev_b32_e32 v7, 1, v7
	ds_read_u16 v7, v7
	v_cndmask_b32_e32 v11, v4, v12, vcc
	v_cndmask_b32_e32 v4, v10, v4, vcc
	v_cmp_gt_u32_e64 s[2:3], s17, v4
	v_cmp_le_u32_e64 s[0:1], s24, v11
	s_waitcnt lgkmcnt(0)
	v_cndmask_b32_e32 v9, v7, v3, vcc
	v_cndmask_b32_e32 v7, v2, v7, vcc
	v_cmp_le_u16_e64 s[4:5], v7, v9
	s_and_b64 s[2:3], s[2:3], s[4:5]
	s_or_b64 s[0:1], s[0:1], s[2:3]
	v_cndmask_b32_e64 v10, v11, v4, s[0:1]
	v_cndmask_b32_e64 v12, v5, v8, s[0:1]
	v_add_u32_e32 v10, 1, v10
	v_add_u32_e32 v12, -1, v12
	v_min_u32_e32 v12, v10, v12
	v_lshlrev_b32_e32 v12, 1, v12
	ds_read_u16 v12, v12
	v_cndmask_b32_e64 v4, v4, v10, s[0:1]
	v_cndmask_b32_e64 v11, v10, v11, s[0:1]
	v_cmp_gt_u32_e64 s[4:5], s17, v4
	v_cmp_le_u32_e64 s[2:3], s24, v11
	s_waitcnt lgkmcnt(0)
	v_cndmask_b32_e64 v13, v12, v9, s[0:1]
	v_cndmask_b32_e64 v12, v7, v12, s[0:1]
	v_cmp_le_u16_e64 s[6:7], v12, v13
	s_and_b64 s[4:5], s[4:5], s[6:7]
	s_or_b64 s[2:3], s[2:3], s[4:5]
	v_cndmask_b32_e64 v10, v11, v4, s[2:3]
	v_cndmask_b32_e64 v14, v5, v8, s[2:3]
	v_add_u32_e32 v10, 1, v10
	v_add_u32_e32 v14, -1, v14
	v_min_u32_e32 v14, v10, v14
	v_lshlrev_b32_e32 v14, 1, v14
	ds_read_u16 v14, v14
	v_cndmask_b32_e64 v4, v4, v10, s[2:3]
	v_cndmask_b32_e64 v11, v10, v11, s[2:3]
	v_cmp_gt_u32_e64 s[6:7], s17, v4
	v_cmp_le_u32_e64 s[4:5], s24, v11
	s_waitcnt lgkmcnt(0)
	v_cndmask_b32_e64 v15, v14, v13, s[2:3]
	v_cndmask_b32_e64 v14, v12, v14, s[2:3]
	;; [unrolled: 17-line block ×4, first 2 shown]
	v_cmp_le_u16_e64 s[12:13], v18, v19
	s_and_b64 s[10:11], s[10:11], s[12:13]
	s_or_b64 s[8:9], s[8:9], s[10:11]
	v_cndmask_b32_e64 v10, v11, v4, s[8:9]
	v_cndmask_b32_e64 v20, v5, v8, s[8:9]
	v_add_u32_e32 v10, 1, v10
	v_add_u32_e32 v20, -1, v20
	v_min_u32_e32 v20, v10, v20
	v_lshlrev_b32_e32 v20, 1, v20
	ds_read_u16 v20, v20
	v_cndmask_b32_e32 v2, v3, v2, vcc
	v_cndmask_b32_e64 v3, v13, v12, s[2:3]
	v_cndmask_b32_e64 v11, v10, v11, s[8:9]
	;; [unrolled: 1-line block ×3, first 2 shown]
	s_waitcnt lgkmcnt(0)
	v_cndmask_b32_e64 v12, v20, v19, s[8:9]
	v_cndmask_b32_e64 v13, v18, v20, s[8:9]
	;; [unrolled: 1-line block ×3, first 2 shown]
	v_cmp_gt_u32_e64 s[0:1], s17, v10
	v_cmp_le_u16_e64 s[2:3], v13, v12
	v_cmp_le_u32_e32 vcc, s24, v11
	s_and_b64 s[0:1], s[0:1], s[2:3]
	s_or_b64 vcc, vcc, s[0:1]
	v_cndmask_b32_e32 v4, v11, v10, vcc
	v_cndmask_b32_e32 v5, v5, v8, vcc
	v_add_u32_e32 v20, 1, v4
	v_add_u32_e32 v4, -1, v5
	v_min_u32_e32 v4, v20, v4
	v_lshlrev_b32_e32 v4, 1, v4
	ds_read_u16 v21, v4
	v_cndmask_b32_e32 v5, v12, v13, vcc
	v_cndmask_b32_e32 v10, v10, v20, vcc
	v_cndmask_b32_e32 v11, v20, v11, vcc
	v_cmp_gt_u32_e64 s[0:1], s17, v10
	s_waitcnt lgkmcnt(0)
	v_cndmask_b32_e32 v12, v21, v12, vcc
	v_cndmask_b32_e32 v13, v13, v21, vcc
	v_cmp_le_u16_e64 s[2:3], v13, v12
	v_cmp_le_u32_e32 vcc, s24, v11
	s_and_b64 s[0:1], s[0:1], s[2:3]
	s_or_b64 vcc, vcc, s[0:1]
	v_cndmask_b32_e64 v8, v15, v14, s[4:5]
	v_cndmask_b32_e64 v4, v17, v16, s[6:7]
	;; [unrolled: 1-line block ×3, first 2 shown]
	v_cndmask_b32_e32 v11, v12, v13, vcc
.LBB3024_31:
	s_or_b64 exec, exec, s[22:23]
	s_lshl_b64 s[0:1], s[20:21], 1
	v_lshrrev_b32_e32 v10, 2, v0
	s_add_u32 s2, s14, s0
	v_and_b32_e32 v10, 30, v10
	s_mov_b32 s0, 0x5040100
	v_add_lshl_u32 v6, v10, v6, 1
	v_perm_b32 v3, v8, v3, s0
	v_perm_b32 v2, v7, v2, s0
	s_barrier
	s_barrier
	ds_write2_b32 v6, v2, v3 offset1:1
	v_perm_b32 v2, v11, v5, s0
	v_perm_b32 v3, v9, v4, s0
	ds_write2_b32 v6, v3, v2 offset0:2 offset1:3
	v_lshrrev_b32_e32 v2, 4, v0
	v_and_b32_e32 v2, 4, v2
	v_or_b32_e32 v10, 0x80, v0
	v_add_u32_e32 v11, v1, v2
	v_lshrrev_b32_e32 v2, 4, v10
	v_and_b32_e32 v2, 12, v2
	v_or_b32_e32 v9, 0x100, v0
	v_add_u32_e32 v12, v1, v2
	;; [unrolled: 4-line block ×7, first 2 shown]
	v_lshrrev_b32_e32 v2, 4, v4
	s_addc_u32 s1, s15, s1
	v_and_b32_e32 v2, 60, v2
	v_add_u32_e32 v18, v1, v2
	v_mov_b32_e32 v3, s1
	v_add_co_u32_e32 v2, vcc, s2, v1
	v_addc_co_u32_e32 v3, vcc, 0, v3, vcc
	s_and_b64 vcc, exec, s[18:19]
	s_waitcnt lgkmcnt(0)
	s_cbranch_vccz .LBB3024_33
; %bb.32:
	s_barrier
	ds_read_u16 v1, v11
	ds_read_u16 v19, v12 offset:256
	ds_read_u16 v20, v13 offset:512
	;; [unrolled: 1-line block ×7, first 2 shown]
	s_waitcnt lgkmcnt(7)
	global_store_short v[2:3], v1, off
	s_waitcnt lgkmcnt(6)
	global_store_short v[2:3], v19, off offset:256
	s_waitcnt lgkmcnt(5)
	global_store_short v[2:3], v20, off offset:512
	;; [unrolled: 2-line block ×6, first 2 shown]
	s_waitcnt lgkmcnt(0)
	v_perm_b32 v1, v25, v24, s0
	s_mov_b64 s[0:1], -1
	s_cbranch_execz .LBB3024_34
	s_branch .LBB3024_43
.LBB3024_33:
	s_mov_b64 s[0:1], 0
                                        ; implicit-def: $vgpr1
.LBB3024_34:
	s_barrier
	ds_read_u16 v21, v11
	ds_read_u16 v20, v12 offset:256
	ds_read_u16 v19, v13 offset:512
	;; [unrolled: 1-line block ×7, first 2 shown]
	s_sub_i32 s2, s16, s20
	v_cmp_gt_u32_e32 vcc, s2, v0
	s_and_saveexec_b64 s[0:1], vcc
	s_cbranch_execnz .LBB3024_48
; %bb.35:
	s_or_b64 exec, exec, s[0:1]
	v_cmp_gt_u32_e32 vcc, s2, v10
	s_and_saveexec_b64 s[0:1], vcc
	s_cbranch_execnz .LBB3024_49
.LBB3024_36:
	s_or_b64 exec, exec, s[0:1]
	v_cmp_gt_u32_e32 vcc, s2, v9
	s_and_saveexec_b64 s[0:1], vcc
	s_cbranch_execnz .LBB3024_50
.LBB3024_37:
	s_or_b64 exec, exec, s[0:1]
	v_cmp_gt_u32_e32 vcc, s2, v8
	s_and_saveexec_b64 s[0:1], vcc
	s_cbranch_execnz .LBB3024_51
.LBB3024_38:
	s_or_b64 exec, exec, s[0:1]
	v_cmp_gt_u32_e32 vcc, s2, v7
	s_and_saveexec_b64 s[0:1], vcc
	s_cbranch_execnz .LBB3024_52
.LBB3024_39:
	s_or_b64 exec, exec, s[0:1]
	v_cmp_gt_u32_e32 vcc, s2, v6
	s_and_saveexec_b64 s[0:1], vcc
	s_cbranch_execnz .LBB3024_53
.LBB3024_40:
	s_or_b64 exec, exec, s[0:1]
	v_cmp_gt_u32_e32 vcc, s2, v5
	s_and_saveexec_b64 s[0:1], vcc
	s_cbranch_execz .LBB3024_42
.LBB3024_41:
	s_waitcnt lgkmcnt(1)
	global_store_short v[2:3], v1, off offset:1536
.LBB3024_42:
	s_or_b64 exec, exec, s[0:1]
	v_cmp_gt_u32_e64 s[0:1], s2, v4
	s_mov_b32 s2, 0x5040100
	s_waitcnt lgkmcnt(0)
	v_perm_b32 v1, v11, v1, s2
.LBB3024_43:
	s_and_saveexec_b64 s[2:3], s[0:1]
	s_cbranch_execz .LBB3024_45
; %bb.44:
	global_store_short_d16_hi v[2:3], v1, off offset:1792
.LBB3024_45:
	s_endpgm
.LBB3024_46:
	v_mov_b32_e32 v2, s25
	v_add_co_u32_e32 v4, vcc, s23, v1
	v_mov_b32_e32 v3, 0
	v_addc_co_u32_e32 v5, vcc, 0, v2, vcc
	v_subrev_u32_e32 v2, s17, v0
	v_lshlrev_b64 v[2:3], 1, v[2:3]
	v_mov_b32_e32 v7, s7
	v_add_co_u32_e32 v2, vcc, s5, v2
	v_addc_co_u32_e32 v3, vcc, v7, v3, vcc
	v_cmp_gt_u32_e32 vcc, s17, v0
	v_cndmask_b32_e32 v3, v3, v5, vcc
	v_cndmask_b32_e32 v2, v2, v4, vcc
	global_load_ushort v2, v[2:3], off
	s_or_b64 exec, exec, s[0:1]
	v_cmp_gt_u32_e32 vcc, s24, v8
	s_and_saveexec_b64 s[2:3], vcc
	s_cbranch_execz .LBB3024_8
.LBB3024_47:
	v_mov_b32_e32 v9, 0
	v_lshlrev_b64 v[12:13], 1, v[8:9]
	v_mov_b32_e32 v7, s25
	v_add_co_u32_e32 v11, vcc, s23, v12
	v_addc_co_u32_e32 v7, vcc, v7, v13, vcc
	v_cmp_gt_u32_e32 vcc, s17, v8
	v_subrev_u32_e32 v8, s17, v8
	v_lshlrev_b64 v[8:9], 1, v[8:9]
	v_mov_b32_e32 v12, s7
	v_add_co_u32_e64 v8, s[0:1], s5, v8
	v_addc_co_u32_e64 v9, s[0:1], v12, v9, s[0:1]
	v_cndmask_b32_e32 v9, v9, v7, vcc
	v_cndmask_b32_e32 v8, v8, v11, vcc
	global_load_ushort v7, v[8:9], off
	s_mov_b32 s0, 0x5040100
	s_waitcnt vmcnt(0)
	v_perm_b32 v2, v7, v2, s0
	s_or_b64 exec, exec, s[2:3]
	v_cmp_gt_u32_e32 vcc, s24, v6
	s_and_saveexec_b64 s[0:1], vcc
	s_cbranch_execnz .LBB3024_9
	s_branch .LBB3024_10
.LBB3024_48:
	s_waitcnt lgkmcnt(7)
	global_store_short v[2:3], v21, off
	s_or_b64 exec, exec, s[0:1]
	v_cmp_gt_u32_e32 vcc, s2, v10
	s_and_saveexec_b64 s[0:1], vcc
	s_cbranch_execz .LBB3024_36
.LBB3024_49:
	s_waitcnt lgkmcnt(6)
	global_store_short v[2:3], v20, off offset:256
	s_or_b64 exec, exec, s[0:1]
	v_cmp_gt_u32_e32 vcc, s2, v9
	s_and_saveexec_b64 s[0:1], vcc
	s_cbranch_execz .LBB3024_37
.LBB3024_50:
	s_waitcnt lgkmcnt(5)
	global_store_short v[2:3], v19, off offset:512
	s_or_b64 exec, exec, s[0:1]
	v_cmp_gt_u32_e32 vcc, s2, v8
	s_and_saveexec_b64 s[0:1], vcc
	s_cbranch_execz .LBB3024_38
.LBB3024_51:
	s_waitcnt lgkmcnt(4)
	global_store_short v[2:3], v14, off offset:768
	s_or_b64 exec, exec, s[0:1]
	v_cmp_gt_u32_e32 vcc, s2, v7
	s_and_saveexec_b64 s[0:1], vcc
	s_cbranch_execz .LBB3024_39
.LBB3024_52:
	s_waitcnt lgkmcnt(3)
	global_store_short v[2:3], v13, off offset:1024
	s_or_b64 exec, exec, s[0:1]
	v_cmp_gt_u32_e32 vcc, s2, v6
	s_and_saveexec_b64 s[0:1], vcc
	s_cbranch_execz .LBB3024_40
.LBB3024_53:
	s_waitcnt lgkmcnt(2)
	global_store_short v[2:3], v12, off offset:1280
	s_or_b64 exec, exec, s[0:1]
	v_cmp_gt_u32_e32 vcc, s2, v5
	s_and_saveexec_b64 s[0:1], vcc
	s_cbranch_execnz .LBB3024_41
	s_branch .LBB3024_42
	.section	.rodata,"a",@progbits
	.p2align	6, 0x0
	.amdhsa_kernel _ZN7rocprim17ROCPRIM_400000_NS6detail17trampoline_kernelINS0_14default_configENS1_38merge_sort_block_merge_config_selectorItNS0_10empty_typeEEEZZNS1_27merge_sort_block_merge_implIS3_N6thrust23THRUST_200600_302600_NS6detail15normal_iteratorINS9_10device_ptrItEEEEPS5_m14custom_greaterItEEE10hipError_tT0_T1_T2_jT3_P12ihipStream_tbPNSt15iterator_traitsISJ_E10value_typeEPNSP_ISK_E10value_typeEPSL_NS1_7vsmem_tEENKUlT_SJ_SK_SL_E_clIPtSE_SF_SF_EESI_SY_SJ_SK_SL_EUlSY_E0_NS1_11comp_targetILNS1_3genE4ELNS1_11target_archE910ELNS1_3gpuE8ELNS1_3repE0EEENS1_38merge_mergepath_config_static_selectorELNS0_4arch9wavefront6targetE1EEEvSK_
		.amdhsa_group_segment_fixed_size 2112
		.amdhsa_private_segment_fixed_size 0
		.amdhsa_kernarg_size 328
		.amdhsa_user_sgpr_count 6
		.amdhsa_user_sgpr_private_segment_buffer 1
		.amdhsa_user_sgpr_dispatch_ptr 0
		.amdhsa_user_sgpr_queue_ptr 0
		.amdhsa_user_sgpr_kernarg_segment_ptr 1
		.amdhsa_user_sgpr_dispatch_id 0
		.amdhsa_user_sgpr_flat_scratch_init 0
		.amdhsa_user_sgpr_kernarg_preload_length 0
		.amdhsa_user_sgpr_kernarg_preload_offset 0
		.amdhsa_user_sgpr_private_segment_size 0
		.amdhsa_uses_dynamic_stack 0
		.amdhsa_system_sgpr_private_segment_wavefront_offset 0
		.amdhsa_system_sgpr_workgroup_id_x 1
		.amdhsa_system_sgpr_workgroup_id_y 1
		.amdhsa_system_sgpr_workgroup_id_z 1
		.amdhsa_system_sgpr_workgroup_info 0
		.amdhsa_system_vgpr_workitem_id 0
		.amdhsa_next_free_vgpr 26
		.amdhsa_next_free_sgpr 31
		.amdhsa_accum_offset 28
		.amdhsa_reserve_vcc 1
		.amdhsa_reserve_flat_scratch 0
		.amdhsa_float_round_mode_32 0
		.amdhsa_float_round_mode_16_64 0
		.amdhsa_float_denorm_mode_32 3
		.amdhsa_float_denorm_mode_16_64 3
		.amdhsa_dx10_clamp 1
		.amdhsa_ieee_mode 1
		.amdhsa_fp16_overflow 0
		.amdhsa_tg_split 0
		.amdhsa_exception_fp_ieee_invalid_op 0
		.amdhsa_exception_fp_denorm_src 0
		.amdhsa_exception_fp_ieee_div_zero 0
		.amdhsa_exception_fp_ieee_overflow 0
		.amdhsa_exception_fp_ieee_underflow 0
		.amdhsa_exception_fp_ieee_inexact 0
		.amdhsa_exception_int_div_zero 0
	.end_amdhsa_kernel
	.section	.text._ZN7rocprim17ROCPRIM_400000_NS6detail17trampoline_kernelINS0_14default_configENS1_38merge_sort_block_merge_config_selectorItNS0_10empty_typeEEEZZNS1_27merge_sort_block_merge_implIS3_N6thrust23THRUST_200600_302600_NS6detail15normal_iteratorINS9_10device_ptrItEEEEPS5_m14custom_greaterItEEE10hipError_tT0_T1_T2_jT3_P12ihipStream_tbPNSt15iterator_traitsISJ_E10value_typeEPNSP_ISK_E10value_typeEPSL_NS1_7vsmem_tEENKUlT_SJ_SK_SL_E_clIPtSE_SF_SF_EESI_SY_SJ_SK_SL_EUlSY_E0_NS1_11comp_targetILNS1_3genE4ELNS1_11target_archE910ELNS1_3gpuE8ELNS1_3repE0EEENS1_38merge_mergepath_config_static_selectorELNS0_4arch9wavefront6targetE1EEEvSK_,"axG",@progbits,_ZN7rocprim17ROCPRIM_400000_NS6detail17trampoline_kernelINS0_14default_configENS1_38merge_sort_block_merge_config_selectorItNS0_10empty_typeEEEZZNS1_27merge_sort_block_merge_implIS3_N6thrust23THRUST_200600_302600_NS6detail15normal_iteratorINS9_10device_ptrItEEEEPS5_m14custom_greaterItEEE10hipError_tT0_T1_T2_jT3_P12ihipStream_tbPNSt15iterator_traitsISJ_E10value_typeEPNSP_ISK_E10value_typeEPSL_NS1_7vsmem_tEENKUlT_SJ_SK_SL_E_clIPtSE_SF_SF_EESI_SY_SJ_SK_SL_EUlSY_E0_NS1_11comp_targetILNS1_3genE4ELNS1_11target_archE910ELNS1_3gpuE8ELNS1_3repE0EEENS1_38merge_mergepath_config_static_selectorELNS0_4arch9wavefront6targetE1EEEvSK_,comdat
.Lfunc_end3024:
	.size	_ZN7rocprim17ROCPRIM_400000_NS6detail17trampoline_kernelINS0_14default_configENS1_38merge_sort_block_merge_config_selectorItNS0_10empty_typeEEEZZNS1_27merge_sort_block_merge_implIS3_N6thrust23THRUST_200600_302600_NS6detail15normal_iteratorINS9_10device_ptrItEEEEPS5_m14custom_greaterItEEE10hipError_tT0_T1_T2_jT3_P12ihipStream_tbPNSt15iterator_traitsISJ_E10value_typeEPNSP_ISK_E10value_typeEPSL_NS1_7vsmem_tEENKUlT_SJ_SK_SL_E_clIPtSE_SF_SF_EESI_SY_SJ_SK_SL_EUlSY_E0_NS1_11comp_targetILNS1_3genE4ELNS1_11target_archE910ELNS1_3gpuE8ELNS1_3repE0EEENS1_38merge_mergepath_config_static_selectorELNS0_4arch9wavefront6targetE1EEEvSK_, .Lfunc_end3024-_ZN7rocprim17ROCPRIM_400000_NS6detail17trampoline_kernelINS0_14default_configENS1_38merge_sort_block_merge_config_selectorItNS0_10empty_typeEEEZZNS1_27merge_sort_block_merge_implIS3_N6thrust23THRUST_200600_302600_NS6detail15normal_iteratorINS9_10device_ptrItEEEEPS5_m14custom_greaterItEEE10hipError_tT0_T1_T2_jT3_P12ihipStream_tbPNSt15iterator_traitsISJ_E10value_typeEPNSP_ISK_E10value_typeEPSL_NS1_7vsmem_tEENKUlT_SJ_SK_SL_E_clIPtSE_SF_SF_EESI_SY_SJ_SK_SL_EUlSY_E0_NS1_11comp_targetILNS1_3genE4ELNS1_11target_archE910ELNS1_3gpuE8ELNS1_3repE0EEENS1_38merge_mergepath_config_static_selectorELNS0_4arch9wavefront6targetE1EEEvSK_
                                        ; -- End function
	.section	.AMDGPU.csdata,"",@progbits
; Kernel info:
; codeLenInByte = 3952
; NumSgprs: 35
; NumVgprs: 26
; NumAgprs: 0
; TotalNumVgprs: 26
; ScratchSize: 0
; MemoryBound: 0
; FloatMode: 240
; IeeeMode: 1
; LDSByteSize: 2112 bytes/workgroup (compile time only)
; SGPRBlocks: 4
; VGPRBlocks: 3
; NumSGPRsForWavesPerEU: 35
; NumVGPRsForWavesPerEU: 26
; AccumOffset: 28
; Occupancy: 8
; WaveLimiterHint : 1
; COMPUTE_PGM_RSRC2:SCRATCH_EN: 0
; COMPUTE_PGM_RSRC2:USER_SGPR: 6
; COMPUTE_PGM_RSRC2:TRAP_HANDLER: 0
; COMPUTE_PGM_RSRC2:TGID_X_EN: 1
; COMPUTE_PGM_RSRC2:TGID_Y_EN: 1
; COMPUTE_PGM_RSRC2:TGID_Z_EN: 1
; COMPUTE_PGM_RSRC2:TIDIG_COMP_CNT: 0
; COMPUTE_PGM_RSRC3_GFX90A:ACCUM_OFFSET: 6
; COMPUTE_PGM_RSRC3_GFX90A:TG_SPLIT: 0
	.section	.text._ZN7rocprim17ROCPRIM_400000_NS6detail17trampoline_kernelINS0_14default_configENS1_38merge_sort_block_merge_config_selectorItNS0_10empty_typeEEEZZNS1_27merge_sort_block_merge_implIS3_N6thrust23THRUST_200600_302600_NS6detail15normal_iteratorINS9_10device_ptrItEEEEPS5_m14custom_greaterItEEE10hipError_tT0_T1_T2_jT3_P12ihipStream_tbPNSt15iterator_traitsISJ_E10value_typeEPNSP_ISK_E10value_typeEPSL_NS1_7vsmem_tEENKUlT_SJ_SK_SL_E_clIPtSE_SF_SF_EESI_SY_SJ_SK_SL_EUlSY_E0_NS1_11comp_targetILNS1_3genE3ELNS1_11target_archE908ELNS1_3gpuE7ELNS1_3repE0EEENS1_38merge_mergepath_config_static_selectorELNS0_4arch9wavefront6targetE1EEEvSK_,"axG",@progbits,_ZN7rocprim17ROCPRIM_400000_NS6detail17trampoline_kernelINS0_14default_configENS1_38merge_sort_block_merge_config_selectorItNS0_10empty_typeEEEZZNS1_27merge_sort_block_merge_implIS3_N6thrust23THRUST_200600_302600_NS6detail15normal_iteratorINS9_10device_ptrItEEEEPS5_m14custom_greaterItEEE10hipError_tT0_T1_T2_jT3_P12ihipStream_tbPNSt15iterator_traitsISJ_E10value_typeEPNSP_ISK_E10value_typeEPSL_NS1_7vsmem_tEENKUlT_SJ_SK_SL_E_clIPtSE_SF_SF_EESI_SY_SJ_SK_SL_EUlSY_E0_NS1_11comp_targetILNS1_3genE3ELNS1_11target_archE908ELNS1_3gpuE7ELNS1_3repE0EEENS1_38merge_mergepath_config_static_selectorELNS0_4arch9wavefront6targetE1EEEvSK_,comdat
	.protected	_ZN7rocprim17ROCPRIM_400000_NS6detail17trampoline_kernelINS0_14default_configENS1_38merge_sort_block_merge_config_selectorItNS0_10empty_typeEEEZZNS1_27merge_sort_block_merge_implIS3_N6thrust23THRUST_200600_302600_NS6detail15normal_iteratorINS9_10device_ptrItEEEEPS5_m14custom_greaterItEEE10hipError_tT0_T1_T2_jT3_P12ihipStream_tbPNSt15iterator_traitsISJ_E10value_typeEPNSP_ISK_E10value_typeEPSL_NS1_7vsmem_tEENKUlT_SJ_SK_SL_E_clIPtSE_SF_SF_EESI_SY_SJ_SK_SL_EUlSY_E0_NS1_11comp_targetILNS1_3genE3ELNS1_11target_archE908ELNS1_3gpuE7ELNS1_3repE0EEENS1_38merge_mergepath_config_static_selectorELNS0_4arch9wavefront6targetE1EEEvSK_ ; -- Begin function _ZN7rocprim17ROCPRIM_400000_NS6detail17trampoline_kernelINS0_14default_configENS1_38merge_sort_block_merge_config_selectorItNS0_10empty_typeEEEZZNS1_27merge_sort_block_merge_implIS3_N6thrust23THRUST_200600_302600_NS6detail15normal_iteratorINS9_10device_ptrItEEEEPS5_m14custom_greaterItEEE10hipError_tT0_T1_T2_jT3_P12ihipStream_tbPNSt15iterator_traitsISJ_E10value_typeEPNSP_ISK_E10value_typeEPSL_NS1_7vsmem_tEENKUlT_SJ_SK_SL_E_clIPtSE_SF_SF_EESI_SY_SJ_SK_SL_EUlSY_E0_NS1_11comp_targetILNS1_3genE3ELNS1_11target_archE908ELNS1_3gpuE7ELNS1_3repE0EEENS1_38merge_mergepath_config_static_selectorELNS0_4arch9wavefront6targetE1EEEvSK_
	.globl	_ZN7rocprim17ROCPRIM_400000_NS6detail17trampoline_kernelINS0_14default_configENS1_38merge_sort_block_merge_config_selectorItNS0_10empty_typeEEEZZNS1_27merge_sort_block_merge_implIS3_N6thrust23THRUST_200600_302600_NS6detail15normal_iteratorINS9_10device_ptrItEEEEPS5_m14custom_greaterItEEE10hipError_tT0_T1_T2_jT3_P12ihipStream_tbPNSt15iterator_traitsISJ_E10value_typeEPNSP_ISK_E10value_typeEPSL_NS1_7vsmem_tEENKUlT_SJ_SK_SL_E_clIPtSE_SF_SF_EESI_SY_SJ_SK_SL_EUlSY_E0_NS1_11comp_targetILNS1_3genE3ELNS1_11target_archE908ELNS1_3gpuE7ELNS1_3repE0EEENS1_38merge_mergepath_config_static_selectorELNS0_4arch9wavefront6targetE1EEEvSK_
	.p2align	8
	.type	_ZN7rocprim17ROCPRIM_400000_NS6detail17trampoline_kernelINS0_14default_configENS1_38merge_sort_block_merge_config_selectorItNS0_10empty_typeEEEZZNS1_27merge_sort_block_merge_implIS3_N6thrust23THRUST_200600_302600_NS6detail15normal_iteratorINS9_10device_ptrItEEEEPS5_m14custom_greaterItEEE10hipError_tT0_T1_T2_jT3_P12ihipStream_tbPNSt15iterator_traitsISJ_E10value_typeEPNSP_ISK_E10value_typeEPSL_NS1_7vsmem_tEENKUlT_SJ_SK_SL_E_clIPtSE_SF_SF_EESI_SY_SJ_SK_SL_EUlSY_E0_NS1_11comp_targetILNS1_3genE3ELNS1_11target_archE908ELNS1_3gpuE7ELNS1_3repE0EEENS1_38merge_mergepath_config_static_selectorELNS0_4arch9wavefront6targetE1EEEvSK_,@function
_ZN7rocprim17ROCPRIM_400000_NS6detail17trampoline_kernelINS0_14default_configENS1_38merge_sort_block_merge_config_selectorItNS0_10empty_typeEEEZZNS1_27merge_sort_block_merge_implIS3_N6thrust23THRUST_200600_302600_NS6detail15normal_iteratorINS9_10device_ptrItEEEEPS5_m14custom_greaterItEEE10hipError_tT0_T1_T2_jT3_P12ihipStream_tbPNSt15iterator_traitsISJ_E10value_typeEPNSP_ISK_E10value_typeEPSL_NS1_7vsmem_tEENKUlT_SJ_SK_SL_E_clIPtSE_SF_SF_EESI_SY_SJ_SK_SL_EUlSY_E0_NS1_11comp_targetILNS1_3genE3ELNS1_11target_archE908ELNS1_3gpuE7ELNS1_3repE0EEENS1_38merge_mergepath_config_static_selectorELNS0_4arch9wavefront6targetE1EEEvSK_: ; @_ZN7rocprim17ROCPRIM_400000_NS6detail17trampoline_kernelINS0_14default_configENS1_38merge_sort_block_merge_config_selectorItNS0_10empty_typeEEEZZNS1_27merge_sort_block_merge_implIS3_N6thrust23THRUST_200600_302600_NS6detail15normal_iteratorINS9_10device_ptrItEEEEPS5_m14custom_greaterItEEE10hipError_tT0_T1_T2_jT3_P12ihipStream_tbPNSt15iterator_traitsISJ_E10value_typeEPNSP_ISK_E10value_typeEPSL_NS1_7vsmem_tEENKUlT_SJ_SK_SL_E_clIPtSE_SF_SF_EESI_SY_SJ_SK_SL_EUlSY_E0_NS1_11comp_targetILNS1_3genE3ELNS1_11target_archE908ELNS1_3gpuE7ELNS1_3repE0EEENS1_38merge_mergepath_config_static_selectorELNS0_4arch9wavefront6targetE1EEEvSK_
; %bb.0:
	.section	.rodata,"a",@progbits
	.p2align	6, 0x0
	.amdhsa_kernel _ZN7rocprim17ROCPRIM_400000_NS6detail17trampoline_kernelINS0_14default_configENS1_38merge_sort_block_merge_config_selectorItNS0_10empty_typeEEEZZNS1_27merge_sort_block_merge_implIS3_N6thrust23THRUST_200600_302600_NS6detail15normal_iteratorINS9_10device_ptrItEEEEPS5_m14custom_greaterItEEE10hipError_tT0_T1_T2_jT3_P12ihipStream_tbPNSt15iterator_traitsISJ_E10value_typeEPNSP_ISK_E10value_typeEPSL_NS1_7vsmem_tEENKUlT_SJ_SK_SL_E_clIPtSE_SF_SF_EESI_SY_SJ_SK_SL_EUlSY_E0_NS1_11comp_targetILNS1_3genE3ELNS1_11target_archE908ELNS1_3gpuE7ELNS1_3repE0EEENS1_38merge_mergepath_config_static_selectorELNS0_4arch9wavefront6targetE1EEEvSK_
		.amdhsa_group_segment_fixed_size 0
		.amdhsa_private_segment_fixed_size 0
		.amdhsa_kernarg_size 72
		.amdhsa_user_sgpr_count 6
		.amdhsa_user_sgpr_private_segment_buffer 1
		.amdhsa_user_sgpr_dispatch_ptr 0
		.amdhsa_user_sgpr_queue_ptr 0
		.amdhsa_user_sgpr_kernarg_segment_ptr 1
		.amdhsa_user_sgpr_dispatch_id 0
		.amdhsa_user_sgpr_flat_scratch_init 0
		.amdhsa_user_sgpr_kernarg_preload_length 0
		.amdhsa_user_sgpr_kernarg_preload_offset 0
		.amdhsa_user_sgpr_private_segment_size 0
		.amdhsa_uses_dynamic_stack 0
		.amdhsa_system_sgpr_private_segment_wavefront_offset 0
		.amdhsa_system_sgpr_workgroup_id_x 1
		.amdhsa_system_sgpr_workgroup_id_y 0
		.amdhsa_system_sgpr_workgroup_id_z 0
		.amdhsa_system_sgpr_workgroup_info 0
		.amdhsa_system_vgpr_workitem_id 0
		.amdhsa_next_free_vgpr 1
		.amdhsa_next_free_sgpr 0
		.amdhsa_accum_offset 4
		.amdhsa_reserve_vcc 0
		.amdhsa_reserve_flat_scratch 0
		.amdhsa_float_round_mode_32 0
		.amdhsa_float_round_mode_16_64 0
		.amdhsa_float_denorm_mode_32 3
		.amdhsa_float_denorm_mode_16_64 3
		.amdhsa_dx10_clamp 1
		.amdhsa_ieee_mode 1
		.amdhsa_fp16_overflow 0
		.amdhsa_tg_split 0
		.amdhsa_exception_fp_ieee_invalid_op 0
		.amdhsa_exception_fp_denorm_src 0
		.amdhsa_exception_fp_ieee_div_zero 0
		.amdhsa_exception_fp_ieee_overflow 0
		.amdhsa_exception_fp_ieee_underflow 0
		.amdhsa_exception_fp_ieee_inexact 0
		.amdhsa_exception_int_div_zero 0
	.end_amdhsa_kernel
	.section	.text._ZN7rocprim17ROCPRIM_400000_NS6detail17trampoline_kernelINS0_14default_configENS1_38merge_sort_block_merge_config_selectorItNS0_10empty_typeEEEZZNS1_27merge_sort_block_merge_implIS3_N6thrust23THRUST_200600_302600_NS6detail15normal_iteratorINS9_10device_ptrItEEEEPS5_m14custom_greaterItEEE10hipError_tT0_T1_T2_jT3_P12ihipStream_tbPNSt15iterator_traitsISJ_E10value_typeEPNSP_ISK_E10value_typeEPSL_NS1_7vsmem_tEENKUlT_SJ_SK_SL_E_clIPtSE_SF_SF_EESI_SY_SJ_SK_SL_EUlSY_E0_NS1_11comp_targetILNS1_3genE3ELNS1_11target_archE908ELNS1_3gpuE7ELNS1_3repE0EEENS1_38merge_mergepath_config_static_selectorELNS0_4arch9wavefront6targetE1EEEvSK_,"axG",@progbits,_ZN7rocprim17ROCPRIM_400000_NS6detail17trampoline_kernelINS0_14default_configENS1_38merge_sort_block_merge_config_selectorItNS0_10empty_typeEEEZZNS1_27merge_sort_block_merge_implIS3_N6thrust23THRUST_200600_302600_NS6detail15normal_iteratorINS9_10device_ptrItEEEEPS5_m14custom_greaterItEEE10hipError_tT0_T1_T2_jT3_P12ihipStream_tbPNSt15iterator_traitsISJ_E10value_typeEPNSP_ISK_E10value_typeEPSL_NS1_7vsmem_tEENKUlT_SJ_SK_SL_E_clIPtSE_SF_SF_EESI_SY_SJ_SK_SL_EUlSY_E0_NS1_11comp_targetILNS1_3genE3ELNS1_11target_archE908ELNS1_3gpuE7ELNS1_3repE0EEENS1_38merge_mergepath_config_static_selectorELNS0_4arch9wavefront6targetE1EEEvSK_,comdat
.Lfunc_end3025:
	.size	_ZN7rocprim17ROCPRIM_400000_NS6detail17trampoline_kernelINS0_14default_configENS1_38merge_sort_block_merge_config_selectorItNS0_10empty_typeEEEZZNS1_27merge_sort_block_merge_implIS3_N6thrust23THRUST_200600_302600_NS6detail15normal_iteratorINS9_10device_ptrItEEEEPS5_m14custom_greaterItEEE10hipError_tT0_T1_T2_jT3_P12ihipStream_tbPNSt15iterator_traitsISJ_E10value_typeEPNSP_ISK_E10value_typeEPSL_NS1_7vsmem_tEENKUlT_SJ_SK_SL_E_clIPtSE_SF_SF_EESI_SY_SJ_SK_SL_EUlSY_E0_NS1_11comp_targetILNS1_3genE3ELNS1_11target_archE908ELNS1_3gpuE7ELNS1_3repE0EEENS1_38merge_mergepath_config_static_selectorELNS0_4arch9wavefront6targetE1EEEvSK_, .Lfunc_end3025-_ZN7rocprim17ROCPRIM_400000_NS6detail17trampoline_kernelINS0_14default_configENS1_38merge_sort_block_merge_config_selectorItNS0_10empty_typeEEEZZNS1_27merge_sort_block_merge_implIS3_N6thrust23THRUST_200600_302600_NS6detail15normal_iteratorINS9_10device_ptrItEEEEPS5_m14custom_greaterItEEE10hipError_tT0_T1_T2_jT3_P12ihipStream_tbPNSt15iterator_traitsISJ_E10value_typeEPNSP_ISK_E10value_typeEPSL_NS1_7vsmem_tEENKUlT_SJ_SK_SL_E_clIPtSE_SF_SF_EESI_SY_SJ_SK_SL_EUlSY_E0_NS1_11comp_targetILNS1_3genE3ELNS1_11target_archE908ELNS1_3gpuE7ELNS1_3repE0EEENS1_38merge_mergepath_config_static_selectorELNS0_4arch9wavefront6targetE1EEEvSK_
                                        ; -- End function
	.section	.AMDGPU.csdata,"",@progbits
; Kernel info:
; codeLenInByte = 0
; NumSgprs: 4
; NumVgprs: 0
; NumAgprs: 0
; TotalNumVgprs: 0
; ScratchSize: 0
; MemoryBound: 0
; FloatMode: 240
; IeeeMode: 1
; LDSByteSize: 0 bytes/workgroup (compile time only)
; SGPRBlocks: 0
; VGPRBlocks: 0
; NumSGPRsForWavesPerEU: 4
; NumVGPRsForWavesPerEU: 1
; AccumOffset: 4
; Occupancy: 8
; WaveLimiterHint : 0
; COMPUTE_PGM_RSRC2:SCRATCH_EN: 0
; COMPUTE_PGM_RSRC2:USER_SGPR: 6
; COMPUTE_PGM_RSRC2:TRAP_HANDLER: 0
; COMPUTE_PGM_RSRC2:TGID_X_EN: 1
; COMPUTE_PGM_RSRC2:TGID_Y_EN: 0
; COMPUTE_PGM_RSRC2:TGID_Z_EN: 0
; COMPUTE_PGM_RSRC2:TIDIG_COMP_CNT: 0
; COMPUTE_PGM_RSRC3_GFX90A:ACCUM_OFFSET: 0
; COMPUTE_PGM_RSRC3_GFX90A:TG_SPLIT: 0
	.section	.text._ZN7rocprim17ROCPRIM_400000_NS6detail17trampoline_kernelINS0_14default_configENS1_38merge_sort_block_merge_config_selectorItNS0_10empty_typeEEEZZNS1_27merge_sort_block_merge_implIS3_N6thrust23THRUST_200600_302600_NS6detail15normal_iteratorINS9_10device_ptrItEEEEPS5_m14custom_greaterItEEE10hipError_tT0_T1_T2_jT3_P12ihipStream_tbPNSt15iterator_traitsISJ_E10value_typeEPNSP_ISK_E10value_typeEPSL_NS1_7vsmem_tEENKUlT_SJ_SK_SL_E_clIPtSE_SF_SF_EESI_SY_SJ_SK_SL_EUlSY_E0_NS1_11comp_targetILNS1_3genE2ELNS1_11target_archE906ELNS1_3gpuE6ELNS1_3repE0EEENS1_38merge_mergepath_config_static_selectorELNS0_4arch9wavefront6targetE1EEEvSK_,"axG",@progbits,_ZN7rocprim17ROCPRIM_400000_NS6detail17trampoline_kernelINS0_14default_configENS1_38merge_sort_block_merge_config_selectorItNS0_10empty_typeEEEZZNS1_27merge_sort_block_merge_implIS3_N6thrust23THRUST_200600_302600_NS6detail15normal_iteratorINS9_10device_ptrItEEEEPS5_m14custom_greaterItEEE10hipError_tT0_T1_T2_jT3_P12ihipStream_tbPNSt15iterator_traitsISJ_E10value_typeEPNSP_ISK_E10value_typeEPSL_NS1_7vsmem_tEENKUlT_SJ_SK_SL_E_clIPtSE_SF_SF_EESI_SY_SJ_SK_SL_EUlSY_E0_NS1_11comp_targetILNS1_3genE2ELNS1_11target_archE906ELNS1_3gpuE6ELNS1_3repE0EEENS1_38merge_mergepath_config_static_selectorELNS0_4arch9wavefront6targetE1EEEvSK_,comdat
	.protected	_ZN7rocprim17ROCPRIM_400000_NS6detail17trampoline_kernelINS0_14default_configENS1_38merge_sort_block_merge_config_selectorItNS0_10empty_typeEEEZZNS1_27merge_sort_block_merge_implIS3_N6thrust23THRUST_200600_302600_NS6detail15normal_iteratorINS9_10device_ptrItEEEEPS5_m14custom_greaterItEEE10hipError_tT0_T1_T2_jT3_P12ihipStream_tbPNSt15iterator_traitsISJ_E10value_typeEPNSP_ISK_E10value_typeEPSL_NS1_7vsmem_tEENKUlT_SJ_SK_SL_E_clIPtSE_SF_SF_EESI_SY_SJ_SK_SL_EUlSY_E0_NS1_11comp_targetILNS1_3genE2ELNS1_11target_archE906ELNS1_3gpuE6ELNS1_3repE0EEENS1_38merge_mergepath_config_static_selectorELNS0_4arch9wavefront6targetE1EEEvSK_ ; -- Begin function _ZN7rocprim17ROCPRIM_400000_NS6detail17trampoline_kernelINS0_14default_configENS1_38merge_sort_block_merge_config_selectorItNS0_10empty_typeEEEZZNS1_27merge_sort_block_merge_implIS3_N6thrust23THRUST_200600_302600_NS6detail15normal_iteratorINS9_10device_ptrItEEEEPS5_m14custom_greaterItEEE10hipError_tT0_T1_T2_jT3_P12ihipStream_tbPNSt15iterator_traitsISJ_E10value_typeEPNSP_ISK_E10value_typeEPSL_NS1_7vsmem_tEENKUlT_SJ_SK_SL_E_clIPtSE_SF_SF_EESI_SY_SJ_SK_SL_EUlSY_E0_NS1_11comp_targetILNS1_3genE2ELNS1_11target_archE906ELNS1_3gpuE6ELNS1_3repE0EEENS1_38merge_mergepath_config_static_selectorELNS0_4arch9wavefront6targetE1EEEvSK_
	.globl	_ZN7rocprim17ROCPRIM_400000_NS6detail17trampoline_kernelINS0_14default_configENS1_38merge_sort_block_merge_config_selectorItNS0_10empty_typeEEEZZNS1_27merge_sort_block_merge_implIS3_N6thrust23THRUST_200600_302600_NS6detail15normal_iteratorINS9_10device_ptrItEEEEPS5_m14custom_greaterItEEE10hipError_tT0_T1_T2_jT3_P12ihipStream_tbPNSt15iterator_traitsISJ_E10value_typeEPNSP_ISK_E10value_typeEPSL_NS1_7vsmem_tEENKUlT_SJ_SK_SL_E_clIPtSE_SF_SF_EESI_SY_SJ_SK_SL_EUlSY_E0_NS1_11comp_targetILNS1_3genE2ELNS1_11target_archE906ELNS1_3gpuE6ELNS1_3repE0EEENS1_38merge_mergepath_config_static_selectorELNS0_4arch9wavefront6targetE1EEEvSK_
	.p2align	8
	.type	_ZN7rocprim17ROCPRIM_400000_NS6detail17trampoline_kernelINS0_14default_configENS1_38merge_sort_block_merge_config_selectorItNS0_10empty_typeEEEZZNS1_27merge_sort_block_merge_implIS3_N6thrust23THRUST_200600_302600_NS6detail15normal_iteratorINS9_10device_ptrItEEEEPS5_m14custom_greaterItEEE10hipError_tT0_T1_T2_jT3_P12ihipStream_tbPNSt15iterator_traitsISJ_E10value_typeEPNSP_ISK_E10value_typeEPSL_NS1_7vsmem_tEENKUlT_SJ_SK_SL_E_clIPtSE_SF_SF_EESI_SY_SJ_SK_SL_EUlSY_E0_NS1_11comp_targetILNS1_3genE2ELNS1_11target_archE906ELNS1_3gpuE6ELNS1_3repE0EEENS1_38merge_mergepath_config_static_selectorELNS0_4arch9wavefront6targetE1EEEvSK_,@function
_ZN7rocprim17ROCPRIM_400000_NS6detail17trampoline_kernelINS0_14default_configENS1_38merge_sort_block_merge_config_selectorItNS0_10empty_typeEEEZZNS1_27merge_sort_block_merge_implIS3_N6thrust23THRUST_200600_302600_NS6detail15normal_iteratorINS9_10device_ptrItEEEEPS5_m14custom_greaterItEEE10hipError_tT0_T1_T2_jT3_P12ihipStream_tbPNSt15iterator_traitsISJ_E10value_typeEPNSP_ISK_E10value_typeEPSL_NS1_7vsmem_tEENKUlT_SJ_SK_SL_E_clIPtSE_SF_SF_EESI_SY_SJ_SK_SL_EUlSY_E0_NS1_11comp_targetILNS1_3genE2ELNS1_11target_archE906ELNS1_3gpuE6ELNS1_3repE0EEENS1_38merge_mergepath_config_static_selectorELNS0_4arch9wavefront6targetE1EEEvSK_: ; @_ZN7rocprim17ROCPRIM_400000_NS6detail17trampoline_kernelINS0_14default_configENS1_38merge_sort_block_merge_config_selectorItNS0_10empty_typeEEEZZNS1_27merge_sort_block_merge_implIS3_N6thrust23THRUST_200600_302600_NS6detail15normal_iteratorINS9_10device_ptrItEEEEPS5_m14custom_greaterItEEE10hipError_tT0_T1_T2_jT3_P12ihipStream_tbPNSt15iterator_traitsISJ_E10value_typeEPNSP_ISK_E10value_typeEPSL_NS1_7vsmem_tEENKUlT_SJ_SK_SL_E_clIPtSE_SF_SF_EESI_SY_SJ_SK_SL_EUlSY_E0_NS1_11comp_targetILNS1_3genE2ELNS1_11target_archE906ELNS1_3gpuE6ELNS1_3repE0EEENS1_38merge_mergepath_config_static_selectorELNS0_4arch9wavefront6targetE1EEEvSK_
; %bb.0:
	.section	.rodata,"a",@progbits
	.p2align	6, 0x0
	.amdhsa_kernel _ZN7rocprim17ROCPRIM_400000_NS6detail17trampoline_kernelINS0_14default_configENS1_38merge_sort_block_merge_config_selectorItNS0_10empty_typeEEEZZNS1_27merge_sort_block_merge_implIS3_N6thrust23THRUST_200600_302600_NS6detail15normal_iteratorINS9_10device_ptrItEEEEPS5_m14custom_greaterItEEE10hipError_tT0_T1_T2_jT3_P12ihipStream_tbPNSt15iterator_traitsISJ_E10value_typeEPNSP_ISK_E10value_typeEPSL_NS1_7vsmem_tEENKUlT_SJ_SK_SL_E_clIPtSE_SF_SF_EESI_SY_SJ_SK_SL_EUlSY_E0_NS1_11comp_targetILNS1_3genE2ELNS1_11target_archE906ELNS1_3gpuE6ELNS1_3repE0EEENS1_38merge_mergepath_config_static_selectorELNS0_4arch9wavefront6targetE1EEEvSK_
		.amdhsa_group_segment_fixed_size 0
		.amdhsa_private_segment_fixed_size 0
		.amdhsa_kernarg_size 72
		.amdhsa_user_sgpr_count 6
		.amdhsa_user_sgpr_private_segment_buffer 1
		.amdhsa_user_sgpr_dispatch_ptr 0
		.amdhsa_user_sgpr_queue_ptr 0
		.amdhsa_user_sgpr_kernarg_segment_ptr 1
		.amdhsa_user_sgpr_dispatch_id 0
		.amdhsa_user_sgpr_flat_scratch_init 0
		.amdhsa_user_sgpr_kernarg_preload_length 0
		.amdhsa_user_sgpr_kernarg_preload_offset 0
		.amdhsa_user_sgpr_private_segment_size 0
		.amdhsa_uses_dynamic_stack 0
		.amdhsa_system_sgpr_private_segment_wavefront_offset 0
		.amdhsa_system_sgpr_workgroup_id_x 1
		.amdhsa_system_sgpr_workgroup_id_y 0
		.amdhsa_system_sgpr_workgroup_id_z 0
		.amdhsa_system_sgpr_workgroup_info 0
		.amdhsa_system_vgpr_workitem_id 0
		.amdhsa_next_free_vgpr 1
		.amdhsa_next_free_sgpr 0
		.amdhsa_accum_offset 4
		.amdhsa_reserve_vcc 0
		.amdhsa_reserve_flat_scratch 0
		.amdhsa_float_round_mode_32 0
		.amdhsa_float_round_mode_16_64 0
		.amdhsa_float_denorm_mode_32 3
		.amdhsa_float_denorm_mode_16_64 3
		.amdhsa_dx10_clamp 1
		.amdhsa_ieee_mode 1
		.amdhsa_fp16_overflow 0
		.amdhsa_tg_split 0
		.amdhsa_exception_fp_ieee_invalid_op 0
		.amdhsa_exception_fp_denorm_src 0
		.amdhsa_exception_fp_ieee_div_zero 0
		.amdhsa_exception_fp_ieee_overflow 0
		.amdhsa_exception_fp_ieee_underflow 0
		.amdhsa_exception_fp_ieee_inexact 0
		.amdhsa_exception_int_div_zero 0
	.end_amdhsa_kernel
	.section	.text._ZN7rocprim17ROCPRIM_400000_NS6detail17trampoline_kernelINS0_14default_configENS1_38merge_sort_block_merge_config_selectorItNS0_10empty_typeEEEZZNS1_27merge_sort_block_merge_implIS3_N6thrust23THRUST_200600_302600_NS6detail15normal_iteratorINS9_10device_ptrItEEEEPS5_m14custom_greaterItEEE10hipError_tT0_T1_T2_jT3_P12ihipStream_tbPNSt15iterator_traitsISJ_E10value_typeEPNSP_ISK_E10value_typeEPSL_NS1_7vsmem_tEENKUlT_SJ_SK_SL_E_clIPtSE_SF_SF_EESI_SY_SJ_SK_SL_EUlSY_E0_NS1_11comp_targetILNS1_3genE2ELNS1_11target_archE906ELNS1_3gpuE6ELNS1_3repE0EEENS1_38merge_mergepath_config_static_selectorELNS0_4arch9wavefront6targetE1EEEvSK_,"axG",@progbits,_ZN7rocprim17ROCPRIM_400000_NS6detail17trampoline_kernelINS0_14default_configENS1_38merge_sort_block_merge_config_selectorItNS0_10empty_typeEEEZZNS1_27merge_sort_block_merge_implIS3_N6thrust23THRUST_200600_302600_NS6detail15normal_iteratorINS9_10device_ptrItEEEEPS5_m14custom_greaterItEEE10hipError_tT0_T1_T2_jT3_P12ihipStream_tbPNSt15iterator_traitsISJ_E10value_typeEPNSP_ISK_E10value_typeEPSL_NS1_7vsmem_tEENKUlT_SJ_SK_SL_E_clIPtSE_SF_SF_EESI_SY_SJ_SK_SL_EUlSY_E0_NS1_11comp_targetILNS1_3genE2ELNS1_11target_archE906ELNS1_3gpuE6ELNS1_3repE0EEENS1_38merge_mergepath_config_static_selectorELNS0_4arch9wavefront6targetE1EEEvSK_,comdat
.Lfunc_end3026:
	.size	_ZN7rocprim17ROCPRIM_400000_NS6detail17trampoline_kernelINS0_14default_configENS1_38merge_sort_block_merge_config_selectorItNS0_10empty_typeEEEZZNS1_27merge_sort_block_merge_implIS3_N6thrust23THRUST_200600_302600_NS6detail15normal_iteratorINS9_10device_ptrItEEEEPS5_m14custom_greaterItEEE10hipError_tT0_T1_T2_jT3_P12ihipStream_tbPNSt15iterator_traitsISJ_E10value_typeEPNSP_ISK_E10value_typeEPSL_NS1_7vsmem_tEENKUlT_SJ_SK_SL_E_clIPtSE_SF_SF_EESI_SY_SJ_SK_SL_EUlSY_E0_NS1_11comp_targetILNS1_3genE2ELNS1_11target_archE906ELNS1_3gpuE6ELNS1_3repE0EEENS1_38merge_mergepath_config_static_selectorELNS0_4arch9wavefront6targetE1EEEvSK_, .Lfunc_end3026-_ZN7rocprim17ROCPRIM_400000_NS6detail17trampoline_kernelINS0_14default_configENS1_38merge_sort_block_merge_config_selectorItNS0_10empty_typeEEEZZNS1_27merge_sort_block_merge_implIS3_N6thrust23THRUST_200600_302600_NS6detail15normal_iteratorINS9_10device_ptrItEEEEPS5_m14custom_greaterItEEE10hipError_tT0_T1_T2_jT3_P12ihipStream_tbPNSt15iterator_traitsISJ_E10value_typeEPNSP_ISK_E10value_typeEPSL_NS1_7vsmem_tEENKUlT_SJ_SK_SL_E_clIPtSE_SF_SF_EESI_SY_SJ_SK_SL_EUlSY_E0_NS1_11comp_targetILNS1_3genE2ELNS1_11target_archE906ELNS1_3gpuE6ELNS1_3repE0EEENS1_38merge_mergepath_config_static_selectorELNS0_4arch9wavefront6targetE1EEEvSK_
                                        ; -- End function
	.section	.AMDGPU.csdata,"",@progbits
; Kernel info:
; codeLenInByte = 0
; NumSgprs: 4
; NumVgprs: 0
; NumAgprs: 0
; TotalNumVgprs: 0
; ScratchSize: 0
; MemoryBound: 0
; FloatMode: 240
; IeeeMode: 1
; LDSByteSize: 0 bytes/workgroup (compile time only)
; SGPRBlocks: 0
; VGPRBlocks: 0
; NumSGPRsForWavesPerEU: 4
; NumVGPRsForWavesPerEU: 1
; AccumOffset: 4
; Occupancy: 8
; WaveLimiterHint : 0
; COMPUTE_PGM_RSRC2:SCRATCH_EN: 0
; COMPUTE_PGM_RSRC2:USER_SGPR: 6
; COMPUTE_PGM_RSRC2:TRAP_HANDLER: 0
; COMPUTE_PGM_RSRC2:TGID_X_EN: 1
; COMPUTE_PGM_RSRC2:TGID_Y_EN: 0
; COMPUTE_PGM_RSRC2:TGID_Z_EN: 0
; COMPUTE_PGM_RSRC2:TIDIG_COMP_CNT: 0
; COMPUTE_PGM_RSRC3_GFX90A:ACCUM_OFFSET: 0
; COMPUTE_PGM_RSRC3_GFX90A:TG_SPLIT: 0
	.section	.text._ZN7rocprim17ROCPRIM_400000_NS6detail17trampoline_kernelINS0_14default_configENS1_38merge_sort_block_merge_config_selectorItNS0_10empty_typeEEEZZNS1_27merge_sort_block_merge_implIS3_N6thrust23THRUST_200600_302600_NS6detail15normal_iteratorINS9_10device_ptrItEEEEPS5_m14custom_greaterItEEE10hipError_tT0_T1_T2_jT3_P12ihipStream_tbPNSt15iterator_traitsISJ_E10value_typeEPNSP_ISK_E10value_typeEPSL_NS1_7vsmem_tEENKUlT_SJ_SK_SL_E_clIPtSE_SF_SF_EESI_SY_SJ_SK_SL_EUlSY_E0_NS1_11comp_targetILNS1_3genE9ELNS1_11target_archE1100ELNS1_3gpuE3ELNS1_3repE0EEENS1_38merge_mergepath_config_static_selectorELNS0_4arch9wavefront6targetE1EEEvSK_,"axG",@progbits,_ZN7rocprim17ROCPRIM_400000_NS6detail17trampoline_kernelINS0_14default_configENS1_38merge_sort_block_merge_config_selectorItNS0_10empty_typeEEEZZNS1_27merge_sort_block_merge_implIS3_N6thrust23THRUST_200600_302600_NS6detail15normal_iteratorINS9_10device_ptrItEEEEPS5_m14custom_greaterItEEE10hipError_tT0_T1_T2_jT3_P12ihipStream_tbPNSt15iterator_traitsISJ_E10value_typeEPNSP_ISK_E10value_typeEPSL_NS1_7vsmem_tEENKUlT_SJ_SK_SL_E_clIPtSE_SF_SF_EESI_SY_SJ_SK_SL_EUlSY_E0_NS1_11comp_targetILNS1_3genE9ELNS1_11target_archE1100ELNS1_3gpuE3ELNS1_3repE0EEENS1_38merge_mergepath_config_static_selectorELNS0_4arch9wavefront6targetE1EEEvSK_,comdat
	.protected	_ZN7rocprim17ROCPRIM_400000_NS6detail17trampoline_kernelINS0_14default_configENS1_38merge_sort_block_merge_config_selectorItNS0_10empty_typeEEEZZNS1_27merge_sort_block_merge_implIS3_N6thrust23THRUST_200600_302600_NS6detail15normal_iteratorINS9_10device_ptrItEEEEPS5_m14custom_greaterItEEE10hipError_tT0_T1_T2_jT3_P12ihipStream_tbPNSt15iterator_traitsISJ_E10value_typeEPNSP_ISK_E10value_typeEPSL_NS1_7vsmem_tEENKUlT_SJ_SK_SL_E_clIPtSE_SF_SF_EESI_SY_SJ_SK_SL_EUlSY_E0_NS1_11comp_targetILNS1_3genE9ELNS1_11target_archE1100ELNS1_3gpuE3ELNS1_3repE0EEENS1_38merge_mergepath_config_static_selectorELNS0_4arch9wavefront6targetE1EEEvSK_ ; -- Begin function _ZN7rocprim17ROCPRIM_400000_NS6detail17trampoline_kernelINS0_14default_configENS1_38merge_sort_block_merge_config_selectorItNS0_10empty_typeEEEZZNS1_27merge_sort_block_merge_implIS3_N6thrust23THRUST_200600_302600_NS6detail15normal_iteratorINS9_10device_ptrItEEEEPS5_m14custom_greaterItEEE10hipError_tT0_T1_T2_jT3_P12ihipStream_tbPNSt15iterator_traitsISJ_E10value_typeEPNSP_ISK_E10value_typeEPSL_NS1_7vsmem_tEENKUlT_SJ_SK_SL_E_clIPtSE_SF_SF_EESI_SY_SJ_SK_SL_EUlSY_E0_NS1_11comp_targetILNS1_3genE9ELNS1_11target_archE1100ELNS1_3gpuE3ELNS1_3repE0EEENS1_38merge_mergepath_config_static_selectorELNS0_4arch9wavefront6targetE1EEEvSK_
	.globl	_ZN7rocprim17ROCPRIM_400000_NS6detail17trampoline_kernelINS0_14default_configENS1_38merge_sort_block_merge_config_selectorItNS0_10empty_typeEEEZZNS1_27merge_sort_block_merge_implIS3_N6thrust23THRUST_200600_302600_NS6detail15normal_iteratorINS9_10device_ptrItEEEEPS5_m14custom_greaterItEEE10hipError_tT0_T1_T2_jT3_P12ihipStream_tbPNSt15iterator_traitsISJ_E10value_typeEPNSP_ISK_E10value_typeEPSL_NS1_7vsmem_tEENKUlT_SJ_SK_SL_E_clIPtSE_SF_SF_EESI_SY_SJ_SK_SL_EUlSY_E0_NS1_11comp_targetILNS1_3genE9ELNS1_11target_archE1100ELNS1_3gpuE3ELNS1_3repE0EEENS1_38merge_mergepath_config_static_selectorELNS0_4arch9wavefront6targetE1EEEvSK_
	.p2align	8
	.type	_ZN7rocprim17ROCPRIM_400000_NS6detail17trampoline_kernelINS0_14default_configENS1_38merge_sort_block_merge_config_selectorItNS0_10empty_typeEEEZZNS1_27merge_sort_block_merge_implIS3_N6thrust23THRUST_200600_302600_NS6detail15normal_iteratorINS9_10device_ptrItEEEEPS5_m14custom_greaterItEEE10hipError_tT0_T1_T2_jT3_P12ihipStream_tbPNSt15iterator_traitsISJ_E10value_typeEPNSP_ISK_E10value_typeEPSL_NS1_7vsmem_tEENKUlT_SJ_SK_SL_E_clIPtSE_SF_SF_EESI_SY_SJ_SK_SL_EUlSY_E0_NS1_11comp_targetILNS1_3genE9ELNS1_11target_archE1100ELNS1_3gpuE3ELNS1_3repE0EEENS1_38merge_mergepath_config_static_selectorELNS0_4arch9wavefront6targetE1EEEvSK_,@function
_ZN7rocprim17ROCPRIM_400000_NS6detail17trampoline_kernelINS0_14default_configENS1_38merge_sort_block_merge_config_selectorItNS0_10empty_typeEEEZZNS1_27merge_sort_block_merge_implIS3_N6thrust23THRUST_200600_302600_NS6detail15normal_iteratorINS9_10device_ptrItEEEEPS5_m14custom_greaterItEEE10hipError_tT0_T1_T2_jT3_P12ihipStream_tbPNSt15iterator_traitsISJ_E10value_typeEPNSP_ISK_E10value_typeEPSL_NS1_7vsmem_tEENKUlT_SJ_SK_SL_E_clIPtSE_SF_SF_EESI_SY_SJ_SK_SL_EUlSY_E0_NS1_11comp_targetILNS1_3genE9ELNS1_11target_archE1100ELNS1_3gpuE3ELNS1_3repE0EEENS1_38merge_mergepath_config_static_selectorELNS0_4arch9wavefront6targetE1EEEvSK_: ; @_ZN7rocprim17ROCPRIM_400000_NS6detail17trampoline_kernelINS0_14default_configENS1_38merge_sort_block_merge_config_selectorItNS0_10empty_typeEEEZZNS1_27merge_sort_block_merge_implIS3_N6thrust23THRUST_200600_302600_NS6detail15normal_iteratorINS9_10device_ptrItEEEEPS5_m14custom_greaterItEEE10hipError_tT0_T1_T2_jT3_P12ihipStream_tbPNSt15iterator_traitsISJ_E10value_typeEPNSP_ISK_E10value_typeEPSL_NS1_7vsmem_tEENKUlT_SJ_SK_SL_E_clIPtSE_SF_SF_EESI_SY_SJ_SK_SL_EUlSY_E0_NS1_11comp_targetILNS1_3genE9ELNS1_11target_archE1100ELNS1_3gpuE3ELNS1_3repE0EEENS1_38merge_mergepath_config_static_selectorELNS0_4arch9wavefront6targetE1EEEvSK_
; %bb.0:
	.section	.rodata,"a",@progbits
	.p2align	6, 0x0
	.amdhsa_kernel _ZN7rocprim17ROCPRIM_400000_NS6detail17trampoline_kernelINS0_14default_configENS1_38merge_sort_block_merge_config_selectorItNS0_10empty_typeEEEZZNS1_27merge_sort_block_merge_implIS3_N6thrust23THRUST_200600_302600_NS6detail15normal_iteratorINS9_10device_ptrItEEEEPS5_m14custom_greaterItEEE10hipError_tT0_T1_T2_jT3_P12ihipStream_tbPNSt15iterator_traitsISJ_E10value_typeEPNSP_ISK_E10value_typeEPSL_NS1_7vsmem_tEENKUlT_SJ_SK_SL_E_clIPtSE_SF_SF_EESI_SY_SJ_SK_SL_EUlSY_E0_NS1_11comp_targetILNS1_3genE9ELNS1_11target_archE1100ELNS1_3gpuE3ELNS1_3repE0EEENS1_38merge_mergepath_config_static_selectorELNS0_4arch9wavefront6targetE1EEEvSK_
		.amdhsa_group_segment_fixed_size 0
		.amdhsa_private_segment_fixed_size 0
		.amdhsa_kernarg_size 72
		.amdhsa_user_sgpr_count 6
		.amdhsa_user_sgpr_private_segment_buffer 1
		.amdhsa_user_sgpr_dispatch_ptr 0
		.amdhsa_user_sgpr_queue_ptr 0
		.amdhsa_user_sgpr_kernarg_segment_ptr 1
		.amdhsa_user_sgpr_dispatch_id 0
		.amdhsa_user_sgpr_flat_scratch_init 0
		.amdhsa_user_sgpr_kernarg_preload_length 0
		.amdhsa_user_sgpr_kernarg_preload_offset 0
		.amdhsa_user_sgpr_private_segment_size 0
		.amdhsa_uses_dynamic_stack 0
		.amdhsa_system_sgpr_private_segment_wavefront_offset 0
		.amdhsa_system_sgpr_workgroup_id_x 1
		.amdhsa_system_sgpr_workgroup_id_y 0
		.amdhsa_system_sgpr_workgroup_id_z 0
		.amdhsa_system_sgpr_workgroup_info 0
		.amdhsa_system_vgpr_workitem_id 0
		.amdhsa_next_free_vgpr 1
		.amdhsa_next_free_sgpr 0
		.amdhsa_accum_offset 4
		.amdhsa_reserve_vcc 0
		.amdhsa_reserve_flat_scratch 0
		.amdhsa_float_round_mode_32 0
		.amdhsa_float_round_mode_16_64 0
		.amdhsa_float_denorm_mode_32 3
		.amdhsa_float_denorm_mode_16_64 3
		.amdhsa_dx10_clamp 1
		.amdhsa_ieee_mode 1
		.amdhsa_fp16_overflow 0
		.amdhsa_tg_split 0
		.amdhsa_exception_fp_ieee_invalid_op 0
		.amdhsa_exception_fp_denorm_src 0
		.amdhsa_exception_fp_ieee_div_zero 0
		.amdhsa_exception_fp_ieee_overflow 0
		.amdhsa_exception_fp_ieee_underflow 0
		.amdhsa_exception_fp_ieee_inexact 0
		.amdhsa_exception_int_div_zero 0
	.end_amdhsa_kernel
	.section	.text._ZN7rocprim17ROCPRIM_400000_NS6detail17trampoline_kernelINS0_14default_configENS1_38merge_sort_block_merge_config_selectorItNS0_10empty_typeEEEZZNS1_27merge_sort_block_merge_implIS3_N6thrust23THRUST_200600_302600_NS6detail15normal_iteratorINS9_10device_ptrItEEEEPS5_m14custom_greaterItEEE10hipError_tT0_T1_T2_jT3_P12ihipStream_tbPNSt15iterator_traitsISJ_E10value_typeEPNSP_ISK_E10value_typeEPSL_NS1_7vsmem_tEENKUlT_SJ_SK_SL_E_clIPtSE_SF_SF_EESI_SY_SJ_SK_SL_EUlSY_E0_NS1_11comp_targetILNS1_3genE9ELNS1_11target_archE1100ELNS1_3gpuE3ELNS1_3repE0EEENS1_38merge_mergepath_config_static_selectorELNS0_4arch9wavefront6targetE1EEEvSK_,"axG",@progbits,_ZN7rocprim17ROCPRIM_400000_NS6detail17trampoline_kernelINS0_14default_configENS1_38merge_sort_block_merge_config_selectorItNS0_10empty_typeEEEZZNS1_27merge_sort_block_merge_implIS3_N6thrust23THRUST_200600_302600_NS6detail15normal_iteratorINS9_10device_ptrItEEEEPS5_m14custom_greaterItEEE10hipError_tT0_T1_T2_jT3_P12ihipStream_tbPNSt15iterator_traitsISJ_E10value_typeEPNSP_ISK_E10value_typeEPSL_NS1_7vsmem_tEENKUlT_SJ_SK_SL_E_clIPtSE_SF_SF_EESI_SY_SJ_SK_SL_EUlSY_E0_NS1_11comp_targetILNS1_3genE9ELNS1_11target_archE1100ELNS1_3gpuE3ELNS1_3repE0EEENS1_38merge_mergepath_config_static_selectorELNS0_4arch9wavefront6targetE1EEEvSK_,comdat
.Lfunc_end3027:
	.size	_ZN7rocprim17ROCPRIM_400000_NS6detail17trampoline_kernelINS0_14default_configENS1_38merge_sort_block_merge_config_selectorItNS0_10empty_typeEEEZZNS1_27merge_sort_block_merge_implIS3_N6thrust23THRUST_200600_302600_NS6detail15normal_iteratorINS9_10device_ptrItEEEEPS5_m14custom_greaterItEEE10hipError_tT0_T1_T2_jT3_P12ihipStream_tbPNSt15iterator_traitsISJ_E10value_typeEPNSP_ISK_E10value_typeEPSL_NS1_7vsmem_tEENKUlT_SJ_SK_SL_E_clIPtSE_SF_SF_EESI_SY_SJ_SK_SL_EUlSY_E0_NS1_11comp_targetILNS1_3genE9ELNS1_11target_archE1100ELNS1_3gpuE3ELNS1_3repE0EEENS1_38merge_mergepath_config_static_selectorELNS0_4arch9wavefront6targetE1EEEvSK_, .Lfunc_end3027-_ZN7rocprim17ROCPRIM_400000_NS6detail17trampoline_kernelINS0_14default_configENS1_38merge_sort_block_merge_config_selectorItNS0_10empty_typeEEEZZNS1_27merge_sort_block_merge_implIS3_N6thrust23THRUST_200600_302600_NS6detail15normal_iteratorINS9_10device_ptrItEEEEPS5_m14custom_greaterItEEE10hipError_tT0_T1_T2_jT3_P12ihipStream_tbPNSt15iterator_traitsISJ_E10value_typeEPNSP_ISK_E10value_typeEPSL_NS1_7vsmem_tEENKUlT_SJ_SK_SL_E_clIPtSE_SF_SF_EESI_SY_SJ_SK_SL_EUlSY_E0_NS1_11comp_targetILNS1_3genE9ELNS1_11target_archE1100ELNS1_3gpuE3ELNS1_3repE0EEENS1_38merge_mergepath_config_static_selectorELNS0_4arch9wavefront6targetE1EEEvSK_
                                        ; -- End function
	.section	.AMDGPU.csdata,"",@progbits
; Kernel info:
; codeLenInByte = 0
; NumSgprs: 4
; NumVgprs: 0
; NumAgprs: 0
; TotalNumVgprs: 0
; ScratchSize: 0
; MemoryBound: 0
; FloatMode: 240
; IeeeMode: 1
; LDSByteSize: 0 bytes/workgroup (compile time only)
; SGPRBlocks: 0
; VGPRBlocks: 0
; NumSGPRsForWavesPerEU: 4
; NumVGPRsForWavesPerEU: 1
; AccumOffset: 4
; Occupancy: 8
; WaveLimiterHint : 0
; COMPUTE_PGM_RSRC2:SCRATCH_EN: 0
; COMPUTE_PGM_RSRC2:USER_SGPR: 6
; COMPUTE_PGM_RSRC2:TRAP_HANDLER: 0
; COMPUTE_PGM_RSRC2:TGID_X_EN: 1
; COMPUTE_PGM_RSRC2:TGID_Y_EN: 0
; COMPUTE_PGM_RSRC2:TGID_Z_EN: 0
; COMPUTE_PGM_RSRC2:TIDIG_COMP_CNT: 0
; COMPUTE_PGM_RSRC3_GFX90A:ACCUM_OFFSET: 0
; COMPUTE_PGM_RSRC3_GFX90A:TG_SPLIT: 0
	.section	.text._ZN7rocprim17ROCPRIM_400000_NS6detail17trampoline_kernelINS0_14default_configENS1_38merge_sort_block_merge_config_selectorItNS0_10empty_typeEEEZZNS1_27merge_sort_block_merge_implIS3_N6thrust23THRUST_200600_302600_NS6detail15normal_iteratorINS9_10device_ptrItEEEEPS5_m14custom_greaterItEEE10hipError_tT0_T1_T2_jT3_P12ihipStream_tbPNSt15iterator_traitsISJ_E10value_typeEPNSP_ISK_E10value_typeEPSL_NS1_7vsmem_tEENKUlT_SJ_SK_SL_E_clIPtSE_SF_SF_EESI_SY_SJ_SK_SL_EUlSY_E0_NS1_11comp_targetILNS1_3genE8ELNS1_11target_archE1030ELNS1_3gpuE2ELNS1_3repE0EEENS1_38merge_mergepath_config_static_selectorELNS0_4arch9wavefront6targetE1EEEvSK_,"axG",@progbits,_ZN7rocprim17ROCPRIM_400000_NS6detail17trampoline_kernelINS0_14default_configENS1_38merge_sort_block_merge_config_selectorItNS0_10empty_typeEEEZZNS1_27merge_sort_block_merge_implIS3_N6thrust23THRUST_200600_302600_NS6detail15normal_iteratorINS9_10device_ptrItEEEEPS5_m14custom_greaterItEEE10hipError_tT0_T1_T2_jT3_P12ihipStream_tbPNSt15iterator_traitsISJ_E10value_typeEPNSP_ISK_E10value_typeEPSL_NS1_7vsmem_tEENKUlT_SJ_SK_SL_E_clIPtSE_SF_SF_EESI_SY_SJ_SK_SL_EUlSY_E0_NS1_11comp_targetILNS1_3genE8ELNS1_11target_archE1030ELNS1_3gpuE2ELNS1_3repE0EEENS1_38merge_mergepath_config_static_selectorELNS0_4arch9wavefront6targetE1EEEvSK_,comdat
	.protected	_ZN7rocprim17ROCPRIM_400000_NS6detail17trampoline_kernelINS0_14default_configENS1_38merge_sort_block_merge_config_selectorItNS0_10empty_typeEEEZZNS1_27merge_sort_block_merge_implIS3_N6thrust23THRUST_200600_302600_NS6detail15normal_iteratorINS9_10device_ptrItEEEEPS5_m14custom_greaterItEEE10hipError_tT0_T1_T2_jT3_P12ihipStream_tbPNSt15iterator_traitsISJ_E10value_typeEPNSP_ISK_E10value_typeEPSL_NS1_7vsmem_tEENKUlT_SJ_SK_SL_E_clIPtSE_SF_SF_EESI_SY_SJ_SK_SL_EUlSY_E0_NS1_11comp_targetILNS1_3genE8ELNS1_11target_archE1030ELNS1_3gpuE2ELNS1_3repE0EEENS1_38merge_mergepath_config_static_selectorELNS0_4arch9wavefront6targetE1EEEvSK_ ; -- Begin function _ZN7rocprim17ROCPRIM_400000_NS6detail17trampoline_kernelINS0_14default_configENS1_38merge_sort_block_merge_config_selectorItNS0_10empty_typeEEEZZNS1_27merge_sort_block_merge_implIS3_N6thrust23THRUST_200600_302600_NS6detail15normal_iteratorINS9_10device_ptrItEEEEPS5_m14custom_greaterItEEE10hipError_tT0_T1_T2_jT3_P12ihipStream_tbPNSt15iterator_traitsISJ_E10value_typeEPNSP_ISK_E10value_typeEPSL_NS1_7vsmem_tEENKUlT_SJ_SK_SL_E_clIPtSE_SF_SF_EESI_SY_SJ_SK_SL_EUlSY_E0_NS1_11comp_targetILNS1_3genE8ELNS1_11target_archE1030ELNS1_3gpuE2ELNS1_3repE0EEENS1_38merge_mergepath_config_static_selectorELNS0_4arch9wavefront6targetE1EEEvSK_
	.globl	_ZN7rocprim17ROCPRIM_400000_NS6detail17trampoline_kernelINS0_14default_configENS1_38merge_sort_block_merge_config_selectorItNS0_10empty_typeEEEZZNS1_27merge_sort_block_merge_implIS3_N6thrust23THRUST_200600_302600_NS6detail15normal_iteratorINS9_10device_ptrItEEEEPS5_m14custom_greaterItEEE10hipError_tT0_T1_T2_jT3_P12ihipStream_tbPNSt15iterator_traitsISJ_E10value_typeEPNSP_ISK_E10value_typeEPSL_NS1_7vsmem_tEENKUlT_SJ_SK_SL_E_clIPtSE_SF_SF_EESI_SY_SJ_SK_SL_EUlSY_E0_NS1_11comp_targetILNS1_3genE8ELNS1_11target_archE1030ELNS1_3gpuE2ELNS1_3repE0EEENS1_38merge_mergepath_config_static_selectorELNS0_4arch9wavefront6targetE1EEEvSK_
	.p2align	8
	.type	_ZN7rocprim17ROCPRIM_400000_NS6detail17trampoline_kernelINS0_14default_configENS1_38merge_sort_block_merge_config_selectorItNS0_10empty_typeEEEZZNS1_27merge_sort_block_merge_implIS3_N6thrust23THRUST_200600_302600_NS6detail15normal_iteratorINS9_10device_ptrItEEEEPS5_m14custom_greaterItEEE10hipError_tT0_T1_T2_jT3_P12ihipStream_tbPNSt15iterator_traitsISJ_E10value_typeEPNSP_ISK_E10value_typeEPSL_NS1_7vsmem_tEENKUlT_SJ_SK_SL_E_clIPtSE_SF_SF_EESI_SY_SJ_SK_SL_EUlSY_E0_NS1_11comp_targetILNS1_3genE8ELNS1_11target_archE1030ELNS1_3gpuE2ELNS1_3repE0EEENS1_38merge_mergepath_config_static_selectorELNS0_4arch9wavefront6targetE1EEEvSK_,@function
_ZN7rocprim17ROCPRIM_400000_NS6detail17trampoline_kernelINS0_14default_configENS1_38merge_sort_block_merge_config_selectorItNS0_10empty_typeEEEZZNS1_27merge_sort_block_merge_implIS3_N6thrust23THRUST_200600_302600_NS6detail15normal_iteratorINS9_10device_ptrItEEEEPS5_m14custom_greaterItEEE10hipError_tT0_T1_T2_jT3_P12ihipStream_tbPNSt15iterator_traitsISJ_E10value_typeEPNSP_ISK_E10value_typeEPSL_NS1_7vsmem_tEENKUlT_SJ_SK_SL_E_clIPtSE_SF_SF_EESI_SY_SJ_SK_SL_EUlSY_E0_NS1_11comp_targetILNS1_3genE8ELNS1_11target_archE1030ELNS1_3gpuE2ELNS1_3repE0EEENS1_38merge_mergepath_config_static_selectorELNS0_4arch9wavefront6targetE1EEEvSK_: ; @_ZN7rocprim17ROCPRIM_400000_NS6detail17trampoline_kernelINS0_14default_configENS1_38merge_sort_block_merge_config_selectorItNS0_10empty_typeEEEZZNS1_27merge_sort_block_merge_implIS3_N6thrust23THRUST_200600_302600_NS6detail15normal_iteratorINS9_10device_ptrItEEEEPS5_m14custom_greaterItEEE10hipError_tT0_T1_T2_jT3_P12ihipStream_tbPNSt15iterator_traitsISJ_E10value_typeEPNSP_ISK_E10value_typeEPSL_NS1_7vsmem_tEENKUlT_SJ_SK_SL_E_clIPtSE_SF_SF_EESI_SY_SJ_SK_SL_EUlSY_E0_NS1_11comp_targetILNS1_3genE8ELNS1_11target_archE1030ELNS1_3gpuE2ELNS1_3repE0EEENS1_38merge_mergepath_config_static_selectorELNS0_4arch9wavefront6targetE1EEEvSK_
; %bb.0:
	.section	.rodata,"a",@progbits
	.p2align	6, 0x0
	.amdhsa_kernel _ZN7rocprim17ROCPRIM_400000_NS6detail17trampoline_kernelINS0_14default_configENS1_38merge_sort_block_merge_config_selectorItNS0_10empty_typeEEEZZNS1_27merge_sort_block_merge_implIS3_N6thrust23THRUST_200600_302600_NS6detail15normal_iteratorINS9_10device_ptrItEEEEPS5_m14custom_greaterItEEE10hipError_tT0_T1_T2_jT3_P12ihipStream_tbPNSt15iterator_traitsISJ_E10value_typeEPNSP_ISK_E10value_typeEPSL_NS1_7vsmem_tEENKUlT_SJ_SK_SL_E_clIPtSE_SF_SF_EESI_SY_SJ_SK_SL_EUlSY_E0_NS1_11comp_targetILNS1_3genE8ELNS1_11target_archE1030ELNS1_3gpuE2ELNS1_3repE0EEENS1_38merge_mergepath_config_static_selectorELNS0_4arch9wavefront6targetE1EEEvSK_
		.amdhsa_group_segment_fixed_size 0
		.amdhsa_private_segment_fixed_size 0
		.amdhsa_kernarg_size 72
		.amdhsa_user_sgpr_count 6
		.amdhsa_user_sgpr_private_segment_buffer 1
		.amdhsa_user_sgpr_dispatch_ptr 0
		.amdhsa_user_sgpr_queue_ptr 0
		.amdhsa_user_sgpr_kernarg_segment_ptr 1
		.amdhsa_user_sgpr_dispatch_id 0
		.amdhsa_user_sgpr_flat_scratch_init 0
		.amdhsa_user_sgpr_kernarg_preload_length 0
		.amdhsa_user_sgpr_kernarg_preload_offset 0
		.amdhsa_user_sgpr_private_segment_size 0
		.amdhsa_uses_dynamic_stack 0
		.amdhsa_system_sgpr_private_segment_wavefront_offset 0
		.amdhsa_system_sgpr_workgroup_id_x 1
		.amdhsa_system_sgpr_workgroup_id_y 0
		.amdhsa_system_sgpr_workgroup_id_z 0
		.amdhsa_system_sgpr_workgroup_info 0
		.amdhsa_system_vgpr_workitem_id 0
		.amdhsa_next_free_vgpr 1
		.amdhsa_next_free_sgpr 0
		.amdhsa_accum_offset 4
		.amdhsa_reserve_vcc 0
		.amdhsa_reserve_flat_scratch 0
		.amdhsa_float_round_mode_32 0
		.amdhsa_float_round_mode_16_64 0
		.amdhsa_float_denorm_mode_32 3
		.amdhsa_float_denorm_mode_16_64 3
		.amdhsa_dx10_clamp 1
		.amdhsa_ieee_mode 1
		.amdhsa_fp16_overflow 0
		.amdhsa_tg_split 0
		.amdhsa_exception_fp_ieee_invalid_op 0
		.amdhsa_exception_fp_denorm_src 0
		.amdhsa_exception_fp_ieee_div_zero 0
		.amdhsa_exception_fp_ieee_overflow 0
		.amdhsa_exception_fp_ieee_underflow 0
		.amdhsa_exception_fp_ieee_inexact 0
		.amdhsa_exception_int_div_zero 0
	.end_amdhsa_kernel
	.section	.text._ZN7rocprim17ROCPRIM_400000_NS6detail17trampoline_kernelINS0_14default_configENS1_38merge_sort_block_merge_config_selectorItNS0_10empty_typeEEEZZNS1_27merge_sort_block_merge_implIS3_N6thrust23THRUST_200600_302600_NS6detail15normal_iteratorINS9_10device_ptrItEEEEPS5_m14custom_greaterItEEE10hipError_tT0_T1_T2_jT3_P12ihipStream_tbPNSt15iterator_traitsISJ_E10value_typeEPNSP_ISK_E10value_typeEPSL_NS1_7vsmem_tEENKUlT_SJ_SK_SL_E_clIPtSE_SF_SF_EESI_SY_SJ_SK_SL_EUlSY_E0_NS1_11comp_targetILNS1_3genE8ELNS1_11target_archE1030ELNS1_3gpuE2ELNS1_3repE0EEENS1_38merge_mergepath_config_static_selectorELNS0_4arch9wavefront6targetE1EEEvSK_,"axG",@progbits,_ZN7rocprim17ROCPRIM_400000_NS6detail17trampoline_kernelINS0_14default_configENS1_38merge_sort_block_merge_config_selectorItNS0_10empty_typeEEEZZNS1_27merge_sort_block_merge_implIS3_N6thrust23THRUST_200600_302600_NS6detail15normal_iteratorINS9_10device_ptrItEEEEPS5_m14custom_greaterItEEE10hipError_tT0_T1_T2_jT3_P12ihipStream_tbPNSt15iterator_traitsISJ_E10value_typeEPNSP_ISK_E10value_typeEPSL_NS1_7vsmem_tEENKUlT_SJ_SK_SL_E_clIPtSE_SF_SF_EESI_SY_SJ_SK_SL_EUlSY_E0_NS1_11comp_targetILNS1_3genE8ELNS1_11target_archE1030ELNS1_3gpuE2ELNS1_3repE0EEENS1_38merge_mergepath_config_static_selectorELNS0_4arch9wavefront6targetE1EEEvSK_,comdat
.Lfunc_end3028:
	.size	_ZN7rocprim17ROCPRIM_400000_NS6detail17trampoline_kernelINS0_14default_configENS1_38merge_sort_block_merge_config_selectorItNS0_10empty_typeEEEZZNS1_27merge_sort_block_merge_implIS3_N6thrust23THRUST_200600_302600_NS6detail15normal_iteratorINS9_10device_ptrItEEEEPS5_m14custom_greaterItEEE10hipError_tT0_T1_T2_jT3_P12ihipStream_tbPNSt15iterator_traitsISJ_E10value_typeEPNSP_ISK_E10value_typeEPSL_NS1_7vsmem_tEENKUlT_SJ_SK_SL_E_clIPtSE_SF_SF_EESI_SY_SJ_SK_SL_EUlSY_E0_NS1_11comp_targetILNS1_3genE8ELNS1_11target_archE1030ELNS1_3gpuE2ELNS1_3repE0EEENS1_38merge_mergepath_config_static_selectorELNS0_4arch9wavefront6targetE1EEEvSK_, .Lfunc_end3028-_ZN7rocprim17ROCPRIM_400000_NS6detail17trampoline_kernelINS0_14default_configENS1_38merge_sort_block_merge_config_selectorItNS0_10empty_typeEEEZZNS1_27merge_sort_block_merge_implIS3_N6thrust23THRUST_200600_302600_NS6detail15normal_iteratorINS9_10device_ptrItEEEEPS5_m14custom_greaterItEEE10hipError_tT0_T1_T2_jT3_P12ihipStream_tbPNSt15iterator_traitsISJ_E10value_typeEPNSP_ISK_E10value_typeEPSL_NS1_7vsmem_tEENKUlT_SJ_SK_SL_E_clIPtSE_SF_SF_EESI_SY_SJ_SK_SL_EUlSY_E0_NS1_11comp_targetILNS1_3genE8ELNS1_11target_archE1030ELNS1_3gpuE2ELNS1_3repE0EEENS1_38merge_mergepath_config_static_selectorELNS0_4arch9wavefront6targetE1EEEvSK_
                                        ; -- End function
	.section	.AMDGPU.csdata,"",@progbits
; Kernel info:
; codeLenInByte = 0
; NumSgprs: 4
; NumVgprs: 0
; NumAgprs: 0
; TotalNumVgprs: 0
; ScratchSize: 0
; MemoryBound: 0
; FloatMode: 240
; IeeeMode: 1
; LDSByteSize: 0 bytes/workgroup (compile time only)
; SGPRBlocks: 0
; VGPRBlocks: 0
; NumSGPRsForWavesPerEU: 4
; NumVGPRsForWavesPerEU: 1
; AccumOffset: 4
; Occupancy: 8
; WaveLimiterHint : 0
; COMPUTE_PGM_RSRC2:SCRATCH_EN: 0
; COMPUTE_PGM_RSRC2:USER_SGPR: 6
; COMPUTE_PGM_RSRC2:TRAP_HANDLER: 0
; COMPUTE_PGM_RSRC2:TGID_X_EN: 1
; COMPUTE_PGM_RSRC2:TGID_Y_EN: 0
; COMPUTE_PGM_RSRC2:TGID_Z_EN: 0
; COMPUTE_PGM_RSRC2:TIDIG_COMP_CNT: 0
; COMPUTE_PGM_RSRC3_GFX90A:ACCUM_OFFSET: 0
; COMPUTE_PGM_RSRC3_GFX90A:TG_SPLIT: 0
	.section	.text._ZN7rocprim17ROCPRIM_400000_NS6detail17trampoline_kernelINS0_14default_configENS1_38merge_sort_block_merge_config_selectorItNS0_10empty_typeEEEZZNS1_27merge_sort_block_merge_implIS3_N6thrust23THRUST_200600_302600_NS6detail15normal_iteratorINS9_10device_ptrItEEEEPS5_m14custom_greaterItEEE10hipError_tT0_T1_T2_jT3_P12ihipStream_tbPNSt15iterator_traitsISJ_E10value_typeEPNSP_ISK_E10value_typeEPSL_NS1_7vsmem_tEENKUlT_SJ_SK_SL_E_clIPtSE_SF_SF_EESI_SY_SJ_SK_SL_EUlSY_E1_NS1_11comp_targetILNS1_3genE0ELNS1_11target_archE4294967295ELNS1_3gpuE0ELNS1_3repE0EEENS1_36merge_oddeven_config_static_selectorELNS0_4arch9wavefront6targetE1EEEvSK_,"axG",@progbits,_ZN7rocprim17ROCPRIM_400000_NS6detail17trampoline_kernelINS0_14default_configENS1_38merge_sort_block_merge_config_selectorItNS0_10empty_typeEEEZZNS1_27merge_sort_block_merge_implIS3_N6thrust23THRUST_200600_302600_NS6detail15normal_iteratorINS9_10device_ptrItEEEEPS5_m14custom_greaterItEEE10hipError_tT0_T1_T2_jT3_P12ihipStream_tbPNSt15iterator_traitsISJ_E10value_typeEPNSP_ISK_E10value_typeEPSL_NS1_7vsmem_tEENKUlT_SJ_SK_SL_E_clIPtSE_SF_SF_EESI_SY_SJ_SK_SL_EUlSY_E1_NS1_11comp_targetILNS1_3genE0ELNS1_11target_archE4294967295ELNS1_3gpuE0ELNS1_3repE0EEENS1_36merge_oddeven_config_static_selectorELNS0_4arch9wavefront6targetE1EEEvSK_,comdat
	.protected	_ZN7rocprim17ROCPRIM_400000_NS6detail17trampoline_kernelINS0_14default_configENS1_38merge_sort_block_merge_config_selectorItNS0_10empty_typeEEEZZNS1_27merge_sort_block_merge_implIS3_N6thrust23THRUST_200600_302600_NS6detail15normal_iteratorINS9_10device_ptrItEEEEPS5_m14custom_greaterItEEE10hipError_tT0_T1_T2_jT3_P12ihipStream_tbPNSt15iterator_traitsISJ_E10value_typeEPNSP_ISK_E10value_typeEPSL_NS1_7vsmem_tEENKUlT_SJ_SK_SL_E_clIPtSE_SF_SF_EESI_SY_SJ_SK_SL_EUlSY_E1_NS1_11comp_targetILNS1_3genE0ELNS1_11target_archE4294967295ELNS1_3gpuE0ELNS1_3repE0EEENS1_36merge_oddeven_config_static_selectorELNS0_4arch9wavefront6targetE1EEEvSK_ ; -- Begin function _ZN7rocprim17ROCPRIM_400000_NS6detail17trampoline_kernelINS0_14default_configENS1_38merge_sort_block_merge_config_selectorItNS0_10empty_typeEEEZZNS1_27merge_sort_block_merge_implIS3_N6thrust23THRUST_200600_302600_NS6detail15normal_iteratorINS9_10device_ptrItEEEEPS5_m14custom_greaterItEEE10hipError_tT0_T1_T2_jT3_P12ihipStream_tbPNSt15iterator_traitsISJ_E10value_typeEPNSP_ISK_E10value_typeEPSL_NS1_7vsmem_tEENKUlT_SJ_SK_SL_E_clIPtSE_SF_SF_EESI_SY_SJ_SK_SL_EUlSY_E1_NS1_11comp_targetILNS1_3genE0ELNS1_11target_archE4294967295ELNS1_3gpuE0ELNS1_3repE0EEENS1_36merge_oddeven_config_static_selectorELNS0_4arch9wavefront6targetE1EEEvSK_
	.globl	_ZN7rocprim17ROCPRIM_400000_NS6detail17trampoline_kernelINS0_14default_configENS1_38merge_sort_block_merge_config_selectorItNS0_10empty_typeEEEZZNS1_27merge_sort_block_merge_implIS3_N6thrust23THRUST_200600_302600_NS6detail15normal_iteratorINS9_10device_ptrItEEEEPS5_m14custom_greaterItEEE10hipError_tT0_T1_T2_jT3_P12ihipStream_tbPNSt15iterator_traitsISJ_E10value_typeEPNSP_ISK_E10value_typeEPSL_NS1_7vsmem_tEENKUlT_SJ_SK_SL_E_clIPtSE_SF_SF_EESI_SY_SJ_SK_SL_EUlSY_E1_NS1_11comp_targetILNS1_3genE0ELNS1_11target_archE4294967295ELNS1_3gpuE0ELNS1_3repE0EEENS1_36merge_oddeven_config_static_selectorELNS0_4arch9wavefront6targetE1EEEvSK_
	.p2align	8
	.type	_ZN7rocprim17ROCPRIM_400000_NS6detail17trampoline_kernelINS0_14default_configENS1_38merge_sort_block_merge_config_selectorItNS0_10empty_typeEEEZZNS1_27merge_sort_block_merge_implIS3_N6thrust23THRUST_200600_302600_NS6detail15normal_iteratorINS9_10device_ptrItEEEEPS5_m14custom_greaterItEEE10hipError_tT0_T1_T2_jT3_P12ihipStream_tbPNSt15iterator_traitsISJ_E10value_typeEPNSP_ISK_E10value_typeEPSL_NS1_7vsmem_tEENKUlT_SJ_SK_SL_E_clIPtSE_SF_SF_EESI_SY_SJ_SK_SL_EUlSY_E1_NS1_11comp_targetILNS1_3genE0ELNS1_11target_archE4294967295ELNS1_3gpuE0ELNS1_3repE0EEENS1_36merge_oddeven_config_static_selectorELNS0_4arch9wavefront6targetE1EEEvSK_,@function
_ZN7rocprim17ROCPRIM_400000_NS6detail17trampoline_kernelINS0_14default_configENS1_38merge_sort_block_merge_config_selectorItNS0_10empty_typeEEEZZNS1_27merge_sort_block_merge_implIS3_N6thrust23THRUST_200600_302600_NS6detail15normal_iteratorINS9_10device_ptrItEEEEPS5_m14custom_greaterItEEE10hipError_tT0_T1_T2_jT3_P12ihipStream_tbPNSt15iterator_traitsISJ_E10value_typeEPNSP_ISK_E10value_typeEPSL_NS1_7vsmem_tEENKUlT_SJ_SK_SL_E_clIPtSE_SF_SF_EESI_SY_SJ_SK_SL_EUlSY_E1_NS1_11comp_targetILNS1_3genE0ELNS1_11target_archE4294967295ELNS1_3gpuE0ELNS1_3repE0EEENS1_36merge_oddeven_config_static_selectorELNS0_4arch9wavefront6targetE1EEEvSK_: ; @_ZN7rocprim17ROCPRIM_400000_NS6detail17trampoline_kernelINS0_14default_configENS1_38merge_sort_block_merge_config_selectorItNS0_10empty_typeEEEZZNS1_27merge_sort_block_merge_implIS3_N6thrust23THRUST_200600_302600_NS6detail15normal_iteratorINS9_10device_ptrItEEEEPS5_m14custom_greaterItEEE10hipError_tT0_T1_T2_jT3_P12ihipStream_tbPNSt15iterator_traitsISJ_E10value_typeEPNSP_ISK_E10value_typeEPSL_NS1_7vsmem_tEENKUlT_SJ_SK_SL_E_clIPtSE_SF_SF_EESI_SY_SJ_SK_SL_EUlSY_E1_NS1_11comp_targetILNS1_3genE0ELNS1_11target_archE4294967295ELNS1_3gpuE0ELNS1_3repE0EEENS1_36merge_oddeven_config_static_selectorELNS0_4arch9wavefront6targetE1EEEvSK_
; %bb.0:
	.section	.rodata,"a",@progbits
	.p2align	6, 0x0
	.amdhsa_kernel _ZN7rocprim17ROCPRIM_400000_NS6detail17trampoline_kernelINS0_14default_configENS1_38merge_sort_block_merge_config_selectorItNS0_10empty_typeEEEZZNS1_27merge_sort_block_merge_implIS3_N6thrust23THRUST_200600_302600_NS6detail15normal_iteratorINS9_10device_ptrItEEEEPS5_m14custom_greaterItEEE10hipError_tT0_T1_T2_jT3_P12ihipStream_tbPNSt15iterator_traitsISJ_E10value_typeEPNSP_ISK_E10value_typeEPSL_NS1_7vsmem_tEENKUlT_SJ_SK_SL_E_clIPtSE_SF_SF_EESI_SY_SJ_SK_SL_EUlSY_E1_NS1_11comp_targetILNS1_3genE0ELNS1_11target_archE4294967295ELNS1_3gpuE0ELNS1_3repE0EEENS1_36merge_oddeven_config_static_selectorELNS0_4arch9wavefront6targetE1EEEvSK_
		.amdhsa_group_segment_fixed_size 0
		.amdhsa_private_segment_fixed_size 0
		.amdhsa_kernarg_size 56
		.amdhsa_user_sgpr_count 6
		.amdhsa_user_sgpr_private_segment_buffer 1
		.amdhsa_user_sgpr_dispatch_ptr 0
		.amdhsa_user_sgpr_queue_ptr 0
		.amdhsa_user_sgpr_kernarg_segment_ptr 1
		.amdhsa_user_sgpr_dispatch_id 0
		.amdhsa_user_sgpr_flat_scratch_init 0
		.amdhsa_user_sgpr_kernarg_preload_length 0
		.amdhsa_user_sgpr_kernarg_preload_offset 0
		.amdhsa_user_sgpr_private_segment_size 0
		.amdhsa_uses_dynamic_stack 0
		.amdhsa_system_sgpr_private_segment_wavefront_offset 0
		.amdhsa_system_sgpr_workgroup_id_x 1
		.amdhsa_system_sgpr_workgroup_id_y 0
		.amdhsa_system_sgpr_workgroup_id_z 0
		.amdhsa_system_sgpr_workgroup_info 0
		.amdhsa_system_vgpr_workitem_id 0
		.amdhsa_next_free_vgpr 1
		.amdhsa_next_free_sgpr 0
		.amdhsa_accum_offset 4
		.amdhsa_reserve_vcc 0
		.amdhsa_reserve_flat_scratch 0
		.amdhsa_float_round_mode_32 0
		.amdhsa_float_round_mode_16_64 0
		.amdhsa_float_denorm_mode_32 3
		.amdhsa_float_denorm_mode_16_64 3
		.amdhsa_dx10_clamp 1
		.amdhsa_ieee_mode 1
		.amdhsa_fp16_overflow 0
		.amdhsa_tg_split 0
		.amdhsa_exception_fp_ieee_invalid_op 0
		.amdhsa_exception_fp_denorm_src 0
		.amdhsa_exception_fp_ieee_div_zero 0
		.amdhsa_exception_fp_ieee_overflow 0
		.amdhsa_exception_fp_ieee_underflow 0
		.amdhsa_exception_fp_ieee_inexact 0
		.amdhsa_exception_int_div_zero 0
	.end_amdhsa_kernel
	.section	.text._ZN7rocprim17ROCPRIM_400000_NS6detail17trampoline_kernelINS0_14default_configENS1_38merge_sort_block_merge_config_selectorItNS0_10empty_typeEEEZZNS1_27merge_sort_block_merge_implIS3_N6thrust23THRUST_200600_302600_NS6detail15normal_iteratorINS9_10device_ptrItEEEEPS5_m14custom_greaterItEEE10hipError_tT0_T1_T2_jT3_P12ihipStream_tbPNSt15iterator_traitsISJ_E10value_typeEPNSP_ISK_E10value_typeEPSL_NS1_7vsmem_tEENKUlT_SJ_SK_SL_E_clIPtSE_SF_SF_EESI_SY_SJ_SK_SL_EUlSY_E1_NS1_11comp_targetILNS1_3genE0ELNS1_11target_archE4294967295ELNS1_3gpuE0ELNS1_3repE0EEENS1_36merge_oddeven_config_static_selectorELNS0_4arch9wavefront6targetE1EEEvSK_,"axG",@progbits,_ZN7rocprim17ROCPRIM_400000_NS6detail17trampoline_kernelINS0_14default_configENS1_38merge_sort_block_merge_config_selectorItNS0_10empty_typeEEEZZNS1_27merge_sort_block_merge_implIS3_N6thrust23THRUST_200600_302600_NS6detail15normal_iteratorINS9_10device_ptrItEEEEPS5_m14custom_greaterItEEE10hipError_tT0_T1_T2_jT3_P12ihipStream_tbPNSt15iterator_traitsISJ_E10value_typeEPNSP_ISK_E10value_typeEPSL_NS1_7vsmem_tEENKUlT_SJ_SK_SL_E_clIPtSE_SF_SF_EESI_SY_SJ_SK_SL_EUlSY_E1_NS1_11comp_targetILNS1_3genE0ELNS1_11target_archE4294967295ELNS1_3gpuE0ELNS1_3repE0EEENS1_36merge_oddeven_config_static_selectorELNS0_4arch9wavefront6targetE1EEEvSK_,comdat
.Lfunc_end3029:
	.size	_ZN7rocprim17ROCPRIM_400000_NS6detail17trampoline_kernelINS0_14default_configENS1_38merge_sort_block_merge_config_selectorItNS0_10empty_typeEEEZZNS1_27merge_sort_block_merge_implIS3_N6thrust23THRUST_200600_302600_NS6detail15normal_iteratorINS9_10device_ptrItEEEEPS5_m14custom_greaterItEEE10hipError_tT0_T1_T2_jT3_P12ihipStream_tbPNSt15iterator_traitsISJ_E10value_typeEPNSP_ISK_E10value_typeEPSL_NS1_7vsmem_tEENKUlT_SJ_SK_SL_E_clIPtSE_SF_SF_EESI_SY_SJ_SK_SL_EUlSY_E1_NS1_11comp_targetILNS1_3genE0ELNS1_11target_archE4294967295ELNS1_3gpuE0ELNS1_3repE0EEENS1_36merge_oddeven_config_static_selectorELNS0_4arch9wavefront6targetE1EEEvSK_, .Lfunc_end3029-_ZN7rocprim17ROCPRIM_400000_NS6detail17trampoline_kernelINS0_14default_configENS1_38merge_sort_block_merge_config_selectorItNS0_10empty_typeEEEZZNS1_27merge_sort_block_merge_implIS3_N6thrust23THRUST_200600_302600_NS6detail15normal_iteratorINS9_10device_ptrItEEEEPS5_m14custom_greaterItEEE10hipError_tT0_T1_T2_jT3_P12ihipStream_tbPNSt15iterator_traitsISJ_E10value_typeEPNSP_ISK_E10value_typeEPSL_NS1_7vsmem_tEENKUlT_SJ_SK_SL_E_clIPtSE_SF_SF_EESI_SY_SJ_SK_SL_EUlSY_E1_NS1_11comp_targetILNS1_3genE0ELNS1_11target_archE4294967295ELNS1_3gpuE0ELNS1_3repE0EEENS1_36merge_oddeven_config_static_selectorELNS0_4arch9wavefront6targetE1EEEvSK_
                                        ; -- End function
	.section	.AMDGPU.csdata,"",@progbits
; Kernel info:
; codeLenInByte = 0
; NumSgprs: 4
; NumVgprs: 0
; NumAgprs: 0
; TotalNumVgprs: 0
; ScratchSize: 0
; MemoryBound: 0
; FloatMode: 240
; IeeeMode: 1
; LDSByteSize: 0 bytes/workgroup (compile time only)
; SGPRBlocks: 0
; VGPRBlocks: 0
; NumSGPRsForWavesPerEU: 4
; NumVGPRsForWavesPerEU: 1
; AccumOffset: 4
; Occupancy: 8
; WaveLimiterHint : 0
; COMPUTE_PGM_RSRC2:SCRATCH_EN: 0
; COMPUTE_PGM_RSRC2:USER_SGPR: 6
; COMPUTE_PGM_RSRC2:TRAP_HANDLER: 0
; COMPUTE_PGM_RSRC2:TGID_X_EN: 1
; COMPUTE_PGM_RSRC2:TGID_Y_EN: 0
; COMPUTE_PGM_RSRC2:TGID_Z_EN: 0
; COMPUTE_PGM_RSRC2:TIDIG_COMP_CNT: 0
; COMPUTE_PGM_RSRC3_GFX90A:ACCUM_OFFSET: 0
; COMPUTE_PGM_RSRC3_GFX90A:TG_SPLIT: 0
	.section	.text._ZN7rocprim17ROCPRIM_400000_NS6detail17trampoline_kernelINS0_14default_configENS1_38merge_sort_block_merge_config_selectorItNS0_10empty_typeEEEZZNS1_27merge_sort_block_merge_implIS3_N6thrust23THRUST_200600_302600_NS6detail15normal_iteratorINS9_10device_ptrItEEEEPS5_m14custom_greaterItEEE10hipError_tT0_T1_T2_jT3_P12ihipStream_tbPNSt15iterator_traitsISJ_E10value_typeEPNSP_ISK_E10value_typeEPSL_NS1_7vsmem_tEENKUlT_SJ_SK_SL_E_clIPtSE_SF_SF_EESI_SY_SJ_SK_SL_EUlSY_E1_NS1_11comp_targetILNS1_3genE10ELNS1_11target_archE1201ELNS1_3gpuE5ELNS1_3repE0EEENS1_36merge_oddeven_config_static_selectorELNS0_4arch9wavefront6targetE1EEEvSK_,"axG",@progbits,_ZN7rocprim17ROCPRIM_400000_NS6detail17trampoline_kernelINS0_14default_configENS1_38merge_sort_block_merge_config_selectorItNS0_10empty_typeEEEZZNS1_27merge_sort_block_merge_implIS3_N6thrust23THRUST_200600_302600_NS6detail15normal_iteratorINS9_10device_ptrItEEEEPS5_m14custom_greaterItEEE10hipError_tT0_T1_T2_jT3_P12ihipStream_tbPNSt15iterator_traitsISJ_E10value_typeEPNSP_ISK_E10value_typeEPSL_NS1_7vsmem_tEENKUlT_SJ_SK_SL_E_clIPtSE_SF_SF_EESI_SY_SJ_SK_SL_EUlSY_E1_NS1_11comp_targetILNS1_3genE10ELNS1_11target_archE1201ELNS1_3gpuE5ELNS1_3repE0EEENS1_36merge_oddeven_config_static_selectorELNS0_4arch9wavefront6targetE1EEEvSK_,comdat
	.protected	_ZN7rocprim17ROCPRIM_400000_NS6detail17trampoline_kernelINS0_14default_configENS1_38merge_sort_block_merge_config_selectorItNS0_10empty_typeEEEZZNS1_27merge_sort_block_merge_implIS3_N6thrust23THRUST_200600_302600_NS6detail15normal_iteratorINS9_10device_ptrItEEEEPS5_m14custom_greaterItEEE10hipError_tT0_T1_T2_jT3_P12ihipStream_tbPNSt15iterator_traitsISJ_E10value_typeEPNSP_ISK_E10value_typeEPSL_NS1_7vsmem_tEENKUlT_SJ_SK_SL_E_clIPtSE_SF_SF_EESI_SY_SJ_SK_SL_EUlSY_E1_NS1_11comp_targetILNS1_3genE10ELNS1_11target_archE1201ELNS1_3gpuE5ELNS1_3repE0EEENS1_36merge_oddeven_config_static_selectorELNS0_4arch9wavefront6targetE1EEEvSK_ ; -- Begin function _ZN7rocprim17ROCPRIM_400000_NS6detail17trampoline_kernelINS0_14default_configENS1_38merge_sort_block_merge_config_selectorItNS0_10empty_typeEEEZZNS1_27merge_sort_block_merge_implIS3_N6thrust23THRUST_200600_302600_NS6detail15normal_iteratorINS9_10device_ptrItEEEEPS5_m14custom_greaterItEEE10hipError_tT0_T1_T2_jT3_P12ihipStream_tbPNSt15iterator_traitsISJ_E10value_typeEPNSP_ISK_E10value_typeEPSL_NS1_7vsmem_tEENKUlT_SJ_SK_SL_E_clIPtSE_SF_SF_EESI_SY_SJ_SK_SL_EUlSY_E1_NS1_11comp_targetILNS1_3genE10ELNS1_11target_archE1201ELNS1_3gpuE5ELNS1_3repE0EEENS1_36merge_oddeven_config_static_selectorELNS0_4arch9wavefront6targetE1EEEvSK_
	.globl	_ZN7rocprim17ROCPRIM_400000_NS6detail17trampoline_kernelINS0_14default_configENS1_38merge_sort_block_merge_config_selectorItNS0_10empty_typeEEEZZNS1_27merge_sort_block_merge_implIS3_N6thrust23THRUST_200600_302600_NS6detail15normal_iteratorINS9_10device_ptrItEEEEPS5_m14custom_greaterItEEE10hipError_tT0_T1_T2_jT3_P12ihipStream_tbPNSt15iterator_traitsISJ_E10value_typeEPNSP_ISK_E10value_typeEPSL_NS1_7vsmem_tEENKUlT_SJ_SK_SL_E_clIPtSE_SF_SF_EESI_SY_SJ_SK_SL_EUlSY_E1_NS1_11comp_targetILNS1_3genE10ELNS1_11target_archE1201ELNS1_3gpuE5ELNS1_3repE0EEENS1_36merge_oddeven_config_static_selectorELNS0_4arch9wavefront6targetE1EEEvSK_
	.p2align	8
	.type	_ZN7rocprim17ROCPRIM_400000_NS6detail17trampoline_kernelINS0_14default_configENS1_38merge_sort_block_merge_config_selectorItNS0_10empty_typeEEEZZNS1_27merge_sort_block_merge_implIS3_N6thrust23THRUST_200600_302600_NS6detail15normal_iteratorINS9_10device_ptrItEEEEPS5_m14custom_greaterItEEE10hipError_tT0_T1_T2_jT3_P12ihipStream_tbPNSt15iterator_traitsISJ_E10value_typeEPNSP_ISK_E10value_typeEPSL_NS1_7vsmem_tEENKUlT_SJ_SK_SL_E_clIPtSE_SF_SF_EESI_SY_SJ_SK_SL_EUlSY_E1_NS1_11comp_targetILNS1_3genE10ELNS1_11target_archE1201ELNS1_3gpuE5ELNS1_3repE0EEENS1_36merge_oddeven_config_static_selectorELNS0_4arch9wavefront6targetE1EEEvSK_,@function
_ZN7rocprim17ROCPRIM_400000_NS6detail17trampoline_kernelINS0_14default_configENS1_38merge_sort_block_merge_config_selectorItNS0_10empty_typeEEEZZNS1_27merge_sort_block_merge_implIS3_N6thrust23THRUST_200600_302600_NS6detail15normal_iteratorINS9_10device_ptrItEEEEPS5_m14custom_greaterItEEE10hipError_tT0_T1_T2_jT3_P12ihipStream_tbPNSt15iterator_traitsISJ_E10value_typeEPNSP_ISK_E10value_typeEPSL_NS1_7vsmem_tEENKUlT_SJ_SK_SL_E_clIPtSE_SF_SF_EESI_SY_SJ_SK_SL_EUlSY_E1_NS1_11comp_targetILNS1_3genE10ELNS1_11target_archE1201ELNS1_3gpuE5ELNS1_3repE0EEENS1_36merge_oddeven_config_static_selectorELNS0_4arch9wavefront6targetE1EEEvSK_: ; @_ZN7rocprim17ROCPRIM_400000_NS6detail17trampoline_kernelINS0_14default_configENS1_38merge_sort_block_merge_config_selectorItNS0_10empty_typeEEEZZNS1_27merge_sort_block_merge_implIS3_N6thrust23THRUST_200600_302600_NS6detail15normal_iteratorINS9_10device_ptrItEEEEPS5_m14custom_greaterItEEE10hipError_tT0_T1_T2_jT3_P12ihipStream_tbPNSt15iterator_traitsISJ_E10value_typeEPNSP_ISK_E10value_typeEPSL_NS1_7vsmem_tEENKUlT_SJ_SK_SL_E_clIPtSE_SF_SF_EESI_SY_SJ_SK_SL_EUlSY_E1_NS1_11comp_targetILNS1_3genE10ELNS1_11target_archE1201ELNS1_3gpuE5ELNS1_3repE0EEENS1_36merge_oddeven_config_static_selectorELNS0_4arch9wavefront6targetE1EEEvSK_
; %bb.0:
	.section	.rodata,"a",@progbits
	.p2align	6, 0x0
	.amdhsa_kernel _ZN7rocprim17ROCPRIM_400000_NS6detail17trampoline_kernelINS0_14default_configENS1_38merge_sort_block_merge_config_selectorItNS0_10empty_typeEEEZZNS1_27merge_sort_block_merge_implIS3_N6thrust23THRUST_200600_302600_NS6detail15normal_iteratorINS9_10device_ptrItEEEEPS5_m14custom_greaterItEEE10hipError_tT0_T1_T2_jT3_P12ihipStream_tbPNSt15iterator_traitsISJ_E10value_typeEPNSP_ISK_E10value_typeEPSL_NS1_7vsmem_tEENKUlT_SJ_SK_SL_E_clIPtSE_SF_SF_EESI_SY_SJ_SK_SL_EUlSY_E1_NS1_11comp_targetILNS1_3genE10ELNS1_11target_archE1201ELNS1_3gpuE5ELNS1_3repE0EEENS1_36merge_oddeven_config_static_selectorELNS0_4arch9wavefront6targetE1EEEvSK_
		.amdhsa_group_segment_fixed_size 0
		.amdhsa_private_segment_fixed_size 0
		.amdhsa_kernarg_size 56
		.amdhsa_user_sgpr_count 6
		.amdhsa_user_sgpr_private_segment_buffer 1
		.amdhsa_user_sgpr_dispatch_ptr 0
		.amdhsa_user_sgpr_queue_ptr 0
		.amdhsa_user_sgpr_kernarg_segment_ptr 1
		.amdhsa_user_sgpr_dispatch_id 0
		.amdhsa_user_sgpr_flat_scratch_init 0
		.amdhsa_user_sgpr_kernarg_preload_length 0
		.amdhsa_user_sgpr_kernarg_preload_offset 0
		.amdhsa_user_sgpr_private_segment_size 0
		.amdhsa_uses_dynamic_stack 0
		.amdhsa_system_sgpr_private_segment_wavefront_offset 0
		.amdhsa_system_sgpr_workgroup_id_x 1
		.amdhsa_system_sgpr_workgroup_id_y 0
		.amdhsa_system_sgpr_workgroup_id_z 0
		.amdhsa_system_sgpr_workgroup_info 0
		.amdhsa_system_vgpr_workitem_id 0
		.amdhsa_next_free_vgpr 1
		.amdhsa_next_free_sgpr 0
		.amdhsa_accum_offset 4
		.amdhsa_reserve_vcc 0
		.amdhsa_reserve_flat_scratch 0
		.amdhsa_float_round_mode_32 0
		.amdhsa_float_round_mode_16_64 0
		.amdhsa_float_denorm_mode_32 3
		.amdhsa_float_denorm_mode_16_64 3
		.amdhsa_dx10_clamp 1
		.amdhsa_ieee_mode 1
		.amdhsa_fp16_overflow 0
		.amdhsa_tg_split 0
		.amdhsa_exception_fp_ieee_invalid_op 0
		.amdhsa_exception_fp_denorm_src 0
		.amdhsa_exception_fp_ieee_div_zero 0
		.amdhsa_exception_fp_ieee_overflow 0
		.amdhsa_exception_fp_ieee_underflow 0
		.amdhsa_exception_fp_ieee_inexact 0
		.amdhsa_exception_int_div_zero 0
	.end_amdhsa_kernel
	.section	.text._ZN7rocprim17ROCPRIM_400000_NS6detail17trampoline_kernelINS0_14default_configENS1_38merge_sort_block_merge_config_selectorItNS0_10empty_typeEEEZZNS1_27merge_sort_block_merge_implIS3_N6thrust23THRUST_200600_302600_NS6detail15normal_iteratorINS9_10device_ptrItEEEEPS5_m14custom_greaterItEEE10hipError_tT0_T1_T2_jT3_P12ihipStream_tbPNSt15iterator_traitsISJ_E10value_typeEPNSP_ISK_E10value_typeEPSL_NS1_7vsmem_tEENKUlT_SJ_SK_SL_E_clIPtSE_SF_SF_EESI_SY_SJ_SK_SL_EUlSY_E1_NS1_11comp_targetILNS1_3genE10ELNS1_11target_archE1201ELNS1_3gpuE5ELNS1_3repE0EEENS1_36merge_oddeven_config_static_selectorELNS0_4arch9wavefront6targetE1EEEvSK_,"axG",@progbits,_ZN7rocprim17ROCPRIM_400000_NS6detail17trampoline_kernelINS0_14default_configENS1_38merge_sort_block_merge_config_selectorItNS0_10empty_typeEEEZZNS1_27merge_sort_block_merge_implIS3_N6thrust23THRUST_200600_302600_NS6detail15normal_iteratorINS9_10device_ptrItEEEEPS5_m14custom_greaterItEEE10hipError_tT0_T1_T2_jT3_P12ihipStream_tbPNSt15iterator_traitsISJ_E10value_typeEPNSP_ISK_E10value_typeEPSL_NS1_7vsmem_tEENKUlT_SJ_SK_SL_E_clIPtSE_SF_SF_EESI_SY_SJ_SK_SL_EUlSY_E1_NS1_11comp_targetILNS1_3genE10ELNS1_11target_archE1201ELNS1_3gpuE5ELNS1_3repE0EEENS1_36merge_oddeven_config_static_selectorELNS0_4arch9wavefront6targetE1EEEvSK_,comdat
.Lfunc_end3030:
	.size	_ZN7rocprim17ROCPRIM_400000_NS6detail17trampoline_kernelINS0_14default_configENS1_38merge_sort_block_merge_config_selectorItNS0_10empty_typeEEEZZNS1_27merge_sort_block_merge_implIS3_N6thrust23THRUST_200600_302600_NS6detail15normal_iteratorINS9_10device_ptrItEEEEPS5_m14custom_greaterItEEE10hipError_tT0_T1_T2_jT3_P12ihipStream_tbPNSt15iterator_traitsISJ_E10value_typeEPNSP_ISK_E10value_typeEPSL_NS1_7vsmem_tEENKUlT_SJ_SK_SL_E_clIPtSE_SF_SF_EESI_SY_SJ_SK_SL_EUlSY_E1_NS1_11comp_targetILNS1_3genE10ELNS1_11target_archE1201ELNS1_3gpuE5ELNS1_3repE0EEENS1_36merge_oddeven_config_static_selectorELNS0_4arch9wavefront6targetE1EEEvSK_, .Lfunc_end3030-_ZN7rocprim17ROCPRIM_400000_NS6detail17trampoline_kernelINS0_14default_configENS1_38merge_sort_block_merge_config_selectorItNS0_10empty_typeEEEZZNS1_27merge_sort_block_merge_implIS3_N6thrust23THRUST_200600_302600_NS6detail15normal_iteratorINS9_10device_ptrItEEEEPS5_m14custom_greaterItEEE10hipError_tT0_T1_T2_jT3_P12ihipStream_tbPNSt15iterator_traitsISJ_E10value_typeEPNSP_ISK_E10value_typeEPSL_NS1_7vsmem_tEENKUlT_SJ_SK_SL_E_clIPtSE_SF_SF_EESI_SY_SJ_SK_SL_EUlSY_E1_NS1_11comp_targetILNS1_3genE10ELNS1_11target_archE1201ELNS1_3gpuE5ELNS1_3repE0EEENS1_36merge_oddeven_config_static_selectorELNS0_4arch9wavefront6targetE1EEEvSK_
                                        ; -- End function
	.section	.AMDGPU.csdata,"",@progbits
; Kernel info:
; codeLenInByte = 0
; NumSgprs: 4
; NumVgprs: 0
; NumAgprs: 0
; TotalNumVgprs: 0
; ScratchSize: 0
; MemoryBound: 0
; FloatMode: 240
; IeeeMode: 1
; LDSByteSize: 0 bytes/workgroup (compile time only)
; SGPRBlocks: 0
; VGPRBlocks: 0
; NumSGPRsForWavesPerEU: 4
; NumVGPRsForWavesPerEU: 1
; AccumOffset: 4
; Occupancy: 8
; WaveLimiterHint : 0
; COMPUTE_PGM_RSRC2:SCRATCH_EN: 0
; COMPUTE_PGM_RSRC2:USER_SGPR: 6
; COMPUTE_PGM_RSRC2:TRAP_HANDLER: 0
; COMPUTE_PGM_RSRC2:TGID_X_EN: 1
; COMPUTE_PGM_RSRC2:TGID_Y_EN: 0
; COMPUTE_PGM_RSRC2:TGID_Z_EN: 0
; COMPUTE_PGM_RSRC2:TIDIG_COMP_CNT: 0
; COMPUTE_PGM_RSRC3_GFX90A:ACCUM_OFFSET: 0
; COMPUTE_PGM_RSRC3_GFX90A:TG_SPLIT: 0
	.section	.text._ZN7rocprim17ROCPRIM_400000_NS6detail17trampoline_kernelINS0_14default_configENS1_38merge_sort_block_merge_config_selectorItNS0_10empty_typeEEEZZNS1_27merge_sort_block_merge_implIS3_N6thrust23THRUST_200600_302600_NS6detail15normal_iteratorINS9_10device_ptrItEEEEPS5_m14custom_greaterItEEE10hipError_tT0_T1_T2_jT3_P12ihipStream_tbPNSt15iterator_traitsISJ_E10value_typeEPNSP_ISK_E10value_typeEPSL_NS1_7vsmem_tEENKUlT_SJ_SK_SL_E_clIPtSE_SF_SF_EESI_SY_SJ_SK_SL_EUlSY_E1_NS1_11comp_targetILNS1_3genE5ELNS1_11target_archE942ELNS1_3gpuE9ELNS1_3repE0EEENS1_36merge_oddeven_config_static_selectorELNS0_4arch9wavefront6targetE1EEEvSK_,"axG",@progbits,_ZN7rocprim17ROCPRIM_400000_NS6detail17trampoline_kernelINS0_14default_configENS1_38merge_sort_block_merge_config_selectorItNS0_10empty_typeEEEZZNS1_27merge_sort_block_merge_implIS3_N6thrust23THRUST_200600_302600_NS6detail15normal_iteratorINS9_10device_ptrItEEEEPS5_m14custom_greaterItEEE10hipError_tT0_T1_T2_jT3_P12ihipStream_tbPNSt15iterator_traitsISJ_E10value_typeEPNSP_ISK_E10value_typeEPSL_NS1_7vsmem_tEENKUlT_SJ_SK_SL_E_clIPtSE_SF_SF_EESI_SY_SJ_SK_SL_EUlSY_E1_NS1_11comp_targetILNS1_3genE5ELNS1_11target_archE942ELNS1_3gpuE9ELNS1_3repE0EEENS1_36merge_oddeven_config_static_selectorELNS0_4arch9wavefront6targetE1EEEvSK_,comdat
	.protected	_ZN7rocprim17ROCPRIM_400000_NS6detail17trampoline_kernelINS0_14default_configENS1_38merge_sort_block_merge_config_selectorItNS0_10empty_typeEEEZZNS1_27merge_sort_block_merge_implIS3_N6thrust23THRUST_200600_302600_NS6detail15normal_iteratorINS9_10device_ptrItEEEEPS5_m14custom_greaterItEEE10hipError_tT0_T1_T2_jT3_P12ihipStream_tbPNSt15iterator_traitsISJ_E10value_typeEPNSP_ISK_E10value_typeEPSL_NS1_7vsmem_tEENKUlT_SJ_SK_SL_E_clIPtSE_SF_SF_EESI_SY_SJ_SK_SL_EUlSY_E1_NS1_11comp_targetILNS1_3genE5ELNS1_11target_archE942ELNS1_3gpuE9ELNS1_3repE0EEENS1_36merge_oddeven_config_static_selectorELNS0_4arch9wavefront6targetE1EEEvSK_ ; -- Begin function _ZN7rocprim17ROCPRIM_400000_NS6detail17trampoline_kernelINS0_14default_configENS1_38merge_sort_block_merge_config_selectorItNS0_10empty_typeEEEZZNS1_27merge_sort_block_merge_implIS3_N6thrust23THRUST_200600_302600_NS6detail15normal_iteratorINS9_10device_ptrItEEEEPS5_m14custom_greaterItEEE10hipError_tT0_T1_T2_jT3_P12ihipStream_tbPNSt15iterator_traitsISJ_E10value_typeEPNSP_ISK_E10value_typeEPSL_NS1_7vsmem_tEENKUlT_SJ_SK_SL_E_clIPtSE_SF_SF_EESI_SY_SJ_SK_SL_EUlSY_E1_NS1_11comp_targetILNS1_3genE5ELNS1_11target_archE942ELNS1_3gpuE9ELNS1_3repE0EEENS1_36merge_oddeven_config_static_selectorELNS0_4arch9wavefront6targetE1EEEvSK_
	.globl	_ZN7rocprim17ROCPRIM_400000_NS6detail17trampoline_kernelINS0_14default_configENS1_38merge_sort_block_merge_config_selectorItNS0_10empty_typeEEEZZNS1_27merge_sort_block_merge_implIS3_N6thrust23THRUST_200600_302600_NS6detail15normal_iteratorINS9_10device_ptrItEEEEPS5_m14custom_greaterItEEE10hipError_tT0_T1_T2_jT3_P12ihipStream_tbPNSt15iterator_traitsISJ_E10value_typeEPNSP_ISK_E10value_typeEPSL_NS1_7vsmem_tEENKUlT_SJ_SK_SL_E_clIPtSE_SF_SF_EESI_SY_SJ_SK_SL_EUlSY_E1_NS1_11comp_targetILNS1_3genE5ELNS1_11target_archE942ELNS1_3gpuE9ELNS1_3repE0EEENS1_36merge_oddeven_config_static_selectorELNS0_4arch9wavefront6targetE1EEEvSK_
	.p2align	8
	.type	_ZN7rocprim17ROCPRIM_400000_NS6detail17trampoline_kernelINS0_14default_configENS1_38merge_sort_block_merge_config_selectorItNS0_10empty_typeEEEZZNS1_27merge_sort_block_merge_implIS3_N6thrust23THRUST_200600_302600_NS6detail15normal_iteratorINS9_10device_ptrItEEEEPS5_m14custom_greaterItEEE10hipError_tT0_T1_T2_jT3_P12ihipStream_tbPNSt15iterator_traitsISJ_E10value_typeEPNSP_ISK_E10value_typeEPSL_NS1_7vsmem_tEENKUlT_SJ_SK_SL_E_clIPtSE_SF_SF_EESI_SY_SJ_SK_SL_EUlSY_E1_NS1_11comp_targetILNS1_3genE5ELNS1_11target_archE942ELNS1_3gpuE9ELNS1_3repE0EEENS1_36merge_oddeven_config_static_selectorELNS0_4arch9wavefront6targetE1EEEvSK_,@function
_ZN7rocprim17ROCPRIM_400000_NS6detail17trampoline_kernelINS0_14default_configENS1_38merge_sort_block_merge_config_selectorItNS0_10empty_typeEEEZZNS1_27merge_sort_block_merge_implIS3_N6thrust23THRUST_200600_302600_NS6detail15normal_iteratorINS9_10device_ptrItEEEEPS5_m14custom_greaterItEEE10hipError_tT0_T1_T2_jT3_P12ihipStream_tbPNSt15iterator_traitsISJ_E10value_typeEPNSP_ISK_E10value_typeEPSL_NS1_7vsmem_tEENKUlT_SJ_SK_SL_E_clIPtSE_SF_SF_EESI_SY_SJ_SK_SL_EUlSY_E1_NS1_11comp_targetILNS1_3genE5ELNS1_11target_archE942ELNS1_3gpuE9ELNS1_3repE0EEENS1_36merge_oddeven_config_static_selectorELNS0_4arch9wavefront6targetE1EEEvSK_: ; @_ZN7rocprim17ROCPRIM_400000_NS6detail17trampoline_kernelINS0_14default_configENS1_38merge_sort_block_merge_config_selectorItNS0_10empty_typeEEEZZNS1_27merge_sort_block_merge_implIS3_N6thrust23THRUST_200600_302600_NS6detail15normal_iteratorINS9_10device_ptrItEEEEPS5_m14custom_greaterItEEE10hipError_tT0_T1_T2_jT3_P12ihipStream_tbPNSt15iterator_traitsISJ_E10value_typeEPNSP_ISK_E10value_typeEPSL_NS1_7vsmem_tEENKUlT_SJ_SK_SL_E_clIPtSE_SF_SF_EESI_SY_SJ_SK_SL_EUlSY_E1_NS1_11comp_targetILNS1_3genE5ELNS1_11target_archE942ELNS1_3gpuE9ELNS1_3repE0EEENS1_36merge_oddeven_config_static_selectorELNS0_4arch9wavefront6targetE1EEEvSK_
; %bb.0:
	.section	.rodata,"a",@progbits
	.p2align	6, 0x0
	.amdhsa_kernel _ZN7rocprim17ROCPRIM_400000_NS6detail17trampoline_kernelINS0_14default_configENS1_38merge_sort_block_merge_config_selectorItNS0_10empty_typeEEEZZNS1_27merge_sort_block_merge_implIS3_N6thrust23THRUST_200600_302600_NS6detail15normal_iteratorINS9_10device_ptrItEEEEPS5_m14custom_greaterItEEE10hipError_tT0_T1_T2_jT3_P12ihipStream_tbPNSt15iterator_traitsISJ_E10value_typeEPNSP_ISK_E10value_typeEPSL_NS1_7vsmem_tEENKUlT_SJ_SK_SL_E_clIPtSE_SF_SF_EESI_SY_SJ_SK_SL_EUlSY_E1_NS1_11comp_targetILNS1_3genE5ELNS1_11target_archE942ELNS1_3gpuE9ELNS1_3repE0EEENS1_36merge_oddeven_config_static_selectorELNS0_4arch9wavefront6targetE1EEEvSK_
		.amdhsa_group_segment_fixed_size 0
		.amdhsa_private_segment_fixed_size 0
		.amdhsa_kernarg_size 56
		.amdhsa_user_sgpr_count 6
		.amdhsa_user_sgpr_private_segment_buffer 1
		.amdhsa_user_sgpr_dispatch_ptr 0
		.amdhsa_user_sgpr_queue_ptr 0
		.amdhsa_user_sgpr_kernarg_segment_ptr 1
		.amdhsa_user_sgpr_dispatch_id 0
		.amdhsa_user_sgpr_flat_scratch_init 0
		.amdhsa_user_sgpr_kernarg_preload_length 0
		.amdhsa_user_sgpr_kernarg_preload_offset 0
		.amdhsa_user_sgpr_private_segment_size 0
		.amdhsa_uses_dynamic_stack 0
		.amdhsa_system_sgpr_private_segment_wavefront_offset 0
		.amdhsa_system_sgpr_workgroup_id_x 1
		.amdhsa_system_sgpr_workgroup_id_y 0
		.amdhsa_system_sgpr_workgroup_id_z 0
		.amdhsa_system_sgpr_workgroup_info 0
		.amdhsa_system_vgpr_workitem_id 0
		.amdhsa_next_free_vgpr 1
		.amdhsa_next_free_sgpr 0
		.amdhsa_accum_offset 4
		.amdhsa_reserve_vcc 0
		.amdhsa_reserve_flat_scratch 0
		.amdhsa_float_round_mode_32 0
		.amdhsa_float_round_mode_16_64 0
		.amdhsa_float_denorm_mode_32 3
		.amdhsa_float_denorm_mode_16_64 3
		.amdhsa_dx10_clamp 1
		.amdhsa_ieee_mode 1
		.amdhsa_fp16_overflow 0
		.amdhsa_tg_split 0
		.amdhsa_exception_fp_ieee_invalid_op 0
		.amdhsa_exception_fp_denorm_src 0
		.amdhsa_exception_fp_ieee_div_zero 0
		.amdhsa_exception_fp_ieee_overflow 0
		.amdhsa_exception_fp_ieee_underflow 0
		.amdhsa_exception_fp_ieee_inexact 0
		.amdhsa_exception_int_div_zero 0
	.end_amdhsa_kernel
	.section	.text._ZN7rocprim17ROCPRIM_400000_NS6detail17trampoline_kernelINS0_14default_configENS1_38merge_sort_block_merge_config_selectorItNS0_10empty_typeEEEZZNS1_27merge_sort_block_merge_implIS3_N6thrust23THRUST_200600_302600_NS6detail15normal_iteratorINS9_10device_ptrItEEEEPS5_m14custom_greaterItEEE10hipError_tT0_T1_T2_jT3_P12ihipStream_tbPNSt15iterator_traitsISJ_E10value_typeEPNSP_ISK_E10value_typeEPSL_NS1_7vsmem_tEENKUlT_SJ_SK_SL_E_clIPtSE_SF_SF_EESI_SY_SJ_SK_SL_EUlSY_E1_NS1_11comp_targetILNS1_3genE5ELNS1_11target_archE942ELNS1_3gpuE9ELNS1_3repE0EEENS1_36merge_oddeven_config_static_selectorELNS0_4arch9wavefront6targetE1EEEvSK_,"axG",@progbits,_ZN7rocprim17ROCPRIM_400000_NS6detail17trampoline_kernelINS0_14default_configENS1_38merge_sort_block_merge_config_selectorItNS0_10empty_typeEEEZZNS1_27merge_sort_block_merge_implIS3_N6thrust23THRUST_200600_302600_NS6detail15normal_iteratorINS9_10device_ptrItEEEEPS5_m14custom_greaterItEEE10hipError_tT0_T1_T2_jT3_P12ihipStream_tbPNSt15iterator_traitsISJ_E10value_typeEPNSP_ISK_E10value_typeEPSL_NS1_7vsmem_tEENKUlT_SJ_SK_SL_E_clIPtSE_SF_SF_EESI_SY_SJ_SK_SL_EUlSY_E1_NS1_11comp_targetILNS1_3genE5ELNS1_11target_archE942ELNS1_3gpuE9ELNS1_3repE0EEENS1_36merge_oddeven_config_static_selectorELNS0_4arch9wavefront6targetE1EEEvSK_,comdat
.Lfunc_end3031:
	.size	_ZN7rocprim17ROCPRIM_400000_NS6detail17trampoline_kernelINS0_14default_configENS1_38merge_sort_block_merge_config_selectorItNS0_10empty_typeEEEZZNS1_27merge_sort_block_merge_implIS3_N6thrust23THRUST_200600_302600_NS6detail15normal_iteratorINS9_10device_ptrItEEEEPS5_m14custom_greaterItEEE10hipError_tT0_T1_T2_jT3_P12ihipStream_tbPNSt15iterator_traitsISJ_E10value_typeEPNSP_ISK_E10value_typeEPSL_NS1_7vsmem_tEENKUlT_SJ_SK_SL_E_clIPtSE_SF_SF_EESI_SY_SJ_SK_SL_EUlSY_E1_NS1_11comp_targetILNS1_3genE5ELNS1_11target_archE942ELNS1_3gpuE9ELNS1_3repE0EEENS1_36merge_oddeven_config_static_selectorELNS0_4arch9wavefront6targetE1EEEvSK_, .Lfunc_end3031-_ZN7rocprim17ROCPRIM_400000_NS6detail17trampoline_kernelINS0_14default_configENS1_38merge_sort_block_merge_config_selectorItNS0_10empty_typeEEEZZNS1_27merge_sort_block_merge_implIS3_N6thrust23THRUST_200600_302600_NS6detail15normal_iteratorINS9_10device_ptrItEEEEPS5_m14custom_greaterItEEE10hipError_tT0_T1_T2_jT3_P12ihipStream_tbPNSt15iterator_traitsISJ_E10value_typeEPNSP_ISK_E10value_typeEPSL_NS1_7vsmem_tEENKUlT_SJ_SK_SL_E_clIPtSE_SF_SF_EESI_SY_SJ_SK_SL_EUlSY_E1_NS1_11comp_targetILNS1_3genE5ELNS1_11target_archE942ELNS1_3gpuE9ELNS1_3repE0EEENS1_36merge_oddeven_config_static_selectorELNS0_4arch9wavefront6targetE1EEEvSK_
                                        ; -- End function
	.section	.AMDGPU.csdata,"",@progbits
; Kernel info:
; codeLenInByte = 0
; NumSgprs: 4
; NumVgprs: 0
; NumAgprs: 0
; TotalNumVgprs: 0
; ScratchSize: 0
; MemoryBound: 0
; FloatMode: 240
; IeeeMode: 1
; LDSByteSize: 0 bytes/workgroup (compile time only)
; SGPRBlocks: 0
; VGPRBlocks: 0
; NumSGPRsForWavesPerEU: 4
; NumVGPRsForWavesPerEU: 1
; AccumOffset: 4
; Occupancy: 8
; WaveLimiterHint : 0
; COMPUTE_PGM_RSRC2:SCRATCH_EN: 0
; COMPUTE_PGM_RSRC2:USER_SGPR: 6
; COMPUTE_PGM_RSRC2:TRAP_HANDLER: 0
; COMPUTE_PGM_RSRC2:TGID_X_EN: 1
; COMPUTE_PGM_RSRC2:TGID_Y_EN: 0
; COMPUTE_PGM_RSRC2:TGID_Z_EN: 0
; COMPUTE_PGM_RSRC2:TIDIG_COMP_CNT: 0
; COMPUTE_PGM_RSRC3_GFX90A:ACCUM_OFFSET: 0
; COMPUTE_PGM_RSRC3_GFX90A:TG_SPLIT: 0
	.section	.text._ZN7rocprim17ROCPRIM_400000_NS6detail17trampoline_kernelINS0_14default_configENS1_38merge_sort_block_merge_config_selectorItNS0_10empty_typeEEEZZNS1_27merge_sort_block_merge_implIS3_N6thrust23THRUST_200600_302600_NS6detail15normal_iteratorINS9_10device_ptrItEEEEPS5_m14custom_greaterItEEE10hipError_tT0_T1_T2_jT3_P12ihipStream_tbPNSt15iterator_traitsISJ_E10value_typeEPNSP_ISK_E10value_typeEPSL_NS1_7vsmem_tEENKUlT_SJ_SK_SL_E_clIPtSE_SF_SF_EESI_SY_SJ_SK_SL_EUlSY_E1_NS1_11comp_targetILNS1_3genE4ELNS1_11target_archE910ELNS1_3gpuE8ELNS1_3repE0EEENS1_36merge_oddeven_config_static_selectorELNS0_4arch9wavefront6targetE1EEEvSK_,"axG",@progbits,_ZN7rocprim17ROCPRIM_400000_NS6detail17trampoline_kernelINS0_14default_configENS1_38merge_sort_block_merge_config_selectorItNS0_10empty_typeEEEZZNS1_27merge_sort_block_merge_implIS3_N6thrust23THRUST_200600_302600_NS6detail15normal_iteratorINS9_10device_ptrItEEEEPS5_m14custom_greaterItEEE10hipError_tT0_T1_T2_jT3_P12ihipStream_tbPNSt15iterator_traitsISJ_E10value_typeEPNSP_ISK_E10value_typeEPSL_NS1_7vsmem_tEENKUlT_SJ_SK_SL_E_clIPtSE_SF_SF_EESI_SY_SJ_SK_SL_EUlSY_E1_NS1_11comp_targetILNS1_3genE4ELNS1_11target_archE910ELNS1_3gpuE8ELNS1_3repE0EEENS1_36merge_oddeven_config_static_selectorELNS0_4arch9wavefront6targetE1EEEvSK_,comdat
	.protected	_ZN7rocprim17ROCPRIM_400000_NS6detail17trampoline_kernelINS0_14default_configENS1_38merge_sort_block_merge_config_selectorItNS0_10empty_typeEEEZZNS1_27merge_sort_block_merge_implIS3_N6thrust23THRUST_200600_302600_NS6detail15normal_iteratorINS9_10device_ptrItEEEEPS5_m14custom_greaterItEEE10hipError_tT0_T1_T2_jT3_P12ihipStream_tbPNSt15iterator_traitsISJ_E10value_typeEPNSP_ISK_E10value_typeEPSL_NS1_7vsmem_tEENKUlT_SJ_SK_SL_E_clIPtSE_SF_SF_EESI_SY_SJ_SK_SL_EUlSY_E1_NS1_11comp_targetILNS1_3genE4ELNS1_11target_archE910ELNS1_3gpuE8ELNS1_3repE0EEENS1_36merge_oddeven_config_static_selectorELNS0_4arch9wavefront6targetE1EEEvSK_ ; -- Begin function _ZN7rocprim17ROCPRIM_400000_NS6detail17trampoline_kernelINS0_14default_configENS1_38merge_sort_block_merge_config_selectorItNS0_10empty_typeEEEZZNS1_27merge_sort_block_merge_implIS3_N6thrust23THRUST_200600_302600_NS6detail15normal_iteratorINS9_10device_ptrItEEEEPS5_m14custom_greaterItEEE10hipError_tT0_T1_T2_jT3_P12ihipStream_tbPNSt15iterator_traitsISJ_E10value_typeEPNSP_ISK_E10value_typeEPSL_NS1_7vsmem_tEENKUlT_SJ_SK_SL_E_clIPtSE_SF_SF_EESI_SY_SJ_SK_SL_EUlSY_E1_NS1_11comp_targetILNS1_3genE4ELNS1_11target_archE910ELNS1_3gpuE8ELNS1_3repE0EEENS1_36merge_oddeven_config_static_selectorELNS0_4arch9wavefront6targetE1EEEvSK_
	.globl	_ZN7rocprim17ROCPRIM_400000_NS6detail17trampoline_kernelINS0_14default_configENS1_38merge_sort_block_merge_config_selectorItNS0_10empty_typeEEEZZNS1_27merge_sort_block_merge_implIS3_N6thrust23THRUST_200600_302600_NS6detail15normal_iteratorINS9_10device_ptrItEEEEPS5_m14custom_greaterItEEE10hipError_tT0_T1_T2_jT3_P12ihipStream_tbPNSt15iterator_traitsISJ_E10value_typeEPNSP_ISK_E10value_typeEPSL_NS1_7vsmem_tEENKUlT_SJ_SK_SL_E_clIPtSE_SF_SF_EESI_SY_SJ_SK_SL_EUlSY_E1_NS1_11comp_targetILNS1_3genE4ELNS1_11target_archE910ELNS1_3gpuE8ELNS1_3repE0EEENS1_36merge_oddeven_config_static_selectorELNS0_4arch9wavefront6targetE1EEEvSK_
	.p2align	8
	.type	_ZN7rocprim17ROCPRIM_400000_NS6detail17trampoline_kernelINS0_14default_configENS1_38merge_sort_block_merge_config_selectorItNS0_10empty_typeEEEZZNS1_27merge_sort_block_merge_implIS3_N6thrust23THRUST_200600_302600_NS6detail15normal_iteratorINS9_10device_ptrItEEEEPS5_m14custom_greaterItEEE10hipError_tT0_T1_T2_jT3_P12ihipStream_tbPNSt15iterator_traitsISJ_E10value_typeEPNSP_ISK_E10value_typeEPSL_NS1_7vsmem_tEENKUlT_SJ_SK_SL_E_clIPtSE_SF_SF_EESI_SY_SJ_SK_SL_EUlSY_E1_NS1_11comp_targetILNS1_3genE4ELNS1_11target_archE910ELNS1_3gpuE8ELNS1_3repE0EEENS1_36merge_oddeven_config_static_selectorELNS0_4arch9wavefront6targetE1EEEvSK_,@function
_ZN7rocprim17ROCPRIM_400000_NS6detail17trampoline_kernelINS0_14default_configENS1_38merge_sort_block_merge_config_selectorItNS0_10empty_typeEEEZZNS1_27merge_sort_block_merge_implIS3_N6thrust23THRUST_200600_302600_NS6detail15normal_iteratorINS9_10device_ptrItEEEEPS5_m14custom_greaterItEEE10hipError_tT0_T1_T2_jT3_P12ihipStream_tbPNSt15iterator_traitsISJ_E10value_typeEPNSP_ISK_E10value_typeEPSL_NS1_7vsmem_tEENKUlT_SJ_SK_SL_E_clIPtSE_SF_SF_EESI_SY_SJ_SK_SL_EUlSY_E1_NS1_11comp_targetILNS1_3genE4ELNS1_11target_archE910ELNS1_3gpuE8ELNS1_3repE0EEENS1_36merge_oddeven_config_static_selectorELNS0_4arch9wavefront6targetE1EEEvSK_: ; @_ZN7rocprim17ROCPRIM_400000_NS6detail17trampoline_kernelINS0_14default_configENS1_38merge_sort_block_merge_config_selectorItNS0_10empty_typeEEEZZNS1_27merge_sort_block_merge_implIS3_N6thrust23THRUST_200600_302600_NS6detail15normal_iteratorINS9_10device_ptrItEEEEPS5_m14custom_greaterItEEE10hipError_tT0_T1_T2_jT3_P12ihipStream_tbPNSt15iterator_traitsISJ_E10value_typeEPNSP_ISK_E10value_typeEPSL_NS1_7vsmem_tEENKUlT_SJ_SK_SL_E_clIPtSE_SF_SF_EESI_SY_SJ_SK_SL_EUlSY_E1_NS1_11comp_targetILNS1_3genE4ELNS1_11target_archE910ELNS1_3gpuE8ELNS1_3repE0EEENS1_36merge_oddeven_config_static_selectorELNS0_4arch9wavefront6targetE1EEEvSK_
; %bb.0:
	s_load_dword s18, s[4:5], 0x20
	s_waitcnt lgkmcnt(0)
	s_lshr_b32 s0, s18, 8
	s_cmp_lg_u32 s6, s0
	s_cselect_b64 s[14:15], -1, 0
	s_cmp_eq_u32 s6, s0
	s_cselect_b64 s[12:13], -1, 0
	s_lshl_b32 s16, s6, 8
	s_sub_i32 s0, s18, s16
	v_cmp_gt_u32_e64 s[2:3], s0, v0
	s_or_b64 s[0:1], s[14:15], s[2:3]
	s_and_saveexec_b64 s[8:9], s[0:1]
	s_cbranch_execz .LBB3032_20
; %bb.1:
	s_load_dwordx4 s[8:11], s[4:5], 0x0
	s_load_dword s19, s[4:5], 0x28
	s_mov_b32 s17, 0
	s_lshl_b64 s[0:1], s[16:17], 1
	v_lshlrev_b32_e32 v1, 1, v0
	s_waitcnt lgkmcnt(0)
	s_add_u32 s0, s8, s0
	s_addc_u32 s1, s9, s1
	global_load_ushort v2, v1, s[0:1]
	s_lshr_b32 s0, s19, 8
	s_sub_i32 s1, 0, s0
	s_and_b32 s1, s6, s1
	s_and_b32 s0, s1, s0
	s_lshl_b32 s20, s1, 8
	s_sub_i32 s6, 0, s19
	s_cmp_eq_u32 s0, 0
	s_cselect_b64 s[0:1], -1, 0
	s_and_b64 s[4:5], s[0:1], exec
	s_cselect_b32 s17, s19, s6
	s_add_i32 s17, s17, s20
	s_cmp_lt_u32 s17, s18
	v_add_u32_e32 v0, s16, v0
	s_cbranch_scc1 .LBB3032_3
; %bb.2:
	v_cmp_gt_u32_e32 vcc, s18, v0
	s_or_b64 s[4:5], vcc, s[14:15]
	s_and_b64 s[4:5], s[4:5], exec
	s_cbranch_execz .LBB3032_4
	s_branch .LBB3032_18
.LBB3032_3:
	s_mov_b64 s[4:5], 0
.LBB3032_4:
	s_min_u32 s14, s17, s18
	s_add_i32 s6, s14, s19
	s_min_u32 s15, s6, s18
	s_min_u32 s6, s20, s14
	s_add_i32 s20, s20, s14
	v_subrev_u32_e32 v0, s20, v0
	v_add_u32_e32 v1, s6, v0
	s_and_b64 vcc, exec, s[12:13]
	s_cbranch_vccz .LBB3032_12
; %bb.5:
                                        ; implicit-def: $vgpr0
	s_and_saveexec_b64 s[6:7], s[2:3]
	s_cbranch_execz .LBB3032_11
; %bb.6:
	s_cmp_ge_u32 s17, s15
	v_mov_b32_e32 v0, s14
	s_cbranch_scc1 .LBB3032_10
; %bb.7:
	s_mov_b64 s[2:3], 0
	v_mov_b32_e32 v3, s15
	v_mov_b32_e32 v0, s14
.LBB3032_8:                             ; =>This Inner Loop Header: Depth=1
	v_add_u32_e32 v4, v0, v3
	v_and_b32_e32 v5, -2, v4
	global_load_ushort v5, v5, s[8:9]
	v_lshrrev_b32_e32 v4, 1, v4
	v_add_u32_e32 v6, 1, v4
	s_waitcnt vmcnt(0)
	v_cmp_gt_u16_e32 vcc, v2, v5
	v_cndmask_b32_e64 v7, 0, 1, vcc
	v_cmp_le_u16_e32 vcc, v5, v2
	v_cndmask_b32_e64 v5, 0, 1, vcc
	v_cndmask_b32_e64 v5, v5, v7, s[0:1]
	v_and_b32_e32 v5, 1, v5
	v_cmp_eq_u32_e32 vcc, 1, v5
	v_cndmask_b32_e32 v3, v4, v3, vcc
	v_cndmask_b32_e32 v0, v0, v6, vcc
	v_cmp_ge_u32_e32 vcc, v0, v3
	s_or_b64 s[2:3], vcc, s[2:3]
	s_andn2_b64 exec, exec, s[2:3]
	s_cbranch_execnz .LBB3032_8
; %bb.9:
	s_or_b64 exec, exec, s[2:3]
.LBB3032_10:
	v_add_u32_e32 v0, v0, v1
	s_or_b64 s[4:5], s[4:5], exec
.LBB3032_11:
	s_or_b64 exec, exec, s[6:7]
	s_branch .LBB3032_18
.LBB3032_12:
                                        ; implicit-def: $vgpr0
	s_cbranch_execz .LBB3032_18
; %bb.13:
	s_cmp_ge_u32 s17, s15
	v_mov_b32_e32 v0, s14
	s_cbranch_scc1 .LBB3032_17
; %bb.14:
	s_mov_b64 s[2:3], 0
	v_mov_b32_e32 v3, s15
	v_mov_b32_e32 v0, s14
.LBB3032_15:                            ; =>This Inner Loop Header: Depth=1
	v_add_u32_e32 v4, v0, v3
	v_and_b32_e32 v5, -2, v4
	global_load_ushort v5, v5, s[8:9]
	v_lshrrev_b32_e32 v4, 1, v4
	v_add_u32_e32 v6, 1, v4
	s_waitcnt vmcnt(0)
	v_cmp_gt_u16_e32 vcc, v2, v5
	v_cndmask_b32_e64 v7, 0, 1, vcc
	v_cmp_le_u16_e32 vcc, v5, v2
	v_cndmask_b32_e64 v5, 0, 1, vcc
	v_cndmask_b32_e64 v5, v5, v7, s[0:1]
	v_and_b32_e32 v5, 1, v5
	v_cmp_eq_u32_e32 vcc, 1, v5
	v_cndmask_b32_e32 v3, v4, v3, vcc
	v_cndmask_b32_e32 v0, v0, v6, vcc
	v_cmp_ge_u32_e32 vcc, v0, v3
	s_or_b64 s[2:3], vcc, s[2:3]
	s_andn2_b64 exec, exec, s[2:3]
	s_cbranch_execnz .LBB3032_15
; %bb.16:
	s_or_b64 exec, exec, s[2:3]
.LBB3032_17:
	v_add_u32_e32 v0, v0, v1
	s_mov_b64 s[4:5], -1
.LBB3032_18:
	s_and_b64 exec, exec, s[4:5]
	s_cbranch_execz .LBB3032_20
; %bb.19:
	v_mov_b32_e32 v1, 0
	v_lshlrev_b64 v[0:1], 1, v[0:1]
	v_mov_b32_e32 v3, s11
	v_add_co_u32_e32 v0, vcc, s10, v0
	v_addc_co_u32_e32 v1, vcc, v3, v1, vcc
	s_waitcnt vmcnt(0)
	global_store_short v[0:1], v2, off
.LBB3032_20:
	s_endpgm
	.section	.rodata,"a",@progbits
	.p2align	6, 0x0
	.amdhsa_kernel _ZN7rocprim17ROCPRIM_400000_NS6detail17trampoline_kernelINS0_14default_configENS1_38merge_sort_block_merge_config_selectorItNS0_10empty_typeEEEZZNS1_27merge_sort_block_merge_implIS3_N6thrust23THRUST_200600_302600_NS6detail15normal_iteratorINS9_10device_ptrItEEEEPS5_m14custom_greaterItEEE10hipError_tT0_T1_T2_jT3_P12ihipStream_tbPNSt15iterator_traitsISJ_E10value_typeEPNSP_ISK_E10value_typeEPSL_NS1_7vsmem_tEENKUlT_SJ_SK_SL_E_clIPtSE_SF_SF_EESI_SY_SJ_SK_SL_EUlSY_E1_NS1_11comp_targetILNS1_3genE4ELNS1_11target_archE910ELNS1_3gpuE8ELNS1_3repE0EEENS1_36merge_oddeven_config_static_selectorELNS0_4arch9wavefront6targetE1EEEvSK_
		.amdhsa_group_segment_fixed_size 0
		.amdhsa_private_segment_fixed_size 0
		.amdhsa_kernarg_size 56
		.amdhsa_user_sgpr_count 6
		.amdhsa_user_sgpr_private_segment_buffer 1
		.amdhsa_user_sgpr_dispatch_ptr 0
		.amdhsa_user_sgpr_queue_ptr 0
		.amdhsa_user_sgpr_kernarg_segment_ptr 1
		.amdhsa_user_sgpr_dispatch_id 0
		.amdhsa_user_sgpr_flat_scratch_init 0
		.amdhsa_user_sgpr_kernarg_preload_length 0
		.amdhsa_user_sgpr_kernarg_preload_offset 0
		.amdhsa_user_sgpr_private_segment_size 0
		.amdhsa_uses_dynamic_stack 0
		.amdhsa_system_sgpr_private_segment_wavefront_offset 0
		.amdhsa_system_sgpr_workgroup_id_x 1
		.amdhsa_system_sgpr_workgroup_id_y 0
		.amdhsa_system_sgpr_workgroup_id_z 0
		.amdhsa_system_sgpr_workgroup_info 0
		.amdhsa_system_vgpr_workitem_id 0
		.amdhsa_next_free_vgpr 8
		.amdhsa_next_free_sgpr 21
		.amdhsa_accum_offset 8
		.amdhsa_reserve_vcc 1
		.amdhsa_reserve_flat_scratch 0
		.amdhsa_float_round_mode_32 0
		.amdhsa_float_round_mode_16_64 0
		.amdhsa_float_denorm_mode_32 3
		.amdhsa_float_denorm_mode_16_64 3
		.amdhsa_dx10_clamp 1
		.amdhsa_ieee_mode 1
		.amdhsa_fp16_overflow 0
		.amdhsa_tg_split 0
		.amdhsa_exception_fp_ieee_invalid_op 0
		.amdhsa_exception_fp_denorm_src 0
		.amdhsa_exception_fp_ieee_div_zero 0
		.amdhsa_exception_fp_ieee_overflow 0
		.amdhsa_exception_fp_ieee_underflow 0
		.amdhsa_exception_fp_ieee_inexact 0
		.amdhsa_exception_int_div_zero 0
	.end_amdhsa_kernel
	.section	.text._ZN7rocprim17ROCPRIM_400000_NS6detail17trampoline_kernelINS0_14default_configENS1_38merge_sort_block_merge_config_selectorItNS0_10empty_typeEEEZZNS1_27merge_sort_block_merge_implIS3_N6thrust23THRUST_200600_302600_NS6detail15normal_iteratorINS9_10device_ptrItEEEEPS5_m14custom_greaterItEEE10hipError_tT0_T1_T2_jT3_P12ihipStream_tbPNSt15iterator_traitsISJ_E10value_typeEPNSP_ISK_E10value_typeEPSL_NS1_7vsmem_tEENKUlT_SJ_SK_SL_E_clIPtSE_SF_SF_EESI_SY_SJ_SK_SL_EUlSY_E1_NS1_11comp_targetILNS1_3genE4ELNS1_11target_archE910ELNS1_3gpuE8ELNS1_3repE0EEENS1_36merge_oddeven_config_static_selectorELNS0_4arch9wavefront6targetE1EEEvSK_,"axG",@progbits,_ZN7rocprim17ROCPRIM_400000_NS6detail17trampoline_kernelINS0_14default_configENS1_38merge_sort_block_merge_config_selectorItNS0_10empty_typeEEEZZNS1_27merge_sort_block_merge_implIS3_N6thrust23THRUST_200600_302600_NS6detail15normal_iteratorINS9_10device_ptrItEEEEPS5_m14custom_greaterItEEE10hipError_tT0_T1_T2_jT3_P12ihipStream_tbPNSt15iterator_traitsISJ_E10value_typeEPNSP_ISK_E10value_typeEPSL_NS1_7vsmem_tEENKUlT_SJ_SK_SL_E_clIPtSE_SF_SF_EESI_SY_SJ_SK_SL_EUlSY_E1_NS1_11comp_targetILNS1_3genE4ELNS1_11target_archE910ELNS1_3gpuE8ELNS1_3repE0EEENS1_36merge_oddeven_config_static_selectorELNS0_4arch9wavefront6targetE1EEEvSK_,comdat
.Lfunc_end3032:
	.size	_ZN7rocprim17ROCPRIM_400000_NS6detail17trampoline_kernelINS0_14default_configENS1_38merge_sort_block_merge_config_selectorItNS0_10empty_typeEEEZZNS1_27merge_sort_block_merge_implIS3_N6thrust23THRUST_200600_302600_NS6detail15normal_iteratorINS9_10device_ptrItEEEEPS5_m14custom_greaterItEEE10hipError_tT0_T1_T2_jT3_P12ihipStream_tbPNSt15iterator_traitsISJ_E10value_typeEPNSP_ISK_E10value_typeEPSL_NS1_7vsmem_tEENKUlT_SJ_SK_SL_E_clIPtSE_SF_SF_EESI_SY_SJ_SK_SL_EUlSY_E1_NS1_11comp_targetILNS1_3genE4ELNS1_11target_archE910ELNS1_3gpuE8ELNS1_3repE0EEENS1_36merge_oddeven_config_static_selectorELNS0_4arch9wavefront6targetE1EEEvSK_, .Lfunc_end3032-_ZN7rocprim17ROCPRIM_400000_NS6detail17trampoline_kernelINS0_14default_configENS1_38merge_sort_block_merge_config_selectorItNS0_10empty_typeEEEZZNS1_27merge_sort_block_merge_implIS3_N6thrust23THRUST_200600_302600_NS6detail15normal_iteratorINS9_10device_ptrItEEEEPS5_m14custom_greaterItEEE10hipError_tT0_T1_T2_jT3_P12ihipStream_tbPNSt15iterator_traitsISJ_E10value_typeEPNSP_ISK_E10value_typeEPSL_NS1_7vsmem_tEENKUlT_SJ_SK_SL_E_clIPtSE_SF_SF_EESI_SY_SJ_SK_SL_EUlSY_E1_NS1_11comp_targetILNS1_3genE4ELNS1_11target_archE910ELNS1_3gpuE8ELNS1_3repE0EEENS1_36merge_oddeven_config_static_selectorELNS0_4arch9wavefront6targetE1EEEvSK_
                                        ; -- End function
	.section	.AMDGPU.csdata,"",@progbits
; Kernel info:
; codeLenInByte = 548
; NumSgprs: 25
; NumVgprs: 8
; NumAgprs: 0
; TotalNumVgprs: 8
; ScratchSize: 0
; MemoryBound: 0
; FloatMode: 240
; IeeeMode: 1
; LDSByteSize: 0 bytes/workgroup (compile time only)
; SGPRBlocks: 3
; VGPRBlocks: 0
; NumSGPRsForWavesPerEU: 25
; NumVGPRsForWavesPerEU: 8
; AccumOffset: 8
; Occupancy: 8
; WaveLimiterHint : 0
; COMPUTE_PGM_RSRC2:SCRATCH_EN: 0
; COMPUTE_PGM_RSRC2:USER_SGPR: 6
; COMPUTE_PGM_RSRC2:TRAP_HANDLER: 0
; COMPUTE_PGM_RSRC2:TGID_X_EN: 1
; COMPUTE_PGM_RSRC2:TGID_Y_EN: 0
; COMPUTE_PGM_RSRC2:TGID_Z_EN: 0
; COMPUTE_PGM_RSRC2:TIDIG_COMP_CNT: 0
; COMPUTE_PGM_RSRC3_GFX90A:ACCUM_OFFSET: 1
; COMPUTE_PGM_RSRC3_GFX90A:TG_SPLIT: 0
	.section	.text._ZN7rocprim17ROCPRIM_400000_NS6detail17trampoline_kernelINS0_14default_configENS1_38merge_sort_block_merge_config_selectorItNS0_10empty_typeEEEZZNS1_27merge_sort_block_merge_implIS3_N6thrust23THRUST_200600_302600_NS6detail15normal_iteratorINS9_10device_ptrItEEEEPS5_m14custom_greaterItEEE10hipError_tT0_T1_T2_jT3_P12ihipStream_tbPNSt15iterator_traitsISJ_E10value_typeEPNSP_ISK_E10value_typeEPSL_NS1_7vsmem_tEENKUlT_SJ_SK_SL_E_clIPtSE_SF_SF_EESI_SY_SJ_SK_SL_EUlSY_E1_NS1_11comp_targetILNS1_3genE3ELNS1_11target_archE908ELNS1_3gpuE7ELNS1_3repE0EEENS1_36merge_oddeven_config_static_selectorELNS0_4arch9wavefront6targetE1EEEvSK_,"axG",@progbits,_ZN7rocprim17ROCPRIM_400000_NS6detail17trampoline_kernelINS0_14default_configENS1_38merge_sort_block_merge_config_selectorItNS0_10empty_typeEEEZZNS1_27merge_sort_block_merge_implIS3_N6thrust23THRUST_200600_302600_NS6detail15normal_iteratorINS9_10device_ptrItEEEEPS5_m14custom_greaterItEEE10hipError_tT0_T1_T2_jT3_P12ihipStream_tbPNSt15iterator_traitsISJ_E10value_typeEPNSP_ISK_E10value_typeEPSL_NS1_7vsmem_tEENKUlT_SJ_SK_SL_E_clIPtSE_SF_SF_EESI_SY_SJ_SK_SL_EUlSY_E1_NS1_11comp_targetILNS1_3genE3ELNS1_11target_archE908ELNS1_3gpuE7ELNS1_3repE0EEENS1_36merge_oddeven_config_static_selectorELNS0_4arch9wavefront6targetE1EEEvSK_,comdat
	.protected	_ZN7rocprim17ROCPRIM_400000_NS6detail17trampoline_kernelINS0_14default_configENS1_38merge_sort_block_merge_config_selectorItNS0_10empty_typeEEEZZNS1_27merge_sort_block_merge_implIS3_N6thrust23THRUST_200600_302600_NS6detail15normal_iteratorINS9_10device_ptrItEEEEPS5_m14custom_greaterItEEE10hipError_tT0_T1_T2_jT3_P12ihipStream_tbPNSt15iterator_traitsISJ_E10value_typeEPNSP_ISK_E10value_typeEPSL_NS1_7vsmem_tEENKUlT_SJ_SK_SL_E_clIPtSE_SF_SF_EESI_SY_SJ_SK_SL_EUlSY_E1_NS1_11comp_targetILNS1_3genE3ELNS1_11target_archE908ELNS1_3gpuE7ELNS1_3repE0EEENS1_36merge_oddeven_config_static_selectorELNS0_4arch9wavefront6targetE1EEEvSK_ ; -- Begin function _ZN7rocprim17ROCPRIM_400000_NS6detail17trampoline_kernelINS0_14default_configENS1_38merge_sort_block_merge_config_selectorItNS0_10empty_typeEEEZZNS1_27merge_sort_block_merge_implIS3_N6thrust23THRUST_200600_302600_NS6detail15normal_iteratorINS9_10device_ptrItEEEEPS5_m14custom_greaterItEEE10hipError_tT0_T1_T2_jT3_P12ihipStream_tbPNSt15iterator_traitsISJ_E10value_typeEPNSP_ISK_E10value_typeEPSL_NS1_7vsmem_tEENKUlT_SJ_SK_SL_E_clIPtSE_SF_SF_EESI_SY_SJ_SK_SL_EUlSY_E1_NS1_11comp_targetILNS1_3genE3ELNS1_11target_archE908ELNS1_3gpuE7ELNS1_3repE0EEENS1_36merge_oddeven_config_static_selectorELNS0_4arch9wavefront6targetE1EEEvSK_
	.globl	_ZN7rocprim17ROCPRIM_400000_NS6detail17trampoline_kernelINS0_14default_configENS1_38merge_sort_block_merge_config_selectorItNS0_10empty_typeEEEZZNS1_27merge_sort_block_merge_implIS3_N6thrust23THRUST_200600_302600_NS6detail15normal_iteratorINS9_10device_ptrItEEEEPS5_m14custom_greaterItEEE10hipError_tT0_T1_T2_jT3_P12ihipStream_tbPNSt15iterator_traitsISJ_E10value_typeEPNSP_ISK_E10value_typeEPSL_NS1_7vsmem_tEENKUlT_SJ_SK_SL_E_clIPtSE_SF_SF_EESI_SY_SJ_SK_SL_EUlSY_E1_NS1_11comp_targetILNS1_3genE3ELNS1_11target_archE908ELNS1_3gpuE7ELNS1_3repE0EEENS1_36merge_oddeven_config_static_selectorELNS0_4arch9wavefront6targetE1EEEvSK_
	.p2align	8
	.type	_ZN7rocprim17ROCPRIM_400000_NS6detail17trampoline_kernelINS0_14default_configENS1_38merge_sort_block_merge_config_selectorItNS0_10empty_typeEEEZZNS1_27merge_sort_block_merge_implIS3_N6thrust23THRUST_200600_302600_NS6detail15normal_iteratorINS9_10device_ptrItEEEEPS5_m14custom_greaterItEEE10hipError_tT0_T1_T2_jT3_P12ihipStream_tbPNSt15iterator_traitsISJ_E10value_typeEPNSP_ISK_E10value_typeEPSL_NS1_7vsmem_tEENKUlT_SJ_SK_SL_E_clIPtSE_SF_SF_EESI_SY_SJ_SK_SL_EUlSY_E1_NS1_11comp_targetILNS1_3genE3ELNS1_11target_archE908ELNS1_3gpuE7ELNS1_3repE0EEENS1_36merge_oddeven_config_static_selectorELNS0_4arch9wavefront6targetE1EEEvSK_,@function
_ZN7rocprim17ROCPRIM_400000_NS6detail17trampoline_kernelINS0_14default_configENS1_38merge_sort_block_merge_config_selectorItNS0_10empty_typeEEEZZNS1_27merge_sort_block_merge_implIS3_N6thrust23THRUST_200600_302600_NS6detail15normal_iteratorINS9_10device_ptrItEEEEPS5_m14custom_greaterItEEE10hipError_tT0_T1_T2_jT3_P12ihipStream_tbPNSt15iterator_traitsISJ_E10value_typeEPNSP_ISK_E10value_typeEPSL_NS1_7vsmem_tEENKUlT_SJ_SK_SL_E_clIPtSE_SF_SF_EESI_SY_SJ_SK_SL_EUlSY_E1_NS1_11comp_targetILNS1_3genE3ELNS1_11target_archE908ELNS1_3gpuE7ELNS1_3repE0EEENS1_36merge_oddeven_config_static_selectorELNS0_4arch9wavefront6targetE1EEEvSK_: ; @_ZN7rocprim17ROCPRIM_400000_NS6detail17trampoline_kernelINS0_14default_configENS1_38merge_sort_block_merge_config_selectorItNS0_10empty_typeEEEZZNS1_27merge_sort_block_merge_implIS3_N6thrust23THRUST_200600_302600_NS6detail15normal_iteratorINS9_10device_ptrItEEEEPS5_m14custom_greaterItEEE10hipError_tT0_T1_T2_jT3_P12ihipStream_tbPNSt15iterator_traitsISJ_E10value_typeEPNSP_ISK_E10value_typeEPSL_NS1_7vsmem_tEENKUlT_SJ_SK_SL_E_clIPtSE_SF_SF_EESI_SY_SJ_SK_SL_EUlSY_E1_NS1_11comp_targetILNS1_3genE3ELNS1_11target_archE908ELNS1_3gpuE7ELNS1_3repE0EEENS1_36merge_oddeven_config_static_selectorELNS0_4arch9wavefront6targetE1EEEvSK_
; %bb.0:
	.section	.rodata,"a",@progbits
	.p2align	6, 0x0
	.amdhsa_kernel _ZN7rocprim17ROCPRIM_400000_NS6detail17trampoline_kernelINS0_14default_configENS1_38merge_sort_block_merge_config_selectorItNS0_10empty_typeEEEZZNS1_27merge_sort_block_merge_implIS3_N6thrust23THRUST_200600_302600_NS6detail15normal_iteratorINS9_10device_ptrItEEEEPS5_m14custom_greaterItEEE10hipError_tT0_T1_T2_jT3_P12ihipStream_tbPNSt15iterator_traitsISJ_E10value_typeEPNSP_ISK_E10value_typeEPSL_NS1_7vsmem_tEENKUlT_SJ_SK_SL_E_clIPtSE_SF_SF_EESI_SY_SJ_SK_SL_EUlSY_E1_NS1_11comp_targetILNS1_3genE3ELNS1_11target_archE908ELNS1_3gpuE7ELNS1_3repE0EEENS1_36merge_oddeven_config_static_selectorELNS0_4arch9wavefront6targetE1EEEvSK_
		.amdhsa_group_segment_fixed_size 0
		.amdhsa_private_segment_fixed_size 0
		.amdhsa_kernarg_size 56
		.amdhsa_user_sgpr_count 6
		.amdhsa_user_sgpr_private_segment_buffer 1
		.amdhsa_user_sgpr_dispatch_ptr 0
		.amdhsa_user_sgpr_queue_ptr 0
		.amdhsa_user_sgpr_kernarg_segment_ptr 1
		.amdhsa_user_sgpr_dispatch_id 0
		.amdhsa_user_sgpr_flat_scratch_init 0
		.amdhsa_user_sgpr_kernarg_preload_length 0
		.amdhsa_user_sgpr_kernarg_preload_offset 0
		.amdhsa_user_sgpr_private_segment_size 0
		.amdhsa_uses_dynamic_stack 0
		.amdhsa_system_sgpr_private_segment_wavefront_offset 0
		.amdhsa_system_sgpr_workgroup_id_x 1
		.amdhsa_system_sgpr_workgroup_id_y 0
		.amdhsa_system_sgpr_workgroup_id_z 0
		.amdhsa_system_sgpr_workgroup_info 0
		.amdhsa_system_vgpr_workitem_id 0
		.amdhsa_next_free_vgpr 1
		.amdhsa_next_free_sgpr 0
		.amdhsa_accum_offset 4
		.amdhsa_reserve_vcc 0
		.amdhsa_reserve_flat_scratch 0
		.amdhsa_float_round_mode_32 0
		.amdhsa_float_round_mode_16_64 0
		.amdhsa_float_denorm_mode_32 3
		.amdhsa_float_denorm_mode_16_64 3
		.amdhsa_dx10_clamp 1
		.amdhsa_ieee_mode 1
		.amdhsa_fp16_overflow 0
		.amdhsa_tg_split 0
		.amdhsa_exception_fp_ieee_invalid_op 0
		.amdhsa_exception_fp_denorm_src 0
		.amdhsa_exception_fp_ieee_div_zero 0
		.amdhsa_exception_fp_ieee_overflow 0
		.amdhsa_exception_fp_ieee_underflow 0
		.amdhsa_exception_fp_ieee_inexact 0
		.amdhsa_exception_int_div_zero 0
	.end_amdhsa_kernel
	.section	.text._ZN7rocprim17ROCPRIM_400000_NS6detail17trampoline_kernelINS0_14default_configENS1_38merge_sort_block_merge_config_selectorItNS0_10empty_typeEEEZZNS1_27merge_sort_block_merge_implIS3_N6thrust23THRUST_200600_302600_NS6detail15normal_iteratorINS9_10device_ptrItEEEEPS5_m14custom_greaterItEEE10hipError_tT0_T1_T2_jT3_P12ihipStream_tbPNSt15iterator_traitsISJ_E10value_typeEPNSP_ISK_E10value_typeEPSL_NS1_7vsmem_tEENKUlT_SJ_SK_SL_E_clIPtSE_SF_SF_EESI_SY_SJ_SK_SL_EUlSY_E1_NS1_11comp_targetILNS1_3genE3ELNS1_11target_archE908ELNS1_3gpuE7ELNS1_3repE0EEENS1_36merge_oddeven_config_static_selectorELNS0_4arch9wavefront6targetE1EEEvSK_,"axG",@progbits,_ZN7rocprim17ROCPRIM_400000_NS6detail17trampoline_kernelINS0_14default_configENS1_38merge_sort_block_merge_config_selectorItNS0_10empty_typeEEEZZNS1_27merge_sort_block_merge_implIS3_N6thrust23THRUST_200600_302600_NS6detail15normal_iteratorINS9_10device_ptrItEEEEPS5_m14custom_greaterItEEE10hipError_tT0_T1_T2_jT3_P12ihipStream_tbPNSt15iterator_traitsISJ_E10value_typeEPNSP_ISK_E10value_typeEPSL_NS1_7vsmem_tEENKUlT_SJ_SK_SL_E_clIPtSE_SF_SF_EESI_SY_SJ_SK_SL_EUlSY_E1_NS1_11comp_targetILNS1_3genE3ELNS1_11target_archE908ELNS1_3gpuE7ELNS1_3repE0EEENS1_36merge_oddeven_config_static_selectorELNS0_4arch9wavefront6targetE1EEEvSK_,comdat
.Lfunc_end3033:
	.size	_ZN7rocprim17ROCPRIM_400000_NS6detail17trampoline_kernelINS0_14default_configENS1_38merge_sort_block_merge_config_selectorItNS0_10empty_typeEEEZZNS1_27merge_sort_block_merge_implIS3_N6thrust23THRUST_200600_302600_NS6detail15normal_iteratorINS9_10device_ptrItEEEEPS5_m14custom_greaterItEEE10hipError_tT0_T1_T2_jT3_P12ihipStream_tbPNSt15iterator_traitsISJ_E10value_typeEPNSP_ISK_E10value_typeEPSL_NS1_7vsmem_tEENKUlT_SJ_SK_SL_E_clIPtSE_SF_SF_EESI_SY_SJ_SK_SL_EUlSY_E1_NS1_11comp_targetILNS1_3genE3ELNS1_11target_archE908ELNS1_3gpuE7ELNS1_3repE0EEENS1_36merge_oddeven_config_static_selectorELNS0_4arch9wavefront6targetE1EEEvSK_, .Lfunc_end3033-_ZN7rocprim17ROCPRIM_400000_NS6detail17trampoline_kernelINS0_14default_configENS1_38merge_sort_block_merge_config_selectorItNS0_10empty_typeEEEZZNS1_27merge_sort_block_merge_implIS3_N6thrust23THRUST_200600_302600_NS6detail15normal_iteratorINS9_10device_ptrItEEEEPS5_m14custom_greaterItEEE10hipError_tT0_T1_T2_jT3_P12ihipStream_tbPNSt15iterator_traitsISJ_E10value_typeEPNSP_ISK_E10value_typeEPSL_NS1_7vsmem_tEENKUlT_SJ_SK_SL_E_clIPtSE_SF_SF_EESI_SY_SJ_SK_SL_EUlSY_E1_NS1_11comp_targetILNS1_3genE3ELNS1_11target_archE908ELNS1_3gpuE7ELNS1_3repE0EEENS1_36merge_oddeven_config_static_selectorELNS0_4arch9wavefront6targetE1EEEvSK_
                                        ; -- End function
	.section	.AMDGPU.csdata,"",@progbits
; Kernel info:
; codeLenInByte = 0
; NumSgprs: 4
; NumVgprs: 0
; NumAgprs: 0
; TotalNumVgprs: 0
; ScratchSize: 0
; MemoryBound: 0
; FloatMode: 240
; IeeeMode: 1
; LDSByteSize: 0 bytes/workgroup (compile time only)
; SGPRBlocks: 0
; VGPRBlocks: 0
; NumSGPRsForWavesPerEU: 4
; NumVGPRsForWavesPerEU: 1
; AccumOffset: 4
; Occupancy: 8
; WaveLimiterHint : 0
; COMPUTE_PGM_RSRC2:SCRATCH_EN: 0
; COMPUTE_PGM_RSRC2:USER_SGPR: 6
; COMPUTE_PGM_RSRC2:TRAP_HANDLER: 0
; COMPUTE_PGM_RSRC2:TGID_X_EN: 1
; COMPUTE_PGM_RSRC2:TGID_Y_EN: 0
; COMPUTE_PGM_RSRC2:TGID_Z_EN: 0
; COMPUTE_PGM_RSRC2:TIDIG_COMP_CNT: 0
; COMPUTE_PGM_RSRC3_GFX90A:ACCUM_OFFSET: 0
; COMPUTE_PGM_RSRC3_GFX90A:TG_SPLIT: 0
	.section	.text._ZN7rocprim17ROCPRIM_400000_NS6detail17trampoline_kernelINS0_14default_configENS1_38merge_sort_block_merge_config_selectorItNS0_10empty_typeEEEZZNS1_27merge_sort_block_merge_implIS3_N6thrust23THRUST_200600_302600_NS6detail15normal_iteratorINS9_10device_ptrItEEEEPS5_m14custom_greaterItEEE10hipError_tT0_T1_T2_jT3_P12ihipStream_tbPNSt15iterator_traitsISJ_E10value_typeEPNSP_ISK_E10value_typeEPSL_NS1_7vsmem_tEENKUlT_SJ_SK_SL_E_clIPtSE_SF_SF_EESI_SY_SJ_SK_SL_EUlSY_E1_NS1_11comp_targetILNS1_3genE2ELNS1_11target_archE906ELNS1_3gpuE6ELNS1_3repE0EEENS1_36merge_oddeven_config_static_selectorELNS0_4arch9wavefront6targetE1EEEvSK_,"axG",@progbits,_ZN7rocprim17ROCPRIM_400000_NS6detail17trampoline_kernelINS0_14default_configENS1_38merge_sort_block_merge_config_selectorItNS0_10empty_typeEEEZZNS1_27merge_sort_block_merge_implIS3_N6thrust23THRUST_200600_302600_NS6detail15normal_iteratorINS9_10device_ptrItEEEEPS5_m14custom_greaterItEEE10hipError_tT0_T1_T2_jT3_P12ihipStream_tbPNSt15iterator_traitsISJ_E10value_typeEPNSP_ISK_E10value_typeEPSL_NS1_7vsmem_tEENKUlT_SJ_SK_SL_E_clIPtSE_SF_SF_EESI_SY_SJ_SK_SL_EUlSY_E1_NS1_11comp_targetILNS1_3genE2ELNS1_11target_archE906ELNS1_3gpuE6ELNS1_3repE0EEENS1_36merge_oddeven_config_static_selectorELNS0_4arch9wavefront6targetE1EEEvSK_,comdat
	.protected	_ZN7rocprim17ROCPRIM_400000_NS6detail17trampoline_kernelINS0_14default_configENS1_38merge_sort_block_merge_config_selectorItNS0_10empty_typeEEEZZNS1_27merge_sort_block_merge_implIS3_N6thrust23THRUST_200600_302600_NS6detail15normal_iteratorINS9_10device_ptrItEEEEPS5_m14custom_greaterItEEE10hipError_tT0_T1_T2_jT3_P12ihipStream_tbPNSt15iterator_traitsISJ_E10value_typeEPNSP_ISK_E10value_typeEPSL_NS1_7vsmem_tEENKUlT_SJ_SK_SL_E_clIPtSE_SF_SF_EESI_SY_SJ_SK_SL_EUlSY_E1_NS1_11comp_targetILNS1_3genE2ELNS1_11target_archE906ELNS1_3gpuE6ELNS1_3repE0EEENS1_36merge_oddeven_config_static_selectorELNS0_4arch9wavefront6targetE1EEEvSK_ ; -- Begin function _ZN7rocprim17ROCPRIM_400000_NS6detail17trampoline_kernelINS0_14default_configENS1_38merge_sort_block_merge_config_selectorItNS0_10empty_typeEEEZZNS1_27merge_sort_block_merge_implIS3_N6thrust23THRUST_200600_302600_NS6detail15normal_iteratorINS9_10device_ptrItEEEEPS5_m14custom_greaterItEEE10hipError_tT0_T1_T2_jT3_P12ihipStream_tbPNSt15iterator_traitsISJ_E10value_typeEPNSP_ISK_E10value_typeEPSL_NS1_7vsmem_tEENKUlT_SJ_SK_SL_E_clIPtSE_SF_SF_EESI_SY_SJ_SK_SL_EUlSY_E1_NS1_11comp_targetILNS1_3genE2ELNS1_11target_archE906ELNS1_3gpuE6ELNS1_3repE0EEENS1_36merge_oddeven_config_static_selectorELNS0_4arch9wavefront6targetE1EEEvSK_
	.globl	_ZN7rocprim17ROCPRIM_400000_NS6detail17trampoline_kernelINS0_14default_configENS1_38merge_sort_block_merge_config_selectorItNS0_10empty_typeEEEZZNS1_27merge_sort_block_merge_implIS3_N6thrust23THRUST_200600_302600_NS6detail15normal_iteratorINS9_10device_ptrItEEEEPS5_m14custom_greaterItEEE10hipError_tT0_T1_T2_jT3_P12ihipStream_tbPNSt15iterator_traitsISJ_E10value_typeEPNSP_ISK_E10value_typeEPSL_NS1_7vsmem_tEENKUlT_SJ_SK_SL_E_clIPtSE_SF_SF_EESI_SY_SJ_SK_SL_EUlSY_E1_NS1_11comp_targetILNS1_3genE2ELNS1_11target_archE906ELNS1_3gpuE6ELNS1_3repE0EEENS1_36merge_oddeven_config_static_selectorELNS0_4arch9wavefront6targetE1EEEvSK_
	.p2align	8
	.type	_ZN7rocprim17ROCPRIM_400000_NS6detail17trampoline_kernelINS0_14default_configENS1_38merge_sort_block_merge_config_selectorItNS0_10empty_typeEEEZZNS1_27merge_sort_block_merge_implIS3_N6thrust23THRUST_200600_302600_NS6detail15normal_iteratorINS9_10device_ptrItEEEEPS5_m14custom_greaterItEEE10hipError_tT0_T1_T2_jT3_P12ihipStream_tbPNSt15iterator_traitsISJ_E10value_typeEPNSP_ISK_E10value_typeEPSL_NS1_7vsmem_tEENKUlT_SJ_SK_SL_E_clIPtSE_SF_SF_EESI_SY_SJ_SK_SL_EUlSY_E1_NS1_11comp_targetILNS1_3genE2ELNS1_11target_archE906ELNS1_3gpuE6ELNS1_3repE0EEENS1_36merge_oddeven_config_static_selectorELNS0_4arch9wavefront6targetE1EEEvSK_,@function
_ZN7rocprim17ROCPRIM_400000_NS6detail17trampoline_kernelINS0_14default_configENS1_38merge_sort_block_merge_config_selectorItNS0_10empty_typeEEEZZNS1_27merge_sort_block_merge_implIS3_N6thrust23THRUST_200600_302600_NS6detail15normal_iteratorINS9_10device_ptrItEEEEPS5_m14custom_greaterItEEE10hipError_tT0_T1_T2_jT3_P12ihipStream_tbPNSt15iterator_traitsISJ_E10value_typeEPNSP_ISK_E10value_typeEPSL_NS1_7vsmem_tEENKUlT_SJ_SK_SL_E_clIPtSE_SF_SF_EESI_SY_SJ_SK_SL_EUlSY_E1_NS1_11comp_targetILNS1_3genE2ELNS1_11target_archE906ELNS1_3gpuE6ELNS1_3repE0EEENS1_36merge_oddeven_config_static_selectorELNS0_4arch9wavefront6targetE1EEEvSK_: ; @_ZN7rocprim17ROCPRIM_400000_NS6detail17trampoline_kernelINS0_14default_configENS1_38merge_sort_block_merge_config_selectorItNS0_10empty_typeEEEZZNS1_27merge_sort_block_merge_implIS3_N6thrust23THRUST_200600_302600_NS6detail15normal_iteratorINS9_10device_ptrItEEEEPS5_m14custom_greaterItEEE10hipError_tT0_T1_T2_jT3_P12ihipStream_tbPNSt15iterator_traitsISJ_E10value_typeEPNSP_ISK_E10value_typeEPSL_NS1_7vsmem_tEENKUlT_SJ_SK_SL_E_clIPtSE_SF_SF_EESI_SY_SJ_SK_SL_EUlSY_E1_NS1_11comp_targetILNS1_3genE2ELNS1_11target_archE906ELNS1_3gpuE6ELNS1_3repE0EEENS1_36merge_oddeven_config_static_selectorELNS0_4arch9wavefront6targetE1EEEvSK_
; %bb.0:
	.section	.rodata,"a",@progbits
	.p2align	6, 0x0
	.amdhsa_kernel _ZN7rocprim17ROCPRIM_400000_NS6detail17trampoline_kernelINS0_14default_configENS1_38merge_sort_block_merge_config_selectorItNS0_10empty_typeEEEZZNS1_27merge_sort_block_merge_implIS3_N6thrust23THRUST_200600_302600_NS6detail15normal_iteratorINS9_10device_ptrItEEEEPS5_m14custom_greaterItEEE10hipError_tT0_T1_T2_jT3_P12ihipStream_tbPNSt15iterator_traitsISJ_E10value_typeEPNSP_ISK_E10value_typeEPSL_NS1_7vsmem_tEENKUlT_SJ_SK_SL_E_clIPtSE_SF_SF_EESI_SY_SJ_SK_SL_EUlSY_E1_NS1_11comp_targetILNS1_3genE2ELNS1_11target_archE906ELNS1_3gpuE6ELNS1_3repE0EEENS1_36merge_oddeven_config_static_selectorELNS0_4arch9wavefront6targetE1EEEvSK_
		.amdhsa_group_segment_fixed_size 0
		.amdhsa_private_segment_fixed_size 0
		.amdhsa_kernarg_size 56
		.amdhsa_user_sgpr_count 6
		.amdhsa_user_sgpr_private_segment_buffer 1
		.amdhsa_user_sgpr_dispatch_ptr 0
		.amdhsa_user_sgpr_queue_ptr 0
		.amdhsa_user_sgpr_kernarg_segment_ptr 1
		.amdhsa_user_sgpr_dispatch_id 0
		.amdhsa_user_sgpr_flat_scratch_init 0
		.amdhsa_user_sgpr_kernarg_preload_length 0
		.amdhsa_user_sgpr_kernarg_preload_offset 0
		.amdhsa_user_sgpr_private_segment_size 0
		.amdhsa_uses_dynamic_stack 0
		.amdhsa_system_sgpr_private_segment_wavefront_offset 0
		.amdhsa_system_sgpr_workgroup_id_x 1
		.amdhsa_system_sgpr_workgroup_id_y 0
		.amdhsa_system_sgpr_workgroup_id_z 0
		.amdhsa_system_sgpr_workgroup_info 0
		.amdhsa_system_vgpr_workitem_id 0
		.amdhsa_next_free_vgpr 1
		.amdhsa_next_free_sgpr 0
		.amdhsa_accum_offset 4
		.amdhsa_reserve_vcc 0
		.amdhsa_reserve_flat_scratch 0
		.amdhsa_float_round_mode_32 0
		.amdhsa_float_round_mode_16_64 0
		.amdhsa_float_denorm_mode_32 3
		.amdhsa_float_denorm_mode_16_64 3
		.amdhsa_dx10_clamp 1
		.amdhsa_ieee_mode 1
		.amdhsa_fp16_overflow 0
		.amdhsa_tg_split 0
		.amdhsa_exception_fp_ieee_invalid_op 0
		.amdhsa_exception_fp_denorm_src 0
		.amdhsa_exception_fp_ieee_div_zero 0
		.amdhsa_exception_fp_ieee_overflow 0
		.amdhsa_exception_fp_ieee_underflow 0
		.amdhsa_exception_fp_ieee_inexact 0
		.amdhsa_exception_int_div_zero 0
	.end_amdhsa_kernel
	.section	.text._ZN7rocprim17ROCPRIM_400000_NS6detail17trampoline_kernelINS0_14default_configENS1_38merge_sort_block_merge_config_selectorItNS0_10empty_typeEEEZZNS1_27merge_sort_block_merge_implIS3_N6thrust23THRUST_200600_302600_NS6detail15normal_iteratorINS9_10device_ptrItEEEEPS5_m14custom_greaterItEEE10hipError_tT0_T1_T2_jT3_P12ihipStream_tbPNSt15iterator_traitsISJ_E10value_typeEPNSP_ISK_E10value_typeEPSL_NS1_7vsmem_tEENKUlT_SJ_SK_SL_E_clIPtSE_SF_SF_EESI_SY_SJ_SK_SL_EUlSY_E1_NS1_11comp_targetILNS1_3genE2ELNS1_11target_archE906ELNS1_3gpuE6ELNS1_3repE0EEENS1_36merge_oddeven_config_static_selectorELNS0_4arch9wavefront6targetE1EEEvSK_,"axG",@progbits,_ZN7rocprim17ROCPRIM_400000_NS6detail17trampoline_kernelINS0_14default_configENS1_38merge_sort_block_merge_config_selectorItNS0_10empty_typeEEEZZNS1_27merge_sort_block_merge_implIS3_N6thrust23THRUST_200600_302600_NS6detail15normal_iteratorINS9_10device_ptrItEEEEPS5_m14custom_greaterItEEE10hipError_tT0_T1_T2_jT3_P12ihipStream_tbPNSt15iterator_traitsISJ_E10value_typeEPNSP_ISK_E10value_typeEPSL_NS1_7vsmem_tEENKUlT_SJ_SK_SL_E_clIPtSE_SF_SF_EESI_SY_SJ_SK_SL_EUlSY_E1_NS1_11comp_targetILNS1_3genE2ELNS1_11target_archE906ELNS1_3gpuE6ELNS1_3repE0EEENS1_36merge_oddeven_config_static_selectorELNS0_4arch9wavefront6targetE1EEEvSK_,comdat
.Lfunc_end3034:
	.size	_ZN7rocprim17ROCPRIM_400000_NS6detail17trampoline_kernelINS0_14default_configENS1_38merge_sort_block_merge_config_selectorItNS0_10empty_typeEEEZZNS1_27merge_sort_block_merge_implIS3_N6thrust23THRUST_200600_302600_NS6detail15normal_iteratorINS9_10device_ptrItEEEEPS5_m14custom_greaterItEEE10hipError_tT0_T1_T2_jT3_P12ihipStream_tbPNSt15iterator_traitsISJ_E10value_typeEPNSP_ISK_E10value_typeEPSL_NS1_7vsmem_tEENKUlT_SJ_SK_SL_E_clIPtSE_SF_SF_EESI_SY_SJ_SK_SL_EUlSY_E1_NS1_11comp_targetILNS1_3genE2ELNS1_11target_archE906ELNS1_3gpuE6ELNS1_3repE0EEENS1_36merge_oddeven_config_static_selectorELNS0_4arch9wavefront6targetE1EEEvSK_, .Lfunc_end3034-_ZN7rocprim17ROCPRIM_400000_NS6detail17trampoline_kernelINS0_14default_configENS1_38merge_sort_block_merge_config_selectorItNS0_10empty_typeEEEZZNS1_27merge_sort_block_merge_implIS3_N6thrust23THRUST_200600_302600_NS6detail15normal_iteratorINS9_10device_ptrItEEEEPS5_m14custom_greaterItEEE10hipError_tT0_T1_T2_jT3_P12ihipStream_tbPNSt15iterator_traitsISJ_E10value_typeEPNSP_ISK_E10value_typeEPSL_NS1_7vsmem_tEENKUlT_SJ_SK_SL_E_clIPtSE_SF_SF_EESI_SY_SJ_SK_SL_EUlSY_E1_NS1_11comp_targetILNS1_3genE2ELNS1_11target_archE906ELNS1_3gpuE6ELNS1_3repE0EEENS1_36merge_oddeven_config_static_selectorELNS0_4arch9wavefront6targetE1EEEvSK_
                                        ; -- End function
	.section	.AMDGPU.csdata,"",@progbits
; Kernel info:
; codeLenInByte = 0
; NumSgprs: 4
; NumVgprs: 0
; NumAgprs: 0
; TotalNumVgprs: 0
; ScratchSize: 0
; MemoryBound: 0
; FloatMode: 240
; IeeeMode: 1
; LDSByteSize: 0 bytes/workgroup (compile time only)
; SGPRBlocks: 0
; VGPRBlocks: 0
; NumSGPRsForWavesPerEU: 4
; NumVGPRsForWavesPerEU: 1
; AccumOffset: 4
; Occupancy: 8
; WaveLimiterHint : 0
; COMPUTE_PGM_RSRC2:SCRATCH_EN: 0
; COMPUTE_PGM_RSRC2:USER_SGPR: 6
; COMPUTE_PGM_RSRC2:TRAP_HANDLER: 0
; COMPUTE_PGM_RSRC2:TGID_X_EN: 1
; COMPUTE_PGM_RSRC2:TGID_Y_EN: 0
; COMPUTE_PGM_RSRC2:TGID_Z_EN: 0
; COMPUTE_PGM_RSRC2:TIDIG_COMP_CNT: 0
; COMPUTE_PGM_RSRC3_GFX90A:ACCUM_OFFSET: 0
; COMPUTE_PGM_RSRC3_GFX90A:TG_SPLIT: 0
	.section	.text._ZN7rocprim17ROCPRIM_400000_NS6detail17trampoline_kernelINS0_14default_configENS1_38merge_sort_block_merge_config_selectorItNS0_10empty_typeEEEZZNS1_27merge_sort_block_merge_implIS3_N6thrust23THRUST_200600_302600_NS6detail15normal_iteratorINS9_10device_ptrItEEEEPS5_m14custom_greaterItEEE10hipError_tT0_T1_T2_jT3_P12ihipStream_tbPNSt15iterator_traitsISJ_E10value_typeEPNSP_ISK_E10value_typeEPSL_NS1_7vsmem_tEENKUlT_SJ_SK_SL_E_clIPtSE_SF_SF_EESI_SY_SJ_SK_SL_EUlSY_E1_NS1_11comp_targetILNS1_3genE9ELNS1_11target_archE1100ELNS1_3gpuE3ELNS1_3repE0EEENS1_36merge_oddeven_config_static_selectorELNS0_4arch9wavefront6targetE1EEEvSK_,"axG",@progbits,_ZN7rocprim17ROCPRIM_400000_NS6detail17trampoline_kernelINS0_14default_configENS1_38merge_sort_block_merge_config_selectorItNS0_10empty_typeEEEZZNS1_27merge_sort_block_merge_implIS3_N6thrust23THRUST_200600_302600_NS6detail15normal_iteratorINS9_10device_ptrItEEEEPS5_m14custom_greaterItEEE10hipError_tT0_T1_T2_jT3_P12ihipStream_tbPNSt15iterator_traitsISJ_E10value_typeEPNSP_ISK_E10value_typeEPSL_NS1_7vsmem_tEENKUlT_SJ_SK_SL_E_clIPtSE_SF_SF_EESI_SY_SJ_SK_SL_EUlSY_E1_NS1_11comp_targetILNS1_3genE9ELNS1_11target_archE1100ELNS1_3gpuE3ELNS1_3repE0EEENS1_36merge_oddeven_config_static_selectorELNS0_4arch9wavefront6targetE1EEEvSK_,comdat
	.protected	_ZN7rocprim17ROCPRIM_400000_NS6detail17trampoline_kernelINS0_14default_configENS1_38merge_sort_block_merge_config_selectorItNS0_10empty_typeEEEZZNS1_27merge_sort_block_merge_implIS3_N6thrust23THRUST_200600_302600_NS6detail15normal_iteratorINS9_10device_ptrItEEEEPS5_m14custom_greaterItEEE10hipError_tT0_T1_T2_jT3_P12ihipStream_tbPNSt15iterator_traitsISJ_E10value_typeEPNSP_ISK_E10value_typeEPSL_NS1_7vsmem_tEENKUlT_SJ_SK_SL_E_clIPtSE_SF_SF_EESI_SY_SJ_SK_SL_EUlSY_E1_NS1_11comp_targetILNS1_3genE9ELNS1_11target_archE1100ELNS1_3gpuE3ELNS1_3repE0EEENS1_36merge_oddeven_config_static_selectorELNS0_4arch9wavefront6targetE1EEEvSK_ ; -- Begin function _ZN7rocprim17ROCPRIM_400000_NS6detail17trampoline_kernelINS0_14default_configENS1_38merge_sort_block_merge_config_selectorItNS0_10empty_typeEEEZZNS1_27merge_sort_block_merge_implIS3_N6thrust23THRUST_200600_302600_NS6detail15normal_iteratorINS9_10device_ptrItEEEEPS5_m14custom_greaterItEEE10hipError_tT0_T1_T2_jT3_P12ihipStream_tbPNSt15iterator_traitsISJ_E10value_typeEPNSP_ISK_E10value_typeEPSL_NS1_7vsmem_tEENKUlT_SJ_SK_SL_E_clIPtSE_SF_SF_EESI_SY_SJ_SK_SL_EUlSY_E1_NS1_11comp_targetILNS1_3genE9ELNS1_11target_archE1100ELNS1_3gpuE3ELNS1_3repE0EEENS1_36merge_oddeven_config_static_selectorELNS0_4arch9wavefront6targetE1EEEvSK_
	.globl	_ZN7rocprim17ROCPRIM_400000_NS6detail17trampoline_kernelINS0_14default_configENS1_38merge_sort_block_merge_config_selectorItNS0_10empty_typeEEEZZNS1_27merge_sort_block_merge_implIS3_N6thrust23THRUST_200600_302600_NS6detail15normal_iteratorINS9_10device_ptrItEEEEPS5_m14custom_greaterItEEE10hipError_tT0_T1_T2_jT3_P12ihipStream_tbPNSt15iterator_traitsISJ_E10value_typeEPNSP_ISK_E10value_typeEPSL_NS1_7vsmem_tEENKUlT_SJ_SK_SL_E_clIPtSE_SF_SF_EESI_SY_SJ_SK_SL_EUlSY_E1_NS1_11comp_targetILNS1_3genE9ELNS1_11target_archE1100ELNS1_3gpuE3ELNS1_3repE0EEENS1_36merge_oddeven_config_static_selectorELNS0_4arch9wavefront6targetE1EEEvSK_
	.p2align	8
	.type	_ZN7rocprim17ROCPRIM_400000_NS6detail17trampoline_kernelINS0_14default_configENS1_38merge_sort_block_merge_config_selectorItNS0_10empty_typeEEEZZNS1_27merge_sort_block_merge_implIS3_N6thrust23THRUST_200600_302600_NS6detail15normal_iteratorINS9_10device_ptrItEEEEPS5_m14custom_greaterItEEE10hipError_tT0_T1_T2_jT3_P12ihipStream_tbPNSt15iterator_traitsISJ_E10value_typeEPNSP_ISK_E10value_typeEPSL_NS1_7vsmem_tEENKUlT_SJ_SK_SL_E_clIPtSE_SF_SF_EESI_SY_SJ_SK_SL_EUlSY_E1_NS1_11comp_targetILNS1_3genE9ELNS1_11target_archE1100ELNS1_3gpuE3ELNS1_3repE0EEENS1_36merge_oddeven_config_static_selectorELNS0_4arch9wavefront6targetE1EEEvSK_,@function
_ZN7rocprim17ROCPRIM_400000_NS6detail17trampoline_kernelINS0_14default_configENS1_38merge_sort_block_merge_config_selectorItNS0_10empty_typeEEEZZNS1_27merge_sort_block_merge_implIS3_N6thrust23THRUST_200600_302600_NS6detail15normal_iteratorINS9_10device_ptrItEEEEPS5_m14custom_greaterItEEE10hipError_tT0_T1_T2_jT3_P12ihipStream_tbPNSt15iterator_traitsISJ_E10value_typeEPNSP_ISK_E10value_typeEPSL_NS1_7vsmem_tEENKUlT_SJ_SK_SL_E_clIPtSE_SF_SF_EESI_SY_SJ_SK_SL_EUlSY_E1_NS1_11comp_targetILNS1_3genE9ELNS1_11target_archE1100ELNS1_3gpuE3ELNS1_3repE0EEENS1_36merge_oddeven_config_static_selectorELNS0_4arch9wavefront6targetE1EEEvSK_: ; @_ZN7rocprim17ROCPRIM_400000_NS6detail17trampoline_kernelINS0_14default_configENS1_38merge_sort_block_merge_config_selectorItNS0_10empty_typeEEEZZNS1_27merge_sort_block_merge_implIS3_N6thrust23THRUST_200600_302600_NS6detail15normal_iteratorINS9_10device_ptrItEEEEPS5_m14custom_greaterItEEE10hipError_tT0_T1_T2_jT3_P12ihipStream_tbPNSt15iterator_traitsISJ_E10value_typeEPNSP_ISK_E10value_typeEPSL_NS1_7vsmem_tEENKUlT_SJ_SK_SL_E_clIPtSE_SF_SF_EESI_SY_SJ_SK_SL_EUlSY_E1_NS1_11comp_targetILNS1_3genE9ELNS1_11target_archE1100ELNS1_3gpuE3ELNS1_3repE0EEENS1_36merge_oddeven_config_static_selectorELNS0_4arch9wavefront6targetE1EEEvSK_
; %bb.0:
	.section	.rodata,"a",@progbits
	.p2align	6, 0x0
	.amdhsa_kernel _ZN7rocprim17ROCPRIM_400000_NS6detail17trampoline_kernelINS0_14default_configENS1_38merge_sort_block_merge_config_selectorItNS0_10empty_typeEEEZZNS1_27merge_sort_block_merge_implIS3_N6thrust23THRUST_200600_302600_NS6detail15normal_iteratorINS9_10device_ptrItEEEEPS5_m14custom_greaterItEEE10hipError_tT0_T1_T2_jT3_P12ihipStream_tbPNSt15iterator_traitsISJ_E10value_typeEPNSP_ISK_E10value_typeEPSL_NS1_7vsmem_tEENKUlT_SJ_SK_SL_E_clIPtSE_SF_SF_EESI_SY_SJ_SK_SL_EUlSY_E1_NS1_11comp_targetILNS1_3genE9ELNS1_11target_archE1100ELNS1_3gpuE3ELNS1_3repE0EEENS1_36merge_oddeven_config_static_selectorELNS0_4arch9wavefront6targetE1EEEvSK_
		.amdhsa_group_segment_fixed_size 0
		.amdhsa_private_segment_fixed_size 0
		.amdhsa_kernarg_size 56
		.amdhsa_user_sgpr_count 6
		.amdhsa_user_sgpr_private_segment_buffer 1
		.amdhsa_user_sgpr_dispatch_ptr 0
		.amdhsa_user_sgpr_queue_ptr 0
		.amdhsa_user_sgpr_kernarg_segment_ptr 1
		.amdhsa_user_sgpr_dispatch_id 0
		.amdhsa_user_sgpr_flat_scratch_init 0
		.amdhsa_user_sgpr_kernarg_preload_length 0
		.amdhsa_user_sgpr_kernarg_preload_offset 0
		.amdhsa_user_sgpr_private_segment_size 0
		.amdhsa_uses_dynamic_stack 0
		.amdhsa_system_sgpr_private_segment_wavefront_offset 0
		.amdhsa_system_sgpr_workgroup_id_x 1
		.amdhsa_system_sgpr_workgroup_id_y 0
		.amdhsa_system_sgpr_workgroup_id_z 0
		.amdhsa_system_sgpr_workgroup_info 0
		.amdhsa_system_vgpr_workitem_id 0
		.amdhsa_next_free_vgpr 1
		.amdhsa_next_free_sgpr 0
		.amdhsa_accum_offset 4
		.amdhsa_reserve_vcc 0
		.amdhsa_reserve_flat_scratch 0
		.amdhsa_float_round_mode_32 0
		.amdhsa_float_round_mode_16_64 0
		.amdhsa_float_denorm_mode_32 3
		.amdhsa_float_denorm_mode_16_64 3
		.amdhsa_dx10_clamp 1
		.amdhsa_ieee_mode 1
		.amdhsa_fp16_overflow 0
		.amdhsa_tg_split 0
		.amdhsa_exception_fp_ieee_invalid_op 0
		.amdhsa_exception_fp_denorm_src 0
		.amdhsa_exception_fp_ieee_div_zero 0
		.amdhsa_exception_fp_ieee_overflow 0
		.amdhsa_exception_fp_ieee_underflow 0
		.amdhsa_exception_fp_ieee_inexact 0
		.amdhsa_exception_int_div_zero 0
	.end_amdhsa_kernel
	.section	.text._ZN7rocprim17ROCPRIM_400000_NS6detail17trampoline_kernelINS0_14default_configENS1_38merge_sort_block_merge_config_selectorItNS0_10empty_typeEEEZZNS1_27merge_sort_block_merge_implIS3_N6thrust23THRUST_200600_302600_NS6detail15normal_iteratorINS9_10device_ptrItEEEEPS5_m14custom_greaterItEEE10hipError_tT0_T1_T2_jT3_P12ihipStream_tbPNSt15iterator_traitsISJ_E10value_typeEPNSP_ISK_E10value_typeEPSL_NS1_7vsmem_tEENKUlT_SJ_SK_SL_E_clIPtSE_SF_SF_EESI_SY_SJ_SK_SL_EUlSY_E1_NS1_11comp_targetILNS1_3genE9ELNS1_11target_archE1100ELNS1_3gpuE3ELNS1_3repE0EEENS1_36merge_oddeven_config_static_selectorELNS0_4arch9wavefront6targetE1EEEvSK_,"axG",@progbits,_ZN7rocprim17ROCPRIM_400000_NS6detail17trampoline_kernelINS0_14default_configENS1_38merge_sort_block_merge_config_selectorItNS0_10empty_typeEEEZZNS1_27merge_sort_block_merge_implIS3_N6thrust23THRUST_200600_302600_NS6detail15normal_iteratorINS9_10device_ptrItEEEEPS5_m14custom_greaterItEEE10hipError_tT0_T1_T2_jT3_P12ihipStream_tbPNSt15iterator_traitsISJ_E10value_typeEPNSP_ISK_E10value_typeEPSL_NS1_7vsmem_tEENKUlT_SJ_SK_SL_E_clIPtSE_SF_SF_EESI_SY_SJ_SK_SL_EUlSY_E1_NS1_11comp_targetILNS1_3genE9ELNS1_11target_archE1100ELNS1_3gpuE3ELNS1_3repE0EEENS1_36merge_oddeven_config_static_selectorELNS0_4arch9wavefront6targetE1EEEvSK_,comdat
.Lfunc_end3035:
	.size	_ZN7rocprim17ROCPRIM_400000_NS6detail17trampoline_kernelINS0_14default_configENS1_38merge_sort_block_merge_config_selectorItNS0_10empty_typeEEEZZNS1_27merge_sort_block_merge_implIS3_N6thrust23THRUST_200600_302600_NS6detail15normal_iteratorINS9_10device_ptrItEEEEPS5_m14custom_greaterItEEE10hipError_tT0_T1_T2_jT3_P12ihipStream_tbPNSt15iterator_traitsISJ_E10value_typeEPNSP_ISK_E10value_typeEPSL_NS1_7vsmem_tEENKUlT_SJ_SK_SL_E_clIPtSE_SF_SF_EESI_SY_SJ_SK_SL_EUlSY_E1_NS1_11comp_targetILNS1_3genE9ELNS1_11target_archE1100ELNS1_3gpuE3ELNS1_3repE0EEENS1_36merge_oddeven_config_static_selectorELNS0_4arch9wavefront6targetE1EEEvSK_, .Lfunc_end3035-_ZN7rocprim17ROCPRIM_400000_NS6detail17trampoline_kernelINS0_14default_configENS1_38merge_sort_block_merge_config_selectorItNS0_10empty_typeEEEZZNS1_27merge_sort_block_merge_implIS3_N6thrust23THRUST_200600_302600_NS6detail15normal_iteratorINS9_10device_ptrItEEEEPS5_m14custom_greaterItEEE10hipError_tT0_T1_T2_jT3_P12ihipStream_tbPNSt15iterator_traitsISJ_E10value_typeEPNSP_ISK_E10value_typeEPSL_NS1_7vsmem_tEENKUlT_SJ_SK_SL_E_clIPtSE_SF_SF_EESI_SY_SJ_SK_SL_EUlSY_E1_NS1_11comp_targetILNS1_3genE9ELNS1_11target_archE1100ELNS1_3gpuE3ELNS1_3repE0EEENS1_36merge_oddeven_config_static_selectorELNS0_4arch9wavefront6targetE1EEEvSK_
                                        ; -- End function
	.section	.AMDGPU.csdata,"",@progbits
; Kernel info:
; codeLenInByte = 0
; NumSgprs: 4
; NumVgprs: 0
; NumAgprs: 0
; TotalNumVgprs: 0
; ScratchSize: 0
; MemoryBound: 0
; FloatMode: 240
; IeeeMode: 1
; LDSByteSize: 0 bytes/workgroup (compile time only)
; SGPRBlocks: 0
; VGPRBlocks: 0
; NumSGPRsForWavesPerEU: 4
; NumVGPRsForWavesPerEU: 1
; AccumOffset: 4
; Occupancy: 8
; WaveLimiterHint : 0
; COMPUTE_PGM_RSRC2:SCRATCH_EN: 0
; COMPUTE_PGM_RSRC2:USER_SGPR: 6
; COMPUTE_PGM_RSRC2:TRAP_HANDLER: 0
; COMPUTE_PGM_RSRC2:TGID_X_EN: 1
; COMPUTE_PGM_RSRC2:TGID_Y_EN: 0
; COMPUTE_PGM_RSRC2:TGID_Z_EN: 0
; COMPUTE_PGM_RSRC2:TIDIG_COMP_CNT: 0
; COMPUTE_PGM_RSRC3_GFX90A:ACCUM_OFFSET: 0
; COMPUTE_PGM_RSRC3_GFX90A:TG_SPLIT: 0
	.section	.text._ZN7rocprim17ROCPRIM_400000_NS6detail17trampoline_kernelINS0_14default_configENS1_38merge_sort_block_merge_config_selectorItNS0_10empty_typeEEEZZNS1_27merge_sort_block_merge_implIS3_N6thrust23THRUST_200600_302600_NS6detail15normal_iteratorINS9_10device_ptrItEEEEPS5_m14custom_greaterItEEE10hipError_tT0_T1_T2_jT3_P12ihipStream_tbPNSt15iterator_traitsISJ_E10value_typeEPNSP_ISK_E10value_typeEPSL_NS1_7vsmem_tEENKUlT_SJ_SK_SL_E_clIPtSE_SF_SF_EESI_SY_SJ_SK_SL_EUlSY_E1_NS1_11comp_targetILNS1_3genE8ELNS1_11target_archE1030ELNS1_3gpuE2ELNS1_3repE0EEENS1_36merge_oddeven_config_static_selectorELNS0_4arch9wavefront6targetE1EEEvSK_,"axG",@progbits,_ZN7rocprim17ROCPRIM_400000_NS6detail17trampoline_kernelINS0_14default_configENS1_38merge_sort_block_merge_config_selectorItNS0_10empty_typeEEEZZNS1_27merge_sort_block_merge_implIS3_N6thrust23THRUST_200600_302600_NS6detail15normal_iteratorINS9_10device_ptrItEEEEPS5_m14custom_greaterItEEE10hipError_tT0_T1_T2_jT3_P12ihipStream_tbPNSt15iterator_traitsISJ_E10value_typeEPNSP_ISK_E10value_typeEPSL_NS1_7vsmem_tEENKUlT_SJ_SK_SL_E_clIPtSE_SF_SF_EESI_SY_SJ_SK_SL_EUlSY_E1_NS1_11comp_targetILNS1_3genE8ELNS1_11target_archE1030ELNS1_3gpuE2ELNS1_3repE0EEENS1_36merge_oddeven_config_static_selectorELNS0_4arch9wavefront6targetE1EEEvSK_,comdat
	.protected	_ZN7rocprim17ROCPRIM_400000_NS6detail17trampoline_kernelINS0_14default_configENS1_38merge_sort_block_merge_config_selectorItNS0_10empty_typeEEEZZNS1_27merge_sort_block_merge_implIS3_N6thrust23THRUST_200600_302600_NS6detail15normal_iteratorINS9_10device_ptrItEEEEPS5_m14custom_greaterItEEE10hipError_tT0_T1_T2_jT3_P12ihipStream_tbPNSt15iterator_traitsISJ_E10value_typeEPNSP_ISK_E10value_typeEPSL_NS1_7vsmem_tEENKUlT_SJ_SK_SL_E_clIPtSE_SF_SF_EESI_SY_SJ_SK_SL_EUlSY_E1_NS1_11comp_targetILNS1_3genE8ELNS1_11target_archE1030ELNS1_3gpuE2ELNS1_3repE0EEENS1_36merge_oddeven_config_static_selectorELNS0_4arch9wavefront6targetE1EEEvSK_ ; -- Begin function _ZN7rocprim17ROCPRIM_400000_NS6detail17trampoline_kernelINS0_14default_configENS1_38merge_sort_block_merge_config_selectorItNS0_10empty_typeEEEZZNS1_27merge_sort_block_merge_implIS3_N6thrust23THRUST_200600_302600_NS6detail15normal_iteratorINS9_10device_ptrItEEEEPS5_m14custom_greaterItEEE10hipError_tT0_T1_T2_jT3_P12ihipStream_tbPNSt15iterator_traitsISJ_E10value_typeEPNSP_ISK_E10value_typeEPSL_NS1_7vsmem_tEENKUlT_SJ_SK_SL_E_clIPtSE_SF_SF_EESI_SY_SJ_SK_SL_EUlSY_E1_NS1_11comp_targetILNS1_3genE8ELNS1_11target_archE1030ELNS1_3gpuE2ELNS1_3repE0EEENS1_36merge_oddeven_config_static_selectorELNS0_4arch9wavefront6targetE1EEEvSK_
	.globl	_ZN7rocprim17ROCPRIM_400000_NS6detail17trampoline_kernelINS0_14default_configENS1_38merge_sort_block_merge_config_selectorItNS0_10empty_typeEEEZZNS1_27merge_sort_block_merge_implIS3_N6thrust23THRUST_200600_302600_NS6detail15normal_iteratorINS9_10device_ptrItEEEEPS5_m14custom_greaterItEEE10hipError_tT0_T1_T2_jT3_P12ihipStream_tbPNSt15iterator_traitsISJ_E10value_typeEPNSP_ISK_E10value_typeEPSL_NS1_7vsmem_tEENKUlT_SJ_SK_SL_E_clIPtSE_SF_SF_EESI_SY_SJ_SK_SL_EUlSY_E1_NS1_11comp_targetILNS1_3genE8ELNS1_11target_archE1030ELNS1_3gpuE2ELNS1_3repE0EEENS1_36merge_oddeven_config_static_selectorELNS0_4arch9wavefront6targetE1EEEvSK_
	.p2align	8
	.type	_ZN7rocprim17ROCPRIM_400000_NS6detail17trampoline_kernelINS0_14default_configENS1_38merge_sort_block_merge_config_selectorItNS0_10empty_typeEEEZZNS1_27merge_sort_block_merge_implIS3_N6thrust23THRUST_200600_302600_NS6detail15normal_iteratorINS9_10device_ptrItEEEEPS5_m14custom_greaterItEEE10hipError_tT0_T1_T2_jT3_P12ihipStream_tbPNSt15iterator_traitsISJ_E10value_typeEPNSP_ISK_E10value_typeEPSL_NS1_7vsmem_tEENKUlT_SJ_SK_SL_E_clIPtSE_SF_SF_EESI_SY_SJ_SK_SL_EUlSY_E1_NS1_11comp_targetILNS1_3genE8ELNS1_11target_archE1030ELNS1_3gpuE2ELNS1_3repE0EEENS1_36merge_oddeven_config_static_selectorELNS0_4arch9wavefront6targetE1EEEvSK_,@function
_ZN7rocprim17ROCPRIM_400000_NS6detail17trampoline_kernelINS0_14default_configENS1_38merge_sort_block_merge_config_selectorItNS0_10empty_typeEEEZZNS1_27merge_sort_block_merge_implIS3_N6thrust23THRUST_200600_302600_NS6detail15normal_iteratorINS9_10device_ptrItEEEEPS5_m14custom_greaterItEEE10hipError_tT0_T1_T2_jT3_P12ihipStream_tbPNSt15iterator_traitsISJ_E10value_typeEPNSP_ISK_E10value_typeEPSL_NS1_7vsmem_tEENKUlT_SJ_SK_SL_E_clIPtSE_SF_SF_EESI_SY_SJ_SK_SL_EUlSY_E1_NS1_11comp_targetILNS1_3genE8ELNS1_11target_archE1030ELNS1_3gpuE2ELNS1_3repE0EEENS1_36merge_oddeven_config_static_selectorELNS0_4arch9wavefront6targetE1EEEvSK_: ; @_ZN7rocprim17ROCPRIM_400000_NS6detail17trampoline_kernelINS0_14default_configENS1_38merge_sort_block_merge_config_selectorItNS0_10empty_typeEEEZZNS1_27merge_sort_block_merge_implIS3_N6thrust23THRUST_200600_302600_NS6detail15normal_iteratorINS9_10device_ptrItEEEEPS5_m14custom_greaterItEEE10hipError_tT0_T1_T2_jT3_P12ihipStream_tbPNSt15iterator_traitsISJ_E10value_typeEPNSP_ISK_E10value_typeEPSL_NS1_7vsmem_tEENKUlT_SJ_SK_SL_E_clIPtSE_SF_SF_EESI_SY_SJ_SK_SL_EUlSY_E1_NS1_11comp_targetILNS1_3genE8ELNS1_11target_archE1030ELNS1_3gpuE2ELNS1_3repE0EEENS1_36merge_oddeven_config_static_selectorELNS0_4arch9wavefront6targetE1EEEvSK_
; %bb.0:
	.section	.rodata,"a",@progbits
	.p2align	6, 0x0
	.amdhsa_kernel _ZN7rocprim17ROCPRIM_400000_NS6detail17trampoline_kernelINS0_14default_configENS1_38merge_sort_block_merge_config_selectorItNS0_10empty_typeEEEZZNS1_27merge_sort_block_merge_implIS3_N6thrust23THRUST_200600_302600_NS6detail15normal_iteratorINS9_10device_ptrItEEEEPS5_m14custom_greaterItEEE10hipError_tT0_T1_T2_jT3_P12ihipStream_tbPNSt15iterator_traitsISJ_E10value_typeEPNSP_ISK_E10value_typeEPSL_NS1_7vsmem_tEENKUlT_SJ_SK_SL_E_clIPtSE_SF_SF_EESI_SY_SJ_SK_SL_EUlSY_E1_NS1_11comp_targetILNS1_3genE8ELNS1_11target_archE1030ELNS1_3gpuE2ELNS1_3repE0EEENS1_36merge_oddeven_config_static_selectorELNS0_4arch9wavefront6targetE1EEEvSK_
		.amdhsa_group_segment_fixed_size 0
		.amdhsa_private_segment_fixed_size 0
		.amdhsa_kernarg_size 56
		.amdhsa_user_sgpr_count 6
		.amdhsa_user_sgpr_private_segment_buffer 1
		.amdhsa_user_sgpr_dispatch_ptr 0
		.amdhsa_user_sgpr_queue_ptr 0
		.amdhsa_user_sgpr_kernarg_segment_ptr 1
		.amdhsa_user_sgpr_dispatch_id 0
		.amdhsa_user_sgpr_flat_scratch_init 0
		.amdhsa_user_sgpr_kernarg_preload_length 0
		.amdhsa_user_sgpr_kernarg_preload_offset 0
		.amdhsa_user_sgpr_private_segment_size 0
		.amdhsa_uses_dynamic_stack 0
		.amdhsa_system_sgpr_private_segment_wavefront_offset 0
		.amdhsa_system_sgpr_workgroup_id_x 1
		.amdhsa_system_sgpr_workgroup_id_y 0
		.amdhsa_system_sgpr_workgroup_id_z 0
		.amdhsa_system_sgpr_workgroup_info 0
		.amdhsa_system_vgpr_workitem_id 0
		.amdhsa_next_free_vgpr 1
		.amdhsa_next_free_sgpr 0
		.amdhsa_accum_offset 4
		.amdhsa_reserve_vcc 0
		.amdhsa_reserve_flat_scratch 0
		.amdhsa_float_round_mode_32 0
		.amdhsa_float_round_mode_16_64 0
		.amdhsa_float_denorm_mode_32 3
		.amdhsa_float_denorm_mode_16_64 3
		.amdhsa_dx10_clamp 1
		.amdhsa_ieee_mode 1
		.amdhsa_fp16_overflow 0
		.amdhsa_tg_split 0
		.amdhsa_exception_fp_ieee_invalid_op 0
		.amdhsa_exception_fp_denorm_src 0
		.amdhsa_exception_fp_ieee_div_zero 0
		.amdhsa_exception_fp_ieee_overflow 0
		.amdhsa_exception_fp_ieee_underflow 0
		.amdhsa_exception_fp_ieee_inexact 0
		.amdhsa_exception_int_div_zero 0
	.end_amdhsa_kernel
	.section	.text._ZN7rocprim17ROCPRIM_400000_NS6detail17trampoline_kernelINS0_14default_configENS1_38merge_sort_block_merge_config_selectorItNS0_10empty_typeEEEZZNS1_27merge_sort_block_merge_implIS3_N6thrust23THRUST_200600_302600_NS6detail15normal_iteratorINS9_10device_ptrItEEEEPS5_m14custom_greaterItEEE10hipError_tT0_T1_T2_jT3_P12ihipStream_tbPNSt15iterator_traitsISJ_E10value_typeEPNSP_ISK_E10value_typeEPSL_NS1_7vsmem_tEENKUlT_SJ_SK_SL_E_clIPtSE_SF_SF_EESI_SY_SJ_SK_SL_EUlSY_E1_NS1_11comp_targetILNS1_3genE8ELNS1_11target_archE1030ELNS1_3gpuE2ELNS1_3repE0EEENS1_36merge_oddeven_config_static_selectorELNS0_4arch9wavefront6targetE1EEEvSK_,"axG",@progbits,_ZN7rocprim17ROCPRIM_400000_NS6detail17trampoline_kernelINS0_14default_configENS1_38merge_sort_block_merge_config_selectorItNS0_10empty_typeEEEZZNS1_27merge_sort_block_merge_implIS3_N6thrust23THRUST_200600_302600_NS6detail15normal_iteratorINS9_10device_ptrItEEEEPS5_m14custom_greaterItEEE10hipError_tT0_T1_T2_jT3_P12ihipStream_tbPNSt15iterator_traitsISJ_E10value_typeEPNSP_ISK_E10value_typeEPSL_NS1_7vsmem_tEENKUlT_SJ_SK_SL_E_clIPtSE_SF_SF_EESI_SY_SJ_SK_SL_EUlSY_E1_NS1_11comp_targetILNS1_3genE8ELNS1_11target_archE1030ELNS1_3gpuE2ELNS1_3repE0EEENS1_36merge_oddeven_config_static_selectorELNS0_4arch9wavefront6targetE1EEEvSK_,comdat
.Lfunc_end3036:
	.size	_ZN7rocprim17ROCPRIM_400000_NS6detail17trampoline_kernelINS0_14default_configENS1_38merge_sort_block_merge_config_selectorItNS0_10empty_typeEEEZZNS1_27merge_sort_block_merge_implIS3_N6thrust23THRUST_200600_302600_NS6detail15normal_iteratorINS9_10device_ptrItEEEEPS5_m14custom_greaterItEEE10hipError_tT0_T1_T2_jT3_P12ihipStream_tbPNSt15iterator_traitsISJ_E10value_typeEPNSP_ISK_E10value_typeEPSL_NS1_7vsmem_tEENKUlT_SJ_SK_SL_E_clIPtSE_SF_SF_EESI_SY_SJ_SK_SL_EUlSY_E1_NS1_11comp_targetILNS1_3genE8ELNS1_11target_archE1030ELNS1_3gpuE2ELNS1_3repE0EEENS1_36merge_oddeven_config_static_selectorELNS0_4arch9wavefront6targetE1EEEvSK_, .Lfunc_end3036-_ZN7rocprim17ROCPRIM_400000_NS6detail17trampoline_kernelINS0_14default_configENS1_38merge_sort_block_merge_config_selectorItNS0_10empty_typeEEEZZNS1_27merge_sort_block_merge_implIS3_N6thrust23THRUST_200600_302600_NS6detail15normal_iteratorINS9_10device_ptrItEEEEPS5_m14custom_greaterItEEE10hipError_tT0_T1_T2_jT3_P12ihipStream_tbPNSt15iterator_traitsISJ_E10value_typeEPNSP_ISK_E10value_typeEPSL_NS1_7vsmem_tEENKUlT_SJ_SK_SL_E_clIPtSE_SF_SF_EESI_SY_SJ_SK_SL_EUlSY_E1_NS1_11comp_targetILNS1_3genE8ELNS1_11target_archE1030ELNS1_3gpuE2ELNS1_3repE0EEENS1_36merge_oddeven_config_static_selectorELNS0_4arch9wavefront6targetE1EEEvSK_
                                        ; -- End function
	.section	.AMDGPU.csdata,"",@progbits
; Kernel info:
; codeLenInByte = 0
; NumSgprs: 4
; NumVgprs: 0
; NumAgprs: 0
; TotalNumVgprs: 0
; ScratchSize: 0
; MemoryBound: 0
; FloatMode: 240
; IeeeMode: 1
; LDSByteSize: 0 bytes/workgroup (compile time only)
; SGPRBlocks: 0
; VGPRBlocks: 0
; NumSGPRsForWavesPerEU: 4
; NumVGPRsForWavesPerEU: 1
; AccumOffset: 4
; Occupancy: 8
; WaveLimiterHint : 0
; COMPUTE_PGM_RSRC2:SCRATCH_EN: 0
; COMPUTE_PGM_RSRC2:USER_SGPR: 6
; COMPUTE_PGM_RSRC2:TRAP_HANDLER: 0
; COMPUTE_PGM_RSRC2:TGID_X_EN: 1
; COMPUTE_PGM_RSRC2:TGID_Y_EN: 0
; COMPUTE_PGM_RSRC2:TGID_Z_EN: 0
; COMPUTE_PGM_RSRC2:TIDIG_COMP_CNT: 0
; COMPUTE_PGM_RSRC3_GFX90A:ACCUM_OFFSET: 0
; COMPUTE_PGM_RSRC3_GFX90A:TG_SPLIT: 0
	.section	.text._ZN7rocprim17ROCPRIM_400000_NS6detail17trampoline_kernelINS0_14default_configENS1_38merge_sort_block_merge_config_selectorItNS0_10empty_typeEEEZZNS1_27merge_sort_block_merge_implIS3_N6thrust23THRUST_200600_302600_NS6detail15normal_iteratorINS9_10device_ptrItEEEEPS5_m14custom_greaterItEEE10hipError_tT0_T1_T2_jT3_P12ihipStream_tbPNSt15iterator_traitsISJ_E10value_typeEPNSP_ISK_E10value_typeEPSL_NS1_7vsmem_tEENKUlT_SJ_SK_SL_E_clISE_PtSF_SF_EESI_SY_SJ_SK_SL_EUlSY_E_NS1_11comp_targetILNS1_3genE0ELNS1_11target_archE4294967295ELNS1_3gpuE0ELNS1_3repE0EEENS1_48merge_mergepath_partition_config_static_selectorELNS0_4arch9wavefront6targetE1EEEvSK_,"axG",@progbits,_ZN7rocprim17ROCPRIM_400000_NS6detail17trampoline_kernelINS0_14default_configENS1_38merge_sort_block_merge_config_selectorItNS0_10empty_typeEEEZZNS1_27merge_sort_block_merge_implIS3_N6thrust23THRUST_200600_302600_NS6detail15normal_iteratorINS9_10device_ptrItEEEEPS5_m14custom_greaterItEEE10hipError_tT0_T1_T2_jT3_P12ihipStream_tbPNSt15iterator_traitsISJ_E10value_typeEPNSP_ISK_E10value_typeEPSL_NS1_7vsmem_tEENKUlT_SJ_SK_SL_E_clISE_PtSF_SF_EESI_SY_SJ_SK_SL_EUlSY_E_NS1_11comp_targetILNS1_3genE0ELNS1_11target_archE4294967295ELNS1_3gpuE0ELNS1_3repE0EEENS1_48merge_mergepath_partition_config_static_selectorELNS0_4arch9wavefront6targetE1EEEvSK_,comdat
	.protected	_ZN7rocprim17ROCPRIM_400000_NS6detail17trampoline_kernelINS0_14default_configENS1_38merge_sort_block_merge_config_selectorItNS0_10empty_typeEEEZZNS1_27merge_sort_block_merge_implIS3_N6thrust23THRUST_200600_302600_NS6detail15normal_iteratorINS9_10device_ptrItEEEEPS5_m14custom_greaterItEEE10hipError_tT0_T1_T2_jT3_P12ihipStream_tbPNSt15iterator_traitsISJ_E10value_typeEPNSP_ISK_E10value_typeEPSL_NS1_7vsmem_tEENKUlT_SJ_SK_SL_E_clISE_PtSF_SF_EESI_SY_SJ_SK_SL_EUlSY_E_NS1_11comp_targetILNS1_3genE0ELNS1_11target_archE4294967295ELNS1_3gpuE0ELNS1_3repE0EEENS1_48merge_mergepath_partition_config_static_selectorELNS0_4arch9wavefront6targetE1EEEvSK_ ; -- Begin function _ZN7rocprim17ROCPRIM_400000_NS6detail17trampoline_kernelINS0_14default_configENS1_38merge_sort_block_merge_config_selectorItNS0_10empty_typeEEEZZNS1_27merge_sort_block_merge_implIS3_N6thrust23THRUST_200600_302600_NS6detail15normal_iteratorINS9_10device_ptrItEEEEPS5_m14custom_greaterItEEE10hipError_tT0_T1_T2_jT3_P12ihipStream_tbPNSt15iterator_traitsISJ_E10value_typeEPNSP_ISK_E10value_typeEPSL_NS1_7vsmem_tEENKUlT_SJ_SK_SL_E_clISE_PtSF_SF_EESI_SY_SJ_SK_SL_EUlSY_E_NS1_11comp_targetILNS1_3genE0ELNS1_11target_archE4294967295ELNS1_3gpuE0ELNS1_3repE0EEENS1_48merge_mergepath_partition_config_static_selectorELNS0_4arch9wavefront6targetE1EEEvSK_
	.globl	_ZN7rocprim17ROCPRIM_400000_NS6detail17trampoline_kernelINS0_14default_configENS1_38merge_sort_block_merge_config_selectorItNS0_10empty_typeEEEZZNS1_27merge_sort_block_merge_implIS3_N6thrust23THRUST_200600_302600_NS6detail15normal_iteratorINS9_10device_ptrItEEEEPS5_m14custom_greaterItEEE10hipError_tT0_T1_T2_jT3_P12ihipStream_tbPNSt15iterator_traitsISJ_E10value_typeEPNSP_ISK_E10value_typeEPSL_NS1_7vsmem_tEENKUlT_SJ_SK_SL_E_clISE_PtSF_SF_EESI_SY_SJ_SK_SL_EUlSY_E_NS1_11comp_targetILNS1_3genE0ELNS1_11target_archE4294967295ELNS1_3gpuE0ELNS1_3repE0EEENS1_48merge_mergepath_partition_config_static_selectorELNS0_4arch9wavefront6targetE1EEEvSK_
	.p2align	8
	.type	_ZN7rocprim17ROCPRIM_400000_NS6detail17trampoline_kernelINS0_14default_configENS1_38merge_sort_block_merge_config_selectorItNS0_10empty_typeEEEZZNS1_27merge_sort_block_merge_implIS3_N6thrust23THRUST_200600_302600_NS6detail15normal_iteratorINS9_10device_ptrItEEEEPS5_m14custom_greaterItEEE10hipError_tT0_T1_T2_jT3_P12ihipStream_tbPNSt15iterator_traitsISJ_E10value_typeEPNSP_ISK_E10value_typeEPSL_NS1_7vsmem_tEENKUlT_SJ_SK_SL_E_clISE_PtSF_SF_EESI_SY_SJ_SK_SL_EUlSY_E_NS1_11comp_targetILNS1_3genE0ELNS1_11target_archE4294967295ELNS1_3gpuE0ELNS1_3repE0EEENS1_48merge_mergepath_partition_config_static_selectorELNS0_4arch9wavefront6targetE1EEEvSK_,@function
_ZN7rocprim17ROCPRIM_400000_NS6detail17trampoline_kernelINS0_14default_configENS1_38merge_sort_block_merge_config_selectorItNS0_10empty_typeEEEZZNS1_27merge_sort_block_merge_implIS3_N6thrust23THRUST_200600_302600_NS6detail15normal_iteratorINS9_10device_ptrItEEEEPS5_m14custom_greaterItEEE10hipError_tT0_T1_T2_jT3_P12ihipStream_tbPNSt15iterator_traitsISJ_E10value_typeEPNSP_ISK_E10value_typeEPSL_NS1_7vsmem_tEENKUlT_SJ_SK_SL_E_clISE_PtSF_SF_EESI_SY_SJ_SK_SL_EUlSY_E_NS1_11comp_targetILNS1_3genE0ELNS1_11target_archE4294967295ELNS1_3gpuE0ELNS1_3repE0EEENS1_48merge_mergepath_partition_config_static_selectorELNS0_4arch9wavefront6targetE1EEEvSK_: ; @_ZN7rocprim17ROCPRIM_400000_NS6detail17trampoline_kernelINS0_14default_configENS1_38merge_sort_block_merge_config_selectorItNS0_10empty_typeEEEZZNS1_27merge_sort_block_merge_implIS3_N6thrust23THRUST_200600_302600_NS6detail15normal_iteratorINS9_10device_ptrItEEEEPS5_m14custom_greaterItEEE10hipError_tT0_T1_T2_jT3_P12ihipStream_tbPNSt15iterator_traitsISJ_E10value_typeEPNSP_ISK_E10value_typeEPSL_NS1_7vsmem_tEENKUlT_SJ_SK_SL_E_clISE_PtSF_SF_EESI_SY_SJ_SK_SL_EUlSY_E_NS1_11comp_targetILNS1_3genE0ELNS1_11target_archE4294967295ELNS1_3gpuE0ELNS1_3repE0EEENS1_48merge_mergepath_partition_config_static_selectorELNS0_4arch9wavefront6targetE1EEEvSK_
; %bb.0:
	.section	.rodata,"a",@progbits
	.p2align	6, 0x0
	.amdhsa_kernel _ZN7rocprim17ROCPRIM_400000_NS6detail17trampoline_kernelINS0_14default_configENS1_38merge_sort_block_merge_config_selectorItNS0_10empty_typeEEEZZNS1_27merge_sort_block_merge_implIS3_N6thrust23THRUST_200600_302600_NS6detail15normal_iteratorINS9_10device_ptrItEEEEPS5_m14custom_greaterItEEE10hipError_tT0_T1_T2_jT3_P12ihipStream_tbPNSt15iterator_traitsISJ_E10value_typeEPNSP_ISK_E10value_typeEPSL_NS1_7vsmem_tEENKUlT_SJ_SK_SL_E_clISE_PtSF_SF_EESI_SY_SJ_SK_SL_EUlSY_E_NS1_11comp_targetILNS1_3genE0ELNS1_11target_archE4294967295ELNS1_3gpuE0ELNS1_3repE0EEENS1_48merge_mergepath_partition_config_static_selectorELNS0_4arch9wavefront6targetE1EEEvSK_
		.amdhsa_group_segment_fixed_size 0
		.amdhsa_private_segment_fixed_size 0
		.amdhsa_kernarg_size 48
		.amdhsa_user_sgpr_count 6
		.amdhsa_user_sgpr_private_segment_buffer 1
		.amdhsa_user_sgpr_dispatch_ptr 0
		.amdhsa_user_sgpr_queue_ptr 0
		.amdhsa_user_sgpr_kernarg_segment_ptr 1
		.amdhsa_user_sgpr_dispatch_id 0
		.amdhsa_user_sgpr_flat_scratch_init 0
		.amdhsa_user_sgpr_kernarg_preload_length 0
		.amdhsa_user_sgpr_kernarg_preload_offset 0
		.amdhsa_user_sgpr_private_segment_size 0
		.amdhsa_uses_dynamic_stack 0
		.amdhsa_system_sgpr_private_segment_wavefront_offset 0
		.amdhsa_system_sgpr_workgroup_id_x 1
		.amdhsa_system_sgpr_workgroup_id_y 0
		.amdhsa_system_sgpr_workgroup_id_z 0
		.amdhsa_system_sgpr_workgroup_info 0
		.amdhsa_system_vgpr_workitem_id 0
		.amdhsa_next_free_vgpr 1
		.amdhsa_next_free_sgpr 0
		.amdhsa_accum_offset 4
		.amdhsa_reserve_vcc 0
		.amdhsa_reserve_flat_scratch 0
		.amdhsa_float_round_mode_32 0
		.amdhsa_float_round_mode_16_64 0
		.amdhsa_float_denorm_mode_32 3
		.amdhsa_float_denorm_mode_16_64 3
		.amdhsa_dx10_clamp 1
		.amdhsa_ieee_mode 1
		.amdhsa_fp16_overflow 0
		.amdhsa_tg_split 0
		.amdhsa_exception_fp_ieee_invalid_op 0
		.amdhsa_exception_fp_denorm_src 0
		.amdhsa_exception_fp_ieee_div_zero 0
		.amdhsa_exception_fp_ieee_overflow 0
		.amdhsa_exception_fp_ieee_underflow 0
		.amdhsa_exception_fp_ieee_inexact 0
		.amdhsa_exception_int_div_zero 0
	.end_amdhsa_kernel
	.section	.text._ZN7rocprim17ROCPRIM_400000_NS6detail17trampoline_kernelINS0_14default_configENS1_38merge_sort_block_merge_config_selectorItNS0_10empty_typeEEEZZNS1_27merge_sort_block_merge_implIS3_N6thrust23THRUST_200600_302600_NS6detail15normal_iteratorINS9_10device_ptrItEEEEPS5_m14custom_greaterItEEE10hipError_tT0_T1_T2_jT3_P12ihipStream_tbPNSt15iterator_traitsISJ_E10value_typeEPNSP_ISK_E10value_typeEPSL_NS1_7vsmem_tEENKUlT_SJ_SK_SL_E_clISE_PtSF_SF_EESI_SY_SJ_SK_SL_EUlSY_E_NS1_11comp_targetILNS1_3genE0ELNS1_11target_archE4294967295ELNS1_3gpuE0ELNS1_3repE0EEENS1_48merge_mergepath_partition_config_static_selectorELNS0_4arch9wavefront6targetE1EEEvSK_,"axG",@progbits,_ZN7rocprim17ROCPRIM_400000_NS6detail17trampoline_kernelINS0_14default_configENS1_38merge_sort_block_merge_config_selectorItNS0_10empty_typeEEEZZNS1_27merge_sort_block_merge_implIS3_N6thrust23THRUST_200600_302600_NS6detail15normal_iteratorINS9_10device_ptrItEEEEPS5_m14custom_greaterItEEE10hipError_tT0_T1_T2_jT3_P12ihipStream_tbPNSt15iterator_traitsISJ_E10value_typeEPNSP_ISK_E10value_typeEPSL_NS1_7vsmem_tEENKUlT_SJ_SK_SL_E_clISE_PtSF_SF_EESI_SY_SJ_SK_SL_EUlSY_E_NS1_11comp_targetILNS1_3genE0ELNS1_11target_archE4294967295ELNS1_3gpuE0ELNS1_3repE0EEENS1_48merge_mergepath_partition_config_static_selectorELNS0_4arch9wavefront6targetE1EEEvSK_,comdat
.Lfunc_end3037:
	.size	_ZN7rocprim17ROCPRIM_400000_NS6detail17trampoline_kernelINS0_14default_configENS1_38merge_sort_block_merge_config_selectorItNS0_10empty_typeEEEZZNS1_27merge_sort_block_merge_implIS3_N6thrust23THRUST_200600_302600_NS6detail15normal_iteratorINS9_10device_ptrItEEEEPS5_m14custom_greaterItEEE10hipError_tT0_T1_T2_jT3_P12ihipStream_tbPNSt15iterator_traitsISJ_E10value_typeEPNSP_ISK_E10value_typeEPSL_NS1_7vsmem_tEENKUlT_SJ_SK_SL_E_clISE_PtSF_SF_EESI_SY_SJ_SK_SL_EUlSY_E_NS1_11comp_targetILNS1_3genE0ELNS1_11target_archE4294967295ELNS1_3gpuE0ELNS1_3repE0EEENS1_48merge_mergepath_partition_config_static_selectorELNS0_4arch9wavefront6targetE1EEEvSK_, .Lfunc_end3037-_ZN7rocprim17ROCPRIM_400000_NS6detail17trampoline_kernelINS0_14default_configENS1_38merge_sort_block_merge_config_selectorItNS0_10empty_typeEEEZZNS1_27merge_sort_block_merge_implIS3_N6thrust23THRUST_200600_302600_NS6detail15normal_iteratorINS9_10device_ptrItEEEEPS5_m14custom_greaterItEEE10hipError_tT0_T1_T2_jT3_P12ihipStream_tbPNSt15iterator_traitsISJ_E10value_typeEPNSP_ISK_E10value_typeEPSL_NS1_7vsmem_tEENKUlT_SJ_SK_SL_E_clISE_PtSF_SF_EESI_SY_SJ_SK_SL_EUlSY_E_NS1_11comp_targetILNS1_3genE0ELNS1_11target_archE4294967295ELNS1_3gpuE0ELNS1_3repE0EEENS1_48merge_mergepath_partition_config_static_selectorELNS0_4arch9wavefront6targetE1EEEvSK_
                                        ; -- End function
	.section	.AMDGPU.csdata,"",@progbits
; Kernel info:
; codeLenInByte = 0
; NumSgprs: 4
; NumVgprs: 0
; NumAgprs: 0
; TotalNumVgprs: 0
; ScratchSize: 0
; MemoryBound: 0
; FloatMode: 240
; IeeeMode: 1
; LDSByteSize: 0 bytes/workgroup (compile time only)
; SGPRBlocks: 0
; VGPRBlocks: 0
; NumSGPRsForWavesPerEU: 4
; NumVGPRsForWavesPerEU: 1
; AccumOffset: 4
; Occupancy: 8
; WaveLimiterHint : 0
; COMPUTE_PGM_RSRC2:SCRATCH_EN: 0
; COMPUTE_PGM_RSRC2:USER_SGPR: 6
; COMPUTE_PGM_RSRC2:TRAP_HANDLER: 0
; COMPUTE_PGM_RSRC2:TGID_X_EN: 1
; COMPUTE_PGM_RSRC2:TGID_Y_EN: 0
; COMPUTE_PGM_RSRC2:TGID_Z_EN: 0
; COMPUTE_PGM_RSRC2:TIDIG_COMP_CNT: 0
; COMPUTE_PGM_RSRC3_GFX90A:ACCUM_OFFSET: 0
; COMPUTE_PGM_RSRC3_GFX90A:TG_SPLIT: 0
	.section	.text._ZN7rocprim17ROCPRIM_400000_NS6detail17trampoline_kernelINS0_14default_configENS1_38merge_sort_block_merge_config_selectorItNS0_10empty_typeEEEZZNS1_27merge_sort_block_merge_implIS3_N6thrust23THRUST_200600_302600_NS6detail15normal_iteratorINS9_10device_ptrItEEEEPS5_m14custom_greaterItEEE10hipError_tT0_T1_T2_jT3_P12ihipStream_tbPNSt15iterator_traitsISJ_E10value_typeEPNSP_ISK_E10value_typeEPSL_NS1_7vsmem_tEENKUlT_SJ_SK_SL_E_clISE_PtSF_SF_EESI_SY_SJ_SK_SL_EUlSY_E_NS1_11comp_targetILNS1_3genE10ELNS1_11target_archE1201ELNS1_3gpuE5ELNS1_3repE0EEENS1_48merge_mergepath_partition_config_static_selectorELNS0_4arch9wavefront6targetE1EEEvSK_,"axG",@progbits,_ZN7rocprim17ROCPRIM_400000_NS6detail17trampoline_kernelINS0_14default_configENS1_38merge_sort_block_merge_config_selectorItNS0_10empty_typeEEEZZNS1_27merge_sort_block_merge_implIS3_N6thrust23THRUST_200600_302600_NS6detail15normal_iteratorINS9_10device_ptrItEEEEPS5_m14custom_greaterItEEE10hipError_tT0_T1_T2_jT3_P12ihipStream_tbPNSt15iterator_traitsISJ_E10value_typeEPNSP_ISK_E10value_typeEPSL_NS1_7vsmem_tEENKUlT_SJ_SK_SL_E_clISE_PtSF_SF_EESI_SY_SJ_SK_SL_EUlSY_E_NS1_11comp_targetILNS1_3genE10ELNS1_11target_archE1201ELNS1_3gpuE5ELNS1_3repE0EEENS1_48merge_mergepath_partition_config_static_selectorELNS0_4arch9wavefront6targetE1EEEvSK_,comdat
	.protected	_ZN7rocprim17ROCPRIM_400000_NS6detail17trampoline_kernelINS0_14default_configENS1_38merge_sort_block_merge_config_selectorItNS0_10empty_typeEEEZZNS1_27merge_sort_block_merge_implIS3_N6thrust23THRUST_200600_302600_NS6detail15normal_iteratorINS9_10device_ptrItEEEEPS5_m14custom_greaterItEEE10hipError_tT0_T1_T2_jT3_P12ihipStream_tbPNSt15iterator_traitsISJ_E10value_typeEPNSP_ISK_E10value_typeEPSL_NS1_7vsmem_tEENKUlT_SJ_SK_SL_E_clISE_PtSF_SF_EESI_SY_SJ_SK_SL_EUlSY_E_NS1_11comp_targetILNS1_3genE10ELNS1_11target_archE1201ELNS1_3gpuE5ELNS1_3repE0EEENS1_48merge_mergepath_partition_config_static_selectorELNS0_4arch9wavefront6targetE1EEEvSK_ ; -- Begin function _ZN7rocprim17ROCPRIM_400000_NS6detail17trampoline_kernelINS0_14default_configENS1_38merge_sort_block_merge_config_selectorItNS0_10empty_typeEEEZZNS1_27merge_sort_block_merge_implIS3_N6thrust23THRUST_200600_302600_NS6detail15normal_iteratorINS9_10device_ptrItEEEEPS5_m14custom_greaterItEEE10hipError_tT0_T1_T2_jT3_P12ihipStream_tbPNSt15iterator_traitsISJ_E10value_typeEPNSP_ISK_E10value_typeEPSL_NS1_7vsmem_tEENKUlT_SJ_SK_SL_E_clISE_PtSF_SF_EESI_SY_SJ_SK_SL_EUlSY_E_NS1_11comp_targetILNS1_3genE10ELNS1_11target_archE1201ELNS1_3gpuE5ELNS1_3repE0EEENS1_48merge_mergepath_partition_config_static_selectorELNS0_4arch9wavefront6targetE1EEEvSK_
	.globl	_ZN7rocprim17ROCPRIM_400000_NS6detail17trampoline_kernelINS0_14default_configENS1_38merge_sort_block_merge_config_selectorItNS0_10empty_typeEEEZZNS1_27merge_sort_block_merge_implIS3_N6thrust23THRUST_200600_302600_NS6detail15normal_iteratorINS9_10device_ptrItEEEEPS5_m14custom_greaterItEEE10hipError_tT0_T1_T2_jT3_P12ihipStream_tbPNSt15iterator_traitsISJ_E10value_typeEPNSP_ISK_E10value_typeEPSL_NS1_7vsmem_tEENKUlT_SJ_SK_SL_E_clISE_PtSF_SF_EESI_SY_SJ_SK_SL_EUlSY_E_NS1_11comp_targetILNS1_3genE10ELNS1_11target_archE1201ELNS1_3gpuE5ELNS1_3repE0EEENS1_48merge_mergepath_partition_config_static_selectorELNS0_4arch9wavefront6targetE1EEEvSK_
	.p2align	8
	.type	_ZN7rocprim17ROCPRIM_400000_NS6detail17trampoline_kernelINS0_14default_configENS1_38merge_sort_block_merge_config_selectorItNS0_10empty_typeEEEZZNS1_27merge_sort_block_merge_implIS3_N6thrust23THRUST_200600_302600_NS6detail15normal_iteratorINS9_10device_ptrItEEEEPS5_m14custom_greaterItEEE10hipError_tT0_T1_T2_jT3_P12ihipStream_tbPNSt15iterator_traitsISJ_E10value_typeEPNSP_ISK_E10value_typeEPSL_NS1_7vsmem_tEENKUlT_SJ_SK_SL_E_clISE_PtSF_SF_EESI_SY_SJ_SK_SL_EUlSY_E_NS1_11comp_targetILNS1_3genE10ELNS1_11target_archE1201ELNS1_3gpuE5ELNS1_3repE0EEENS1_48merge_mergepath_partition_config_static_selectorELNS0_4arch9wavefront6targetE1EEEvSK_,@function
_ZN7rocprim17ROCPRIM_400000_NS6detail17trampoline_kernelINS0_14default_configENS1_38merge_sort_block_merge_config_selectorItNS0_10empty_typeEEEZZNS1_27merge_sort_block_merge_implIS3_N6thrust23THRUST_200600_302600_NS6detail15normal_iteratorINS9_10device_ptrItEEEEPS5_m14custom_greaterItEEE10hipError_tT0_T1_T2_jT3_P12ihipStream_tbPNSt15iterator_traitsISJ_E10value_typeEPNSP_ISK_E10value_typeEPSL_NS1_7vsmem_tEENKUlT_SJ_SK_SL_E_clISE_PtSF_SF_EESI_SY_SJ_SK_SL_EUlSY_E_NS1_11comp_targetILNS1_3genE10ELNS1_11target_archE1201ELNS1_3gpuE5ELNS1_3repE0EEENS1_48merge_mergepath_partition_config_static_selectorELNS0_4arch9wavefront6targetE1EEEvSK_: ; @_ZN7rocprim17ROCPRIM_400000_NS6detail17trampoline_kernelINS0_14default_configENS1_38merge_sort_block_merge_config_selectorItNS0_10empty_typeEEEZZNS1_27merge_sort_block_merge_implIS3_N6thrust23THRUST_200600_302600_NS6detail15normal_iteratorINS9_10device_ptrItEEEEPS5_m14custom_greaterItEEE10hipError_tT0_T1_T2_jT3_P12ihipStream_tbPNSt15iterator_traitsISJ_E10value_typeEPNSP_ISK_E10value_typeEPSL_NS1_7vsmem_tEENKUlT_SJ_SK_SL_E_clISE_PtSF_SF_EESI_SY_SJ_SK_SL_EUlSY_E_NS1_11comp_targetILNS1_3genE10ELNS1_11target_archE1201ELNS1_3gpuE5ELNS1_3repE0EEENS1_48merge_mergepath_partition_config_static_selectorELNS0_4arch9wavefront6targetE1EEEvSK_
; %bb.0:
	.section	.rodata,"a",@progbits
	.p2align	6, 0x0
	.amdhsa_kernel _ZN7rocprim17ROCPRIM_400000_NS6detail17trampoline_kernelINS0_14default_configENS1_38merge_sort_block_merge_config_selectorItNS0_10empty_typeEEEZZNS1_27merge_sort_block_merge_implIS3_N6thrust23THRUST_200600_302600_NS6detail15normal_iteratorINS9_10device_ptrItEEEEPS5_m14custom_greaterItEEE10hipError_tT0_T1_T2_jT3_P12ihipStream_tbPNSt15iterator_traitsISJ_E10value_typeEPNSP_ISK_E10value_typeEPSL_NS1_7vsmem_tEENKUlT_SJ_SK_SL_E_clISE_PtSF_SF_EESI_SY_SJ_SK_SL_EUlSY_E_NS1_11comp_targetILNS1_3genE10ELNS1_11target_archE1201ELNS1_3gpuE5ELNS1_3repE0EEENS1_48merge_mergepath_partition_config_static_selectorELNS0_4arch9wavefront6targetE1EEEvSK_
		.amdhsa_group_segment_fixed_size 0
		.amdhsa_private_segment_fixed_size 0
		.amdhsa_kernarg_size 48
		.amdhsa_user_sgpr_count 6
		.amdhsa_user_sgpr_private_segment_buffer 1
		.amdhsa_user_sgpr_dispatch_ptr 0
		.amdhsa_user_sgpr_queue_ptr 0
		.amdhsa_user_sgpr_kernarg_segment_ptr 1
		.amdhsa_user_sgpr_dispatch_id 0
		.amdhsa_user_sgpr_flat_scratch_init 0
		.amdhsa_user_sgpr_kernarg_preload_length 0
		.amdhsa_user_sgpr_kernarg_preload_offset 0
		.amdhsa_user_sgpr_private_segment_size 0
		.amdhsa_uses_dynamic_stack 0
		.amdhsa_system_sgpr_private_segment_wavefront_offset 0
		.amdhsa_system_sgpr_workgroup_id_x 1
		.amdhsa_system_sgpr_workgroup_id_y 0
		.amdhsa_system_sgpr_workgroup_id_z 0
		.amdhsa_system_sgpr_workgroup_info 0
		.amdhsa_system_vgpr_workitem_id 0
		.amdhsa_next_free_vgpr 1
		.amdhsa_next_free_sgpr 0
		.amdhsa_accum_offset 4
		.amdhsa_reserve_vcc 0
		.amdhsa_reserve_flat_scratch 0
		.amdhsa_float_round_mode_32 0
		.amdhsa_float_round_mode_16_64 0
		.amdhsa_float_denorm_mode_32 3
		.amdhsa_float_denorm_mode_16_64 3
		.amdhsa_dx10_clamp 1
		.amdhsa_ieee_mode 1
		.amdhsa_fp16_overflow 0
		.amdhsa_tg_split 0
		.amdhsa_exception_fp_ieee_invalid_op 0
		.amdhsa_exception_fp_denorm_src 0
		.amdhsa_exception_fp_ieee_div_zero 0
		.amdhsa_exception_fp_ieee_overflow 0
		.amdhsa_exception_fp_ieee_underflow 0
		.amdhsa_exception_fp_ieee_inexact 0
		.amdhsa_exception_int_div_zero 0
	.end_amdhsa_kernel
	.section	.text._ZN7rocprim17ROCPRIM_400000_NS6detail17trampoline_kernelINS0_14default_configENS1_38merge_sort_block_merge_config_selectorItNS0_10empty_typeEEEZZNS1_27merge_sort_block_merge_implIS3_N6thrust23THRUST_200600_302600_NS6detail15normal_iteratorINS9_10device_ptrItEEEEPS5_m14custom_greaterItEEE10hipError_tT0_T1_T2_jT3_P12ihipStream_tbPNSt15iterator_traitsISJ_E10value_typeEPNSP_ISK_E10value_typeEPSL_NS1_7vsmem_tEENKUlT_SJ_SK_SL_E_clISE_PtSF_SF_EESI_SY_SJ_SK_SL_EUlSY_E_NS1_11comp_targetILNS1_3genE10ELNS1_11target_archE1201ELNS1_3gpuE5ELNS1_3repE0EEENS1_48merge_mergepath_partition_config_static_selectorELNS0_4arch9wavefront6targetE1EEEvSK_,"axG",@progbits,_ZN7rocprim17ROCPRIM_400000_NS6detail17trampoline_kernelINS0_14default_configENS1_38merge_sort_block_merge_config_selectorItNS0_10empty_typeEEEZZNS1_27merge_sort_block_merge_implIS3_N6thrust23THRUST_200600_302600_NS6detail15normal_iteratorINS9_10device_ptrItEEEEPS5_m14custom_greaterItEEE10hipError_tT0_T1_T2_jT3_P12ihipStream_tbPNSt15iterator_traitsISJ_E10value_typeEPNSP_ISK_E10value_typeEPSL_NS1_7vsmem_tEENKUlT_SJ_SK_SL_E_clISE_PtSF_SF_EESI_SY_SJ_SK_SL_EUlSY_E_NS1_11comp_targetILNS1_3genE10ELNS1_11target_archE1201ELNS1_3gpuE5ELNS1_3repE0EEENS1_48merge_mergepath_partition_config_static_selectorELNS0_4arch9wavefront6targetE1EEEvSK_,comdat
.Lfunc_end3038:
	.size	_ZN7rocprim17ROCPRIM_400000_NS6detail17trampoline_kernelINS0_14default_configENS1_38merge_sort_block_merge_config_selectorItNS0_10empty_typeEEEZZNS1_27merge_sort_block_merge_implIS3_N6thrust23THRUST_200600_302600_NS6detail15normal_iteratorINS9_10device_ptrItEEEEPS5_m14custom_greaterItEEE10hipError_tT0_T1_T2_jT3_P12ihipStream_tbPNSt15iterator_traitsISJ_E10value_typeEPNSP_ISK_E10value_typeEPSL_NS1_7vsmem_tEENKUlT_SJ_SK_SL_E_clISE_PtSF_SF_EESI_SY_SJ_SK_SL_EUlSY_E_NS1_11comp_targetILNS1_3genE10ELNS1_11target_archE1201ELNS1_3gpuE5ELNS1_3repE0EEENS1_48merge_mergepath_partition_config_static_selectorELNS0_4arch9wavefront6targetE1EEEvSK_, .Lfunc_end3038-_ZN7rocprim17ROCPRIM_400000_NS6detail17trampoline_kernelINS0_14default_configENS1_38merge_sort_block_merge_config_selectorItNS0_10empty_typeEEEZZNS1_27merge_sort_block_merge_implIS3_N6thrust23THRUST_200600_302600_NS6detail15normal_iteratorINS9_10device_ptrItEEEEPS5_m14custom_greaterItEEE10hipError_tT0_T1_T2_jT3_P12ihipStream_tbPNSt15iterator_traitsISJ_E10value_typeEPNSP_ISK_E10value_typeEPSL_NS1_7vsmem_tEENKUlT_SJ_SK_SL_E_clISE_PtSF_SF_EESI_SY_SJ_SK_SL_EUlSY_E_NS1_11comp_targetILNS1_3genE10ELNS1_11target_archE1201ELNS1_3gpuE5ELNS1_3repE0EEENS1_48merge_mergepath_partition_config_static_selectorELNS0_4arch9wavefront6targetE1EEEvSK_
                                        ; -- End function
	.section	.AMDGPU.csdata,"",@progbits
; Kernel info:
; codeLenInByte = 0
; NumSgprs: 4
; NumVgprs: 0
; NumAgprs: 0
; TotalNumVgprs: 0
; ScratchSize: 0
; MemoryBound: 0
; FloatMode: 240
; IeeeMode: 1
; LDSByteSize: 0 bytes/workgroup (compile time only)
; SGPRBlocks: 0
; VGPRBlocks: 0
; NumSGPRsForWavesPerEU: 4
; NumVGPRsForWavesPerEU: 1
; AccumOffset: 4
; Occupancy: 8
; WaveLimiterHint : 0
; COMPUTE_PGM_RSRC2:SCRATCH_EN: 0
; COMPUTE_PGM_RSRC2:USER_SGPR: 6
; COMPUTE_PGM_RSRC2:TRAP_HANDLER: 0
; COMPUTE_PGM_RSRC2:TGID_X_EN: 1
; COMPUTE_PGM_RSRC2:TGID_Y_EN: 0
; COMPUTE_PGM_RSRC2:TGID_Z_EN: 0
; COMPUTE_PGM_RSRC2:TIDIG_COMP_CNT: 0
; COMPUTE_PGM_RSRC3_GFX90A:ACCUM_OFFSET: 0
; COMPUTE_PGM_RSRC3_GFX90A:TG_SPLIT: 0
	.section	.text._ZN7rocprim17ROCPRIM_400000_NS6detail17trampoline_kernelINS0_14default_configENS1_38merge_sort_block_merge_config_selectorItNS0_10empty_typeEEEZZNS1_27merge_sort_block_merge_implIS3_N6thrust23THRUST_200600_302600_NS6detail15normal_iteratorINS9_10device_ptrItEEEEPS5_m14custom_greaterItEEE10hipError_tT0_T1_T2_jT3_P12ihipStream_tbPNSt15iterator_traitsISJ_E10value_typeEPNSP_ISK_E10value_typeEPSL_NS1_7vsmem_tEENKUlT_SJ_SK_SL_E_clISE_PtSF_SF_EESI_SY_SJ_SK_SL_EUlSY_E_NS1_11comp_targetILNS1_3genE5ELNS1_11target_archE942ELNS1_3gpuE9ELNS1_3repE0EEENS1_48merge_mergepath_partition_config_static_selectorELNS0_4arch9wavefront6targetE1EEEvSK_,"axG",@progbits,_ZN7rocprim17ROCPRIM_400000_NS6detail17trampoline_kernelINS0_14default_configENS1_38merge_sort_block_merge_config_selectorItNS0_10empty_typeEEEZZNS1_27merge_sort_block_merge_implIS3_N6thrust23THRUST_200600_302600_NS6detail15normal_iteratorINS9_10device_ptrItEEEEPS5_m14custom_greaterItEEE10hipError_tT0_T1_T2_jT3_P12ihipStream_tbPNSt15iterator_traitsISJ_E10value_typeEPNSP_ISK_E10value_typeEPSL_NS1_7vsmem_tEENKUlT_SJ_SK_SL_E_clISE_PtSF_SF_EESI_SY_SJ_SK_SL_EUlSY_E_NS1_11comp_targetILNS1_3genE5ELNS1_11target_archE942ELNS1_3gpuE9ELNS1_3repE0EEENS1_48merge_mergepath_partition_config_static_selectorELNS0_4arch9wavefront6targetE1EEEvSK_,comdat
	.protected	_ZN7rocprim17ROCPRIM_400000_NS6detail17trampoline_kernelINS0_14default_configENS1_38merge_sort_block_merge_config_selectorItNS0_10empty_typeEEEZZNS1_27merge_sort_block_merge_implIS3_N6thrust23THRUST_200600_302600_NS6detail15normal_iteratorINS9_10device_ptrItEEEEPS5_m14custom_greaterItEEE10hipError_tT0_T1_T2_jT3_P12ihipStream_tbPNSt15iterator_traitsISJ_E10value_typeEPNSP_ISK_E10value_typeEPSL_NS1_7vsmem_tEENKUlT_SJ_SK_SL_E_clISE_PtSF_SF_EESI_SY_SJ_SK_SL_EUlSY_E_NS1_11comp_targetILNS1_3genE5ELNS1_11target_archE942ELNS1_3gpuE9ELNS1_3repE0EEENS1_48merge_mergepath_partition_config_static_selectorELNS0_4arch9wavefront6targetE1EEEvSK_ ; -- Begin function _ZN7rocprim17ROCPRIM_400000_NS6detail17trampoline_kernelINS0_14default_configENS1_38merge_sort_block_merge_config_selectorItNS0_10empty_typeEEEZZNS1_27merge_sort_block_merge_implIS3_N6thrust23THRUST_200600_302600_NS6detail15normal_iteratorINS9_10device_ptrItEEEEPS5_m14custom_greaterItEEE10hipError_tT0_T1_T2_jT3_P12ihipStream_tbPNSt15iterator_traitsISJ_E10value_typeEPNSP_ISK_E10value_typeEPSL_NS1_7vsmem_tEENKUlT_SJ_SK_SL_E_clISE_PtSF_SF_EESI_SY_SJ_SK_SL_EUlSY_E_NS1_11comp_targetILNS1_3genE5ELNS1_11target_archE942ELNS1_3gpuE9ELNS1_3repE0EEENS1_48merge_mergepath_partition_config_static_selectorELNS0_4arch9wavefront6targetE1EEEvSK_
	.globl	_ZN7rocprim17ROCPRIM_400000_NS6detail17trampoline_kernelINS0_14default_configENS1_38merge_sort_block_merge_config_selectorItNS0_10empty_typeEEEZZNS1_27merge_sort_block_merge_implIS3_N6thrust23THRUST_200600_302600_NS6detail15normal_iteratorINS9_10device_ptrItEEEEPS5_m14custom_greaterItEEE10hipError_tT0_T1_T2_jT3_P12ihipStream_tbPNSt15iterator_traitsISJ_E10value_typeEPNSP_ISK_E10value_typeEPSL_NS1_7vsmem_tEENKUlT_SJ_SK_SL_E_clISE_PtSF_SF_EESI_SY_SJ_SK_SL_EUlSY_E_NS1_11comp_targetILNS1_3genE5ELNS1_11target_archE942ELNS1_3gpuE9ELNS1_3repE0EEENS1_48merge_mergepath_partition_config_static_selectorELNS0_4arch9wavefront6targetE1EEEvSK_
	.p2align	8
	.type	_ZN7rocprim17ROCPRIM_400000_NS6detail17trampoline_kernelINS0_14default_configENS1_38merge_sort_block_merge_config_selectorItNS0_10empty_typeEEEZZNS1_27merge_sort_block_merge_implIS3_N6thrust23THRUST_200600_302600_NS6detail15normal_iteratorINS9_10device_ptrItEEEEPS5_m14custom_greaterItEEE10hipError_tT0_T1_T2_jT3_P12ihipStream_tbPNSt15iterator_traitsISJ_E10value_typeEPNSP_ISK_E10value_typeEPSL_NS1_7vsmem_tEENKUlT_SJ_SK_SL_E_clISE_PtSF_SF_EESI_SY_SJ_SK_SL_EUlSY_E_NS1_11comp_targetILNS1_3genE5ELNS1_11target_archE942ELNS1_3gpuE9ELNS1_3repE0EEENS1_48merge_mergepath_partition_config_static_selectorELNS0_4arch9wavefront6targetE1EEEvSK_,@function
_ZN7rocprim17ROCPRIM_400000_NS6detail17trampoline_kernelINS0_14default_configENS1_38merge_sort_block_merge_config_selectorItNS0_10empty_typeEEEZZNS1_27merge_sort_block_merge_implIS3_N6thrust23THRUST_200600_302600_NS6detail15normal_iteratorINS9_10device_ptrItEEEEPS5_m14custom_greaterItEEE10hipError_tT0_T1_T2_jT3_P12ihipStream_tbPNSt15iterator_traitsISJ_E10value_typeEPNSP_ISK_E10value_typeEPSL_NS1_7vsmem_tEENKUlT_SJ_SK_SL_E_clISE_PtSF_SF_EESI_SY_SJ_SK_SL_EUlSY_E_NS1_11comp_targetILNS1_3genE5ELNS1_11target_archE942ELNS1_3gpuE9ELNS1_3repE0EEENS1_48merge_mergepath_partition_config_static_selectorELNS0_4arch9wavefront6targetE1EEEvSK_: ; @_ZN7rocprim17ROCPRIM_400000_NS6detail17trampoline_kernelINS0_14default_configENS1_38merge_sort_block_merge_config_selectorItNS0_10empty_typeEEEZZNS1_27merge_sort_block_merge_implIS3_N6thrust23THRUST_200600_302600_NS6detail15normal_iteratorINS9_10device_ptrItEEEEPS5_m14custom_greaterItEEE10hipError_tT0_T1_T2_jT3_P12ihipStream_tbPNSt15iterator_traitsISJ_E10value_typeEPNSP_ISK_E10value_typeEPSL_NS1_7vsmem_tEENKUlT_SJ_SK_SL_E_clISE_PtSF_SF_EESI_SY_SJ_SK_SL_EUlSY_E_NS1_11comp_targetILNS1_3genE5ELNS1_11target_archE942ELNS1_3gpuE9ELNS1_3repE0EEENS1_48merge_mergepath_partition_config_static_selectorELNS0_4arch9wavefront6targetE1EEEvSK_
; %bb.0:
	.section	.rodata,"a",@progbits
	.p2align	6, 0x0
	.amdhsa_kernel _ZN7rocprim17ROCPRIM_400000_NS6detail17trampoline_kernelINS0_14default_configENS1_38merge_sort_block_merge_config_selectorItNS0_10empty_typeEEEZZNS1_27merge_sort_block_merge_implIS3_N6thrust23THRUST_200600_302600_NS6detail15normal_iteratorINS9_10device_ptrItEEEEPS5_m14custom_greaterItEEE10hipError_tT0_T1_T2_jT3_P12ihipStream_tbPNSt15iterator_traitsISJ_E10value_typeEPNSP_ISK_E10value_typeEPSL_NS1_7vsmem_tEENKUlT_SJ_SK_SL_E_clISE_PtSF_SF_EESI_SY_SJ_SK_SL_EUlSY_E_NS1_11comp_targetILNS1_3genE5ELNS1_11target_archE942ELNS1_3gpuE9ELNS1_3repE0EEENS1_48merge_mergepath_partition_config_static_selectorELNS0_4arch9wavefront6targetE1EEEvSK_
		.amdhsa_group_segment_fixed_size 0
		.amdhsa_private_segment_fixed_size 0
		.amdhsa_kernarg_size 48
		.amdhsa_user_sgpr_count 6
		.amdhsa_user_sgpr_private_segment_buffer 1
		.amdhsa_user_sgpr_dispatch_ptr 0
		.amdhsa_user_sgpr_queue_ptr 0
		.amdhsa_user_sgpr_kernarg_segment_ptr 1
		.amdhsa_user_sgpr_dispatch_id 0
		.amdhsa_user_sgpr_flat_scratch_init 0
		.amdhsa_user_sgpr_kernarg_preload_length 0
		.amdhsa_user_sgpr_kernarg_preload_offset 0
		.amdhsa_user_sgpr_private_segment_size 0
		.amdhsa_uses_dynamic_stack 0
		.amdhsa_system_sgpr_private_segment_wavefront_offset 0
		.amdhsa_system_sgpr_workgroup_id_x 1
		.amdhsa_system_sgpr_workgroup_id_y 0
		.amdhsa_system_sgpr_workgroup_id_z 0
		.amdhsa_system_sgpr_workgroup_info 0
		.amdhsa_system_vgpr_workitem_id 0
		.amdhsa_next_free_vgpr 1
		.amdhsa_next_free_sgpr 0
		.amdhsa_accum_offset 4
		.amdhsa_reserve_vcc 0
		.amdhsa_reserve_flat_scratch 0
		.amdhsa_float_round_mode_32 0
		.amdhsa_float_round_mode_16_64 0
		.amdhsa_float_denorm_mode_32 3
		.amdhsa_float_denorm_mode_16_64 3
		.amdhsa_dx10_clamp 1
		.amdhsa_ieee_mode 1
		.amdhsa_fp16_overflow 0
		.amdhsa_tg_split 0
		.amdhsa_exception_fp_ieee_invalid_op 0
		.amdhsa_exception_fp_denorm_src 0
		.amdhsa_exception_fp_ieee_div_zero 0
		.amdhsa_exception_fp_ieee_overflow 0
		.amdhsa_exception_fp_ieee_underflow 0
		.amdhsa_exception_fp_ieee_inexact 0
		.amdhsa_exception_int_div_zero 0
	.end_amdhsa_kernel
	.section	.text._ZN7rocprim17ROCPRIM_400000_NS6detail17trampoline_kernelINS0_14default_configENS1_38merge_sort_block_merge_config_selectorItNS0_10empty_typeEEEZZNS1_27merge_sort_block_merge_implIS3_N6thrust23THRUST_200600_302600_NS6detail15normal_iteratorINS9_10device_ptrItEEEEPS5_m14custom_greaterItEEE10hipError_tT0_T1_T2_jT3_P12ihipStream_tbPNSt15iterator_traitsISJ_E10value_typeEPNSP_ISK_E10value_typeEPSL_NS1_7vsmem_tEENKUlT_SJ_SK_SL_E_clISE_PtSF_SF_EESI_SY_SJ_SK_SL_EUlSY_E_NS1_11comp_targetILNS1_3genE5ELNS1_11target_archE942ELNS1_3gpuE9ELNS1_3repE0EEENS1_48merge_mergepath_partition_config_static_selectorELNS0_4arch9wavefront6targetE1EEEvSK_,"axG",@progbits,_ZN7rocprim17ROCPRIM_400000_NS6detail17trampoline_kernelINS0_14default_configENS1_38merge_sort_block_merge_config_selectorItNS0_10empty_typeEEEZZNS1_27merge_sort_block_merge_implIS3_N6thrust23THRUST_200600_302600_NS6detail15normal_iteratorINS9_10device_ptrItEEEEPS5_m14custom_greaterItEEE10hipError_tT0_T1_T2_jT3_P12ihipStream_tbPNSt15iterator_traitsISJ_E10value_typeEPNSP_ISK_E10value_typeEPSL_NS1_7vsmem_tEENKUlT_SJ_SK_SL_E_clISE_PtSF_SF_EESI_SY_SJ_SK_SL_EUlSY_E_NS1_11comp_targetILNS1_3genE5ELNS1_11target_archE942ELNS1_3gpuE9ELNS1_3repE0EEENS1_48merge_mergepath_partition_config_static_selectorELNS0_4arch9wavefront6targetE1EEEvSK_,comdat
.Lfunc_end3039:
	.size	_ZN7rocprim17ROCPRIM_400000_NS6detail17trampoline_kernelINS0_14default_configENS1_38merge_sort_block_merge_config_selectorItNS0_10empty_typeEEEZZNS1_27merge_sort_block_merge_implIS3_N6thrust23THRUST_200600_302600_NS6detail15normal_iteratorINS9_10device_ptrItEEEEPS5_m14custom_greaterItEEE10hipError_tT0_T1_T2_jT3_P12ihipStream_tbPNSt15iterator_traitsISJ_E10value_typeEPNSP_ISK_E10value_typeEPSL_NS1_7vsmem_tEENKUlT_SJ_SK_SL_E_clISE_PtSF_SF_EESI_SY_SJ_SK_SL_EUlSY_E_NS1_11comp_targetILNS1_3genE5ELNS1_11target_archE942ELNS1_3gpuE9ELNS1_3repE0EEENS1_48merge_mergepath_partition_config_static_selectorELNS0_4arch9wavefront6targetE1EEEvSK_, .Lfunc_end3039-_ZN7rocprim17ROCPRIM_400000_NS6detail17trampoline_kernelINS0_14default_configENS1_38merge_sort_block_merge_config_selectorItNS0_10empty_typeEEEZZNS1_27merge_sort_block_merge_implIS3_N6thrust23THRUST_200600_302600_NS6detail15normal_iteratorINS9_10device_ptrItEEEEPS5_m14custom_greaterItEEE10hipError_tT0_T1_T2_jT3_P12ihipStream_tbPNSt15iterator_traitsISJ_E10value_typeEPNSP_ISK_E10value_typeEPSL_NS1_7vsmem_tEENKUlT_SJ_SK_SL_E_clISE_PtSF_SF_EESI_SY_SJ_SK_SL_EUlSY_E_NS1_11comp_targetILNS1_3genE5ELNS1_11target_archE942ELNS1_3gpuE9ELNS1_3repE0EEENS1_48merge_mergepath_partition_config_static_selectorELNS0_4arch9wavefront6targetE1EEEvSK_
                                        ; -- End function
	.section	.AMDGPU.csdata,"",@progbits
; Kernel info:
; codeLenInByte = 0
; NumSgprs: 4
; NumVgprs: 0
; NumAgprs: 0
; TotalNumVgprs: 0
; ScratchSize: 0
; MemoryBound: 0
; FloatMode: 240
; IeeeMode: 1
; LDSByteSize: 0 bytes/workgroup (compile time only)
; SGPRBlocks: 0
; VGPRBlocks: 0
; NumSGPRsForWavesPerEU: 4
; NumVGPRsForWavesPerEU: 1
; AccumOffset: 4
; Occupancy: 8
; WaveLimiterHint : 0
; COMPUTE_PGM_RSRC2:SCRATCH_EN: 0
; COMPUTE_PGM_RSRC2:USER_SGPR: 6
; COMPUTE_PGM_RSRC2:TRAP_HANDLER: 0
; COMPUTE_PGM_RSRC2:TGID_X_EN: 1
; COMPUTE_PGM_RSRC2:TGID_Y_EN: 0
; COMPUTE_PGM_RSRC2:TGID_Z_EN: 0
; COMPUTE_PGM_RSRC2:TIDIG_COMP_CNT: 0
; COMPUTE_PGM_RSRC3_GFX90A:ACCUM_OFFSET: 0
; COMPUTE_PGM_RSRC3_GFX90A:TG_SPLIT: 0
	.section	.text._ZN7rocprim17ROCPRIM_400000_NS6detail17trampoline_kernelINS0_14default_configENS1_38merge_sort_block_merge_config_selectorItNS0_10empty_typeEEEZZNS1_27merge_sort_block_merge_implIS3_N6thrust23THRUST_200600_302600_NS6detail15normal_iteratorINS9_10device_ptrItEEEEPS5_m14custom_greaterItEEE10hipError_tT0_T1_T2_jT3_P12ihipStream_tbPNSt15iterator_traitsISJ_E10value_typeEPNSP_ISK_E10value_typeEPSL_NS1_7vsmem_tEENKUlT_SJ_SK_SL_E_clISE_PtSF_SF_EESI_SY_SJ_SK_SL_EUlSY_E_NS1_11comp_targetILNS1_3genE4ELNS1_11target_archE910ELNS1_3gpuE8ELNS1_3repE0EEENS1_48merge_mergepath_partition_config_static_selectorELNS0_4arch9wavefront6targetE1EEEvSK_,"axG",@progbits,_ZN7rocprim17ROCPRIM_400000_NS6detail17trampoline_kernelINS0_14default_configENS1_38merge_sort_block_merge_config_selectorItNS0_10empty_typeEEEZZNS1_27merge_sort_block_merge_implIS3_N6thrust23THRUST_200600_302600_NS6detail15normal_iteratorINS9_10device_ptrItEEEEPS5_m14custom_greaterItEEE10hipError_tT0_T1_T2_jT3_P12ihipStream_tbPNSt15iterator_traitsISJ_E10value_typeEPNSP_ISK_E10value_typeEPSL_NS1_7vsmem_tEENKUlT_SJ_SK_SL_E_clISE_PtSF_SF_EESI_SY_SJ_SK_SL_EUlSY_E_NS1_11comp_targetILNS1_3genE4ELNS1_11target_archE910ELNS1_3gpuE8ELNS1_3repE0EEENS1_48merge_mergepath_partition_config_static_selectorELNS0_4arch9wavefront6targetE1EEEvSK_,comdat
	.protected	_ZN7rocprim17ROCPRIM_400000_NS6detail17trampoline_kernelINS0_14default_configENS1_38merge_sort_block_merge_config_selectorItNS0_10empty_typeEEEZZNS1_27merge_sort_block_merge_implIS3_N6thrust23THRUST_200600_302600_NS6detail15normal_iteratorINS9_10device_ptrItEEEEPS5_m14custom_greaterItEEE10hipError_tT0_T1_T2_jT3_P12ihipStream_tbPNSt15iterator_traitsISJ_E10value_typeEPNSP_ISK_E10value_typeEPSL_NS1_7vsmem_tEENKUlT_SJ_SK_SL_E_clISE_PtSF_SF_EESI_SY_SJ_SK_SL_EUlSY_E_NS1_11comp_targetILNS1_3genE4ELNS1_11target_archE910ELNS1_3gpuE8ELNS1_3repE0EEENS1_48merge_mergepath_partition_config_static_selectorELNS0_4arch9wavefront6targetE1EEEvSK_ ; -- Begin function _ZN7rocprim17ROCPRIM_400000_NS6detail17trampoline_kernelINS0_14default_configENS1_38merge_sort_block_merge_config_selectorItNS0_10empty_typeEEEZZNS1_27merge_sort_block_merge_implIS3_N6thrust23THRUST_200600_302600_NS6detail15normal_iteratorINS9_10device_ptrItEEEEPS5_m14custom_greaterItEEE10hipError_tT0_T1_T2_jT3_P12ihipStream_tbPNSt15iterator_traitsISJ_E10value_typeEPNSP_ISK_E10value_typeEPSL_NS1_7vsmem_tEENKUlT_SJ_SK_SL_E_clISE_PtSF_SF_EESI_SY_SJ_SK_SL_EUlSY_E_NS1_11comp_targetILNS1_3genE4ELNS1_11target_archE910ELNS1_3gpuE8ELNS1_3repE0EEENS1_48merge_mergepath_partition_config_static_selectorELNS0_4arch9wavefront6targetE1EEEvSK_
	.globl	_ZN7rocprim17ROCPRIM_400000_NS6detail17trampoline_kernelINS0_14default_configENS1_38merge_sort_block_merge_config_selectorItNS0_10empty_typeEEEZZNS1_27merge_sort_block_merge_implIS3_N6thrust23THRUST_200600_302600_NS6detail15normal_iteratorINS9_10device_ptrItEEEEPS5_m14custom_greaterItEEE10hipError_tT0_T1_T2_jT3_P12ihipStream_tbPNSt15iterator_traitsISJ_E10value_typeEPNSP_ISK_E10value_typeEPSL_NS1_7vsmem_tEENKUlT_SJ_SK_SL_E_clISE_PtSF_SF_EESI_SY_SJ_SK_SL_EUlSY_E_NS1_11comp_targetILNS1_3genE4ELNS1_11target_archE910ELNS1_3gpuE8ELNS1_3repE0EEENS1_48merge_mergepath_partition_config_static_selectorELNS0_4arch9wavefront6targetE1EEEvSK_
	.p2align	8
	.type	_ZN7rocprim17ROCPRIM_400000_NS6detail17trampoline_kernelINS0_14default_configENS1_38merge_sort_block_merge_config_selectorItNS0_10empty_typeEEEZZNS1_27merge_sort_block_merge_implIS3_N6thrust23THRUST_200600_302600_NS6detail15normal_iteratorINS9_10device_ptrItEEEEPS5_m14custom_greaterItEEE10hipError_tT0_T1_T2_jT3_P12ihipStream_tbPNSt15iterator_traitsISJ_E10value_typeEPNSP_ISK_E10value_typeEPSL_NS1_7vsmem_tEENKUlT_SJ_SK_SL_E_clISE_PtSF_SF_EESI_SY_SJ_SK_SL_EUlSY_E_NS1_11comp_targetILNS1_3genE4ELNS1_11target_archE910ELNS1_3gpuE8ELNS1_3repE0EEENS1_48merge_mergepath_partition_config_static_selectorELNS0_4arch9wavefront6targetE1EEEvSK_,@function
_ZN7rocprim17ROCPRIM_400000_NS6detail17trampoline_kernelINS0_14default_configENS1_38merge_sort_block_merge_config_selectorItNS0_10empty_typeEEEZZNS1_27merge_sort_block_merge_implIS3_N6thrust23THRUST_200600_302600_NS6detail15normal_iteratorINS9_10device_ptrItEEEEPS5_m14custom_greaterItEEE10hipError_tT0_T1_T2_jT3_P12ihipStream_tbPNSt15iterator_traitsISJ_E10value_typeEPNSP_ISK_E10value_typeEPSL_NS1_7vsmem_tEENKUlT_SJ_SK_SL_E_clISE_PtSF_SF_EESI_SY_SJ_SK_SL_EUlSY_E_NS1_11comp_targetILNS1_3genE4ELNS1_11target_archE910ELNS1_3gpuE8ELNS1_3repE0EEENS1_48merge_mergepath_partition_config_static_selectorELNS0_4arch9wavefront6targetE1EEEvSK_: ; @_ZN7rocprim17ROCPRIM_400000_NS6detail17trampoline_kernelINS0_14default_configENS1_38merge_sort_block_merge_config_selectorItNS0_10empty_typeEEEZZNS1_27merge_sort_block_merge_implIS3_N6thrust23THRUST_200600_302600_NS6detail15normal_iteratorINS9_10device_ptrItEEEEPS5_m14custom_greaterItEEE10hipError_tT0_T1_T2_jT3_P12ihipStream_tbPNSt15iterator_traitsISJ_E10value_typeEPNSP_ISK_E10value_typeEPSL_NS1_7vsmem_tEENKUlT_SJ_SK_SL_E_clISE_PtSF_SF_EESI_SY_SJ_SK_SL_EUlSY_E_NS1_11comp_targetILNS1_3genE4ELNS1_11target_archE910ELNS1_3gpuE8ELNS1_3repE0EEENS1_48merge_mergepath_partition_config_static_selectorELNS0_4arch9wavefront6targetE1EEEvSK_
; %bb.0:
	s_load_dword s0, s[4:5], 0x0
	v_lshl_or_b32 v0, s6, 7, v0
	s_waitcnt lgkmcnt(0)
	v_cmp_gt_u32_e32 vcc, s0, v0
	s_and_saveexec_b64 s[0:1], vcc
	s_cbranch_execz .LBB3040_6
; %bb.1:
	s_load_dwordx4 s[0:3], s[4:5], 0x8
	s_load_dwordx2 s[6:7], s[4:5], 0x28
	v_mov_b32_e32 v5, 0
	s_waitcnt lgkmcnt(0)
	v_mov_b32_e32 v1, s0
	v_alignbit_b32 v1, s1, v1, 9
	v_and_b32_e32 v1, -2, v1
	v_add_u32_e32 v2, -1, v1
	v_sub_u32_e32 v1, 0, v1
	v_and_b32_e32 v4, v0, v1
	v_lshlrev_b64 v[8:9], 10, v[4:5]
	v_mov_b32_e32 v1, s3
	v_cmp_lt_u64_e32 vcc, s[2:3], v[8:9]
	v_mov_b32_e32 v4, s2
	v_and_b32_e32 v6, v2, v0
	v_cndmask_b32_e32 v3, v9, v1, vcc
	v_cndmask_b32_e32 v2, v8, v4, vcc
	v_mov_b32_e32 v7, s1
	v_add_co_u32_e32 v8, vcc, s0, v8
	v_addc_co_u32_e32 v9, vcc, v9, v7, vcc
	v_cmp_lt_u64_e32 vcc, s[2:3], v[8:9]
	v_cndmask_b32_e32 v8, v8, v4, vcc
	v_cndmask_b32_e32 v9, v9, v1, vcc
	v_add_co_u32_e32 v10, vcc, s0, v8
	v_addc_co_u32_e32 v11, vcc, v9, v7, vcc
	v_cmp_lt_u64_e32 vcc, s[2:3], v[10:11]
	v_cndmask_b32_e32 v12, v10, v4, vcc
	v_cndmask_b32_e32 v1, v11, v1, vcc
	v_sub_co_u32_e32 v10, vcc, v12, v2
	v_mov_b32_e32 v7, v5
	v_subb_co_u32_e32 v11, vcc, v1, v3, vcc
	v_lshlrev_b64 v[4:5], 10, v[6:7]
	v_cmp_lt_u64_e32 vcc, v[10:11], v[4:5]
	v_cndmask_b32_e32 v11, v5, v11, vcc
	v_cndmask_b32_e32 v10, v4, v10, vcc
	v_sub_co_u32_e32 v6, vcc, v8, v2
	v_subb_co_u32_e32 v7, vcc, v9, v3, vcc
	v_sub_co_u32_e32 v4, vcc, v8, v12
	v_subb_co_u32_e32 v1, vcc, v9, v1, vcc
	v_add_co_u32_e32 v4, vcc, v10, v4
	v_addc_co_u32_e32 v5, vcc, v11, v1, vcc
	v_cmp_gt_u64_e32 vcc, v[4:5], v[10:11]
	v_cndmask_b32_e64 v5, v5, 0, vcc
	v_cndmask_b32_e64 v4, v4, 0, vcc
	v_cmp_lt_u64_e32 vcc, v[10:11], v[6:7]
	v_cndmask_b32_e32 v7, v7, v11, vcc
	v_cndmask_b32_e32 v6, v6, v10, vcc
	v_cmp_lt_u64_e32 vcc, v[4:5], v[6:7]
	s_and_saveexec_b64 s[0:1], vcc
	s_cbranch_execz .LBB3040_5
; %bb.2:
	s_load_dwordx2 s[2:3], s[4:5], 0x18
	v_lshlrev_b64 v[12:13], 1, v[2:3]
	v_lshlrev_b64 v[8:9], 1, v[8:9]
	s_waitcnt lgkmcnt(0)
	v_mov_b32_e32 v14, s3
	v_add_co_u32_e32 v1, vcc, s2, v12
	v_addc_co_u32_e32 v12, vcc, v14, v13, vcc
	v_add_co_u32_e32 v13, vcc, s2, v8
	v_addc_co_u32_e32 v14, vcc, v14, v9, vcc
	v_lshlrev_b64 v[8:9], 1, v[10:11]
	v_add_co_u32_e32 v8, vcc, v13, v8
	v_addc_co_u32_e32 v9, vcc, v14, v9, vcc
	s_mov_b64 s[2:3], 0
.LBB3040_3:                             ; =>This Inner Loop Header: Depth=1
	v_add_co_u32_e32 v10, vcc, v6, v4
	v_addc_co_u32_e32 v11, vcc, v7, v5, vcc
	v_lshrrev_b64 v[14:15], 1, v[10:11]
	v_and_b32_e32 v10, -2, v10
	v_add_co_u32_e32 v10, vcc, v1, v10
	v_not_b32_e32 v17, v15
	v_not_b32_e32 v16, v14
	v_addc_co_u32_e32 v11, vcc, v12, v11, vcc
	flat_load_ushort v13, v[10:11]
	v_lshlrev_b64 v[10:11], 1, v[16:17]
	v_add_co_u32_e32 v10, vcc, v8, v10
	v_addc_co_u32_e32 v11, vcc, v9, v11, vcc
	flat_load_ushort v10, v[10:11]
	v_add_co_u32_e32 v11, vcc, 1, v14
	v_addc_co_u32_e32 v16, vcc, 0, v15, vcc
	s_waitcnt vmcnt(0) lgkmcnt(0)
	v_cmp_gt_u16_e32 vcc, v13, v10
	v_cndmask_b32_e32 v7, v7, v15, vcc
	v_cndmask_b32_e32 v6, v6, v14, vcc
	v_cndmask_b32_e32 v5, v16, v5, vcc
	v_cndmask_b32_e32 v4, v11, v4, vcc
	v_cmp_ge_u64_e32 vcc, v[4:5], v[6:7]
	s_or_b64 s[2:3], vcc, s[2:3]
	s_andn2_b64 exec, exec, s[2:3]
	s_cbranch_execnz .LBB3040_3
; %bb.4:
	s_or_b64 exec, exec, s[2:3]
.LBB3040_5:
	s_or_b64 exec, exec, s[0:1]
	v_add_co_u32_e32 v2, vcc, v4, v2
	v_mov_b32_e32 v1, 0
	v_addc_co_u32_e32 v3, vcc, v5, v3, vcc
	v_lshlrev_b64 v[0:1], 3, v[0:1]
	v_mov_b32_e32 v4, s7
	v_add_co_u32_e32 v0, vcc, s6, v0
	v_addc_co_u32_e32 v1, vcc, v4, v1, vcc
	global_store_dwordx2 v[0:1], v[2:3], off
.LBB3040_6:
	s_endpgm
	.section	.rodata,"a",@progbits
	.p2align	6, 0x0
	.amdhsa_kernel _ZN7rocprim17ROCPRIM_400000_NS6detail17trampoline_kernelINS0_14default_configENS1_38merge_sort_block_merge_config_selectorItNS0_10empty_typeEEEZZNS1_27merge_sort_block_merge_implIS3_N6thrust23THRUST_200600_302600_NS6detail15normal_iteratorINS9_10device_ptrItEEEEPS5_m14custom_greaterItEEE10hipError_tT0_T1_T2_jT3_P12ihipStream_tbPNSt15iterator_traitsISJ_E10value_typeEPNSP_ISK_E10value_typeEPSL_NS1_7vsmem_tEENKUlT_SJ_SK_SL_E_clISE_PtSF_SF_EESI_SY_SJ_SK_SL_EUlSY_E_NS1_11comp_targetILNS1_3genE4ELNS1_11target_archE910ELNS1_3gpuE8ELNS1_3repE0EEENS1_48merge_mergepath_partition_config_static_selectorELNS0_4arch9wavefront6targetE1EEEvSK_
		.amdhsa_group_segment_fixed_size 0
		.amdhsa_private_segment_fixed_size 0
		.amdhsa_kernarg_size 48
		.amdhsa_user_sgpr_count 6
		.amdhsa_user_sgpr_private_segment_buffer 1
		.amdhsa_user_sgpr_dispatch_ptr 0
		.amdhsa_user_sgpr_queue_ptr 0
		.amdhsa_user_sgpr_kernarg_segment_ptr 1
		.amdhsa_user_sgpr_dispatch_id 0
		.amdhsa_user_sgpr_flat_scratch_init 0
		.amdhsa_user_sgpr_kernarg_preload_length 0
		.amdhsa_user_sgpr_kernarg_preload_offset 0
		.amdhsa_user_sgpr_private_segment_size 0
		.amdhsa_uses_dynamic_stack 0
		.amdhsa_system_sgpr_private_segment_wavefront_offset 0
		.amdhsa_system_sgpr_workgroup_id_x 1
		.amdhsa_system_sgpr_workgroup_id_y 0
		.amdhsa_system_sgpr_workgroup_id_z 0
		.amdhsa_system_sgpr_workgroup_info 0
		.amdhsa_system_vgpr_workitem_id 0
		.amdhsa_next_free_vgpr 18
		.amdhsa_next_free_sgpr 8
		.amdhsa_accum_offset 20
		.amdhsa_reserve_vcc 1
		.amdhsa_reserve_flat_scratch 0
		.amdhsa_float_round_mode_32 0
		.amdhsa_float_round_mode_16_64 0
		.amdhsa_float_denorm_mode_32 3
		.amdhsa_float_denorm_mode_16_64 3
		.amdhsa_dx10_clamp 1
		.amdhsa_ieee_mode 1
		.amdhsa_fp16_overflow 0
		.amdhsa_tg_split 0
		.amdhsa_exception_fp_ieee_invalid_op 0
		.amdhsa_exception_fp_denorm_src 0
		.amdhsa_exception_fp_ieee_div_zero 0
		.amdhsa_exception_fp_ieee_overflow 0
		.amdhsa_exception_fp_ieee_underflow 0
		.amdhsa_exception_fp_ieee_inexact 0
		.amdhsa_exception_int_div_zero 0
	.end_amdhsa_kernel
	.section	.text._ZN7rocprim17ROCPRIM_400000_NS6detail17trampoline_kernelINS0_14default_configENS1_38merge_sort_block_merge_config_selectorItNS0_10empty_typeEEEZZNS1_27merge_sort_block_merge_implIS3_N6thrust23THRUST_200600_302600_NS6detail15normal_iteratorINS9_10device_ptrItEEEEPS5_m14custom_greaterItEEE10hipError_tT0_T1_T2_jT3_P12ihipStream_tbPNSt15iterator_traitsISJ_E10value_typeEPNSP_ISK_E10value_typeEPSL_NS1_7vsmem_tEENKUlT_SJ_SK_SL_E_clISE_PtSF_SF_EESI_SY_SJ_SK_SL_EUlSY_E_NS1_11comp_targetILNS1_3genE4ELNS1_11target_archE910ELNS1_3gpuE8ELNS1_3repE0EEENS1_48merge_mergepath_partition_config_static_selectorELNS0_4arch9wavefront6targetE1EEEvSK_,"axG",@progbits,_ZN7rocprim17ROCPRIM_400000_NS6detail17trampoline_kernelINS0_14default_configENS1_38merge_sort_block_merge_config_selectorItNS0_10empty_typeEEEZZNS1_27merge_sort_block_merge_implIS3_N6thrust23THRUST_200600_302600_NS6detail15normal_iteratorINS9_10device_ptrItEEEEPS5_m14custom_greaterItEEE10hipError_tT0_T1_T2_jT3_P12ihipStream_tbPNSt15iterator_traitsISJ_E10value_typeEPNSP_ISK_E10value_typeEPSL_NS1_7vsmem_tEENKUlT_SJ_SK_SL_E_clISE_PtSF_SF_EESI_SY_SJ_SK_SL_EUlSY_E_NS1_11comp_targetILNS1_3genE4ELNS1_11target_archE910ELNS1_3gpuE8ELNS1_3repE0EEENS1_48merge_mergepath_partition_config_static_selectorELNS0_4arch9wavefront6targetE1EEEvSK_,comdat
.Lfunc_end3040:
	.size	_ZN7rocprim17ROCPRIM_400000_NS6detail17trampoline_kernelINS0_14default_configENS1_38merge_sort_block_merge_config_selectorItNS0_10empty_typeEEEZZNS1_27merge_sort_block_merge_implIS3_N6thrust23THRUST_200600_302600_NS6detail15normal_iteratorINS9_10device_ptrItEEEEPS5_m14custom_greaterItEEE10hipError_tT0_T1_T2_jT3_P12ihipStream_tbPNSt15iterator_traitsISJ_E10value_typeEPNSP_ISK_E10value_typeEPSL_NS1_7vsmem_tEENKUlT_SJ_SK_SL_E_clISE_PtSF_SF_EESI_SY_SJ_SK_SL_EUlSY_E_NS1_11comp_targetILNS1_3genE4ELNS1_11target_archE910ELNS1_3gpuE8ELNS1_3repE0EEENS1_48merge_mergepath_partition_config_static_selectorELNS0_4arch9wavefront6targetE1EEEvSK_, .Lfunc_end3040-_ZN7rocprim17ROCPRIM_400000_NS6detail17trampoline_kernelINS0_14default_configENS1_38merge_sort_block_merge_config_selectorItNS0_10empty_typeEEEZZNS1_27merge_sort_block_merge_implIS3_N6thrust23THRUST_200600_302600_NS6detail15normal_iteratorINS9_10device_ptrItEEEEPS5_m14custom_greaterItEEE10hipError_tT0_T1_T2_jT3_P12ihipStream_tbPNSt15iterator_traitsISJ_E10value_typeEPNSP_ISK_E10value_typeEPSL_NS1_7vsmem_tEENKUlT_SJ_SK_SL_E_clISE_PtSF_SF_EESI_SY_SJ_SK_SL_EUlSY_E_NS1_11comp_targetILNS1_3genE4ELNS1_11target_archE910ELNS1_3gpuE8ELNS1_3repE0EEENS1_48merge_mergepath_partition_config_static_selectorELNS0_4arch9wavefront6targetE1EEEvSK_
                                        ; -- End function
	.section	.AMDGPU.csdata,"",@progbits
; Kernel info:
; codeLenInByte = 496
; NumSgprs: 12
; NumVgprs: 18
; NumAgprs: 0
; TotalNumVgprs: 18
; ScratchSize: 0
; MemoryBound: 0
; FloatMode: 240
; IeeeMode: 1
; LDSByteSize: 0 bytes/workgroup (compile time only)
; SGPRBlocks: 1
; VGPRBlocks: 2
; NumSGPRsForWavesPerEU: 12
; NumVGPRsForWavesPerEU: 18
; AccumOffset: 20
; Occupancy: 8
; WaveLimiterHint : 0
; COMPUTE_PGM_RSRC2:SCRATCH_EN: 0
; COMPUTE_PGM_RSRC2:USER_SGPR: 6
; COMPUTE_PGM_RSRC2:TRAP_HANDLER: 0
; COMPUTE_PGM_RSRC2:TGID_X_EN: 1
; COMPUTE_PGM_RSRC2:TGID_Y_EN: 0
; COMPUTE_PGM_RSRC2:TGID_Z_EN: 0
; COMPUTE_PGM_RSRC2:TIDIG_COMP_CNT: 0
; COMPUTE_PGM_RSRC3_GFX90A:ACCUM_OFFSET: 4
; COMPUTE_PGM_RSRC3_GFX90A:TG_SPLIT: 0
	.section	.text._ZN7rocprim17ROCPRIM_400000_NS6detail17trampoline_kernelINS0_14default_configENS1_38merge_sort_block_merge_config_selectorItNS0_10empty_typeEEEZZNS1_27merge_sort_block_merge_implIS3_N6thrust23THRUST_200600_302600_NS6detail15normal_iteratorINS9_10device_ptrItEEEEPS5_m14custom_greaterItEEE10hipError_tT0_T1_T2_jT3_P12ihipStream_tbPNSt15iterator_traitsISJ_E10value_typeEPNSP_ISK_E10value_typeEPSL_NS1_7vsmem_tEENKUlT_SJ_SK_SL_E_clISE_PtSF_SF_EESI_SY_SJ_SK_SL_EUlSY_E_NS1_11comp_targetILNS1_3genE3ELNS1_11target_archE908ELNS1_3gpuE7ELNS1_3repE0EEENS1_48merge_mergepath_partition_config_static_selectorELNS0_4arch9wavefront6targetE1EEEvSK_,"axG",@progbits,_ZN7rocprim17ROCPRIM_400000_NS6detail17trampoline_kernelINS0_14default_configENS1_38merge_sort_block_merge_config_selectorItNS0_10empty_typeEEEZZNS1_27merge_sort_block_merge_implIS3_N6thrust23THRUST_200600_302600_NS6detail15normal_iteratorINS9_10device_ptrItEEEEPS5_m14custom_greaterItEEE10hipError_tT0_T1_T2_jT3_P12ihipStream_tbPNSt15iterator_traitsISJ_E10value_typeEPNSP_ISK_E10value_typeEPSL_NS1_7vsmem_tEENKUlT_SJ_SK_SL_E_clISE_PtSF_SF_EESI_SY_SJ_SK_SL_EUlSY_E_NS1_11comp_targetILNS1_3genE3ELNS1_11target_archE908ELNS1_3gpuE7ELNS1_3repE0EEENS1_48merge_mergepath_partition_config_static_selectorELNS0_4arch9wavefront6targetE1EEEvSK_,comdat
	.protected	_ZN7rocprim17ROCPRIM_400000_NS6detail17trampoline_kernelINS0_14default_configENS1_38merge_sort_block_merge_config_selectorItNS0_10empty_typeEEEZZNS1_27merge_sort_block_merge_implIS3_N6thrust23THRUST_200600_302600_NS6detail15normal_iteratorINS9_10device_ptrItEEEEPS5_m14custom_greaterItEEE10hipError_tT0_T1_T2_jT3_P12ihipStream_tbPNSt15iterator_traitsISJ_E10value_typeEPNSP_ISK_E10value_typeEPSL_NS1_7vsmem_tEENKUlT_SJ_SK_SL_E_clISE_PtSF_SF_EESI_SY_SJ_SK_SL_EUlSY_E_NS1_11comp_targetILNS1_3genE3ELNS1_11target_archE908ELNS1_3gpuE7ELNS1_3repE0EEENS1_48merge_mergepath_partition_config_static_selectorELNS0_4arch9wavefront6targetE1EEEvSK_ ; -- Begin function _ZN7rocprim17ROCPRIM_400000_NS6detail17trampoline_kernelINS0_14default_configENS1_38merge_sort_block_merge_config_selectorItNS0_10empty_typeEEEZZNS1_27merge_sort_block_merge_implIS3_N6thrust23THRUST_200600_302600_NS6detail15normal_iteratorINS9_10device_ptrItEEEEPS5_m14custom_greaterItEEE10hipError_tT0_T1_T2_jT3_P12ihipStream_tbPNSt15iterator_traitsISJ_E10value_typeEPNSP_ISK_E10value_typeEPSL_NS1_7vsmem_tEENKUlT_SJ_SK_SL_E_clISE_PtSF_SF_EESI_SY_SJ_SK_SL_EUlSY_E_NS1_11comp_targetILNS1_3genE3ELNS1_11target_archE908ELNS1_3gpuE7ELNS1_3repE0EEENS1_48merge_mergepath_partition_config_static_selectorELNS0_4arch9wavefront6targetE1EEEvSK_
	.globl	_ZN7rocprim17ROCPRIM_400000_NS6detail17trampoline_kernelINS0_14default_configENS1_38merge_sort_block_merge_config_selectorItNS0_10empty_typeEEEZZNS1_27merge_sort_block_merge_implIS3_N6thrust23THRUST_200600_302600_NS6detail15normal_iteratorINS9_10device_ptrItEEEEPS5_m14custom_greaterItEEE10hipError_tT0_T1_T2_jT3_P12ihipStream_tbPNSt15iterator_traitsISJ_E10value_typeEPNSP_ISK_E10value_typeEPSL_NS1_7vsmem_tEENKUlT_SJ_SK_SL_E_clISE_PtSF_SF_EESI_SY_SJ_SK_SL_EUlSY_E_NS1_11comp_targetILNS1_3genE3ELNS1_11target_archE908ELNS1_3gpuE7ELNS1_3repE0EEENS1_48merge_mergepath_partition_config_static_selectorELNS0_4arch9wavefront6targetE1EEEvSK_
	.p2align	8
	.type	_ZN7rocprim17ROCPRIM_400000_NS6detail17trampoline_kernelINS0_14default_configENS1_38merge_sort_block_merge_config_selectorItNS0_10empty_typeEEEZZNS1_27merge_sort_block_merge_implIS3_N6thrust23THRUST_200600_302600_NS6detail15normal_iteratorINS9_10device_ptrItEEEEPS5_m14custom_greaterItEEE10hipError_tT0_T1_T2_jT3_P12ihipStream_tbPNSt15iterator_traitsISJ_E10value_typeEPNSP_ISK_E10value_typeEPSL_NS1_7vsmem_tEENKUlT_SJ_SK_SL_E_clISE_PtSF_SF_EESI_SY_SJ_SK_SL_EUlSY_E_NS1_11comp_targetILNS1_3genE3ELNS1_11target_archE908ELNS1_3gpuE7ELNS1_3repE0EEENS1_48merge_mergepath_partition_config_static_selectorELNS0_4arch9wavefront6targetE1EEEvSK_,@function
_ZN7rocprim17ROCPRIM_400000_NS6detail17trampoline_kernelINS0_14default_configENS1_38merge_sort_block_merge_config_selectorItNS0_10empty_typeEEEZZNS1_27merge_sort_block_merge_implIS3_N6thrust23THRUST_200600_302600_NS6detail15normal_iteratorINS9_10device_ptrItEEEEPS5_m14custom_greaterItEEE10hipError_tT0_T1_T2_jT3_P12ihipStream_tbPNSt15iterator_traitsISJ_E10value_typeEPNSP_ISK_E10value_typeEPSL_NS1_7vsmem_tEENKUlT_SJ_SK_SL_E_clISE_PtSF_SF_EESI_SY_SJ_SK_SL_EUlSY_E_NS1_11comp_targetILNS1_3genE3ELNS1_11target_archE908ELNS1_3gpuE7ELNS1_3repE0EEENS1_48merge_mergepath_partition_config_static_selectorELNS0_4arch9wavefront6targetE1EEEvSK_: ; @_ZN7rocprim17ROCPRIM_400000_NS6detail17trampoline_kernelINS0_14default_configENS1_38merge_sort_block_merge_config_selectorItNS0_10empty_typeEEEZZNS1_27merge_sort_block_merge_implIS3_N6thrust23THRUST_200600_302600_NS6detail15normal_iteratorINS9_10device_ptrItEEEEPS5_m14custom_greaterItEEE10hipError_tT0_T1_T2_jT3_P12ihipStream_tbPNSt15iterator_traitsISJ_E10value_typeEPNSP_ISK_E10value_typeEPSL_NS1_7vsmem_tEENKUlT_SJ_SK_SL_E_clISE_PtSF_SF_EESI_SY_SJ_SK_SL_EUlSY_E_NS1_11comp_targetILNS1_3genE3ELNS1_11target_archE908ELNS1_3gpuE7ELNS1_3repE0EEENS1_48merge_mergepath_partition_config_static_selectorELNS0_4arch9wavefront6targetE1EEEvSK_
; %bb.0:
	.section	.rodata,"a",@progbits
	.p2align	6, 0x0
	.amdhsa_kernel _ZN7rocprim17ROCPRIM_400000_NS6detail17trampoline_kernelINS0_14default_configENS1_38merge_sort_block_merge_config_selectorItNS0_10empty_typeEEEZZNS1_27merge_sort_block_merge_implIS3_N6thrust23THRUST_200600_302600_NS6detail15normal_iteratorINS9_10device_ptrItEEEEPS5_m14custom_greaterItEEE10hipError_tT0_T1_T2_jT3_P12ihipStream_tbPNSt15iterator_traitsISJ_E10value_typeEPNSP_ISK_E10value_typeEPSL_NS1_7vsmem_tEENKUlT_SJ_SK_SL_E_clISE_PtSF_SF_EESI_SY_SJ_SK_SL_EUlSY_E_NS1_11comp_targetILNS1_3genE3ELNS1_11target_archE908ELNS1_3gpuE7ELNS1_3repE0EEENS1_48merge_mergepath_partition_config_static_selectorELNS0_4arch9wavefront6targetE1EEEvSK_
		.amdhsa_group_segment_fixed_size 0
		.amdhsa_private_segment_fixed_size 0
		.amdhsa_kernarg_size 48
		.amdhsa_user_sgpr_count 6
		.amdhsa_user_sgpr_private_segment_buffer 1
		.amdhsa_user_sgpr_dispatch_ptr 0
		.amdhsa_user_sgpr_queue_ptr 0
		.amdhsa_user_sgpr_kernarg_segment_ptr 1
		.amdhsa_user_sgpr_dispatch_id 0
		.amdhsa_user_sgpr_flat_scratch_init 0
		.amdhsa_user_sgpr_kernarg_preload_length 0
		.amdhsa_user_sgpr_kernarg_preload_offset 0
		.amdhsa_user_sgpr_private_segment_size 0
		.amdhsa_uses_dynamic_stack 0
		.amdhsa_system_sgpr_private_segment_wavefront_offset 0
		.amdhsa_system_sgpr_workgroup_id_x 1
		.amdhsa_system_sgpr_workgroup_id_y 0
		.amdhsa_system_sgpr_workgroup_id_z 0
		.amdhsa_system_sgpr_workgroup_info 0
		.amdhsa_system_vgpr_workitem_id 0
		.amdhsa_next_free_vgpr 1
		.amdhsa_next_free_sgpr 0
		.amdhsa_accum_offset 4
		.amdhsa_reserve_vcc 0
		.amdhsa_reserve_flat_scratch 0
		.amdhsa_float_round_mode_32 0
		.amdhsa_float_round_mode_16_64 0
		.amdhsa_float_denorm_mode_32 3
		.amdhsa_float_denorm_mode_16_64 3
		.amdhsa_dx10_clamp 1
		.amdhsa_ieee_mode 1
		.amdhsa_fp16_overflow 0
		.amdhsa_tg_split 0
		.amdhsa_exception_fp_ieee_invalid_op 0
		.amdhsa_exception_fp_denorm_src 0
		.amdhsa_exception_fp_ieee_div_zero 0
		.amdhsa_exception_fp_ieee_overflow 0
		.amdhsa_exception_fp_ieee_underflow 0
		.amdhsa_exception_fp_ieee_inexact 0
		.amdhsa_exception_int_div_zero 0
	.end_amdhsa_kernel
	.section	.text._ZN7rocprim17ROCPRIM_400000_NS6detail17trampoline_kernelINS0_14default_configENS1_38merge_sort_block_merge_config_selectorItNS0_10empty_typeEEEZZNS1_27merge_sort_block_merge_implIS3_N6thrust23THRUST_200600_302600_NS6detail15normal_iteratorINS9_10device_ptrItEEEEPS5_m14custom_greaterItEEE10hipError_tT0_T1_T2_jT3_P12ihipStream_tbPNSt15iterator_traitsISJ_E10value_typeEPNSP_ISK_E10value_typeEPSL_NS1_7vsmem_tEENKUlT_SJ_SK_SL_E_clISE_PtSF_SF_EESI_SY_SJ_SK_SL_EUlSY_E_NS1_11comp_targetILNS1_3genE3ELNS1_11target_archE908ELNS1_3gpuE7ELNS1_3repE0EEENS1_48merge_mergepath_partition_config_static_selectorELNS0_4arch9wavefront6targetE1EEEvSK_,"axG",@progbits,_ZN7rocprim17ROCPRIM_400000_NS6detail17trampoline_kernelINS0_14default_configENS1_38merge_sort_block_merge_config_selectorItNS0_10empty_typeEEEZZNS1_27merge_sort_block_merge_implIS3_N6thrust23THRUST_200600_302600_NS6detail15normal_iteratorINS9_10device_ptrItEEEEPS5_m14custom_greaterItEEE10hipError_tT0_T1_T2_jT3_P12ihipStream_tbPNSt15iterator_traitsISJ_E10value_typeEPNSP_ISK_E10value_typeEPSL_NS1_7vsmem_tEENKUlT_SJ_SK_SL_E_clISE_PtSF_SF_EESI_SY_SJ_SK_SL_EUlSY_E_NS1_11comp_targetILNS1_3genE3ELNS1_11target_archE908ELNS1_3gpuE7ELNS1_3repE0EEENS1_48merge_mergepath_partition_config_static_selectorELNS0_4arch9wavefront6targetE1EEEvSK_,comdat
.Lfunc_end3041:
	.size	_ZN7rocprim17ROCPRIM_400000_NS6detail17trampoline_kernelINS0_14default_configENS1_38merge_sort_block_merge_config_selectorItNS0_10empty_typeEEEZZNS1_27merge_sort_block_merge_implIS3_N6thrust23THRUST_200600_302600_NS6detail15normal_iteratorINS9_10device_ptrItEEEEPS5_m14custom_greaterItEEE10hipError_tT0_T1_T2_jT3_P12ihipStream_tbPNSt15iterator_traitsISJ_E10value_typeEPNSP_ISK_E10value_typeEPSL_NS1_7vsmem_tEENKUlT_SJ_SK_SL_E_clISE_PtSF_SF_EESI_SY_SJ_SK_SL_EUlSY_E_NS1_11comp_targetILNS1_3genE3ELNS1_11target_archE908ELNS1_3gpuE7ELNS1_3repE0EEENS1_48merge_mergepath_partition_config_static_selectorELNS0_4arch9wavefront6targetE1EEEvSK_, .Lfunc_end3041-_ZN7rocprim17ROCPRIM_400000_NS6detail17trampoline_kernelINS0_14default_configENS1_38merge_sort_block_merge_config_selectorItNS0_10empty_typeEEEZZNS1_27merge_sort_block_merge_implIS3_N6thrust23THRUST_200600_302600_NS6detail15normal_iteratorINS9_10device_ptrItEEEEPS5_m14custom_greaterItEEE10hipError_tT0_T1_T2_jT3_P12ihipStream_tbPNSt15iterator_traitsISJ_E10value_typeEPNSP_ISK_E10value_typeEPSL_NS1_7vsmem_tEENKUlT_SJ_SK_SL_E_clISE_PtSF_SF_EESI_SY_SJ_SK_SL_EUlSY_E_NS1_11comp_targetILNS1_3genE3ELNS1_11target_archE908ELNS1_3gpuE7ELNS1_3repE0EEENS1_48merge_mergepath_partition_config_static_selectorELNS0_4arch9wavefront6targetE1EEEvSK_
                                        ; -- End function
	.section	.AMDGPU.csdata,"",@progbits
; Kernel info:
; codeLenInByte = 0
; NumSgprs: 4
; NumVgprs: 0
; NumAgprs: 0
; TotalNumVgprs: 0
; ScratchSize: 0
; MemoryBound: 0
; FloatMode: 240
; IeeeMode: 1
; LDSByteSize: 0 bytes/workgroup (compile time only)
; SGPRBlocks: 0
; VGPRBlocks: 0
; NumSGPRsForWavesPerEU: 4
; NumVGPRsForWavesPerEU: 1
; AccumOffset: 4
; Occupancy: 8
; WaveLimiterHint : 0
; COMPUTE_PGM_RSRC2:SCRATCH_EN: 0
; COMPUTE_PGM_RSRC2:USER_SGPR: 6
; COMPUTE_PGM_RSRC2:TRAP_HANDLER: 0
; COMPUTE_PGM_RSRC2:TGID_X_EN: 1
; COMPUTE_PGM_RSRC2:TGID_Y_EN: 0
; COMPUTE_PGM_RSRC2:TGID_Z_EN: 0
; COMPUTE_PGM_RSRC2:TIDIG_COMP_CNT: 0
; COMPUTE_PGM_RSRC3_GFX90A:ACCUM_OFFSET: 0
; COMPUTE_PGM_RSRC3_GFX90A:TG_SPLIT: 0
	.section	.text._ZN7rocprim17ROCPRIM_400000_NS6detail17trampoline_kernelINS0_14default_configENS1_38merge_sort_block_merge_config_selectorItNS0_10empty_typeEEEZZNS1_27merge_sort_block_merge_implIS3_N6thrust23THRUST_200600_302600_NS6detail15normal_iteratorINS9_10device_ptrItEEEEPS5_m14custom_greaterItEEE10hipError_tT0_T1_T2_jT3_P12ihipStream_tbPNSt15iterator_traitsISJ_E10value_typeEPNSP_ISK_E10value_typeEPSL_NS1_7vsmem_tEENKUlT_SJ_SK_SL_E_clISE_PtSF_SF_EESI_SY_SJ_SK_SL_EUlSY_E_NS1_11comp_targetILNS1_3genE2ELNS1_11target_archE906ELNS1_3gpuE6ELNS1_3repE0EEENS1_48merge_mergepath_partition_config_static_selectorELNS0_4arch9wavefront6targetE1EEEvSK_,"axG",@progbits,_ZN7rocprim17ROCPRIM_400000_NS6detail17trampoline_kernelINS0_14default_configENS1_38merge_sort_block_merge_config_selectorItNS0_10empty_typeEEEZZNS1_27merge_sort_block_merge_implIS3_N6thrust23THRUST_200600_302600_NS6detail15normal_iteratorINS9_10device_ptrItEEEEPS5_m14custom_greaterItEEE10hipError_tT0_T1_T2_jT3_P12ihipStream_tbPNSt15iterator_traitsISJ_E10value_typeEPNSP_ISK_E10value_typeEPSL_NS1_7vsmem_tEENKUlT_SJ_SK_SL_E_clISE_PtSF_SF_EESI_SY_SJ_SK_SL_EUlSY_E_NS1_11comp_targetILNS1_3genE2ELNS1_11target_archE906ELNS1_3gpuE6ELNS1_3repE0EEENS1_48merge_mergepath_partition_config_static_selectorELNS0_4arch9wavefront6targetE1EEEvSK_,comdat
	.protected	_ZN7rocprim17ROCPRIM_400000_NS6detail17trampoline_kernelINS0_14default_configENS1_38merge_sort_block_merge_config_selectorItNS0_10empty_typeEEEZZNS1_27merge_sort_block_merge_implIS3_N6thrust23THRUST_200600_302600_NS6detail15normal_iteratorINS9_10device_ptrItEEEEPS5_m14custom_greaterItEEE10hipError_tT0_T1_T2_jT3_P12ihipStream_tbPNSt15iterator_traitsISJ_E10value_typeEPNSP_ISK_E10value_typeEPSL_NS1_7vsmem_tEENKUlT_SJ_SK_SL_E_clISE_PtSF_SF_EESI_SY_SJ_SK_SL_EUlSY_E_NS1_11comp_targetILNS1_3genE2ELNS1_11target_archE906ELNS1_3gpuE6ELNS1_3repE0EEENS1_48merge_mergepath_partition_config_static_selectorELNS0_4arch9wavefront6targetE1EEEvSK_ ; -- Begin function _ZN7rocprim17ROCPRIM_400000_NS6detail17trampoline_kernelINS0_14default_configENS1_38merge_sort_block_merge_config_selectorItNS0_10empty_typeEEEZZNS1_27merge_sort_block_merge_implIS3_N6thrust23THRUST_200600_302600_NS6detail15normal_iteratorINS9_10device_ptrItEEEEPS5_m14custom_greaterItEEE10hipError_tT0_T1_T2_jT3_P12ihipStream_tbPNSt15iterator_traitsISJ_E10value_typeEPNSP_ISK_E10value_typeEPSL_NS1_7vsmem_tEENKUlT_SJ_SK_SL_E_clISE_PtSF_SF_EESI_SY_SJ_SK_SL_EUlSY_E_NS1_11comp_targetILNS1_3genE2ELNS1_11target_archE906ELNS1_3gpuE6ELNS1_3repE0EEENS1_48merge_mergepath_partition_config_static_selectorELNS0_4arch9wavefront6targetE1EEEvSK_
	.globl	_ZN7rocprim17ROCPRIM_400000_NS6detail17trampoline_kernelINS0_14default_configENS1_38merge_sort_block_merge_config_selectorItNS0_10empty_typeEEEZZNS1_27merge_sort_block_merge_implIS3_N6thrust23THRUST_200600_302600_NS6detail15normal_iteratorINS9_10device_ptrItEEEEPS5_m14custom_greaterItEEE10hipError_tT0_T1_T2_jT3_P12ihipStream_tbPNSt15iterator_traitsISJ_E10value_typeEPNSP_ISK_E10value_typeEPSL_NS1_7vsmem_tEENKUlT_SJ_SK_SL_E_clISE_PtSF_SF_EESI_SY_SJ_SK_SL_EUlSY_E_NS1_11comp_targetILNS1_3genE2ELNS1_11target_archE906ELNS1_3gpuE6ELNS1_3repE0EEENS1_48merge_mergepath_partition_config_static_selectorELNS0_4arch9wavefront6targetE1EEEvSK_
	.p2align	8
	.type	_ZN7rocprim17ROCPRIM_400000_NS6detail17trampoline_kernelINS0_14default_configENS1_38merge_sort_block_merge_config_selectorItNS0_10empty_typeEEEZZNS1_27merge_sort_block_merge_implIS3_N6thrust23THRUST_200600_302600_NS6detail15normal_iteratorINS9_10device_ptrItEEEEPS5_m14custom_greaterItEEE10hipError_tT0_T1_T2_jT3_P12ihipStream_tbPNSt15iterator_traitsISJ_E10value_typeEPNSP_ISK_E10value_typeEPSL_NS1_7vsmem_tEENKUlT_SJ_SK_SL_E_clISE_PtSF_SF_EESI_SY_SJ_SK_SL_EUlSY_E_NS1_11comp_targetILNS1_3genE2ELNS1_11target_archE906ELNS1_3gpuE6ELNS1_3repE0EEENS1_48merge_mergepath_partition_config_static_selectorELNS0_4arch9wavefront6targetE1EEEvSK_,@function
_ZN7rocprim17ROCPRIM_400000_NS6detail17trampoline_kernelINS0_14default_configENS1_38merge_sort_block_merge_config_selectorItNS0_10empty_typeEEEZZNS1_27merge_sort_block_merge_implIS3_N6thrust23THRUST_200600_302600_NS6detail15normal_iteratorINS9_10device_ptrItEEEEPS5_m14custom_greaterItEEE10hipError_tT0_T1_T2_jT3_P12ihipStream_tbPNSt15iterator_traitsISJ_E10value_typeEPNSP_ISK_E10value_typeEPSL_NS1_7vsmem_tEENKUlT_SJ_SK_SL_E_clISE_PtSF_SF_EESI_SY_SJ_SK_SL_EUlSY_E_NS1_11comp_targetILNS1_3genE2ELNS1_11target_archE906ELNS1_3gpuE6ELNS1_3repE0EEENS1_48merge_mergepath_partition_config_static_selectorELNS0_4arch9wavefront6targetE1EEEvSK_: ; @_ZN7rocprim17ROCPRIM_400000_NS6detail17trampoline_kernelINS0_14default_configENS1_38merge_sort_block_merge_config_selectorItNS0_10empty_typeEEEZZNS1_27merge_sort_block_merge_implIS3_N6thrust23THRUST_200600_302600_NS6detail15normal_iteratorINS9_10device_ptrItEEEEPS5_m14custom_greaterItEEE10hipError_tT0_T1_T2_jT3_P12ihipStream_tbPNSt15iterator_traitsISJ_E10value_typeEPNSP_ISK_E10value_typeEPSL_NS1_7vsmem_tEENKUlT_SJ_SK_SL_E_clISE_PtSF_SF_EESI_SY_SJ_SK_SL_EUlSY_E_NS1_11comp_targetILNS1_3genE2ELNS1_11target_archE906ELNS1_3gpuE6ELNS1_3repE0EEENS1_48merge_mergepath_partition_config_static_selectorELNS0_4arch9wavefront6targetE1EEEvSK_
; %bb.0:
	.section	.rodata,"a",@progbits
	.p2align	6, 0x0
	.amdhsa_kernel _ZN7rocprim17ROCPRIM_400000_NS6detail17trampoline_kernelINS0_14default_configENS1_38merge_sort_block_merge_config_selectorItNS0_10empty_typeEEEZZNS1_27merge_sort_block_merge_implIS3_N6thrust23THRUST_200600_302600_NS6detail15normal_iteratorINS9_10device_ptrItEEEEPS5_m14custom_greaterItEEE10hipError_tT0_T1_T2_jT3_P12ihipStream_tbPNSt15iterator_traitsISJ_E10value_typeEPNSP_ISK_E10value_typeEPSL_NS1_7vsmem_tEENKUlT_SJ_SK_SL_E_clISE_PtSF_SF_EESI_SY_SJ_SK_SL_EUlSY_E_NS1_11comp_targetILNS1_3genE2ELNS1_11target_archE906ELNS1_3gpuE6ELNS1_3repE0EEENS1_48merge_mergepath_partition_config_static_selectorELNS0_4arch9wavefront6targetE1EEEvSK_
		.amdhsa_group_segment_fixed_size 0
		.amdhsa_private_segment_fixed_size 0
		.amdhsa_kernarg_size 48
		.amdhsa_user_sgpr_count 6
		.amdhsa_user_sgpr_private_segment_buffer 1
		.amdhsa_user_sgpr_dispatch_ptr 0
		.amdhsa_user_sgpr_queue_ptr 0
		.amdhsa_user_sgpr_kernarg_segment_ptr 1
		.amdhsa_user_sgpr_dispatch_id 0
		.amdhsa_user_sgpr_flat_scratch_init 0
		.amdhsa_user_sgpr_kernarg_preload_length 0
		.amdhsa_user_sgpr_kernarg_preload_offset 0
		.amdhsa_user_sgpr_private_segment_size 0
		.amdhsa_uses_dynamic_stack 0
		.amdhsa_system_sgpr_private_segment_wavefront_offset 0
		.amdhsa_system_sgpr_workgroup_id_x 1
		.amdhsa_system_sgpr_workgroup_id_y 0
		.amdhsa_system_sgpr_workgroup_id_z 0
		.amdhsa_system_sgpr_workgroup_info 0
		.amdhsa_system_vgpr_workitem_id 0
		.amdhsa_next_free_vgpr 1
		.amdhsa_next_free_sgpr 0
		.amdhsa_accum_offset 4
		.amdhsa_reserve_vcc 0
		.amdhsa_reserve_flat_scratch 0
		.amdhsa_float_round_mode_32 0
		.amdhsa_float_round_mode_16_64 0
		.amdhsa_float_denorm_mode_32 3
		.amdhsa_float_denorm_mode_16_64 3
		.amdhsa_dx10_clamp 1
		.amdhsa_ieee_mode 1
		.amdhsa_fp16_overflow 0
		.amdhsa_tg_split 0
		.amdhsa_exception_fp_ieee_invalid_op 0
		.amdhsa_exception_fp_denorm_src 0
		.amdhsa_exception_fp_ieee_div_zero 0
		.amdhsa_exception_fp_ieee_overflow 0
		.amdhsa_exception_fp_ieee_underflow 0
		.amdhsa_exception_fp_ieee_inexact 0
		.amdhsa_exception_int_div_zero 0
	.end_amdhsa_kernel
	.section	.text._ZN7rocprim17ROCPRIM_400000_NS6detail17trampoline_kernelINS0_14default_configENS1_38merge_sort_block_merge_config_selectorItNS0_10empty_typeEEEZZNS1_27merge_sort_block_merge_implIS3_N6thrust23THRUST_200600_302600_NS6detail15normal_iteratorINS9_10device_ptrItEEEEPS5_m14custom_greaterItEEE10hipError_tT0_T1_T2_jT3_P12ihipStream_tbPNSt15iterator_traitsISJ_E10value_typeEPNSP_ISK_E10value_typeEPSL_NS1_7vsmem_tEENKUlT_SJ_SK_SL_E_clISE_PtSF_SF_EESI_SY_SJ_SK_SL_EUlSY_E_NS1_11comp_targetILNS1_3genE2ELNS1_11target_archE906ELNS1_3gpuE6ELNS1_3repE0EEENS1_48merge_mergepath_partition_config_static_selectorELNS0_4arch9wavefront6targetE1EEEvSK_,"axG",@progbits,_ZN7rocprim17ROCPRIM_400000_NS6detail17trampoline_kernelINS0_14default_configENS1_38merge_sort_block_merge_config_selectorItNS0_10empty_typeEEEZZNS1_27merge_sort_block_merge_implIS3_N6thrust23THRUST_200600_302600_NS6detail15normal_iteratorINS9_10device_ptrItEEEEPS5_m14custom_greaterItEEE10hipError_tT0_T1_T2_jT3_P12ihipStream_tbPNSt15iterator_traitsISJ_E10value_typeEPNSP_ISK_E10value_typeEPSL_NS1_7vsmem_tEENKUlT_SJ_SK_SL_E_clISE_PtSF_SF_EESI_SY_SJ_SK_SL_EUlSY_E_NS1_11comp_targetILNS1_3genE2ELNS1_11target_archE906ELNS1_3gpuE6ELNS1_3repE0EEENS1_48merge_mergepath_partition_config_static_selectorELNS0_4arch9wavefront6targetE1EEEvSK_,comdat
.Lfunc_end3042:
	.size	_ZN7rocprim17ROCPRIM_400000_NS6detail17trampoline_kernelINS0_14default_configENS1_38merge_sort_block_merge_config_selectorItNS0_10empty_typeEEEZZNS1_27merge_sort_block_merge_implIS3_N6thrust23THRUST_200600_302600_NS6detail15normal_iteratorINS9_10device_ptrItEEEEPS5_m14custom_greaterItEEE10hipError_tT0_T1_T2_jT3_P12ihipStream_tbPNSt15iterator_traitsISJ_E10value_typeEPNSP_ISK_E10value_typeEPSL_NS1_7vsmem_tEENKUlT_SJ_SK_SL_E_clISE_PtSF_SF_EESI_SY_SJ_SK_SL_EUlSY_E_NS1_11comp_targetILNS1_3genE2ELNS1_11target_archE906ELNS1_3gpuE6ELNS1_3repE0EEENS1_48merge_mergepath_partition_config_static_selectorELNS0_4arch9wavefront6targetE1EEEvSK_, .Lfunc_end3042-_ZN7rocprim17ROCPRIM_400000_NS6detail17trampoline_kernelINS0_14default_configENS1_38merge_sort_block_merge_config_selectorItNS0_10empty_typeEEEZZNS1_27merge_sort_block_merge_implIS3_N6thrust23THRUST_200600_302600_NS6detail15normal_iteratorINS9_10device_ptrItEEEEPS5_m14custom_greaterItEEE10hipError_tT0_T1_T2_jT3_P12ihipStream_tbPNSt15iterator_traitsISJ_E10value_typeEPNSP_ISK_E10value_typeEPSL_NS1_7vsmem_tEENKUlT_SJ_SK_SL_E_clISE_PtSF_SF_EESI_SY_SJ_SK_SL_EUlSY_E_NS1_11comp_targetILNS1_3genE2ELNS1_11target_archE906ELNS1_3gpuE6ELNS1_3repE0EEENS1_48merge_mergepath_partition_config_static_selectorELNS0_4arch9wavefront6targetE1EEEvSK_
                                        ; -- End function
	.section	.AMDGPU.csdata,"",@progbits
; Kernel info:
; codeLenInByte = 0
; NumSgprs: 4
; NumVgprs: 0
; NumAgprs: 0
; TotalNumVgprs: 0
; ScratchSize: 0
; MemoryBound: 0
; FloatMode: 240
; IeeeMode: 1
; LDSByteSize: 0 bytes/workgroup (compile time only)
; SGPRBlocks: 0
; VGPRBlocks: 0
; NumSGPRsForWavesPerEU: 4
; NumVGPRsForWavesPerEU: 1
; AccumOffset: 4
; Occupancy: 8
; WaveLimiterHint : 0
; COMPUTE_PGM_RSRC2:SCRATCH_EN: 0
; COMPUTE_PGM_RSRC2:USER_SGPR: 6
; COMPUTE_PGM_RSRC2:TRAP_HANDLER: 0
; COMPUTE_PGM_RSRC2:TGID_X_EN: 1
; COMPUTE_PGM_RSRC2:TGID_Y_EN: 0
; COMPUTE_PGM_RSRC2:TGID_Z_EN: 0
; COMPUTE_PGM_RSRC2:TIDIG_COMP_CNT: 0
; COMPUTE_PGM_RSRC3_GFX90A:ACCUM_OFFSET: 0
; COMPUTE_PGM_RSRC3_GFX90A:TG_SPLIT: 0
	.section	.text._ZN7rocprim17ROCPRIM_400000_NS6detail17trampoline_kernelINS0_14default_configENS1_38merge_sort_block_merge_config_selectorItNS0_10empty_typeEEEZZNS1_27merge_sort_block_merge_implIS3_N6thrust23THRUST_200600_302600_NS6detail15normal_iteratorINS9_10device_ptrItEEEEPS5_m14custom_greaterItEEE10hipError_tT0_T1_T2_jT3_P12ihipStream_tbPNSt15iterator_traitsISJ_E10value_typeEPNSP_ISK_E10value_typeEPSL_NS1_7vsmem_tEENKUlT_SJ_SK_SL_E_clISE_PtSF_SF_EESI_SY_SJ_SK_SL_EUlSY_E_NS1_11comp_targetILNS1_3genE9ELNS1_11target_archE1100ELNS1_3gpuE3ELNS1_3repE0EEENS1_48merge_mergepath_partition_config_static_selectorELNS0_4arch9wavefront6targetE1EEEvSK_,"axG",@progbits,_ZN7rocprim17ROCPRIM_400000_NS6detail17trampoline_kernelINS0_14default_configENS1_38merge_sort_block_merge_config_selectorItNS0_10empty_typeEEEZZNS1_27merge_sort_block_merge_implIS3_N6thrust23THRUST_200600_302600_NS6detail15normal_iteratorINS9_10device_ptrItEEEEPS5_m14custom_greaterItEEE10hipError_tT0_T1_T2_jT3_P12ihipStream_tbPNSt15iterator_traitsISJ_E10value_typeEPNSP_ISK_E10value_typeEPSL_NS1_7vsmem_tEENKUlT_SJ_SK_SL_E_clISE_PtSF_SF_EESI_SY_SJ_SK_SL_EUlSY_E_NS1_11comp_targetILNS1_3genE9ELNS1_11target_archE1100ELNS1_3gpuE3ELNS1_3repE0EEENS1_48merge_mergepath_partition_config_static_selectorELNS0_4arch9wavefront6targetE1EEEvSK_,comdat
	.protected	_ZN7rocprim17ROCPRIM_400000_NS6detail17trampoline_kernelINS0_14default_configENS1_38merge_sort_block_merge_config_selectorItNS0_10empty_typeEEEZZNS1_27merge_sort_block_merge_implIS3_N6thrust23THRUST_200600_302600_NS6detail15normal_iteratorINS9_10device_ptrItEEEEPS5_m14custom_greaterItEEE10hipError_tT0_T1_T2_jT3_P12ihipStream_tbPNSt15iterator_traitsISJ_E10value_typeEPNSP_ISK_E10value_typeEPSL_NS1_7vsmem_tEENKUlT_SJ_SK_SL_E_clISE_PtSF_SF_EESI_SY_SJ_SK_SL_EUlSY_E_NS1_11comp_targetILNS1_3genE9ELNS1_11target_archE1100ELNS1_3gpuE3ELNS1_3repE0EEENS1_48merge_mergepath_partition_config_static_selectorELNS0_4arch9wavefront6targetE1EEEvSK_ ; -- Begin function _ZN7rocprim17ROCPRIM_400000_NS6detail17trampoline_kernelINS0_14default_configENS1_38merge_sort_block_merge_config_selectorItNS0_10empty_typeEEEZZNS1_27merge_sort_block_merge_implIS3_N6thrust23THRUST_200600_302600_NS6detail15normal_iteratorINS9_10device_ptrItEEEEPS5_m14custom_greaterItEEE10hipError_tT0_T1_T2_jT3_P12ihipStream_tbPNSt15iterator_traitsISJ_E10value_typeEPNSP_ISK_E10value_typeEPSL_NS1_7vsmem_tEENKUlT_SJ_SK_SL_E_clISE_PtSF_SF_EESI_SY_SJ_SK_SL_EUlSY_E_NS1_11comp_targetILNS1_3genE9ELNS1_11target_archE1100ELNS1_3gpuE3ELNS1_3repE0EEENS1_48merge_mergepath_partition_config_static_selectorELNS0_4arch9wavefront6targetE1EEEvSK_
	.globl	_ZN7rocprim17ROCPRIM_400000_NS6detail17trampoline_kernelINS0_14default_configENS1_38merge_sort_block_merge_config_selectorItNS0_10empty_typeEEEZZNS1_27merge_sort_block_merge_implIS3_N6thrust23THRUST_200600_302600_NS6detail15normal_iteratorINS9_10device_ptrItEEEEPS5_m14custom_greaterItEEE10hipError_tT0_T1_T2_jT3_P12ihipStream_tbPNSt15iterator_traitsISJ_E10value_typeEPNSP_ISK_E10value_typeEPSL_NS1_7vsmem_tEENKUlT_SJ_SK_SL_E_clISE_PtSF_SF_EESI_SY_SJ_SK_SL_EUlSY_E_NS1_11comp_targetILNS1_3genE9ELNS1_11target_archE1100ELNS1_3gpuE3ELNS1_3repE0EEENS1_48merge_mergepath_partition_config_static_selectorELNS0_4arch9wavefront6targetE1EEEvSK_
	.p2align	8
	.type	_ZN7rocprim17ROCPRIM_400000_NS6detail17trampoline_kernelINS0_14default_configENS1_38merge_sort_block_merge_config_selectorItNS0_10empty_typeEEEZZNS1_27merge_sort_block_merge_implIS3_N6thrust23THRUST_200600_302600_NS6detail15normal_iteratorINS9_10device_ptrItEEEEPS5_m14custom_greaterItEEE10hipError_tT0_T1_T2_jT3_P12ihipStream_tbPNSt15iterator_traitsISJ_E10value_typeEPNSP_ISK_E10value_typeEPSL_NS1_7vsmem_tEENKUlT_SJ_SK_SL_E_clISE_PtSF_SF_EESI_SY_SJ_SK_SL_EUlSY_E_NS1_11comp_targetILNS1_3genE9ELNS1_11target_archE1100ELNS1_3gpuE3ELNS1_3repE0EEENS1_48merge_mergepath_partition_config_static_selectorELNS0_4arch9wavefront6targetE1EEEvSK_,@function
_ZN7rocprim17ROCPRIM_400000_NS6detail17trampoline_kernelINS0_14default_configENS1_38merge_sort_block_merge_config_selectorItNS0_10empty_typeEEEZZNS1_27merge_sort_block_merge_implIS3_N6thrust23THRUST_200600_302600_NS6detail15normal_iteratorINS9_10device_ptrItEEEEPS5_m14custom_greaterItEEE10hipError_tT0_T1_T2_jT3_P12ihipStream_tbPNSt15iterator_traitsISJ_E10value_typeEPNSP_ISK_E10value_typeEPSL_NS1_7vsmem_tEENKUlT_SJ_SK_SL_E_clISE_PtSF_SF_EESI_SY_SJ_SK_SL_EUlSY_E_NS1_11comp_targetILNS1_3genE9ELNS1_11target_archE1100ELNS1_3gpuE3ELNS1_3repE0EEENS1_48merge_mergepath_partition_config_static_selectorELNS0_4arch9wavefront6targetE1EEEvSK_: ; @_ZN7rocprim17ROCPRIM_400000_NS6detail17trampoline_kernelINS0_14default_configENS1_38merge_sort_block_merge_config_selectorItNS0_10empty_typeEEEZZNS1_27merge_sort_block_merge_implIS3_N6thrust23THRUST_200600_302600_NS6detail15normal_iteratorINS9_10device_ptrItEEEEPS5_m14custom_greaterItEEE10hipError_tT0_T1_T2_jT3_P12ihipStream_tbPNSt15iterator_traitsISJ_E10value_typeEPNSP_ISK_E10value_typeEPSL_NS1_7vsmem_tEENKUlT_SJ_SK_SL_E_clISE_PtSF_SF_EESI_SY_SJ_SK_SL_EUlSY_E_NS1_11comp_targetILNS1_3genE9ELNS1_11target_archE1100ELNS1_3gpuE3ELNS1_3repE0EEENS1_48merge_mergepath_partition_config_static_selectorELNS0_4arch9wavefront6targetE1EEEvSK_
; %bb.0:
	.section	.rodata,"a",@progbits
	.p2align	6, 0x0
	.amdhsa_kernel _ZN7rocprim17ROCPRIM_400000_NS6detail17trampoline_kernelINS0_14default_configENS1_38merge_sort_block_merge_config_selectorItNS0_10empty_typeEEEZZNS1_27merge_sort_block_merge_implIS3_N6thrust23THRUST_200600_302600_NS6detail15normal_iteratorINS9_10device_ptrItEEEEPS5_m14custom_greaterItEEE10hipError_tT0_T1_T2_jT3_P12ihipStream_tbPNSt15iterator_traitsISJ_E10value_typeEPNSP_ISK_E10value_typeEPSL_NS1_7vsmem_tEENKUlT_SJ_SK_SL_E_clISE_PtSF_SF_EESI_SY_SJ_SK_SL_EUlSY_E_NS1_11comp_targetILNS1_3genE9ELNS1_11target_archE1100ELNS1_3gpuE3ELNS1_3repE0EEENS1_48merge_mergepath_partition_config_static_selectorELNS0_4arch9wavefront6targetE1EEEvSK_
		.amdhsa_group_segment_fixed_size 0
		.amdhsa_private_segment_fixed_size 0
		.amdhsa_kernarg_size 48
		.amdhsa_user_sgpr_count 6
		.amdhsa_user_sgpr_private_segment_buffer 1
		.amdhsa_user_sgpr_dispatch_ptr 0
		.amdhsa_user_sgpr_queue_ptr 0
		.amdhsa_user_sgpr_kernarg_segment_ptr 1
		.amdhsa_user_sgpr_dispatch_id 0
		.amdhsa_user_sgpr_flat_scratch_init 0
		.amdhsa_user_sgpr_kernarg_preload_length 0
		.amdhsa_user_sgpr_kernarg_preload_offset 0
		.amdhsa_user_sgpr_private_segment_size 0
		.amdhsa_uses_dynamic_stack 0
		.amdhsa_system_sgpr_private_segment_wavefront_offset 0
		.amdhsa_system_sgpr_workgroup_id_x 1
		.amdhsa_system_sgpr_workgroup_id_y 0
		.amdhsa_system_sgpr_workgroup_id_z 0
		.amdhsa_system_sgpr_workgroup_info 0
		.amdhsa_system_vgpr_workitem_id 0
		.amdhsa_next_free_vgpr 1
		.amdhsa_next_free_sgpr 0
		.amdhsa_accum_offset 4
		.amdhsa_reserve_vcc 0
		.amdhsa_reserve_flat_scratch 0
		.amdhsa_float_round_mode_32 0
		.amdhsa_float_round_mode_16_64 0
		.amdhsa_float_denorm_mode_32 3
		.amdhsa_float_denorm_mode_16_64 3
		.amdhsa_dx10_clamp 1
		.amdhsa_ieee_mode 1
		.amdhsa_fp16_overflow 0
		.amdhsa_tg_split 0
		.amdhsa_exception_fp_ieee_invalid_op 0
		.amdhsa_exception_fp_denorm_src 0
		.amdhsa_exception_fp_ieee_div_zero 0
		.amdhsa_exception_fp_ieee_overflow 0
		.amdhsa_exception_fp_ieee_underflow 0
		.amdhsa_exception_fp_ieee_inexact 0
		.amdhsa_exception_int_div_zero 0
	.end_amdhsa_kernel
	.section	.text._ZN7rocprim17ROCPRIM_400000_NS6detail17trampoline_kernelINS0_14default_configENS1_38merge_sort_block_merge_config_selectorItNS0_10empty_typeEEEZZNS1_27merge_sort_block_merge_implIS3_N6thrust23THRUST_200600_302600_NS6detail15normal_iteratorINS9_10device_ptrItEEEEPS5_m14custom_greaterItEEE10hipError_tT0_T1_T2_jT3_P12ihipStream_tbPNSt15iterator_traitsISJ_E10value_typeEPNSP_ISK_E10value_typeEPSL_NS1_7vsmem_tEENKUlT_SJ_SK_SL_E_clISE_PtSF_SF_EESI_SY_SJ_SK_SL_EUlSY_E_NS1_11comp_targetILNS1_3genE9ELNS1_11target_archE1100ELNS1_3gpuE3ELNS1_3repE0EEENS1_48merge_mergepath_partition_config_static_selectorELNS0_4arch9wavefront6targetE1EEEvSK_,"axG",@progbits,_ZN7rocprim17ROCPRIM_400000_NS6detail17trampoline_kernelINS0_14default_configENS1_38merge_sort_block_merge_config_selectorItNS0_10empty_typeEEEZZNS1_27merge_sort_block_merge_implIS3_N6thrust23THRUST_200600_302600_NS6detail15normal_iteratorINS9_10device_ptrItEEEEPS5_m14custom_greaterItEEE10hipError_tT0_T1_T2_jT3_P12ihipStream_tbPNSt15iterator_traitsISJ_E10value_typeEPNSP_ISK_E10value_typeEPSL_NS1_7vsmem_tEENKUlT_SJ_SK_SL_E_clISE_PtSF_SF_EESI_SY_SJ_SK_SL_EUlSY_E_NS1_11comp_targetILNS1_3genE9ELNS1_11target_archE1100ELNS1_3gpuE3ELNS1_3repE0EEENS1_48merge_mergepath_partition_config_static_selectorELNS0_4arch9wavefront6targetE1EEEvSK_,comdat
.Lfunc_end3043:
	.size	_ZN7rocprim17ROCPRIM_400000_NS6detail17trampoline_kernelINS0_14default_configENS1_38merge_sort_block_merge_config_selectorItNS0_10empty_typeEEEZZNS1_27merge_sort_block_merge_implIS3_N6thrust23THRUST_200600_302600_NS6detail15normal_iteratorINS9_10device_ptrItEEEEPS5_m14custom_greaterItEEE10hipError_tT0_T1_T2_jT3_P12ihipStream_tbPNSt15iterator_traitsISJ_E10value_typeEPNSP_ISK_E10value_typeEPSL_NS1_7vsmem_tEENKUlT_SJ_SK_SL_E_clISE_PtSF_SF_EESI_SY_SJ_SK_SL_EUlSY_E_NS1_11comp_targetILNS1_3genE9ELNS1_11target_archE1100ELNS1_3gpuE3ELNS1_3repE0EEENS1_48merge_mergepath_partition_config_static_selectorELNS0_4arch9wavefront6targetE1EEEvSK_, .Lfunc_end3043-_ZN7rocprim17ROCPRIM_400000_NS6detail17trampoline_kernelINS0_14default_configENS1_38merge_sort_block_merge_config_selectorItNS0_10empty_typeEEEZZNS1_27merge_sort_block_merge_implIS3_N6thrust23THRUST_200600_302600_NS6detail15normal_iteratorINS9_10device_ptrItEEEEPS5_m14custom_greaterItEEE10hipError_tT0_T1_T2_jT3_P12ihipStream_tbPNSt15iterator_traitsISJ_E10value_typeEPNSP_ISK_E10value_typeEPSL_NS1_7vsmem_tEENKUlT_SJ_SK_SL_E_clISE_PtSF_SF_EESI_SY_SJ_SK_SL_EUlSY_E_NS1_11comp_targetILNS1_3genE9ELNS1_11target_archE1100ELNS1_3gpuE3ELNS1_3repE0EEENS1_48merge_mergepath_partition_config_static_selectorELNS0_4arch9wavefront6targetE1EEEvSK_
                                        ; -- End function
	.section	.AMDGPU.csdata,"",@progbits
; Kernel info:
; codeLenInByte = 0
; NumSgprs: 4
; NumVgprs: 0
; NumAgprs: 0
; TotalNumVgprs: 0
; ScratchSize: 0
; MemoryBound: 0
; FloatMode: 240
; IeeeMode: 1
; LDSByteSize: 0 bytes/workgroup (compile time only)
; SGPRBlocks: 0
; VGPRBlocks: 0
; NumSGPRsForWavesPerEU: 4
; NumVGPRsForWavesPerEU: 1
; AccumOffset: 4
; Occupancy: 8
; WaveLimiterHint : 0
; COMPUTE_PGM_RSRC2:SCRATCH_EN: 0
; COMPUTE_PGM_RSRC2:USER_SGPR: 6
; COMPUTE_PGM_RSRC2:TRAP_HANDLER: 0
; COMPUTE_PGM_RSRC2:TGID_X_EN: 1
; COMPUTE_PGM_RSRC2:TGID_Y_EN: 0
; COMPUTE_PGM_RSRC2:TGID_Z_EN: 0
; COMPUTE_PGM_RSRC2:TIDIG_COMP_CNT: 0
; COMPUTE_PGM_RSRC3_GFX90A:ACCUM_OFFSET: 0
; COMPUTE_PGM_RSRC3_GFX90A:TG_SPLIT: 0
	.section	.text._ZN7rocprim17ROCPRIM_400000_NS6detail17trampoline_kernelINS0_14default_configENS1_38merge_sort_block_merge_config_selectorItNS0_10empty_typeEEEZZNS1_27merge_sort_block_merge_implIS3_N6thrust23THRUST_200600_302600_NS6detail15normal_iteratorINS9_10device_ptrItEEEEPS5_m14custom_greaterItEEE10hipError_tT0_T1_T2_jT3_P12ihipStream_tbPNSt15iterator_traitsISJ_E10value_typeEPNSP_ISK_E10value_typeEPSL_NS1_7vsmem_tEENKUlT_SJ_SK_SL_E_clISE_PtSF_SF_EESI_SY_SJ_SK_SL_EUlSY_E_NS1_11comp_targetILNS1_3genE8ELNS1_11target_archE1030ELNS1_3gpuE2ELNS1_3repE0EEENS1_48merge_mergepath_partition_config_static_selectorELNS0_4arch9wavefront6targetE1EEEvSK_,"axG",@progbits,_ZN7rocprim17ROCPRIM_400000_NS6detail17trampoline_kernelINS0_14default_configENS1_38merge_sort_block_merge_config_selectorItNS0_10empty_typeEEEZZNS1_27merge_sort_block_merge_implIS3_N6thrust23THRUST_200600_302600_NS6detail15normal_iteratorINS9_10device_ptrItEEEEPS5_m14custom_greaterItEEE10hipError_tT0_T1_T2_jT3_P12ihipStream_tbPNSt15iterator_traitsISJ_E10value_typeEPNSP_ISK_E10value_typeEPSL_NS1_7vsmem_tEENKUlT_SJ_SK_SL_E_clISE_PtSF_SF_EESI_SY_SJ_SK_SL_EUlSY_E_NS1_11comp_targetILNS1_3genE8ELNS1_11target_archE1030ELNS1_3gpuE2ELNS1_3repE0EEENS1_48merge_mergepath_partition_config_static_selectorELNS0_4arch9wavefront6targetE1EEEvSK_,comdat
	.protected	_ZN7rocprim17ROCPRIM_400000_NS6detail17trampoline_kernelINS0_14default_configENS1_38merge_sort_block_merge_config_selectorItNS0_10empty_typeEEEZZNS1_27merge_sort_block_merge_implIS3_N6thrust23THRUST_200600_302600_NS6detail15normal_iteratorINS9_10device_ptrItEEEEPS5_m14custom_greaterItEEE10hipError_tT0_T1_T2_jT3_P12ihipStream_tbPNSt15iterator_traitsISJ_E10value_typeEPNSP_ISK_E10value_typeEPSL_NS1_7vsmem_tEENKUlT_SJ_SK_SL_E_clISE_PtSF_SF_EESI_SY_SJ_SK_SL_EUlSY_E_NS1_11comp_targetILNS1_3genE8ELNS1_11target_archE1030ELNS1_3gpuE2ELNS1_3repE0EEENS1_48merge_mergepath_partition_config_static_selectorELNS0_4arch9wavefront6targetE1EEEvSK_ ; -- Begin function _ZN7rocprim17ROCPRIM_400000_NS6detail17trampoline_kernelINS0_14default_configENS1_38merge_sort_block_merge_config_selectorItNS0_10empty_typeEEEZZNS1_27merge_sort_block_merge_implIS3_N6thrust23THRUST_200600_302600_NS6detail15normal_iteratorINS9_10device_ptrItEEEEPS5_m14custom_greaterItEEE10hipError_tT0_T1_T2_jT3_P12ihipStream_tbPNSt15iterator_traitsISJ_E10value_typeEPNSP_ISK_E10value_typeEPSL_NS1_7vsmem_tEENKUlT_SJ_SK_SL_E_clISE_PtSF_SF_EESI_SY_SJ_SK_SL_EUlSY_E_NS1_11comp_targetILNS1_3genE8ELNS1_11target_archE1030ELNS1_3gpuE2ELNS1_3repE0EEENS1_48merge_mergepath_partition_config_static_selectorELNS0_4arch9wavefront6targetE1EEEvSK_
	.globl	_ZN7rocprim17ROCPRIM_400000_NS6detail17trampoline_kernelINS0_14default_configENS1_38merge_sort_block_merge_config_selectorItNS0_10empty_typeEEEZZNS1_27merge_sort_block_merge_implIS3_N6thrust23THRUST_200600_302600_NS6detail15normal_iteratorINS9_10device_ptrItEEEEPS5_m14custom_greaterItEEE10hipError_tT0_T1_T2_jT3_P12ihipStream_tbPNSt15iterator_traitsISJ_E10value_typeEPNSP_ISK_E10value_typeEPSL_NS1_7vsmem_tEENKUlT_SJ_SK_SL_E_clISE_PtSF_SF_EESI_SY_SJ_SK_SL_EUlSY_E_NS1_11comp_targetILNS1_3genE8ELNS1_11target_archE1030ELNS1_3gpuE2ELNS1_3repE0EEENS1_48merge_mergepath_partition_config_static_selectorELNS0_4arch9wavefront6targetE1EEEvSK_
	.p2align	8
	.type	_ZN7rocprim17ROCPRIM_400000_NS6detail17trampoline_kernelINS0_14default_configENS1_38merge_sort_block_merge_config_selectorItNS0_10empty_typeEEEZZNS1_27merge_sort_block_merge_implIS3_N6thrust23THRUST_200600_302600_NS6detail15normal_iteratorINS9_10device_ptrItEEEEPS5_m14custom_greaterItEEE10hipError_tT0_T1_T2_jT3_P12ihipStream_tbPNSt15iterator_traitsISJ_E10value_typeEPNSP_ISK_E10value_typeEPSL_NS1_7vsmem_tEENKUlT_SJ_SK_SL_E_clISE_PtSF_SF_EESI_SY_SJ_SK_SL_EUlSY_E_NS1_11comp_targetILNS1_3genE8ELNS1_11target_archE1030ELNS1_3gpuE2ELNS1_3repE0EEENS1_48merge_mergepath_partition_config_static_selectorELNS0_4arch9wavefront6targetE1EEEvSK_,@function
_ZN7rocprim17ROCPRIM_400000_NS6detail17trampoline_kernelINS0_14default_configENS1_38merge_sort_block_merge_config_selectorItNS0_10empty_typeEEEZZNS1_27merge_sort_block_merge_implIS3_N6thrust23THRUST_200600_302600_NS6detail15normal_iteratorINS9_10device_ptrItEEEEPS5_m14custom_greaterItEEE10hipError_tT0_T1_T2_jT3_P12ihipStream_tbPNSt15iterator_traitsISJ_E10value_typeEPNSP_ISK_E10value_typeEPSL_NS1_7vsmem_tEENKUlT_SJ_SK_SL_E_clISE_PtSF_SF_EESI_SY_SJ_SK_SL_EUlSY_E_NS1_11comp_targetILNS1_3genE8ELNS1_11target_archE1030ELNS1_3gpuE2ELNS1_3repE0EEENS1_48merge_mergepath_partition_config_static_selectorELNS0_4arch9wavefront6targetE1EEEvSK_: ; @_ZN7rocprim17ROCPRIM_400000_NS6detail17trampoline_kernelINS0_14default_configENS1_38merge_sort_block_merge_config_selectorItNS0_10empty_typeEEEZZNS1_27merge_sort_block_merge_implIS3_N6thrust23THRUST_200600_302600_NS6detail15normal_iteratorINS9_10device_ptrItEEEEPS5_m14custom_greaterItEEE10hipError_tT0_T1_T2_jT3_P12ihipStream_tbPNSt15iterator_traitsISJ_E10value_typeEPNSP_ISK_E10value_typeEPSL_NS1_7vsmem_tEENKUlT_SJ_SK_SL_E_clISE_PtSF_SF_EESI_SY_SJ_SK_SL_EUlSY_E_NS1_11comp_targetILNS1_3genE8ELNS1_11target_archE1030ELNS1_3gpuE2ELNS1_3repE0EEENS1_48merge_mergepath_partition_config_static_selectorELNS0_4arch9wavefront6targetE1EEEvSK_
; %bb.0:
	.section	.rodata,"a",@progbits
	.p2align	6, 0x0
	.amdhsa_kernel _ZN7rocprim17ROCPRIM_400000_NS6detail17trampoline_kernelINS0_14default_configENS1_38merge_sort_block_merge_config_selectorItNS0_10empty_typeEEEZZNS1_27merge_sort_block_merge_implIS3_N6thrust23THRUST_200600_302600_NS6detail15normal_iteratorINS9_10device_ptrItEEEEPS5_m14custom_greaterItEEE10hipError_tT0_T1_T2_jT3_P12ihipStream_tbPNSt15iterator_traitsISJ_E10value_typeEPNSP_ISK_E10value_typeEPSL_NS1_7vsmem_tEENKUlT_SJ_SK_SL_E_clISE_PtSF_SF_EESI_SY_SJ_SK_SL_EUlSY_E_NS1_11comp_targetILNS1_3genE8ELNS1_11target_archE1030ELNS1_3gpuE2ELNS1_3repE0EEENS1_48merge_mergepath_partition_config_static_selectorELNS0_4arch9wavefront6targetE1EEEvSK_
		.amdhsa_group_segment_fixed_size 0
		.amdhsa_private_segment_fixed_size 0
		.amdhsa_kernarg_size 48
		.amdhsa_user_sgpr_count 6
		.amdhsa_user_sgpr_private_segment_buffer 1
		.amdhsa_user_sgpr_dispatch_ptr 0
		.amdhsa_user_sgpr_queue_ptr 0
		.amdhsa_user_sgpr_kernarg_segment_ptr 1
		.amdhsa_user_sgpr_dispatch_id 0
		.amdhsa_user_sgpr_flat_scratch_init 0
		.amdhsa_user_sgpr_kernarg_preload_length 0
		.amdhsa_user_sgpr_kernarg_preload_offset 0
		.amdhsa_user_sgpr_private_segment_size 0
		.amdhsa_uses_dynamic_stack 0
		.amdhsa_system_sgpr_private_segment_wavefront_offset 0
		.amdhsa_system_sgpr_workgroup_id_x 1
		.amdhsa_system_sgpr_workgroup_id_y 0
		.amdhsa_system_sgpr_workgroup_id_z 0
		.amdhsa_system_sgpr_workgroup_info 0
		.amdhsa_system_vgpr_workitem_id 0
		.amdhsa_next_free_vgpr 1
		.amdhsa_next_free_sgpr 0
		.amdhsa_accum_offset 4
		.amdhsa_reserve_vcc 0
		.amdhsa_reserve_flat_scratch 0
		.amdhsa_float_round_mode_32 0
		.amdhsa_float_round_mode_16_64 0
		.amdhsa_float_denorm_mode_32 3
		.amdhsa_float_denorm_mode_16_64 3
		.amdhsa_dx10_clamp 1
		.amdhsa_ieee_mode 1
		.amdhsa_fp16_overflow 0
		.amdhsa_tg_split 0
		.amdhsa_exception_fp_ieee_invalid_op 0
		.amdhsa_exception_fp_denorm_src 0
		.amdhsa_exception_fp_ieee_div_zero 0
		.amdhsa_exception_fp_ieee_overflow 0
		.amdhsa_exception_fp_ieee_underflow 0
		.amdhsa_exception_fp_ieee_inexact 0
		.amdhsa_exception_int_div_zero 0
	.end_amdhsa_kernel
	.section	.text._ZN7rocprim17ROCPRIM_400000_NS6detail17trampoline_kernelINS0_14default_configENS1_38merge_sort_block_merge_config_selectorItNS0_10empty_typeEEEZZNS1_27merge_sort_block_merge_implIS3_N6thrust23THRUST_200600_302600_NS6detail15normal_iteratorINS9_10device_ptrItEEEEPS5_m14custom_greaterItEEE10hipError_tT0_T1_T2_jT3_P12ihipStream_tbPNSt15iterator_traitsISJ_E10value_typeEPNSP_ISK_E10value_typeEPSL_NS1_7vsmem_tEENKUlT_SJ_SK_SL_E_clISE_PtSF_SF_EESI_SY_SJ_SK_SL_EUlSY_E_NS1_11comp_targetILNS1_3genE8ELNS1_11target_archE1030ELNS1_3gpuE2ELNS1_3repE0EEENS1_48merge_mergepath_partition_config_static_selectorELNS0_4arch9wavefront6targetE1EEEvSK_,"axG",@progbits,_ZN7rocprim17ROCPRIM_400000_NS6detail17trampoline_kernelINS0_14default_configENS1_38merge_sort_block_merge_config_selectorItNS0_10empty_typeEEEZZNS1_27merge_sort_block_merge_implIS3_N6thrust23THRUST_200600_302600_NS6detail15normal_iteratorINS9_10device_ptrItEEEEPS5_m14custom_greaterItEEE10hipError_tT0_T1_T2_jT3_P12ihipStream_tbPNSt15iterator_traitsISJ_E10value_typeEPNSP_ISK_E10value_typeEPSL_NS1_7vsmem_tEENKUlT_SJ_SK_SL_E_clISE_PtSF_SF_EESI_SY_SJ_SK_SL_EUlSY_E_NS1_11comp_targetILNS1_3genE8ELNS1_11target_archE1030ELNS1_3gpuE2ELNS1_3repE0EEENS1_48merge_mergepath_partition_config_static_selectorELNS0_4arch9wavefront6targetE1EEEvSK_,comdat
.Lfunc_end3044:
	.size	_ZN7rocprim17ROCPRIM_400000_NS6detail17trampoline_kernelINS0_14default_configENS1_38merge_sort_block_merge_config_selectorItNS0_10empty_typeEEEZZNS1_27merge_sort_block_merge_implIS3_N6thrust23THRUST_200600_302600_NS6detail15normal_iteratorINS9_10device_ptrItEEEEPS5_m14custom_greaterItEEE10hipError_tT0_T1_T2_jT3_P12ihipStream_tbPNSt15iterator_traitsISJ_E10value_typeEPNSP_ISK_E10value_typeEPSL_NS1_7vsmem_tEENKUlT_SJ_SK_SL_E_clISE_PtSF_SF_EESI_SY_SJ_SK_SL_EUlSY_E_NS1_11comp_targetILNS1_3genE8ELNS1_11target_archE1030ELNS1_3gpuE2ELNS1_3repE0EEENS1_48merge_mergepath_partition_config_static_selectorELNS0_4arch9wavefront6targetE1EEEvSK_, .Lfunc_end3044-_ZN7rocprim17ROCPRIM_400000_NS6detail17trampoline_kernelINS0_14default_configENS1_38merge_sort_block_merge_config_selectorItNS0_10empty_typeEEEZZNS1_27merge_sort_block_merge_implIS3_N6thrust23THRUST_200600_302600_NS6detail15normal_iteratorINS9_10device_ptrItEEEEPS5_m14custom_greaterItEEE10hipError_tT0_T1_T2_jT3_P12ihipStream_tbPNSt15iterator_traitsISJ_E10value_typeEPNSP_ISK_E10value_typeEPSL_NS1_7vsmem_tEENKUlT_SJ_SK_SL_E_clISE_PtSF_SF_EESI_SY_SJ_SK_SL_EUlSY_E_NS1_11comp_targetILNS1_3genE8ELNS1_11target_archE1030ELNS1_3gpuE2ELNS1_3repE0EEENS1_48merge_mergepath_partition_config_static_selectorELNS0_4arch9wavefront6targetE1EEEvSK_
                                        ; -- End function
	.section	.AMDGPU.csdata,"",@progbits
; Kernel info:
; codeLenInByte = 0
; NumSgprs: 4
; NumVgprs: 0
; NumAgprs: 0
; TotalNumVgprs: 0
; ScratchSize: 0
; MemoryBound: 0
; FloatMode: 240
; IeeeMode: 1
; LDSByteSize: 0 bytes/workgroup (compile time only)
; SGPRBlocks: 0
; VGPRBlocks: 0
; NumSGPRsForWavesPerEU: 4
; NumVGPRsForWavesPerEU: 1
; AccumOffset: 4
; Occupancy: 8
; WaveLimiterHint : 0
; COMPUTE_PGM_RSRC2:SCRATCH_EN: 0
; COMPUTE_PGM_RSRC2:USER_SGPR: 6
; COMPUTE_PGM_RSRC2:TRAP_HANDLER: 0
; COMPUTE_PGM_RSRC2:TGID_X_EN: 1
; COMPUTE_PGM_RSRC2:TGID_Y_EN: 0
; COMPUTE_PGM_RSRC2:TGID_Z_EN: 0
; COMPUTE_PGM_RSRC2:TIDIG_COMP_CNT: 0
; COMPUTE_PGM_RSRC3_GFX90A:ACCUM_OFFSET: 0
; COMPUTE_PGM_RSRC3_GFX90A:TG_SPLIT: 0
	.section	.text._ZN7rocprim17ROCPRIM_400000_NS6detail17trampoline_kernelINS0_14default_configENS1_38merge_sort_block_merge_config_selectorItNS0_10empty_typeEEEZZNS1_27merge_sort_block_merge_implIS3_N6thrust23THRUST_200600_302600_NS6detail15normal_iteratorINS9_10device_ptrItEEEEPS5_m14custom_greaterItEEE10hipError_tT0_T1_T2_jT3_P12ihipStream_tbPNSt15iterator_traitsISJ_E10value_typeEPNSP_ISK_E10value_typeEPSL_NS1_7vsmem_tEENKUlT_SJ_SK_SL_E_clISE_PtSF_SF_EESI_SY_SJ_SK_SL_EUlSY_E0_NS1_11comp_targetILNS1_3genE0ELNS1_11target_archE4294967295ELNS1_3gpuE0ELNS1_3repE0EEENS1_38merge_mergepath_config_static_selectorELNS0_4arch9wavefront6targetE1EEEvSK_,"axG",@progbits,_ZN7rocprim17ROCPRIM_400000_NS6detail17trampoline_kernelINS0_14default_configENS1_38merge_sort_block_merge_config_selectorItNS0_10empty_typeEEEZZNS1_27merge_sort_block_merge_implIS3_N6thrust23THRUST_200600_302600_NS6detail15normal_iteratorINS9_10device_ptrItEEEEPS5_m14custom_greaterItEEE10hipError_tT0_T1_T2_jT3_P12ihipStream_tbPNSt15iterator_traitsISJ_E10value_typeEPNSP_ISK_E10value_typeEPSL_NS1_7vsmem_tEENKUlT_SJ_SK_SL_E_clISE_PtSF_SF_EESI_SY_SJ_SK_SL_EUlSY_E0_NS1_11comp_targetILNS1_3genE0ELNS1_11target_archE4294967295ELNS1_3gpuE0ELNS1_3repE0EEENS1_38merge_mergepath_config_static_selectorELNS0_4arch9wavefront6targetE1EEEvSK_,comdat
	.protected	_ZN7rocprim17ROCPRIM_400000_NS6detail17trampoline_kernelINS0_14default_configENS1_38merge_sort_block_merge_config_selectorItNS0_10empty_typeEEEZZNS1_27merge_sort_block_merge_implIS3_N6thrust23THRUST_200600_302600_NS6detail15normal_iteratorINS9_10device_ptrItEEEEPS5_m14custom_greaterItEEE10hipError_tT0_T1_T2_jT3_P12ihipStream_tbPNSt15iterator_traitsISJ_E10value_typeEPNSP_ISK_E10value_typeEPSL_NS1_7vsmem_tEENKUlT_SJ_SK_SL_E_clISE_PtSF_SF_EESI_SY_SJ_SK_SL_EUlSY_E0_NS1_11comp_targetILNS1_3genE0ELNS1_11target_archE4294967295ELNS1_3gpuE0ELNS1_3repE0EEENS1_38merge_mergepath_config_static_selectorELNS0_4arch9wavefront6targetE1EEEvSK_ ; -- Begin function _ZN7rocprim17ROCPRIM_400000_NS6detail17trampoline_kernelINS0_14default_configENS1_38merge_sort_block_merge_config_selectorItNS0_10empty_typeEEEZZNS1_27merge_sort_block_merge_implIS3_N6thrust23THRUST_200600_302600_NS6detail15normal_iteratorINS9_10device_ptrItEEEEPS5_m14custom_greaterItEEE10hipError_tT0_T1_T2_jT3_P12ihipStream_tbPNSt15iterator_traitsISJ_E10value_typeEPNSP_ISK_E10value_typeEPSL_NS1_7vsmem_tEENKUlT_SJ_SK_SL_E_clISE_PtSF_SF_EESI_SY_SJ_SK_SL_EUlSY_E0_NS1_11comp_targetILNS1_3genE0ELNS1_11target_archE4294967295ELNS1_3gpuE0ELNS1_3repE0EEENS1_38merge_mergepath_config_static_selectorELNS0_4arch9wavefront6targetE1EEEvSK_
	.globl	_ZN7rocprim17ROCPRIM_400000_NS6detail17trampoline_kernelINS0_14default_configENS1_38merge_sort_block_merge_config_selectorItNS0_10empty_typeEEEZZNS1_27merge_sort_block_merge_implIS3_N6thrust23THRUST_200600_302600_NS6detail15normal_iteratorINS9_10device_ptrItEEEEPS5_m14custom_greaterItEEE10hipError_tT0_T1_T2_jT3_P12ihipStream_tbPNSt15iterator_traitsISJ_E10value_typeEPNSP_ISK_E10value_typeEPSL_NS1_7vsmem_tEENKUlT_SJ_SK_SL_E_clISE_PtSF_SF_EESI_SY_SJ_SK_SL_EUlSY_E0_NS1_11comp_targetILNS1_3genE0ELNS1_11target_archE4294967295ELNS1_3gpuE0ELNS1_3repE0EEENS1_38merge_mergepath_config_static_selectorELNS0_4arch9wavefront6targetE1EEEvSK_
	.p2align	8
	.type	_ZN7rocprim17ROCPRIM_400000_NS6detail17trampoline_kernelINS0_14default_configENS1_38merge_sort_block_merge_config_selectorItNS0_10empty_typeEEEZZNS1_27merge_sort_block_merge_implIS3_N6thrust23THRUST_200600_302600_NS6detail15normal_iteratorINS9_10device_ptrItEEEEPS5_m14custom_greaterItEEE10hipError_tT0_T1_T2_jT3_P12ihipStream_tbPNSt15iterator_traitsISJ_E10value_typeEPNSP_ISK_E10value_typeEPSL_NS1_7vsmem_tEENKUlT_SJ_SK_SL_E_clISE_PtSF_SF_EESI_SY_SJ_SK_SL_EUlSY_E0_NS1_11comp_targetILNS1_3genE0ELNS1_11target_archE4294967295ELNS1_3gpuE0ELNS1_3repE0EEENS1_38merge_mergepath_config_static_selectorELNS0_4arch9wavefront6targetE1EEEvSK_,@function
_ZN7rocprim17ROCPRIM_400000_NS6detail17trampoline_kernelINS0_14default_configENS1_38merge_sort_block_merge_config_selectorItNS0_10empty_typeEEEZZNS1_27merge_sort_block_merge_implIS3_N6thrust23THRUST_200600_302600_NS6detail15normal_iteratorINS9_10device_ptrItEEEEPS5_m14custom_greaterItEEE10hipError_tT0_T1_T2_jT3_P12ihipStream_tbPNSt15iterator_traitsISJ_E10value_typeEPNSP_ISK_E10value_typeEPSL_NS1_7vsmem_tEENKUlT_SJ_SK_SL_E_clISE_PtSF_SF_EESI_SY_SJ_SK_SL_EUlSY_E0_NS1_11comp_targetILNS1_3genE0ELNS1_11target_archE4294967295ELNS1_3gpuE0ELNS1_3repE0EEENS1_38merge_mergepath_config_static_selectorELNS0_4arch9wavefront6targetE1EEEvSK_: ; @_ZN7rocprim17ROCPRIM_400000_NS6detail17trampoline_kernelINS0_14default_configENS1_38merge_sort_block_merge_config_selectorItNS0_10empty_typeEEEZZNS1_27merge_sort_block_merge_implIS3_N6thrust23THRUST_200600_302600_NS6detail15normal_iteratorINS9_10device_ptrItEEEEPS5_m14custom_greaterItEEE10hipError_tT0_T1_T2_jT3_P12ihipStream_tbPNSt15iterator_traitsISJ_E10value_typeEPNSP_ISK_E10value_typeEPSL_NS1_7vsmem_tEENKUlT_SJ_SK_SL_E_clISE_PtSF_SF_EESI_SY_SJ_SK_SL_EUlSY_E0_NS1_11comp_targetILNS1_3genE0ELNS1_11target_archE4294967295ELNS1_3gpuE0ELNS1_3repE0EEENS1_38merge_mergepath_config_static_selectorELNS0_4arch9wavefront6targetE1EEEvSK_
; %bb.0:
	.section	.rodata,"a",@progbits
	.p2align	6, 0x0
	.amdhsa_kernel _ZN7rocprim17ROCPRIM_400000_NS6detail17trampoline_kernelINS0_14default_configENS1_38merge_sort_block_merge_config_selectorItNS0_10empty_typeEEEZZNS1_27merge_sort_block_merge_implIS3_N6thrust23THRUST_200600_302600_NS6detail15normal_iteratorINS9_10device_ptrItEEEEPS5_m14custom_greaterItEEE10hipError_tT0_T1_T2_jT3_P12ihipStream_tbPNSt15iterator_traitsISJ_E10value_typeEPNSP_ISK_E10value_typeEPSL_NS1_7vsmem_tEENKUlT_SJ_SK_SL_E_clISE_PtSF_SF_EESI_SY_SJ_SK_SL_EUlSY_E0_NS1_11comp_targetILNS1_3genE0ELNS1_11target_archE4294967295ELNS1_3gpuE0ELNS1_3repE0EEENS1_38merge_mergepath_config_static_selectorELNS0_4arch9wavefront6targetE1EEEvSK_
		.amdhsa_group_segment_fixed_size 0
		.amdhsa_private_segment_fixed_size 0
		.amdhsa_kernarg_size 72
		.amdhsa_user_sgpr_count 6
		.amdhsa_user_sgpr_private_segment_buffer 1
		.amdhsa_user_sgpr_dispatch_ptr 0
		.amdhsa_user_sgpr_queue_ptr 0
		.amdhsa_user_sgpr_kernarg_segment_ptr 1
		.amdhsa_user_sgpr_dispatch_id 0
		.amdhsa_user_sgpr_flat_scratch_init 0
		.amdhsa_user_sgpr_kernarg_preload_length 0
		.amdhsa_user_sgpr_kernarg_preload_offset 0
		.amdhsa_user_sgpr_private_segment_size 0
		.amdhsa_uses_dynamic_stack 0
		.amdhsa_system_sgpr_private_segment_wavefront_offset 0
		.amdhsa_system_sgpr_workgroup_id_x 1
		.amdhsa_system_sgpr_workgroup_id_y 0
		.amdhsa_system_sgpr_workgroup_id_z 0
		.amdhsa_system_sgpr_workgroup_info 0
		.amdhsa_system_vgpr_workitem_id 0
		.amdhsa_next_free_vgpr 1
		.amdhsa_next_free_sgpr 0
		.amdhsa_accum_offset 4
		.amdhsa_reserve_vcc 0
		.amdhsa_reserve_flat_scratch 0
		.amdhsa_float_round_mode_32 0
		.amdhsa_float_round_mode_16_64 0
		.amdhsa_float_denorm_mode_32 3
		.amdhsa_float_denorm_mode_16_64 3
		.amdhsa_dx10_clamp 1
		.amdhsa_ieee_mode 1
		.amdhsa_fp16_overflow 0
		.amdhsa_tg_split 0
		.amdhsa_exception_fp_ieee_invalid_op 0
		.amdhsa_exception_fp_denorm_src 0
		.amdhsa_exception_fp_ieee_div_zero 0
		.amdhsa_exception_fp_ieee_overflow 0
		.amdhsa_exception_fp_ieee_underflow 0
		.amdhsa_exception_fp_ieee_inexact 0
		.amdhsa_exception_int_div_zero 0
	.end_amdhsa_kernel
	.section	.text._ZN7rocprim17ROCPRIM_400000_NS6detail17trampoline_kernelINS0_14default_configENS1_38merge_sort_block_merge_config_selectorItNS0_10empty_typeEEEZZNS1_27merge_sort_block_merge_implIS3_N6thrust23THRUST_200600_302600_NS6detail15normal_iteratorINS9_10device_ptrItEEEEPS5_m14custom_greaterItEEE10hipError_tT0_T1_T2_jT3_P12ihipStream_tbPNSt15iterator_traitsISJ_E10value_typeEPNSP_ISK_E10value_typeEPSL_NS1_7vsmem_tEENKUlT_SJ_SK_SL_E_clISE_PtSF_SF_EESI_SY_SJ_SK_SL_EUlSY_E0_NS1_11comp_targetILNS1_3genE0ELNS1_11target_archE4294967295ELNS1_3gpuE0ELNS1_3repE0EEENS1_38merge_mergepath_config_static_selectorELNS0_4arch9wavefront6targetE1EEEvSK_,"axG",@progbits,_ZN7rocprim17ROCPRIM_400000_NS6detail17trampoline_kernelINS0_14default_configENS1_38merge_sort_block_merge_config_selectorItNS0_10empty_typeEEEZZNS1_27merge_sort_block_merge_implIS3_N6thrust23THRUST_200600_302600_NS6detail15normal_iteratorINS9_10device_ptrItEEEEPS5_m14custom_greaterItEEE10hipError_tT0_T1_T2_jT3_P12ihipStream_tbPNSt15iterator_traitsISJ_E10value_typeEPNSP_ISK_E10value_typeEPSL_NS1_7vsmem_tEENKUlT_SJ_SK_SL_E_clISE_PtSF_SF_EESI_SY_SJ_SK_SL_EUlSY_E0_NS1_11comp_targetILNS1_3genE0ELNS1_11target_archE4294967295ELNS1_3gpuE0ELNS1_3repE0EEENS1_38merge_mergepath_config_static_selectorELNS0_4arch9wavefront6targetE1EEEvSK_,comdat
.Lfunc_end3045:
	.size	_ZN7rocprim17ROCPRIM_400000_NS6detail17trampoline_kernelINS0_14default_configENS1_38merge_sort_block_merge_config_selectorItNS0_10empty_typeEEEZZNS1_27merge_sort_block_merge_implIS3_N6thrust23THRUST_200600_302600_NS6detail15normal_iteratorINS9_10device_ptrItEEEEPS5_m14custom_greaterItEEE10hipError_tT0_T1_T2_jT3_P12ihipStream_tbPNSt15iterator_traitsISJ_E10value_typeEPNSP_ISK_E10value_typeEPSL_NS1_7vsmem_tEENKUlT_SJ_SK_SL_E_clISE_PtSF_SF_EESI_SY_SJ_SK_SL_EUlSY_E0_NS1_11comp_targetILNS1_3genE0ELNS1_11target_archE4294967295ELNS1_3gpuE0ELNS1_3repE0EEENS1_38merge_mergepath_config_static_selectorELNS0_4arch9wavefront6targetE1EEEvSK_, .Lfunc_end3045-_ZN7rocprim17ROCPRIM_400000_NS6detail17trampoline_kernelINS0_14default_configENS1_38merge_sort_block_merge_config_selectorItNS0_10empty_typeEEEZZNS1_27merge_sort_block_merge_implIS3_N6thrust23THRUST_200600_302600_NS6detail15normal_iteratorINS9_10device_ptrItEEEEPS5_m14custom_greaterItEEE10hipError_tT0_T1_T2_jT3_P12ihipStream_tbPNSt15iterator_traitsISJ_E10value_typeEPNSP_ISK_E10value_typeEPSL_NS1_7vsmem_tEENKUlT_SJ_SK_SL_E_clISE_PtSF_SF_EESI_SY_SJ_SK_SL_EUlSY_E0_NS1_11comp_targetILNS1_3genE0ELNS1_11target_archE4294967295ELNS1_3gpuE0ELNS1_3repE0EEENS1_38merge_mergepath_config_static_selectorELNS0_4arch9wavefront6targetE1EEEvSK_
                                        ; -- End function
	.section	.AMDGPU.csdata,"",@progbits
; Kernel info:
; codeLenInByte = 0
; NumSgprs: 4
; NumVgprs: 0
; NumAgprs: 0
; TotalNumVgprs: 0
; ScratchSize: 0
; MemoryBound: 0
; FloatMode: 240
; IeeeMode: 1
; LDSByteSize: 0 bytes/workgroup (compile time only)
; SGPRBlocks: 0
; VGPRBlocks: 0
; NumSGPRsForWavesPerEU: 4
; NumVGPRsForWavesPerEU: 1
; AccumOffset: 4
; Occupancy: 8
; WaveLimiterHint : 0
; COMPUTE_PGM_RSRC2:SCRATCH_EN: 0
; COMPUTE_PGM_RSRC2:USER_SGPR: 6
; COMPUTE_PGM_RSRC2:TRAP_HANDLER: 0
; COMPUTE_PGM_RSRC2:TGID_X_EN: 1
; COMPUTE_PGM_RSRC2:TGID_Y_EN: 0
; COMPUTE_PGM_RSRC2:TGID_Z_EN: 0
; COMPUTE_PGM_RSRC2:TIDIG_COMP_CNT: 0
; COMPUTE_PGM_RSRC3_GFX90A:ACCUM_OFFSET: 0
; COMPUTE_PGM_RSRC3_GFX90A:TG_SPLIT: 0
	.section	.text._ZN7rocprim17ROCPRIM_400000_NS6detail17trampoline_kernelINS0_14default_configENS1_38merge_sort_block_merge_config_selectorItNS0_10empty_typeEEEZZNS1_27merge_sort_block_merge_implIS3_N6thrust23THRUST_200600_302600_NS6detail15normal_iteratorINS9_10device_ptrItEEEEPS5_m14custom_greaterItEEE10hipError_tT0_T1_T2_jT3_P12ihipStream_tbPNSt15iterator_traitsISJ_E10value_typeEPNSP_ISK_E10value_typeEPSL_NS1_7vsmem_tEENKUlT_SJ_SK_SL_E_clISE_PtSF_SF_EESI_SY_SJ_SK_SL_EUlSY_E0_NS1_11comp_targetILNS1_3genE10ELNS1_11target_archE1201ELNS1_3gpuE5ELNS1_3repE0EEENS1_38merge_mergepath_config_static_selectorELNS0_4arch9wavefront6targetE1EEEvSK_,"axG",@progbits,_ZN7rocprim17ROCPRIM_400000_NS6detail17trampoline_kernelINS0_14default_configENS1_38merge_sort_block_merge_config_selectorItNS0_10empty_typeEEEZZNS1_27merge_sort_block_merge_implIS3_N6thrust23THRUST_200600_302600_NS6detail15normal_iteratorINS9_10device_ptrItEEEEPS5_m14custom_greaterItEEE10hipError_tT0_T1_T2_jT3_P12ihipStream_tbPNSt15iterator_traitsISJ_E10value_typeEPNSP_ISK_E10value_typeEPSL_NS1_7vsmem_tEENKUlT_SJ_SK_SL_E_clISE_PtSF_SF_EESI_SY_SJ_SK_SL_EUlSY_E0_NS1_11comp_targetILNS1_3genE10ELNS1_11target_archE1201ELNS1_3gpuE5ELNS1_3repE0EEENS1_38merge_mergepath_config_static_selectorELNS0_4arch9wavefront6targetE1EEEvSK_,comdat
	.protected	_ZN7rocprim17ROCPRIM_400000_NS6detail17trampoline_kernelINS0_14default_configENS1_38merge_sort_block_merge_config_selectorItNS0_10empty_typeEEEZZNS1_27merge_sort_block_merge_implIS3_N6thrust23THRUST_200600_302600_NS6detail15normal_iteratorINS9_10device_ptrItEEEEPS5_m14custom_greaterItEEE10hipError_tT0_T1_T2_jT3_P12ihipStream_tbPNSt15iterator_traitsISJ_E10value_typeEPNSP_ISK_E10value_typeEPSL_NS1_7vsmem_tEENKUlT_SJ_SK_SL_E_clISE_PtSF_SF_EESI_SY_SJ_SK_SL_EUlSY_E0_NS1_11comp_targetILNS1_3genE10ELNS1_11target_archE1201ELNS1_3gpuE5ELNS1_3repE0EEENS1_38merge_mergepath_config_static_selectorELNS0_4arch9wavefront6targetE1EEEvSK_ ; -- Begin function _ZN7rocprim17ROCPRIM_400000_NS6detail17trampoline_kernelINS0_14default_configENS1_38merge_sort_block_merge_config_selectorItNS0_10empty_typeEEEZZNS1_27merge_sort_block_merge_implIS3_N6thrust23THRUST_200600_302600_NS6detail15normal_iteratorINS9_10device_ptrItEEEEPS5_m14custom_greaterItEEE10hipError_tT0_T1_T2_jT3_P12ihipStream_tbPNSt15iterator_traitsISJ_E10value_typeEPNSP_ISK_E10value_typeEPSL_NS1_7vsmem_tEENKUlT_SJ_SK_SL_E_clISE_PtSF_SF_EESI_SY_SJ_SK_SL_EUlSY_E0_NS1_11comp_targetILNS1_3genE10ELNS1_11target_archE1201ELNS1_3gpuE5ELNS1_3repE0EEENS1_38merge_mergepath_config_static_selectorELNS0_4arch9wavefront6targetE1EEEvSK_
	.globl	_ZN7rocprim17ROCPRIM_400000_NS6detail17trampoline_kernelINS0_14default_configENS1_38merge_sort_block_merge_config_selectorItNS0_10empty_typeEEEZZNS1_27merge_sort_block_merge_implIS3_N6thrust23THRUST_200600_302600_NS6detail15normal_iteratorINS9_10device_ptrItEEEEPS5_m14custom_greaterItEEE10hipError_tT0_T1_T2_jT3_P12ihipStream_tbPNSt15iterator_traitsISJ_E10value_typeEPNSP_ISK_E10value_typeEPSL_NS1_7vsmem_tEENKUlT_SJ_SK_SL_E_clISE_PtSF_SF_EESI_SY_SJ_SK_SL_EUlSY_E0_NS1_11comp_targetILNS1_3genE10ELNS1_11target_archE1201ELNS1_3gpuE5ELNS1_3repE0EEENS1_38merge_mergepath_config_static_selectorELNS0_4arch9wavefront6targetE1EEEvSK_
	.p2align	8
	.type	_ZN7rocprim17ROCPRIM_400000_NS6detail17trampoline_kernelINS0_14default_configENS1_38merge_sort_block_merge_config_selectorItNS0_10empty_typeEEEZZNS1_27merge_sort_block_merge_implIS3_N6thrust23THRUST_200600_302600_NS6detail15normal_iteratorINS9_10device_ptrItEEEEPS5_m14custom_greaterItEEE10hipError_tT0_T1_T2_jT3_P12ihipStream_tbPNSt15iterator_traitsISJ_E10value_typeEPNSP_ISK_E10value_typeEPSL_NS1_7vsmem_tEENKUlT_SJ_SK_SL_E_clISE_PtSF_SF_EESI_SY_SJ_SK_SL_EUlSY_E0_NS1_11comp_targetILNS1_3genE10ELNS1_11target_archE1201ELNS1_3gpuE5ELNS1_3repE0EEENS1_38merge_mergepath_config_static_selectorELNS0_4arch9wavefront6targetE1EEEvSK_,@function
_ZN7rocprim17ROCPRIM_400000_NS6detail17trampoline_kernelINS0_14default_configENS1_38merge_sort_block_merge_config_selectorItNS0_10empty_typeEEEZZNS1_27merge_sort_block_merge_implIS3_N6thrust23THRUST_200600_302600_NS6detail15normal_iteratorINS9_10device_ptrItEEEEPS5_m14custom_greaterItEEE10hipError_tT0_T1_T2_jT3_P12ihipStream_tbPNSt15iterator_traitsISJ_E10value_typeEPNSP_ISK_E10value_typeEPSL_NS1_7vsmem_tEENKUlT_SJ_SK_SL_E_clISE_PtSF_SF_EESI_SY_SJ_SK_SL_EUlSY_E0_NS1_11comp_targetILNS1_3genE10ELNS1_11target_archE1201ELNS1_3gpuE5ELNS1_3repE0EEENS1_38merge_mergepath_config_static_selectorELNS0_4arch9wavefront6targetE1EEEvSK_: ; @_ZN7rocprim17ROCPRIM_400000_NS6detail17trampoline_kernelINS0_14default_configENS1_38merge_sort_block_merge_config_selectorItNS0_10empty_typeEEEZZNS1_27merge_sort_block_merge_implIS3_N6thrust23THRUST_200600_302600_NS6detail15normal_iteratorINS9_10device_ptrItEEEEPS5_m14custom_greaterItEEE10hipError_tT0_T1_T2_jT3_P12ihipStream_tbPNSt15iterator_traitsISJ_E10value_typeEPNSP_ISK_E10value_typeEPSL_NS1_7vsmem_tEENKUlT_SJ_SK_SL_E_clISE_PtSF_SF_EESI_SY_SJ_SK_SL_EUlSY_E0_NS1_11comp_targetILNS1_3genE10ELNS1_11target_archE1201ELNS1_3gpuE5ELNS1_3repE0EEENS1_38merge_mergepath_config_static_selectorELNS0_4arch9wavefront6targetE1EEEvSK_
; %bb.0:
	.section	.rodata,"a",@progbits
	.p2align	6, 0x0
	.amdhsa_kernel _ZN7rocprim17ROCPRIM_400000_NS6detail17trampoline_kernelINS0_14default_configENS1_38merge_sort_block_merge_config_selectorItNS0_10empty_typeEEEZZNS1_27merge_sort_block_merge_implIS3_N6thrust23THRUST_200600_302600_NS6detail15normal_iteratorINS9_10device_ptrItEEEEPS5_m14custom_greaterItEEE10hipError_tT0_T1_T2_jT3_P12ihipStream_tbPNSt15iterator_traitsISJ_E10value_typeEPNSP_ISK_E10value_typeEPSL_NS1_7vsmem_tEENKUlT_SJ_SK_SL_E_clISE_PtSF_SF_EESI_SY_SJ_SK_SL_EUlSY_E0_NS1_11comp_targetILNS1_3genE10ELNS1_11target_archE1201ELNS1_3gpuE5ELNS1_3repE0EEENS1_38merge_mergepath_config_static_selectorELNS0_4arch9wavefront6targetE1EEEvSK_
		.amdhsa_group_segment_fixed_size 0
		.amdhsa_private_segment_fixed_size 0
		.amdhsa_kernarg_size 72
		.amdhsa_user_sgpr_count 6
		.amdhsa_user_sgpr_private_segment_buffer 1
		.amdhsa_user_sgpr_dispatch_ptr 0
		.amdhsa_user_sgpr_queue_ptr 0
		.amdhsa_user_sgpr_kernarg_segment_ptr 1
		.amdhsa_user_sgpr_dispatch_id 0
		.amdhsa_user_sgpr_flat_scratch_init 0
		.amdhsa_user_sgpr_kernarg_preload_length 0
		.amdhsa_user_sgpr_kernarg_preload_offset 0
		.amdhsa_user_sgpr_private_segment_size 0
		.amdhsa_uses_dynamic_stack 0
		.amdhsa_system_sgpr_private_segment_wavefront_offset 0
		.amdhsa_system_sgpr_workgroup_id_x 1
		.amdhsa_system_sgpr_workgroup_id_y 0
		.amdhsa_system_sgpr_workgroup_id_z 0
		.amdhsa_system_sgpr_workgroup_info 0
		.amdhsa_system_vgpr_workitem_id 0
		.amdhsa_next_free_vgpr 1
		.amdhsa_next_free_sgpr 0
		.amdhsa_accum_offset 4
		.amdhsa_reserve_vcc 0
		.amdhsa_reserve_flat_scratch 0
		.amdhsa_float_round_mode_32 0
		.amdhsa_float_round_mode_16_64 0
		.amdhsa_float_denorm_mode_32 3
		.amdhsa_float_denorm_mode_16_64 3
		.amdhsa_dx10_clamp 1
		.amdhsa_ieee_mode 1
		.amdhsa_fp16_overflow 0
		.amdhsa_tg_split 0
		.amdhsa_exception_fp_ieee_invalid_op 0
		.amdhsa_exception_fp_denorm_src 0
		.amdhsa_exception_fp_ieee_div_zero 0
		.amdhsa_exception_fp_ieee_overflow 0
		.amdhsa_exception_fp_ieee_underflow 0
		.amdhsa_exception_fp_ieee_inexact 0
		.amdhsa_exception_int_div_zero 0
	.end_amdhsa_kernel
	.section	.text._ZN7rocprim17ROCPRIM_400000_NS6detail17trampoline_kernelINS0_14default_configENS1_38merge_sort_block_merge_config_selectorItNS0_10empty_typeEEEZZNS1_27merge_sort_block_merge_implIS3_N6thrust23THRUST_200600_302600_NS6detail15normal_iteratorINS9_10device_ptrItEEEEPS5_m14custom_greaterItEEE10hipError_tT0_T1_T2_jT3_P12ihipStream_tbPNSt15iterator_traitsISJ_E10value_typeEPNSP_ISK_E10value_typeEPSL_NS1_7vsmem_tEENKUlT_SJ_SK_SL_E_clISE_PtSF_SF_EESI_SY_SJ_SK_SL_EUlSY_E0_NS1_11comp_targetILNS1_3genE10ELNS1_11target_archE1201ELNS1_3gpuE5ELNS1_3repE0EEENS1_38merge_mergepath_config_static_selectorELNS0_4arch9wavefront6targetE1EEEvSK_,"axG",@progbits,_ZN7rocprim17ROCPRIM_400000_NS6detail17trampoline_kernelINS0_14default_configENS1_38merge_sort_block_merge_config_selectorItNS0_10empty_typeEEEZZNS1_27merge_sort_block_merge_implIS3_N6thrust23THRUST_200600_302600_NS6detail15normal_iteratorINS9_10device_ptrItEEEEPS5_m14custom_greaterItEEE10hipError_tT0_T1_T2_jT3_P12ihipStream_tbPNSt15iterator_traitsISJ_E10value_typeEPNSP_ISK_E10value_typeEPSL_NS1_7vsmem_tEENKUlT_SJ_SK_SL_E_clISE_PtSF_SF_EESI_SY_SJ_SK_SL_EUlSY_E0_NS1_11comp_targetILNS1_3genE10ELNS1_11target_archE1201ELNS1_3gpuE5ELNS1_3repE0EEENS1_38merge_mergepath_config_static_selectorELNS0_4arch9wavefront6targetE1EEEvSK_,comdat
.Lfunc_end3046:
	.size	_ZN7rocprim17ROCPRIM_400000_NS6detail17trampoline_kernelINS0_14default_configENS1_38merge_sort_block_merge_config_selectorItNS0_10empty_typeEEEZZNS1_27merge_sort_block_merge_implIS3_N6thrust23THRUST_200600_302600_NS6detail15normal_iteratorINS9_10device_ptrItEEEEPS5_m14custom_greaterItEEE10hipError_tT0_T1_T2_jT3_P12ihipStream_tbPNSt15iterator_traitsISJ_E10value_typeEPNSP_ISK_E10value_typeEPSL_NS1_7vsmem_tEENKUlT_SJ_SK_SL_E_clISE_PtSF_SF_EESI_SY_SJ_SK_SL_EUlSY_E0_NS1_11comp_targetILNS1_3genE10ELNS1_11target_archE1201ELNS1_3gpuE5ELNS1_3repE0EEENS1_38merge_mergepath_config_static_selectorELNS0_4arch9wavefront6targetE1EEEvSK_, .Lfunc_end3046-_ZN7rocprim17ROCPRIM_400000_NS6detail17trampoline_kernelINS0_14default_configENS1_38merge_sort_block_merge_config_selectorItNS0_10empty_typeEEEZZNS1_27merge_sort_block_merge_implIS3_N6thrust23THRUST_200600_302600_NS6detail15normal_iteratorINS9_10device_ptrItEEEEPS5_m14custom_greaterItEEE10hipError_tT0_T1_T2_jT3_P12ihipStream_tbPNSt15iterator_traitsISJ_E10value_typeEPNSP_ISK_E10value_typeEPSL_NS1_7vsmem_tEENKUlT_SJ_SK_SL_E_clISE_PtSF_SF_EESI_SY_SJ_SK_SL_EUlSY_E0_NS1_11comp_targetILNS1_3genE10ELNS1_11target_archE1201ELNS1_3gpuE5ELNS1_3repE0EEENS1_38merge_mergepath_config_static_selectorELNS0_4arch9wavefront6targetE1EEEvSK_
                                        ; -- End function
	.section	.AMDGPU.csdata,"",@progbits
; Kernel info:
; codeLenInByte = 0
; NumSgprs: 4
; NumVgprs: 0
; NumAgprs: 0
; TotalNumVgprs: 0
; ScratchSize: 0
; MemoryBound: 0
; FloatMode: 240
; IeeeMode: 1
; LDSByteSize: 0 bytes/workgroup (compile time only)
; SGPRBlocks: 0
; VGPRBlocks: 0
; NumSGPRsForWavesPerEU: 4
; NumVGPRsForWavesPerEU: 1
; AccumOffset: 4
; Occupancy: 8
; WaveLimiterHint : 0
; COMPUTE_PGM_RSRC2:SCRATCH_EN: 0
; COMPUTE_PGM_RSRC2:USER_SGPR: 6
; COMPUTE_PGM_RSRC2:TRAP_HANDLER: 0
; COMPUTE_PGM_RSRC2:TGID_X_EN: 1
; COMPUTE_PGM_RSRC2:TGID_Y_EN: 0
; COMPUTE_PGM_RSRC2:TGID_Z_EN: 0
; COMPUTE_PGM_RSRC2:TIDIG_COMP_CNT: 0
; COMPUTE_PGM_RSRC3_GFX90A:ACCUM_OFFSET: 0
; COMPUTE_PGM_RSRC3_GFX90A:TG_SPLIT: 0
	.section	.text._ZN7rocprim17ROCPRIM_400000_NS6detail17trampoline_kernelINS0_14default_configENS1_38merge_sort_block_merge_config_selectorItNS0_10empty_typeEEEZZNS1_27merge_sort_block_merge_implIS3_N6thrust23THRUST_200600_302600_NS6detail15normal_iteratorINS9_10device_ptrItEEEEPS5_m14custom_greaterItEEE10hipError_tT0_T1_T2_jT3_P12ihipStream_tbPNSt15iterator_traitsISJ_E10value_typeEPNSP_ISK_E10value_typeEPSL_NS1_7vsmem_tEENKUlT_SJ_SK_SL_E_clISE_PtSF_SF_EESI_SY_SJ_SK_SL_EUlSY_E0_NS1_11comp_targetILNS1_3genE5ELNS1_11target_archE942ELNS1_3gpuE9ELNS1_3repE0EEENS1_38merge_mergepath_config_static_selectorELNS0_4arch9wavefront6targetE1EEEvSK_,"axG",@progbits,_ZN7rocprim17ROCPRIM_400000_NS6detail17trampoline_kernelINS0_14default_configENS1_38merge_sort_block_merge_config_selectorItNS0_10empty_typeEEEZZNS1_27merge_sort_block_merge_implIS3_N6thrust23THRUST_200600_302600_NS6detail15normal_iteratorINS9_10device_ptrItEEEEPS5_m14custom_greaterItEEE10hipError_tT0_T1_T2_jT3_P12ihipStream_tbPNSt15iterator_traitsISJ_E10value_typeEPNSP_ISK_E10value_typeEPSL_NS1_7vsmem_tEENKUlT_SJ_SK_SL_E_clISE_PtSF_SF_EESI_SY_SJ_SK_SL_EUlSY_E0_NS1_11comp_targetILNS1_3genE5ELNS1_11target_archE942ELNS1_3gpuE9ELNS1_3repE0EEENS1_38merge_mergepath_config_static_selectorELNS0_4arch9wavefront6targetE1EEEvSK_,comdat
	.protected	_ZN7rocprim17ROCPRIM_400000_NS6detail17trampoline_kernelINS0_14default_configENS1_38merge_sort_block_merge_config_selectorItNS0_10empty_typeEEEZZNS1_27merge_sort_block_merge_implIS3_N6thrust23THRUST_200600_302600_NS6detail15normal_iteratorINS9_10device_ptrItEEEEPS5_m14custom_greaterItEEE10hipError_tT0_T1_T2_jT3_P12ihipStream_tbPNSt15iterator_traitsISJ_E10value_typeEPNSP_ISK_E10value_typeEPSL_NS1_7vsmem_tEENKUlT_SJ_SK_SL_E_clISE_PtSF_SF_EESI_SY_SJ_SK_SL_EUlSY_E0_NS1_11comp_targetILNS1_3genE5ELNS1_11target_archE942ELNS1_3gpuE9ELNS1_3repE0EEENS1_38merge_mergepath_config_static_selectorELNS0_4arch9wavefront6targetE1EEEvSK_ ; -- Begin function _ZN7rocprim17ROCPRIM_400000_NS6detail17trampoline_kernelINS0_14default_configENS1_38merge_sort_block_merge_config_selectorItNS0_10empty_typeEEEZZNS1_27merge_sort_block_merge_implIS3_N6thrust23THRUST_200600_302600_NS6detail15normal_iteratorINS9_10device_ptrItEEEEPS5_m14custom_greaterItEEE10hipError_tT0_T1_T2_jT3_P12ihipStream_tbPNSt15iterator_traitsISJ_E10value_typeEPNSP_ISK_E10value_typeEPSL_NS1_7vsmem_tEENKUlT_SJ_SK_SL_E_clISE_PtSF_SF_EESI_SY_SJ_SK_SL_EUlSY_E0_NS1_11comp_targetILNS1_3genE5ELNS1_11target_archE942ELNS1_3gpuE9ELNS1_3repE0EEENS1_38merge_mergepath_config_static_selectorELNS0_4arch9wavefront6targetE1EEEvSK_
	.globl	_ZN7rocprim17ROCPRIM_400000_NS6detail17trampoline_kernelINS0_14default_configENS1_38merge_sort_block_merge_config_selectorItNS0_10empty_typeEEEZZNS1_27merge_sort_block_merge_implIS3_N6thrust23THRUST_200600_302600_NS6detail15normal_iteratorINS9_10device_ptrItEEEEPS5_m14custom_greaterItEEE10hipError_tT0_T1_T2_jT3_P12ihipStream_tbPNSt15iterator_traitsISJ_E10value_typeEPNSP_ISK_E10value_typeEPSL_NS1_7vsmem_tEENKUlT_SJ_SK_SL_E_clISE_PtSF_SF_EESI_SY_SJ_SK_SL_EUlSY_E0_NS1_11comp_targetILNS1_3genE5ELNS1_11target_archE942ELNS1_3gpuE9ELNS1_3repE0EEENS1_38merge_mergepath_config_static_selectorELNS0_4arch9wavefront6targetE1EEEvSK_
	.p2align	8
	.type	_ZN7rocprim17ROCPRIM_400000_NS6detail17trampoline_kernelINS0_14default_configENS1_38merge_sort_block_merge_config_selectorItNS0_10empty_typeEEEZZNS1_27merge_sort_block_merge_implIS3_N6thrust23THRUST_200600_302600_NS6detail15normal_iteratorINS9_10device_ptrItEEEEPS5_m14custom_greaterItEEE10hipError_tT0_T1_T2_jT3_P12ihipStream_tbPNSt15iterator_traitsISJ_E10value_typeEPNSP_ISK_E10value_typeEPSL_NS1_7vsmem_tEENKUlT_SJ_SK_SL_E_clISE_PtSF_SF_EESI_SY_SJ_SK_SL_EUlSY_E0_NS1_11comp_targetILNS1_3genE5ELNS1_11target_archE942ELNS1_3gpuE9ELNS1_3repE0EEENS1_38merge_mergepath_config_static_selectorELNS0_4arch9wavefront6targetE1EEEvSK_,@function
_ZN7rocprim17ROCPRIM_400000_NS6detail17trampoline_kernelINS0_14default_configENS1_38merge_sort_block_merge_config_selectorItNS0_10empty_typeEEEZZNS1_27merge_sort_block_merge_implIS3_N6thrust23THRUST_200600_302600_NS6detail15normal_iteratorINS9_10device_ptrItEEEEPS5_m14custom_greaterItEEE10hipError_tT0_T1_T2_jT3_P12ihipStream_tbPNSt15iterator_traitsISJ_E10value_typeEPNSP_ISK_E10value_typeEPSL_NS1_7vsmem_tEENKUlT_SJ_SK_SL_E_clISE_PtSF_SF_EESI_SY_SJ_SK_SL_EUlSY_E0_NS1_11comp_targetILNS1_3genE5ELNS1_11target_archE942ELNS1_3gpuE9ELNS1_3repE0EEENS1_38merge_mergepath_config_static_selectorELNS0_4arch9wavefront6targetE1EEEvSK_: ; @_ZN7rocprim17ROCPRIM_400000_NS6detail17trampoline_kernelINS0_14default_configENS1_38merge_sort_block_merge_config_selectorItNS0_10empty_typeEEEZZNS1_27merge_sort_block_merge_implIS3_N6thrust23THRUST_200600_302600_NS6detail15normal_iteratorINS9_10device_ptrItEEEEPS5_m14custom_greaterItEEE10hipError_tT0_T1_T2_jT3_P12ihipStream_tbPNSt15iterator_traitsISJ_E10value_typeEPNSP_ISK_E10value_typeEPSL_NS1_7vsmem_tEENKUlT_SJ_SK_SL_E_clISE_PtSF_SF_EESI_SY_SJ_SK_SL_EUlSY_E0_NS1_11comp_targetILNS1_3genE5ELNS1_11target_archE942ELNS1_3gpuE9ELNS1_3repE0EEENS1_38merge_mergepath_config_static_selectorELNS0_4arch9wavefront6targetE1EEEvSK_
; %bb.0:
	.section	.rodata,"a",@progbits
	.p2align	6, 0x0
	.amdhsa_kernel _ZN7rocprim17ROCPRIM_400000_NS6detail17trampoline_kernelINS0_14default_configENS1_38merge_sort_block_merge_config_selectorItNS0_10empty_typeEEEZZNS1_27merge_sort_block_merge_implIS3_N6thrust23THRUST_200600_302600_NS6detail15normal_iteratorINS9_10device_ptrItEEEEPS5_m14custom_greaterItEEE10hipError_tT0_T1_T2_jT3_P12ihipStream_tbPNSt15iterator_traitsISJ_E10value_typeEPNSP_ISK_E10value_typeEPSL_NS1_7vsmem_tEENKUlT_SJ_SK_SL_E_clISE_PtSF_SF_EESI_SY_SJ_SK_SL_EUlSY_E0_NS1_11comp_targetILNS1_3genE5ELNS1_11target_archE942ELNS1_3gpuE9ELNS1_3repE0EEENS1_38merge_mergepath_config_static_selectorELNS0_4arch9wavefront6targetE1EEEvSK_
		.amdhsa_group_segment_fixed_size 0
		.amdhsa_private_segment_fixed_size 0
		.amdhsa_kernarg_size 72
		.amdhsa_user_sgpr_count 6
		.amdhsa_user_sgpr_private_segment_buffer 1
		.amdhsa_user_sgpr_dispatch_ptr 0
		.amdhsa_user_sgpr_queue_ptr 0
		.amdhsa_user_sgpr_kernarg_segment_ptr 1
		.amdhsa_user_sgpr_dispatch_id 0
		.amdhsa_user_sgpr_flat_scratch_init 0
		.amdhsa_user_sgpr_kernarg_preload_length 0
		.amdhsa_user_sgpr_kernarg_preload_offset 0
		.amdhsa_user_sgpr_private_segment_size 0
		.amdhsa_uses_dynamic_stack 0
		.amdhsa_system_sgpr_private_segment_wavefront_offset 0
		.amdhsa_system_sgpr_workgroup_id_x 1
		.amdhsa_system_sgpr_workgroup_id_y 0
		.amdhsa_system_sgpr_workgroup_id_z 0
		.amdhsa_system_sgpr_workgroup_info 0
		.amdhsa_system_vgpr_workitem_id 0
		.amdhsa_next_free_vgpr 1
		.amdhsa_next_free_sgpr 0
		.amdhsa_accum_offset 4
		.amdhsa_reserve_vcc 0
		.amdhsa_reserve_flat_scratch 0
		.amdhsa_float_round_mode_32 0
		.amdhsa_float_round_mode_16_64 0
		.amdhsa_float_denorm_mode_32 3
		.amdhsa_float_denorm_mode_16_64 3
		.amdhsa_dx10_clamp 1
		.amdhsa_ieee_mode 1
		.amdhsa_fp16_overflow 0
		.amdhsa_tg_split 0
		.amdhsa_exception_fp_ieee_invalid_op 0
		.amdhsa_exception_fp_denorm_src 0
		.amdhsa_exception_fp_ieee_div_zero 0
		.amdhsa_exception_fp_ieee_overflow 0
		.amdhsa_exception_fp_ieee_underflow 0
		.amdhsa_exception_fp_ieee_inexact 0
		.amdhsa_exception_int_div_zero 0
	.end_amdhsa_kernel
	.section	.text._ZN7rocprim17ROCPRIM_400000_NS6detail17trampoline_kernelINS0_14default_configENS1_38merge_sort_block_merge_config_selectorItNS0_10empty_typeEEEZZNS1_27merge_sort_block_merge_implIS3_N6thrust23THRUST_200600_302600_NS6detail15normal_iteratorINS9_10device_ptrItEEEEPS5_m14custom_greaterItEEE10hipError_tT0_T1_T2_jT3_P12ihipStream_tbPNSt15iterator_traitsISJ_E10value_typeEPNSP_ISK_E10value_typeEPSL_NS1_7vsmem_tEENKUlT_SJ_SK_SL_E_clISE_PtSF_SF_EESI_SY_SJ_SK_SL_EUlSY_E0_NS1_11comp_targetILNS1_3genE5ELNS1_11target_archE942ELNS1_3gpuE9ELNS1_3repE0EEENS1_38merge_mergepath_config_static_selectorELNS0_4arch9wavefront6targetE1EEEvSK_,"axG",@progbits,_ZN7rocprim17ROCPRIM_400000_NS6detail17trampoline_kernelINS0_14default_configENS1_38merge_sort_block_merge_config_selectorItNS0_10empty_typeEEEZZNS1_27merge_sort_block_merge_implIS3_N6thrust23THRUST_200600_302600_NS6detail15normal_iteratorINS9_10device_ptrItEEEEPS5_m14custom_greaterItEEE10hipError_tT0_T1_T2_jT3_P12ihipStream_tbPNSt15iterator_traitsISJ_E10value_typeEPNSP_ISK_E10value_typeEPSL_NS1_7vsmem_tEENKUlT_SJ_SK_SL_E_clISE_PtSF_SF_EESI_SY_SJ_SK_SL_EUlSY_E0_NS1_11comp_targetILNS1_3genE5ELNS1_11target_archE942ELNS1_3gpuE9ELNS1_3repE0EEENS1_38merge_mergepath_config_static_selectorELNS0_4arch9wavefront6targetE1EEEvSK_,comdat
.Lfunc_end3047:
	.size	_ZN7rocprim17ROCPRIM_400000_NS6detail17trampoline_kernelINS0_14default_configENS1_38merge_sort_block_merge_config_selectorItNS0_10empty_typeEEEZZNS1_27merge_sort_block_merge_implIS3_N6thrust23THRUST_200600_302600_NS6detail15normal_iteratorINS9_10device_ptrItEEEEPS5_m14custom_greaterItEEE10hipError_tT0_T1_T2_jT3_P12ihipStream_tbPNSt15iterator_traitsISJ_E10value_typeEPNSP_ISK_E10value_typeEPSL_NS1_7vsmem_tEENKUlT_SJ_SK_SL_E_clISE_PtSF_SF_EESI_SY_SJ_SK_SL_EUlSY_E0_NS1_11comp_targetILNS1_3genE5ELNS1_11target_archE942ELNS1_3gpuE9ELNS1_3repE0EEENS1_38merge_mergepath_config_static_selectorELNS0_4arch9wavefront6targetE1EEEvSK_, .Lfunc_end3047-_ZN7rocprim17ROCPRIM_400000_NS6detail17trampoline_kernelINS0_14default_configENS1_38merge_sort_block_merge_config_selectorItNS0_10empty_typeEEEZZNS1_27merge_sort_block_merge_implIS3_N6thrust23THRUST_200600_302600_NS6detail15normal_iteratorINS9_10device_ptrItEEEEPS5_m14custom_greaterItEEE10hipError_tT0_T1_T2_jT3_P12ihipStream_tbPNSt15iterator_traitsISJ_E10value_typeEPNSP_ISK_E10value_typeEPSL_NS1_7vsmem_tEENKUlT_SJ_SK_SL_E_clISE_PtSF_SF_EESI_SY_SJ_SK_SL_EUlSY_E0_NS1_11comp_targetILNS1_3genE5ELNS1_11target_archE942ELNS1_3gpuE9ELNS1_3repE0EEENS1_38merge_mergepath_config_static_selectorELNS0_4arch9wavefront6targetE1EEEvSK_
                                        ; -- End function
	.section	.AMDGPU.csdata,"",@progbits
; Kernel info:
; codeLenInByte = 0
; NumSgprs: 4
; NumVgprs: 0
; NumAgprs: 0
; TotalNumVgprs: 0
; ScratchSize: 0
; MemoryBound: 0
; FloatMode: 240
; IeeeMode: 1
; LDSByteSize: 0 bytes/workgroup (compile time only)
; SGPRBlocks: 0
; VGPRBlocks: 0
; NumSGPRsForWavesPerEU: 4
; NumVGPRsForWavesPerEU: 1
; AccumOffset: 4
; Occupancy: 8
; WaveLimiterHint : 0
; COMPUTE_PGM_RSRC2:SCRATCH_EN: 0
; COMPUTE_PGM_RSRC2:USER_SGPR: 6
; COMPUTE_PGM_RSRC2:TRAP_HANDLER: 0
; COMPUTE_PGM_RSRC2:TGID_X_EN: 1
; COMPUTE_PGM_RSRC2:TGID_Y_EN: 0
; COMPUTE_PGM_RSRC2:TGID_Z_EN: 0
; COMPUTE_PGM_RSRC2:TIDIG_COMP_CNT: 0
; COMPUTE_PGM_RSRC3_GFX90A:ACCUM_OFFSET: 0
; COMPUTE_PGM_RSRC3_GFX90A:TG_SPLIT: 0
	.section	.text._ZN7rocprim17ROCPRIM_400000_NS6detail17trampoline_kernelINS0_14default_configENS1_38merge_sort_block_merge_config_selectorItNS0_10empty_typeEEEZZNS1_27merge_sort_block_merge_implIS3_N6thrust23THRUST_200600_302600_NS6detail15normal_iteratorINS9_10device_ptrItEEEEPS5_m14custom_greaterItEEE10hipError_tT0_T1_T2_jT3_P12ihipStream_tbPNSt15iterator_traitsISJ_E10value_typeEPNSP_ISK_E10value_typeEPSL_NS1_7vsmem_tEENKUlT_SJ_SK_SL_E_clISE_PtSF_SF_EESI_SY_SJ_SK_SL_EUlSY_E0_NS1_11comp_targetILNS1_3genE4ELNS1_11target_archE910ELNS1_3gpuE8ELNS1_3repE0EEENS1_38merge_mergepath_config_static_selectorELNS0_4arch9wavefront6targetE1EEEvSK_,"axG",@progbits,_ZN7rocprim17ROCPRIM_400000_NS6detail17trampoline_kernelINS0_14default_configENS1_38merge_sort_block_merge_config_selectorItNS0_10empty_typeEEEZZNS1_27merge_sort_block_merge_implIS3_N6thrust23THRUST_200600_302600_NS6detail15normal_iteratorINS9_10device_ptrItEEEEPS5_m14custom_greaterItEEE10hipError_tT0_T1_T2_jT3_P12ihipStream_tbPNSt15iterator_traitsISJ_E10value_typeEPNSP_ISK_E10value_typeEPSL_NS1_7vsmem_tEENKUlT_SJ_SK_SL_E_clISE_PtSF_SF_EESI_SY_SJ_SK_SL_EUlSY_E0_NS1_11comp_targetILNS1_3genE4ELNS1_11target_archE910ELNS1_3gpuE8ELNS1_3repE0EEENS1_38merge_mergepath_config_static_selectorELNS0_4arch9wavefront6targetE1EEEvSK_,comdat
	.protected	_ZN7rocprim17ROCPRIM_400000_NS6detail17trampoline_kernelINS0_14default_configENS1_38merge_sort_block_merge_config_selectorItNS0_10empty_typeEEEZZNS1_27merge_sort_block_merge_implIS3_N6thrust23THRUST_200600_302600_NS6detail15normal_iteratorINS9_10device_ptrItEEEEPS5_m14custom_greaterItEEE10hipError_tT0_T1_T2_jT3_P12ihipStream_tbPNSt15iterator_traitsISJ_E10value_typeEPNSP_ISK_E10value_typeEPSL_NS1_7vsmem_tEENKUlT_SJ_SK_SL_E_clISE_PtSF_SF_EESI_SY_SJ_SK_SL_EUlSY_E0_NS1_11comp_targetILNS1_3genE4ELNS1_11target_archE910ELNS1_3gpuE8ELNS1_3repE0EEENS1_38merge_mergepath_config_static_selectorELNS0_4arch9wavefront6targetE1EEEvSK_ ; -- Begin function _ZN7rocprim17ROCPRIM_400000_NS6detail17trampoline_kernelINS0_14default_configENS1_38merge_sort_block_merge_config_selectorItNS0_10empty_typeEEEZZNS1_27merge_sort_block_merge_implIS3_N6thrust23THRUST_200600_302600_NS6detail15normal_iteratorINS9_10device_ptrItEEEEPS5_m14custom_greaterItEEE10hipError_tT0_T1_T2_jT3_P12ihipStream_tbPNSt15iterator_traitsISJ_E10value_typeEPNSP_ISK_E10value_typeEPSL_NS1_7vsmem_tEENKUlT_SJ_SK_SL_E_clISE_PtSF_SF_EESI_SY_SJ_SK_SL_EUlSY_E0_NS1_11comp_targetILNS1_3genE4ELNS1_11target_archE910ELNS1_3gpuE8ELNS1_3repE0EEENS1_38merge_mergepath_config_static_selectorELNS0_4arch9wavefront6targetE1EEEvSK_
	.globl	_ZN7rocprim17ROCPRIM_400000_NS6detail17trampoline_kernelINS0_14default_configENS1_38merge_sort_block_merge_config_selectorItNS0_10empty_typeEEEZZNS1_27merge_sort_block_merge_implIS3_N6thrust23THRUST_200600_302600_NS6detail15normal_iteratorINS9_10device_ptrItEEEEPS5_m14custom_greaterItEEE10hipError_tT0_T1_T2_jT3_P12ihipStream_tbPNSt15iterator_traitsISJ_E10value_typeEPNSP_ISK_E10value_typeEPSL_NS1_7vsmem_tEENKUlT_SJ_SK_SL_E_clISE_PtSF_SF_EESI_SY_SJ_SK_SL_EUlSY_E0_NS1_11comp_targetILNS1_3genE4ELNS1_11target_archE910ELNS1_3gpuE8ELNS1_3repE0EEENS1_38merge_mergepath_config_static_selectorELNS0_4arch9wavefront6targetE1EEEvSK_
	.p2align	8
	.type	_ZN7rocprim17ROCPRIM_400000_NS6detail17trampoline_kernelINS0_14default_configENS1_38merge_sort_block_merge_config_selectorItNS0_10empty_typeEEEZZNS1_27merge_sort_block_merge_implIS3_N6thrust23THRUST_200600_302600_NS6detail15normal_iteratorINS9_10device_ptrItEEEEPS5_m14custom_greaterItEEE10hipError_tT0_T1_T2_jT3_P12ihipStream_tbPNSt15iterator_traitsISJ_E10value_typeEPNSP_ISK_E10value_typeEPSL_NS1_7vsmem_tEENKUlT_SJ_SK_SL_E_clISE_PtSF_SF_EESI_SY_SJ_SK_SL_EUlSY_E0_NS1_11comp_targetILNS1_3genE4ELNS1_11target_archE910ELNS1_3gpuE8ELNS1_3repE0EEENS1_38merge_mergepath_config_static_selectorELNS0_4arch9wavefront6targetE1EEEvSK_,@function
_ZN7rocprim17ROCPRIM_400000_NS6detail17trampoline_kernelINS0_14default_configENS1_38merge_sort_block_merge_config_selectorItNS0_10empty_typeEEEZZNS1_27merge_sort_block_merge_implIS3_N6thrust23THRUST_200600_302600_NS6detail15normal_iteratorINS9_10device_ptrItEEEEPS5_m14custom_greaterItEEE10hipError_tT0_T1_T2_jT3_P12ihipStream_tbPNSt15iterator_traitsISJ_E10value_typeEPNSP_ISK_E10value_typeEPSL_NS1_7vsmem_tEENKUlT_SJ_SK_SL_E_clISE_PtSF_SF_EESI_SY_SJ_SK_SL_EUlSY_E0_NS1_11comp_targetILNS1_3genE4ELNS1_11target_archE910ELNS1_3gpuE8ELNS1_3repE0EEENS1_38merge_mergepath_config_static_selectorELNS0_4arch9wavefront6targetE1EEEvSK_: ; @_ZN7rocprim17ROCPRIM_400000_NS6detail17trampoline_kernelINS0_14default_configENS1_38merge_sort_block_merge_config_selectorItNS0_10empty_typeEEEZZNS1_27merge_sort_block_merge_implIS3_N6thrust23THRUST_200600_302600_NS6detail15normal_iteratorINS9_10device_ptrItEEEEPS5_m14custom_greaterItEEE10hipError_tT0_T1_T2_jT3_P12ihipStream_tbPNSt15iterator_traitsISJ_E10value_typeEPNSP_ISK_E10value_typeEPSL_NS1_7vsmem_tEENKUlT_SJ_SK_SL_E_clISE_PtSF_SF_EESI_SY_SJ_SK_SL_EUlSY_E0_NS1_11comp_targetILNS1_3genE4ELNS1_11target_archE910ELNS1_3gpuE8ELNS1_3repE0EEENS1_38merge_mergepath_config_static_selectorELNS0_4arch9wavefront6targetE1EEEvSK_
; %bb.0:
	s_load_dwordx2 s[22:23], s[4:5], 0x48
	s_load_dword s0, s[4:5], 0x38
	s_add_u32 s10, s4, 0x48
	s_addc_u32 s11, s5, 0
	s_waitcnt lgkmcnt(0)
	s_mul_i32 s1, s23, s8
	s_add_i32 s1, s1, s7
	s_mul_i32 s1, s1, s22
	s_add_i32 s8, s1, s6
	s_cmp_ge_u32 s8, s0
	s_cbranch_scc1 .LBB3048_45
; %bb.1:
	s_load_dwordx2 s[0:1], s[4:5], 0x40
	s_load_dwordx4 s[12:15], s[4:5], 0x8
	s_load_dwordx4 s[16:19], s[4:5], 0x28
	s_mov_b32 s9, 0
	s_lshl_b64 s[2:3], s[8:9], 3
	s_waitcnt lgkmcnt(0)
	s_add_u32 s0, s0, s2
	s_addc_u32 s1, s1, s3
	v_mov_b32_e32 v1, s18
	v_alignbit_b32 v1, s19, v1, 9
	v_readfirstlane_b32 s4, v1
	s_and_b32 s4, s4, -2
	s_sub_i32 s30, 0, s4
	s_and_b32 s24, s8, s30
	s_mov_b32 s25, s9
	s_lshl_b64 s[4:5], s[24:25], 10
	s_lshl_b64 s[20:21], s[8:9], 10
	s_sub_u32 s7, s20, s4
	s_load_dwordx4 s[0:3], s[0:1], 0x0
	s_subb_u32 s23, s21, s5
	s_lshl_b64 s[24:25], s[24:25], 11
	s_add_u32 s24, s24, s18
	s_addc_u32 s25, s25, s19
	s_add_u32 s7, s24, s7
	s_addc_u32 s23, s25, s23
	s_waitcnt lgkmcnt(0)
	s_sub_u32 s26, s7, s2
	s_subb_u32 s3, s23, s3
	s_add_u32 s26, s26, 0x400
	s_addc_u32 s27, s3, 0
	v_pk_mov_b32 v[2:3], s[26:27], s[26:27] op_sel:[0,1]
	v_cmp_lt_u64_e32 vcc, s[16:17], v[2:3]
	s_and_b64 s[28:29], vcc, exec
	s_cselect_b32 s3, s16, s26
	s_or_b32 s26, s8, s30
	s_cmp_lg_u32 s26, -1
	s_cbranch_scc1 .LBB3048_3
; %bb.2:
	s_sub_u32 s4, s24, s4
	s_subb_u32 s5, s25, s5
	v_pk_mov_b32 v[2:3], s[4:5], s[4:5] op_sel:[0,1]
	v_cmp_lt_u64_e32 vcc, s[16:17], v[2:3]
	s_and_b64 s[2:3], vcc, exec
	s_cselect_b32 s2, s16, s4
	s_add_u32 s4, s4, s18
	s_addc_u32 s5, s5, s19
	v_pk_mov_b32 v[2:3], s[4:5], s[4:5] op_sel:[0,1]
	v_cmp_lt_u64_e32 vcc, s[16:17], v[2:3]
	s_and_b64 s[18:19], vcc, exec
	s_cselect_b32 s3, s16, s4
.LBB3048_3:
	s_lshr_b64 s[24:25], s[16:17], 10
	s_cmp_lg_u64 s[24:25], s[8:9]
	s_cselect_b64 s[18:19], -1, 0
	s_sub_u32 s4, s7, s0
	s_subb_u32 s5, s23, s1
	v_pk_mov_b32 v[2:3], s[4:5], s[4:5] op_sel:[0,1]
	v_cmp_lt_u64_e32 vcc, s[16:17], v[2:3]
	s_and_b64 s[26:27], vcc, exec
	s_cselect_b32 s26, s16, s4
	s_cselect_b32 s27, s17, s5
	s_sub_i32 s17, s2, s0
	s_sub_i32 s4, s3, s26
	s_lshl_b64 s[0:1], s[0:1], 1
	s_add_u32 s5, s12, s0
	s_addc_u32 s7, s13, s1
	s_lshl_b64 s[0:1], s[26:27], 1
	s_add_u32 s12, s12, s0
	s_addc_u32 s13, s13, s1
	s_cmp_lt_u32 s6, s22
	v_mov_b32_e32 v3, 0
	s_cselect_b32 s0, 12, 18
	global_load_dword v1, v3, s[10:11] offset:14
	s_add_u32 s0, s10, s0
	s_addc_u32 s1, s11, 0
	global_load_ushort v2, v3, s[0:1]
	s_cmp_eq_u64 s[24:25], s[8:9]
	s_waitcnt vmcnt(1)
	v_lshrrev_b32_e32 v4, 16, v1
	v_and_b32_e32 v1, 0xffff, v1
	v_mul_lo_u32 v1, v1, v4
	s_waitcnt vmcnt(0)
	v_mul_lo_u32 v11, v1, v2
	v_add_u32_e32 v8, v11, v0
	v_lshlrev_b32_e32 v1, 1, v0
	v_add_u32_e32 v6, v8, v11
	s_cbranch_scc1 .LBB3048_5
; %bb.4:
	v_subrev_u32_e32 v2, s17, v0
	v_lshlrev_b64 v[4:5], 1, v[2:3]
	v_mov_b32_e32 v2, s13
	v_add_co_u32_e32 v4, vcc, s12, v4
	v_addc_co_u32_e32 v2, vcc, v2, v5, vcc
	v_mov_b32_e32 v5, s7
	v_add_co_u32_e32 v7, vcc, s5, v1
	v_addc_co_u32_e32 v5, vcc, 0, v5, vcc
	v_cmp_gt_u32_e32 vcc, s17, v0
	v_cndmask_b32_e32 v5, v2, v5, vcc
	v_cndmask_b32_e32 v4, v4, v7, vcc
	v_subrev_u32_e32 v2, s17, v8
	global_load_ushort v10, v[4:5], off
	v_lshlrev_b64 v[4:5], 1, v[2:3]
	v_mov_b32_e32 v2, s13
	v_add_co_u32_e32 v7, vcc, s12, v4
	v_mov_b32_e32 v9, v3
	v_addc_co_u32_e32 v2, vcc, v2, v5, vcc
	v_lshlrev_b64 v[4:5], 1, v[8:9]
	v_mov_b32_e32 v9, s7
	v_add_co_u32_e32 v4, vcc, s5, v4
	v_addc_co_u32_e32 v5, vcc, v9, v5, vcc
	v_cmp_gt_u32_e32 vcc, s17, v8
	v_cndmask_b32_e32 v5, v2, v5, vcc
	v_cndmask_b32_e32 v4, v7, v4, vcc
	v_subrev_u32_e32 v2, s17, v6
	global_load_ushort v9, v[4:5], off
	v_lshlrev_b64 v[4:5], 1, v[2:3]
	v_mov_b32_e32 v2, s13
	v_add_co_u32_e32 v12, vcc, s12, v4
	v_mov_b32_e32 v7, v3
	v_addc_co_u32_e32 v2, vcc, v2, v5, vcc
	v_lshlrev_b64 v[4:5], 1, v[6:7]
	v_mov_b32_e32 v7, s7
	v_add_co_u32_e32 v4, vcc, s5, v4
	v_addc_co_u32_e32 v5, vcc, v7, v5, vcc
	v_cmp_gt_u32_e32 vcc, s17, v6
	v_cndmask_b32_e32 v5, v2, v5, vcc
	v_cndmask_b32_e32 v4, v12, v4, vcc
	global_load_ushort v7, v[4:5], off
	v_add_u32_e32 v4, v6, v11
	v_subrev_u32_e32 v2, s17, v4
	v_lshlrev_b64 v[12:13], 1, v[2:3]
	v_mov_b32_e32 v2, s13
	v_add_co_u32_e32 v14, vcc, s12, v12
	v_mov_b32_e32 v5, v3
	v_addc_co_u32_e32 v2, vcc, v2, v13, vcc
	v_lshlrev_b64 v[12:13], 1, v[4:5]
	v_mov_b32_e32 v5, s7
	v_add_co_u32_e32 v12, vcc, s5, v12
	v_addc_co_u32_e32 v5, vcc, v5, v13, vcc
	v_cmp_gt_u32_e32 vcc, s17, v4
	v_add_u32_e32 v4, v4, v11
	v_cndmask_b32_e32 v13, v2, v5, vcc
	v_cndmask_b32_e32 v12, v14, v12, vcc
	v_subrev_u32_e32 v2, s17, v4
	global_load_ushort v14, v[12:13], off
	v_lshlrev_b64 v[12:13], 1, v[2:3]
	v_mov_b32_e32 v2, s13
	v_add_co_u32_e32 v15, vcc, s12, v12
	v_mov_b32_e32 v5, v3
	v_addc_co_u32_e32 v2, vcc, v2, v13, vcc
	v_lshlrev_b64 v[12:13], 1, v[4:5]
	v_mov_b32_e32 v5, s7
	v_add_co_u32_e32 v12, vcc, s5, v12
	v_addc_co_u32_e32 v5, vcc, v5, v13, vcc
	v_cmp_gt_u32_e32 vcc, s17, v4
	v_add_u32_e32 v4, v4, v11
	v_cndmask_b32_e32 v13, v2, v5, vcc
	v_cndmask_b32_e32 v12, v15, v12, vcc
	v_subrev_u32_e32 v2, s17, v4
	global_load_ushort v15, v[12:13], off
	v_lshlrev_b64 v[12:13], 1, v[2:3]
	v_mov_b32_e32 v2, s13
	v_add_co_u32_e32 v16, vcc, s12, v12
	v_mov_b32_e32 v5, v3
	v_addc_co_u32_e32 v2, vcc, v2, v13, vcc
	v_lshlrev_b64 v[12:13], 1, v[4:5]
	v_mov_b32_e32 v5, s7
	v_add_co_u32_e32 v12, vcc, s5, v12
	v_addc_co_u32_e32 v5, vcc, v5, v13, vcc
	v_cmp_gt_u32_e32 vcc, s17, v4
	v_cndmask_b32_e32 v13, v2, v5, vcc
	v_cndmask_b32_e32 v12, v16, v12, vcc
	global_load_ushort v16, v[12:13], off
	v_add_u32_e32 v12, v4, v11
	v_subrev_u32_e32 v2, s17, v12
	v_lshlrev_b64 v[4:5], 1, v[2:3]
	v_mov_b32_e32 v2, s13
	v_add_co_u32_e32 v4, vcc, s12, v4
	v_mov_b32_e32 v13, v3
	v_addc_co_u32_e32 v5, vcc, v2, v5, vcc
	v_lshlrev_b64 v[2:3], 1, v[12:13]
	v_mov_b32_e32 v13, s7
	v_add_co_u32_e32 v2, vcc, s5, v2
	v_addc_co_u32_e32 v3, vcc, v13, v3, vcc
	v_cmp_gt_u32_e32 vcc, s17, v12
	v_cndmask_b32_e32 v3, v5, v3, vcc
	v_cndmask_b32_e32 v2, v4, v2, vcc
	global_load_ushort v5, v[2:3], off
	s_mov_b32 s0, 0x5040100
	s_waitcnt vmcnt(5)
	v_perm_b32 v2, v9, v10, s0
	v_add_u32_e32 v10, v12, v11
	s_add_i32 s6, s17, s4
	s_waitcnt vmcnt(3)
	v_perm_b32 v3, v14, v7, s0
	s_waitcnt vmcnt(1)
	v_perm_b32 v4, v16, v15, s0
	s_mov_b64 s[0:1], -1
	s_cbranch_execz .LBB3048_6
	s_branch .LBB3048_19
.LBB3048_5:
	s_mov_b64 s[0:1], 0
                                        ; implicit-def: $vgpr10
                                        ; implicit-def: $vgpr2_vgpr3_vgpr4_vgpr5
                                        ; implicit-def: $sgpr6
.LBB3048_6:
	s_add_i32 s6, s17, s4
	v_cmp_gt_u32_e32 vcc, s6, v0
                                        ; implicit-def: $vgpr2_vgpr3_vgpr4_vgpr5
	s_and_saveexec_b64 s[0:1], vcc
	s_cbranch_execnz .LBB3048_46
; %bb.7:
	s_or_b64 exec, exec, s[0:1]
	v_cmp_gt_u32_e32 vcc, s6, v8
	s_and_saveexec_b64 s[2:3], vcc
	s_cbranch_execnz .LBB3048_47
.LBB3048_8:
	s_or_b64 exec, exec, s[2:3]
	v_cmp_gt_u32_e32 vcc, s6, v6
	s_and_saveexec_b64 s[0:1], vcc
	s_cbranch_execz .LBB3048_10
.LBB3048_9:
	v_mov_b32_e32 v7, 0
	v_lshlrev_b64 v[8:9], 1, v[6:7]
	v_mov_b32_e32 v10, s7
	v_add_co_u32_e32 v12, vcc, s5, v8
	v_addc_co_u32_e32 v10, vcc, v10, v9, vcc
	v_subrev_u32_e32 v8, s17, v6
	v_mov_b32_e32 v9, v7
	v_lshlrev_b64 v[8:9], 1, v[8:9]
	v_mov_b32_e32 v7, s13
	v_add_co_u32_e32 v8, vcc, s12, v8
	v_addc_co_u32_e32 v7, vcc, v7, v9, vcc
	v_cmp_gt_u32_e32 vcc, s17, v6
	v_cndmask_b32_e32 v9, v7, v10, vcc
	v_cndmask_b32_e32 v8, v8, v12, vcc
	global_load_ushort v7, v[8:9], off
	s_mov_b32 s2, 0xffff
	s_waitcnt vmcnt(0)
	v_bfi_b32 v3, s2, v7, v3
.LBB3048_10:
	s_or_b64 exec, exec, s[0:1]
	v_add_u32_e32 v6, v6, v11
	v_cmp_gt_u32_e32 vcc, s6, v6
	s_and_saveexec_b64 s[0:1], vcc
	s_cbranch_execz .LBB3048_12
; %bb.11:
	v_mov_b32_e32 v7, 0
	v_lshlrev_b64 v[8:9], 1, v[6:7]
	v_mov_b32_e32 v10, s7
	v_add_co_u32_e32 v12, vcc, s5, v8
	v_addc_co_u32_e32 v10, vcc, v10, v9, vcc
	v_subrev_u32_e32 v8, s17, v6
	v_mov_b32_e32 v9, v7
	v_lshlrev_b64 v[8:9], 1, v[8:9]
	v_mov_b32_e32 v7, s13
	v_add_co_u32_e32 v8, vcc, s12, v8
	v_addc_co_u32_e32 v7, vcc, v7, v9, vcc
	v_cmp_gt_u32_e32 vcc, s17, v6
	v_cndmask_b32_e32 v9, v7, v10, vcc
	v_cndmask_b32_e32 v8, v8, v12, vcc
	global_load_ushort v7, v[8:9], off
	s_mov_b32 s2, 0x5040100
	s_waitcnt vmcnt(0)
	v_perm_b32 v3, v7, v3, s2
.LBB3048_12:
	s_or_b64 exec, exec, s[0:1]
	v_add_u32_e32 v6, v6, v11
	v_cmp_gt_u32_e32 vcc, s6, v6
	s_and_saveexec_b64 s[0:1], vcc
	s_cbranch_execz .LBB3048_14
; %bb.13:
	v_mov_b32_e32 v7, 0
	v_lshlrev_b64 v[8:9], 1, v[6:7]
	v_mov_b32_e32 v10, s7
	v_add_co_u32_e32 v12, vcc, s5, v8
	v_addc_co_u32_e32 v10, vcc, v10, v9, vcc
	v_subrev_u32_e32 v8, s17, v6
	v_mov_b32_e32 v9, v7
	v_lshlrev_b64 v[8:9], 1, v[8:9]
	v_mov_b32_e32 v7, s13
	v_add_co_u32_e32 v8, vcc, s12, v8
	v_addc_co_u32_e32 v7, vcc, v7, v9, vcc
	v_cmp_gt_u32_e32 vcc, s17, v6
	v_cndmask_b32_e32 v9, v7, v10, vcc
	v_cndmask_b32_e32 v8, v8, v12, vcc
	global_load_ushort v7, v[8:9], off
	s_mov_b32 s2, 0xffff
	s_waitcnt vmcnt(0)
	v_bfi_b32 v4, s2, v7, v4
.LBB3048_14:
	s_or_b64 exec, exec, s[0:1]
	v_add_u32_e32 v6, v6, v11
	v_cmp_gt_u32_e32 vcc, s6, v6
	s_and_saveexec_b64 s[0:1], vcc
	s_cbranch_execz .LBB3048_16
; %bb.15:
	v_mov_b32_e32 v7, 0
	v_lshlrev_b64 v[8:9], 1, v[6:7]
	v_mov_b32_e32 v10, s7
	v_add_co_u32_e32 v12, vcc, s5, v8
	v_addc_co_u32_e32 v10, vcc, v10, v9, vcc
	v_subrev_u32_e32 v8, s17, v6
	v_mov_b32_e32 v9, v7
	v_lshlrev_b64 v[8:9], 1, v[8:9]
	v_mov_b32_e32 v7, s13
	v_add_co_u32_e32 v8, vcc, s12, v8
	v_addc_co_u32_e32 v7, vcc, v7, v9, vcc
	v_cmp_gt_u32_e32 vcc, s17, v6
	v_cndmask_b32_e32 v9, v7, v10, vcc
	v_cndmask_b32_e32 v8, v8, v12, vcc
	global_load_ushort v7, v[8:9], off
	s_mov_b32 s2, 0x5040100
	s_waitcnt vmcnt(0)
	v_perm_b32 v4, v7, v4, s2
.LBB3048_16:
	s_or_b64 exec, exec, s[0:1]
	v_add_u32_e32 v6, v6, v11
	v_cmp_gt_u32_e32 vcc, s6, v6
	s_and_saveexec_b64 s[0:1], vcc
	s_cbranch_execz .LBB3048_18
; %bb.17:
	v_mov_b32_e32 v7, 0
	v_lshlrev_b64 v[8:9], 1, v[6:7]
	v_mov_b32_e32 v10, s7
	v_add_co_u32_e32 v12, vcc, s5, v8
	v_addc_co_u32_e32 v10, vcc, v10, v9, vcc
	v_subrev_u32_e32 v8, s17, v6
	v_mov_b32_e32 v9, v7
	v_lshlrev_b64 v[8:9], 1, v[8:9]
	v_mov_b32_e32 v7, s13
	v_add_co_u32_e32 v8, vcc, s12, v8
	v_addc_co_u32_e32 v7, vcc, v7, v9, vcc
	v_cmp_gt_u32_e32 vcc, s17, v6
	v_cndmask_b32_e32 v9, v7, v10, vcc
	v_cndmask_b32_e32 v8, v8, v12, vcc
	global_load_ushort v7, v[8:9], off
	s_mov_b32 s2, 0xffff
	s_waitcnt vmcnt(0)
	v_bfi_b32 v5, s2, v7, v5
.LBB3048_18:
	s_or_b64 exec, exec, s[0:1]
	v_add_u32_e32 v10, v6, v11
	v_cmp_gt_u32_e64 s[0:1], s6, v10
.LBB3048_19:
	v_mov_b32_e32 v7, s6
	s_and_saveexec_b64 s[2:3], s[0:1]
	s_cbranch_execz .LBB3048_21
; %bb.20:
	v_subrev_u32_e32 v6, s17, v10
	v_mov_b32_e32 v7, 0
	v_lshlrev_b64 v[8:9], 1, v[6:7]
	v_mov_b32_e32 v6, s13
	v_add_co_u32_e32 v8, vcc, s12, v8
	v_mov_b32_e32 v11, v7
	v_addc_co_u32_e32 v9, vcc, v6, v9, vcc
	v_lshlrev_b64 v[6:7], 1, v[10:11]
	v_mov_b32_e32 v11, s7
	v_add_co_u32_e32 v6, vcc, s5, v6
	v_addc_co_u32_e32 v7, vcc, v11, v7, vcc
	v_cmp_gt_u32_e32 vcc, s17, v10
	v_cndmask_b32_e32 v7, v9, v7, vcc
	v_cndmask_b32_e32 v6, v8, v6, vcc
	global_load_ushort v6, v[6:7], off
	s_mov_b32 s0, 0x5040100
	v_mov_b32_e32 v7, s6
	s_waitcnt vmcnt(0)
	v_perm_b32 v5, v6, v5, s0
.LBB3048_21:
	s_or_b64 exec, exec, s[2:3]
	v_lshlrev_b32_e32 v6, 3, v0
	v_min_u32_e32 v13, v7, v6
	v_sub_u32_e64 v11, v13, s4 clamp
	v_min_u32_e32 v14, s17, v13
	s_waitcnt vmcnt(0)
	v_lshrrev_b32_e32 v8, 16, v2
	v_lshrrev_b32_e32 v9, 16, v3
	;; [unrolled: 1-line block ×4, first 2 shown]
	v_cmp_lt_u32_e32 vcc, v11, v14
	ds_write_b16 v1, v2
	ds_write_b16 v1, v8 offset:256
	ds_write_b16 v1, v3 offset:512
	;; [unrolled: 1-line block ×7, first 2 shown]
	s_waitcnt lgkmcnt(0)
	s_barrier
	s_and_saveexec_b64 s[0:1], vcc
	s_cbranch_execz .LBB3048_25
; %bb.22:
	v_lshlrev_b32_e32 v15, 1, v13
	v_lshl_add_u32 v15, s17, 1, v15
	s_mov_b64 s[2:3], 0
.LBB3048_23:                            ; =>This Inner Loop Header: Depth=1
	v_add_u32_e32 v16, v14, v11
	v_lshrrev_b32_e32 v17, 1, v16
	v_not_b32_e32 v18, v17
	v_and_b32_e32 v16, -2, v16
	v_lshl_add_u32 v18, v18, 1, v15
	ds_read_u16 v16, v16
	ds_read_u16 v18, v18
	v_add_u32_e32 v19, 1, v17
	s_waitcnt lgkmcnt(0)
	v_cmp_gt_u16_e32 vcc, v16, v18
	v_cndmask_b32_e32 v14, v14, v17, vcc
	v_cndmask_b32_e32 v11, v19, v11, vcc
	v_cmp_ge_u32_e32 vcc, v11, v14
	s_or_b64 s[2:3], vcc, s[2:3]
	s_andn2_b64 exec, exec, s[2:3]
	s_cbranch_execnz .LBB3048_23
; %bb.24:
	s_or_b64 exec, exec, s[2:3]
.LBB3048_25:
	s_or_b64 exec, exec, s[0:1]
	v_sub_u32_e32 v13, v13, v11
	v_add_u32_e32 v13, s17, v13
	v_cmp_ge_u32_e32 vcc, s17, v11
	v_cmp_le_u32_e64 s[0:1], v13, v7
	s_or_b64 s[0:1], vcc, s[0:1]
	s_and_saveexec_b64 s[22:23], s[0:1]
	s_cbranch_execz .LBB3048_31
; %bb.26:
	v_cmp_gt_u32_e32 vcc, s17, v11
                                        ; implicit-def: $vgpr2
	s_and_saveexec_b64 s[0:1], vcc
	s_cbranch_execz .LBB3048_28
; %bb.27:
	v_lshlrev_b32_e32 v2, 1, v11
	ds_read_u16 v2, v2
.LBB3048_28:
	s_or_b64 exec, exec, s[0:1]
	v_cmp_ge_u32_e64 s[0:1], v13, v7
	v_cmp_lt_u32_e64 s[2:3], v13, v7
                                        ; implicit-def: $vgpr3
	s_and_saveexec_b64 s[4:5], s[2:3]
	s_cbranch_execz .LBB3048_30
; %bb.29:
	v_lshlrev_b32_e32 v3, 1, v13
	ds_read_u16 v3, v3
.LBB3048_30:
	s_or_b64 exec, exec, s[4:5]
	s_waitcnt lgkmcnt(0)
	v_cmp_le_u16_e64 s[2:3], v2, v3
	s_and_b64 s[2:3], vcc, s[2:3]
	s_or_b64 vcc, s[0:1], s[2:3]
	v_mov_b32_e32 v5, s17
	v_cndmask_b32_e32 v4, v13, v11, vcc
	v_cndmask_b32_e32 v8, v7, v5, vcc
	v_add_u32_e32 v4, 1, v4
	v_add_u32_e32 v8, -1, v8
	v_min_u32_e32 v8, v4, v8
	v_lshlrev_b32_e32 v8, 1, v8
	ds_read_u16 v8, v8
	v_cndmask_b32_e32 v10, v4, v13, vcc
	v_cndmask_b32_e32 v4, v11, v4, vcc
	v_cmp_gt_u32_e64 s[2:3], s17, v4
	v_cmp_ge_u32_e64 s[0:1], v10, v7
	s_waitcnt lgkmcnt(0)
	v_cndmask_b32_e32 v9, v8, v3, vcc
	v_cndmask_b32_e32 v8, v2, v8, vcc
	v_cmp_le_u16_e64 s[4:5], v8, v9
	s_and_b64 s[2:3], s[2:3], s[4:5]
	s_or_b64 s[0:1], s[0:1], s[2:3]
	v_cndmask_b32_e64 v11, v10, v4, s[0:1]
	v_cndmask_b32_e64 v12, v7, v5, s[0:1]
	v_add_u32_e32 v11, 1, v11
	v_add_u32_e32 v12, -1, v12
	v_min_u32_e32 v12, v11, v12
	v_lshlrev_b32_e32 v12, 1, v12
	ds_read_u16 v12, v12
	v_cndmask_b32_e64 v4, v4, v11, s[0:1]
	v_cndmask_b32_e64 v10, v11, v10, s[0:1]
	v_cmp_gt_u32_e64 s[4:5], s17, v4
	v_cmp_ge_u32_e64 s[2:3], v10, v7
	s_waitcnt lgkmcnt(0)
	v_cndmask_b32_e64 v13, v12, v9, s[0:1]
	v_cndmask_b32_e64 v12, v8, v12, s[0:1]
	v_cmp_le_u16_e64 s[6:7], v12, v13
	s_and_b64 s[4:5], s[4:5], s[6:7]
	s_or_b64 s[2:3], s[2:3], s[4:5]
	v_cndmask_b32_e64 v11, v10, v4, s[2:3]
	v_cndmask_b32_e64 v14, v7, v5, s[2:3]
	v_add_u32_e32 v11, 1, v11
	v_add_u32_e32 v14, -1, v14
	v_min_u32_e32 v14, v11, v14
	v_lshlrev_b32_e32 v14, 1, v14
	ds_read_u16 v14, v14
	v_cndmask_b32_e64 v4, v4, v11, s[2:3]
	v_cndmask_b32_e64 v10, v11, v10, s[2:3]
	v_cmp_gt_u32_e64 s[6:7], s17, v4
	v_cmp_ge_u32_e64 s[4:5], v10, v7
	s_waitcnt lgkmcnt(0)
	v_cndmask_b32_e64 v15, v14, v13, s[2:3]
	v_cndmask_b32_e64 v14, v12, v14, s[2:3]
	;; [unrolled: 17-line block ×4, first 2 shown]
	v_cmp_le_u16_e64 s[12:13], v18, v19
	s_and_b64 s[10:11], s[10:11], s[12:13]
	s_or_b64 s[8:9], s[8:9], s[10:11]
	v_cndmask_b32_e64 v11, v10, v4, s[8:9]
	v_cndmask_b32_e64 v20, v7, v5, s[8:9]
	v_add_u32_e32 v11, 1, v11
	v_add_u32_e32 v20, -1, v20
	v_min_u32_e32 v20, v11, v20
	v_lshlrev_b32_e32 v20, 1, v20
	ds_read_u16 v20, v20
	v_cndmask_b32_e32 v2, v3, v2, vcc
	v_cndmask_b32_e64 v3, v13, v12, s[2:3]
	v_cndmask_b32_e64 v8, v9, v8, s[0:1]
	;; [unrolled: 1-line block ×3, first 2 shown]
	s_waitcnt lgkmcnt(0)
	v_cndmask_b32_e64 v12, v20, v19, s[8:9]
	v_cndmask_b32_e64 v13, v18, v20, s[8:9]
	;; [unrolled: 1-line block ×4, first 2 shown]
	v_cmp_gt_u32_e64 s[0:1], s17, v11
	v_cmp_le_u16_e64 s[2:3], v13, v12
	v_cmp_ge_u32_e32 vcc, v20, v7
	s_and_b64 s[0:1], s[0:1], s[2:3]
	s_or_b64 vcc, vcc, s[0:1]
	v_cndmask_b32_e32 v4, v20, v11, vcc
	v_cndmask_b32_e32 v5, v7, v5, vcc
	v_add_u32_e32 v21, 1, v4
	v_add_u32_e32 v4, -1, v5
	v_min_u32_e32 v4, v21, v4
	v_lshlrev_b32_e32 v4, 1, v4
	ds_read_u16 v22, v4
	v_cndmask_b32_e32 v5, v12, v13, vcc
	v_cndmask_b32_e32 v11, v11, v21, vcc
	v_cndmask_b32_e32 v14, v21, v20, vcc
	v_cmp_gt_u32_e64 s[0:1], s17, v11
	s_waitcnt lgkmcnt(0)
	v_cndmask_b32_e32 v12, v22, v12, vcc
	v_cndmask_b32_e32 v13, v13, v22, vcc
	v_cmp_le_u16_e64 s[2:3], v13, v12
	v_cmp_ge_u32_e32 vcc, v14, v7
	s_and_b64 s[0:1], s[0:1], s[2:3]
	s_or_b64 vcc, vcc, s[0:1]
	v_cndmask_b32_e64 v4, v17, v16, s[6:7]
	v_cndmask_b32_e64 v10, v19, v18, s[8:9]
	v_cndmask_b32_e32 v12, v12, v13, vcc
.LBB3048_31:
	s_or_b64 exec, exec, s[22:23]
	v_lshrrev_b32_e32 v7, 2, v0
	v_and_b32_e32 v7, 30, v7
	s_mov_b32 s2, 0x5040100
	v_add_lshl_u32 v6, v7, v6, 1
	v_perm_b32 v3, v9, v3, s2
	v_perm_b32 v2, v8, v2, s2
	s_barrier
	s_barrier
	ds_write2_b32 v6, v2, v3 offset1:1
	v_perm_b32 v2, v12, v5, s2
	v_perm_b32 v3, v10, v4, s2
	ds_write2_b32 v6, v3, v2 offset0:2 offset1:3
	v_lshrrev_b32_e32 v2, 4, v0
	v_and_b32_e32 v2, 4, v2
	v_or_b32_e32 v10, 0x80, v0
	v_add_u32_e32 v11, v1, v2
	v_lshrrev_b32_e32 v2, 4, v10
	v_and_b32_e32 v2, 12, v2
	v_or_b32_e32 v9, 0x100, v0
	v_add_u32_e32 v12, v1, v2
	;; [unrolled: 4-line block ×6, first 2 shown]
	v_lshrrev_b32_e32 v2, 4, v5
	s_lshl_b64 s[0:1], s[20:21], 1
	v_and_b32_e32 v2, 52, v2
	v_or_b32_e32 v4, 0x380, v0
	s_add_u32 s0, s14, s0
	v_add_u32_e32 v17, v1, v2
	v_lshrrev_b32_e32 v2, 4, v4
	s_addc_u32 s1, s15, s1
	v_and_b32_e32 v2, 60, v2
	v_add_u32_e32 v18, v1, v2
	v_mov_b32_e32 v3, s1
	v_add_co_u32_e32 v2, vcc, s0, v1
	v_addc_co_u32_e32 v3, vcc, 0, v3, vcc
	s_and_b64 vcc, exec, s[18:19]
	s_waitcnt lgkmcnt(0)
	s_cbranch_vccz .LBB3048_33
; %bb.32:
	s_barrier
	ds_read_u16 v19, v11
	ds_read_u16 v20, v12 offset:256
	ds_read_u16 v21, v13 offset:512
	;; [unrolled: 1-line block ×7, first 2 shown]
	s_waitcnt lgkmcnt(7)
	global_store_short v[2:3], v19, off
	s_waitcnt lgkmcnt(6)
	global_store_short v[2:3], v20, off offset:256
	s_waitcnt lgkmcnt(5)
	global_store_short v[2:3], v21, off offset:512
	;; [unrolled: 2-line block ×6, first 2 shown]
	s_mov_b64 s[0:1], -1
	s_cbranch_execz .LBB3048_34
	s_branch .LBB3048_43
.LBB3048_33:
	s_mov_b64 s[0:1], 0
                                        ; implicit-def: $vgpr1
.LBB3048_34:
	s_barrier
	s_waitcnt lgkmcnt(0)
	ds_read_u16 v21, v12 offset:256
	ds_read_u16 v20, v13 offset:512
	;; [unrolled: 1-line block ×7, first 2 shown]
	s_sub_i32 s2, s16, s20
	v_cmp_gt_u32_e32 vcc, s2, v0
	s_and_saveexec_b64 s[0:1], vcc
	s_cbranch_execnz .LBB3048_48
; %bb.35:
	s_or_b64 exec, exec, s[0:1]
	v_cmp_gt_u32_e32 vcc, s2, v10
	s_and_saveexec_b64 s[0:1], vcc
	s_cbranch_execnz .LBB3048_49
.LBB3048_36:
	s_or_b64 exec, exec, s[0:1]
	v_cmp_gt_u32_e32 vcc, s2, v9
	s_and_saveexec_b64 s[0:1], vcc
	s_cbranch_execnz .LBB3048_50
.LBB3048_37:
	s_or_b64 exec, exec, s[0:1]
	v_cmp_gt_u32_e32 vcc, s2, v8
	s_and_saveexec_b64 s[0:1], vcc
	s_cbranch_execnz .LBB3048_51
.LBB3048_38:
	s_or_b64 exec, exec, s[0:1]
	v_cmp_gt_u32_e32 vcc, s2, v7
	s_and_saveexec_b64 s[0:1], vcc
	s_cbranch_execnz .LBB3048_52
.LBB3048_39:
	s_or_b64 exec, exec, s[0:1]
	v_cmp_gt_u32_e32 vcc, s2, v6
	s_and_saveexec_b64 s[0:1], vcc
	s_cbranch_execnz .LBB3048_53
.LBB3048_40:
	s_or_b64 exec, exec, s[0:1]
	v_cmp_gt_u32_e32 vcc, s2, v5
	s_and_saveexec_b64 s[0:1], vcc
	s_cbranch_execz .LBB3048_42
.LBB3048_41:
	s_waitcnt lgkmcnt(1)
	global_store_short v[2:3], v12, off offset:1536
.LBB3048_42:
	s_or_b64 exec, exec, s[0:1]
	v_cmp_gt_u32_e64 s[0:1], s2, v4
.LBB3048_43:
	s_and_saveexec_b64 s[2:3], s[0:1]
	s_cbranch_execz .LBB3048_45
; %bb.44:
	s_waitcnt lgkmcnt(0)
	global_store_short v[2:3], v1, off offset:1792
.LBB3048_45:
	s_endpgm
.LBB3048_46:
	v_mov_b32_e32 v2, s7
	v_add_co_u32_e32 v4, vcc, s5, v1
	v_mov_b32_e32 v3, 0
	s_waitcnt vmcnt(0)
	v_addc_co_u32_e32 v5, vcc, 0, v2, vcc
	v_subrev_u32_e32 v2, s17, v0
	v_lshlrev_b64 v[2:3], 1, v[2:3]
	v_mov_b32_e32 v7, s13
	v_add_co_u32_e32 v2, vcc, s12, v2
	v_addc_co_u32_e32 v3, vcc, v7, v3, vcc
	v_cmp_gt_u32_e32 vcc, s17, v0
	v_cndmask_b32_e32 v3, v3, v5, vcc
	v_cndmask_b32_e32 v2, v2, v4, vcc
	global_load_ushort v2, v[2:3], off
	s_or_b64 exec, exec, s[0:1]
	v_cmp_gt_u32_e32 vcc, s6, v8
	s_and_saveexec_b64 s[2:3], vcc
	s_cbranch_execz .LBB3048_8
.LBB3048_47:
	v_mov_b32_e32 v9, 0
	v_lshlrev_b64 v[12:13], 1, v[8:9]
	v_mov_b32_e32 v7, s7
	v_add_co_u32_e32 v10, vcc, s5, v12
	v_addc_co_u32_e32 v7, vcc, v7, v13, vcc
	v_cmp_gt_u32_e32 vcc, s17, v8
	v_subrev_u32_e32 v8, s17, v8
	v_lshlrev_b64 v[8:9], 1, v[8:9]
	v_mov_b32_e32 v12, s13
	v_add_co_u32_e64 v8, s[0:1], s12, v8
	v_addc_co_u32_e64 v9, s[0:1], v12, v9, s[0:1]
	v_cndmask_b32_e32 v9, v9, v7, vcc
	v_cndmask_b32_e32 v8, v8, v10, vcc
	global_load_ushort v7, v[8:9], off
	s_mov_b32 s0, 0x5040100
	s_waitcnt vmcnt(0)
	v_perm_b32 v2, v7, v2, s0
	s_or_b64 exec, exec, s[2:3]
	v_cmp_gt_u32_e32 vcc, s6, v6
	s_and_saveexec_b64 s[0:1], vcc
	s_cbranch_execnz .LBB3048_9
	s_branch .LBB3048_10
.LBB3048_48:
	ds_read_u16 v0, v11
	s_waitcnt lgkmcnt(0)
	global_store_short v[2:3], v0, off
	s_or_b64 exec, exec, s[0:1]
	v_cmp_gt_u32_e32 vcc, s2, v10
	s_and_saveexec_b64 s[0:1], vcc
	s_cbranch_execz .LBB3048_36
.LBB3048_49:
	s_waitcnt lgkmcnt(6)
	global_store_short v[2:3], v21, off offset:256
	s_or_b64 exec, exec, s[0:1]
	v_cmp_gt_u32_e32 vcc, s2, v9
	s_and_saveexec_b64 s[0:1], vcc
	s_cbranch_execz .LBB3048_37
.LBB3048_50:
	s_waitcnt lgkmcnt(5)
	global_store_short v[2:3], v20, off offset:512
	s_or_b64 exec, exec, s[0:1]
	v_cmp_gt_u32_e32 vcc, s2, v8
	s_and_saveexec_b64 s[0:1], vcc
	s_cbranch_execz .LBB3048_38
.LBB3048_51:
	s_waitcnt lgkmcnt(4)
	global_store_short v[2:3], v19, off offset:768
	s_or_b64 exec, exec, s[0:1]
	v_cmp_gt_u32_e32 vcc, s2, v7
	s_and_saveexec_b64 s[0:1], vcc
	s_cbranch_execz .LBB3048_39
.LBB3048_52:
	s_waitcnt lgkmcnt(3)
	global_store_short v[2:3], v14, off offset:1024
	s_or_b64 exec, exec, s[0:1]
	v_cmp_gt_u32_e32 vcc, s2, v6
	s_and_saveexec_b64 s[0:1], vcc
	s_cbranch_execz .LBB3048_40
.LBB3048_53:
	s_waitcnt lgkmcnt(2)
	global_store_short v[2:3], v13, off offset:1280
	s_or_b64 exec, exec, s[0:1]
	v_cmp_gt_u32_e32 vcc, s2, v5
	s_and_saveexec_b64 s[0:1], vcc
	s_cbranch_execnz .LBB3048_41
	s_branch .LBB3048_42
	.section	.rodata,"a",@progbits
	.p2align	6, 0x0
	.amdhsa_kernel _ZN7rocprim17ROCPRIM_400000_NS6detail17trampoline_kernelINS0_14default_configENS1_38merge_sort_block_merge_config_selectorItNS0_10empty_typeEEEZZNS1_27merge_sort_block_merge_implIS3_N6thrust23THRUST_200600_302600_NS6detail15normal_iteratorINS9_10device_ptrItEEEEPS5_m14custom_greaterItEEE10hipError_tT0_T1_T2_jT3_P12ihipStream_tbPNSt15iterator_traitsISJ_E10value_typeEPNSP_ISK_E10value_typeEPSL_NS1_7vsmem_tEENKUlT_SJ_SK_SL_E_clISE_PtSF_SF_EESI_SY_SJ_SK_SL_EUlSY_E0_NS1_11comp_targetILNS1_3genE4ELNS1_11target_archE910ELNS1_3gpuE8ELNS1_3repE0EEENS1_38merge_mergepath_config_static_selectorELNS0_4arch9wavefront6targetE1EEEvSK_
		.amdhsa_group_segment_fixed_size 2112
		.amdhsa_private_segment_fixed_size 0
		.amdhsa_kernarg_size 328
		.amdhsa_user_sgpr_count 6
		.amdhsa_user_sgpr_private_segment_buffer 1
		.amdhsa_user_sgpr_dispatch_ptr 0
		.amdhsa_user_sgpr_queue_ptr 0
		.amdhsa_user_sgpr_kernarg_segment_ptr 1
		.amdhsa_user_sgpr_dispatch_id 0
		.amdhsa_user_sgpr_flat_scratch_init 0
		.amdhsa_user_sgpr_kernarg_preload_length 0
		.amdhsa_user_sgpr_kernarg_preload_offset 0
		.amdhsa_user_sgpr_private_segment_size 0
		.amdhsa_uses_dynamic_stack 0
		.amdhsa_system_sgpr_private_segment_wavefront_offset 0
		.amdhsa_system_sgpr_workgroup_id_x 1
		.amdhsa_system_sgpr_workgroup_id_y 1
		.amdhsa_system_sgpr_workgroup_id_z 1
		.amdhsa_system_sgpr_workgroup_info 0
		.amdhsa_system_vgpr_workitem_id 0
		.amdhsa_next_free_vgpr 26
		.amdhsa_next_free_sgpr 31
		.amdhsa_accum_offset 28
		.amdhsa_reserve_vcc 1
		.amdhsa_reserve_flat_scratch 0
		.amdhsa_float_round_mode_32 0
		.amdhsa_float_round_mode_16_64 0
		.amdhsa_float_denorm_mode_32 3
		.amdhsa_float_denorm_mode_16_64 3
		.amdhsa_dx10_clamp 1
		.amdhsa_ieee_mode 1
		.amdhsa_fp16_overflow 0
		.amdhsa_tg_split 0
		.amdhsa_exception_fp_ieee_invalid_op 0
		.amdhsa_exception_fp_denorm_src 0
		.amdhsa_exception_fp_ieee_div_zero 0
		.amdhsa_exception_fp_ieee_overflow 0
		.amdhsa_exception_fp_ieee_underflow 0
		.amdhsa_exception_fp_ieee_inexact 0
		.amdhsa_exception_int_div_zero 0
	.end_amdhsa_kernel
	.section	.text._ZN7rocprim17ROCPRIM_400000_NS6detail17trampoline_kernelINS0_14default_configENS1_38merge_sort_block_merge_config_selectorItNS0_10empty_typeEEEZZNS1_27merge_sort_block_merge_implIS3_N6thrust23THRUST_200600_302600_NS6detail15normal_iteratorINS9_10device_ptrItEEEEPS5_m14custom_greaterItEEE10hipError_tT0_T1_T2_jT3_P12ihipStream_tbPNSt15iterator_traitsISJ_E10value_typeEPNSP_ISK_E10value_typeEPSL_NS1_7vsmem_tEENKUlT_SJ_SK_SL_E_clISE_PtSF_SF_EESI_SY_SJ_SK_SL_EUlSY_E0_NS1_11comp_targetILNS1_3genE4ELNS1_11target_archE910ELNS1_3gpuE8ELNS1_3repE0EEENS1_38merge_mergepath_config_static_selectorELNS0_4arch9wavefront6targetE1EEEvSK_,"axG",@progbits,_ZN7rocprim17ROCPRIM_400000_NS6detail17trampoline_kernelINS0_14default_configENS1_38merge_sort_block_merge_config_selectorItNS0_10empty_typeEEEZZNS1_27merge_sort_block_merge_implIS3_N6thrust23THRUST_200600_302600_NS6detail15normal_iteratorINS9_10device_ptrItEEEEPS5_m14custom_greaterItEEE10hipError_tT0_T1_T2_jT3_P12ihipStream_tbPNSt15iterator_traitsISJ_E10value_typeEPNSP_ISK_E10value_typeEPSL_NS1_7vsmem_tEENKUlT_SJ_SK_SL_E_clISE_PtSF_SF_EESI_SY_SJ_SK_SL_EUlSY_E0_NS1_11comp_targetILNS1_3genE4ELNS1_11target_archE910ELNS1_3gpuE8ELNS1_3repE0EEENS1_38merge_mergepath_config_static_selectorELNS0_4arch9wavefront6targetE1EEEvSK_,comdat
.Lfunc_end3048:
	.size	_ZN7rocprim17ROCPRIM_400000_NS6detail17trampoline_kernelINS0_14default_configENS1_38merge_sort_block_merge_config_selectorItNS0_10empty_typeEEEZZNS1_27merge_sort_block_merge_implIS3_N6thrust23THRUST_200600_302600_NS6detail15normal_iteratorINS9_10device_ptrItEEEEPS5_m14custom_greaterItEEE10hipError_tT0_T1_T2_jT3_P12ihipStream_tbPNSt15iterator_traitsISJ_E10value_typeEPNSP_ISK_E10value_typeEPSL_NS1_7vsmem_tEENKUlT_SJ_SK_SL_E_clISE_PtSF_SF_EESI_SY_SJ_SK_SL_EUlSY_E0_NS1_11comp_targetILNS1_3genE4ELNS1_11target_archE910ELNS1_3gpuE8ELNS1_3repE0EEENS1_38merge_mergepath_config_static_selectorELNS0_4arch9wavefront6targetE1EEEvSK_, .Lfunc_end3048-_ZN7rocprim17ROCPRIM_400000_NS6detail17trampoline_kernelINS0_14default_configENS1_38merge_sort_block_merge_config_selectorItNS0_10empty_typeEEEZZNS1_27merge_sort_block_merge_implIS3_N6thrust23THRUST_200600_302600_NS6detail15normal_iteratorINS9_10device_ptrItEEEEPS5_m14custom_greaterItEEE10hipError_tT0_T1_T2_jT3_P12ihipStream_tbPNSt15iterator_traitsISJ_E10value_typeEPNSP_ISK_E10value_typeEPSL_NS1_7vsmem_tEENKUlT_SJ_SK_SL_E_clISE_PtSF_SF_EESI_SY_SJ_SK_SL_EUlSY_E0_NS1_11comp_targetILNS1_3genE4ELNS1_11target_archE910ELNS1_3gpuE8ELNS1_3repE0EEENS1_38merge_mergepath_config_static_selectorELNS0_4arch9wavefront6targetE1EEEvSK_
                                        ; -- End function
	.section	.AMDGPU.csdata,"",@progbits
; Kernel info:
; codeLenInByte = 3860
; NumSgprs: 35
; NumVgprs: 26
; NumAgprs: 0
; TotalNumVgprs: 26
; ScratchSize: 0
; MemoryBound: 0
; FloatMode: 240
; IeeeMode: 1
; LDSByteSize: 2112 bytes/workgroup (compile time only)
; SGPRBlocks: 4
; VGPRBlocks: 3
; NumSGPRsForWavesPerEU: 35
; NumVGPRsForWavesPerEU: 26
; AccumOffset: 28
; Occupancy: 8
; WaveLimiterHint : 1
; COMPUTE_PGM_RSRC2:SCRATCH_EN: 0
; COMPUTE_PGM_RSRC2:USER_SGPR: 6
; COMPUTE_PGM_RSRC2:TRAP_HANDLER: 0
; COMPUTE_PGM_RSRC2:TGID_X_EN: 1
; COMPUTE_PGM_RSRC2:TGID_Y_EN: 1
; COMPUTE_PGM_RSRC2:TGID_Z_EN: 1
; COMPUTE_PGM_RSRC2:TIDIG_COMP_CNT: 0
; COMPUTE_PGM_RSRC3_GFX90A:ACCUM_OFFSET: 6
; COMPUTE_PGM_RSRC3_GFX90A:TG_SPLIT: 0
	.section	.text._ZN7rocprim17ROCPRIM_400000_NS6detail17trampoline_kernelINS0_14default_configENS1_38merge_sort_block_merge_config_selectorItNS0_10empty_typeEEEZZNS1_27merge_sort_block_merge_implIS3_N6thrust23THRUST_200600_302600_NS6detail15normal_iteratorINS9_10device_ptrItEEEEPS5_m14custom_greaterItEEE10hipError_tT0_T1_T2_jT3_P12ihipStream_tbPNSt15iterator_traitsISJ_E10value_typeEPNSP_ISK_E10value_typeEPSL_NS1_7vsmem_tEENKUlT_SJ_SK_SL_E_clISE_PtSF_SF_EESI_SY_SJ_SK_SL_EUlSY_E0_NS1_11comp_targetILNS1_3genE3ELNS1_11target_archE908ELNS1_3gpuE7ELNS1_3repE0EEENS1_38merge_mergepath_config_static_selectorELNS0_4arch9wavefront6targetE1EEEvSK_,"axG",@progbits,_ZN7rocprim17ROCPRIM_400000_NS6detail17trampoline_kernelINS0_14default_configENS1_38merge_sort_block_merge_config_selectorItNS0_10empty_typeEEEZZNS1_27merge_sort_block_merge_implIS3_N6thrust23THRUST_200600_302600_NS6detail15normal_iteratorINS9_10device_ptrItEEEEPS5_m14custom_greaterItEEE10hipError_tT0_T1_T2_jT3_P12ihipStream_tbPNSt15iterator_traitsISJ_E10value_typeEPNSP_ISK_E10value_typeEPSL_NS1_7vsmem_tEENKUlT_SJ_SK_SL_E_clISE_PtSF_SF_EESI_SY_SJ_SK_SL_EUlSY_E0_NS1_11comp_targetILNS1_3genE3ELNS1_11target_archE908ELNS1_3gpuE7ELNS1_3repE0EEENS1_38merge_mergepath_config_static_selectorELNS0_4arch9wavefront6targetE1EEEvSK_,comdat
	.protected	_ZN7rocprim17ROCPRIM_400000_NS6detail17trampoline_kernelINS0_14default_configENS1_38merge_sort_block_merge_config_selectorItNS0_10empty_typeEEEZZNS1_27merge_sort_block_merge_implIS3_N6thrust23THRUST_200600_302600_NS6detail15normal_iteratorINS9_10device_ptrItEEEEPS5_m14custom_greaterItEEE10hipError_tT0_T1_T2_jT3_P12ihipStream_tbPNSt15iterator_traitsISJ_E10value_typeEPNSP_ISK_E10value_typeEPSL_NS1_7vsmem_tEENKUlT_SJ_SK_SL_E_clISE_PtSF_SF_EESI_SY_SJ_SK_SL_EUlSY_E0_NS1_11comp_targetILNS1_3genE3ELNS1_11target_archE908ELNS1_3gpuE7ELNS1_3repE0EEENS1_38merge_mergepath_config_static_selectorELNS0_4arch9wavefront6targetE1EEEvSK_ ; -- Begin function _ZN7rocprim17ROCPRIM_400000_NS6detail17trampoline_kernelINS0_14default_configENS1_38merge_sort_block_merge_config_selectorItNS0_10empty_typeEEEZZNS1_27merge_sort_block_merge_implIS3_N6thrust23THRUST_200600_302600_NS6detail15normal_iteratorINS9_10device_ptrItEEEEPS5_m14custom_greaterItEEE10hipError_tT0_T1_T2_jT3_P12ihipStream_tbPNSt15iterator_traitsISJ_E10value_typeEPNSP_ISK_E10value_typeEPSL_NS1_7vsmem_tEENKUlT_SJ_SK_SL_E_clISE_PtSF_SF_EESI_SY_SJ_SK_SL_EUlSY_E0_NS1_11comp_targetILNS1_3genE3ELNS1_11target_archE908ELNS1_3gpuE7ELNS1_3repE0EEENS1_38merge_mergepath_config_static_selectorELNS0_4arch9wavefront6targetE1EEEvSK_
	.globl	_ZN7rocprim17ROCPRIM_400000_NS6detail17trampoline_kernelINS0_14default_configENS1_38merge_sort_block_merge_config_selectorItNS0_10empty_typeEEEZZNS1_27merge_sort_block_merge_implIS3_N6thrust23THRUST_200600_302600_NS6detail15normal_iteratorINS9_10device_ptrItEEEEPS5_m14custom_greaterItEEE10hipError_tT0_T1_T2_jT3_P12ihipStream_tbPNSt15iterator_traitsISJ_E10value_typeEPNSP_ISK_E10value_typeEPSL_NS1_7vsmem_tEENKUlT_SJ_SK_SL_E_clISE_PtSF_SF_EESI_SY_SJ_SK_SL_EUlSY_E0_NS1_11comp_targetILNS1_3genE3ELNS1_11target_archE908ELNS1_3gpuE7ELNS1_3repE0EEENS1_38merge_mergepath_config_static_selectorELNS0_4arch9wavefront6targetE1EEEvSK_
	.p2align	8
	.type	_ZN7rocprim17ROCPRIM_400000_NS6detail17trampoline_kernelINS0_14default_configENS1_38merge_sort_block_merge_config_selectorItNS0_10empty_typeEEEZZNS1_27merge_sort_block_merge_implIS3_N6thrust23THRUST_200600_302600_NS6detail15normal_iteratorINS9_10device_ptrItEEEEPS5_m14custom_greaterItEEE10hipError_tT0_T1_T2_jT3_P12ihipStream_tbPNSt15iterator_traitsISJ_E10value_typeEPNSP_ISK_E10value_typeEPSL_NS1_7vsmem_tEENKUlT_SJ_SK_SL_E_clISE_PtSF_SF_EESI_SY_SJ_SK_SL_EUlSY_E0_NS1_11comp_targetILNS1_3genE3ELNS1_11target_archE908ELNS1_3gpuE7ELNS1_3repE0EEENS1_38merge_mergepath_config_static_selectorELNS0_4arch9wavefront6targetE1EEEvSK_,@function
_ZN7rocprim17ROCPRIM_400000_NS6detail17trampoline_kernelINS0_14default_configENS1_38merge_sort_block_merge_config_selectorItNS0_10empty_typeEEEZZNS1_27merge_sort_block_merge_implIS3_N6thrust23THRUST_200600_302600_NS6detail15normal_iteratorINS9_10device_ptrItEEEEPS5_m14custom_greaterItEEE10hipError_tT0_T1_T2_jT3_P12ihipStream_tbPNSt15iterator_traitsISJ_E10value_typeEPNSP_ISK_E10value_typeEPSL_NS1_7vsmem_tEENKUlT_SJ_SK_SL_E_clISE_PtSF_SF_EESI_SY_SJ_SK_SL_EUlSY_E0_NS1_11comp_targetILNS1_3genE3ELNS1_11target_archE908ELNS1_3gpuE7ELNS1_3repE0EEENS1_38merge_mergepath_config_static_selectorELNS0_4arch9wavefront6targetE1EEEvSK_: ; @_ZN7rocprim17ROCPRIM_400000_NS6detail17trampoline_kernelINS0_14default_configENS1_38merge_sort_block_merge_config_selectorItNS0_10empty_typeEEEZZNS1_27merge_sort_block_merge_implIS3_N6thrust23THRUST_200600_302600_NS6detail15normal_iteratorINS9_10device_ptrItEEEEPS5_m14custom_greaterItEEE10hipError_tT0_T1_T2_jT3_P12ihipStream_tbPNSt15iterator_traitsISJ_E10value_typeEPNSP_ISK_E10value_typeEPSL_NS1_7vsmem_tEENKUlT_SJ_SK_SL_E_clISE_PtSF_SF_EESI_SY_SJ_SK_SL_EUlSY_E0_NS1_11comp_targetILNS1_3genE3ELNS1_11target_archE908ELNS1_3gpuE7ELNS1_3repE0EEENS1_38merge_mergepath_config_static_selectorELNS0_4arch9wavefront6targetE1EEEvSK_
; %bb.0:
	.section	.rodata,"a",@progbits
	.p2align	6, 0x0
	.amdhsa_kernel _ZN7rocprim17ROCPRIM_400000_NS6detail17trampoline_kernelINS0_14default_configENS1_38merge_sort_block_merge_config_selectorItNS0_10empty_typeEEEZZNS1_27merge_sort_block_merge_implIS3_N6thrust23THRUST_200600_302600_NS6detail15normal_iteratorINS9_10device_ptrItEEEEPS5_m14custom_greaterItEEE10hipError_tT0_T1_T2_jT3_P12ihipStream_tbPNSt15iterator_traitsISJ_E10value_typeEPNSP_ISK_E10value_typeEPSL_NS1_7vsmem_tEENKUlT_SJ_SK_SL_E_clISE_PtSF_SF_EESI_SY_SJ_SK_SL_EUlSY_E0_NS1_11comp_targetILNS1_3genE3ELNS1_11target_archE908ELNS1_3gpuE7ELNS1_3repE0EEENS1_38merge_mergepath_config_static_selectorELNS0_4arch9wavefront6targetE1EEEvSK_
		.amdhsa_group_segment_fixed_size 0
		.amdhsa_private_segment_fixed_size 0
		.amdhsa_kernarg_size 72
		.amdhsa_user_sgpr_count 6
		.amdhsa_user_sgpr_private_segment_buffer 1
		.amdhsa_user_sgpr_dispatch_ptr 0
		.amdhsa_user_sgpr_queue_ptr 0
		.amdhsa_user_sgpr_kernarg_segment_ptr 1
		.amdhsa_user_sgpr_dispatch_id 0
		.amdhsa_user_sgpr_flat_scratch_init 0
		.amdhsa_user_sgpr_kernarg_preload_length 0
		.amdhsa_user_sgpr_kernarg_preload_offset 0
		.amdhsa_user_sgpr_private_segment_size 0
		.amdhsa_uses_dynamic_stack 0
		.amdhsa_system_sgpr_private_segment_wavefront_offset 0
		.amdhsa_system_sgpr_workgroup_id_x 1
		.amdhsa_system_sgpr_workgroup_id_y 0
		.amdhsa_system_sgpr_workgroup_id_z 0
		.amdhsa_system_sgpr_workgroup_info 0
		.amdhsa_system_vgpr_workitem_id 0
		.amdhsa_next_free_vgpr 1
		.amdhsa_next_free_sgpr 0
		.amdhsa_accum_offset 4
		.amdhsa_reserve_vcc 0
		.amdhsa_reserve_flat_scratch 0
		.amdhsa_float_round_mode_32 0
		.amdhsa_float_round_mode_16_64 0
		.amdhsa_float_denorm_mode_32 3
		.amdhsa_float_denorm_mode_16_64 3
		.amdhsa_dx10_clamp 1
		.amdhsa_ieee_mode 1
		.amdhsa_fp16_overflow 0
		.amdhsa_tg_split 0
		.amdhsa_exception_fp_ieee_invalid_op 0
		.amdhsa_exception_fp_denorm_src 0
		.amdhsa_exception_fp_ieee_div_zero 0
		.amdhsa_exception_fp_ieee_overflow 0
		.amdhsa_exception_fp_ieee_underflow 0
		.amdhsa_exception_fp_ieee_inexact 0
		.amdhsa_exception_int_div_zero 0
	.end_amdhsa_kernel
	.section	.text._ZN7rocprim17ROCPRIM_400000_NS6detail17trampoline_kernelINS0_14default_configENS1_38merge_sort_block_merge_config_selectorItNS0_10empty_typeEEEZZNS1_27merge_sort_block_merge_implIS3_N6thrust23THRUST_200600_302600_NS6detail15normal_iteratorINS9_10device_ptrItEEEEPS5_m14custom_greaterItEEE10hipError_tT0_T1_T2_jT3_P12ihipStream_tbPNSt15iterator_traitsISJ_E10value_typeEPNSP_ISK_E10value_typeEPSL_NS1_7vsmem_tEENKUlT_SJ_SK_SL_E_clISE_PtSF_SF_EESI_SY_SJ_SK_SL_EUlSY_E0_NS1_11comp_targetILNS1_3genE3ELNS1_11target_archE908ELNS1_3gpuE7ELNS1_3repE0EEENS1_38merge_mergepath_config_static_selectorELNS0_4arch9wavefront6targetE1EEEvSK_,"axG",@progbits,_ZN7rocprim17ROCPRIM_400000_NS6detail17trampoline_kernelINS0_14default_configENS1_38merge_sort_block_merge_config_selectorItNS0_10empty_typeEEEZZNS1_27merge_sort_block_merge_implIS3_N6thrust23THRUST_200600_302600_NS6detail15normal_iteratorINS9_10device_ptrItEEEEPS5_m14custom_greaterItEEE10hipError_tT0_T1_T2_jT3_P12ihipStream_tbPNSt15iterator_traitsISJ_E10value_typeEPNSP_ISK_E10value_typeEPSL_NS1_7vsmem_tEENKUlT_SJ_SK_SL_E_clISE_PtSF_SF_EESI_SY_SJ_SK_SL_EUlSY_E0_NS1_11comp_targetILNS1_3genE3ELNS1_11target_archE908ELNS1_3gpuE7ELNS1_3repE0EEENS1_38merge_mergepath_config_static_selectorELNS0_4arch9wavefront6targetE1EEEvSK_,comdat
.Lfunc_end3049:
	.size	_ZN7rocprim17ROCPRIM_400000_NS6detail17trampoline_kernelINS0_14default_configENS1_38merge_sort_block_merge_config_selectorItNS0_10empty_typeEEEZZNS1_27merge_sort_block_merge_implIS3_N6thrust23THRUST_200600_302600_NS6detail15normal_iteratorINS9_10device_ptrItEEEEPS5_m14custom_greaterItEEE10hipError_tT0_T1_T2_jT3_P12ihipStream_tbPNSt15iterator_traitsISJ_E10value_typeEPNSP_ISK_E10value_typeEPSL_NS1_7vsmem_tEENKUlT_SJ_SK_SL_E_clISE_PtSF_SF_EESI_SY_SJ_SK_SL_EUlSY_E0_NS1_11comp_targetILNS1_3genE3ELNS1_11target_archE908ELNS1_3gpuE7ELNS1_3repE0EEENS1_38merge_mergepath_config_static_selectorELNS0_4arch9wavefront6targetE1EEEvSK_, .Lfunc_end3049-_ZN7rocprim17ROCPRIM_400000_NS6detail17trampoline_kernelINS0_14default_configENS1_38merge_sort_block_merge_config_selectorItNS0_10empty_typeEEEZZNS1_27merge_sort_block_merge_implIS3_N6thrust23THRUST_200600_302600_NS6detail15normal_iteratorINS9_10device_ptrItEEEEPS5_m14custom_greaterItEEE10hipError_tT0_T1_T2_jT3_P12ihipStream_tbPNSt15iterator_traitsISJ_E10value_typeEPNSP_ISK_E10value_typeEPSL_NS1_7vsmem_tEENKUlT_SJ_SK_SL_E_clISE_PtSF_SF_EESI_SY_SJ_SK_SL_EUlSY_E0_NS1_11comp_targetILNS1_3genE3ELNS1_11target_archE908ELNS1_3gpuE7ELNS1_3repE0EEENS1_38merge_mergepath_config_static_selectorELNS0_4arch9wavefront6targetE1EEEvSK_
                                        ; -- End function
	.section	.AMDGPU.csdata,"",@progbits
; Kernel info:
; codeLenInByte = 0
; NumSgprs: 4
; NumVgprs: 0
; NumAgprs: 0
; TotalNumVgprs: 0
; ScratchSize: 0
; MemoryBound: 0
; FloatMode: 240
; IeeeMode: 1
; LDSByteSize: 0 bytes/workgroup (compile time only)
; SGPRBlocks: 0
; VGPRBlocks: 0
; NumSGPRsForWavesPerEU: 4
; NumVGPRsForWavesPerEU: 1
; AccumOffset: 4
; Occupancy: 8
; WaveLimiterHint : 0
; COMPUTE_PGM_RSRC2:SCRATCH_EN: 0
; COMPUTE_PGM_RSRC2:USER_SGPR: 6
; COMPUTE_PGM_RSRC2:TRAP_HANDLER: 0
; COMPUTE_PGM_RSRC2:TGID_X_EN: 1
; COMPUTE_PGM_RSRC2:TGID_Y_EN: 0
; COMPUTE_PGM_RSRC2:TGID_Z_EN: 0
; COMPUTE_PGM_RSRC2:TIDIG_COMP_CNT: 0
; COMPUTE_PGM_RSRC3_GFX90A:ACCUM_OFFSET: 0
; COMPUTE_PGM_RSRC3_GFX90A:TG_SPLIT: 0
	.section	.text._ZN7rocprim17ROCPRIM_400000_NS6detail17trampoline_kernelINS0_14default_configENS1_38merge_sort_block_merge_config_selectorItNS0_10empty_typeEEEZZNS1_27merge_sort_block_merge_implIS3_N6thrust23THRUST_200600_302600_NS6detail15normal_iteratorINS9_10device_ptrItEEEEPS5_m14custom_greaterItEEE10hipError_tT0_T1_T2_jT3_P12ihipStream_tbPNSt15iterator_traitsISJ_E10value_typeEPNSP_ISK_E10value_typeEPSL_NS1_7vsmem_tEENKUlT_SJ_SK_SL_E_clISE_PtSF_SF_EESI_SY_SJ_SK_SL_EUlSY_E0_NS1_11comp_targetILNS1_3genE2ELNS1_11target_archE906ELNS1_3gpuE6ELNS1_3repE0EEENS1_38merge_mergepath_config_static_selectorELNS0_4arch9wavefront6targetE1EEEvSK_,"axG",@progbits,_ZN7rocprim17ROCPRIM_400000_NS6detail17trampoline_kernelINS0_14default_configENS1_38merge_sort_block_merge_config_selectorItNS0_10empty_typeEEEZZNS1_27merge_sort_block_merge_implIS3_N6thrust23THRUST_200600_302600_NS6detail15normal_iteratorINS9_10device_ptrItEEEEPS5_m14custom_greaterItEEE10hipError_tT0_T1_T2_jT3_P12ihipStream_tbPNSt15iterator_traitsISJ_E10value_typeEPNSP_ISK_E10value_typeEPSL_NS1_7vsmem_tEENKUlT_SJ_SK_SL_E_clISE_PtSF_SF_EESI_SY_SJ_SK_SL_EUlSY_E0_NS1_11comp_targetILNS1_3genE2ELNS1_11target_archE906ELNS1_3gpuE6ELNS1_3repE0EEENS1_38merge_mergepath_config_static_selectorELNS0_4arch9wavefront6targetE1EEEvSK_,comdat
	.protected	_ZN7rocprim17ROCPRIM_400000_NS6detail17trampoline_kernelINS0_14default_configENS1_38merge_sort_block_merge_config_selectorItNS0_10empty_typeEEEZZNS1_27merge_sort_block_merge_implIS3_N6thrust23THRUST_200600_302600_NS6detail15normal_iteratorINS9_10device_ptrItEEEEPS5_m14custom_greaterItEEE10hipError_tT0_T1_T2_jT3_P12ihipStream_tbPNSt15iterator_traitsISJ_E10value_typeEPNSP_ISK_E10value_typeEPSL_NS1_7vsmem_tEENKUlT_SJ_SK_SL_E_clISE_PtSF_SF_EESI_SY_SJ_SK_SL_EUlSY_E0_NS1_11comp_targetILNS1_3genE2ELNS1_11target_archE906ELNS1_3gpuE6ELNS1_3repE0EEENS1_38merge_mergepath_config_static_selectorELNS0_4arch9wavefront6targetE1EEEvSK_ ; -- Begin function _ZN7rocprim17ROCPRIM_400000_NS6detail17trampoline_kernelINS0_14default_configENS1_38merge_sort_block_merge_config_selectorItNS0_10empty_typeEEEZZNS1_27merge_sort_block_merge_implIS3_N6thrust23THRUST_200600_302600_NS6detail15normal_iteratorINS9_10device_ptrItEEEEPS5_m14custom_greaterItEEE10hipError_tT0_T1_T2_jT3_P12ihipStream_tbPNSt15iterator_traitsISJ_E10value_typeEPNSP_ISK_E10value_typeEPSL_NS1_7vsmem_tEENKUlT_SJ_SK_SL_E_clISE_PtSF_SF_EESI_SY_SJ_SK_SL_EUlSY_E0_NS1_11comp_targetILNS1_3genE2ELNS1_11target_archE906ELNS1_3gpuE6ELNS1_3repE0EEENS1_38merge_mergepath_config_static_selectorELNS0_4arch9wavefront6targetE1EEEvSK_
	.globl	_ZN7rocprim17ROCPRIM_400000_NS6detail17trampoline_kernelINS0_14default_configENS1_38merge_sort_block_merge_config_selectorItNS0_10empty_typeEEEZZNS1_27merge_sort_block_merge_implIS3_N6thrust23THRUST_200600_302600_NS6detail15normal_iteratorINS9_10device_ptrItEEEEPS5_m14custom_greaterItEEE10hipError_tT0_T1_T2_jT3_P12ihipStream_tbPNSt15iterator_traitsISJ_E10value_typeEPNSP_ISK_E10value_typeEPSL_NS1_7vsmem_tEENKUlT_SJ_SK_SL_E_clISE_PtSF_SF_EESI_SY_SJ_SK_SL_EUlSY_E0_NS1_11comp_targetILNS1_3genE2ELNS1_11target_archE906ELNS1_3gpuE6ELNS1_3repE0EEENS1_38merge_mergepath_config_static_selectorELNS0_4arch9wavefront6targetE1EEEvSK_
	.p2align	8
	.type	_ZN7rocprim17ROCPRIM_400000_NS6detail17trampoline_kernelINS0_14default_configENS1_38merge_sort_block_merge_config_selectorItNS0_10empty_typeEEEZZNS1_27merge_sort_block_merge_implIS3_N6thrust23THRUST_200600_302600_NS6detail15normal_iteratorINS9_10device_ptrItEEEEPS5_m14custom_greaterItEEE10hipError_tT0_T1_T2_jT3_P12ihipStream_tbPNSt15iterator_traitsISJ_E10value_typeEPNSP_ISK_E10value_typeEPSL_NS1_7vsmem_tEENKUlT_SJ_SK_SL_E_clISE_PtSF_SF_EESI_SY_SJ_SK_SL_EUlSY_E0_NS1_11comp_targetILNS1_3genE2ELNS1_11target_archE906ELNS1_3gpuE6ELNS1_3repE0EEENS1_38merge_mergepath_config_static_selectorELNS0_4arch9wavefront6targetE1EEEvSK_,@function
_ZN7rocprim17ROCPRIM_400000_NS6detail17trampoline_kernelINS0_14default_configENS1_38merge_sort_block_merge_config_selectorItNS0_10empty_typeEEEZZNS1_27merge_sort_block_merge_implIS3_N6thrust23THRUST_200600_302600_NS6detail15normal_iteratorINS9_10device_ptrItEEEEPS5_m14custom_greaterItEEE10hipError_tT0_T1_T2_jT3_P12ihipStream_tbPNSt15iterator_traitsISJ_E10value_typeEPNSP_ISK_E10value_typeEPSL_NS1_7vsmem_tEENKUlT_SJ_SK_SL_E_clISE_PtSF_SF_EESI_SY_SJ_SK_SL_EUlSY_E0_NS1_11comp_targetILNS1_3genE2ELNS1_11target_archE906ELNS1_3gpuE6ELNS1_3repE0EEENS1_38merge_mergepath_config_static_selectorELNS0_4arch9wavefront6targetE1EEEvSK_: ; @_ZN7rocprim17ROCPRIM_400000_NS6detail17trampoline_kernelINS0_14default_configENS1_38merge_sort_block_merge_config_selectorItNS0_10empty_typeEEEZZNS1_27merge_sort_block_merge_implIS3_N6thrust23THRUST_200600_302600_NS6detail15normal_iteratorINS9_10device_ptrItEEEEPS5_m14custom_greaterItEEE10hipError_tT0_T1_T2_jT3_P12ihipStream_tbPNSt15iterator_traitsISJ_E10value_typeEPNSP_ISK_E10value_typeEPSL_NS1_7vsmem_tEENKUlT_SJ_SK_SL_E_clISE_PtSF_SF_EESI_SY_SJ_SK_SL_EUlSY_E0_NS1_11comp_targetILNS1_3genE2ELNS1_11target_archE906ELNS1_3gpuE6ELNS1_3repE0EEENS1_38merge_mergepath_config_static_selectorELNS0_4arch9wavefront6targetE1EEEvSK_
; %bb.0:
	.section	.rodata,"a",@progbits
	.p2align	6, 0x0
	.amdhsa_kernel _ZN7rocprim17ROCPRIM_400000_NS6detail17trampoline_kernelINS0_14default_configENS1_38merge_sort_block_merge_config_selectorItNS0_10empty_typeEEEZZNS1_27merge_sort_block_merge_implIS3_N6thrust23THRUST_200600_302600_NS6detail15normal_iteratorINS9_10device_ptrItEEEEPS5_m14custom_greaterItEEE10hipError_tT0_T1_T2_jT3_P12ihipStream_tbPNSt15iterator_traitsISJ_E10value_typeEPNSP_ISK_E10value_typeEPSL_NS1_7vsmem_tEENKUlT_SJ_SK_SL_E_clISE_PtSF_SF_EESI_SY_SJ_SK_SL_EUlSY_E0_NS1_11comp_targetILNS1_3genE2ELNS1_11target_archE906ELNS1_3gpuE6ELNS1_3repE0EEENS1_38merge_mergepath_config_static_selectorELNS0_4arch9wavefront6targetE1EEEvSK_
		.amdhsa_group_segment_fixed_size 0
		.amdhsa_private_segment_fixed_size 0
		.amdhsa_kernarg_size 72
		.amdhsa_user_sgpr_count 6
		.amdhsa_user_sgpr_private_segment_buffer 1
		.amdhsa_user_sgpr_dispatch_ptr 0
		.amdhsa_user_sgpr_queue_ptr 0
		.amdhsa_user_sgpr_kernarg_segment_ptr 1
		.amdhsa_user_sgpr_dispatch_id 0
		.amdhsa_user_sgpr_flat_scratch_init 0
		.amdhsa_user_sgpr_kernarg_preload_length 0
		.amdhsa_user_sgpr_kernarg_preload_offset 0
		.amdhsa_user_sgpr_private_segment_size 0
		.amdhsa_uses_dynamic_stack 0
		.amdhsa_system_sgpr_private_segment_wavefront_offset 0
		.amdhsa_system_sgpr_workgroup_id_x 1
		.amdhsa_system_sgpr_workgroup_id_y 0
		.amdhsa_system_sgpr_workgroup_id_z 0
		.amdhsa_system_sgpr_workgroup_info 0
		.amdhsa_system_vgpr_workitem_id 0
		.amdhsa_next_free_vgpr 1
		.amdhsa_next_free_sgpr 0
		.amdhsa_accum_offset 4
		.amdhsa_reserve_vcc 0
		.amdhsa_reserve_flat_scratch 0
		.amdhsa_float_round_mode_32 0
		.amdhsa_float_round_mode_16_64 0
		.amdhsa_float_denorm_mode_32 3
		.amdhsa_float_denorm_mode_16_64 3
		.amdhsa_dx10_clamp 1
		.amdhsa_ieee_mode 1
		.amdhsa_fp16_overflow 0
		.amdhsa_tg_split 0
		.amdhsa_exception_fp_ieee_invalid_op 0
		.amdhsa_exception_fp_denorm_src 0
		.amdhsa_exception_fp_ieee_div_zero 0
		.amdhsa_exception_fp_ieee_overflow 0
		.amdhsa_exception_fp_ieee_underflow 0
		.amdhsa_exception_fp_ieee_inexact 0
		.amdhsa_exception_int_div_zero 0
	.end_amdhsa_kernel
	.section	.text._ZN7rocprim17ROCPRIM_400000_NS6detail17trampoline_kernelINS0_14default_configENS1_38merge_sort_block_merge_config_selectorItNS0_10empty_typeEEEZZNS1_27merge_sort_block_merge_implIS3_N6thrust23THRUST_200600_302600_NS6detail15normal_iteratorINS9_10device_ptrItEEEEPS5_m14custom_greaterItEEE10hipError_tT0_T1_T2_jT3_P12ihipStream_tbPNSt15iterator_traitsISJ_E10value_typeEPNSP_ISK_E10value_typeEPSL_NS1_7vsmem_tEENKUlT_SJ_SK_SL_E_clISE_PtSF_SF_EESI_SY_SJ_SK_SL_EUlSY_E0_NS1_11comp_targetILNS1_3genE2ELNS1_11target_archE906ELNS1_3gpuE6ELNS1_3repE0EEENS1_38merge_mergepath_config_static_selectorELNS0_4arch9wavefront6targetE1EEEvSK_,"axG",@progbits,_ZN7rocprim17ROCPRIM_400000_NS6detail17trampoline_kernelINS0_14default_configENS1_38merge_sort_block_merge_config_selectorItNS0_10empty_typeEEEZZNS1_27merge_sort_block_merge_implIS3_N6thrust23THRUST_200600_302600_NS6detail15normal_iteratorINS9_10device_ptrItEEEEPS5_m14custom_greaterItEEE10hipError_tT0_T1_T2_jT3_P12ihipStream_tbPNSt15iterator_traitsISJ_E10value_typeEPNSP_ISK_E10value_typeEPSL_NS1_7vsmem_tEENKUlT_SJ_SK_SL_E_clISE_PtSF_SF_EESI_SY_SJ_SK_SL_EUlSY_E0_NS1_11comp_targetILNS1_3genE2ELNS1_11target_archE906ELNS1_3gpuE6ELNS1_3repE0EEENS1_38merge_mergepath_config_static_selectorELNS0_4arch9wavefront6targetE1EEEvSK_,comdat
.Lfunc_end3050:
	.size	_ZN7rocprim17ROCPRIM_400000_NS6detail17trampoline_kernelINS0_14default_configENS1_38merge_sort_block_merge_config_selectorItNS0_10empty_typeEEEZZNS1_27merge_sort_block_merge_implIS3_N6thrust23THRUST_200600_302600_NS6detail15normal_iteratorINS9_10device_ptrItEEEEPS5_m14custom_greaterItEEE10hipError_tT0_T1_T2_jT3_P12ihipStream_tbPNSt15iterator_traitsISJ_E10value_typeEPNSP_ISK_E10value_typeEPSL_NS1_7vsmem_tEENKUlT_SJ_SK_SL_E_clISE_PtSF_SF_EESI_SY_SJ_SK_SL_EUlSY_E0_NS1_11comp_targetILNS1_3genE2ELNS1_11target_archE906ELNS1_3gpuE6ELNS1_3repE0EEENS1_38merge_mergepath_config_static_selectorELNS0_4arch9wavefront6targetE1EEEvSK_, .Lfunc_end3050-_ZN7rocprim17ROCPRIM_400000_NS6detail17trampoline_kernelINS0_14default_configENS1_38merge_sort_block_merge_config_selectorItNS0_10empty_typeEEEZZNS1_27merge_sort_block_merge_implIS3_N6thrust23THRUST_200600_302600_NS6detail15normal_iteratorINS9_10device_ptrItEEEEPS5_m14custom_greaterItEEE10hipError_tT0_T1_T2_jT3_P12ihipStream_tbPNSt15iterator_traitsISJ_E10value_typeEPNSP_ISK_E10value_typeEPSL_NS1_7vsmem_tEENKUlT_SJ_SK_SL_E_clISE_PtSF_SF_EESI_SY_SJ_SK_SL_EUlSY_E0_NS1_11comp_targetILNS1_3genE2ELNS1_11target_archE906ELNS1_3gpuE6ELNS1_3repE0EEENS1_38merge_mergepath_config_static_selectorELNS0_4arch9wavefront6targetE1EEEvSK_
                                        ; -- End function
	.section	.AMDGPU.csdata,"",@progbits
; Kernel info:
; codeLenInByte = 0
; NumSgprs: 4
; NumVgprs: 0
; NumAgprs: 0
; TotalNumVgprs: 0
; ScratchSize: 0
; MemoryBound: 0
; FloatMode: 240
; IeeeMode: 1
; LDSByteSize: 0 bytes/workgroup (compile time only)
; SGPRBlocks: 0
; VGPRBlocks: 0
; NumSGPRsForWavesPerEU: 4
; NumVGPRsForWavesPerEU: 1
; AccumOffset: 4
; Occupancy: 8
; WaveLimiterHint : 0
; COMPUTE_PGM_RSRC2:SCRATCH_EN: 0
; COMPUTE_PGM_RSRC2:USER_SGPR: 6
; COMPUTE_PGM_RSRC2:TRAP_HANDLER: 0
; COMPUTE_PGM_RSRC2:TGID_X_EN: 1
; COMPUTE_PGM_RSRC2:TGID_Y_EN: 0
; COMPUTE_PGM_RSRC2:TGID_Z_EN: 0
; COMPUTE_PGM_RSRC2:TIDIG_COMP_CNT: 0
; COMPUTE_PGM_RSRC3_GFX90A:ACCUM_OFFSET: 0
; COMPUTE_PGM_RSRC3_GFX90A:TG_SPLIT: 0
	.section	.text._ZN7rocprim17ROCPRIM_400000_NS6detail17trampoline_kernelINS0_14default_configENS1_38merge_sort_block_merge_config_selectorItNS0_10empty_typeEEEZZNS1_27merge_sort_block_merge_implIS3_N6thrust23THRUST_200600_302600_NS6detail15normal_iteratorINS9_10device_ptrItEEEEPS5_m14custom_greaterItEEE10hipError_tT0_T1_T2_jT3_P12ihipStream_tbPNSt15iterator_traitsISJ_E10value_typeEPNSP_ISK_E10value_typeEPSL_NS1_7vsmem_tEENKUlT_SJ_SK_SL_E_clISE_PtSF_SF_EESI_SY_SJ_SK_SL_EUlSY_E0_NS1_11comp_targetILNS1_3genE9ELNS1_11target_archE1100ELNS1_3gpuE3ELNS1_3repE0EEENS1_38merge_mergepath_config_static_selectorELNS0_4arch9wavefront6targetE1EEEvSK_,"axG",@progbits,_ZN7rocprim17ROCPRIM_400000_NS6detail17trampoline_kernelINS0_14default_configENS1_38merge_sort_block_merge_config_selectorItNS0_10empty_typeEEEZZNS1_27merge_sort_block_merge_implIS3_N6thrust23THRUST_200600_302600_NS6detail15normal_iteratorINS9_10device_ptrItEEEEPS5_m14custom_greaterItEEE10hipError_tT0_T1_T2_jT3_P12ihipStream_tbPNSt15iterator_traitsISJ_E10value_typeEPNSP_ISK_E10value_typeEPSL_NS1_7vsmem_tEENKUlT_SJ_SK_SL_E_clISE_PtSF_SF_EESI_SY_SJ_SK_SL_EUlSY_E0_NS1_11comp_targetILNS1_3genE9ELNS1_11target_archE1100ELNS1_3gpuE3ELNS1_3repE0EEENS1_38merge_mergepath_config_static_selectorELNS0_4arch9wavefront6targetE1EEEvSK_,comdat
	.protected	_ZN7rocprim17ROCPRIM_400000_NS6detail17trampoline_kernelINS0_14default_configENS1_38merge_sort_block_merge_config_selectorItNS0_10empty_typeEEEZZNS1_27merge_sort_block_merge_implIS3_N6thrust23THRUST_200600_302600_NS6detail15normal_iteratorINS9_10device_ptrItEEEEPS5_m14custom_greaterItEEE10hipError_tT0_T1_T2_jT3_P12ihipStream_tbPNSt15iterator_traitsISJ_E10value_typeEPNSP_ISK_E10value_typeEPSL_NS1_7vsmem_tEENKUlT_SJ_SK_SL_E_clISE_PtSF_SF_EESI_SY_SJ_SK_SL_EUlSY_E0_NS1_11comp_targetILNS1_3genE9ELNS1_11target_archE1100ELNS1_3gpuE3ELNS1_3repE0EEENS1_38merge_mergepath_config_static_selectorELNS0_4arch9wavefront6targetE1EEEvSK_ ; -- Begin function _ZN7rocprim17ROCPRIM_400000_NS6detail17trampoline_kernelINS0_14default_configENS1_38merge_sort_block_merge_config_selectorItNS0_10empty_typeEEEZZNS1_27merge_sort_block_merge_implIS3_N6thrust23THRUST_200600_302600_NS6detail15normal_iteratorINS9_10device_ptrItEEEEPS5_m14custom_greaterItEEE10hipError_tT0_T1_T2_jT3_P12ihipStream_tbPNSt15iterator_traitsISJ_E10value_typeEPNSP_ISK_E10value_typeEPSL_NS1_7vsmem_tEENKUlT_SJ_SK_SL_E_clISE_PtSF_SF_EESI_SY_SJ_SK_SL_EUlSY_E0_NS1_11comp_targetILNS1_3genE9ELNS1_11target_archE1100ELNS1_3gpuE3ELNS1_3repE0EEENS1_38merge_mergepath_config_static_selectorELNS0_4arch9wavefront6targetE1EEEvSK_
	.globl	_ZN7rocprim17ROCPRIM_400000_NS6detail17trampoline_kernelINS0_14default_configENS1_38merge_sort_block_merge_config_selectorItNS0_10empty_typeEEEZZNS1_27merge_sort_block_merge_implIS3_N6thrust23THRUST_200600_302600_NS6detail15normal_iteratorINS9_10device_ptrItEEEEPS5_m14custom_greaterItEEE10hipError_tT0_T1_T2_jT3_P12ihipStream_tbPNSt15iterator_traitsISJ_E10value_typeEPNSP_ISK_E10value_typeEPSL_NS1_7vsmem_tEENKUlT_SJ_SK_SL_E_clISE_PtSF_SF_EESI_SY_SJ_SK_SL_EUlSY_E0_NS1_11comp_targetILNS1_3genE9ELNS1_11target_archE1100ELNS1_3gpuE3ELNS1_3repE0EEENS1_38merge_mergepath_config_static_selectorELNS0_4arch9wavefront6targetE1EEEvSK_
	.p2align	8
	.type	_ZN7rocprim17ROCPRIM_400000_NS6detail17trampoline_kernelINS0_14default_configENS1_38merge_sort_block_merge_config_selectorItNS0_10empty_typeEEEZZNS1_27merge_sort_block_merge_implIS3_N6thrust23THRUST_200600_302600_NS6detail15normal_iteratorINS9_10device_ptrItEEEEPS5_m14custom_greaterItEEE10hipError_tT0_T1_T2_jT3_P12ihipStream_tbPNSt15iterator_traitsISJ_E10value_typeEPNSP_ISK_E10value_typeEPSL_NS1_7vsmem_tEENKUlT_SJ_SK_SL_E_clISE_PtSF_SF_EESI_SY_SJ_SK_SL_EUlSY_E0_NS1_11comp_targetILNS1_3genE9ELNS1_11target_archE1100ELNS1_3gpuE3ELNS1_3repE0EEENS1_38merge_mergepath_config_static_selectorELNS0_4arch9wavefront6targetE1EEEvSK_,@function
_ZN7rocprim17ROCPRIM_400000_NS6detail17trampoline_kernelINS0_14default_configENS1_38merge_sort_block_merge_config_selectorItNS0_10empty_typeEEEZZNS1_27merge_sort_block_merge_implIS3_N6thrust23THRUST_200600_302600_NS6detail15normal_iteratorINS9_10device_ptrItEEEEPS5_m14custom_greaterItEEE10hipError_tT0_T1_T2_jT3_P12ihipStream_tbPNSt15iterator_traitsISJ_E10value_typeEPNSP_ISK_E10value_typeEPSL_NS1_7vsmem_tEENKUlT_SJ_SK_SL_E_clISE_PtSF_SF_EESI_SY_SJ_SK_SL_EUlSY_E0_NS1_11comp_targetILNS1_3genE9ELNS1_11target_archE1100ELNS1_3gpuE3ELNS1_3repE0EEENS1_38merge_mergepath_config_static_selectorELNS0_4arch9wavefront6targetE1EEEvSK_: ; @_ZN7rocprim17ROCPRIM_400000_NS6detail17trampoline_kernelINS0_14default_configENS1_38merge_sort_block_merge_config_selectorItNS0_10empty_typeEEEZZNS1_27merge_sort_block_merge_implIS3_N6thrust23THRUST_200600_302600_NS6detail15normal_iteratorINS9_10device_ptrItEEEEPS5_m14custom_greaterItEEE10hipError_tT0_T1_T2_jT3_P12ihipStream_tbPNSt15iterator_traitsISJ_E10value_typeEPNSP_ISK_E10value_typeEPSL_NS1_7vsmem_tEENKUlT_SJ_SK_SL_E_clISE_PtSF_SF_EESI_SY_SJ_SK_SL_EUlSY_E0_NS1_11comp_targetILNS1_3genE9ELNS1_11target_archE1100ELNS1_3gpuE3ELNS1_3repE0EEENS1_38merge_mergepath_config_static_selectorELNS0_4arch9wavefront6targetE1EEEvSK_
; %bb.0:
	.section	.rodata,"a",@progbits
	.p2align	6, 0x0
	.amdhsa_kernel _ZN7rocprim17ROCPRIM_400000_NS6detail17trampoline_kernelINS0_14default_configENS1_38merge_sort_block_merge_config_selectorItNS0_10empty_typeEEEZZNS1_27merge_sort_block_merge_implIS3_N6thrust23THRUST_200600_302600_NS6detail15normal_iteratorINS9_10device_ptrItEEEEPS5_m14custom_greaterItEEE10hipError_tT0_T1_T2_jT3_P12ihipStream_tbPNSt15iterator_traitsISJ_E10value_typeEPNSP_ISK_E10value_typeEPSL_NS1_7vsmem_tEENKUlT_SJ_SK_SL_E_clISE_PtSF_SF_EESI_SY_SJ_SK_SL_EUlSY_E0_NS1_11comp_targetILNS1_3genE9ELNS1_11target_archE1100ELNS1_3gpuE3ELNS1_3repE0EEENS1_38merge_mergepath_config_static_selectorELNS0_4arch9wavefront6targetE1EEEvSK_
		.amdhsa_group_segment_fixed_size 0
		.amdhsa_private_segment_fixed_size 0
		.amdhsa_kernarg_size 72
		.amdhsa_user_sgpr_count 6
		.amdhsa_user_sgpr_private_segment_buffer 1
		.amdhsa_user_sgpr_dispatch_ptr 0
		.amdhsa_user_sgpr_queue_ptr 0
		.amdhsa_user_sgpr_kernarg_segment_ptr 1
		.amdhsa_user_sgpr_dispatch_id 0
		.amdhsa_user_sgpr_flat_scratch_init 0
		.amdhsa_user_sgpr_kernarg_preload_length 0
		.amdhsa_user_sgpr_kernarg_preload_offset 0
		.amdhsa_user_sgpr_private_segment_size 0
		.amdhsa_uses_dynamic_stack 0
		.amdhsa_system_sgpr_private_segment_wavefront_offset 0
		.amdhsa_system_sgpr_workgroup_id_x 1
		.amdhsa_system_sgpr_workgroup_id_y 0
		.amdhsa_system_sgpr_workgroup_id_z 0
		.amdhsa_system_sgpr_workgroup_info 0
		.amdhsa_system_vgpr_workitem_id 0
		.amdhsa_next_free_vgpr 1
		.amdhsa_next_free_sgpr 0
		.amdhsa_accum_offset 4
		.amdhsa_reserve_vcc 0
		.amdhsa_reserve_flat_scratch 0
		.amdhsa_float_round_mode_32 0
		.amdhsa_float_round_mode_16_64 0
		.amdhsa_float_denorm_mode_32 3
		.amdhsa_float_denorm_mode_16_64 3
		.amdhsa_dx10_clamp 1
		.amdhsa_ieee_mode 1
		.amdhsa_fp16_overflow 0
		.amdhsa_tg_split 0
		.amdhsa_exception_fp_ieee_invalid_op 0
		.amdhsa_exception_fp_denorm_src 0
		.amdhsa_exception_fp_ieee_div_zero 0
		.amdhsa_exception_fp_ieee_overflow 0
		.amdhsa_exception_fp_ieee_underflow 0
		.amdhsa_exception_fp_ieee_inexact 0
		.amdhsa_exception_int_div_zero 0
	.end_amdhsa_kernel
	.section	.text._ZN7rocprim17ROCPRIM_400000_NS6detail17trampoline_kernelINS0_14default_configENS1_38merge_sort_block_merge_config_selectorItNS0_10empty_typeEEEZZNS1_27merge_sort_block_merge_implIS3_N6thrust23THRUST_200600_302600_NS6detail15normal_iteratorINS9_10device_ptrItEEEEPS5_m14custom_greaterItEEE10hipError_tT0_T1_T2_jT3_P12ihipStream_tbPNSt15iterator_traitsISJ_E10value_typeEPNSP_ISK_E10value_typeEPSL_NS1_7vsmem_tEENKUlT_SJ_SK_SL_E_clISE_PtSF_SF_EESI_SY_SJ_SK_SL_EUlSY_E0_NS1_11comp_targetILNS1_3genE9ELNS1_11target_archE1100ELNS1_3gpuE3ELNS1_3repE0EEENS1_38merge_mergepath_config_static_selectorELNS0_4arch9wavefront6targetE1EEEvSK_,"axG",@progbits,_ZN7rocprim17ROCPRIM_400000_NS6detail17trampoline_kernelINS0_14default_configENS1_38merge_sort_block_merge_config_selectorItNS0_10empty_typeEEEZZNS1_27merge_sort_block_merge_implIS3_N6thrust23THRUST_200600_302600_NS6detail15normal_iteratorINS9_10device_ptrItEEEEPS5_m14custom_greaterItEEE10hipError_tT0_T1_T2_jT3_P12ihipStream_tbPNSt15iterator_traitsISJ_E10value_typeEPNSP_ISK_E10value_typeEPSL_NS1_7vsmem_tEENKUlT_SJ_SK_SL_E_clISE_PtSF_SF_EESI_SY_SJ_SK_SL_EUlSY_E0_NS1_11comp_targetILNS1_3genE9ELNS1_11target_archE1100ELNS1_3gpuE3ELNS1_3repE0EEENS1_38merge_mergepath_config_static_selectorELNS0_4arch9wavefront6targetE1EEEvSK_,comdat
.Lfunc_end3051:
	.size	_ZN7rocprim17ROCPRIM_400000_NS6detail17trampoline_kernelINS0_14default_configENS1_38merge_sort_block_merge_config_selectorItNS0_10empty_typeEEEZZNS1_27merge_sort_block_merge_implIS3_N6thrust23THRUST_200600_302600_NS6detail15normal_iteratorINS9_10device_ptrItEEEEPS5_m14custom_greaterItEEE10hipError_tT0_T1_T2_jT3_P12ihipStream_tbPNSt15iterator_traitsISJ_E10value_typeEPNSP_ISK_E10value_typeEPSL_NS1_7vsmem_tEENKUlT_SJ_SK_SL_E_clISE_PtSF_SF_EESI_SY_SJ_SK_SL_EUlSY_E0_NS1_11comp_targetILNS1_3genE9ELNS1_11target_archE1100ELNS1_3gpuE3ELNS1_3repE0EEENS1_38merge_mergepath_config_static_selectorELNS0_4arch9wavefront6targetE1EEEvSK_, .Lfunc_end3051-_ZN7rocprim17ROCPRIM_400000_NS6detail17trampoline_kernelINS0_14default_configENS1_38merge_sort_block_merge_config_selectorItNS0_10empty_typeEEEZZNS1_27merge_sort_block_merge_implIS3_N6thrust23THRUST_200600_302600_NS6detail15normal_iteratorINS9_10device_ptrItEEEEPS5_m14custom_greaterItEEE10hipError_tT0_T1_T2_jT3_P12ihipStream_tbPNSt15iterator_traitsISJ_E10value_typeEPNSP_ISK_E10value_typeEPSL_NS1_7vsmem_tEENKUlT_SJ_SK_SL_E_clISE_PtSF_SF_EESI_SY_SJ_SK_SL_EUlSY_E0_NS1_11comp_targetILNS1_3genE9ELNS1_11target_archE1100ELNS1_3gpuE3ELNS1_3repE0EEENS1_38merge_mergepath_config_static_selectorELNS0_4arch9wavefront6targetE1EEEvSK_
                                        ; -- End function
	.section	.AMDGPU.csdata,"",@progbits
; Kernel info:
; codeLenInByte = 0
; NumSgprs: 4
; NumVgprs: 0
; NumAgprs: 0
; TotalNumVgprs: 0
; ScratchSize: 0
; MemoryBound: 0
; FloatMode: 240
; IeeeMode: 1
; LDSByteSize: 0 bytes/workgroup (compile time only)
; SGPRBlocks: 0
; VGPRBlocks: 0
; NumSGPRsForWavesPerEU: 4
; NumVGPRsForWavesPerEU: 1
; AccumOffset: 4
; Occupancy: 8
; WaveLimiterHint : 0
; COMPUTE_PGM_RSRC2:SCRATCH_EN: 0
; COMPUTE_PGM_RSRC2:USER_SGPR: 6
; COMPUTE_PGM_RSRC2:TRAP_HANDLER: 0
; COMPUTE_PGM_RSRC2:TGID_X_EN: 1
; COMPUTE_PGM_RSRC2:TGID_Y_EN: 0
; COMPUTE_PGM_RSRC2:TGID_Z_EN: 0
; COMPUTE_PGM_RSRC2:TIDIG_COMP_CNT: 0
; COMPUTE_PGM_RSRC3_GFX90A:ACCUM_OFFSET: 0
; COMPUTE_PGM_RSRC3_GFX90A:TG_SPLIT: 0
	.section	.text._ZN7rocprim17ROCPRIM_400000_NS6detail17trampoline_kernelINS0_14default_configENS1_38merge_sort_block_merge_config_selectorItNS0_10empty_typeEEEZZNS1_27merge_sort_block_merge_implIS3_N6thrust23THRUST_200600_302600_NS6detail15normal_iteratorINS9_10device_ptrItEEEEPS5_m14custom_greaterItEEE10hipError_tT0_T1_T2_jT3_P12ihipStream_tbPNSt15iterator_traitsISJ_E10value_typeEPNSP_ISK_E10value_typeEPSL_NS1_7vsmem_tEENKUlT_SJ_SK_SL_E_clISE_PtSF_SF_EESI_SY_SJ_SK_SL_EUlSY_E0_NS1_11comp_targetILNS1_3genE8ELNS1_11target_archE1030ELNS1_3gpuE2ELNS1_3repE0EEENS1_38merge_mergepath_config_static_selectorELNS0_4arch9wavefront6targetE1EEEvSK_,"axG",@progbits,_ZN7rocprim17ROCPRIM_400000_NS6detail17trampoline_kernelINS0_14default_configENS1_38merge_sort_block_merge_config_selectorItNS0_10empty_typeEEEZZNS1_27merge_sort_block_merge_implIS3_N6thrust23THRUST_200600_302600_NS6detail15normal_iteratorINS9_10device_ptrItEEEEPS5_m14custom_greaterItEEE10hipError_tT0_T1_T2_jT3_P12ihipStream_tbPNSt15iterator_traitsISJ_E10value_typeEPNSP_ISK_E10value_typeEPSL_NS1_7vsmem_tEENKUlT_SJ_SK_SL_E_clISE_PtSF_SF_EESI_SY_SJ_SK_SL_EUlSY_E0_NS1_11comp_targetILNS1_3genE8ELNS1_11target_archE1030ELNS1_3gpuE2ELNS1_3repE0EEENS1_38merge_mergepath_config_static_selectorELNS0_4arch9wavefront6targetE1EEEvSK_,comdat
	.protected	_ZN7rocprim17ROCPRIM_400000_NS6detail17trampoline_kernelINS0_14default_configENS1_38merge_sort_block_merge_config_selectorItNS0_10empty_typeEEEZZNS1_27merge_sort_block_merge_implIS3_N6thrust23THRUST_200600_302600_NS6detail15normal_iteratorINS9_10device_ptrItEEEEPS5_m14custom_greaterItEEE10hipError_tT0_T1_T2_jT3_P12ihipStream_tbPNSt15iterator_traitsISJ_E10value_typeEPNSP_ISK_E10value_typeEPSL_NS1_7vsmem_tEENKUlT_SJ_SK_SL_E_clISE_PtSF_SF_EESI_SY_SJ_SK_SL_EUlSY_E0_NS1_11comp_targetILNS1_3genE8ELNS1_11target_archE1030ELNS1_3gpuE2ELNS1_3repE0EEENS1_38merge_mergepath_config_static_selectorELNS0_4arch9wavefront6targetE1EEEvSK_ ; -- Begin function _ZN7rocprim17ROCPRIM_400000_NS6detail17trampoline_kernelINS0_14default_configENS1_38merge_sort_block_merge_config_selectorItNS0_10empty_typeEEEZZNS1_27merge_sort_block_merge_implIS3_N6thrust23THRUST_200600_302600_NS6detail15normal_iteratorINS9_10device_ptrItEEEEPS5_m14custom_greaterItEEE10hipError_tT0_T1_T2_jT3_P12ihipStream_tbPNSt15iterator_traitsISJ_E10value_typeEPNSP_ISK_E10value_typeEPSL_NS1_7vsmem_tEENKUlT_SJ_SK_SL_E_clISE_PtSF_SF_EESI_SY_SJ_SK_SL_EUlSY_E0_NS1_11comp_targetILNS1_3genE8ELNS1_11target_archE1030ELNS1_3gpuE2ELNS1_3repE0EEENS1_38merge_mergepath_config_static_selectorELNS0_4arch9wavefront6targetE1EEEvSK_
	.globl	_ZN7rocprim17ROCPRIM_400000_NS6detail17trampoline_kernelINS0_14default_configENS1_38merge_sort_block_merge_config_selectorItNS0_10empty_typeEEEZZNS1_27merge_sort_block_merge_implIS3_N6thrust23THRUST_200600_302600_NS6detail15normal_iteratorINS9_10device_ptrItEEEEPS5_m14custom_greaterItEEE10hipError_tT0_T1_T2_jT3_P12ihipStream_tbPNSt15iterator_traitsISJ_E10value_typeEPNSP_ISK_E10value_typeEPSL_NS1_7vsmem_tEENKUlT_SJ_SK_SL_E_clISE_PtSF_SF_EESI_SY_SJ_SK_SL_EUlSY_E0_NS1_11comp_targetILNS1_3genE8ELNS1_11target_archE1030ELNS1_3gpuE2ELNS1_3repE0EEENS1_38merge_mergepath_config_static_selectorELNS0_4arch9wavefront6targetE1EEEvSK_
	.p2align	8
	.type	_ZN7rocprim17ROCPRIM_400000_NS6detail17trampoline_kernelINS0_14default_configENS1_38merge_sort_block_merge_config_selectorItNS0_10empty_typeEEEZZNS1_27merge_sort_block_merge_implIS3_N6thrust23THRUST_200600_302600_NS6detail15normal_iteratorINS9_10device_ptrItEEEEPS5_m14custom_greaterItEEE10hipError_tT0_T1_T2_jT3_P12ihipStream_tbPNSt15iterator_traitsISJ_E10value_typeEPNSP_ISK_E10value_typeEPSL_NS1_7vsmem_tEENKUlT_SJ_SK_SL_E_clISE_PtSF_SF_EESI_SY_SJ_SK_SL_EUlSY_E0_NS1_11comp_targetILNS1_3genE8ELNS1_11target_archE1030ELNS1_3gpuE2ELNS1_3repE0EEENS1_38merge_mergepath_config_static_selectorELNS0_4arch9wavefront6targetE1EEEvSK_,@function
_ZN7rocprim17ROCPRIM_400000_NS6detail17trampoline_kernelINS0_14default_configENS1_38merge_sort_block_merge_config_selectorItNS0_10empty_typeEEEZZNS1_27merge_sort_block_merge_implIS3_N6thrust23THRUST_200600_302600_NS6detail15normal_iteratorINS9_10device_ptrItEEEEPS5_m14custom_greaterItEEE10hipError_tT0_T1_T2_jT3_P12ihipStream_tbPNSt15iterator_traitsISJ_E10value_typeEPNSP_ISK_E10value_typeEPSL_NS1_7vsmem_tEENKUlT_SJ_SK_SL_E_clISE_PtSF_SF_EESI_SY_SJ_SK_SL_EUlSY_E0_NS1_11comp_targetILNS1_3genE8ELNS1_11target_archE1030ELNS1_3gpuE2ELNS1_3repE0EEENS1_38merge_mergepath_config_static_selectorELNS0_4arch9wavefront6targetE1EEEvSK_: ; @_ZN7rocprim17ROCPRIM_400000_NS6detail17trampoline_kernelINS0_14default_configENS1_38merge_sort_block_merge_config_selectorItNS0_10empty_typeEEEZZNS1_27merge_sort_block_merge_implIS3_N6thrust23THRUST_200600_302600_NS6detail15normal_iteratorINS9_10device_ptrItEEEEPS5_m14custom_greaterItEEE10hipError_tT0_T1_T2_jT3_P12ihipStream_tbPNSt15iterator_traitsISJ_E10value_typeEPNSP_ISK_E10value_typeEPSL_NS1_7vsmem_tEENKUlT_SJ_SK_SL_E_clISE_PtSF_SF_EESI_SY_SJ_SK_SL_EUlSY_E0_NS1_11comp_targetILNS1_3genE8ELNS1_11target_archE1030ELNS1_3gpuE2ELNS1_3repE0EEENS1_38merge_mergepath_config_static_selectorELNS0_4arch9wavefront6targetE1EEEvSK_
; %bb.0:
	.section	.rodata,"a",@progbits
	.p2align	6, 0x0
	.amdhsa_kernel _ZN7rocprim17ROCPRIM_400000_NS6detail17trampoline_kernelINS0_14default_configENS1_38merge_sort_block_merge_config_selectorItNS0_10empty_typeEEEZZNS1_27merge_sort_block_merge_implIS3_N6thrust23THRUST_200600_302600_NS6detail15normal_iteratorINS9_10device_ptrItEEEEPS5_m14custom_greaterItEEE10hipError_tT0_T1_T2_jT3_P12ihipStream_tbPNSt15iterator_traitsISJ_E10value_typeEPNSP_ISK_E10value_typeEPSL_NS1_7vsmem_tEENKUlT_SJ_SK_SL_E_clISE_PtSF_SF_EESI_SY_SJ_SK_SL_EUlSY_E0_NS1_11comp_targetILNS1_3genE8ELNS1_11target_archE1030ELNS1_3gpuE2ELNS1_3repE0EEENS1_38merge_mergepath_config_static_selectorELNS0_4arch9wavefront6targetE1EEEvSK_
		.amdhsa_group_segment_fixed_size 0
		.amdhsa_private_segment_fixed_size 0
		.amdhsa_kernarg_size 72
		.amdhsa_user_sgpr_count 6
		.amdhsa_user_sgpr_private_segment_buffer 1
		.amdhsa_user_sgpr_dispatch_ptr 0
		.amdhsa_user_sgpr_queue_ptr 0
		.amdhsa_user_sgpr_kernarg_segment_ptr 1
		.amdhsa_user_sgpr_dispatch_id 0
		.amdhsa_user_sgpr_flat_scratch_init 0
		.amdhsa_user_sgpr_kernarg_preload_length 0
		.amdhsa_user_sgpr_kernarg_preload_offset 0
		.amdhsa_user_sgpr_private_segment_size 0
		.amdhsa_uses_dynamic_stack 0
		.amdhsa_system_sgpr_private_segment_wavefront_offset 0
		.amdhsa_system_sgpr_workgroup_id_x 1
		.amdhsa_system_sgpr_workgroup_id_y 0
		.amdhsa_system_sgpr_workgroup_id_z 0
		.amdhsa_system_sgpr_workgroup_info 0
		.amdhsa_system_vgpr_workitem_id 0
		.amdhsa_next_free_vgpr 1
		.amdhsa_next_free_sgpr 0
		.amdhsa_accum_offset 4
		.amdhsa_reserve_vcc 0
		.amdhsa_reserve_flat_scratch 0
		.amdhsa_float_round_mode_32 0
		.amdhsa_float_round_mode_16_64 0
		.amdhsa_float_denorm_mode_32 3
		.amdhsa_float_denorm_mode_16_64 3
		.amdhsa_dx10_clamp 1
		.amdhsa_ieee_mode 1
		.amdhsa_fp16_overflow 0
		.amdhsa_tg_split 0
		.amdhsa_exception_fp_ieee_invalid_op 0
		.amdhsa_exception_fp_denorm_src 0
		.amdhsa_exception_fp_ieee_div_zero 0
		.amdhsa_exception_fp_ieee_overflow 0
		.amdhsa_exception_fp_ieee_underflow 0
		.amdhsa_exception_fp_ieee_inexact 0
		.amdhsa_exception_int_div_zero 0
	.end_amdhsa_kernel
	.section	.text._ZN7rocprim17ROCPRIM_400000_NS6detail17trampoline_kernelINS0_14default_configENS1_38merge_sort_block_merge_config_selectorItNS0_10empty_typeEEEZZNS1_27merge_sort_block_merge_implIS3_N6thrust23THRUST_200600_302600_NS6detail15normal_iteratorINS9_10device_ptrItEEEEPS5_m14custom_greaterItEEE10hipError_tT0_T1_T2_jT3_P12ihipStream_tbPNSt15iterator_traitsISJ_E10value_typeEPNSP_ISK_E10value_typeEPSL_NS1_7vsmem_tEENKUlT_SJ_SK_SL_E_clISE_PtSF_SF_EESI_SY_SJ_SK_SL_EUlSY_E0_NS1_11comp_targetILNS1_3genE8ELNS1_11target_archE1030ELNS1_3gpuE2ELNS1_3repE0EEENS1_38merge_mergepath_config_static_selectorELNS0_4arch9wavefront6targetE1EEEvSK_,"axG",@progbits,_ZN7rocprim17ROCPRIM_400000_NS6detail17trampoline_kernelINS0_14default_configENS1_38merge_sort_block_merge_config_selectorItNS0_10empty_typeEEEZZNS1_27merge_sort_block_merge_implIS3_N6thrust23THRUST_200600_302600_NS6detail15normal_iteratorINS9_10device_ptrItEEEEPS5_m14custom_greaterItEEE10hipError_tT0_T1_T2_jT3_P12ihipStream_tbPNSt15iterator_traitsISJ_E10value_typeEPNSP_ISK_E10value_typeEPSL_NS1_7vsmem_tEENKUlT_SJ_SK_SL_E_clISE_PtSF_SF_EESI_SY_SJ_SK_SL_EUlSY_E0_NS1_11comp_targetILNS1_3genE8ELNS1_11target_archE1030ELNS1_3gpuE2ELNS1_3repE0EEENS1_38merge_mergepath_config_static_selectorELNS0_4arch9wavefront6targetE1EEEvSK_,comdat
.Lfunc_end3052:
	.size	_ZN7rocprim17ROCPRIM_400000_NS6detail17trampoline_kernelINS0_14default_configENS1_38merge_sort_block_merge_config_selectorItNS0_10empty_typeEEEZZNS1_27merge_sort_block_merge_implIS3_N6thrust23THRUST_200600_302600_NS6detail15normal_iteratorINS9_10device_ptrItEEEEPS5_m14custom_greaterItEEE10hipError_tT0_T1_T2_jT3_P12ihipStream_tbPNSt15iterator_traitsISJ_E10value_typeEPNSP_ISK_E10value_typeEPSL_NS1_7vsmem_tEENKUlT_SJ_SK_SL_E_clISE_PtSF_SF_EESI_SY_SJ_SK_SL_EUlSY_E0_NS1_11comp_targetILNS1_3genE8ELNS1_11target_archE1030ELNS1_3gpuE2ELNS1_3repE0EEENS1_38merge_mergepath_config_static_selectorELNS0_4arch9wavefront6targetE1EEEvSK_, .Lfunc_end3052-_ZN7rocprim17ROCPRIM_400000_NS6detail17trampoline_kernelINS0_14default_configENS1_38merge_sort_block_merge_config_selectorItNS0_10empty_typeEEEZZNS1_27merge_sort_block_merge_implIS3_N6thrust23THRUST_200600_302600_NS6detail15normal_iteratorINS9_10device_ptrItEEEEPS5_m14custom_greaterItEEE10hipError_tT0_T1_T2_jT3_P12ihipStream_tbPNSt15iterator_traitsISJ_E10value_typeEPNSP_ISK_E10value_typeEPSL_NS1_7vsmem_tEENKUlT_SJ_SK_SL_E_clISE_PtSF_SF_EESI_SY_SJ_SK_SL_EUlSY_E0_NS1_11comp_targetILNS1_3genE8ELNS1_11target_archE1030ELNS1_3gpuE2ELNS1_3repE0EEENS1_38merge_mergepath_config_static_selectorELNS0_4arch9wavefront6targetE1EEEvSK_
                                        ; -- End function
	.section	.AMDGPU.csdata,"",@progbits
; Kernel info:
; codeLenInByte = 0
; NumSgprs: 4
; NumVgprs: 0
; NumAgprs: 0
; TotalNumVgprs: 0
; ScratchSize: 0
; MemoryBound: 0
; FloatMode: 240
; IeeeMode: 1
; LDSByteSize: 0 bytes/workgroup (compile time only)
; SGPRBlocks: 0
; VGPRBlocks: 0
; NumSGPRsForWavesPerEU: 4
; NumVGPRsForWavesPerEU: 1
; AccumOffset: 4
; Occupancy: 8
; WaveLimiterHint : 0
; COMPUTE_PGM_RSRC2:SCRATCH_EN: 0
; COMPUTE_PGM_RSRC2:USER_SGPR: 6
; COMPUTE_PGM_RSRC2:TRAP_HANDLER: 0
; COMPUTE_PGM_RSRC2:TGID_X_EN: 1
; COMPUTE_PGM_RSRC2:TGID_Y_EN: 0
; COMPUTE_PGM_RSRC2:TGID_Z_EN: 0
; COMPUTE_PGM_RSRC2:TIDIG_COMP_CNT: 0
; COMPUTE_PGM_RSRC3_GFX90A:ACCUM_OFFSET: 0
; COMPUTE_PGM_RSRC3_GFX90A:TG_SPLIT: 0
	.section	.text._ZN7rocprim17ROCPRIM_400000_NS6detail17trampoline_kernelINS0_14default_configENS1_38merge_sort_block_merge_config_selectorItNS0_10empty_typeEEEZZNS1_27merge_sort_block_merge_implIS3_N6thrust23THRUST_200600_302600_NS6detail15normal_iteratorINS9_10device_ptrItEEEEPS5_m14custom_greaterItEEE10hipError_tT0_T1_T2_jT3_P12ihipStream_tbPNSt15iterator_traitsISJ_E10value_typeEPNSP_ISK_E10value_typeEPSL_NS1_7vsmem_tEENKUlT_SJ_SK_SL_E_clISE_PtSF_SF_EESI_SY_SJ_SK_SL_EUlSY_E1_NS1_11comp_targetILNS1_3genE0ELNS1_11target_archE4294967295ELNS1_3gpuE0ELNS1_3repE0EEENS1_36merge_oddeven_config_static_selectorELNS0_4arch9wavefront6targetE1EEEvSK_,"axG",@progbits,_ZN7rocprim17ROCPRIM_400000_NS6detail17trampoline_kernelINS0_14default_configENS1_38merge_sort_block_merge_config_selectorItNS0_10empty_typeEEEZZNS1_27merge_sort_block_merge_implIS3_N6thrust23THRUST_200600_302600_NS6detail15normal_iteratorINS9_10device_ptrItEEEEPS5_m14custom_greaterItEEE10hipError_tT0_T1_T2_jT3_P12ihipStream_tbPNSt15iterator_traitsISJ_E10value_typeEPNSP_ISK_E10value_typeEPSL_NS1_7vsmem_tEENKUlT_SJ_SK_SL_E_clISE_PtSF_SF_EESI_SY_SJ_SK_SL_EUlSY_E1_NS1_11comp_targetILNS1_3genE0ELNS1_11target_archE4294967295ELNS1_3gpuE0ELNS1_3repE0EEENS1_36merge_oddeven_config_static_selectorELNS0_4arch9wavefront6targetE1EEEvSK_,comdat
	.protected	_ZN7rocprim17ROCPRIM_400000_NS6detail17trampoline_kernelINS0_14default_configENS1_38merge_sort_block_merge_config_selectorItNS0_10empty_typeEEEZZNS1_27merge_sort_block_merge_implIS3_N6thrust23THRUST_200600_302600_NS6detail15normal_iteratorINS9_10device_ptrItEEEEPS5_m14custom_greaterItEEE10hipError_tT0_T1_T2_jT3_P12ihipStream_tbPNSt15iterator_traitsISJ_E10value_typeEPNSP_ISK_E10value_typeEPSL_NS1_7vsmem_tEENKUlT_SJ_SK_SL_E_clISE_PtSF_SF_EESI_SY_SJ_SK_SL_EUlSY_E1_NS1_11comp_targetILNS1_3genE0ELNS1_11target_archE4294967295ELNS1_3gpuE0ELNS1_3repE0EEENS1_36merge_oddeven_config_static_selectorELNS0_4arch9wavefront6targetE1EEEvSK_ ; -- Begin function _ZN7rocprim17ROCPRIM_400000_NS6detail17trampoline_kernelINS0_14default_configENS1_38merge_sort_block_merge_config_selectorItNS0_10empty_typeEEEZZNS1_27merge_sort_block_merge_implIS3_N6thrust23THRUST_200600_302600_NS6detail15normal_iteratorINS9_10device_ptrItEEEEPS5_m14custom_greaterItEEE10hipError_tT0_T1_T2_jT3_P12ihipStream_tbPNSt15iterator_traitsISJ_E10value_typeEPNSP_ISK_E10value_typeEPSL_NS1_7vsmem_tEENKUlT_SJ_SK_SL_E_clISE_PtSF_SF_EESI_SY_SJ_SK_SL_EUlSY_E1_NS1_11comp_targetILNS1_3genE0ELNS1_11target_archE4294967295ELNS1_3gpuE0ELNS1_3repE0EEENS1_36merge_oddeven_config_static_selectorELNS0_4arch9wavefront6targetE1EEEvSK_
	.globl	_ZN7rocprim17ROCPRIM_400000_NS6detail17trampoline_kernelINS0_14default_configENS1_38merge_sort_block_merge_config_selectorItNS0_10empty_typeEEEZZNS1_27merge_sort_block_merge_implIS3_N6thrust23THRUST_200600_302600_NS6detail15normal_iteratorINS9_10device_ptrItEEEEPS5_m14custom_greaterItEEE10hipError_tT0_T1_T2_jT3_P12ihipStream_tbPNSt15iterator_traitsISJ_E10value_typeEPNSP_ISK_E10value_typeEPSL_NS1_7vsmem_tEENKUlT_SJ_SK_SL_E_clISE_PtSF_SF_EESI_SY_SJ_SK_SL_EUlSY_E1_NS1_11comp_targetILNS1_3genE0ELNS1_11target_archE4294967295ELNS1_3gpuE0ELNS1_3repE0EEENS1_36merge_oddeven_config_static_selectorELNS0_4arch9wavefront6targetE1EEEvSK_
	.p2align	8
	.type	_ZN7rocprim17ROCPRIM_400000_NS6detail17trampoline_kernelINS0_14default_configENS1_38merge_sort_block_merge_config_selectorItNS0_10empty_typeEEEZZNS1_27merge_sort_block_merge_implIS3_N6thrust23THRUST_200600_302600_NS6detail15normal_iteratorINS9_10device_ptrItEEEEPS5_m14custom_greaterItEEE10hipError_tT0_T1_T2_jT3_P12ihipStream_tbPNSt15iterator_traitsISJ_E10value_typeEPNSP_ISK_E10value_typeEPSL_NS1_7vsmem_tEENKUlT_SJ_SK_SL_E_clISE_PtSF_SF_EESI_SY_SJ_SK_SL_EUlSY_E1_NS1_11comp_targetILNS1_3genE0ELNS1_11target_archE4294967295ELNS1_3gpuE0ELNS1_3repE0EEENS1_36merge_oddeven_config_static_selectorELNS0_4arch9wavefront6targetE1EEEvSK_,@function
_ZN7rocprim17ROCPRIM_400000_NS6detail17trampoline_kernelINS0_14default_configENS1_38merge_sort_block_merge_config_selectorItNS0_10empty_typeEEEZZNS1_27merge_sort_block_merge_implIS3_N6thrust23THRUST_200600_302600_NS6detail15normal_iteratorINS9_10device_ptrItEEEEPS5_m14custom_greaterItEEE10hipError_tT0_T1_T2_jT3_P12ihipStream_tbPNSt15iterator_traitsISJ_E10value_typeEPNSP_ISK_E10value_typeEPSL_NS1_7vsmem_tEENKUlT_SJ_SK_SL_E_clISE_PtSF_SF_EESI_SY_SJ_SK_SL_EUlSY_E1_NS1_11comp_targetILNS1_3genE0ELNS1_11target_archE4294967295ELNS1_3gpuE0ELNS1_3repE0EEENS1_36merge_oddeven_config_static_selectorELNS0_4arch9wavefront6targetE1EEEvSK_: ; @_ZN7rocprim17ROCPRIM_400000_NS6detail17trampoline_kernelINS0_14default_configENS1_38merge_sort_block_merge_config_selectorItNS0_10empty_typeEEEZZNS1_27merge_sort_block_merge_implIS3_N6thrust23THRUST_200600_302600_NS6detail15normal_iteratorINS9_10device_ptrItEEEEPS5_m14custom_greaterItEEE10hipError_tT0_T1_T2_jT3_P12ihipStream_tbPNSt15iterator_traitsISJ_E10value_typeEPNSP_ISK_E10value_typeEPSL_NS1_7vsmem_tEENKUlT_SJ_SK_SL_E_clISE_PtSF_SF_EESI_SY_SJ_SK_SL_EUlSY_E1_NS1_11comp_targetILNS1_3genE0ELNS1_11target_archE4294967295ELNS1_3gpuE0ELNS1_3repE0EEENS1_36merge_oddeven_config_static_selectorELNS0_4arch9wavefront6targetE1EEEvSK_
; %bb.0:
	.section	.rodata,"a",@progbits
	.p2align	6, 0x0
	.amdhsa_kernel _ZN7rocprim17ROCPRIM_400000_NS6detail17trampoline_kernelINS0_14default_configENS1_38merge_sort_block_merge_config_selectorItNS0_10empty_typeEEEZZNS1_27merge_sort_block_merge_implIS3_N6thrust23THRUST_200600_302600_NS6detail15normal_iteratorINS9_10device_ptrItEEEEPS5_m14custom_greaterItEEE10hipError_tT0_T1_T2_jT3_P12ihipStream_tbPNSt15iterator_traitsISJ_E10value_typeEPNSP_ISK_E10value_typeEPSL_NS1_7vsmem_tEENKUlT_SJ_SK_SL_E_clISE_PtSF_SF_EESI_SY_SJ_SK_SL_EUlSY_E1_NS1_11comp_targetILNS1_3genE0ELNS1_11target_archE4294967295ELNS1_3gpuE0ELNS1_3repE0EEENS1_36merge_oddeven_config_static_selectorELNS0_4arch9wavefront6targetE1EEEvSK_
		.amdhsa_group_segment_fixed_size 0
		.amdhsa_private_segment_fixed_size 0
		.amdhsa_kernarg_size 56
		.amdhsa_user_sgpr_count 6
		.amdhsa_user_sgpr_private_segment_buffer 1
		.amdhsa_user_sgpr_dispatch_ptr 0
		.amdhsa_user_sgpr_queue_ptr 0
		.amdhsa_user_sgpr_kernarg_segment_ptr 1
		.amdhsa_user_sgpr_dispatch_id 0
		.amdhsa_user_sgpr_flat_scratch_init 0
		.amdhsa_user_sgpr_kernarg_preload_length 0
		.amdhsa_user_sgpr_kernarg_preload_offset 0
		.amdhsa_user_sgpr_private_segment_size 0
		.amdhsa_uses_dynamic_stack 0
		.amdhsa_system_sgpr_private_segment_wavefront_offset 0
		.amdhsa_system_sgpr_workgroup_id_x 1
		.amdhsa_system_sgpr_workgroup_id_y 0
		.amdhsa_system_sgpr_workgroup_id_z 0
		.amdhsa_system_sgpr_workgroup_info 0
		.amdhsa_system_vgpr_workitem_id 0
		.amdhsa_next_free_vgpr 1
		.amdhsa_next_free_sgpr 0
		.amdhsa_accum_offset 4
		.amdhsa_reserve_vcc 0
		.amdhsa_reserve_flat_scratch 0
		.amdhsa_float_round_mode_32 0
		.amdhsa_float_round_mode_16_64 0
		.amdhsa_float_denorm_mode_32 3
		.amdhsa_float_denorm_mode_16_64 3
		.amdhsa_dx10_clamp 1
		.amdhsa_ieee_mode 1
		.amdhsa_fp16_overflow 0
		.amdhsa_tg_split 0
		.amdhsa_exception_fp_ieee_invalid_op 0
		.amdhsa_exception_fp_denorm_src 0
		.amdhsa_exception_fp_ieee_div_zero 0
		.amdhsa_exception_fp_ieee_overflow 0
		.amdhsa_exception_fp_ieee_underflow 0
		.amdhsa_exception_fp_ieee_inexact 0
		.amdhsa_exception_int_div_zero 0
	.end_amdhsa_kernel
	.section	.text._ZN7rocprim17ROCPRIM_400000_NS6detail17trampoline_kernelINS0_14default_configENS1_38merge_sort_block_merge_config_selectorItNS0_10empty_typeEEEZZNS1_27merge_sort_block_merge_implIS3_N6thrust23THRUST_200600_302600_NS6detail15normal_iteratorINS9_10device_ptrItEEEEPS5_m14custom_greaterItEEE10hipError_tT0_T1_T2_jT3_P12ihipStream_tbPNSt15iterator_traitsISJ_E10value_typeEPNSP_ISK_E10value_typeEPSL_NS1_7vsmem_tEENKUlT_SJ_SK_SL_E_clISE_PtSF_SF_EESI_SY_SJ_SK_SL_EUlSY_E1_NS1_11comp_targetILNS1_3genE0ELNS1_11target_archE4294967295ELNS1_3gpuE0ELNS1_3repE0EEENS1_36merge_oddeven_config_static_selectorELNS0_4arch9wavefront6targetE1EEEvSK_,"axG",@progbits,_ZN7rocprim17ROCPRIM_400000_NS6detail17trampoline_kernelINS0_14default_configENS1_38merge_sort_block_merge_config_selectorItNS0_10empty_typeEEEZZNS1_27merge_sort_block_merge_implIS3_N6thrust23THRUST_200600_302600_NS6detail15normal_iteratorINS9_10device_ptrItEEEEPS5_m14custom_greaterItEEE10hipError_tT0_T1_T2_jT3_P12ihipStream_tbPNSt15iterator_traitsISJ_E10value_typeEPNSP_ISK_E10value_typeEPSL_NS1_7vsmem_tEENKUlT_SJ_SK_SL_E_clISE_PtSF_SF_EESI_SY_SJ_SK_SL_EUlSY_E1_NS1_11comp_targetILNS1_3genE0ELNS1_11target_archE4294967295ELNS1_3gpuE0ELNS1_3repE0EEENS1_36merge_oddeven_config_static_selectorELNS0_4arch9wavefront6targetE1EEEvSK_,comdat
.Lfunc_end3053:
	.size	_ZN7rocprim17ROCPRIM_400000_NS6detail17trampoline_kernelINS0_14default_configENS1_38merge_sort_block_merge_config_selectorItNS0_10empty_typeEEEZZNS1_27merge_sort_block_merge_implIS3_N6thrust23THRUST_200600_302600_NS6detail15normal_iteratorINS9_10device_ptrItEEEEPS5_m14custom_greaterItEEE10hipError_tT0_T1_T2_jT3_P12ihipStream_tbPNSt15iterator_traitsISJ_E10value_typeEPNSP_ISK_E10value_typeEPSL_NS1_7vsmem_tEENKUlT_SJ_SK_SL_E_clISE_PtSF_SF_EESI_SY_SJ_SK_SL_EUlSY_E1_NS1_11comp_targetILNS1_3genE0ELNS1_11target_archE4294967295ELNS1_3gpuE0ELNS1_3repE0EEENS1_36merge_oddeven_config_static_selectorELNS0_4arch9wavefront6targetE1EEEvSK_, .Lfunc_end3053-_ZN7rocprim17ROCPRIM_400000_NS6detail17trampoline_kernelINS0_14default_configENS1_38merge_sort_block_merge_config_selectorItNS0_10empty_typeEEEZZNS1_27merge_sort_block_merge_implIS3_N6thrust23THRUST_200600_302600_NS6detail15normal_iteratorINS9_10device_ptrItEEEEPS5_m14custom_greaterItEEE10hipError_tT0_T1_T2_jT3_P12ihipStream_tbPNSt15iterator_traitsISJ_E10value_typeEPNSP_ISK_E10value_typeEPSL_NS1_7vsmem_tEENKUlT_SJ_SK_SL_E_clISE_PtSF_SF_EESI_SY_SJ_SK_SL_EUlSY_E1_NS1_11comp_targetILNS1_3genE0ELNS1_11target_archE4294967295ELNS1_3gpuE0ELNS1_3repE0EEENS1_36merge_oddeven_config_static_selectorELNS0_4arch9wavefront6targetE1EEEvSK_
                                        ; -- End function
	.section	.AMDGPU.csdata,"",@progbits
; Kernel info:
; codeLenInByte = 0
; NumSgprs: 4
; NumVgprs: 0
; NumAgprs: 0
; TotalNumVgprs: 0
; ScratchSize: 0
; MemoryBound: 0
; FloatMode: 240
; IeeeMode: 1
; LDSByteSize: 0 bytes/workgroup (compile time only)
; SGPRBlocks: 0
; VGPRBlocks: 0
; NumSGPRsForWavesPerEU: 4
; NumVGPRsForWavesPerEU: 1
; AccumOffset: 4
; Occupancy: 8
; WaveLimiterHint : 0
; COMPUTE_PGM_RSRC2:SCRATCH_EN: 0
; COMPUTE_PGM_RSRC2:USER_SGPR: 6
; COMPUTE_PGM_RSRC2:TRAP_HANDLER: 0
; COMPUTE_PGM_RSRC2:TGID_X_EN: 1
; COMPUTE_PGM_RSRC2:TGID_Y_EN: 0
; COMPUTE_PGM_RSRC2:TGID_Z_EN: 0
; COMPUTE_PGM_RSRC2:TIDIG_COMP_CNT: 0
; COMPUTE_PGM_RSRC3_GFX90A:ACCUM_OFFSET: 0
; COMPUTE_PGM_RSRC3_GFX90A:TG_SPLIT: 0
	.section	.text._ZN7rocprim17ROCPRIM_400000_NS6detail17trampoline_kernelINS0_14default_configENS1_38merge_sort_block_merge_config_selectorItNS0_10empty_typeEEEZZNS1_27merge_sort_block_merge_implIS3_N6thrust23THRUST_200600_302600_NS6detail15normal_iteratorINS9_10device_ptrItEEEEPS5_m14custom_greaterItEEE10hipError_tT0_T1_T2_jT3_P12ihipStream_tbPNSt15iterator_traitsISJ_E10value_typeEPNSP_ISK_E10value_typeEPSL_NS1_7vsmem_tEENKUlT_SJ_SK_SL_E_clISE_PtSF_SF_EESI_SY_SJ_SK_SL_EUlSY_E1_NS1_11comp_targetILNS1_3genE10ELNS1_11target_archE1201ELNS1_3gpuE5ELNS1_3repE0EEENS1_36merge_oddeven_config_static_selectorELNS0_4arch9wavefront6targetE1EEEvSK_,"axG",@progbits,_ZN7rocprim17ROCPRIM_400000_NS6detail17trampoline_kernelINS0_14default_configENS1_38merge_sort_block_merge_config_selectorItNS0_10empty_typeEEEZZNS1_27merge_sort_block_merge_implIS3_N6thrust23THRUST_200600_302600_NS6detail15normal_iteratorINS9_10device_ptrItEEEEPS5_m14custom_greaterItEEE10hipError_tT0_T1_T2_jT3_P12ihipStream_tbPNSt15iterator_traitsISJ_E10value_typeEPNSP_ISK_E10value_typeEPSL_NS1_7vsmem_tEENKUlT_SJ_SK_SL_E_clISE_PtSF_SF_EESI_SY_SJ_SK_SL_EUlSY_E1_NS1_11comp_targetILNS1_3genE10ELNS1_11target_archE1201ELNS1_3gpuE5ELNS1_3repE0EEENS1_36merge_oddeven_config_static_selectorELNS0_4arch9wavefront6targetE1EEEvSK_,comdat
	.protected	_ZN7rocprim17ROCPRIM_400000_NS6detail17trampoline_kernelINS0_14default_configENS1_38merge_sort_block_merge_config_selectorItNS0_10empty_typeEEEZZNS1_27merge_sort_block_merge_implIS3_N6thrust23THRUST_200600_302600_NS6detail15normal_iteratorINS9_10device_ptrItEEEEPS5_m14custom_greaterItEEE10hipError_tT0_T1_T2_jT3_P12ihipStream_tbPNSt15iterator_traitsISJ_E10value_typeEPNSP_ISK_E10value_typeEPSL_NS1_7vsmem_tEENKUlT_SJ_SK_SL_E_clISE_PtSF_SF_EESI_SY_SJ_SK_SL_EUlSY_E1_NS1_11comp_targetILNS1_3genE10ELNS1_11target_archE1201ELNS1_3gpuE5ELNS1_3repE0EEENS1_36merge_oddeven_config_static_selectorELNS0_4arch9wavefront6targetE1EEEvSK_ ; -- Begin function _ZN7rocprim17ROCPRIM_400000_NS6detail17trampoline_kernelINS0_14default_configENS1_38merge_sort_block_merge_config_selectorItNS0_10empty_typeEEEZZNS1_27merge_sort_block_merge_implIS3_N6thrust23THRUST_200600_302600_NS6detail15normal_iteratorINS9_10device_ptrItEEEEPS5_m14custom_greaterItEEE10hipError_tT0_T1_T2_jT3_P12ihipStream_tbPNSt15iterator_traitsISJ_E10value_typeEPNSP_ISK_E10value_typeEPSL_NS1_7vsmem_tEENKUlT_SJ_SK_SL_E_clISE_PtSF_SF_EESI_SY_SJ_SK_SL_EUlSY_E1_NS1_11comp_targetILNS1_3genE10ELNS1_11target_archE1201ELNS1_3gpuE5ELNS1_3repE0EEENS1_36merge_oddeven_config_static_selectorELNS0_4arch9wavefront6targetE1EEEvSK_
	.globl	_ZN7rocprim17ROCPRIM_400000_NS6detail17trampoline_kernelINS0_14default_configENS1_38merge_sort_block_merge_config_selectorItNS0_10empty_typeEEEZZNS1_27merge_sort_block_merge_implIS3_N6thrust23THRUST_200600_302600_NS6detail15normal_iteratorINS9_10device_ptrItEEEEPS5_m14custom_greaterItEEE10hipError_tT0_T1_T2_jT3_P12ihipStream_tbPNSt15iterator_traitsISJ_E10value_typeEPNSP_ISK_E10value_typeEPSL_NS1_7vsmem_tEENKUlT_SJ_SK_SL_E_clISE_PtSF_SF_EESI_SY_SJ_SK_SL_EUlSY_E1_NS1_11comp_targetILNS1_3genE10ELNS1_11target_archE1201ELNS1_3gpuE5ELNS1_3repE0EEENS1_36merge_oddeven_config_static_selectorELNS0_4arch9wavefront6targetE1EEEvSK_
	.p2align	8
	.type	_ZN7rocprim17ROCPRIM_400000_NS6detail17trampoline_kernelINS0_14default_configENS1_38merge_sort_block_merge_config_selectorItNS0_10empty_typeEEEZZNS1_27merge_sort_block_merge_implIS3_N6thrust23THRUST_200600_302600_NS6detail15normal_iteratorINS9_10device_ptrItEEEEPS5_m14custom_greaterItEEE10hipError_tT0_T1_T2_jT3_P12ihipStream_tbPNSt15iterator_traitsISJ_E10value_typeEPNSP_ISK_E10value_typeEPSL_NS1_7vsmem_tEENKUlT_SJ_SK_SL_E_clISE_PtSF_SF_EESI_SY_SJ_SK_SL_EUlSY_E1_NS1_11comp_targetILNS1_3genE10ELNS1_11target_archE1201ELNS1_3gpuE5ELNS1_3repE0EEENS1_36merge_oddeven_config_static_selectorELNS0_4arch9wavefront6targetE1EEEvSK_,@function
_ZN7rocprim17ROCPRIM_400000_NS6detail17trampoline_kernelINS0_14default_configENS1_38merge_sort_block_merge_config_selectorItNS0_10empty_typeEEEZZNS1_27merge_sort_block_merge_implIS3_N6thrust23THRUST_200600_302600_NS6detail15normal_iteratorINS9_10device_ptrItEEEEPS5_m14custom_greaterItEEE10hipError_tT0_T1_T2_jT3_P12ihipStream_tbPNSt15iterator_traitsISJ_E10value_typeEPNSP_ISK_E10value_typeEPSL_NS1_7vsmem_tEENKUlT_SJ_SK_SL_E_clISE_PtSF_SF_EESI_SY_SJ_SK_SL_EUlSY_E1_NS1_11comp_targetILNS1_3genE10ELNS1_11target_archE1201ELNS1_3gpuE5ELNS1_3repE0EEENS1_36merge_oddeven_config_static_selectorELNS0_4arch9wavefront6targetE1EEEvSK_: ; @_ZN7rocprim17ROCPRIM_400000_NS6detail17trampoline_kernelINS0_14default_configENS1_38merge_sort_block_merge_config_selectorItNS0_10empty_typeEEEZZNS1_27merge_sort_block_merge_implIS3_N6thrust23THRUST_200600_302600_NS6detail15normal_iteratorINS9_10device_ptrItEEEEPS5_m14custom_greaterItEEE10hipError_tT0_T1_T2_jT3_P12ihipStream_tbPNSt15iterator_traitsISJ_E10value_typeEPNSP_ISK_E10value_typeEPSL_NS1_7vsmem_tEENKUlT_SJ_SK_SL_E_clISE_PtSF_SF_EESI_SY_SJ_SK_SL_EUlSY_E1_NS1_11comp_targetILNS1_3genE10ELNS1_11target_archE1201ELNS1_3gpuE5ELNS1_3repE0EEENS1_36merge_oddeven_config_static_selectorELNS0_4arch9wavefront6targetE1EEEvSK_
; %bb.0:
	.section	.rodata,"a",@progbits
	.p2align	6, 0x0
	.amdhsa_kernel _ZN7rocprim17ROCPRIM_400000_NS6detail17trampoline_kernelINS0_14default_configENS1_38merge_sort_block_merge_config_selectorItNS0_10empty_typeEEEZZNS1_27merge_sort_block_merge_implIS3_N6thrust23THRUST_200600_302600_NS6detail15normal_iteratorINS9_10device_ptrItEEEEPS5_m14custom_greaterItEEE10hipError_tT0_T1_T2_jT3_P12ihipStream_tbPNSt15iterator_traitsISJ_E10value_typeEPNSP_ISK_E10value_typeEPSL_NS1_7vsmem_tEENKUlT_SJ_SK_SL_E_clISE_PtSF_SF_EESI_SY_SJ_SK_SL_EUlSY_E1_NS1_11comp_targetILNS1_3genE10ELNS1_11target_archE1201ELNS1_3gpuE5ELNS1_3repE0EEENS1_36merge_oddeven_config_static_selectorELNS0_4arch9wavefront6targetE1EEEvSK_
		.amdhsa_group_segment_fixed_size 0
		.amdhsa_private_segment_fixed_size 0
		.amdhsa_kernarg_size 56
		.amdhsa_user_sgpr_count 6
		.amdhsa_user_sgpr_private_segment_buffer 1
		.amdhsa_user_sgpr_dispatch_ptr 0
		.amdhsa_user_sgpr_queue_ptr 0
		.amdhsa_user_sgpr_kernarg_segment_ptr 1
		.amdhsa_user_sgpr_dispatch_id 0
		.amdhsa_user_sgpr_flat_scratch_init 0
		.amdhsa_user_sgpr_kernarg_preload_length 0
		.amdhsa_user_sgpr_kernarg_preload_offset 0
		.amdhsa_user_sgpr_private_segment_size 0
		.amdhsa_uses_dynamic_stack 0
		.amdhsa_system_sgpr_private_segment_wavefront_offset 0
		.amdhsa_system_sgpr_workgroup_id_x 1
		.amdhsa_system_sgpr_workgroup_id_y 0
		.amdhsa_system_sgpr_workgroup_id_z 0
		.amdhsa_system_sgpr_workgroup_info 0
		.amdhsa_system_vgpr_workitem_id 0
		.amdhsa_next_free_vgpr 1
		.amdhsa_next_free_sgpr 0
		.amdhsa_accum_offset 4
		.amdhsa_reserve_vcc 0
		.amdhsa_reserve_flat_scratch 0
		.amdhsa_float_round_mode_32 0
		.amdhsa_float_round_mode_16_64 0
		.amdhsa_float_denorm_mode_32 3
		.amdhsa_float_denorm_mode_16_64 3
		.amdhsa_dx10_clamp 1
		.amdhsa_ieee_mode 1
		.amdhsa_fp16_overflow 0
		.amdhsa_tg_split 0
		.amdhsa_exception_fp_ieee_invalid_op 0
		.amdhsa_exception_fp_denorm_src 0
		.amdhsa_exception_fp_ieee_div_zero 0
		.amdhsa_exception_fp_ieee_overflow 0
		.amdhsa_exception_fp_ieee_underflow 0
		.amdhsa_exception_fp_ieee_inexact 0
		.amdhsa_exception_int_div_zero 0
	.end_amdhsa_kernel
	.section	.text._ZN7rocprim17ROCPRIM_400000_NS6detail17trampoline_kernelINS0_14default_configENS1_38merge_sort_block_merge_config_selectorItNS0_10empty_typeEEEZZNS1_27merge_sort_block_merge_implIS3_N6thrust23THRUST_200600_302600_NS6detail15normal_iteratorINS9_10device_ptrItEEEEPS5_m14custom_greaterItEEE10hipError_tT0_T1_T2_jT3_P12ihipStream_tbPNSt15iterator_traitsISJ_E10value_typeEPNSP_ISK_E10value_typeEPSL_NS1_7vsmem_tEENKUlT_SJ_SK_SL_E_clISE_PtSF_SF_EESI_SY_SJ_SK_SL_EUlSY_E1_NS1_11comp_targetILNS1_3genE10ELNS1_11target_archE1201ELNS1_3gpuE5ELNS1_3repE0EEENS1_36merge_oddeven_config_static_selectorELNS0_4arch9wavefront6targetE1EEEvSK_,"axG",@progbits,_ZN7rocprim17ROCPRIM_400000_NS6detail17trampoline_kernelINS0_14default_configENS1_38merge_sort_block_merge_config_selectorItNS0_10empty_typeEEEZZNS1_27merge_sort_block_merge_implIS3_N6thrust23THRUST_200600_302600_NS6detail15normal_iteratorINS9_10device_ptrItEEEEPS5_m14custom_greaterItEEE10hipError_tT0_T1_T2_jT3_P12ihipStream_tbPNSt15iterator_traitsISJ_E10value_typeEPNSP_ISK_E10value_typeEPSL_NS1_7vsmem_tEENKUlT_SJ_SK_SL_E_clISE_PtSF_SF_EESI_SY_SJ_SK_SL_EUlSY_E1_NS1_11comp_targetILNS1_3genE10ELNS1_11target_archE1201ELNS1_3gpuE5ELNS1_3repE0EEENS1_36merge_oddeven_config_static_selectorELNS0_4arch9wavefront6targetE1EEEvSK_,comdat
.Lfunc_end3054:
	.size	_ZN7rocprim17ROCPRIM_400000_NS6detail17trampoline_kernelINS0_14default_configENS1_38merge_sort_block_merge_config_selectorItNS0_10empty_typeEEEZZNS1_27merge_sort_block_merge_implIS3_N6thrust23THRUST_200600_302600_NS6detail15normal_iteratorINS9_10device_ptrItEEEEPS5_m14custom_greaterItEEE10hipError_tT0_T1_T2_jT3_P12ihipStream_tbPNSt15iterator_traitsISJ_E10value_typeEPNSP_ISK_E10value_typeEPSL_NS1_7vsmem_tEENKUlT_SJ_SK_SL_E_clISE_PtSF_SF_EESI_SY_SJ_SK_SL_EUlSY_E1_NS1_11comp_targetILNS1_3genE10ELNS1_11target_archE1201ELNS1_3gpuE5ELNS1_3repE0EEENS1_36merge_oddeven_config_static_selectorELNS0_4arch9wavefront6targetE1EEEvSK_, .Lfunc_end3054-_ZN7rocprim17ROCPRIM_400000_NS6detail17trampoline_kernelINS0_14default_configENS1_38merge_sort_block_merge_config_selectorItNS0_10empty_typeEEEZZNS1_27merge_sort_block_merge_implIS3_N6thrust23THRUST_200600_302600_NS6detail15normal_iteratorINS9_10device_ptrItEEEEPS5_m14custom_greaterItEEE10hipError_tT0_T1_T2_jT3_P12ihipStream_tbPNSt15iterator_traitsISJ_E10value_typeEPNSP_ISK_E10value_typeEPSL_NS1_7vsmem_tEENKUlT_SJ_SK_SL_E_clISE_PtSF_SF_EESI_SY_SJ_SK_SL_EUlSY_E1_NS1_11comp_targetILNS1_3genE10ELNS1_11target_archE1201ELNS1_3gpuE5ELNS1_3repE0EEENS1_36merge_oddeven_config_static_selectorELNS0_4arch9wavefront6targetE1EEEvSK_
                                        ; -- End function
	.section	.AMDGPU.csdata,"",@progbits
; Kernel info:
; codeLenInByte = 0
; NumSgprs: 4
; NumVgprs: 0
; NumAgprs: 0
; TotalNumVgprs: 0
; ScratchSize: 0
; MemoryBound: 0
; FloatMode: 240
; IeeeMode: 1
; LDSByteSize: 0 bytes/workgroup (compile time only)
; SGPRBlocks: 0
; VGPRBlocks: 0
; NumSGPRsForWavesPerEU: 4
; NumVGPRsForWavesPerEU: 1
; AccumOffset: 4
; Occupancy: 8
; WaveLimiterHint : 0
; COMPUTE_PGM_RSRC2:SCRATCH_EN: 0
; COMPUTE_PGM_RSRC2:USER_SGPR: 6
; COMPUTE_PGM_RSRC2:TRAP_HANDLER: 0
; COMPUTE_PGM_RSRC2:TGID_X_EN: 1
; COMPUTE_PGM_RSRC2:TGID_Y_EN: 0
; COMPUTE_PGM_RSRC2:TGID_Z_EN: 0
; COMPUTE_PGM_RSRC2:TIDIG_COMP_CNT: 0
; COMPUTE_PGM_RSRC3_GFX90A:ACCUM_OFFSET: 0
; COMPUTE_PGM_RSRC3_GFX90A:TG_SPLIT: 0
	.section	.text._ZN7rocprim17ROCPRIM_400000_NS6detail17trampoline_kernelINS0_14default_configENS1_38merge_sort_block_merge_config_selectorItNS0_10empty_typeEEEZZNS1_27merge_sort_block_merge_implIS3_N6thrust23THRUST_200600_302600_NS6detail15normal_iteratorINS9_10device_ptrItEEEEPS5_m14custom_greaterItEEE10hipError_tT0_T1_T2_jT3_P12ihipStream_tbPNSt15iterator_traitsISJ_E10value_typeEPNSP_ISK_E10value_typeEPSL_NS1_7vsmem_tEENKUlT_SJ_SK_SL_E_clISE_PtSF_SF_EESI_SY_SJ_SK_SL_EUlSY_E1_NS1_11comp_targetILNS1_3genE5ELNS1_11target_archE942ELNS1_3gpuE9ELNS1_3repE0EEENS1_36merge_oddeven_config_static_selectorELNS0_4arch9wavefront6targetE1EEEvSK_,"axG",@progbits,_ZN7rocprim17ROCPRIM_400000_NS6detail17trampoline_kernelINS0_14default_configENS1_38merge_sort_block_merge_config_selectorItNS0_10empty_typeEEEZZNS1_27merge_sort_block_merge_implIS3_N6thrust23THRUST_200600_302600_NS6detail15normal_iteratorINS9_10device_ptrItEEEEPS5_m14custom_greaterItEEE10hipError_tT0_T1_T2_jT3_P12ihipStream_tbPNSt15iterator_traitsISJ_E10value_typeEPNSP_ISK_E10value_typeEPSL_NS1_7vsmem_tEENKUlT_SJ_SK_SL_E_clISE_PtSF_SF_EESI_SY_SJ_SK_SL_EUlSY_E1_NS1_11comp_targetILNS1_3genE5ELNS1_11target_archE942ELNS1_3gpuE9ELNS1_3repE0EEENS1_36merge_oddeven_config_static_selectorELNS0_4arch9wavefront6targetE1EEEvSK_,comdat
	.protected	_ZN7rocprim17ROCPRIM_400000_NS6detail17trampoline_kernelINS0_14default_configENS1_38merge_sort_block_merge_config_selectorItNS0_10empty_typeEEEZZNS1_27merge_sort_block_merge_implIS3_N6thrust23THRUST_200600_302600_NS6detail15normal_iteratorINS9_10device_ptrItEEEEPS5_m14custom_greaterItEEE10hipError_tT0_T1_T2_jT3_P12ihipStream_tbPNSt15iterator_traitsISJ_E10value_typeEPNSP_ISK_E10value_typeEPSL_NS1_7vsmem_tEENKUlT_SJ_SK_SL_E_clISE_PtSF_SF_EESI_SY_SJ_SK_SL_EUlSY_E1_NS1_11comp_targetILNS1_3genE5ELNS1_11target_archE942ELNS1_3gpuE9ELNS1_3repE0EEENS1_36merge_oddeven_config_static_selectorELNS0_4arch9wavefront6targetE1EEEvSK_ ; -- Begin function _ZN7rocprim17ROCPRIM_400000_NS6detail17trampoline_kernelINS0_14default_configENS1_38merge_sort_block_merge_config_selectorItNS0_10empty_typeEEEZZNS1_27merge_sort_block_merge_implIS3_N6thrust23THRUST_200600_302600_NS6detail15normal_iteratorINS9_10device_ptrItEEEEPS5_m14custom_greaterItEEE10hipError_tT0_T1_T2_jT3_P12ihipStream_tbPNSt15iterator_traitsISJ_E10value_typeEPNSP_ISK_E10value_typeEPSL_NS1_7vsmem_tEENKUlT_SJ_SK_SL_E_clISE_PtSF_SF_EESI_SY_SJ_SK_SL_EUlSY_E1_NS1_11comp_targetILNS1_3genE5ELNS1_11target_archE942ELNS1_3gpuE9ELNS1_3repE0EEENS1_36merge_oddeven_config_static_selectorELNS0_4arch9wavefront6targetE1EEEvSK_
	.globl	_ZN7rocprim17ROCPRIM_400000_NS6detail17trampoline_kernelINS0_14default_configENS1_38merge_sort_block_merge_config_selectorItNS0_10empty_typeEEEZZNS1_27merge_sort_block_merge_implIS3_N6thrust23THRUST_200600_302600_NS6detail15normal_iteratorINS9_10device_ptrItEEEEPS5_m14custom_greaterItEEE10hipError_tT0_T1_T2_jT3_P12ihipStream_tbPNSt15iterator_traitsISJ_E10value_typeEPNSP_ISK_E10value_typeEPSL_NS1_7vsmem_tEENKUlT_SJ_SK_SL_E_clISE_PtSF_SF_EESI_SY_SJ_SK_SL_EUlSY_E1_NS1_11comp_targetILNS1_3genE5ELNS1_11target_archE942ELNS1_3gpuE9ELNS1_3repE0EEENS1_36merge_oddeven_config_static_selectorELNS0_4arch9wavefront6targetE1EEEvSK_
	.p2align	8
	.type	_ZN7rocprim17ROCPRIM_400000_NS6detail17trampoline_kernelINS0_14default_configENS1_38merge_sort_block_merge_config_selectorItNS0_10empty_typeEEEZZNS1_27merge_sort_block_merge_implIS3_N6thrust23THRUST_200600_302600_NS6detail15normal_iteratorINS9_10device_ptrItEEEEPS5_m14custom_greaterItEEE10hipError_tT0_T1_T2_jT3_P12ihipStream_tbPNSt15iterator_traitsISJ_E10value_typeEPNSP_ISK_E10value_typeEPSL_NS1_7vsmem_tEENKUlT_SJ_SK_SL_E_clISE_PtSF_SF_EESI_SY_SJ_SK_SL_EUlSY_E1_NS1_11comp_targetILNS1_3genE5ELNS1_11target_archE942ELNS1_3gpuE9ELNS1_3repE0EEENS1_36merge_oddeven_config_static_selectorELNS0_4arch9wavefront6targetE1EEEvSK_,@function
_ZN7rocprim17ROCPRIM_400000_NS6detail17trampoline_kernelINS0_14default_configENS1_38merge_sort_block_merge_config_selectorItNS0_10empty_typeEEEZZNS1_27merge_sort_block_merge_implIS3_N6thrust23THRUST_200600_302600_NS6detail15normal_iteratorINS9_10device_ptrItEEEEPS5_m14custom_greaterItEEE10hipError_tT0_T1_T2_jT3_P12ihipStream_tbPNSt15iterator_traitsISJ_E10value_typeEPNSP_ISK_E10value_typeEPSL_NS1_7vsmem_tEENKUlT_SJ_SK_SL_E_clISE_PtSF_SF_EESI_SY_SJ_SK_SL_EUlSY_E1_NS1_11comp_targetILNS1_3genE5ELNS1_11target_archE942ELNS1_3gpuE9ELNS1_3repE0EEENS1_36merge_oddeven_config_static_selectorELNS0_4arch9wavefront6targetE1EEEvSK_: ; @_ZN7rocprim17ROCPRIM_400000_NS6detail17trampoline_kernelINS0_14default_configENS1_38merge_sort_block_merge_config_selectorItNS0_10empty_typeEEEZZNS1_27merge_sort_block_merge_implIS3_N6thrust23THRUST_200600_302600_NS6detail15normal_iteratorINS9_10device_ptrItEEEEPS5_m14custom_greaterItEEE10hipError_tT0_T1_T2_jT3_P12ihipStream_tbPNSt15iterator_traitsISJ_E10value_typeEPNSP_ISK_E10value_typeEPSL_NS1_7vsmem_tEENKUlT_SJ_SK_SL_E_clISE_PtSF_SF_EESI_SY_SJ_SK_SL_EUlSY_E1_NS1_11comp_targetILNS1_3genE5ELNS1_11target_archE942ELNS1_3gpuE9ELNS1_3repE0EEENS1_36merge_oddeven_config_static_selectorELNS0_4arch9wavefront6targetE1EEEvSK_
; %bb.0:
	.section	.rodata,"a",@progbits
	.p2align	6, 0x0
	.amdhsa_kernel _ZN7rocprim17ROCPRIM_400000_NS6detail17trampoline_kernelINS0_14default_configENS1_38merge_sort_block_merge_config_selectorItNS0_10empty_typeEEEZZNS1_27merge_sort_block_merge_implIS3_N6thrust23THRUST_200600_302600_NS6detail15normal_iteratorINS9_10device_ptrItEEEEPS5_m14custom_greaterItEEE10hipError_tT0_T1_T2_jT3_P12ihipStream_tbPNSt15iterator_traitsISJ_E10value_typeEPNSP_ISK_E10value_typeEPSL_NS1_7vsmem_tEENKUlT_SJ_SK_SL_E_clISE_PtSF_SF_EESI_SY_SJ_SK_SL_EUlSY_E1_NS1_11comp_targetILNS1_3genE5ELNS1_11target_archE942ELNS1_3gpuE9ELNS1_3repE0EEENS1_36merge_oddeven_config_static_selectorELNS0_4arch9wavefront6targetE1EEEvSK_
		.amdhsa_group_segment_fixed_size 0
		.amdhsa_private_segment_fixed_size 0
		.amdhsa_kernarg_size 56
		.amdhsa_user_sgpr_count 6
		.amdhsa_user_sgpr_private_segment_buffer 1
		.amdhsa_user_sgpr_dispatch_ptr 0
		.amdhsa_user_sgpr_queue_ptr 0
		.amdhsa_user_sgpr_kernarg_segment_ptr 1
		.amdhsa_user_sgpr_dispatch_id 0
		.amdhsa_user_sgpr_flat_scratch_init 0
		.amdhsa_user_sgpr_kernarg_preload_length 0
		.amdhsa_user_sgpr_kernarg_preload_offset 0
		.amdhsa_user_sgpr_private_segment_size 0
		.amdhsa_uses_dynamic_stack 0
		.amdhsa_system_sgpr_private_segment_wavefront_offset 0
		.amdhsa_system_sgpr_workgroup_id_x 1
		.amdhsa_system_sgpr_workgroup_id_y 0
		.amdhsa_system_sgpr_workgroup_id_z 0
		.amdhsa_system_sgpr_workgroup_info 0
		.amdhsa_system_vgpr_workitem_id 0
		.amdhsa_next_free_vgpr 1
		.amdhsa_next_free_sgpr 0
		.amdhsa_accum_offset 4
		.amdhsa_reserve_vcc 0
		.amdhsa_reserve_flat_scratch 0
		.amdhsa_float_round_mode_32 0
		.amdhsa_float_round_mode_16_64 0
		.amdhsa_float_denorm_mode_32 3
		.amdhsa_float_denorm_mode_16_64 3
		.amdhsa_dx10_clamp 1
		.amdhsa_ieee_mode 1
		.amdhsa_fp16_overflow 0
		.amdhsa_tg_split 0
		.amdhsa_exception_fp_ieee_invalid_op 0
		.amdhsa_exception_fp_denorm_src 0
		.amdhsa_exception_fp_ieee_div_zero 0
		.amdhsa_exception_fp_ieee_overflow 0
		.amdhsa_exception_fp_ieee_underflow 0
		.amdhsa_exception_fp_ieee_inexact 0
		.amdhsa_exception_int_div_zero 0
	.end_amdhsa_kernel
	.section	.text._ZN7rocprim17ROCPRIM_400000_NS6detail17trampoline_kernelINS0_14default_configENS1_38merge_sort_block_merge_config_selectorItNS0_10empty_typeEEEZZNS1_27merge_sort_block_merge_implIS3_N6thrust23THRUST_200600_302600_NS6detail15normal_iteratorINS9_10device_ptrItEEEEPS5_m14custom_greaterItEEE10hipError_tT0_T1_T2_jT3_P12ihipStream_tbPNSt15iterator_traitsISJ_E10value_typeEPNSP_ISK_E10value_typeEPSL_NS1_7vsmem_tEENKUlT_SJ_SK_SL_E_clISE_PtSF_SF_EESI_SY_SJ_SK_SL_EUlSY_E1_NS1_11comp_targetILNS1_3genE5ELNS1_11target_archE942ELNS1_3gpuE9ELNS1_3repE0EEENS1_36merge_oddeven_config_static_selectorELNS0_4arch9wavefront6targetE1EEEvSK_,"axG",@progbits,_ZN7rocprim17ROCPRIM_400000_NS6detail17trampoline_kernelINS0_14default_configENS1_38merge_sort_block_merge_config_selectorItNS0_10empty_typeEEEZZNS1_27merge_sort_block_merge_implIS3_N6thrust23THRUST_200600_302600_NS6detail15normal_iteratorINS9_10device_ptrItEEEEPS5_m14custom_greaterItEEE10hipError_tT0_T1_T2_jT3_P12ihipStream_tbPNSt15iterator_traitsISJ_E10value_typeEPNSP_ISK_E10value_typeEPSL_NS1_7vsmem_tEENKUlT_SJ_SK_SL_E_clISE_PtSF_SF_EESI_SY_SJ_SK_SL_EUlSY_E1_NS1_11comp_targetILNS1_3genE5ELNS1_11target_archE942ELNS1_3gpuE9ELNS1_3repE0EEENS1_36merge_oddeven_config_static_selectorELNS0_4arch9wavefront6targetE1EEEvSK_,comdat
.Lfunc_end3055:
	.size	_ZN7rocprim17ROCPRIM_400000_NS6detail17trampoline_kernelINS0_14default_configENS1_38merge_sort_block_merge_config_selectorItNS0_10empty_typeEEEZZNS1_27merge_sort_block_merge_implIS3_N6thrust23THRUST_200600_302600_NS6detail15normal_iteratorINS9_10device_ptrItEEEEPS5_m14custom_greaterItEEE10hipError_tT0_T1_T2_jT3_P12ihipStream_tbPNSt15iterator_traitsISJ_E10value_typeEPNSP_ISK_E10value_typeEPSL_NS1_7vsmem_tEENKUlT_SJ_SK_SL_E_clISE_PtSF_SF_EESI_SY_SJ_SK_SL_EUlSY_E1_NS1_11comp_targetILNS1_3genE5ELNS1_11target_archE942ELNS1_3gpuE9ELNS1_3repE0EEENS1_36merge_oddeven_config_static_selectorELNS0_4arch9wavefront6targetE1EEEvSK_, .Lfunc_end3055-_ZN7rocprim17ROCPRIM_400000_NS6detail17trampoline_kernelINS0_14default_configENS1_38merge_sort_block_merge_config_selectorItNS0_10empty_typeEEEZZNS1_27merge_sort_block_merge_implIS3_N6thrust23THRUST_200600_302600_NS6detail15normal_iteratorINS9_10device_ptrItEEEEPS5_m14custom_greaterItEEE10hipError_tT0_T1_T2_jT3_P12ihipStream_tbPNSt15iterator_traitsISJ_E10value_typeEPNSP_ISK_E10value_typeEPSL_NS1_7vsmem_tEENKUlT_SJ_SK_SL_E_clISE_PtSF_SF_EESI_SY_SJ_SK_SL_EUlSY_E1_NS1_11comp_targetILNS1_3genE5ELNS1_11target_archE942ELNS1_3gpuE9ELNS1_3repE0EEENS1_36merge_oddeven_config_static_selectorELNS0_4arch9wavefront6targetE1EEEvSK_
                                        ; -- End function
	.section	.AMDGPU.csdata,"",@progbits
; Kernel info:
; codeLenInByte = 0
; NumSgprs: 4
; NumVgprs: 0
; NumAgprs: 0
; TotalNumVgprs: 0
; ScratchSize: 0
; MemoryBound: 0
; FloatMode: 240
; IeeeMode: 1
; LDSByteSize: 0 bytes/workgroup (compile time only)
; SGPRBlocks: 0
; VGPRBlocks: 0
; NumSGPRsForWavesPerEU: 4
; NumVGPRsForWavesPerEU: 1
; AccumOffset: 4
; Occupancy: 8
; WaveLimiterHint : 0
; COMPUTE_PGM_RSRC2:SCRATCH_EN: 0
; COMPUTE_PGM_RSRC2:USER_SGPR: 6
; COMPUTE_PGM_RSRC2:TRAP_HANDLER: 0
; COMPUTE_PGM_RSRC2:TGID_X_EN: 1
; COMPUTE_PGM_RSRC2:TGID_Y_EN: 0
; COMPUTE_PGM_RSRC2:TGID_Z_EN: 0
; COMPUTE_PGM_RSRC2:TIDIG_COMP_CNT: 0
; COMPUTE_PGM_RSRC3_GFX90A:ACCUM_OFFSET: 0
; COMPUTE_PGM_RSRC3_GFX90A:TG_SPLIT: 0
	.section	.text._ZN7rocprim17ROCPRIM_400000_NS6detail17trampoline_kernelINS0_14default_configENS1_38merge_sort_block_merge_config_selectorItNS0_10empty_typeEEEZZNS1_27merge_sort_block_merge_implIS3_N6thrust23THRUST_200600_302600_NS6detail15normal_iteratorINS9_10device_ptrItEEEEPS5_m14custom_greaterItEEE10hipError_tT0_T1_T2_jT3_P12ihipStream_tbPNSt15iterator_traitsISJ_E10value_typeEPNSP_ISK_E10value_typeEPSL_NS1_7vsmem_tEENKUlT_SJ_SK_SL_E_clISE_PtSF_SF_EESI_SY_SJ_SK_SL_EUlSY_E1_NS1_11comp_targetILNS1_3genE4ELNS1_11target_archE910ELNS1_3gpuE8ELNS1_3repE0EEENS1_36merge_oddeven_config_static_selectorELNS0_4arch9wavefront6targetE1EEEvSK_,"axG",@progbits,_ZN7rocprim17ROCPRIM_400000_NS6detail17trampoline_kernelINS0_14default_configENS1_38merge_sort_block_merge_config_selectorItNS0_10empty_typeEEEZZNS1_27merge_sort_block_merge_implIS3_N6thrust23THRUST_200600_302600_NS6detail15normal_iteratorINS9_10device_ptrItEEEEPS5_m14custom_greaterItEEE10hipError_tT0_T1_T2_jT3_P12ihipStream_tbPNSt15iterator_traitsISJ_E10value_typeEPNSP_ISK_E10value_typeEPSL_NS1_7vsmem_tEENKUlT_SJ_SK_SL_E_clISE_PtSF_SF_EESI_SY_SJ_SK_SL_EUlSY_E1_NS1_11comp_targetILNS1_3genE4ELNS1_11target_archE910ELNS1_3gpuE8ELNS1_3repE0EEENS1_36merge_oddeven_config_static_selectorELNS0_4arch9wavefront6targetE1EEEvSK_,comdat
	.protected	_ZN7rocprim17ROCPRIM_400000_NS6detail17trampoline_kernelINS0_14default_configENS1_38merge_sort_block_merge_config_selectorItNS0_10empty_typeEEEZZNS1_27merge_sort_block_merge_implIS3_N6thrust23THRUST_200600_302600_NS6detail15normal_iteratorINS9_10device_ptrItEEEEPS5_m14custom_greaterItEEE10hipError_tT0_T1_T2_jT3_P12ihipStream_tbPNSt15iterator_traitsISJ_E10value_typeEPNSP_ISK_E10value_typeEPSL_NS1_7vsmem_tEENKUlT_SJ_SK_SL_E_clISE_PtSF_SF_EESI_SY_SJ_SK_SL_EUlSY_E1_NS1_11comp_targetILNS1_3genE4ELNS1_11target_archE910ELNS1_3gpuE8ELNS1_3repE0EEENS1_36merge_oddeven_config_static_selectorELNS0_4arch9wavefront6targetE1EEEvSK_ ; -- Begin function _ZN7rocprim17ROCPRIM_400000_NS6detail17trampoline_kernelINS0_14default_configENS1_38merge_sort_block_merge_config_selectorItNS0_10empty_typeEEEZZNS1_27merge_sort_block_merge_implIS3_N6thrust23THRUST_200600_302600_NS6detail15normal_iteratorINS9_10device_ptrItEEEEPS5_m14custom_greaterItEEE10hipError_tT0_T1_T2_jT3_P12ihipStream_tbPNSt15iterator_traitsISJ_E10value_typeEPNSP_ISK_E10value_typeEPSL_NS1_7vsmem_tEENKUlT_SJ_SK_SL_E_clISE_PtSF_SF_EESI_SY_SJ_SK_SL_EUlSY_E1_NS1_11comp_targetILNS1_3genE4ELNS1_11target_archE910ELNS1_3gpuE8ELNS1_3repE0EEENS1_36merge_oddeven_config_static_selectorELNS0_4arch9wavefront6targetE1EEEvSK_
	.globl	_ZN7rocprim17ROCPRIM_400000_NS6detail17trampoline_kernelINS0_14default_configENS1_38merge_sort_block_merge_config_selectorItNS0_10empty_typeEEEZZNS1_27merge_sort_block_merge_implIS3_N6thrust23THRUST_200600_302600_NS6detail15normal_iteratorINS9_10device_ptrItEEEEPS5_m14custom_greaterItEEE10hipError_tT0_T1_T2_jT3_P12ihipStream_tbPNSt15iterator_traitsISJ_E10value_typeEPNSP_ISK_E10value_typeEPSL_NS1_7vsmem_tEENKUlT_SJ_SK_SL_E_clISE_PtSF_SF_EESI_SY_SJ_SK_SL_EUlSY_E1_NS1_11comp_targetILNS1_3genE4ELNS1_11target_archE910ELNS1_3gpuE8ELNS1_3repE0EEENS1_36merge_oddeven_config_static_selectorELNS0_4arch9wavefront6targetE1EEEvSK_
	.p2align	8
	.type	_ZN7rocprim17ROCPRIM_400000_NS6detail17trampoline_kernelINS0_14default_configENS1_38merge_sort_block_merge_config_selectorItNS0_10empty_typeEEEZZNS1_27merge_sort_block_merge_implIS3_N6thrust23THRUST_200600_302600_NS6detail15normal_iteratorINS9_10device_ptrItEEEEPS5_m14custom_greaterItEEE10hipError_tT0_T1_T2_jT3_P12ihipStream_tbPNSt15iterator_traitsISJ_E10value_typeEPNSP_ISK_E10value_typeEPSL_NS1_7vsmem_tEENKUlT_SJ_SK_SL_E_clISE_PtSF_SF_EESI_SY_SJ_SK_SL_EUlSY_E1_NS1_11comp_targetILNS1_3genE4ELNS1_11target_archE910ELNS1_3gpuE8ELNS1_3repE0EEENS1_36merge_oddeven_config_static_selectorELNS0_4arch9wavefront6targetE1EEEvSK_,@function
_ZN7rocprim17ROCPRIM_400000_NS6detail17trampoline_kernelINS0_14default_configENS1_38merge_sort_block_merge_config_selectorItNS0_10empty_typeEEEZZNS1_27merge_sort_block_merge_implIS3_N6thrust23THRUST_200600_302600_NS6detail15normal_iteratorINS9_10device_ptrItEEEEPS5_m14custom_greaterItEEE10hipError_tT0_T1_T2_jT3_P12ihipStream_tbPNSt15iterator_traitsISJ_E10value_typeEPNSP_ISK_E10value_typeEPSL_NS1_7vsmem_tEENKUlT_SJ_SK_SL_E_clISE_PtSF_SF_EESI_SY_SJ_SK_SL_EUlSY_E1_NS1_11comp_targetILNS1_3genE4ELNS1_11target_archE910ELNS1_3gpuE8ELNS1_3repE0EEENS1_36merge_oddeven_config_static_selectorELNS0_4arch9wavefront6targetE1EEEvSK_: ; @_ZN7rocprim17ROCPRIM_400000_NS6detail17trampoline_kernelINS0_14default_configENS1_38merge_sort_block_merge_config_selectorItNS0_10empty_typeEEEZZNS1_27merge_sort_block_merge_implIS3_N6thrust23THRUST_200600_302600_NS6detail15normal_iteratorINS9_10device_ptrItEEEEPS5_m14custom_greaterItEEE10hipError_tT0_T1_T2_jT3_P12ihipStream_tbPNSt15iterator_traitsISJ_E10value_typeEPNSP_ISK_E10value_typeEPSL_NS1_7vsmem_tEENKUlT_SJ_SK_SL_E_clISE_PtSF_SF_EESI_SY_SJ_SK_SL_EUlSY_E1_NS1_11comp_targetILNS1_3genE4ELNS1_11target_archE910ELNS1_3gpuE8ELNS1_3repE0EEENS1_36merge_oddeven_config_static_selectorELNS0_4arch9wavefront6targetE1EEEvSK_
; %bb.0:
	s_load_dword s18, s[4:5], 0x20
	s_waitcnt lgkmcnt(0)
	s_lshr_b32 s0, s18, 8
	s_cmp_lg_u32 s6, s0
	s_cselect_b64 s[14:15], -1, 0
	s_cmp_eq_u32 s6, s0
	s_cselect_b64 s[12:13], -1, 0
	s_lshl_b32 s16, s6, 8
	s_sub_i32 s0, s18, s16
	v_cmp_gt_u32_e64 s[2:3], s0, v0
	s_or_b64 s[0:1], s[14:15], s[2:3]
	s_and_saveexec_b64 s[8:9], s[0:1]
	s_cbranch_execz .LBB3056_20
; %bb.1:
	s_load_dwordx4 s[8:11], s[4:5], 0x0
	s_load_dword s19, s[4:5], 0x28
	s_mov_b32 s17, 0
	s_lshl_b64 s[0:1], s[16:17], 1
	v_lshlrev_b32_e32 v1, 1, v0
	s_waitcnt lgkmcnt(0)
	s_add_u32 s0, s8, s0
	s_addc_u32 s1, s9, s1
	global_load_ushort v2, v1, s[0:1]
	s_lshr_b32 s0, s19, 8
	s_sub_i32 s1, 0, s0
	s_and_b32 s1, s6, s1
	s_and_b32 s0, s1, s0
	s_lshl_b32 s20, s1, 8
	s_sub_i32 s6, 0, s19
	s_cmp_eq_u32 s0, 0
	s_cselect_b64 s[0:1], -1, 0
	s_and_b64 s[4:5], s[0:1], exec
	s_cselect_b32 s17, s19, s6
	s_add_i32 s17, s17, s20
	s_cmp_lt_u32 s17, s18
	v_add_u32_e32 v0, s16, v0
	s_cbranch_scc1 .LBB3056_3
; %bb.2:
	v_cmp_gt_u32_e32 vcc, s18, v0
	s_or_b64 s[4:5], vcc, s[14:15]
	s_and_b64 s[4:5], s[4:5], exec
	s_cbranch_execz .LBB3056_4
	s_branch .LBB3056_18
.LBB3056_3:
	s_mov_b64 s[4:5], 0
.LBB3056_4:
	s_min_u32 s14, s17, s18
	s_add_i32 s6, s14, s19
	s_min_u32 s15, s6, s18
	s_min_u32 s6, s20, s14
	s_add_i32 s20, s20, s14
	v_subrev_u32_e32 v0, s20, v0
	v_add_u32_e32 v1, s6, v0
	s_and_b64 vcc, exec, s[12:13]
	s_cbranch_vccz .LBB3056_12
; %bb.5:
                                        ; implicit-def: $vgpr0
	s_and_saveexec_b64 s[6:7], s[2:3]
	s_cbranch_execz .LBB3056_11
; %bb.6:
	s_cmp_ge_u32 s17, s15
	v_mov_b32_e32 v0, s14
	s_cbranch_scc1 .LBB3056_10
; %bb.7:
	s_mov_b64 s[2:3], 0
	v_mov_b32_e32 v3, s15
	v_mov_b32_e32 v0, s14
.LBB3056_8:                             ; =>This Inner Loop Header: Depth=1
	v_add_u32_e32 v4, v0, v3
	v_and_b32_e32 v5, -2, v4
	global_load_ushort v5, v5, s[8:9]
	v_lshrrev_b32_e32 v4, 1, v4
	v_add_u32_e32 v6, 1, v4
	s_waitcnt vmcnt(0)
	v_cmp_gt_u16_e32 vcc, v2, v5
	v_cndmask_b32_e64 v7, 0, 1, vcc
	v_cmp_le_u16_e32 vcc, v5, v2
	v_cndmask_b32_e64 v5, 0, 1, vcc
	v_cndmask_b32_e64 v5, v5, v7, s[0:1]
	v_and_b32_e32 v5, 1, v5
	v_cmp_eq_u32_e32 vcc, 1, v5
	v_cndmask_b32_e32 v3, v4, v3, vcc
	v_cndmask_b32_e32 v0, v0, v6, vcc
	v_cmp_ge_u32_e32 vcc, v0, v3
	s_or_b64 s[2:3], vcc, s[2:3]
	s_andn2_b64 exec, exec, s[2:3]
	s_cbranch_execnz .LBB3056_8
; %bb.9:
	s_or_b64 exec, exec, s[2:3]
.LBB3056_10:
	v_add_u32_e32 v0, v0, v1
	s_or_b64 s[4:5], s[4:5], exec
.LBB3056_11:
	s_or_b64 exec, exec, s[6:7]
	s_branch .LBB3056_18
.LBB3056_12:
                                        ; implicit-def: $vgpr0
	s_cbranch_execz .LBB3056_18
; %bb.13:
	s_cmp_ge_u32 s17, s15
	v_mov_b32_e32 v0, s14
	s_cbranch_scc1 .LBB3056_17
; %bb.14:
	s_mov_b64 s[2:3], 0
	v_mov_b32_e32 v3, s15
	v_mov_b32_e32 v0, s14
.LBB3056_15:                            ; =>This Inner Loop Header: Depth=1
	v_add_u32_e32 v4, v0, v3
	v_and_b32_e32 v5, -2, v4
	global_load_ushort v5, v5, s[8:9]
	v_lshrrev_b32_e32 v4, 1, v4
	v_add_u32_e32 v6, 1, v4
	s_waitcnt vmcnt(0)
	v_cmp_gt_u16_e32 vcc, v2, v5
	v_cndmask_b32_e64 v7, 0, 1, vcc
	v_cmp_le_u16_e32 vcc, v5, v2
	v_cndmask_b32_e64 v5, 0, 1, vcc
	v_cndmask_b32_e64 v5, v5, v7, s[0:1]
	v_and_b32_e32 v5, 1, v5
	v_cmp_eq_u32_e32 vcc, 1, v5
	v_cndmask_b32_e32 v3, v4, v3, vcc
	v_cndmask_b32_e32 v0, v0, v6, vcc
	v_cmp_ge_u32_e32 vcc, v0, v3
	s_or_b64 s[2:3], vcc, s[2:3]
	s_andn2_b64 exec, exec, s[2:3]
	s_cbranch_execnz .LBB3056_15
; %bb.16:
	s_or_b64 exec, exec, s[2:3]
.LBB3056_17:
	v_add_u32_e32 v0, v0, v1
	s_mov_b64 s[4:5], -1
.LBB3056_18:
	s_and_b64 exec, exec, s[4:5]
	s_cbranch_execz .LBB3056_20
; %bb.19:
	v_mov_b32_e32 v1, 0
	v_lshlrev_b64 v[0:1], 1, v[0:1]
	v_mov_b32_e32 v3, s11
	v_add_co_u32_e32 v0, vcc, s10, v0
	v_addc_co_u32_e32 v1, vcc, v3, v1, vcc
	s_waitcnt vmcnt(0)
	global_store_short v[0:1], v2, off
.LBB3056_20:
	s_endpgm
	.section	.rodata,"a",@progbits
	.p2align	6, 0x0
	.amdhsa_kernel _ZN7rocprim17ROCPRIM_400000_NS6detail17trampoline_kernelINS0_14default_configENS1_38merge_sort_block_merge_config_selectorItNS0_10empty_typeEEEZZNS1_27merge_sort_block_merge_implIS3_N6thrust23THRUST_200600_302600_NS6detail15normal_iteratorINS9_10device_ptrItEEEEPS5_m14custom_greaterItEEE10hipError_tT0_T1_T2_jT3_P12ihipStream_tbPNSt15iterator_traitsISJ_E10value_typeEPNSP_ISK_E10value_typeEPSL_NS1_7vsmem_tEENKUlT_SJ_SK_SL_E_clISE_PtSF_SF_EESI_SY_SJ_SK_SL_EUlSY_E1_NS1_11comp_targetILNS1_3genE4ELNS1_11target_archE910ELNS1_3gpuE8ELNS1_3repE0EEENS1_36merge_oddeven_config_static_selectorELNS0_4arch9wavefront6targetE1EEEvSK_
		.amdhsa_group_segment_fixed_size 0
		.amdhsa_private_segment_fixed_size 0
		.amdhsa_kernarg_size 56
		.amdhsa_user_sgpr_count 6
		.amdhsa_user_sgpr_private_segment_buffer 1
		.amdhsa_user_sgpr_dispatch_ptr 0
		.amdhsa_user_sgpr_queue_ptr 0
		.amdhsa_user_sgpr_kernarg_segment_ptr 1
		.amdhsa_user_sgpr_dispatch_id 0
		.amdhsa_user_sgpr_flat_scratch_init 0
		.amdhsa_user_sgpr_kernarg_preload_length 0
		.amdhsa_user_sgpr_kernarg_preload_offset 0
		.amdhsa_user_sgpr_private_segment_size 0
		.amdhsa_uses_dynamic_stack 0
		.amdhsa_system_sgpr_private_segment_wavefront_offset 0
		.amdhsa_system_sgpr_workgroup_id_x 1
		.amdhsa_system_sgpr_workgroup_id_y 0
		.amdhsa_system_sgpr_workgroup_id_z 0
		.amdhsa_system_sgpr_workgroup_info 0
		.amdhsa_system_vgpr_workitem_id 0
		.amdhsa_next_free_vgpr 8
		.amdhsa_next_free_sgpr 21
		.amdhsa_accum_offset 8
		.amdhsa_reserve_vcc 1
		.amdhsa_reserve_flat_scratch 0
		.amdhsa_float_round_mode_32 0
		.amdhsa_float_round_mode_16_64 0
		.amdhsa_float_denorm_mode_32 3
		.amdhsa_float_denorm_mode_16_64 3
		.amdhsa_dx10_clamp 1
		.amdhsa_ieee_mode 1
		.amdhsa_fp16_overflow 0
		.amdhsa_tg_split 0
		.amdhsa_exception_fp_ieee_invalid_op 0
		.amdhsa_exception_fp_denorm_src 0
		.amdhsa_exception_fp_ieee_div_zero 0
		.amdhsa_exception_fp_ieee_overflow 0
		.amdhsa_exception_fp_ieee_underflow 0
		.amdhsa_exception_fp_ieee_inexact 0
		.amdhsa_exception_int_div_zero 0
	.end_amdhsa_kernel
	.section	.text._ZN7rocprim17ROCPRIM_400000_NS6detail17trampoline_kernelINS0_14default_configENS1_38merge_sort_block_merge_config_selectorItNS0_10empty_typeEEEZZNS1_27merge_sort_block_merge_implIS3_N6thrust23THRUST_200600_302600_NS6detail15normal_iteratorINS9_10device_ptrItEEEEPS5_m14custom_greaterItEEE10hipError_tT0_T1_T2_jT3_P12ihipStream_tbPNSt15iterator_traitsISJ_E10value_typeEPNSP_ISK_E10value_typeEPSL_NS1_7vsmem_tEENKUlT_SJ_SK_SL_E_clISE_PtSF_SF_EESI_SY_SJ_SK_SL_EUlSY_E1_NS1_11comp_targetILNS1_3genE4ELNS1_11target_archE910ELNS1_3gpuE8ELNS1_3repE0EEENS1_36merge_oddeven_config_static_selectorELNS0_4arch9wavefront6targetE1EEEvSK_,"axG",@progbits,_ZN7rocprim17ROCPRIM_400000_NS6detail17trampoline_kernelINS0_14default_configENS1_38merge_sort_block_merge_config_selectorItNS0_10empty_typeEEEZZNS1_27merge_sort_block_merge_implIS3_N6thrust23THRUST_200600_302600_NS6detail15normal_iteratorINS9_10device_ptrItEEEEPS5_m14custom_greaterItEEE10hipError_tT0_T1_T2_jT3_P12ihipStream_tbPNSt15iterator_traitsISJ_E10value_typeEPNSP_ISK_E10value_typeEPSL_NS1_7vsmem_tEENKUlT_SJ_SK_SL_E_clISE_PtSF_SF_EESI_SY_SJ_SK_SL_EUlSY_E1_NS1_11comp_targetILNS1_3genE4ELNS1_11target_archE910ELNS1_3gpuE8ELNS1_3repE0EEENS1_36merge_oddeven_config_static_selectorELNS0_4arch9wavefront6targetE1EEEvSK_,comdat
.Lfunc_end3056:
	.size	_ZN7rocprim17ROCPRIM_400000_NS6detail17trampoline_kernelINS0_14default_configENS1_38merge_sort_block_merge_config_selectorItNS0_10empty_typeEEEZZNS1_27merge_sort_block_merge_implIS3_N6thrust23THRUST_200600_302600_NS6detail15normal_iteratorINS9_10device_ptrItEEEEPS5_m14custom_greaterItEEE10hipError_tT0_T1_T2_jT3_P12ihipStream_tbPNSt15iterator_traitsISJ_E10value_typeEPNSP_ISK_E10value_typeEPSL_NS1_7vsmem_tEENKUlT_SJ_SK_SL_E_clISE_PtSF_SF_EESI_SY_SJ_SK_SL_EUlSY_E1_NS1_11comp_targetILNS1_3genE4ELNS1_11target_archE910ELNS1_3gpuE8ELNS1_3repE0EEENS1_36merge_oddeven_config_static_selectorELNS0_4arch9wavefront6targetE1EEEvSK_, .Lfunc_end3056-_ZN7rocprim17ROCPRIM_400000_NS6detail17trampoline_kernelINS0_14default_configENS1_38merge_sort_block_merge_config_selectorItNS0_10empty_typeEEEZZNS1_27merge_sort_block_merge_implIS3_N6thrust23THRUST_200600_302600_NS6detail15normal_iteratorINS9_10device_ptrItEEEEPS5_m14custom_greaterItEEE10hipError_tT0_T1_T2_jT3_P12ihipStream_tbPNSt15iterator_traitsISJ_E10value_typeEPNSP_ISK_E10value_typeEPSL_NS1_7vsmem_tEENKUlT_SJ_SK_SL_E_clISE_PtSF_SF_EESI_SY_SJ_SK_SL_EUlSY_E1_NS1_11comp_targetILNS1_3genE4ELNS1_11target_archE910ELNS1_3gpuE8ELNS1_3repE0EEENS1_36merge_oddeven_config_static_selectorELNS0_4arch9wavefront6targetE1EEEvSK_
                                        ; -- End function
	.section	.AMDGPU.csdata,"",@progbits
; Kernel info:
; codeLenInByte = 548
; NumSgprs: 25
; NumVgprs: 8
; NumAgprs: 0
; TotalNumVgprs: 8
; ScratchSize: 0
; MemoryBound: 0
; FloatMode: 240
; IeeeMode: 1
; LDSByteSize: 0 bytes/workgroup (compile time only)
; SGPRBlocks: 3
; VGPRBlocks: 0
; NumSGPRsForWavesPerEU: 25
; NumVGPRsForWavesPerEU: 8
; AccumOffset: 8
; Occupancy: 8
; WaveLimiterHint : 0
; COMPUTE_PGM_RSRC2:SCRATCH_EN: 0
; COMPUTE_PGM_RSRC2:USER_SGPR: 6
; COMPUTE_PGM_RSRC2:TRAP_HANDLER: 0
; COMPUTE_PGM_RSRC2:TGID_X_EN: 1
; COMPUTE_PGM_RSRC2:TGID_Y_EN: 0
; COMPUTE_PGM_RSRC2:TGID_Z_EN: 0
; COMPUTE_PGM_RSRC2:TIDIG_COMP_CNT: 0
; COMPUTE_PGM_RSRC3_GFX90A:ACCUM_OFFSET: 1
; COMPUTE_PGM_RSRC3_GFX90A:TG_SPLIT: 0
	.section	.text._ZN7rocprim17ROCPRIM_400000_NS6detail17trampoline_kernelINS0_14default_configENS1_38merge_sort_block_merge_config_selectorItNS0_10empty_typeEEEZZNS1_27merge_sort_block_merge_implIS3_N6thrust23THRUST_200600_302600_NS6detail15normal_iteratorINS9_10device_ptrItEEEEPS5_m14custom_greaterItEEE10hipError_tT0_T1_T2_jT3_P12ihipStream_tbPNSt15iterator_traitsISJ_E10value_typeEPNSP_ISK_E10value_typeEPSL_NS1_7vsmem_tEENKUlT_SJ_SK_SL_E_clISE_PtSF_SF_EESI_SY_SJ_SK_SL_EUlSY_E1_NS1_11comp_targetILNS1_3genE3ELNS1_11target_archE908ELNS1_3gpuE7ELNS1_3repE0EEENS1_36merge_oddeven_config_static_selectorELNS0_4arch9wavefront6targetE1EEEvSK_,"axG",@progbits,_ZN7rocprim17ROCPRIM_400000_NS6detail17trampoline_kernelINS0_14default_configENS1_38merge_sort_block_merge_config_selectorItNS0_10empty_typeEEEZZNS1_27merge_sort_block_merge_implIS3_N6thrust23THRUST_200600_302600_NS6detail15normal_iteratorINS9_10device_ptrItEEEEPS5_m14custom_greaterItEEE10hipError_tT0_T1_T2_jT3_P12ihipStream_tbPNSt15iterator_traitsISJ_E10value_typeEPNSP_ISK_E10value_typeEPSL_NS1_7vsmem_tEENKUlT_SJ_SK_SL_E_clISE_PtSF_SF_EESI_SY_SJ_SK_SL_EUlSY_E1_NS1_11comp_targetILNS1_3genE3ELNS1_11target_archE908ELNS1_3gpuE7ELNS1_3repE0EEENS1_36merge_oddeven_config_static_selectorELNS0_4arch9wavefront6targetE1EEEvSK_,comdat
	.protected	_ZN7rocprim17ROCPRIM_400000_NS6detail17trampoline_kernelINS0_14default_configENS1_38merge_sort_block_merge_config_selectorItNS0_10empty_typeEEEZZNS1_27merge_sort_block_merge_implIS3_N6thrust23THRUST_200600_302600_NS6detail15normal_iteratorINS9_10device_ptrItEEEEPS5_m14custom_greaterItEEE10hipError_tT0_T1_T2_jT3_P12ihipStream_tbPNSt15iterator_traitsISJ_E10value_typeEPNSP_ISK_E10value_typeEPSL_NS1_7vsmem_tEENKUlT_SJ_SK_SL_E_clISE_PtSF_SF_EESI_SY_SJ_SK_SL_EUlSY_E1_NS1_11comp_targetILNS1_3genE3ELNS1_11target_archE908ELNS1_3gpuE7ELNS1_3repE0EEENS1_36merge_oddeven_config_static_selectorELNS0_4arch9wavefront6targetE1EEEvSK_ ; -- Begin function _ZN7rocprim17ROCPRIM_400000_NS6detail17trampoline_kernelINS0_14default_configENS1_38merge_sort_block_merge_config_selectorItNS0_10empty_typeEEEZZNS1_27merge_sort_block_merge_implIS3_N6thrust23THRUST_200600_302600_NS6detail15normal_iteratorINS9_10device_ptrItEEEEPS5_m14custom_greaterItEEE10hipError_tT0_T1_T2_jT3_P12ihipStream_tbPNSt15iterator_traitsISJ_E10value_typeEPNSP_ISK_E10value_typeEPSL_NS1_7vsmem_tEENKUlT_SJ_SK_SL_E_clISE_PtSF_SF_EESI_SY_SJ_SK_SL_EUlSY_E1_NS1_11comp_targetILNS1_3genE3ELNS1_11target_archE908ELNS1_3gpuE7ELNS1_3repE0EEENS1_36merge_oddeven_config_static_selectorELNS0_4arch9wavefront6targetE1EEEvSK_
	.globl	_ZN7rocprim17ROCPRIM_400000_NS6detail17trampoline_kernelINS0_14default_configENS1_38merge_sort_block_merge_config_selectorItNS0_10empty_typeEEEZZNS1_27merge_sort_block_merge_implIS3_N6thrust23THRUST_200600_302600_NS6detail15normal_iteratorINS9_10device_ptrItEEEEPS5_m14custom_greaterItEEE10hipError_tT0_T1_T2_jT3_P12ihipStream_tbPNSt15iterator_traitsISJ_E10value_typeEPNSP_ISK_E10value_typeEPSL_NS1_7vsmem_tEENKUlT_SJ_SK_SL_E_clISE_PtSF_SF_EESI_SY_SJ_SK_SL_EUlSY_E1_NS1_11comp_targetILNS1_3genE3ELNS1_11target_archE908ELNS1_3gpuE7ELNS1_3repE0EEENS1_36merge_oddeven_config_static_selectorELNS0_4arch9wavefront6targetE1EEEvSK_
	.p2align	8
	.type	_ZN7rocprim17ROCPRIM_400000_NS6detail17trampoline_kernelINS0_14default_configENS1_38merge_sort_block_merge_config_selectorItNS0_10empty_typeEEEZZNS1_27merge_sort_block_merge_implIS3_N6thrust23THRUST_200600_302600_NS6detail15normal_iteratorINS9_10device_ptrItEEEEPS5_m14custom_greaterItEEE10hipError_tT0_T1_T2_jT3_P12ihipStream_tbPNSt15iterator_traitsISJ_E10value_typeEPNSP_ISK_E10value_typeEPSL_NS1_7vsmem_tEENKUlT_SJ_SK_SL_E_clISE_PtSF_SF_EESI_SY_SJ_SK_SL_EUlSY_E1_NS1_11comp_targetILNS1_3genE3ELNS1_11target_archE908ELNS1_3gpuE7ELNS1_3repE0EEENS1_36merge_oddeven_config_static_selectorELNS0_4arch9wavefront6targetE1EEEvSK_,@function
_ZN7rocprim17ROCPRIM_400000_NS6detail17trampoline_kernelINS0_14default_configENS1_38merge_sort_block_merge_config_selectorItNS0_10empty_typeEEEZZNS1_27merge_sort_block_merge_implIS3_N6thrust23THRUST_200600_302600_NS6detail15normal_iteratorINS9_10device_ptrItEEEEPS5_m14custom_greaterItEEE10hipError_tT0_T1_T2_jT3_P12ihipStream_tbPNSt15iterator_traitsISJ_E10value_typeEPNSP_ISK_E10value_typeEPSL_NS1_7vsmem_tEENKUlT_SJ_SK_SL_E_clISE_PtSF_SF_EESI_SY_SJ_SK_SL_EUlSY_E1_NS1_11comp_targetILNS1_3genE3ELNS1_11target_archE908ELNS1_3gpuE7ELNS1_3repE0EEENS1_36merge_oddeven_config_static_selectorELNS0_4arch9wavefront6targetE1EEEvSK_: ; @_ZN7rocprim17ROCPRIM_400000_NS6detail17trampoline_kernelINS0_14default_configENS1_38merge_sort_block_merge_config_selectorItNS0_10empty_typeEEEZZNS1_27merge_sort_block_merge_implIS3_N6thrust23THRUST_200600_302600_NS6detail15normal_iteratorINS9_10device_ptrItEEEEPS5_m14custom_greaterItEEE10hipError_tT0_T1_T2_jT3_P12ihipStream_tbPNSt15iterator_traitsISJ_E10value_typeEPNSP_ISK_E10value_typeEPSL_NS1_7vsmem_tEENKUlT_SJ_SK_SL_E_clISE_PtSF_SF_EESI_SY_SJ_SK_SL_EUlSY_E1_NS1_11comp_targetILNS1_3genE3ELNS1_11target_archE908ELNS1_3gpuE7ELNS1_3repE0EEENS1_36merge_oddeven_config_static_selectorELNS0_4arch9wavefront6targetE1EEEvSK_
; %bb.0:
	.section	.rodata,"a",@progbits
	.p2align	6, 0x0
	.amdhsa_kernel _ZN7rocprim17ROCPRIM_400000_NS6detail17trampoline_kernelINS0_14default_configENS1_38merge_sort_block_merge_config_selectorItNS0_10empty_typeEEEZZNS1_27merge_sort_block_merge_implIS3_N6thrust23THRUST_200600_302600_NS6detail15normal_iteratorINS9_10device_ptrItEEEEPS5_m14custom_greaterItEEE10hipError_tT0_T1_T2_jT3_P12ihipStream_tbPNSt15iterator_traitsISJ_E10value_typeEPNSP_ISK_E10value_typeEPSL_NS1_7vsmem_tEENKUlT_SJ_SK_SL_E_clISE_PtSF_SF_EESI_SY_SJ_SK_SL_EUlSY_E1_NS1_11comp_targetILNS1_3genE3ELNS1_11target_archE908ELNS1_3gpuE7ELNS1_3repE0EEENS1_36merge_oddeven_config_static_selectorELNS0_4arch9wavefront6targetE1EEEvSK_
		.amdhsa_group_segment_fixed_size 0
		.amdhsa_private_segment_fixed_size 0
		.amdhsa_kernarg_size 56
		.amdhsa_user_sgpr_count 6
		.amdhsa_user_sgpr_private_segment_buffer 1
		.amdhsa_user_sgpr_dispatch_ptr 0
		.amdhsa_user_sgpr_queue_ptr 0
		.amdhsa_user_sgpr_kernarg_segment_ptr 1
		.amdhsa_user_sgpr_dispatch_id 0
		.amdhsa_user_sgpr_flat_scratch_init 0
		.amdhsa_user_sgpr_kernarg_preload_length 0
		.amdhsa_user_sgpr_kernarg_preload_offset 0
		.amdhsa_user_sgpr_private_segment_size 0
		.amdhsa_uses_dynamic_stack 0
		.amdhsa_system_sgpr_private_segment_wavefront_offset 0
		.amdhsa_system_sgpr_workgroup_id_x 1
		.amdhsa_system_sgpr_workgroup_id_y 0
		.amdhsa_system_sgpr_workgroup_id_z 0
		.amdhsa_system_sgpr_workgroup_info 0
		.amdhsa_system_vgpr_workitem_id 0
		.amdhsa_next_free_vgpr 1
		.amdhsa_next_free_sgpr 0
		.amdhsa_accum_offset 4
		.amdhsa_reserve_vcc 0
		.amdhsa_reserve_flat_scratch 0
		.amdhsa_float_round_mode_32 0
		.amdhsa_float_round_mode_16_64 0
		.amdhsa_float_denorm_mode_32 3
		.amdhsa_float_denorm_mode_16_64 3
		.amdhsa_dx10_clamp 1
		.amdhsa_ieee_mode 1
		.amdhsa_fp16_overflow 0
		.amdhsa_tg_split 0
		.amdhsa_exception_fp_ieee_invalid_op 0
		.amdhsa_exception_fp_denorm_src 0
		.amdhsa_exception_fp_ieee_div_zero 0
		.amdhsa_exception_fp_ieee_overflow 0
		.amdhsa_exception_fp_ieee_underflow 0
		.amdhsa_exception_fp_ieee_inexact 0
		.amdhsa_exception_int_div_zero 0
	.end_amdhsa_kernel
	.section	.text._ZN7rocprim17ROCPRIM_400000_NS6detail17trampoline_kernelINS0_14default_configENS1_38merge_sort_block_merge_config_selectorItNS0_10empty_typeEEEZZNS1_27merge_sort_block_merge_implIS3_N6thrust23THRUST_200600_302600_NS6detail15normal_iteratorINS9_10device_ptrItEEEEPS5_m14custom_greaterItEEE10hipError_tT0_T1_T2_jT3_P12ihipStream_tbPNSt15iterator_traitsISJ_E10value_typeEPNSP_ISK_E10value_typeEPSL_NS1_7vsmem_tEENKUlT_SJ_SK_SL_E_clISE_PtSF_SF_EESI_SY_SJ_SK_SL_EUlSY_E1_NS1_11comp_targetILNS1_3genE3ELNS1_11target_archE908ELNS1_3gpuE7ELNS1_3repE0EEENS1_36merge_oddeven_config_static_selectorELNS0_4arch9wavefront6targetE1EEEvSK_,"axG",@progbits,_ZN7rocprim17ROCPRIM_400000_NS6detail17trampoline_kernelINS0_14default_configENS1_38merge_sort_block_merge_config_selectorItNS0_10empty_typeEEEZZNS1_27merge_sort_block_merge_implIS3_N6thrust23THRUST_200600_302600_NS6detail15normal_iteratorINS9_10device_ptrItEEEEPS5_m14custom_greaterItEEE10hipError_tT0_T1_T2_jT3_P12ihipStream_tbPNSt15iterator_traitsISJ_E10value_typeEPNSP_ISK_E10value_typeEPSL_NS1_7vsmem_tEENKUlT_SJ_SK_SL_E_clISE_PtSF_SF_EESI_SY_SJ_SK_SL_EUlSY_E1_NS1_11comp_targetILNS1_3genE3ELNS1_11target_archE908ELNS1_3gpuE7ELNS1_3repE0EEENS1_36merge_oddeven_config_static_selectorELNS0_4arch9wavefront6targetE1EEEvSK_,comdat
.Lfunc_end3057:
	.size	_ZN7rocprim17ROCPRIM_400000_NS6detail17trampoline_kernelINS0_14default_configENS1_38merge_sort_block_merge_config_selectorItNS0_10empty_typeEEEZZNS1_27merge_sort_block_merge_implIS3_N6thrust23THRUST_200600_302600_NS6detail15normal_iteratorINS9_10device_ptrItEEEEPS5_m14custom_greaterItEEE10hipError_tT0_T1_T2_jT3_P12ihipStream_tbPNSt15iterator_traitsISJ_E10value_typeEPNSP_ISK_E10value_typeEPSL_NS1_7vsmem_tEENKUlT_SJ_SK_SL_E_clISE_PtSF_SF_EESI_SY_SJ_SK_SL_EUlSY_E1_NS1_11comp_targetILNS1_3genE3ELNS1_11target_archE908ELNS1_3gpuE7ELNS1_3repE0EEENS1_36merge_oddeven_config_static_selectorELNS0_4arch9wavefront6targetE1EEEvSK_, .Lfunc_end3057-_ZN7rocprim17ROCPRIM_400000_NS6detail17trampoline_kernelINS0_14default_configENS1_38merge_sort_block_merge_config_selectorItNS0_10empty_typeEEEZZNS1_27merge_sort_block_merge_implIS3_N6thrust23THRUST_200600_302600_NS6detail15normal_iteratorINS9_10device_ptrItEEEEPS5_m14custom_greaterItEEE10hipError_tT0_T1_T2_jT3_P12ihipStream_tbPNSt15iterator_traitsISJ_E10value_typeEPNSP_ISK_E10value_typeEPSL_NS1_7vsmem_tEENKUlT_SJ_SK_SL_E_clISE_PtSF_SF_EESI_SY_SJ_SK_SL_EUlSY_E1_NS1_11comp_targetILNS1_3genE3ELNS1_11target_archE908ELNS1_3gpuE7ELNS1_3repE0EEENS1_36merge_oddeven_config_static_selectorELNS0_4arch9wavefront6targetE1EEEvSK_
                                        ; -- End function
	.section	.AMDGPU.csdata,"",@progbits
; Kernel info:
; codeLenInByte = 0
; NumSgprs: 4
; NumVgprs: 0
; NumAgprs: 0
; TotalNumVgprs: 0
; ScratchSize: 0
; MemoryBound: 0
; FloatMode: 240
; IeeeMode: 1
; LDSByteSize: 0 bytes/workgroup (compile time only)
; SGPRBlocks: 0
; VGPRBlocks: 0
; NumSGPRsForWavesPerEU: 4
; NumVGPRsForWavesPerEU: 1
; AccumOffset: 4
; Occupancy: 8
; WaveLimiterHint : 0
; COMPUTE_PGM_RSRC2:SCRATCH_EN: 0
; COMPUTE_PGM_RSRC2:USER_SGPR: 6
; COMPUTE_PGM_RSRC2:TRAP_HANDLER: 0
; COMPUTE_PGM_RSRC2:TGID_X_EN: 1
; COMPUTE_PGM_RSRC2:TGID_Y_EN: 0
; COMPUTE_PGM_RSRC2:TGID_Z_EN: 0
; COMPUTE_PGM_RSRC2:TIDIG_COMP_CNT: 0
; COMPUTE_PGM_RSRC3_GFX90A:ACCUM_OFFSET: 0
; COMPUTE_PGM_RSRC3_GFX90A:TG_SPLIT: 0
	.section	.text._ZN7rocprim17ROCPRIM_400000_NS6detail17trampoline_kernelINS0_14default_configENS1_38merge_sort_block_merge_config_selectorItNS0_10empty_typeEEEZZNS1_27merge_sort_block_merge_implIS3_N6thrust23THRUST_200600_302600_NS6detail15normal_iteratorINS9_10device_ptrItEEEEPS5_m14custom_greaterItEEE10hipError_tT0_T1_T2_jT3_P12ihipStream_tbPNSt15iterator_traitsISJ_E10value_typeEPNSP_ISK_E10value_typeEPSL_NS1_7vsmem_tEENKUlT_SJ_SK_SL_E_clISE_PtSF_SF_EESI_SY_SJ_SK_SL_EUlSY_E1_NS1_11comp_targetILNS1_3genE2ELNS1_11target_archE906ELNS1_3gpuE6ELNS1_3repE0EEENS1_36merge_oddeven_config_static_selectorELNS0_4arch9wavefront6targetE1EEEvSK_,"axG",@progbits,_ZN7rocprim17ROCPRIM_400000_NS6detail17trampoline_kernelINS0_14default_configENS1_38merge_sort_block_merge_config_selectorItNS0_10empty_typeEEEZZNS1_27merge_sort_block_merge_implIS3_N6thrust23THRUST_200600_302600_NS6detail15normal_iteratorINS9_10device_ptrItEEEEPS5_m14custom_greaterItEEE10hipError_tT0_T1_T2_jT3_P12ihipStream_tbPNSt15iterator_traitsISJ_E10value_typeEPNSP_ISK_E10value_typeEPSL_NS1_7vsmem_tEENKUlT_SJ_SK_SL_E_clISE_PtSF_SF_EESI_SY_SJ_SK_SL_EUlSY_E1_NS1_11comp_targetILNS1_3genE2ELNS1_11target_archE906ELNS1_3gpuE6ELNS1_3repE0EEENS1_36merge_oddeven_config_static_selectorELNS0_4arch9wavefront6targetE1EEEvSK_,comdat
	.protected	_ZN7rocprim17ROCPRIM_400000_NS6detail17trampoline_kernelINS0_14default_configENS1_38merge_sort_block_merge_config_selectorItNS0_10empty_typeEEEZZNS1_27merge_sort_block_merge_implIS3_N6thrust23THRUST_200600_302600_NS6detail15normal_iteratorINS9_10device_ptrItEEEEPS5_m14custom_greaterItEEE10hipError_tT0_T1_T2_jT3_P12ihipStream_tbPNSt15iterator_traitsISJ_E10value_typeEPNSP_ISK_E10value_typeEPSL_NS1_7vsmem_tEENKUlT_SJ_SK_SL_E_clISE_PtSF_SF_EESI_SY_SJ_SK_SL_EUlSY_E1_NS1_11comp_targetILNS1_3genE2ELNS1_11target_archE906ELNS1_3gpuE6ELNS1_3repE0EEENS1_36merge_oddeven_config_static_selectorELNS0_4arch9wavefront6targetE1EEEvSK_ ; -- Begin function _ZN7rocprim17ROCPRIM_400000_NS6detail17trampoline_kernelINS0_14default_configENS1_38merge_sort_block_merge_config_selectorItNS0_10empty_typeEEEZZNS1_27merge_sort_block_merge_implIS3_N6thrust23THRUST_200600_302600_NS6detail15normal_iteratorINS9_10device_ptrItEEEEPS5_m14custom_greaterItEEE10hipError_tT0_T1_T2_jT3_P12ihipStream_tbPNSt15iterator_traitsISJ_E10value_typeEPNSP_ISK_E10value_typeEPSL_NS1_7vsmem_tEENKUlT_SJ_SK_SL_E_clISE_PtSF_SF_EESI_SY_SJ_SK_SL_EUlSY_E1_NS1_11comp_targetILNS1_3genE2ELNS1_11target_archE906ELNS1_3gpuE6ELNS1_3repE0EEENS1_36merge_oddeven_config_static_selectorELNS0_4arch9wavefront6targetE1EEEvSK_
	.globl	_ZN7rocprim17ROCPRIM_400000_NS6detail17trampoline_kernelINS0_14default_configENS1_38merge_sort_block_merge_config_selectorItNS0_10empty_typeEEEZZNS1_27merge_sort_block_merge_implIS3_N6thrust23THRUST_200600_302600_NS6detail15normal_iteratorINS9_10device_ptrItEEEEPS5_m14custom_greaterItEEE10hipError_tT0_T1_T2_jT3_P12ihipStream_tbPNSt15iterator_traitsISJ_E10value_typeEPNSP_ISK_E10value_typeEPSL_NS1_7vsmem_tEENKUlT_SJ_SK_SL_E_clISE_PtSF_SF_EESI_SY_SJ_SK_SL_EUlSY_E1_NS1_11comp_targetILNS1_3genE2ELNS1_11target_archE906ELNS1_3gpuE6ELNS1_3repE0EEENS1_36merge_oddeven_config_static_selectorELNS0_4arch9wavefront6targetE1EEEvSK_
	.p2align	8
	.type	_ZN7rocprim17ROCPRIM_400000_NS6detail17trampoline_kernelINS0_14default_configENS1_38merge_sort_block_merge_config_selectorItNS0_10empty_typeEEEZZNS1_27merge_sort_block_merge_implIS3_N6thrust23THRUST_200600_302600_NS6detail15normal_iteratorINS9_10device_ptrItEEEEPS5_m14custom_greaterItEEE10hipError_tT0_T1_T2_jT3_P12ihipStream_tbPNSt15iterator_traitsISJ_E10value_typeEPNSP_ISK_E10value_typeEPSL_NS1_7vsmem_tEENKUlT_SJ_SK_SL_E_clISE_PtSF_SF_EESI_SY_SJ_SK_SL_EUlSY_E1_NS1_11comp_targetILNS1_3genE2ELNS1_11target_archE906ELNS1_3gpuE6ELNS1_3repE0EEENS1_36merge_oddeven_config_static_selectorELNS0_4arch9wavefront6targetE1EEEvSK_,@function
_ZN7rocprim17ROCPRIM_400000_NS6detail17trampoline_kernelINS0_14default_configENS1_38merge_sort_block_merge_config_selectorItNS0_10empty_typeEEEZZNS1_27merge_sort_block_merge_implIS3_N6thrust23THRUST_200600_302600_NS6detail15normal_iteratorINS9_10device_ptrItEEEEPS5_m14custom_greaterItEEE10hipError_tT0_T1_T2_jT3_P12ihipStream_tbPNSt15iterator_traitsISJ_E10value_typeEPNSP_ISK_E10value_typeEPSL_NS1_7vsmem_tEENKUlT_SJ_SK_SL_E_clISE_PtSF_SF_EESI_SY_SJ_SK_SL_EUlSY_E1_NS1_11comp_targetILNS1_3genE2ELNS1_11target_archE906ELNS1_3gpuE6ELNS1_3repE0EEENS1_36merge_oddeven_config_static_selectorELNS0_4arch9wavefront6targetE1EEEvSK_: ; @_ZN7rocprim17ROCPRIM_400000_NS6detail17trampoline_kernelINS0_14default_configENS1_38merge_sort_block_merge_config_selectorItNS0_10empty_typeEEEZZNS1_27merge_sort_block_merge_implIS3_N6thrust23THRUST_200600_302600_NS6detail15normal_iteratorINS9_10device_ptrItEEEEPS5_m14custom_greaterItEEE10hipError_tT0_T1_T2_jT3_P12ihipStream_tbPNSt15iterator_traitsISJ_E10value_typeEPNSP_ISK_E10value_typeEPSL_NS1_7vsmem_tEENKUlT_SJ_SK_SL_E_clISE_PtSF_SF_EESI_SY_SJ_SK_SL_EUlSY_E1_NS1_11comp_targetILNS1_3genE2ELNS1_11target_archE906ELNS1_3gpuE6ELNS1_3repE0EEENS1_36merge_oddeven_config_static_selectorELNS0_4arch9wavefront6targetE1EEEvSK_
; %bb.0:
	.section	.rodata,"a",@progbits
	.p2align	6, 0x0
	.amdhsa_kernel _ZN7rocprim17ROCPRIM_400000_NS6detail17trampoline_kernelINS0_14default_configENS1_38merge_sort_block_merge_config_selectorItNS0_10empty_typeEEEZZNS1_27merge_sort_block_merge_implIS3_N6thrust23THRUST_200600_302600_NS6detail15normal_iteratorINS9_10device_ptrItEEEEPS5_m14custom_greaterItEEE10hipError_tT0_T1_T2_jT3_P12ihipStream_tbPNSt15iterator_traitsISJ_E10value_typeEPNSP_ISK_E10value_typeEPSL_NS1_7vsmem_tEENKUlT_SJ_SK_SL_E_clISE_PtSF_SF_EESI_SY_SJ_SK_SL_EUlSY_E1_NS1_11comp_targetILNS1_3genE2ELNS1_11target_archE906ELNS1_3gpuE6ELNS1_3repE0EEENS1_36merge_oddeven_config_static_selectorELNS0_4arch9wavefront6targetE1EEEvSK_
		.amdhsa_group_segment_fixed_size 0
		.amdhsa_private_segment_fixed_size 0
		.amdhsa_kernarg_size 56
		.amdhsa_user_sgpr_count 6
		.amdhsa_user_sgpr_private_segment_buffer 1
		.amdhsa_user_sgpr_dispatch_ptr 0
		.amdhsa_user_sgpr_queue_ptr 0
		.amdhsa_user_sgpr_kernarg_segment_ptr 1
		.amdhsa_user_sgpr_dispatch_id 0
		.amdhsa_user_sgpr_flat_scratch_init 0
		.amdhsa_user_sgpr_kernarg_preload_length 0
		.amdhsa_user_sgpr_kernarg_preload_offset 0
		.amdhsa_user_sgpr_private_segment_size 0
		.amdhsa_uses_dynamic_stack 0
		.amdhsa_system_sgpr_private_segment_wavefront_offset 0
		.amdhsa_system_sgpr_workgroup_id_x 1
		.amdhsa_system_sgpr_workgroup_id_y 0
		.amdhsa_system_sgpr_workgroup_id_z 0
		.amdhsa_system_sgpr_workgroup_info 0
		.amdhsa_system_vgpr_workitem_id 0
		.amdhsa_next_free_vgpr 1
		.amdhsa_next_free_sgpr 0
		.amdhsa_accum_offset 4
		.amdhsa_reserve_vcc 0
		.amdhsa_reserve_flat_scratch 0
		.amdhsa_float_round_mode_32 0
		.amdhsa_float_round_mode_16_64 0
		.amdhsa_float_denorm_mode_32 3
		.amdhsa_float_denorm_mode_16_64 3
		.amdhsa_dx10_clamp 1
		.amdhsa_ieee_mode 1
		.amdhsa_fp16_overflow 0
		.amdhsa_tg_split 0
		.amdhsa_exception_fp_ieee_invalid_op 0
		.amdhsa_exception_fp_denorm_src 0
		.amdhsa_exception_fp_ieee_div_zero 0
		.amdhsa_exception_fp_ieee_overflow 0
		.amdhsa_exception_fp_ieee_underflow 0
		.amdhsa_exception_fp_ieee_inexact 0
		.amdhsa_exception_int_div_zero 0
	.end_amdhsa_kernel
	.section	.text._ZN7rocprim17ROCPRIM_400000_NS6detail17trampoline_kernelINS0_14default_configENS1_38merge_sort_block_merge_config_selectorItNS0_10empty_typeEEEZZNS1_27merge_sort_block_merge_implIS3_N6thrust23THRUST_200600_302600_NS6detail15normal_iteratorINS9_10device_ptrItEEEEPS5_m14custom_greaterItEEE10hipError_tT0_T1_T2_jT3_P12ihipStream_tbPNSt15iterator_traitsISJ_E10value_typeEPNSP_ISK_E10value_typeEPSL_NS1_7vsmem_tEENKUlT_SJ_SK_SL_E_clISE_PtSF_SF_EESI_SY_SJ_SK_SL_EUlSY_E1_NS1_11comp_targetILNS1_3genE2ELNS1_11target_archE906ELNS1_3gpuE6ELNS1_3repE0EEENS1_36merge_oddeven_config_static_selectorELNS0_4arch9wavefront6targetE1EEEvSK_,"axG",@progbits,_ZN7rocprim17ROCPRIM_400000_NS6detail17trampoline_kernelINS0_14default_configENS1_38merge_sort_block_merge_config_selectorItNS0_10empty_typeEEEZZNS1_27merge_sort_block_merge_implIS3_N6thrust23THRUST_200600_302600_NS6detail15normal_iteratorINS9_10device_ptrItEEEEPS5_m14custom_greaterItEEE10hipError_tT0_T1_T2_jT3_P12ihipStream_tbPNSt15iterator_traitsISJ_E10value_typeEPNSP_ISK_E10value_typeEPSL_NS1_7vsmem_tEENKUlT_SJ_SK_SL_E_clISE_PtSF_SF_EESI_SY_SJ_SK_SL_EUlSY_E1_NS1_11comp_targetILNS1_3genE2ELNS1_11target_archE906ELNS1_3gpuE6ELNS1_3repE0EEENS1_36merge_oddeven_config_static_selectorELNS0_4arch9wavefront6targetE1EEEvSK_,comdat
.Lfunc_end3058:
	.size	_ZN7rocprim17ROCPRIM_400000_NS6detail17trampoline_kernelINS0_14default_configENS1_38merge_sort_block_merge_config_selectorItNS0_10empty_typeEEEZZNS1_27merge_sort_block_merge_implIS3_N6thrust23THRUST_200600_302600_NS6detail15normal_iteratorINS9_10device_ptrItEEEEPS5_m14custom_greaterItEEE10hipError_tT0_T1_T2_jT3_P12ihipStream_tbPNSt15iterator_traitsISJ_E10value_typeEPNSP_ISK_E10value_typeEPSL_NS1_7vsmem_tEENKUlT_SJ_SK_SL_E_clISE_PtSF_SF_EESI_SY_SJ_SK_SL_EUlSY_E1_NS1_11comp_targetILNS1_3genE2ELNS1_11target_archE906ELNS1_3gpuE6ELNS1_3repE0EEENS1_36merge_oddeven_config_static_selectorELNS0_4arch9wavefront6targetE1EEEvSK_, .Lfunc_end3058-_ZN7rocprim17ROCPRIM_400000_NS6detail17trampoline_kernelINS0_14default_configENS1_38merge_sort_block_merge_config_selectorItNS0_10empty_typeEEEZZNS1_27merge_sort_block_merge_implIS3_N6thrust23THRUST_200600_302600_NS6detail15normal_iteratorINS9_10device_ptrItEEEEPS5_m14custom_greaterItEEE10hipError_tT0_T1_T2_jT3_P12ihipStream_tbPNSt15iterator_traitsISJ_E10value_typeEPNSP_ISK_E10value_typeEPSL_NS1_7vsmem_tEENKUlT_SJ_SK_SL_E_clISE_PtSF_SF_EESI_SY_SJ_SK_SL_EUlSY_E1_NS1_11comp_targetILNS1_3genE2ELNS1_11target_archE906ELNS1_3gpuE6ELNS1_3repE0EEENS1_36merge_oddeven_config_static_selectorELNS0_4arch9wavefront6targetE1EEEvSK_
                                        ; -- End function
	.section	.AMDGPU.csdata,"",@progbits
; Kernel info:
; codeLenInByte = 0
; NumSgprs: 4
; NumVgprs: 0
; NumAgprs: 0
; TotalNumVgprs: 0
; ScratchSize: 0
; MemoryBound: 0
; FloatMode: 240
; IeeeMode: 1
; LDSByteSize: 0 bytes/workgroup (compile time only)
; SGPRBlocks: 0
; VGPRBlocks: 0
; NumSGPRsForWavesPerEU: 4
; NumVGPRsForWavesPerEU: 1
; AccumOffset: 4
; Occupancy: 8
; WaveLimiterHint : 0
; COMPUTE_PGM_RSRC2:SCRATCH_EN: 0
; COMPUTE_PGM_RSRC2:USER_SGPR: 6
; COMPUTE_PGM_RSRC2:TRAP_HANDLER: 0
; COMPUTE_PGM_RSRC2:TGID_X_EN: 1
; COMPUTE_PGM_RSRC2:TGID_Y_EN: 0
; COMPUTE_PGM_RSRC2:TGID_Z_EN: 0
; COMPUTE_PGM_RSRC2:TIDIG_COMP_CNT: 0
; COMPUTE_PGM_RSRC3_GFX90A:ACCUM_OFFSET: 0
; COMPUTE_PGM_RSRC3_GFX90A:TG_SPLIT: 0
	.section	.text._ZN7rocprim17ROCPRIM_400000_NS6detail17trampoline_kernelINS0_14default_configENS1_38merge_sort_block_merge_config_selectorItNS0_10empty_typeEEEZZNS1_27merge_sort_block_merge_implIS3_N6thrust23THRUST_200600_302600_NS6detail15normal_iteratorINS9_10device_ptrItEEEEPS5_m14custom_greaterItEEE10hipError_tT0_T1_T2_jT3_P12ihipStream_tbPNSt15iterator_traitsISJ_E10value_typeEPNSP_ISK_E10value_typeEPSL_NS1_7vsmem_tEENKUlT_SJ_SK_SL_E_clISE_PtSF_SF_EESI_SY_SJ_SK_SL_EUlSY_E1_NS1_11comp_targetILNS1_3genE9ELNS1_11target_archE1100ELNS1_3gpuE3ELNS1_3repE0EEENS1_36merge_oddeven_config_static_selectorELNS0_4arch9wavefront6targetE1EEEvSK_,"axG",@progbits,_ZN7rocprim17ROCPRIM_400000_NS6detail17trampoline_kernelINS0_14default_configENS1_38merge_sort_block_merge_config_selectorItNS0_10empty_typeEEEZZNS1_27merge_sort_block_merge_implIS3_N6thrust23THRUST_200600_302600_NS6detail15normal_iteratorINS9_10device_ptrItEEEEPS5_m14custom_greaterItEEE10hipError_tT0_T1_T2_jT3_P12ihipStream_tbPNSt15iterator_traitsISJ_E10value_typeEPNSP_ISK_E10value_typeEPSL_NS1_7vsmem_tEENKUlT_SJ_SK_SL_E_clISE_PtSF_SF_EESI_SY_SJ_SK_SL_EUlSY_E1_NS1_11comp_targetILNS1_3genE9ELNS1_11target_archE1100ELNS1_3gpuE3ELNS1_3repE0EEENS1_36merge_oddeven_config_static_selectorELNS0_4arch9wavefront6targetE1EEEvSK_,comdat
	.protected	_ZN7rocprim17ROCPRIM_400000_NS6detail17trampoline_kernelINS0_14default_configENS1_38merge_sort_block_merge_config_selectorItNS0_10empty_typeEEEZZNS1_27merge_sort_block_merge_implIS3_N6thrust23THRUST_200600_302600_NS6detail15normal_iteratorINS9_10device_ptrItEEEEPS5_m14custom_greaterItEEE10hipError_tT0_T1_T2_jT3_P12ihipStream_tbPNSt15iterator_traitsISJ_E10value_typeEPNSP_ISK_E10value_typeEPSL_NS1_7vsmem_tEENKUlT_SJ_SK_SL_E_clISE_PtSF_SF_EESI_SY_SJ_SK_SL_EUlSY_E1_NS1_11comp_targetILNS1_3genE9ELNS1_11target_archE1100ELNS1_3gpuE3ELNS1_3repE0EEENS1_36merge_oddeven_config_static_selectorELNS0_4arch9wavefront6targetE1EEEvSK_ ; -- Begin function _ZN7rocprim17ROCPRIM_400000_NS6detail17trampoline_kernelINS0_14default_configENS1_38merge_sort_block_merge_config_selectorItNS0_10empty_typeEEEZZNS1_27merge_sort_block_merge_implIS3_N6thrust23THRUST_200600_302600_NS6detail15normal_iteratorINS9_10device_ptrItEEEEPS5_m14custom_greaterItEEE10hipError_tT0_T1_T2_jT3_P12ihipStream_tbPNSt15iterator_traitsISJ_E10value_typeEPNSP_ISK_E10value_typeEPSL_NS1_7vsmem_tEENKUlT_SJ_SK_SL_E_clISE_PtSF_SF_EESI_SY_SJ_SK_SL_EUlSY_E1_NS1_11comp_targetILNS1_3genE9ELNS1_11target_archE1100ELNS1_3gpuE3ELNS1_3repE0EEENS1_36merge_oddeven_config_static_selectorELNS0_4arch9wavefront6targetE1EEEvSK_
	.globl	_ZN7rocprim17ROCPRIM_400000_NS6detail17trampoline_kernelINS0_14default_configENS1_38merge_sort_block_merge_config_selectorItNS0_10empty_typeEEEZZNS1_27merge_sort_block_merge_implIS3_N6thrust23THRUST_200600_302600_NS6detail15normal_iteratorINS9_10device_ptrItEEEEPS5_m14custom_greaterItEEE10hipError_tT0_T1_T2_jT3_P12ihipStream_tbPNSt15iterator_traitsISJ_E10value_typeEPNSP_ISK_E10value_typeEPSL_NS1_7vsmem_tEENKUlT_SJ_SK_SL_E_clISE_PtSF_SF_EESI_SY_SJ_SK_SL_EUlSY_E1_NS1_11comp_targetILNS1_3genE9ELNS1_11target_archE1100ELNS1_3gpuE3ELNS1_3repE0EEENS1_36merge_oddeven_config_static_selectorELNS0_4arch9wavefront6targetE1EEEvSK_
	.p2align	8
	.type	_ZN7rocprim17ROCPRIM_400000_NS6detail17trampoline_kernelINS0_14default_configENS1_38merge_sort_block_merge_config_selectorItNS0_10empty_typeEEEZZNS1_27merge_sort_block_merge_implIS3_N6thrust23THRUST_200600_302600_NS6detail15normal_iteratorINS9_10device_ptrItEEEEPS5_m14custom_greaterItEEE10hipError_tT0_T1_T2_jT3_P12ihipStream_tbPNSt15iterator_traitsISJ_E10value_typeEPNSP_ISK_E10value_typeEPSL_NS1_7vsmem_tEENKUlT_SJ_SK_SL_E_clISE_PtSF_SF_EESI_SY_SJ_SK_SL_EUlSY_E1_NS1_11comp_targetILNS1_3genE9ELNS1_11target_archE1100ELNS1_3gpuE3ELNS1_3repE0EEENS1_36merge_oddeven_config_static_selectorELNS0_4arch9wavefront6targetE1EEEvSK_,@function
_ZN7rocprim17ROCPRIM_400000_NS6detail17trampoline_kernelINS0_14default_configENS1_38merge_sort_block_merge_config_selectorItNS0_10empty_typeEEEZZNS1_27merge_sort_block_merge_implIS3_N6thrust23THRUST_200600_302600_NS6detail15normal_iteratorINS9_10device_ptrItEEEEPS5_m14custom_greaterItEEE10hipError_tT0_T1_T2_jT3_P12ihipStream_tbPNSt15iterator_traitsISJ_E10value_typeEPNSP_ISK_E10value_typeEPSL_NS1_7vsmem_tEENKUlT_SJ_SK_SL_E_clISE_PtSF_SF_EESI_SY_SJ_SK_SL_EUlSY_E1_NS1_11comp_targetILNS1_3genE9ELNS1_11target_archE1100ELNS1_3gpuE3ELNS1_3repE0EEENS1_36merge_oddeven_config_static_selectorELNS0_4arch9wavefront6targetE1EEEvSK_: ; @_ZN7rocprim17ROCPRIM_400000_NS6detail17trampoline_kernelINS0_14default_configENS1_38merge_sort_block_merge_config_selectorItNS0_10empty_typeEEEZZNS1_27merge_sort_block_merge_implIS3_N6thrust23THRUST_200600_302600_NS6detail15normal_iteratorINS9_10device_ptrItEEEEPS5_m14custom_greaterItEEE10hipError_tT0_T1_T2_jT3_P12ihipStream_tbPNSt15iterator_traitsISJ_E10value_typeEPNSP_ISK_E10value_typeEPSL_NS1_7vsmem_tEENKUlT_SJ_SK_SL_E_clISE_PtSF_SF_EESI_SY_SJ_SK_SL_EUlSY_E1_NS1_11comp_targetILNS1_3genE9ELNS1_11target_archE1100ELNS1_3gpuE3ELNS1_3repE0EEENS1_36merge_oddeven_config_static_selectorELNS0_4arch9wavefront6targetE1EEEvSK_
; %bb.0:
	.section	.rodata,"a",@progbits
	.p2align	6, 0x0
	.amdhsa_kernel _ZN7rocprim17ROCPRIM_400000_NS6detail17trampoline_kernelINS0_14default_configENS1_38merge_sort_block_merge_config_selectorItNS0_10empty_typeEEEZZNS1_27merge_sort_block_merge_implIS3_N6thrust23THRUST_200600_302600_NS6detail15normal_iteratorINS9_10device_ptrItEEEEPS5_m14custom_greaterItEEE10hipError_tT0_T1_T2_jT3_P12ihipStream_tbPNSt15iterator_traitsISJ_E10value_typeEPNSP_ISK_E10value_typeEPSL_NS1_7vsmem_tEENKUlT_SJ_SK_SL_E_clISE_PtSF_SF_EESI_SY_SJ_SK_SL_EUlSY_E1_NS1_11comp_targetILNS1_3genE9ELNS1_11target_archE1100ELNS1_3gpuE3ELNS1_3repE0EEENS1_36merge_oddeven_config_static_selectorELNS0_4arch9wavefront6targetE1EEEvSK_
		.amdhsa_group_segment_fixed_size 0
		.amdhsa_private_segment_fixed_size 0
		.amdhsa_kernarg_size 56
		.amdhsa_user_sgpr_count 6
		.amdhsa_user_sgpr_private_segment_buffer 1
		.amdhsa_user_sgpr_dispatch_ptr 0
		.amdhsa_user_sgpr_queue_ptr 0
		.amdhsa_user_sgpr_kernarg_segment_ptr 1
		.amdhsa_user_sgpr_dispatch_id 0
		.amdhsa_user_sgpr_flat_scratch_init 0
		.amdhsa_user_sgpr_kernarg_preload_length 0
		.amdhsa_user_sgpr_kernarg_preload_offset 0
		.amdhsa_user_sgpr_private_segment_size 0
		.amdhsa_uses_dynamic_stack 0
		.amdhsa_system_sgpr_private_segment_wavefront_offset 0
		.amdhsa_system_sgpr_workgroup_id_x 1
		.amdhsa_system_sgpr_workgroup_id_y 0
		.amdhsa_system_sgpr_workgroup_id_z 0
		.amdhsa_system_sgpr_workgroup_info 0
		.amdhsa_system_vgpr_workitem_id 0
		.amdhsa_next_free_vgpr 1
		.amdhsa_next_free_sgpr 0
		.amdhsa_accum_offset 4
		.amdhsa_reserve_vcc 0
		.amdhsa_reserve_flat_scratch 0
		.amdhsa_float_round_mode_32 0
		.amdhsa_float_round_mode_16_64 0
		.amdhsa_float_denorm_mode_32 3
		.amdhsa_float_denorm_mode_16_64 3
		.amdhsa_dx10_clamp 1
		.amdhsa_ieee_mode 1
		.amdhsa_fp16_overflow 0
		.amdhsa_tg_split 0
		.amdhsa_exception_fp_ieee_invalid_op 0
		.amdhsa_exception_fp_denorm_src 0
		.amdhsa_exception_fp_ieee_div_zero 0
		.amdhsa_exception_fp_ieee_overflow 0
		.amdhsa_exception_fp_ieee_underflow 0
		.amdhsa_exception_fp_ieee_inexact 0
		.amdhsa_exception_int_div_zero 0
	.end_amdhsa_kernel
	.section	.text._ZN7rocprim17ROCPRIM_400000_NS6detail17trampoline_kernelINS0_14default_configENS1_38merge_sort_block_merge_config_selectorItNS0_10empty_typeEEEZZNS1_27merge_sort_block_merge_implIS3_N6thrust23THRUST_200600_302600_NS6detail15normal_iteratorINS9_10device_ptrItEEEEPS5_m14custom_greaterItEEE10hipError_tT0_T1_T2_jT3_P12ihipStream_tbPNSt15iterator_traitsISJ_E10value_typeEPNSP_ISK_E10value_typeEPSL_NS1_7vsmem_tEENKUlT_SJ_SK_SL_E_clISE_PtSF_SF_EESI_SY_SJ_SK_SL_EUlSY_E1_NS1_11comp_targetILNS1_3genE9ELNS1_11target_archE1100ELNS1_3gpuE3ELNS1_3repE0EEENS1_36merge_oddeven_config_static_selectorELNS0_4arch9wavefront6targetE1EEEvSK_,"axG",@progbits,_ZN7rocprim17ROCPRIM_400000_NS6detail17trampoline_kernelINS0_14default_configENS1_38merge_sort_block_merge_config_selectorItNS0_10empty_typeEEEZZNS1_27merge_sort_block_merge_implIS3_N6thrust23THRUST_200600_302600_NS6detail15normal_iteratorINS9_10device_ptrItEEEEPS5_m14custom_greaterItEEE10hipError_tT0_T1_T2_jT3_P12ihipStream_tbPNSt15iterator_traitsISJ_E10value_typeEPNSP_ISK_E10value_typeEPSL_NS1_7vsmem_tEENKUlT_SJ_SK_SL_E_clISE_PtSF_SF_EESI_SY_SJ_SK_SL_EUlSY_E1_NS1_11comp_targetILNS1_3genE9ELNS1_11target_archE1100ELNS1_3gpuE3ELNS1_3repE0EEENS1_36merge_oddeven_config_static_selectorELNS0_4arch9wavefront6targetE1EEEvSK_,comdat
.Lfunc_end3059:
	.size	_ZN7rocprim17ROCPRIM_400000_NS6detail17trampoline_kernelINS0_14default_configENS1_38merge_sort_block_merge_config_selectorItNS0_10empty_typeEEEZZNS1_27merge_sort_block_merge_implIS3_N6thrust23THRUST_200600_302600_NS6detail15normal_iteratorINS9_10device_ptrItEEEEPS5_m14custom_greaterItEEE10hipError_tT0_T1_T2_jT3_P12ihipStream_tbPNSt15iterator_traitsISJ_E10value_typeEPNSP_ISK_E10value_typeEPSL_NS1_7vsmem_tEENKUlT_SJ_SK_SL_E_clISE_PtSF_SF_EESI_SY_SJ_SK_SL_EUlSY_E1_NS1_11comp_targetILNS1_3genE9ELNS1_11target_archE1100ELNS1_3gpuE3ELNS1_3repE0EEENS1_36merge_oddeven_config_static_selectorELNS0_4arch9wavefront6targetE1EEEvSK_, .Lfunc_end3059-_ZN7rocprim17ROCPRIM_400000_NS6detail17trampoline_kernelINS0_14default_configENS1_38merge_sort_block_merge_config_selectorItNS0_10empty_typeEEEZZNS1_27merge_sort_block_merge_implIS3_N6thrust23THRUST_200600_302600_NS6detail15normal_iteratorINS9_10device_ptrItEEEEPS5_m14custom_greaterItEEE10hipError_tT0_T1_T2_jT3_P12ihipStream_tbPNSt15iterator_traitsISJ_E10value_typeEPNSP_ISK_E10value_typeEPSL_NS1_7vsmem_tEENKUlT_SJ_SK_SL_E_clISE_PtSF_SF_EESI_SY_SJ_SK_SL_EUlSY_E1_NS1_11comp_targetILNS1_3genE9ELNS1_11target_archE1100ELNS1_3gpuE3ELNS1_3repE0EEENS1_36merge_oddeven_config_static_selectorELNS0_4arch9wavefront6targetE1EEEvSK_
                                        ; -- End function
	.section	.AMDGPU.csdata,"",@progbits
; Kernel info:
; codeLenInByte = 0
; NumSgprs: 4
; NumVgprs: 0
; NumAgprs: 0
; TotalNumVgprs: 0
; ScratchSize: 0
; MemoryBound: 0
; FloatMode: 240
; IeeeMode: 1
; LDSByteSize: 0 bytes/workgroup (compile time only)
; SGPRBlocks: 0
; VGPRBlocks: 0
; NumSGPRsForWavesPerEU: 4
; NumVGPRsForWavesPerEU: 1
; AccumOffset: 4
; Occupancy: 8
; WaveLimiterHint : 0
; COMPUTE_PGM_RSRC2:SCRATCH_EN: 0
; COMPUTE_PGM_RSRC2:USER_SGPR: 6
; COMPUTE_PGM_RSRC2:TRAP_HANDLER: 0
; COMPUTE_PGM_RSRC2:TGID_X_EN: 1
; COMPUTE_PGM_RSRC2:TGID_Y_EN: 0
; COMPUTE_PGM_RSRC2:TGID_Z_EN: 0
; COMPUTE_PGM_RSRC2:TIDIG_COMP_CNT: 0
; COMPUTE_PGM_RSRC3_GFX90A:ACCUM_OFFSET: 0
; COMPUTE_PGM_RSRC3_GFX90A:TG_SPLIT: 0
	.section	.text._ZN7rocprim17ROCPRIM_400000_NS6detail17trampoline_kernelINS0_14default_configENS1_38merge_sort_block_merge_config_selectorItNS0_10empty_typeEEEZZNS1_27merge_sort_block_merge_implIS3_N6thrust23THRUST_200600_302600_NS6detail15normal_iteratorINS9_10device_ptrItEEEEPS5_m14custom_greaterItEEE10hipError_tT0_T1_T2_jT3_P12ihipStream_tbPNSt15iterator_traitsISJ_E10value_typeEPNSP_ISK_E10value_typeEPSL_NS1_7vsmem_tEENKUlT_SJ_SK_SL_E_clISE_PtSF_SF_EESI_SY_SJ_SK_SL_EUlSY_E1_NS1_11comp_targetILNS1_3genE8ELNS1_11target_archE1030ELNS1_3gpuE2ELNS1_3repE0EEENS1_36merge_oddeven_config_static_selectorELNS0_4arch9wavefront6targetE1EEEvSK_,"axG",@progbits,_ZN7rocprim17ROCPRIM_400000_NS6detail17trampoline_kernelINS0_14default_configENS1_38merge_sort_block_merge_config_selectorItNS0_10empty_typeEEEZZNS1_27merge_sort_block_merge_implIS3_N6thrust23THRUST_200600_302600_NS6detail15normal_iteratorINS9_10device_ptrItEEEEPS5_m14custom_greaterItEEE10hipError_tT0_T1_T2_jT3_P12ihipStream_tbPNSt15iterator_traitsISJ_E10value_typeEPNSP_ISK_E10value_typeEPSL_NS1_7vsmem_tEENKUlT_SJ_SK_SL_E_clISE_PtSF_SF_EESI_SY_SJ_SK_SL_EUlSY_E1_NS1_11comp_targetILNS1_3genE8ELNS1_11target_archE1030ELNS1_3gpuE2ELNS1_3repE0EEENS1_36merge_oddeven_config_static_selectorELNS0_4arch9wavefront6targetE1EEEvSK_,comdat
	.protected	_ZN7rocprim17ROCPRIM_400000_NS6detail17trampoline_kernelINS0_14default_configENS1_38merge_sort_block_merge_config_selectorItNS0_10empty_typeEEEZZNS1_27merge_sort_block_merge_implIS3_N6thrust23THRUST_200600_302600_NS6detail15normal_iteratorINS9_10device_ptrItEEEEPS5_m14custom_greaterItEEE10hipError_tT0_T1_T2_jT3_P12ihipStream_tbPNSt15iterator_traitsISJ_E10value_typeEPNSP_ISK_E10value_typeEPSL_NS1_7vsmem_tEENKUlT_SJ_SK_SL_E_clISE_PtSF_SF_EESI_SY_SJ_SK_SL_EUlSY_E1_NS1_11comp_targetILNS1_3genE8ELNS1_11target_archE1030ELNS1_3gpuE2ELNS1_3repE0EEENS1_36merge_oddeven_config_static_selectorELNS0_4arch9wavefront6targetE1EEEvSK_ ; -- Begin function _ZN7rocprim17ROCPRIM_400000_NS6detail17trampoline_kernelINS0_14default_configENS1_38merge_sort_block_merge_config_selectorItNS0_10empty_typeEEEZZNS1_27merge_sort_block_merge_implIS3_N6thrust23THRUST_200600_302600_NS6detail15normal_iteratorINS9_10device_ptrItEEEEPS5_m14custom_greaterItEEE10hipError_tT0_T1_T2_jT3_P12ihipStream_tbPNSt15iterator_traitsISJ_E10value_typeEPNSP_ISK_E10value_typeEPSL_NS1_7vsmem_tEENKUlT_SJ_SK_SL_E_clISE_PtSF_SF_EESI_SY_SJ_SK_SL_EUlSY_E1_NS1_11comp_targetILNS1_3genE8ELNS1_11target_archE1030ELNS1_3gpuE2ELNS1_3repE0EEENS1_36merge_oddeven_config_static_selectorELNS0_4arch9wavefront6targetE1EEEvSK_
	.globl	_ZN7rocprim17ROCPRIM_400000_NS6detail17trampoline_kernelINS0_14default_configENS1_38merge_sort_block_merge_config_selectorItNS0_10empty_typeEEEZZNS1_27merge_sort_block_merge_implIS3_N6thrust23THRUST_200600_302600_NS6detail15normal_iteratorINS9_10device_ptrItEEEEPS5_m14custom_greaterItEEE10hipError_tT0_T1_T2_jT3_P12ihipStream_tbPNSt15iterator_traitsISJ_E10value_typeEPNSP_ISK_E10value_typeEPSL_NS1_7vsmem_tEENKUlT_SJ_SK_SL_E_clISE_PtSF_SF_EESI_SY_SJ_SK_SL_EUlSY_E1_NS1_11comp_targetILNS1_3genE8ELNS1_11target_archE1030ELNS1_3gpuE2ELNS1_3repE0EEENS1_36merge_oddeven_config_static_selectorELNS0_4arch9wavefront6targetE1EEEvSK_
	.p2align	8
	.type	_ZN7rocprim17ROCPRIM_400000_NS6detail17trampoline_kernelINS0_14default_configENS1_38merge_sort_block_merge_config_selectorItNS0_10empty_typeEEEZZNS1_27merge_sort_block_merge_implIS3_N6thrust23THRUST_200600_302600_NS6detail15normal_iteratorINS9_10device_ptrItEEEEPS5_m14custom_greaterItEEE10hipError_tT0_T1_T2_jT3_P12ihipStream_tbPNSt15iterator_traitsISJ_E10value_typeEPNSP_ISK_E10value_typeEPSL_NS1_7vsmem_tEENKUlT_SJ_SK_SL_E_clISE_PtSF_SF_EESI_SY_SJ_SK_SL_EUlSY_E1_NS1_11comp_targetILNS1_3genE8ELNS1_11target_archE1030ELNS1_3gpuE2ELNS1_3repE0EEENS1_36merge_oddeven_config_static_selectorELNS0_4arch9wavefront6targetE1EEEvSK_,@function
_ZN7rocprim17ROCPRIM_400000_NS6detail17trampoline_kernelINS0_14default_configENS1_38merge_sort_block_merge_config_selectorItNS0_10empty_typeEEEZZNS1_27merge_sort_block_merge_implIS3_N6thrust23THRUST_200600_302600_NS6detail15normal_iteratorINS9_10device_ptrItEEEEPS5_m14custom_greaterItEEE10hipError_tT0_T1_T2_jT3_P12ihipStream_tbPNSt15iterator_traitsISJ_E10value_typeEPNSP_ISK_E10value_typeEPSL_NS1_7vsmem_tEENKUlT_SJ_SK_SL_E_clISE_PtSF_SF_EESI_SY_SJ_SK_SL_EUlSY_E1_NS1_11comp_targetILNS1_3genE8ELNS1_11target_archE1030ELNS1_3gpuE2ELNS1_3repE0EEENS1_36merge_oddeven_config_static_selectorELNS0_4arch9wavefront6targetE1EEEvSK_: ; @_ZN7rocprim17ROCPRIM_400000_NS6detail17trampoline_kernelINS0_14default_configENS1_38merge_sort_block_merge_config_selectorItNS0_10empty_typeEEEZZNS1_27merge_sort_block_merge_implIS3_N6thrust23THRUST_200600_302600_NS6detail15normal_iteratorINS9_10device_ptrItEEEEPS5_m14custom_greaterItEEE10hipError_tT0_T1_T2_jT3_P12ihipStream_tbPNSt15iterator_traitsISJ_E10value_typeEPNSP_ISK_E10value_typeEPSL_NS1_7vsmem_tEENKUlT_SJ_SK_SL_E_clISE_PtSF_SF_EESI_SY_SJ_SK_SL_EUlSY_E1_NS1_11comp_targetILNS1_3genE8ELNS1_11target_archE1030ELNS1_3gpuE2ELNS1_3repE0EEENS1_36merge_oddeven_config_static_selectorELNS0_4arch9wavefront6targetE1EEEvSK_
; %bb.0:
	.section	.rodata,"a",@progbits
	.p2align	6, 0x0
	.amdhsa_kernel _ZN7rocprim17ROCPRIM_400000_NS6detail17trampoline_kernelINS0_14default_configENS1_38merge_sort_block_merge_config_selectorItNS0_10empty_typeEEEZZNS1_27merge_sort_block_merge_implIS3_N6thrust23THRUST_200600_302600_NS6detail15normal_iteratorINS9_10device_ptrItEEEEPS5_m14custom_greaterItEEE10hipError_tT0_T1_T2_jT3_P12ihipStream_tbPNSt15iterator_traitsISJ_E10value_typeEPNSP_ISK_E10value_typeEPSL_NS1_7vsmem_tEENKUlT_SJ_SK_SL_E_clISE_PtSF_SF_EESI_SY_SJ_SK_SL_EUlSY_E1_NS1_11comp_targetILNS1_3genE8ELNS1_11target_archE1030ELNS1_3gpuE2ELNS1_3repE0EEENS1_36merge_oddeven_config_static_selectorELNS0_4arch9wavefront6targetE1EEEvSK_
		.amdhsa_group_segment_fixed_size 0
		.amdhsa_private_segment_fixed_size 0
		.amdhsa_kernarg_size 56
		.amdhsa_user_sgpr_count 6
		.amdhsa_user_sgpr_private_segment_buffer 1
		.amdhsa_user_sgpr_dispatch_ptr 0
		.amdhsa_user_sgpr_queue_ptr 0
		.amdhsa_user_sgpr_kernarg_segment_ptr 1
		.amdhsa_user_sgpr_dispatch_id 0
		.amdhsa_user_sgpr_flat_scratch_init 0
		.amdhsa_user_sgpr_kernarg_preload_length 0
		.amdhsa_user_sgpr_kernarg_preload_offset 0
		.amdhsa_user_sgpr_private_segment_size 0
		.amdhsa_uses_dynamic_stack 0
		.amdhsa_system_sgpr_private_segment_wavefront_offset 0
		.amdhsa_system_sgpr_workgroup_id_x 1
		.amdhsa_system_sgpr_workgroup_id_y 0
		.amdhsa_system_sgpr_workgroup_id_z 0
		.amdhsa_system_sgpr_workgroup_info 0
		.amdhsa_system_vgpr_workitem_id 0
		.amdhsa_next_free_vgpr 1
		.amdhsa_next_free_sgpr 0
		.amdhsa_accum_offset 4
		.amdhsa_reserve_vcc 0
		.amdhsa_reserve_flat_scratch 0
		.amdhsa_float_round_mode_32 0
		.amdhsa_float_round_mode_16_64 0
		.amdhsa_float_denorm_mode_32 3
		.amdhsa_float_denorm_mode_16_64 3
		.amdhsa_dx10_clamp 1
		.amdhsa_ieee_mode 1
		.amdhsa_fp16_overflow 0
		.amdhsa_tg_split 0
		.amdhsa_exception_fp_ieee_invalid_op 0
		.amdhsa_exception_fp_denorm_src 0
		.amdhsa_exception_fp_ieee_div_zero 0
		.amdhsa_exception_fp_ieee_overflow 0
		.amdhsa_exception_fp_ieee_underflow 0
		.amdhsa_exception_fp_ieee_inexact 0
		.amdhsa_exception_int_div_zero 0
	.end_amdhsa_kernel
	.section	.text._ZN7rocprim17ROCPRIM_400000_NS6detail17trampoline_kernelINS0_14default_configENS1_38merge_sort_block_merge_config_selectorItNS0_10empty_typeEEEZZNS1_27merge_sort_block_merge_implIS3_N6thrust23THRUST_200600_302600_NS6detail15normal_iteratorINS9_10device_ptrItEEEEPS5_m14custom_greaterItEEE10hipError_tT0_T1_T2_jT3_P12ihipStream_tbPNSt15iterator_traitsISJ_E10value_typeEPNSP_ISK_E10value_typeEPSL_NS1_7vsmem_tEENKUlT_SJ_SK_SL_E_clISE_PtSF_SF_EESI_SY_SJ_SK_SL_EUlSY_E1_NS1_11comp_targetILNS1_3genE8ELNS1_11target_archE1030ELNS1_3gpuE2ELNS1_3repE0EEENS1_36merge_oddeven_config_static_selectorELNS0_4arch9wavefront6targetE1EEEvSK_,"axG",@progbits,_ZN7rocprim17ROCPRIM_400000_NS6detail17trampoline_kernelINS0_14default_configENS1_38merge_sort_block_merge_config_selectorItNS0_10empty_typeEEEZZNS1_27merge_sort_block_merge_implIS3_N6thrust23THRUST_200600_302600_NS6detail15normal_iteratorINS9_10device_ptrItEEEEPS5_m14custom_greaterItEEE10hipError_tT0_T1_T2_jT3_P12ihipStream_tbPNSt15iterator_traitsISJ_E10value_typeEPNSP_ISK_E10value_typeEPSL_NS1_7vsmem_tEENKUlT_SJ_SK_SL_E_clISE_PtSF_SF_EESI_SY_SJ_SK_SL_EUlSY_E1_NS1_11comp_targetILNS1_3genE8ELNS1_11target_archE1030ELNS1_3gpuE2ELNS1_3repE0EEENS1_36merge_oddeven_config_static_selectorELNS0_4arch9wavefront6targetE1EEEvSK_,comdat
.Lfunc_end3060:
	.size	_ZN7rocprim17ROCPRIM_400000_NS6detail17trampoline_kernelINS0_14default_configENS1_38merge_sort_block_merge_config_selectorItNS0_10empty_typeEEEZZNS1_27merge_sort_block_merge_implIS3_N6thrust23THRUST_200600_302600_NS6detail15normal_iteratorINS9_10device_ptrItEEEEPS5_m14custom_greaterItEEE10hipError_tT0_T1_T2_jT3_P12ihipStream_tbPNSt15iterator_traitsISJ_E10value_typeEPNSP_ISK_E10value_typeEPSL_NS1_7vsmem_tEENKUlT_SJ_SK_SL_E_clISE_PtSF_SF_EESI_SY_SJ_SK_SL_EUlSY_E1_NS1_11comp_targetILNS1_3genE8ELNS1_11target_archE1030ELNS1_3gpuE2ELNS1_3repE0EEENS1_36merge_oddeven_config_static_selectorELNS0_4arch9wavefront6targetE1EEEvSK_, .Lfunc_end3060-_ZN7rocprim17ROCPRIM_400000_NS6detail17trampoline_kernelINS0_14default_configENS1_38merge_sort_block_merge_config_selectorItNS0_10empty_typeEEEZZNS1_27merge_sort_block_merge_implIS3_N6thrust23THRUST_200600_302600_NS6detail15normal_iteratorINS9_10device_ptrItEEEEPS5_m14custom_greaterItEEE10hipError_tT0_T1_T2_jT3_P12ihipStream_tbPNSt15iterator_traitsISJ_E10value_typeEPNSP_ISK_E10value_typeEPSL_NS1_7vsmem_tEENKUlT_SJ_SK_SL_E_clISE_PtSF_SF_EESI_SY_SJ_SK_SL_EUlSY_E1_NS1_11comp_targetILNS1_3genE8ELNS1_11target_archE1030ELNS1_3gpuE2ELNS1_3repE0EEENS1_36merge_oddeven_config_static_selectorELNS0_4arch9wavefront6targetE1EEEvSK_
                                        ; -- End function
	.section	.AMDGPU.csdata,"",@progbits
; Kernel info:
; codeLenInByte = 0
; NumSgprs: 4
; NumVgprs: 0
; NumAgprs: 0
; TotalNumVgprs: 0
; ScratchSize: 0
; MemoryBound: 0
; FloatMode: 240
; IeeeMode: 1
; LDSByteSize: 0 bytes/workgroup (compile time only)
; SGPRBlocks: 0
; VGPRBlocks: 0
; NumSGPRsForWavesPerEU: 4
; NumVGPRsForWavesPerEU: 1
; AccumOffset: 4
; Occupancy: 8
; WaveLimiterHint : 0
; COMPUTE_PGM_RSRC2:SCRATCH_EN: 0
; COMPUTE_PGM_RSRC2:USER_SGPR: 6
; COMPUTE_PGM_RSRC2:TRAP_HANDLER: 0
; COMPUTE_PGM_RSRC2:TGID_X_EN: 1
; COMPUTE_PGM_RSRC2:TGID_Y_EN: 0
; COMPUTE_PGM_RSRC2:TGID_Z_EN: 0
; COMPUTE_PGM_RSRC2:TIDIG_COMP_CNT: 0
; COMPUTE_PGM_RSRC3_GFX90A:ACCUM_OFFSET: 0
; COMPUTE_PGM_RSRC3_GFX90A:TG_SPLIT: 0
	.section	.text._ZN7rocprim17ROCPRIM_400000_NS6detail17trampoline_kernelINS0_14default_configENS1_25transform_config_selectorItLb0EEEZNS1_14transform_implILb0ES3_S5_PtN6thrust23THRUST_200600_302600_NS6detail15normal_iteratorINS9_10device_ptrItEEEENS0_8identityItEEEE10hipError_tT2_T3_mT4_P12ihipStream_tbEUlT_E_NS1_11comp_targetILNS1_3genE0ELNS1_11target_archE4294967295ELNS1_3gpuE0ELNS1_3repE0EEENS1_30default_config_static_selectorELNS0_4arch9wavefront6targetE1EEEvT1_,"axG",@progbits,_ZN7rocprim17ROCPRIM_400000_NS6detail17trampoline_kernelINS0_14default_configENS1_25transform_config_selectorItLb0EEEZNS1_14transform_implILb0ES3_S5_PtN6thrust23THRUST_200600_302600_NS6detail15normal_iteratorINS9_10device_ptrItEEEENS0_8identityItEEEE10hipError_tT2_T3_mT4_P12ihipStream_tbEUlT_E_NS1_11comp_targetILNS1_3genE0ELNS1_11target_archE4294967295ELNS1_3gpuE0ELNS1_3repE0EEENS1_30default_config_static_selectorELNS0_4arch9wavefront6targetE1EEEvT1_,comdat
	.protected	_ZN7rocprim17ROCPRIM_400000_NS6detail17trampoline_kernelINS0_14default_configENS1_25transform_config_selectorItLb0EEEZNS1_14transform_implILb0ES3_S5_PtN6thrust23THRUST_200600_302600_NS6detail15normal_iteratorINS9_10device_ptrItEEEENS0_8identityItEEEE10hipError_tT2_T3_mT4_P12ihipStream_tbEUlT_E_NS1_11comp_targetILNS1_3genE0ELNS1_11target_archE4294967295ELNS1_3gpuE0ELNS1_3repE0EEENS1_30default_config_static_selectorELNS0_4arch9wavefront6targetE1EEEvT1_ ; -- Begin function _ZN7rocprim17ROCPRIM_400000_NS6detail17trampoline_kernelINS0_14default_configENS1_25transform_config_selectorItLb0EEEZNS1_14transform_implILb0ES3_S5_PtN6thrust23THRUST_200600_302600_NS6detail15normal_iteratorINS9_10device_ptrItEEEENS0_8identityItEEEE10hipError_tT2_T3_mT4_P12ihipStream_tbEUlT_E_NS1_11comp_targetILNS1_3genE0ELNS1_11target_archE4294967295ELNS1_3gpuE0ELNS1_3repE0EEENS1_30default_config_static_selectorELNS0_4arch9wavefront6targetE1EEEvT1_
	.globl	_ZN7rocprim17ROCPRIM_400000_NS6detail17trampoline_kernelINS0_14default_configENS1_25transform_config_selectorItLb0EEEZNS1_14transform_implILb0ES3_S5_PtN6thrust23THRUST_200600_302600_NS6detail15normal_iteratorINS9_10device_ptrItEEEENS0_8identityItEEEE10hipError_tT2_T3_mT4_P12ihipStream_tbEUlT_E_NS1_11comp_targetILNS1_3genE0ELNS1_11target_archE4294967295ELNS1_3gpuE0ELNS1_3repE0EEENS1_30default_config_static_selectorELNS0_4arch9wavefront6targetE1EEEvT1_
	.p2align	8
	.type	_ZN7rocprim17ROCPRIM_400000_NS6detail17trampoline_kernelINS0_14default_configENS1_25transform_config_selectorItLb0EEEZNS1_14transform_implILb0ES3_S5_PtN6thrust23THRUST_200600_302600_NS6detail15normal_iteratorINS9_10device_ptrItEEEENS0_8identityItEEEE10hipError_tT2_T3_mT4_P12ihipStream_tbEUlT_E_NS1_11comp_targetILNS1_3genE0ELNS1_11target_archE4294967295ELNS1_3gpuE0ELNS1_3repE0EEENS1_30default_config_static_selectorELNS0_4arch9wavefront6targetE1EEEvT1_,@function
_ZN7rocprim17ROCPRIM_400000_NS6detail17trampoline_kernelINS0_14default_configENS1_25transform_config_selectorItLb0EEEZNS1_14transform_implILb0ES3_S5_PtN6thrust23THRUST_200600_302600_NS6detail15normal_iteratorINS9_10device_ptrItEEEENS0_8identityItEEEE10hipError_tT2_T3_mT4_P12ihipStream_tbEUlT_E_NS1_11comp_targetILNS1_3genE0ELNS1_11target_archE4294967295ELNS1_3gpuE0ELNS1_3repE0EEENS1_30default_config_static_selectorELNS0_4arch9wavefront6targetE1EEEvT1_: ; @_ZN7rocprim17ROCPRIM_400000_NS6detail17trampoline_kernelINS0_14default_configENS1_25transform_config_selectorItLb0EEEZNS1_14transform_implILb0ES3_S5_PtN6thrust23THRUST_200600_302600_NS6detail15normal_iteratorINS9_10device_ptrItEEEENS0_8identityItEEEE10hipError_tT2_T3_mT4_P12ihipStream_tbEUlT_E_NS1_11comp_targetILNS1_3genE0ELNS1_11target_archE4294967295ELNS1_3gpuE0ELNS1_3repE0EEENS1_30default_config_static_selectorELNS0_4arch9wavefront6targetE1EEEvT1_
; %bb.0:
	.section	.rodata,"a",@progbits
	.p2align	6, 0x0
	.amdhsa_kernel _ZN7rocprim17ROCPRIM_400000_NS6detail17trampoline_kernelINS0_14default_configENS1_25transform_config_selectorItLb0EEEZNS1_14transform_implILb0ES3_S5_PtN6thrust23THRUST_200600_302600_NS6detail15normal_iteratorINS9_10device_ptrItEEEENS0_8identityItEEEE10hipError_tT2_T3_mT4_P12ihipStream_tbEUlT_E_NS1_11comp_targetILNS1_3genE0ELNS1_11target_archE4294967295ELNS1_3gpuE0ELNS1_3repE0EEENS1_30default_config_static_selectorELNS0_4arch9wavefront6targetE1EEEvT1_
		.amdhsa_group_segment_fixed_size 0
		.amdhsa_private_segment_fixed_size 0
		.amdhsa_kernarg_size 40
		.amdhsa_user_sgpr_count 6
		.amdhsa_user_sgpr_private_segment_buffer 1
		.amdhsa_user_sgpr_dispatch_ptr 0
		.amdhsa_user_sgpr_queue_ptr 0
		.amdhsa_user_sgpr_kernarg_segment_ptr 1
		.amdhsa_user_sgpr_dispatch_id 0
		.amdhsa_user_sgpr_flat_scratch_init 0
		.amdhsa_user_sgpr_kernarg_preload_length 0
		.amdhsa_user_sgpr_kernarg_preload_offset 0
		.amdhsa_user_sgpr_private_segment_size 0
		.amdhsa_uses_dynamic_stack 0
		.amdhsa_system_sgpr_private_segment_wavefront_offset 0
		.amdhsa_system_sgpr_workgroup_id_x 1
		.amdhsa_system_sgpr_workgroup_id_y 0
		.amdhsa_system_sgpr_workgroup_id_z 0
		.amdhsa_system_sgpr_workgroup_info 0
		.amdhsa_system_vgpr_workitem_id 0
		.amdhsa_next_free_vgpr 1
		.amdhsa_next_free_sgpr 0
		.amdhsa_accum_offset 4
		.amdhsa_reserve_vcc 0
		.amdhsa_reserve_flat_scratch 0
		.amdhsa_float_round_mode_32 0
		.amdhsa_float_round_mode_16_64 0
		.amdhsa_float_denorm_mode_32 3
		.amdhsa_float_denorm_mode_16_64 3
		.amdhsa_dx10_clamp 1
		.amdhsa_ieee_mode 1
		.amdhsa_fp16_overflow 0
		.amdhsa_tg_split 0
		.amdhsa_exception_fp_ieee_invalid_op 0
		.amdhsa_exception_fp_denorm_src 0
		.amdhsa_exception_fp_ieee_div_zero 0
		.amdhsa_exception_fp_ieee_overflow 0
		.amdhsa_exception_fp_ieee_underflow 0
		.amdhsa_exception_fp_ieee_inexact 0
		.amdhsa_exception_int_div_zero 0
	.end_amdhsa_kernel
	.section	.text._ZN7rocprim17ROCPRIM_400000_NS6detail17trampoline_kernelINS0_14default_configENS1_25transform_config_selectorItLb0EEEZNS1_14transform_implILb0ES3_S5_PtN6thrust23THRUST_200600_302600_NS6detail15normal_iteratorINS9_10device_ptrItEEEENS0_8identityItEEEE10hipError_tT2_T3_mT4_P12ihipStream_tbEUlT_E_NS1_11comp_targetILNS1_3genE0ELNS1_11target_archE4294967295ELNS1_3gpuE0ELNS1_3repE0EEENS1_30default_config_static_selectorELNS0_4arch9wavefront6targetE1EEEvT1_,"axG",@progbits,_ZN7rocprim17ROCPRIM_400000_NS6detail17trampoline_kernelINS0_14default_configENS1_25transform_config_selectorItLb0EEEZNS1_14transform_implILb0ES3_S5_PtN6thrust23THRUST_200600_302600_NS6detail15normal_iteratorINS9_10device_ptrItEEEENS0_8identityItEEEE10hipError_tT2_T3_mT4_P12ihipStream_tbEUlT_E_NS1_11comp_targetILNS1_3genE0ELNS1_11target_archE4294967295ELNS1_3gpuE0ELNS1_3repE0EEENS1_30default_config_static_selectorELNS0_4arch9wavefront6targetE1EEEvT1_,comdat
.Lfunc_end3061:
	.size	_ZN7rocprim17ROCPRIM_400000_NS6detail17trampoline_kernelINS0_14default_configENS1_25transform_config_selectorItLb0EEEZNS1_14transform_implILb0ES3_S5_PtN6thrust23THRUST_200600_302600_NS6detail15normal_iteratorINS9_10device_ptrItEEEENS0_8identityItEEEE10hipError_tT2_T3_mT4_P12ihipStream_tbEUlT_E_NS1_11comp_targetILNS1_3genE0ELNS1_11target_archE4294967295ELNS1_3gpuE0ELNS1_3repE0EEENS1_30default_config_static_selectorELNS0_4arch9wavefront6targetE1EEEvT1_, .Lfunc_end3061-_ZN7rocprim17ROCPRIM_400000_NS6detail17trampoline_kernelINS0_14default_configENS1_25transform_config_selectorItLb0EEEZNS1_14transform_implILb0ES3_S5_PtN6thrust23THRUST_200600_302600_NS6detail15normal_iteratorINS9_10device_ptrItEEEENS0_8identityItEEEE10hipError_tT2_T3_mT4_P12ihipStream_tbEUlT_E_NS1_11comp_targetILNS1_3genE0ELNS1_11target_archE4294967295ELNS1_3gpuE0ELNS1_3repE0EEENS1_30default_config_static_selectorELNS0_4arch9wavefront6targetE1EEEvT1_
                                        ; -- End function
	.section	.AMDGPU.csdata,"",@progbits
; Kernel info:
; codeLenInByte = 0
; NumSgprs: 4
; NumVgprs: 0
; NumAgprs: 0
; TotalNumVgprs: 0
; ScratchSize: 0
; MemoryBound: 0
; FloatMode: 240
; IeeeMode: 1
; LDSByteSize: 0 bytes/workgroup (compile time only)
; SGPRBlocks: 0
; VGPRBlocks: 0
; NumSGPRsForWavesPerEU: 4
; NumVGPRsForWavesPerEU: 1
; AccumOffset: 4
; Occupancy: 8
; WaveLimiterHint : 0
; COMPUTE_PGM_RSRC2:SCRATCH_EN: 0
; COMPUTE_PGM_RSRC2:USER_SGPR: 6
; COMPUTE_PGM_RSRC2:TRAP_HANDLER: 0
; COMPUTE_PGM_RSRC2:TGID_X_EN: 1
; COMPUTE_PGM_RSRC2:TGID_Y_EN: 0
; COMPUTE_PGM_RSRC2:TGID_Z_EN: 0
; COMPUTE_PGM_RSRC2:TIDIG_COMP_CNT: 0
; COMPUTE_PGM_RSRC3_GFX90A:ACCUM_OFFSET: 0
; COMPUTE_PGM_RSRC3_GFX90A:TG_SPLIT: 0
	.section	.text._ZN7rocprim17ROCPRIM_400000_NS6detail17trampoline_kernelINS0_14default_configENS1_25transform_config_selectorItLb0EEEZNS1_14transform_implILb0ES3_S5_PtN6thrust23THRUST_200600_302600_NS6detail15normal_iteratorINS9_10device_ptrItEEEENS0_8identityItEEEE10hipError_tT2_T3_mT4_P12ihipStream_tbEUlT_E_NS1_11comp_targetILNS1_3genE5ELNS1_11target_archE942ELNS1_3gpuE9ELNS1_3repE0EEENS1_30default_config_static_selectorELNS0_4arch9wavefront6targetE1EEEvT1_,"axG",@progbits,_ZN7rocprim17ROCPRIM_400000_NS6detail17trampoline_kernelINS0_14default_configENS1_25transform_config_selectorItLb0EEEZNS1_14transform_implILb0ES3_S5_PtN6thrust23THRUST_200600_302600_NS6detail15normal_iteratorINS9_10device_ptrItEEEENS0_8identityItEEEE10hipError_tT2_T3_mT4_P12ihipStream_tbEUlT_E_NS1_11comp_targetILNS1_3genE5ELNS1_11target_archE942ELNS1_3gpuE9ELNS1_3repE0EEENS1_30default_config_static_selectorELNS0_4arch9wavefront6targetE1EEEvT1_,comdat
	.protected	_ZN7rocprim17ROCPRIM_400000_NS6detail17trampoline_kernelINS0_14default_configENS1_25transform_config_selectorItLb0EEEZNS1_14transform_implILb0ES3_S5_PtN6thrust23THRUST_200600_302600_NS6detail15normal_iteratorINS9_10device_ptrItEEEENS0_8identityItEEEE10hipError_tT2_T3_mT4_P12ihipStream_tbEUlT_E_NS1_11comp_targetILNS1_3genE5ELNS1_11target_archE942ELNS1_3gpuE9ELNS1_3repE0EEENS1_30default_config_static_selectorELNS0_4arch9wavefront6targetE1EEEvT1_ ; -- Begin function _ZN7rocprim17ROCPRIM_400000_NS6detail17trampoline_kernelINS0_14default_configENS1_25transform_config_selectorItLb0EEEZNS1_14transform_implILb0ES3_S5_PtN6thrust23THRUST_200600_302600_NS6detail15normal_iteratorINS9_10device_ptrItEEEENS0_8identityItEEEE10hipError_tT2_T3_mT4_P12ihipStream_tbEUlT_E_NS1_11comp_targetILNS1_3genE5ELNS1_11target_archE942ELNS1_3gpuE9ELNS1_3repE0EEENS1_30default_config_static_selectorELNS0_4arch9wavefront6targetE1EEEvT1_
	.globl	_ZN7rocprim17ROCPRIM_400000_NS6detail17trampoline_kernelINS0_14default_configENS1_25transform_config_selectorItLb0EEEZNS1_14transform_implILb0ES3_S5_PtN6thrust23THRUST_200600_302600_NS6detail15normal_iteratorINS9_10device_ptrItEEEENS0_8identityItEEEE10hipError_tT2_T3_mT4_P12ihipStream_tbEUlT_E_NS1_11comp_targetILNS1_3genE5ELNS1_11target_archE942ELNS1_3gpuE9ELNS1_3repE0EEENS1_30default_config_static_selectorELNS0_4arch9wavefront6targetE1EEEvT1_
	.p2align	8
	.type	_ZN7rocprim17ROCPRIM_400000_NS6detail17trampoline_kernelINS0_14default_configENS1_25transform_config_selectorItLb0EEEZNS1_14transform_implILb0ES3_S5_PtN6thrust23THRUST_200600_302600_NS6detail15normal_iteratorINS9_10device_ptrItEEEENS0_8identityItEEEE10hipError_tT2_T3_mT4_P12ihipStream_tbEUlT_E_NS1_11comp_targetILNS1_3genE5ELNS1_11target_archE942ELNS1_3gpuE9ELNS1_3repE0EEENS1_30default_config_static_selectorELNS0_4arch9wavefront6targetE1EEEvT1_,@function
_ZN7rocprim17ROCPRIM_400000_NS6detail17trampoline_kernelINS0_14default_configENS1_25transform_config_selectorItLb0EEEZNS1_14transform_implILb0ES3_S5_PtN6thrust23THRUST_200600_302600_NS6detail15normal_iteratorINS9_10device_ptrItEEEENS0_8identityItEEEE10hipError_tT2_T3_mT4_P12ihipStream_tbEUlT_E_NS1_11comp_targetILNS1_3genE5ELNS1_11target_archE942ELNS1_3gpuE9ELNS1_3repE0EEENS1_30default_config_static_selectorELNS0_4arch9wavefront6targetE1EEEvT1_: ; @_ZN7rocprim17ROCPRIM_400000_NS6detail17trampoline_kernelINS0_14default_configENS1_25transform_config_selectorItLb0EEEZNS1_14transform_implILb0ES3_S5_PtN6thrust23THRUST_200600_302600_NS6detail15normal_iteratorINS9_10device_ptrItEEEENS0_8identityItEEEE10hipError_tT2_T3_mT4_P12ihipStream_tbEUlT_E_NS1_11comp_targetILNS1_3genE5ELNS1_11target_archE942ELNS1_3gpuE9ELNS1_3repE0EEENS1_30default_config_static_selectorELNS0_4arch9wavefront6targetE1EEEvT1_
; %bb.0:
	.section	.rodata,"a",@progbits
	.p2align	6, 0x0
	.amdhsa_kernel _ZN7rocprim17ROCPRIM_400000_NS6detail17trampoline_kernelINS0_14default_configENS1_25transform_config_selectorItLb0EEEZNS1_14transform_implILb0ES3_S5_PtN6thrust23THRUST_200600_302600_NS6detail15normal_iteratorINS9_10device_ptrItEEEENS0_8identityItEEEE10hipError_tT2_T3_mT4_P12ihipStream_tbEUlT_E_NS1_11comp_targetILNS1_3genE5ELNS1_11target_archE942ELNS1_3gpuE9ELNS1_3repE0EEENS1_30default_config_static_selectorELNS0_4arch9wavefront6targetE1EEEvT1_
		.amdhsa_group_segment_fixed_size 0
		.amdhsa_private_segment_fixed_size 0
		.amdhsa_kernarg_size 40
		.amdhsa_user_sgpr_count 6
		.amdhsa_user_sgpr_private_segment_buffer 1
		.amdhsa_user_sgpr_dispatch_ptr 0
		.amdhsa_user_sgpr_queue_ptr 0
		.amdhsa_user_sgpr_kernarg_segment_ptr 1
		.amdhsa_user_sgpr_dispatch_id 0
		.amdhsa_user_sgpr_flat_scratch_init 0
		.amdhsa_user_sgpr_kernarg_preload_length 0
		.amdhsa_user_sgpr_kernarg_preload_offset 0
		.amdhsa_user_sgpr_private_segment_size 0
		.amdhsa_uses_dynamic_stack 0
		.amdhsa_system_sgpr_private_segment_wavefront_offset 0
		.amdhsa_system_sgpr_workgroup_id_x 1
		.amdhsa_system_sgpr_workgroup_id_y 0
		.amdhsa_system_sgpr_workgroup_id_z 0
		.amdhsa_system_sgpr_workgroup_info 0
		.amdhsa_system_vgpr_workitem_id 0
		.amdhsa_next_free_vgpr 1
		.amdhsa_next_free_sgpr 0
		.amdhsa_accum_offset 4
		.amdhsa_reserve_vcc 0
		.amdhsa_reserve_flat_scratch 0
		.amdhsa_float_round_mode_32 0
		.amdhsa_float_round_mode_16_64 0
		.amdhsa_float_denorm_mode_32 3
		.amdhsa_float_denorm_mode_16_64 3
		.amdhsa_dx10_clamp 1
		.amdhsa_ieee_mode 1
		.amdhsa_fp16_overflow 0
		.amdhsa_tg_split 0
		.amdhsa_exception_fp_ieee_invalid_op 0
		.amdhsa_exception_fp_denorm_src 0
		.amdhsa_exception_fp_ieee_div_zero 0
		.amdhsa_exception_fp_ieee_overflow 0
		.amdhsa_exception_fp_ieee_underflow 0
		.amdhsa_exception_fp_ieee_inexact 0
		.amdhsa_exception_int_div_zero 0
	.end_amdhsa_kernel
	.section	.text._ZN7rocprim17ROCPRIM_400000_NS6detail17trampoline_kernelINS0_14default_configENS1_25transform_config_selectorItLb0EEEZNS1_14transform_implILb0ES3_S5_PtN6thrust23THRUST_200600_302600_NS6detail15normal_iteratorINS9_10device_ptrItEEEENS0_8identityItEEEE10hipError_tT2_T3_mT4_P12ihipStream_tbEUlT_E_NS1_11comp_targetILNS1_3genE5ELNS1_11target_archE942ELNS1_3gpuE9ELNS1_3repE0EEENS1_30default_config_static_selectorELNS0_4arch9wavefront6targetE1EEEvT1_,"axG",@progbits,_ZN7rocprim17ROCPRIM_400000_NS6detail17trampoline_kernelINS0_14default_configENS1_25transform_config_selectorItLb0EEEZNS1_14transform_implILb0ES3_S5_PtN6thrust23THRUST_200600_302600_NS6detail15normal_iteratorINS9_10device_ptrItEEEENS0_8identityItEEEE10hipError_tT2_T3_mT4_P12ihipStream_tbEUlT_E_NS1_11comp_targetILNS1_3genE5ELNS1_11target_archE942ELNS1_3gpuE9ELNS1_3repE0EEENS1_30default_config_static_selectorELNS0_4arch9wavefront6targetE1EEEvT1_,comdat
.Lfunc_end3062:
	.size	_ZN7rocprim17ROCPRIM_400000_NS6detail17trampoline_kernelINS0_14default_configENS1_25transform_config_selectorItLb0EEEZNS1_14transform_implILb0ES3_S5_PtN6thrust23THRUST_200600_302600_NS6detail15normal_iteratorINS9_10device_ptrItEEEENS0_8identityItEEEE10hipError_tT2_T3_mT4_P12ihipStream_tbEUlT_E_NS1_11comp_targetILNS1_3genE5ELNS1_11target_archE942ELNS1_3gpuE9ELNS1_3repE0EEENS1_30default_config_static_selectorELNS0_4arch9wavefront6targetE1EEEvT1_, .Lfunc_end3062-_ZN7rocprim17ROCPRIM_400000_NS6detail17trampoline_kernelINS0_14default_configENS1_25transform_config_selectorItLb0EEEZNS1_14transform_implILb0ES3_S5_PtN6thrust23THRUST_200600_302600_NS6detail15normal_iteratorINS9_10device_ptrItEEEENS0_8identityItEEEE10hipError_tT2_T3_mT4_P12ihipStream_tbEUlT_E_NS1_11comp_targetILNS1_3genE5ELNS1_11target_archE942ELNS1_3gpuE9ELNS1_3repE0EEENS1_30default_config_static_selectorELNS0_4arch9wavefront6targetE1EEEvT1_
                                        ; -- End function
	.section	.AMDGPU.csdata,"",@progbits
; Kernel info:
; codeLenInByte = 0
; NumSgprs: 4
; NumVgprs: 0
; NumAgprs: 0
; TotalNumVgprs: 0
; ScratchSize: 0
; MemoryBound: 0
; FloatMode: 240
; IeeeMode: 1
; LDSByteSize: 0 bytes/workgroup (compile time only)
; SGPRBlocks: 0
; VGPRBlocks: 0
; NumSGPRsForWavesPerEU: 4
; NumVGPRsForWavesPerEU: 1
; AccumOffset: 4
; Occupancy: 8
; WaveLimiterHint : 0
; COMPUTE_PGM_RSRC2:SCRATCH_EN: 0
; COMPUTE_PGM_RSRC2:USER_SGPR: 6
; COMPUTE_PGM_RSRC2:TRAP_HANDLER: 0
; COMPUTE_PGM_RSRC2:TGID_X_EN: 1
; COMPUTE_PGM_RSRC2:TGID_Y_EN: 0
; COMPUTE_PGM_RSRC2:TGID_Z_EN: 0
; COMPUTE_PGM_RSRC2:TIDIG_COMP_CNT: 0
; COMPUTE_PGM_RSRC3_GFX90A:ACCUM_OFFSET: 0
; COMPUTE_PGM_RSRC3_GFX90A:TG_SPLIT: 0
	.section	.text._ZN7rocprim17ROCPRIM_400000_NS6detail17trampoline_kernelINS0_14default_configENS1_25transform_config_selectorItLb0EEEZNS1_14transform_implILb0ES3_S5_PtN6thrust23THRUST_200600_302600_NS6detail15normal_iteratorINS9_10device_ptrItEEEENS0_8identityItEEEE10hipError_tT2_T3_mT4_P12ihipStream_tbEUlT_E_NS1_11comp_targetILNS1_3genE4ELNS1_11target_archE910ELNS1_3gpuE8ELNS1_3repE0EEENS1_30default_config_static_selectorELNS0_4arch9wavefront6targetE1EEEvT1_,"axG",@progbits,_ZN7rocprim17ROCPRIM_400000_NS6detail17trampoline_kernelINS0_14default_configENS1_25transform_config_selectorItLb0EEEZNS1_14transform_implILb0ES3_S5_PtN6thrust23THRUST_200600_302600_NS6detail15normal_iteratorINS9_10device_ptrItEEEENS0_8identityItEEEE10hipError_tT2_T3_mT4_P12ihipStream_tbEUlT_E_NS1_11comp_targetILNS1_3genE4ELNS1_11target_archE910ELNS1_3gpuE8ELNS1_3repE0EEENS1_30default_config_static_selectorELNS0_4arch9wavefront6targetE1EEEvT1_,comdat
	.protected	_ZN7rocprim17ROCPRIM_400000_NS6detail17trampoline_kernelINS0_14default_configENS1_25transform_config_selectorItLb0EEEZNS1_14transform_implILb0ES3_S5_PtN6thrust23THRUST_200600_302600_NS6detail15normal_iteratorINS9_10device_ptrItEEEENS0_8identityItEEEE10hipError_tT2_T3_mT4_P12ihipStream_tbEUlT_E_NS1_11comp_targetILNS1_3genE4ELNS1_11target_archE910ELNS1_3gpuE8ELNS1_3repE0EEENS1_30default_config_static_selectorELNS0_4arch9wavefront6targetE1EEEvT1_ ; -- Begin function _ZN7rocprim17ROCPRIM_400000_NS6detail17trampoline_kernelINS0_14default_configENS1_25transform_config_selectorItLb0EEEZNS1_14transform_implILb0ES3_S5_PtN6thrust23THRUST_200600_302600_NS6detail15normal_iteratorINS9_10device_ptrItEEEENS0_8identityItEEEE10hipError_tT2_T3_mT4_P12ihipStream_tbEUlT_E_NS1_11comp_targetILNS1_3genE4ELNS1_11target_archE910ELNS1_3gpuE8ELNS1_3repE0EEENS1_30default_config_static_selectorELNS0_4arch9wavefront6targetE1EEEvT1_
	.globl	_ZN7rocprim17ROCPRIM_400000_NS6detail17trampoline_kernelINS0_14default_configENS1_25transform_config_selectorItLb0EEEZNS1_14transform_implILb0ES3_S5_PtN6thrust23THRUST_200600_302600_NS6detail15normal_iteratorINS9_10device_ptrItEEEENS0_8identityItEEEE10hipError_tT2_T3_mT4_P12ihipStream_tbEUlT_E_NS1_11comp_targetILNS1_3genE4ELNS1_11target_archE910ELNS1_3gpuE8ELNS1_3repE0EEENS1_30default_config_static_selectorELNS0_4arch9wavefront6targetE1EEEvT1_
	.p2align	8
	.type	_ZN7rocprim17ROCPRIM_400000_NS6detail17trampoline_kernelINS0_14default_configENS1_25transform_config_selectorItLb0EEEZNS1_14transform_implILb0ES3_S5_PtN6thrust23THRUST_200600_302600_NS6detail15normal_iteratorINS9_10device_ptrItEEEENS0_8identityItEEEE10hipError_tT2_T3_mT4_P12ihipStream_tbEUlT_E_NS1_11comp_targetILNS1_3genE4ELNS1_11target_archE910ELNS1_3gpuE8ELNS1_3repE0EEENS1_30default_config_static_selectorELNS0_4arch9wavefront6targetE1EEEvT1_,@function
_ZN7rocprim17ROCPRIM_400000_NS6detail17trampoline_kernelINS0_14default_configENS1_25transform_config_selectorItLb0EEEZNS1_14transform_implILb0ES3_S5_PtN6thrust23THRUST_200600_302600_NS6detail15normal_iteratorINS9_10device_ptrItEEEENS0_8identityItEEEE10hipError_tT2_T3_mT4_P12ihipStream_tbEUlT_E_NS1_11comp_targetILNS1_3genE4ELNS1_11target_archE910ELNS1_3gpuE8ELNS1_3repE0EEENS1_30default_config_static_selectorELNS0_4arch9wavefront6targetE1EEEvT1_: ; @_ZN7rocprim17ROCPRIM_400000_NS6detail17trampoline_kernelINS0_14default_configENS1_25transform_config_selectorItLb0EEEZNS1_14transform_implILb0ES3_S5_PtN6thrust23THRUST_200600_302600_NS6detail15normal_iteratorINS9_10device_ptrItEEEENS0_8identityItEEEE10hipError_tT2_T3_mT4_P12ihipStream_tbEUlT_E_NS1_11comp_targetILNS1_3genE4ELNS1_11target_archE910ELNS1_3gpuE8ELNS1_3repE0EEENS1_30default_config_static_selectorELNS0_4arch9wavefront6targetE1EEEvT1_
; %bb.0:
	s_load_dwordx8 s[8:15], s[4:5], 0x0
	s_load_dword s2, s[4:5], 0x28
	v_lshlrev_b32_e32 v8, 1, v0
	s_waitcnt lgkmcnt(0)
	s_lshl_b64 s[0:1], s[10:11], 1
	s_add_u32 s3, s8, s0
	s_addc_u32 s4, s9, s1
	s_add_u32 s22, s14, s0
	s_addc_u32 s23, s15, s1
	s_lshl_b32 s0, s6, 9
	s_mov_b32 s1, 0
	s_add_i32 s2, s2, -1
	s_lshl_b64 s[18:19], s[0:1], 1
	s_add_u32 s20, s3, s18
	s_addc_u32 s21, s4, s19
	s_cmp_lg_u32 s6, s2
	s_cbranch_scc0 .LBB3063_2
; %bb.1:
	global_load_ushort v2, v8, s[20:21]
	global_load_ushort v3, v8, s[20:21] offset:128
	global_load_ushort v4, v8, s[20:21] offset:256
	;; [unrolled: 1-line block ×7, first 2 shown]
	s_add_u32 s1, s22, s18
	s_addc_u32 s4, s23, s19
	v_mov_b32_e32 v7, s4
	v_add_co_u32_e32 v6, vcc, s1, v8
	v_addc_co_u32_e32 v7, vcc, 0, v7, vcc
	s_mov_b64 s[16:17], -1
	s_waitcnt vmcnt(7)
	flat_store_short v[6:7], v2
	s_waitcnt vmcnt(0)
	flat_store_short v[6:7], v3 offset:128
	flat_store_short v[6:7], v4 offset:256
	;; [unrolled: 1-line block ×6, first 2 shown]
	s_cbranch_execz .LBB3063_3
	s_branch .LBB3063_34
.LBB3063_2:
	s_mov_b64 s[16:17], 0
                                        ; implicit-def: $vgpr1
                                        ; implicit-def: $vgpr6_vgpr7
.LBB3063_3:
	s_sub_i32 s14, s12, s0
	v_cmp_gt_u32_e32 vcc, s14, v0
                                        ; implicit-def: $vgpr2_vgpr3_vgpr4_vgpr5
	s_and_saveexec_b64 s[0:1], vcc
	s_cbranch_execz .LBB3063_5
; %bb.4:
	global_load_ushort v2, v8, s[20:21]
.LBB3063_5:
	s_or_b64 exec, exec, s[0:1]
	v_or_b32_e32 v1, 64, v0
	v_cmp_gt_u32_e64 s[0:1], s14, v1
	s_and_saveexec_b64 s[2:3], s[0:1]
	s_cbranch_execz .LBB3063_7
; %bb.6:
	global_load_ushort v1, v8, s[20:21] offset:128
	s_mov_b32 s4, 0x5040100
	s_waitcnt vmcnt(0)
	v_perm_b32 v2, v1, v2, s4
.LBB3063_7:
	s_or_b64 exec, exec, s[2:3]
	v_or_b32_e32 v1, 0x80, v0
	v_cmp_gt_u32_e64 s[2:3], s14, v1
	s_and_saveexec_b64 s[4:5], s[2:3]
	s_cbranch_execz .LBB3063_9
; %bb.8:
	global_load_ushort v1, v8, s[20:21] offset:256
	s_mov_b32 s6, 0xffff
	s_waitcnt vmcnt(0)
	v_bfi_b32 v3, s6, v1, v3
.LBB3063_9:
	s_or_b64 exec, exec, s[4:5]
	v_or_b32_e32 v1, 0xc0, v0
	v_cmp_gt_u32_e64 s[4:5], s14, v1
	s_and_saveexec_b64 s[6:7], s[4:5]
	s_cbranch_execz .LBB3063_11
; %bb.10:
	global_load_ushort v1, v8, s[20:21] offset:384
	s_mov_b32 s8, 0x5040100
	s_waitcnt vmcnt(0)
	v_perm_b32 v3, v1, v3, s8
.LBB3063_11:
	s_or_b64 exec, exec, s[6:7]
	v_or_b32_e32 v1, 0x100, v0
	v_cmp_gt_u32_e64 s[6:7], s14, v1
	s_and_saveexec_b64 s[8:9], s[6:7]
	s_cbranch_execz .LBB3063_13
; %bb.12:
	global_load_ushort v1, v8, s[20:21] offset:512
	s_mov_b32 s10, 0xffff
	s_waitcnt vmcnt(0)
	v_bfi_b32 v4, s10, v1, v4
.LBB3063_13:
	;; [unrolled: 22-line block ×3, first 2 shown]
	s_or_b64 exec, exec, s[12:13]
	v_or_b32_e32 v1, 0x1c0, v0
	v_cmp_gt_u32_e64 s[12:13], s14, v1
	v_cmp_le_u32_e64 s[14:15], s14, v1
	s_and_saveexec_b64 s[24:25], s[14:15]
	s_xor_b64 s[14:15], exec, s[24:25]
; %bb.18:
	v_mov_b32_e32 v1, 0
                                        ; implicit-def: $vgpr8
; %bb.19:
	s_andn2_saveexec_b64 s[14:15], s[14:15]
	s_cbranch_execz .LBB3063_21
; %bb.20:
	global_load_ushort v6, v8, s[20:21] offset:896
	s_mov_b32 s20, 0x5040100
	v_mov_b32_e32 v1, 0
	s_waitcnt vmcnt(0)
	v_perm_b32 v5, v6, v5, s20
.LBB3063_21:
	s_or_b64 exec, exec, s[14:15]
	s_add_u32 s14, s22, s18
	s_addc_u32 s15, s23, s19
	v_lshlrev_b64 v[0:1], 1, v[0:1]
	v_mov_b32_e32 v7, s15
	v_add_co_u32_e64 v6, s[14:15], s14, v0
	v_addc_co_u32_e64 v7, s[14:15], v7, v1, s[14:15]
	s_and_saveexec_b64 s[14:15], vcc
	s_cbranch_execnz .LBB3063_37
; %bb.22:
	s_or_b64 exec, exec, s[14:15]
	s_and_saveexec_b64 s[14:15], s[0:1]
	s_cbranch_execnz .LBB3063_38
.LBB3063_23:
	s_or_b64 exec, exec, s[14:15]
	s_mov_b32 s14, 0xffff
	s_and_saveexec_b64 s[0:1], s[2:3]
	s_cbranch_execz .LBB3063_25
.LBB3063_24:
	flat_store_short v[6:7], v3 offset:256
.LBB3063_25:
	s_or_b64 exec, exec, s[0:1]
	v_bfi_b32 v0, s14, v3, v3
	v_cndmask_b32_e64 v0, v0, v3, s[4:5]
	s_and_saveexec_b64 s[0:1], s[4:5]
	s_cbranch_execz .LBB3063_27
; %bb.26:
	flat_store_short_d16_hi v[6:7], v0 offset:384
.LBB3063_27:
	s_or_b64 exec, exec, s[0:1]
	s_mov_b32 s2, 0xffff
	v_cndmask_b32_e64 v0, v4, v4, s[6:7]
	s_and_saveexec_b64 s[0:1], s[6:7]
	s_cbranch_execz .LBB3063_29
; %bb.28:
	flat_store_short v[6:7], v0 offset:512
.LBB3063_29:
	s_or_b64 exec, exec, s[0:1]
	v_bfi_b32 v0, s2, v0, v4
	v_cndmask_b32_e64 v0, v0, v4, s[8:9]
	s_and_saveexec_b64 s[0:1], s[8:9]
	s_cbranch_execnz .LBB3063_39
; %bb.30:
	s_or_b64 exec, exec, s[0:1]
	s_and_saveexec_b64 s[0:1], s[10:11]
	s_cbranch_execnz .LBB3063_40
.LBB3063_31:
	s_or_b64 exec, exec, s[0:1]
                                        ; implicit-def: $vgpr1
	s_and_saveexec_b64 s[0:1], s[12:13]
.LBB3063_32:
	v_cndmask_b32_e64 v0, v5, v5, s[12:13]
	v_lshrrev_b32_e32 v1, 16, v0
	s_or_b64 s[16:17], s[16:17], exec
.LBB3063_33:
	s_or_b64 exec, exec, s[0:1]
.LBB3063_34:
	s_and_saveexec_b64 s[0:1], s[16:17]
	s_cbranch_execnz .LBB3063_36
; %bb.35:
	s_endpgm
.LBB3063_36:
	flat_store_short v[6:7], v1 offset:896
	s_endpgm
.LBB3063_37:
	s_waitcnt vmcnt(0)
	flat_store_short v[6:7], v2
	s_or_b64 exec, exec, s[14:15]
	s_and_saveexec_b64 s[14:15], s[0:1]
	s_cbranch_execz .LBB3063_23
.LBB3063_38:
	s_waitcnt vmcnt(0)
	flat_store_short_d16_hi v[6:7], v2 offset:128
	s_or_b64 exec, exec, s[14:15]
	s_mov_b32 s14, 0xffff
	s_and_saveexec_b64 s[0:1], s[2:3]
	s_cbranch_execnz .LBB3063_24
	s_branch .LBB3063_25
.LBB3063_39:
	flat_store_short_d16_hi v[6:7], v0 offset:640
	s_or_b64 exec, exec, s[0:1]
	s_and_saveexec_b64 s[0:1], s[10:11]
	s_cbranch_execz .LBB3063_31
.LBB3063_40:
	v_cndmask_b32_e64 v0, v5, v5, s[10:11]
	flat_store_short v[6:7], v0 offset:768
	s_or_b64 exec, exec, s[0:1]
                                        ; implicit-def: $vgpr1
	s_and_saveexec_b64 s[0:1], s[12:13]
	s_cbranch_execnz .LBB3063_32
	s_branch .LBB3063_33
	.section	.rodata,"a",@progbits
	.p2align	6, 0x0
	.amdhsa_kernel _ZN7rocprim17ROCPRIM_400000_NS6detail17trampoline_kernelINS0_14default_configENS1_25transform_config_selectorItLb0EEEZNS1_14transform_implILb0ES3_S5_PtN6thrust23THRUST_200600_302600_NS6detail15normal_iteratorINS9_10device_ptrItEEEENS0_8identityItEEEE10hipError_tT2_T3_mT4_P12ihipStream_tbEUlT_E_NS1_11comp_targetILNS1_3genE4ELNS1_11target_archE910ELNS1_3gpuE8ELNS1_3repE0EEENS1_30default_config_static_selectorELNS0_4arch9wavefront6targetE1EEEvT1_
		.amdhsa_group_segment_fixed_size 0
		.amdhsa_private_segment_fixed_size 0
		.amdhsa_kernarg_size 296
		.amdhsa_user_sgpr_count 6
		.amdhsa_user_sgpr_private_segment_buffer 1
		.amdhsa_user_sgpr_dispatch_ptr 0
		.amdhsa_user_sgpr_queue_ptr 0
		.amdhsa_user_sgpr_kernarg_segment_ptr 1
		.amdhsa_user_sgpr_dispatch_id 0
		.amdhsa_user_sgpr_flat_scratch_init 0
		.amdhsa_user_sgpr_kernarg_preload_length 0
		.amdhsa_user_sgpr_kernarg_preload_offset 0
		.amdhsa_user_sgpr_private_segment_size 0
		.amdhsa_uses_dynamic_stack 0
		.amdhsa_system_sgpr_private_segment_wavefront_offset 0
		.amdhsa_system_sgpr_workgroup_id_x 1
		.amdhsa_system_sgpr_workgroup_id_y 0
		.amdhsa_system_sgpr_workgroup_id_z 0
		.amdhsa_system_sgpr_workgroup_info 0
		.amdhsa_system_vgpr_workitem_id 0
		.amdhsa_next_free_vgpr 12
		.amdhsa_next_free_sgpr 26
		.amdhsa_accum_offset 12
		.amdhsa_reserve_vcc 1
		.amdhsa_reserve_flat_scratch 0
		.amdhsa_float_round_mode_32 0
		.amdhsa_float_round_mode_16_64 0
		.amdhsa_float_denorm_mode_32 3
		.amdhsa_float_denorm_mode_16_64 3
		.amdhsa_dx10_clamp 1
		.amdhsa_ieee_mode 1
		.amdhsa_fp16_overflow 0
		.amdhsa_tg_split 0
		.amdhsa_exception_fp_ieee_invalid_op 0
		.amdhsa_exception_fp_denorm_src 0
		.amdhsa_exception_fp_ieee_div_zero 0
		.amdhsa_exception_fp_ieee_overflow 0
		.amdhsa_exception_fp_ieee_underflow 0
		.amdhsa_exception_fp_ieee_inexact 0
		.amdhsa_exception_int_div_zero 0
	.end_amdhsa_kernel
	.section	.text._ZN7rocprim17ROCPRIM_400000_NS6detail17trampoline_kernelINS0_14default_configENS1_25transform_config_selectorItLb0EEEZNS1_14transform_implILb0ES3_S5_PtN6thrust23THRUST_200600_302600_NS6detail15normal_iteratorINS9_10device_ptrItEEEENS0_8identityItEEEE10hipError_tT2_T3_mT4_P12ihipStream_tbEUlT_E_NS1_11comp_targetILNS1_3genE4ELNS1_11target_archE910ELNS1_3gpuE8ELNS1_3repE0EEENS1_30default_config_static_selectorELNS0_4arch9wavefront6targetE1EEEvT1_,"axG",@progbits,_ZN7rocprim17ROCPRIM_400000_NS6detail17trampoline_kernelINS0_14default_configENS1_25transform_config_selectorItLb0EEEZNS1_14transform_implILb0ES3_S5_PtN6thrust23THRUST_200600_302600_NS6detail15normal_iteratorINS9_10device_ptrItEEEENS0_8identityItEEEE10hipError_tT2_T3_mT4_P12ihipStream_tbEUlT_E_NS1_11comp_targetILNS1_3genE4ELNS1_11target_archE910ELNS1_3gpuE8ELNS1_3repE0EEENS1_30default_config_static_selectorELNS0_4arch9wavefront6targetE1EEEvT1_,comdat
.Lfunc_end3063:
	.size	_ZN7rocprim17ROCPRIM_400000_NS6detail17trampoline_kernelINS0_14default_configENS1_25transform_config_selectorItLb0EEEZNS1_14transform_implILb0ES3_S5_PtN6thrust23THRUST_200600_302600_NS6detail15normal_iteratorINS9_10device_ptrItEEEENS0_8identityItEEEE10hipError_tT2_T3_mT4_P12ihipStream_tbEUlT_E_NS1_11comp_targetILNS1_3genE4ELNS1_11target_archE910ELNS1_3gpuE8ELNS1_3repE0EEENS1_30default_config_static_selectorELNS0_4arch9wavefront6targetE1EEEvT1_, .Lfunc_end3063-_ZN7rocprim17ROCPRIM_400000_NS6detail17trampoline_kernelINS0_14default_configENS1_25transform_config_selectorItLb0EEEZNS1_14transform_implILb0ES3_S5_PtN6thrust23THRUST_200600_302600_NS6detail15normal_iteratorINS9_10device_ptrItEEEENS0_8identityItEEEE10hipError_tT2_T3_mT4_P12ihipStream_tbEUlT_E_NS1_11comp_targetILNS1_3genE4ELNS1_11target_archE910ELNS1_3gpuE8ELNS1_3repE0EEENS1_30default_config_static_selectorELNS0_4arch9wavefront6targetE1EEEvT1_
                                        ; -- End function
	.section	.AMDGPU.csdata,"",@progbits
; Kernel info:
; codeLenInByte = 1040
; NumSgprs: 30
; NumVgprs: 12
; NumAgprs: 0
; TotalNumVgprs: 12
; ScratchSize: 0
; MemoryBound: 0
; FloatMode: 240
; IeeeMode: 1
; LDSByteSize: 0 bytes/workgroup (compile time only)
; SGPRBlocks: 3
; VGPRBlocks: 1
; NumSGPRsForWavesPerEU: 30
; NumVGPRsForWavesPerEU: 12
; AccumOffset: 12
; Occupancy: 8
; WaveLimiterHint : 1
; COMPUTE_PGM_RSRC2:SCRATCH_EN: 0
; COMPUTE_PGM_RSRC2:USER_SGPR: 6
; COMPUTE_PGM_RSRC2:TRAP_HANDLER: 0
; COMPUTE_PGM_RSRC2:TGID_X_EN: 1
; COMPUTE_PGM_RSRC2:TGID_Y_EN: 0
; COMPUTE_PGM_RSRC2:TGID_Z_EN: 0
; COMPUTE_PGM_RSRC2:TIDIG_COMP_CNT: 0
; COMPUTE_PGM_RSRC3_GFX90A:ACCUM_OFFSET: 2
; COMPUTE_PGM_RSRC3_GFX90A:TG_SPLIT: 0
	.section	.text._ZN7rocprim17ROCPRIM_400000_NS6detail17trampoline_kernelINS0_14default_configENS1_25transform_config_selectorItLb0EEEZNS1_14transform_implILb0ES3_S5_PtN6thrust23THRUST_200600_302600_NS6detail15normal_iteratorINS9_10device_ptrItEEEENS0_8identityItEEEE10hipError_tT2_T3_mT4_P12ihipStream_tbEUlT_E_NS1_11comp_targetILNS1_3genE3ELNS1_11target_archE908ELNS1_3gpuE7ELNS1_3repE0EEENS1_30default_config_static_selectorELNS0_4arch9wavefront6targetE1EEEvT1_,"axG",@progbits,_ZN7rocprim17ROCPRIM_400000_NS6detail17trampoline_kernelINS0_14default_configENS1_25transform_config_selectorItLb0EEEZNS1_14transform_implILb0ES3_S5_PtN6thrust23THRUST_200600_302600_NS6detail15normal_iteratorINS9_10device_ptrItEEEENS0_8identityItEEEE10hipError_tT2_T3_mT4_P12ihipStream_tbEUlT_E_NS1_11comp_targetILNS1_3genE3ELNS1_11target_archE908ELNS1_3gpuE7ELNS1_3repE0EEENS1_30default_config_static_selectorELNS0_4arch9wavefront6targetE1EEEvT1_,comdat
	.protected	_ZN7rocprim17ROCPRIM_400000_NS6detail17trampoline_kernelINS0_14default_configENS1_25transform_config_selectorItLb0EEEZNS1_14transform_implILb0ES3_S5_PtN6thrust23THRUST_200600_302600_NS6detail15normal_iteratorINS9_10device_ptrItEEEENS0_8identityItEEEE10hipError_tT2_T3_mT4_P12ihipStream_tbEUlT_E_NS1_11comp_targetILNS1_3genE3ELNS1_11target_archE908ELNS1_3gpuE7ELNS1_3repE0EEENS1_30default_config_static_selectorELNS0_4arch9wavefront6targetE1EEEvT1_ ; -- Begin function _ZN7rocprim17ROCPRIM_400000_NS6detail17trampoline_kernelINS0_14default_configENS1_25transform_config_selectorItLb0EEEZNS1_14transform_implILb0ES3_S5_PtN6thrust23THRUST_200600_302600_NS6detail15normal_iteratorINS9_10device_ptrItEEEENS0_8identityItEEEE10hipError_tT2_T3_mT4_P12ihipStream_tbEUlT_E_NS1_11comp_targetILNS1_3genE3ELNS1_11target_archE908ELNS1_3gpuE7ELNS1_3repE0EEENS1_30default_config_static_selectorELNS0_4arch9wavefront6targetE1EEEvT1_
	.globl	_ZN7rocprim17ROCPRIM_400000_NS6detail17trampoline_kernelINS0_14default_configENS1_25transform_config_selectorItLb0EEEZNS1_14transform_implILb0ES3_S5_PtN6thrust23THRUST_200600_302600_NS6detail15normal_iteratorINS9_10device_ptrItEEEENS0_8identityItEEEE10hipError_tT2_T3_mT4_P12ihipStream_tbEUlT_E_NS1_11comp_targetILNS1_3genE3ELNS1_11target_archE908ELNS1_3gpuE7ELNS1_3repE0EEENS1_30default_config_static_selectorELNS0_4arch9wavefront6targetE1EEEvT1_
	.p2align	8
	.type	_ZN7rocprim17ROCPRIM_400000_NS6detail17trampoline_kernelINS0_14default_configENS1_25transform_config_selectorItLb0EEEZNS1_14transform_implILb0ES3_S5_PtN6thrust23THRUST_200600_302600_NS6detail15normal_iteratorINS9_10device_ptrItEEEENS0_8identityItEEEE10hipError_tT2_T3_mT4_P12ihipStream_tbEUlT_E_NS1_11comp_targetILNS1_3genE3ELNS1_11target_archE908ELNS1_3gpuE7ELNS1_3repE0EEENS1_30default_config_static_selectorELNS0_4arch9wavefront6targetE1EEEvT1_,@function
_ZN7rocprim17ROCPRIM_400000_NS6detail17trampoline_kernelINS0_14default_configENS1_25transform_config_selectorItLb0EEEZNS1_14transform_implILb0ES3_S5_PtN6thrust23THRUST_200600_302600_NS6detail15normal_iteratorINS9_10device_ptrItEEEENS0_8identityItEEEE10hipError_tT2_T3_mT4_P12ihipStream_tbEUlT_E_NS1_11comp_targetILNS1_3genE3ELNS1_11target_archE908ELNS1_3gpuE7ELNS1_3repE0EEENS1_30default_config_static_selectorELNS0_4arch9wavefront6targetE1EEEvT1_: ; @_ZN7rocprim17ROCPRIM_400000_NS6detail17trampoline_kernelINS0_14default_configENS1_25transform_config_selectorItLb0EEEZNS1_14transform_implILb0ES3_S5_PtN6thrust23THRUST_200600_302600_NS6detail15normal_iteratorINS9_10device_ptrItEEEENS0_8identityItEEEE10hipError_tT2_T3_mT4_P12ihipStream_tbEUlT_E_NS1_11comp_targetILNS1_3genE3ELNS1_11target_archE908ELNS1_3gpuE7ELNS1_3repE0EEENS1_30default_config_static_selectorELNS0_4arch9wavefront6targetE1EEEvT1_
; %bb.0:
	.section	.rodata,"a",@progbits
	.p2align	6, 0x0
	.amdhsa_kernel _ZN7rocprim17ROCPRIM_400000_NS6detail17trampoline_kernelINS0_14default_configENS1_25transform_config_selectorItLb0EEEZNS1_14transform_implILb0ES3_S5_PtN6thrust23THRUST_200600_302600_NS6detail15normal_iteratorINS9_10device_ptrItEEEENS0_8identityItEEEE10hipError_tT2_T3_mT4_P12ihipStream_tbEUlT_E_NS1_11comp_targetILNS1_3genE3ELNS1_11target_archE908ELNS1_3gpuE7ELNS1_3repE0EEENS1_30default_config_static_selectorELNS0_4arch9wavefront6targetE1EEEvT1_
		.amdhsa_group_segment_fixed_size 0
		.amdhsa_private_segment_fixed_size 0
		.amdhsa_kernarg_size 40
		.amdhsa_user_sgpr_count 6
		.amdhsa_user_sgpr_private_segment_buffer 1
		.amdhsa_user_sgpr_dispatch_ptr 0
		.amdhsa_user_sgpr_queue_ptr 0
		.amdhsa_user_sgpr_kernarg_segment_ptr 1
		.amdhsa_user_sgpr_dispatch_id 0
		.amdhsa_user_sgpr_flat_scratch_init 0
		.amdhsa_user_sgpr_kernarg_preload_length 0
		.amdhsa_user_sgpr_kernarg_preload_offset 0
		.amdhsa_user_sgpr_private_segment_size 0
		.amdhsa_uses_dynamic_stack 0
		.amdhsa_system_sgpr_private_segment_wavefront_offset 0
		.amdhsa_system_sgpr_workgroup_id_x 1
		.amdhsa_system_sgpr_workgroup_id_y 0
		.amdhsa_system_sgpr_workgroup_id_z 0
		.amdhsa_system_sgpr_workgroup_info 0
		.amdhsa_system_vgpr_workitem_id 0
		.amdhsa_next_free_vgpr 1
		.amdhsa_next_free_sgpr 0
		.amdhsa_accum_offset 4
		.amdhsa_reserve_vcc 0
		.amdhsa_reserve_flat_scratch 0
		.amdhsa_float_round_mode_32 0
		.amdhsa_float_round_mode_16_64 0
		.amdhsa_float_denorm_mode_32 3
		.amdhsa_float_denorm_mode_16_64 3
		.amdhsa_dx10_clamp 1
		.amdhsa_ieee_mode 1
		.amdhsa_fp16_overflow 0
		.amdhsa_tg_split 0
		.amdhsa_exception_fp_ieee_invalid_op 0
		.amdhsa_exception_fp_denorm_src 0
		.amdhsa_exception_fp_ieee_div_zero 0
		.amdhsa_exception_fp_ieee_overflow 0
		.amdhsa_exception_fp_ieee_underflow 0
		.amdhsa_exception_fp_ieee_inexact 0
		.amdhsa_exception_int_div_zero 0
	.end_amdhsa_kernel
	.section	.text._ZN7rocprim17ROCPRIM_400000_NS6detail17trampoline_kernelINS0_14default_configENS1_25transform_config_selectorItLb0EEEZNS1_14transform_implILb0ES3_S5_PtN6thrust23THRUST_200600_302600_NS6detail15normal_iteratorINS9_10device_ptrItEEEENS0_8identityItEEEE10hipError_tT2_T3_mT4_P12ihipStream_tbEUlT_E_NS1_11comp_targetILNS1_3genE3ELNS1_11target_archE908ELNS1_3gpuE7ELNS1_3repE0EEENS1_30default_config_static_selectorELNS0_4arch9wavefront6targetE1EEEvT1_,"axG",@progbits,_ZN7rocprim17ROCPRIM_400000_NS6detail17trampoline_kernelINS0_14default_configENS1_25transform_config_selectorItLb0EEEZNS1_14transform_implILb0ES3_S5_PtN6thrust23THRUST_200600_302600_NS6detail15normal_iteratorINS9_10device_ptrItEEEENS0_8identityItEEEE10hipError_tT2_T3_mT4_P12ihipStream_tbEUlT_E_NS1_11comp_targetILNS1_3genE3ELNS1_11target_archE908ELNS1_3gpuE7ELNS1_3repE0EEENS1_30default_config_static_selectorELNS0_4arch9wavefront6targetE1EEEvT1_,comdat
.Lfunc_end3064:
	.size	_ZN7rocprim17ROCPRIM_400000_NS6detail17trampoline_kernelINS0_14default_configENS1_25transform_config_selectorItLb0EEEZNS1_14transform_implILb0ES3_S5_PtN6thrust23THRUST_200600_302600_NS6detail15normal_iteratorINS9_10device_ptrItEEEENS0_8identityItEEEE10hipError_tT2_T3_mT4_P12ihipStream_tbEUlT_E_NS1_11comp_targetILNS1_3genE3ELNS1_11target_archE908ELNS1_3gpuE7ELNS1_3repE0EEENS1_30default_config_static_selectorELNS0_4arch9wavefront6targetE1EEEvT1_, .Lfunc_end3064-_ZN7rocprim17ROCPRIM_400000_NS6detail17trampoline_kernelINS0_14default_configENS1_25transform_config_selectorItLb0EEEZNS1_14transform_implILb0ES3_S5_PtN6thrust23THRUST_200600_302600_NS6detail15normal_iteratorINS9_10device_ptrItEEEENS0_8identityItEEEE10hipError_tT2_T3_mT4_P12ihipStream_tbEUlT_E_NS1_11comp_targetILNS1_3genE3ELNS1_11target_archE908ELNS1_3gpuE7ELNS1_3repE0EEENS1_30default_config_static_selectorELNS0_4arch9wavefront6targetE1EEEvT1_
                                        ; -- End function
	.section	.AMDGPU.csdata,"",@progbits
; Kernel info:
; codeLenInByte = 0
; NumSgprs: 4
; NumVgprs: 0
; NumAgprs: 0
; TotalNumVgprs: 0
; ScratchSize: 0
; MemoryBound: 0
; FloatMode: 240
; IeeeMode: 1
; LDSByteSize: 0 bytes/workgroup (compile time only)
; SGPRBlocks: 0
; VGPRBlocks: 0
; NumSGPRsForWavesPerEU: 4
; NumVGPRsForWavesPerEU: 1
; AccumOffset: 4
; Occupancy: 8
; WaveLimiterHint : 0
; COMPUTE_PGM_RSRC2:SCRATCH_EN: 0
; COMPUTE_PGM_RSRC2:USER_SGPR: 6
; COMPUTE_PGM_RSRC2:TRAP_HANDLER: 0
; COMPUTE_PGM_RSRC2:TGID_X_EN: 1
; COMPUTE_PGM_RSRC2:TGID_Y_EN: 0
; COMPUTE_PGM_RSRC2:TGID_Z_EN: 0
; COMPUTE_PGM_RSRC2:TIDIG_COMP_CNT: 0
; COMPUTE_PGM_RSRC3_GFX90A:ACCUM_OFFSET: 0
; COMPUTE_PGM_RSRC3_GFX90A:TG_SPLIT: 0
	.section	.text._ZN7rocprim17ROCPRIM_400000_NS6detail17trampoline_kernelINS0_14default_configENS1_25transform_config_selectorItLb0EEEZNS1_14transform_implILb0ES3_S5_PtN6thrust23THRUST_200600_302600_NS6detail15normal_iteratorINS9_10device_ptrItEEEENS0_8identityItEEEE10hipError_tT2_T3_mT4_P12ihipStream_tbEUlT_E_NS1_11comp_targetILNS1_3genE2ELNS1_11target_archE906ELNS1_3gpuE6ELNS1_3repE0EEENS1_30default_config_static_selectorELNS0_4arch9wavefront6targetE1EEEvT1_,"axG",@progbits,_ZN7rocprim17ROCPRIM_400000_NS6detail17trampoline_kernelINS0_14default_configENS1_25transform_config_selectorItLb0EEEZNS1_14transform_implILb0ES3_S5_PtN6thrust23THRUST_200600_302600_NS6detail15normal_iteratorINS9_10device_ptrItEEEENS0_8identityItEEEE10hipError_tT2_T3_mT4_P12ihipStream_tbEUlT_E_NS1_11comp_targetILNS1_3genE2ELNS1_11target_archE906ELNS1_3gpuE6ELNS1_3repE0EEENS1_30default_config_static_selectorELNS0_4arch9wavefront6targetE1EEEvT1_,comdat
	.protected	_ZN7rocprim17ROCPRIM_400000_NS6detail17trampoline_kernelINS0_14default_configENS1_25transform_config_selectorItLb0EEEZNS1_14transform_implILb0ES3_S5_PtN6thrust23THRUST_200600_302600_NS6detail15normal_iteratorINS9_10device_ptrItEEEENS0_8identityItEEEE10hipError_tT2_T3_mT4_P12ihipStream_tbEUlT_E_NS1_11comp_targetILNS1_3genE2ELNS1_11target_archE906ELNS1_3gpuE6ELNS1_3repE0EEENS1_30default_config_static_selectorELNS0_4arch9wavefront6targetE1EEEvT1_ ; -- Begin function _ZN7rocprim17ROCPRIM_400000_NS6detail17trampoline_kernelINS0_14default_configENS1_25transform_config_selectorItLb0EEEZNS1_14transform_implILb0ES3_S5_PtN6thrust23THRUST_200600_302600_NS6detail15normal_iteratorINS9_10device_ptrItEEEENS0_8identityItEEEE10hipError_tT2_T3_mT4_P12ihipStream_tbEUlT_E_NS1_11comp_targetILNS1_3genE2ELNS1_11target_archE906ELNS1_3gpuE6ELNS1_3repE0EEENS1_30default_config_static_selectorELNS0_4arch9wavefront6targetE1EEEvT1_
	.globl	_ZN7rocprim17ROCPRIM_400000_NS6detail17trampoline_kernelINS0_14default_configENS1_25transform_config_selectorItLb0EEEZNS1_14transform_implILb0ES3_S5_PtN6thrust23THRUST_200600_302600_NS6detail15normal_iteratorINS9_10device_ptrItEEEENS0_8identityItEEEE10hipError_tT2_T3_mT4_P12ihipStream_tbEUlT_E_NS1_11comp_targetILNS1_3genE2ELNS1_11target_archE906ELNS1_3gpuE6ELNS1_3repE0EEENS1_30default_config_static_selectorELNS0_4arch9wavefront6targetE1EEEvT1_
	.p2align	8
	.type	_ZN7rocprim17ROCPRIM_400000_NS6detail17trampoline_kernelINS0_14default_configENS1_25transform_config_selectorItLb0EEEZNS1_14transform_implILb0ES3_S5_PtN6thrust23THRUST_200600_302600_NS6detail15normal_iteratorINS9_10device_ptrItEEEENS0_8identityItEEEE10hipError_tT2_T3_mT4_P12ihipStream_tbEUlT_E_NS1_11comp_targetILNS1_3genE2ELNS1_11target_archE906ELNS1_3gpuE6ELNS1_3repE0EEENS1_30default_config_static_selectorELNS0_4arch9wavefront6targetE1EEEvT1_,@function
_ZN7rocprim17ROCPRIM_400000_NS6detail17trampoline_kernelINS0_14default_configENS1_25transform_config_selectorItLb0EEEZNS1_14transform_implILb0ES3_S5_PtN6thrust23THRUST_200600_302600_NS6detail15normal_iteratorINS9_10device_ptrItEEEENS0_8identityItEEEE10hipError_tT2_T3_mT4_P12ihipStream_tbEUlT_E_NS1_11comp_targetILNS1_3genE2ELNS1_11target_archE906ELNS1_3gpuE6ELNS1_3repE0EEENS1_30default_config_static_selectorELNS0_4arch9wavefront6targetE1EEEvT1_: ; @_ZN7rocprim17ROCPRIM_400000_NS6detail17trampoline_kernelINS0_14default_configENS1_25transform_config_selectorItLb0EEEZNS1_14transform_implILb0ES3_S5_PtN6thrust23THRUST_200600_302600_NS6detail15normal_iteratorINS9_10device_ptrItEEEENS0_8identityItEEEE10hipError_tT2_T3_mT4_P12ihipStream_tbEUlT_E_NS1_11comp_targetILNS1_3genE2ELNS1_11target_archE906ELNS1_3gpuE6ELNS1_3repE0EEENS1_30default_config_static_selectorELNS0_4arch9wavefront6targetE1EEEvT1_
; %bb.0:
	.section	.rodata,"a",@progbits
	.p2align	6, 0x0
	.amdhsa_kernel _ZN7rocprim17ROCPRIM_400000_NS6detail17trampoline_kernelINS0_14default_configENS1_25transform_config_selectorItLb0EEEZNS1_14transform_implILb0ES3_S5_PtN6thrust23THRUST_200600_302600_NS6detail15normal_iteratorINS9_10device_ptrItEEEENS0_8identityItEEEE10hipError_tT2_T3_mT4_P12ihipStream_tbEUlT_E_NS1_11comp_targetILNS1_3genE2ELNS1_11target_archE906ELNS1_3gpuE6ELNS1_3repE0EEENS1_30default_config_static_selectorELNS0_4arch9wavefront6targetE1EEEvT1_
		.amdhsa_group_segment_fixed_size 0
		.amdhsa_private_segment_fixed_size 0
		.amdhsa_kernarg_size 40
		.amdhsa_user_sgpr_count 6
		.amdhsa_user_sgpr_private_segment_buffer 1
		.amdhsa_user_sgpr_dispatch_ptr 0
		.amdhsa_user_sgpr_queue_ptr 0
		.amdhsa_user_sgpr_kernarg_segment_ptr 1
		.amdhsa_user_sgpr_dispatch_id 0
		.amdhsa_user_sgpr_flat_scratch_init 0
		.amdhsa_user_sgpr_kernarg_preload_length 0
		.amdhsa_user_sgpr_kernarg_preload_offset 0
		.amdhsa_user_sgpr_private_segment_size 0
		.amdhsa_uses_dynamic_stack 0
		.amdhsa_system_sgpr_private_segment_wavefront_offset 0
		.amdhsa_system_sgpr_workgroup_id_x 1
		.amdhsa_system_sgpr_workgroup_id_y 0
		.amdhsa_system_sgpr_workgroup_id_z 0
		.amdhsa_system_sgpr_workgroup_info 0
		.amdhsa_system_vgpr_workitem_id 0
		.amdhsa_next_free_vgpr 1
		.amdhsa_next_free_sgpr 0
		.amdhsa_accum_offset 4
		.amdhsa_reserve_vcc 0
		.amdhsa_reserve_flat_scratch 0
		.amdhsa_float_round_mode_32 0
		.amdhsa_float_round_mode_16_64 0
		.amdhsa_float_denorm_mode_32 3
		.amdhsa_float_denorm_mode_16_64 3
		.amdhsa_dx10_clamp 1
		.amdhsa_ieee_mode 1
		.amdhsa_fp16_overflow 0
		.amdhsa_tg_split 0
		.amdhsa_exception_fp_ieee_invalid_op 0
		.amdhsa_exception_fp_denorm_src 0
		.amdhsa_exception_fp_ieee_div_zero 0
		.amdhsa_exception_fp_ieee_overflow 0
		.amdhsa_exception_fp_ieee_underflow 0
		.amdhsa_exception_fp_ieee_inexact 0
		.amdhsa_exception_int_div_zero 0
	.end_amdhsa_kernel
	.section	.text._ZN7rocprim17ROCPRIM_400000_NS6detail17trampoline_kernelINS0_14default_configENS1_25transform_config_selectorItLb0EEEZNS1_14transform_implILb0ES3_S5_PtN6thrust23THRUST_200600_302600_NS6detail15normal_iteratorINS9_10device_ptrItEEEENS0_8identityItEEEE10hipError_tT2_T3_mT4_P12ihipStream_tbEUlT_E_NS1_11comp_targetILNS1_3genE2ELNS1_11target_archE906ELNS1_3gpuE6ELNS1_3repE0EEENS1_30default_config_static_selectorELNS0_4arch9wavefront6targetE1EEEvT1_,"axG",@progbits,_ZN7rocprim17ROCPRIM_400000_NS6detail17trampoline_kernelINS0_14default_configENS1_25transform_config_selectorItLb0EEEZNS1_14transform_implILb0ES3_S5_PtN6thrust23THRUST_200600_302600_NS6detail15normal_iteratorINS9_10device_ptrItEEEENS0_8identityItEEEE10hipError_tT2_T3_mT4_P12ihipStream_tbEUlT_E_NS1_11comp_targetILNS1_3genE2ELNS1_11target_archE906ELNS1_3gpuE6ELNS1_3repE0EEENS1_30default_config_static_selectorELNS0_4arch9wavefront6targetE1EEEvT1_,comdat
.Lfunc_end3065:
	.size	_ZN7rocprim17ROCPRIM_400000_NS6detail17trampoline_kernelINS0_14default_configENS1_25transform_config_selectorItLb0EEEZNS1_14transform_implILb0ES3_S5_PtN6thrust23THRUST_200600_302600_NS6detail15normal_iteratorINS9_10device_ptrItEEEENS0_8identityItEEEE10hipError_tT2_T3_mT4_P12ihipStream_tbEUlT_E_NS1_11comp_targetILNS1_3genE2ELNS1_11target_archE906ELNS1_3gpuE6ELNS1_3repE0EEENS1_30default_config_static_selectorELNS0_4arch9wavefront6targetE1EEEvT1_, .Lfunc_end3065-_ZN7rocprim17ROCPRIM_400000_NS6detail17trampoline_kernelINS0_14default_configENS1_25transform_config_selectorItLb0EEEZNS1_14transform_implILb0ES3_S5_PtN6thrust23THRUST_200600_302600_NS6detail15normal_iteratorINS9_10device_ptrItEEEENS0_8identityItEEEE10hipError_tT2_T3_mT4_P12ihipStream_tbEUlT_E_NS1_11comp_targetILNS1_3genE2ELNS1_11target_archE906ELNS1_3gpuE6ELNS1_3repE0EEENS1_30default_config_static_selectorELNS0_4arch9wavefront6targetE1EEEvT1_
                                        ; -- End function
	.section	.AMDGPU.csdata,"",@progbits
; Kernel info:
; codeLenInByte = 0
; NumSgprs: 4
; NumVgprs: 0
; NumAgprs: 0
; TotalNumVgprs: 0
; ScratchSize: 0
; MemoryBound: 0
; FloatMode: 240
; IeeeMode: 1
; LDSByteSize: 0 bytes/workgroup (compile time only)
; SGPRBlocks: 0
; VGPRBlocks: 0
; NumSGPRsForWavesPerEU: 4
; NumVGPRsForWavesPerEU: 1
; AccumOffset: 4
; Occupancy: 8
; WaveLimiterHint : 0
; COMPUTE_PGM_RSRC2:SCRATCH_EN: 0
; COMPUTE_PGM_RSRC2:USER_SGPR: 6
; COMPUTE_PGM_RSRC2:TRAP_HANDLER: 0
; COMPUTE_PGM_RSRC2:TGID_X_EN: 1
; COMPUTE_PGM_RSRC2:TGID_Y_EN: 0
; COMPUTE_PGM_RSRC2:TGID_Z_EN: 0
; COMPUTE_PGM_RSRC2:TIDIG_COMP_CNT: 0
; COMPUTE_PGM_RSRC3_GFX90A:ACCUM_OFFSET: 0
; COMPUTE_PGM_RSRC3_GFX90A:TG_SPLIT: 0
	.section	.text._ZN7rocprim17ROCPRIM_400000_NS6detail17trampoline_kernelINS0_14default_configENS1_25transform_config_selectorItLb0EEEZNS1_14transform_implILb0ES3_S5_PtN6thrust23THRUST_200600_302600_NS6detail15normal_iteratorINS9_10device_ptrItEEEENS0_8identityItEEEE10hipError_tT2_T3_mT4_P12ihipStream_tbEUlT_E_NS1_11comp_targetILNS1_3genE10ELNS1_11target_archE1201ELNS1_3gpuE5ELNS1_3repE0EEENS1_30default_config_static_selectorELNS0_4arch9wavefront6targetE1EEEvT1_,"axG",@progbits,_ZN7rocprim17ROCPRIM_400000_NS6detail17trampoline_kernelINS0_14default_configENS1_25transform_config_selectorItLb0EEEZNS1_14transform_implILb0ES3_S5_PtN6thrust23THRUST_200600_302600_NS6detail15normal_iteratorINS9_10device_ptrItEEEENS0_8identityItEEEE10hipError_tT2_T3_mT4_P12ihipStream_tbEUlT_E_NS1_11comp_targetILNS1_3genE10ELNS1_11target_archE1201ELNS1_3gpuE5ELNS1_3repE0EEENS1_30default_config_static_selectorELNS0_4arch9wavefront6targetE1EEEvT1_,comdat
	.protected	_ZN7rocprim17ROCPRIM_400000_NS6detail17trampoline_kernelINS0_14default_configENS1_25transform_config_selectorItLb0EEEZNS1_14transform_implILb0ES3_S5_PtN6thrust23THRUST_200600_302600_NS6detail15normal_iteratorINS9_10device_ptrItEEEENS0_8identityItEEEE10hipError_tT2_T3_mT4_P12ihipStream_tbEUlT_E_NS1_11comp_targetILNS1_3genE10ELNS1_11target_archE1201ELNS1_3gpuE5ELNS1_3repE0EEENS1_30default_config_static_selectorELNS0_4arch9wavefront6targetE1EEEvT1_ ; -- Begin function _ZN7rocprim17ROCPRIM_400000_NS6detail17trampoline_kernelINS0_14default_configENS1_25transform_config_selectorItLb0EEEZNS1_14transform_implILb0ES3_S5_PtN6thrust23THRUST_200600_302600_NS6detail15normal_iteratorINS9_10device_ptrItEEEENS0_8identityItEEEE10hipError_tT2_T3_mT4_P12ihipStream_tbEUlT_E_NS1_11comp_targetILNS1_3genE10ELNS1_11target_archE1201ELNS1_3gpuE5ELNS1_3repE0EEENS1_30default_config_static_selectorELNS0_4arch9wavefront6targetE1EEEvT1_
	.globl	_ZN7rocprim17ROCPRIM_400000_NS6detail17trampoline_kernelINS0_14default_configENS1_25transform_config_selectorItLb0EEEZNS1_14transform_implILb0ES3_S5_PtN6thrust23THRUST_200600_302600_NS6detail15normal_iteratorINS9_10device_ptrItEEEENS0_8identityItEEEE10hipError_tT2_T3_mT4_P12ihipStream_tbEUlT_E_NS1_11comp_targetILNS1_3genE10ELNS1_11target_archE1201ELNS1_3gpuE5ELNS1_3repE0EEENS1_30default_config_static_selectorELNS0_4arch9wavefront6targetE1EEEvT1_
	.p2align	8
	.type	_ZN7rocprim17ROCPRIM_400000_NS6detail17trampoline_kernelINS0_14default_configENS1_25transform_config_selectorItLb0EEEZNS1_14transform_implILb0ES3_S5_PtN6thrust23THRUST_200600_302600_NS6detail15normal_iteratorINS9_10device_ptrItEEEENS0_8identityItEEEE10hipError_tT2_T3_mT4_P12ihipStream_tbEUlT_E_NS1_11comp_targetILNS1_3genE10ELNS1_11target_archE1201ELNS1_3gpuE5ELNS1_3repE0EEENS1_30default_config_static_selectorELNS0_4arch9wavefront6targetE1EEEvT1_,@function
_ZN7rocprim17ROCPRIM_400000_NS6detail17trampoline_kernelINS0_14default_configENS1_25transform_config_selectorItLb0EEEZNS1_14transform_implILb0ES3_S5_PtN6thrust23THRUST_200600_302600_NS6detail15normal_iteratorINS9_10device_ptrItEEEENS0_8identityItEEEE10hipError_tT2_T3_mT4_P12ihipStream_tbEUlT_E_NS1_11comp_targetILNS1_3genE10ELNS1_11target_archE1201ELNS1_3gpuE5ELNS1_3repE0EEENS1_30default_config_static_selectorELNS0_4arch9wavefront6targetE1EEEvT1_: ; @_ZN7rocprim17ROCPRIM_400000_NS6detail17trampoline_kernelINS0_14default_configENS1_25transform_config_selectorItLb0EEEZNS1_14transform_implILb0ES3_S5_PtN6thrust23THRUST_200600_302600_NS6detail15normal_iteratorINS9_10device_ptrItEEEENS0_8identityItEEEE10hipError_tT2_T3_mT4_P12ihipStream_tbEUlT_E_NS1_11comp_targetILNS1_3genE10ELNS1_11target_archE1201ELNS1_3gpuE5ELNS1_3repE0EEENS1_30default_config_static_selectorELNS0_4arch9wavefront6targetE1EEEvT1_
; %bb.0:
	.section	.rodata,"a",@progbits
	.p2align	6, 0x0
	.amdhsa_kernel _ZN7rocprim17ROCPRIM_400000_NS6detail17trampoline_kernelINS0_14default_configENS1_25transform_config_selectorItLb0EEEZNS1_14transform_implILb0ES3_S5_PtN6thrust23THRUST_200600_302600_NS6detail15normal_iteratorINS9_10device_ptrItEEEENS0_8identityItEEEE10hipError_tT2_T3_mT4_P12ihipStream_tbEUlT_E_NS1_11comp_targetILNS1_3genE10ELNS1_11target_archE1201ELNS1_3gpuE5ELNS1_3repE0EEENS1_30default_config_static_selectorELNS0_4arch9wavefront6targetE1EEEvT1_
		.amdhsa_group_segment_fixed_size 0
		.amdhsa_private_segment_fixed_size 0
		.amdhsa_kernarg_size 40
		.amdhsa_user_sgpr_count 6
		.amdhsa_user_sgpr_private_segment_buffer 1
		.amdhsa_user_sgpr_dispatch_ptr 0
		.amdhsa_user_sgpr_queue_ptr 0
		.amdhsa_user_sgpr_kernarg_segment_ptr 1
		.amdhsa_user_sgpr_dispatch_id 0
		.amdhsa_user_sgpr_flat_scratch_init 0
		.amdhsa_user_sgpr_kernarg_preload_length 0
		.amdhsa_user_sgpr_kernarg_preload_offset 0
		.amdhsa_user_sgpr_private_segment_size 0
		.amdhsa_uses_dynamic_stack 0
		.amdhsa_system_sgpr_private_segment_wavefront_offset 0
		.amdhsa_system_sgpr_workgroup_id_x 1
		.amdhsa_system_sgpr_workgroup_id_y 0
		.amdhsa_system_sgpr_workgroup_id_z 0
		.amdhsa_system_sgpr_workgroup_info 0
		.amdhsa_system_vgpr_workitem_id 0
		.amdhsa_next_free_vgpr 1
		.amdhsa_next_free_sgpr 0
		.amdhsa_accum_offset 4
		.amdhsa_reserve_vcc 0
		.amdhsa_reserve_flat_scratch 0
		.amdhsa_float_round_mode_32 0
		.amdhsa_float_round_mode_16_64 0
		.amdhsa_float_denorm_mode_32 3
		.amdhsa_float_denorm_mode_16_64 3
		.amdhsa_dx10_clamp 1
		.amdhsa_ieee_mode 1
		.amdhsa_fp16_overflow 0
		.amdhsa_tg_split 0
		.amdhsa_exception_fp_ieee_invalid_op 0
		.amdhsa_exception_fp_denorm_src 0
		.amdhsa_exception_fp_ieee_div_zero 0
		.amdhsa_exception_fp_ieee_overflow 0
		.amdhsa_exception_fp_ieee_underflow 0
		.amdhsa_exception_fp_ieee_inexact 0
		.amdhsa_exception_int_div_zero 0
	.end_amdhsa_kernel
	.section	.text._ZN7rocprim17ROCPRIM_400000_NS6detail17trampoline_kernelINS0_14default_configENS1_25transform_config_selectorItLb0EEEZNS1_14transform_implILb0ES3_S5_PtN6thrust23THRUST_200600_302600_NS6detail15normal_iteratorINS9_10device_ptrItEEEENS0_8identityItEEEE10hipError_tT2_T3_mT4_P12ihipStream_tbEUlT_E_NS1_11comp_targetILNS1_3genE10ELNS1_11target_archE1201ELNS1_3gpuE5ELNS1_3repE0EEENS1_30default_config_static_selectorELNS0_4arch9wavefront6targetE1EEEvT1_,"axG",@progbits,_ZN7rocprim17ROCPRIM_400000_NS6detail17trampoline_kernelINS0_14default_configENS1_25transform_config_selectorItLb0EEEZNS1_14transform_implILb0ES3_S5_PtN6thrust23THRUST_200600_302600_NS6detail15normal_iteratorINS9_10device_ptrItEEEENS0_8identityItEEEE10hipError_tT2_T3_mT4_P12ihipStream_tbEUlT_E_NS1_11comp_targetILNS1_3genE10ELNS1_11target_archE1201ELNS1_3gpuE5ELNS1_3repE0EEENS1_30default_config_static_selectorELNS0_4arch9wavefront6targetE1EEEvT1_,comdat
.Lfunc_end3066:
	.size	_ZN7rocprim17ROCPRIM_400000_NS6detail17trampoline_kernelINS0_14default_configENS1_25transform_config_selectorItLb0EEEZNS1_14transform_implILb0ES3_S5_PtN6thrust23THRUST_200600_302600_NS6detail15normal_iteratorINS9_10device_ptrItEEEENS0_8identityItEEEE10hipError_tT2_T3_mT4_P12ihipStream_tbEUlT_E_NS1_11comp_targetILNS1_3genE10ELNS1_11target_archE1201ELNS1_3gpuE5ELNS1_3repE0EEENS1_30default_config_static_selectorELNS0_4arch9wavefront6targetE1EEEvT1_, .Lfunc_end3066-_ZN7rocprim17ROCPRIM_400000_NS6detail17trampoline_kernelINS0_14default_configENS1_25transform_config_selectorItLb0EEEZNS1_14transform_implILb0ES3_S5_PtN6thrust23THRUST_200600_302600_NS6detail15normal_iteratorINS9_10device_ptrItEEEENS0_8identityItEEEE10hipError_tT2_T3_mT4_P12ihipStream_tbEUlT_E_NS1_11comp_targetILNS1_3genE10ELNS1_11target_archE1201ELNS1_3gpuE5ELNS1_3repE0EEENS1_30default_config_static_selectorELNS0_4arch9wavefront6targetE1EEEvT1_
                                        ; -- End function
	.section	.AMDGPU.csdata,"",@progbits
; Kernel info:
; codeLenInByte = 0
; NumSgprs: 4
; NumVgprs: 0
; NumAgprs: 0
; TotalNumVgprs: 0
; ScratchSize: 0
; MemoryBound: 0
; FloatMode: 240
; IeeeMode: 1
; LDSByteSize: 0 bytes/workgroup (compile time only)
; SGPRBlocks: 0
; VGPRBlocks: 0
; NumSGPRsForWavesPerEU: 4
; NumVGPRsForWavesPerEU: 1
; AccumOffset: 4
; Occupancy: 8
; WaveLimiterHint : 0
; COMPUTE_PGM_RSRC2:SCRATCH_EN: 0
; COMPUTE_PGM_RSRC2:USER_SGPR: 6
; COMPUTE_PGM_RSRC2:TRAP_HANDLER: 0
; COMPUTE_PGM_RSRC2:TGID_X_EN: 1
; COMPUTE_PGM_RSRC2:TGID_Y_EN: 0
; COMPUTE_PGM_RSRC2:TGID_Z_EN: 0
; COMPUTE_PGM_RSRC2:TIDIG_COMP_CNT: 0
; COMPUTE_PGM_RSRC3_GFX90A:ACCUM_OFFSET: 0
; COMPUTE_PGM_RSRC3_GFX90A:TG_SPLIT: 0
	.section	.text._ZN7rocprim17ROCPRIM_400000_NS6detail17trampoline_kernelINS0_14default_configENS1_25transform_config_selectorItLb0EEEZNS1_14transform_implILb0ES3_S5_PtN6thrust23THRUST_200600_302600_NS6detail15normal_iteratorINS9_10device_ptrItEEEENS0_8identityItEEEE10hipError_tT2_T3_mT4_P12ihipStream_tbEUlT_E_NS1_11comp_targetILNS1_3genE10ELNS1_11target_archE1200ELNS1_3gpuE4ELNS1_3repE0EEENS1_30default_config_static_selectorELNS0_4arch9wavefront6targetE1EEEvT1_,"axG",@progbits,_ZN7rocprim17ROCPRIM_400000_NS6detail17trampoline_kernelINS0_14default_configENS1_25transform_config_selectorItLb0EEEZNS1_14transform_implILb0ES3_S5_PtN6thrust23THRUST_200600_302600_NS6detail15normal_iteratorINS9_10device_ptrItEEEENS0_8identityItEEEE10hipError_tT2_T3_mT4_P12ihipStream_tbEUlT_E_NS1_11comp_targetILNS1_3genE10ELNS1_11target_archE1200ELNS1_3gpuE4ELNS1_3repE0EEENS1_30default_config_static_selectorELNS0_4arch9wavefront6targetE1EEEvT1_,comdat
	.protected	_ZN7rocprim17ROCPRIM_400000_NS6detail17trampoline_kernelINS0_14default_configENS1_25transform_config_selectorItLb0EEEZNS1_14transform_implILb0ES3_S5_PtN6thrust23THRUST_200600_302600_NS6detail15normal_iteratorINS9_10device_ptrItEEEENS0_8identityItEEEE10hipError_tT2_T3_mT4_P12ihipStream_tbEUlT_E_NS1_11comp_targetILNS1_3genE10ELNS1_11target_archE1200ELNS1_3gpuE4ELNS1_3repE0EEENS1_30default_config_static_selectorELNS0_4arch9wavefront6targetE1EEEvT1_ ; -- Begin function _ZN7rocprim17ROCPRIM_400000_NS6detail17trampoline_kernelINS0_14default_configENS1_25transform_config_selectorItLb0EEEZNS1_14transform_implILb0ES3_S5_PtN6thrust23THRUST_200600_302600_NS6detail15normal_iteratorINS9_10device_ptrItEEEENS0_8identityItEEEE10hipError_tT2_T3_mT4_P12ihipStream_tbEUlT_E_NS1_11comp_targetILNS1_3genE10ELNS1_11target_archE1200ELNS1_3gpuE4ELNS1_3repE0EEENS1_30default_config_static_selectorELNS0_4arch9wavefront6targetE1EEEvT1_
	.globl	_ZN7rocprim17ROCPRIM_400000_NS6detail17trampoline_kernelINS0_14default_configENS1_25transform_config_selectorItLb0EEEZNS1_14transform_implILb0ES3_S5_PtN6thrust23THRUST_200600_302600_NS6detail15normal_iteratorINS9_10device_ptrItEEEENS0_8identityItEEEE10hipError_tT2_T3_mT4_P12ihipStream_tbEUlT_E_NS1_11comp_targetILNS1_3genE10ELNS1_11target_archE1200ELNS1_3gpuE4ELNS1_3repE0EEENS1_30default_config_static_selectorELNS0_4arch9wavefront6targetE1EEEvT1_
	.p2align	8
	.type	_ZN7rocprim17ROCPRIM_400000_NS6detail17trampoline_kernelINS0_14default_configENS1_25transform_config_selectorItLb0EEEZNS1_14transform_implILb0ES3_S5_PtN6thrust23THRUST_200600_302600_NS6detail15normal_iteratorINS9_10device_ptrItEEEENS0_8identityItEEEE10hipError_tT2_T3_mT4_P12ihipStream_tbEUlT_E_NS1_11comp_targetILNS1_3genE10ELNS1_11target_archE1200ELNS1_3gpuE4ELNS1_3repE0EEENS1_30default_config_static_selectorELNS0_4arch9wavefront6targetE1EEEvT1_,@function
_ZN7rocprim17ROCPRIM_400000_NS6detail17trampoline_kernelINS0_14default_configENS1_25transform_config_selectorItLb0EEEZNS1_14transform_implILb0ES3_S5_PtN6thrust23THRUST_200600_302600_NS6detail15normal_iteratorINS9_10device_ptrItEEEENS0_8identityItEEEE10hipError_tT2_T3_mT4_P12ihipStream_tbEUlT_E_NS1_11comp_targetILNS1_3genE10ELNS1_11target_archE1200ELNS1_3gpuE4ELNS1_3repE0EEENS1_30default_config_static_selectorELNS0_4arch9wavefront6targetE1EEEvT1_: ; @_ZN7rocprim17ROCPRIM_400000_NS6detail17trampoline_kernelINS0_14default_configENS1_25transform_config_selectorItLb0EEEZNS1_14transform_implILb0ES3_S5_PtN6thrust23THRUST_200600_302600_NS6detail15normal_iteratorINS9_10device_ptrItEEEENS0_8identityItEEEE10hipError_tT2_T3_mT4_P12ihipStream_tbEUlT_E_NS1_11comp_targetILNS1_3genE10ELNS1_11target_archE1200ELNS1_3gpuE4ELNS1_3repE0EEENS1_30default_config_static_selectorELNS0_4arch9wavefront6targetE1EEEvT1_
; %bb.0:
	.section	.rodata,"a",@progbits
	.p2align	6, 0x0
	.amdhsa_kernel _ZN7rocprim17ROCPRIM_400000_NS6detail17trampoline_kernelINS0_14default_configENS1_25transform_config_selectorItLb0EEEZNS1_14transform_implILb0ES3_S5_PtN6thrust23THRUST_200600_302600_NS6detail15normal_iteratorINS9_10device_ptrItEEEENS0_8identityItEEEE10hipError_tT2_T3_mT4_P12ihipStream_tbEUlT_E_NS1_11comp_targetILNS1_3genE10ELNS1_11target_archE1200ELNS1_3gpuE4ELNS1_3repE0EEENS1_30default_config_static_selectorELNS0_4arch9wavefront6targetE1EEEvT1_
		.amdhsa_group_segment_fixed_size 0
		.amdhsa_private_segment_fixed_size 0
		.amdhsa_kernarg_size 40
		.amdhsa_user_sgpr_count 6
		.amdhsa_user_sgpr_private_segment_buffer 1
		.amdhsa_user_sgpr_dispatch_ptr 0
		.amdhsa_user_sgpr_queue_ptr 0
		.amdhsa_user_sgpr_kernarg_segment_ptr 1
		.amdhsa_user_sgpr_dispatch_id 0
		.amdhsa_user_sgpr_flat_scratch_init 0
		.amdhsa_user_sgpr_kernarg_preload_length 0
		.amdhsa_user_sgpr_kernarg_preload_offset 0
		.amdhsa_user_sgpr_private_segment_size 0
		.amdhsa_uses_dynamic_stack 0
		.amdhsa_system_sgpr_private_segment_wavefront_offset 0
		.amdhsa_system_sgpr_workgroup_id_x 1
		.amdhsa_system_sgpr_workgroup_id_y 0
		.amdhsa_system_sgpr_workgroup_id_z 0
		.amdhsa_system_sgpr_workgroup_info 0
		.amdhsa_system_vgpr_workitem_id 0
		.amdhsa_next_free_vgpr 1
		.amdhsa_next_free_sgpr 0
		.amdhsa_accum_offset 4
		.amdhsa_reserve_vcc 0
		.amdhsa_reserve_flat_scratch 0
		.amdhsa_float_round_mode_32 0
		.amdhsa_float_round_mode_16_64 0
		.amdhsa_float_denorm_mode_32 3
		.amdhsa_float_denorm_mode_16_64 3
		.amdhsa_dx10_clamp 1
		.amdhsa_ieee_mode 1
		.amdhsa_fp16_overflow 0
		.amdhsa_tg_split 0
		.amdhsa_exception_fp_ieee_invalid_op 0
		.amdhsa_exception_fp_denorm_src 0
		.amdhsa_exception_fp_ieee_div_zero 0
		.amdhsa_exception_fp_ieee_overflow 0
		.amdhsa_exception_fp_ieee_underflow 0
		.amdhsa_exception_fp_ieee_inexact 0
		.amdhsa_exception_int_div_zero 0
	.end_amdhsa_kernel
	.section	.text._ZN7rocprim17ROCPRIM_400000_NS6detail17trampoline_kernelINS0_14default_configENS1_25transform_config_selectorItLb0EEEZNS1_14transform_implILb0ES3_S5_PtN6thrust23THRUST_200600_302600_NS6detail15normal_iteratorINS9_10device_ptrItEEEENS0_8identityItEEEE10hipError_tT2_T3_mT4_P12ihipStream_tbEUlT_E_NS1_11comp_targetILNS1_3genE10ELNS1_11target_archE1200ELNS1_3gpuE4ELNS1_3repE0EEENS1_30default_config_static_selectorELNS0_4arch9wavefront6targetE1EEEvT1_,"axG",@progbits,_ZN7rocprim17ROCPRIM_400000_NS6detail17trampoline_kernelINS0_14default_configENS1_25transform_config_selectorItLb0EEEZNS1_14transform_implILb0ES3_S5_PtN6thrust23THRUST_200600_302600_NS6detail15normal_iteratorINS9_10device_ptrItEEEENS0_8identityItEEEE10hipError_tT2_T3_mT4_P12ihipStream_tbEUlT_E_NS1_11comp_targetILNS1_3genE10ELNS1_11target_archE1200ELNS1_3gpuE4ELNS1_3repE0EEENS1_30default_config_static_selectorELNS0_4arch9wavefront6targetE1EEEvT1_,comdat
.Lfunc_end3067:
	.size	_ZN7rocprim17ROCPRIM_400000_NS6detail17trampoline_kernelINS0_14default_configENS1_25transform_config_selectorItLb0EEEZNS1_14transform_implILb0ES3_S5_PtN6thrust23THRUST_200600_302600_NS6detail15normal_iteratorINS9_10device_ptrItEEEENS0_8identityItEEEE10hipError_tT2_T3_mT4_P12ihipStream_tbEUlT_E_NS1_11comp_targetILNS1_3genE10ELNS1_11target_archE1200ELNS1_3gpuE4ELNS1_3repE0EEENS1_30default_config_static_selectorELNS0_4arch9wavefront6targetE1EEEvT1_, .Lfunc_end3067-_ZN7rocprim17ROCPRIM_400000_NS6detail17trampoline_kernelINS0_14default_configENS1_25transform_config_selectorItLb0EEEZNS1_14transform_implILb0ES3_S5_PtN6thrust23THRUST_200600_302600_NS6detail15normal_iteratorINS9_10device_ptrItEEEENS0_8identityItEEEE10hipError_tT2_T3_mT4_P12ihipStream_tbEUlT_E_NS1_11comp_targetILNS1_3genE10ELNS1_11target_archE1200ELNS1_3gpuE4ELNS1_3repE0EEENS1_30default_config_static_selectorELNS0_4arch9wavefront6targetE1EEEvT1_
                                        ; -- End function
	.section	.AMDGPU.csdata,"",@progbits
; Kernel info:
; codeLenInByte = 0
; NumSgprs: 4
; NumVgprs: 0
; NumAgprs: 0
; TotalNumVgprs: 0
; ScratchSize: 0
; MemoryBound: 0
; FloatMode: 240
; IeeeMode: 1
; LDSByteSize: 0 bytes/workgroup (compile time only)
; SGPRBlocks: 0
; VGPRBlocks: 0
; NumSGPRsForWavesPerEU: 4
; NumVGPRsForWavesPerEU: 1
; AccumOffset: 4
; Occupancy: 8
; WaveLimiterHint : 0
; COMPUTE_PGM_RSRC2:SCRATCH_EN: 0
; COMPUTE_PGM_RSRC2:USER_SGPR: 6
; COMPUTE_PGM_RSRC2:TRAP_HANDLER: 0
; COMPUTE_PGM_RSRC2:TGID_X_EN: 1
; COMPUTE_PGM_RSRC2:TGID_Y_EN: 0
; COMPUTE_PGM_RSRC2:TGID_Z_EN: 0
; COMPUTE_PGM_RSRC2:TIDIG_COMP_CNT: 0
; COMPUTE_PGM_RSRC3_GFX90A:ACCUM_OFFSET: 0
; COMPUTE_PGM_RSRC3_GFX90A:TG_SPLIT: 0
	.section	.text._ZN7rocprim17ROCPRIM_400000_NS6detail17trampoline_kernelINS0_14default_configENS1_25transform_config_selectorItLb0EEEZNS1_14transform_implILb0ES3_S5_PtN6thrust23THRUST_200600_302600_NS6detail15normal_iteratorINS9_10device_ptrItEEEENS0_8identityItEEEE10hipError_tT2_T3_mT4_P12ihipStream_tbEUlT_E_NS1_11comp_targetILNS1_3genE9ELNS1_11target_archE1100ELNS1_3gpuE3ELNS1_3repE0EEENS1_30default_config_static_selectorELNS0_4arch9wavefront6targetE1EEEvT1_,"axG",@progbits,_ZN7rocprim17ROCPRIM_400000_NS6detail17trampoline_kernelINS0_14default_configENS1_25transform_config_selectorItLb0EEEZNS1_14transform_implILb0ES3_S5_PtN6thrust23THRUST_200600_302600_NS6detail15normal_iteratorINS9_10device_ptrItEEEENS0_8identityItEEEE10hipError_tT2_T3_mT4_P12ihipStream_tbEUlT_E_NS1_11comp_targetILNS1_3genE9ELNS1_11target_archE1100ELNS1_3gpuE3ELNS1_3repE0EEENS1_30default_config_static_selectorELNS0_4arch9wavefront6targetE1EEEvT1_,comdat
	.protected	_ZN7rocprim17ROCPRIM_400000_NS6detail17trampoline_kernelINS0_14default_configENS1_25transform_config_selectorItLb0EEEZNS1_14transform_implILb0ES3_S5_PtN6thrust23THRUST_200600_302600_NS6detail15normal_iteratorINS9_10device_ptrItEEEENS0_8identityItEEEE10hipError_tT2_T3_mT4_P12ihipStream_tbEUlT_E_NS1_11comp_targetILNS1_3genE9ELNS1_11target_archE1100ELNS1_3gpuE3ELNS1_3repE0EEENS1_30default_config_static_selectorELNS0_4arch9wavefront6targetE1EEEvT1_ ; -- Begin function _ZN7rocprim17ROCPRIM_400000_NS6detail17trampoline_kernelINS0_14default_configENS1_25transform_config_selectorItLb0EEEZNS1_14transform_implILb0ES3_S5_PtN6thrust23THRUST_200600_302600_NS6detail15normal_iteratorINS9_10device_ptrItEEEENS0_8identityItEEEE10hipError_tT2_T3_mT4_P12ihipStream_tbEUlT_E_NS1_11comp_targetILNS1_3genE9ELNS1_11target_archE1100ELNS1_3gpuE3ELNS1_3repE0EEENS1_30default_config_static_selectorELNS0_4arch9wavefront6targetE1EEEvT1_
	.globl	_ZN7rocprim17ROCPRIM_400000_NS6detail17trampoline_kernelINS0_14default_configENS1_25transform_config_selectorItLb0EEEZNS1_14transform_implILb0ES3_S5_PtN6thrust23THRUST_200600_302600_NS6detail15normal_iteratorINS9_10device_ptrItEEEENS0_8identityItEEEE10hipError_tT2_T3_mT4_P12ihipStream_tbEUlT_E_NS1_11comp_targetILNS1_3genE9ELNS1_11target_archE1100ELNS1_3gpuE3ELNS1_3repE0EEENS1_30default_config_static_selectorELNS0_4arch9wavefront6targetE1EEEvT1_
	.p2align	8
	.type	_ZN7rocprim17ROCPRIM_400000_NS6detail17trampoline_kernelINS0_14default_configENS1_25transform_config_selectorItLb0EEEZNS1_14transform_implILb0ES3_S5_PtN6thrust23THRUST_200600_302600_NS6detail15normal_iteratorINS9_10device_ptrItEEEENS0_8identityItEEEE10hipError_tT2_T3_mT4_P12ihipStream_tbEUlT_E_NS1_11comp_targetILNS1_3genE9ELNS1_11target_archE1100ELNS1_3gpuE3ELNS1_3repE0EEENS1_30default_config_static_selectorELNS0_4arch9wavefront6targetE1EEEvT1_,@function
_ZN7rocprim17ROCPRIM_400000_NS6detail17trampoline_kernelINS0_14default_configENS1_25transform_config_selectorItLb0EEEZNS1_14transform_implILb0ES3_S5_PtN6thrust23THRUST_200600_302600_NS6detail15normal_iteratorINS9_10device_ptrItEEEENS0_8identityItEEEE10hipError_tT2_T3_mT4_P12ihipStream_tbEUlT_E_NS1_11comp_targetILNS1_3genE9ELNS1_11target_archE1100ELNS1_3gpuE3ELNS1_3repE0EEENS1_30default_config_static_selectorELNS0_4arch9wavefront6targetE1EEEvT1_: ; @_ZN7rocprim17ROCPRIM_400000_NS6detail17trampoline_kernelINS0_14default_configENS1_25transform_config_selectorItLb0EEEZNS1_14transform_implILb0ES3_S5_PtN6thrust23THRUST_200600_302600_NS6detail15normal_iteratorINS9_10device_ptrItEEEENS0_8identityItEEEE10hipError_tT2_T3_mT4_P12ihipStream_tbEUlT_E_NS1_11comp_targetILNS1_3genE9ELNS1_11target_archE1100ELNS1_3gpuE3ELNS1_3repE0EEENS1_30default_config_static_selectorELNS0_4arch9wavefront6targetE1EEEvT1_
; %bb.0:
	.section	.rodata,"a",@progbits
	.p2align	6, 0x0
	.amdhsa_kernel _ZN7rocprim17ROCPRIM_400000_NS6detail17trampoline_kernelINS0_14default_configENS1_25transform_config_selectorItLb0EEEZNS1_14transform_implILb0ES3_S5_PtN6thrust23THRUST_200600_302600_NS6detail15normal_iteratorINS9_10device_ptrItEEEENS0_8identityItEEEE10hipError_tT2_T3_mT4_P12ihipStream_tbEUlT_E_NS1_11comp_targetILNS1_3genE9ELNS1_11target_archE1100ELNS1_3gpuE3ELNS1_3repE0EEENS1_30default_config_static_selectorELNS0_4arch9wavefront6targetE1EEEvT1_
		.amdhsa_group_segment_fixed_size 0
		.amdhsa_private_segment_fixed_size 0
		.amdhsa_kernarg_size 40
		.amdhsa_user_sgpr_count 6
		.amdhsa_user_sgpr_private_segment_buffer 1
		.amdhsa_user_sgpr_dispatch_ptr 0
		.amdhsa_user_sgpr_queue_ptr 0
		.amdhsa_user_sgpr_kernarg_segment_ptr 1
		.amdhsa_user_sgpr_dispatch_id 0
		.amdhsa_user_sgpr_flat_scratch_init 0
		.amdhsa_user_sgpr_kernarg_preload_length 0
		.amdhsa_user_sgpr_kernarg_preload_offset 0
		.amdhsa_user_sgpr_private_segment_size 0
		.amdhsa_uses_dynamic_stack 0
		.amdhsa_system_sgpr_private_segment_wavefront_offset 0
		.amdhsa_system_sgpr_workgroup_id_x 1
		.amdhsa_system_sgpr_workgroup_id_y 0
		.amdhsa_system_sgpr_workgroup_id_z 0
		.amdhsa_system_sgpr_workgroup_info 0
		.amdhsa_system_vgpr_workitem_id 0
		.amdhsa_next_free_vgpr 1
		.amdhsa_next_free_sgpr 0
		.amdhsa_accum_offset 4
		.amdhsa_reserve_vcc 0
		.amdhsa_reserve_flat_scratch 0
		.amdhsa_float_round_mode_32 0
		.amdhsa_float_round_mode_16_64 0
		.amdhsa_float_denorm_mode_32 3
		.amdhsa_float_denorm_mode_16_64 3
		.amdhsa_dx10_clamp 1
		.amdhsa_ieee_mode 1
		.amdhsa_fp16_overflow 0
		.amdhsa_tg_split 0
		.amdhsa_exception_fp_ieee_invalid_op 0
		.amdhsa_exception_fp_denorm_src 0
		.amdhsa_exception_fp_ieee_div_zero 0
		.amdhsa_exception_fp_ieee_overflow 0
		.amdhsa_exception_fp_ieee_underflow 0
		.amdhsa_exception_fp_ieee_inexact 0
		.amdhsa_exception_int_div_zero 0
	.end_amdhsa_kernel
	.section	.text._ZN7rocprim17ROCPRIM_400000_NS6detail17trampoline_kernelINS0_14default_configENS1_25transform_config_selectorItLb0EEEZNS1_14transform_implILb0ES3_S5_PtN6thrust23THRUST_200600_302600_NS6detail15normal_iteratorINS9_10device_ptrItEEEENS0_8identityItEEEE10hipError_tT2_T3_mT4_P12ihipStream_tbEUlT_E_NS1_11comp_targetILNS1_3genE9ELNS1_11target_archE1100ELNS1_3gpuE3ELNS1_3repE0EEENS1_30default_config_static_selectorELNS0_4arch9wavefront6targetE1EEEvT1_,"axG",@progbits,_ZN7rocprim17ROCPRIM_400000_NS6detail17trampoline_kernelINS0_14default_configENS1_25transform_config_selectorItLb0EEEZNS1_14transform_implILb0ES3_S5_PtN6thrust23THRUST_200600_302600_NS6detail15normal_iteratorINS9_10device_ptrItEEEENS0_8identityItEEEE10hipError_tT2_T3_mT4_P12ihipStream_tbEUlT_E_NS1_11comp_targetILNS1_3genE9ELNS1_11target_archE1100ELNS1_3gpuE3ELNS1_3repE0EEENS1_30default_config_static_selectorELNS0_4arch9wavefront6targetE1EEEvT1_,comdat
.Lfunc_end3068:
	.size	_ZN7rocprim17ROCPRIM_400000_NS6detail17trampoline_kernelINS0_14default_configENS1_25transform_config_selectorItLb0EEEZNS1_14transform_implILb0ES3_S5_PtN6thrust23THRUST_200600_302600_NS6detail15normal_iteratorINS9_10device_ptrItEEEENS0_8identityItEEEE10hipError_tT2_T3_mT4_P12ihipStream_tbEUlT_E_NS1_11comp_targetILNS1_3genE9ELNS1_11target_archE1100ELNS1_3gpuE3ELNS1_3repE0EEENS1_30default_config_static_selectorELNS0_4arch9wavefront6targetE1EEEvT1_, .Lfunc_end3068-_ZN7rocprim17ROCPRIM_400000_NS6detail17trampoline_kernelINS0_14default_configENS1_25transform_config_selectorItLb0EEEZNS1_14transform_implILb0ES3_S5_PtN6thrust23THRUST_200600_302600_NS6detail15normal_iteratorINS9_10device_ptrItEEEENS0_8identityItEEEE10hipError_tT2_T3_mT4_P12ihipStream_tbEUlT_E_NS1_11comp_targetILNS1_3genE9ELNS1_11target_archE1100ELNS1_3gpuE3ELNS1_3repE0EEENS1_30default_config_static_selectorELNS0_4arch9wavefront6targetE1EEEvT1_
                                        ; -- End function
	.section	.AMDGPU.csdata,"",@progbits
; Kernel info:
; codeLenInByte = 0
; NumSgprs: 4
; NumVgprs: 0
; NumAgprs: 0
; TotalNumVgprs: 0
; ScratchSize: 0
; MemoryBound: 0
; FloatMode: 240
; IeeeMode: 1
; LDSByteSize: 0 bytes/workgroup (compile time only)
; SGPRBlocks: 0
; VGPRBlocks: 0
; NumSGPRsForWavesPerEU: 4
; NumVGPRsForWavesPerEU: 1
; AccumOffset: 4
; Occupancy: 8
; WaveLimiterHint : 0
; COMPUTE_PGM_RSRC2:SCRATCH_EN: 0
; COMPUTE_PGM_RSRC2:USER_SGPR: 6
; COMPUTE_PGM_RSRC2:TRAP_HANDLER: 0
; COMPUTE_PGM_RSRC2:TGID_X_EN: 1
; COMPUTE_PGM_RSRC2:TGID_Y_EN: 0
; COMPUTE_PGM_RSRC2:TGID_Z_EN: 0
; COMPUTE_PGM_RSRC2:TIDIG_COMP_CNT: 0
; COMPUTE_PGM_RSRC3_GFX90A:ACCUM_OFFSET: 0
; COMPUTE_PGM_RSRC3_GFX90A:TG_SPLIT: 0
	.section	.text._ZN7rocprim17ROCPRIM_400000_NS6detail17trampoline_kernelINS0_14default_configENS1_25transform_config_selectorItLb0EEEZNS1_14transform_implILb0ES3_S5_PtN6thrust23THRUST_200600_302600_NS6detail15normal_iteratorINS9_10device_ptrItEEEENS0_8identityItEEEE10hipError_tT2_T3_mT4_P12ihipStream_tbEUlT_E_NS1_11comp_targetILNS1_3genE8ELNS1_11target_archE1030ELNS1_3gpuE2ELNS1_3repE0EEENS1_30default_config_static_selectorELNS0_4arch9wavefront6targetE1EEEvT1_,"axG",@progbits,_ZN7rocprim17ROCPRIM_400000_NS6detail17trampoline_kernelINS0_14default_configENS1_25transform_config_selectorItLb0EEEZNS1_14transform_implILb0ES3_S5_PtN6thrust23THRUST_200600_302600_NS6detail15normal_iteratorINS9_10device_ptrItEEEENS0_8identityItEEEE10hipError_tT2_T3_mT4_P12ihipStream_tbEUlT_E_NS1_11comp_targetILNS1_3genE8ELNS1_11target_archE1030ELNS1_3gpuE2ELNS1_3repE0EEENS1_30default_config_static_selectorELNS0_4arch9wavefront6targetE1EEEvT1_,comdat
	.protected	_ZN7rocprim17ROCPRIM_400000_NS6detail17trampoline_kernelINS0_14default_configENS1_25transform_config_selectorItLb0EEEZNS1_14transform_implILb0ES3_S5_PtN6thrust23THRUST_200600_302600_NS6detail15normal_iteratorINS9_10device_ptrItEEEENS0_8identityItEEEE10hipError_tT2_T3_mT4_P12ihipStream_tbEUlT_E_NS1_11comp_targetILNS1_3genE8ELNS1_11target_archE1030ELNS1_3gpuE2ELNS1_3repE0EEENS1_30default_config_static_selectorELNS0_4arch9wavefront6targetE1EEEvT1_ ; -- Begin function _ZN7rocprim17ROCPRIM_400000_NS6detail17trampoline_kernelINS0_14default_configENS1_25transform_config_selectorItLb0EEEZNS1_14transform_implILb0ES3_S5_PtN6thrust23THRUST_200600_302600_NS6detail15normal_iteratorINS9_10device_ptrItEEEENS0_8identityItEEEE10hipError_tT2_T3_mT4_P12ihipStream_tbEUlT_E_NS1_11comp_targetILNS1_3genE8ELNS1_11target_archE1030ELNS1_3gpuE2ELNS1_3repE0EEENS1_30default_config_static_selectorELNS0_4arch9wavefront6targetE1EEEvT1_
	.globl	_ZN7rocprim17ROCPRIM_400000_NS6detail17trampoline_kernelINS0_14default_configENS1_25transform_config_selectorItLb0EEEZNS1_14transform_implILb0ES3_S5_PtN6thrust23THRUST_200600_302600_NS6detail15normal_iteratorINS9_10device_ptrItEEEENS0_8identityItEEEE10hipError_tT2_T3_mT4_P12ihipStream_tbEUlT_E_NS1_11comp_targetILNS1_3genE8ELNS1_11target_archE1030ELNS1_3gpuE2ELNS1_3repE0EEENS1_30default_config_static_selectorELNS0_4arch9wavefront6targetE1EEEvT1_
	.p2align	8
	.type	_ZN7rocprim17ROCPRIM_400000_NS6detail17trampoline_kernelINS0_14default_configENS1_25transform_config_selectorItLb0EEEZNS1_14transform_implILb0ES3_S5_PtN6thrust23THRUST_200600_302600_NS6detail15normal_iteratorINS9_10device_ptrItEEEENS0_8identityItEEEE10hipError_tT2_T3_mT4_P12ihipStream_tbEUlT_E_NS1_11comp_targetILNS1_3genE8ELNS1_11target_archE1030ELNS1_3gpuE2ELNS1_3repE0EEENS1_30default_config_static_selectorELNS0_4arch9wavefront6targetE1EEEvT1_,@function
_ZN7rocprim17ROCPRIM_400000_NS6detail17trampoline_kernelINS0_14default_configENS1_25transform_config_selectorItLb0EEEZNS1_14transform_implILb0ES3_S5_PtN6thrust23THRUST_200600_302600_NS6detail15normal_iteratorINS9_10device_ptrItEEEENS0_8identityItEEEE10hipError_tT2_T3_mT4_P12ihipStream_tbEUlT_E_NS1_11comp_targetILNS1_3genE8ELNS1_11target_archE1030ELNS1_3gpuE2ELNS1_3repE0EEENS1_30default_config_static_selectorELNS0_4arch9wavefront6targetE1EEEvT1_: ; @_ZN7rocprim17ROCPRIM_400000_NS6detail17trampoline_kernelINS0_14default_configENS1_25transform_config_selectorItLb0EEEZNS1_14transform_implILb0ES3_S5_PtN6thrust23THRUST_200600_302600_NS6detail15normal_iteratorINS9_10device_ptrItEEEENS0_8identityItEEEE10hipError_tT2_T3_mT4_P12ihipStream_tbEUlT_E_NS1_11comp_targetILNS1_3genE8ELNS1_11target_archE1030ELNS1_3gpuE2ELNS1_3repE0EEENS1_30default_config_static_selectorELNS0_4arch9wavefront6targetE1EEEvT1_
; %bb.0:
	.section	.rodata,"a",@progbits
	.p2align	6, 0x0
	.amdhsa_kernel _ZN7rocprim17ROCPRIM_400000_NS6detail17trampoline_kernelINS0_14default_configENS1_25transform_config_selectorItLb0EEEZNS1_14transform_implILb0ES3_S5_PtN6thrust23THRUST_200600_302600_NS6detail15normal_iteratorINS9_10device_ptrItEEEENS0_8identityItEEEE10hipError_tT2_T3_mT4_P12ihipStream_tbEUlT_E_NS1_11comp_targetILNS1_3genE8ELNS1_11target_archE1030ELNS1_3gpuE2ELNS1_3repE0EEENS1_30default_config_static_selectorELNS0_4arch9wavefront6targetE1EEEvT1_
		.amdhsa_group_segment_fixed_size 0
		.amdhsa_private_segment_fixed_size 0
		.amdhsa_kernarg_size 40
		.amdhsa_user_sgpr_count 6
		.amdhsa_user_sgpr_private_segment_buffer 1
		.amdhsa_user_sgpr_dispatch_ptr 0
		.amdhsa_user_sgpr_queue_ptr 0
		.amdhsa_user_sgpr_kernarg_segment_ptr 1
		.amdhsa_user_sgpr_dispatch_id 0
		.amdhsa_user_sgpr_flat_scratch_init 0
		.amdhsa_user_sgpr_kernarg_preload_length 0
		.amdhsa_user_sgpr_kernarg_preload_offset 0
		.amdhsa_user_sgpr_private_segment_size 0
		.amdhsa_uses_dynamic_stack 0
		.amdhsa_system_sgpr_private_segment_wavefront_offset 0
		.amdhsa_system_sgpr_workgroup_id_x 1
		.amdhsa_system_sgpr_workgroup_id_y 0
		.amdhsa_system_sgpr_workgroup_id_z 0
		.amdhsa_system_sgpr_workgroup_info 0
		.amdhsa_system_vgpr_workitem_id 0
		.amdhsa_next_free_vgpr 1
		.amdhsa_next_free_sgpr 0
		.amdhsa_accum_offset 4
		.amdhsa_reserve_vcc 0
		.amdhsa_reserve_flat_scratch 0
		.amdhsa_float_round_mode_32 0
		.amdhsa_float_round_mode_16_64 0
		.amdhsa_float_denorm_mode_32 3
		.amdhsa_float_denorm_mode_16_64 3
		.amdhsa_dx10_clamp 1
		.amdhsa_ieee_mode 1
		.amdhsa_fp16_overflow 0
		.amdhsa_tg_split 0
		.amdhsa_exception_fp_ieee_invalid_op 0
		.amdhsa_exception_fp_denorm_src 0
		.amdhsa_exception_fp_ieee_div_zero 0
		.amdhsa_exception_fp_ieee_overflow 0
		.amdhsa_exception_fp_ieee_underflow 0
		.amdhsa_exception_fp_ieee_inexact 0
		.amdhsa_exception_int_div_zero 0
	.end_amdhsa_kernel
	.section	.text._ZN7rocprim17ROCPRIM_400000_NS6detail17trampoline_kernelINS0_14default_configENS1_25transform_config_selectorItLb0EEEZNS1_14transform_implILb0ES3_S5_PtN6thrust23THRUST_200600_302600_NS6detail15normal_iteratorINS9_10device_ptrItEEEENS0_8identityItEEEE10hipError_tT2_T3_mT4_P12ihipStream_tbEUlT_E_NS1_11comp_targetILNS1_3genE8ELNS1_11target_archE1030ELNS1_3gpuE2ELNS1_3repE0EEENS1_30default_config_static_selectorELNS0_4arch9wavefront6targetE1EEEvT1_,"axG",@progbits,_ZN7rocprim17ROCPRIM_400000_NS6detail17trampoline_kernelINS0_14default_configENS1_25transform_config_selectorItLb0EEEZNS1_14transform_implILb0ES3_S5_PtN6thrust23THRUST_200600_302600_NS6detail15normal_iteratorINS9_10device_ptrItEEEENS0_8identityItEEEE10hipError_tT2_T3_mT4_P12ihipStream_tbEUlT_E_NS1_11comp_targetILNS1_3genE8ELNS1_11target_archE1030ELNS1_3gpuE2ELNS1_3repE0EEENS1_30default_config_static_selectorELNS0_4arch9wavefront6targetE1EEEvT1_,comdat
.Lfunc_end3069:
	.size	_ZN7rocprim17ROCPRIM_400000_NS6detail17trampoline_kernelINS0_14default_configENS1_25transform_config_selectorItLb0EEEZNS1_14transform_implILb0ES3_S5_PtN6thrust23THRUST_200600_302600_NS6detail15normal_iteratorINS9_10device_ptrItEEEENS0_8identityItEEEE10hipError_tT2_T3_mT4_P12ihipStream_tbEUlT_E_NS1_11comp_targetILNS1_3genE8ELNS1_11target_archE1030ELNS1_3gpuE2ELNS1_3repE0EEENS1_30default_config_static_selectorELNS0_4arch9wavefront6targetE1EEEvT1_, .Lfunc_end3069-_ZN7rocprim17ROCPRIM_400000_NS6detail17trampoline_kernelINS0_14default_configENS1_25transform_config_selectorItLb0EEEZNS1_14transform_implILb0ES3_S5_PtN6thrust23THRUST_200600_302600_NS6detail15normal_iteratorINS9_10device_ptrItEEEENS0_8identityItEEEE10hipError_tT2_T3_mT4_P12ihipStream_tbEUlT_E_NS1_11comp_targetILNS1_3genE8ELNS1_11target_archE1030ELNS1_3gpuE2ELNS1_3repE0EEENS1_30default_config_static_selectorELNS0_4arch9wavefront6targetE1EEEvT1_
                                        ; -- End function
	.section	.AMDGPU.csdata,"",@progbits
; Kernel info:
; codeLenInByte = 0
; NumSgprs: 4
; NumVgprs: 0
; NumAgprs: 0
; TotalNumVgprs: 0
; ScratchSize: 0
; MemoryBound: 0
; FloatMode: 240
; IeeeMode: 1
; LDSByteSize: 0 bytes/workgroup (compile time only)
; SGPRBlocks: 0
; VGPRBlocks: 0
; NumSGPRsForWavesPerEU: 4
; NumVGPRsForWavesPerEU: 1
; AccumOffset: 4
; Occupancy: 8
; WaveLimiterHint : 0
; COMPUTE_PGM_RSRC2:SCRATCH_EN: 0
; COMPUTE_PGM_RSRC2:USER_SGPR: 6
; COMPUTE_PGM_RSRC2:TRAP_HANDLER: 0
; COMPUTE_PGM_RSRC2:TGID_X_EN: 1
; COMPUTE_PGM_RSRC2:TGID_Y_EN: 0
; COMPUTE_PGM_RSRC2:TGID_Z_EN: 0
; COMPUTE_PGM_RSRC2:TIDIG_COMP_CNT: 0
; COMPUTE_PGM_RSRC3_GFX90A:ACCUM_OFFSET: 0
; COMPUTE_PGM_RSRC3_GFX90A:TG_SPLIT: 0
	.section	.text._ZN7rocprim17ROCPRIM_400000_NS6detail44device_merge_sort_compile_time_verifier_archINS1_11comp_targetILNS1_3genE0ELNS1_11target_archE4294967295ELNS1_3gpuE0ELNS1_3repE0EEES8_NS0_14default_configES9_NS1_37merge_sort_block_sort_config_selectorIiNS0_10empty_typeEEENS1_38merge_sort_block_merge_config_selectorIiSB_EEEEvv,"axG",@progbits,_ZN7rocprim17ROCPRIM_400000_NS6detail44device_merge_sort_compile_time_verifier_archINS1_11comp_targetILNS1_3genE0ELNS1_11target_archE4294967295ELNS1_3gpuE0ELNS1_3repE0EEES8_NS0_14default_configES9_NS1_37merge_sort_block_sort_config_selectorIiNS0_10empty_typeEEENS1_38merge_sort_block_merge_config_selectorIiSB_EEEEvv,comdat
	.protected	_ZN7rocprim17ROCPRIM_400000_NS6detail44device_merge_sort_compile_time_verifier_archINS1_11comp_targetILNS1_3genE0ELNS1_11target_archE4294967295ELNS1_3gpuE0ELNS1_3repE0EEES8_NS0_14default_configES9_NS1_37merge_sort_block_sort_config_selectorIiNS0_10empty_typeEEENS1_38merge_sort_block_merge_config_selectorIiSB_EEEEvv ; -- Begin function _ZN7rocprim17ROCPRIM_400000_NS6detail44device_merge_sort_compile_time_verifier_archINS1_11comp_targetILNS1_3genE0ELNS1_11target_archE4294967295ELNS1_3gpuE0ELNS1_3repE0EEES8_NS0_14default_configES9_NS1_37merge_sort_block_sort_config_selectorIiNS0_10empty_typeEEENS1_38merge_sort_block_merge_config_selectorIiSB_EEEEvv
	.globl	_ZN7rocprim17ROCPRIM_400000_NS6detail44device_merge_sort_compile_time_verifier_archINS1_11comp_targetILNS1_3genE0ELNS1_11target_archE4294967295ELNS1_3gpuE0ELNS1_3repE0EEES8_NS0_14default_configES9_NS1_37merge_sort_block_sort_config_selectorIiNS0_10empty_typeEEENS1_38merge_sort_block_merge_config_selectorIiSB_EEEEvv
	.p2align	8
	.type	_ZN7rocprim17ROCPRIM_400000_NS6detail44device_merge_sort_compile_time_verifier_archINS1_11comp_targetILNS1_3genE0ELNS1_11target_archE4294967295ELNS1_3gpuE0ELNS1_3repE0EEES8_NS0_14default_configES9_NS1_37merge_sort_block_sort_config_selectorIiNS0_10empty_typeEEENS1_38merge_sort_block_merge_config_selectorIiSB_EEEEvv,@function
_ZN7rocprim17ROCPRIM_400000_NS6detail44device_merge_sort_compile_time_verifier_archINS1_11comp_targetILNS1_3genE0ELNS1_11target_archE4294967295ELNS1_3gpuE0ELNS1_3repE0EEES8_NS0_14default_configES9_NS1_37merge_sort_block_sort_config_selectorIiNS0_10empty_typeEEENS1_38merge_sort_block_merge_config_selectorIiSB_EEEEvv: ; @_ZN7rocprim17ROCPRIM_400000_NS6detail44device_merge_sort_compile_time_verifier_archINS1_11comp_targetILNS1_3genE0ELNS1_11target_archE4294967295ELNS1_3gpuE0ELNS1_3repE0EEES8_NS0_14default_configES9_NS1_37merge_sort_block_sort_config_selectorIiNS0_10empty_typeEEENS1_38merge_sort_block_merge_config_selectorIiSB_EEEEvv
; %bb.0:
	s_endpgm
	.section	.rodata,"a",@progbits
	.p2align	6, 0x0
	.amdhsa_kernel _ZN7rocprim17ROCPRIM_400000_NS6detail44device_merge_sort_compile_time_verifier_archINS1_11comp_targetILNS1_3genE0ELNS1_11target_archE4294967295ELNS1_3gpuE0ELNS1_3repE0EEES8_NS0_14default_configES9_NS1_37merge_sort_block_sort_config_selectorIiNS0_10empty_typeEEENS1_38merge_sort_block_merge_config_selectorIiSB_EEEEvv
		.amdhsa_group_segment_fixed_size 0
		.amdhsa_private_segment_fixed_size 0
		.amdhsa_kernarg_size 0
		.amdhsa_user_sgpr_count 4
		.amdhsa_user_sgpr_private_segment_buffer 1
		.amdhsa_user_sgpr_dispatch_ptr 0
		.amdhsa_user_sgpr_queue_ptr 0
		.amdhsa_user_sgpr_kernarg_segment_ptr 0
		.amdhsa_user_sgpr_dispatch_id 0
		.amdhsa_user_sgpr_flat_scratch_init 0
		.amdhsa_user_sgpr_kernarg_preload_length 0
		.amdhsa_user_sgpr_kernarg_preload_offset 0
		.amdhsa_user_sgpr_private_segment_size 0
		.amdhsa_uses_dynamic_stack 0
		.amdhsa_system_sgpr_private_segment_wavefront_offset 0
		.amdhsa_system_sgpr_workgroup_id_x 1
		.amdhsa_system_sgpr_workgroup_id_y 0
		.amdhsa_system_sgpr_workgroup_id_z 0
		.amdhsa_system_sgpr_workgroup_info 0
		.amdhsa_system_vgpr_workitem_id 0
		.amdhsa_next_free_vgpr 1
		.amdhsa_next_free_sgpr 0
		.amdhsa_accum_offset 4
		.amdhsa_reserve_vcc 0
		.amdhsa_reserve_flat_scratch 0
		.amdhsa_float_round_mode_32 0
		.amdhsa_float_round_mode_16_64 0
		.amdhsa_float_denorm_mode_32 3
		.amdhsa_float_denorm_mode_16_64 3
		.amdhsa_dx10_clamp 1
		.amdhsa_ieee_mode 1
		.amdhsa_fp16_overflow 0
		.amdhsa_tg_split 0
		.amdhsa_exception_fp_ieee_invalid_op 0
		.amdhsa_exception_fp_denorm_src 0
		.amdhsa_exception_fp_ieee_div_zero 0
		.amdhsa_exception_fp_ieee_overflow 0
		.amdhsa_exception_fp_ieee_underflow 0
		.amdhsa_exception_fp_ieee_inexact 0
		.amdhsa_exception_int_div_zero 0
	.end_amdhsa_kernel
	.section	.text._ZN7rocprim17ROCPRIM_400000_NS6detail44device_merge_sort_compile_time_verifier_archINS1_11comp_targetILNS1_3genE0ELNS1_11target_archE4294967295ELNS1_3gpuE0ELNS1_3repE0EEES8_NS0_14default_configES9_NS1_37merge_sort_block_sort_config_selectorIiNS0_10empty_typeEEENS1_38merge_sort_block_merge_config_selectorIiSB_EEEEvv,"axG",@progbits,_ZN7rocprim17ROCPRIM_400000_NS6detail44device_merge_sort_compile_time_verifier_archINS1_11comp_targetILNS1_3genE0ELNS1_11target_archE4294967295ELNS1_3gpuE0ELNS1_3repE0EEES8_NS0_14default_configES9_NS1_37merge_sort_block_sort_config_selectorIiNS0_10empty_typeEEENS1_38merge_sort_block_merge_config_selectorIiSB_EEEEvv,comdat
.Lfunc_end3070:
	.size	_ZN7rocprim17ROCPRIM_400000_NS6detail44device_merge_sort_compile_time_verifier_archINS1_11comp_targetILNS1_3genE0ELNS1_11target_archE4294967295ELNS1_3gpuE0ELNS1_3repE0EEES8_NS0_14default_configES9_NS1_37merge_sort_block_sort_config_selectorIiNS0_10empty_typeEEENS1_38merge_sort_block_merge_config_selectorIiSB_EEEEvv, .Lfunc_end3070-_ZN7rocprim17ROCPRIM_400000_NS6detail44device_merge_sort_compile_time_verifier_archINS1_11comp_targetILNS1_3genE0ELNS1_11target_archE4294967295ELNS1_3gpuE0ELNS1_3repE0EEES8_NS0_14default_configES9_NS1_37merge_sort_block_sort_config_selectorIiNS0_10empty_typeEEENS1_38merge_sort_block_merge_config_selectorIiSB_EEEEvv
                                        ; -- End function
	.section	.AMDGPU.csdata,"",@progbits
; Kernel info:
; codeLenInByte = 4
; NumSgprs: 4
; NumVgprs: 0
; NumAgprs: 0
; TotalNumVgprs: 0
; ScratchSize: 0
; MemoryBound: 0
; FloatMode: 240
; IeeeMode: 1
; LDSByteSize: 0 bytes/workgroup (compile time only)
; SGPRBlocks: 0
; VGPRBlocks: 0
; NumSGPRsForWavesPerEU: 4
; NumVGPRsForWavesPerEU: 1
; AccumOffset: 4
; Occupancy: 8
; WaveLimiterHint : 0
; COMPUTE_PGM_RSRC2:SCRATCH_EN: 0
; COMPUTE_PGM_RSRC2:USER_SGPR: 4
; COMPUTE_PGM_RSRC2:TRAP_HANDLER: 0
; COMPUTE_PGM_RSRC2:TGID_X_EN: 1
; COMPUTE_PGM_RSRC2:TGID_Y_EN: 0
; COMPUTE_PGM_RSRC2:TGID_Z_EN: 0
; COMPUTE_PGM_RSRC2:TIDIG_COMP_CNT: 0
; COMPUTE_PGM_RSRC3_GFX90A:ACCUM_OFFSET: 0
; COMPUTE_PGM_RSRC3_GFX90A:TG_SPLIT: 0
	.section	.text._ZN7rocprim17ROCPRIM_400000_NS6detail44device_merge_sort_compile_time_verifier_archINS1_11comp_targetILNS1_3genE5ELNS1_11target_archE942ELNS1_3gpuE9ELNS1_3repE0EEES8_NS0_14default_configES9_NS1_37merge_sort_block_sort_config_selectorIiNS0_10empty_typeEEENS1_38merge_sort_block_merge_config_selectorIiSB_EEEEvv,"axG",@progbits,_ZN7rocprim17ROCPRIM_400000_NS6detail44device_merge_sort_compile_time_verifier_archINS1_11comp_targetILNS1_3genE5ELNS1_11target_archE942ELNS1_3gpuE9ELNS1_3repE0EEES8_NS0_14default_configES9_NS1_37merge_sort_block_sort_config_selectorIiNS0_10empty_typeEEENS1_38merge_sort_block_merge_config_selectorIiSB_EEEEvv,comdat
	.protected	_ZN7rocprim17ROCPRIM_400000_NS6detail44device_merge_sort_compile_time_verifier_archINS1_11comp_targetILNS1_3genE5ELNS1_11target_archE942ELNS1_3gpuE9ELNS1_3repE0EEES8_NS0_14default_configES9_NS1_37merge_sort_block_sort_config_selectorIiNS0_10empty_typeEEENS1_38merge_sort_block_merge_config_selectorIiSB_EEEEvv ; -- Begin function _ZN7rocprim17ROCPRIM_400000_NS6detail44device_merge_sort_compile_time_verifier_archINS1_11comp_targetILNS1_3genE5ELNS1_11target_archE942ELNS1_3gpuE9ELNS1_3repE0EEES8_NS0_14default_configES9_NS1_37merge_sort_block_sort_config_selectorIiNS0_10empty_typeEEENS1_38merge_sort_block_merge_config_selectorIiSB_EEEEvv
	.globl	_ZN7rocprim17ROCPRIM_400000_NS6detail44device_merge_sort_compile_time_verifier_archINS1_11comp_targetILNS1_3genE5ELNS1_11target_archE942ELNS1_3gpuE9ELNS1_3repE0EEES8_NS0_14default_configES9_NS1_37merge_sort_block_sort_config_selectorIiNS0_10empty_typeEEENS1_38merge_sort_block_merge_config_selectorIiSB_EEEEvv
	.p2align	8
	.type	_ZN7rocprim17ROCPRIM_400000_NS6detail44device_merge_sort_compile_time_verifier_archINS1_11comp_targetILNS1_3genE5ELNS1_11target_archE942ELNS1_3gpuE9ELNS1_3repE0EEES8_NS0_14default_configES9_NS1_37merge_sort_block_sort_config_selectorIiNS0_10empty_typeEEENS1_38merge_sort_block_merge_config_selectorIiSB_EEEEvv,@function
_ZN7rocprim17ROCPRIM_400000_NS6detail44device_merge_sort_compile_time_verifier_archINS1_11comp_targetILNS1_3genE5ELNS1_11target_archE942ELNS1_3gpuE9ELNS1_3repE0EEES8_NS0_14default_configES9_NS1_37merge_sort_block_sort_config_selectorIiNS0_10empty_typeEEENS1_38merge_sort_block_merge_config_selectorIiSB_EEEEvv: ; @_ZN7rocprim17ROCPRIM_400000_NS6detail44device_merge_sort_compile_time_verifier_archINS1_11comp_targetILNS1_3genE5ELNS1_11target_archE942ELNS1_3gpuE9ELNS1_3repE0EEES8_NS0_14default_configES9_NS1_37merge_sort_block_sort_config_selectorIiNS0_10empty_typeEEENS1_38merge_sort_block_merge_config_selectorIiSB_EEEEvv
; %bb.0:
	s_endpgm
	.section	.rodata,"a",@progbits
	.p2align	6, 0x0
	.amdhsa_kernel _ZN7rocprim17ROCPRIM_400000_NS6detail44device_merge_sort_compile_time_verifier_archINS1_11comp_targetILNS1_3genE5ELNS1_11target_archE942ELNS1_3gpuE9ELNS1_3repE0EEES8_NS0_14default_configES9_NS1_37merge_sort_block_sort_config_selectorIiNS0_10empty_typeEEENS1_38merge_sort_block_merge_config_selectorIiSB_EEEEvv
		.amdhsa_group_segment_fixed_size 0
		.amdhsa_private_segment_fixed_size 0
		.amdhsa_kernarg_size 0
		.amdhsa_user_sgpr_count 4
		.amdhsa_user_sgpr_private_segment_buffer 1
		.amdhsa_user_sgpr_dispatch_ptr 0
		.amdhsa_user_sgpr_queue_ptr 0
		.amdhsa_user_sgpr_kernarg_segment_ptr 0
		.amdhsa_user_sgpr_dispatch_id 0
		.amdhsa_user_sgpr_flat_scratch_init 0
		.amdhsa_user_sgpr_kernarg_preload_length 0
		.amdhsa_user_sgpr_kernarg_preload_offset 0
		.amdhsa_user_sgpr_private_segment_size 0
		.amdhsa_uses_dynamic_stack 0
		.amdhsa_system_sgpr_private_segment_wavefront_offset 0
		.amdhsa_system_sgpr_workgroup_id_x 1
		.amdhsa_system_sgpr_workgroup_id_y 0
		.amdhsa_system_sgpr_workgroup_id_z 0
		.amdhsa_system_sgpr_workgroup_info 0
		.amdhsa_system_vgpr_workitem_id 0
		.amdhsa_next_free_vgpr 1
		.amdhsa_next_free_sgpr 0
		.amdhsa_accum_offset 4
		.amdhsa_reserve_vcc 0
		.amdhsa_reserve_flat_scratch 0
		.amdhsa_float_round_mode_32 0
		.amdhsa_float_round_mode_16_64 0
		.amdhsa_float_denorm_mode_32 3
		.amdhsa_float_denorm_mode_16_64 3
		.amdhsa_dx10_clamp 1
		.amdhsa_ieee_mode 1
		.amdhsa_fp16_overflow 0
		.amdhsa_tg_split 0
		.amdhsa_exception_fp_ieee_invalid_op 0
		.amdhsa_exception_fp_denorm_src 0
		.amdhsa_exception_fp_ieee_div_zero 0
		.amdhsa_exception_fp_ieee_overflow 0
		.amdhsa_exception_fp_ieee_underflow 0
		.amdhsa_exception_fp_ieee_inexact 0
		.amdhsa_exception_int_div_zero 0
	.end_amdhsa_kernel
	.section	.text._ZN7rocprim17ROCPRIM_400000_NS6detail44device_merge_sort_compile_time_verifier_archINS1_11comp_targetILNS1_3genE5ELNS1_11target_archE942ELNS1_3gpuE9ELNS1_3repE0EEES8_NS0_14default_configES9_NS1_37merge_sort_block_sort_config_selectorIiNS0_10empty_typeEEENS1_38merge_sort_block_merge_config_selectorIiSB_EEEEvv,"axG",@progbits,_ZN7rocprim17ROCPRIM_400000_NS6detail44device_merge_sort_compile_time_verifier_archINS1_11comp_targetILNS1_3genE5ELNS1_11target_archE942ELNS1_3gpuE9ELNS1_3repE0EEES8_NS0_14default_configES9_NS1_37merge_sort_block_sort_config_selectorIiNS0_10empty_typeEEENS1_38merge_sort_block_merge_config_selectorIiSB_EEEEvv,comdat
.Lfunc_end3071:
	.size	_ZN7rocprim17ROCPRIM_400000_NS6detail44device_merge_sort_compile_time_verifier_archINS1_11comp_targetILNS1_3genE5ELNS1_11target_archE942ELNS1_3gpuE9ELNS1_3repE0EEES8_NS0_14default_configES9_NS1_37merge_sort_block_sort_config_selectorIiNS0_10empty_typeEEENS1_38merge_sort_block_merge_config_selectorIiSB_EEEEvv, .Lfunc_end3071-_ZN7rocprim17ROCPRIM_400000_NS6detail44device_merge_sort_compile_time_verifier_archINS1_11comp_targetILNS1_3genE5ELNS1_11target_archE942ELNS1_3gpuE9ELNS1_3repE0EEES8_NS0_14default_configES9_NS1_37merge_sort_block_sort_config_selectorIiNS0_10empty_typeEEENS1_38merge_sort_block_merge_config_selectorIiSB_EEEEvv
                                        ; -- End function
	.section	.AMDGPU.csdata,"",@progbits
; Kernel info:
; codeLenInByte = 4
; NumSgprs: 4
; NumVgprs: 0
; NumAgprs: 0
; TotalNumVgprs: 0
; ScratchSize: 0
; MemoryBound: 0
; FloatMode: 240
; IeeeMode: 1
; LDSByteSize: 0 bytes/workgroup (compile time only)
; SGPRBlocks: 0
; VGPRBlocks: 0
; NumSGPRsForWavesPerEU: 4
; NumVGPRsForWavesPerEU: 1
; AccumOffset: 4
; Occupancy: 8
; WaveLimiterHint : 0
; COMPUTE_PGM_RSRC2:SCRATCH_EN: 0
; COMPUTE_PGM_RSRC2:USER_SGPR: 4
; COMPUTE_PGM_RSRC2:TRAP_HANDLER: 0
; COMPUTE_PGM_RSRC2:TGID_X_EN: 1
; COMPUTE_PGM_RSRC2:TGID_Y_EN: 0
; COMPUTE_PGM_RSRC2:TGID_Z_EN: 0
; COMPUTE_PGM_RSRC2:TIDIG_COMP_CNT: 0
; COMPUTE_PGM_RSRC3_GFX90A:ACCUM_OFFSET: 0
; COMPUTE_PGM_RSRC3_GFX90A:TG_SPLIT: 0
	.section	.text._ZN7rocprim17ROCPRIM_400000_NS6detail44device_merge_sort_compile_time_verifier_archINS1_11comp_targetILNS1_3genE4ELNS1_11target_archE910ELNS1_3gpuE8ELNS1_3repE0EEES8_NS0_14default_configES9_NS1_37merge_sort_block_sort_config_selectorIiNS0_10empty_typeEEENS1_38merge_sort_block_merge_config_selectorIiSB_EEEEvv,"axG",@progbits,_ZN7rocprim17ROCPRIM_400000_NS6detail44device_merge_sort_compile_time_verifier_archINS1_11comp_targetILNS1_3genE4ELNS1_11target_archE910ELNS1_3gpuE8ELNS1_3repE0EEES8_NS0_14default_configES9_NS1_37merge_sort_block_sort_config_selectorIiNS0_10empty_typeEEENS1_38merge_sort_block_merge_config_selectorIiSB_EEEEvv,comdat
	.protected	_ZN7rocprim17ROCPRIM_400000_NS6detail44device_merge_sort_compile_time_verifier_archINS1_11comp_targetILNS1_3genE4ELNS1_11target_archE910ELNS1_3gpuE8ELNS1_3repE0EEES8_NS0_14default_configES9_NS1_37merge_sort_block_sort_config_selectorIiNS0_10empty_typeEEENS1_38merge_sort_block_merge_config_selectorIiSB_EEEEvv ; -- Begin function _ZN7rocprim17ROCPRIM_400000_NS6detail44device_merge_sort_compile_time_verifier_archINS1_11comp_targetILNS1_3genE4ELNS1_11target_archE910ELNS1_3gpuE8ELNS1_3repE0EEES8_NS0_14default_configES9_NS1_37merge_sort_block_sort_config_selectorIiNS0_10empty_typeEEENS1_38merge_sort_block_merge_config_selectorIiSB_EEEEvv
	.globl	_ZN7rocprim17ROCPRIM_400000_NS6detail44device_merge_sort_compile_time_verifier_archINS1_11comp_targetILNS1_3genE4ELNS1_11target_archE910ELNS1_3gpuE8ELNS1_3repE0EEES8_NS0_14default_configES9_NS1_37merge_sort_block_sort_config_selectorIiNS0_10empty_typeEEENS1_38merge_sort_block_merge_config_selectorIiSB_EEEEvv
	.p2align	8
	.type	_ZN7rocprim17ROCPRIM_400000_NS6detail44device_merge_sort_compile_time_verifier_archINS1_11comp_targetILNS1_3genE4ELNS1_11target_archE910ELNS1_3gpuE8ELNS1_3repE0EEES8_NS0_14default_configES9_NS1_37merge_sort_block_sort_config_selectorIiNS0_10empty_typeEEENS1_38merge_sort_block_merge_config_selectorIiSB_EEEEvv,@function
_ZN7rocprim17ROCPRIM_400000_NS6detail44device_merge_sort_compile_time_verifier_archINS1_11comp_targetILNS1_3genE4ELNS1_11target_archE910ELNS1_3gpuE8ELNS1_3repE0EEES8_NS0_14default_configES9_NS1_37merge_sort_block_sort_config_selectorIiNS0_10empty_typeEEENS1_38merge_sort_block_merge_config_selectorIiSB_EEEEvv: ; @_ZN7rocprim17ROCPRIM_400000_NS6detail44device_merge_sort_compile_time_verifier_archINS1_11comp_targetILNS1_3genE4ELNS1_11target_archE910ELNS1_3gpuE8ELNS1_3repE0EEES8_NS0_14default_configES9_NS1_37merge_sort_block_sort_config_selectorIiNS0_10empty_typeEEENS1_38merge_sort_block_merge_config_selectorIiSB_EEEEvv
; %bb.0:
	s_endpgm
	.section	.rodata,"a",@progbits
	.p2align	6, 0x0
	.amdhsa_kernel _ZN7rocprim17ROCPRIM_400000_NS6detail44device_merge_sort_compile_time_verifier_archINS1_11comp_targetILNS1_3genE4ELNS1_11target_archE910ELNS1_3gpuE8ELNS1_3repE0EEES8_NS0_14default_configES9_NS1_37merge_sort_block_sort_config_selectorIiNS0_10empty_typeEEENS1_38merge_sort_block_merge_config_selectorIiSB_EEEEvv
		.amdhsa_group_segment_fixed_size 0
		.amdhsa_private_segment_fixed_size 0
		.amdhsa_kernarg_size 0
		.amdhsa_user_sgpr_count 4
		.amdhsa_user_sgpr_private_segment_buffer 1
		.amdhsa_user_sgpr_dispatch_ptr 0
		.amdhsa_user_sgpr_queue_ptr 0
		.amdhsa_user_sgpr_kernarg_segment_ptr 0
		.amdhsa_user_sgpr_dispatch_id 0
		.amdhsa_user_sgpr_flat_scratch_init 0
		.amdhsa_user_sgpr_kernarg_preload_length 0
		.amdhsa_user_sgpr_kernarg_preload_offset 0
		.amdhsa_user_sgpr_private_segment_size 0
		.amdhsa_uses_dynamic_stack 0
		.amdhsa_system_sgpr_private_segment_wavefront_offset 0
		.amdhsa_system_sgpr_workgroup_id_x 1
		.amdhsa_system_sgpr_workgroup_id_y 0
		.amdhsa_system_sgpr_workgroup_id_z 0
		.amdhsa_system_sgpr_workgroup_info 0
		.amdhsa_system_vgpr_workitem_id 0
		.amdhsa_next_free_vgpr 1
		.amdhsa_next_free_sgpr 0
		.amdhsa_accum_offset 4
		.amdhsa_reserve_vcc 0
		.amdhsa_reserve_flat_scratch 0
		.amdhsa_float_round_mode_32 0
		.amdhsa_float_round_mode_16_64 0
		.amdhsa_float_denorm_mode_32 3
		.amdhsa_float_denorm_mode_16_64 3
		.amdhsa_dx10_clamp 1
		.amdhsa_ieee_mode 1
		.amdhsa_fp16_overflow 0
		.amdhsa_tg_split 0
		.amdhsa_exception_fp_ieee_invalid_op 0
		.amdhsa_exception_fp_denorm_src 0
		.amdhsa_exception_fp_ieee_div_zero 0
		.amdhsa_exception_fp_ieee_overflow 0
		.amdhsa_exception_fp_ieee_underflow 0
		.amdhsa_exception_fp_ieee_inexact 0
		.amdhsa_exception_int_div_zero 0
	.end_amdhsa_kernel
	.section	.text._ZN7rocprim17ROCPRIM_400000_NS6detail44device_merge_sort_compile_time_verifier_archINS1_11comp_targetILNS1_3genE4ELNS1_11target_archE910ELNS1_3gpuE8ELNS1_3repE0EEES8_NS0_14default_configES9_NS1_37merge_sort_block_sort_config_selectorIiNS0_10empty_typeEEENS1_38merge_sort_block_merge_config_selectorIiSB_EEEEvv,"axG",@progbits,_ZN7rocprim17ROCPRIM_400000_NS6detail44device_merge_sort_compile_time_verifier_archINS1_11comp_targetILNS1_3genE4ELNS1_11target_archE910ELNS1_3gpuE8ELNS1_3repE0EEES8_NS0_14default_configES9_NS1_37merge_sort_block_sort_config_selectorIiNS0_10empty_typeEEENS1_38merge_sort_block_merge_config_selectorIiSB_EEEEvv,comdat
.Lfunc_end3072:
	.size	_ZN7rocprim17ROCPRIM_400000_NS6detail44device_merge_sort_compile_time_verifier_archINS1_11comp_targetILNS1_3genE4ELNS1_11target_archE910ELNS1_3gpuE8ELNS1_3repE0EEES8_NS0_14default_configES9_NS1_37merge_sort_block_sort_config_selectorIiNS0_10empty_typeEEENS1_38merge_sort_block_merge_config_selectorIiSB_EEEEvv, .Lfunc_end3072-_ZN7rocprim17ROCPRIM_400000_NS6detail44device_merge_sort_compile_time_verifier_archINS1_11comp_targetILNS1_3genE4ELNS1_11target_archE910ELNS1_3gpuE8ELNS1_3repE0EEES8_NS0_14default_configES9_NS1_37merge_sort_block_sort_config_selectorIiNS0_10empty_typeEEENS1_38merge_sort_block_merge_config_selectorIiSB_EEEEvv
                                        ; -- End function
	.section	.AMDGPU.csdata,"",@progbits
; Kernel info:
; codeLenInByte = 4
; NumSgprs: 4
; NumVgprs: 0
; NumAgprs: 0
; TotalNumVgprs: 0
; ScratchSize: 0
; MemoryBound: 0
; FloatMode: 240
; IeeeMode: 1
; LDSByteSize: 0 bytes/workgroup (compile time only)
; SGPRBlocks: 0
; VGPRBlocks: 0
; NumSGPRsForWavesPerEU: 4
; NumVGPRsForWavesPerEU: 1
; AccumOffset: 4
; Occupancy: 8
; WaveLimiterHint : 0
; COMPUTE_PGM_RSRC2:SCRATCH_EN: 0
; COMPUTE_PGM_RSRC2:USER_SGPR: 4
; COMPUTE_PGM_RSRC2:TRAP_HANDLER: 0
; COMPUTE_PGM_RSRC2:TGID_X_EN: 1
; COMPUTE_PGM_RSRC2:TGID_Y_EN: 0
; COMPUTE_PGM_RSRC2:TGID_Z_EN: 0
; COMPUTE_PGM_RSRC2:TIDIG_COMP_CNT: 0
; COMPUTE_PGM_RSRC3_GFX90A:ACCUM_OFFSET: 0
; COMPUTE_PGM_RSRC3_GFX90A:TG_SPLIT: 0
	.section	.text._ZN7rocprim17ROCPRIM_400000_NS6detail44device_merge_sort_compile_time_verifier_archINS1_11comp_targetILNS1_3genE3ELNS1_11target_archE908ELNS1_3gpuE7ELNS1_3repE0EEES8_NS0_14default_configES9_NS1_37merge_sort_block_sort_config_selectorIiNS0_10empty_typeEEENS1_38merge_sort_block_merge_config_selectorIiSB_EEEEvv,"axG",@progbits,_ZN7rocprim17ROCPRIM_400000_NS6detail44device_merge_sort_compile_time_verifier_archINS1_11comp_targetILNS1_3genE3ELNS1_11target_archE908ELNS1_3gpuE7ELNS1_3repE0EEES8_NS0_14default_configES9_NS1_37merge_sort_block_sort_config_selectorIiNS0_10empty_typeEEENS1_38merge_sort_block_merge_config_selectorIiSB_EEEEvv,comdat
	.protected	_ZN7rocprim17ROCPRIM_400000_NS6detail44device_merge_sort_compile_time_verifier_archINS1_11comp_targetILNS1_3genE3ELNS1_11target_archE908ELNS1_3gpuE7ELNS1_3repE0EEES8_NS0_14default_configES9_NS1_37merge_sort_block_sort_config_selectorIiNS0_10empty_typeEEENS1_38merge_sort_block_merge_config_selectorIiSB_EEEEvv ; -- Begin function _ZN7rocprim17ROCPRIM_400000_NS6detail44device_merge_sort_compile_time_verifier_archINS1_11comp_targetILNS1_3genE3ELNS1_11target_archE908ELNS1_3gpuE7ELNS1_3repE0EEES8_NS0_14default_configES9_NS1_37merge_sort_block_sort_config_selectorIiNS0_10empty_typeEEENS1_38merge_sort_block_merge_config_selectorIiSB_EEEEvv
	.globl	_ZN7rocprim17ROCPRIM_400000_NS6detail44device_merge_sort_compile_time_verifier_archINS1_11comp_targetILNS1_3genE3ELNS1_11target_archE908ELNS1_3gpuE7ELNS1_3repE0EEES8_NS0_14default_configES9_NS1_37merge_sort_block_sort_config_selectorIiNS0_10empty_typeEEENS1_38merge_sort_block_merge_config_selectorIiSB_EEEEvv
	.p2align	8
	.type	_ZN7rocprim17ROCPRIM_400000_NS6detail44device_merge_sort_compile_time_verifier_archINS1_11comp_targetILNS1_3genE3ELNS1_11target_archE908ELNS1_3gpuE7ELNS1_3repE0EEES8_NS0_14default_configES9_NS1_37merge_sort_block_sort_config_selectorIiNS0_10empty_typeEEENS1_38merge_sort_block_merge_config_selectorIiSB_EEEEvv,@function
_ZN7rocprim17ROCPRIM_400000_NS6detail44device_merge_sort_compile_time_verifier_archINS1_11comp_targetILNS1_3genE3ELNS1_11target_archE908ELNS1_3gpuE7ELNS1_3repE0EEES8_NS0_14default_configES9_NS1_37merge_sort_block_sort_config_selectorIiNS0_10empty_typeEEENS1_38merge_sort_block_merge_config_selectorIiSB_EEEEvv: ; @_ZN7rocprim17ROCPRIM_400000_NS6detail44device_merge_sort_compile_time_verifier_archINS1_11comp_targetILNS1_3genE3ELNS1_11target_archE908ELNS1_3gpuE7ELNS1_3repE0EEES8_NS0_14default_configES9_NS1_37merge_sort_block_sort_config_selectorIiNS0_10empty_typeEEENS1_38merge_sort_block_merge_config_selectorIiSB_EEEEvv
; %bb.0:
	s_endpgm
	.section	.rodata,"a",@progbits
	.p2align	6, 0x0
	.amdhsa_kernel _ZN7rocprim17ROCPRIM_400000_NS6detail44device_merge_sort_compile_time_verifier_archINS1_11comp_targetILNS1_3genE3ELNS1_11target_archE908ELNS1_3gpuE7ELNS1_3repE0EEES8_NS0_14default_configES9_NS1_37merge_sort_block_sort_config_selectorIiNS0_10empty_typeEEENS1_38merge_sort_block_merge_config_selectorIiSB_EEEEvv
		.amdhsa_group_segment_fixed_size 0
		.amdhsa_private_segment_fixed_size 0
		.amdhsa_kernarg_size 0
		.amdhsa_user_sgpr_count 4
		.amdhsa_user_sgpr_private_segment_buffer 1
		.amdhsa_user_sgpr_dispatch_ptr 0
		.amdhsa_user_sgpr_queue_ptr 0
		.amdhsa_user_sgpr_kernarg_segment_ptr 0
		.amdhsa_user_sgpr_dispatch_id 0
		.amdhsa_user_sgpr_flat_scratch_init 0
		.amdhsa_user_sgpr_kernarg_preload_length 0
		.amdhsa_user_sgpr_kernarg_preload_offset 0
		.amdhsa_user_sgpr_private_segment_size 0
		.amdhsa_uses_dynamic_stack 0
		.amdhsa_system_sgpr_private_segment_wavefront_offset 0
		.amdhsa_system_sgpr_workgroup_id_x 1
		.amdhsa_system_sgpr_workgroup_id_y 0
		.amdhsa_system_sgpr_workgroup_id_z 0
		.amdhsa_system_sgpr_workgroup_info 0
		.amdhsa_system_vgpr_workitem_id 0
		.amdhsa_next_free_vgpr 1
		.amdhsa_next_free_sgpr 0
		.amdhsa_accum_offset 4
		.amdhsa_reserve_vcc 0
		.amdhsa_reserve_flat_scratch 0
		.amdhsa_float_round_mode_32 0
		.amdhsa_float_round_mode_16_64 0
		.amdhsa_float_denorm_mode_32 3
		.amdhsa_float_denorm_mode_16_64 3
		.amdhsa_dx10_clamp 1
		.amdhsa_ieee_mode 1
		.amdhsa_fp16_overflow 0
		.amdhsa_tg_split 0
		.amdhsa_exception_fp_ieee_invalid_op 0
		.amdhsa_exception_fp_denorm_src 0
		.amdhsa_exception_fp_ieee_div_zero 0
		.amdhsa_exception_fp_ieee_overflow 0
		.amdhsa_exception_fp_ieee_underflow 0
		.amdhsa_exception_fp_ieee_inexact 0
		.amdhsa_exception_int_div_zero 0
	.end_amdhsa_kernel
	.section	.text._ZN7rocprim17ROCPRIM_400000_NS6detail44device_merge_sort_compile_time_verifier_archINS1_11comp_targetILNS1_3genE3ELNS1_11target_archE908ELNS1_3gpuE7ELNS1_3repE0EEES8_NS0_14default_configES9_NS1_37merge_sort_block_sort_config_selectorIiNS0_10empty_typeEEENS1_38merge_sort_block_merge_config_selectorIiSB_EEEEvv,"axG",@progbits,_ZN7rocprim17ROCPRIM_400000_NS6detail44device_merge_sort_compile_time_verifier_archINS1_11comp_targetILNS1_3genE3ELNS1_11target_archE908ELNS1_3gpuE7ELNS1_3repE0EEES8_NS0_14default_configES9_NS1_37merge_sort_block_sort_config_selectorIiNS0_10empty_typeEEENS1_38merge_sort_block_merge_config_selectorIiSB_EEEEvv,comdat
.Lfunc_end3073:
	.size	_ZN7rocprim17ROCPRIM_400000_NS6detail44device_merge_sort_compile_time_verifier_archINS1_11comp_targetILNS1_3genE3ELNS1_11target_archE908ELNS1_3gpuE7ELNS1_3repE0EEES8_NS0_14default_configES9_NS1_37merge_sort_block_sort_config_selectorIiNS0_10empty_typeEEENS1_38merge_sort_block_merge_config_selectorIiSB_EEEEvv, .Lfunc_end3073-_ZN7rocprim17ROCPRIM_400000_NS6detail44device_merge_sort_compile_time_verifier_archINS1_11comp_targetILNS1_3genE3ELNS1_11target_archE908ELNS1_3gpuE7ELNS1_3repE0EEES8_NS0_14default_configES9_NS1_37merge_sort_block_sort_config_selectorIiNS0_10empty_typeEEENS1_38merge_sort_block_merge_config_selectorIiSB_EEEEvv
                                        ; -- End function
	.section	.AMDGPU.csdata,"",@progbits
; Kernel info:
; codeLenInByte = 4
; NumSgprs: 4
; NumVgprs: 0
; NumAgprs: 0
; TotalNumVgprs: 0
; ScratchSize: 0
; MemoryBound: 0
; FloatMode: 240
; IeeeMode: 1
; LDSByteSize: 0 bytes/workgroup (compile time only)
; SGPRBlocks: 0
; VGPRBlocks: 0
; NumSGPRsForWavesPerEU: 4
; NumVGPRsForWavesPerEU: 1
; AccumOffset: 4
; Occupancy: 8
; WaveLimiterHint : 0
; COMPUTE_PGM_RSRC2:SCRATCH_EN: 0
; COMPUTE_PGM_RSRC2:USER_SGPR: 4
; COMPUTE_PGM_RSRC2:TRAP_HANDLER: 0
; COMPUTE_PGM_RSRC2:TGID_X_EN: 1
; COMPUTE_PGM_RSRC2:TGID_Y_EN: 0
; COMPUTE_PGM_RSRC2:TGID_Z_EN: 0
; COMPUTE_PGM_RSRC2:TIDIG_COMP_CNT: 0
; COMPUTE_PGM_RSRC3_GFX90A:ACCUM_OFFSET: 0
; COMPUTE_PGM_RSRC3_GFX90A:TG_SPLIT: 0
	.section	.text._ZN7rocprim17ROCPRIM_400000_NS6detail44device_merge_sort_compile_time_verifier_archINS1_11comp_targetILNS1_3genE2ELNS1_11target_archE906ELNS1_3gpuE6ELNS1_3repE0EEES8_NS0_14default_configES9_NS1_37merge_sort_block_sort_config_selectorIiNS0_10empty_typeEEENS1_38merge_sort_block_merge_config_selectorIiSB_EEEEvv,"axG",@progbits,_ZN7rocprim17ROCPRIM_400000_NS6detail44device_merge_sort_compile_time_verifier_archINS1_11comp_targetILNS1_3genE2ELNS1_11target_archE906ELNS1_3gpuE6ELNS1_3repE0EEES8_NS0_14default_configES9_NS1_37merge_sort_block_sort_config_selectorIiNS0_10empty_typeEEENS1_38merge_sort_block_merge_config_selectorIiSB_EEEEvv,comdat
	.protected	_ZN7rocprim17ROCPRIM_400000_NS6detail44device_merge_sort_compile_time_verifier_archINS1_11comp_targetILNS1_3genE2ELNS1_11target_archE906ELNS1_3gpuE6ELNS1_3repE0EEES8_NS0_14default_configES9_NS1_37merge_sort_block_sort_config_selectorIiNS0_10empty_typeEEENS1_38merge_sort_block_merge_config_selectorIiSB_EEEEvv ; -- Begin function _ZN7rocprim17ROCPRIM_400000_NS6detail44device_merge_sort_compile_time_verifier_archINS1_11comp_targetILNS1_3genE2ELNS1_11target_archE906ELNS1_3gpuE6ELNS1_3repE0EEES8_NS0_14default_configES9_NS1_37merge_sort_block_sort_config_selectorIiNS0_10empty_typeEEENS1_38merge_sort_block_merge_config_selectorIiSB_EEEEvv
	.globl	_ZN7rocprim17ROCPRIM_400000_NS6detail44device_merge_sort_compile_time_verifier_archINS1_11comp_targetILNS1_3genE2ELNS1_11target_archE906ELNS1_3gpuE6ELNS1_3repE0EEES8_NS0_14default_configES9_NS1_37merge_sort_block_sort_config_selectorIiNS0_10empty_typeEEENS1_38merge_sort_block_merge_config_selectorIiSB_EEEEvv
	.p2align	8
	.type	_ZN7rocprim17ROCPRIM_400000_NS6detail44device_merge_sort_compile_time_verifier_archINS1_11comp_targetILNS1_3genE2ELNS1_11target_archE906ELNS1_3gpuE6ELNS1_3repE0EEES8_NS0_14default_configES9_NS1_37merge_sort_block_sort_config_selectorIiNS0_10empty_typeEEENS1_38merge_sort_block_merge_config_selectorIiSB_EEEEvv,@function
_ZN7rocprim17ROCPRIM_400000_NS6detail44device_merge_sort_compile_time_verifier_archINS1_11comp_targetILNS1_3genE2ELNS1_11target_archE906ELNS1_3gpuE6ELNS1_3repE0EEES8_NS0_14default_configES9_NS1_37merge_sort_block_sort_config_selectorIiNS0_10empty_typeEEENS1_38merge_sort_block_merge_config_selectorIiSB_EEEEvv: ; @_ZN7rocprim17ROCPRIM_400000_NS6detail44device_merge_sort_compile_time_verifier_archINS1_11comp_targetILNS1_3genE2ELNS1_11target_archE906ELNS1_3gpuE6ELNS1_3repE0EEES8_NS0_14default_configES9_NS1_37merge_sort_block_sort_config_selectorIiNS0_10empty_typeEEENS1_38merge_sort_block_merge_config_selectorIiSB_EEEEvv
; %bb.0:
	s_endpgm
	.section	.rodata,"a",@progbits
	.p2align	6, 0x0
	.amdhsa_kernel _ZN7rocprim17ROCPRIM_400000_NS6detail44device_merge_sort_compile_time_verifier_archINS1_11comp_targetILNS1_3genE2ELNS1_11target_archE906ELNS1_3gpuE6ELNS1_3repE0EEES8_NS0_14default_configES9_NS1_37merge_sort_block_sort_config_selectorIiNS0_10empty_typeEEENS1_38merge_sort_block_merge_config_selectorIiSB_EEEEvv
		.amdhsa_group_segment_fixed_size 0
		.amdhsa_private_segment_fixed_size 0
		.amdhsa_kernarg_size 0
		.amdhsa_user_sgpr_count 4
		.amdhsa_user_sgpr_private_segment_buffer 1
		.amdhsa_user_sgpr_dispatch_ptr 0
		.amdhsa_user_sgpr_queue_ptr 0
		.amdhsa_user_sgpr_kernarg_segment_ptr 0
		.amdhsa_user_sgpr_dispatch_id 0
		.amdhsa_user_sgpr_flat_scratch_init 0
		.amdhsa_user_sgpr_kernarg_preload_length 0
		.amdhsa_user_sgpr_kernarg_preload_offset 0
		.amdhsa_user_sgpr_private_segment_size 0
		.amdhsa_uses_dynamic_stack 0
		.amdhsa_system_sgpr_private_segment_wavefront_offset 0
		.amdhsa_system_sgpr_workgroup_id_x 1
		.amdhsa_system_sgpr_workgroup_id_y 0
		.amdhsa_system_sgpr_workgroup_id_z 0
		.amdhsa_system_sgpr_workgroup_info 0
		.amdhsa_system_vgpr_workitem_id 0
		.amdhsa_next_free_vgpr 1
		.amdhsa_next_free_sgpr 0
		.amdhsa_accum_offset 4
		.amdhsa_reserve_vcc 0
		.amdhsa_reserve_flat_scratch 0
		.amdhsa_float_round_mode_32 0
		.amdhsa_float_round_mode_16_64 0
		.amdhsa_float_denorm_mode_32 3
		.amdhsa_float_denorm_mode_16_64 3
		.amdhsa_dx10_clamp 1
		.amdhsa_ieee_mode 1
		.amdhsa_fp16_overflow 0
		.amdhsa_tg_split 0
		.amdhsa_exception_fp_ieee_invalid_op 0
		.amdhsa_exception_fp_denorm_src 0
		.amdhsa_exception_fp_ieee_div_zero 0
		.amdhsa_exception_fp_ieee_overflow 0
		.amdhsa_exception_fp_ieee_underflow 0
		.amdhsa_exception_fp_ieee_inexact 0
		.amdhsa_exception_int_div_zero 0
	.end_amdhsa_kernel
	.section	.text._ZN7rocprim17ROCPRIM_400000_NS6detail44device_merge_sort_compile_time_verifier_archINS1_11comp_targetILNS1_3genE2ELNS1_11target_archE906ELNS1_3gpuE6ELNS1_3repE0EEES8_NS0_14default_configES9_NS1_37merge_sort_block_sort_config_selectorIiNS0_10empty_typeEEENS1_38merge_sort_block_merge_config_selectorIiSB_EEEEvv,"axG",@progbits,_ZN7rocprim17ROCPRIM_400000_NS6detail44device_merge_sort_compile_time_verifier_archINS1_11comp_targetILNS1_3genE2ELNS1_11target_archE906ELNS1_3gpuE6ELNS1_3repE0EEES8_NS0_14default_configES9_NS1_37merge_sort_block_sort_config_selectorIiNS0_10empty_typeEEENS1_38merge_sort_block_merge_config_selectorIiSB_EEEEvv,comdat
.Lfunc_end3074:
	.size	_ZN7rocprim17ROCPRIM_400000_NS6detail44device_merge_sort_compile_time_verifier_archINS1_11comp_targetILNS1_3genE2ELNS1_11target_archE906ELNS1_3gpuE6ELNS1_3repE0EEES8_NS0_14default_configES9_NS1_37merge_sort_block_sort_config_selectorIiNS0_10empty_typeEEENS1_38merge_sort_block_merge_config_selectorIiSB_EEEEvv, .Lfunc_end3074-_ZN7rocprim17ROCPRIM_400000_NS6detail44device_merge_sort_compile_time_verifier_archINS1_11comp_targetILNS1_3genE2ELNS1_11target_archE906ELNS1_3gpuE6ELNS1_3repE0EEES8_NS0_14default_configES9_NS1_37merge_sort_block_sort_config_selectorIiNS0_10empty_typeEEENS1_38merge_sort_block_merge_config_selectorIiSB_EEEEvv
                                        ; -- End function
	.section	.AMDGPU.csdata,"",@progbits
; Kernel info:
; codeLenInByte = 4
; NumSgprs: 4
; NumVgprs: 0
; NumAgprs: 0
; TotalNumVgprs: 0
; ScratchSize: 0
; MemoryBound: 0
; FloatMode: 240
; IeeeMode: 1
; LDSByteSize: 0 bytes/workgroup (compile time only)
; SGPRBlocks: 0
; VGPRBlocks: 0
; NumSGPRsForWavesPerEU: 4
; NumVGPRsForWavesPerEU: 1
; AccumOffset: 4
; Occupancy: 8
; WaveLimiterHint : 0
; COMPUTE_PGM_RSRC2:SCRATCH_EN: 0
; COMPUTE_PGM_RSRC2:USER_SGPR: 4
; COMPUTE_PGM_RSRC2:TRAP_HANDLER: 0
; COMPUTE_PGM_RSRC2:TGID_X_EN: 1
; COMPUTE_PGM_RSRC2:TGID_Y_EN: 0
; COMPUTE_PGM_RSRC2:TGID_Z_EN: 0
; COMPUTE_PGM_RSRC2:TIDIG_COMP_CNT: 0
; COMPUTE_PGM_RSRC3_GFX90A:ACCUM_OFFSET: 0
; COMPUTE_PGM_RSRC3_GFX90A:TG_SPLIT: 0
	.section	.text._ZN7rocprim17ROCPRIM_400000_NS6detail44device_merge_sort_compile_time_verifier_archINS1_11comp_targetILNS1_3genE10ELNS1_11target_archE1201ELNS1_3gpuE5ELNS1_3repE0EEES8_NS0_14default_configES9_NS1_37merge_sort_block_sort_config_selectorIiNS0_10empty_typeEEENS1_38merge_sort_block_merge_config_selectorIiSB_EEEEvv,"axG",@progbits,_ZN7rocprim17ROCPRIM_400000_NS6detail44device_merge_sort_compile_time_verifier_archINS1_11comp_targetILNS1_3genE10ELNS1_11target_archE1201ELNS1_3gpuE5ELNS1_3repE0EEES8_NS0_14default_configES9_NS1_37merge_sort_block_sort_config_selectorIiNS0_10empty_typeEEENS1_38merge_sort_block_merge_config_selectorIiSB_EEEEvv,comdat
	.protected	_ZN7rocprim17ROCPRIM_400000_NS6detail44device_merge_sort_compile_time_verifier_archINS1_11comp_targetILNS1_3genE10ELNS1_11target_archE1201ELNS1_3gpuE5ELNS1_3repE0EEES8_NS0_14default_configES9_NS1_37merge_sort_block_sort_config_selectorIiNS0_10empty_typeEEENS1_38merge_sort_block_merge_config_selectorIiSB_EEEEvv ; -- Begin function _ZN7rocprim17ROCPRIM_400000_NS6detail44device_merge_sort_compile_time_verifier_archINS1_11comp_targetILNS1_3genE10ELNS1_11target_archE1201ELNS1_3gpuE5ELNS1_3repE0EEES8_NS0_14default_configES9_NS1_37merge_sort_block_sort_config_selectorIiNS0_10empty_typeEEENS1_38merge_sort_block_merge_config_selectorIiSB_EEEEvv
	.globl	_ZN7rocprim17ROCPRIM_400000_NS6detail44device_merge_sort_compile_time_verifier_archINS1_11comp_targetILNS1_3genE10ELNS1_11target_archE1201ELNS1_3gpuE5ELNS1_3repE0EEES8_NS0_14default_configES9_NS1_37merge_sort_block_sort_config_selectorIiNS0_10empty_typeEEENS1_38merge_sort_block_merge_config_selectorIiSB_EEEEvv
	.p2align	8
	.type	_ZN7rocprim17ROCPRIM_400000_NS6detail44device_merge_sort_compile_time_verifier_archINS1_11comp_targetILNS1_3genE10ELNS1_11target_archE1201ELNS1_3gpuE5ELNS1_3repE0EEES8_NS0_14default_configES9_NS1_37merge_sort_block_sort_config_selectorIiNS0_10empty_typeEEENS1_38merge_sort_block_merge_config_selectorIiSB_EEEEvv,@function
_ZN7rocprim17ROCPRIM_400000_NS6detail44device_merge_sort_compile_time_verifier_archINS1_11comp_targetILNS1_3genE10ELNS1_11target_archE1201ELNS1_3gpuE5ELNS1_3repE0EEES8_NS0_14default_configES9_NS1_37merge_sort_block_sort_config_selectorIiNS0_10empty_typeEEENS1_38merge_sort_block_merge_config_selectorIiSB_EEEEvv: ; @_ZN7rocprim17ROCPRIM_400000_NS6detail44device_merge_sort_compile_time_verifier_archINS1_11comp_targetILNS1_3genE10ELNS1_11target_archE1201ELNS1_3gpuE5ELNS1_3repE0EEES8_NS0_14default_configES9_NS1_37merge_sort_block_sort_config_selectorIiNS0_10empty_typeEEENS1_38merge_sort_block_merge_config_selectorIiSB_EEEEvv
; %bb.0:
	s_endpgm
	.section	.rodata,"a",@progbits
	.p2align	6, 0x0
	.amdhsa_kernel _ZN7rocprim17ROCPRIM_400000_NS6detail44device_merge_sort_compile_time_verifier_archINS1_11comp_targetILNS1_3genE10ELNS1_11target_archE1201ELNS1_3gpuE5ELNS1_3repE0EEES8_NS0_14default_configES9_NS1_37merge_sort_block_sort_config_selectorIiNS0_10empty_typeEEENS1_38merge_sort_block_merge_config_selectorIiSB_EEEEvv
		.amdhsa_group_segment_fixed_size 0
		.amdhsa_private_segment_fixed_size 0
		.amdhsa_kernarg_size 0
		.amdhsa_user_sgpr_count 4
		.amdhsa_user_sgpr_private_segment_buffer 1
		.amdhsa_user_sgpr_dispatch_ptr 0
		.amdhsa_user_sgpr_queue_ptr 0
		.amdhsa_user_sgpr_kernarg_segment_ptr 0
		.amdhsa_user_sgpr_dispatch_id 0
		.amdhsa_user_sgpr_flat_scratch_init 0
		.amdhsa_user_sgpr_kernarg_preload_length 0
		.amdhsa_user_sgpr_kernarg_preload_offset 0
		.amdhsa_user_sgpr_private_segment_size 0
		.amdhsa_uses_dynamic_stack 0
		.amdhsa_system_sgpr_private_segment_wavefront_offset 0
		.amdhsa_system_sgpr_workgroup_id_x 1
		.amdhsa_system_sgpr_workgroup_id_y 0
		.amdhsa_system_sgpr_workgroup_id_z 0
		.amdhsa_system_sgpr_workgroup_info 0
		.amdhsa_system_vgpr_workitem_id 0
		.amdhsa_next_free_vgpr 1
		.amdhsa_next_free_sgpr 0
		.amdhsa_accum_offset 4
		.amdhsa_reserve_vcc 0
		.amdhsa_reserve_flat_scratch 0
		.amdhsa_float_round_mode_32 0
		.amdhsa_float_round_mode_16_64 0
		.amdhsa_float_denorm_mode_32 3
		.amdhsa_float_denorm_mode_16_64 3
		.amdhsa_dx10_clamp 1
		.amdhsa_ieee_mode 1
		.amdhsa_fp16_overflow 0
		.amdhsa_tg_split 0
		.amdhsa_exception_fp_ieee_invalid_op 0
		.amdhsa_exception_fp_denorm_src 0
		.amdhsa_exception_fp_ieee_div_zero 0
		.amdhsa_exception_fp_ieee_overflow 0
		.amdhsa_exception_fp_ieee_underflow 0
		.amdhsa_exception_fp_ieee_inexact 0
		.amdhsa_exception_int_div_zero 0
	.end_amdhsa_kernel
	.section	.text._ZN7rocprim17ROCPRIM_400000_NS6detail44device_merge_sort_compile_time_verifier_archINS1_11comp_targetILNS1_3genE10ELNS1_11target_archE1201ELNS1_3gpuE5ELNS1_3repE0EEES8_NS0_14default_configES9_NS1_37merge_sort_block_sort_config_selectorIiNS0_10empty_typeEEENS1_38merge_sort_block_merge_config_selectorIiSB_EEEEvv,"axG",@progbits,_ZN7rocprim17ROCPRIM_400000_NS6detail44device_merge_sort_compile_time_verifier_archINS1_11comp_targetILNS1_3genE10ELNS1_11target_archE1201ELNS1_3gpuE5ELNS1_3repE0EEES8_NS0_14default_configES9_NS1_37merge_sort_block_sort_config_selectorIiNS0_10empty_typeEEENS1_38merge_sort_block_merge_config_selectorIiSB_EEEEvv,comdat
.Lfunc_end3075:
	.size	_ZN7rocprim17ROCPRIM_400000_NS6detail44device_merge_sort_compile_time_verifier_archINS1_11comp_targetILNS1_3genE10ELNS1_11target_archE1201ELNS1_3gpuE5ELNS1_3repE0EEES8_NS0_14default_configES9_NS1_37merge_sort_block_sort_config_selectorIiNS0_10empty_typeEEENS1_38merge_sort_block_merge_config_selectorIiSB_EEEEvv, .Lfunc_end3075-_ZN7rocprim17ROCPRIM_400000_NS6detail44device_merge_sort_compile_time_verifier_archINS1_11comp_targetILNS1_3genE10ELNS1_11target_archE1201ELNS1_3gpuE5ELNS1_3repE0EEES8_NS0_14default_configES9_NS1_37merge_sort_block_sort_config_selectorIiNS0_10empty_typeEEENS1_38merge_sort_block_merge_config_selectorIiSB_EEEEvv
                                        ; -- End function
	.section	.AMDGPU.csdata,"",@progbits
; Kernel info:
; codeLenInByte = 4
; NumSgprs: 4
; NumVgprs: 0
; NumAgprs: 0
; TotalNumVgprs: 0
; ScratchSize: 0
; MemoryBound: 0
; FloatMode: 240
; IeeeMode: 1
; LDSByteSize: 0 bytes/workgroup (compile time only)
; SGPRBlocks: 0
; VGPRBlocks: 0
; NumSGPRsForWavesPerEU: 4
; NumVGPRsForWavesPerEU: 1
; AccumOffset: 4
; Occupancy: 8
; WaveLimiterHint : 0
; COMPUTE_PGM_RSRC2:SCRATCH_EN: 0
; COMPUTE_PGM_RSRC2:USER_SGPR: 4
; COMPUTE_PGM_RSRC2:TRAP_HANDLER: 0
; COMPUTE_PGM_RSRC2:TGID_X_EN: 1
; COMPUTE_PGM_RSRC2:TGID_Y_EN: 0
; COMPUTE_PGM_RSRC2:TGID_Z_EN: 0
; COMPUTE_PGM_RSRC2:TIDIG_COMP_CNT: 0
; COMPUTE_PGM_RSRC3_GFX90A:ACCUM_OFFSET: 0
; COMPUTE_PGM_RSRC3_GFX90A:TG_SPLIT: 0
	.section	.text._ZN7rocprim17ROCPRIM_400000_NS6detail44device_merge_sort_compile_time_verifier_archINS1_11comp_targetILNS1_3genE10ELNS1_11target_archE1200ELNS1_3gpuE4ELNS1_3repE0EEENS3_ILS4_10ELS5_1201ELS6_5ELS7_0EEENS0_14default_configESA_NS1_37merge_sort_block_sort_config_selectorIiNS0_10empty_typeEEENS1_38merge_sort_block_merge_config_selectorIiSC_EEEEvv,"axG",@progbits,_ZN7rocprim17ROCPRIM_400000_NS6detail44device_merge_sort_compile_time_verifier_archINS1_11comp_targetILNS1_3genE10ELNS1_11target_archE1200ELNS1_3gpuE4ELNS1_3repE0EEENS3_ILS4_10ELS5_1201ELS6_5ELS7_0EEENS0_14default_configESA_NS1_37merge_sort_block_sort_config_selectorIiNS0_10empty_typeEEENS1_38merge_sort_block_merge_config_selectorIiSC_EEEEvv,comdat
	.protected	_ZN7rocprim17ROCPRIM_400000_NS6detail44device_merge_sort_compile_time_verifier_archINS1_11comp_targetILNS1_3genE10ELNS1_11target_archE1200ELNS1_3gpuE4ELNS1_3repE0EEENS3_ILS4_10ELS5_1201ELS6_5ELS7_0EEENS0_14default_configESA_NS1_37merge_sort_block_sort_config_selectorIiNS0_10empty_typeEEENS1_38merge_sort_block_merge_config_selectorIiSC_EEEEvv ; -- Begin function _ZN7rocprim17ROCPRIM_400000_NS6detail44device_merge_sort_compile_time_verifier_archINS1_11comp_targetILNS1_3genE10ELNS1_11target_archE1200ELNS1_3gpuE4ELNS1_3repE0EEENS3_ILS4_10ELS5_1201ELS6_5ELS7_0EEENS0_14default_configESA_NS1_37merge_sort_block_sort_config_selectorIiNS0_10empty_typeEEENS1_38merge_sort_block_merge_config_selectorIiSC_EEEEvv
	.globl	_ZN7rocprim17ROCPRIM_400000_NS6detail44device_merge_sort_compile_time_verifier_archINS1_11comp_targetILNS1_3genE10ELNS1_11target_archE1200ELNS1_3gpuE4ELNS1_3repE0EEENS3_ILS4_10ELS5_1201ELS6_5ELS7_0EEENS0_14default_configESA_NS1_37merge_sort_block_sort_config_selectorIiNS0_10empty_typeEEENS1_38merge_sort_block_merge_config_selectorIiSC_EEEEvv
	.p2align	8
	.type	_ZN7rocprim17ROCPRIM_400000_NS6detail44device_merge_sort_compile_time_verifier_archINS1_11comp_targetILNS1_3genE10ELNS1_11target_archE1200ELNS1_3gpuE4ELNS1_3repE0EEENS3_ILS4_10ELS5_1201ELS6_5ELS7_0EEENS0_14default_configESA_NS1_37merge_sort_block_sort_config_selectorIiNS0_10empty_typeEEENS1_38merge_sort_block_merge_config_selectorIiSC_EEEEvv,@function
_ZN7rocprim17ROCPRIM_400000_NS6detail44device_merge_sort_compile_time_verifier_archINS1_11comp_targetILNS1_3genE10ELNS1_11target_archE1200ELNS1_3gpuE4ELNS1_3repE0EEENS3_ILS4_10ELS5_1201ELS6_5ELS7_0EEENS0_14default_configESA_NS1_37merge_sort_block_sort_config_selectorIiNS0_10empty_typeEEENS1_38merge_sort_block_merge_config_selectorIiSC_EEEEvv: ; @_ZN7rocprim17ROCPRIM_400000_NS6detail44device_merge_sort_compile_time_verifier_archINS1_11comp_targetILNS1_3genE10ELNS1_11target_archE1200ELNS1_3gpuE4ELNS1_3repE0EEENS3_ILS4_10ELS5_1201ELS6_5ELS7_0EEENS0_14default_configESA_NS1_37merge_sort_block_sort_config_selectorIiNS0_10empty_typeEEENS1_38merge_sort_block_merge_config_selectorIiSC_EEEEvv
; %bb.0:
	s_endpgm
	.section	.rodata,"a",@progbits
	.p2align	6, 0x0
	.amdhsa_kernel _ZN7rocprim17ROCPRIM_400000_NS6detail44device_merge_sort_compile_time_verifier_archINS1_11comp_targetILNS1_3genE10ELNS1_11target_archE1200ELNS1_3gpuE4ELNS1_3repE0EEENS3_ILS4_10ELS5_1201ELS6_5ELS7_0EEENS0_14default_configESA_NS1_37merge_sort_block_sort_config_selectorIiNS0_10empty_typeEEENS1_38merge_sort_block_merge_config_selectorIiSC_EEEEvv
		.amdhsa_group_segment_fixed_size 0
		.amdhsa_private_segment_fixed_size 0
		.amdhsa_kernarg_size 0
		.amdhsa_user_sgpr_count 4
		.amdhsa_user_sgpr_private_segment_buffer 1
		.amdhsa_user_sgpr_dispatch_ptr 0
		.amdhsa_user_sgpr_queue_ptr 0
		.amdhsa_user_sgpr_kernarg_segment_ptr 0
		.amdhsa_user_sgpr_dispatch_id 0
		.amdhsa_user_sgpr_flat_scratch_init 0
		.amdhsa_user_sgpr_kernarg_preload_length 0
		.amdhsa_user_sgpr_kernarg_preload_offset 0
		.amdhsa_user_sgpr_private_segment_size 0
		.amdhsa_uses_dynamic_stack 0
		.amdhsa_system_sgpr_private_segment_wavefront_offset 0
		.amdhsa_system_sgpr_workgroup_id_x 1
		.amdhsa_system_sgpr_workgroup_id_y 0
		.amdhsa_system_sgpr_workgroup_id_z 0
		.amdhsa_system_sgpr_workgroup_info 0
		.amdhsa_system_vgpr_workitem_id 0
		.amdhsa_next_free_vgpr 1
		.amdhsa_next_free_sgpr 0
		.amdhsa_accum_offset 4
		.amdhsa_reserve_vcc 0
		.amdhsa_reserve_flat_scratch 0
		.amdhsa_float_round_mode_32 0
		.amdhsa_float_round_mode_16_64 0
		.amdhsa_float_denorm_mode_32 3
		.amdhsa_float_denorm_mode_16_64 3
		.amdhsa_dx10_clamp 1
		.amdhsa_ieee_mode 1
		.amdhsa_fp16_overflow 0
		.amdhsa_tg_split 0
		.amdhsa_exception_fp_ieee_invalid_op 0
		.amdhsa_exception_fp_denorm_src 0
		.amdhsa_exception_fp_ieee_div_zero 0
		.amdhsa_exception_fp_ieee_overflow 0
		.amdhsa_exception_fp_ieee_underflow 0
		.amdhsa_exception_fp_ieee_inexact 0
		.amdhsa_exception_int_div_zero 0
	.end_amdhsa_kernel
	.section	.text._ZN7rocprim17ROCPRIM_400000_NS6detail44device_merge_sort_compile_time_verifier_archINS1_11comp_targetILNS1_3genE10ELNS1_11target_archE1200ELNS1_3gpuE4ELNS1_3repE0EEENS3_ILS4_10ELS5_1201ELS6_5ELS7_0EEENS0_14default_configESA_NS1_37merge_sort_block_sort_config_selectorIiNS0_10empty_typeEEENS1_38merge_sort_block_merge_config_selectorIiSC_EEEEvv,"axG",@progbits,_ZN7rocprim17ROCPRIM_400000_NS6detail44device_merge_sort_compile_time_verifier_archINS1_11comp_targetILNS1_3genE10ELNS1_11target_archE1200ELNS1_3gpuE4ELNS1_3repE0EEENS3_ILS4_10ELS5_1201ELS6_5ELS7_0EEENS0_14default_configESA_NS1_37merge_sort_block_sort_config_selectorIiNS0_10empty_typeEEENS1_38merge_sort_block_merge_config_selectorIiSC_EEEEvv,comdat
.Lfunc_end3076:
	.size	_ZN7rocprim17ROCPRIM_400000_NS6detail44device_merge_sort_compile_time_verifier_archINS1_11comp_targetILNS1_3genE10ELNS1_11target_archE1200ELNS1_3gpuE4ELNS1_3repE0EEENS3_ILS4_10ELS5_1201ELS6_5ELS7_0EEENS0_14default_configESA_NS1_37merge_sort_block_sort_config_selectorIiNS0_10empty_typeEEENS1_38merge_sort_block_merge_config_selectorIiSC_EEEEvv, .Lfunc_end3076-_ZN7rocprim17ROCPRIM_400000_NS6detail44device_merge_sort_compile_time_verifier_archINS1_11comp_targetILNS1_3genE10ELNS1_11target_archE1200ELNS1_3gpuE4ELNS1_3repE0EEENS3_ILS4_10ELS5_1201ELS6_5ELS7_0EEENS0_14default_configESA_NS1_37merge_sort_block_sort_config_selectorIiNS0_10empty_typeEEENS1_38merge_sort_block_merge_config_selectorIiSC_EEEEvv
                                        ; -- End function
	.section	.AMDGPU.csdata,"",@progbits
; Kernel info:
; codeLenInByte = 4
; NumSgprs: 4
; NumVgprs: 0
; NumAgprs: 0
; TotalNumVgprs: 0
; ScratchSize: 0
; MemoryBound: 0
; FloatMode: 240
; IeeeMode: 1
; LDSByteSize: 0 bytes/workgroup (compile time only)
; SGPRBlocks: 0
; VGPRBlocks: 0
; NumSGPRsForWavesPerEU: 4
; NumVGPRsForWavesPerEU: 1
; AccumOffset: 4
; Occupancy: 8
; WaveLimiterHint : 0
; COMPUTE_PGM_RSRC2:SCRATCH_EN: 0
; COMPUTE_PGM_RSRC2:USER_SGPR: 4
; COMPUTE_PGM_RSRC2:TRAP_HANDLER: 0
; COMPUTE_PGM_RSRC2:TGID_X_EN: 1
; COMPUTE_PGM_RSRC2:TGID_Y_EN: 0
; COMPUTE_PGM_RSRC2:TGID_Z_EN: 0
; COMPUTE_PGM_RSRC2:TIDIG_COMP_CNT: 0
; COMPUTE_PGM_RSRC3_GFX90A:ACCUM_OFFSET: 0
; COMPUTE_PGM_RSRC3_GFX90A:TG_SPLIT: 0
	.section	.text._ZN7rocprim17ROCPRIM_400000_NS6detail44device_merge_sort_compile_time_verifier_archINS1_11comp_targetILNS1_3genE9ELNS1_11target_archE1100ELNS1_3gpuE3ELNS1_3repE0EEES8_NS0_14default_configES9_NS1_37merge_sort_block_sort_config_selectorIiNS0_10empty_typeEEENS1_38merge_sort_block_merge_config_selectorIiSB_EEEEvv,"axG",@progbits,_ZN7rocprim17ROCPRIM_400000_NS6detail44device_merge_sort_compile_time_verifier_archINS1_11comp_targetILNS1_3genE9ELNS1_11target_archE1100ELNS1_3gpuE3ELNS1_3repE0EEES8_NS0_14default_configES9_NS1_37merge_sort_block_sort_config_selectorIiNS0_10empty_typeEEENS1_38merge_sort_block_merge_config_selectorIiSB_EEEEvv,comdat
	.protected	_ZN7rocprim17ROCPRIM_400000_NS6detail44device_merge_sort_compile_time_verifier_archINS1_11comp_targetILNS1_3genE9ELNS1_11target_archE1100ELNS1_3gpuE3ELNS1_3repE0EEES8_NS0_14default_configES9_NS1_37merge_sort_block_sort_config_selectorIiNS0_10empty_typeEEENS1_38merge_sort_block_merge_config_selectorIiSB_EEEEvv ; -- Begin function _ZN7rocprim17ROCPRIM_400000_NS6detail44device_merge_sort_compile_time_verifier_archINS1_11comp_targetILNS1_3genE9ELNS1_11target_archE1100ELNS1_3gpuE3ELNS1_3repE0EEES8_NS0_14default_configES9_NS1_37merge_sort_block_sort_config_selectorIiNS0_10empty_typeEEENS1_38merge_sort_block_merge_config_selectorIiSB_EEEEvv
	.globl	_ZN7rocprim17ROCPRIM_400000_NS6detail44device_merge_sort_compile_time_verifier_archINS1_11comp_targetILNS1_3genE9ELNS1_11target_archE1100ELNS1_3gpuE3ELNS1_3repE0EEES8_NS0_14default_configES9_NS1_37merge_sort_block_sort_config_selectorIiNS0_10empty_typeEEENS1_38merge_sort_block_merge_config_selectorIiSB_EEEEvv
	.p2align	8
	.type	_ZN7rocprim17ROCPRIM_400000_NS6detail44device_merge_sort_compile_time_verifier_archINS1_11comp_targetILNS1_3genE9ELNS1_11target_archE1100ELNS1_3gpuE3ELNS1_3repE0EEES8_NS0_14default_configES9_NS1_37merge_sort_block_sort_config_selectorIiNS0_10empty_typeEEENS1_38merge_sort_block_merge_config_selectorIiSB_EEEEvv,@function
_ZN7rocprim17ROCPRIM_400000_NS6detail44device_merge_sort_compile_time_verifier_archINS1_11comp_targetILNS1_3genE9ELNS1_11target_archE1100ELNS1_3gpuE3ELNS1_3repE0EEES8_NS0_14default_configES9_NS1_37merge_sort_block_sort_config_selectorIiNS0_10empty_typeEEENS1_38merge_sort_block_merge_config_selectorIiSB_EEEEvv: ; @_ZN7rocprim17ROCPRIM_400000_NS6detail44device_merge_sort_compile_time_verifier_archINS1_11comp_targetILNS1_3genE9ELNS1_11target_archE1100ELNS1_3gpuE3ELNS1_3repE0EEES8_NS0_14default_configES9_NS1_37merge_sort_block_sort_config_selectorIiNS0_10empty_typeEEENS1_38merge_sort_block_merge_config_selectorIiSB_EEEEvv
; %bb.0:
	s_endpgm
	.section	.rodata,"a",@progbits
	.p2align	6, 0x0
	.amdhsa_kernel _ZN7rocprim17ROCPRIM_400000_NS6detail44device_merge_sort_compile_time_verifier_archINS1_11comp_targetILNS1_3genE9ELNS1_11target_archE1100ELNS1_3gpuE3ELNS1_3repE0EEES8_NS0_14default_configES9_NS1_37merge_sort_block_sort_config_selectorIiNS0_10empty_typeEEENS1_38merge_sort_block_merge_config_selectorIiSB_EEEEvv
		.amdhsa_group_segment_fixed_size 0
		.amdhsa_private_segment_fixed_size 0
		.amdhsa_kernarg_size 0
		.amdhsa_user_sgpr_count 4
		.amdhsa_user_sgpr_private_segment_buffer 1
		.amdhsa_user_sgpr_dispatch_ptr 0
		.amdhsa_user_sgpr_queue_ptr 0
		.amdhsa_user_sgpr_kernarg_segment_ptr 0
		.amdhsa_user_sgpr_dispatch_id 0
		.amdhsa_user_sgpr_flat_scratch_init 0
		.amdhsa_user_sgpr_kernarg_preload_length 0
		.amdhsa_user_sgpr_kernarg_preload_offset 0
		.amdhsa_user_sgpr_private_segment_size 0
		.amdhsa_uses_dynamic_stack 0
		.amdhsa_system_sgpr_private_segment_wavefront_offset 0
		.amdhsa_system_sgpr_workgroup_id_x 1
		.amdhsa_system_sgpr_workgroup_id_y 0
		.amdhsa_system_sgpr_workgroup_id_z 0
		.amdhsa_system_sgpr_workgroup_info 0
		.amdhsa_system_vgpr_workitem_id 0
		.amdhsa_next_free_vgpr 1
		.amdhsa_next_free_sgpr 0
		.amdhsa_accum_offset 4
		.amdhsa_reserve_vcc 0
		.amdhsa_reserve_flat_scratch 0
		.amdhsa_float_round_mode_32 0
		.amdhsa_float_round_mode_16_64 0
		.amdhsa_float_denorm_mode_32 3
		.amdhsa_float_denorm_mode_16_64 3
		.amdhsa_dx10_clamp 1
		.amdhsa_ieee_mode 1
		.amdhsa_fp16_overflow 0
		.amdhsa_tg_split 0
		.amdhsa_exception_fp_ieee_invalid_op 0
		.amdhsa_exception_fp_denorm_src 0
		.amdhsa_exception_fp_ieee_div_zero 0
		.amdhsa_exception_fp_ieee_overflow 0
		.amdhsa_exception_fp_ieee_underflow 0
		.amdhsa_exception_fp_ieee_inexact 0
		.amdhsa_exception_int_div_zero 0
	.end_amdhsa_kernel
	.section	.text._ZN7rocprim17ROCPRIM_400000_NS6detail44device_merge_sort_compile_time_verifier_archINS1_11comp_targetILNS1_3genE9ELNS1_11target_archE1100ELNS1_3gpuE3ELNS1_3repE0EEES8_NS0_14default_configES9_NS1_37merge_sort_block_sort_config_selectorIiNS0_10empty_typeEEENS1_38merge_sort_block_merge_config_selectorIiSB_EEEEvv,"axG",@progbits,_ZN7rocprim17ROCPRIM_400000_NS6detail44device_merge_sort_compile_time_verifier_archINS1_11comp_targetILNS1_3genE9ELNS1_11target_archE1100ELNS1_3gpuE3ELNS1_3repE0EEES8_NS0_14default_configES9_NS1_37merge_sort_block_sort_config_selectorIiNS0_10empty_typeEEENS1_38merge_sort_block_merge_config_selectorIiSB_EEEEvv,comdat
.Lfunc_end3077:
	.size	_ZN7rocprim17ROCPRIM_400000_NS6detail44device_merge_sort_compile_time_verifier_archINS1_11comp_targetILNS1_3genE9ELNS1_11target_archE1100ELNS1_3gpuE3ELNS1_3repE0EEES8_NS0_14default_configES9_NS1_37merge_sort_block_sort_config_selectorIiNS0_10empty_typeEEENS1_38merge_sort_block_merge_config_selectorIiSB_EEEEvv, .Lfunc_end3077-_ZN7rocprim17ROCPRIM_400000_NS6detail44device_merge_sort_compile_time_verifier_archINS1_11comp_targetILNS1_3genE9ELNS1_11target_archE1100ELNS1_3gpuE3ELNS1_3repE0EEES8_NS0_14default_configES9_NS1_37merge_sort_block_sort_config_selectorIiNS0_10empty_typeEEENS1_38merge_sort_block_merge_config_selectorIiSB_EEEEvv
                                        ; -- End function
	.section	.AMDGPU.csdata,"",@progbits
; Kernel info:
; codeLenInByte = 4
; NumSgprs: 4
; NumVgprs: 0
; NumAgprs: 0
; TotalNumVgprs: 0
; ScratchSize: 0
; MemoryBound: 0
; FloatMode: 240
; IeeeMode: 1
; LDSByteSize: 0 bytes/workgroup (compile time only)
; SGPRBlocks: 0
; VGPRBlocks: 0
; NumSGPRsForWavesPerEU: 4
; NumVGPRsForWavesPerEU: 1
; AccumOffset: 4
; Occupancy: 8
; WaveLimiterHint : 0
; COMPUTE_PGM_RSRC2:SCRATCH_EN: 0
; COMPUTE_PGM_RSRC2:USER_SGPR: 4
; COMPUTE_PGM_RSRC2:TRAP_HANDLER: 0
; COMPUTE_PGM_RSRC2:TGID_X_EN: 1
; COMPUTE_PGM_RSRC2:TGID_Y_EN: 0
; COMPUTE_PGM_RSRC2:TGID_Z_EN: 0
; COMPUTE_PGM_RSRC2:TIDIG_COMP_CNT: 0
; COMPUTE_PGM_RSRC3_GFX90A:ACCUM_OFFSET: 0
; COMPUTE_PGM_RSRC3_GFX90A:TG_SPLIT: 0
	.section	.text._ZN7rocprim17ROCPRIM_400000_NS6detail44device_merge_sort_compile_time_verifier_archINS1_11comp_targetILNS1_3genE8ELNS1_11target_archE1030ELNS1_3gpuE2ELNS1_3repE0EEES8_NS0_14default_configES9_NS1_37merge_sort_block_sort_config_selectorIiNS0_10empty_typeEEENS1_38merge_sort_block_merge_config_selectorIiSB_EEEEvv,"axG",@progbits,_ZN7rocprim17ROCPRIM_400000_NS6detail44device_merge_sort_compile_time_verifier_archINS1_11comp_targetILNS1_3genE8ELNS1_11target_archE1030ELNS1_3gpuE2ELNS1_3repE0EEES8_NS0_14default_configES9_NS1_37merge_sort_block_sort_config_selectorIiNS0_10empty_typeEEENS1_38merge_sort_block_merge_config_selectorIiSB_EEEEvv,comdat
	.protected	_ZN7rocprim17ROCPRIM_400000_NS6detail44device_merge_sort_compile_time_verifier_archINS1_11comp_targetILNS1_3genE8ELNS1_11target_archE1030ELNS1_3gpuE2ELNS1_3repE0EEES8_NS0_14default_configES9_NS1_37merge_sort_block_sort_config_selectorIiNS0_10empty_typeEEENS1_38merge_sort_block_merge_config_selectorIiSB_EEEEvv ; -- Begin function _ZN7rocprim17ROCPRIM_400000_NS6detail44device_merge_sort_compile_time_verifier_archINS1_11comp_targetILNS1_3genE8ELNS1_11target_archE1030ELNS1_3gpuE2ELNS1_3repE0EEES8_NS0_14default_configES9_NS1_37merge_sort_block_sort_config_selectorIiNS0_10empty_typeEEENS1_38merge_sort_block_merge_config_selectorIiSB_EEEEvv
	.globl	_ZN7rocprim17ROCPRIM_400000_NS6detail44device_merge_sort_compile_time_verifier_archINS1_11comp_targetILNS1_3genE8ELNS1_11target_archE1030ELNS1_3gpuE2ELNS1_3repE0EEES8_NS0_14default_configES9_NS1_37merge_sort_block_sort_config_selectorIiNS0_10empty_typeEEENS1_38merge_sort_block_merge_config_selectorIiSB_EEEEvv
	.p2align	8
	.type	_ZN7rocprim17ROCPRIM_400000_NS6detail44device_merge_sort_compile_time_verifier_archINS1_11comp_targetILNS1_3genE8ELNS1_11target_archE1030ELNS1_3gpuE2ELNS1_3repE0EEES8_NS0_14default_configES9_NS1_37merge_sort_block_sort_config_selectorIiNS0_10empty_typeEEENS1_38merge_sort_block_merge_config_selectorIiSB_EEEEvv,@function
_ZN7rocprim17ROCPRIM_400000_NS6detail44device_merge_sort_compile_time_verifier_archINS1_11comp_targetILNS1_3genE8ELNS1_11target_archE1030ELNS1_3gpuE2ELNS1_3repE0EEES8_NS0_14default_configES9_NS1_37merge_sort_block_sort_config_selectorIiNS0_10empty_typeEEENS1_38merge_sort_block_merge_config_selectorIiSB_EEEEvv: ; @_ZN7rocprim17ROCPRIM_400000_NS6detail44device_merge_sort_compile_time_verifier_archINS1_11comp_targetILNS1_3genE8ELNS1_11target_archE1030ELNS1_3gpuE2ELNS1_3repE0EEES8_NS0_14default_configES9_NS1_37merge_sort_block_sort_config_selectorIiNS0_10empty_typeEEENS1_38merge_sort_block_merge_config_selectorIiSB_EEEEvv
; %bb.0:
	s_endpgm
	.section	.rodata,"a",@progbits
	.p2align	6, 0x0
	.amdhsa_kernel _ZN7rocprim17ROCPRIM_400000_NS6detail44device_merge_sort_compile_time_verifier_archINS1_11comp_targetILNS1_3genE8ELNS1_11target_archE1030ELNS1_3gpuE2ELNS1_3repE0EEES8_NS0_14default_configES9_NS1_37merge_sort_block_sort_config_selectorIiNS0_10empty_typeEEENS1_38merge_sort_block_merge_config_selectorIiSB_EEEEvv
		.amdhsa_group_segment_fixed_size 0
		.amdhsa_private_segment_fixed_size 0
		.amdhsa_kernarg_size 0
		.amdhsa_user_sgpr_count 4
		.amdhsa_user_sgpr_private_segment_buffer 1
		.amdhsa_user_sgpr_dispatch_ptr 0
		.amdhsa_user_sgpr_queue_ptr 0
		.amdhsa_user_sgpr_kernarg_segment_ptr 0
		.amdhsa_user_sgpr_dispatch_id 0
		.amdhsa_user_sgpr_flat_scratch_init 0
		.amdhsa_user_sgpr_kernarg_preload_length 0
		.amdhsa_user_sgpr_kernarg_preload_offset 0
		.amdhsa_user_sgpr_private_segment_size 0
		.amdhsa_uses_dynamic_stack 0
		.amdhsa_system_sgpr_private_segment_wavefront_offset 0
		.amdhsa_system_sgpr_workgroup_id_x 1
		.amdhsa_system_sgpr_workgroup_id_y 0
		.amdhsa_system_sgpr_workgroup_id_z 0
		.amdhsa_system_sgpr_workgroup_info 0
		.amdhsa_system_vgpr_workitem_id 0
		.amdhsa_next_free_vgpr 1
		.amdhsa_next_free_sgpr 0
		.amdhsa_accum_offset 4
		.amdhsa_reserve_vcc 0
		.amdhsa_reserve_flat_scratch 0
		.amdhsa_float_round_mode_32 0
		.amdhsa_float_round_mode_16_64 0
		.amdhsa_float_denorm_mode_32 3
		.amdhsa_float_denorm_mode_16_64 3
		.amdhsa_dx10_clamp 1
		.amdhsa_ieee_mode 1
		.amdhsa_fp16_overflow 0
		.amdhsa_tg_split 0
		.amdhsa_exception_fp_ieee_invalid_op 0
		.amdhsa_exception_fp_denorm_src 0
		.amdhsa_exception_fp_ieee_div_zero 0
		.amdhsa_exception_fp_ieee_overflow 0
		.amdhsa_exception_fp_ieee_underflow 0
		.amdhsa_exception_fp_ieee_inexact 0
		.amdhsa_exception_int_div_zero 0
	.end_amdhsa_kernel
	.section	.text._ZN7rocprim17ROCPRIM_400000_NS6detail44device_merge_sort_compile_time_verifier_archINS1_11comp_targetILNS1_3genE8ELNS1_11target_archE1030ELNS1_3gpuE2ELNS1_3repE0EEES8_NS0_14default_configES9_NS1_37merge_sort_block_sort_config_selectorIiNS0_10empty_typeEEENS1_38merge_sort_block_merge_config_selectorIiSB_EEEEvv,"axG",@progbits,_ZN7rocprim17ROCPRIM_400000_NS6detail44device_merge_sort_compile_time_verifier_archINS1_11comp_targetILNS1_3genE8ELNS1_11target_archE1030ELNS1_3gpuE2ELNS1_3repE0EEES8_NS0_14default_configES9_NS1_37merge_sort_block_sort_config_selectorIiNS0_10empty_typeEEENS1_38merge_sort_block_merge_config_selectorIiSB_EEEEvv,comdat
.Lfunc_end3078:
	.size	_ZN7rocprim17ROCPRIM_400000_NS6detail44device_merge_sort_compile_time_verifier_archINS1_11comp_targetILNS1_3genE8ELNS1_11target_archE1030ELNS1_3gpuE2ELNS1_3repE0EEES8_NS0_14default_configES9_NS1_37merge_sort_block_sort_config_selectorIiNS0_10empty_typeEEENS1_38merge_sort_block_merge_config_selectorIiSB_EEEEvv, .Lfunc_end3078-_ZN7rocprim17ROCPRIM_400000_NS6detail44device_merge_sort_compile_time_verifier_archINS1_11comp_targetILNS1_3genE8ELNS1_11target_archE1030ELNS1_3gpuE2ELNS1_3repE0EEES8_NS0_14default_configES9_NS1_37merge_sort_block_sort_config_selectorIiNS0_10empty_typeEEENS1_38merge_sort_block_merge_config_selectorIiSB_EEEEvv
                                        ; -- End function
	.section	.AMDGPU.csdata,"",@progbits
; Kernel info:
; codeLenInByte = 4
; NumSgprs: 4
; NumVgprs: 0
; NumAgprs: 0
; TotalNumVgprs: 0
; ScratchSize: 0
; MemoryBound: 0
; FloatMode: 240
; IeeeMode: 1
; LDSByteSize: 0 bytes/workgroup (compile time only)
; SGPRBlocks: 0
; VGPRBlocks: 0
; NumSGPRsForWavesPerEU: 4
; NumVGPRsForWavesPerEU: 1
; AccumOffset: 4
; Occupancy: 8
; WaveLimiterHint : 0
; COMPUTE_PGM_RSRC2:SCRATCH_EN: 0
; COMPUTE_PGM_RSRC2:USER_SGPR: 4
; COMPUTE_PGM_RSRC2:TRAP_HANDLER: 0
; COMPUTE_PGM_RSRC2:TGID_X_EN: 1
; COMPUTE_PGM_RSRC2:TGID_Y_EN: 0
; COMPUTE_PGM_RSRC2:TGID_Z_EN: 0
; COMPUTE_PGM_RSRC2:TIDIG_COMP_CNT: 0
; COMPUTE_PGM_RSRC3_GFX90A:ACCUM_OFFSET: 0
; COMPUTE_PGM_RSRC3_GFX90A:TG_SPLIT: 0
	.section	.text._ZN7rocprim17ROCPRIM_400000_NS6detail17trampoline_kernelINS0_14default_configENS1_37merge_sort_block_sort_config_selectorIiNS0_10empty_typeEEEZNS1_21merge_sort_block_sortIS3_N6thrust23THRUST_200600_302600_NS6detail15normal_iteratorINS9_10device_ptrIiEEEESE_PS5_SF_14custom_greaterIiEEE10hipError_tT0_T1_T2_T3_mRjT4_P12ihipStream_tbNS1_7vsmem_tEEUlT_E_NS1_11comp_targetILNS1_3genE0ELNS1_11target_archE4294967295ELNS1_3gpuE0ELNS1_3repE0EEENS1_30default_config_static_selectorELNS0_4arch9wavefront6targetE1EEEvSK_,"axG",@progbits,_ZN7rocprim17ROCPRIM_400000_NS6detail17trampoline_kernelINS0_14default_configENS1_37merge_sort_block_sort_config_selectorIiNS0_10empty_typeEEEZNS1_21merge_sort_block_sortIS3_N6thrust23THRUST_200600_302600_NS6detail15normal_iteratorINS9_10device_ptrIiEEEESE_PS5_SF_14custom_greaterIiEEE10hipError_tT0_T1_T2_T3_mRjT4_P12ihipStream_tbNS1_7vsmem_tEEUlT_E_NS1_11comp_targetILNS1_3genE0ELNS1_11target_archE4294967295ELNS1_3gpuE0ELNS1_3repE0EEENS1_30default_config_static_selectorELNS0_4arch9wavefront6targetE1EEEvSK_,comdat
	.protected	_ZN7rocprim17ROCPRIM_400000_NS6detail17trampoline_kernelINS0_14default_configENS1_37merge_sort_block_sort_config_selectorIiNS0_10empty_typeEEEZNS1_21merge_sort_block_sortIS3_N6thrust23THRUST_200600_302600_NS6detail15normal_iteratorINS9_10device_ptrIiEEEESE_PS5_SF_14custom_greaterIiEEE10hipError_tT0_T1_T2_T3_mRjT4_P12ihipStream_tbNS1_7vsmem_tEEUlT_E_NS1_11comp_targetILNS1_3genE0ELNS1_11target_archE4294967295ELNS1_3gpuE0ELNS1_3repE0EEENS1_30default_config_static_selectorELNS0_4arch9wavefront6targetE1EEEvSK_ ; -- Begin function _ZN7rocprim17ROCPRIM_400000_NS6detail17trampoline_kernelINS0_14default_configENS1_37merge_sort_block_sort_config_selectorIiNS0_10empty_typeEEEZNS1_21merge_sort_block_sortIS3_N6thrust23THRUST_200600_302600_NS6detail15normal_iteratorINS9_10device_ptrIiEEEESE_PS5_SF_14custom_greaterIiEEE10hipError_tT0_T1_T2_T3_mRjT4_P12ihipStream_tbNS1_7vsmem_tEEUlT_E_NS1_11comp_targetILNS1_3genE0ELNS1_11target_archE4294967295ELNS1_3gpuE0ELNS1_3repE0EEENS1_30default_config_static_selectorELNS0_4arch9wavefront6targetE1EEEvSK_
	.globl	_ZN7rocprim17ROCPRIM_400000_NS6detail17trampoline_kernelINS0_14default_configENS1_37merge_sort_block_sort_config_selectorIiNS0_10empty_typeEEEZNS1_21merge_sort_block_sortIS3_N6thrust23THRUST_200600_302600_NS6detail15normal_iteratorINS9_10device_ptrIiEEEESE_PS5_SF_14custom_greaterIiEEE10hipError_tT0_T1_T2_T3_mRjT4_P12ihipStream_tbNS1_7vsmem_tEEUlT_E_NS1_11comp_targetILNS1_3genE0ELNS1_11target_archE4294967295ELNS1_3gpuE0ELNS1_3repE0EEENS1_30default_config_static_selectorELNS0_4arch9wavefront6targetE1EEEvSK_
	.p2align	8
	.type	_ZN7rocprim17ROCPRIM_400000_NS6detail17trampoline_kernelINS0_14default_configENS1_37merge_sort_block_sort_config_selectorIiNS0_10empty_typeEEEZNS1_21merge_sort_block_sortIS3_N6thrust23THRUST_200600_302600_NS6detail15normal_iteratorINS9_10device_ptrIiEEEESE_PS5_SF_14custom_greaterIiEEE10hipError_tT0_T1_T2_T3_mRjT4_P12ihipStream_tbNS1_7vsmem_tEEUlT_E_NS1_11comp_targetILNS1_3genE0ELNS1_11target_archE4294967295ELNS1_3gpuE0ELNS1_3repE0EEENS1_30default_config_static_selectorELNS0_4arch9wavefront6targetE1EEEvSK_,@function
_ZN7rocprim17ROCPRIM_400000_NS6detail17trampoline_kernelINS0_14default_configENS1_37merge_sort_block_sort_config_selectorIiNS0_10empty_typeEEEZNS1_21merge_sort_block_sortIS3_N6thrust23THRUST_200600_302600_NS6detail15normal_iteratorINS9_10device_ptrIiEEEESE_PS5_SF_14custom_greaterIiEEE10hipError_tT0_T1_T2_T3_mRjT4_P12ihipStream_tbNS1_7vsmem_tEEUlT_E_NS1_11comp_targetILNS1_3genE0ELNS1_11target_archE4294967295ELNS1_3gpuE0ELNS1_3repE0EEENS1_30default_config_static_selectorELNS0_4arch9wavefront6targetE1EEEvSK_: ; @_ZN7rocprim17ROCPRIM_400000_NS6detail17trampoline_kernelINS0_14default_configENS1_37merge_sort_block_sort_config_selectorIiNS0_10empty_typeEEEZNS1_21merge_sort_block_sortIS3_N6thrust23THRUST_200600_302600_NS6detail15normal_iteratorINS9_10device_ptrIiEEEESE_PS5_SF_14custom_greaterIiEEE10hipError_tT0_T1_T2_T3_mRjT4_P12ihipStream_tbNS1_7vsmem_tEEUlT_E_NS1_11comp_targetILNS1_3genE0ELNS1_11target_archE4294967295ELNS1_3gpuE0ELNS1_3repE0EEENS1_30default_config_static_selectorELNS0_4arch9wavefront6targetE1EEEvSK_
; %bb.0:
	.section	.rodata,"a",@progbits
	.p2align	6, 0x0
	.amdhsa_kernel _ZN7rocprim17ROCPRIM_400000_NS6detail17trampoline_kernelINS0_14default_configENS1_37merge_sort_block_sort_config_selectorIiNS0_10empty_typeEEEZNS1_21merge_sort_block_sortIS3_N6thrust23THRUST_200600_302600_NS6detail15normal_iteratorINS9_10device_ptrIiEEEESE_PS5_SF_14custom_greaterIiEEE10hipError_tT0_T1_T2_T3_mRjT4_P12ihipStream_tbNS1_7vsmem_tEEUlT_E_NS1_11comp_targetILNS1_3genE0ELNS1_11target_archE4294967295ELNS1_3gpuE0ELNS1_3repE0EEENS1_30default_config_static_selectorELNS0_4arch9wavefront6targetE1EEEvSK_
		.amdhsa_group_segment_fixed_size 0
		.amdhsa_private_segment_fixed_size 0
		.amdhsa_kernarg_size 64
		.amdhsa_user_sgpr_count 6
		.amdhsa_user_sgpr_private_segment_buffer 1
		.amdhsa_user_sgpr_dispatch_ptr 0
		.amdhsa_user_sgpr_queue_ptr 0
		.amdhsa_user_sgpr_kernarg_segment_ptr 1
		.amdhsa_user_sgpr_dispatch_id 0
		.amdhsa_user_sgpr_flat_scratch_init 0
		.amdhsa_user_sgpr_kernarg_preload_length 0
		.amdhsa_user_sgpr_kernarg_preload_offset 0
		.amdhsa_user_sgpr_private_segment_size 0
		.amdhsa_uses_dynamic_stack 0
		.amdhsa_system_sgpr_private_segment_wavefront_offset 0
		.amdhsa_system_sgpr_workgroup_id_x 1
		.amdhsa_system_sgpr_workgroup_id_y 0
		.amdhsa_system_sgpr_workgroup_id_z 0
		.amdhsa_system_sgpr_workgroup_info 0
		.amdhsa_system_vgpr_workitem_id 0
		.amdhsa_next_free_vgpr 1
		.amdhsa_next_free_sgpr 0
		.amdhsa_accum_offset 4
		.amdhsa_reserve_vcc 0
		.amdhsa_reserve_flat_scratch 0
		.amdhsa_float_round_mode_32 0
		.amdhsa_float_round_mode_16_64 0
		.amdhsa_float_denorm_mode_32 3
		.amdhsa_float_denorm_mode_16_64 3
		.amdhsa_dx10_clamp 1
		.amdhsa_ieee_mode 1
		.amdhsa_fp16_overflow 0
		.amdhsa_tg_split 0
		.amdhsa_exception_fp_ieee_invalid_op 0
		.amdhsa_exception_fp_denorm_src 0
		.amdhsa_exception_fp_ieee_div_zero 0
		.amdhsa_exception_fp_ieee_overflow 0
		.amdhsa_exception_fp_ieee_underflow 0
		.amdhsa_exception_fp_ieee_inexact 0
		.amdhsa_exception_int_div_zero 0
	.end_amdhsa_kernel
	.section	.text._ZN7rocprim17ROCPRIM_400000_NS6detail17trampoline_kernelINS0_14default_configENS1_37merge_sort_block_sort_config_selectorIiNS0_10empty_typeEEEZNS1_21merge_sort_block_sortIS3_N6thrust23THRUST_200600_302600_NS6detail15normal_iteratorINS9_10device_ptrIiEEEESE_PS5_SF_14custom_greaterIiEEE10hipError_tT0_T1_T2_T3_mRjT4_P12ihipStream_tbNS1_7vsmem_tEEUlT_E_NS1_11comp_targetILNS1_3genE0ELNS1_11target_archE4294967295ELNS1_3gpuE0ELNS1_3repE0EEENS1_30default_config_static_selectorELNS0_4arch9wavefront6targetE1EEEvSK_,"axG",@progbits,_ZN7rocprim17ROCPRIM_400000_NS6detail17trampoline_kernelINS0_14default_configENS1_37merge_sort_block_sort_config_selectorIiNS0_10empty_typeEEEZNS1_21merge_sort_block_sortIS3_N6thrust23THRUST_200600_302600_NS6detail15normal_iteratorINS9_10device_ptrIiEEEESE_PS5_SF_14custom_greaterIiEEE10hipError_tT0_T1_T2_T3_mRjT4_P12ihipStream_tbNS1_7vsmem_tEEUlT_E_NS1_11comp_targetILNS1_3genE0ELNS1_11target_archE4294967295ELNS1_3gpuE0ELNS1_3repE0EEENS1_30default_config_static_selectorELNS0_4arch9wavefront6targetE1EEEvSK_,comdat
.Lfunc_end3079:
	.size	_ZN7rocprim17ROCPRIM_400000_NS6detail17trampoline_kernelINS0_14default_configENS1_37merge_sort_block_sort_config_selectorIiNS0_10empty_typeEEEZNS1_21merge_sort_block_sortIS3_N6thrust23THRUST_200600_302600_NS6detail15normal_iteratorINS9_10device_ptrIiEEEESE_PS5_SF_14custom_greaterIiEEE10hipError_tT0_T1_T2_T3_mRjT4_P12ihipStream_tbNS1_7vsmem_tEEUlT_E_NS1_11comp_targetILNS1_3genE0ELNS1_11target_archE4294967295ELNS1_3gpuE0ELNS1_3repE0EEENS1_30default_config_static_selectorELNS0_4arch9wavefront6targetE1EEEvSK_, .Lfunc_end3079-_ZN7rocprim17ROCPRIM_400000_NS6detail17trampoline_kernelINS0_14default_configENS1_37merge_sort_block_sort_config_selectorIiNS0_10empty_typeEEEZNS1_21merge_sort_block_sortIS3_N6thrust23THRUST_200600_302600_NS6detail15normal_iteratorINS9_10device_ptrIiEEEESE_PS5_SF_14custom_greaterIiEEE10hipError_tT0_T1_T2_T3_mRjT4_P12ihipStream_tbNS1_7vsmem_tEEUlT_E_NS1_11comp_targetILNS1_3genE0ELNS1_11target_archE4294967295ELNS1_3gpuE0ELNS1_3repE0EEENS1_30default_config_static_selectorELNS0_4arch9wavefront6targetE1EEEvSK_
                                        ; -- End function
	.section	.AMDGPU.csdata,"",@progbits
; Kernel info:
; codeLenInByte = 0
; NumSgprs: 4
; NumVgprs: 0
; NumAgprs: 0
; TotalNumVgprs: 0
; ScratchSize: 0
; MemoryBound: 0
; FloatMode: 240
; IeeeMode: 1
; LDSByteSize: 0 bytes/workgroup (compile time only)
; SGPRBlocks: 0
; VGPRBlocks: 0
; NumSGPRsForWavesPerEU: 4
; NumVGPRsForWavesPerEU: 1
; AccumOffset: 4
; Occupancy: 8
; WaveLimiterHint : 0
; COMPUTE_PGM_RSRC2:SCRATCH_EN: 0
; COMPUTE_PGM_RSRC2:USER_SGPR: 6
; COMPUTE_PGM_RSRC2:TRAP_HANDLER: 0
; COMPUTE_PGM_RSRC2:TGID_X_EN: 1
; COMPUTE_PGM_RSRC2:TGID_Y_EN: 0
; COMPUTE_PGM_RSRC2:TGID_Z_EN: 0
; COMPUTE_PGM_RSRC2:TIDIG_COMP_CNT: 0
; COMPUTE_PGM_RSRC3_GFX90A:ACCUM_OFFSET: 0
; COMPUTE_PGM_RSRC3_GFX90A:TG_SPLIT: 0
	.section	.text._ZN7rocprim17ROCPRIM_400000_NS6detail17trampoline_kernelINS0_14default_configENS1_37merge_sort_block_sort_config_selectorIiNS0_10empty_typeEEEZNS1_21merge_sort_block_sortIS3_N6thrust23THRUST_200600_302600_NS6detail15normal_iteratorINS9_10device_ptrIiEEEESE_PS5_SF_14custom_greaterIiEEE10hipError_tT0_T1_T2_T3_mRjT4_P12ihipStream_tbNS1_7vsmem_tEEUlT_E_NS1_11comp_targetILNS1_3genE5ELNS1_11target_archE942ELNS1_3gpuE9ELNS1_3repE0EEENS1_30default_config_static_selectorELNS0_4arch9wavefront6targetE1EEEvSK_,"axG",@progbits,_ZN7rocprim17ROCPRIM_400000_NS6detail17trampoline_kernelINS0_14default_configENS1_37merge_sort_block_sort_config_selectorIiNS0_10empty_typeEEEZNS1_21merge_sort_block_sortIS3_N6thrust23THRUST_200600_302600_NS6detail15normal_iteratorINS9_10device_ptrIiEEEESE_PS5_SF_14custom_greaterIiEEE10hipError_tT0_T1_T2_T3_mRjT4_P12ihipStream_tbNS1_7vsmem_tEEUlT_E_NS1_11comp_targetILNS1_3genE5ELNS1_11target_archE942ELNS1_3gpuE9ELNS1_3repE0EEENS1_30default_config_static_selectorELNS0_4arch9wavefront6targetE1EEEvSK_,comdat
	.protected	_ZN7rocprim17ROCPRIM_400000_NS6detail17trampoline_kernelINS0_14default_configENS1_37merge_sort_block_sort_config_selectorIiNS0_10empty_typeEEEZNS1_21merge_sort_block_sortIS3_N6thrust23THRUST_200600_302600_NS6detail15normal_iteratorINS9_10device_ptrIiEEEESE_PS5_SF_14custom_greaterIiEEE10hipError_tT0_T1_T2_T3_mRjT4_P12ihipStream_tbNS1_7vsmem_tEEUlT_E_NS1_11comp_targetILNS1_3genE5ELNS1_11target_archE942ELNS1_3gpuE9ELNS1_3repE0EEENS1_30default_config_static_selectorELNS0_4arch9wavefront6targetE1EEEvSK_ ; -- Begin function _ZN7rocprim17ROCPRIM_400000_NS6detail17trampoline_kernelINS0_14default_configENS1_37merge_sort_block_sort_config_selectorIiNS0_10empty_typeEEEZNS1_21merge_sort_block_sortIS3_N6thrust23THRUST_200600_302600_NS6detail15normal_iteratorINS9_10device_ptrIiEEEESE_PS5_SF_14custom_greaterIiEEE10hipError_tT0_T1_T2_T3_mRjT4_P12ihipStream_tbNS1_7vsmem_tEEUlT_E_NS1_11comp_targetILNS1_3genE5ELNS1_11target_archE942ELNS1_3gpuE9ELNS1_3repE0EEENS1_30default_config_static_selectorELNS0_4arch9wavefront6targetE1EEEvSK_
	.globl	_ZN7rocprim17ROCPRIM_400000_NS6detail17trampoline_kernelINS0_14default_configENS1_37merge_sort_block_sort_config_selectorIiNS0_10empty_typeEEEZNS1_21merge_sort_block_sortIS3_N6thrust23THRUST_200600_302600_NS6detail15normal_iteratorINS9_10device_ptrIiEEEESE_PS5_SF_14custom_greaterIiEEE10hipError_tT0_T1_T2_T3_mRjT4_P12ihipStream_tbNS1_7vsmem_tEEUlT_E_NS1_11comp_targetILNS1_3genE5ELNS1_11target_archE942ELNS1_3gpuE9ELNS1_3repE0EEENS1_30default_config_static_selectorELNS0_4arch9wavefront6targetE1EEEvSK_
	.p2align	8
	.type	_ZN7rocprim17ROCPRIM_400000_NS6detail17trampoline_kernelINS0_14default_configENS1_37merge_sort_block_sort_config_selectorIiNS0_10empty_typeEEEZNS1_21merge_sort_block_sortIS3_N6thrust23THRUST_200600_302600_NS6detail15normal_iteratorINS9_10device_ptrIiEEEESE_PS5_SF_14custom_greaterIiEEE10hipError_tT0_T1_T2_T3_mRjT4_P12ihipStream_tbNS1_7vsmem_tEEUlT_E_NS1_11comp_targetILNS1_3genE5ELNS1_11target_archE942ELNS1_3gpuE9ELNS1_3repE0EEENS1_30default_config_static_selectorELNS0_4arch9wavefront6targetE1EEEvSK_,@function
_ZN7rocprim17ROCPRIM_400000_NS6detail17trampoline_kernelINS0_14default_configENS1_37merge_sort_block_sort_config_selectorIiNS0_10empty_typeEEEZNS1_21merge_sort_block_sortIS3_N6thrust23THRUST_200600_302600_NS6detail15normal_iteratorINS9_10device_ptrIiEEEESE_PS5_SF_14custom_greaterIiEEE10hipError_tT0_T1_T2_T3_mRjT4_P12ihipStream_tbNS1_7vsmem_tEEUlT_E_NS1_11comp_targetILNS1_3genE5ELNS1_11target_archE942ELNS1_3gpuE9ELNS1_3repE0EEENS1_30default_config_static_selectorELNS0_4arch9wavefront6targetE1EEEvSK_: ; @_ZN7rocprim17ROCPRIM_400000_NS6detail17trampoline_kernelINS0_14default_configENS1_37merge_sort_block_sort_config_selectorIiNS0_10empty_typeEEEZNS1_21merge_sort_block_sortIS3_N6thrust23THRUST_200600_302600_NS6detail15normal_iteratorINS9_10device_ptrIiEEEESE_PS5_SF_14custom_greaterIiEEE10hipError_tT0_T1_T2_T3_mRjT4_P12ihipStream_tbNS1_7vsmem_tEEUlT_E_NS1_11comp_targetILNS1_3genE5ELNS1_11target_archE942ELNS1_3gpuE9ELNS1_3repE0EEENS1_30default_config_static_selectorELNS0_4arch9wavefront6targetE1EEEvSK_
; %bb.0:
	.section	.rodata,"a",@progbits
	.p2align	6, 0x0
	.amdhsa_kernel _ZN7rocprim17ROCPRIM_400000_NS6detail17trampoline_kernelINS0_14default_configENS1_37merge_sort_block_sort_config_selectorIiNS0_10empty_typeEEEZNS1_21merge_sort_block_sortIS3_N6thrust23THRUST_200600_302600_NS6detail15normal_iteratorINS9_10device_ptrIiEEEESE_PS5_SF_14custom_greaterIiEEE10hipError_tT0_T1_T2_T3_mRjT4_P12ihipStream_tbNS1_7vsmem_tEEUlT_E_NS1_11comp_targetILNS1_3genE5ELNS1_11target_archE942ELNS1_3gpuE9ELNS1_3repE0EEENS1_30default_config_static_selectorELNS0_4arch9wavefront6targetE1EEEvSK_
		.amdhsa_group_segment_fixed_size 0
		.amdhsa_private_segment_fixed_size 0
		.amdhsa_kernarg_size 64
		.amdhsa_user_sgpr_count 6
		.amdhsa_user_sgpr_private_segment_buffer 1
		.amdhsa_user_sgpr_dispatch_ptr 0
		.amdhsa_user_sgpr_queue_ptr 0
		.amdhsa_user_sgpr_kernarg_segment_ptr 1
		.amdhsa_user_sgpr_dispatch_id 0
		.amdhsa_user_sgpr_flat_scratch_init 0
		.amdhsa_user_sgpr_kernarg_preload_length 0
		.amdhsa_user_sgpr_kernarg_preload_offset 0
		.amdhsa_user_sgpr_private_segment_size 0
		.amdhsa_uses_dynamic_stack 0
		.amdhsa_system_sgpr_private_segment_wavefront_offset 0
		.amdhsa_system_sgpr_workgroup_id_x 1
		.amdhsa_system_sgpr_workgroup_id_y 0
		.amdhsa_system_sgpr_workgroup_id_z 0
		.amdhsa_system_sgpr_workgroup_info 0
		.amdhsa_system_vgpr_workitem_id 0
		.amdhsa_next_free_vgpr 1
		.amdhsa_next_free_sgpr 0
		.amdhsa_accum_offset 4
		.amdhsa_reserve_vcc 0
		.amdhsa_reserve_flat_scratch 0
		.amdhsa_float_round_mode_32 0
		.amdhsa_float_round_mode_16_64 0
		.amdhsa_float_denorm_mode_32 3
		.amdhsa_float_denorm_mode_16_64 3
		.amdhsa_dx10_clamp 1
		.amdhsa_ieee_mode 1
		.amdhsa_fp16_overflow 0
		.amdhsa_tg_split 0
		.amdhsa_exception_fp_ieee_invalid_op 0
		.amdhsa_exception_fp_denorm_src 0
		.amdhsa_exception_fp_ieee_div_zero 0
		.amdhsa_exception_fp_ieee_overflow 0
		.amdhsa_exception_fp_ieee_underflow 0
		.amdhsa_exception_fp_ieee_inexact 0
		.amdhsa_exception_int_div_zero 0
	.end_amdhsa_kernel
	.section	.text._ZN7rocprim17ROCPRIM_400000_NS6detail17trampoline_kernelINS0_14default_configENS1_37merge_sort_block_sort_config_selectorIiNS0_10empty_typeEEEZNS1_21merge_sort_block_sortIS3_N6thrust23THRUST_200600_302600_NS6detail15normal_iteratorINS9_10device_ptrIiEEEESE_PS5_SF_14custom_greaterIiEEE10hipError_tT0_T1_T2_T3_mRjT4_P12ihipStream_tbNS1_7vsmem_tEEUlT_E_NS1_11comp_targetILNS1_3genE5ELNS1_11target_archE942ELNS1_3gpuE9ELNS1_3repE0EEENS1_30default_config_static_selectorELNS0_4arch9wavefront6targetE1EEEvSK_,"axG",@progbits,_ZN7rocprim17ROCPRIM_400000_NS6detail17trampoline_kernelINS0_14default_configENS1_37merge_sort_block_sort_config_selectorIiNS0_10empty_typeEEEZNS1_21merge_sort_block_sortIS3_N6thrust23THRUST_200600_302600_NS6detail15normal_iteratorINS9_10device_ptrIiEEEESE_PS5_SF_14custom_greaterIiEEE10hipError_tT0_T1_T2_T3_mRjT4_P12ihipStream_tbNS1_7vsmem_tEEUlT_E_NS1_11comp_targetILNS1_3genE5ELNS1_11target_archE942ELNS1_3gpuE9ELNS1_3repE0EEENS1_30default_config_static_selectorELNS0_4arch9wavefront6targetE1EEEvSK_,comdat
.Lfunc_end3080:
	.size	_ZN7rocprim17ROCPRIM_400000_NS6detail17trampoline_kernelINS0_14default_configENS1_37merge_sort_block_sort_config_selectorIiNS0_10empty_typeEEEZNS1_21merge_sort_block_sortIS3_N6thrust23THRUST_200600_302600_NS6detail15normal_iteratorINS9_10device_ptrIiEEEESE_PS5_SF_14custom_greaterIiEEE10hipError_tT0_T1_T2_T3_mRjT4_P12ihipStream_tbNS1_7vsmem_tEEUlT_E_NS1_11comp_targetILNS1_3genE5ELNS1_11target_archE942ELNS1_3gpuE9ELNS1_3repE0EEENS1_30default_config_static_selectorELNS0_4arch9wavefront6targetE1EEEvSK_, .Lfunc_end3080-_ZN7rocprim17ROCPRIM_400000_NS6detail17trampoline_kernelINS0_14default_configENS1_37merge_sort_block_sort_config_selectorIiNS0_10empty_typeEEEZNS1_21merge_sort_block_sortIS3_N6thrust23THRUST_200600_302600_NS6detail15normal_iteratorINS9_10device_ptrIiEEEESE_PS5_SF_14custom_greaterIiEEE10hipError_tT0_T1_T2_T3_mRjT4_P12ihipStream_tbNS1_7vsmem_tEEUlT_E_NS1_11comp_targetILNS1_3genE5ELNS1_11target_archE942ELNS1_3gpuE9ELNS1_3repE0EEENS1_30default_config_static_selectorELNS0_4arch9wavefront6targetE1EEEvSK_
                                        ; -- End function
	.section	.AMDGPU.csdata,"",@progbits
; Kernel info:
; codeLenInByte = 0
; NumSgprs: 4
; NumVgprs: 0
; NumAgprs: 0
; TotalNumVgprs: 0
; ScratchSize: 0
; MemoryBound: 0
; FloatMode: 240
; IeeeMode: 1
; LDSByteSize: 0 bytes/workgroup (compile time only)
; SGPRBlocks: 0
; VGPRBlocks: 0
; NumSGPRsForWavesPerEU: 4
; NumVGPRsForWavesPerEU: 1
; AccumOffset: 4
; Occupancy: 8
; WaveLimiterHint : 0
; COMPUTE_PGM_RSRC2:SCRATCH_EN: 0
; COMPUTE_PGM_RSRC2:USER_SGPR: 6
; COMPUTE_PGM_RSRC2:TRAP_HANDLER: 0
; COMPUTE_PGM_RSRC2:TGID_X_EN: 1
; COMPUTE_PGM_RSRC2:TGID_Y_EN: 0
; COMPUTE_PGM_RSRC2:TGID_Z_EN: 0
; COMPUTE_PGM_RSRC2:TIDIG_COMP_CNT: 0
; COMPUTE_PGM_RSRC3_GFX90A:ACCUM_OFFSET: 0
; COMPUTE_PGM_RSRC3_GFX90A:TG_SPLIT: 0
	.section	.text._ZN7rocprim17ROCPRIM_400000_NS6detail17trampoline_kernelINS0_14default_configENS1_37merge_sort_block_sort_config_selectorIiNS0_10empty_typeEEEZNS1_21merge_sort_block_sortIS3_N6thrust23THRUST_200600_302600_NS6detail15normal_iteratorINS9_10device_ptrIiEEEESE_PS5_SF_14custom_greaterIiEEE10hipError_tT0_T1_T2_T3_mRjT4_P12ihipStream_tbNS1_7vsmem_tEEUlT_E_NS1_11comp_targetILNS1_3genE4ELNS1_11target_archE910ELNS1_3gpuE8ELNS1_3repE0EEENS1_30default_config_static_selectorELNS0_4arch9wavefront6targetE1EEEvSK_,"axG",@progbits,_ZN7rocprim17ROCPRIM_400000_NS6detail17trampoline_kernelINS0_14default_configENS1_37merge_sort_block_sort_config_selectorIiNS0_10empty_typeEEEZNS1_21merge_sort_block_sortIS3_N6thrust23THRUST_200600_302600_NS6detail15normal_iteratorINS9_10device_ptrIiEEEESE_PS5_SF_14custom_greaterIiEEE10hipError_tT0_T1_T2_T3_mRjT4_P12ihipStream_tbNS1_7vsmem_tEEUlT_E_NS1_11comp_targetILNS1_3genE4ELNS1_11target_archE910ELNS1_3gpuE8ELNS1_3repE0EEENS1_30default_config_static_selectorELNS0_4arch9wavefront6targetE1EEEvSK_,comdat
	.protected	_ZN7rocprim17ROCPRIM_400000_NS6detail17trampoline_kernelINS0_14default_configENS1_37merge_sort_block_sort_config_selectorIiNS0_10empty_typeEEEZNS1_21merge_sort_block_sortIS3_N6thrust23THRUST_200600_302600_NS6detail15normal_iteratorINS9_10device_ptrIiEEEESE_PS5_SF_14custom_greaterIiEEE10hipError_tT0_T1_T2_T3_mRjT4_P12ihipStream_tbNS1_7vsmem_tEEUlT_E_NS1_11comp_targetILNS1_3genE4ELNS1_11target_archE910ELNS1_3gpuE8ELNS1_3repE0EEENS1_30default_config_static_selectorELNS0_4arch9wavefront6targetE1EEEvSK_ ; -- Begin function _ZN7rocprim17ROCPRIM_400000_NS6detail17trampoline_kernelINS0_14default_configENS1_37merge_sort_block_sort_config_selectorIiNS0_10empty_typeEEEZNS1_21merge_sort_block_sortIS3_N6thrust23THRUST_200600_302600_NS6detail15normal_iteratorINS9_10device_ptrIiEEEESE_PS5_SF_14custom_greaterIiEEE10hipError_tT0_T1_T2_T3_mRjT4_P12ihipStream_tbNS1_7vsmem_tEEUlT_E_NS1_11comp_targetILNS1_3genE4ELNS1_11target_archE910ELNS1_3gpuE8ELNS1_3repE0EEENS1_30default_config_static_selectorELNS0_4arch9wavefront6targetE1EEEvSK_
	.globl	_ZN7rocprim17ROCPRIM_400000_NS6detail17trampoline_kernelINS0_14default_configENS1_37merge_sort_block_sort_config_selectorIiNS0_10empty_typeEEEZNS1_21merge_sort_block_sortIS3_N6thrust23THRUST_200600_302600_NS6detail15normal_iteratorINS9_10device_ptrIiEEEESE_PS5_SF_14custom_greaterIiEEE10hipError_tT0_T1_T2_T3_mRjT4_P12ihipStream_tbNS1_7vsmem_tEEUlT_E_NS1_11comp_targetILNS1_3genE4ELNS1_11target_archE910ELNS1_3gpuE8ELNS1_3repE0EEENS1_30default_config_static_selectorELNS0_4arch9wavefront6targetE1EEEvSK_
	.p2align	8
	.type	_ZN7rocprim17ROCPRIM_400000_NS6detail17trampoline_kernelINS0_14default_configENS1_37merge_sort_block_sort_config_selectorIiNS0_10empty_typeEEEZNS1_21merge_sort_block_sortIS3_N6thrust23THRUST_200600_302600_NS6detail15normal_iteratorINS9_10device_ptrIiEEEESE_PS5_SF_14custom_greaterIiEEE10hipError_tT0_T1_T2_T3_mRjT4_P12ihipStream_tbNS1_7vsmem_tEEUlT_E_NS1_11comp_targetILNS1_3genE4ELNS1_11target_archE910ELNS1_3gpuE8ELNS1_3repE0EEENS1_30default_config_static_selectorELNS0_4arch9wavefront6targetE1EEEvSK_,@function
_ZN7rocprim17ROCPRIM_400000_NS6detail17trampoline_kernelINS0_14default_configENS1_37merge_sort_block_sort_config_selectorIiNS0_10empty_typeEEEZNS1_21merge_sort_block_sortIS3_N6thrust23THRUST_200600_302600_NS6detail15normal_iteratorINS9_10device_ptrIiEEEESE_PS5_SF_14custom_greaterIiEEE10hipError_tT0_T1_T2_T3_mRjT4_P12ihipStream_tbNS1_7vsmem_tEEUlT_E_NS1_11comp_targetILNS1_3genE4ELNS1_11target_archE910ELNS1_3gpuE8ELNS1_3repE0EEENS1_30default_config_static_selectorELNS0_4arch9wavefront6targetE1EEEvSK_: ; @_ZN7rocprim17ROCPRIM_400000_NS6detail17trampoline_kernelINS0_14default_configENS1_37merge_sort_block_sort_config_selectorIiNS0_10empty_typeEEEZNS1_21merge_sort_block_sortIS3_N6thrust23THRUST_200600_302600_NS6detail15normal_iteratorINS9_10device_ptrIiEEEESE_PS5_SF_14custom_greaterIiEEE10hipError_tT0_T1_T2_T3_mRjT4_P12ihipStream_tbNS1_7vsmem_tEEUlT_E_NS1_11comp_targetILNS1_3genE4ELNS1_11target_archE910ELNS1_3gpuE8ELNS1_3repE0EEENS1_30default_config_static_selectorELNS0_4arch9wavefront6targetE1EEEvSK_
; %bb.0:
	s_load_dwordx2 s[18:19], s[4:5], 0x40
	s_load_dword s0, s[4:5], 0x0
	s_add_u32 s16, s4, 64
	s_addc_u32 s17, s5, 0
	s_waitcnt lgkmcnt(0)
	s_mul_i32 s1, s19, s8
	s_add_i32 s1, s1, s7
	s_mul_i32 s1, s1, s18
	s_add_i32 s20, s1, s6
	s_cmp_ge_u32 s20, s0
	s_cbranch_scc1 .LBB3081_166
; %bb.1:
	s_load_dwordx2 s[22:23], s[4:5], 0x8
	s_load_dwordx4 s[0:3], s[4:5], 0x18
	s_mov_b32 s21, 0
	s_lshl_b64 s[4:5], s[20:21], 13
	v_and_b32_e32 v12, 0x3ff, v0
	s_waitcnt lgkmcnt(0)
	s_lshr_b64 s[8:9], s[22:23], 11
	s_add_u32 s7, s0, s4
	s_addc_u32 s19, s1, s5
	s_add_u32 s33, s2, s4
	s_addc_u32 s38, s3, s5
	s_cmp_lg_u64 s[8:9], s[20:21]
	v_bfe_u32 v16, v0, 10, 10
	v_bfe_u32 v17, v0, 20, 10
	v_lshlrev_b32_e32 v11, 2, v12
	v_lshrrev_b32_e32 v18, 3, v12
	v_lshlrev_b32_e32 v15, 3, v12
	v_lshrrev_b32_e32 v14, 2, v12
	s_cbranch_scc0 .LBB3081_85
; %bb.2:
	v_mov_b32_e32 v1, s19
	v_add_co_u32_e32 v0, vcc, s7, v11
	v_addc_co_u32_e32 v1, vcc, 0, v1, vcc
	v_add_co_u32_e32 v2, vcc, 0x1000, v0
	v_addc_co_u32_e32 v3, vcc, 0, v1, vcc
	flat_load_dword v4, v[0:1]
	flat_load_dword v5, v[0:1] offset:1024
	flat_load_dword v6, v[0:1] offset:2048
	;; [unrolled: 1-line block ×3, first 2 shown]
	flat_load_dword v8, v[2:3]
	flat_load_dword v9, v[2:3] offset:1024
	flat_load_dword v10, v[2:3] offset:2048
	;; [unrolled: 1-line block ×3, first 2 shown]
	v_and_b32_e32 v0, 0x7c, v18
	v_add_u32_e32 v1, 0x100, v12
	v_add_u32_e32 v2, 0x200, v12
	;; [unrolled: 1-line block ×3, first 2 shown]
	v_or_b32_e32 v20, 0x400, v12
	v_add_u32_e32 v21, 0x500, v12
	v_add_u32_e32 v22, 0x600, v12
	;; [unrolled: 1-line block ×4, first 2 shown]
	v_lshrrev_b32_e32 v0, 3, v1
	v_lshrrev_b32_e32 v1, 3, v2
	;; [unrolled: 1-line block ×7, first 2 shown]
	v_add_lshl_u32 v27, v14, v15, 2
	v_and_b32_e32 v0, 0xfc, v0
	v_and_b32_e32 v1, 0xfc, v1
	;; [unrolled: 1-line block ×7, first 2 shown]
	v_add_u32_e32 v20, v0, v11
	v_add_u32_e32 v21, v1, v11
	;; [unrolled: 1-line block ×7, first 2 shown]
	s_movk_i32 s2, 0x800
	s_waitcnt vmcnt(0) lgkmcnt(0)
	ds_write_b32 v19, v4
	ds_write_b32 v20, v5 offset:1024
	ds_write_b32 v21, v6 offset:2048
	;; [unrolled: 1-line block ×7, first 2 shown]
	s_waitcnt lgkmcnt(0)
	s_barrier
	ds_read2_b32 v[8:9], v27 offset1:1
	ds_read2_b32 v[2:3], v27 offset0:2 offset1:3
	ds_read2_b32 v[4:5], v27 offset0:4 offset1:5
	;; [unrolled: 1-line block ×3, first 2 shown]
	s_waitcnt lgkmcnt(0)
	s_barrier
	s_load_dword s0, s[16:17], 0xc
	v_mov_b32_e32 v13, 0
	v_mov_b32_e32 v0, v8
	s_waitcnt lgkmcnt(0)
	s_lshr_b32 s3, s0, 16
	s_cmp_lt_u32 s6, s18
	s_cselect_b32 s0, 12, 18
	s_add_u32 s0, s16, s0
	s_addc_u32 s1, s17, 0
	global_load_ushort v1, v13, s[0:1]
	v_mad_u32_u24 v10, v17, s3, v16
	s_waitcnt vmcnt(0)
	v_mul_lo_u32 v1, v10, v1
	v_add_lshl_u32 v1, v1, v12, 3
	v_cmp_gt_u32_e32 vcc, s2, v1
	v_mov_b32_e32 v10, v2
	s_and_saveexec_b64 s[0:1], vcc
	s_cbranch_execz .LBB3081_4
; %bb.3:
	v_cmp_gt_i32_e32 vcc, v8, v9
	v_cndmask_b32_e32 v0, v8, v9, vcc
	v_cndmask_b32_e32 v10, v9, v8, vcc
	v_cmp_gt_i32_e32 vcc, v2, v3
	v_min_i32_e32 v27, v8, v9
	v_max_i32_e32 v8, v8, v9
	v_cndmask_b32_e32 v9, v3, v2, vcc
	v_cndmask_b32_e32 v28, v2, v3, vcc
	v_cmp_gt_i32_e32 vcc, v4, v5
	v_max_i32_e32 v29, v2, v3
	v_min_i32_e32 v2, v2, v3
	v_cndmask_b32_e32 v3, v5, v4, vcc
	v_cndmask_b32_e32 v30, v4, v5, vcc
	v_cmp_gt_i32_e32 vcc, v6, v7
	v_max_i32_e32 v31, v4, v5
	v_min_i32_e32 v4, v4, v5
	;; [unrolled: 5-line block ×3, first 2 shown]
	v_cndmask_b32_e32 v7, v28, v8, vcc
	v_cndmask_b32_e32 v10, v10, v2, vcc
	v_cmp_gt_i32_e32 vcc, v29, v4
	v_cndmask_b32_e32 v30, v30, v29, vcc
	v_cndmask_b32_e32 v9, v9, v4, vcc
	v_cmp_gt_i32_e32 vcc, v31, v6
	v_max_i32_e32 v28, v8, v2
	v_min_i32_e32 v8, v8, v2
	v_max_i32_e32 v34, v29, v4
	v_min_i32_e32 v4, v29, v4
	v_cndmask_b32_e32 v29, v32, v31, vcc
	v_cndmask_b32_e32 v3, v3, v6, vcc
	v_cmp_lt_i32_e32 vcc, v2, v27
	v_max_i32_e32 v32, v31, v6
	v_min_i32_e32 v6, v31, v6
	v_cndmask_b32_e32 v0, v0, v8, vcc
	v_cndmask_b32_e32 v2, v10, v27, vcc
	;; [unrolled: 1-line block ×4, first 2 shown]
	v_cmp_gt_i32_e32 vcc, v28, v4
	v_cndmask_b32_e32 v9, v9, v28, vcc
	v_cndmask_b32_e32 v7, v7, v4, vcc
	v_cmp_gt_i32_e32 vcc, v34, v6
	v_max_i32_e32 v27, v28, v4
	v_min_i32_e32 v4, v28, v4
	v_cndmask_b32_e32 v3, v3, v34, vcc
	v_cndmask_b32_e32 v28, v30, v6, vcc
	v_cmp_gt_i32_e32 vcc, v31, v33
	v_max_i32_e32 v30, v34, v6
	v_min_i32_e32 v6, v34, v6
	v_cndmask_b32_e32 v5, v5, v32, vcc
	v_cndmask_b32_e32 v29, v29, v33, vcc
	;; [unrolled: 1-line block ×4, first 2 shown]
	v_cmp_gt_i32_e32 vcc, v8, v4
	v_cndmask_b32_e32 v7, v7, v8, vcc
	v_cndmask_b32_e32 v2, v2, v4, vcc
	v_cmp_gt_i32_e32 vcc, v27, v6
	v_max_i32_e32 v33, v8, v4
	v_min_i32_e32 v4, v8, v4
	v_cndmask_b32_e32 v8, v28, v27, vcc
	v_cndmask_b32_e32 v9, v9, v6, vcc
	v_cmp_gt_i32_e32 vcc, v30, v32
	v_max_i32_e32 v28, v27, v6
	v_min_i32_e32 v6, v27, v6
	v_cndmask_b32_e32 v27, v29, v30, vcc
	v_cndmask_b32_e32 v3, v3, v32, vcc
	v_cmp_gt_i32_e32 vcc, v10, v4
	v_max_i32_e32 v29, v30, v32
	v_min_i32_e32 v30, v30, v32
	v_cndmask_b32_e32 v0, v0, v4, vcc
	v_cndmask_b32_e32 v2, v2, v10, vcc
	v_cmp_gt_i32_e32 vcc, v33, v6
	v_cndmask_b32_e32 v9, v9, v33, vcc
	v_cndmask_b32_e32 v7, v7, v6, vcc
	v_cmp_gt_i32_e32 vcc, v28, v30
	v_min_i32_e32 v32, v10, v4
	v_max_i32_e32 v4, v10, v4
	v_max_i32_e32 v10, v33, v6
	v_min_i32_e32 v6, v33, v6
	v_cndmask_b32_e32 v3, v3, v28, vcc
	v_cndmask_b32_e32 v8, v8, v30, vcc
	v_cmp_gt_i32_e32 vcc, v29, v31
	v_max_i32_e32 v33, v28, v30
	v_min_i32_e32 v28, v28, v30
	v_cndmask_b32_e32 v5, v5, v29, vcc
	v_cndmask_b32_e32 v27, v27, v31, vcc
	v_cmp_gt_i32_e32 vcc, v4, v6
	;; [unrolled: 5-line block ×3, first 2 shown]
	v_cndmask_b32_e32 v34, v8, v10, vcc
	v_cndmask_b32_e32 v9, v9, v28, vcc
	v_cmp_gt_i32_e32 vcc, v33, v29
	v_max_i32_e32 v31, v4, v6
	v_min_i32_e32 v4, v4, v6
	v_max_i32_e32 v35, v10, v28
	v_min_i32_e32 v10, v10, v28
	v_cndmask_b32_e32 v27, v27, v33, vcc
	v_cndmask_b32_e32 v3, v3, v29, vcc
	v_cmp_lt_i32_e32 vcc, v6, v32
	v_max_i32_e32 v28, v33, v29
	v_min_i32_e32 v29, v33, v29
	v_cndmask_b32_e32 v0, v0, v4, vcc
	v_cndmask_b32_e32 v2, v2, v32, vcc
	;; [unrolled: 1-line block ×4, first 2 shown]
	v_cmp_gt_i32_e32 vcc, v31, v10
	v_cndmask_b32_e32 v6, v7, v10, vcc
	v_cndmask_b32_e32 v32, v9, v31, vcc
	v_cmp_gt_i32_e32 vcc, v35, v29
	v_max_i32_e32 v36, v31, v10
	v_min_i32_e32 v9, v31, v10
	v_cndmask_b32_e32 v31, v3, v35, vcc
	v_cndmask_b32_e32 v34, v34, v29, vcc
	v_cmp_gt_i32_e32 vcc, v33, v30
	v_min_i32_e32 v3, v35, v29
	v_cndmask_b32_e32 v7, v5, v28, vcc
	v_cndmask_b32_e32 v27, v27, v30, vcc
	;; [unrolled: 1-line block ×3, first 2 shown]
	v_cmp_gt_i32_e32 vcc, v4, v9
	v_max_i32_e32 v37, v35, v29
	v_cndmask_b32_e32 v9, v2, v9, vcc
	v_cndmask_b32_e32 v10, v6, v4, vcc
	v_cmp_gt_i32_e32 vcc, v36, v3
	v_cndmask_b32_e32 v3, v32, v3, vcc
	v_cndmask_b32_e32 v4, v34, v36, vcc
	v_cmp_gt_i32_e32 vcc, v37, v5
	v_cndmask_b32_e32 v5, v31, v5, vcc
	v_cndmask_b32_e32 v6, v27, v37, vcc
.LBB3081_4:
	s_or_b64 exec, exec, s[0:1]
	v_mbcnt_lo_u32_b32 v2, -1, 0
	v_mbcnt_hi_u32_b32 v2, -1, v2
	v_and_b32_e32 v1, 0xfffffe00, v1
	v_sub_u32_e64 v28, s2, v1 clamp
	v_lshlrev_b32_e32 v27, 2, v1
	v_lshlrev_b32_e32 v1, 5, v2
	v_add_u32_e32 v29, v27, v1
	ds_write_b96 v29, v[8:10]
	ds_write2_b32 v29, v3, v4 offset0:3 offset1:4
	ds_write2_b32 v29, v5, v6 offset0:5 offset1:6
	ds_write_b32 v29, v7 offset:28
	v_lshlrev_b32_e32 v8, 3, v2
	v_or_b32_e32 v1, 8, v8
	v_min_u32_e32 v1, v28, v1
	v_add_u32_e32 v2, 8, v1
	v_and_b32_e32 v32, 0x3f0, v8
	v_min_u32_e32 v2, v28, v2
	v_and_b32_e32 v30, 8, v8
	v_min_u32_e32 v33, v28, v30
	v_sub_u32_e32 v34, v1, v32
	v_sub_u32_e32 v31, v2, v1
	v_sub_u32_e64 v31, v33, v31 clamp
	v_min_u32_e32 v34, v33, v34
	v_lshl_add_u32 v30, v32, 2, v27
	v_cmp_lt_u32_e32 vcc, v31, v34
	; wave barrier
	s_and_saveexec_b64 s[0:1], vcc
	s_cbranch_execz .LBB3081_8
; %bb.5:
	v_lshlrev_b32_e32 v35, 2, v1
	v_lshlrev_b32_e32 v36, 2, v33
	v_add3_u32 v35, v27, v35, v36
	s_mov_b64 s[2:3], 0
.LBB3081_6:                             ; =>This Inner Loop Header: Depth=1
	v_add_u32_e32 v36, v34, v31
	v_lshrrev_b32_e32 v36, 1, v36
	v_not_b32_e32 v37, v36
	v_lshl_add_u32 v38, v36, 2, v30
	v_lshl_add_u32 v37, v37, 2, v35
	ds_read_b32 v38, v38
	ds_read_b32 v37, v37
	v_add_u32_e32 v39, 1, v36
	s_waitcnt lgkmcnt(0)
	v_cmp_gt_i32_e32 vcc, v38, v37
	v_cndmask_b32_e32 v34, v34, v36, vcc
	v_cndmask_b32_e32 v31, v39, v31, vcc
	v_cmp_ge_u32_e32 vcc, v31, v34
	s_or_b64 s[2:3], vcc, s[2:3]
	s_andn2_b64 exec, exec, s[2:3]
	s_cbranch_execnz .LBB3081_6
; %bb.7:
	s_or_b64 exec, exec, s[2:3]
.LBB3081_8:
	s_or_b64 exec, exec, s[0:1]
	v_add_u32_e32 v33, v1, v33
	v_add_u32_e32 v32, v31, v32
	v_sub_u32_e32 v33, v33, v31
	v_cmp_le_u32_e32 vcc, v32, v1
	v_cmp_le_u32_e64 s[0:1], v33, v2
	s_or_b64 s[0:1], vcc, s[0:1]
	s_and_saveexec_b64 s[24:25], s[0:1]
	s_cbranch_execz .LBB3081_14
; %bb.9:
	v_cmp_lt_u32_e32 vcc, v32, v1
                                        ; implicit-def: $vgpr0
	s_and_saveexec_b64 s[0:1], vcc
	s_cbranch_execz .LBB3081_11
; %bb.10:
	v_lshl_add_u32 v0, v31, 2, v30
	ds_read_b32 v0, v0
.LBB3081_11:
	s_or_b64 exec, exec, s[0:1]
	v_cmp_ge_u32_e64 s[0:1], v33, v2
	v_cmp_lt_u32_e64 s[2:3], v33, v2
                                        ; implicit-def: $vgpr3
	s_and_saveexec_b64 s[4:5], s[2:3]
	s_cbranch_execz .LBB3081_13
; %bb.12:
	v_lshl_add_u32 v3, v33, 2, v27
	ds_read_b32 v3, v3
.LBB3081_13:
	s_or_b64 exec, exec, s[4:5]
	s_waitcnt lgkmcnt(0)
	v_cmp_le_i32_e64 s[2:3], v0, v3
	s_and_b64 s[2:3], vcc, s[2:3]
	s_or_b64 vcc, s[0:1], s[2:3]
	v_cndmask_b32_e32 v4, v33, v32, vcc
	v_cndmask_b32_e32 v5, v2, v1, vcc
	v_add_u32_e32 v4, 1, v4
	v_add_u32_e32 v5, -1, v5
	v_min_u32_e32 v5, v4, v5
	v_lshl_add_u32 v5, v5, 2, v27
	ds_read_b32 v5, v5
	v_cndmask_b32_e32 v6, v4, v33, vcc
	v_cndmask_b32_e32 v4, v32, v4, vcc
	v_cmp_lt_u32_e64 s[2:3], v4, v1
	v_cmp_ge_u32_e64 s[0:1], v6, v2
	s_waitcnt lgkmcnt(0)
	v_cndmask_b32_e32 v7, v5, v3, vcc
	v_cndmask_b32_e32 v5, v0, v5, vcc
	v_cmp_le_i32_e64 s[4:5], v5, v7
	s_and_b64 s[2:3], s[2:3], s[4:5]
	s_or_b64 s[0:1], s[0:1], s[2:3]
	v_cndmask_b32_e64 v9, v6, v4, s[0:1]
	v_cndmask_b32_e64 v10, v2, v1, s[0:1]
	v_add_u32_e32 v9, 1, v9
	v_add_u32_e32 v10, -1, v10
	v_min_u32_e32 v10, v9, v10
	v_lshl_add_u32 v10, v10, 2, v27
	ds_read_b32 v10, v10
	v_cndmask_b32_e64 v4, v4, v9, s[0:1]
	v_cndmask_b32_e64 v6, v9, v6, s[0:1]
	v_cmp_lt_u32_e64 s[4:5], v4, v1
	v_cmp_ge_u32_e64 s[2:3], v6, v2
	s_waitcnt lgkmcnt(0)
	v_cndmask_b32_e64 v30, v10, v7, s[0:1]
	v_cndmask_b32_e64 v10, v5, v10, s[0:1]
	v_cmp_le_i32_e64 s[8:9], v10, v30
	s_and_b64 s[4:5], s[4:5], s[8:9]
	s_or_b64 s[2:3], s[2:3], s[4:5]
	v_cndmask_b32_e64 v9, v6, v4, s[2:3]
	v_cndmask_b32_e64 v31, v2, v1, s[2:3]
	v_add_u32_e32 v9, 1, v9
	v_add_u32_e32 v31, -1, v31
	v_min_u32_e32 v31, v9, v31
	v_lshl_add_u32 v31, v31, 2, v27
	ds_read_b32 v31, v31
	v_cndmask_b32_e64 v4, v4, v9, s[2:3]
	v_cndmask_b32_e64 v6, v9, v6, s[2:3]
	v_cmp_lt_u32_e64 s[8:9], v4, v1
	v_cmp_ge_u32_e64 s[4:5], v6, v2
	s_waitcnt lgkmcnt(0)
	v_cndmask_b32_e64 v32, v31, v30, s[2:3]
	v_cndmask_b32_e64 v31, v10, v31, s[2:3]
	v_cmp_le_i32_e64 s[10:11], v31, v32
	s_and_b64 s[8:9], s[8:9], s[10:11]
	s_or_b64 s[4:5], s[4:5], s[8:9]
	v_cndmask_b32_e64 v9, v6, v4, s[4:5]
	v_cndmask_b32_e64 v33, v2, v1, s[4:5]
	v_add_u32_e32 v9, 1, v9
	v_add_u32_e32 v33, -1, v33
	v_min_u32_e32 v33, v9, v33
	v_lshl_add_u32 v33, v33, 2, v27
	ds_read_b32 v33, v33
	v_cndmask_b32_e64 v4, v4, v9, s[4:5]
	v_cndmask_b32_e64 v6, v9, v6, s[4:5]
	v_cmp_lt_u32_e64 s[10:11], v4, v1
	v_cmp_ge_u32_e64 s[8:9], v6, v2
	s_waitcnt lgkmcnt(0)
	v_cndmask_b32_e64 v34, v33, v32, s[4:5]
	v_cndmask_b32_e64 v33, v31, v33, s[4:5]
	v_cmp_le_i32_e64 s[12:13], v33, v34
	s_and_b64 s[10:11], s[10:11], s[12:13]
	s_or_b64 s[8:9], s[8:9], s[10:11]
	v_cndmask_b32_e64 v9, v6, v4, s[8:9]
	v_cndmask_b32_e64 v35, v2, v1, s[8:9]
	v_add_u32_e32 v9, 1, v9
	v_add_u32_e32 v35, -1, v35
	v_min_u32_e32 v35, v9, v35
	v_lshl_add_u32 v35, v35, 2, v27
	ds_read_b32 v35, v35
	v_cndmask_b32_e64 v4, v4, v9, s[8:9]
	v_cndmask_b32_e64 v6, v9, v6, s[8:9]
	v_cmp_lt_u32_e64 s[12:13], v4, v1
	v_cmp_ge_u32_e64 s[10:11], v6, v2
	s_waitcnt lgkmcnt(0)
	v_cndmask_b32_e64 v36, v35, v34, s[8:9]
	v_cndmask_b32_e64 v35, v33, v35, s[8:9]
	v_cmp_le_i32_e64 s[14:15], v35, v36
	s_and_b64 s[12:13], s[12:13], s[14:15]
	s_or_b64 s[10:11], s[10:11], s[12:13]
	v_cndmask_b32_e64 v9, v6, v4, s[10:11]
	v_cndmask_b32_e64 v37, v2, v1, s[10:11]
	v_add_u32_e32 v38, 1, v9
	v_add_u32_e32 v9, -1, v37
	v_min_u32_e32 v9, v38, v9
	v_lshl_add_u32 v9, v9, 2, v27
	ds_read_b32 v37, v9
	v_cndmask_b32_e64 v9, v7, v5, s[0:1]
	v_cndmask_b32_e64 v10, v30, v10, s[2:3]
	v_cndmask_b32_e32 v0, v3, v0, vcc
	v_cndmask_b32_e64 v5, v36, v35, s[10:11]
	s_waitcnt lgkmcnt(0)
	v_cndmask_b32_e64 v7, v37, v36, s[10:11]
	v_cndmask_b32_e64 v30, v35, v37, s[10:11]
	;; [unrolled: 1-line block ×4, first 2 shown]
	v_cmp_lt_u32_e64 s[0:1], v38, v1
	v_cmp_le_i32_e64 s[2:3], v30, v7
	v_cmp_ge_u32_e32 vcc, v37, v2
	s_and_b64 s[0:1], s[0:1], s[2:3]
	s_or_b64 vcc, vcc, s[0:1]
	v_cndmask_b32_e32 v3, v37, v38, vcc
	v_cndmask_b32_e32 v4, v2, v1, vcc
	v_add_u32_e32 v39, 1, v3
	v_add_u32_e32 v3, -1, v4
	v_min_u32_e32 v3, v39, v3
	v_lshl_add_u32 v3, v3, 2, v27
	ds_read_b32 v40, v3
	v_cndmask_b32_e64 v3, v32, v31, s[4:5]
	v_cndmask_b32_e32 v6, v7, v30, vcc
	v_cndmask_b32_e32 v32, v38, v39, vcc
	v_cndmask_b32_e64 v4, v34, v33, s[8:9]
	s_waitcnt lgkmcnt(0)
	v_cndmask_b32_e32 v30, v30, v40, vcc
	v_cndmask_b32_e32 v7, v40, v7, vcc
	;; [unrolled: 1-line block ×3, first 2 shown]
	v_min_i32_e32 v33, v30, v7
	v_cmp_lt_u32_e32 vcc, v32, v1
	v_cndmask_b32_e32 v1, v7, v33, vcc
	v_cmp_lt_u32_e32 vcc, v31, v2
	v_cndmask_b32_e32 v7, v30, v1, vcc
.LBB3081_14:
	s_or_b64 exec, exec, s[24:25]
	v_mov_b32_e32 v1, v9
	v_mov_b32_e32 v2, v10
	v_and_b32_e32 v32, 0x3e0, v8
	; wave barrier
	ds_write_b128 v29, v[0:3]
	ds_write_b128 v29, v[4:7] offset:16
	v_or_b32_e32 v1, 16, v32
	v_min_u32_e32 v1, v28, v1
	v_add_u32_e32 v2, 16, v1
	v_min_u32_e32 v2, v28, v2
	v_and_b32_e32 v30, 24, v8
	v_min_u32_e32 v33, v28, v30
	v_sub_u32_e32 v34, v1, v32
	v_sub_u32_e32 v31, v2, v1
	v_sub_u32_e64 v31, v33, v31 clamp
	v_min_u32_e32 v34, v33, v34
	v_lshl_add_u32 v30, v32, 2, v27
	v_cmp_lt_u32_e32 vcc, v31, v34
	; wave barrier
	s_and_saveexec_b64 s[0:1], vcc
	s_cbranch_execz .LBB3081_18
; %bb.15:
	v_lshlrev_b32_e32 v35, 2, v1
	v_lshlrev_b32_e32 v36, 2, v33
	v_add3_u32 v35, v27, v35, v36
	s_mov_b64 s[2:3], 0
.LBB3081_16:                            ; =>This Inner Loop Header: Depth=1
	v_add_u32_e32 v36, v34, v31
	v_lshrrev_b32_e32 v36, 1, v36
	v_not_b32_e32 v37, v36
	v_lshl_add_u32 v38, v36, 2, v30
	v_lshl_add_u32 v37, v37, 2, v35
	ds_read_b32 v38, v38
	ds_read_b32 v37, v37
	v_add_u32_e32 v39, 1, v36
	s_waitcnt lgkmcnt(0)
	v_cmp_gt_i32_e32 vcc, v38, v37
	v_cndmask_b32_e32 v34, v34, v36, vcc
	v_cndmask_b32_e32 v31, v39, v31, vcc
	v_cmp_ge_u32_e32 vcc, v31, v34
	s_or_b64 s[2:3], vcc, s[2:3]
	s_andn2_b64 exec, exec, s[2:3]
	s_cbranch_execnz .LBB3081_16
; %bb.17:
	s_or_b64 exec, exec, s[2:3]
.LBB3081_18:
	s_or_b64 exec, exec, s[0:1]
	v_add_u32_e32 v33, v1, v33
	v_add_u32_e32 v32, v31, v32
	v_sub_u32_e32 v33, v33, v31
	v_cmp_le_u32_e32 vcc, v32, v1
	v_cmp_le_u32_e64 s[0:1], v33, v2
	s_or_b64 s[0:1], vcc, s[0:1]
	s_and_saveexec_b64 s[24:25], s[0:1]
	s_cbranch_execz .LBB3081_24
; %bb.19:
	v_cmp_lt_u32_e32 vcc, v32, v1
                                        ; implicit-def: $vgpr0
	s_and_saveexec_b64 s[0:1], vcc
	s_cbranch_execz .LBB3081_21
; %bb.20:
	v_lshl_add_u32 v0, v31, 2, v30
	ds_read_b32 v0, v0
.LBB3081_21:
	s_or_b64 exec, exec, s[0:1]
	v_cmp_ge_u32_e64 s[0:1], v33, v2
	v_cmp_lt_u32_e64 s[2:3], v33, v2
                                        ; implicit-def: $vgpr3
	s_and_saveexec_b64 s[4:5], s[2:3]
	s_cbranch_execz .LBB3081_23
; %bb.22:
	v_lshl_add_u32 v3, v33, 2, v27
	ds_read_b32 v3, v3
.LBB3081_23:
	s_or_b64 exec, exec, s[4:5]
	s_waitcnt lgkmcnt(0)
	v_cmp_le_i32_e64 s[2:3], v0, v3
	s_and_b64 s[2:3], vcc, s[2:3]
	s_or_b64 vcc, s[0:1], s[2:3]
	v_cndmask_b32_e32 v4, v33, v32, vcc
	v_cndmask_b32_e32 v5, v2, v1, vcc
	v_add_u32_e32 v4, 1, v4
	v_add_u32_e32 v5, -1, v5
	v_min_u32_e32 v5, v4, v5
	v_lshl_add_u32 v5, v5, 2, v27
	ds_read_b32 v5, v5
	v_cndmask_b32_e32 v6, v4, v33, vcc
	v_cndmask_b32_e32 v4, v32, v4, vcc
	v_cmp_lt_u32_e64 s[2:3], v4, v1
	v_cmp_ge_u32_e64 s[0:1], v6, v2
	s_waitcnt lgkmcnt(0)
	v_cndmask_b32_e32 v7, v5, v3, vcc
	v_cndmask_b32_e32 v5, v0, v5, vcc
	v_cmp_le_i32_e64 s[4:5], v5, v7
	s_and_b64 s[2:3], s[2:3], s[4:5]
	s_or_b64 s[0:1], s[0:1], s[2:3]
	v_cndmask_b32_e64 v9, v6, v4, s[0:1]
	v_cndmask_b32_e64 v10, v2, v1, s[0:1]
	v_add_u32_e32 v9, 1, v9
	v_add_u32_e32 v10, -1, v10
	v_min_u32_e32 v10, v9, v10
	v_lshl_add_u32 v10, v10, 2, v27
	ds_read_b32 v10, v10
	v_cndmask_b32_e64 v4, v4, v9, s[0:1]
	v_cndmask_b32_e64 v6, v9, v6, s[0:1]
	v_cmp_lt_u32_e64 s[4:5], v4, v1
	v_cmp_ge_u32_e64 s[2:3], v6, v2
	s_waitcnt lgkmcnt(0)
	v_cndmask_b32_e64 v30, v10, v7, s[0:1]
	v_cndmask_b32_e64 v10, v5, v10, s[0:1]
	v_cmp_le_i32_e64 s[8:9], v10, v30
	s_and_b64 s[4:5], s[4:5], s[8:9]
	s_or_b64 s[2:3], s[2:3], s[4:5]
	v_cndmask_b32_e64 v9, v6, v4, s[2:3]
	v_cndmask_b32_e64 v31, v2, v1, s[2:3]
	v_add_u32_e32 v9, 1, v9
	v_add_u32_e32 v31, -1, v31
	v_min_u32_e32 v31, v9, v31
	v_lshl_add_u32 v31, v31, 2, v27
	ds_read_b32 v31, v31
	v_cndmask_b32_e64 v4, v4, v9, s[2:3]
	v_cndmask_b32_e64 v6, v9, v6, s[2:3]
	v_cmp_lt_u32_e64 s[8:9], v4, v1
	v_cmp_ge_u32_e64 s[4:5], v6, v2
	s_waitcnt lgkmcnt(0)
	v_cndmask_b32_e64 v32, v31, v30, s[2:3]
	v_cndmask_b32_e64 v31, v10, v31, s[2:3]
	;; [unrolled: 17-line block ×4, first 2 shown]
	v_cmp_le_i32_e64 s[14:15], v35, v36
	s_and_b64 s[12:13], s[12:13], s[14:15]
	s_or_b64 s[10:11], s[10:11], s[12:13]
	v_cndmask_b32_e64 v9, v6, v4, s[10:11]
	v_cndmask_b32_e64 v37, v2, v1, s[10:11]
	v_add_u32_e32 v38, 1, v9
	v_add_u32_e32 v9, -1, v37
	v_min_u32_e32 v9, v38, v9
	v_lshl_add_u32 v9, v9, 2, v27
	ds_read_b32 v37, v9
	v_cndmask_b32_e64 v9, v7, v5, s[0:1]
	v_cndmask_b32_e64 v10, v30, v10, s[2:3]
	v_cndmask_b32_e32 v0, v3, v0, vcc
	v_cndmask_b32_e64 v5, v36, v35, s[10:11]
	s_waitcnt lgkmcnt(0)
	v_cndmask_b32_e64 v7, v37, v36, s[10:11]
	v_cndmask_b32_e64 v30, v35, v37, s[10:11]
	v_cndmask_b32_e64 v37, v38, v6, s[10:11]
	v_cndmask_b32_e64 v38, v4, v38, s[10:11]
	v_cmp_lt_u32_e64 s[0:1], v38, v1
	v_cmp_le_i32_e64 s[2:3], v30, v7
	v_cmp_ge_u32_e32 vcc, v37, v2
	s_and_b64 s[0:1], s[0:1], s[2:3]
	s_or_b64 vcc, vcc, s[0:1]
	v_cndmask_b32_e32 v3, v37, v38, vcc
	v_cndmask_b32_e32 v4, v2, v1, vcc
	v_add_u32_e32 v39, 1, v3
	v_add_u32_e32 v3, -1, v4
	v_min_u32_e32 v3, v39, v3
	v_lshl_add_u32 v3, v3, 2, v27
	ds_read_b32 v40, v3
	v_cndmask_b32_e64 v3, v32, v31, s[4:5]
	v_cndmask_b32_e32 v6, v7, v30, vcc
	v_cndmask_b32_e32 v32, v38, v39, vcc
	v_cndmask_b32_e64 v4, v34, v33, s[8:9]
	s_waitcnt lgkmcnt(0)
	v_cndmask_b32_e32 v30, v30, v40, vcc
	v_cndmask_b32_e32 v7, v40, v7, vcc
	;; [unrolled: 1-line block ×3, first 2 shown]
	v_min_i32_e32 v33, v30, v7
	v_cmp_lt_u32_e32 vcc, v32, v1
	v_cndmask_b32_e32 v1, v7, v33, vcc
	v_cmp_lt_u32_e32 vcc, v31, v2
	v_cndmask_b32_e32 v7, v30, v1, vcc
.LBB3081_24:
	s_or_b64 exec, exec, s[24:25]
	v_mov_b32_e32 v1, v9
	v_mov_b32_e32 v2, v10
	v_and_b32_e32 v32, 0x3c0, v8
	; wave barrier
	ds_write_b128 v29, v[0:3]
	ds_write_b128 v29, v[4:7] offset:16
	v_or_b32_e32 v1, 32, v32
	v_min_u32_e32 v1, v28, v1
	v_add_u32_e32 v2, 32, v1
	v_min_u32_e32 v2, v28, v2
	v_and_b32_e32 v30, 56, v8
	v_min_u32_e32 v33, v28, v30
	v_sub_u32_e32 v34, v1, v32
	v_sub_u32_e32 v31, v2, v1
	v_sub_u32_e64 v31, v33, v31 clamp
	v_min_u32_e32 v34, v33, v34
	v_lshl_add_u32 v30, v32, 2, v27
	v_cmp_lt_u32_e32 vcc, v31, v34
	; wave barrier
	s_and_saveexec_b64 s[0:1], vcc
	s_cbranch_execz .LBB3081_28
; %bb.25:
	v_lshlrev_b32_e32 v35, 2, v1
	v_lshlrev_b32_e32 v36, 2, v33
	v_add3_u32 v35, v27, v35, v36
	s_mov_b64 s[2:3], 0
.LBB3081_26:                            ; =>This Inner Loop Header: Depth=1
	v_add_u32_e32 v36, v34, v31
	v_lshrrev_b32_e32 v36, 1, v36
	v_not_b32_e32 v37, v36
	v_lshl_add_u32 v38, v36, 2, v30
	v_lshl_add_u32 v37, v37, 2, v35
	ds_read_b32 v38, v38
	ds_read_b32 v37, v37
	v_add_u32_e32 v39, 1, v36
	s_waitcnt lgkmcnt(0)
	v_cmp_gt_i32_e32 vcc, v38, v37
	v_cndmask_b32_e32 v34, v34, v36, vcc
	v_cndmask_b32_e32 v31, v39, v31, vcc
	v_cmp_ge_u32_e32 vcc, v31, v34
	s_or_b64 s[2:3], vcc, s[2:3]
	s_andn2_b64 exec, exec, s[2:3]
	s_cbranch_execnz .LBB3081_26
; %bb.27:
	s_or_b64 exec, exec, s[2:3]
.LBB3081_28:
	s_or_b64 exec, exec, s[0:1]
	v_add_u32_e32 v33, v1, v33
	v_add_u32_e32 v32, v31, v32
	v_sub_u32_e32 v33, v33, v31
	v_cmp_le_u32_e32 vcc, v32, v1
	v_cmp_le_u32_e64 s[0:1], v33, v2
	s_or_b64 s[0:1], vcc, s[0:1]
	s_and_saveexec_b64 s[24:25], s[0:1]
	s_cbranch_execz .LBB3081_34
; %bb.29:
	v_cmp_lt_u32_e32 vcc, v32, v1
                                        ; implicit-def: $vgpr0
	s_and_saveexec_b64 s[0:1], vcc
	s_cbranch_execz .LBB3081_31
; %bb.30:
	v_lshl_add_u32 v0, v31, 2, v30
	ds_read_b32 v0, v0
.LBB3081_31:
	s_or_b64 exec, exec, s[0:1]
	v_cmp_ge_u32_e64 s[0:1], v33, v2
	v_cmp_lt_u32_e64 s[2:3], v33, v2
                                        ; implicit-def: $vgpr3
	s_and_saveexec_b64 s[4:5], s[2:3]
	s_cbranch_execz .LBB3081_33
; %bb.32:
	v_lshl_add_u32 v3, v33, 2, v27
	ds_read_b32 v3, v3
.LBB3081_33:
	s_or_b64 exec, exec, s[4:5]
	s_waitcnt lgkmcnt(0)
	v_cmp_le_i32_e64 s[2:3], v0, v3
	s_and_b64 s[2:3], vcc, s[2:3]
	s_or_b64 vcc, s[0:1], s[2:3]
	v_cndmask_b32_e32 v4, v33, v32, vcc
	v_cndmask_b32_e32 v5, v2, v1, vcc
	v_add_u32_e32 v4, 1, v4
	v_add_u32_e32 v5, -1, v5
	v_min_u32_e32 v5, v4, v5
	v_lshl_add_u32 v5, v5, 2, v27
	ds_read_b32 v5, v5
	v_cndmask_b32_e32 v6, v4, v33, vcc
	v_cndmask_b32_e32 v4, v32, v4, vcc
	v_cmp_lt_u32_e64 s[2:3], v4, v1
	v_cmp_ge_u32_e64 s[0:1], v6, v2
	s_waitcnt lgkmcnt(0)
	v_cndmask_b32_e32 v7, v5, v3, vcc
	v_cndmask_b32_e32 v5, v0, v5, vcc
	v_cmp_le_i32_e64 s[4:5], v5, v7
	s_and_b64 s[2:3], s[2:3], s[4:5]
	s_or_b64 s[0:1], s[0:1], s[2:3]
	v_cndmask_b32_e64 v9, v6, v4, s[0:1]
	v_cndmask_b32_e64 v10, v2, v1, s[0:1]
	v_add_u32_e32 v9, 1, v9
	v_add_u32_e32 v10, -1, v10
	v_min_u32_e32 v10, v9, v10
	v_lshl_add_u32 v10, v10, 2, v27
	ds_read_b32 v10, v10
	v_cndmask_b32_e64 v4, v4, v9, s[0:1]
	v_cndmask_b32_e64 v6, v9, v6, s[0:1]
	v_cmp_lt_u32_e64 s[4:5], v4, v1
	v_cmp_ge_u32_e64 s[2:3], v6, v2
	s_waitcnt lgkmcnt(0)
	v_cndmask_b32_e64 v30, v10, v7, s[0:1]
	v_cndmask_b32_e64 v10, v5, v10, s[0:1]
	v_cmp_le_i32_e64 s[8:9], v10, v30
	s_and_b64 s[4:5], s[4:5], s[8:9]
	s_or_b64 s[2:3], s[2:3], s[4:5]
	v_cndmask_b32_e64 v9, v6, v4, s[2:3]
	v_cndmask_b32_e64 v31, v2, v1, s[2:3]
	v_add_u32_e32 v9, 1, v9
	v_add_u32_e32 v31, -1, v31
	v_min_u32_e32 v31, v9, v31
	v_lshl_add_u32 v31, v31, 2, v27
	ds_read_b32 v31, v31
	v_cndmask_b32_e64 v4, v4, v9, s[2:3]
	v_cndmask_b32_e64 v6, v9, v6, s[2:3]
	v_cmp_lt_u32_e64 s[8:9], v4, v1
	v_cmp_ge_u32_e64 s[4:5], v6, v2
	s_waitcnt lgkmcnt(0)
	v_cndmask_b32_e64 v32, v31, v30, s[2:3]
	v_cndmask_b32_e64 v31, v10, v31, s[2:3]
	;; [unrolled: 17-line block ×4, first 2 shown]
	v_cmp_le_i32_e64 s[14:15], v35, v36
	s_and_b64 s[12:13], s[12:13], s[14:15]
	s_or_b64 s[10:11], s[10:11], s[12:13]
	v_cndmask_b32_e64 v9, v6, v4, s[10:11]
	v_cndmask_b32_e64 v37, v2, v1, s[10:11]
	v_add_u32_e32 v38, 1, v9
	v_add_u32_e32 v9, -1, v37
	v_min_u32_e32 v9, v38, v9
	v_lshl_add_u32 v9, v9, 2, v27
	ds_read_b32 v37, v9
	v_cndmask_b32_e64 v9, v7, v5, s[0:1]
	v_cndmask_b32_e64 v10, v30, v10, s[2:3]
	v_cndmask_b32_e32 v0, v3, v0, vcc
	v_cndmask_b32_e64 v5, v36, v35, s[10:11]
	s_waitcnt lgkmcnt(0)
	v_cndmask_b32_e64 v7, v37, v36, s[10:11]
	v_cndmask_b32_e64 v30, v35, v37, s[10:11]
	;; [unrolled: 1-line block ×4, first 2 shown]
	v_cmp_lt_u32_e64 s[0:1], v38, v1
	v_cmp_le_i32_e64 s[2:3], v30, v7
	v_cmp_ge_u32_e32 vcc, v37, v2
	s_and_b64 s[0:1], s[0:1], s[2:3]
	s_or_b64 vcc, vcc, s[0:1]
	v_cndmask_b32_e32 v3, v37, v38, vcc
	v_cndmask_b32_e32 v4, v2, v1, vcc
	v_add_u32_e32 v39, 1, v3
	v_add_u32_e32 v3, -1, v4
	v_min_u32_e32 v3, v39, v3
	v_lshl_add_u32 v3, v3, 2, v27
	ds_read_b32 v40, v3
	v_cndmask_b32_e64 v3, v32, v31, s[4:5]
	v_cndmask_b32_e32 v6, v7, v30, vcc
	v_cndmask_b32_e32 v32, v38, v39, vcc
	v_cndmask_b32_e64 v4, v34, v33, s[8:9]
	s_waitcnt lgkmcnt(0)
	v_cndmask_b32_e32 v30, v30, v40, vcc
	v_cndmask_b32_e32 v7, v40, v7, vcc
	;; [unrolled: 1-line block ×3, first 2 shown]
	v_min_i32_e32 v33, v30, v7
	v_cmp_lt_u32_e32 vcc, v32, v1
	v_cndmask_b32_e32 v1, v7, v33, vcc
	v_cmp_lt_u32_e32 vcc, v31, v2
	v_cndmask_b32_e32 v7, v30, v1, vcc
.LBB3081_34:
	s_or_b64 exec, exec, s[24:25]
	v_mov_b32_e32 v1, v9
	v_mov_b32_e32 v2, v10
	; wave barrier
	ds_write_b128 v29, v[0:3]
	ds_write_b128 v29, v[4:7] offset:16
	v_and_b32_e32 v29, 0x380, v8
	v_or_b32_e32 v1, 64, v29
	v_min_u32_e32 v1, v28, v1
	v_add_u32_e32 v2, 64, v1
	v_min_u32_e32 v2, v28, v2
	v_and_b32_e32 v8, 0x78, v8
	v_min_u32_e32 v30, v28, v8
	v_sub_u32_e32 v31, v1, v29
	v_sub_u32_e32 v28, v2, v1
	v_sub_u32_e64 v28, v30, v28 clamp
	v_min_u32_e32 v31, v30, v31
	v_lshl_add_u32 v8, v29, 2, v27
	v_cmp_lt_u32_e32 vcc, v28, v31
	; wave barrier
	s_and_saveexec_b64 s[0:1], vcc
	s_cbranch_execz .LBB3081_38
; %bb.35:
	v_lshlrev_b32_e32 v32, 2, v1
	v_lshlrev_b32_e32 v33, 2, v30
	v_add3_u32 v32, v27, v32, v33
	s_mov_b64 s[2:3], 0
.LBB3081_36:                            ; =>This Inner Loop Header: Depth=1
	v_add_u32_e32 v33, v31, v28
	v_lshrrev_b32_e32 v33, 1, v33
	v_not_b32_e32 v34, v33
	v_lshl_add_u32 v35, v33, 2, v8
	v_lshl_add_u32 v34, v34, 2, v32
	ds_read_b32 v35, v35
	ds_read_b32 v34, v34
	v_add_u32_e32 v36, 1, v33
	s_waitcnt lgkmcnt(0)
	v_cmp_gt_i32_e32 vcc, v35, v34
	v_cndmask_b32_e32 v31, v31, v33, vcc
	v_cndmask_b32_e32 v28, v36, v28, vcc
	v_cmp_ge_u32_e32 vcc, v28, v31
	s_or_b64 s[2:3], vcc, s[2:3]
	s_andn2_b64 exec, exec, s[2:3]
	s_cbranch_execnz .LBB3081_36
; %bb.37:
	s_or_b64 exec, exec, s[2:3]
.LBB3081_38:
	s_or_b64 exec, exec, s[0:1]
	v_add_u32_e32 v30, v1, v30
	v_add_u32_e32 v29, v28, v29
	v_sub_u32_e32 v30, v30, v28
	v_cmp_le_u32_e32 vcc, v29, v1
	v_cmp_le_u32_e64 s[0:1], v30, v2
	s_or_b64 s[0:1], vcc, s[0:1]
	s_and_saveexec_b64 s[24:25], s[0:1]
	s_cbranch_execz .LBB3081_44
; %bb.39:
	v_cmp_lt_u32_e32 vcc, v29, v1
                                        ; implicit-def: $vgpr0
	s_and_saveexec_b64 s[0:1], vcc
	s_cbranch_execz .LBB3081_41
; %bb.40:
	v_lshl_add_u32 v0, v28, 2, v8
	ds_read_b32 v0, v0
.LBB3081_41:
	s_or_b64 exec, exec, s[0:1]
	v_cmp_ge_u32_e64 s[0:1], v30, v2
	v_cmp_lt_u32_e64 s[2:3], v30, v2
                                        ; implicit-def: $vgpr3
	s_and_saveexec_b64 s[4:5], s[2:3]
	s_cbranch_execz .LBB3081_43
; %bb.42:
	v_lshl_add_u32 v3, v30, 2, v27
	ds_read_b32 v3, v3
.LBB3081_43:
	s_or_b64 exec, exec, s[4:5]
	s_waitcnt lgkmcnt(0)
	v_cmp_le_i32_e64 s[2:3], v0, v3
	s_and_b64 s[2:3], vcc, s[2:3]
	s_or_b64 vcc, s[0:1], s[2:3]
	v_cndmask_b32_e32 v4, v30, v29, vcc
	v_cndmask_b32_e32 v5, v2, v1, vcc
	v_add_u32_e32 v4, 1, v4
	v_add_u32_e32 v5, -1, v5
	v_min_u32_e32 v5, v4, v5
	v_lshl_add_u32 v5, v5, 2, v27
	ds_read_b32 v5, v5
	v_cndmask_b32_e32 v6, v4, v30, vcc
	v_cndmask_b32_e32 v4, v29, v4, vcc
	v_cmp_lt_u32_e64 s[2:3], v4, v1
	v_cmp_ge_u32_e64 s[0:1], v6, v2
	s_waitcnt lgkmcnt(0)
	v_cndmask_b32_e32 v7, v5, v3, vcc
	v_cndmask_b32_e32 v5, v0, v5, vcc
	v_cmp_le_i32_e64 s[4:5], v5, v7
	s_and_b64 s[2:3], s[2:3], s[4:5]
	s_or_b64 s[0:1], s[0:1], s[2:3]
	v_cndmask_b32_e64 v8, v6, v4, s[0:1]
	v_cndmask_b32_e64 v9, v2, v1, s[0:1]
	v_add_u32_e32 v8, 1, v8
	v_add_u32_e32 v9, -1, v9
	v_min_u32_e32 v9, v8, v9
	v_lshl_add_u32 v9, v9, 2, v27
	ds_read_b32 v9, v9
	v_cndmask_b32_e64 v4, v4, v8, s[0:1]
	v_cndmask_b32_e64 v6, v8, v6, s[0:1]
	v_cmp_lt_u32_e64 s[4:5], v4, v1
	v_cmp_ge_u32_e64 s[2:3], v6, v2
	s_waitcnt lgkmcnt(0)
	v_cndmask_b32_e64 v10, v9, v7, s[0:1]
	v_cndmask_b32_e64 v28, v5, v9, s[0:1]
	v_cmp_le_i32_e64 s[8:9], v28, v10
	s_and_b64 s[4:5], s[4:5], s[8:9]
	s_or_b64 s[2:3], s[2:3], s[4:5]
	v_cndmask_b32_e64 v8, v6, v4, s[2:3]
	v_cndmask_b32_e64 v9, v2, v1, s[2:3]
	v_add_u32_e32 v8, 1, v8
	v_add_u32_e32 v9, -1, v9
	v_min_u32_e32 v9, v8, v9
	v_lshl_add_u32 v9, v9, 2, v27
	ds_read_b32 v9, v9
	v_cndmask_b32_e64 v4, v4, v8, s[2:3]
	v_cndmask_b32_e64 v6, v8, v6, s[2:3]
	v_cmp_lt_u32_e64 s[8:9], v4, v1
	v_cmp_ge_u32_e64 s[4:5], v6, v2
	s_waitcnt lgkmcnt(0)
	v_cndmask_b32_e64 v29, v9, v10, s[2:3]
	v_cndmask_b32_e64 v30, v28, v9, s[2:3]
	v_cmp_le_i32_e64 s[10:11], v30, v29
	s_and_b64 s[8:9], s[8:9], s[10:11]
	s_or_b64 s[4:5], s[4:5], s[8:9]
	v_cndmask_b32_e64 v8, v6, v4, s[4:5]
	v_cndmask_b32_e64 v9, v2, v1, s[4:5]
	v_add_u32_e32 v8, 1, v8
	v_add_u32_e32 v9, -1, v9
	v_min_u32_e32 v9, v8, v9
	v_lshl_add_u32 v9, v9, 2, v27
	ds_read_b32 v9, v9
	v_cndmask_b32_e64 v4, v4, v8, s[4:5]
	v_cndmask_b32_e64 v6, v8, v6, s[4:5]
	v_cmp_lt_u32_e64 s[10:11], v4, v1
	v_cmp_ge_u32_e64 s[8:9], v6, v2
	s_waitcnt lgkmcnt(0)
	v_cndmask_b32_e64 v31, v9, v29, s[4:5]
	v_cndmask_b32_e64 v32, v30, v9, s[4:5]
	v_cmp_le_i32_e64 s[12:13], v32, v31
	s_and_b64 s[10:11], s[10:11], s[12:13]
	s_or_b64 s[8:9], s[8:9], s[10:11]
	v_cndmask_b32_e64 v8, v6, v4, s[8:9]
	v_cndmask_b32_e64 v9, v2, v1, s[8:9]
	v_add_u32_e32 v8, 1, v8
	v_add_u32_e32 v9, -1, v9
	v_min_u32_e32 v9, v8, v9
	v_lshl_add_u32 v9, v9, 2, v27
	ds_read_b32 v9, v9
	v_cndmask_b32_e64 v4, v4, v8, s[8:9]
	v_cndmask_b32_e64 v6, v8, v6, s[8:9]
	v_cmp_lt_u32_e64 s[12:13], v4, v1
	v_cmp_ge_u32_e64 s[10:11], v6, v2
	s_waitcnt lgkmcnt(0)
	v_cndmask_b32_e64 v33, v9, v31, s[8:9]
	v_cndmask_b32_e64 v34, v32, v9, s[8:9]
	v_cmp_le_i32_e64 s[14:15], v34, v33
	s_and_b64 s[12:13], s[12:13], s[14:15]
	s_or_b64 s[10:11], s[10:11], s[12:13]
	v_cndmask_b32_e64 v8, v6, v4, s[10:11]
	v_cndmask_b32_e64 v9, v2, v1, s[10:11]
	v_add_u32_e32 v8, 1, v8
	v_add_u32_e32 v9, -1, v9
	v_min_u32_e32 v9, v8, v9
	v_lshl_add_u32 v9, v9, 2, v27
	ds_read_b32 v35, v9
	v_cndmask_b32_e64 v9, v7, v5, s[0:1]
	v_cndmask_b32_e64 v10, v10, v28, s[2:3]
	v_cndmask_b32_e32 v0, v3, v0, vcc
	v_cndmask_b32_e64 v5, v33, v34, s[10:11]
	s_waitcnt lgkmcnt(0)
	v_cndmask_b32_e64 v7, v35, v33, s[10:11]
	v_cndmask_b32_e64 v28, v34, v35, s[10:11]
	;; [unrolled: 1-line block ×4, first 2 shown]
	v_cmp_lt_u32_e64 s[0:1], v8, v1
	v_cmp_le_i32_e64 s[2:3], v28, v7
	v_cmp_ge_u32_e32 vcc, v35, v2
	s_and_b64 s[0:1], s[0:1], s[2:3]
	s_or_b64 vcc, vcc, s[0:1]
	v_cndmask_b32_e32 v3, v35, v8, vcc
	v_cndmask_b32_e32 v4, v2, v1, vcc
	v_add_u32_e32 v36, 1, v3
	v_add_u32_e32 v3, -1, v4
	v_min_u32_e32 v3, v36, v3
	v_lshl_add_u32 v3, v3, 2, v27
	ds_read_b32 v27, v3
	v_cndmask_b32_e32 v6, v7, v28, vcc
	v_cndmask_b32_e32 v8, v8, v36, vcc
	v_cndmask_b32_e64 v3, v29, v30, s[4:5]
	v_cndmask_b32_e32 v29, v36, v35, vcc
	s_waitcnt lgkmcnt(0)
	v_cndmask_b32_e32 v28, v28, v27, vcc
	v_cndmask_b32_e32 v7, v27, v7, vcc
	v_min_i32_e32 v27, v28, v7
	v_cmp_lt_u32_e32 vcc, v8, v1
	v_cndmask_b32_e32 v1, v7, v27, vcc
	v_cmp_lt_u32_e32 vcc, v29, v2
	v_cndmask_b32_e64 v4, v31, v32, s[8:9]
	v_cndmask_b32_e32 v7, v28, v1, vcc
.LBB3081_44:
	s_or_b64 exec, exec, s[24:25]
	v_lshlrev_b32_e32 v8, 5, v12
	v_mov_b32_e32 v1, v9
	v_mov_b32_e32 v2, v10
	v_and_b32_e32 v29, 0x1f00, v15
	; wave barrier
	s_waitcnt lgkmcnt(0)
	s_barrier
	ds_write_b128 v8, v[0:3]
	ds_write_b128 v8, v[4:7] offset:16
	v_or_b32_e32 v2, 0x80, v29
	v_min_u32_e32 v1, 0x800, v2
	v_min_u32_e32 v2, 0x780, v2
	v_add_u32_e32 v2, 0x80, v2
	v_and_b32_e32 v30, 0xf8, v15
	v_sub_u32_e32 v31, v1, v29
	v_sub_u32_e32 v28, v2, v1
	v_sub_u32_e64 v28, v30, v28 clamp
	v_min_u32_e32 v31, v30, v31
	v_lshlrev_b32_e32 v27, 2, v29
	v_cmp_lt_u32_e32 vcc, v28, v31
	s_waitcnt lgkmcnt(0)
	s_barrier
	s_and_saveexec_b64 s[0:1], vcc
	s_cbranch_execz .LBB3081_48
; %bb.45:
	v_lshlrev_b32_e32 v32, 2, v30
	v_lshl_add_u32 v32, v1, 2, v32
	s_mov_b64 s[2:3], 0
.LBB3081_46:                            ; =>This Inner Loop Header: Depth=1
	v_add_u32_e32 v33, v31, v28
	v_lshrrev_b32_e32 v33, 1, v33
	v_not_b32_e32 v34, v33
	v_lshl_add_u32 v35, v33, 2, v27
	v_lshl_add_u32 v34, v34, 2, v32
	ds_read_b32 v35, v35
	ds_read_b32 v34, v34
	v_add_u32_e32 v36, 1, v33
	s_waitcnt lgkmcnt(0)
	v_cmp_gt_i32_e32 vcc, v35, v34
	v_cndmask_b32_e32 v31, v31, v33, vcc
	v_cndmask_b32_e32 v28, v36, v28, vcc
	v_cmp_ge_u32_e32 vcc, v28, v31
	s_or_b64 s[2:3], vcc, s[2:3]
	s_andn2_b64 exec, exec, s[2:3]
	s_cbranch_execnz .LBB3081_46
; %bb.47:
	s_or_b64 exec, exec, s[2:3]
.LBB3081_48:
	s_or_b64 exec, exec, s[0:1]
	v_sub_u32_e32 v30, v30, v28
	v_add_u32_e32 v29, v28, v29
	v_add_u32_e32 v30, v30, v1
	v_cmp_le_u32_e32 vcc, v29, v1
	v_cmp_le_u32_e64 s[0:1], v30, v2
	s_or_b64 s[0:1], vcc, s[0:1]
	s_and_saveexec_b64 s[24:25], s[0:1]
	s_cbranch_execz .LBB3081_54
; %bb.49:
	v_cmp_lt_u32_e32 vcc, v29, v1
                                        ; implicit-def: $vgpr0
	s_and_saveexec_b64 s[0:1], vcc
	s_cbranch_execz .LBB3081_51
; %bb.50:
	v_lshl_add_u32 v0, v28, 2, v27
	ds_read_b32 v0, v0
.LBB3081_51:
	s_or_b64 exec, exec, s[0:1]
	v_cmp_ge_u32_e64 s[0:1], v30, v2
	v_cmp_lt_u32_e64 s[2:3], v30, v2
                                        ; implicit-def: $vgpr3
	s_and_saveexec_b64 s[4:5], s[2:3]
	s_cbranch_execz .LBB3081_53
; %bb.52:
	v_lshlrev_b32_e32 v3, 2, v30
	ds_read_b32 v3, v3
.LBB3081_53:
	s_or_b64 exec, exec, s[4:5]
	s_waitcnt lgkmcnt(0)
	v_cmp_le_i32_e64 s[2:3], v0, v3
	s_and_b64 s[2:3], vcc, s[2:3]
	s_or_b64 vcc, s[0:1], s[2:3]
	v_cndmask_b32_e32 v4, v30, v29, vcc
	v_cndmask_b32_e32 v5, v2, v1, vcc
	v_add_u32_e32 v4, 1, v4
	v_add_u32_e32 v5, -1, v5
	v_min_u32_e32 v5, v4, v5
	v_lshlrev_b32_e32 v5, 2, v5
	ds_read_b32 v5, v5
	v_cndmask_b32_e32 v6, v4, v30, vcc
	v_cndmask_b32_e32 v4, v29, v4, vcc
	v_cmp_lt_u32_e64 s[2:3], v4, v1
	v_cmp_ge_u32_e64 s[0:1], v6, v2
	s_waitcnt lgkmcnt(0)
	v_cndmask_b32_e32 v7, v5, v3, vcc
	v_cndmask_b32_e32 v5, v0, v5, vcc
	v_cmp_le_i32_e64 s[4:5], v5, v7
	s_and_b64 s[2:3], s[2:3], s[4:5]
	s_or_b64 s[0:1], s[0:1], s[2:3]
	v_cndmask_b32_e64 v9, v6, v4, s[0:1]
	v_cndmask_b32_e64 v10, v2, v1, s[0:1]
	v_add_u32_e32 v9, 1, v9
	v_add_u32_e32 v10, -1, v10
	v_min_u32_e32 v10, v9, v10
	v_lshlrev_b32_e32 v10, 2, v10
	ds_read_b32 v10, v10
	v_cndmask_b32_e64 v4, v4, v9, s[0:1]
	v_cndmask_b32_e64 v6, v9, v6, s[0:1]
	v_cmp_lt_u32_e64 s[4:5], v4, v1
	v_cmp_ge_u32_e64 s[2:3], v6, v2
	s_waitcnt lgkmcnt(0)
	v_cndmask_b32_e64 v27, v10, v7, s[0:1]
	v_cndmask_b32_e64 v10, v5, v10, s[0:1]
	v_cmp_le_i32_e64 s[8:9], v10, v27
	s_and_b64 s[4:5], s[4:5], s[8:9]
	s_or_b64 s[2:3], s[2:3], s[4:5]
	v_cndmask_b32_e64 v9, v6, v4, s[2:3]
	v_cndmask_b32_e64 v28, v2, v1, s[2:3]
	v_add_u32_e32 v9, 1, v9
	v_add_u32_e32 v28, -1, v28
	v_min_u32_e32 v28, v9, v28
	v_lshlrev_b32_e32 v28, 2, v28
	ds_read_b32 v28, v28
	v_cndmask_b32_e64 v4, v4, v9, s[2:3]
	v_cndmask_b32_e64 v6, v9, v6, s[2:3]
	v_cmp_lt_u32_e64 s[8:9], v4, v1
	v_cmp_ge_u32_e64 s[4:5], v6, v2
	s_waitcnt lgkmcnt(0)
	v_cndmask_b32_e64 v29, v28, v27, s[2:3]
	v_cndmask_b32_e64 v28, v10, v28, s[2:3]
	;; [unrolled: 17-line block ×4, first 2 shown]
	v_cmp_le_i32_e64 s[14:15], v32, v33
	s_and_b64 s[12:13], s[12:13], s[14:15]
	s_or_b64 s[10:11], s[10:11], s[12:13]
	v_cndmask_b32_e64 v9, v6, v4, s[10:11]
	v_cndmask_b32_e64 v34, v2, v1, s[10:11]
	v_add_u32_e32 v35, 1, v9
	v_add_u32_e32 v9, -1, v34
	v_min_u32_e32 v9, v35, v9
	v_lshlrev_b32_e32 v9, 2, v9
	ds_read_b32 v34, v9
	v_cndmask_b32_e64 v9, v7, v5, s[0:1]
	v_cndmask_b32_e64 v10, v27, v10, s[2:3]
	v_cndmask_b32_e32 v0, v3, v0, vcc
	v_cndmask_b32_e64 v5, v33, v32, s[10:11]
	s_waitcnt lgkmcnt(0)
	v_cndmask_b32_e64 v7, v34, v33, s[10:11]
	v_cndmask_b32_e64 v27, v32, v34, s[10:11]
	;; [unrolled: 1-line block ×4, first 2 shown]
	v_cmp_lt_u32_e64 s[0:1], v35, v1
	v_cmp_le_i32_e64 s[2:3], v27, v7
	v_cmp_ge_u32_e32 vcc, v34, v2
	s_and_b64 s[0:1], s[0:1], s[2:3]
	s_or_b64 vcc, vcc, s[0:1]
	v_cndmask_b32_e32 v3, v34, v35, vcc
	v_cndmask_b32_e32 v4, v2, v1, vcc
	v_add_u32_e32 v36, 1, v3
	v_add_u32_e32 v3, -1, v4
	v_min_u32_e32 v3, v36, v3
	v_lshlrev_b32_e32 v3, 2, v3
	ds_read_b32 v37, v3
	v_cndmask_b32_e64 v3, v29, v28, s[4:5]
	v_cndmask_b32_e32 v6, v7, v27, vcc
	v_cndmask_b32_e32 v29, v35, v36, vcc
	v_cndmask_b32_e64 v4, v31, v30, s[8:9]
	s_waitcnt lgkmcnt(0)
	v_cndmask_b32_e32 v27, v27, v37, vcc
	v_cndmask_b32_e32 v7, v37, v7, vcc
	;; [unrolled: 1-line block ×3, first 2 shown]
	v_min_i32_e32 v30, v27, v7
	v_cmp_lt_u32_e32 vcc, v29, v1
	v_cndmask_b32_e32 v1, v7, v30, vcc
	v_cmp_lt_u32_e32 vcc, v28, v2
	v_cndmask_b32_e32 v7, v27, v1, vcc
.LBB3081_54:
	s_or_b64 exec, exec, s[24:25]
	v_mov_b32_e32 v1, v9
	v_mov_b32_e32 v2, v10
	v_and_b32_e32 v29, 0x1e00, v15
	s_barrier
	ds_write_b128 v8, v[0:3]
	ds_write_b128 v8, v[4:7] offset:16
	v_or_b32_e32 v2, 0x100, v29
	v_min_u32_e32 v1, 0x800, v2
	v_min_u32_e32 v2, 0x700, v2
	v_add_u32_e32 v2, 0x100, v2
	v_and_b32_e32 v30, 0x1f8, v15
	v_sub_u32_e32 v31, v1, v29
	v_sub_u32_e32 v28, v2, v1
	v_sub_u32_e64 v28, v30, v28 clamp
	v_min_u32_e32 v31, v30, v31
	v_lshlrev_b32_e32 v27, 2, v29
	v_cmp_lt_u32_e32 vcc, v28, v31
	s_waitcnt lgkmcnt(0)
	s_barrier
	s_and_saveexec_b64 s[0:1], vcc
	s_cbranch_execz .LBB3081_58
; %bb.55:
	v_lshlrev_b32_e32 v32, 2, v30
	v_lshl_add_u32 v32, v1, 2, v32
	s_mov_b64 s[2:3], 0
.LBB3081_56:                            ; =>This Inner Loop Header: Depth=1
	v_add_u32_e32 v33, v31, v28
	v_lshrrev_b32_e32 v33, 1, v33
	v_not_b32_e32 v34, v33
	v_lshl_add_u32 v35, v33, 2, v27
	v_lshl_add_u32 v34, v34, 2, v32
	ds_read_b32 v35, v35
	ds_read_b32 v34, v34
	v_add_u32_e32 v36, 1, v33
	s_waitcnt lgkmcnt(0)
	v_cmp_gt_i32_e32 vcc, v35, v34
	v_cndmask_b32_e32 v31, v31, v33, vcc
	v_cndmask_b32_e32 v28, v36, v28, vcc
	v_cmp_ge_u32_e32 vcc, v28, v31
	s_or_b64 s[2:3], vcc, s[2:3]
	s_andn2_b64 exec, exec, s[2:3]
	s_cbranch_execnz .LBB3081_56
; %bb.57:
	s_or_b64 exec, exec, s[2:3]
.LBB3081_58:
	s_or_b64 exec, exec, s[0:1]
	v_sub_u32_e32 v30, v30, v28
	v_add_u32_e32 v29, v28, v29
	v_add_u32_e32 v30, v30, v1
	v_cmp_le_u32_e32 vcc, v29, v1
	v_cmp_le_u32_e64 s[0:1], v30, v2
	s_or_b64 s[0:1], vcc, s[0:1]
	s_and_saveexec_b64 s[24:25], s[0:1]
	s_cbranch_execz .LBB3081_64
; %bb.59:
	v_cmp_lt_u32_e32 vcc, v29, v1
                                        ; implicit-def: $vgpr0
	s_and_saveexec_b64 s[0:1], vcc
	s_cbranch_execz .LBB3081_61
; %bb.60:
	v_lshl_add_u32 v0, v28, 2, v27
	ds_read_b32 v0, v0
.LBB3081_61:
	s_or_b64 exec, exec, s[0:1]
	v_cmp_ge_u32_e64 s[0:1], v30, v2
	v_cmp_lt_u32_e64 s[2:3], v30, v2
                                        ; implicit-def: $vgpr3
	s_and_saveexec_b64 s[4:5], s[2:3]
	s_cbranch_execz .LBB3081_63
; %bb.62:
	v_lshlrev_b32_e32 v3, 2, v30
	ds_read_b32 v3, v3
.LBB3081_63:
	s_or_b64 exec, exec, s[4:5]
	s_waitcnt lgkmcnt(0)
	v_cmp_le_i32_e64 s[2:3], v0, v3
	s_and_b64 s[2:3], vcc, s[2:3]
	s_or_b64 vcc, s[0:1], s[2:3]
	v_cndmask_b32_e32 v4, v30, v29, vcc
	v_cndmask_b32_e32 v5, v2, v1, vcc
	v_add_u32_e32 v4, 1, v4
	v_add_u32_e32 v5, -1, v5
	v_min_u32_e32 v5, v4, v5
	v_lshlrev_b32_e32 v5, 2, v5
	ds_read_b32 v5, v5
	v_cndmask_b32_e32 v6, v4, v30, vcc
	v_cndmask_b32_e32 v4, v29, v4, vcc
	v_cmp_lt_u32_e64 s[2:3], v4, v1
	v_cmp_ge_u32_e64 s[0:1], v6, v2
	s_waitcnt lgkmcnt(0)
	v_cndmask_b32_e32 v7, v5, v3, vcc
	v_cndmask_b32_e32 v5, v0, v5, vcc
	v_cmp_le_i32_e64 s[4:5], v5, v7
	s_and_b64 s[2:3], s[2:3], s[4:5]
	s_or_b64 s[0:1], s[0:1], s[2:3]
	v_cndmask_b32_e64 v9, v6, v4, s[0:1]
	v_cndmask_b32_e64 v10, v2, v1, s[0:1]
	v_add_u32_e32 v9, 1, v9
	v_add_u32_e32 v10, -1, v10
	v_min_u32_e32 v10, v9, v10
	v_lshlrev_b32_e32 v10, 2, v10
	ds_read_b32 v10, v10
	v_cndmask_b32_e64 v4, v4, v9, s[0:1]
	v_cndmask_b32_e64 v6, v9, v6, s[0:1]
	v_cmp_lt_u32_e64 s[4:5], v4, v1
	v_cmp_ge_u32_e64 s[2:3], v6, v2
	s_waitcnt lgkmcnt(0)
	v_cndmask_b32_e64 v27, v10, v7, s[0:1]
	v_cndmask_b32_e64 v10, v5, v10, s[0:1]
	v_cmp_le_i32_e64 s[8:9], v10, v27
	s_and_b64 s[4:5], s[4:5], s[8:9]
	s_or_b64 s[2:3], s[2:3], s[4:5]
	v_cndmask_b32_e64 v9, v6, v4, s[2:3]
	v_cndmask_b32_e64 v28, v2, v1, s[2:3]
	v_add_u32_e32 v9, 1, v9
	v_add_u32_e32 v28, -1, v28
	v_min_u32_e32 v28, v9, v28
	v_lshlrev_b32_e32 v28, 2, v28
	ds_read_b32 v28, v28
	v_cndmask_b32_e64 v4, v4, v9, s[2:3]
	v_cndmask_b32_e64 v6, v9, v6, s[2:3]
	v_cmp_lt_u32_e64 s[8:9], v4, v1
	v_cmp_ge_u32_e64 s[4:5], v6, v2
	s_waitcnt lgkmcnt(0)
	v_cndmask_b32_e64 v29, v28, v27, s[2:3]
	v_cndmask_b32_e64 v28, v10, v28, s[2:3]
	;; [unrolled: 17-line block ×4, first 2 shown]
	v_cmp_le_i32_e64 s[14:15], v32, v33
	s_and_b64 s[12:13], s[12:13], s[14:15]
	s_or_b64 s[10:11], s[10:11], s[12:13]
	v_cndmask_b32_e64 v9, v6, v4, s[10:11]
	v_cndmask_b32_e64 v34, v2, v1, s[10:11]
	v_add_u32_e32 v35, 1, v9
	v_add_u32_e32 v9, -1, v34
	v_min_u32_e32 v9, v35, v9
	v_lshlrev_b32_e32 v9, 2, v9
	ds_read_b32 v34, v9
	v_cndmask_b32_e64 v9, v7, v5, s[0:1]
	v_cndmask_b32_e64 v10, v27, v10, s[2:3]
	v_cndmask_b32_e32 v0, v3, v0, vcc
	v_cndmask_b32_e64 v5, v33, v32, s[10:11]
	s_waitcnt lgkmcnt(0)
	v_cndmask_b32_e64 v7, v34, v33, s[10:11]
	v_cndmask_b32_e64 v27, v32, v34, s[10:11]
	v_cndmask_b32_e64 v34, v35, v6, s[10:11]
	v_cndmask_b32_e64 v35, v4, v35, s[10:11]
	v_cmp_lt_u32_e64 s[0:1], v35, v1
	v_cmp_le_i32_e64 s[2:3], v27, v7
	v_cmp_ge_u32_e32 vcc, v34, v2
	s_and_b64 s[0:1], s[0:1], s[2:3]
	s_or_b64 vcc, vcc, s[0:1]
	v_cndmask_b32_e32 v3, v34, v35, vcc
	v_cndmask_b32_e32 v4, v2, v1, vcc
	v_add_u32_e32 v36, 1, v3
	v_add_u32_e32 v3, -1, v4
	v_min_u32_e32 v3, v36, v3
	v_lshlrev_b32_e32 v3, 2, v3
	ds_read_b32 v37, v3
	v_cndmask_b32_e64 v3, v29, v28, s[4:5]
	v_cndmask_b32_e32 v6, v7, v27, vcc
	v_cndmask_b32_e32 v29, v35, v36, vcc
	v_cndmask_b32_e64 v4, v31, v30, s[8:9]
	s_waitcnt lgkmcnt(0)
	v_cndmask_b32_e32 v27, v27, v37, vcc
	v_cndmask_b32_e32 v7, v37, v7, vcc
	;; [unrolled: 1-line block ×3, first 2 shown]
	v_min_i32_e32 v30, v27, v7
	v_cmp_lt_u32_e32 vcc, v29, v1
	v_cndmask_b32_e32 v1, v7, v30, vcc
	v_cmp_lt_u32_e32 vcc, v28, v2
	v_cndmask_b32_e32 v7, v27, v1, vcc
.LBB3081_64:
	s_or_b64 exec, exec, s[24:25]
	v_mov_b32_e32 v1, v9
	v_mov_b32_e32 v2, v10
	v_and_b32_e32 v29, 0x1c00, v15
	s_barrier
	ds_write_b128 v8, v[0:3]
	ds_write_b128 v8, v[4:7] offset:16
	v_or_b32_e32 v2, 0x200, v29
	v_min_u32_e32 v1, 0x800, v2
	v_min_u32_e32 v2, 0x600, v2
	v_add_u32_e32 v2, 0x200, v2
	v_and_b32_e32 v30, 0x3f8, v15
	v_sub_u32_e32 v31, v1, v29
	v_sub_u32_e32 v28, v2, v1
	v_sub_u32_e64 v28, v30, v28 clamp
	v_min_u32_e32 v31, v30, v31
	v_lshlrev_b32_e32 v27, 2, v29
	v_cmp_lt_u32_e32 vcc, v28, v31
	s_waitcnt lgkmcnt(0)
	s_barrier
	s_and_saveexec_b64 s[0:1], vcc
	s_cbranch_execz .LBB3081_68
; %bb.65:
	v_lshlrev_b32_e32 v32, 2, v30
	v_lshl_add_u32 v32, v1, 2, v32
	s_mov_b64 s[2:3], 0
.LBB3081_66:                            ; =>This Inner Loop Header: Depth=1
	v_add_u32_e32 v33, v31, v28
	v_lshrrev_b32_e32 v33, 1, v33
	v_not_b32_e32 v34, v33
	v_lshl_add_u32 v35, v33, 2, v27
	v_lshl_add_u32 v34, v34, 2, v32
	ds_read_b32 v35, v35
	ds_read_b32 v34, v34
	v_add_u32_e32 v36, 1, v33
	s_waitcnt lgkmcnt(0)
	v_cmp_gt_i32_e32 vcc, v35, v34
	v_cndmask_b32_e32 v31, v31, v33, vcc
	v_cndmask_b32_e32 v28, v36, v28, vcc
	v_cmp_ge_u32_e32 vcc, v28, v31
	s_or_b64 s[2:3], vcc, s[2:3]
	s_andn2_b64 exec, exec, s[2:3]
	s_cbranch_execnz .LBB3081_66
; %bb.67:
	s_or_b64 exec, exec, s[2:3]
.LBB3081_68:
	s_or_b64 exec, exec, s[0:1]
	v_sub_u32_e32 v30, v30, v28
	v_add_u32_e32 v29, v28, v29
	v_add_u32_e32 v30, v30, v1
	v_cmp_le_u32_e32 vcc, v29, v1
	v_cmp_le_u32_e64 s[0:1], v30, v2
	s_or_b64 s[0:1], vcc, s[0:1]
	s_and_saveexec_b64 s[24:25], s[0:1]
	s_cbranch_execz .LBB3081_74
; %bb.69:
	v_cmp_lt_u32_e32 vcc, v29, v1
                                        ; implicit-def: $vgpr0
	s_and_saveexec_b64 s[0:1], vcc
	s_cbranch_execz .LBB3081_71
; %bb.70:
	v_lshl_add_u32 v0, v28, 2, v27
	ds_read_b32 v0, v0
.LBB3081_71:
	s_or_b64 exec, exec, s[0:1]
	v_cmp_ge_u32_e64 s[0:1], v30, v2
	v_cmp_lt_u32_e64 s[2:3], v30, v2
                                        ; implicit-def: $vgpr3
	s_and_saveexec_b64 s[4:5], s[2:3]
	s_cbranch_execz .LBB3081_73
; %bb.72:
	v_lshlrev_b32_e32 v3, 2, v30
	ds_read_b32 v3, v3
.LBB3081_73:
	s_or_b64 exec, exec, s[4:5]
	s_waitcnt lgkmcnt(0)
	v_cmp_le_i32_e64 s[2:3], v0, v3
	s_and_b64 s[2:3], vcc, s[2:3]
	s_or_b64 vcc, s[0:1], s[2:3]
	v_cndmask_b32_e32 v4, v30, v29, vcc
	v_cndmask_b32_e32 v5, v2, v1, vcc
	v_add_u32_e32 v4, 1, v4
	v_add_u32_e32 v5, -1, v5
	v_min_u32_e32 v5, v4, v5
	v_lshlrev_b32_e32 v5, 2, v5
	ds_read_b32 v5, v5
	v_cndmask_b32_e32 v6, v4, v30, vcc
	v_cndmask_b32_e32 v4, v29, v4, vcc
	v_cmp_lt_u32_e64 s[2:3], v4, v1
	v_cmp_ge_u32_e64 s[0:1], v6, v2
	s_waitcnt lgkmcnt(0)
	v_cndmask_b32_e32 v7, v5, v3, vcc
	v_cndmask_b32_e32 v5, v0, v5, vcc
	v_cmp_le_i32_e64 s[4:5], v5, v7
	s_and_b64 s[2:3], s[2:3], s[4:5]
	s_or_b64 s[0:1], s[0:1], s[2:3]
	v_cndmask_b32_e64 v9, v6, v4, s[0:1]
	v_cndmask_b32_e64 v10, v2, v1, s[0:1]
	v_add_u32_e32 v9, 1, v9
	v_add_u32_e32 v10, -1, v10
	v_min_u32_e32 v10, v9, v10
	v_lshlrev_b32_e32 v10, 2, v10
	ds_read_b32 v10, v10
	v_cndmask_b32_e64 v4, v4, v9, s[0:1]
	v_cndmask_b32_e64 v6, v9, v6, s[0:1]
	v_cmp_lt_u32_e64 s[4:5], v4, v1
	v_cmp_ge_u32_e64 s[2:3], v6, v2
	s_waitcnt lgkmcnt(0)
	v_cndmask_b32_e64 v27, v10, v7, s[0:1]
	v_cndmask_b32_e64 v10, v5, v10, s[0:1]
	v_cmp_le_i32_e64 s[8:9], v10, v27
	s_and_b64 s[4:5], s[4:5], s[8:9]
	s_or_b64 s[2:3], s[2:3], s[4:5]
	v_cndmask_b32_e64 v9, v6, v4, s[2:3]
	v_cndmask_b32_e64 v28, v2, v1, s[2:3]
	v_add_u32_e32 v9, 1, v9
	v_add_u32_e32 v28, -1, v28
	v_min_u32_e32 v28, v9, v28
	v_lshlrev_b32_e32 v28, 2, v28
	ds_read_b32 v28, v28
	v_cndmask_b32_e64 v4, v4, v9, s[2:3]
	v_cndmask_b32_e64 v6, v9, v6, s[2:3]
	v_cmp_lt_u32_e64 s[8:9], v4, v1
	v_cmp_ge_u32_e64 s[4:5], v6, v2
	s_waitcnt lgkmcnt(0)
	v_cndmask_b32_e64 v29, v28, v27, s[2:3]
	v_cndmask_b32_e64 v28, v10, v28, s[2:3]
	;; [unrolled: 17-line block ×4, first 2 shown]
	v_cmp_le_i32_e64 s[14:15], v32, v33
	s_and_b64 s[12:13], s[12:13], s[14:15]
	s_or_b64 s[10:11], s[10:11], s[12:13]
	v_cndmask_b32_e64 v9, v6, v4, s[10:11]
	v_cndmask_b32_e64 v34, v2, v1, s[10:11]
	v_add_u32_e32 v35, 1, v9
	v_add_u32_e32 v9, -1, v34
	v_min_u32_e32 v9, v35, v9
	v_lshlrev_b32_e32 v9, 2, v9
	ds_read_b32 v34, v9
	v_cndmask_b32_e64 v9, v7, v5, s[0:1]
	v_cndmask_b32_e64 v10, v27, v10, s[2:3]
	v_cndmask_b32_e32 v0, v3, v0, vcc
	v_cndmask_b32_e64 v5, v33, v32, s[10:11]
	s_waitcnt lgkmcnt(0)
	v_cndmask_b32_e64 v7, v34, v33, s[10:11]
	v_cndmask_b32_e64 v27, v32, v34, s[10:11]
	;; [unrolled: 1-line block ×4, first 2 shown]
	v_cmp_lt_u32_e64 s[0:1], v35, v1
	v_cmp_le_i32_e64 s[2:3], v27, v7
	v_cmp_ge_u32_e32 vcc, v34, v2
	s_and_b64 s[0:1], s[0:1], s[2:3]
	s_or_b64 vcc, vcc, s[0:1]
	v_cndmask_b32_e32 v3, v34, v35, vcc
	v_cndmask_b32_e32 v4, v2, v1, vcc
	v_add_u32_e32 v36, 1, v3
	v_add_u32_e32 v3, -1, v4
	v_min_u32_e32 v3, v36, v3
	v_lshlrev_b32_e32 v3, 2, v3
	ds_read_b32 v37, v3
	v_cndmask_b32_e64 v3, v29, v28, s[4:5]
	v_cndmask_b32_e32 v6, v7, v27, vcc
	v_cndmask_b32_e32 v29, v35, v36, vcc
	v_cndmask_b32_e64 v4, v31, v30, s[8:9]
	s_waitcnt lgkmcnt(0)
	v_cndmask_b32_e32 v27, v27, v37, vcc
	v_cndmask_b32_e32 v7, v37, v7, vcc
	;; [unrolled: 1-line block ×3, first 2 shown]
	v_min_i32_e32 v30, v27, v7
	v_cmp_lt_u32_e32 vcc, v29, v1
	v_cndmask_b32_e32 v1, v7, v30, vcc
	v_cmp_lt_u32_e32 vcc, v28, v2
	v_cndmask_b32_e32 v7, v27, v1, vcc
.LBB3081_74:
	s_or_b64 exec, exec, s[24:25]
	v_mov_b32_e32 v1, v9
	v_mov_b32_e32 v2, v10
	v_and_b32_e32 v28, 0x1800, v15
	s_barrier
	ds_write_b128 v8, v[0:3]
	ds_write_b128 v8, v[4:7] offset:16
	v_or_b32_e32 v1, 0x400, v28
	v_min_u32_e32 v1, 0x800, v1
	v_and_b32_e32 v29, 0x7f8, v15
	v_sub_u32_e32 v30, v1, v28
	v_sub_u32_e32 v27, 0x800, v1
	v_sub_u32_e64 v27, v29, v27 clamp
	v_min_u32_e32 v30, v29, v30
	v_lshlrev_b32_e32 v2, 2, v28
	v_cmp_lt_u32_e32 vcc, v27, v30
	s_waitcnt lgkmcnt(0)
	s_barrier
	s_and_saveexec_b64 s[0:1], vcc
	s_cbranch_execz .LBB3081_78
; %bb.75:
	v_lshlrev_b32_e32 v31, 2, v29
	v_lshl_add_u32 v31, v1, 2, v31
	s_mov_b64 s[2:3], 0
.LBB3081_76:                            ; =>This Inner Loop Header: Depth=1
	v_add_u32_e32 v32, v30, v27
	v_lshrrev_b32_e32 v32, 1, v32
	v_not_b32_e32 v33, v32
	v_lshl_add_u32 v34, v32, 2, v2
	v_lshl_add_u32 v33, v33, 2, v31
	ds_read_b32 v34, v34
	ds_read_b32 v33, v33
	v_add_u32_e32 v35, 1, v32
	s_waitcnt lgkmcnt(0)
	v_cmp_gt_i32_e32 vcc, v34, v33
	v_cndmask_b32_e32 v30, v30, v32, vcc
	v_cndmask_b32_e32 v27, v35, v27, vcc
	v_cmp_ge_u32_e32 vcc, v27, v30
	s_or_b64 s[2:3], vcc, s[2:3]
	s_andn2_b64 exec, exec, s[2:3]
	s_cbranch_execnz .LBB3081_76
; %bb.77:
	s_or_b64 exec, exec, s[2:3]
.LBB3081_78:
	s_or_b64 exec, exec, s[0:1]
	v_sub_u32_e32 v29, v29, v27
	v_add_u32_e32 v28, v27, v28
	v_add_u32_e32 v29, v29, v1
	s_movk_i32 s0, 0x801
	v_cmp_le_u32_e32 vcc, v28, v1
	v_cmp_gt_u32_e64 s[0:1], s0, v29
	s_or_b64 s[0:1], vcc, s[0:1]
	s_and_saveexec_b64 s[24:25], s[0:1]
	s_cbranch_execz .LBB3081_84
; %bb.79:
	v_cmp_lt_u32_e32 vcc, v28, v1
                                        ; implicit-def: $vgpr0
	s_and_saveexec_b64 s[0:1], vcc
	s_cbranch_execz .LBB3081_81
; %bb.80:
	v_lshl_add_u32 v0, v27, 2, v2
	ds_read_b32 v0, v0
.LBB3081_81:
	s_or_b64 exec, exec, s[0:1]
	s_movk_i32 s26, 0x7ff
	s_movk_i32 s23, 0x800
	v_cmp_lt_u32_e64 s[0:1], s26, v29
	v_cmp_gt_u32_e64 s[2:3], s23, v29
                                        ; implicit-def: $vgpr2
	s_and_saveexec_b64 s[4:5], s[2:3]
	s_cbranch_execz .LBB3081_83
; %bb.82:
	v_lshlrev_b32_e32 v2, 2, v29
	ds_read_b32 v2, v2
.LBB3081_83:
	s_or_b64 exec, exec, s[4:5]
	s_waitcnt lgkmcnt(0)
	v_cmp_le_i32_e64 s[2:3], v0, v2
	s_and_b64 s[2:3], vcc, s[2:3]
	s_or_b64 vcc, s[0:1], s[2:3]
	v_cndmask_b32_e32 v3, v29, v28, vcc
	v_add_u32_e32 v4, -1, v1
	v_mov_b32_e32 v5, 0x7ff
	v_add_u32_e32 v3, 1, v3
	v_cndmask_b32_e32 v6, v5, v4, vcc
	v_min_u32_e32 v6, v3, v6
	v_lshlrev_b32_e32 v6, 2, v6
	ds_read_b32 v6, v6
	v_cndmask_b32_e32 v9, v3, v29, vcc
	v_cndmask_b32_e32 v3, v28, v3, vcc
	v_cmp_lt_u32_e64 s[2:3], v3, v1
	v_cmp_lt_u32_e64 s[0:1], s26, v9
	s_waitcnt lgkmcnt(0)
	v_cndmask_b32_e32 v7, v6, v2, vcc
	v_cndmask_b32_e32 v6, v0, v6, vcc
	v_cmp_le_i32_e64 s[4:5], v6, v7
	s_and_b64 s[2:3], s[2:3], s[4:5]
	s_or_b64 s[0:1], s[0:1], s[2:3]
	v_cndmask_b32_e64 v10, v9, v3, s[0:1]
	v_add_u32_e32 v10, 1, v10
	v_cndmask_b32_e64 v27, v5, v4, s[0:1]
	v_min_u32_e32 v27, v10, v27
	v_lshlrev_b32_e32 v27, 2, v27
	ds_read_b32 v27, v27
	v_cndmask_b32_e64 v3, v3, v10, s[0:1]
	v_cndmask_b32_e64 v9, v10, v9, s[0:1]
	v_cmp_lt_u32_e64 s[4:5], v3, v1
	v_cmp_lt_u32_e64 s[2:3], s26, v9
	s_waitcnt lgkmcnt(0)
	v_cndmask_b32_e64 v28, v27, v7, s[0:1]
	v_cndmask_b32_e64 v27, v6, v27, s[0:1]
	v_cmp_le_i32_e64 s[8:9], v27, v28
	s_and_b64 s[4:5], s[4:5], s[8:9]
	s_or_b64 s[2:3], s[2:3], s[4:5]
	v_cndmask_b32_e64 v10, v9, v3, s[2:3]
	v_add_u32_e32 v10, 1, v10
	v_cndmask_b32_e64 v29, v5, v4, s[2:3]
	v_min_u32_e32 v29, v10, v29
	v_lshlrev_b32_e32 v29, 2, v29
	ds_read_b32 v29, v29
	v_cndmask_b32_e64 v3, v3, v10, s[2:3]
	v_cndmask_b32_e64 v9, v10, v9, s[2:3]
	v_cmp_lt_u32_e64 s[8:9], v3, v1
	v_cmp_lt_u32_e64 s[4:5], s26, v9
	s_waitcnt lgkmcnt(0)
	v_cndmask_b32_e64 v30, v29, v28, s[2:3]
	v_cndmask_b32_e64 v29, v27, v29, s[2:3]
	;; [unrolled: 16-line block ×4, first 2 shown]
	v_cmp_le_i32_e64 s[14:15], v33, v34
	s_and_b64 s[12:13], s[12:13], s[14:15]
	s_or_b64 s[10:11], s[10:11], s[12:13]
	v_cndmask_b32_e64 v9, v35, v3, s[10:11]
	v_add_u32_e32 v36, 1, v9
	v_cndmask_b32_e64 v9, v5, v4, s[10:11]
	v_min_u32_e32 v9, v36, v9
	v_lshlrev_b32_e32 v9, 2, v9
	ds_read_b32 v37, v9
	v_cndmask_b32_e32 v0, v2, v0, vcc
	v_cndmask_b32_e64 v9, v7, v6, s[0:1]
	v_cndmask_b32_e64 v10, v28, v27, s[2:3]
	;; [unrolled: 1-line block ×3, first 2 shown]
	s_waitcnt lgkmcnt(0)
	v_cndmask_b32_e64 v2, v37, v34, s[10:11]
	v_cndmask_b32_e64 v7, v33, v37, s[10:11]
	;; [unrolled: 1-line block ×3, first 2 shown]
	v_cmp_lt_u32_e64 s[0:1], v28, v1
	v_cmp_le_i32_e64 s[2:3], v7, v2
	v_cmp_lt_u32_e32 vcc, s26, v27
	s_and_b64 s[0:1], s[0:1], s[2:3]
	s_or_b64 vcc, vcc, s[0:1]
	v_cndmask_b32_e32 v3, v27, v28, vcc
	v_add_u32_e32 v35, 1, v3
	v_cndmask_b32_e32 v3, v5, v4, vcc
	v_min_u32_e32 v3, v35, v3
	v_lshlrev_b32_e32 v3, 2, v3
	ds_read_b32 v36, v3
	v_cndmask_b32_e32 v6, v2, v7, vcc
	v_cndmask_b32_e32 v28, v28, v35, vcc
	v_cndmask_b32_e64 v3, v30, v29, s[4:5]
	v_cndmask_b32_e32 v27, v35, v27, vcc
	s_waitcnt lgkmcnt(0)
	v_cndmask_b32_e32 v7, v7, v36, vcc
	v_cndmask_b32_e32 v2, v36, v2, vcc
	v_min_i32_e32 v29, v7, v2
	v_cmp_lt_u32_e32 vcc, v28, v1
	v_cndmask_b32_e32 v1, v2, v29, vcc
	v_cmp_gt_u32_e32 vcc, s23, v27
	v_cndmask_b32_e64 v4, v32, v31, s[8:9]
	v_cndmask_b32_e64 v5, v34, v33, s[10:11]
	v_cndmask_b32_e32 v7, v7, v1, vcc
.LBB3081_84:
	s_or_b64 exec, exec, s[24:25]
	v_lshl_add_u32 v1, v14, 2, v8
	s_barrier
	s_barrier
	ds_write2_b32 v1, v0, v9 offset1:1
	ds_write2_b32 v1, v10, v3 offset0:2 offset1:3
	ds_write2_b32 v1, v4, v5 offset0:4 offset1:5
	;; [unrolled: 1-line block ×3, first 2 shown]
	s_waitcnt lgkmcnt(0)
	s_barrier
	ds_read_b32 v3, v19
	ds_read_b32 v4, v20 offset:1024
	ds_read_b32 v5, v21 offset:2048
	;; [unrolled: 1-line block ×7, first 2 shown]
	v_mov_b32_e32 v1, s38
	v_add_co_u32_e32 v0, vcc, s33, v11
	v_addc_co_u32_e32 v1, vcc, 0, v1, vcc
	s_waitcnt lgkmcnt(7)
	flat_store_dword v[0:1], v3
	s_waitcnt lgkmcnt(0)
	flat_store_dword v[0:1], v4 offset:1024
	flat_store_dword v[0:1], v5 offset:2048
	flat_store_dword v[0:1], v6 offset:3072
	v_add_co_u32_e32 v0, vcc, 0x1000, v0
	v_addc_co_u32_e32 v1, vcc, 0, v1, vcc
	flat_store_dword v[0:1], v7
	flat_store_dword v[0:1], v8 offset:1024
	flat_store_dword v[0:1], v9 offset:2048
	s_mov_b64 s[36:37], -1
	s_branch .LBB3081_164
.LBB3081_85:
	s_mov_b64 s[36:37], 0
                                        ; implicit-def: $vgpr2
	s_cbranch_execz .LBB3081_164
; %bb.86:
	s_lshl_b64 s[0:1], s[20:21], 11
	s_sub_i32 s39, s22, s0
	v_cmp_gt_u32_e32 vcc, s39, v12
                                        ; implicit-def: $vgpr0_vgpr1_vgpr2_vgpr3_vgpr4_vgpr5_vgpr6_vgpr7
	s_and_saveexec_b64 s[2:3], vcc
	s_cbranch_execz .LBB3081_88
; %bb.87:
	v_mov_b32_e32 v1, s19
	v_add_co_u32_e64 v0, s[0:1], s7, v11
	v_addc_co_u32_e64 v1, s[0:1], 0, v1, s[0:1]
	flat_load_dword v0, v[0:1]
.LBB3081_88:
	s_or_b64 exec, exec, s[2:3]
	v_add_u32_e32 v9, 0x100, v12
	v_cmp_gt_u32_e64 s[0:1], s39, v9
	s_and_saveexec_b64 s[4:5], s[0:1]
	s_cbranch_execz .LBB3081_90
; %bb.89:
	v_mov_b32_e32 v1, s19
	v_add_co_u32_e64 v20, s[2:3], s7, v11
	v_addc_co_u32_e64 v21, s[2:3], 0, v1, s[2:3]
	flat_load_dword v1, v[20:21] offset:1024
.LBB3081_90:
	s_or_b64 exec, exec, s[4:5]
	v_add_u32_e32 v10, 0x200, v12
	v_cmp_gt_u32_e64 s[2:3], s39, v10
	s_and_saveexec_b64 s[8:9], s[2:3]
	s_cbranch_execz .LBB3081_92
; %bb.91:
	v_mov_b32_e32 v2, s19
	v_add_co_u32_e64 v20, s[4:5], s7, v11
	v_addc_co_u32_e64 v21, s[4:5], 0, v2, s[4:5]
	flat_load_dword v2, v[20:21] offset:2048
.LBB3081_92:
	;; [unrolled: 11-line block ×3, first 2 shown]
	s_or_b64 exec, exec, s[10:11]
	v_or_b32_e32 v19, 0x400, v12
	v_cmp_gt_u32_e64 s[26:27], s39, v19
	s_and_saveexec_b64 s[10:11], s[26:27]
	s_cbranch_execz .LBB3081_96
; %bb.95:
	v_lshlrev_b32_e32 v4, 2, v19
	v_mov_b32_e32 v8, s19
	v_add_co_u32_e64 v20, s[8:9], s7, v4
	v_addc_co_u32_e64 v21, s[8:9], 0, v8, s[8:9]
	flat_load_dword v4, v[20:21]
.LBB3081_96:
	s_or_b64 exec, exec, s[10:11]
	v_add_u32_e32 v20, 0x500, v12
	v_cmp_gt_u32_e64 s[8:9], s39, v20
	s_and_saveexec_b64 s[12:13], s[8:9]
	s_cbranch_execz .LBB3081_98
; %bb.97:
	v_lshlrev_b32_e32 v5, 2, v20
	v_mov_b32_e32 v8, s19
	v_add_co_u32_e64 v22, s[10:11], s7, v5
	v_addc_co_u32_e64 v23, s[10:11], 0, v8, s[10:11]
	flat_load_dword v5, v[22:23]
.LBB3081_98:
	s_or_b64 exec, exec, s[12:13]
	v_add_u32_e32 v21, 0x600, v12
	;; [unrolled: 12-line block ×3, first 2 shown]
	v_cmp_gt_u32_e64 s[36:37], s39, v22
	s_and_saveexec_b64 s[14:15], s[36:37]
	s_cbranch_execz .LBB3081_102
; %bb.101:
	v_lshlrev_b32_e32 v7, 2, v22
	v_mov_b32_e32 v8, s19
	v_add_co_u32_e64 v24, s[12:13], s7, v7
	v_addc_co_u32_e64 v25, s[12:13], 0, v8, s[12:13]
	flat_load_dword v7, v[24:25]
.LBB3081_102:
	s_or_b64 exec, exec, s[14:15]
	v_and_b32_e32 v8, 0x7c, v18
	v_add_u32_e32 v8, v8, v11
	s_waitcnt vmcnt(0) lgkmcnt(0)
	ds_write_b32 v8, v0
	v_lshrrev_b32_e32 v0, 3, v9
	v_and_b32_e32 v0, 0xfc, v0
	v_add_u32_e32 v9, v0, v11
	v_lshrrev_b32_e32 v0, 3, v10
	v_and_b32_e32 v0, 0xfc, v0
	v_add_u32_e32 v10, v0, v11
	;; [unrolled: 3-line block ×6, first 2 shown]
	v_lshrrev_b32_e32 v0, 3, v22
	v_and_b32_e32 v0, 0x1fc, v0
	ds_write_b32 v20, v6 offset:6144
	v_add_u32_e32 v21, v0, v11
	v_add_lshl_u32 v6, v14, v15, 2
	ds_write_b32 v9, v1 offset:1024
	ds_write_b32 v10, v2 offset:2048
	;; [unrolled: 1-line block ×6, first 2 shown]
	s_waitcnt lgkmcnt(0)
	s_barrier
	ds_read2_b32 v[0:1], v6 offset1:1
	ds_read2_b32 v[2:3], v6 offset0:2 offset1:3
	ds_read2_b32 v[4:5], v6 offset0:4 offset1:5
	;; [unrolled: 1-line block ×3, first 2 shown]
	s_waitcnt lgkmcnt(0)
	s_barrier
	s_load_dword s7, s[16:17], 0xc
	v_mov_b32_e32 v22, 0
	v_cmp_gt_i32_e64 s[28:29], v2, v3
	v_cmp_gt_i32_e64 s[30:31], v4, v5
	;; [unrolled: 1-line block ×3, first 2 shown]
	s_waitcnt lgkmcnt(0)
	s_lshr_b32 s12, s7, 16
	s_cmp_lt_u32 s6, s18
	s_cselect_b32 s6, 12, 18
	s_add_u32 s6, s16, s6
	s_addc_u32 s7, s17, 0
	global_load_ushort v22, v22, s[6:7]
	v_mad_u32_u24 v16, v17, s12, v16
	v_cmp_gt_i32_e64 s[6:7], v0, v1
	s_waitcnt vmcnt(0)
	v_mul_lo_u32 v16, v16, v22
	v_add_lshl_u32 v16, v16, v12, 3
	v_sub_u32_e64 v17, s39, v16 clamp
	v_cmp_lt_u32_e64 s[24:25], 1, v17
	v_cmp_lt_u32_e64 s[22:23], 3, v17
	v_cmp_lt_u32_e64 s[20:21], 5, v17
	v_cmp_lt_u32_e64 s[12:13], 7, v17
	s_and_b64 s[6:7], s[24:25], s[6:7]
	s_and_b64 s[28:29], s[22:23], s[28:29]
	;; [unrolled: 1-line block ×3, first 2 shown]
	v_cmp_lt_u32_e64 s[14:15], 2, v17
	v_cmp_lt_u32_e64 s[16:17], 4, v17
	;; [unrolled: 1-line block ×3, first 2 shown]
	v_cndmask_b32_e64 v17, v0, v1, s[6:7]
	v_cndmask_b32_e64 v22, v3, v2, s[28:29]
	s_and_b64 s[34:35], s[12:13], s[34:35]
	v_cndmask_b32_e64 v0, v1, v0, s[6:7]
	v_cndmask_b32_e64 v1, v2, v3, s[28:29]
	;; [unrolled: 1-line block ×5, first 2 shown]
	v_cmp_gt_i32_e64 s[6:7], v0, v1
	v_cmp_gt_i32_e64 s[28:29], v22, v2
	;; [unrolled: 1-line block ×3, first 2 shown]
	s_and_b64 s[6:7], s[14:15], s[6:7]
	s_and_b64 s[28:29], s[16:17], s[28:29]
	v_cndmask_b32_e64 v4, v1, v0, s[6:7]
	s_and_b64 s[30:31], s[18:19], s[30:31]
	v_cndmask_b32_e64 v0, v0, v1, s[6:7]
	v_cndmask_b32_e64 v1, v22, v2, s[28:29]
	;; [unrolled: 1-line block ×6, first 2 shown]
	v_cmp_gt_i32_e64 s[28:29], v17, v0
	v_cmp_gt_i32_e64 s[30:31], v4, v1
	;; [unrolled: 1-line block ×3, first 2 shown]
	s_and_b64 s[28:29], s[24:25], s[28:29]
	s_and_b64 s[30:31], s[22:23], s[30:31]
	v_cmp_gt_i32_e64 s[34:35], v5, v2
	s_and_b64 s[6:7], s[12:13], s[6:7]
	v_cndmask_b32_e64 v7, v17, v0, s[28:29]
	v_cndmask_b32_e64 v22, v1, v4, s[30:31]
	;; [unrolled: 1-line block ×5, first 2 shown]
	s_and_b64 s[34:35], s[20:21], s[34:35]
	v_cndmask_b32_e64 v6, v6, v24, s[6:7]
	v_cmp_gt_i32_e64 s[6:7], v0, v1
	v_cndmask_b32_e64 v23, v2, v5, s[34:35]
	v_cndmask_b32_e64 v2, v5, v2, s[34:35]
	s_and_b64 s[6:7], s[14:15], s[6:7]
	v_cndmask_b32_e64 v4, v1, v0, s[6:7]
	v_cndmask_b32_e64 v0, v0, v1, s[6:7]
	v_cmp_gt_i32_e64 s[6:7], v22, v2
	s_and_b64 s[6:7], s[16:17], s[6:7]
	v_cndmask_b32_e64 v1, v2, v22, s[6:7]
	v_cndmask_b32_e64 v2, v22, v2, s[6:7]
	v_cmp_gt_i32_e64 s[6:7], v23, v6
	;; [unrolled: 4-line block ×16, first 2 shown]
	v_mbcnt_lo_u32_b32 v17, -1, 0
	s_and_b64 s[6:7], s[18:19], s[6:7]
	v_mbcnt_hi_u32_b32 v23, -1, v17
	v_cndmask_b32_e64 v6, v22, v5, s[6:7]
	v_cndmask_b32_e64 v5, v5, v22, s[6:7]
	v_and_b32_e32 v16, 0xfffffe00, v16
	v_lshlrev_b32_e32 v22, 5, v23
	v_lshlrev_b32_e32 v23, 3, v23
	v_sub_u32_e64 v17, s39, v16 clamp
	v_or_b32_e32 v24, 8, v23
	v_min_u32_e32 v24, v17, v24
	v_add_u32_e32 v25, 8, v24
	v_and_b32_e32 v28, 0x3f0, v23
	v_min_u32_e32 v25, v17, v25
	v_and_b32_e32 v26, 8, v23
	v_min_u32_e32 v29, v17, v26
	v_sub_u32_e32 v30, v24, v28
	v_sub_u32_e32 v27, v25, v24
	v_lshlrev_b32_e32 v16, 2, v16
	v_sub_u32_e64 v27, v29, v27 clamp
	v_min_u32_e32 v30, v29, v30
	v_add_u32_e32 v22, v16, v22
	v_lshl_add_u32 v26, v28, 2, v16
	v_cmp_lt_u32_e64 s[6:7], v27, v30
	ds_write_b128 v22, v[0:3]
	ds_write_b128 v22, v[4:7] offset:16
	; wave barrier
	s_and_saveexec_b64 s[12:13], s[6:7]
	s_cbranch_execz .LBB3081_106
; %bb.103:
	v_lshlrev_b32_e32 v31, 2, v24
	v_lshlrev_b32_e32 v32, 2, v29
	v_add3_u32 v31, v16, v31, v32
	s_mov_b64 s[14:15], 0
.LBB3081_104:                           ; =>This Inner Loop Header: Depth=1
	v_add_u32_e32 v32, v30, v27
	v_lshrrev_b32_e32 v32, 1, v32
	v_not_b32_e32 v33, v32
	v_lshl_add_u32 v34, v32, 2, v26
	v_lshl_add_u32 v33, v33, 2, v31
	ds_read_b32 v34, v34
	ds_read_b32 v33, v33
	v_add_u32_e32 v35, 1, v32
	s_waitcnt lgkmcnt(0)
	v_cmp_gt_i32_e64 s[6:7], v34, v33
	v_cndmask_b32_e64 v30, v30, v32, s[6:7]
	v_cndmask_b32_e64 v27, v35, v27, s[6:7]
	v_cmp_ge_u32_e64 s[6:7], v27, v30
	s_or_b64 s[14:15], s[6:7], s[14:15]
	s_andn2_b64 exec, exec, s[14:15]
	s_cbranch_execnz .LBB3081_104
; %bb.105:
	s_or_b64 exec, exec, s[14:15]
.LBB3081_106:
	s_or_b64 exec, exec, s[12:13]
	v_add_u32_e32 v29, v24, v29
	v_add_u32_e32 v28, v27, v28
	v_sub_u32_e32 v29, v29, v27
	v_cmp_le_u32_e64 s[6:7], v28, v24
	v_cmp_le_u32_e64 s[12:13], v29, v25
	s_or_b64 s[6:7], s[6:7], s[12:13]
	s_and_saveexec_b64 s[12:13], s[6:7]
	s_xor_b64 s[28:29], exec, s[12:13]
	s_cbranch_execz .LBB3081_112
; %bb.107:
	v_cmp_lt_u32_e64 s[12:13], v28, v24
                                        ; implicit-def: $vgpr0
	s_and_saveexec_b64 s[6:7], s[12:13]
	s_cbranch_execz .LBB3081_109
; %bb.108:
	v_lshl_add_u32 v0, v27, 2, v26
	ds_read_b32 v0, v0
.LBB3081_109:
	s_or_b64 exec, exec, s[6:7]
	v_cmp_ge_u32_e64 s[14:15], v29, v25
	v_cmp_lt_u32_e64 s[6:7], v29, v25
                                        ; implicit-def: $vgpr1
	s_and_saveexec_b64 s[16:17], s[6:7]
	s_cbranch_execz .LBB3081_111
; %bb.110:
	v_lshl_add_u32 v1, v29, 2, v16
	ds_read_b32 v1, v1
.LBB3081_111:
	s_or_b64 exec, exec, s[16:17]
	s_waitcnt lgkmcnt(0)
	v_cmp_le_i32_e64 s[6:7], v0, v1
	s_and_b64 s[6:7], s[12:13], s[6:7]
	s_or_b64 s[6:7], s[14:15], s[6:7]
	v_cndmask_b32_e64 v2, v29, v28, s[6:7]
	v_cndmask_b32_e64 v3, v25, v24, s[6:7]
	v_add_u32_e32 v2, 1, v2
	v_add_u32_e32 v3, -1, v3
	v_min_u32_e32 v3, v2, v3
	v_lshl_add_u32 v3, v3, 2, v16
	ds_read_b32 v3, v3
	v_cndmask_b32_e64 v4, v2, v29, s[6:7]
	v_cndmask_b32_e64 v2, v28, v2, s[6:7]
	v_cmp_lt_u32_e64 s[14:15], v2, v24
	v_cmp_ge_u32_e64 s[12:13], v4, v25
	s_waitcnt lgkmcnt(0)
	v_cndmask_b32_e64 v5, v3, v1, s[6:7]
	v_cndmask_b32_e64 v3, v0, v3, s[6:7]
	v_cmp_le_i32_e64 s[16:17], v3, v5
	s_and_b64 s[14:15], s[14:15], s[16:17]
	s_or_b64 s[12:13], s[12:13], s[14:15]
	v_cndmask_b32_e64 v6, v4, v2, s[12:13]
	v_cndmask_b32_e64 v7, v25, v24, s[12:13]
	v_add_u32_e32 v6, 1, v6
	v_add_u32_e32 v7, -1, v7
	v_min_u32_e32 v7, v6, v7
	v_lshl_add_u32 v7, v7, 2, v16
	ds_read_b32 v7, v7
	v_cndmask_b32_e64 v2, v2, v6, s[12:13]
	v_cndmask_b32_e64 v4, v6, v4, s[12:13]
	v_cmp_lt_u32_e64 s[16:17], v2, v24
	v_cmp_ge_u32_e64 s[14:15], v4, v25
	s_waitcnt lgkmcnt(0)
	v_cndmask_b32_e64 v26, v7, v5, s[12:13]
	v_cndmask_b32_e64 v7, v3, v7, s[12:13]
	;; [unrolled: 17-line block ×5, first 2 shown]
	v_cmp_le_i32_e64 s[24:25], v31, v32
	s_and_b64 s[22:23], s[22:23], s[24:25]
	s_or_b64 s[20:21], s[20:21], s[22:23]
	v_cndmask_b32_e64 v2, v4, v6, s[20:21]
	v_cndmask_b32_e64 v33, v25, v24, s[20:21]
	v_add_u32_e32 v34, 1, v2
	v_add_u32_e32 v2, -1, v33
	v_min_u32_e32 v2, v34, v2
	v_lshl_add_u32 v2, v2, 2, v16
	ds_read_b32 v33, v2
	v_cndmask_b32_e64 v2, v26, v7, s[14:15]
	v_cndmask_b32_e64 v0, v1, v0, s[6:7]
	;; [unrolled: 1-line block ×4, first 2 shown]
	s_waitcnt lgkmcnt(0)
	v_cndmask_b32_e64 v7, v33, v32, s[20:21]
	v_cndmask_b32_e64 v26, v31, v33, s[20:21]
	;; [unrolled: 1-line block ×4, first 2 shown]
	v_cmp_lt_u32_e64 s[12:13], v34, v24
	v_cmp_le_i32_e64 s[14:15], v26, v7
	v_cmp_ge_u32_e64 s[6:7], v33, v25
	s_and_b64 s[12:13], s[12:13], s[14:15]
	s_or_b64 s[6:7], s[6:7], s[12:13]
	v_cndmask_b32_e64 v3, v33, v34, s[6:7]
	v_cndmask_b32_e64 v4, v25, v24, s[6:7]
	v_add_u32_e32 v35, 1, v3
	v_add_u32_e32 v3, -1, v4
	v_min_u32_e32 v3, v35, v3
	v_lshl_add_u32 v3, v3, 2, v16
	ds_read_b32 v36, v3
	v_cndmask_b32_e64 v3, v28, v27, s[16:17]
	v_cndmask_b32_e64 v6, v7, v26, s[6:7]
	;; [unrolled: 1-line block ×4, first 2 shown]
	s_waitcnt lgkmcnt(0)
	v_cndmask_b32_e64 v26, v26, v36, s[6:7]
	v_cndmask_b32_e64 v7, v36, v7, s[6:7]
	;; [unrolled: 1-line block ×3, first 2 shown]
	v_min_i32_e32 v29, v26, v7
	v_cmp_lt_u32_e64 s[6:7], v28, v24
	v_cndmask_b32_e64 v7, v7, v29, s[6:7]
	v_cmp_lt_u32_e64 s[6:7], v27, v25
	v_cndmask_b32_e64 v7, v26, v7, s[6:7]
.LBB3081_112:
	s_andn2_saveexec_b64 s[6:7], s[28:29]
	s_or_b64 exec, exec, s[6:7]
	v_and_b32_e32 v28, 0x3e0, v23
	v_or_b32_e32 v24, 16, v28
	v_min_u32_e32 v24, v17, v24
	v_add_u32_e32 v25, 16, v24
	v_min_u32_e32 v25, v17, v25
	v_and_b32_e32 v26, 24, v23
	v_min_u32_e32 v29, v17, v26
	v_sub_u32_e32 v30, v24, v28
	v_sub_u32_e32 v27, v25, v24
	v_sub_u32_e64 v27, v29, v27 clamp
	v_min_u32_e32 v30, v29, v30
	v_lshl_add_u32 v26, v28, 2, v16
	v_cmp_lt_u32_e64 s[6:7], v27, v30
	; wave barrier
	ds_write_b128 v22, v[0:3]
	ds_write_b128 v22, v[4:7] offset:16
	; wave barrier
	s_and_saveexec_b64 s[12:13], s[6:7]
	s_cbranch_execz .LBB3081_116
; %bb.113:
	v_lshlrev_b32_e32 v31, 2, v24
	v_lshlrev_b32_e32 v32, 2, v29
	v_add3_u32 v31, v16, v31, v32
	s_mov_b64 s[14:15], 0
.LBB3081_114:                           ; =>This Inner Loop Header: Depth=1
	v_add_u32_e32 v32, v30, v27
	v_lshrrev_b32_e32 v32, 1, v32
	v_not_b32_e32 v33, v32
	v_lshl_add_u32 v34, v32, 2, v26
	v_lshl_add_u32 v33, v33, 2, v31
	ds_read_b32 v34, v34
	ds_read_b32 v33, v33
	v_add_u32_e32 v35, 1, v32
	s_waitcnt lgkmcnt(0)
	v_cmp_gt_i32_e64 s[6:7], v34, v33
	v_cndmask_b32_e64 v30, v30, v32, s[6:7]
	v_cndmask_b32_e64 v27, v35, v27, s[6:7]
	v_cmp_ge_u32_e64 s[6:7], v27, v30
	s_or_b64 s[14:15], s[6:7], s[14:15]
	s_andn2_b64 exec, exec, s[14:15]
	s_cbranch_execnz .LBB3081_114
; %bb.115:
	s_or_b64 exec, exec, s[14:15]
.LBB3081_116:
	s_or_b64 exec, exec, s[12:13]
	v_add_u32_e32 v29, v24, v29
	v_add_u32_e32 v28, v27, v28
	v_sub_u32_e32 v29, v29, v27
	v_cmp_le_u32_e64 s[6:7], v28, v24
	v_cmp_le_u32_e64 s[12:13], v29, v25
	s_or_b64 s[6:7], s[6:7], s[12:13]
	s_and_saveexec_b64 s[28:29], s[6:7]
	s_cbranch_execz .LBB3081_122
; %bb.117:
	v_cmp_lt_u32_e64 s[12:13], v28, v24
                                        ; implicit-def: $vgpr0
	s_and_saveexec_b64 s[6:7], s[12:13]
	s_cbranch_execz .LBB3081_119
; %bb.118:
	v_lshl_add_u32 v0, v27, 2, v26
	ds_read_b32 v0, v0
.LBB3081_119:
	s_or_b64 exec, exec, s[6:7]
	v_cmp_ge_u32_e64 s[14:15], v29, v25
	v_cmp_lt_u32_e64 s[6:7], v29, v25
                                        ; implicit-def: $vgpr1
	s_and_saveexec_b64 s[16:17], s[6:7]
	s_cbranch_execz .LBB3081_121
; %bb.120:
	v_lshl_add_u32 v1, v29, 2, v16
	ds_read_b32 v1, v1
.LBB3081_121:
	s_or_b64 exec, exec, s[16:17]
	s_waitcnt lgkmcnt(0)
	v_cmp_le_i32_e64 s[6:7], v0, v1
	s_and_b64 s[6:7], s[12:13], s[6:7]
	s_or_b64 s[6:7], s[14:15], s[6:7]
	v_cndmask_b32_e64 v2, v29, v28, s[6:7]
	v_cndmask_b32_e64 v3, v25, v24, s[6:7]
	v_add_u32_e32 v2, 1, v2
	v_add_u32_e32 v3, -1, v3
	v_min_u32_e32 v3, v2, v3
	v_lshl_add_u32 v3, v3, 2, v16
	ds_read_b32 v3, v3
	v_cndmask_b32_e64 v4, v2, v29, s[6:7]
	v_cndmask_b32_e64 v2, v28, v2, s[6:7]
	v_cmp_lt_u32_e64 s[14:15], v2, v24
	v_cmp_ge_u32_e64 s[12:13], v4, v25
	s_waitcnt lgkmcnt(0)
	v_cndmask_b32_e64 v5, v3, v1, s[6:7]
	v_cndmask_b32_e64 v3, v0, v3, s[6:7]
	v_cmp_le_i32_e64 s[16:17], v3, v5
	s_and_b64 s[14:15], s[14:15], s[16:17]
	s_or_b64 s[12:13], s[12:13], s[14:15]
	v_cndmask_b32_e64 v6, v4, v2, s[12:13]
	v_cndmask_b32_e64 v7, v25, v24, s[12:13]
	v_add_u32_e32 v6, 1, v6
	v_add_u32_e32 v7, -1, v7
	v_min_u32_e32 v7, v6, v7
	v_lshl_add_u32 v7, v7, 2, v16
	ds_read_b32 v7, v7
	v_cndmask_b32_e64 v2, v2, v6, s[12:13]
	v_cndmask_b32_e64 v4, v6, v4, s[12:13]
	v_cmp_lt_u32_e64 s[16:17], v2, v24
	v_cmp_ge_u32_e64 s[14:15], v4, v25
	s_waitcnt lgkmcnt(0)
	v_cndmask_b32_e64 v26, v7, v5, s[12:13]
	v_cndmask_b32_e64 v7, v3, v7, s[12:13]
	;; [unrolled: 17-line block ×5, first 2 shown]
	v_cmp_le_i32_e64 s[24:25], v31, v32
	s_and_b64 s[22:23], s[22:23], s[24:25]
	s_or_b64 s[20:21], s[20:21], s[22:23]
	v_cndmask_b32_e64 v2, v4, v6, s[20:21]
	v_cndmask_b32_e64 v33, v25, v24, s[20:21]
	v_add_u32_e32 v34, 1, v2
	v_add_u32_e32 v2, -1, v33
	v_min_u32_e32 v2, v34, v2
	v_lshl_add_u32 v2, v2, 2, v16
	ds_read_b32 v33, v2
	v_cndmask_b32_e64 v2, v26, v7, s[14:15]
	v_cndmask_b32_e64 v0, v1, v0, s[6:7]
	;; [unrolled: 1-line block ×4, first 2 shown]
	s_waitcnt lgkmcnt(0)
	v_cndmask_b32_e64 v7, v33, v32, s[20:21]
	v_cndmask_b32_e64 v26, v31, v33, s[20:21]
	;; [unrolled: 1-line block ×4, first 2 shown]
	v_cmp_lt_u32_e64 s[12:13], v34, v24
	v_cmp_le_i32_e64 s[14:15], v26, v7
	v_cmp_ge_u32_e64 s[6:7], v33, v25
	s_and_b64 s[12:13], s[12:13], s[14:15]
	s_or_b64 s[6:7], s[6:7], s[12:13]
	v_cndmask_b32_e64 v3, v33, v34, s[6:7]
	v_cndmask_b32_e64 v4, v25, v24, s[6:7]
	v_add_u32_e32 v35, 1, v3
	v_add_u32_e32 v3, -1, v4
	v_min_u32_e32 v3, v35, v3
	v_lshl_add_u32 v3, v3, 2, v16
	ds_read_b32 v36, v3
	v_cndmask_b32_e64 v3, v28, v27, s[16:17]
	v_cndmask_b32_e64 v6, v7, v26, s[6:7]
	;; [unrolled: 1-line block ×4, first 2 shown]
	s_waitcnt lgkmcnt(0)
	v_cndmask_b32_e64 v26, v26, v36, s[6:7]
	v_cndmask_b32_e64 v7, v36, v7, s[6:7]
	;; [unrolled: 1-line block ×3, first 2 shown]
	v_min_i32_e32 v29, v26, v7
	v_cmp_lt_u32_e64 s[6:7], v28, v24
	v_cndmask_b32_e64 v7, v7, v29, s[6:7]
	v_cmp_lt_u32_e64 s[6:7], v27, v25
	v_cndmask_b32_e64 v7, v26, v7, s[6:7]
.LBB3081_122:
	s_or_b64 exec, exec, s[28:29]
	v_and_b32_e32 v28, 0x3c0, v23
	v_or_b32_e32 v24, 32, v28
	v_min_u32_e32 v24, v17, v24
	v_add_u32_e32 v25, 32, v24
	v_min_u32_e32 v25, v17, v25
	v_and_b32_e32 v26, 56, v23
	v_min_u32_e32 v29, v17, v26
	v_sub_u32_e32 v30, v24, v28
	v_sub_u32_e32 v27, v25, v24
	v_sub_u32_e64 v27, v29, v27 clamp
	v_min_u32_e32 v30, v29, v30
	v_lshl_add_u32 v26, v28, 2, v16
	v_cmp_lt_u32_e64 s[6:7], v27, v30
	; wave barrier
	ds_write_b128 v22, v[0:3]
	ds_write_b128 v22, v[4:7] offset:16
	; wave barrier
	s_and_saveexec_b64 s[12:13], s[6:7]
	s_cbranch_execz .LBB3081_126
; %bb.123:
	v_lshlrev_b32_e32 v31, 2, v24
	v_lshlrev_b32_e32 v32, 2, v29
	v_add3_u32 v31, v16, v31, v32
	s_mov_b64 s[14:15], 0
.LBB3081_124:                           ; =>This Inner Loop Header: Depth=1
	v_add_u32_e32 v32, v30, v27
	v_lshrrev_b32_e32 v32, 1, v32
	v_not_b32_e32 v33, v32
	v_lshl_add_u32 v34, v32, 2, v26
	v_lshl_add_u32 v33, v33, 2, v31
	ds_read_b32 v34, v34
	ds_read_b32 v33, v33
	v_add_u32_e32 v35, 1, v32
	s_waitcnt lgkmcnt(0)
	v_cmp_gt_i32_e64 s[6:7], v34, v33
	v_cndmask_b32_e64 v30, v30, v32, s[6:7]
	v_cndmask_b32_e64 v27, v35, v27, s[6:7]
	v_cmp_ge_u32_e64 s[6:7], v27, v30
	s_or_b64 s[14:15], s[6:7], s[14:15]
	s_andn2_b64 exec, exec, s[14:15]
	s_cbranch_execnz .LBB3081_124
; %bb.125:
	s_or_b64 exec, exec, s[14:15]
.LBB3081_126:
	s_or_b64 exec, exec, s[12:13]
	v_add_u32_e32 v29, v24, v29
	v_add_u32_e32 v28, v27, v28
	v_sub_u32_e32 v29, v29, v27
	v_cmp_le_u32_e64 s[6:7], v28, v24
	v_cmp_le_u32_e64 s[12:13], v29, v25
	s_or_b64 s[6:7], s[6:7], s[12:13]
	s_and_saveexec_b64 s[28:29], s[6:7]
	s_cbranch_execz .LBB3081_132
; %bb.127:
	v_cmp_lt_u32_e64 s[12:13], v28, v24
                                        ; implicit-def: $vgpr0
	s_and_saveexec_b64 s[6:7], s[12:13]
	s_cbranch_execz .LBB3081_129
; %bb.128:
	v_lshl_add_u32 v0, v27, 2, v26
	ds_read_b32 v0, v0
.LBB3081_129:
	s_or_b64 exec, exec, s[6:7]
	v_cmp_ge_u32_e64 s[14:15], v29, v25
	v_cmp_lt_u32_e64 s[6:7], v29, v25
                                        ; implicit-def: $vgpr1
	s_and_saveexec_b64 s[16:17], s[6:7]
	s_cbranch_execz .LBB3081_131
; %bb.130:
	v_lshl_add_u32 v1, v29, 2, v16
	ds_read_b32 v1, v1
.LBB3081_131:
	s_or_b64 exec, exec, s[16:17]
	s_waitcnt lgkmcnt(0)
	v_cmp_le_i32_e64 s[6:7], v0, v1
	s_and_b64 s[6:7], s[12:13], s[6:7]
	s_or_b64 s[6:7], s[14:15], s[6:7]
	v_cndmask_b32_e64 v2, v29, v28, s[6:7]
	v_cndmask_b32_e64 v3, v25, v24, s[6:7]
	v_add_u32_e32 v2, 1, v2
	v_add_u32_e32 v3, -1, v3
	v_min_u32_e32 v3, v2, v3
	v_lshl_add_u32 v3, v3, 2, v16
	ds_read_b32 v3, v3
	v_cndmask_b32_e64 v4, v2, v29, s[6:7]
	v_cndmask_b32_e64 v2, v28, v2, s[6:7]
	v_cmp_lt_u32_e64 s[14:15], v2, v24
	v_cmp_ge_u32_e64 s[12:13], v4, v25
	s_waitcnt lgkmcnt(0)
	v_cndmask_b32_e64 v5, v3, v1, s[6:7]
	v_cndmask_b32_e64 v3, v0, v3, s[6:7]
	v_cmp_le_i32_e64 s[16:17], v3, v5
	s_and_b64 s[14:15], s[14:15], s[16:17]
	s_or_b64 s[12:13], s[12:13], s[14:15]
	v_cndmask_b32_e64 v6, v4, v2, s[12:13]
	v_cndmask_b32_e64 v7, v25, v24, s[12:13]
	v_add_u32_e32 v6, 1, v6
	v_add_u32_e32 v7, -1, v7
	v_min_u32_e32 v7, v6, v7
	v_lshl_add_u32 v7, v7, 2, v16
	ds_read_b32 v7, v7
	v_cndmask_b32_e64 v2, v2, v6, s[12:13]
	v_cndmask_b32_e64 v4, v6, v4, s[12:13]
	v_cmp_lt_u32_e64 s[16:17], v2, v24
	v_cmp_ge_u32_e64 s[14:15], v4, v25
	s_waitcnt lgkmcnt(0)
	v_cndmask_b32_e64 v26, v7, v5, s[12:13]
	v_cndmask_b32_e64 v7, v3, v7, s[12:13]
	;; [unrolled: 17-line block ×5, first 2 shown]
	v_cmp_le_i32_e64 s[24:25], v31, v32
	s_and_b64 s[22:23], s[22:23], s[24:25]
	s_or_b64 s[20:21], s[20:21], s[22:23]
	v_cndmask_b32_e64 v2, v4, v6, s[20:21]
	v_cndmask_b32_e64 v33, v25, v24, s[20:21]
	v_add_u32_e32 v34, 1, v2
	v_add_u32_e32 v2, -1, v33
	v_min_u32_e32 v2, v34, v2
	v_lshl_add_u32 v2, v2, 2, v16
	ds_read_b32 v33, v2
	v_cndmask_b32_e64 v2, v26, v7, s[14:15]
	v_cndmask_b32_e64 v0, v1, v0, s[6:7]
	;; [unrolled: 1-line block ×4, first 2 shown]
	s_waitcnt lgkmcnt(0)
	v_cndmask_b32_e64 v7, v33, v32, s[20:21]
	v_cndmask_b32_e64 v26, v31, v33, s[20:21]
	;; [unrolled: 1-line block ×4, first 2 shown]
	v_cmp_lt_u32_e64 s[12:13], v34, v24
	v_cmp_le_i32_e64 s[14:15], v26, v7
	v_cmp_ge_u32_e64 s[6:7], v33, v25
	s_and_b64 s[12:13], s[12:13], s[14:15]
	s_or_b64 s[6:7], s[6:7], s[12:13]
	v_cndmask_b32_e64 v3, v33, v34, s[6:7]
	v_cndmask_b32_e64 v4, v25, v24, s[6:7]
	v_add_u32_e32 v35, 1, v3
	v_add_u32_e32 v3, -1, v4
	v_min_u32_e32 v3, v35, v3
	v_lshl_add_u32 v3, v3, 2, v16
	ds_read_b32 v36, v3
	v_cndmask_b32_e64 v3, v28, v27, s[16:17]
	v_cndmask_b32_e64 v6, v7, v26, s[6:7]
	;; [unrolled: 1-line block ×4, first 2 shown]
	s_waitcnt lgkmcnt(0)
	v_cndmask_b32_e64 v26, v26, v36, s[6:7]
	v_cndmask_b32_e64 v7, v36, v7, s[6:7]
	;; [unrolled: 1-line block ×3, first 2 shown]
	v_min_i32_e32 v29, v26, v7
	v_cmp_lt_u32_e64 s[6:7], v28, v24
	v_cndmask_b32_e64 v7, v7, v29, s[6:7]
	v_cmp_lt_u32_e64 s[6:7], v27, v25
	v_cndmask_b32_e64 v7, v26, v7, s[6:7]
.LBB3081_132:
	s_or_b64 exec, exec, s[28:29]
	v_and_b32_e32 v25, 0x380, v23
	; wave barrier
	ds_write_b128 v22, v[0:3]
	ds_write_b128 v22, v[4:7] offset:16
	v_or_b32_e32 v22, 64, v25
	v_min_u32_e32 v22, v17, v22
	v_add_u32_e32 v24, 64, v22
	v_min_u32_e32 v24, v17, v24
	v_and_b32_e32 v23, 0x78, v23
	v_min_u32_e32 v26, v17, v23
	v_sub_u32_e32 v27, v22, v25
	v_sub_u32_e32 v23, v24, v22
	v_sub_u32_e64 v23, v26, v23 clamp
	v_min_u32_e32 v27, v26, v27
	v_lshl_add_u32 v17, v25, 2, v16
	v_cmp_lt_u32_e64 s[6:7], v23, v27
	; wave barrier
	s_and_saveexec_b64 s[12:13], s[6:7]
	s_cbranch_execz .LBB3081_136
; %bb.133:
	v_lshlrev_b32_e32 v28, 2, v22
	v_lshlrev_b32_e32 v29, 2, v26
	v_add3_u32 v28, v16, v28, v29
	s_mov_b64 s[14:15], 0
.LBB3081_134:                           ; =>This Inner Loop Header: Depth=1
	v_add_u32_e32 v29, v27, v23
	v_lshrrev_b32_e32 v29, 1, v29
	v_not_b32_e32 v30, v29
	v_lshl_add_u32 v31, v29, 2, v17
	v_lshl_add_u32 v30, v30, 2, v28
	ds_read_b32 v31, v31
	ds_read_b32 v30, v30
	v_add_u32_e32 v32, 1, v29
	s_waitcnt lgkmcnt(0)
	v_cmp_gt_i32_e64 s[6:7], v31, v30
	v_cndmask_b32_e64 v27, v27, v29, s[6:7]
	v_cndmask_b32_e64 v23, v32, v23, s[6:7]
	v_cmp_ge_u32_e64 s[6:7], v23, v27
	s_or_b64 s[14:15], s[6:7], s[14:15]
	s_andn2_b64 exec, exec, s[14:15]
	s_cbranch_execnz .LBB3081_134
; %bb.135:
	s_or_b64 exec, exec, s[14:15]
.LBB3081_136:
	s_or_b64 exec, exec, s[12:13]
	v_add_u32_e32 v26, v22, v26
	v_add_u32_e32 v25, v23, v25
	v_sub_u32_e32 v26, v26, v23
	v_cmp_le_u32_e64 s[6:7], v25, v22
	v_cmp_le_u32_e64 s[12:13], v26, v24
	s_or_b64 s[6:7], s[6:7], s[12:13]
	s_and_saveexec_b64 s[28:29], s[6:7]
	s_cbranch_execz .LBB3081_142
; %bb.137:
	v_cmp_lt_u32_e64 s[12:13], v25, v22
                                        ; implicit-def: $vgpr0
	s_and_saveexec_b64 s[6:7], s[12:13]
	s_cbranch_execz .LBB3081_139
; %bb.138:
	v_lshl_add_u32 v0, v23, 2, v17
	ds_read_b32 v0, v0
.LBB3081_139:
	s_or_b64 exec, exec, s[6:7]
	v_cmp_ge_u32_e64 s[14:15], v26, v24
	v_cmp_lt_u32_e64 s[6:7], v26, v24
                                        ; implicit-def: $vgpr1
	s_and_saveexec_b64 s[16:17], s[6:7]
	s_cbranch_execz .LBB3081_141
; %bb.140:
	v_lshl_add_u32 v1, v26, 2, v16
	ds_read_b32 v1, v1
.LBB3081_141:
	s_or_b64 exec, exec, s[16:17]
	s_waitcnt lgkmcnt(0)
	v_cmp_le_i32_e64 s[6:7], v0, v1
	s_and_b64 s[6:7], s[12:13], s[6:7]
	s_or_b64 s[6:7], s[14:15], s[6:7]
	v_cndmask_b32_e64 v2, v26, v25, s[6:7]
	v_cndmask_b32_e64 v3, v24, v22, s[6:7]
	v_add_u32_e32 v2, 1, v2
	v_add_u32_e32 v3, -1, v3
	v_min_u32_e32 v3, v2, v3
	v_lshl_add_u32 v3, v3, 2, v16
	ds_read_b32 v3, v3
	v_cndmask_b32_e64 v4, v2, v26, s[6:7]
	v_cndmask_b32_e64 v2, v25, v2, s[6:7]
	v_cmp_lt_u32_e64 s[14:15], v2, v22
	v_cmp_ge_u32_e64 s[12:13], v4, v24
	s_waitcnt lgkmcnt(0)
	v_cndmask_b32_e64 v5, v3, v1, s[6:7]
	v_cndmask_b32_e64 v3, v0, v3, s[6:7]
	v_cmp_le_i32_e64 s[16:17], v3, v5
	s_and_b64 s[14:15], s[14:15], s[16:17]
	s_or_b64 s[12:13], s[12:13], s[14:15]
	v_cndmask_b32_e64 v6, v4, v2, s[12:13]
	v_cndmask_b32_e64 v7, v24, v22, s[12:13]
	v_add_u32_e32 v6, 1, v6
	v_add_u32_e32 v7, -1, v7
	v_min_u32_e32 v7, v6, v7
	v_lshl_add_u32 v7, v7, 2, v16
	ds_read_b32 v7, v7
	v_cndmask_b32_e64 v2, v2, v6, s[12:13]
	v_cndmask_b32_e64 v4, v6, v4, s[12:13]
	v_cmp_lt_u32_e64 s[16:17], v2, v22
	v_cmp_ge_u32_e64 s[14:15], v4, v24
	s_waitcnt lgkmcnt(0)
	v_cndmask_b32_e64 v17, v7, v5, s[12:13]
	v_cndmask_b32_e64 v7, v3, v7, s[12:13]
	v_cmp_le_i32_e64 s[18:19], v7, v17
	s_and_b64 s[16:17], s[16:17], s[18:19]
	s_or_b64 s[14:15], s[14:15], s[16:17]
	v_cndmask_b32_e64 v6, v4, v2, s[14:15]
	v_cndmask_b32_e64 v23, v24, v22, s[14:15]
	v_add_u32_e32 v6, 1, v6
	v_add_u32_e32 v23, -1, v23
	v_min_u32_e32 v23, v6, v23
	v_lshl_add_u32 v23, v23, 2, v16
	ds_read_b32 v23, v23
	v_cndmask_b32_e64 v2, v2, v6, s[14:15]
	v_cndmask_b32_e64 v4, v6, v4, s[14:15]
	v_cmp_lt_u32_e64 s[18:19], v2, v22
	v_cmp_ge_u32_e64 s[16:17], v4, v24
	s_waitcnt lgkmcnt(0)
	v_cndmask_b32_e64 v25, v23, v17, s[14:15]
	v_cndmask_b32_e64 v23, v7, v23, s[14:15]
	v_cmp_le_i32_e64 s[20:21], v23, v25
	s_and_b64 s[18:19], s[18:19], s[20:21]
	s_or_b64 s[16:17], s[16:17], s[18:19]
	v_cndmask_b32_e64 v6, v4, v2, s[16:17]
	v_cndmask_b32_e64 v26, v24, v22, s[16:17]
	v_add_u32_e32 v6, 1, v6
	v_add_u32_e32 v26, -1, v26
	v_min_u32_e32 v26, v6, v26
	v_lshl_add_u32 v26, v26, 2, v16
	ds_read_b32 v26, v26
	v_cndmask_b32_e64 v2, v2, v6, s[16:17]
	v_cndmask_b32_e64 v4, v6, v4, s[16:17]
	v_cmp_lt_u32_e64 s[20:21], v2, v22
	v_cmp_ge_u32_e64 s[18:19], v4, v24
	s_waitcnt lgkmcnt(0)
	v_cndmask_b32_e64 v27, v26, v25, s[16:17]
	v_cndmask_b32_e64 v26, v23, v26, s[16:17]
	v_cmp_le_i32_e64 s[22:23], v26, v27
	s_and_b64 s[20:21], s[20:21], s[22:23]
	s_or_b64 s[18:19], s[18:19], s[20:21]
	v_cndmask_b32_e64 v6, v4, v2, s[18:19]
	v_cndmask_b32_e64 v28, v24, v22, s[18:19]
	v_add_u32_e32 v6, 1, v6
	v_add_u32_e32 v28, -1, v28
	v_min_u32_e32 v28, v6, v28
	v_lshl_add_u32 v28, v28, 2, v16
	ds_read_b32 v28, v28
	v_cndmask_b32_e64 v4, v6, v4, s[18:19]
	v_cndmask_b32_e64 v6, v2, v6, s[18:19]
	v_cmp_lt_u32_e64 s[22:23], v6, v22
	v_cmp_ge_u32_e64 s[20:21], v4, v24
	s_waitcnt lgkmcnt(0)
	v_cndmask_b32_e64 v29, v28, v27, s[18:19]
	v_cndmask_b32_e64 v28, v26, v28, s[18:19]
	v_cmp_le_i32_e64 s[24:25], v28, v29
	s_and_b64 s[22:23], s[22:23], s[24:25]
	s_or_b64 s[20:21], s[20:21], s[22:23]
	v_cndmask_b32_e64 v2, v4, v6, s[20:21]
	v_cndmask_b32_e64 v30, v24, v22, s[20:21]
	v_add_u32_e32 v31, 1, v2
	v_add_u32_e32 v2, -1, v30
	v_min_u32_e32 v2, v31, v2
	v_lshl_add_u32 v2, v2, 2, v16
	ds_read_b32 v30, v2
	v_cndmask_b32_e64 v2, v17, v7, s[14:15]
	v_cndmask_b32_e64 v0, v1, v0, s[6:7]
	;; [unrolled: 1-line block ×4, first 2 shown]
	s_waitcnt lgkmcnt(0)
	v_cndmask_b32_e64 v7, v30, v29, s[20:21]
	v_cndmask_b32_e64 v17, v28, v30, s[20:21]
	;; [unrolled: 1-line block ×4, first 2 shown]
	v_cmp_lt_u32_e64 s[12:13], v31, v22
	v_cmp_le_i32_e64 s[14:15], v17, v7
	v_cmp_ge_u32_e64 s[6:7], v30, v24
	s_and_b64 s[12:13], s[12:13], s[14:15]
	s_or_b64 s[6:7], s[6:7], s[12:13]
	v_cndmask_b32_e64 v3, v30, v31, s[6:7]
	v_cndmask_b32_e64 v4, v24, v22, s[6:7]
	v_add_u32_e32 v32, 1, v3
	v_add_u32_e32 v3, -1, v4
	v_min_u32_e32 v3, v32, v3
	v_lshl_add_u32 v3, v3, 2, v16
	ds_read_b32 v16, v3
	v_cndmask_b32_e64 v6, v7, v17, s[6:7]
	v_cndmask_b32_e64 v3, v25, v23, s[16:17]
	;; [unrolled: 1-line block ×4, first 2 shown]
	s_waitcnt lgkmcnt(0)
	v_cndmask_b32_e64 v17, v17, v16, s[6:7]
	v_cndmask_b32_e64 v7, v16, v7, s[6:7]
	;; [unrolled: 1-line block ×3, first 2 shown]
	v_min_i32_e32 v25, v17, v7
	v_cmp_lt_u32_e64 s[6:7], v16, v22
	v_cndmask_b32_e64 v7, v7, v25, s[6:7]
	v_cmp_lt_u32_e64 s[6:7], v23, v24
	v_cndmask_b32_e64 v7, v17, v7, s[6:7]
.LBB3081_142:
	s_or_b64 exec, exec, s[28:29]
	s_cmpk_lt_u32 s39, 0x81
	v_lshlrev_b32_e32 v16, 5, v12
	; wave barrier
	s_waitcnt lgkmcnt(0)
	s_barrier
	s_cbranch_scc1 .LBB3081_155
; %bb.143:
	s_movk_i32 s30, 0x80
	s_branch .LBB3081_146
.LBB3081_144:                           ;   in Loop: Header=BB3081_146 Depth=1
	s_or_b64 exec, exec, s[16:17]
	s_waitcnt lgkmcnt(0)
	v_cmp_le_i32_e64 s[6:7], v0, v1
	s_and_b64 s[6:7], s[12:13], s[6:7]
	s_or_b64 s[6:7], s[14:15], s[6:7]
	v_cndmask_b32_e64 v2, v26, v25, s[6:7]
	v_cndmask_b32_e64 v3, v22, v17, s[6:7]
	v_add_u32_e32 v2, 1, v2
	v_add_u32_e32 v3, -1, v3
	v_min_u32_e32 v3, v2, v3
	v_lshlrev_b32_e32 v3, 2, v3
	ds_read_b32 v3, v3
	v_cndmask_b32_e64 v4, v2, v26, s[6:7]
	v_cndmask_b32_e64 v2, v25, v2, s[6:7]
	v_cmp_lt_u32_e64 s[14:15], v2, v17
	v_cmp_ge_u32_e64 s[12:13], v4, v22
	s_waitcnt lgkmcnt(0)
	v_cndmask_b32_e64 v5, v3, v1, s[6:7]
	v_cndmask_b32_e64 v3, v0, v3, s[6:7]
	v_cmp_le_i32_e64 s[16:17], v3, v5
	s_and_b64 s[14:15], s[14:15], s[16:17]
	s_or_b64 s[12:13], s[12:13], s[14:15]
	v_cndmask_b32_e64 v6, v4, v2, s[12:13]
	v_cndmask_b32_e64 v7, v22, v17, s[12:13]
	v_add_u32_e32 v6, 1, v6
	v_add_u32_e32 v7, -1, v7
	v_min_u32_e32 v7, v6, v7
	v_lshlrev_b32_e32 v7, 2, v7
	ds_read_b32 v7, v7
	v_cndmask_b32_e64 v2, v2, v6, s[12:13]
	v_cndmask_b32_e64 v4, v6, v4, s[12:13]
	v_cmp_lt_u32_e64 s[16:17], v2, v17
	v_cmp_ge_u32_e64 s[14:15], v4, v22
	s_waitcnt lgkmcnt(0)
	v_cndmask_b32_e64 v23, v7, v5, s[12:13]
	v_cndmask_b32_e64 v7, v3, v7, s[12:13]
	;; [unrolled: 17-line block ×5, first 2 shown]
	v_cmp_le_i32_e64 s[24:25], v28, v29
	s_and_b64 s[22:23], s[22:23], s[24:25]
	s_or_b64 s[20:21], s[20:21], s[22:23]
	v_cndmask_b32_e64 v2, v4, v6, s[20:21]
	v_cndmask_b32_e64 v30, v22, v17, s[20:21]
	v_add_u32_e32 v31, 1, v2
	v_add_u32_e32 v2, -1, v30
	v_min_u32_e32 v2, v31, v2
	v_lshlrev_b32_e32 v2, 2, v2
	ds_read_b32 v30, v2
	v_cndmask_b32_e64 v2, v23, v7, s[14:15]
	v_cndmask_b32_e64 v0, v1, v0, s[6:7]
	;; [unrolled: 1-line block ×4, first 2 shown]
	s_waitcnt lgkmcnt(0)
	v_cndmask_b32_e64 v7, v30, v29, s[20:21]
	v_cndmask_b32_e64 v23, v28, v30, s[20:21]
	;; [unrolled: 1-line block ×4, first 2 shown]
	v_cmp_lt_u32_e64 s[12:13], v31, v17
	v_cmp_le_i32_e64 s[14:15], v23, v7
	v_cmp_ge_u32_e64 s[6:7], v30, v22
	s_and_b64 s[12:13], s[12:13], s[14:15]
	s_or_b64 s[6:7], s[6:7], s[12:13]
	v_cndmask_b32_e64 v3, v30, v31, s[6:7]
	v_cndmask_b32_e64 v4, v22, v17, s[6:7]
	v_add_u32_e32 v32, 1, v3
	v_add_u32_e32 v3, -1, v4
	v_min_u32_e32 v3, v32, v3
	v_lshlrev_b32_e32 v3, 2, v3
	ds_read_b32 v33, v3
	v_cndmask_b32_e64 v3, v25, v24, s[16:17]
	v_cndmask_b32_e64 v6, v7, v23, s[6:7]
	;; [unrolled: 1-line block ×4, first 2 shown]
	s_waitcnt lgkmcnt(0)
	v_cndmask_b32_e64 v23, v23, v33, s[6:7]
	v_cndmask_b32_e64 v7, v33, v7, s[6:7]
	;; [unrolled: 1-line block ×3, first 2 shown]
	v_min_i32_e32 v26, v23, v7
	v_cmp_lt_u32_e64 s[6:7], v25, v17
	v_cndmask_b32_e64 v7, v7, v26, s[6:7]
	v_cmp_lt_u32_e64 s[6:7], v24, v22
	v_cndmask_b32_e64 v7, v23, v7, s[6:7]
.LBB3081_145:                           ;   in Loop: Header=BB3081_146 Depth=1
	s_or_b64 exec, exec, s[28:29]
	s_cmp_lt_u32 s30, s39
	s_barrier
	s_cbranch_scc0 .LBB3081_155
.LBB3081_146:                           ; =>This Loop Header: Depth=1
                                        ;     Child Loop BB3081_148 Depth 2
	s_mov_b32 s6, s30
	s_lshl_b32 s30, s30, 1
	s_sub_i32 s12, 0, s30
	v_and_b32_e32 v25, s12, v15
	v_add_u32_e32 v17, s6, v25
	v_min_u32_e32 v17, s39, v17
	s_add_i32 s7, s30, -1
	v_add_u32_e32 v22, s6, v17
	v_min_u32_e32 v22, s39, v22
	v_and_b32_e32 v23, s7, v15
	v_min_u32_e32 v26, s39, v23
	v_sub_u32_e32 v27, v17, v25
	v_sub_u32_e32 v24, v22, v17
	v_sub_u32_e64 v24, v26, v24 clamp
	v_min_u32_e32 v27, v26, v27
	v_lshlrev_b32_e32 v23, 2, v25
	v_cmp_lt_u32_e64 s[6:7], v24, v27
	ds_write_b128 v16, v[0:3]
	ds_write_b128 v16, v[4:7] offset:16
	s_waitcnt lgkmcnt(0)
	s_barrier
	s_and_saveexec_b64 s[12:13], s[6:7]
	s_cbranch_execz .LBB3081_150
; %bb.147:                              ;   in Loop: Header=BB3081_146 Depth=1
	v_lshlrev_b32_e32 v28, 2, v26
	v_lshl_add_u32 v28, v17, 2, v28
	s_mov_b64 s[14:15], 0
.LBB3081_148:                           ;   Parent Loop BB3081_146 Depth=1
                                        ; =>  This Inner Loop Header: Depth=2
	v_add_u32_e32 v29, v27, v24
	v_lshrrev_b32_e32 v29, 1, v29
	v_not_b32_e32 v30, v29
	v_lshl_add_u32 v31, v29, 2, v23
	v_lshl_add_u32 v30, v30, 2, v28
	ds_read_b32 v31, v31
	ds_read_b32 v30, v30
	v_add_u32_e32 v32, 1, v29
	s_waitcnt lgkmcnt(0)
	v_cmp_gt_i32_e64 s[6:7], v31, v30
	v_cndmask_b32_e64 v27, v27, v29, s[6:7]
	v_cndmask_b32_e64 v24, v32, v24, s[6:7]
	v_cmp_ge_u32_e64 s[6:7], v24, v27
	s_or_b64 s[14:15], s[6:7], s[14:15]
	s_andn2_b64 exec, exec, s[14:15]
	s_cbranch_execnz .LBB3081_148
; %bb.149:                              ;   in Loop: Header=BB3081_146 Depth=1
	s_or_b64 exec, exec, s[14:15]
.LBB3081_150:                           ;   in Loop: Header=BB3081_146 Depth=1
	s_or_b64 exec, exec, s[12:13]
	v_sub_u32_e32 v26, v26, v24
	v_add_u32_e32 v25, v24, v25
	v_add_u32_e32 v26, v26, v17
	v_cmp_le_u32_e64 s[6:7], v25, v17
	v_cmp_le_u32_e64 s[12:13], v26, v22
	s_or_b64 s[6:7], s[6:7], s[12:13]
	s_and_saveexec_b64 s[28:29], s[6:7]
	s_cbranch_execz .LBB3081_145
; %bb.151:                              ;   in Loop: Header=BB3081_146 Depth=1
	v_cmp_lt_u32_e64 s[12:13], v25, v17
                                        ; implicit-def: $vgpr0
	s_and_saveexec_b64 s[6:7], s[12:13]
	s_cbranch_execz .LBB3081_153
; %bb.152:                              ;   in Loop: Header=BB3081_146 Depth=1
	v_lshl_add_u32 v0, v24, 2, v23
	ds_read_b32 v0, v0
.LBB3081_153:                           ;   in Loop: Header=BB3081_146 Depth=1
	s_or_b64 exec, exec, s[6:7]
	v_cmp_ge_u32_e64 s[14:15], v26, v22
	v_cmp_lt_u32_e64 s[6:7], v26, v22
                                        ; implicit-def: $vgpr1
	s_and_saveexec_b64 s[16:17], s[6:7]
	s_cbranch_execz .LBB3081_144
; %bb.154:                              ;   in Loop: Header=BB3081_146 Depth=1
	v_lshlrev_b32_e32 v1, 2, v26
	ds_read_b32 v1, v1
	s_branch .LBB3081_144
.LBB3081_155:
	v_lshl_add_u32 v14, v14, 2, v16
	s_barrier
	ds_write2_b32 v14, v0, v1 offset1:1
	ds_write2_b32 v14, v2, v3 offset0:2 offset1:3
	ds_write2_b32 v14, v4, v5 offset0:4 offset1:5
	;; [unrolled: 1-line block ×3, first 2 shown]
	s_waitcnt lgkmcnt(0)
	s_barrier
	ds_read_b32 v9, v9 offset:1024
	ds_read_b32 v7, v10 offset:2048
	;; [unrolled: 1-line block ×7, first 2 shown]
	v_mov_b32_e32 v1, s38
	v_add_co_u32_e64 v0, s[6:7], s33, v11
	v_mov_b32_e32 v13, 0
	v_addc_co_u32_e64 v1, s[6:7], 0, v1, s[6:7]
	s_and_saveexec_b64 s[6:7], vcc
	s_cbranch_execnz .LBB3081_167
; %bb.156:
	s_or_b64 exec, exec, s[6:7]
	s_and_saveexec_b64 s[6:7], s[0:1]
	s_cbranch_execnz .LBB3081_168
.LBB3081_157:
	s_or_b64 exec, exec, s[6:7]
	s_and_saveexec_b64 s[0:1], s[2:3]
	s_cbranch_execnz .LBB3081_169
.LBB3081_158:
	s_or_b64 exec, exec, s[0:1]
	s_and_saveexec_b64 s[0:1], s[4:5]
	s_cbranch_execnz .LBB3081_170
.LBB3081_159:
	s_or_b64 exec, exec, s[0:1]
	s_and_saveexec_b64 s[0:1], s[26:27]
	s_cbranch_execnz .LBB3081_171
.LBB3081_160:
	s_or_b64 exec, exec, s[0:1]
	s_and_saveexec_b64 s[0:1], s[8:9]
	s_cbranch_execnz .LBB3081_172
.LBB3081_161:
	s_or_b64 exec, exec, s[0:1]
	s_and_saveexec_b64 s[0:1], s[10:11]
	s_cbranch_execz .LBB3081_163
.LBB3081_162:
	v_add_co_u32_e32 v0, vcc, 0x1000, v0
	v_addc_co_u32_e32 v1, vcc, 0, v1, vcc
	s_waitcnt lgkmcnt(0)
	flat_store_dword v[0:1], v3 offset:2048
.LBB3081_163:
	s_or_b64 exec, exec, s[0:1]
.LBB3081_164:
	s_and_saveexec_b64 s[0:1], s[36:37]
	s_cbranch_execz .LBB3081_166
; %bb.165:
	v_lshlrev_b64 v[0:1], 2, v[12:13]
	s_waitcnt lgkmcnt(0)
	v_mov_b32_e32 v3, s38
	v_add_co_u32_e32 v0, vcc, s33, v0
	v_addc_co_u32_e32 v1, vcc, v3, v1, vcc
	v_add_co_u32_e32 v0, vcc, 0x1000, v0
	v_addc_co_u32_e32 v1, vcc, 0, v1, vcc
	flat_store_dword v[0:1], v2 offset:3072
.LBB3081_166:
	s_endpgm
.LBB3081_167:
	ds_read_b32 v8, v8
	s_waitcnt lgkmcnt(0)
	flat_store_dword v[0:1], v8
	s_or_b64 exec, exec, s[6:7]
	s_and_saveexec_b64 s[6:7], s[0:1]
	s_cbranch_execz .LBB3081_157
.LBB3081_168:
	s_waitcnt lgkmcnt(0)
	flat_store_dword v[0:1], v9 offset:1024
	s_or_b64 exec, exec, s[6:7]
	s_and_saveexec_b64 s[0:1], s[2:3]
	s_cbranch_execz .LBB3081_158
.LBB3081_169:
	s_waitcnt lgkmcnt(0)
	flat_store_dword v[0:1], v7 offset:2048
	s_or_b64 exec, exec, s[0:1]
	s_and_saveexec_b64 s[0:1], s[4:5]
	s_cbranch_execz .LBB3081_159
.LBB3081_170:
	s_waitcnt lgkmcnt(0)
	flat_store_dword v[0:1], v6 offset:3072
	s_or_b64 exec, exec, s[0:1]
	s_and_saveexec_b64 s[0:1], s[26:27]
	s_cbranch_execz .LBB3081_160
.LBB3081_171:
	s_waitcnt lgkmcnt(0)
	v_add_co_u32_e32 v6, vcc, 0x1000, v0
	v_addc_co_u32_e32 v7, vcc, 0, v1, vcc
	flat_store_dword v[6:7], v5
	s_or_b64 exec, exec, s[0:1]
	s_and_saveexec_b64 s[0:1], s[8:9]
	s_cbranch_execz .LBB3081_161
.LBB3081_172:
	s_waitcnt lgkmcnt(0)
	v_add_co_u32_e32 v6, vcc, 0x1000, v0
	v_addc_co_u32_e32 v7, vcc, 0, v1, vcc
	flat_store_dword v[6:7], v4 offset:1024
	s_or_b64 exec, exec, s[0:1]
	s_and_saveexec_b64 s[0:1], s[10:11]
	s_cbranch_execnz .LBB3081_162
	s_branch .LBB3081_163
	.section	.rodata,"a",@progbits
	.p2align	6, 0x0
	.amdhsa_kernel _ZN7rocprim17ROCPRIM_400000_NS6detail17trampoline_kernelINS0_14default_configENS1_37merge_sort_block_sort_config_selectorIiNS0_10empty_typeEEEZNS1_21merge_sort_block_sortIS3_N6thrust23THRUST_200600_302600_NS6detail15normal_iteratorINS9_10device_ptrIiEEEESE_PS5_SF_14custom_greaterIiEEE10hipError_tT0_T1_T2_T3_mRjT4_P12ihipStream_tbNS1_7vsmem_tEEUlT_E_NS1_11comp_targetILNS1_3genE4ELNS1_11target_archE910ELNS1_3gpuE8ELNS1_3repE0EEENS1_30default_config_static_selectorELNS0_4arch9wavefront6targetE1EEEvSK_
		.amdhsa_group_segment_fixed_size 8448
		.amdhsa_private_segment_fixed_size 0
		.amdhsa_kernarg_size 320
		.amdhsa_user_sgpr_count 6
		.amdhsa_user_sgpr_private_segment_buffer 1
		.amdhsa_user_sgpr_dispatch_ptr 0
		.amdhsa_user_sgpr_queue_ptr 0
		.amdhsa_user_sgpr_kernarg_segment_ptr 1
		.amdhsa_user_sgpr_dispatch_id 0
		.amdhsa_user_sgpr_flat_scratch_init 0
		.amdhsa_user_sgpr_kernarg_preload_length 0
		.amdhsa_user_sgpr_kernarg_preload_offset 0
		.amdhsa_user_sgpr_private_segment_size 0
		.amdhsa_uses_dynamic_stack 0
		.amdhsa_system_sgpr_private_segment_wavefront_offset 0
		.amdhsa_system_sgpr_workgroup_id_x 1
		.amdhsa_system_sgpr_workgroup_id_y 1
		.amdhsa_system_sgpr_workgroup_id_z 1
		.amdhsa_system_sgpr_workgroup_info 0
		.amdhsa_system_vgpr_workitem_id 2
		.amdhsa_next_free_vgpr 41
		.amdhsa_next_free_sgpr 40
		.amdhsa_accum_offset 44
		.amdhsa_reserve_vcc 1
		.amdhsa_reserve_flat_scratch 0
		.amdhsa_float_round_mode_32 0
		.amdhsa_float_round_mode_16_64 0
		.amdhsa_float_denorm_mode_32 3
		.amdhsa_float_denorm_mode_16_64 3
		.amdhsa_dx10_clamp 1
		.amdhsa_ieee_mode 1
		.amdhsa_fp16_overflow 0
		.amdhsa_tg_split 0
		.amdhsa_exception_fp_ieee_invalid_op 0
		.amdhsa_exception_fp_denorm_src 0
		.amdhsa_exception_fp_ieee_div_zero 0
		.amdhsa_exception_fp_ieee_overflow 0
		.amdhsa_exception_fp_ieee_underflow 0
		.amdhsa_exception_fp_ieee_inexact 0
		.amdhsa_exception_int_div_zero 0
	.end_amdhsa_kernel
	.section	.text._ZN7rocprim17ROCPRIM_400000_NS6detail17trampoline_kernelINS0_14default_configENS1_37merge_sort_block_sort_config_selectorIiNS0_10empty_typeEEEZNS1_21merge_sort_block_sortIS3_N6thrust23THRUST_200600_302600_NS6detail15normal_iteratorINS9_10device_ptrIiEEEESE_PS5_SF_14custom_greaterIiEEE10hipError_tT0_T1_T2_T3_mRjT4_P12ihipStream_tbNS1_7vsmem_tEEUlT_E_NS1_11comp_targetILNS1_3genE4ELNS1_11target_archE910ELNS1_3gpuE8ELNS1_3repE0EEENS1_30default_config_static_selectorELNS0_4arch9wavefront6targetE1EEEvSK_,"axG",@progbits,_ZN7rocprim17ROCPRIM_400000_NS6detail17trampoline_kernelINS0_14default_configENS1_37merge_sort_block_sort_config_selectorIiNS0_10empty_typeEEEZNS1_21merge_sort_block_sortIS3_N6thrust23THRUST_200600_302600_NS6detail15normal_iteratorINS9_10device_ptrIiEEEESE_PS5_SF_14custom_greaterIiEEE10hipError_tT0_T1_T2_T3_mRjT4_P12ihipStream_tbNS1_7vsmem_tEEUlT_E_NS1_11comp_targetILNS1_3genE4ELNS1_11target_archE910ELNS1_3gpuE8ELNS1_3repE0EEENS1_30default_config_static_selectorELNS0_4arch9wavefront6targetE1EEEvSK_,comdat
.Lfunc_end3081:
	.size	_ZN7rocprim17ROCPRIM_400000_NS6detail17trampoline_kernelINS0_14default_configENS1_37merge_sort_block_sort_config_selectorIiNS0_10empty_typeEEEZNS1_21merge_sort_block_sortIS3_N6thrust23THRUST_200600_302600_NS6detail15normal_iteratorINS9_10device_ptrIiEEEESE_PS5_SF_14custom_greaterIiEEE10hipError_tT0_T1_T2_T3_mRjT4_P12ihipStream_tbNS1_7vsmem_tEEUlT_E_NS1_11comp_targetILNS1_3genE4ELNS1_11target_archE910ELNS1_3gpuE8ELNS1_3repE0EEENS1_30default_config_static_selectorELNS0_4arch9wavefront6targetE1EEEvSK_, .Lfunc_end3081-_ZN7rocprim17ROCPRIM_400000_NS6detail17trampoline_kernelINS0_14default_configENS1_37merge_sort_block_sort_config_selectorIiNS0_10empty_typeEEEZNS1_21merge_sort_block_sortIS3_N6thrust23THRUST_200600_302600_NS6detail15normal_iteratorINS9_10device_ptrIiEEEESE_PS5_SF_14custom_greaterIiEEE10hipError_tT0_T1_T2_T3_mRjT4_P12ihipStream_tbNS1_7vsmem_tEEUlT_E_NS1_11comp_targetILNS1_3genE4ELNS1_11target_archE910ELNS1_3gpuE8ELNS1_3repE0EEENS1_30default_config_static_selectorELNS0_4arch9wavefront6targetE1EEEvSK_
                                        ; -- End function
	.section	.AMDGPU.csdata,"",@progbits
; Kernel info:
; codeLenInByte = 18472
; NumSgprs: 44
; NumVgprs: 41
; NumAgprs: 0
; TotalNumVgprs: 41
; ScratchSize: 0
; MemoryBound: 0
; FloatMode: 240
; IeeeMode: 1
; LDSByteSize: 8448 bytes/workgroup (compile time only)
; SGPRBlocks: 5
; VGPRBlocks: 5
; NumSGPRsForWavesPerEU: 44
; NumVGPRsForWavesPerEU: 41
; AccumOffset: 44
; Occupancy: 7
; WaveLimiterHint : 1
; COMPUTE_PGM_RSRC2:SCRATCH_EN: 0
; COMPUTE_PGM_RSRC2:USER_SGPR: 6
; COMPUTE_PGM_RSRC2:TRAP_HANDLER: 0
; COMPUTE_PGM_RSRC2:TGID_X_EN: 1
; COMPUTE_PGM_RSRC2:TGID_Y_EN: 1
; COMPUTE_PGM_RSRC2:TGID_Z_EN: 1
; COMPUTE_PGM_RSRC2:TIDIG_COMP_CNT: 2
; COMPUTE_PGM_RSRC3_GFX90A:ACCUM_OFFSET: 10
; COMPUTE_PGM_RSRC3_GFX90A:TG_SPLIT: 0
	.section	.text._ZN7rocprim17ROCPRIM_400000_NS6detail17trampoline_kernelINS0_14default_configENS1_37merge_sort_block_sort_config_selectorIiNS0_10empty_typeEEEZNS1_21merge_sort_block_sortIS3_N6thrust23THRUST_200600_302600_NS6detail15normal_iteratorINS9_10device_ptrIiEEEESE_PS5_SF_14custom_greaterIiEEE10hipError_tT0_T1_T2_T3_mRjT4_P12ihipStream_tbNS1_7vsmem_tEEUlT_E_NS1_11comp_targetILNS1_3genE3ELNS1_11target_archE908ELNS1_3gpuE7ELNS1_3repE0EEENS1_30default_config_static_selectorELNS0_4arch9wavefront6targetE1EEEvSK_,"axG",@progbits,_ZN7rocprim17ROCPRIM_400000_NS6detail17trampoline_kernelINS0_14default_configENS1_37merge_sort_block_sort_config_selectorIiNS0_10empty_typeEEEZNS1_21merge_sort_block_sortIS3_N6thrust23THRUST_200600_302600_NS6detail15normal_iteratorINS9_10device_ptrIiEEEESE_PS5_SF_14custom_greaterIiEEE10hipError_tT0_T1_T2_T3_mRjT4_P12ihipStream_tbNS1_7vsmem_tEEUlT_E_NS1_11comp_targetILNS1_3genE3ELNS1_11target_archE908ELNS1_3gpuE7ELNS1_3repE0EEENS1_30default_config_static_selectorELNS0_4arch9wavefront6targetE1EEEvSK_,comdat
	.protected	_ZN7rocprim17ROCPRIM_400000_NS6detail17trampoline_kernelINS0_14default_configENS1_37merge_sort_block_sort_config_selectorIiNS0_10empty_typeEEEZNS1_21merge_sort_block_sortIS3_N6thrust23THRUST_200600_302600_NS6detail15normal_iteratorINS9_10device_ptrIiEEEESE_PS5_SF_14custom_greaterIiEEE10hipError_tT0_T1_T2_T3_mRjT4_P12ihipStream_tbNS1_7vsmem_tEEUlT_E_NS1_11comp_targetILNS1_3genE3ELNS1_11target_archE908ELNS1_3gpuE7ELNS1_3repE0EEENS1_30default_config_static_selectorELNS0_4arch9wavefront6targetE1EEEvSK_ ; -- Begin function _ZN7rocprim17ROCPRIM_400000_NS6detail17trampoline_kernelINS0_14default_configENS1_37merge_sort_block_sort_config_selectorIiNS0_10empty_typeEEEZNS1_21merge_sort_block_sortIS3_N6thrust23THRUST_200600_302600_NS6detail15normal_iteratorINS9_10device_ptrIiEEEESE_PS5_SF_14custom_greaterIiEEE10hipError_tT0_T1_T2_T3_mRjT4_P12ihipStream_tbNS1_7vsmem_tEEUlT_E_NS1_11comp_targetILNS1_3genE3ELNS1_11target_archE908ELNS1_3gpuE7ELNS1_3repE0EEENS1_30default_config_static_selectorELNS0_4arch9wavefront6targetE1EEEvSK_
	.globl	_ZN7rocprim17ROCPRIM_400000_NS6detail17trampoline_kernelINS0_14default_configENS1_37merge_sort_block_sort_config_selectorIiNS0_10empty_typeEEEZNS1_21merge_sort_block_sortIS3_N6thrust23THRUST_200600_302600_NS6detail15normal_iteratorINS9_10device_ptrIiEEEESE_PS5_SF_14custom_greaterIiEEE10hipError_tT0_T1_T2_T3_mRjT4_P12ihipStream_tbNS1_7vsmem_tEEUlT_E_NS1_11comp_targetILNS1_3genE3ELNS1_11target_archE908ELNS1_3gpuE7ELNS1_3repE0EEENS1_30default_config_static_selectorELNS0_4arch9wavefront6targetE1EEEvSK_
	.p2align	8
	.type	_ZN7rocprim17ROCPRIM_400000_NS6detail17trampoline_kernelINS0_14default_configENS1_37merge_sort_block_sort_config_selectorIiNS0_10empty_typeEEEZNS1_21merge_sort_block_sortIS3_N6thrust23THRUST_200600_302600_NS6detail15normal_iteratorINS9_10device_ptrIiEEEESE_PS5_SF_14custom_greaterIiEEE10hipError_tT0_T1_T2_T3_mRjT4_P12ihipStream_tbNS1_7vsmem_tEEUlT_E_NS1_11comp_targetILNS1_3genE3ELNS1_11target_archE908ELNS1_3gpuE7ELNS1_3repE0EEENS1_30default_config_static_selectorELNS0_4arch9wavefront6targetE1EEEvSK_,@function
_ZN7rocprim17ROCPRIM_400000_NS6detail17trampoline_kernelINS0_14default_configENS1_37merge_sort_block_sort_config_selectorIiNS0_10empty_typeEEEZNS1_21merge_sort_block_sortIS3_N6thrust23THRUST_200600_302600_NS6detail15normal_iteratorINS9_10device_ptrIiEEEESE_PS5_SF_14custom_greaterIiEEE10hipError_tT0_T1_T2_T3_mRjT4_P12ihipStream_tbNS1_7vsmem_tEEUlT_E_NS1_11comp_targetILNS1_3genE3ELNS1_11target_archE908ELNS1_3gpuE7ELNS1_3repE0EEENS1_30default_config_static_selectorELNS0_4arch9wavefront6targetE1EEEvSK_: ; @_ZN7rocprim17ROCPRIM_400000_NS6detail17trampoline_kernelINS0_14default_configENS1_37merge_sort_block_sort_config_selectorIiNS0_10empty_typeEEEZNS1_21merge_sort_block_sortIS3_N6thrust23THRUST_200600_302600_NS6detail15normal_iteratorINS9_10device_ptrIiEEEESE_PS5_SF_14custom_greaterIiEEE10hipError_tT0_T1_T2_T3_mRjT4_P12ihipStream_tbNS1_7vsmem_tEEUlT_E_NS1_11comp_targetILNS1_3genE3ELNS1_11target_archE908ELNS1_3gpuE7ELNS1_3repE0EEENS1_30default_config_static_selectorELNS0_4arch9wavefront6targetE1EEEvSK_
; %bb.0:
	.section	.rodata,"a",@progbits
	.p2align	6, 0x0
	.amdhsa_kernel _ZN7rocprim17ROCPRIM_400000_NS6detail17trampoline_kernelINS0_14default_configENS1_37merge_sort_block_sort_config_selectorIiNS0_10empty_typeEEEZNS1_21merge_sort_block_sortIS3_N6thrust23THRUST_200600_302600_NS6detail15normal_iteratorINS9_10device_ptrIiEEEESE_PS5_SF_14custom_greaterIiEEE10hipError_tT0_T1_T2_T3_mRjT4_P12ihipStream_tbNS1_7vsmem_tEEUlT_E_NS1_11comp_targetILNS1_3genE3ELNS1_11target_archE908ELNS1_3gpuE7ELNS1_3repE0EEENS1_30default_config_static_selectorELNS0_4arch9wavefront6targetE1EEEvSK_
		.amdhsa_group_segment_fixed_size 0
		.amdhsa_private_segment_fixed_size 0
		.amdhsa_kernarg_size 64
		.amdhsa_user_sgpr_count 6
		.amdhsa_user_sgpr_private_segment_buffer 1
		.amdhsa_user_sgpr_dispatch_ptr 0
		.amdhsa_user_sgpr_queue_ptr 0
		.amdhsa_user_sgpr_kernarg_segment_ptr 1
		.amdhsa_user_sgpr_dispatch_id 0
		.amdhsa_user_sgpr_flat_scratch_init 0
		.amdhsa_user_sgpr_kernarg_preload_length 0
		.amdhsa_user_sgpr_kernarg_preload_offset 0
		.amdhsa_user_sgpr_private_segment_size 0
		.amdhsa_uses_dynamic_stack 0
		.amdhsa_system_sgpr_private_segment_wavefront_offset 0
		.amdhsa_system_sgpr_workgroup_id_x 1
		.amdhsa_system_sgpr_workgroup_id_y 0
		.amdhsa_system_sgpr_workgroup_id_z 0
		.amdhsa_system_sgpr_workgroup_info 0
		.amdhsa_system_vgpr_workitem_id 0
		.amdhsa_next_free_vgpr 1
		.amdhsa_next_free_sgpr 0
		.amdhsa_accum_offset 4
		.amdhsa_reserve_vcc 0
		.amdhsa_reserve_flat_scratch 0
		.amdhsa_float_round_mode_32 0
		.amdhsa_float_round_mode_16_64 0
		.amdhsa_float_denorm_mode_32 3
		.amdhsa_float_denorm_mode_16_64 3
		.amdhsa_dx10_clamp 1
		.amdhsa_ieee_mode 1
		.amdhsa_fp16_overflow 0
		.amdhsa_tg_split 0
		.amdhsa_exception_fp_ieee_invalid_op 0
		.amdhsa_exception_fp_denorm_src 0
		.amdhsa_exception_fp_ieee_div_zero 0
		.amdhsa_exception_fp_ieee_overflow 0
		.amdhsa_exception_fp_ieee_underflow 0
		.amdhsa_exception_fp_ieee_inexact 0
		.amdhsa_exception_int_div_zero 0
	.end_amdhsa_kernel
	.section	.text._ZN7rocprim17ROCPRIM_400000_NS6detail17trampoline_kernelINS0_14default_configENS1_37merge_sort_block_sort_config_selectorIiNS0_10empty_typeEEEZNS1_21merge_sort_block_sortIS3_N6thrust23THRUST_200600_302600_NS6detail15normal_iteratorINS9_10device_ptrIiEEEESE_PS5_SF_14custom_greaterIiEEE10hipError_tT0_T1_T2_T3_mRjT4_P12ihipStream_tbNS1_7vsmem_tEEUlT_E_NS1_11comp_targetILNS1_3genE3ELNS1_11target_archE908ELNS1_3gpuE7ELNS1_3repE0EEENS1_30default_config_static_selectorELNS0_4arch9wavefront6targetE1EEEvSK_,"axG",@progbits,_ZN7rocprim17ROCPRIM_400000_NS6detail17trampoline_kernelINS0_14default_configENS1_37merge_sort_block_sort_config_selectorIiNS0_10empty_typeEEEZNS1_21merge_sort_block_sortIS3_N6thrust23THRUST_200600_302600_NS6detail15normal_iteratorINS9_10device_ptrIiEEEESE_PS5_SF_14custom_greaterIiEEE10hipError_tT0_T1_T2_T3_mRjT4_P12ihipStream_tbNS1_7vsmem_tEEUlT_E_NS1_11comp_targetILNS1_3genE3ELNS1_11target_archE908ELNS1_3gpuE7ELNS1_3repE0EEENS1_30default_config_static_selectorELNS0_4arch9wavefront6targetE1EEEvSK_,comdat
.Lfunc_end3082:
	.size	_ZN7rocprim17ROCPRIM_400000_NS6detail17trampoline_kernelINS0_14default_configENS1_37merge_sort_block_sort_config_selectorIiNS0_10empty_typeEEEZNS1_21merge_sort_block_sortIS3_N6thrust23THRUST_200600_302600_NS6detail15normal_iteratorINS9_10device_ptrIiEEEESE_PS5_SF_14custom_greaterIiEEE10hipError_tT0_T1_T2_T3_mRjT4_P12ihipStream_tbNS1_7vsmem_tEEUlT_E_NS1_11comp_targetILNS1_3genE3ELNS1_11target_archE908ELNS1_3gpuE7ELNS1_3repE0EEENS1_30default_config_static_selectorELNS0_4arch9wavefront6targetE1EEEvSK_, .Lfunc_end3082-_ZN7rocprim17ROCPRIM_400000_NS6detail17trampoline_kernelINS0_14default_configENS1_37merge_sort_block_sort_config_selectorIiNS0_10empty_typeEEEZNS1_21merge_sort_block_sortIS3_N6thrust23THRUST_200600_302600_NS6detail15normal_iteratorINS9_10device_ptrIiEEEESE_PS5_SF_14custom_greaterIiEEE10hipError_tT0_T1_T2_T3_mRjT4_P12ihipStream_tbNS1_7vsmem_tEEUlT_E_NS1_11comp_targetILNS1_3genE3ELNS1_11target_archE908ELNS1_3gpuE7ELNS1_3repE0EEENS1_30default_config_static_selectorELNS0_4arch9wavefront6targetE1EEEvSK_
                                        ; -- End function
	.section	.AMDGPU.csdata,"",@progbits
; Kernel info:
; codeLenInByte = 0
; NumSgprs: 4
; NumVgprs: 0
; NumAgprs: 0
; TotalNumVgprs: 0
; ScratchSize: 0
; MemoryBound: 0
; FloatMode: 240
; IeeeMode: 1
; LDSByteSize: 0 bytes/workgroup (compile time only)
; SGPRBlocks: 0
; VGPRBlocks: 0
; NumSGPRsForWavesPerEU: 4
; NumVGPRsForWavesPerEU: 1
; AccumOffset: 4
; Occupancy: 8
; WaveLimiterHint : 0
; COMPUTE_PGM_RSRC2:SCRATCH_EN: 0
; COMPUTE_PGM_RSRC2:USER_SGPR: 6
; COMPUTE_PGM_RSRC2:TRAP_HANDLER: 0
; COMPUTE_PGM_RSRC2:TGID_X_EN: 1
; COMPUTE_PGM_RSRC2:TGID_Y_EN: 0
; COMPUTE_PGM_RSRC2:TGID_Z_EN: 0
; COMPUTE_PGM_RSRC2:TIDIG_COMP_CNT: 0
; COMPUTE_PGM_RSRC3_GFX90A:ACCUM_OFFSET: 0
; COMPUTE_PGM_RSRC3_GFX90A:TG_SPLIT: 0
	.section	.text._ZN7rocprim17ROCPRIM_400000_NS6detail17trampoline_kernelINS0_14default_configENS1_37merge_sort_block_sort_config_selectorIiNS0_10empty_typeEEEZNS1_21merge_sort_block_sortIS3_N6thrust23THRUST_200600_302600_NS6detail15normal_iteratorINS9_10device_ptrIiEEEESE_PS5_SF_14custom_greaterIiEEE10hipError_tT0_T1_T2_T3_mRjT4_P12ihipStream_tbNS1_7vsmem_tEEUlT_E_NS1_11comp_targetILNS1_3genE2ELNS1_11target_archE906ELNS1_3gpuE6ELNS1_3repE0EEENS1_30default_config_static_selectorELNS0_4arch9wavefront6targetE1EEEvSK_,"axG",@progbits,_ZN7rocprim17ROCPRIM_400000_NS6detail17trampoline_kernelINS0_14default_configENS1_37merge_sort_block_sort_config_selectorIiNS0_10empty_typeEEEZNS1_21merge_sort_block_sortIS3_N6thrust23THRUST_200600_302600_NS6detail15normal_iteratorINS9_10device_ptrIiEEEESE_PS5_SF_14custom_greaterIiEEE10hipError_tT0_T1_T2_T3_mRjT4_P12ihipStream_tbNS1_7vsmem_tEEUlT_E_NS1_11comp_targetILNS1_3genE2ELNS1_11target_archE906ELNS1_3gpuE6ELNS1_3repE0EEENS1_30default_config_static_selectorELNS0_4arch9wavefront6targetE1EEEvSK_,comdat
	.protected	_ZN7rocprim17ROCPRIM_400000_NS6detail17trampoline_kernelINS0_14default_configENS1_37merge_sort_block_sort_config_selectorIiNS0_10empty_typeEEEZNS1_21merge_sort_block_sortIS3_N6thrust23THRUST_200600_302600_NS6detail15normal_iteratorINS9_10device_ptrIiEEEESE_PS5_SF_14custom_greaterIiEEE10hipError_tT0_T1_T2_T3_mRjT4_P12ihipStream_tbNS1_7vsmem_tEEUlT_E_NS1_11comp_targetILNS1_3genE2ELNS1_11target_archE906ELNS1_3gpuE6ELNS1_3repE0EEENS1_30default_config_static_selectorELNS0_4arch9wavefront6targetE1EEEvSK_ ; -- Begin function _ZN7rocprim17ROCPRIM_400000_NS6detail17trampoline_kernelINS0_14default_configENS1_37merge_sort_block_sort_config_selectorIiNS0_10empty_typeEEEZNS1_21merge_sort_block_sortIS3_N6thrust23THRUST_200600_302600_NS6detail15normal_iteratorINS9_10device_ptrIiEEEESE_PS5_SF_14custom_greaterIiEEE10hipError_tT0_T1_T2_T3_mRjT4_P12ihipStream_tbNS1_7vsmem_tEEUlT_E_NS1_11comp_targetILNS1_3genE2ELNS1_11target_archE906ELNS1_3gpuE6ELNS1_3repE0EEENS1_30default_config_static_selectorELNS0_4arch9wavefront6targetE1EEEvSK_
	.globl	_ZN7rocprim17ROCPRIM_400000_NS6detail17trampoline_kernelINS0_14default_configENS1_37merge_sort_block_sort_config_selectorIiNS0_10empty_typeEEEZNS1_21merge_sort_block_sortIS3_N6thrust23THRUST_200600_302600_NS6detail15normal_iteratorINS9_10device_ptrIiEEEESE_PS5_SF_14custom_greaterIiEEE10hipError_tT0_T1_T2_T3_mRjT4_P12ihipStream_tbNS1_7vsmem_tEEUlT_E_NS1_11comp_targetILNS1_3genE2ELNS1_11target_archE906ELNS1_3gpuE6ELNS1_3repE0EEENS1_30default_config_static_selectorELNS0_4arch9wavefront6targetE1EEEvSK_
	.p2align	8
	.type	_ZN7rocprim17ROCPRIM_400000_NS6detail17trampoline_kernelINS0_14default_configENS1_37merge_sort_block_sort_config_selectorIiNS0_10empty_typeEEEZNS1_21merge_sort_block_sortIS3_N6thrust23THRUST_200600_302600_NS6detail15normal_iteratorINS9_10device_ptrIiEEEESE_PS5_SF_14custom_greaterIiEEE10hipError_tT0_T1_T2_T3_mRjT4_P12ihipStream_tbNS1_7vsmem_tEEUlT_E_NS1_11comp_targetILNS1_3genE2ELNS1_11target_archE906ELNS1_3gpuE6ELNS1_3repE0EEENS1_30default_config_static_selectorELNS0_4arch9wavefront6targetE1EEEvSK_,@function
_ZN7rocprim17ROCPRIM_400000_NS6detail17trampoline_kernelINS0_14default_configENS1_37merge_sort_block_sort_config_selectorIiNS0_10empty_typeEEEZNS1_21merge_sort_block_sortIS3_N6thrust23THRUST_200600_302600_NS6detail15normal_iteratorINS9_10device_ptrIiEEEESE_PS5_SF_14custom_greaterIiEEE10hipError_tT0_T1_T2_T3_mRjT4_P12ihipStream_tbNS1_7vsmem_tEEUlT_E_NS1_11comp_targetILNS1_3genE2ELNS1_11target_archE906ELNS1_3gpuE6ELNS1_3repE0EEENS1_30default_config_static_selectorELNS0_4arch9wavefront6targetE1EEEvSK_: ; @_ZN7rocprim17ROCPRIM_400000_NS6detail17trampoline_kernelINS0_14default_configENS1_37merge_sort_block_sort_config_selectorIiNS0_10empty_typeEEEZNS1_21merge_sort_block_sortIS3_N6thrust23THRUST_200600_302600_NS6detail15normal_iteratorINS9_10device_ptrIiEEEESE_PS5_SF_14custom_greaterIiEEE10hipError_tT0_T1_T2_T3_mRjT4_P12ihipStream_tbNS1_7vsmem_tEEUlT_E_NS1_11comp_targetILNS1_3genE2ELNS1_11target_archE906ELNS1_3gpuE6ELNS1_3repE0EEENS1_30default_config_static_selectorELNS0_4arch9wavefront6targetE1EEEvSK_
; %bb.0:
	.section	.rodata,"a",@progbits
	.p2align	6, 0x0
	.amdhsa_kernel _ZN7rocprim17ROCPRIM_400000_NS6detail17trampoline_kernelINS0_14default_configENS1_37merge_sort_block_sort_config_selectorIiNS0_10empty_typeEEEZNS1_21merge_sort_block_sortIS3_N6thrust23THRUST_200600_302600_NS6detail15normal_iteratorINS9_10device_ptrIiEEEESE_PS5_SF_14custom_greaterIiEEE10hipError_tT0_T1_T2_T3_mRjT4_P12ihipStream_tbNS1_7vsmem_tEEUlT_E_NS1_11comp_targetILNS1_3genE2ELNS1_11target_archE906ELNS1_3gpuE6ELNS1_3repE0EEENS1_30default_config_static_selectorELNS0_4arch9wavefront6targetE1EEEvSK_
		.amdhsa_group_segment_fixed_size 0
		.amdhsa_private_segment_fixed_size 0
		.amdhsa_kernarg_size 64
		.amdhsa_user_sgpr_count 6
		.amdhsa_user_sgpr_private_segment_buffer 1
		.amdhsa_user_sgpr_dispatch_ptr 0
		.amdhsa_user_sgpr_queue_ptr 0
		.amdhsa_user_sgpr_kernarg_segment_ptr 1
		.amdhsa_user_sgpr_dispatch_id 0
		.amdhsa_user_sgpr_flat_scratch_init 0
		.amdhsa_user_sgpr_kernarg_preload_length 0
		.amdhsa_user_sgpr_kernarg_preload_offset 0
		.amdhsa_user_sgpr_private_segment_size 0
		.amdhsa_uses_dynamic_stack 0
		.amdhsa_system_sgpr_private_segment_wavefront_offset 0
		.amdhsa_system_sgpr_workgroup_id_x 1
		.amdhsa_system_sgpr_workgroup_id_y 0
		.amdhsa_system_sgpr_workgroup_id_z 0
		.amdhsa_system_sgpr_workgroup_info 0
		.amdhsa_system_vgpr_workitem_id 0
		.amdhsa_next_free_vgpr 1
		.amdhsa_next_free_sgpr 0
		.amdhsa_accum_offset 4
		.amdhsa_reserve_vcc 0
		.amdhsa_reserve_flat_scratch 0
		.amdhsa_float_round_mode_32 0
		.amdhsa_float_round_mode_16_64 0
		.amdhsa_float_denorm_mode_32 3
		.amdhsa_float_denorm_mode_16_64 3
		.amdhsa_dx10_clamp 1
		.amdhsa_ieee_mode 1
		.amdhsa_fp16_overflow 0
		.amdhsa_tg_split 0
		.amdhsa_exception_fp_ieee_invalid_op 0
		.amdhsa_exception_fp_denorm_src 0
		.amdhsa_exception_fp_ieee_div_zero 0
		.amdhsa_exception_fp_ieee_overflow 0
		.amdhsa_exception_fp_ieee_underflow 0
		.amdhsa_exception_fp_ieee_inexact 0
		.amdhsa_exception_int_div_zero 0
	.end_amdhsa_kernel
	.section	.text._ZN7rocprim17ROCPRIM_400000_NS6detail17trampoline_kernelINS0_14default_configENS1_37merge_sort_block_sort_config_selectorIiNS0_10empty_typeEEEZNS1_21merge_sort_block_sortIS3_N6thrust23THRUST_200600_302600_NS6detail15normal_iteratorINS9_10device_ptrIiEEEESE_PS5_SF_14custom_greaterIiEEE10hipError_tT0_T1_T2_T3_mRjT4_P12ihipStream_tbNS1_7vsmem_tEEUlT_E_NS1_11comp_targetILNS1_3genE2ELNS1_11target_archE906ELNS1_3gpuE6ELNS1_3repE0EEENS1_30default_config_static_selectorELNS0_4arch9wavefront6targetE1EEEvSK_,"axG",@progbits,_ZN7rocprim17ROCPRIM_400000_NS6detail17trampoline_kernelINS0_14default_configENS1_37merge_sort_block_sort_config_selectorIiNS0_10empty_typeEEEZNS1_21merge_sort_block_sortIS3_N6thrust23THRUST_200600_302600_NS6detail15normal_iteratorINS9_10device_ptrIiEEEESE_PS5_SF_14custom_greaterIiEEE10hipError_tT0_T1_T2_T3_mRjT4_P12ihipStream_tbNS1_7vsmem_tEEUlT_E_NS1_11comp_targetILNS1_3genE2ELNS1_11target_archE906ELNS1_3gpuE6ELNS1_3repE0EEENS1_30default_config_static_selectorELNS0_4arch9wavefront6targetE1EEEvSK_,comdat
.Lfunc_end3083:
	.size	_ZN7rocprim17ROCPRIM_400000_NS6detail17trampoline_kernelINS0_14default_configENS1_37merge_sort_block_sort_config_selectorIiNS0_10empty_typeEEEZNS1_21merge_sort_block_sortIS3_N6thrust23THRUST_200600_302600_NS6detail15normal_iteratorINS9_10device_ptrIiEEEESE_PS5_SF_14custom_greaterIiEEE10hipError_tT0_T1_T2_T3_mRjT4_P12ihipStream_tbNS1_7vsmem_tEEUlT_E_NS1_11comp_targetILNS1_3genE2ELNS1_11target_archE906ELNS1_3gpuE6ELNS1_3repE0EEENS1_30default_config_static_selectorELNS0_4arch9wavefront6targetE1EEEvSK_, .Lfunc_end3083-_ZN7rocprim17ROCPRIM_400000_NS6detail17trampoline_kernelINS0_14default_configENS1_37merge_sort_block_sort_config_selectorIiNS0_10empty_typeEEEZNS1_21merge_sort_block_sortIS3_N6thrust23THRUST_200600_302600_NS6detail15normal_iteratorINS9_10device_ptrIiEEEESE_PS5_SF_14custom_greaterIiEEE10hipError_tT0_T1_T2_T3_mRjT4_P12ihipStream_tbNS1_7vsmem_tEEUlT_E_NS1_11comp_targetILNS1_3genE2ELNS1_11target_archE906ELNS1_3gpuE6ELNS1_3repE0EEENS1_30default_config_static_selectorELNS0_4arch9wavefront6targetE1EEEvSK_
                                        ; -- End function
	.section	.AMDGPU.csdata,"",@progbits
; Kernel info:
; codeLenInByte = 0
; NumSgprs: 4
; NumVgprs: 0
; NumAgprs: 0
; TotalNumVgprs: 0
; ScratchSize: 0
; MemoryBound: 0
; FloatMode: 240
; IeeeMode: 1
; LDSByteSize: 0 bytes/workgroup (compile time only)
; SGPRBlocks: 0
; VGPRBlocks: 0
; NumSGPRsForWavesPerEU: 4
; NumVGPRsForWavesPerEU: 1
; AccumOffset: 4
; Occupancy: 8
; WaveLimiterHint : 0
; COMPUTE_PGM_RSRC2:SCRATCH_EN: 0
; COMPUTE_PGM_RSRC2:USER_SGPR: 6
; COMPUTE_PGM_RSRC2:TRAP_HANDLER: 0
; COMPUTE_PGM_RSRC2:TGID_X_EN: 1
; COMPUTE_PGM_RSRC2:TGID_Y_EN: 0
; COMPUTE_PGM_RSRC2:TGID_Z_EN: 0
; COMPUTE_PGM_RSRC2:TIDIG_COMP_CNT: 0
; COMPUTE_PGM_RSRC3_GFX90A:ACCUM_OFFSET: 0
; COMPUTE_PGM_RSRC3_GFX90A:TG_SPLIT: 0
	.section	.text._ZN7rocprim17ROCPRIM_400000_NS6detail17trampoline_kernelINS0_14default_configENS1_37merge_sort_block_sort_config_selectorIiNS0_10empty_typeEEEZNS1_21merge_sort_block_sortIS3_N6thrust23THRUST_200600_302600_NS6detail15normal_iteratorINS9_10device_ptrIiEEEESE_PS5_SF_14custom_greaterIiEEE10hipError_tT0_T1_T2_T3_mRjT4_P12ihipStream_tbNS1_7vsmem_tEEUlT_E_NS1_11comp_targetILNS1_3genE10ELNS1_11target_archE1201ELNS1_3gpuE5ELNS1_3repE0EEENS1_30default_config_static_selectorELNS0_4arch9wavefront6targetE1EEEvSK_,"axG",@progbits,_ZN7rocprim17ROCPRIM_400000_NS6detail17trampoline_kernelINS0_14default_configENS1_37merge_sort_block_sort_config_selectorIiNS0_10empty_typeEEEZNS1_21merge_sort_block_sortIS3_N6thrust23THRUST_200600_302600_NS6detail15normal_iteratorINS9_10device_ptrIiEEEESE_PS5_SF_14custom_greaterIiEEE10hipError_tT0_T1_T2_T3_mRjT4_P12ihipStream_tbNS1_7vsmem_tEEUlT_E_NS1_11comp_targetILNS1_3genE10ELNS1_11target_archE1201ELNS1_3gpuE5ELNS1_3repE0EEENS1_30default_config_static_selectorELNS0_4arch9wavefront6targetE1EEEvSK_,comdat
	.protected	_ZN7rocprim17ROCPRIM_400000_NS6detail17trampoline_kernelINS0_14default_configENS1_37merge_sort_block_sort_config_selectorIiNS0_10empty_typeEEEZNS1_21merge_sort_block_sortIS3_N6thrust23THRUST_200600_302600_NS6detail15normal_iteratorINS9_10device_ptrIiEEEESE_PS5_SF_14custom_greaterIiEEE10hipError_tT0_T1_T2_T3_mRjT4_P12ihipStream_tbNS1_7vsmem_tEEUlT_E_NS1_11comp_targetILNS1_3genE10ELNS1_11target_archE1201ELNS1_3gpuE5ELNS1_3repE0EEENS1_30default_config_static_selectorELNS0_4arch9wavefront6targetE1EEEvSK_ ; -- Begin function _ZN7rocprim17ROCPRIM_400000_NS6detail17trampoline_kernelINS0_14default_configENS1_37merge_sort_block_sort_config_selectorIiNS0_10empty_typeEEEZNS1_21merge_sort_block_sortIS3_N6thrust23THRUST_200600_302600_NS6detail15normal_iteratorINS9_10device_ptrIiEEEESE_PS5_SF_14custom_greaterIiEEE10hipError_tT0_T1_T2_T3_mRjT4_P12ihipStream_tbNS1_7vsmem_tEEUlT_E_NS1_11comp_targetILNS1_3genE10ELNS1_11target_archE1201ELNS1_3gpuE5ELNS1_3repE0EEENS1_30default_config_static_selectorELNS0_4arch9wavefront6targetE1EEEvSK_
	.globl	_ZN7rocprim17ROCPRIM_400000_NS6detail17trampoline_kernelINS0_14default_configENS1_37merge_sort_block_sort_config_selectorIiNS0_10empty_typeEEEZNS1_21merge_sort_block_sortIS3_N6thrust23THRUST_200600_302600_NS6detail15normal_iteratorINS9_10device_ptrIiEEEESE_PS5_SF_14custom_greaterIiEEE10hipError_tT0_T1_T2_T3_mRjT4_P12ihipStream_tbNS1_7vsmem_tEEUlT_E_NS1_11comp_targetILNS1_3genE10ELNS1_11target_archE1201ELNS1_3gpuE5ELNS1_3repE0EEENS1_30default_config_static_selectorELNS0_4arch9wavefront6targetE1EEEvSK_
	.p2align	8
	.type	_ZN7rocprim17ROCPRIM_400000_NS6detail17trampoline_kernelINS0_14default_configENS1_37merge_sort_block_sort_config_selectorIiNS0_10empty_typeEEEZNS1_21merge_sort_block_sortIS3_N6thrust23THRUST_200600_302600_NS6detail15normal_iteratorINS9_10device_ptrIiEEEESE_PS5_SF_14custom_greaterIiEEE10hipError_tT0_T1_T2_T3_mRjT4_P12ihipStream_tbNS1_7vsmem_tEEUlT_E_NS1_11comp_targetILNS1_3genE10ELNS1_11target_archE1201ELNS1_3gpuE5ELNS1_3repE0EEENS1_30default_config_static_selectorELNS0_4arch9wavefront6targetE1EEEvSK_,@function
_ZN7rocprim17ROCPRIM_400000_NS6detail17trampoline_kernelINS0_14default_configENS1_37merge_sort_block_sort_config_selectorIiNS0_10empty_typeEEEZNS1_21merge_sort_block_sortIS3_N6thrust23THRUST_200600_302600_NS6detail15normal_iteratorINS9_10device_ptrIiEEEESE_PS5_SF_14custom_greaterIiEEE10hipError_tT0_T1_T2_T3_mRjT4_P12ihipStream_tbNS1_7vsmem_tEEUlT_E_NS1_11comp_targetILNS1_3genE10ELNS1_11target_archE1201ELNS1_3gpuE5ELNS1_3repE0EEENS1_30default_config_static_selectorELNS0_4arch9wavefront6targetE1EEEvSK_: ; @_ZN7rocprim17ROCPRIM_400000_NS6detail17trampoline_kernelINS0_14default_configENS1_37merge_sort_block_sort_config_selectorIiNS0_10empty_typeEEEZNS1_21merge_sort_block_sortIS3_N6thrust23THRUST_200600_302600_NS6detail15normal_iteratorINS9_10device_ptrIiEEEESE_PS5_SF_14custom_greaterIiEEE10hipError_tT0_T1_T2_T3_mRjT4_P12ihipStream_tbNS1_7vsmem_tEEUlT_E_NS1_11comp_targetILNS1_3genE10ELNS1_11target_archE1201ELNS1_3gpuE5ELNS1_3repE0EEENS1_30default_config_static_selectorELNS0_4arch9wavefront6targetE1EEEvSK_
; %bb.0:
	.section	.rodata,"a",@progbits
	.p2align	6, 0x0
	.amdhsa_kernel _ZN7rocprim17ROCPRIM_400000_NS6detail17trampoline_kernelINS0_14default_configENS1_37merge_sort_block_sort_config_selectorIiNS0_10empty_typeEEEZNS1_21merge_sort_block_sortIS3_N6thrust23THRUST_200600_302600_NS6detail15normal_iteratorINS9_10device_ptrIiEEEESE_PS5_SF_14custom_greaterIiEEE10hipError_tT0_T1_T2_T3_mRjT4_P12ihipStream_tbNS1_7vsmem_tEEUlT_E_NS1_11comp_targetILNS1_3genE10ELNS1_11target_archE1201ELNS1_3gpuE5ELNS1_3repE0EEENS1_30default_config_static_selectorELNS0_4arch9wavefront6targetE1EEEvSK_
		.amdhsa_group_segment_fixed_size 0
		.amdhsa_private_segment_fixed_size 0
		.amdhsa_kernarg_size 64
		.amdhsa_user_sgpr_count 6
		.amdhsa_user_sgpr_private_segment_buffer 1
		.amdhsa_user_sgpr_dispatch_ptr 0
		.amdhsa_user_sgpr_queue_ptr 0
		.amdhsa_user_sgpr_kernarg_segment_ptr 1
		.amdhsa_user_sgpr_dispatch_id 0
		.amdhsa_user_sgpr_flat_scratch_init 0
		.amdhsa_user_sgpr_kernarg_preload_length 0
		.amdhsa_user_sgpr_kernarg_preload_offset 0
		.amdhsa_user_sgpr_private_segment_size 0
		.amdhsa_uses_dynamic_stack 0
		.amdhsa_system_sgpr_private_segment_wavefront_offset 0
		.amdhsa_system_sgpr_workgroup_id_x 1
		.amdhsa_system_sgpr_workgroup_id_y 0
		.amdhsa_system_sgpr_workgroup_id_z 0
		.amdhsa_system_sgpr_workgroup_info 0
		.amdhsa_system_vgpr_workitem_id 0
		.amdhsa_next_free_vgpr 1
		.amdhsa_next_free_sgpr 0
		.amdhsa_accum_offset 4
		.amdhsa_reserve_vcc 0
		.amdhsa_reserve_flat_scratch 0
		.amdhsa_float_round_mode_32 0
		.amdhsa_float_round_mode_16_64 0
		.amdhsa_float_denorm_mode_32 3
		.amdhsa_float_denorm_mode_16_64 3
		.amdhsa_dx10_clamp 1
		.amdhsa_ieee_mode 1
		.amdhsa_fp16_overflow 0
		.amdhsa_tg_split 0
		.amdhsa_exception_fp_ieee_invalid_op 0
		.amdhsa_exception_fp_denorm_src 0
		.amdhsa_exception_fp_ieee_div_zero 0
		.amdhsa_exception_fp_ieee_overflow 0
		.amdhsa_exception_fp_ieee_underflow 0
		.amdhsa_exception_fp_ieee_inexact 0
		.amdhsa_exception_int_div_zero 0
	.end_amdhsa_kernel
	.section	.text._ZN7rocprim17ROCPRIM_400000_NS6detail17trampoline_kernelINS0_14default_configENS1_37merge_sort_block_sort_config_selectorIiNS0_10empty_typeEEEZNS1_21merge_sort_block_sortIS3_N6thrust23THRUST_200600_302600_NS6detail15normal_iteratorINS9_10device_ptrIiEEEESE_PS5_SF_14custom_greaterIiEEE10hipError_tT0_T1_T2_T3_mRjT4_P12ihipStream_tbNS1_7vsmem_tEEUlT_E_NS1_11comp_targetILNS1_3genE10ELNS1_11target_archE1201ELNS1_3gpuE5ELNS1_3repE0EEENS1_30default_config_static_selectorELNS0_4arch9wavefront6targetE1EEEvSK_,"axG",@progbits,_ZN7rocprim17ROCPRIM_400000_NS6detail17trampoline_kernelINS0_14default_configENS1_37merge_sort_block_sort_config_selectorIiNS0_10empty_typeEEEZNS1_21merge_sort_block_sortIS3_N6thrust23THRUST_200600_302600_NS6detail15normal_iteratorINS9_10device_ptrIiEEEESE_PS5_SF_14custom_greaterIiEEE10hipError_tT0_T1_T2_T3_mRjT4_P12ihipStream_tbNS1_7vsmem_tEEUlT_E_NS1_11comp_targetILNS1_3genE10ELNS1_11target_archE1201ELNS1_3gpuE5ELNS1_3repE0EEENS1_30default_config_static_selectorELNS0_4arch9wavefront6targetE1EEEvSK_,comdat
.Lfunc_end3084:
	.size	_ZN7rocprim17ROCPRIM_400000_NS6detail17trampoline_kernelINS0_14default_configENS1_37merge_sort_block_sort_config_selectorIiNS0_10empty_typeEEEZNS1_21merge_sort_block_sortIS3_N6thrust23THRUST_200600_302600_NS6detail15normal_iteratorINS9_10device_ptrIiEEEESE_PS5_SF_14custom_greaterIiEEE10hipError_tT0_T1_T2_T3_mRjT4_P12ihipStream_tbNS1_7vsmem_tEEUlT_E_NS1_11comp_targetILNS1_3genE10ELNS1_11target_archE1201ELNS1_3gpuE5ELNS1_3repE0EEENS1_30default_config_static_selectorELNS0_4arch9wavefront6targetE1EEEvSK_, .Lfunc_end3084-_ZN7rocprim17ROCPRIM_400000_NS6detail17trampoline_kernelINS0_14default_configENS1_37merge_sort_block_sort_config_selectorIiNS0_10empty_typeEEEZNS1_21merge_sort_block_sortIS3_N6thrust23THRUST_200600_302600_NS6detail15normal_iteratorINS9_10device_ptrIiEEEESE_PS5_SF_14custom_greaterIiEEE10hipError_tT0_T1_T2_T3_mRjT4_P12ihipStream_tbNS1_7vsmem_tEEUlT_E_NS1_11comp_targetILNS1_3genE10ELNS1_11target_archE1201ELNS1_3gpuE5ELNS1_3repE0EEENS1_30default_config_static_selectorELNS0_4arch9wavefront6targetE1EEEvSK_
                                        ; -- End function
	.section	.AMDGPU.csdata,"",@progbits
; Kernel info:
; codeLenInByte = 0
; NumSgprs: 4
; NumVgprs: 0
; NumAgprs: 0
; TotalNumVgprs: 0
; ScratchSize: 0
; MemoryBound: 0
; FloatMode: 240
; IeeeMode: 1
; LDSByteSize: 0 bytes/workgroup (compile time only)
; SGPRBlocks: 0
; VGPRBlocks: 0
; NumSGPRsForWavesPerEU: 4
; NumVGPRsForWavesPerEU: 1
; AccumOffset: 4
; Occupancy: 8
; WaveLimiterHint : 0
; COMPUTE_PGM_RSRC2:SCRATCH_EN: 0
; COMPUTE_PGM_RSRC2:USER_SGPR: 6
; COMPUTE_PGM_RSRC2:TRAP_HANDLER: 0
; COMPUTE_PGM_RSRC2:TGID_X_EN: 1
; COMPUTE_PGM_RSRC2:TGID_Y_EN: 0
; COMPUTE_PGM_RSRC2:TGID_Z_EN: 0
; COMPUTE_PGM_RSRC2:TIDIG_COMP_CNT: 0
; COMPUTE_PGM_RSRC3_GFX90A:ACCUM_OFFSET: 0
; COMPUTE_PGM_RSRC3_GFX90A:TG_SPLIT: 0
	.section	.text._ZN7rocprim17ROCPRIM_400000_NS6detail17trampoline_kernelINS0_14default_configENS1_37merge_sort_block_sort_config_selectorIiNS0_10empty_typeEEEZNS1_21merge_sort_block_sortIS3_N6thrust23THRUST_200600_302600_NS6detail15normal_iteratorINS9_10device_ptrIiEEEESE_PS5_SF_14custom_greaterIiEEE10hipError_tT0_T1_T2_T3_mRjT4_P12ihipStream_tbNS1_7vsmem_tEEUlT_E_NS1_11comp_targetILNS1_3genE10ELNS1_11target_archE1200ELNS1_3gpuE4ELNS1_3repE0EEENS1_30default_config_static_selectorELNS0_4arch9wavefront6targetE1EEEvSK_,"axG",@progbits,_ZN7rocprim17ROCPRIM_400000_NS6detail17trampoline_kernelINS0_14default_configENS1_37merge_sort_block_sort_config_selectorIiNS0_10empty_typeEEEZNS1_21merge_sort_block_sortIS3_N6thrust23THRUST_200600_302600_NS6detail15normal_iteratorINS9_10device_ptrIiEEEESE_PS5_SF_14custom_greaterIiEEE10hipError_tT0_T1_T2_T3_mRjT4_P12ihipStream_tbNS1_7vsmem_tEEUlT_E_NS1_11comp_targetILNS1_3genE10ELNS1_11target_archE1200ELNS1_3gpuE4ELNS1_3repE0EEENS1_30default_config_static_selectorELNS0_4arch9wavefront6targetE1EEEvSK_,comdat
	.protected	_ZN7rocprim17ROCPRIM_400000_NS6detail17trampoline_kernelINS0_14default_configENS1_37merge_sort_block_sort_config_selectorIiNS0_10empty_typeEEEZNS1_21merge_sort_block_sortIS3_N6thrust23THRUST_200600_302600_NS6detail15normal_iteratorINS9_10device_ptrIiEEEESE_PS5_SF_14custom_greaterIiEEE10hipError_tT0_T1_T2_T3_mRjT4_P12ihipStream_tbNS1_7vsmem_tEEUlT_E_NS1_11comp_targetILNS1_3genE10ELNS1_11target_archE1200ELNS1_3gpuE4ELNS1_3repE0EEENS1_30default_config_static_selectorELNS0_4arch9wavefront6targetE1EEEvSK_ ; -- Begin function _ZN7rocprim17ROCPRIM_400000_NS6detail17trampoline_kernelINS0_14default_configENS1_37merge_sort_block_sort_config_selectorIiNS0_10empty_typeEEEZNS1_21merge_sort_block_sortIS3_N6thrust23THRUST_200600_302600_NS6detail15normal_iteratorINS9_10device_ptrIiEEEESE_PS5_SF_14custom_greaterIiEEE10hipError_tT0_T1_T2_T3_mRjT4_P12ihipStream_tbNS1_7vsmem_tEEUlT_E_NS1_11comp_targetILNS1_3genE10ELNS1_11target_archE1200ELNS1_3gpuE4ELNS1_3repE0EEENS1_30default_config_static_selectorELNS0_4arch9wavefront6targetE1EEEvSK_
	.globl	_ZN7rocprim17ROCPRIM_400000_NS6detail17trampoline_kernelINS0_14default_configENS1_37merge_sort_block_sort_config_selectorIiNS0_10empty_typeEEEZNS1_21merge_sort_block_sortIS3_N6thrust23THRUST_200600_302600_NS6detail15normal_iteratorINS9_10device_ptrIiEEEESE_PS5_SF_14custom_greaterIiEEE10hipError_tT0_T1_T2_T3_mRjT4_P12ihipStream_tbNS1_7vsmem_tEEUlT_E_NS1_11comp_targetILNS1_3genE10ELNS1_11target_archE1200ELNS1_3gpuE4ELNS1_3repE0EEENS1_30default_config_static_selectorELNS0_4arch9wavefront6targetE1EEEvSK_
	.p2align	8
	.type	_ZN7rocprim17ROCPRIM_400000_NS6detail17trampoline_kernelINS0_14default_configENS1_37merge_sort_block_sort_config_selectorIiNS0_10empty_typeEEEZNS1_21merge_sort_block_sortIS3_N6thrust23THRUST_200600_302600_NS6detail15normal_iteratorINS9_10device_ptrIiEEEESE_PS5_SF_14custom_greaterIiEEE10hipError_tT0_T1_T2_T3_mRjT4_P12ihipStream_tbNS1_7vsmem_tEEUlT_E_NS1_11comp_targetILNS1_3genE10ELNS1_11target_archE1200ELNS1_3gpuE4ELNS1_3repE0EEENS1_30default_config_static_selectorELNS0_4arch9wavefront6targetE1EEEvSK_,@function
_ZN7rocprim17ROCPRIM_400000_NS6detail17trampoline_kernelINS0_14default_configENS1_37merge_sort_block_sort_config_selectorIiNS0_10empty_typeEEEZNS1_21merge_sort_block_sortIS3_N6thrust23THRUST_200600_302600_NS6detail15normal_iteratorINS9_10device_ptrIiEEEESE_PS5_SF_14custom_greaterIiEEE10hipError_tT0_T1_T2_T3_mRjT4_P12ihipStream_tbNS1_7vsmem_tEEUlT_E_NS1_11comp_targetILNS1_3genE10ELNS1_11target_archE1200ELNS1_3gpuE4ELNS1_3repE0EEENS1_30default_config_static_selectorELNS0_4arch9wavefront6targetE1EEEvSK_: ; @_ZN7rocprim17ROCPRIM_400000_NS6detail17trampoline_kernelINS0_14default_configENS1_37merge_sort_block_sort_config_selectorIiNS0_10empty_typeEEEZNS1_21merge_sort_block_sortIS3_N6thrust23THRUST_200600_302600_NS6detail15normal_iteratorINS9_10device_ptrIiEEEESE_PS5_SF_14custom_greaterIiEEE10hipError_tT0_T1_T2_T3_mRjT4_P12ihipStream_tbNS1_7vsmem_tEEUlT_E_NS1_11comp_targetILNS1_3genE10ELNS1_11target_archE1200ELNS1_3gpuE4ELNS1_3repE0EEENS1_30default_config_static_selectorELNS0_4arch9wavefront6targetE1EEEvSK_
; %bb.0:
	.section	.rodata,"a",@progbits
	.p2align	6, 0x0
	.amdhsa_kernel _ZN7rocprim17ROCPRIM_400000_NS6detail17trampoline_kernelINS0_14default_configENS1_37merge_sort_block_sort_config_selectorIiNS0_10empty_typeEEEZNS1_21merge_sort_block_sortIS3_N6thrust23THRUST_200600_302600_NS6detail15normal_iteratorINS9_10device_ptrIiEEEESE_PS5_SF_14custom_greaterIiEEE10hipError_tT0_T1_T2_T3_mRjT4_P12ihipStream_tbNS1_7vsmem_tEEUlT_E_NS1_11comp_targetILNS1_3genE10ELNS1_11target_archE1200ELNS1_3gpuE4ELNS1_3repE0EEENS1_30default_config_static_selectorELNS0_4arch9wavefront6targetE1EEEvSK_
		.amdhsa_group_segment_fixed_size 0
		.amdhsa_private_segment_fixed_size 0
		.amdhsa_kernarg_size 64
		.amdhsa_user_sgpr_count 6
		.amdhsa_user_sgpr_private_segment_buffer 1
		.amdhsa_user_sgpr_dispatch_ptr 0
		.amdhsa_user_sgpr_queue_ptr 0
		.amdhsa_user_sgpr_kernarg_segment_ptr 1
		.amdhsa_user_sgpr_dispatch_id 0
		.amdhsa_user_sgpr_flat_scratch_init 0
		.amdhsa_user_sgpr_kernarg_preload_length 0
		.amdhsa_user_sgpr_kernarg_preload_offset 0
		.amdhsa_user_sgpr_private_segment_size 0
		.amdhsa_uses_dynamic_stack 0
		.amdhsa_system_sgpr_private_segment_wavefront_offset 0
		.amdhsa_system_sgpr_workgroup_id_x 1
		.amdhsa_system_sgpr_workgroup_id_y 0
		.amdhsa_system_sgpr_workgroup_id_z 0
		.amdhsa_system_sgpr_workgroup_info 0
		.amdhsa_system_vgpr_workitem_id 0
		.amdhsa_next_free_vgpr 1
		.amdhsa_next_free_sgpr 0
		.amdhsa_accum_offset 4
		.amdhsa_reserve_vcc 0
		.amdhsa_reserve_flat_scratch 0
		.amdhsa_float_round_mode_32 0
		.amdhsa_float_round_mode_16_64 0
		.amdhsa_float_denorm_mode_32 3
		.amdhsa_float_denorm_mode_16_64 3
		.amdhsa_dx10_clamp 1
		.amdhsa_ieee_mode 1
		.amdhsa_fp16_overflow 0
		.amdhsa_tg_split 0
		.amdhsa_exception_fp_ieee_invalid_op 0
		.amdhsa_exception_fp_denorm_src 0
		.amdhsa_exception_fp_ieee_div_zero 0
		.amdhsa_exception_fp_ieee_overflow 0
		.amdhsa_exception_fp_ieee_underflow 0
		.amdhsa_exception_fp_ieee_inexact 0
		.amdhsa_exception_int_div_zero 0
	.end_amdhsa_kernel
	.section	.text._ZN7rocprim17ROCPRIM_400000_NS6detail17trampoline_kernelINS0_14default_configENS1_37merge_sort_block_sort_config_selectorIiNS0_10empty_typeEEEZNS1_21merge_sort_block_sortIS3_N6thrust23THRUST_200600_302600_NS6detail15normal_iteratorINS9_10device_ptrIiEEEESE_PS5_SF_14custom_greaterIiEEE10hipError_tT0_T1_T2_T3_mRjT4_P12ihipStream_tbNS1_7vsmem_tEEUlT_E_NS1_11comp_targetILNS1_3genE10ELNS1_11target_archE1200ELNS1_3gpuE4ELNS1_3repE0EEENS1_30default_config_static_selectorELNS0_4arch9wavefront6targetE1EEEvSK_,"axG",@progbits,_ZN7rocprim17ROCPRIM_400000_NS6detail17trampoline_kernelINS0_14default_configENS1_37merge_sort_block_sort_config_selectorIiNS0_10empty_typeEEEZNS1_21merge_sort_block_sortIS3_N6thrust23THRUST_200600_302600_NS6detail15normal_iteratorINS9_10device_ptrIiEEEESE_PS5_SF_14custom_greaterIiEEE10hipError_tT0_T1_T2_T3_mRjT4_P12ihipStream_tbNS1_7vsmem_tEEUlT_E_NS1_11comp_targetILNS1_3genE10ELNS1_11target_archE1200ELNS1_3gpuE4ELNS1_3repE0EEENS1_30default_config_static_selectorELNS0_4arch9wavefront6targetE1EEEvSK_,comdat
.Lfunc_end3085:
	.size	_ZN7rocprim17ROCPRIM_400000_NS6detail17trampoline_kernelINS0_14default_configENS1_37merge_sort_block_sort_config_selectorIiNS0_10empty_typeEEEZNS1_21merge_sort_block_sortIS3_N6thrust23THRUST_200600_302600_NS6detail15normal_iteratorINS9_10device_ptrIiEEEESE_PS5_SF_14custom_greaterIiEEE10hipError_tT0_T1_T2_T3_mRjT4_P12ihipStream_tbNS1_7vsmem_tEEUlT_E_NS1_11comp_targetILNS1_3genE10ELNS1_11target_archE1200ELNS1_3gpuE4ELNS1_3repE0EEENS1_30default_config_static_selectorELNS0_4arch9wavefront6targetE1EEEvSK_, .Lfunc_end3085-_ZN7rocprim17ROCPRIM_400000_NS6detail17trampoline_kernelINS0_14default_configENS1_37merge_sort_block_sort_config_selectorIiNS0_10empty_typeEEEZNS1_21merge_sort_block_sortIS3_N6thrust23THRUST_200600_302600_NS6detail15normal_iteratorINS9_10device_ptrIiEEEESE_PS5_SF_14custom_greaterIiEEE10hipError_tT0_T1_T2_T3_mRjT4_P12ihipStream_tbNS1_7vsmem_tEEUlT_E_NS1_11comp_targetILNS1_3genE10ELNS1_11target_archE1200ELNS1_3gpuE4ELNS1_3repE0EEENS1_30default_config_static_selectorELNS0_4arch9wavefront6targetE1EEEvSK_
                                        ; -- End function
	.section	.AMDGPU.csdata,"",@progbits
; Kernel info:
; codeLenInByte = 0
; NumSgprs: 4
; NumVgprs: 0
; NumAgprs: 0
; TotalNumVgprs: 0
; ScratchSize: 0
; MemoryBound: 0
; FloatMode: 240
; IeeeMode: 1
; LDSByteSize: 0 bytes/workgroup (compile time only)
; SGPRBlocks: 0
; VGPRBlocks: 0
; NumSGPRsForWavesPerEU: 4
; NumVGPRsForWavesPerEU: 1
; AccumOffset: 4
; Occupancy: 8
; WaveLimiterHint : 0
; COMPUTE_PGM_RSRC2:SCRATCH_EN: 0
; COMPUTE_PGM_RSRC2:USER_SGPR: 6
; COMPUTE_PGM_RSRC2:TRAP_HANDLER: 0
; COMPUTE_PGM_RSRC2:TGID_X_EN: 1
; COMPUTE_PGM_RSRC2:TGID_Y_EN: 0
; COMPUTE_PGM_RSRC2:TGID_Z_EN: 0
; COMPUTE_PGM_RSRC2:TIDIG_COMP_CNT: 0
; COMPUTE_PGM_RSRC3_GFX90A:ACCUM_OFFSET: 0
; COMPUTE_PGM_RSRC3_GFX90A:TG_SPLIT: 0
	.section	.text._ZN7rocprim17ROCPRIM_400000_NS6detail17trampoline_kernelINS0_14default_configENS1_37merge_sort_block_sort_config_selectorIiNS0_10empty_typeEEEZNS1_21merge_sort_block_sortIS3_N6thrust23THRUST_200600_302600_NS6detail15normal_iteratorINS9_10device_ptrIiEEEESE_PS5_SF_14custom_greaterIiEEE10hipError_tT0_T1_T2_T3_mRjT4_P12ihipStream_tbNS1_7vsmem_tEEUlT_E_NS1_11comp_targetILNS1_3genE9ELNS1_11target_archE1100ELNS1_3gpuE3ELNS1_3repE0EEENS1_30default_config_static_selectorELNS0_4arch9wavefront6targetE1EEEvSK_,"axG",@progbits,_ZN7rocprim17ROCPRIM_400000_NS6detail17trampoline_kernelINS0_14default_configENS1_37merge_sort_block_sort_config_selectorIiNS0_10empty_typeEEEZNS1_21merge_sort_block_sortIS3_N6thrust23THRUST_200600_302600_NS6detail15normal_iteratorINS9_10device_ptrIiEEEESE_PS5_SF_14custom_greaterIiEEE10hipError_tT0_T1_T2_T3_mRjT4_P12ihipStream_tbNS1_7vsmem_tEEUlT_E_NS1_11comp_targetILNS1_3genE9ELNS1_11target_archE1100ELNS1_3gpuE3ELNS1_3repE0EEENS1_30default_config_static_selectorELNS0_4arch9wavefront6targetE1EEEvSK_,comdat
	.protected	_ZN7rocprim17ROCPRIM_400000_NS6detail17trampoline_kernelINS0_14default_configENS1_37merge_sort_block_sort_config_selectorIiNS0_10empty_typeEEEZNS1_21merge_sort_block_sortIS3_N6thrust23THRUST_200600_302600_NS6detail15normal_iteratorINS9_10device_ptrIiEEEESE_PS5_SF_14custom_greaterIiEEE10hipError_tT0_T1_T2_T3_mRjT4_P12ihipStream_tbNS1_7vsmem_tEEUlT_E_NS1_11comp_targetILNS1_3genE9ELNS1_11target_archE1100ELNS1_3gpuE3ELNS1_3repE0EEENS1_30default_config_static_selectorELNS0_4arch9wavefront6targetE1EEEvSK_ ; -- Begin function _ZN7rocprim17ROCPRIM_400000_NS6detail17trampoline_kernelINS0_14default_configENS1_37merge_sort_block_sort_config_selectorIiNS0_10empty_typeEEEZNS1_21merge_sort_block_sortIS3_N6thrust23THRUST_200600_302600_NS6detail15normal_iteratorINS9_10device_ptrIiEEEESE_PS5_SF_14custom_greaterIiEEE10hipError_tT0_T1_T2_T3_mRjT4_P12ihipStream_tbNS1_7vsmem_tEEUlT_E_NS1_11comp_targetILNS1_3genE9ELNS1_11target_archE1100ELNS1_3gpuE3ELNS1_3repE0EEENS1_30default_config_static_selectorELNS0_4arch9wavefront6targetE1EEEvSK_
	.globl	_ZN7rocprim17ROCPRIM_400000_NS6detail17trampoline_kernelINS0_14default_configENS1_37merge_sort_block_sort_config_selectorIiNS0_10empty_typeEEEZNS1_21merge_sort_block_sortIS3_N6thrust23THRUST_200600_302600_NS6detail15normal_iteratorINS9_10device_ptrIiEEEESE_PS5_SF_14custom_greaterIiEEE10hipError_tT0_T1_T2_T3_mRjT4_P12ihipStream_tbNS1_7vsmem_tEEUlT_E_NS1_11comp_targetILNS1_3genE9ELNS1_11target_archE1100ELNS1_3gpuE3ELNS1_3repE0EEENS1_30default_config_static_selectorELNS0_4arch9wavefront6targetE1EEEvSK_
	.p2align	8
	.type	_ZN7rocprim17ROCPRIM_400000_NS6detail17trampoline_kernelINS0_14default_configENS1_37merge_sort_block_sort_config_selectorIiNS0_10empty_typeEEEZNS1_21merge_sort_block_sortIS3_N6thrust23THRUST_200600_302600_NS6detail15normal_iteratorINS9_10device_ptrIiEEEESE_PS5_SF_14custom_greaterIiEEE10hipError_tT0_T1_T2_T3_mRjT4_P12ihipStream_tbNS1_7vsmem_tEEUlT_E_NS1_11comp_targetILNS1_3genE9ELNS1_11target_archE1100ELNS1_3gpuE3ELNS1_3repE0EEENS1_30default_config_static_selectorELNS0_4arch9wavefront6targetE1EEEvSK_,@function
_ZN7rocprim17ROCPRIM_400000_NS6detail17trampoline_kernelINS0_14default_configENS1_37merge_sort_block_sort_config_selectorIiNS0_10empty_typeEEEZNS1_21merge_sort_block_sortIS3_N6thrust23THRUST_200600_302600_NS6detail15normal_iteratorINS9_10device_ptrIiEEEESE_PS5_SF_14custom_greaterIiEEE10hipError_tT0_T1_T2_T3_mRjT4_P12ihipStream_tbNS1_7vsmem_tEEUlT_E_NS1_11comp_targetILNS1_3genE9ELNS1_11target_archE1100ELNS1_3gpuE3ELNS1_3repE0EEENS1_30default_config_static_selectorELNS0_4arch9wavefront6targetE1EEEvSK_: ; @_ZN7rocprim17ROCPRIM_400000_NS6detail17trampoline_kernelINS0_14default_configENS1_37merge_sort_block_sort_config_selectorIiNS0_10empty_typeEEEZNS1_21merge_sort_block_sortIS3_N6thrust23THRUST_200600_302600_NS6detail15normal_iteratorINS9_10device_ptrIiEEEESE_PS5_SF_14custom_greaterIiEEE10hipError_tT0_T1_T2_T3_mRjT4_P12ihipStream_tbNS1_7vsmem_tEEUlT_E_NS1_11comp_targetILNS1_3genE9ELNS1_11target_archE1100ELNS1_3gpuE3ELNS1_3repE0EEENS1_30default_config_static_selectorELNS0_4arch9wavefront6targetE1EEEvSK_
; %bb.0:
	.section	.rodata,"a",@progbits
	.p2align	6, 0x0
	.amdhsa_kernel _ZN7rocprim17ROCPRIM_400000_NS6detail17trampoline_kernelINS0_14default_configENS1_37merge_sort_block_sort_config_selectorIiNS0_10empty_typeEEEZNS1_21merge_sort_block_sortIS3_N6thrust23THRUST_200600_302600_NS6detail15normal_iteratorINS9_10device_ptrIiEEEESE_PS5_SF_14custom_greaterIiEEE10hipError_tT0_T1_T2_T3_mRjT4_P12ihipStream_tbNS1_7vsmem_tEEUlT_E_NS1_11comp_targetILNS1_3genE9ELNS1_11target_archE1100ELNS1_3gpuE3ELNS1_3repE0EEENS1_30default_config_static_selectorELNS0_4arch9wavefront6targetE1EEEvSK_
		.amdhsa_group_segment_fixed_size 0
		.amdhsa_private_segment_fixed_size 0
		.amdhsa_kernarg_size 64
		.amdhsa_user_sgpr_count 6
		.amdhsa_user_sgpr_private_segment_buffer 1
		.amdhsa_user_sgpr_dispatch_ptr 0
		.amdhsa_user_sgpr_queue_ptr 0
		.amdhsa_user_sgpr_kernarg_segment_ptr 1
		.amdhsa_user_sgpr_dispatch_id 0
		.amdhsa_user_sgpr_flat_scratch_init 0
		.amdhsa_user_sgpr_kernarg_preload_length 0
		.amdhsa_user_sgpr_kernarg_preload_offset 0
		.amdhsa_user_sgpr_private_segment_size 0
		.amdhsa_uses_dynamic_stack 0
		.amdhsa_system_sgpr_private_segment_wavefront_offset 0
		.amdhsa_system_sgpr_workgroup_id_x 1
		.amdhsa_system_sgpr_workgroup_id_y 0
		.amdhsa_system_sgpr_workgroup_id_z 0
		.amdhsa_system_sgpr_workgroup_info 0
		.amdhsa_system_vgpr_workitem_id 0
		.amdhsa_next_free_vgpr 1
		.amdhsa_next_free_sgpr 0
		.amdhsa_accum_offset 4
		.amdhsa_reserve_vcc 0
		.amdhsa_reserve_flat_scratch 0
		.amdhsa_float_round_mode_32 0
		.amdhsa_float_round_mode_16_64 0
		.amdhsa_float_denorm_mode_32 3
		.amdhsa_float_denorm_mode_16_64 3
		.amdhsa_dx10_clamp 1
		.amdhsa_ieee_mode 1
		.amdhsa_fp16_overflow 0
		.amdhsa_tg_split 0
		.amdhsa_exception_fp_ieee_invalid_op 0
		.amdhsa_exception_fp_denorm_src 0
		.amdhsa_exception_fp_ieee_div_zero 0
		.amdhsa_exception_fp_ieee_overflow 0
		.amdhsa_exception_fp_ieee_underflow 0
		.amdhsa_exception_fp_ieee_inexact 0
		.amdhsa_exception_int_div_zero 0
	.end_amdhsa_kernel
	.section	.text._ZN7rocprim17ROCPRIM_400000_NS6detail17trampoline_kernelINS0_14default_configENS1_37merge_sort_block_sort_config_selectorIiNS0_10empty_typeEEEZNS1_21merge_sort_block_sortIS3_N6thrust23THRUST_200600_302600_NS6detail15normal_iteratorINS9_10device_ptrIiEEEESE_PS5_SF_14custom_greaterIiEEE10hipError_tT0_T1_T2_T3_mRjT4_P12ihipStream_tbNS1_7vsmem_tEEUlT_E_NS1_11comp_targetILNS1_3genE9ELNS1_11target_archE1100ELNS1_3gpuE3ELNS1_3repE0EEENS1_30default_config_static_selectorELNS0_4arch9wavefront6targetE1EEEvSK_,"axG",@progbits,_ZN7rocprim17ROCPRIM_400000_NS6detail17trampoline_kernelINS0_14default_configENS1_37merge_sort_block_sort_config_selectorIiNS0_10empty_typeEEEZNS1_21merge_sort_block_sortIS3_N6thrust23THRUST_200600_302600_NS6detail15normal_iteratorINS9_10device_ptrIiEEEESE_PS5_SF_14custom_greaterIiEEE10hipError_tT0_T1_T2_T3_mRjT4_P12ihipStream_tbNS1_7vsmem_tEEUlT_E_NS1_11comp_targetILNS1_3genE9ELNS1_11target_archE1100ELNS1_3gpuE3ELNS1_3repE0EEENS1_30default_config_static_selectorELNS0_4arch9wavefront6targetE1EEEvSK_,comdat
.Lfunc_end3086:
	.size	_ZN7rocprim17ROCPRIM_400000_NS6detail17trampoline_kernelINS0_14default_configENS1_37merge_sort_block_sort_config_selectorIiNS0_10empty_typeEEEZNS1_21merge_sort_block_sortIS3_N6thrust23THRUST_200600_302600_NS6detail15normal_iteratorINS9_10device_ptrIiEEEESE_PS5_SF_14custom_greaterIiEEE10hipError_tT0_T1_T2_T3_mRjT4_P12ihipStream_tbNS1_7vsmem_tEEUlT_E_NS1_11comp_targetILNS1_3genE9ELNS1_11target_archE1100ELNS1_3gpuE3ELNS1_3repE0EEENS1_30default_config_static_selectorELNS0_4arch9wavefront6targetE1EEEvSK_, .Lfunc_end3086-_ZN7rocprim17ROCPRIM_400000_NS6detail17trampoline_kernelINS0_14default_configENS1_37merge_sort_block_sort_config_selectorIiNS0_10empty_typeEEEZNS1_21merge_sort_block_sortIS3_N6thrust23THRUST_200600_302600_NS6detail15normal_iteratorINS9_10device_ptrIiEEEESE_PS5_SF_14custom_greaterIiEEE10hipError_tT0_T1_T2_T3_mRjT4_P12ihipStream_tbNS1_7vsmem_tEEUlT_E_NS1_11comp_targetILNS1_3genE9ELNS1_11target_archE1100ELNS1_3gpuE3ELNS1_3repE0EEENS1_30default_config_static_selectorELNS0_4arch9wavefront6targetE1EEEvSK_
                                        ; -- End function
	.section	.AMDGPU.csdata,"",@progbits
; Kernel info:
; codeLenInByte = 0
; NumSgprs: 4
; NumVgprs: 0
; NumAgprs: 0
; TotalNumVgprs: 0
; ScratchSize: 0
; MemoryBound: 0
; FloatMode: 240
; IeeeMode: 1
; LDSByteSize: 0 bytes/workgroup (compile time only)
; SGPRBlocks: 0
; VGPRBlocks: 0
; NumSGPRsForWavesPerEU: 4
; NumVGPRsForWavesPerEU: 1
; AccumOffset: 4
; Occupancy: 8
; WaveLimiterHint : 0
; COMPUTE_PGM_RSRC2:SCRATCH_EN: 0
; COMPUTE_PGM_RSRC2:USER_SGPR: 6
; COMPUTE_PGM_RSRC2:TRAP_HANDLER: 0
; COMPUTE_PGM_RSRC2:TGID_X_EN: 1
; COMPUTE_PGM_RSRC2:TGID_Y_EN: 0
; COMPUTE_PGM_RSRC2:TGID_Z_EN: 0
; COMPUTE_PGM_RSRC2:TIDIG_COMP_CNT: 0
; COMPUTE_PGM_RSRC3_GFX90A:ACCUM_OFFSET: 0
; COMPUTE_PGM_RSRC3_GFX90A:TG_SPLIT: 0
	.section	.text._ZN7rocprim17ROCPRIM_400000_NS6detail17trampoline_kernelINS0_14default_configENS1_37merge_sort_block_sort_config_selectorIiNS0_10empty_typeEEEZNS1_21merge_sort_block_sortIS3_N6thrust23THRUST_200600_302600_NS6detail15normal_iteratorINS9_10device_ptrIiEEEESE_PS5_SF_14custom_greaterIiEEE10hipError_tT0_T1_T2_T3_mRjT4_P12ihipStream_tbNS1_7vsmem_tEEUlT_E_NS1_11comp_targetILNS1_3genE8ELNS1_11target_archE1030ELNS1_3gpuE2ELNS1_3repE0EEENS1_30default_config_static_selectorELNS0_4arch9wavefront6targetE1EEEvSK_,"axG",@progbits,_ZN7rocprim17ROCPRIM_400000_NS6detail17trampoline_kernelINS0_14default_configENS1_37merge_sort_block_sort_config_selectorIiNS0_10empty_typeEEEZNS1_21merge_sort_block_sortIS3_N6thrust23THRUST_200600_302600_NS6detail15normal_iteratorINS9_10device_ptrIiEEEESE_PS5_SF_14custom_greaterIiEEE10hipError_tT0_T1_T2_T3_mRjT4_P12ihipStream_tbNS1_7vsmem_tEEUlT_E_NS1_11comp_targetILNS1_3genE8ELNS1_11target_archE1030ELNS1_3gpuE2ELNS1_3repE0EEENS1_30default_config_static_selectorELNS0_4arch9wavefront6targetE1EEEvSK_,comdat
	.protected	_ZN7rocprim17ROCPRIM_400000_NS6detail17trampoline_kernelINS0_14default_configENS1_37merge_sort_block_sort_config_selectorIiNS0_10empty_typeEEEZNS1_21merge_sort_block_sortIS3_N6thrust23THRUST_200600_302600_NS6detail15normal_iteratorINS9_10device_ptrIiEEEESE_PS5_SF_14custom_greaterIiEEE10hipError_tT0_T1_T2_T3_mRjT4_P12ihipStream_tbNS1_7vsmem_tEEUlT_E_NS1_11comp_targetILNS1_3genE8ELNS1_11target_archE1030ELNS1_3gpuE2ELNS1_3repE0EEENS1_30default_config_static_selectorELNS0_4arch9wavefront6targetE1EEEvSK_ ; -- Begin function _ZN7rocprim17ROCPRIM_400000_NS6detail17trampoline_kernelINS0_14default_configENS1_37merge_sort_block_sort_config_selectorIiNS0_10empty_typeEEEZNS1_21merge_sort_block_sortIS3_N6thrust23THRUST_200600_302600_NS6detail15normal_iteratorINS9_10device_ptrIiEEEESE_PS5_SF_14custom_greaterIiEEE10hipError_tT0_T1_T2_T3_mRjT4_P12ihipStream_tbNS1_7vsmem_tEEUlT_E_NS1_11comp_targetILNS1_3genE8ELNS1_11target_archE1030ELNS1_3gpuE2ELNS1_3repE0EEENS1_30default_config_static_selectorELNS0_4arch9wavefront6targetE1EEEvSK_
	.globl	_ZN7rocprim17ROCPRIM_400000_NS6detail17trampoline_kernelINS0_14default_configENS1_37merge_sort_block_sort_config_selectorIiNS0_10empty_typeEEEZNS1_21merge_sort_block_sortIS3_N6thrust23THRUST_200600_302600_NS6detail15normal_iteratorINS9_10device_ptrIiEEEESE_PS5_SF_14custom_greaterIiEEE10hipError_tT0_T1_T2_T3_mRjT4_P12ihipStream_tbNS1_7vsmem_tEEUlT_E_NS1_11comp_targetILNS1_3genE8ELNS1_11target_archE1030ELNS1_3gpuE2ELNS1_3repE0EEENS1_30default_config_static_selectorELNS0_4arch9wavefront6targetE1EEEvSK_
	.p2align	8
	.type	_ZN7rocprim17ROCPRIM_400000_NS6detail17trampoline_kernelINS0_14default_configENS1_37merge_sort_block_sort_config_selectorIiNS0_10empty_typeEEEZNS1_21merge_sort_block_sortIS3_N6thrust23THRUST_200600_302600_NS6detail15normal_iteratorINS9_10device_ptrIiEEEESE_PS5_SF_14custom_greaterIiEEE10hipError_tT0_T1_T2_T3_mRjT4_P12ihipStream_tbNS1_7vsmem_tEEUlT_E_NS1_11comp_targetILNS1_3genE8ELNS1_11target_archE1030ELNS1_3gpuE2ELNS1_3repE0EEENS1_30default_config_static_selectorELNS0_4arch9wavefront6targetE1EEEvSK_,@function
_ZN7rocprim17ROCPRIM_400000_NS6detail17trampoline_kernelINS0_14default_configENS1_37merge_sort_block_sort_config_selectorIiNS0_10empty_typeEEEZNS1_21merge_sort_block_sortIS3_N6thrust23THRUST_200600_302600_NS6detail15normal_iteratorINS9_10device_ptrIiEEEESE_PS5_SF_14custom_greaterIiEEE10hipError_tT0_T1_T2_T3_mRjT4_P12ihipStream_tbNS1_7vsmem_tEEUlT_E_NS1_11comp_targetILNS1_3genE8ELNS1_11target_archE1030ELNS1_3gpuE2ELNS1_3repE0EEENS1_30default_config_static_selectorELNS0_4arch9wavefront6targetE1EEEvSK_: ; @_ZN7rocprim17ROCPRIM_400000_NS6detail17trampoline_kernelINS0_14default_configENS1_37merge_sort_block_sort_config_selectorIiNS0_10empty_typeEEEZNS1_21merge_sort_block_sortIS3_N6thrust23THRUST_200600_302600_NS6detail15normal_iteratorINS9_10device_ptrIiEEEESE_PS5_SF_14custom_greaterIiEEE10hipError_tT0_T1_T2_T3_mRjT4_P12ihipStream_tbNS1_7vsmem_tEEUlT_E_NS1_11comp_targetILNS1_3genE8ELNS1_11target_archE1030ELNS1_3gpuE2ELNS1_3repE0EEENS1_30default_config_static_selectorELNS0_4arch9wavefront6targetE1EEEvSK_
; %bb.0:
	.section	.rodata,"a",@progbits
	.p2align	6, 0x0
	.amdhsa_kernel _ZN7rocprim17ROCPRIM_400000_NS6detail17trampoline_kernelINS0_14default_configENS1_37merge_sort_block_sort_config_selectorIiNS0_10empty_typeEEEZNS1_21merge_sort_block_sortIS3_N6thrust23THRUST_200600_302600_NS6detail15normal_iteratorINS9_10device_ptrIiEEEESE_PS5_SF_14custom_greaterIiEEE10hipError_tT0_T1_T2_T3_mRjT4_P12ihipStream_tbNS1_7vsmem_tEEUlT_E_NS1_11comp_targetILNS1_3genE8ELNS1_11target_archE1030ELNS1_3gpuE2ELNS1_3repE0EEENS1_30default_config_static_selectorELNS0_4arch9wavefront6targetE1EEEvSK_
		.amdhsa_group_segment_fixed_size 0
		.amdhsa_private_segment_fixed_size 0
		.amdhsa_kernarg_size 64
		.amdhsa_user_sgpr_count 6
		.amdhsa_user_sgpr_private_segment_buffer 1
		.amdhsa_user_sgpr_dispatch_ptr 0
		.amdhsa_user_sgpr_queue_ptr 0
		.amdhsa_user_sgpr_kernarg_segment_ptr 1
		.amdhsa_user_sgpr_dispatch_id 0
		.amdhsa_user_sgpr_flat_scratch_init 0
		.amdhsa_user_sgpr_kernarg_preload_length 0
		.amdhsa_user_sgpr_kernarg_preload_offset 0
		.amdhsa_user_sgpr_private_segment_size 0
		.amdhsa_uses_dynamic_stack 0
		.amdhsa_system_sgpr_private_segment_wavefront_offset 0
		.amdhsa_system_sgpr_workgroup_id_x 1
		.amdhsa_system_sgpr_workgroup_id_y 0
		.amdhsa_system_sgpr_workgroup_id_z 0
		.amdhsa_system_sgpr_workgroup_info 0
		.amdhsa_system_vgpr_workitem_id 0
		.amdhsa_next_free_vgpr 1
		.amdhsa_next_free_sgpr 0
		.amdhsa_accum_offset 4
		.amdhsa_reserve_vcc 0
		.amdhsa_reserve_flat_scratch 0
		.amdhsa_float_round_mode_32 0
		.amdhsa_float_round_mode_16_64 0
		.amdhsa_float_denorm_mode_32 3
		.amdhsa_float_denorm_mode_16_64 3
		.amdhsa_dx10_clamp 1
		.amdhsa_ieee_mode 1
		.amdhsa_fp16_overflow 0
		.amdhsa_tg_split 0
		.amdhsa_exception_fp_ieee_invalid_op 0
		.amdhsa_exception_fp_denorm_src 0
		.amdhsa_exception_fp_ieee_div_zero 0
		.amdhsa_exception_fp_ieee_overflow 0
		.amdhsa_exception_fp_ieee_underflow 0
		.amdhsa_exception_fp_ieee_inexact 0
		.amdhsa_exception_int_div_zero 0
	.end_amdhsa_kernel
	.section	.text._ZN7rocprim17ROCPRIM_400000_NS6detail17trampoline_kernelINS0_14default_configENS1_37merge_sort_block_sort_config_selectorIiNS0_10empty_typeEEEZNS1_21merge_sort_block_sortIS3_N6thrust23THRUST_200600_302600_NS6detail15normal_iteratorINS9_10device_ptrIiEEEESE_PS5_SF_14custom_greaterIiEEE10hipError_tT0_T1_T2_T3_mRjT4_P12ihipStream_tbNS1_7vsmem_tEEUlT_E_NS1_11comp_targetILNS1_3genE8ELNS1_11target_archE1030ELNS1_3gpuE2ELNS1_3repE0EEENS1_30default_config_static_selectorELNS0_4arch9wavefront6targetE1EEEvSK_,"axG",@progbits,_ZN7rocprim17ROCPRIM_400000_NS6detail17trampoline_kernelINS0_14default_configENS1_37merge_sort_block_sort_config_selectorIiNS0_10empty_typeEEEZNS1_21merge_sort_block_sortIS3_N6thrust23THRUST_200600_302600_NS6detail15normal_iteratorINS9_10device_ptrIiEEEESE_PS5_SF_14custom_greaterIiEEE10hipError_tT0_T1_T2_T3_mRjT4_P12ihipStream_tbNS1_7vsmem_tEEUlT_E_NS1_11comp_targetILNS1_3genE8ELNS1_11target_archE1030ELNS1_3gpuE2ELNS1_3repE0EEENS1_30default_config_static_selectorELNS0_4arch9wavefront6targetE1EEEvSK_,comdat
.Lfunc_end3087:
	.size	_ZN7rocprim17ROCPRIM_400000_NS6detail17trampoline_kernelINS0_14default_configENS1_37merge_sort_block_sort_config_selectorIiNS0_10empty_typeEEEZNS1_21merge_sort_block_sortIS3_N6thrust23THRUST_200600_302600_NS6detail15normal_iteratorINS9_10device_ptrIiEEEESE_PS5_SF_14custom_greaterIiEEE10hipError_tT0_T1_T2_T3_mRjT4_P12ihipStream_tbNS1_7vsmem_tEEUlT_E_NS1_11comp_targetILNS1_3genE8ELNS1_11target_archE1030ELNS1_3gpuE2ELNS1_3repE0EEENS1_30default_config_static_selectorELNS0_4arch9wavefront6targetE1EEEvSK_, .Lfunc_end3087-_ZN7rocprim17ROCPRIM_400000_NS6detail17trampoline_kernelINS0_14default_configENS1_37merge_sort_block_sort_config_selectorIiNS0_10empty_typeEEEZNS1_21merge_sort_block_sortIS3_N6thrust23THRUST_200600_302600_NS6detail15normal_iteratorINS9_10device_ptrIiEEEESE_PS5_SF_14custom_greaterIiEEE10hipError_tT0_T1_T2_T3_mRjT4_P12ihipStream_tbNS1_7vsmem_tEEUlT_E_NS1_11comp_targetILNS1_3genE8ELNS1_11target_archE1030ELNS1_3gpuE2ELNS1_3repE0EEENS1_30default_config_static_selectorELNS0_4arch9wavefront6targetE1EEEvSK_
                                        ; -- End function
	.section	.AMDGPU.csdata,"",@progbits
; Kernel info:
; codeLenInByte = 0
; NumSgprs: 4
; NumVgprs: 0
; NumAgprs: 0
; TotalNumVgprs: 0
; ScratchSize: 0
; MemoryBound: 0
; FloatMode: 240
; IeeeMode: 1
; LDSByteSize: 0 bytes/workgroup (compile time only)
; SGPRBlocks: 0
; VGPRBlocks: 0
; NumSGPRsForWavesPerEU: 4
; NumVGPRsForWavesPerEU: 1
; AccumOffset: 4
; Occupancy: 8
; WaveLimiterHint : 0
; COMPUTE_PGM_RSRC2:SCRATCH_EN: 0
; COMPUTE_PGM_RSRC2:USER_SGPR: 6
; COMPUTE_PGM_RSRC2:TRAP_HANDLER: 0
; COMPUTE_PGM_RSRC2:TGID_X_EN: 1
; COMPUTE_PGM_RSRC2:TGID_Y_EN: 0
; COMPUTE_PGM_RSRC2:TGID_Z_EN: 0
; COMPUTE_PGM_RSRC2:TIDIG_COMP_CNT: 0
; COMPUTE_PGM_RSRC3_GFX90A:ACCUM_OFFSET: 0
; COMPUTE_PGM_RSRC3_GFX90A:TG_SPLIT: 0
	.section	.text._ZN7rocprim17ROCPRIM_400000_NS6detail17trampoline_kernelINS0_14default_configENS1_38merge_sort_block_merge_config_selectorIiNS0_10empty_typeEEEZZNS1_27merge_sort_block_merge_implIS3_N6thrust23THRUST_200600_302600_NS6detail15normal_iteratorINS9_10device_ptrIiEEEEPS5_m14custom_greaterIiEEE10hipError_tT0_T1_T2_jT3_P12ihipStream_tbPNSt15iterator_traitsISJ_E10value_typeEPNSP_ISK_E10value_typeEPSL_NS1_7vsmem_tEENKUlT_SJ_SK_SL_E_clIPiSE_SF_SF_EESI_SY_SJ_SK_SL_EUlSY_E_NS1_11comp_targetILNS1_3genE0ELNS1_11target_archE4294967295ELNS1_3gpuE0ELNS1_3repE0EEENS1_48merge_mergepath_partition_config_static_selectorELNS0_4arch9wavefront6targetE1EEEvSK_,"axG",@progbits,_ZN7rocprim17ROCPRIM_400000_NS6detail17trampoline_kernelINS0_14default_configENS1_38merge_sort_block_merge_config_selectorIiNS0_10empty_typeEEEZZNS1_27merge_sort_block_merge_implIS3_N6thrust23THRUST_200600_302600_NS6detail15normal_iteratorINS9_10device_ptrIiEEEEPS5_m14custom_greaterIiEEE10hipError_tT0_T1_T2_jT3_P12ihipStream_tbPNSt15iterator_traitsISJ_E10value_typeEPNSP_ISK_E10value_typeEPSL_NS1_7vsmem_tEENKUlT_SJ_SK_SL_E_clIPiSE_SF_SF_EESI_SY_SJ_SK_SL_EUlSY_E_NS1_11comp_targetILNS1_3genE0ELNS1_11target_archE4294967295ELNS1_3gpuE0ELNS1_3repE0EEENS1_48merge_mergepath_partition_config_static_selectorELNS0_4arch9wavefront6targetE1EEEvSK_,comdat
	.protected	_ZN7rocprim17ROCPRIM_400000_NS6detail17trampoline_kernelINS0_14default_configENS1_38merge_sort_block_merge_config_selectorIiNS0_10empty_typeEEEZZNS1_27merge_sort_block_merge_implIS3_N6thrust23THRUST_200600_302600_NS6detail15normal_iteratorINS9_10device_ptrIiEEEEPS5_m14custom_greaterIiEEE10hipError_tT0_T1_T2_jT3_P12ihipStream_tbPNSt15iterator_traitsISJ_E10value_typeEPNSP_ISK_E10value_typeEPSL_NS1_7vsmem_tEENKUlT_SJ_SK_SL_E_clIPiSE_SF_SF_EESI_SY_SJ_SK_SL_EUlSY_E_NS1_11comp_targetILNS1_3genE0ELNS1_11target_archE4294967295ELNS1_3gpuE0ELNS1_3repE0EEENS1_48merge_mergepath_partition_config_static_selectorELNS0_4arch9wavefront6targetE1EEEvSK_ ; -- Begin function _ZN7rocprim17ROCPRIM_400000_NS6detail17trampoline_kernelINS0_14default_configENS1_38merge_sort_block_merge_config_selectorIiNS0_10empty_typeEEEZZNS1_27merge_sort_block_merge_implIS3_N6thrust23THRUST_200600_302600_NS6detail15normal_iteratorINS9_10device_ptrIiEEEEPS5_m14custom_greaterIiEEE10hipError_tT0_T1_T2_jT3_P12ihipStream_tbPNSt15iterator_traitsISJ_E10value_typeEPNSP_ISK_E10value_typeEPSL_NS1_7vsmem_tEENKUlT_SJ_SK_SL_E_clIPiSE_SF_SF_EESI_SY_SJ_SK_SL_EUlSY_E_NS1_11comp_targetILNS1_3genE0ELNS1_11target_archE4294967295ELNS1_3gpuE0ELNS1_3repE0EEENS1_48merge_mergepath_partition_config_static_selectorELNS0_4arch9wavefront6targetE1EEEvSK_
	.globl	_ZN7rocprim17ROCPRIM_400000_NS6detail17trampoline_kernelINS0_14default_configENS1_38merge_sort_block_merge_config_selectorIiNS0_10empty_typeEEEZZNS1_27merge_sort_block_merge_implIS3_N6thrust23THRUST_200600_302600_NS6detail15normal_iteratorINS9_10device_ptrIiEEEEPS5_m14custom_greaterIiEEE10hipError_tT0_T1_T2_jT3_P12ihipStream_tbPNSt15iterator_traitsISJ_E10value_typeEPNSP_ISK_E10value_typeEPSL_NS1_7vsmem_tEENKUlT_SJ_SK_SL_E_clIPiSE_SF_SF_EESI_SY_SJ_SK_SL_EUlSY_E_NS1_11comp_targetILNS1_3genE0ELNS1_11target_archE4294967295ELNS1_3gpuE0ELNS1_3repE0EEENS1_48merge_mergepath_partition_config_static_selectorELNS0_4arch9wavefront6targetE1EEEvSK_
	.p2align	8
	.type	_ZN7rocprim17ROCPRIM_400000_NS6detail17trampoline_kernelINS0_14default_configENS1_38merge_sort_block_merge_config_selectorIiNS0_10empty_typeEEEZZNS1_27merge_sort_block_merge_implIS3_N6thrust23THRUST_200600_302600_NS6detail15normal_iteratorINS9_10device_ptrIiEEEEPS5_m14custom_greaterIiEEE10hipError_tT0_T1_T2_jT3_P12ihipStream_tbPNSt15iterator_traitsISJ_E10value_typeEPNSP_ISK_E10value_typeEPSL_NS1_7vsmem_tEENKUlT_SJ_SK_SL_E_clIPiSE_SF_SF_EESI_SY_SJ_SK_SL_EUlSY_E_NS1_11comp_targetILNS1_3genE0ELNS1_11target_archE4294967295ELNS1_3gpuE0ELNS1_3repE0EEENS1_48merge_mergepath_partition_config_static_selectorELNS0_4arch9wavefront6targetE1EEEvSK_,@function
_ZN7rocprim17ROCPRIM_400000_NS6detail17trampoline_kernelINS0_14default_configENS1_38merge_sort_block_merge_config_selectorIiNS0_10empty_typeEEEZZNS1_27merge_sort_block_merge_implIS3_N6thrust23THRUST_200600_302600_NS6detail15normal_iteratorINS9_10device_ptrIiEEEEPS5_m14custom_greaterIiEEE10hipError_tT0_T1_T2_jT3_P12ihipStream_tbPNSt15iterator_traitsISJ_E10value_typeEPNSP_ISK_E10value_typeEPSL_NS1_7vsmem_tEENKUlT_SJ_SK_SL_E_clIPiSE_SF_SF_EESI_SY_SJ_SK_SL_EUlSY_E_NS1_11comp_targetILNS1_3genE0ELNS1_11target_archE4294967295ELNS1_3gpuE0ELNS1_3repE0EEENS1_48merge_mergepath_partition_config_static_selectorELNS0_4arch9wavefront6targetE1EEEvSK_: ; @_ZN7rocprim17ROCPRIM_400000_NS6detail17trampoline_kernelINS0_14default_configENS1_38merge_sort_block_merge_config_selectorIiNS0_10empty_typeEEEZZNS1_27merge_sort_block_merge_implIS3_N6thrust23THRUST_200600_302600_NS6detail15normal_iteratorINS9_10device_ptrIiEEEEPS5_m14custom_greaterIiEEE10hipError_tT0_T1_T2_jT3_P12ihipStream_tbPNSt15iterator_traitsISJ_E10value_typeEPNSP_ISK_E10value_typeEPSL_NS1_7vsmem_tEENKUlT_SJ_SK_SL_E_clIPiSE_SF_SF_EESI_SY_SJ_SK_SL_EUlSY_E_NS1_11comp_targetILNS1_3genE0ELNS1_11target_archE4294967295ELNS1_3gpuE0ELNS1_3repE0EEENS1_48merge_mergepath_partition_config_static_selectorELNS0_4arch9wavefront6targetE1EEEvSK_
; %bb.0:
	.section	.rodata,"a",@progbits
	.p2align	6, 0x0
	.amdhsa_kernel _ZN7rocprim17ROCPRIM_400000_NS6detail17trampoline_kernelINS0_14default_configENS1_38merge_sort_block_merge_config_selectorIiNS0_10empty_typeEEEZZNS1_27merge_sort_block_merge_implIS3_N6thrust23THRUST_200600_302600_NS6detail15normal_iteratorINS9_10device_ptrIiEEEEPS5_m14custom_greaterIiEEE10hipError_tT0_T1_T2_jT3_P12ihipStream_tbPNSt15iterator_traitsISJ_E10value_typeEPNSP_ISK_E10value_typeEPSL_NS1_7vsmem_tEENKUlT_SJ_SK_SL_E_clIPiSE_SF_SF_EESI_SY_SJ_SK_SL_EUlSY_E_NS1_11comp_targetILNS1_3genE0ELNS1_11target_archE4294967295ELNS1_3gpuE0ELNS1_3repE0EEENS1_48merge_mergepath_partition_config_static_selectorELNS0_4arch9wavefront6targetE1EEEvSK_
		.amdhsa_group_segment_fixed_size 0
		.amdhsa_private_segment_fixed_size 0
		.amdhsa_kernarg_size 48
		.amdhsa_user_sgpr_count 6
		.amdhsa_user_sgpr_private_segment_buffer 1
		.amdhsa_user_sgpr_dispatch_ptr 0
		.amdhsa_user_sgpr_queue_ptr 0
		.amdhsa_user_sgpr_kernarg_segment_ptr 1
		.amdhsa_user_sgpr_dispatch_id 0
		.amdhsa_user_sgpr_flat_scratch_init 0
		.amdhsa_user_sgpr_kernarg_preload_length 0
		.amdhsa_user_sgpr_kernarg_preload_offset 0
		.amdhsa_user_sgpr_private_segment_size 0
		.amdhsa_uses_dynamic_stack 0
		.amdhsa_system_sgpr_private_segment_wavefront_offset 0
		.amdhsa_system_sgpr_workgroup_id_x 1
		.amdhsa_system_sgpr_workgroup_id_y 0
		.amdhsa_system_sgpr_workgroup_id_z 0
		.amdhsa_system_sgpr_workgroup_info 0
		.amdhsa_system_vgpr_workitem_id 0
		.amdhsa_next_free_vgpr 1
		.amdhsa_next_free_sgpr 0
		.amdhsa_accum_offset 4
		.amdhsa_reserve_vcc 0
		.amdhsa_reserve_flat_scratch 0
		.amdhsa_float_round_mode_32 0
		.amdhsa_float_round_mode_16_64 0
		.amdhsa_float_denorm_mode_32 3
		.amdhsa_float_denorm_mode_16_64 3
		.amdhsa_dx10_clamp 1
		.amdhsa_ieee_mode 1
		.amdhsa_fp16_overflow 0
		.amdhsa_tg_split 0
		.amdhsa_exception_fp_ieee_invalid_op 0
		.amdhsa_exception_fp_denorm_src 0
		.amdhsa_exception_fp_ieee_div_zero 0
		.amdhsa_exception_fp_ieee_overflow 0
		.amdhsa_exception_fp_ieee_underflow 0
		.amdhsa_exception_fp_ieee_inexact 0
		.amdhsa_exception_int_div_zero 0
	.end_amdhsa_kernel
	.section	.text._ZN7rocprim17ROCPRIM_400000_NS6detail17trampoline_kernelINS0_14default_configENS1_38merge_sort_block_merge_config_selectorIiNS0_10empty_typeEEEZZNS1_27merge_sort_block_merge_implIS3_N6thrust23THRUST_200600_302600_NS6detail15normal_iteratorINS9_10device_ptrIiEEEEPS5_m14custom_greaterIiEEE10hipError_tT0_T1_T2_jT3_P12ihipStream_tbPNSt15iterator_traitsISJ_E10value_typeEPNSP_ISK_E10value_typeEPSL_NS1_7vsmem_tEENKUlT_SJ_SK_SL_E_clIPiSE_SF_SF_EESI_SY_SJ_SK_SL_EUlSY_E_NS1_11comp_targetILNS1_3genE0ELNS1_11target_archE4294967295ELNS1_3gpuE0ELNS1_3repE0EEENS1_48merge_mergepath_partition_config_static_selectorELNS0_4arch9wavefront6targetE1EEEvSK_,"axG",@progbits,_ZN7rocprim17ROCPRIM_400000_NS6detail17trampoline_kernelINS0_14default_configENS1_38merge_sort_block_merge_config_selectorIiNS0_10empty_typeEEEZZNS1_27merge_sort_block_merge_implIS3_N6thrust23THRUST_200600_302600_NS6detail15normal_iteratorINS9_10device_ptrIiEEEEPS5_m14custom_greaterIiEEE10hipError_tT0_T1_T2_jT3_P12ihipStream_tbPNSt15iterator_traitsISJ_E10value_typeEPNSP_ISK_E10value_typeEPSL_NS1_7vsmem_tEENKUlT_SJ_SK_SL_E_clIPiSE_SF_SF_EESI_SY_SJ_SK_SL_EUlSY_E_NS1_11comp_targetILNS1_3genE0ELNS1_11target_archE4294967295ELNS1_3gpuE0ELNS1_3repE0EEENS1_48merge_mergepath_partition_config_static_selectorELNS0_4arch9wavefront6targetE1EEEvSK_,comdat
.Lfunc_end3088:
	.size	_ZN7rocprim17ROCPRIM_400000_NS6detail17trampoline_kernelINS0_14default_configENS1_38merge_sort_block_merge_config_selectorIiNS0_10empty_typeEEEZZNS1_27merge_sort_block_merge_implIS3_N6thrust23THRUST_200600_302600_NS6detail15normal_iteratorINS9_10device_ptrIiEEEEPS5_m14custom_greaterIiEEE10hipError_tT0_T1_T2_jT3_P12ihipStream_tbPNSt15iterator_traitsISJ_E10value_typeEPNSP_ISK_E10value_typeEPSL_NS1_7vsmem_tEENKUlT_SJ_SK_SL_E_clIPiSE_SF_SF_EESI_SY_SJ_SK_SL_EUlSY_E_NS1_11comp_targetILNS1_3genE0ELNS1_11target_archE4294967295ELNS1_3gpuE0ELNS1_3repE0EEENS1_48merge_mergepath_partition_config_static_selectorELNS0_4arch9wavefront6targetE1EEEvSK_, .Lfunc_end3088-_ZN7rocprim17ROCPRIM_400000_NS6detail17trampoline_kernelINS0_14default_configENS1_38merge_sort_block_merge_config_selectorIiNS0_10empty_typeEEEZZNS1_27merge_sort_block_merge_implIS3_N6thrust23THRUST_200600_302600_NS6detail15normal_iteratorINS9_10device_ptrIiEEEEPS5_m14custom_greaterIiEEE10hipError_tT0_T1_T2_jT3_P12ihipStream_tbPNSt15iterator_traitsISJ_E10value_typeEPNSP_ISK_E10value_typeEPSL_NS1_7vsmem_tEENKUlT_SJ_SK_SL_E_clIPiSE_SF_SF_EESI_SY_SJ_SK_SL_EUlSY_E_NS1_11comp_targetILNS1_3genE0ELNS1_11target_archE4294967295ELNS1_3gpuE0ELNS1_3repE0EEENS1_48merge_mergepath_partition_config_static_selectorELNS0_4arch9wavefront6targetE1EEEvSK_
                                        ; -- End function
	.section	.AMDGPU.csdata,"",@progbits
; Kernel info:
; codeLenInByte = 0
; NumSgprs: 4
; NumVgprs: 0
; NumAgprs: 0
; TotalNumVgprs: 0
; ScratchSize: 0
; MemoryBound: 0
; FloatMode: 240
; IeeeMode: 1
; LDSByteSize: 0 bytes/workgroup (compile time only)
; SGPRBlocks: 0
; VGPRBlocks: 0
; NumSGPRsForWavesPerEU: 4
; NumVGPRsForWavesPerEU: 1
; AccumOffset: 4
; Occupancy: 8
; WaveLimiterHint : 0
; COMPUTE_PGM_RSRC2:SCRATCH_EN: 0
; COMPUTE_PGM_RSRC2:USER_SGPR: 6
; COMPUTE_PGM_RSRC2:TRAP_HANDLER: 0
; COMPUTE_PGM_RSRC2:TGID_X_EN: 1
; COMPUTE_PGM_RSRC2:TGID_Y_EN: 0
; COMPUTE_PGM_RSRC2:TGID_Z_EN: 0
; COMPUTE_PGM_RSRC2:TIDIG_COMP_CNT: 0
; COMPUTE_PGM_RSRC3_GFX90A:ACCUM_OFFSET: 0
; COMPUTE_PGM_RSRC3_GFX90A:TG_SPLIT: 0
	.section	.text._ZN7rocprim17ROCPRIM_400000_NS6detail17trampoline_kernelINS0_14default_configENS1_38merge_sort_block_merge_config_selectorIiNS0_10empty_typeEEEZZNS1_27merge_sort_block_merge_implIS3_N6thrust23THRUST_200600_302600_NS6detail15normal_iteratorINS9_10device_ptrIiEEEEPS5_m14custom_greaterIiEEE10hipError_tT0_T1_T2_jT3_P12ihipStream_tbPNSt15iterator_traitsISJ_E10value_typeEPNSP_ISK_E10value_typeEPSL_NS1_7vsmem_tEENKUlT_SJ_SK_SL_E_clIPiSE_SF_SF_EESI_SY_SJ_SK_SL_EUlSY_E_NS1_11comp_targetILNS1_3genE10ELNS1_11target_archE1201ELNS1_3gpuE5ELNS1_3repE0EEENS1_48merge_mergepath_partition_config_static_selectorELNS0_4arch9wavefront6targetE1EEEvSK_,"axG",@progbits,_ZN7rocprim17ROCPRIM_400000_NS6detail17trampoline_kernelINS0_14default_configENS1_38merge_sort_block_merge_config_selectorIiNS0_10empty_typeEEEZZNS1_27merge_sort_block_merge_implIS3_N6thrust23THRUST_200600_302600_NS6detail15normal_iteratorINS9_10device_ptrIiEEEEPS5_m14custom_greaterIiEEE10hipError_tT0_T1_T2_jT3_P12ihipStream_tbPNSt15iterator_traitsISJ_E10value_typeEPNSP_ISK_E10value_typeEPSL_NS1_7vsmem_tEENKUlT_SJ_SK_SL_E_clIPiSE_SF_SF_EESI_SY_SJ_SK_SL_EUlSY_E_NS1_11comp_targetILNS1_3genE10ELNS1_11target_archE1201ELNS1_3gpuE5ELNS1_3repE0EEENS1_48merge_mergepath_partition_config_static_selectorELNS0_4arch9wavefront6targetE1EEEvSK_,comdat
	.protected	_ZN7rocprim17ROCPRIM_400000_NS6detail17trampoline_kernelINS0_14default_configENS1_38merge_sort_block_merge_config_selectorIiNS0_10empty_typeEEEZZNS1_27merge_sort_block_merge_implIS3_N6thrust23THRUST_200600_302600_NS6detail15normal_iteratorINS9_10device_ptrIiEEEEPS5_m14custom_greaterIiEEE10hipError_tT0_T1_T2_jT3_P12ihipStream_tbPNSt15iterator_traitsISJ_E10value_typeEPNSP_ISK_E10value_typeEPSL_NS1_7vsmem_tEENKUlT_SJ_SK_SL_E_clIPiSE_SF_SF_EESI_SY_SJ_SK_SL_EUlSY_E_NS1_11comp_targetILNS1_3genE10ELNS1_11target_archE1201ELNS1_3gpuE5ELNS1_3repE0EEENS1_48merge_mergepath_partition_config_static_selectorELNS0_4arch9wavefront6targetE1EEEvSK_ ; -- Begin function _ZN7rocprim17ROCPRIM_400000_NS6detail17trampoline_kernelINS0_14default_configENS1_38merge_sort_block_merge_config_selectorIiNS0_10empty_typeEEEZZNS1_27merge_sort_block_merge_implIS3_N6thrust23THRUST_200600_302600_NS6detail15normal_iteratorINS9_10device_ptrIiEEEEPS5_m14custom_greaterIiEEE10hipError_tT0_T1_T2_jT3_P12ihipStream_tbPNSt15iterator_traitsISJ_E10value_typeEPNSP_ISK_E10value_typeEPSL_NS1_7vsmem_tEENKUlT_SJ_SK_SL_E_clIPiSE_SF_SF_EESI_SY_SJ_SK_SL_EUlSY_E_NS1_11comp_targetILNS1_3genE10ELNS1_11target_archE1201ELNS1_3gpuE5ELNS1_3repE0EEENS1_48merge_mergepath_partition_config_static_selectorELNS0_4arch9wavefront6targetE1EEEvSK_
	.globl	_ZN7rocprim17ROCPRIM_400000_NS6detail17trampoline_kernelINS0_14default_configENS1_38merge_sort_block_merge_config_selectorIiNS0_10empty_typeEEEZZNS1_27merge_sort_block_merge_implIS3_N6thrust23THRUST_200600_302600_NS6detail15normal_iteratorINS9_10device_ptrIiEEEEPS5_m14custom_greaterIiEEE10hipError_tT0_T1_T2_jT3_P12ihipStream_tbPNSt15iterator_traitsISJ_E10value_typeEPNSP_ISK_E10value_typeEPSL_NS1_7vsmem_tEENKUlT_SJ_SK_SL_E_clIPiSE_SF_SF_EESI_SY_SJ_SK_SL_EUlSY_E_NS1_11comp_targetILNS1_3genE10ELNS1_11target_archE1201ELNS1_3gpuE5ELNS1_3repE0EEENS1_48merge_mergepath_partition_config_static_selectorELNS0_4arch9wavefront6targetE1EEEvSK_
	.p2align	8
	.type	_ZN7rocprim17ROCPRIM_400000_NS6detail17trampoline_kernelINS0_14default_configENS1_38merge_sort_block_merge_config_selectorIiNS0_10empty_typeEEEZZNS1_27merge_sort_block_merge_implIS3_N6thrust23THRUST_200600_302600_NS6detail15normal_iteratorINS9_10device_ptrIiEEEEPS5_m14custom_greaterIiEEE10hipError_tT0_T1_T2_jT3_P12ihipStream_tbPNSt15iterator_traitsISJ_E10value_typeEPNSP_ISK_E10value_typeEPSL_NS1_7vsmem_tEENKUlT_SJ_SK_SL_E_clIPiSE_SF_SF_EESI_SY_SJ_SK_SL_EUlSY_E_NS1_11comp_targetILNS1_3genE10ELNS1_11target_archE1201ELNS1_3gpuE5ELNS1_3repE0EEENS1_48merge_mergepath_partition_config_static_selectorELNS0_4arch9wavefront6targetE1EEEvSK_,@function
_ZN7rocprim17ROCPRIM_400000_NS6detail17trampoline_kernelINS0_14default_configENS1_38merge_sort_block_merge_config_selectorIiNS0_10empty_typeEEEZZNS1_27merge_sort_block_merge_implIS3_N6thrust23THRUST_200600_302600_NS6detail15normal_iteratorINS9_10device_ptrIiEEEEPS5_m14custom_greaterIiEEE10hipError_tT0_T1_T2_jT3_P12ihipStream_tbPNSt15iterator_traitsISJ_E10value_typeEPNSP_ISK_E10value_typeEPSL_NS1_7vsmem_tEENKUlT_SJ_SK_SL_E_clIPiSE_SF_SF_EESI_SY_SJ_SK_SL_EUlSY_E_NS1_11comp_targetILNS1_3genE10ELNS1_11target_archE1201ELNS1_3gpuE5ELNS1_3repE0EEENS1_48merge_mergepath_partition_config_static_selectorELNS0_4arch9wavefront6targetE1EEEvSK_: ; @_ZN7rocprim17ROCPRIM_400000_NS6detail17trampoline_kernelINS0_14default_configENS1_38merge_sort_block_merge_config_selectorIiNS0_10empty_typeEEEZZNS1_27merge_sort_block_merge_implIS3_N6thrust23THRUST_200600_302600_NS6detail15normal_iteratorINS9_10device_ptrIiEEEEPS5_m14custom_greaterIiEEE10hipError_tT0_T1_T2_jT3_P12ihipStream_tbPNSt15iterator_traitsISJ_E10value_typeEPNSP_ISK_E10value_typeEPSL_NS1_7vsmem_tEENKUlT_SJ_SK_SL_E_clIPiSE_SF_SF_EESI_SY_SJ_SK_SL_EUlSY_E_NS1_11comp_targetILNS1_3genE10ELNS1_11target_archE1201ELNS1_3gpuE5ELNS1_3repE0EEENS1_48merge_mergepath_partition_config_static_selectorELNS0_4arch9wavefront6targetE1EEEvSK_
; %bb.0:
	.section	.rodata,"a",@progbits
	.p2align	6, 0x0
	.amdhsa_kernel _ZN7rocprim17ROCPRIM_400000_NS6detail17trampoline_kernelINS0_14default_configENS1_38merge_sort_block_merge_config_selectorIiNS0_10empty_typeEEEZZNS1_27merge_sort_block_merge_implIS3_N6thrust23THRUST_200600_302600_NS6detail15normal_iteratorINS9_10device_ptrIiEEEEPS5_m14custom_greaterIiEEE10hipError_tT0_T1_T2_jT3_P12ihipStream_tbPNSt15iterator_traitsISJ_E10value_typeEPNSP_ISK_E10value_typeEPSL_NS1_7vsmem_tEENKUlT_SJ_SK_SL_E_clIPiSE_SF_SF_EESI_SY_SJ_SK_SL_EUlSY_E_NS1_11comp_targetILNS1_3genE10ELNS1_11target_archE1201ELNS1_3gpuE5ELNS1_3repE0EEENS1_48merge_mergepath_partition_config_static_selectorELNS0_4arch9wavefront6targetE1EEEvSK_
		.amdhsa_group_segment_fixed_size 0
		.amdhsa_private_segment_fixed_size 0
		.amdhsa_kernarg_size 48
		.amdhsa_user_sgpr_count 6
		.amdhsa_user_sgpr_private_segment_buffer 1
		.amdhsa_user_sgpr_dispatch_ptr 0
		.amdhsa_user_sgpr_queue_ptr 0
		.amdhsa_user_sgpr_kernarg_segment_ptr 1
		.amdhsa_user_sgpr_dispatch_id 0
		.amdhsa_user_sgpr_flat_scratch_init 0
		.amdhsa_user_sgpr_kernarg_preload_length 0
		.amdhsa_user_sgpr_kernarg_preload_offset 0
		.amdhsa_user_sgpr_private_segment_size 0
		.amdhsa_uses_dynamic_stack 0
		.amdhsa_system_sgpr_private_segment_wavefront_offset 0
		.amdhsa_system_sgpr_workgroup_id_x 1
		.amdhsa_system_sgpr_workgroup_id_y 0
		.amdhsa_system_sgpr_workgroup_id_z 0
		.amdhsa_system_sgpr_workgroup_info 0
		.amdhsa_system_vgpr_workitem_id 0
		.amdhsa_next_free_vgpr 1
		.amdhsa_next_free_sgpr 0
		.amdhsa_accum_offset 4
		.amdhsa_reserve_vcc 0
		.amdhsa_reserve_flat_scratch 0
		.amdhsa_float_round_mode_32 0
		.amdhsa_float_round_mode_16_64 0
		.amdhsa_float_denorm_mode_32 3
		.amdhsa_float_denorm_mode_16_64 3
		.amdhsa_dx10_clamp 1
		.amdhsa_ieee_mode 1
		.amdhsa_fp16_overflow 0
		.amdhsa_tg_split 0
		.amdhsa_exception_fp_ieee_invalid_op 0
		.amdhsa_exception_fp_denorm_src 0
		.amdhsa_exception_fp_ieee_div_zero 0
		.amdhsa_exception_fp_ieee_overflow 0
		.amdhsa_exception_fp_ieee_underflow 0
		.amdhsa_exception_fp_ieee_inexact 0
		.amdhsa_exception_int_div_zero 0
	.end_amdhsa_kernel
	.section	.text._ZN7rocprim17ROCPRIM_400000_NS6detail17trampoline_kernelINS0_14default_configENS1_38merge_sort_block_merge_config_selectorIiNS0_10empty_typeEEEZZNS1_27merge_sort_block_merge_implIS3_N6thrust23THRUST_200600_302600_NS6detail15normal_iteratorINS9_10device_ptrIiEEEEPS5_m14custom_greaterIiEEE10hipError_tT0_T1_T2_jT3_P12ihipStream_tbPNSt15iterator_traitsISJ_E10value_typeEPNSP_ISK_E10value_typeEPSL_NS1_7vsmem_tEENKUlT_SJ_SK_SL_E_clIPiSE_SF_SF_EESI_SY_SJ_SK_SL_EUlSY_E_NS1_11comp_targetILNS1_3genE10ELNS1_11target_archE1201ELNS1_3gpuE5ELNS1_3repE0EEENS1_48merge_mergepath_partition_config_static_selectorELNS0_4arch9wavefront6targetE1EEEvSK_,"axG",@progbits,_ZN7rocprim17ROCPRIM_400000_NS6detail17trampoline_kernelINS0_14default_configENS1_38merge_sort_block_merge_config_selectorIiNS0_10empty_typeEEEZZNS1_27merge_sort_block_merge_implIS3_N6thrust23THRUST_200600_302600_NS6detail15normal_iteratorINS9_10device_ptrIiEEEEPS5_m14custom_greaterIiEEE10hipError_tT0_T1_T2_jT3_P12ihipStream_tbPNSt15iterator_traitsISJ_E10value_typeEPNSP_ISK_E10value_typeEPSL_NS1_7vsmem_tEENKUlT_SJ_SK_SL_E_clIPiSE_SF_SF_EESI_SY_SJ_SK_SL_EUlSY_E_NS1_11comp_targetILNS1_3genE10ELNS1_11target_archE1201ELNS1_3gpuE5ELNS1_3repE0EEENS1_48merge_mergepath_partition_config_static_selectorELNS0_4arch9wavefront6targetE1EEEvSK_,comdat
.Lfunc_end3089:
	.size	_ZN7rocprim17ROCPRIM_400000_NS6detail17trampoline_kernelINS0_14default_configENS1_38merge_sort_block_merge_config_selectorIiNS0_10empty_typeEEEZZNS1_27merge_sort_block_merge_implIS3_N6thrust23THRUST_200600_302600_NS6detail15normal_iteratorINS9_10device_ptrIiEEEEPS5_m14custom_greaterIiEEE10hipError_tT0_T1_T2_jT3_P12ihipStream_tbPNSt15iterator_traitsISJ_E10value_typeEPNSP_ISK_E10value_typeEPSL_NS1_7vsmem_tEENKUlT_SJ_SK_SL_E_clIPiSE_SF_SF_EESI_SY_SJ_SK_SL_EUlSY_E_NS1_11comp_targetILNS1_3genE10ELNS1_11target_archE1201ELNS1_3gpuE5ELNS1_3repE0EEENS1_48merge_mergepath_partition_config_static_selectorELNS0_4arch9wavefront6targetE1EEEvSK_, .Lfunc_end3089-_ZN7rocprim17ROCPRIM_400000_NS6detail17trampoline_kernelINS0_14default_configENS1_38merge_sort_block_merge_config_selectorIiNS0_10empty_typeEEEZZNS1_27merge_sort_block_merge_implIS3_N6thrust23THRUST_200600_302600_NS6detail15normal_iteratorINS9_10device_ptrIiEEEEPS5_m14custom_greaterIiEEE10hipError_tT0_T1_T2_jT3_P12ihipStream_tbPNSt15iterator_traitsISJ_E10value_typeEPNSP_ISK_E10value_typeEPSL_NS1_7vsmem_tEENKUlT_SJ_SK_SL_E_clIPiSE_SF_SF_EESI_SY_SJ_SK_SL_EUlSY_E_NS1_11comp_targetILNS1_3genE10ELNS1_11target_archE1201ELNS1_3gpuE5ELNS1_3repE0EEENS1_48merge_mergepath_partition_config_static_selectorELNS0_4arch9wavefront6targetE1EEEvSK_
                                        ; -- End function
	.section	.AMDGPU.csdata,"",@progbits
; Kernel info:
; codeLenInByte = 0
; NumSgprs: 4
; NumVgprs: 0
; NumAgprs: 0
; TotalNumVgprs: 0
; ScratchSize: 0
; MemoryBound: 0
; FloatMode: 240
; IeeeMode: 1
; LDSByteSize: 0 bytes/workgroup (compile time only)
; SGPRBlocks: 0
; VGPRBlocks: 0
; NumSGPRsForWavesPerEU: 4
; NumVGPRsForWavesPerEU: 1
; AccumOffset: 4
; Occupancy: 8
; WaveLimiterHint : 0
; COMPUTE_PGM_RSRC2:SCRATCH_EN: 0
; COMPUTE_PGM_RSRC2:USER_SGPR: 6
; COMPUTE_PGM_RSRC2:TRAP_HANDLER: 0
; COMPUTE_PGM_RSRC2:TGID_X_EN: 1
; COMPUTE_PGM_RSRC2:TGID_Y_EN: 0
; COMPUTE_PGM_RSRC2:TGID_Z_EN: 0
; COMPUTE_PGM_RSRC2:TIDIG_COMP_CNT: 0
; COMPUTE_PGM_RSRC3_GFX90A:ACCUM_OFFSET: 0
; COMPUTE_PGM_RSRC3_GFX90A:TG_SPLIT: 0
	.section	.text._ZN7rocprim17ROCPRIM_400000_NS6detail17trampoline_kernelINS0_14default_configENS1_38merge_sort_block_merge_config_selectorIiNS0_10empty_typeEEEZZNS1_27merge_sort_block_merge_implIS3_N6thrust23THRUST_200600_302600_NS6detail15normal_iteratorINS9_10device_ptrIiEEEEPS5_m14custom_greaterIiEEE10hipError_tT0_T1_T2_jT3_P12ihipStream_tbPNSt15iterator_traitsISJ_E10value_typeEPNSP_ISK_E10value_typeEPSL_NS1_7vsmem_tEENKUlT_SJ_SK_SL_E_clIPiSE_SF_SF_EESI_SY_SJ_SK_SL_EUlSY_E_NS1_11comp_targetILNS1_3genE5ELNS1_11target_archE942ELNS1_3gpuE9ELNS1_3repE0EEENS1_48merge_mergepath_partition_config_static_selectorELNS0_4arch9wavefront6targetE1EEEvSK_,"axG",@progbits,_ZN7rocprim17ROCPRIM_400000_NS6detail17trampoline_kernelINS0_14default_configENS1_38merge_sort_block_merge_config_selectorIiNS0_10empty_typeEEEZZNS1_27merge_sort_block_merge_implIS3_N6thrust23THRUST_200600_302600_NS6detail15normal_iteratorINS9_10device_ptrIiEEEEPS5_m14custom_greaterIiEEE10hipError_tT0_T1_T2_jT3_P12ihipStream_tbPNSt15iterator_traitsISJ_E10value_typeEPNSP_ISK_E10value_typeEPSL_NS1_7vsmem_tEENKUlT_SJ_SK_SL_E_clIPiSE_SF_SF_EESI_SY_SJ_SK_SL_EUlSY_E_NS1_11comp_targetILNS1_3genE5ELNS1_11target_archE942ELNS1_3gpuE9ELNS1_3repE0EEENS1_48merge_mergepath_partition_config_static_selectorELNS0_4arch9wavefront6targetE1EEEvSK_,comdat
	.protected	_ZN7rocprim17ROCPRIM_400000_NS6detail17trampoline_kernelINS0_14default_configENS1_38merge_sort_block_merge_config_selectorIiNS0_10empty_typeEEEZZNS1_27merge_sort_block_merge_implIS3_N6thrust23THRUST_200600_302600_NS6detail15normal_iteratorINS9_10device_ptrIiEEEEPS5_m14custom_greaterIiEEE10hipError_tT0_T1_T2_jT3_P12ihipStream_tbPNSt15iterator_traitsISJ_E10value_typeEPNSP_ISK_E10value_typeEPSL_NS1_7vsmem_tEENKUlT_SJ_SK_SL_E_clIPiSE_SF_SF_EESI_SY_SJ_SK_SL_EUlSY_E_NS1_11comp_targetILNS1_3genE5ELNS1_11target_archE942ELNS1_3gpuE9ELNS1_3repE0EEENS1_48merge_mergepath_partition_config_static_selectorELNS0_4arch9wavefront6targetE1EEEvSK_ ; -- Begin function _ZN7rocprim17ROCPRIM_400000_NS6detail17trampoline_kernelINS0_14default_configENS1_38merge_sort_block_merge_config_selectorIiNS0_10empty_typeEEEZZNS1_27merge_sort_block_merge_implIS3_N6thrust23THRUST_200600_302600_NS6detail15normal_iteratorINS9_10device_ptrIiEEEEPS5_m14custom_greaterIiEEE10hipError_tT0_T1_T2_jT3_P12ihipStream_tbPNSt15iterator_traitsISJ_E10value_typeEPNSP_ISK_E10value_typeEPSL_NS1_7vsmem_tEENKUlT_SJ_SK_SL_E_clIPiSE_SF_SF_EESI_SY_SJ_SK_SL_EUlSY_E_NS1_11comp_targetILNS1_3genE5ELNS1_11target_archE942ELNS1_3gpuE9ELNS1_3repE0EEENS1_48merge_mergepath_partition_config_static_selectorELNS0_4arch9wavefront6targetE1EEEvSK_
	.globl	_ZN7rocprim17ROCPRIM_400000_NS6detail17trampoline_kernelINS0_14default_configENS1_38merge_sort_block_merge_config_selectorIiNS0_10empty_typeEEEZZNS1_27merge_sort_block_merge_implIS3_N6thrust23THRUST_200600_302600_NS6detail15normal_iteratorINS9_10device_ptrIiEEEEPS5_m14custom_greaterIiEEE10hipError_tT0_T1_T2_jT3_P12ihipStream_tbPNSt15iterator_traitsISJ_E10value_typeEPNSP_ISK_E10value_typeEPSL_NS1_7vsmem_tEENKUlT_SJ_SK_SL_E_clIPiSE_SF_SF_EESI_SY_SJ_SK_SL_EUlSY_E_NS1_11comp_targetILNS1_3genE5ELNS1_11target_archE942ELNS1_3gpuE9ELNS1_3repE0EEENS1_48merge_mergepath_partition_config_static_selectorELNS0_4arch9wavefront6targetE1EEEvSK_
	.p2align	8
	.type	_ZN7rocprim17ROCPRIM_400000_NS6detail17trampoline_kernelINS0_14default_configENS1_38merge_sort_block_merge_config_selectorIiNS0_10empty_typeEEEZZNS1_27merge_sort_block_merge_implIS3_N6thrust23THRUST_200600_302600_NS6detail15normal_iteratorINS9_10device_ptrIiEEEEPS5_m14custom_greaterIiEEE10hipError_tT0_T1_T2_jT3_P12ihipStream_tbPNSt15iterator_traitsISJ_E10value_typeEPNSP_ISK_E10value_typeEPSL_NS1_7vsmem_tEENKUlT_SJ_SK_SL_E_clIPiSE_SF_SF_EESI_SY_SJ_SK_SL_EUlSY_E_NS1_11comp_targetILNS1_3genE5ELNS1_11target_archE942ELNS1_3gpuE9ELNS1_3repE0EEENS1_48merge_mergepath_partition_config_static_selectorELNS0_4arch9wavefront6targetE1EEEvSK_,@function
_ZN7rocprim17ROCPRIM_400000_NS6detail17trampoline_kernelINS0_14default_configENS1_38merge_sort_block_merge_config_selectorIiNS0_10empty_typeEEEZZNS1_27merge_sort_block_merge_implIS3_N6thrust23THRUST_200600_302600_NS6detail15normal_iteratorINS9_10device_ptrIiEEEEPS5_m14custom_greaterIiEEE10hipError_tT0_T1_T2_jT3_P12ihipStream_tbPNSt15iterator_traitsISJ_E10value_typeEPNSP_ISK_E10value_typeEPSL_NS1_7vsmem_tEENKUlT_SJ_SK_SL_E_clIPiSE_SF_SF_EESI_SY_SJ_SK_SL_EUlSY_E_NS1_11comp_targetILNS1_3genE5ELNS1_11target_archE942ELNS1_3gpuE9ELNS1_3repE0EEENS1_48merge_mergepath_partition_config_static_selectorELNS0_4arch9wavefront6targetE1EEEvSK_: ; @_ZN7rocprim17ROCPRIM_400000_NS6detail17trampoline_kernelINS0_14default_configENS1_38merge_sort_block_merge_config_selectorIiNS0_10empty_typeEEEZZNS1_27merge_sort_block_merge_implIS3_N6thrust23THRUST_200600_302600_NS6detail15normal_iteratorINS9_10device_ptrIiEEEEPS5_m14custom_greaterIiEEE10hipError_tT0_T1_T2_jT3_P12ihipStream_tbPNSt15iterator_traitsISJ_E10value_typeEPNSP_ISK_E10value_typeEPSL_NS1_7vsmem_tEENKUlT_SJ_SK_SL_E_clIPiSE_SF_SF_EESI_SY_SJ_SK_SL_EUlSY_E_NS1_11comp_targetILNS1_3genE5ELNS1_11target_archE942ELNS1_3gpuE9ELNS1_3repE0EEENS1_48merge_mergepath_partition_config_static_selectorELNS0_4arch9wavefront6targetE1EEEvSK_
; %bb.0:
	.section	.rodata,"a",@progbits
	.p2align	6, 0x0
	.amdhsa_kernel _ZN7rocprim17ROCPRIM_400000_NS6detail17trampoline_kernelINS0_14default_configENS1_38merge_sort_block_merge_config_selectorIiNS0_10empty_typeEEEZZNS1_27merge_sort_block_merge_implIS3_N6thrust23THRUST_200600_302600_NS6detail15normal_iteratorINS9_10device_ptrIiEEEEPS5_m14custom_greaterIiEEE10hipError_tT0_T1_T2_jT3_P12ihipStream_tbPNSt15iterator_traitsISJ_E10value_typeEPNSP_ISK_E10value_typeEPSL_NS1_7vsmem_tEENKUlT_SJ_SK_SL_E_clIPiSE_SF_SF_EESI_SY_SJ_SK_SL_EUlSY_E_NS1_11comp_targetILNS1_3genE5ELNS1_11target_archE942ELNS1_3gpuE9ELNS1_3repE0EEENS1_48merge_mergepath_partition_config_static_selectorELNS0_4arch9wavefront6targetE1EEEvSK_
		.amdhsa_group_segment_fixed_size 0
		.amdhsa_private_segment_fixed_size 0
		.amdhsa_kernarg_size 48
		.amdhsa_user_sgpr_count 6
		.amdhsa_user_sgpr_private_segment_buffer 1
		.amdhsa_user_sgpr_dispatch_ptr 0
		.amdhsa_user_sgpr_queue_ptr 0
		.amdhsa_user_sgpr_kernarg_segment_ptr 1
		.amdhsa_user_sgpr_dispatch_id 0
		.amdhsa_user_sgpr_flat_scratch_init 0
		.amdhsa_user_sgpr_kernarg_preload_length 0
		.amdhsa_user_sgpr_kernarg_preload_offset 0
		.amdhsa_user_sgpr_private_segment_size 0
		.amdhsa_uses_dynamic_stack 0
		.amdhsa_system_sgpr_private_segment_wavefront_offset 0
		.amdhsa_system_sgpr_workgroup_id_x 1
		.amdhsa_system_sgpr_workgroup_id_y 0
		.amdhsa_system_sgpr_workgroup_id_z 0
		.amdhsa_system_sgpr_workgroup_info 0
		.amdhsa_system_vgpr_workitem_id 0
		.amdhsa_next_free_vgpr 1
		.amdhsa_next_free_sgpr 0
		.amdhsa_accum_offset 4
		.amdhsa_reserve_vcc 0
		.amdhsa_reserve_flat_scratch 0
		.amdhsa_float_round_mode_32 0
		.amdhsa_float_round_mode_16_64 0
		.amdhsa_float_denorm_mode_32 3
		.amdhsa_float_denorm_mode_16_64 3
		.amdhsa_dx10_clamp 1
		.amdhsa_ieee_mode 1
		.amdhsa_fp16_overflow 0
		.amdhsa_tg_split 0
		.amdhsa_exception_fp_ieee_invalid_op 0
		.amdhsa_exception_fp_denorm_src 0
		.amdhsa_exception_fp_ieee_div_zero 0
		.amdhsa_exception_fp_ieee_overflow 0
		.amdhsa_exception_fp_ieee_underflow 0
		.amdhsa_exception_fp_ieee_inexact 0
		.amdhsa_exception_int_div_zero 0
	.end_amdhsa_kernel
	.section	.text._ZN7rocprim17ROCPRIM_400000_NS6detail17trampoline_kernelINS0_14default_configENS1_38merge_sort_block_merge_config_selectorIiNS0_10empty_typeEEEZZNS1_27merge_sort_block_merge_implIS3_N6thrust23THRUST_200600_302600_NS6detail15normal_iteratorINS9_10device_ptrIiEEEEPS5_m14custom_greaterIiEEE10hipError_tT0_T1_T2_jT3_P12ihipStream_tbPNSt15iterator_traitsISJ_E10value_typeEPNSP_ISK_E10value_typeEPSL_NS1_7vsmem_tEENKUlT_SJ_SK_SL_E_clIPiSE_SF_SF_EESI_SY_SJ_SK_SL_EUlSY_E_NS1_11comp_targetILNS1_3genE5ELNS1_11target_archE942ELNS1_3gpuE9ELNS1_3repE0EEENS1_48merge_mergepath_partition_config_static_selectorELNS0_4arch9wavefront6targetE1EEEvSK_,"axG",@progbits,_ZN7rocprim17ROCPRIM_400000_NS6detail17trampoline_kernelINS0_14default_configENS1_38merge_sort_block_merge_config_selectorIiNS0_10empty_typeEEEZZNS1_27merge_sort_block_merge_implIS3_N6thrust23THRUST_200600_302600_NS6detail15normal_iteratorINS9_10device_ptrIiEEEEPS5_m14custom_greaterIiEEE10hipError_tT0_T1_T2_jT3_P12ihipStream_tbPNSt15iterator_traitsISJ_E10value_typeEPNSP_ISK_E10value_typeEPSL_NS1_7vsmem_tEENKUlT_SJ_SK_SL_E_clIPiSE_SF_SF_EESI_SY_SJ_SK_SL_EUlSY_E_NS1_11comp_targetILNS1_3genE5ELNS1_11target_archE942ELNS1_3gpuE9ELNS1_3repE0EEENS1_48merge_mergepath_partition_config_static_selectorELNS0_4arch9wavefront6targetE1EEEvSK_,comdat
.Lfunc_end3090:
	.size	_ZN7rocprim17ROCPRIM_400000_NS6detail17trampoline_kernelINS0_14default_configENS1_38merge_sort_block_merge_config_selectorIiNS0_10empty_typeEEEZZNS1_27merge_sort_block_merge_implIS3_N6thrust23THRUST_200600_302600_NS6detail15normal_iteratorINS9_10device_ptrIiEEEEPS5_m14custom_greaterIiEEE10hipError_tT0_T1_T2_jT3_P12ihipStream_tbPNSt15iterator_traitsISJ_E10value_typeEPNSP_ISK_E10value_typeEPSL_NS1_7vsmem_tEENKUlT_SJ_SK_SL_E_clIPiSE_SF_SF_EESI_SY_SJ_SK_SL_EUlSY_E_NS1_11comp_targetILNS1_3genE5ELNS1_11target_archE942ELNS1_3gpuE9ELNS1_3repE0EEENS1_48merge_mergepath_partition_config_static_selectorELNS0_4arch9wavefront6targetE1EEEvSK_, .Lfunc_end3090-_ZN7rocprim17ROCPRIM_400000_NS6detail17trampoline_kernelINS0_14default_configENS1_38merge_sort_block_merge_config_selectorIiNS0_10empty_typeEEEZZNS1_27merge_sort_block_merge_implIS3_N6thrust23THRUST_200600_302600_NS6detail15normal_iteratorINS9_10device_ptrIiEEEEPS5_m14custom_greaterIiEEE10hipError_tT0_T1_T2_jT3_P12ihipStream_tbPNSt15iterator_traitsISJ_E10value_typeEPNSP_ISK_E10value_typeEPSL_NS1_7vsmem_tEENKUlT_SJ_SK_SL_E_clIPiSE_SF_SF_EESI_SY_SJ_SK_SL_EUlSY_E_NS1_11comp_targetILNS1_3genE5ELNS1_11target_archE942ELNS1_3gpuE9ELNS1_3repE0EEENS1_48merge_mergepath_partition_config_static_selectorELNS0_4arch9wavefront6targetE1EEEvSK_
                                        ; -- End function
	.section	.AMDGPU.csdata,"",@progbits
; Kernel info:
; codeLenInByte = 0
; NumSgprs: 4
; NumVgprs: 0
; NumAgprs: 0
; TotalNumVgprs: 0
; ScratchSize: 0
; MemoryBound: 0
; FloatMode: 240
; IeeeMode: 1
; LDSByteSize: 0 bytes/workgroup (compile time only)
; SGPRBlocks: 0
; VGPRBlocks: 0
; NumSGPRsForWavesPerEU: 4
; NumVGPRsForWavesPerEU: 1
; AccumOffset: 4
; Occupancy: 8
; WaveLimiterHint : 0
; COMPUTE_PGM_RSRC2:SCRATCH_EN: 0
; COMPUTE_PGM_RSRC2:USER_SGPR: 6
; COMPUTE_PGM_RSRC2:TRAP_HANDLER: 0
; COMPUTE_PGM_RSRC2:TGID_X_EN: 1
; COMPUTE_PGM_RSRC2:TGID_Y_EN: 0
; COMPUTE_PGM_RSRC2:TGID_Z_EN: 0
; COMPUTE_PGM_RSRC2:TIDIG_COMP_CNT: 0
; COMPUTE_PGM_RSRC3_GFX90A:ACCUM_OFFSET: 0
; COMPUTE_PGM_RSRC3_GFX90A:TG_SPLIT: 0
	.section	.text._ZN7rocprim17ROCPRIM_400000_NS6detail17trampoline_kernelINS0_14default_configENS1_38merge_sort_block_merge_config_selectorIiNS0_10empty_typeEEEZZNS1_27merge_sort_block_merge_implIS3_N6thrust23THRUST_200600_302600_NS6detail15normal_iteratorINS9_10device_ptrIiEEEEPS5_m14custom_greaterIiEEE10hipError_tT0_T1_T2_jT3_P12ihipStream_tbPNSt15iterator_traitsISJ_E10value_typeEPNSP_ISK_E10value_typeEPSL_NS1_7vsmem_tEENKUlT_SJ_SK_SL_E_clIPiSE_SF_SF_EESI_SY_SJ_SK_SL_EUlSY_E_NS1_11comp_targetILNS1_3genE4ELNS1_11target_archE910ELNS1_3gpuE8ELNS1_3repE0EEENS1_48merge_mergepath_partition_config_static_selectorELNS0_4arch9wavefront6targetE1EEEvSK_,"axG",@progbits,_ZN7rocprim17ROCPRIM_400000_NS6detail17trampoline_kernelINS0_14default_configENS1_38merge_sort_block_merge_config_selectorIiNS0_10empty_typeEEEZZNS1_27merge_sort_block_merge_implIS3_N6thrust23THRUST_200600_302600_NS6detail15normal_iteratorINS9_10device_ptrIiEEEEPS5_m14custom_greaterIiEEE10hipError_tT0_T1_T2_jT3_P12ihipStream_tbPNSt15iterator_traitsISJ_E10value_typeEPNSP_ISK_E10value_typeEPSL_NS1_7vsmem_tEENKUlT_SJ_SK_SL_E_clIPiSE_SF_SF_EESI_SY_SJ_SK_SL_EUlSY_E_NS1_11comp_targetILNS1_3genE4ELNS1_11target_archE910ELNS1_3gpuE8ELNS1_3repE0EEENS1_48merge_mergepath_partition_config_static_selectorELNS0_4arch9wavefront6targetE1EEEvSK_,comdat
	.protected	_ZN7rocprim17ROCPRIM_400000_NS6detail17trampoline_kernelINS0_14default_configENS1_38merge_sort_block_merge_config_selectorIiNS0_10empty_typeEEEZZNS1_27merge_sort_block_merge_implIS3_N6thrust23THRUST_200600_302600_NS6detail15normal_iteratorINS9_10device_ptrIiEEEEPS5_m14custom_greaterIiEEE10hipError_tT0_T1_T2_jT3_P12ihipStream_tbPNSt15iterator_traitsISJ_E10value_typeEPNSP_ISK_E10value_typeEPSL_NS1_7vsmem_tEENKUlT_SJ_SK_SL_E_clIPiSE_SF_SF_EESI_SY_SJ_SK_SL_EUlSY_E_NS1_11comp_targetILNS1_3genE4ELNS1_11target_archE910ELNS1_3gpuE8ELNS1_3repE0EEENS1_48merge_mergepath_partition_config_static_selectorELNS0_4arch9wavefront6targetE1EEEvSK_ ; -- Begin function _ZN7rocprim17ROCPRIM_400000_NS6detail17trampoline_kernelINS0_14default_configENS1_38merge_sort_block_merge_config_selectorIiNS0_10empty_typeEEEZZNS1_27merge_sort_block_merge_implIS3_N6thrust23THRUST_200600_302600_NS6detail15normal_iteratorINS9_10device_ptrIiEEEEPS5_m14custom_greaterIiEEE10hipError_tT0_T1_T2_jT3_P12ihipStream_tbPNSt15iterator_traitsISJ_E10value_typeEPNSP_ISK_E10value_typeEPSL_NS1_7vsmem_tEENKUlT_SJ_SK_SL_E_clIPiSE_SF_SF_EESI_SY_SJ_SK_SL_EUlSY_E_NS1_11comp_targetILNS1_3genE4ELNS1_11target_archE910ELNS1_3gpuE8ELNS1_3repE0EEENS1_48merge_mergepath_partition_config_static_selectorELNS0_4arch9wavefront6targetE1EEEvSK_
	.globl	_ZN7rocprim17ROCPRIM_400000_NS6detail17trampoline_kernelINS0_14default_configENS1_38merge_sort_block_merge_config_selectorIiNS0_10empty_typeEEEZZNS1_27merge_sort_block_merge_implIS3_N6thrust23THRUST_200600_302600_NS6detail15normal_iteratorINS9_10device_ptrIiEEEEPS5_m14custom_greaterIiEEE10hipError_tT0_T1_T2_jT3_P12ihipStream_tbPNSt15iterator_traitsISJ_E10value_typeEPNSP_ISK_E10value_typeEPSL_NS1_7vsmem_tEENKUlT_SJ_SK_SL_E_clIPiSE_SF_SF_EESI_SY_SJ_SK_SL_EUlSY_E_NS1_11comp_targetILNS1_3genE4ELNS1_11target_archE910ELNS1_3gpuE8ELNS1_3repE0EEENS1_48merge_mergepath_partition_config_static_selectorELNS0_4arch9wavefront6targetE1EEEvSK_
	.p2align	8
	.type	_ZN7rocprim17ROCPRIM_400000_NS6detail17trampoline_kernelINS0_14default_configENS1_38merge_sort_block_merge_config_selectorIiNS0_10empty_typeEEEZZNS1_27merge_sort_block_merge_implIS3_N6thrust23THRUST_200600_302600_NS6detail15normal_iteratorINS9_10device_ptrIiEEEEPS5_m14custom_greaterIiEEE10hipError_tT0_T1_T2_jT3_P12ihipStream_tbPNSt15iterator_traitsISJ_E10value_typeEPNSP_ISK_E10value_typeEPSL_NS1_7vsmem_tEENKUlT_SJ_SK_SL_E_clIPiSE_SF_SF_EESI_SY_SJ_SK_SL_EUlSY_E_NS1_11comp_targetILNS1_3genE4ELNS1_11target_archE910ELNS1_3gpuE8ELNS1_3repE0EEENS1_48merge_mergepath_partition_config_static_selectorELNS0_4arch9wavefront6targetE1EEEvSK_,@function
_ZN7rocprim17ROCPRIM_400000_NS6detail17trampoline_kernelINS0_14default_configENS1_38merge_sort_block_merge_config_selectorIiNS0_10empty_typeEEEZZNS1_27merge_sort_block_merge_implIS3_N6thrust23THRUST_200600_302600_NS6detail15normal_iteratorINS9_10device_ptrIiEEEEPS5_m14custom_greaterIiEEE10hipError_tT0_T1_T2_jT3_P12ihipStream_tbPNSt15iterator_traitsISJ_E10value_typeEPNSP_ISK_E10value_typeEPSL_NS1_7vsmem_tEENKUlT_SJ_SK_SL_E_clIPiSE_SF_SF_EESI_SY_SJ_SK_SL_EUlSY_E_NS1_11comp_targetILNS1_3genE4ELNS1_11target_archE910ELNS1_3gpuE8ELNS1_3repE0EEENS1_48merge_mergepath_partition_config_static_selectorELNS0_4arch9wavefront6targetE1EEEvSK_: ; @_ZN7rocprim17ROCPRIM_400000_NS6detail17trampoline_kernelINS0_14default_configENS1_38merge_sort_block_merge_config_selectorIiNS0_10empty_typeEEEZZNS1_27merge_sort_block_merge_implIS3_N6thrust23THRUST_200600_302600_NS6detail15normal_iteratorINS9_10device_ptrIiEEEEPS5_m14custom_greaterIiEEE10hipError_tT0_T1_T2_jT3_P12ihipStream_tbPNSt15iterator_traitsISJ_E10value_typeEPNSP_ISK_E10value_typeEPSL_NS1_7vsmem_tEENKUlT_SJ_SK_SL_E_clIPiSE_SF_SF_EESI_SY_SJ_SK_SL_EUlSY_E_NS1_11comp_targetILNS1_3genE4ELNS1_11target_archE910ELNS1_3gpuE8ELNS1_3repE0EEENS1_48merge_mergepath_partition_config_static_selectorELNS0_4arch9wavefront6targetE1EEEvSK_
; %bb.0:
	s_load_dword s0, s[4:5], 0x0
	v_lshl_or_b32 v0, s6, 7, v0
	s_waitcnt lgkmcnt(0)
	v_cmp_gt_u32_e32 vcc, s0, v0
	s_and_saveexec_b64 s[0:1], vcc
	s_cbranch_execz .LBB3091_6
; %bb.1:
	s_load_dwordx4 s[0:3], s[4:5], 0x8
	s_load_dwordx2 s[6:7], s[4:5], 0x28
	v_mov_b32_e32 v5, 0
	s_waitcnt lgkmcnt(0)
	v_mov_b32_e32 v1, s0
	v_alignbit_b32 v1, s1, v1, 9
	v_and_b32_e32 v1, -2, v1
	v_add_u32_e32 v2, -1, v1
	v_sub_u32_e32 v1, 0, v1
	v_and_b32_e32 v4, v0, v1
	v_lshlrev_b64 v[8:9], 10, v[4:5]
	v_mov_b32_e32 v1, s3
	v_cmp_lt_u64_e32 vcc, s[2:3], v[8:9]
	v_mov_b32_e32 v4, s2
	v_and_b32_e32 v6, v2, v0
	v_cndmask_b32_e32 v3, v9, v1, vcc
	v_cndmask_b32_e32 v2, v8, v4, vcc
	v_mov_b32_e32 v7, s1
	v_add_co_u32_e32 v8, vcc, s0, v8
	v_addc_co_u32_e32 v9, vcc, v9, v7, vcc
	v_cmp_lt_u64_e32 vcc, s[2:3], v[8:9]
	v_cndmask_b32_e32 v8, v8, v4, vcc
	v_cndmask_b32_e32 v9, v9, v1, vcc
	v_add_co_u32_e32 v10, vcc, s0, v8
	v_addc_co_u32_e32 v11, vcc, v9, v7, vcc
	v_cmp_lt_u64_e32 vcc, s[2:3], v[10:11]
	v_cndmask_b32_e32 v12, v10, v4, vcc
	v_cndmask_b32_e32 v1, v11, v1, vcc
	v_sub_co_u32_e32 v10, vcc, v12, v2
	v_mov_b32_e32 v7, v5
	v_subb_co_u32_e32 v11, vcc, v1, v3, vcc
	v_lshlrev_b64 v[4:5], 10, v[6:7]
	v_cmp_lt_u64_e32 vcc, v[10:11], v[4:5]
	v_cndmask_b32_e32 v11, v5, v11, vcc
	v_cndmask_b32_e32 v10, v4, v10, vcc
	v_sub_co_u32_e32 v6, vcc, v8, v2
	v_subb_co_u32_e32 v7, vcc, v9, v3, vcc
	v_sub_co_u32_e32 v4, vcc, v8, v12
	v_subb_co_u32_e32 v1, vcc, v9, v1, vcc
	v_add_co_u32_e32 v4, vcc, v10, v4
	v_addc_co_u32_e32 v5, vcc, v11, v1, vcc
	v_cmp_gt_u64_e32 vcc, v[4:5], v[10:11]
	v_cndmask_b32_e64 v5, v5, 0, vcc
	v_cndmask_b32_e64 v4, v4, 0, vcc
	v_cmp_lt_u64_e32 vcc, v[10:11], v[6:7]
	v_cndmask_b32_e32 v7, v7, v11, vcc
	v_cndmask_b32_e32 v6, v6, v10, vcc
	v_cmp_lt_u64_e32 vcc, v[4:5], v[6:7]
	s_and_saveexec_b64 s[0:1], vcc
	s_cbranch_execz .LBB3091_5
; %bb.2:
	s_load_dwordx2 s[2:3], s[4:5], 0x18
	v_lshlrev_b64 v[12:13], 2, v[2:3]
	v_lshlrev_b64 v[8:9], 2, v[8:9]
	s_waitcnt lgkmcnt(0)
	v_mov_b32_e32 v14, s3
	v_add_co_u32_e32 v1, vcc, s2, v12
	v_addc_co_u32_e32 v12, vcc, v14, v13, vcc
	v_add_co_u32_e32 v13, vcc, s2, v8
	v_addc_co_u32_e32 v14, vcc, v14, v9, vcc
	v_lshlrev_b64 v[8:9], 2, v[10:11]
	v_add_co_u32_e32 v8, vcc, v13, v8
	v_addc_co_u32_e32 v9, vcc, v14, v9, vcc
	s_mov_b64 s[2:3], 0
.LBB3091_3:                             ; =>This Inner Loop Header: Depth=1
	v_add_co_u32_e32 v10, vcc, v6, v4
	v_addc_co_u32_e32 v11, vcc, v7, v5, vcc
	v_lshrrev_b64 v[10:11], 1, v[10:11]
	v_lshlrev_b64 v[16:17], 2, v[10:11]
	v_not_b32_e32 v15, v11
	v_not_b32_e32 v14, v10
	v_add_co_u32_e32 v16, vcc, v1, v16
	v_addc_co_u32_e32 v17, vcc, v12, v17, vcc
	v_lshlrev_b64 v[14:15], 2, v[14:15]
	v_add_co_u32_e32 v14, vcc, v8, v14
	v_addc_co_u32_e32 v15, vcc, v9, v15, vcc
	global_load_dword v13, v[16:17], off
	global_load_dword v18, v[14:15], off
	v_add_co_u32_e32 v14, vcc, 1, v10
	v_addc_co_u32_e32 v15, vcc, 0, v11, vcc
	s_waitcnt vmcnt(0)
	v_cmp_gt_i32_e32 vcc, v13, v18
	v_cndmask_b32_e32 v7, v7, v11, vcc
	v_cndmask_b32_e32 v6, v6, v10, vcc
	;; [unrolled: 1-line block ×4, first 2 shown]
	v_cmp_ge_u64_e32 vcc, v[4:5], v[6:7]
	s_or_b64 s[2:3], vcc, s[2:3]
	s_andn2_b64 exec, exec, s[2:3]
	s_cbranch_execnz .LBB3091_3
; %bb.4:
	s_or_b64 exec, exec, s[2:3]
.LBB3091_5:
	s_or_b64 exec, exec, s[0:1]
	v_add_co_u32_e32 v2, vcc, v4, v2
	v_mov_b32_e32 v1, 0
	v_addc_co_u32_e32 v3, vcc, v5, v3, vcc
	v_lshlrev_b64 v[0:1], 3, v[0:1]
	v_mov_b32_e32 v4, s7
	v_add_co_u32_e32 v0, vcc, s6, v0
	v_addc_co_u32_e32 v1, vcc, v4, v1, vcc
	global_store_dwordx2 v[0:1], v[2:3], off
.LBB3091_6:
	s_endpgm
	.section	.rodata,"a",@progbits
	.p2align	6, 0x0
	.amdhsa_kernel _ZN7rocprim17ROCPRIM_400000_NS6detail17trampoline_kernelINS0_14default_configENS1_38merge_sort_block_merge_config_selectorIiNS0_10empty_typeEEEZZNS1_27merge_sort_block_merge_implIS3_N6thrust23THRUST_200600_302600_NS6detail15normal_iteratorINS9_10device_ptrIiEEEEPS5_m14custom_greaterIiEEE10hipError_tT0_T1_T2_jT3_P12ihipStream_tbPNSt15iterator_traitsISJ_E10value_typeEPNSP_ISK_E10value_typeEPSL_NS1_7vsmem_tEENKUlT_SJ_SK_SL_E_clIPiSE_SF_SF_EESI_SY_SJ_SK_SL_EUlSY_E_NS1_11comp_targetILNS1_3genE4ELNS1_11target_archE910ELNS1_3gpuE8ELNS1_3repE0EEENS1_48merge_mergepath_partition_config_static_selectorELNS0_4arch9wavefront6targetE1EEEvSK_
		.amdhsa_group_segment_fixed_size 0
		.amdhsa_private_segment_fixed_size 0
		.amdhsa_kernarg_size 48
		.amdhsa_user_sgpr_count 6
		.amdhsa_user_sgpr_private_segment_buffer 1
		.amdhsa_user_sgpr_dispatch_ptr 0
		.amdhsa_user_sgpr_queue_ptr 0
		.amdhsa_user_sgpr_kernarg_segment_ptr 1
		.amdhsa_user_sgpr_dispatch_id 0
		.amdhsa_user_sgpr_flat_scratch_init 0
		.amdhsa_user_sgpr_kernarg_preload_length 0
		.amdhsa_user_sgpr_kernarg_preload_offset 0
		.amdhsa_user_sgpr_private_segment_size 0
		.amdhsa_uses_dynamic_stack 0
		.amdhsa_system_sgpr_private_segment_wavefront_offset 0
		.amdhsa_system_sgpr_workgroup_id_x 1
		.amdhsa_system_sgpr_workgroup_id_y 0
		.amdhsa_system_sgpr_workgroup_id_z 0
		.amdhsa_system_sgpr_workgroup_info 0
		.amdhsa_system_vgpr_workitem_id 0
		.amdhsa_next_free_vgpr 19
		.amdhsa_next_free_sgpr 8
		.amdhsa_accum_offset 20
		.amdhsa_reserve_vcc 1
		.amdhsa_reserve_flat_scratch 0
		.amdhsa_float_round_mode_32 0
		.amdhsa_float_round_mode_16_64 0
		.amdhsa_float_denorm_mode_32 3
		.amdhsa_float_denorm_mode_16_64 3
		.amdhsa_dx10_clamp 1
		.amdhsa_ieee_mode 1
		.amdhsa_fp16_overflow 0
		.amdhsa_tg_split 0
		.amdhsa_exception_fp_ieee_invalid_op 0
		.amdhsa_exception_fp_denorm_src 0
		.amdhsa_exception_fp_ieee_div_zero 0
		.amdhsa_exception_fp_ieee_overflow 0
		.amdhsa_exception_fp_ieee_underflow 0
		.amdhsa_exception_fp_ieee_inexact 0
		.amdhsa_exception_int_div_zero 0
	.end_amdhsa_kernel
	.section	.text._ZN7rocprim17ROCPRIM_400000_NS6detail17trampoline_kernelINS0_14default_configENS1_38merge_sort_block_merge_config_selectorIiNS0_10empty_typeEEEZZNS1_27merge_sort_block_merge_implIS3_N6thrust23THRUST_200600_302600_NS6detail15normal_iteratorINS9_10device_ptrIiEEEEPS5_m14custom_greaterIiEEE10hipError_tT0_T1_T2_jT3_P12ihipStream_tbPNSt15iterator_traitsISJ_E10value_typeEPNSP_ISK_E10value_typeEPSL_NS1_7vsmem_tEENKUlT_SJ_SK_SL_E_clIPiSE_SF_SF_EESI_SY_SJ_SK_SL_EUlSY_E_NS1_11comp_targetILNS1_3genE4ELNS1_11target_archE910ELNS1_3gpuE8ELNS1_3repE0EEENS1_48merge_mergepath_partition_config_static_selectorELNS0_4arch9wavefront6targetE1EEEvSK_,"axG",@progbits,_ZN7rocprim17ROCPRIM_400000_NS6detail17trampoline_kernelINS0_14default_configENS1_38merge_sort_block_merge_config_selectorIiNS0_10empty_typeEEEZZNS1_27merge_sort_block_merge_implIS3_N6thrust23THRUST_200600_302600_NS6detail15normal_iteratorINS9_10device_ptrIiEEEEPS5_m14custom_greaterIiEEE10hipError_tT0_T1_T2_jT3_P12ihipStream_tbPNSt15iterator_traitsISJ_E10value_typeEPNSP_ISK_E10value_typeEPSL_NS1_7vsmem_tEENKUlT_SJ_SK_SL_E_clIPiSE_SF_SF_EESI_SY_SJ_SK_SL_EUlSY_E_NS1_11comp_targetILNS1_3genE4ELNS1_11target_archE910ELNS1_3gpuE8ELNS1_3repE0EEENS1_48merge_mergepath_partition_config_static_selectorELNS0_4arch9wavefront6targetE1EEEvSK_,comdat
.Lfunc_end3091:
	.size	_ZN7rocprim17ROCPRIM_400000_NS6detail17trampoline_kernelINS0_14default_configENS1_38merge_sort_block_merge_config_selectorIiNS0_10empty_typeEEEZZNS1_27merge_sort_block_merge_implIS3_N6thrust23THRUST_200600_302600_NS6detail15normal_iteratorINS9_10device_ptrIiEEEEPS5_m14custom_greaterIiEEE10hipError_tT0_T1_T2_jT3_P12ihipStream_tbPNSt15iterator_traitsISJ_E10value_typeEPNSP_ISK_E10value_typeEPSL_NS1_7vsmem_tEENKUlT_SJ_SK_SL_E_clIPiSE_SF_SF_EESI_SY_SJ_SK_SL_EUlSY_E_NS1_11comp_targetILNS1_3genE4ELNS1_11target_archE910ELNS1_3gpuE8ELNS1_3repE0EEENS1_48merge_mergepath_partition_config_static_selectorELNS0_4arch9wavefront6targetE1EEEvSK_, .Lfunc_end3091-_ZN7rocprim17ROCPRIM_400000_NS6detail17trampoline_kernelINS0_14default_configENS1_38merge_sort_block_merge_config_selectorIiNS0_10empty_typeEEEZZNS1_27merge_sort_block_merge_implIS3_N6thrust23THRUST_200600_302600_NS6detail15normal_iteratorINS9_10device_ptrIiEEEEPS5_m14custom_greaterIiEEE10hipError_tT0_T1_T2_jT3_P12ihipStream_tbPNSt15iterator_traitsISJ_E10value_typeEPNSP_ISK_E10value_typeEPSL_NS1_7vsmem_tEENKUlT_SJ_SK_SL_E_clIPiSE_SF_SF_EESI_SY_SJ_SK_SL_EUlSY_E_NS1_11comp_targetILNS1_3genE4ELNS1_11target_archE910ELNS1_3gpuE8ELNS1_3repE0EEENS1_48merge_mergepath_partition_config_static_selectorELNS0_4arch9wavefront6targetE1EEEvSK_
                                        ; -- End function
	.section	.AMDGPU.csdata,"",@progbits
; Kernel info:
; codeLenInByte = 500
; NumSgprs: 12
; NumVgprs: 19
; NumAgprs: 0
; TotalNumVgprs: 19
; ScratchSize: 0
; MemoryBound: 0
; FloatMode: 240
; IeeeMode: 1
; LDSByteSize: 0 bytes/workgroup (compile time only)
; SGPRBlocks: 1
; VGPRBlocks: 2
; NumSGPRsForWavesPerEU: 12
; NumVGPRsForWavesPerEU: 19
; AccumOffset: 20
; Occupancy: 8
; WaveLimiterHint : 0
; COMPUTE_PGM_RSRC2:SCRATCH_EN: 0
; COMPUTE_PGM_RSRC2:USER_SGPR: 6
; COMPUTE_PGM_RSRC2:TRAP_HANDLER: 0
; COMPUTE_PGM_RSRC2:TGID_X_EN: 1
; COMPUTE_PGM_RSRC2:TGID_Y_EN: 0
; COMPUTE_PGM_RSRC2:TGID_Z_EN: 0
; COMPUTE_PGM_RSRC2:TIDIG_COMP_CNT: 0
; COMPUTE_PGM_RSRC3_GFX90A:ACCUM_OFFSET: 4
; COMPUTE_PGM_RSRC3_GFX90A:TG_SPLIT: 0
	.section	.text._ZN7rocprim17ROCPRIM_400000_NS6detail17trampoline_kernelINS0_14default_configENS1_38merge_sort_block_merge_config_selectorIiNS0_10empty_typeEEEZZNS1_27merge_sort_block_merge_implIS3_N6thrust23THRUST_200600_302600_NS6detail15normal_iteratorINS9_10device_ptrIiEEEEPS5_m14custom_greaterIiEEE10hipError_tT0_T1_T2_jT3_P12ihipStream_tbPNSt15iterator_traitsISJ_E10value_typeEPNSP_ISK_E10value_typeEPSL_NS1_7vsmem_tEENKUlT_SJ_SK_SL_E_clIPiSE_SF_SF_EESI_SY_SJ_SK_SL_EUlSY_E_NS1_11comp_targetILNS1_3genE3ELNS1_11target_archE908ELNS1_3gpuE7ELNS1_3repE0EEENS1_48merge_mergepath_partition_config_static_selectorELNS0_4arch9wavefront6targetE1EEEvSK_,"axG",@progbits,_ZN7rocprim17ROCPRIM_400000_NS6detail17trampoline_kernelINS0_14default_configENS1_38merge_sort_block_merge_config_selectorIiNS0_10empty_typeEEEZZNS1_27merge_sort_block_merge_implIS3_N6thrust23THRUST_200600_302600_NS6detail15normal_iteratorINS9_10device_ptrIiEEEEPS5_m14custom_greaterIiEEE10hipError_tT0_T1_T2_jT3_P12ihipStream_tbPNSt15iterator_traitsISJ_E10value_typeEPNSP_ISK_E10value_typeEPSL_NS1_7vsmem_tEENKUlT_SJ_SK_SL_E_clIPiSE_SF_SF_EESI_SY_SJ_SK_SL_EUlSY_E_NS1_11comp_targetILNS1_3genE3ELNS1_11target_archE908ELNS1_3gpuE7ELNS1_3repE0EEENS1_48merge_mergepath_partition_config_static_selectorELNS0_4arch9wavefront6targetE1EEEvSK_,comdat
	.protected	_ZN7rocprim17ROCPRIM_400000_NS6detail17trampoline_kernelINS0_14default_configENS1_38merge_sort_block_merge_config_selectorIiNS0_10empty_typeEEEZZNS1_27merge_sort_block_merge_implIS3_N6thrust23THRUST_200600_302600_NS6detail15normal_iteratorINS9_10device_ptrIiEEEEPS5_m14custom_greaterIiEEE10hipError_tT0_T1_T2_jT3_P12ihipStream_tbPNSt15iterator_traitsISJ_E10value_typeEPNSP_ISK_E10value_typeEPSL_NS1_7vsmem_tEENKUlT_SJ_SK_SL_E_clIPiSE_SF_SF_EESI_SY_SJ_SK_SL_EUlSY_E_NS1_11comp_targetILNS1_3genE3ELNS1_11target_archE908ELNS1_3gpuE7ELNS1_3repE0EEENS1_48merge_mergepath_partition_config_static_selectorELNS0_4arch9wavefront6targetE1EEEvSK_ ; -- Begin function _ZN7rocprim17ROCPRIM_400000_NS6detail17trampoline_kernelINS0_14default_configENS1_38merge_sort_block_merge_config_selectorIiNS0_10empty_typeEEEZZNS1_27merge_sort_block_merge_implIS3_N6thrust23THRUST_200600_302600_NS6detail15normal_iteratorINS9_10device_ptrIiEEEEPS5_m14custom_greaterIiEEE10hipError_tT0_T1_T2_jT3_P12ihipStream_tbPNSt15iterator_traitsISJ_E10value_typeEPNSP_ISK_E10value_typeEPSL_NS1_7vsmem_tEENKUlT_SJ_SK_SL_E_clIPiSE_SF_SF_EESI_SY_SJ_SK_SL_EUlSY_E_NS1_11comp_targetILNS1_3genE3ELNS1_11target_archE908ELNS1_3gpuE7ELNS1_3repE0EEENS1_48merge_mergepath_partition_config_static_selectorELNS0_4arch9wavefront6targetE1EEEvSK_
	.globl	_ZN7rocprim17ROCPRIM_400000_NS6detail17trampoline_kernelINS0_14default_configENS1_38merge_sort_block_merge_config_selectorIiNS0_10empty_typeEEEZZNS1_27merge_sort_block_merge_implIS3_N6thrust23THRUST_200600_302600_NS6detail15normal_iteratorINS9_10device_ptrIiEEEEPS5_m14custom_greaterIiEEE10hipError_tT0_T1_T2_jT3_P12ihipStream_tbPNSt15iterator_traitsISJ_E10value_typeEPNSP_ISK_E10value_typeEPSL_NS1_7vsmem_tEENKUlT_SJ_SK_SL_E_clIPiSE_SF_SF_EESI_SY_SJ_SK_SL_EUlSY_E_NS1_11comp_targetILNS1_3genE3ELNS1_11target_archE908ELNS1_3gpuE7ELNS1_3repE0EEENS1_48merge_mergepath_partition_config_static_selectorELNS0_4arch9wavefront6targetE1EEEvSK_
	.p2align	8
	.type	_ZN7rocprim17ROCPRIM_400000_NS6detail17trampoline_kernelINS0_14default_configENS1_38merge_sort_block_merge_config_selectorIiNS0_10empty_typeEEEZZNS1_27merge_sort_block_merge_implIS3_N6thrust23THRUST_200600_302600_NS6detail15normal_iteratorINS9_10device_ptrIiEEEEPS5_m14custom_greaterIiEEE10hipError_tT0_T1_T2_jT3_P12ihipStream_tbPNSt15iterator_traitsISJ_E10value_typeEPNSP_ISK_E10value_typeEPSL_NS1_7vsmem_tEENKUlT_SJ_SK_SL_E_clIPiSE_SF_SF_EESI_SY_SJ_SK_SL_EUlSY_E_NS1_11comp_targetILNS1_3genE3ELNS1_11target_archE908ELNS1_3gpuE7ELNS1_3repE0EEENS1_48merge_mergepath_partition_config_static_selectorELNS0_4arch9wavefront6targetE1EEEvSK_,@function
_ZN7rocprim17ROCPRIM_400000_NS6detail17trampoline_kernelINS0_14default_configENS1_38merge_sort_block_merge_config_selectorIiNS0_10empty_typeEEEZZNS1_27merge_sort_block_merge_implIS3_N6thrust23THRUST_200600_302600_NS6detail15normal_iteratorINS9_10device_ptrIiEEEEPS5_m14custom_greaterIiEEE10hipError_tT0_T1_T2_jT3_P12ihipStream_tbPNSt15iterator_traitsISJ_E10value_typeEPNSP_ISK_E10value_typeEPSL_NS1_7vsmem_tEENKUlT_SJ_SK_SL_E_clIPiSE_SF_SF_EESI_SY_SJ_SK_SL_EUlSY_E_NS1_11comp_targetILNS1_3genE3ELNS1_11target_archE908ELNS1_3gpuE7ELNS1_3repE0EEENS1_48merge_mergepath_partition_config_static_selectorELNS0_4arch9wavefront6targetE1EEEvSK_: ; @_ZN7rocprim17ROCPRIM_400000_NS6detail17trampoline_kernelINS0_14default_configENS1_38merge_sort_block_merge_config_selectorIiNS0_10empty_typeEEEZZNS1_27merge_sort_block_merge_implIS3_N6thrust23THRUST_200600_302600_NS6detail15normal_iteratorINS9_10device_ptrIiEEEEPS5_m14custom_greaterIiEEE10hipError_tT0_T1_T2_jT3_P12ihipStream_tbPNSt15iterator_traitsISJ_E10value_typeEPNSP_ISK_E10value_typeEPSL_NS1_7vsmem_tEENKUlT_SJ_SK_SL_E_clIPiSE_SF_SF_EESI_SY_SJ_SK_SL_EUlSY_E_NS1_11comp_targetILNS1_3genE3ELNS1_11target_archE908ELNS1_3gpuE7ELNS1_3repE0EEENS1_48merge_mergepath_partition_config_static_selectorELNS0_4arch9wavefront6targetE1EEEvSK_
; %bb.0:
	.section	.rodata,"a",@progbits
	.p2align	6, 0x0
	.amdhsa_kernel _ZN7rocprim17ROCPRIM_400000_NS6detail17trampoline_kernelINS0_14default_configENS1_38merge_sort_block_merge_config_selectorIiNS0_10empty_typeEEEZZNS1_27merge_sort_block_merge_implIS3_N6thrust23THRUST_200600_302600_NS6detail15normal_iteratorINS9_10device_ptrIiEEEEPS5_m14custom_greaterIiEEE10hipError_tT0_T1_T2_jT3_P12ihipStream_tbPNSt15iterator_traitsISJ_E10value_typeEPNSP_ISK_E10value_typeEPSL_NS1_7vsmem_tEENKUlT_SJ_SK_SL_E_clIPiSE_SF_SF_EESI_SY_SJ_SK_SL_EUlSY_E_NS1_11comp_targetILNS1_3genE3ELNS1_11target_archE908ELNS1_3gpuE7ELNS1_3repE0EEENS1_48merge_mergepath_partition_config_static_selectorELNS0_4arch9wavefront6targetE1EEEvSK_
		.amdhsa_group_segment_fixed_size 0
		.amdhsa_private_segment_fixed_size 0
		.amdhsa_kernarg_size 48
		.amdhsa_user_sgpr_count 6
		.amdhsa_user_sgpr_private_segment_buffer 1
		.amdhsa_user_sgpr_dispatch_ptr 0
		.amdhsa_user_sgpr_queue_ptr 0
		.amdhsa_user_sgpr_kernarg_segment_ptr 1
		.amdhsa_user_sgpr_dispatch_id 0
		.amdhsa_user_sgpr_flat_scratch_init 0
		.amdhsa_user_sgpr_kernarg_preload_length 0
		.amdhsa_user_sgpr_kernarg_preload_offset 0
		.amdhsa_user_sgpr_private_segment_size 0
		.amdhsa_uses_dynamic_stack 0
		.amdhsa_system_sgpr_private_segment_wavefront_offset 0
		.amdhsa_system_sgpr_workgroup_id_x 1
		.amdhsa_system_sgpr_workgroup_id_y 0
		.amdhsa_system_sgpr_workgroup_id_z 0
		.amdhsa_system_sgpr_workgroup_info 0
		.amdhsa_system_vgpr_workitem_id 0
		.amdhsa_next_free_vgpr 1
		.amdhsa_next_free_sgpr 0
		.amdhsa_accum_offset 4
		.amdhsa_reserve_vcc 0
		.amdhsa_reserve_flat_scratch 0
		.amdhsa_float_round_mode_32 0
		.amdhsa_float_round_mode_16_64 0
		.amdhsa_float_denorm_mode_32 3
		.amdhsa_float_denorm_mode_16_64 3
		.amdhsa_dx10_clamp 1
		.amdhsa_ieee_mode 1
		.amdhsa_fp16_overflow 0
		.amdhsa_tg_split 0
		.amdhsa_exception_fp_ieee_invalid_op 0
		.amdhsa_exception_fp_denorm_src 0
		.amdhsa_exception_fp_ieee_div_zero 0
		.amdhsa_exception_fp_ieee_overflow 0
		.amdhsa_exception_fp_ieee_underflow 0
		.amdhsa_exception_fp_ieee_inexact 0
		.amdhsa_exception_int_div_zero 0
	.end_amdhsa_kernel
	.section	.text._ZN7rocprim17ROCPRIM_400000_NS6detail17trampoline_kernelINS0_14default_configENS1_38merge_sort_block_merge_config_selectorIiNS0_10empty_typeEEEZZNS1_27merge_sort_block_merge_implIS3_N6thrust23THRUST_200600_302600_NS6detail15normal_iteratorINS9_10device_ptrIiEEEEPS5_m14custom_greaterIiEEE10hipError_tT0_T1_T2_jT3_P12ihipStream_tbPNSt15iterator_traitsISJ_E10value_typeEPNSP_ISK_E10value_typeEPSL_NS1_7vsmem_tEENKUlT_SJ_SK_SL_E_clIPiSE_SF_SF_EESI_SY_SJ_SK_SL_EUlSY_E_NS1_11comp_targetILNS1_3genE3ELNS1_11target_archE908ELNS1_3gpuE7ELNS1_3repE0EEENS1_48merge_mergepath_partition_config_static_selectorELNS0_4arch9wavefront6targetE1EEEvSK_,"axG",@progbits,_ZN7rocprim17ROCPRIM_400000_NS6detail17trampoline_kernelINS0_14default_configENS1_38merge_sort_block_merge_config_selectorIiNS0_10empty_typeEEEZZNS1_27merge_sort_block_merge_implIS3_N6thrust23THRUST_200600_302600_NS6detail15normal_iteratorINS9_10device_ptrIiEEEEPS5_m14custom_greaterIiEEE10hipError_tT0_T1_T2_jT3_P12ihipStream_tbPNSt15iterator_traitsISJ_E10value_typeEPNSP_ISK_E10value_typeEPSL_NS1_7vsmem_tEENKUlT_SJ_SK_SL_E_clIPiSE_SF_SF_EESI_SY_SJ_SK_SL_EUlSY_E_NS1_11comp_targetILNS1_3genE3ELNS1_11target_archE908ELNS1_3gpuE7ELNS1_3repE0EEENS1_48merge_mergepath_partition_config_static_selectorELNS0_4arch9wavefront6targetE1EEEvSK_,comdat
.Lfunc_end3092:
	.size	_ZN7rocprim17ROCPRIM_400000_NS6detail17trampoline_kernelINS0_14default_configENS1_38merge_sort_block_merge_config_selectorIiNS0_10empty_typeEEEZZNS1_27merge_sort_block_merge_implIS3_N6thrust23THRUST_200600_302600_NS6detail15normal_iteratorINS9_10device_ptrIiEEEEPS5_m14custom_greaterIiEEE10hipError_tT0_T1_T2_jT3_P12ihipStream_tbPNSt15iterator_traitsISJ_E10value_typeEPNSP_ISK_E10value_typeEPSL_NS1_7vsmem_tEENKUlT_SJ_SK_SL_E_clIPiSE_SF_SF_EESI_SY_SJ_SK_SL_EUlSY_E_NS1_11comp_targetILNS1_3genE3ELNS1_11target_archE908ELNS1_3gpuE7ELNS1_3repE0EEENS1_48merge_mergepath_partition_config_static_selectorELNS0_4arch9wavefront6targetE1EEEvSK_, .Lfunc_end3092-_ZN7rocprim17ROCPRIM_400000_NS6detail17trampoline_kernelINS0_14default_configENS1_38merge_sort_block_merge_config_selectorIiNS0_10empty_typeEEEZZNS1_27merge_sort_block_merge_implIS3_N6thrust23THRUST_200600_302600_NS6detail15normal_iteratorINS9_10device_ptrIiEEEEPS5_m14custom_greaterIiEEE10hipError_tT0_T1_T2_jT3_P12ihipStream_tbPNSt15iterator_traitsISJ_E10value_typeEPNSP_ISK_E10value_typeEPSL_NS1_7vsmem_tEENKUlT_SJ_SK_SL_E_clIPiSE_SF_SF_EESI_SY_SJ_SK_SL_EUlSY_E_NS1_11comp_targetILNS1_3genE3ELNS1_11target_archE908ELNS1_3gpuE7ELNS1_3repE0EEENS1_48merge_mergepath_partition_config_static_selectorELNS0_4arch9wavefront6targetE1EEEvSK_
                                        ; -- End function
	.section	.AMDGPU.csdata,"",@progbits
; Kernel info:
; codeLenInByte = 0
; NumSgprs: 4
; NumVgprs: 0
; NumAgprs: 0
; TotalNumVgprs: 0
; ScratchSize: 0
; MemoryBound: 0
; FloatMode: 240
; IeeeMode: 1
; LDSByteSize: 0 bytes/workgroup (compile time only)
; SGPRBlocks: 0
; VGPRBlocks: 0
; NumSGPRsForWavesPerEU: 4
; NumVGPRsForWavesPerEU: 1
; AccumOffset: 4
; Occupancy: 8
; WaveLimiterHint : 0
; COMPUTE_PGM_RSRC2:SCRATCH_EN: 0
; COMPUTE_PGM_RSRC2:USER_SGPR: 6
; COMPUTE_PGM_RSRC2:TRAP_HANDLER: 0
; COMPUTE_PGM_RSRC2:TGID_X_EN: 1
; COMPUTE_PGM_RSRC2:TGID_Y_EN: 0
; COMPUTE_PGM_RSRC2:TGID_Z_EN: 0
; COMPUTE_PGM_RSRC2:TIDIG_COMP_CNT: 0
; COMPUTE_PGM_RSRC3_GFX90A:ACCUM_OFFSET: 0
; COMPUTE_PGM_RSRC3_GFX90A:TG_SPLIT: 0
	.section	.text._ZN7rocprim17ROCPRIM_400000_NS6detail17trampoline_kernelINS0_14default_configENS1_38merge_sort_block_merge_config_selectorIiNS0_10empty_typeEEEZZNS1_27merge_sort_block_merge_implIS3_N6thrust23THRUST_200600_302600_NS6detail15normal_iteratorINS9_10device_ptrIiEEEEPS5_m14custom_greaterIiEEE10hipError_tT0_T1_T2_jT3_P12ihipStream_tbPNSt15iterator_traitsISJ_E10value_typeEPNSP_ISK_E10value_typeEPSL_NS1_7vsmem_tEENKUlT_SJ_SK_SL_E_clIPiSE_SF_SF_EESI_SY_SJ_SK_SL_EUlSY_E_NS1_11comp_targetILNS1_3genE2ELNS1_11target_archE906ELNS1_3gpuE6ELNS1_3repE0EEENS1_48merge_mergepath_partition_config_static_selectorELNS0_4arch9wavefront6targetE1EEEvSK_,"axG",@progbits,_ZN7rocprim17ROCPRIM_400000_NS6detail17trampoline_kernelINS0_14default_configENS1_38merge_sort_block_merge_config_selectorIiNS0_10empty_typeEEEZZNS1_27merge_sort_block_merge_implIS3_N6thrust23THRUST_200600_302600_NS6detail15normal_iteratorINS9_10device_ptrIiEEEEPS5_m14custom_greaterIiEEE10hipError_tT0_T1_T2_jT3_P12ihipStream_tbPNSt15iterator_traitsISJ_E10value_typeEPNSP_ISK_E10value_typeEPSL_NS1_7vsmem_tEENKUlT_SJ_SK_SL_E_clIPiSE_SF_SF_EESI_SY_SJ_SK_SL_EUlSY_E_NS1_11comp_targetILNS1_3genE2ELNS1_11target_archE906ELNS1_3gpuE6ELNS1_3repE0EEENS1_48merge_mergepath_partition_config_static_selectorELNS0_4arch9wavefront6targetE1EEEvSK_,comdat
	.protected	_ZN7rocprim17ROCPRIM_400000_NS6detail17trampoline_kernelINS0_14default_configENS1_38merge_sort_block_merge_config_selectorIiNS0_10empty_typeEEEZZNS1_27merge_sort_block_merge_implIS3_N6thrust23THRUST_200600_302600_NS6detail15normal_iteratorINS9_10device_ptrIiEEEEPS5_m14custom_greaterIiEEE10hipError_tT0_T1_T2_jT3_P12ihipStream_tbPNSt15iterator_traitsISJ_E10value_typeEPNSP_ISK_E10value_typeEPSL_NS1_7vsmem_tEENKUlT_SJ_SK_SL_E_clIPiSE_SF_SF_EESI_SY_SJ_SK_SL_EUlSY_E_NS1_11comp_targetILNS1_3genE2ELNS1_11target_archE906ELNS1_3gpuE6ELNS1_3repE0EEENS1_48merge_mergepath_partition_config_static_selectorELNS0_4arch9wavefront6targetE1EEEvSK_ ; -- Begin function _ZN7rocprim17ROCPRIM_400000_NS6detail17trampoline_kernelINS0_14default_configENS1_38merge_sort_block_merge_config_selectorIiNS0_10empty_typeEEEZZNS1_27merge_sort_block_merge_implIS3_N6thrust23THRUST_200600_302600_NS6detail15normal_iteratorINS9_10device_ptrIiEEEEPS5_m14custom_greaterIiEEE10hipError_tT0_T1_T2_jT3_P12ihipStream_tbPNSt15iterator_traitsISJ_E10value_typeEPNSP_ISK_E10value_typeEPSL_NS1_7vsmem_tEENKUlT_SJ_SK_SL_E_clIPiSE_SF_SF_EESI_SY_SJ_SK_SL_EUlSY_E_NS1_11comp_targetILNS1_3genE2ELNS1_11target_archE906ELNS1_3gpuE6ELNS1_3repE0EEENS1_48merge_mergepath_partition_config_static_selectorELNS0_4arch9wavefront6targetE1EEEvSK_
	.globl	_ZN7rocprim17ROCPRIM_400000_NS6detail17trampoline_kernelINS0_14default_configENS1_38merge_sort_block_merge_config_selectorIiNS0_10empty_typeEEEZZNS1_27merge_sort_block_merge_implIS3_N6thrust23THRUST_200600_302600_NS6detail15normal_iteratorINS9_10device_ptrIiEEEEPS5_m14custom_greaterIiEEE10hipError_tT0_T1_T2_jT3_P12ihipStream_tbPNSt15iterator_traitsISJ_E10value_typeEPNSP_ISK_E10value_typeEPSL_NS1_7vsmem_tEENKUlT_SJ_SK_SL_E_clIPiSE_SF_SF_EESI_SY_SJ_SK_SL_EUlSY_E_NS1_11comp_targetILNS1_3genE2ELNS1_11target_archE906ELNS1_3gpuE6ELNS1_3repE0EEENS1_48merge_mergepath_partition_config_static_selectorELNS0_4arch9wavefront6targetE1EEEvSK_
	.p2align	8
	.type	_ZN7rocprim17ROCPRIM_400000_NS6detail17trampoline_kernelINS0_14default_configENS1_38merge_sort_block_merge_config_selectorIiNS0_10empty_typeEEEZZNS1_27merge_sort_block_merge_implIS3_N6thrust23THRUST_200600_302600_NS6detail15normal_iteratorINS9_10device_ptrIiEEEEPS5_m14custom_greaterIiEEE10hipError_tT0_T1_T2_jT3_P12ihipStream_tbPNSt15iterator_traitsISJ_E10value_typeEPNSP_ISK_E10value_typeEPSL_NS1_7vsmem_tEENKUlT_SJ_SK_SL_E_clIPiSE_SF_SF_EESI_SY_SJ_SK_SL_EUlSY_E_NS1_11comp_targetILNS1_3genE2ELNS1_11target_archE906ELNS1_3gpuE6ELNS1_3repE0EEENS1_48merge_mergepath_partition_config_static_selectorELNS0_4arch9wavefront6targetE1EEEvSK_,@function
_ZN7rocprim17ROCPRIM_400000_NS6detail17trampoline_kernelINS0_14default_configENS1_38merge_sort_block_merge_config_selectorIiNS0_10empty_typeEEEZZNS1_27merge_sort_block_merge_implIS3_N6thrust23THRUST_200600_302600_NS6detail15normal_iteratorINS9_10device_ptrIiEEEEPS5_m14custom_greaterIiEEE10hipError_tT0_T1_T2_jT3_P12ihipStream_tbPNSt15iterator_traitsISJ_E10value_typeEPNSP_ISK_E10value_typeEPSL_NS1_7vsmem_tEENKUlT_SJ_SK_SL_E_clIPiSE_SF_SF_EESI_SY_SJ_SK_SL_EUlSY_E_NS1_11comp_targetILNS1_3genE2ELNS1_11target_archE906ELNS1_3gpuE6ELNS1_3repE0EEENS1_48merge_mergepath_partition_config_static_selectorELNS0_4arch9wavefront6targetE1EEEvSK_: ; @_ZN7rocprim17ROCPRIM_400000_NS6detail17trampoline_kernelINS0_14default_configENS1_38merge_sort_block_merge_config_selectorIiNS0_10empty_typeEEEZZNS1_27merge_sort_block_merge_implIS3_N6thrust23THRUST_200600_302600_NS6detail15normal_iteratorINS9_10device_ptrIiEEEEPS5_m14custom_greaterIiEEE10hipError_tT0_T1_T2_jT3_P12ihipStream_tbPNSt15iterator_traitsISJ_E10value_typeEPNSP_ISK_E10value_typeEPSL_NS1_7vsmem_tEENKUlT_SJ_SK_SL_E_clIPiSE_SF_SF_EESI_SY_SJ_SK_SL_EUlSY_E_NS1_11comp_targetILNS1_3genE2ELNS1_11target_archE906ELNS1_3gpuE6ELNS1_3repE0EEENS1_48merge_mergepath_partition_config_static_selectorELNS0_4arch9wavefront6targetE1EEEvSK_
; %bb.0:
	.section	.rodata,"a",@progbits
	.p2align	6, 0x0
	.amdhsa_kernel _ZN7rocprim17ROCPRIM_400000_NS6detail17trampoline_kernelINS0_14default_configENS1_38merge_sort_block_merge_config_selectorIiNS0_10empty_typeEEEZZNS1_27merge_sort_block_merge_implIS3_N6thrust23THRUST_200600_302600_NS6detail15normal_iteratorINS9_10device_ptrIiEEEEPS5_m14custom_greaterIiEEE10hipError_tT0_T1_T2_jT3_P12ihipStream_tbPNSt15iterator_traitsISJ_E10value_typeEPNSP_ISK_E10value_typeEPSL_NS1_7vsmem_tEENKUlT_SJ_SK_SL_E_clIPiSE_SF_SF_EESI_SY_SJ_SK_SL_EUlSY_E_NS1_11comp_targetILNS1_3genE2ELNS1_11target_archE906ELNS1_3gpuE6ELNS1_3repE0EEENS1_48merge_mergepath_partition_config_static_selectorELNS0_4arch9wavefront6targetE1EEEvSK_
		.amdhsa_group_segment_fixed_size 0
		.amdhsa_private_segment_fixed_size 0
		.amdhsa_kernarg_size 48
		.amdhsa_user_sgpr_count 6
		.amdhsa_user_sgpr_private_segment_buffer 1
		.amdhsa_user_sgpr_dispatch_ptr 0
		.amdhsa_user_sgpr_queue_ptr 0
		.amdhsa_user_sgpr_kernarg_segment_ptr 1
		.amdhsa_user_sgpr_dispatch_id 0
		.amdhsa_user_sgpr_flat_scratch_init 0
		.amdhsa_user_sgpr_kernarg_preload_length 0
		.amdhsa_user_sgpr_kernarg_preload_offset 0
		.amdhsa_user_sgpr_private_segment_size 0
		.amdhsa_uses_dynamic_stack 0
		.amdhsa_system_sgpr_private_segment_wavefront_offset 0
		.amdhsa_system_sgpr_workgroup_id_x 1
		.amdhsa_system_sgpr_workgroup_id_y 0
		.amdhsa_system_sgpr_workgroup_id_z 0
		.amdhsa_system_sgpr_workgroup_info 0
		.amdhsa_system_vgpr_workitem_id 0
		.amdhsa_next_free_vgpr 1
		.amdhsa_next_free_sgpr 0
		.amdhsa_accum_offset 4
		.amdhsa_reserve_vcc 0
		.amdhsa_reserve_flat_scratch 0
		.amdhsa_float_round_mode_32 0
		.amdhsa_float_round_mode_16_64 0
		.amdhsa_float_denorm_mode_32 3
		.amdhsa_float_denorm_mode_16_64 3
		.amdhsa_dx10_clamp 1
		.amdhsa_ieee_mode 1
		.amdhsa_fp16_overflow 0
		.amdhsa_tg_split 0
		.amdhsa_exception_fp_ieee_invalid_op 0
		.amdhsa_exception_fp_denorm_src 0
		.amdhsa_exception_fp_ieee_div_zero 0
		.amdhsa_exception_fp_ieee_overflow 0
		.amdhsa_exception_fp_ieee_underflow 0
		.amdhsa_exception_fp_ieee_inexact 0
		.amdhsa_exception_int_div_zero 0
	.end_amdhsa_kernel
	.section	.text._ZN7rocprim17ROCPRIM_400000_NS6detail17trampoline_kernelINS0_14default_configENS1_38merge_sort_block_merge_config_selectorIiNS0_10empty_typeEEEZZNS1_27merge_sort_block_merge_implIS3_N6thrust23THRUST_200600_302600_NS6detail15normal_iteratorINS9_10device_ptrIiEEEEPS5_m14custom_greaterIiEEE10hipError_tT0_T1_T2_jT3_P12ihipStream_tbPNSt15iterator_traitsISJ_E10value_typeEPNSP_ISK_E10value_typeEPSL_NS1_7vsmem_tEENKUlT_SJ_SK_SL_E_clIPiSE_SF_SF_EESI_SY_SJ_SK_SL_EUlSY_E_NS1_11comp_targetILNS1_3genE2ELNS1_11target_archE906ELNS1_3gpuE6ELNS1_3repE0EEENS1_48merge_mergepath_partition_config_static_selectorELNS0_4arch9wavefront6targetE1EEEvSK_,"axG",@progbits,_ZN7rocprim17ROCPRIM_400000_NS6detail17trampoline_kernelINS0_14default_configENS1_38merge_sort_block_merge_config_selectorIiNS0_10empty_typeEEEZZNS1_27merge_sort_block_merge_implIS3_N6thrust23THRUST_200600_302600_NS6detail15normal_iteratorINS9_10device_ptrIiEEEEPS5_m14custom_greaterIiEEE10hipError_tT0_T1_T2_jT3_P12ihipStream_tbPNSt15iterator_traitsISJ_E10value_typeEPNSP_ISK_E10value_typeEPSL_NS1_7vsmem_tEENKUlT_SJ_SK_SL_E_clIPiSE_SF_SF_EESI_SY_SJ_SK_SL_EUlSY_E_NS1_11comp_targetILNS1_3genE2ELNS1_11target_archE906ELNS1_3gpuE6ELNS1_3repE0EEENS1_48merge_mergepath_partition_config_static_selectorELNS0_4arch9wavefront6targetE1EEEvSK_,comdat
.Lfunc_end3093:
	.size	_ZN7rocprim17ROCPRIM_400000_NS6detail17trampoline_kernelINS0_14default_configENS1_38merge_sort_block_merge_config_selectorIiNS0_10empty_typeEEEZZNS1_27merge_sort_block_merge_implIS3_N6thrust23THRUST_200600_302600_NS6detail15normal_iteratorINS9_10device_ptrIiEEEEPS5_m14custom_greaterIiEEE10hipError_tT0_T1_T2_jT3_P12ihipStream_tbPNSt15iterator_traitsISJ_E10value_typeEPNSP_ISK_E10value_typeEPSL_NS1_7vsmem_tEENKUlT_SJ_SK_SL_E_clIPiSE_SF_SF_EESI_SY_SJ_SK_SL_EUlSY_E_NS1_11comp_targetILNS1_3genE2ELNS1_11target_archE906ELNS1_3gpuE6ELNS1_3repE0EEENS1_48merge_mergepath_partition_config_static_selectorELNS0_4arch9wavefront6targetE1EEEvSK_, .Lfunc_end3093-_ZN7rocprim17ROCPRIM_400000_NS6detail17trampoline_kernelINS0_14default_configENS1_38merge_sort_block_merge_config_selectorIiNS0_10empty_typeEEEZZNS1_27merge_sort_block_merge_implIS3_N6thrust23THRUST_200600_302600_NS6detail15normal_iteratorINS9_10device_ptrIiEEEEPS5_m14custom_greaterIiEEE10hipError_tT0_T1_T2_jT3_P12ihipStream_tbPNSt15iterator_traitsISJ_E10value_typeEPNSP_ISK_E10value_typeEPSL_NS1_7vsmem_tEENKUlT_SJ_SK_SL_E_clIPiSE_SF_SF_EESI_SY_SJ_SK_SL_EUlSY_E_NS1_11comp_targetILNS1_3genE2ELNS1_11target_archE906ELNS1_3gpuE6ELNS1_3repE0EEENS1_48merge_mergepath_partition_config_static_selectorELNS0_4arch9wavefront6targetE1EEEvSK_
                                        ; -- End function
	.section	.AMDGPU.csdata,"",@progbits
; Kernel info:
; codeLenInByte = 0
; NumSgprs: 4
; NumVgprs: 0
; NumAgprs: 0
; TotalNumVgprs: 0
; ScratchSize: 0
; MemoryBound: 0
; FloatMode: 240
; IeeeMode: 1
; LDSByteSize: 0 bytes/workgroup (compile time only)
; SGPRBlocks: 0
; VGPRBlocks: 0
; NumSGPRsForWavesPerEU: 4
; NumVGPRsForWavesPerEU: 1
; AccumOffset: 4
; Occupancy: 8
; WaveLimiterHint : 0
; COMPUTE_PGM_RSRC2:SCRATCH_EN: 0
; COMPUTE_PGM_RSRC2:USER_SGPR: 6
; COMPUTE_PGM_RSRC2:TRAP_HANDLER: 0
; COMPUTE_PGM_RSRC2:TGID_X_EN: 1
; COMPUTE_PGM_RSRC2:TGID_Y_EN: 0
; COMPUTE_PGM_RSRC2:TGID_Z_EN: 0
; COMPUTE_PGM_RSRC2:TIDIG_COMP_CNT: 0
; COMPUTE_PGM_RSRC3_GFX90A:ACCUM_OFFSET: 0
; COMPUTE_PGM_RSRC3_GFX90A:TG_SPLIT: 0
	.section	.text._ZN7rocprim17ROCPRIM_400000_NS6detail17trampoline_kernelINS0_14default_configENS1_38merge_sort_block_merge_config_selectorIiNS0_10empty_typeEEEZZNS1_27merge_sort_block_merge_implIS3_N6thrust23THRUST_200600_302600_NS6detail15normal_iteratorINS9_10device_ptrIiEEEEPS5_m14custom_greaterIiEEE10hipError_tT0_T1_T2_jT3_P12ihipStream_tbPNSt15iterator_traitsISJ_E10value_typeEPNSP_ISK_E10value_typeEPSL_NS1_7vsmem_tEENKUlT_SJ_SK_SL_E_clIPiSE_SF_SF_EESI_SY_SJ_SK_SL_EUlSY_E_NS1_11comp_targetILNS1_3genE9ELNS1_11target_archE1100ELNS1_3gpuE3ELNS1_3repE0EEENS1_48merge_mergepath_partition_config_static_selectorELNS0_4arch9wavefront6targetE1EEEvSK_,"axG",@progbits,_ZN7rocprim17ROCPRIM_400000_NS6detail17trampoline_kernelINS0_14default_configENS1_38merge_sort_block_merge_config_selectorIiNS0_10empty_typeEEEZZNS1_27merge_sort_block_merge_implIS3_N6thrust23THRUST_200600_302600_NS6detail15normal_iteratorINS9_10device_ptrIiEEEEPS5_m14custom_greaterIiEEE10hipError_tT0_T1_T2_jT3_P12ihipStream_tbPNSt15iterator_traitsISJ_E10value_typeEPNSP_ISK_E10value_typeEPSL_NS1_7vsmem_tEENKUlT_SJ_SK_SL_E_clIPiSE_SF_SF_EESI_SY_SJ_SK_SL_EUlSY_E_NS1_11comp_targetILNS1_3genE9ELNS1_11target_archE1100ELNS1_3gpuE3ELNS1_3repE0EEENS1_48merge_mergepath_partition_config_static_selectorELNS0_4arch9wavefront6targetE1EEEvSK_,comdat
	.protected	_ZN7rocprim17ROCPRIM_400000_NS6detail17trampoline_kernelINS0_14default_configENS1_38merge_sort_block_merge_config_selectorIiNS0_10empty_typeEEEZZNS1_27merge_sort_block_merge_implIS3_N6thrust23THRUST_200600_302600_NS6detail15normal_iteratorINS9_10device_ptrIiEEEEPS5_m14custom_greaterIiEEE10hipError_tT0_T1_T2_jT3_P12ihipStream_tbPNSt15iterator_traitsISJ_E10value_typeEPNSP_ISK_E10value_typeEPSL_NS1_7vsmem_tEENKUlT_SJ_SK_SL_E_clIPiSE_SF_SF_EESI_SY_SJ_SK_SL_EUlSY_E_NS1_11comp_targetILNS1_3genE9ELNS1_11target_archE1100ELNS1_3gpuE3ELNS1_3repE0EEENS1_48merge_mergepath_partition_config_static_selectorELNS0_4arch9wavefront6targetE1EEEvSK_ ; -- Begin function _ZN7rocprim17ROCPRIM_400000_NS6detail17trampoline_kernelINS0_14default_configENS1_38merge_sort_block_merge_config_selectorIiNS0_10empty_typeEEEZZNS1_27merge_sort_block_merge_implIS3_N6thrust23THRUST_200600_302600_NS6detail15normal_iteratorINS9_10device_ptrIiEEEEPS5_m14custom_greaterIiEEE10hipError_tT0_T1_T2_jT3_P12ihipStream_tbPNSt15iterator_traitsISJ_E10value_typeEPNSP_ISK_E10value_typeEPSL_NS1_7vsmem_tEENKUlT_SJ_SK_SL_E_clIPiSE_SF_SF_EESI_SY_SJ_SK_SL_EUlSY_E_NS1_11comp_targetILNS1_3genE9ELNS1_11target_archE1100ELNS1_3gpuE3ELNS1_3repE0EEENS1_48merge_mergepath_partition_config_static_selectorELNS0_4arch9wavefront6targetE1EEEvSK_
	.globl	_ZN7rocprim17ROCPRIM_400000_NS6detail17trampoline_kernelINS0_14default_configENS1_38merge_sort_block_merge_config_selectorIiNS0_10empty_typeEEEZZNS1_27merge_sort_block_merge_implIS3_N6thrust23THRUST_200600_302600_NS6detail15normal_iteratorINS9_10device_ptrIiEEEEPS5_m14custom_greaterIiEEE10hipError_tT0_T1_T2_jT3_P12ihipStream_tbPNSt15iterator_traitsISJ_E10value_typeEPNSP_ISK_E10value_typeEPSL_NS1_7vsmem_tEENKUlT_SJ_SK_SL_E_clIPiSE_SF_SF_EESI_SY_SJ_SK_SL_EUlSY_E_NS1_11comp_targetILNS1_3genE9ELNS1_11target_archE1100ELNS1_3gpuE3ELNS1_3repE0EEENS1_48merge_mergepath_partition_config_static_selectorELNS0_4arch9wavefront6targetE1EEEvSK_
	.p2align	8
	.type	_ZN7rocprim17ROCPRIM_400000_NS6detail17trampoline_kernelINS0_14default_configENS1_38merge_sort_block_merge_config_selectorIiNS0_10empty_typeEEEZZNS1_27merge_sort_block_merge_implIS3_N6thrust23THRUST_200600_302600_NS6detail15normal_iteratorINS9_10device_ptrIiEEEEPS5_m14custom_greaterIiEEE10hipError_tT0_T1_T2_jT3_P12ihipStream_tbPNSt15iterator_traitsISJ_E10value_typeEPNSP_ISK_E10value_typeEPSL_NS1_7vsmem_tEENKUlT_SJ_SK_SL_E_clIPiSE_SF_SF_EESI_SY_SJ_SK_SL_EUlSY_E_NS1_11comp_targetILNS1_3genE9ELNS1_11target_archE1100ELNS1_3gpuE3ELNS1_3repE0EEENS1_48merge_mergepath_partition_config_static_selectorELNS0_4arch9wavefront6targetE1EEEvSK_,@function
_ZN7rocprim17ROCPRIM_400000_NS6detail17trampoline_kernelINS0_14default_configENS1_38merge_sort_block_merge_config_selectorIiNS0_10empty_typeEEEZZNS1_27merge_sort_block_merge_implIS3_N6thrust23THRUST_200600_302600_NS6detail15normal_iteratorINS9_10device_ptrIiEEEEPS5_m14custom_greaterIiEEE10hipError_tT0_T1_T2_jT3_P12ihipStream_tbPNSt15iterator_traitsISJ_E10value_typeEPNSP_ISK_E10value_typeEPSL_NS1_7vsmem_tEENKUlT_SJ_SK_SL_E_clIPiSE_SF_SF_EESI_SY_SJ_SK_SL_EUlSY_E_NS1_11comp_targetILNS1_3genE9ELNS1_11target_archE1100ELNS1_3gpuE3ELNS1_3repE0EEENS1_48merge_mergepath_partition_config_static_selectorELNS0_4arch9wavefront6targetE1EEEvSK_: ; @_ZN7rocprim17ROCPRIM_400000_NS6detail17trampoline_kernelINS0_14default_configENS1_38merge_sort_block_merge_config_selectorIiNS0_10empty_typeEEEZZNS1_27merge_sort_block_merge_implIS3_N6thrust23THRUST_200600_302600_NS6detail15normal_iteratorINS9_10device_ptrIiEEEEPS5_m14custom_greaterIiEEE10hipError_tT0_T1_T2_jT3_P12ihipStream_tbPNSt15iterator_traitsISJ_E10value_typeEPNSP_ISK_E10value_typeEPSL_NS1_7vsmem_tEENKUlT_SJ_SK_SL_E_clIPiSE_SF_SF_EESI_SY_SJ_SK_SL_EUlSY_E_NS1_11comp_targetILNS1_3genE9ELNS1_11target_archE1100ELNS1_3gpuE3ELNS1_3repE0EEENS1_48merge_mergepath_partition_config_static_selectorELNS0_4arch9wavefront6targetE1EEEvSK_
; %bb.0:
	.section	.rodata,"a",@progbits
	.p2align	6, 0x0
	.amdhsa_kernel _ZN7rocprim17ROCPRIM_400000_NS6detail17trampoline_kernelINS0_14default_configENS1_38merge_sort_block_merge_config_selectorIiNS0_10empty_typeEEEZZNS1_27merge_sort_block_merge_implIS3_N6thrust23THRUST_200600_302600_NS6detail15normal_iteratorINS9_10device_ptrIiEEEEPS5_m14custom_greaterIiEEE10hipError_tT0_T1_T2_jT3_P12ihipStream_tbPNSt15iterator_traitsISJ_E10value_typeEPNSP_ISK_E10value_typeEPSL_NS1_7vsmem_tEENKUlT_SJ_SK_SL_E_clIPiSE_SF_SF_EESI_SY_SJ_SK_SL_EUlSY_E_NS1_11comp_targetILNS1_3genE9ELNS1_11target_archE1100ELNS1_3gpuE3ELNS1_3repE0EEENS1_48merge_mergepath_partition_config_static_selectorELNS0_4arch9wavefront6targetE1EEEvSK_
		.amdhsa_group_segment_fixed_size 0
		.amdhsa_private_segment_fixed_size 0
		.amdhsa_kernarg_size 48
		.amdhsa_user_sgpr_count 6
		.amdhsa_user_sgpr_private_segment_buffer 1
		.amdhsa_user_sgpr_dispatch_ptr 0
		.amdhsa_user_sgpr_queue_ptr 0
		.amdhsa_user_sgpr_kernarg_segment_ptr 1
		.amdhsa_user_sgpr_dispatch_id 0
		.amdhsa_user_sgpr_flat_scratch_init 0
		.amdhsa_user_sgpr_kernarg_preload_length 0
		.amdhsa_user_sgpr_kernarg_preload_offset 0
		.amdhsa_user_sgpr_private_segment_size 0
		.amdhsa_uses_dynamic_stack 0
		.amdhsa_system_sgpr_private_segment_wavefront_offset 0
		.amdhsa_system_sgpr_workgroup_id_x 1
		.amdhsa_system_sgpr_workgroup_id_y 0
		.amdhsa_system_sgpr_workgroup_id_z 0
		.amdhsa_system_sgpr_workgroup_info 0
		.amdhsa_system_vgpr_workitem_id 0
		.amdhsa_next_free_vgpr 1
		.amdhsa_next_free_sgpr 0
		.amdhsa_accum_offset 4
		.amdhsa_reserve_vcc 0
		.amdhsa_reserve_flat_scratch 0
		.amdhsa_float_round_mode_32 0
		.amdhsa_float_round_mode_16_64 0
		.amdhsa_float_denorm_mode_32 3
		.amdhsa_float_denorm_mode_16_64 3
		.amdhsa_dx10_clamp 1
		.amdhsa_ieee_mode 1
		.amdhsa_fp16_overflow 0
		.amdhsa_tg_split 0
		.amdhsa_exception_fp_ieee_invalid_op 0
		.amdhsa_exception_fp_denorm_src 0
		.amdhsa_exception_fp_ieee_div_zero 0
		.amdhsa_exception_fp_ieee_overflow 0
		.amdhsa_exception_fp_ieee_underflow 0
		.amdhsa_exception_fp_ieee_inexact 0
		.amdhsa_exception_int_div_zero 0
	.end_amdhsa_kernel
	.section	.text._ZN7rocprim17ROCPRIM_400000_NS6detail17trampoline_kernelINS0_14default_configENS1_38merge_sort_block_merge_config_selectorIiNS0_10empty_typeEEEZZNS1_27merge_sort_block_merge_implIS3_N6thrust23THRUST_200600_302600_NS6detail15normal_iteratorINS9_10device_ptrIiEEEEPS5_m14custom_greaterIiEEE10hipError_tT0_T1_T2_jT3_P12ihipStream_tbPNSt15iterator_traitsISJ_E10value_typeEPNSP_ISK_E10value_typeEPSL_NS1_7vsmem_tEENKUlT_SJ_SK_SL_E_clIPiSE_SF_SF_EESI_SY_SJ_SK_SL_EUlSY_E_NS1_11comp_targetILNS1_3genE9ELNS1_11target_archE1100ELNS1_3gpuE3ELNS1_3repE0EEENS1_48merge_mergepath_partition_config_static_selectorELNS0_4arch9wavefront6targetE1EEEvSK_,"axG",@progbits,_ZN7rocprim17ROCPRIM_400000_NS6detail17trampoline_kernelINS0_14default_configENS1_38merge_sort_block_merge_config_selectorIiNS0_10empty_typeEEEZZNS1_27merge_sort_block_merge_implIS3_N6thrust23THRUST_200600_302600_NS6detail15normal_iteratorINS9_10device_ptrIiEEEEPS5_m14custom_greaterIiEEE10hipError_tT0_T1_T2_jT3_P12ihipStream_tbPNSt15iterator_traitsISJ_E10value_typeEPNSP_ISK_E10value_typeEPSL_NS1_7vsmem_tEENKUlT_SJ_SK_SL_E_clIPiSE_SF_SF_EESI_SY_SJ_SK_SL_EUlSY_E_NS1_11comp_targetILNS1_3genE9ELNS1_11target_archE1100ELNS1_3gpuE3ELNS1_3repE0EEENS1_48merge_mergepath_partition_config_static_selectorELNS0_4arch9wavefront6targetE1EEEvSK_,comdat
.Lfunc_end3094:
	.size	_ZN7rocprim17ROCPRIM_400000_NS6detail17trampoline_kernelINS0_14default_configENS1_38merge_sort_block_merge_config_selectorIiNS0_10empty_typeEEEZZNS1_27merge_sort_block_merge_implIS3_N6thrust23THRUST_200600_302600_NS6detail15normal_iteratorINS9_10device_ptrIiEEEEPS5_m14custom_greaterIiEEE10hipError_tT0_T1_T2_jT3_P12ihipStream_tbPNSt15iterator_traitsISJ_E10value_typeEPNSP_ISK_E10value_typeEPSL_NS1_7vsmem_tEENKUlT_SJ_SK_SL_E_clIPiSE_SF_SF_EESI_SY_SJ_SK_SL_EUlSY_E_NS1_11comp_targetILNS1_3genE9ELNS1_11target_archE1100ELNS1_3gpuE3ELNS1_3repE0EEENS1_48merge_mergepath_partition_config_static_selectorELNS0_4arch9wavefront6targetE1EEEvSK_, .Lfunc_end3094-_ZN7rocprim17ROCPRIM_400000_NS6detail17trampoline_kernelINS0_14default_configENS1_38merge_sort_block_merge_config_selectorIiNS0_10empty_typeEEEZZNS1_27merge_sort_block_merge_implIS3_N6thrust23THRUST_200600_302600_NS6detail15normal_iteratorINS9_10device_ptrIiEEEEPS5_m14custom_greaterIiEEE10hipError_tT0_T1_T2_jT3_P12ihipStream_tbPNSt15iterator_traitsISJ_E10value_typeEPNSP_ISK_E10value_typeEPSL_NS1_7vsmem_tEENKUlT_SJ_SK_SL_E_clIPiSE_SF_SF_EESI_SY_SJ_SK_SL_EUlSY_E_NS1_11comp_targetILNS1_3genE9ELNS1_11target_archE1100ELNS1_3gpuE3ELNS1_3repE0EEENS1_48merge_mergepath_partition_config_static_selectorELNS0_4arch9wavefront6targetE1EEEvSK_
                                        ; -- End function
	.section	.AMDGPU.csdata,"",@progbits
; Kernel info:
; codeLenInByte = 0
; NumSgprs: 4
; NumVgprs: 0
; NumAgprs: 0
; TotalNumVgprs: 0
; ScratchSize: 0
; MemoryBound: 0
; FloatMode: 240
; IeeeMode: 1
; LDSByteSize: 0 bytes/workgroup (compile time only)
; SGPRBlocks: 0
; VGPRBlocks: 0
; NumSGPRsForWavesPerEU: 4
; NumVGPRsForWavesPerEU: 1
; AccumOffset: 4
; Occupancy: 8
; WaveLimiterHint : 0
; COMPUTE_PGM_RSRC2:SCRATCH_EN: 0
; COMPUTE_PGM_RSRC2:USER_SGPR: 6
; COMPUTE_PGM_RSRC2:TRAP_HANDLER: 0
; COMPUTE_PGM_RSRC2:TGID_X_EN: 1
; COMPUTE_PGM_RSRC2:TGID_Y_EN: 0
; COMPUTE_PGM_RSRC2:TGID_Z_EN: 0
; COMPUTE_PGM_RSRC2:TIDIG_COMP_CNT: 0
; COMPUTE_PGM_RSRC3_GFX90A:ACCUM_OFFSET: 0
; COMPUTE_PGM_RSRC3_GFX90A:TG_SPLIT: 0
	.section	.text._ZN7rocprim17ROCPRIM_400000_NS6detail17trampoline_kernelINS0_14default_configENS1_38merge_sort_block_merge_config_selectorIiNS0_10empty_typeEEEZZNS1_27merge_sort_block_merge_implIS3_N6thrust23THRUST_200600_302600_NS6detail15normal_iteratorINS9_10device_ptrIiEEEEPS5_m14custom_greaterIiEEE10hipError_tT0_T1_T2_jT3_P12ihipStream_tbPNSt15iterator_traitsISJ_E10value_typeEPNSP_ISK_E10value_typeEPSL_NS1_7vsmem_tEENKUlT_SJ_SK_SL_E_clIPiSE_SF_SF_EESI_SY_SJ_SK_SL_EUlSY_E_NS1_11comp_targetILNS1_3genE8ELNS1_11target_archE1030ELNS1_3gpuE2ELNS1_3repE0EEENS1_48merge_mergepath_partition_config_static_selectorELNS0_4arch9wavefront6targetE1EEEvSK_,"axG",@progbits,_ZN7rocprim17ROCPRIM_400000_NS6detail17trampoline_kernelINS0_14default_configENS1_38merge_sort_block_merge_config_selectorIiNS0_10empty_typeEEEZZNS1_27merge_sort_block_merge_implIS3_N6thrust23THRUST_200600_302600_NS6detail15normal_iteratorINS9_10device_ptrIiEEEEPS5_m14custom_greaterIiEEE10hipError_tT0_T1_T2_jT3_P12ihipStream_tbPNSt15iterator_traitsISJ_E10value_typeEPNSP_ISK_E10value_typeEPSL_NS1_7vsmem_tEENKUlT_SJ_SK_SL_E_clIPiSE_SF_SF_EESI_SY_SJ_SK_SL_EUlSY_E_NS1_11comp_targetILNS1_3genE8ELNS1_11target_archE1030ELNS1_3gpuE2ELNS1_3repE0EEENS1_48merge_mergepath_partition_config_static_selectorELNS0_4arch9wavefront6targetE1EEEvSK_,comdat
	.protected	_ZN7rocprim17ROCPRIM_400000_NS6detail17trampoline_kernelINS0_14default_configENS1_38merge_sort_block_merge_config_selectorIiNS0_10empty_typeEEEZZNS1_27merge_sort_block_merge_implIS3_N6thrust23THRUST_200600_302600_NS6detail15normal_iteratorINS9_10device_ptrIiEEEEPS5_m14custom_greaterIiEEE10hipError_tT0_T1_T2_jT3_P12ihipStream_tbPNSt15iterator_traitsISJ_E10value_typeEPNSP_ISK_E10value_typeEPSL_NS1_7vsmem_tEENKUlT_SJ_SK_SL_E_clIPiSE_SF_SF_EESI_SY_SJ_SK_SL_EUlSY_E_NS1_11comp_targetILNS1_3genE8ELNS1_11target_archE1030ELNS1_3gpuE2ELNS1_3repE0EEENS1_48merge_mergepath_partition_config_static_selectorELNS0_4arch9wavefront6targetE1EEEvSK_ ; -- Begin function _ZN7rocprim17ROCPRIM_400000_NS6detail17trampoline_kernelINS0_14default_configENS1_38merge_sort_block_merge_config_selectorIiNS0_10empty_typeEEEZZNS1_27merge_sort_block_merge_implIS3_N6thrust23THRUST_200600_302600_NS6detail15normal_iteratorINS9_10device_ptrIiEEEEPS5_m14custom_greaterIiEEE10hipError_tT0_T1_T2_jT3_P12ihipStream_tbPNSt15iterator_traitsISJ_E10value_typeEPNSP_ISK_E10value_typeEPSL_NS1_7vsmem_tEENKUlT_SJ_SK_SL_E_clIPiSE_SF_SF_EESI_SY_SJ_SK_SL_EUlSY_E_NS1_11comp_targetILNS1_3genE8ELNS1_11target_archE1030ELNS1_3gpuE2ELNS1_3repE0EEENS1_48merge_mergepath_partition_config_static_selectorELNS0_4arch9wavefront6targetE1EEEvSK_
	.globl	_ZN7rocprim17ROCPRIM_400000_NS6detail17trampoline_kernelINS0_14default_configENS1_38merge_sort_block_merge_config_selectorIiNS0_10empty_typeEEEZZNS1_27merge_sort_block_merge_implIS3_N6thrust23THRUST_200600_302600_NS6detail15normal_iteratorINS9_10device_ptrIiEEEEPS5_m14custom_greaterIiEEE10hipError_tT0_T1_T2_jT3_P12ihipStream_tbPNSt15iterator_traitsISJ_E10value_typeEPNSP_ISK_E10value_typeEPSL_NS1_7vsmem_tEENKUlT_SJ_SK_SL_E_clIPiSE_SF_SF_EESI_SY_SJ_SK_SL_EUlSY_E_NS1_11comp_targetILNS1_3genE8ELNS1_11target_archE1030ELNS1_3gpuE2ELNS1_3repE0EEENS1_48merge_mergepath_partition_config_static_selectorELNS0_4arch9wavefront6targetE1EEEvSK_
	.p2align	8
	.type	_ZN7rocprim17ROCPRIM_400000_NS6detail17trampoline_kernelINS0_14default_configENS1_38merge_sort_block_merge_config_selectorIiNS0_10empty_typeEEEZZNS1_27merge_sort_block_merge_implIS3_N6thrust23THRUST_200600_302600_NS6detail15normal_iteratorINS9_10device_ptrIiEEEEPS5_m14custom_greaterIiEEE10hipError_tT0_T1_T2_jT3_P12ihipStream_tbPNSt15iterator_traitsISJ_E10value_typeEPNSP_ISK_E10value_typeEPSL_NS1_7vsmem_tEENKUlT_SJ_SK_SL_E_clIPiSE_SF_SF_EESI_SY_SJ_SK_SL_EUlSY_E_NS1_11comp_targetILNS1_3genE8ELNS1_11target_archE1030ELNS1_3gpuE2ELNS1_3repE0EEENS1_48merge_mergepath_partition_config_static_selectorELNS0_4arch9wavefront6targetE1EEEvSK_,@function
_ZN7rocprim17ROCPRIM_400000_NS6detail17trampoline_kernelINS0_14default_configENS1_38merge_sort_block_merge_config_selectorIiNS0_10empty_typeEEEZZNS1_27merge_sort_block_merge_implIS3_N6thrust23THRUST_200600_302600_NS6detail15normal_iteratorINS9_10device_ptrIiEEEEPS5_m14custom_greaterIiEEE10hipError_tT0_T1_T2_jT3_P12ihipStream_tbPNSt15iterator_traitsISJ_E10value_typeEPNSP_ISK_E10value_typeEPSL_NS1_7vsmem_tEENKUlT_SJ_SK_SL_E_clIPiSE_SF_SF_EESI_SY_SJ_SK_SL_EUlSY_E_NS1_11comp_targetILNS1_3genE8ELNS1_11target_archE1030ELNS1_3gpuE2ELNS1_3repE0EEENS1_48merge_mergepath_partition_config_static_selectorELNS0_4arch9wavefront6targetE1EEEvSK_: ; @_ZN7rocprim17ROCPRIM_400000_NS6detail17trampoline_kernelINS0_14default_configENS1_38merge_sort_block_merge_config_selectorIiNS0_10empty_typeEEEZZNS1_27merge_sort_block_merge_implIS3_N6thrust23THRUST_200600_302600_NS6detail15normal_iteratorINS9_10device_ptrIiEEEEPS5_m14custom_greaterIiEEE10hipError_tT0_T1_T2_jT3_P12ihipStream_tbPNSt15iterator_traitsISJ_E10value_typeEPNSP_ISK_E10value_typeEPSL_NS1_7vsmem_tEENKUlT_SJ_SK_SL_E_clIPiSE_SF_SF_EESI_SY_SJ_SK_SL_EUlSY_E_NS1_11comp_targetILNS1_3genE8ELNS1_11target_archE1030ELNS1_3gpuE2ELNS1_3repE0EEENS1_48merge_mergepath_partition_config_static_selectorELNS0_4arch9wavefront6targetE1EEEvSK_
; %bb.0:
	.section	.rodata,"a",@progbits
	.p2align	6, 0x0
	.amdhsa_kernel _ZN7rocprim17ROCPRIM_400000_NS6detail17trampoline_kernelINS0_14default_configENS1_38merge_sort_block_merge_config_selectorIiNS0_10empty_typeEEEZZNS1_27merge_sort_block_merge_implIS3_N6thrust23THRUST_200600_302600_NS6detail15normal_iteratorINS9_10device_ptrIiEEEEPS5_m14custom_greaterIiEEE10hipError_tT0_T1_T2_jT3_P12ihipStream_tbPNSt15iterator_traitsISJ_E10value_typeEPNSP_ISK_E10value_typeEPSL_NS1_7vsmem_tEENKUlT_SJ_SK_SL_E_clIPiSE_SF_SF_EESI_SY_SJ_SK_SL_EUlSY_E_NS1_11comp_targetILNS1_3genE8ELNS1_11target_archE1030ELNS1_3gpuE2ELNS1_3repE0EEENS1_48merge_mergepath_partition_config_static_selectorELNS0_4arch9wavefront6targetE1EEEvSK_
		.amdhsa_group_segment_fixed_size 0
		.amdhsa_private_segment_fixed_size 0
		.amdhsa_kernarg_size 48
		.amdhsa_user_sgpr_count 6
		.amdhsa_user_sgpr_private_segment_buffer 1
		.amdhsa_user_sgpr_dispatch_ptr 0
		.amdhsa_user_sgpr_queue_ptr 0
		.amdhsa_user_sgpr_kernarg_segment_ptr 1
		.amdhsa_user_sgpr_dispatch_id 0
		.amdhsa_user_sgpr_flat_scratch_init 0
		.amdhsa_user_sgpr_kernarg_preload_length 0
		.amdhsa_user_sgpr_kernarg_preload_offset 0
		.amdhsa_user_sgpr_private_segment_size 0
		.amdhsa_uses_dynamic_stack 0
		.amdhsa_system_sgpr_private_segment_wavefront_offset 0
		.amdhsa_system_sgpr_workgroup_id_x 1
		.amdhsa_system_sgpr_workgroup_id_y 0
		.amdhsa_system_sgpr_workgroup_id_z 0
		.amdhsa_system_sgpr_workgroup_info 0
		.amdhsa_system_vgpr_workitem_id 0
		.amdhsa_next_free_vgpr 1
		.amdhsa_next_free_sgpr 0
		.amdhsa_accum_offset 4
		.amdhsa_reserve_vcc 0
		.amdhsa_reserve_flat_scratch 0
		.amdhsa_float_round_mode_32 0
		.amdhsa_float_round_mode_16_64 0
		.amdhsa_float_denorm_mode_32 3
		.amdhsa_float_denorm_mode_16_64 3
		.amdhsa_dx10_clamp 1
		.amdhsa_ieee_mode 1
		.amdhsa_fp16_overflow 0
		.amdhsa_tg_split 0
		.amdhsa_exception_fp_ieee_invalid_op 0
		.amdhsa_exception_fp_denorm_src 0
		.amdhsa_exception_fp_ieee_div_zero 0
		.amdhsa_exception_fp_ieee_overflow 0
		.amdhsa_exception_fp_ieee_underflow 0
		.amdhsa_exception_fp_ieee_inexact 0
		.amdhsa_exception_int_div_zero 0
	.end_amdhsa_kernel
	.section	.text._ZN7rocprim17ROCPRIM_400000_NS6detail17trampoline_kernelINS0_14default_configENS1_38merge_sort_block_merge_config_selectorIiNS0_10empty_typeEEEZZNS1_27merge_sort_block_merge_implIS3_N6thrust23THRUST_200600_302600_NS6detail15normal_iteratorINS9_10device_ptrIiEEEEPS5_m14custom_greaterIiEEE10hipError_tT0_T1_T2_jT3_P12ihipStream_tbPNSt15iterator_traitsISJ_E10value_typeEPNSP_ISK_E10value_typeEPSL_NS1_7vsmem_tEENKUlT_SJ_SK_SL_E_clIPiSE_SF_SF_EESI_SY_SJ_SK_SL_EUlSY_E_NS1_11comp_targetILNS1_3genE8ELNS1_11target_archE1030ELNS1_3gpuE2ELNS1_3repE0EEENS1_48merge_mergepath_partition_config_static_selectorELNS0_4arch9wavefront6targetE1EEEvSK_,"axG",@progbits,_ZN7rocprim17ROCPRIM_400000_NS6detail17trampoline_kernelINS0_14default_configENS1_38merge_sort_block_merge_config_selectorIiNS0_10empty_typeEEEZZNS1_27merge_sort_block_merge_implIS3_N6thrust23THRUST_200600_302600_NS6detail15normal_iteratorINS9_10device_ptrIiEEEEPS5_m14custom_greaterIiEEE10hipError_tT0_T1_T2_jT3_P12ihipStream_tbPNSt15iterator_traitsISJ_E10value_typeEPNSP_ISK_E10value_typeEPSL_NS1_7vsmem_tEENKUlT_SJ_SK_SL_E_clIPiSE_SF_SF_EESI_SY_SJ_SK_SL_EUlSY_E_NS1_11comp_targetILNS1_3genE8ELNS1_11target_archE1030ELNS1_3gpuE2ELNS1_3repE0EEENS1_48merge_mergepath_partition_config_static_selectorELNS0_4arch9wavefront6targetE1EEEvSK_,comdat
.Lfunc_end3095:
	.size	_ZN7rocprim17ROCPRIM_400000_NS6detail17trampoline_kernelINS0_14default_configENS1_38merge_sort_block_merge_config_selectorIiNS0_10empty_typeEEEZZNS1_27merge_sort_block_merge_implIS3_N6thrust23THRUST_200600_302600_NS6detail15normal_iteratorINS9_10device_ptrIiEEEEPS5_m14custom_greaterIiEEE10hipError_tT0_T1_T2_jT3_P12ihipStream_tbPNSt15iterator_traitsISJ_E10value_typeEPNSP_ISK_E10value_typeEPSL_NS1_7vsmem_tEENKUlT_SJ_SK_SL_E_clIPiSE_SF_SF_EESI_SY_SJ_SK_SL_EUlSY_E_NS1_11comp_targetILNS1_3genE8ELNS1_11target_archE1030ELNS1_3gpuE2ELNS1_3repE0EEENS1_48merge_mergepath_partition_config_static_selectorELNS0_4arch9wavefront6targetE1EEEvSK_, .Lfunc_end3095-_ZN7rocprim17ROCPRIM_400000_NS6detail17trampoline_kernelINS0_14default_configENS1_38merge_sort_block_merge_config_selectorIiNS0_10empty_typeEEEZZNS1_27merge_sort_block_merge_implIS3_N6thrust23THRUST_200600_302600_NS6detail15normal_iteratorINS9_10device_ptrIiEEEEPS5_m14custom_greaterIiEEE10hipError_tT0_T1_T2_jT3_P12ihipStream_tbPNSt15iterator_traitsISJ_E10value_typeEPNSP_ISK_E10value_typeEPSL_NS1_7vsmem_tEENKUlT_SJ_SK_SL_E_clIPiSE_SF_SF_EESI_SY_SJ_SK_SL_EUlSY_E_NS1_11comp_targetILNS1_3genE8ELNS1_11target_archE1030ELNS1_3gpuE2ELNS1_3repE0EEENS1_48merge_mergepath_partition_config_static_selectorELNS0_4arch9wavefront6targetE1EEEvSK_
                                        ; -- End function
	.section	.AMDGPU.csdata,"",@progbits
; Kernel info:
; codeLenInByte = 0
; NumSgprs: 4
; NumVgprs: 0
; NumAgprs: 0
; TotalNumVgprs: 0
; ScratchSize: 0
; MemoryBound: 0
; FloatMode: 240
; IeeeMode: 1
; LDSByteSize: 0 bytes/workgroup (compile time only)
; SGPRBlocks: 0
; VGPRBlocks: 0
; NumSGPRsForWavesPerEU: 4
; NumVGPRsForWavesPerEU: 1
; AccumOffset: 4
; Occupancy: 8
; WaveLimiterHint : 0
; COMPUTE_PGM_RSRC2:SCRATCH_EN: 0
; COMPUTE_PGM_RSRC2:USER_SGPR: 6
; COMPUTE_PGM_RSRC2:TRAP_HANDLER: 0
; COMPUTE_PGM_RSRC2:TGID_X_EN: 1
; COMPUTE_PGM_RSRC2:TGID_Y_EN: 0
; COMPUTE_PGM_RSRC2:TGID_Z_EN: 0
; COMPUTE_PGM_RSRC2:TIDIG_COMP_CNT: 0
; COMPUTE_PGM_RSRC3_GFX90A:ACCUM_OFFSET: 0
; COMPUTE_PGM_RSRC3_GFX90A:TG_SPLIT: 0
	.section	.text._ZN7rocprim17ROCPRIM_400000_NS6detail17trampoline_kernelINS0_14default_configENS1_38merge_sort_block_merge_config_selectorIiNS0_10empty_typeEEEZZNS1_27merge_sort_block_merge_implIS3_N6thrust23THRUST_200600_302600_NS6detail15normal_iteratorINS9_10device_ptrIiEEEEPS5_m14custom_greaterIiEEE10hipError_tT0_T1_T2_jT3_P12ihipStream_tbPNSt15iterator_traitsISJ_E10value_typeEPNSP_ISK_E10value_typeEPSL_NS1_7vsmem_tEENKUlT_SJ_SK_SL_E_clIPiSE_SF_SF_EESI_SY_SJ_SK_SL_EUlSY_E0_NS1_11comp_targetILNS1_3genE0ELNS1_11target_archE4294967295ELNS1_3gpuE0ELNS1_3repE0EEENS1_38merge_mergepath_config_static_selectorELNS0_4arch9wavefront6targetE1EEEvSK_,"axG",@progbits,_ZN7rocprim17ROCPRIM_400000_NS6detail17trampoline_kernelINS0_14default_configENS1_38merge_sort_block_merge_config_selectorIiNS0_10empty_typeEEEZZNS1_27merge_sort_block_merge_implIS3_N6thrust23THRUST_200600_302600_NS6detail15normal_iteratorINS9_10device_ptrIiEEEEPS5_m14custom_greaterIiEEE10hipError_tT0_T1_T2_jT3_P12ihipStream_tbPNSt15iterator_traitsISJ_E10value_typeEPNSP_ISK_E10value_typeEPSL_NS1_7vsmem_tEENKUlT_SJ_SK_SL_E_clIPiSE_SF_SF_EESI_SY_SJ_SK_SL_EUlSY_E0_NS1_11comp_targetILNS1_3genE0ELNS1_11target_archE4294967295ELNS1_3gpuE0ELNS1_3repE0EEENS1_38merge_mergepath_config_static_selectorELNS0_4arch9wavefront6targetE1EEEvSK_,comdat
	.protected	_ZN7rocprim17ROCPRIM_400000_NS6detail17trampoline_kernelINS0_14default_configENS1_38merge_sort_block_merge_config_selectorIiNS0_10empty_typeEEEZZNS1_27merge_sort_block_merge_implIS3_N6thrust23THRUST_200600_302600_NS6detail15normal_iteratorINS9_10device_ptrIiEEEEPS5_m14custom_greaterIiEEE10hipError_tT0_T1_T2_jT3_P12ihipStream_tbPNSt15iterator_traitsISJ_E10value_typeEPNSP_ISK_E10value_typeEPSL_NS1_7vsmem_tEENKUlT_SJ_SK_SL_E_clIPiSE_SF_SF_EESI_SY_SJ_SK_SL_EUlSY_E0_NS1_11comp_targetILNS1_3genE0ELNS1_11target_archE4294967295ELNS1_3gpuE0ELNS1_3repE0EEENS1_38merge_mergepath_config_static_selectorELNS0_4arch9wavefront6targetE1EEEvSK_ ; -- Begin function _ZN7rocprim17ROCPRIM_400000_NS6detail17trampoline_kernelINS0_14default_configENS1_38merge_sort_block_merge_config_selectorIiNS0_10empty_typeEEEZZNS1_27merge_sort_block_merge_implIS3_N6thrust23THRUST_200600_302600_NS6detail15normal_iteratorINS9_10device_ptrIiEEEEPS5_m14custom_greaterIiEEE10hipError_tT0_T1_T2_jT3_P12ihipStream_tbPNSt15iterator_traitsISJ_E10value_typeEPNSP_ISK_E10value_typeEPSL_NS1_7vsmem_tEENKUlT_SJ_SK_SL_E_clIPiSE_SF_SF_EESI_SY_SJ_SK_SL_EUlSY_E0_NS1_11comp_targetILNS1_3genE0ELNS1_11target_archE4294967295ELNS1_3gpuE0ELNS1_3repE0EEENS1_38merge_mergepath_config_static_selectorELNS0_4arch9wavefront6targetE1EEEvSK_
	.globl	_ZN7rocprim17ROCPRIM_400000_NS6detail17trampoline_kernelINS0_14default_configENS1_38merge_sort_block_merge_config_selectorIiNS0_10empty_typeEEEZZNS1_27merge_sort_block_merge_implIS3_N6thrust23THRUST_200600_302600_NS6detail15normal_iteratorINS9_10device_ptrIiEEEEPS5_m14custom_greaterIiEEE10hipError_tT0_T1_T2_jT3_P12ihipStream_tbPNSt15iterator_traitsISJ_E10value_typeEPNSP_ISK_E10value_typeEPSL_NS1_7vsmem_tEENKUlT_SJ_SK_SL_E_clIPiSE_SF_SF_EESI_SY_SJ_SK_SL_EUlSY_E0_NS1_11comp_targetILNS1_3genE0ELNS1_11target_archE4294967295ELNS1_3gpuE0ELNS1_3repE0EEENS1_38merge_mergepath_config_static_selectorELNS0_4arch9wavefront6targetE1EEEvSK_
	.p2align	8
	.type	_ZN7rocprim17ROCPRIM_400000_NS6detail17trampoline_kernelINS0_14default_configENS1_38merge_sort_block_merge_config_selectorIiNS0_10empty_typeEEEZZNS1_27merge_sort_block_merge_implIS3_N6thrust23THRUST_200600_302600_NS6detail15normal_iteratorINS9_10device_ptrIiEEEEPS5_m14custom_greaterIiEEE10hipError_tT0_T1_T2_jT3_P12ihipStream_tbPNSt15iterator_traitsISJ_E10value_typeEPNSP_ISK_E10value_typeEPSL_NS1_7vsmem_tEENKUlT_SJ_SK_SL_E_clIPiSE_SF_SF_EESI_SY_SJ_SK_SL_EUlSY_E0_NS1_11comp_targetILNS1_3genE0ELNS1_11target_archE4294967295ELNS1_3gpuE0ELNS1_3repE0EEENS1_38merge_mergepath_config_static_selectorELNS0_4arch9wavefront6targetE1EEEvSK_,@function
_ZN7rocprim17ROCPRIM_400000_NS6detail17trampoline_kernelINS0_14default_configENS1_38merge_sort_block_merge_config_selectorIiNS0_10empty_typeEEEZZNS1_27merge_sort_block_merge_implIS3_N6thrust23THRUST_200600_302600_NS6detail15normal_iteratorINS9_10device_ptrIiEEEEPS5_m14custom_greaterIiEEE10hipError_tT0_T1_T2_jT3_P12ihipStream_tbPNSt15iterator_traitsISJ_E10value_typeEPNSP_ISK_E10value_typeEPSL_NS1_7vsmem_tEENKUlT_SJ_SK_SL_E_clIPiSE_SF_SF_EESI_SY_SJ_SK_SL_EUlSY_E0_NS1_11comp_targetILNS1_3genE0ELNS1_11target_archE4294967295ELNS1_3gpuE0ELNS1_3repE0EEENS1_38merge_mergepath_config_static_selectorELNS0_4arch9wavefront6targetE1EEEvSK_: ; @_ZN7rocprim17ROCPRIM_400000_NS6detail17trampoline_kernelINS0_14default_configENS1_38merge_sort_block_merge_config_selectorIiNS0_10empty_typeEEEZZNS1_27merge_sort_block_merge_implIS3_N6thrust23THRUST_200600_302600_NS6detail15normal_iteratorINS9_10device_ptrIiEEEEPS5_m14custom_greaterIiEEE10hipError_tT0_T1_T2_jT3_P12ihipStream_tbPNSt15iterator_traitsISJ_E10value_typeEPNSP_ISK_E10value_typeEPSL_NS1_7vsmem_tEENKUlT_SJ_SK_SL_E_clIPiSE_SF_SF_EESI_SY_SJ_SK_SL_EUlSY_E0_NS1_11comp_targetILNS1_3genE0ELNS1_11target_archE4294967295ELNS1_3gpuE0ELNS1_3repE0EEENS1_38merge_mergepath_config_static_selectorELNS0_4arch9wavefront6targetE1EEEvSK_
; %bb.0:
	.section	.rodata,"a",@progbits
	.p2align	6, 0x0
	.amdhsa_kernel _ZN7rocprim17ROCPRIM_400000_NS6detail17trampoline_kernelINS0_14default_configENS1_38merge_sort_block_merge_config_selectorIiNS0_10empty_typeEEEZZNS1_27merge_sort_block_merge_implIS3_N6thrust23THRUST_200600_302600_NS6detail15normal_iteratorINS9_10device_ptrIiEEEEPS5_m14custom_greaterIiEEE10hipError_tT0_T1_T2_jT3_P12ihipStream_tbPNSt15iterator_traitsISJ_E10value_typeEPNSP_ISK_E10value_typeEPSL_NS1_7vsmem_tEENKUlT_SJ_SK_SL_E_clIPiSE_SF_SF_EESI_SY_SJ_SK_SL_EUlSY_E0_NS1_11comp_targetILNS1_3genE0ELNS1_11target_archE4294967295ELNS1_3gpuE0ELNS1_3repE0EEENS1_38merge_mergepath_config_static_selectorELNS0_4arch9wavefront6targetE1EEEvSK_
		.amdhsa_group_segment_fixed_size 0
		.amdhsa_private_segment_fixed_size 0
		.amdhsa_kernarg_size 72
		.amdhsa_user_sgpr_count 6
		.amdhsa_user_sgpr_private_segment_buffer 1
		.amdhsa_user_sgpr_dispatch_ptr 0
		.amdhsa_user_sgpr_queue_ptr 0
		.amdhsa_user_sgpr_kernarg_segment_ptr 1
		.amdhsa_user_sgpr_dispatch_id 0
		.amdhsa_user_sgpr_flat_scratch_init 0
		.amdhsa_user_sgpr_kernarg_preload_length 0
		.amdhsa_user_sgpr_kernarg_preload_offset 0
		.amdhsa_user_sgpr_private_segment_size 0
		.amdhsa_uses_dynamic_stack 0
		.amdhsa_system_sgpr_private_segment_wavefront_offset 0
		.amdhsa_system_sgpr_workgroup_id_x 1
		.amdhsa_system_sgpr_workgroup_id_y 0
		.amdhsa_system_sgpr_workgroup_id_z 0
		.amdhsa_system_sgpr_workgroup_info 0
		.amdhsa_system_vgpr_workitem_id 0
		.amdhsa_next_free_vgpr 1
		.amdhsa_next_free_sgpr 0
		.amdhsa_accum_offset 4
		.amdhsa_reserve_vcc 0
		.amdhsa_reserve_flat_scratch 0
		.amdhsa_float_round_mode_32 0
		.amdhsa_float_round_mode_16_64 0
		.amdhsa_float_denorm_mode_32 3
		.amdhsa_float_denorm_mode_16_64 3
		.amdhsa_dx10_clamp 1
		.amdhsa_ieee_mode 1
		.amdhsa_fp16_overflow 0
		.amdhsa_tg_split 0
		.amdhsa_exception_fp_ieee_invalid_op 0
		.amdhsa_exception_fp_denorm_src 0
		.amdhsa_exception_fp_ieee_div_zero 0
		.amdhsa_exception_fp_ieee_overflow 0
		.amdhsa_exception_fp_ieee_underflow 0
		.amdhsa_exception_fp_ieee_inexact 0
		.amdhsa_exception_int_div_zero 0
	.end_amdhsa_kernel
	.section	.text._ZN7rocprim17ROCPRIM_400000_NS6detail17trampoline_kernelINS0_14default_configENS1_38merge_sort_block_merge_config_selectorIiNS0_10empty_typeEEEZZNS1_27merge_sort_block_merge_implIS3_N6thrust23THRUST_200600_302600_NS6detail15normal_iteratorINS9_10device_ptrIiEEEEPS5_m14custom_greaterIiEEE10hipError_tT0_T1_T2_jT3_P12ihipStream_tbPNSt15iterator_traitsISJ_E10value_typeEPNSP_ISK_E10value_typeEPSL_NS1_7vsmem_tEENKUlT_SJ_SK_SL_E_clIPiSE_SF_SF_EESI_SY_SJ_SK_SL_EUlSY_E0_NS1_11comp_targetILNS1_3genE0ELNS1_11target_archE4294967295ELNS1_3gpuE0ELNS1_3repE0EEENS1_38merge_mergepath_config_static_selectorELNS0_4arch9wavefront6targetE1EEEvSK_,"axG",@progbits,_ZN7rocprim17ROCPRIM_400000_NS6detail17trampoline_kernelINS0_14default_configENS1_38merge_sort_block_merge_config_selectorIiNS0_10empty_typeEEEZZNS1_27merge_sort_block_merge_implIS3_N6thrust23THRUST_200600_302600_NS6detail15normal_iteratorINS9_10device_ptrIiEEEEPS5_m14custom_greaterIiEEE10hipError_tT0_T1_T2_jT3_P12ihipStream_tbPNSt15iterator_traitsISJ_E10value_typeEPNSP_ISK_E10value_typeEPSL_NS1_7vsmem_tEENKUlT_SJ_SK_SL_E_clIPiSE_SF_SF_EESI_SY_SJ_SK_SL_EUlSY_E0_NS1_11comp_targetILNS1_3genE0ELNS1_11target_archE4294967295ELNS1_3gpuE0ELNS1_3repE0EEENS1_38merge_mergepath_config_static_selectorELNS0_4arch9wavefront6targetE1EEEvSK_,comdat
.Lfunc_end3096:
	.size	_ZN7rocprim17ROCPRIM_400000_NS6detail17trampoline_kernelINS0_14default_configENS1_38merge_sort_block_merge_config_selectorIiNS0_10empty_typeEEEZZNS1_27merge_sort_block_merge_implIS3_N6thrust23THRUST_200600_302600_NS6detail15normal_iteratorINS9_10device_ptrIiEEEEPS5_m14custom_greaterIiEEE10hipError_tT0_T1_T2_jT3_P12ihipStream_tbPNSt15iterator_traitsISJ_E10value_typeEPNSP_ISK_E10value_typeEPSL_NS1_7vsmem_tEENKUlT_SJ_SK_SL_E_clIPiSE_SF_SF_EESI_SY_SJ_SK_SL_EUlSY_E0_NS1_11comp_targetILNS1_3genE0ELNS1_11target_archE4294967295ELNS1_3gpuE0ELNS1_3repE0EEENS1_38merge_mergepath_config_static_selectorELNS0_4arch9wavefront6targetE1EEEvSK_, .Lfunc_end3096-_ZN7rocprim17ROCPRIM_400000_NS6detail17trampoline_kernelINS0_14default_configENS1_38merge_sort_block_merge_config_selectorIiNS0_10empty_typeEEEZZNS1_27merge_sort_block_merge_implIS3_N6thrust23THRUST_200600_302600_NS6detail15normal_iteratorINS9_10device_ptrIiEEEEPS5_m14custom_greaterIiEEE10hipError_tT0_T1_T2_jT3_P12ihipStream_tbPNSt15iterator_traitsISJ_E10value_typeEPNSP_ISK_E10value_typeEPSL_NS1_7vsmem_tEENKUlT_SJ_SK_SL_E_clIPiSE_SF_SF_EESI_SY_SJ_SK_SL_EUlSY_E0_NS1_11comp_targetILNS1_3genE0ELNS1_11target_archE4294967295ELNS1_3gpuE0ELNS1_3repE0EEENS1_38merge_mergepath_config_static_selectorELNS0_4arch9wavefront6targetE1EEEvSK_
                                        ; -- End function
	.section	.AMDGPU.csdata,"",@progbits
; Kernel info:
; codeLenInByte = 0
; NumSgprs: 4
; NumVgprs: 0
; NumAgprs: 0
; TotalNumVgprs: 0
; ScratchSize: 0
; MemoryBound: 0
; FloatMode: 240
; IeeeMode: 1
; LDSByteSize: 0 bytes/workgroup (compile time only)
; SGPRBlocks: 0
; VGPRBlocks: 0
; NumSGPRsForWavesPerEU: 4
; NumVGPRsForWavesPerEU: 1
; AccumOffset: 4
; Occupancy: 8
; WaveLimiterHint : 0
; COMPUTE_PGM_RSRC2:SCRATCH_EN: 0
; COMPUTE_PGM_RSRC2:USER_SGPR: 6
; COMPUTE_PGM_RSRC2:TRAP_HANDLER: 0
; COMPUTE_PGM_RSRC2:TGID_X_EN: 1
; COMPUTE_PGM_RSRC2:TGID_Y_EN: 0
; COMPUTE_PGM_RSRC2:TGID_Z_EN: 0
; COMPUTE_PGM_RSRC2:TIDIG_COMP_CNT: 0
; COMPUTE_PGM_RSRC3_GFX90A:ACCUM_OFFSET: 0
; COMPUTE_PGM_RSRC3_GFX90A:TG_SPLIT: 0
	.section	.text._ZN7rocprim17ROCPRIM_400000_NS6detail17trampoline_kernelINS0_14default_configENS1_38merge_sort_block_merge_config_selectorIiNS0_10empty_typeEEEZZNS1_27merge_sort_block_merge_implIS3_N6thrust23THRUST_200600_302600_NS6detail15normal_iteratorINS9_10device_ptrIiEEEEPS5_m14custom_greaterIiEEE10hipError_tT0_T1_T2_jT3_P12ihipStream_tbPNSt15iterator_traitsISJ_E10value_typeEPNSP_ISK_E10value_typeEPSL_NS1_7vsmem_tEENKUlT_SJ_SK_SL_E_clIPiSE_SF_SF_EESI_SY_SJ_SK_SL_EUlSY_E0_NS1_11comp_targetILNS1_3genE10ELNS1_11target_archE1201ELNS1_3gpuE5ELNS1_3repE0EEENS1_38merge_mergepath_config_static_selectorELNS0_4arch9wavefront6targetE1EEEvSK_,"axG",@progbits,_ZN7rocprim17ROCPRIM_400000_NS6detail17trampoline_kernelINS0_14default_configENS1_38merge_sort_block_merge_config_selectorIiNS0_10empty_typeEEEZZNS1_27merge_sort_block_merge_implIS3_N6thrust23THRUST_200600_302600_NS6detail15normal_iteratorINS9_10device_ptrIiEEEEPS5_m14custom_greaterIiEEE10hipError_tT0_T1_T2_jT3_P12ihipStream_tbPNSt15iterator_traitsISJ_E10value_typeEPNSP_ISK_E10value_typeEPSL_NS1_7vsmem_tEENKUlT_SJ_SK_SL_E_clIPiSE_SF_SF_EESI_SY_SJ_SK_SL_EUlSY_E0_NS1_11comp_targetILNS1_3genE10ELNS1_11target_archE1201ELNS1_3gpuE5ELNS1_3repE0EEENS1_38merge_mergepath_config_static_selectorELNS0_4arch9wavefront6targetE1EEEvSK_,comdat
	.protected	_ZN7rocprim17ROCPRIM_400000_NS6detail17trampoline_kernelINS0_14default_configENS1_38merge_sort_block_merge_config_selectorIiNS0_10empty_typeEEEZZNS1_27merge_sort_block_merge_implIS3_N6thrust23THRUST_200600_302600_NS6detail15normal_iteratorINS9_10device_ptrIiEEEEPS5_m14custom_greaterIiEEE10hipError_tT0_T1_T2_jT3_P12ihipStream_tbPNSt15iterator_traitsISJ_E10value_typeEPNSP_ISK_E10value_typeEPSL_NS1_7vsmem_tEENKUlT_SJ_SK_SL_E_clIPiSE_SF_SF_EESI_SY_SJ_SK_SL_EUlSY_E0_NS1_11comp_targetILNS1_3genE10ELNS1_11target_archE1201ELNS1_3gpuE5ELNS1_3repE0EEENS1_38merge_mergepath_config_static_selectorELNS0_4arch9wavefront6targetE1EEEvSK_ ; -- Begin function _ZN7rocprim17ROCPRIM_400000_NS6detail17trampoline_kernelINS0_14default_configENS1_38merge_sort_block_merge_config_selectorIiNS0_10empty_typeEEEZZNS1_27merge_sort_block_merge_implIS3_N6thrust23THRUST_200600_302600_NS6detail15normal_iteratorINS9_10device_ptrIiEEEEPS5_m14custom_greaterIiEEE10hipError_tT0_T1_T2_jT3_P12ihipStream_tbPNSt15iterator_traitsISJ_E10value_typeEPNSP_ISK_E10value_typeEPSL_NS1_7vsmem_tEENKUlT_SJ_SK_SL_E_clIPiSE_SF_SF_EESI_SY_SJ_SK_SL_EUlSY_E0_NS1_11comp_targetILNS1_3genE10ELNS1_11target_archE1201ELNS1_3gpuE5ELNS1_3repE0EEENS1_38merge_mergepath_config_static_selectorELNS0_4arch9wavefront6targetE1EEEvSK_
	.globl	_ZN7rocprim17ROCPRIM_400000_NS6detail17trampoline_kernelINS0_14default_configENS1_38merge_sort_block_merge_config_selectorIiNS0_10empty_typeEEEZZNS1_27merge_sort_block_merge_implIS3_N6thrust23THRUST_200600_302600_NS6detail15normal_iteratorINS9_10device_ptrIiEEEEPS5_m14custom_greaterIiEEE10hipError_tT0_T1_T2_jT3_P12ihipStream_tbPNSt15iterator_traitsISJ_E10value_typeEPNSP_ISK_E10value_typeEPSL_NS1_7vsmem_tEENKUlT_SJ_SK_SL_E_clIPiSE_SF_SF_EESI_SY_SJ_SK_SL_EUlSY_E0_NS1_11comp_targetILNS1_3genE10ELNS1_11target_archE1201ELNS1_3gpuE5ELNS1_3repE0EEENS1_38merge_mergepath_config_static_selectorELNS0_4arch9wavefront6targetE1EEEvSK_
	.p2align	8
	.type	_ZN7rocprim17ROCPRIM_400000_NS6detail17trampoline_kernelINS0_14default_configENS1_38merge_sort_block_merge_config_selectorIiNS0_10empty_typeEEEZZNS1_27merge_sort_block_merge_implIS3_N6thrust23THRUST_200600_302600_NS6detail15normal_iteratorINS9_10device_ptrIiEEEEPS5_m14custom_greaterIiEEE10hipError_tT0_T1_T2_jT3_P12ihipStream_tbPNSt15iterator_traitsISJ_E10value_typeEPNSP_ISK_E10value_typeEPSL_NS1_7vsmem_tEENKUlT_SJ_SK_SL_E_clIPiSE_SF_SF_EESI_SY_SJ_SK_SL_EUlSY_E0_NS1_11comp_targetILNS1_3genE10ELNS1_11target_archE1201ELNS1_3gpuE5ELNS1_3repE0EEENS1_38merge_mergepath_config_static_selectorELNS0_4arch9wavefront6targetE1EEEvSK_,@function
_ZN7rocprim17ROCPRIM_400000_NS6detail17trampoline_kernelINS0_14default_configENS1_38merge_sort_block_merge_config_selectorIiNS0_10empty_typeEEEZZNS1_27merge_sort_block_merge_implIS3_N6thrust23THRUST_200600_302600_NS6detail15normal_iteratorINS9_10device_ptrIiEEEEPS5_m14custom_greaterIiEEE10hipError_tT0_T1_T2_jT3_P12ihipStream_tbPNSt15iterator_traitsISJ_E10value_typeEPNSP_ISK_E10value_typeEPSL_NS1_7vsmem_tEENKUlT_SJ_SK_SL_E_clIPiSE_SF_SF_EESI_SY_SJ_SK_SL_EUlSY_E0_NS1_11comp_targetILNS1_3genE10ELNS1_11target_archE1201ELNS1_3gpuE5ELNS1_3repE0EEENS1_38merge_mergepath_config_static_selectorELNS0_4arch9wavefront6targetE1EEEvSK_: ; @_ZN7rocprim17ROCPRIM_400000_NS6detail17trampoline_kernelINS0_14default_configENS1_38merge_sort_block_merge_config_selectorIiNS0_10empty_typeEEEZZNS1_27merge_sort_block_merge_implIS3_N6thrust23THRUST_200600_302600_NS6detail15normal_iteratorINS9_10device_ptrIiEEEEPS5_m14custom_greaterIiEEE10hipError_tT0_T1_T2_jT3_P12ihipStream_tbPNSt15iterator_traitsISJ_E10value_typeEPNSP_ISK_E10value_typeEPSL_NS1_7vsmem_tEENKUlT_SJ_SK_SL_E_clIPiSE_SF_SF_EESI_SY_SJ_SK_SL_EUlSY_E0_NS1_11comp_targetILNS1_3genE10ELNS1_11target_archE1201ELNS1_3gpuE5ELNS1_3repE0EEENS1_38merge_mergepath_config_static_selectorELNS0_4arch9wavefront6targetE1EEEvSK_
; %bb.0:
	.section	.rodata,"a",@progbits
	.p2align	6, 0x0
	.amdhsa_kernel _ZN7rocprim17ROCPRIM_400000_NS6detail17trampoline_kernelINS0_14default_configENS1_38merge_sort_block_merge_config_selectorIiNS0_10empty_typeEEEZZNS1_27merge_sort_block_merge_implIS3_N6thrust23THRUST_200600_302600_NS6detail15normal_iteratorINS9_10device_ptrIiEEEEPS5_m14custom_greaterIiEEE10hipError_tT0_T1_T2_jT3_P12ihipStream_tbPNSt15iterator_traitsISJ_E10value_typeEPNSP_ISK_E10value_typeEPSL_NS1_7vsmem_tEENKUlT_SJ_SK_SL_E_clIPiSE_SF_SF_EESI_SY_SJ_SK_SL_EUlSY_E0_NS1_11comp_targetILNS1_3genE10ELNS1_11target_archE1201ELNS1_3gpuE5ELNS1_3repE0EEENS1_38merge_mergepath_config_static_selectorELNS0_4arch9wavefront6targetE1EEEvSK_
		.amdhsa_group_segment_fixed_size 0
		.amdhsa_private_segment_fixed_size 0
		.amdhsa_kernarg_size 72
		.amdhsa_user_sgpr_count 6
		.amdhsa_user_sgpr_private_segment_buffer 1
		.amdhsa_user_sgpr_dispatch_ptr 0
		.amdhsa_user_sgpr_queue_ptr 0
		.amdhsa_user_sgpr_kernarg_segment_ptr 1
		.amdhsa_user_sgpr_dispatch_id 0
		.amdhsa_user_sgpr_flat_scratch_init 0
		.amdhsa_user_sgpr_kernarg_preload_length 0
		.amdhsa_user_sgpr_kernarg_preload_offset 0
		.amdhsa_user_sgpr_private_segment_size 0
		.amdhsa_uses_dynamic_stack 0
		.amdhsa_system_sgpr_private_segment_wavefront_offset 0
		.amdhsa_system_sgpr_workgroup_id_x 1
		.amdhsa_system_sgpr_workgroup_id_y 0
		.amdhsa_system_sgpr_workgroup_id_z 0
		.amdhsa_system_sgpr_workgroup_info 0
		.amdhsa_system_vgpr_workitem_id 0
		.amdhsa_next_free_vgpr 1
		.amdhsa_next_free_sgpr 0
		.amdhsa_accum_offset 4
		.amdhsa_reserve_vcc 0
		.amdhsa_reserve_flat_scratch 0
		.amdhsa_float_round_mode_32 0
		.amdhsa_float_round_mode_16_64 0
		.amdhsa_float_denorm_mode_32 3
		.amdhsa_float_denorm_mode_16_64 3
		.amdhsa_dx10_clamp 1
		.amdhsa_ieee_mode 1
		.amdhsa_fp16_overflow 0
		.amdhsa_tg_split 0
		.amdhsa_exception_fp_ieee_invalid_op 0
		.amdhsa_exception_fp_denorm_src 0
		.amdhsa_exception_fp_ieee_div_zero 0
		.amdhsa_exception_fp_ieee_overflow 0
		.amdhsa_exception_fp_ieee_underflow 0
		.amdhsa_exception_fp_ieee_inexact 0
		.amdhsa_exception_int_div_zero 0
	.end_amdhsa_kernel
	.section	.text._ZN7rocprim17ROCPRIM_400000_NS6detail17trampoline_kernelINS0_14default_configENS1_38merge_sort_block_merge_config_selectorIiNS0_10empty_typeEEEZZNS1_27merge_sort_block_merge_implIS3_N6thrust23THRUST_200600_302600_NS6detail15normal_iteratorINS9_10device_ptrIiEEEEPS5_m14custom_greaterIiEEE10hipError_tT0_T1_T2_jT3_P12ihipStream_tbPNSt15iterator_traitsISJ_E10value_typeEPNSP_ISK_E10value_typeEPSL_NS1_7vsmem_tEENKUlT_SJ_SK_SL_E_clIPiSE_SF_SF_EESI_SY_SJ_SK_SL_EUlSY_E0_NS1_11comp_targetILNS1_3genE10ELNS1_11target_archE1201ELNS1_3gpuE5ELNS1_3repE0EEENS1_38merge_mergepath_config_static_selectorELNS0_4arch9wavefront6targetE1EEEvSK_,"axG",@progbits,_ZN7rocprim17ROCPRIM_400000_NS6detail17trampoline_kernelINS0_14default_configENS1_38merge_sort_block_merge_config_selectorIiNS0_10empty_typeEEEZZNS1_27merge_sort_block_merge_implIS3_N6thrust23THRUST_200600_302600_NS6detail15normal_iteratorINS9_10device_ptrIiEEEEPS5_m14custom_greaterIiEEE10hipError_tT0_T1_T2_jT3_P12ihipStream_tbPNSt15iterator_traitsISJ_E10value_typeEPNSP_ISK_E10value_typeEPSL_NS1_7vsmem_tEENKUlT_SJ_SK_SL_E_clIPiSE_SF_SF_EESI_SY_SJ_SK_SL_EUlSY_E0_NS1_11comp_targetILNS1_3genE10ELNS1_11target_archE1201ELNS1_3gpuE5ELNS1_3repE0EEENS1_38merge_mergepath_config_static_selectorELNS0_4arch9wavefront6targetE1EEEvSK_,comdat
.Lfunc_end3097:
	.size	_ZN7rocprim17ROCPRIM_400000_NS6detail17trampoline_kernelINS0_14default_configENS1_38merge_sort_block_merge_config_selectorIiNS0_10empty_typeEEEZZNS1_27merge_sort_block_merge_implIS3_N6thrust23THRUST_200600_302600_NS6detail15normal_iteratorINS9_10device_ptrIiEEEEPS5_m14custom_greaterIiEEE10hipError_tT0_T1_T2_jT3_P12ihipStream_tbPNSt15iterator_traitsISJ_E10value_typeEPNSP_ISK_E10value_typeEPSL_NS1_7vsmem_tEENKUlT_SJ_SK_SL_E_clIPiSE_SF_SF_EESI_SY_SJ_SK_SL_EUlSY_E0_NS1_11comp_targetILNS1_3genE10ELNS1_11target_archE1201ELNS1_3gpuE5ELNS1_3repE0EEENS1_38merge_mergepath_config_static_selectorELNS0_4arch9wavefront6targetE1EEEvSK_, .Lfunc_end3097-_ZN7rocprim17ROCPRIM_400000_NS6detail17trampoline_kernelINS0_14default_configENS1_38merge_sort_block_merge_config_selectorIiNS0_10empty_typeEEEZZNS1_27merge_sort_block_merge_implIS3_N6thrust23THRUST_200600_302600_NS6detail15normal_iteratorINS9_10device_ptrIiEEEEPS5_m14custom_greaterIiEEE10hipError_tT0_T1_T2_jT3_P12ihipStream_tbPNSt15iterator_traitsISJ_E10value_typeEPNSP_ISK_E10value_typeEPSL_NS1_7vsmem_tEENKUlT_SJ_SK_SL_E_clIPiSE_SF_SF_EESI_SY_SJ_SK_SL_EUlSY_E0_NS1_11comp_targetILNS1_3genE10ELNS1_11target_archE1201ELNS1_3gpuE5ELNS1_3repE0EEENS1_38merge_mergepath_config_static_selectorELNS0_4arch9wavefront6targetE1EEEvSK_
                                        ; -- End function
	.section	.AMDGPU.csdata,"",@progbits
; Kernel info:
; codeLenInByte = 0
; NumSgprs: 4
; NumVgprs: 0
; NumAgprs: 0
; TotalNumVgprs: 0
; ScratchSize: 0
; MemoryBound: 0
; FloatMode: 240
; IeeeMode: 1
; LDSByteSize: 0 bytes/workgroup (compile time only)
; SGPRBlocks: 0
; VGPRBlocks: 0
; NumSGPRsForWavesPerEU: 4
; NumVGPRsForWavesPerEU: 1
; AccumOffset: 4
; Occupancy: 8
; WaveLimiterHint : 0
; COMPUTE_PGM_RSRC2:SCRATCH_EN: 0
; COMPUTE_PGM_RSRC2:USER_SGPR: 6
; COMPUTE_PGM_RSRC2:TRAP_HANDLER: 0
; COMPUTE_PGM_RSRC2:TGID_X_EN: 1
; COMPUTE_PGM_RSRC2:TGID_Y_EN: 0
; COMPUTE_PGM_RSRC2:TGID_Z_EN: 0
; COMPUTE_PGM_RSRC2:TIDIG_COMP_CNT: 0
; COMPUTE_PGM_RSRC3_GFX90A:ACCUM_OFFSET: 0
; COMPUTE_PGM_RSRC3_GFX90A:TG_SPLIT: 0
	.section	.text._ZN7rocprim17ROCPRIM_400000_NS6detail17trampoline_kernelINS0_14default_configENS1_38merge_sort_block_merge_config_selectorIiNS0_10empty_typeEEEZZNS1_27merge_sort_block_merge_implIS3_N6thrust23THRUST_200600_302600_NS6detail15normal_iteratorINS9_10device_ptrIiEEEEPS5_m14custom_greaterIiEEE10hipError_tT0_T1_T2_jT3_P12ihipStream_tbPNSt15iterator_traitsISJ_E10value_typeEPNSP_ISK_E10value_typeEPSL_NS1_7vsmem_tEENKUlT_SJ_SK_SL_E_clIPiSE_SF_SF_EESI_SY_SJ_SK_SL_EUlSY_E0_NS1_11comp_targetILNS1_3genE5ELNS1_11target_archE942ELNS1_3gpuE9ELNS1_3repE0EEENS1_38merge_mergepath_config_static_selectorELNS0_4arch9wavefront6targetE1EEEvSK_,"axG",@progbits,_ZN7rocprim17ROCPRIM_400000_NS6detail17trampoline_kernelINS0_14default_configENS1_38merge_sort_block_merge_config_selectorIiNS0_10empty_typeEEEZZNS1_27merge_sort_block_merge_implIS3_N6thrust23THRUST_200600_302600_NS6detail15normal_iteratorINS9_10device_ptrIiEEEEPS5_m14custom_greaterIiEEE10hipError_tT0_T1_T2_jT3_P12ihipStream_tbPNSt15iterator_traitsISJ_E10value_typeEPNSP_ISK_E10value_typeEPSL_NS1_7vsmem_tEENKUlT_SJ_SK_SL_E_clIPiSE_SF_SF_EESI_SY_SJ_SK_SL_EUlSY_E0_NS1_11comp_targetILNS1_3genE5ELNS1_11target_archE942ELNS1_3gpuE9ELNS1_3repE0EEENS1_38merge_mergepath_config_static_selectorELNS0_4arch9wavefront6targetE1EEEvSK_,comdat
	.protected	_ZN7rocprim17ROCPRIM_400000_NS6detail17trampoline_kernelINS0_14default_configENS1_38merge_sort_block_merge_config_selectorIiNS0_10empty_typeEEEZZNS1_27merge_sort_block_merge_implIS3_N6thrust23THRUST_200600_302600_NS6detail15normal_iteratorINS9_10device_ptrIiEEEEPS5_m14custom_greaterIiEEE10hipError_tT0_T1_T2_jT3_P12ihipStream_tbPNSt15iterator_traitsISJ_E10value_typeEPNSP_ISK_E10value_typeEPSL_NS1_7vsmem_tEENKUlT_SJ_SK_SL_E_clIPiSE_SF_SF_EESI_SY_SJ_SK_SL_EUlSY_E0_NS1_11comp_targetILNS1_3genE5ELNS1_11target_archE942ELNS1_3gpuE9ELNS1_3repE0EEENS1_38merge_mergepath_config_static_selectorELNS0_4arch9wavefront6targetE1EEEvSK_ ; -- Begin function _ZN7rocprim17ROCPRIM_400000_NS6detail17trampoline_kernelINS0_14default_configENS1_38merge_sort_block_merge_config_selectorIiNS0_10empty_typeEEEZZNS1_27merge_sort_block_merge_implIS3_N6thrust23THRUST_200600_302600_NS6detail15normal_iteratorINS9_10device_ptrIiEEEEPS5_m14custom_greaterIiEEE10hipError_tT0_T1_T2_jT3_P12ihipStream_tbPNSt15iterator_traitsISJ_E10value_typeEPNSP_ISK_E10value_typeEPSL_NS1_7vsmem_tEENKUlT_SJ_SK_SL_E_clIPiSE_SF_SF_EESI_SY_SJ_SK_SL_EUlSY_E0_NS1_11comp_targetILNS1_3genE5ELNS1_11target_archE942ELNS1_3gpuE9ELNS1_3repE0EEENS1_38merge_mergepath_config_static_selectorELNS0_4arch9wavefront6targetE1EEEvSK_
	.globl	_ZN7rocprim17ROCPRIM_400000_NS6detail17trampoline_kernelINS0_14default_configENS1_38merge_sort_block_merge_config_selectorIiNS0_10empty_typeEEEZZNS1_27merge_sort_block_merge_implIS3_N6thrust23THRUST_200600_302600_NS6detail15normal_iteratorINS9_10device_ptrIiEEEEPS5_m14custom_greaterIiEEE10hipError_tT0_T1_T2_jT3_P12ihipStream_tbPNSt15iterator_traitsISJ_E10value_typeEPNSP_ISK_E10value_typeEPSL_NS1_7vsmem_tEENKUlT_SJ_SK_SL_E_clIPiSE_SF_SF_EESI_SY_SJ_SK_SL_EUlSY_E0_NS1_11comp_targetILNS1_3genE5ELNS1_11target_archE942ELNS1_3gpuE9ELNS1_3repE0EEENS1_38merge_mergepath_config_static_selectorELNS0_4arch9wavefront6targetE1EEEvSK_
	.p2align	8
	.type	_ZN7rocprim17ROCPRIM_400000_NS6detail17trampoline_kernelINS0_14default_configENS1_38merge_sort_block_merge_config_selectorIiNS0_10empty_typeEEEZZNS1_27merge_sort_block_merge_implIS3_N6thrust23THRUST_200600_302600_NS6detail15normal_iteratorINS9_10device_ptrIiEEEEPS5_m14custom_greaterIiEEE10hipError_tT0_T1_T2_jT3_P12ihipStream_tbPNSt15iterator_traitsISJ_E10value_typeEPNSP_ISK_E10value_typeEPSL_NS1_7vsmem_tEENKUlT_SJ_SK_SL_E_clIPiSE_SF_SF_EESI_SY_SJ_SK_SL_EUlSY_E0_NS1_11comp_targetILNS1_3genE5ELNS1_11target_archE942ELNS1_3gpuE9ELNS1_3repE0EEENS1_38merge_mergepath_config_static_selectorELNS0_4arch9wavefront6targetE1EEEvSK_,@function
_ZN7rocprim17ROCPRIM_400000_NS6detail17trampoline_kernelINS0_14default_configENS1_38merge_sort_block_merge_config_selectorIiNS0_10empty_typeEEEZZNS1_27merge_sort_block_merge_implIS3_N6thrust23THRUST_200600_302600_NS6detail15normal_iteratorINS9_10device_ptrIiEEEEPS5_m14custom_greaterIiEEE10hipError_tT0_T1_T2_jT3_P12ihipStream_tbPNSt15iterator_traitsISJ_E10value_typeEPNSP_ISK_E10value_typeEPSL_NS1_7vsmem_tEENKUlT_SJ_SK_SL_E_clIPiSE_SF_SF_EESI_SY_SJ_SK_SL_EUlSY_E0_NS1_11comp_targetILNS1_3genE5ELNS1_11target_archE942ELNS1_3gpuE9ELNS1_3repE0EEENS1_38merge_mergepath_config_static_selectorELNS0_4arch9wavefront6targetE1EEEvSK_: ; @_ZN7rocprim17ROCPRIM_400000_NS6detail17trampoline_kernelINS0_14default_configENS1_38merge_sort_block_merge_config_selectorIiNS0_10empty_typeEEEZZNS1_27merge_sort_block_merge_implIS3_N6thrust23THRUST_200600_302600_NS6detail15normal_iteratorINS9_10device_ptrIiEEEEPS5_m14custom_greaterIiEEE10hipError_tT0_T1_T2_jT3_P12ihipStream_tbPNSt15iterator_traitsISJ_E10value_typeEPNSP_ISK_E10value_typeEPSL_NS1_7vsmem_tEENKUlT_SJ_SK_SL_E_clIPiSE_SF_SF_EESI_SY_SJ_SK_SL_EUlSY_E0_NS1_11comp_targetILNS1_3genE5ELNS1_11target_archE942ELNS1_3gpuE9ELNS1_3repE0EEENS1_38merge_mergepath_config_static_selectorELNS0_4arch9wavefront6targetE1EEEvSK_
; %bb.0:
	.section	.rodata,"a",@progbits
	.p2align	6, 0x0
	.amdhsa_kernel _ZN7rocprim17ROCPRIM_400000_NS6detail17trampoline_kernelINS0_14default_configENS1_38merge_sort_block_merge_config_selectorIiNS0_10empty_typeEEEZZNS1_27merge_sort_block_merge_implIS3_N6thrust23THRUST_200600_302600_NS6detail15normal_iteratorINS9_10device_ptrIiEEEEPS5_m14custom_greaterIiEEE10hipError_tT0_T1_T2_jT3_P12ihipStream_tbPNSt15iterator_traitsISJ_E10value_typeEPNSP_ISK_E10value_typeEPSL_NS1_7vsmem_tEENKUlT_SJ_SK_SL_E_clIPiSE_SF_SF_EESI_SY_SJ_SK_SL_EUlSY_E0_NS1_11comp_targetILNS1_3genE5ELNS1_11target_archE942ELNS1_3gpuE9ELNS1_3repE0EEENS1_38merge_mergepath_config_static_selectorELNS0_4arch9wavefront6targetE1EEEvSK_
		.amdhsa_group_segment_fixed_size 0
		.amdhsa_private_segment_fixed_size 0
		.amdhsa_kernarg_size 72
		.amdhsa_user_sgpr_count 6
		.amdhsa_user_sgpr_private_segment_buffer 1
		.amdhsa_user_sgpr_dispatch_ptr 0
		.amdhsa_user_sgpr_queue_ptr 0
		.amdhsa_user_sgpr_kernarg_segment_ptr 1
		.amdhsa_user_sgpr_dispatch_id 0
		.amdhsa_user_sgpr_flat_scratch_init 0
		.amdhsa_user_sgpr_kernarg_preload_length 0
		.amdhsa_user_sgpr_kernarg_preload_offset 0
		.amdhsa_user_sgpr_private_segment_size 0
		.amdhsa_uses_dynamic_stack 0
		.amdhsa_system_sgpr_private_segment_wavefront_offset 0
		.amdhsa_system_sgpr_workgroup_id_x 1
		.amdhsa_system_sgpr_workgroup_id_y 0
		.amdhsa_system_sgpr_workgroup_id_z 0
		.amdhsa_system_sgpr_workgroup_info 0
		.amdhsa_system_vgpr_workitem_id 0
		.amdhsa_next_free_vgpr 1
		.amdhsa_next_free_sgpr 0
		.amdhsa_accum_offset 4
		.amdhsa_reserve_vcc 0
		.amdhsa_reserve_flat_scratch 0
		.amdhsa_float_round_mode_32 0
		.amdhsa_float_round_mode_16_64 0
		.amdhsa_float_denorm_mode_32 3
		.amdhsa_float_denorm_mode_16_64 3
		.amdhsa_dx10_clamp 1
		.amdhsa_ieee_mode 1
		.amdhsa_fp16_overflow 0
		.amdhsa_tg_split 0
		.amdhsa_exception_fp_ieee_invalid_op 0
		.amdhsa_exception_fp_denorm_src 0
		.amdhsa_exception_fp_ieee_div_zero 0
		.amdhsa_exception_fp_ieee_overflow 0
		.amdhsa_exception_fp_ieee_underflow 0
		.amdhsa_exception_fp_ieee_inexact 0
		.amdhsa_exception_int_div_zero 0
	.end_amdhsa_kernel
	.section	.text._ZN7rocprim17ROCPRIM_400000_NS6detail17trampoline_kernelINS0_14default_configENS1_38merge_sort_block_merge_config_selectorIiNS0_10empty_typeEEEZZNS1_27merge_sort_block_merge_implIS3_N6thrust23THRUST_200600_302600_NS6detail15normal_iteratorINS9_10device_ptrIiEEEEPS5_m14custom_greaterIiEEE10hipError_tT0_T1_T2_jT3_P12ihipStream_tbPNSt15iterator_traitsISJ_E10value_typeEPNSP_ISK_E10value_typeEPSL_NS1_7vsmem_tEENKUlT_SJ_SK_SL_E_clIPiSE_SF_SF_EESI_SY_SJ_SK_SL_EUlSY_E0_NS1_11comp_targetILNS1_3genE5ELNS1_11target_archE942ELNS1_3gpuE9ELNS1_3repE0EEENS1_38merge_mergepath_config_static_selectorELNS0_4arch9wavefront6targetE1EEEvSK_,"axG",@progbits,_ZN7rocprim17ROCPRIM_400000_NS6detail17trampoline_kernelINS0_14default_configENS1_38merge_sort_block_merge_config_selectorIiNS0_10empty_typeEEEZZNS1_27merge_sort_block_merge_implIS3_N6thrust23THRUST_200600_302600_NS6detail15normal_iteratorINS9_10device_ptrIiEEEEPS5_m14custom_greaterIiEEE10hipError_tT0_T1_T2_jT3_P12ihipStream_tbPNSt15iterator_traitsISJ_E10value_typeEPNSP_ISK_E10value_typeEPSL_NS1_7vsmem_tEENKUlT_SJ_SK_SL_E_clIPiSE_SF_SF_EESI_SY_SJ_SK_SL_EUlSY_E0_NS1_11comp_targetILNS1_3genE5ELNS1_11target_archE942ELNS1_3gpuE9ELNS1_3repE0EEENS1_38merge_mergepath_config_static_selectorELNS0_4arch9wavefront6targetE1EEEvSK_,comdat
.Lfunc_end3098:
	.size	_ZN7rocprim17ROCPRIM_400000_NS6detail17trampoline_kernelINS0_14default_configENS1_38merge_sort_block_merge_config_selectorIiNS0_10empty_typeEEEZZNS1_27merge_sort_block_merge_implIS3_N6thrust23THRUST_200600_302600_NS6detail15normal_iteratorINS9_10device_ptrIiEEEEPS5_m14custom_greaterIiEEE10hipError_tT0_T1_T2_jT3_P12ihipStream_tbPNSt15iterator_traitsISJ_E10value_typeEPNSP_ISK_E10value_typeEPSL_NS1_7vsmem_tEENKUlT_SJ_SK_SL_E_clIPiSE_SF_SF_EESI_SY_SJ_SK_SL_EUlSY_E0_NS1_11comp_targetILNS1_3genE5ELNS1_11target_archE942ELNS1_3gpuE9ELNS1_3repE0EEENS1_38merge_mergepath_config_static_selectorELNS0_4arch9wavefront6targetE1EEEvSK_, .Lfunc_end3098-_ZN7rocprim17ROCPRIM_400000_NS6detail17trampoline_kernelINS0_14default_configENS1_38merge_sort_block_merge_config_selectorIiNS0_10empty_typeEEEZZNS1_27merge_sort_block_merge_implIS3_N6thrust23THRUST_200600_302600_NS6detail15normal_iteratorINS9_10device_ptrIiEEEEPS5_m14custom_greaterIiEEE10hipError_tT0_T1_T2_jT3_P12ihipStream_tbPNSt15iterator_traitsISJ_E10value_typeEPNSP_ISK_E10value_typeEPSL_NS1_7vsmem_tEENKUlT_SJ_SK_SL_E_clIPiSE_SF_SF_EESI_SY_SJ_SK_SL_EUlSY_E0_NS1_11comp_targetILNS1_3genE5ELNS1_11target_archE942ELNS1_3gpuE9ELNS1_3repE0EEENS1_38merge_mergepath_config_static_selectorELNS0_4arch9wavefront6targetE1EEEvSK_
                                        ; -- End function
	.section	.AMDGPU.csdata,"",@progbits
; Kernel info:
; codeLenInByte = 0
; NumSgprs: 4
; NumVgprs: 0
; NumAgprs: 0
; TotalNumVgprs: 0
; ScratchSize: 0
; MemoryBound: 0
; FloatMode: 240
; IeeeMode: 1
; LDSByteSize: 0 bytes/workgroup (compile time only)
; SGPRBlocks: 0
; VGPRBlocks: 0
; NumSGPRsForWavesPerEU: 4
; NumVGPRsForWavesPerEU: 1
; AccumOffset: 4
; Occupancy: 8
; WaveLimiterHint : 0
; COMPUTE_PGM_RSRC2:SCRATCH_EN: 0
; COMPUTE_PGM_RSRC2:USER_SGPR: 6
; COMPUTE_PGM_RSRC2:TRAP_HANDLER: 0
; COMPUTE_PGM_RSRC2:TGID_X_EN: 1
; COMPUTE_PGM_RSRC2:TGID_Y_EN: 0
; COMPUTE_PGM_RSRC2:TGID_Z_EN: 0
; COMPUTE_PGM_RSRC2:TIDIG_COMP_CNT: 0
; COMPUTE_PGM_RSRC3_GFX90A:ACCUM_OFFSET: 0
; COMPUTE_PGM_RSRC3_GFX90A:TG_SPLIT: 0
	.section	.text._ZN7rocprim17ROCPRIM_400000_NS6detail17trampoline_kernelINS0_14default_configENS1_38merge_sort_block_merge_config_selectorIiNS0_10empty_typeEEEZZNS1_27merge_sort_block_merge_implIS3_N6thrust23THRUST_200600_302600_NS6detail15normal_iteratorINS9_10device_ptrIiEEEEPS5_m14custom_greaterIiEEE10hipError_tT0_T1_T2_jT3_P12ihipStream_tbPNSt15iterator_traitsISJ_E10value_typeEPNSP_ISK_E10value_typeEPSL_NS1_7vsmem_tEENKUlT_SJ_SK_SL_E_clIPiSE_SF_SF_EESI_SY_SJ_SK_SL_EUlSY_E0_NS1_11comp_targetILNS1_3genE4ELNS1_11target_archE910ELNS1_3gpuE8ELNS1_3repE0EEENS1_38merge_mergepath_config_static_selectorELNS0_4arch9wavefront6targetE1EEEvSK_,"axG",@progbits,_ZN7rocprim17ROCPRIM_400000_NS6detail17trampoline_kernelINS0_14default_configENS1_38merge_sort_block_merge_config_selectorIiNS0_10empty_typeEEEZZNS1_27merge_sort_block_merge_implIS3_N6thrust23THRUST_200600_302600_NS6detail15normal_iteratorINS9_10device_ptrIiEEEEPS5_m14custom_greaterIiEEE10hipError_tT0_T1_T2_jT3_P12ihipStream_tbPNSt15iterator_traitsISJ_E10value_typeEPNSP_ISK_E10value_typeEPSL_NS1_7vsmem_tEENKUlT_SJ_SK_SL_E_clIPiSE_SF_SF_EESI_SY_SJ_SK_SL_EUlSY_E0_NS1_11comp_targetILNS1_3genE4ELNS1_11target_archE910ELNS1_3gpuE8ELNS1_3repE0EEENS1_38merge_mergepath_config_static_selectorELNS0_4arch9wavefront6targetE1EEEvSK_,comdat
	.protected	_ZN7rocprim17ROCPRIM_400000_NS6detail17trampoline_kernelINS0_14default_configENS1_38merge_sort_block_merge_config_selectorIiNS0_10empty_typeEEEZZNS1_27merge_sort_block_merge_implIS3_N6thrust23THRUST_200600_302600_NS6detail15normal_iteratorINS9_10device_ptrIiEEEEPS5_m14custom_greaterIiEEE10hipError_tT0_T1_T2_jT3_P12ihipStream_tbPNSt15iterator_traitsISJ_E10value_typeEPNSP_ISK_E10value_typeEPSL_NS1_7vsmem_tEENKUlT_SJ_SK_SL_E_clIPiSE_SF_SF_EESI_SY_SJ_SK_SL_EUlSY_E0_NS1_11comp_targetILNS1_3genE4ELNS1_11target_archE910ELNS1_3gpuE8ELNS1_3repE0EEENS1_38merge_mergepath_config_static_selectorELNS0_4arch9wavefront6targetE1EEEvSK_ ; -- Begin function _ZN7rocprim17ROCPRIM_400000_NS6detail17trampoline_kernelINS0_14default_configENS1_38merge_sort_block_merge_config_selectorIiNS0_10empty_typeEEEZZNS1_27merge_sort_block_merge_implIS3_N6thrust23THRUST_200600_302600_NS6detail15normal_iteratorINS9_10device_ptrIiEEEEPS5_m14custom_greaterIiEEE10hipError_tT0_T1_T2_jT3_P12ihipStream_tbPNSt15iterator_traitsISJ_E10value_typeEPNSP_ISK_E10value_typeEPSL_NS1_7vsmem_tEENKUlT_SJ_SK_SL_E_clIPiSE_SF_SF_EESI_SY_SJ_SK_SL_EUlSY_E0_NS1_11comp_targetILNS1_3genE4ELNS1_11target_archE910ELNS1_3gpuE8ELNS1_3repE0EEENS1_38merge_mergepath_config_static_selectorELNS0_4arch9wavefront6targetE1EEEvSK_
	.globl	_ZN7rocprim17ROCPRIM_400000_NS6detail17trampoline_kernelINS0_14default_configENS1_38merge_sort_block_merge_config_selectorIiNS0_10empty_typeEEEZZNS1_27merge_sort_block_merge_implIS3_N6thrust23THRUST_200600_302600_NS6detail15normal_iteratorINS9_10device_ptrIiEEEEPS5_m14custom_greaterIiEEE10hipError_tT0_T1_T2_jT3_P12ihipStream_tbPNSt15iterator_traitsISJ_E10value_typeEPNSP_ISK_E10value_typeEPSL_NS1_7vsmem_tEENKUlT_SJ_SK_SL_E_clIPiSE_SF_SF_EESI_SY_SJ_SK_SL_EUlSY_E0_NS1_11comp_targetILNS1_3genE4ELNS1_11target_archE910ELNS1_3gpuE8ELNS1_3repE0EEENS1_38merge_mergepath_config_static_selectorELNS0_4arch9wavefront6targetE1EEEvSK_
	.p2align	8
	.type	_ZN7rocprim17ROCPRIM_400000_NS6detail17trampoline_kernelINS0_14default_configENS1_38merge_sort_block_merge_config_selectorIiNS0_10empty_typeEEEZZNS1_27merge_sort_block_merge_implIS3_N6thrust23THRUST_200600_302600_NS6detail15normal_iteratorINS9_10device_ptrIiEEEEPS5_m14custom_greaterIiEEE10hipError_tT0_T1_T2_jT3_P12ihipStream_tbPNSt15iterator_traitsISJ_E10value_typeEPNSP_ISK_E10value_typeEPSL_NS1_7vsmem_tEENKUlT_SJ_SK_SL_E_clIPiSE_SF_SF_EESI_SY_SJ_SK_SL_EUlSY_E0_NS1_11comp_targetILNS1_3genE4ELNS1_11target_archE910ELNS1_3gpuE8ELNS1_3repE0EEENS1_38merge_mergepath_config_static_selectorELNS0_4arch9wavefront6targetE1EEEvSK_,@function
_ZN7rocprim17ROCPRIM_400000_NS6detail17trampoline_kernelINS0_14default_configENS1_38merge_sort_block_merge_config_selectorIiNS0_10empty_typeEEEZZNS1_27merge_sort_block_merge_implIS3_N6thrust23THRUST_200600_302600_NS6detail15normal_iteratorINS9_10device_ptrIiEEEEPS5_m14custom_greaterIiEEE10hipError_tT0_T1_T2_jT3_P12ihipStream_tbPNSt15iterator_traitsISJ_E10value_typeEPNSP_ISK_E10value_typeEPSL_NS1_7vsmem_tEENKUlT_SJ_SK_SL_E_clIPiSE_SF_SF_EESI_SY_SJ_SK_SL_EUlSY_E0_NS1_11comp_targetILNS1_3genE4ELNS1_11target_archE910ELNS1_3gpuE8ELNS1_3repE0EEENS1_38merge_mergepath_config_static_selectorELNS0_4arch9wavefront6targetE1EEEvSK_: ; @_ZN7rocprim17ROCPRIM_400000_NS6detail17trampoline_kernelINS0_14default_configENS1_38merge_sort_block_merge_config_selectorIiNS0_10empty_typeEEEZZNS1_27merge_sort_block_merge_implIS3_N6thrust23THRUST_200600_302600_NS6detail15normal_iteratorINS9_10device_ptrIiEEEEPS5_m14custom_greaterIiEEE10hipError_tT0_T1_T2_jT3_P12ihipStream_tbPNSt15iterator_traitsISJ_E10value_typeEPNSP_ISK_E10value_typeEPSL_NS1_7vsmem_tEENKUlT_SJ_SK_SL_E_clIPiSE_SF_SF_EESI_SY_SJ_SK_SL_EUlSY_E0_NS1_11comp_targetILNS1_3genE4ELNS1_11target_archE910ELNS1_3gpuE8ELNS1_3repE0EEENS1_38merge_mergepath_config_static_selectorELNS0_4arch9wavefront6targetE1EEEvSK_
; %bb.0:
	s_load_dwordx2 s[22:23], s[4:5], 0x48
	s_load_dword s0, s[4:5], 0x38
	s_add_u32 s10, s4, 0x48
	s_addc_u32 s11, s5, 0
	s_waitcnt lgkmcnt(0)
	s_mul_i32 s1, s23, s8
	s_add_i32 s1, s1, s7
	s_mul_i32 s1, s1, s22
	s_add_i32 s8, s1, s6
	s_cmp_ge_u32 s8, s0
	s_cbranch_scc1 .LBB3099_45
; %bb.1:
	s_load_dwordx2 s[0:1], s[4:5], 0x40
	s_load_dwordx4 s[12:15], s[4:5], 0x8
	s_load_dwordx4 s[16:19], s[4:5], 0x28
	s_mov_b32 s9, 0
	s_lshl_b64 s[2:3], s[8:9], 3
	s_waitcnt lgkmcnt(0)
	s_add_u32 s0, s0, s2
	s_addc_u32 s1, s1, s3
	v_mov_b32_e32 v1, s18
	v_alignbit_b32 v1, s19, v1, 9
	v_readfirstlane_b32 s4, v1
	s_and_b32 s4, s4, -2
	s_sub_i32 s30, 0, s4
	s_and_b32 s24, s8, s30
	s_mov_b32 s25, s9
	s_lshl_b64 s[4:5], s[24:25], 10
	s_lshl_b64 s[20:21], s[8:9], 10
	s_sub_u32 s7, s20, s4
	s_load_dwordx4 s[0:3], s[0:1], 0x0
	s_subb_u32 s23, s21, s5
	s_lshl_b64 s[24:25], s[24:25], 11
	s_add_u32 s24, s24, s18
	s_addc_u32 s25, s25, s19
	s_add_u32 s7, s24, s7
	s_addc_u32 s23, s25, s23
	s_waitcnt lgkmcnt(0)
	s_sub_u32 s26, s7, s2
	s_subb_u32 s3, s23, s3
	s_add_u32 s26, s26, 0x400
	s_addc_u32 s27, s3, 0
	v_pk_mov_b32 v[2:3], s[26:27], s[26:27] op_sel:[0,1]
	v_cmp_lt_u64_e32 vcc, s[16:17], v[2:3]
	s_and_b64 s[28:29], vcc, exec
	s_cselect_b32 s3, s16, s26
	s_or_b32 s26, s8, s30
	s_cmp_lg_u32 s26, -1
	s_cbranch_scc1 .LBB3099_3
; %bb.2:
	s_sub_u32 s4, s24, s4
	s_subb_u32 s5, s25, s5
	v_pk_mov_b32 v[2:3], s[4:5], s[4:5] op_sel:[0,1]
	v_cmp_lt_u64_e32 vcc, s[16:17], v[2:3]
	s_and_b64 s[2:3], vcc, exec
	s_cselect_b32 s2, s16, s4
	s_add_u32 s4, s4, s18
	s_addc_u32 s5, s5, s19
	v_pk_mov_b32 v[2:3], s[4:5], s[4:5] op_sel:[0,1]
	v_cmp_lt_u64_e32 vcc, s[16:17], v[2:3]
	s_and_b64 s[18:19], vcc, exec
	s_cselect_b32 s3, s16, s4
.LBB3099_3:
	s_lshr_b64 s[26:27], s[16:17], 10
	s_cmp_lg_u64 s[26:27], s[8:9]
	s_cselect_b64 s[18:19], -1, 0
	s_sub_u32 s4, s7, s0
	s_subb_u32 s5, s23, s1
	v_pk_mov_b32 v[2:3], s[4:5], s[4:5] op_sel:[0,1]
	v_cmp_lt_u64_e32 vcc, s[16:17], v[2:3]
	s_and_b64 s[24:25], vcc, exec
	s_cselect_b32 s28, s16, s4
	s_cselect_b32 s29, s17, s5
	s_sub_i32 s17, s2, s0
	s_sub_i32 s4, s3, s28
	s_lshl_b64 s[0:1], s[0:1], 2
	s_add_u32 s23, s12, s0
	s_addc_u32 s25, s13, s1
	s_lshl_b64 s[0:1], s[28:29], 2
	s_add_u32 s5, s12, s0
	s_addc_u32 s7, s13, s1
	s_cmp_lt_u32 s6, s22
	v_mov_b32_e32 v15, 0
	s_cselect_b32 s0, 12, 18
	global_load_dword v1, v15, s[10:11] offset:14
	s_add_u32 s0, s10, s0
	s_addc_u32 s1, s11, 0
	global_load_ushort v2, v15, s[0:1]
	s_cmp_eq_u64 s[26:27], s[8:9]
	s_waitcnt vmcnt(1)
	v_lshrrev_b32_e32 v3, 16, v1
	v_and_b32_e32 v1, 0xffff, v1
	v_mul_lo_u32 v1, v1, v3
	s_waitcnt vmcnt(0)
	v_mul_lo_u32 v16, v1, v2
	v_add_u32_e32 v12, v16, v0
	v_lshlrev_b32_e32 v1, 2, v0
	v_add_u32_e32 v10, v12, v16
	s_cbranch_scc1 .LBB3099_5
; %bb.4:
	v_mov_b32_e32 v2, s25
	v_add_co_u32_e32 v4, vcc, s23, v1
	v_subrev_u32_e32 v14, s17, v0
	v_addc_co_u32_e32 v5, vcc, 0, v2, vcc
	v_lshlrev_b64 v[2:3], 2, v[14:15]
	v_mov_b32_e32 v6, s7
	v_add_co_u32_e32 v2, vcc, s5, v2
	v_addc_co_u32_e32 v3, vcc, v6, v3, vcc
	v_cmp_gt_u32_e32 vcc, s17, v0
	v_mov_b32_e32 v13, v15
	v_cndmask_b32_e32 v3, v3, v5, vcc
	v_cndmask_b32_e32 v2, v2, v4, vcc
	v_lshlrev_b64 v[4:5], 2, v[12:13]
	global_load_dword v2, v[2:3], off
	v_mov_b32_e32 v3, s25
	v_add_co_u32_e32 v6, vcc, s23, v4
	v_subrev_u32_e32 v14, s17, v12
	v_addc_co_u32_e32 v3, vcc, v3, v5, vcc
	v_lshlrev_b64 v[4:5], 2, v[14:15]
	v_mov_b32_e32 v7, s7
	v_add_co_u32_e32 v4, vcc, s5, v4
	v_addc_co_u32_e32 v5, vcc, v7, v5, vcc
	v_cmp_gt_u32_e32 vcc, s17, v12
	v_cndmask_b32_e32 v5, v5, v3, vcc
	v_cndmask_b32_e32 v4, v4, v6, vcc
	v_mov_b32_e32 v11, v15
	global_load_dword v3, v[4:5], off
	v_lshlrev_b64 v[4:5], 2, v[10:11]
	v_mov_b32_e32 v6, s25
	v_add_co_u32_e32 v7, vcc, s23, v4
	v_subrev_u32_e32 v14, s17, v10
	v_addc_co_u32_e32 v6, vcc, v6, v5, vcc
	v_lshlrev_b64 v[4:5], 2, v[14:15]
	v_mov_b32_e32 v8, s7
	v_add_co_u32_e32 v4, vcc, s5, v4
	v_addc_co_u32_e32 v5, vcc, v8, v5, vcc
	v_cmp_gt_u32_e32 vcc, s17, v10
	v_add_u32_e32 v14, v10, v16
	v_cndmask_b32_e32 v5, v5, v6, vcc
	v_cndmask_b32_e32 v4, v4, v7, vcc
	v_lshlrev_b64 v[6:7], 2, v[14:15]
	global_load_dword v4, v[4:5], off
	v_mov_b32_e32 v5, s25
	v_add_co_u32_e32 v8, vcc, s23, v6
	v_addc_co_u32_e32 v5, vcc, v5, v7, vcc
	v_subrev_u32_e32 v6, s17, v14
	v_mov_b32_e32 v7, v15
	v_lshlrev_b64 v[6:7], 2, v[6:7]
	v_mov_b32_e32 v9, s7
	v_add_co_u32_e32 v6, vcc, s5, v6
	v_addc_co_u32_e32 v7, vcc, v9, v7, vcc
	v_cmp_gt_u32_e32 vcc, s17, v14
	v_cndmask_b32_e32 v7, v7, v5, vcc
	v_cndmask_b32_e32 v6, v6, v8, vcc
	v_add_u32_e32 v14, v14, v16
	global_load_dword v5, v[6:7], off
	v_lshlrev_b64 v[6:7], 2, v[14:15]
	v_mov_b32_e32 v8, s25
	v_add_co_u32_e32 v9, vcc, s23, v6
	v_addc_co_u32_e32 v8, vcc, v8, v7, vcc
	v_subrev_u32_e32 v6, s17, v14
	v_mov_b32_e32 v7, v15
	v_lshlrev_b64 v[6:7], 2, v[6:7]
	v_mov_b32_e32 v11, s7
	v_add_co_u32_e32 v6, vcc, s5, v6
	v_addc_co_u32_e32 v7, vcc, v11, v7, vcc
	v_cmp_gt_u32_e32 vcc, s17, v14
	v_add_u32_e32 v14, v14, v16
	v_cndmask_b32_e32 v7, v7, v8, vcc
	v_cndmask_b32_e32 v6, v6, v9, vcc
	v_lshlrev_b64 v[8:9], 2, v[14:15]
	global_load_dword v6, v[6:7], off
	v_mov_b32_e32 v7, s25
	v_add_co_u32_e32 v11, vcc, s23, v8
	v_addc_co_u32_e32 v7, vcc, v7, v9, vcc
	v_subrev_u32_e32 v8, s17, v14
	v_mov_b32_e32 v9, v15
	v_lshlrev_b64 v[8:9], 2, v[8:9]
	v_mov_b32_e32 v13, s7
	v_add_co_u32_e32 v8, vcc, s5, v8
	v_addc_co_u32_e32 v9, vcc, v13, v9, vcc
	v_cmp_gt_u32_e32 vcc, s17, v14
	v_cndmask_b32_e32 v9, v9, v7, vcc
	v_cndmask_b32_e32 v8, v8, v11, vcc
	v_add_u32_e32 v14, v14, v16
	global_load_dword v7, v[8:9], off
	v_lshlrev_b64 v[8:9], 2, v[14:15]
	v_mov_b32_e32 v11, s25
	v_add_co_u32_e32 v13, vcc, s23, v8
	v_addc_co_u32_e32 v11, vcc, v11, v9, vcc
	v_subrev_u32_e32 v8, s17, v14
	v_mov_b32_e32 v9, v15
	v_lshlrev_b64 v[8:9], 2, v[8:9]
	v_mov_b32_e32 v17, s7
	v_add_co_u32_e32 v8, vcc, s5, v8
	v_addc_co_u32_e32 v9, vcc, v17, v9, vcc
	v_cmp_gt_u32_e32 vcc, s17, v14
	v_add_u32_e32 v14, v14, v16
	v_cndmask_b32_e32 v9, v9, v11, vcc
	v_cndmask_b32_e32 v8, v8, v13, vcc
	v_lshlrev_b64 v[18:19], 2, v[14:15]
	global_load_dword v8, v[8:9], off
	v_mov_b32_e32 v9, s25
	v_add_co_u32_e32 v11, vcc, s23, v18
	v_addc_co_u32_e32 v9, vcc, v9, v19, vcc
	v_cmp_gt_u32_e32 vcc, s17, v14
	v_subrev_u32_e32 v14, s17, v14
	v_lshlrev_b64 v[14:15], 2, v[14:15]
	v_mov_b32_e32 v13, s7
	v_add_co_u32_e64 v14, s[0:1], s5, v14
	v_addc_co_u32_e64 v13, s[0:1], v13, v15, s[0:1]
	v_cndmask_b32_e32 v15, v13, v9, vcc
	v_cndmask_b32_e32 v14, v14, v11, vcc
	global_load_dword v9, v[14:15], off
	s_add_i32 s24, s17, s4
	s_cbranch_execz .LBB3099_6
	s_branch .LBB3099_21
.LBB3099_5:
                                        ; implicit-def: $vgpr2_vgpr3_vgpr4_vgpr5_vgpr6_vgpr7_vgpr8_vgpr9
                                        ; implicit-def: $sgpr24
.LBB3099_6:
	s_add_i32 s24, s17, s4
	v_cmp_gt_u32_e32 vcc, s24, v0
                                        ; implicit-def: $vgpr2_vgpr3_vgpr4_vgpr5_vgpr6_vgpr7_vgpr8_vgpr9
	s_and_saveexec_b64 s[0:1], vcc
	s_cbranch_execnz .LBB3099_46
; %bb.7:
	s_or_b64 exec, exec, s[0:1]
	v_cmp_gt_u32_e32 vcc, s24, v12
	s_and_saveexec_b64 s[2:3], vcc
	s_cbranch_execnz .LBB3099_47
.LBB3099_8:
	s_or_b64 exec, exec, s[2:3]
	v_cmp_gt_u32_e32 vcc, s24, v10
	s_and_saveexec_b64 s[0:1], vcc
	s_cbranch_execz .LBB3099_10
.LBB3099_9:
	v_mov_b32_e32 v11, 0
	v_lshlrev_b64 v[12:13], 2, v[10:11]
	s_waitcnt vmcnt(5)
	v_mov_b32_e32 v4, s25
	v_add_co_u32_e32 v14, vcc, s23, v12
	v_addc_co_u32_e32 v4, vcc, v4, v13, vcc
	v_subrev_u32_e32 v12, s17, v10
	v_mov_b32_e32 v13, v11
	v_lshlrev_b64 v[12:13], 2, v[12:13]
	v_mov_b32_e32 v11, s7
	v_add_co_u32_e32 v12, vcc, s5, v12
	v_addc_co_u32_e32 v11, vcc, v11, v13, vcc
	v_cmp_gt_u32_e32 vcc, s17, v10
	v_cndmask_b32_e32 v13, v11, v4, vcc
	v_cndmask_b32_e32 v12, v12, v14, vcc
	global_load_dword v4, v[12:13], off
.LBB3099_10:
	s_or_b64 exec, exec, s[0:1]
	v_add_u32_e32 v10, v10, v16
	v_cmp_gt_u32_e32 vcc, s24, v10
	s_and_saveexec_b64 s[0:1], vcc
	s_cbranch_execz .LBB3099_12
; %bb.11:
	v_mov_b32_e32 v11, 0
	v_lshlrev_b64 v[12:13], 2, v[10:11]
	s_waitcnt vmcnt(4)
	v_mov_b32_e32 v5, s25
	v_add_co_u32_e32 v14, vcc, s23, v12
	v_addc_co_u32_e32 v5, vcc, v5, v13, vcc
	v_subrev_u32_e32 v12, s17, v10
	v_mov_b32_e32 v13, v11
	v_lshlrev_b64 v[12:13], 2, v[12:13]
	v_mov_b32_e32 v11, s7
	v_add_co_u32_e32 v12, vcc, s5, v12
	v_addc_co_u32_e32 v11, vcc, v11, v13, vcc
	v_cmp_gt_u32_e32 vcc, s17, v10
	v_cndmask_b32_e32 v13, v11, v5, vcc
	v_cndmask_b32_e32 v12, v12, v14, vcc
	global_load_dword v5, v[12:13], off
.LBB3099_12:
	s_or_b64 exec, exec, s[0:1]
	v_add_u32_e32 v10, v10, v16
	v_cmp_gt_u32_e32 vcc, s24, v10
	s_and_saveexec_b64 s[0:1], vcc
	s_cbranch_execz .LBB3099_14
; %bb.13:
	v_mov_b32_e32 v11, 0
	v_lshlrev_b64 v[12:13], 2, v[10:11]
	s_waitcnt vmcnt(3)
	v_mov_b32_e32 v6, s25
	v_add_co_u32_e32 v14, vcc, s23, v12
	v_addc_co_u32_e32 v6, vcc, v6, v13, vcc
	v_subrev_u32_e32 v12, s17, v10
	v_mov_b32_e32 v13, v11
	v_lshlrev_b64 v[12:13], 2, v[12:13]
	v_mov_b32_e32 v11, s7
	v_add_co_u32_e32 v12, vcc, s5, v12
	v_addc_co_u32_e32 v11, vcc, v11, v13, vcc
	v_cmp_gt_u32_e32 vcc, s17, v10
	v_cndmask_b32_e32 v13, v11, v6, vcc
	v_cndmask_b32_e32 v12, v12, v14, vcc
	global_load_dword v6, v[12:13], off
.LBB3099_14:
	;; [unrolled: 23-line block ×4, first 2 shown]
	s_or_b64 exec, exec, s[0:1]
	v_add_u32_e32 v10, v10, v16
	v_cmp_gt_u32_e32 vcc, s24, v10
	s_and_saveexec_b64 s[2:3], vcc
	s_cbranch_execz .LBB3099_20
; %bb.19:
	v_mov_b32_e32 v11, 0
	v_lshlrev_b64 v[12:13], 2, v[10:11]
	s_waitcnt vmcnt(0)
	v_mov_b32_e32 v9, s25
	v_add_co_u32_e32 v12, vcc, s23, v12
	v_addc_co_u32_e32 v9, vcc, v9, v13, vcc
	v_cmp_gt_u32_e32 vcc, s17, v10
	v_subrev_u32_e32 v10, s17, v10
	v_lshlrev_b64 v[10:11], 2, v[10:11]
	v_mov_b32_e32 v13, s7
	v_add_co_u32_e64 v10, s[0:1], s5, v10
	v_addc_co_u32_e64 v11, s[0:1], v13, v11, s[0:1]
	v_cndmask_b32_e32 v11, v11, v9, vcc
	v_cndmask_b32_e32 v10, v10, v12, vcc
	global_load_dword v9, v[10:11], off
.LBB3099_20:
	s_or_b64 exec, exec, s[2:3]
.LBB3099_21:
	v_lshlrev_b32_e32 v10, 3, v0
	v_min_u32_e32 v12, s24, v10
	v_sub_u32_e64 v11, v12, s4 clamp
	v_min_u32_e32 v13, s17, v12
	v_cmp_lt_u32_e32 vcc, v11, v13
	s_waitcnt vmcnt(0)
	ds_write2st64_b32 v1, v2, v3 offset1:2
	ds_write2st64_b32 v1, v4, v5 offset0:4 offset1:6
	ds_write2st64_b32 v1, v6, v7 offset0:8 offset1:10
	ds_write2st64_b32 v1, v8, v9 offset0:12 offset1:14
	s_waitcnt lgkmcnt(0)
	s_barrier
	s_and_saveexec_b64 s[0:1], vcc
	s_cbranch_execz .LBB3099_25
; %bb.22:
	v_lshlrev_b32_e32 v14, 2, v12
	v_lshl_add_u32 v14, s17, 2, v14
	s_mov_b64 s[2:3], 0
.LBB3099_23:                            ; =>This Inner Loop Header: Depth=1
	v_add_u32_e32 v15, v13, v11
	v_lshrrev_b32_e32 v15, 1, v15
	v_not_b32_e32 v16, v15
	v_lshlrev_b32_e32 v17, 2, v15
	v_lshl_add_u32 v16, v16, 2, v14
	ds_read_b32 v17, v17
	ds_read_b32 v16, v16
	v_add_u32_e32 v18, 1, v15
	s_waitcnt lgkmcnt(0)
	v_cmp_gt_i32_e32 vcc, v17, v16
	v_cndmask_b32_e32 v13, v13, v15, vcc
	v_cndmask_b32_e32 v11, v18, v11, vcc
	v_cmp_ge_u32_e32 vcc, v11, v13
	s_or_b64 s[2:3], vcc, s[2:3]
	s_andn2_b64 exec, exec, s[2:3]
	s_cbranch_execnz .LBB3099_23
; %bb.24:
	s_or_b64 exec, exec, s[2:3]
.LBB3099_25:
	s_or_b64 exec, exec, s[0:1]
	v_sub_u32_e32 v12, v12, v11
	v_add_u32_e32 v12, s17, v12
	v_cmp_ge_u32_e32 vcc, s17, v11
	v_cmp_ge_u32_e64 s[0:1], s24, v12
	s_or_b64 s[0:1], vcc, s[0:1]
	s_and_saveexec_b64 s[22:23], s[0:1]
	s_cbranch_execz .LBB3099_31
; %bb.26:
	v_cmp_gt_u32_e32 vcc, s17, v11
                                        ; implicit-def: $vgpr2
	s_and_saveexec_b64 s[0:1], vcc
	s_cbranch_execz .LBB3099_28
; %bb.27:
	v_lshlrev_b32_e32 v2, 2, v11
	ds_read_b32 v2, v2
.LBB3099_28:
	s_or_b64 exec, exec, s[0:1]
	v_cmp_le_u32_e64 s[0:1], s24, v12
	v_cmp_gt_u32_e64 s[2:3], s24, v12
                                        ; implicit-def: $vgpr3
	s_and_saveexec_b64 s[4:5], s[2:3]
	s_cbranch_execz .LBB3099_30
; %bb.29:
	v_lshlrev_b32_e32 v3, 2, v12
	ds_read_b32 v3, v3
.LBB3099_30:
	s_or_b64 exec, exec, s[4:5]
	s_waitcnt lgkmcnt(0)
	v_cmp_le_i32_e64 s[2:3], v2, v3
	s_and_b64 s[2:3], vcc, s[2:3]
	s_or_b64 vcc, s[0:1], s[2:3]
	v_mov_b32_e32 v5, s24
	v_mov_b32_e32 v6, s17
	v_cndmask_b32_e32 v4, v12, v11, vcc
	v_cndmask_b32_e32 v7, v5, v6, vcc
	v_add_u32_e32 v4, 1, v4
	v_add_u32_e32 v7, -1, v7
	v_min_u32_e32 v7, v4, v7
	v_lshlrev_b32_e32 v7, 2, v7
	ds_read_b32 v7, v7
	v_cndmask_b32_e32 v9, v4, v12, vcc
	v_cndmask_b32_e32 v4, v11, v4, vcc
	v_cmp_gt_u32_e64 s[2:3], s17, v4
	v_cmp_le_u32_e64 s[0:1], s24, v9
	s_waitcnt lgkmcnt(0)
	v_cndmask_b32_e32 v8, v7, v3, vcc
	v_cndmask_b32_e32 v7, v2, v7, vcc
	v_cmp_le_i32_e64 s[4:5], v7, v8
	s_and_b64 s[2:3], s[2:3], s[4:5]
	s_or_b64 s[0:1], s[0:1], s[2:3]
	v_cndmask_b32_e64 v11, v9, v4, s[0:1]
	v_cndmask_b32_e64 v12, v5, v6, s[0:1]
	v_add_u32_e32 v11, 1, v11
	v_add_u32_e32 v12, -1, v12
	v_min_u32_e32 v12, v11, v12
	v_lshlrev_b32_e32 v12, 2, v12
	ds_read_b32 v12, v12
	v_cndmask_b32_e64 v4, v4, v11, s[0:1]
	v_cndmask_b32_e64 v9, v11, v9, s[0:1]
	v_cmp_gt_u32_e64 s[4:5], s17, v4
	v_cmp_le_u32_e64 s[2:3], s24, v9
	s_waitcnt lgkmcnt(0)
	v_cndmask_b32_e64 v13, v12, v8, s[0:1]
	v_cndmask_b32_e64 v12, v7, v12, s[0:1]
	v_cmp_le_i32_e64 s[6:7], v12, v13
	s_and_b64 s[4:5], s[4:5], s[6:7]
	s_or_b64 s[2:3], s[2:3], s[4:5]
	v_cndmask_b32_e64 v11, v9, v4, s[2:3]
	v_cndmask_b32_e64 v14, v5, v6, s[2:3]
	v_add_u32_e32 v11, 1, v11
	v_add_u32_e32 v14, -1, v14
	v_min_u32_e32 v14, v11, v14
	v_lshlrev_b32_e32 v14, 2, v14
	ds_read_b32 v14, v14
	v_cndmask_b32_e64 v4, v4, v11, s[2:3]
	v_cndmask_b32_e64 v9, v11, v9, s[2:3]
	v_cmp_gt_u32_e64 s[6:7], s17, v4
	v_cmp_le_u32_e64 s[4:5], s24, v9
	s_waitcnt lgkmcnt(0)
	v_cndmask_b32_e64 v15, v14, v13, s[2:3]
	v_cndmask_b32_e64 v14, v12, v14, s[2:3]
	;; [unrolled: 17-line block ×4, first 2 shown]
	v_cmp_le_i32_e64 s[12:13], v18, v19
	s_and_b64 s[10:11], s[10:11], s[12:13]
	s_or_b64 s[8:9], s[8:9], s[10:11]
	v_cndmask_b32_e64 v4, v9, v11, s[8:9]
	v_cndmask_b32_e64 v20, v5, v6, s[8:9]
	v_add_u32_e32 v21, 1, v4
	v_add_u32_e32 v4, -1, v20
	v_min_u32_e32 v4, v21, v4
	v_lshlrev_b32_e32 v4, 2, v4
	ds_read_b32 v20, v4
	v_cndmask_b32_e64 v4, v13, v12, s[2:3]
	v_cndmask_b32_e64 v11, v11, v21, s[8:9]
	v_cndmask_b32_e32 v2, v3, v2, vcc
	v_cndmask_b32_e64 v3, v8, v7, s[0:1]
	s_waitcnt lgkmcnt(0)
	v_cndmask_b32_e64 v12, v20, v19, s[8:9]
	v_cndmask_b32_e64 v13, v18, v20, s[8:9]
	;; [unrolled: 1-line block ×3, first 2 shown]
	v_cmp_gt_u32_e64 s[0:1], s17, v11
	v_cmp_le_i32_e64 s[2:3], v13, v12
	v_cmp_le_u32_e32 vcc, s24, v9
	s_and_b64 s[0:1], s[0:1], s[2:3]
	s_or_b64 vcc, vcc, s[0:1]
	v_cndmask_b32_e32 v7, v9, v11, vcc
	v_cndmask_b32_e32 v5, v5, v6, vcc
	v_add_u32_e32 v20, 1, v7
	v_add_u32_e32 v5, -1, v5
	v_min_u32_e32 v5, v20, v5
	v_lshlrev_b32_e32 v5, 2, v5
	ds_read_b32 v21, v5
	v_cndmask_b32_e32 v8, v12, v13, vcc
	v_cndmask_b32_e32 v11, v11, v20, vcc
	;; [unrolled: 1-line block ×3, first 2 shown]
	v_cmp_gt_u32_e64 s[0:1], s17, v11
	s_waitcnt lgkmcnt(0)
	v_cndmask_b32_e32 v12, v21, v12, vcc
	v_cndmask_b32_e32 v13, v13, v21, vcc
	v_cmp_le_i32_e64 s[2:3], v13, v12
	v_cmp_le_u32_e32 vcc, s24, v9
	s_and_b64 s[0:1], s[0:1], s[2:3]
	s_or_b64 vcc, vcc, s[0:1]
	v_cndmask_b32_e64 v5, v15, v14, s[4:5]
	v_cndmask_b32_e64 v6, v17, v16, s[6:7]
	;; [unrolled: 1-line block ×3, first 2 shown]
	v_cndmask_b32_e32 v9, v12, v13, vcc
.LBB3099_31:
	s_or_b64 exec, exec, s[22:23]
	v_and_b32_e32 v11, 0x7c, v0
	v_lshl_add_u32 v10, v10, 2, v11
	s_barrier
	s_barrier
	ds_write2_b32 v10, v2, v3 offset1:1
	ds_write2_b32 v10, v4, v5 offset0:2 offset1:3
	ds_write2_b32 v10, v6, v7 offset0:4 offset1:5
	;; [unrolled: 1-line block ×3, first 2 shown]
	v_lshrrev_b32_e32 v2, 3, v0
	v_and_b32_e32 v2, 12, v2
	v_or_b32_e32 v10, 0x80, v0
	v_add_u32_e32 v11, v1, v2
	v_lshrrev_b32_e32 v2, 3, v10
	v_and_b32_e32 v2, 28, v2
	v_or_b32_e32 v9, 0x100, v0
	v_add_u32_e32 v12, v1, v2
	;; [unrolled: 4-line block ×6, first 2 shown]
	v_lshrrev_b32_e32 v2, 3, v5
	s_lshl_b64 s[0:1], s[20:21], 2
	v_and_b32_e32 v2, 0x6c, v2
	v_or_b32_e32 v4, 0x380, v0
	s_add_u32 s0, s14, s0
	v_add_u32_e32 v17, v1, v2
	v_lshrrev_b32_e32 v2, 3, v4
	s_addc_u32 s1, s15, s1
	v_and_b32_e32 v2, 0x7c, v2
	v_add_u32_e32 v18, v1, v2
	v_mov_b32_e32 v3, s1
	v_add_co_u32_e32 v2, vcc, s0, v1
	v_addc_co_u32_e32 v3, vcc, 0, v3, vcc
	s_and_b64 vcc, exec, s[18:19]
	s_waitcnt lgkmcnt(0)
	s_cbranch_vccz .LBB3099_33
; %bb.32:
	s_barrier
	ds_read_b32 v19, v11
	ds_read_b32 v20, v12 offset:512
	ds_read_b32 v21, v13 offset:1024
	;; [unrolled: 1-line block ×7, first 2 shown]
	s_waitcnt lgkmcnt(7)
	global_store_dword v[2:3], v19, off
	s_waitcnt lgkmcnt(6)
	global_store_dword v[2:3], v20, off offset:512
	s_waitcnt lgkmcnt(5)
	global_store_dword v[2:3], v21, off offset:1024
	;; [unrolled: 2-line block ×6, first 2 shown]
	s_mov_b64 s[0:1], -1
	s_cbranch_execz .LBB3099_34
	s_branch .LBB3099_43
.LBB3099_33:
	s_mov_b64 s[0:1], 0
                                        ; implicit-def: $vgpr1
.LBB3099_34:
	s_barrier
	s_waitcnt lgkmcnt(0)
	ds_read_b32 v21, v12 offset:512
	ds_read_b32 v20, v13 offset:1024
	;; [unrolled: 1-line block ×7, first 2 shown]
	s_sub_i32 s2, s16, s20
	v_cmp_gt_u32_e32 vcc, s2, v0
	s_and_saveexec_b64 s[0:1], vcc
	s_cbranch_execnz .LBB3099_48
; %bb.35:
	s_or_b64 exec, exec, s[0:1]
	v_cmp_gt_u32_e32 vcc, s2, v10
	s_and_saveexec_b64 s[0:1], vcc
	s_cbranch_execnz .LBB3099_49
.LBB3099_36:
	s_or_b64 exec, exec, s[0:1]
	v_cmp_gt_u32_e32 vcc, s2, v9
	s_and_saveexec_b64 s[0:1], vcc
	s_cbranch_execnz .LBB3099_50
.LBB3099_37:
	s_or_b64 exec, exec, s[0:1]
	v_cmp_gt_u32_e32 vcc, s2, v8
	s_and_saveexec_b64 s[0:1], vcc
	s_cbranch_execnz .LBB3099_51
.LBB3099_38:
	s_or_b64 exec, exec, s[0:1]
	v_cmp_gt_u32_e32 vcc, s2, v7
	s_and_saveexec_b64 s[0:1], vcc
	s_cbranch_execnz .LBB3099_52
.LBB3099_39:
	s_or_b64 exec, exec, s[0:1]
	v_cmp_gt_u32_e32 vcc, s2, v6
	s_and_saveexec_b64 s[0:1], vcc
	s_cbranch_execnz .LBB3099_53
.LBB3099_40:
	s_or_b64 exec, exec, s[0:1]
	v_cmp_gt_u32_e32 vcc, s2, v5
	s_and_saveexec_b64 s[0:1], vcc
	s_cbranch_execz .LBB3099_42
.LBB3099_41:
	s_waitcnt lgkmcnt(1)
	global_store_dword v[2:3], v12, off offset:3072
.LBB3099_42:
	s_or_b64 exec, exec, s[0:1]
	v_cmp_gt_u32_e64 s[0:1], s2, v4
.LBB3099_43:
	s_and_saveexec_b64 s[2:3], s[0:1]
	s_cbranch_execz .LBB3099_45
; %bb.44:
	s_waitcnt lgkmcnt(0)
	global_store_dword v[2:3], v1, off offset:3584
.LBB3099_45:
	s_endpgm
.LBB3099_46:
	s_waitcnt vmcnt(7)
	v_mov_b32_e32 v2, s25
	s_waitcnt vmcnt(5)
	v_add_co_u32_e32 v4, vcc, s23, v1
	v_mov_b32_e32 v3, 0
	s_waitcnt vmcnt(4)
	v_addc_co_u32_e32 v5, vcc, 0, v2, vcc
	v_subrev_u32_e32 v2, s17, v0
	v_lshlrev_b64 v[2:3], 2, v[2:3]
	s_waitcnt vmcnt(3)
	v_mov_b32_e32 v6, s7
	v_add_co_u32_e32 v2, vcc, s5, v2
	v_addc_co_u32_e32 v3, vcc, v6, v3, vcc
	v_cmp_gt_u32_e32 vcc, s17, v0
	v_cndmask_b32_e32 v3, v3, v5, vcc
	v_cndmask_b32_e32 v2, v2, v4, vcc
	global_load_dword v2, v[2:3], off
	s_or_b64 exec, exec, s[0:1]
	v_cmp_gt_u32_e32 vcc, s24, v12
	s_and_saveexec_b64 s[2:3], vcc
	s_cbranch_execz .LBB3099_8
.LBB3099_47:
	v_mov_b32_e32 v13, 0
	v_lshlrev_b64 v[14:15], 2, v[12:13]
	s_waitcnt vmcnt(6)
	v_mov_b32_e32 v3, s25
	v_add_co_u32_e32 v11, vcc, s23, v14
	v_addc_co_u32_e32 v3, vcc, v3, v15, vcc
	v_cmp_gt_u32_e32 vcc, s17, v12
	v_subrev_u32_e32 v12, s17, v12
	v_lshlrev_b64 v[12:13], 2, v[12:13]
	v_mov_b32_e32 v14, s7
	v_add_co_u32_e64 v12, s[0:1], s5, v12
	v_addc_co_u32_e64 v13, s[0:1], v14, v13, s[0:1]
	v_cndmask_b32_e32 v13, v13, v3, vcc
	v_cndmask_b32_e32 v12, v12, v11, vcc
	global_load_dword v3, v[12:13], off
	s_or_b64 exec, exec, s[2:3]
	v_cmp_gt_u32_e32 vcc, s24, v10
	s_and_saveexec_b64 s[0:1], vcc
	s_cbranch_execnz .LBB3099_9
	s_branch .LBB3099_10
.LBB3099_48:
	ds_read_b32 v0, v11
	s_waitcnt lgkmcnt(0)
	global_store_dword v[2:3], v0, off
	s_or_b64 exec, exec, s[0:1]
	v_cmp_gt_u32_e32 vcc, s2, v10
	s_and_saveexec_b64 s[0:1], vcc
	s_cbranch_execz .LBB3099_36
.LBB3099_49:
	s_waitcnt lgkmcnt(6)
	global_store_dword v[2:3], v21, off offset:512
	s_or_b64 exec, exec, s[0:1]
	v_cmp_gt_u32_e32 vcc, s2, v9
	s_and_saveexec_b64 s[0:1], vcc
	s_cbranch_execz .LBB3099_37
.LBB3099_50:
	s_waitcnt lgkmcnt(5)
	global_store_dword v[2:3], v20, off offset:1024
	s_or_b64 exec, exec, s[0:1]
	v_cmp_gt_u32_e32 vcc, s2, v8
	s_and_saveexec_b64 s[0:1], vcc
	s_cbranch_execz .LBB3099_38
.LBB3099_51:
	s_waitcnt lgkmcnt(4)
	global_store_dword v[2:3], v19, off offset:1536
	s_or_b64 exec, exec, s[0:1]
	v_cmp_gt_u32_e32 vcc, s2, v7
	s_and_saveexec_b64 s[0:1], vcc
	s_cbranch_execz .LBB3099_39
.LBB3099_52:
	s_waitcnt lgkmcnt(3)
	global_store_dword v[2:3], v14, off offset:2048
	s_or_b64 exec, exec, s[0:1]
	v_cmp_gt_u32_e32 vcc, s2, v6
	s_and_saveexec_b64 s[0:1], vcc
	s_cbranch_execz .LBB3099_40
.LBB3099_53:
	s_waitcnt lgkmcnt(2)
	global_store_dword v[2:3], v13, off offset:2560
	s_or_b64 exec, exec, s[0:1]
	v_cmp_gt_u32_e32 vcc, s2, v5
	s_and_saveexec_b64 s[0:1], vcc
	s_cbranch_execnz .LBB3099_41
	s_branch .LBB3099_42
	.section	.rodata,"a",@progbits
	.p2align	6, 0x0
	.amdhsa_kernel _ZN7rocprim17ROCPRIM_400000_NS6detail17trampoline_kernelINS0_14default_configENS1_38merge_sort_block_merge_config_selectorIiNS0_10empty_typeEEEZZNS1_27merge_sort_block_merge_implIS3_N6thrust23THRUST_200600_302600_NS6detail15normal_iteratorINS9_10device_ptrIiEEEEPS5_m14custom_greaterIiEEE10hipError_tT0_T1_T2_jT3_P12ihipStream_tbPNSt15iterator_traitsISJ_E10value_typeEPNSP_ISK_E10value_typeEPSL_NS1_7vsmem_tEENKUlT_SJ_SK_SL_E_clIPiSE_SF_SF_EESI_SY_SJ_SK_SL_EUlSY_E0_NS1_11comp_targetILNS1_3genE4ELNS1_11target_archE910ELNS1_3gpuE8ELNS1_3repE0EEENS1_38merge_mergepath_config_static_selectorELNS0_4arch9wavefront6targetE1EEEvSK_
		.amdhsa_group_segment_fixed_size 4224
		.amdhsa_private_segment_fixed_size 0
		.amdhsa_kernarg_size 328
		.amdhsa_user_sgpr_count 6
		.amdhsa_user_sgpr_private_segment_buffer 1
		.amdhsa_user_sgpr_dispatch_ptr 0
		.amdhsa_user_sgpr_queue_ptr 0
		.amdhsa_user_sgpr_kernarg_segment_ptr 1
		.amdhsa_user_sgpr_dispatch_id 0
		.amdhsa_user_sgpr_flat_scratch_init 0
		.amdhsa_user_sgpr_kernarg_preload_length 0
		.amdhsa_user_sgpr_kernarg_preload_offset 0
		.amdhsa_user_sgpr_private_segment_size 0
		.amdhsa_uses_dynamic_stack 0
		.amdhsa_system_sgpr_private_segment_wavefront_offset 0
		.amdhsa_system_sgpr_workgroup_id_x 1
		.amdhsa_system_sgpr_workgroup_id_y 1
		.amdhsa_system_sgpr_workgroup_id_z 1
		.amdhsa_system_sgpr_workgroup_info 0
		.amdhsa_system_vgpr_workitem_id 0
		.amdhsa_next_free_vgpr 26
		.amdhsa_next_free_sgpr 31
		.amdhsa_accum_offset 28
		.amdhsa_reserve_vcc 1
		.amdhsa_reserve_flat_scratch 0
		.amdhsa_float_round_mode_32 0
		.amdhsa_float_round_mode_16_64 0
		.amdhsa_float_denorm_mode_32 3
		.amdhsa_float_denorm_mode_16_64 3
		.amdhsa_dx10_clamp 1
		.amdhsa_ieee_mode 1
		.amdhsa_fp16_overflow 0
		.amdhsa_tg_split 0
		.amdhsa_exception_fp_ieee_invalid_op 0
		.amdhsa_exception_fp_denorm_src 0
		.amdhsa_exception_fp_ieee_div_zero 0
		.amdhsa_exception_fp_ieee_overflow 0
		.amdhsa_exception_fp_ieee_underflow 0
		.amdhsa_exception_fp_ieee_inexact 0
		.amdhsa_exception_int_div_zero 0
	.end_amdhsa_kernel
	.section	.text._ZN7rocprim17ROCPRIM_400000_NS6detail17trampoline_kernelINS0_14default_configENS1_38merge_sort_block_merge_config_selectorIiNS0_10empty_typeEEEZZNS1_27merge_sort_block_merge_implIS3_N6thrust23THRUST_200600_302600_NS6detail15normal_iteratorINS9_10device_ptrIiEEEEPS5_m14custom_greaterIiEEE10hipError_tT0_T1_T2_jT3_P12ihipStream_tbPNSt15iterator_traitsISJ_E10value_typeEPNSP_ISK_E10value_typeEPSL_NS1_7vsmem_tEENKUlT_SJ_SK_SL_E_clIPiSE_SF_SF_EESI_SY_SJ_SK_SL_EUlSY_E0_NS1_11comp_targetILNS1_3genE4ELNS1_11target_archE910ELNS1_3gpuE8ELNS1_3repE0EEENS1_38merge_mergepath_config_static_selectorELNS0_4arch9wavefront6targetE1EEEvSK_,"axG",@progbits,_ZN7rocprim17ROCPRIM_400000_NS6detail17trampoline_kernelINS0_14default_configENS1_38merge_sort_block_merge_config_selectorIiNS0_10empty_typeEEEZZNS1_27merge_sort_block_merge_implIS3_N6thrust23THRUST_200600_302600_NS6detail15normal_iteratorINS9_10device_ptrIiEEEEPS5_m14custom_greaterIiEEE10hipError_tT0_T1_T2_jT3_P12ihipStream_tbPNSt15iterator_traitsISJ_E10value_typeEPNSP_ISK_E10value_typeEPSL_NS1_7vsmem_tEENKUlT_SJ_SK_SL_E_clIPiSE_SF_SF_EESI_SY_SJ_SK_SL_EUlSY_E0_NS1_11comp_targetILNS1_3genE4ELNS1_11target_archE910ELNS1_3gpuE8ELNS1_3repE0EEENS1_38merge_mergepath_config_static_selectorELNS0_4arch9wavefront6targetE1EEEvSK_,comdat
.Lfunc_end3099:
	.size	_ZN7rocprim17ROCPRIM_400000_NS6detail17trampoline_kernelINS0_14default_configENS1_38merge_sort_block_merge_config_selectorIiNS0_10empty_typeEEEZZNS1_27merge_sort_block_merge_implIS3_N6thrust23THRUST_200600_302600_NS6detail15normal_iteratorINS9_10device_ptrIiEEEEPS5_m14custom_greaterIiEEE10hipError_tT0_T1_T2_jT3_P12ihipStream_tbPNSt15iterator_traitsISJ_E10value_typeEPNSP_ISK_E10value_typeEPSL_NS1_7vsmem_tEENKUlT_SJ_SK_SL_E_clIPiSE_SF_SF_EESI_SY_SJ_SK_SL_EUlSY_E0_NS1_11comp_targetILNS1_3genE4ELNS1_11target_archE910ELNS1_3gpuE8ELNS1_3repE0EEENS1_38merge_mergepath_config_static_selectorELNS0_4arch9wavefront6targetE1EEEvSK_, .Lfunc_end3099-_ZN7rocprim17ROCPRIM_400000_NS6detail17trampoline_kernelINS0_14default_configENS1_38merge_sort_block_merge_config_selectorIiNS0_10empty_typeEEEZZNS1_27merge_sort_block_merge_implIS3_N6thrust23THRUST_200600_302600_NS6detail15normal_iteratorINS9_10device_ptrIiEEEEPS5_m14custom_greaterIiEEE10hipError_tT0_T1_T2_jT3_P12ihipStream_tbPNSt15iterator_traitsISJ_E10value_typeEPNSP_ISK_E10value_typeEPSL_NS1_7vsmem_tEENKUlT_SJ_SK_SL_E_clIPiSE_SF_SF_EESI_SY_SJ_SK_SL_EUlSY_E0_NS1_11comp_targetILNS1_3genE4ELNS1_11target_archE910ELNS1_3gpuE8ELNS1_3repE0EEENS1_38merge_mergepath_config_static_selectorELNS0_4arch9wavefront6targetE1EEEvSK_
                                        ; -- End function
	.section	.AMDGPU.csdata,"",@progbits
; Kernel info:
; codeLenInByte = 3720
; NumSgprs: 35
; NumVgprs: 26
; NumAgprs: 0
; TotalNumVgprs: 26
; ScratchSize: 0
; MemoryBound: 0
; FloatMode: 240
; IeeeMode: 1
; LDSByteSize: 4224 bytes/workgroup (compile time only)
; SGPRBlocks: 4
; VGPRBlocks: 3
; NumSGPRsForWavesPerEU: 35
; NumVGPRsForWavesPerEU: 26
; AccumOffset: 28
; Occupancy: 8
; WaveLimiterHint : 1
; COMPUTE_PGM_RSRC2:SCRATCH_EN: 0
; COMPUTE_PGM_RSRC2:USER_SGPR: 6
; COMPUTE_PGM_RSRC2:TRAP_HANDLER: 0
; COMPUTE_PGM_RSRC2:TGID_X_EN: 1
; COMPUTE_PGM_RSRC2:TGID_Y_EN: 1
; COMPUTE_PGM_RSRC2:TGID_Z_EN: 1
; COMPUTE_PGM_RSRC2:TIDIG_COMP_CNT: 0
; COMPUTE_PGM_RSRC3_GFX90A:ACCUM_OFFSET: 6
; COMPUTE_PGM_RSRC3_GFX90A:TG_SPLIT: 0
	.section	.text._ZN7rocprim17ROCPRIM_400000_NS6detail17trampoline_kernelINS0_14default_configENS1_38merge_sort_block_merge_config_selectorIiNS0_10empty_typeEEEZZNS1_27merge_sort_block_merge_implIS3_N6thrust23THRUST_200600_302600_NS6detail15normal_iteratorINS9_10device_ptrIiEEEEPS5_m14custom_greaterIiEEE10hipError_tT0_T1_T2_jT3_P12ihipStream_tbPNSt15iterator_traitsISJ_E10value_typeEPNSP_ISK_E10value_typeEPSL_NS1_7vsmem_tEENKUlT_SJ_SK_SL_E_clIPiSE_SF_SF_EESI_SY_SJ_SK_SL_EUlSY_E0_NS1_11comp_targetILNS1_3genE3ELNS1_11target_archE908ELNS1_3gpuE7ELNS1_3repE0EEENS1_38merge_mergepath_config_static_selectorELNS0_4arch9wavefront6targetE1EEEvSK_,"axG",@progbits,_ZN7rocprim17ROCPRIM_400000_NS6detail17trampoline_kernelINS0_14default_configENS1_38merge_sort_block_merge_config_selectorIiNS0_10empty_typeEEEZZNS1_27merge_sort_block_merge_implIS3_N6thrust23THRUST_200600_302600_NS6detail15normal_iteratorINS9_10device_ptrIiEEEEPS5_m14custom_greaterIiEEE10hipError_tT0_T1_T2_jT3_P12ihipStream_tbPNSt15iterator_traitsISJ_E10value_typeEPNSP_ISK_E10value_typeEPSL_NS1_7vsmem_tEENKUlT_SJ_SK_SL_E_clIPiSE_SF_SF_EESI_SY_SJ_SK_SL_EUlSY_E0_NS1_11comp_targetILNS1_3genE3ELNS1_11target_archE908ELNS1_3gpuE7ELNS1_3repE0EEENS1_38merge_mergepath_config_static_selectorELNS0_4arch9wavefront6targetE1EEEvSK_,comdat
	.protected	_ZN7rocprim17ROCPRIM_400000_NS6detail17trampoline_kernelINS0_14default_configENS1_38merge_sort_block_merge_config_selectorIiNS0_10empty_typeEEEZZNS1_27merge_sort_block_merge_implIS3_N6thrust23THRUST_200600_302600_NS6detail15normal_iteratorINS9_10device_ptrIiEEEEPS5_m14custom_greaterIiEEE10hipError_tT0_T1_T2_jT3_P12ihipStream_tbPNSt15iterator_traitsISJ_E10value_typeEPNSP_ISK_E10value_typeEPSL_NS1_7vsmem_tEENKUlT_SJ_SK_SL_E_clIPiSE_SF_SF_EESI_SY_SJ_SK_SL_EUlSY_E0_NS1_11comp_targetILNS1_3genE3ELNS1_11target_archE908ELNS1_3gpuE7ELNS1_3repE0EEENS1_38merge_mergepath_config_static_selectorELNS0_4arch9wavefront6targetE1EEEvSK_ ; -- Begin function _ZN7rocprim17ROCPRIM_400000_NS6detail17trampoline_kernelINS0_14default_configENS1_38merge_sort_block_merge_config_selectorIiNS0_10empty_typeEEEZZNS1_27merge_sort_block_merge_implIS3_N6thrust23THRUST_200600_302600_NS6detail15normal_iteratorINS9_10device_ptrIiEEEEPS5_m14custom_greaterIiEEE10hipError_tT0_T1_T2_jT3_P12ihipStream_tbPNSt15iterator_traitsISJ_E10value_typeEPNSP_ISK_E10value_typeEPSL_NS1_7vsmem_tEENKUlT_SJ_SK_SL_E_clIPiSE_SF_SF_EESI_SY_SJ_SK_SL_EUlSY_E0_NS1_11comp_targetILNS1_3genE3ELNS1_11target_archE908ELNS1_3gpuE7ELNS1_3repE0EEENS1_38merge_mergepath_config_static_selectorELNS0_4arch9wavefront6targetE1EEEvSK_
	.globl	_ZN7rocprim17ROCPRIM_400000_NS6detail17trampoline_kernelINS0_14default_configENS1_38merge_sort_block_merge_config_selectorIiNS0_10empty_typeEEEZZNS1_27merge_sort_block_merge_implIS3_N6thrust23THRUST_200600_302600_NS6detail15normal_iteratorINS9_10device_ptrIiEEEEPS5_m14custom_greaterIiEEE10hipError_tT0_T1_T2_jT3_P12ihipStream_tbPNSt15iterator_traitsISJ_E10value_typeEPNSP_ISK_E10value_typeEPSL_NS1_7vsmem_tEENKUlT_SJ_SK_SL_E_clIPiSE_SF_SF_EESI_SY_SJ_SK_SL_EUlSY_E0_NS1_11comp_targetILNS1_3genE3ELNS1_11target_archE908ELNS1_3gpuE7ELNS1_3repE0EEENS1_38merge_mergepath_config_static_selectorELNS0_4arch9wavefront6targetE1EEEvSK_
	.p2align	8
	.type	_ZN7rocprim17ROCPRIM_400000_NS6detail17trampoline_kernelINS0_14default_configENS1_38merge_sort_block_merge_config_selectorIiNS0_10empty_typeEEEZZNS1_27merge_sort_block_merge_implIS3_N6thrust23THRUST_200600_302600_NS6detail15normal_iteratorINS9_10device_ptrIiEEEEPS5_m14custom_greaterIiEEE10hipError_tT0_T1_T2_jT3_P12ihipStream_tbPNSt15iterator_traitsISJ_E10value_typeEPNSP_ISK_E10value_typeEPSL_NS1_7vsmem_tEENKUlT_SJ_SK_SL_E_clIPiSE_SF_SF_EESI_SY_SJ_SK_SL_EUlSY_E0_NS1_11comp_targetILNS1_3genE3ELNS1_11target_archE908ELNS1_3gpuE7ELNS1_3repE0EEENS1_38merge_mergepath_config_static_selectorELNS0_4arch9wavefront6targetE1EEEvSK_,@function
_ZN7rocprim17ROCPRIM_400000_NS6detail17trampoline_kernelINS0_14default_configENS1_38merge_sort_block_merge_config_selectorIiNS0_10empty_typeEEEZZNS1_27merge_sort_block_merge_implIS3_N6thrust23THRUST_200600_302600_NS6detail15normal_iteratorINS9_10device_ptrIiEEEEPS5_m14custom_greaterIiEEE10hipError_tT0_T1_T2_jT3_P12ihipStream_tbPNSt15iterator_traitsISJ_E10value_typeEPNSP_ISK_E10value_typeEPSL_NS1_7vsmem_tEENKUlT_SJ_SK_SL_E_clIPiSE_SF_SF_EESI_SY_SJ_SK_SL_EUlSY_E0_NS1_11comp_targetILNS1_3genE3ELNS1_11target_archE908ELNS1_3gpuE7ELNS1_3repE0EEENS1_38merge_mergepath_config_static_selectorELNS0_4arch9wavefront6targetE1EEEvSK_: ; @_ZN7rocprim17ROCPRIM_400000_NS6detail17trampoline_kernelINS0_14default_configENS1_38merge_sort_block_merge_config_selectorIiNS0_10empty_typeEEEZZNS1_27merge_sort_block_merge_implIS3_N6thrust23THRUST_200600_302600_NS6detail15normal_iteratorINS9_10device_ptrIiEEEEPS5_m14custom_greaterIiEEE10hipError_tT0_T1_T2_jT3_P12ihipStream_tbPNSt15iterator_traitsISJ_E10value_typeEPNSP_ISK_E10value_typeEPSL_NS1_7vsmem_tEENKUlT_SJ_SK_SL_E_clIPiSE_SF_SF_EESI_SY_SJ_SK_SL_EUlSY_E0_NS1_11comp_targetILNS1_3genE3ELNS1_11target_archE908ELNS1_3gpuE7ELNS1_3repE0EEENS1_38merge_mergepath_config_static_selectorELNS0_4arch9wavefront6targetE1EEEvSK_
; %bb.0:
	.section	.rodata,"a",@progbits
	.p2align	6, 0x0
	.amdhsa_kernel _ZN7rocprim17ROCPRIM_400000_NS6detail17trampoline_kernelINS0_14default_configENS1_38merge_sort_block_merge_config_selectorIiNS0_10empty_typeEEEZZNS1_27merge_sort_block_merge_implIS3_N6thrust23THRUST_200600_302600_NS6detail15normal_iteratorINS9_10device_ptrIiEEEEPS5_m14custom_greaterIiEEE10hipError_tT0_T1_T2_jT3_P12ihipStream_tbPNSt15iterator_traitsISJ_E10value_typeEPNSP_ISK_E10value_typeEPSL_NS1_7vsmem_tEENKUlT_SJ_SK_SL_E_clIPiSE_SF_SF_EESI_SY_SJ_SK_SL_EUlSY_E0_NS1_11comp_targetILNS1_3genE3ELNS1_11target_archE908ELNS1_3gpuE7ELNS1_3repE0EEENS1_38merge_mergepath_config_static_selectorELNS0_4arch9wavefront6targetE1EEEvSK_
		.amdhsa_group_segment_fixed_size 0
		.amdhsa_private_segment_fixed_size 0
		.amdhsa_kernarg_size 72
		.amdhsa_user_sgpr_count 6
		.amdhsa_user_sgpr_private_segment_buffer 1
		.amdhsa_user_sgpr_dispatch_ptr 0
		.amdhsa_user_sgpr_queue_ptr 0
		.amdhsa_user_sgpr_kernarg_segment_ptr 1
		.amdhsa_user_sgpr_dispatch_id 0
		.amdhsa_user_sgpr_flat_scratch_init 0
		.amdhsa_user_sgpr_kernarg_preload_length 0
		.amdhsa_user_sgpr_kernarg_preload_offset 0
		.amdhsa_user_sgpr_private_segment_size 0
		.amdhsa_uses_dynamic_stack 0
		.amdhsa_system_sgpr_private_segment_wavefront_offset 0
		.amdhsa_system_sgpr_workgroup_id_x 1
		.amdhsa_system_sgpr_workgroup_id_y 0
		.amdhsa_system_sgpr_workgroup_id_z 0
		.amdhsa_system_sgpr_workgroup_info 0
		.amdhsa_system_vgpr_workitem_id 0
		.amdhsa_next_free_vgpr 1
		.amdhsa_next_free_sgpr 0
		.amdhsa_accum_offset 4
		.amdhsa_reserve_vcc 0
		.amdhsa_reserve_flat_scratch 0
		.amdhsa_float_round_mode_32 0
		.amdhsa_float_round_mode_16_64 0
		.amdhsa_float_denorm_mode_32 3
		.amdhsa_float_denorm_mode_16_64 3
		.amdhsa_dx10_clamp 1
		.amdhsa_ieee_mode 1
		.amdhsa_fp16_overflow 0
		.amdhsa_tg_split 0
		.amdhsa_exception_fp_ieee_invalid_op 0
		.amdhsa_exception_fp_denorm_src 0
		.amdhsa_exception_fp_ieee_div_zero 0
		.amdhsa_exception_fp_ieee_overflow 0
		.amdhsa_exception_fp_ieee_underflow 0
		.amdhsa_exception_fp_ieee_inexact 0
		.amdhsa_exception_int_div_zero 0
	.end_amdhsa_kernel
	.section	.text._ZN7rocprim17ROCPRIM_400000_NS6detail17trampoline_kernelINS0_14default_configENS1_38merge_sort_block_merge_config_selectorIiNS0_10empty_typeEEEZZNS1_27merge_sort_block_merge_implIS3_N6thrust23THRUST_200600_302600_NS6detail15normal_iteratorINS9_10device_ptrIiEEEEPS5_m14custom_greaterIiEEE10hipError_tT0_T1_T2_jT3_P12ihipStream_tbPNSt15iterator_traitsISJ_E10value_typeEPNSP_ISK_E10value_typeEPSL_NS1_7vsmem_tEENKUlT_SJ_SK_SL_E_clIPiSE_SF_SF_EESI_SY_SJ_SK_SL_EUlSY_E0_NS1_11comp_targetILNS1_3genE3ELNS1_11target_archE908ELNS1_3gpuE7ELNS1_3repE0EEENS1_38merge_mergepath_config_static_selectorELNS0_4arch9wavefront6targetE1EEEvSK_,"axG",@progbits,_ZN7rocprim17ROCPRIM_400000_NS6detail17trampoline_kernelINS0_14default_configENS1_38merge_sort_block_merge_config_selectorIiNS0_10empty_typeEEEZZNS1_27merge_sort_block_merge_implIS3_N6thrust23THRUST_200600_302600_NS6detail15normal_iteratorINS9_10device_ptrIiEEEEPS5_m14custom_greaterIiEEE10hipError_tT0_T1_T2_jT3_P12ihipStream_tbPNSt15iterator_traitsISJ_E10value_typeEPNSP_ISK_E10value_typeEPSL_NS1_7vsmem_tEENKUlT_SJ_SK_SL_E_clIPiSE_SF_SF_EESI_SY_SJ_SK_SL_EUlSY_E0_NS1_11comp_targetILNS1_3genE3ELNS1_11target_archE908ELNS1_3gpuE7ELNS1_3repE0EEENS1_38merge_mergepath_config_static_selectorELNS0_4arch9wavefront6targetE1EEEvSK_,comdat
.Lfunc_end3100:
	.size	_ZN7rocprim17ROCPRIM_400000_NS6detail17trampoline_kernelINS0_14default_configENS1_38merge_sort_block_merge_config_selectorIiNS0_10empty_typeEEEZZNS1_27merge_sort_block_merge_implIS3_N6thrust23THRUST_200600_302600_NS6detail15normal_iteratorINS9_10device_ptrIiEEEEPS5_m14custom_greaterIiEEE10hipError_tT0_T1_T2_jT3_P12ihipStream_tbPNSt15iterator_traitsISJ_E10value_typeEPNSP_ISK_E10value_typeEPSL_NS1_7vsmem_tEENKUlT_SJ_SK_SL_E_clIPiSE_SF_SF_EESI_SY_SJ_SK_SL_EUlSY_E0_NS1_11comp_targetILNS1_3genE3ELNS1_11target_archE908ELNS1_3gpuE7ELNS1_3repE0EEENS1_38merge_mergepath_config_static_selectorELNS0_4arch9wavefront6targetE1EEEvSK_, .Lfunc_end3100-_ZN7rocprim17ROCPRIM_400000_NS6detail17trampoline_kernelINS0_14default_configENS1_38merge_sort_block_merge_config_selectorIiNS0_10empty_typeEEEZZNS1_27merge_sort_block_merge_implIS3_N6thrust23THRUST_200600_302600_NS6detail15normal_iteratorINS9_10device_ptrIiEEEEPS5_m14custom_greaterIiEEE10hipError_tT0_T1_T2_jT3_P12ihipStream_tbPNSt15iterator_traitsISJ_E10value_typeEPNSP_ISK_E10value_typeEPSL_NS1_7vsmem_tEENKUlT_SJ_SK_SL_E_clIPiSE_SF_SF_EESI_SY_SJ_SK_SL_EUlSY_E0_NS1_11comp_targetILNS1_3genE3ELNS1_11target_archE908ELNS1_3gpuE7ELNS1_3repE0EEENS1_38merge_mergepath_config_static_selectorELNS0_4arch9wavefront6targetE1EEEvSK_
                                        ; -- End function
	.section	.AMDGPU.csdata,"",@progbits
; Kernel info:
; codeLenInByte = 0
; NumSgprs: 4
; NumVgprs: 0
; NumAgprs: 0
; TotalNumVgprs: 0
; ScratchSize: 0
; MemoryBound: 0
; FloatMode: 240
; IeeeMode: 1
; LDSByteSize: 0 bytes/workgroup (compile time only)
; SGPRBlocks: 0
; VGPRBlocks: 0
; NumSGPRsForWavesPerEU: 4
; NumVGPRsForWavesPerEU: 1
; AccumOffset: 4
; Occupancy: 8
; WaveLimiterHint : 0
; COMPUTE_PGM_RSRC2:SCRATCH_EN: 0
; COMPUTE_PGM_RSRC2:USER_SGPR: 6
; COMPUTE_PGM_RSRC2:TRAP_HANDLER: 0
; COMPUTE_PGM_RSRC2:TGID_X_EN: 1
; COMPUTE_PGM_RSRC2:TGID_Y_EN: 0
; COMPUTE_PGM_RSRC2:TGID_Z_EN: 0
; COMPUTE_PGM_RSRC2:TIDIG_COMP_CNT: 0
; COMPUTE_PGM_RSRC3_GFX90A:ACCUM_OFFSET: 0
; COMPUTE_PGM_RSRC3_GFX90A:TG_SPLIT: 0
	.section	.text._ZN7rocprim17ROCPRIM_400000_NS6detail17trampoline_kernelINS0_14default_configENS1_38merge_sort_block_merge_config_selectorIiNS0_10empty_typeEEEZZNS1_27merge_sort_block_merge_implIS3_N6thrust23THRUST_200600_302600_NS6detail15normal_iteratorINS9_10device_ptrIiEEEEPS5_m14custom_greaterIiEEE10hipError_tT0_T1_T2_jT3_P12ihipStream_tbPNSt15iterator_traitsISJ_E10value_typeEPNSP_ISK_E10value_typeEPSL_NS1_7vsmem_tEENKUlT_SJ_SK_SL_E_clIPiSE_SF_SF_EESI_SY_SJ_SK_SL_EUlSY_E0_NS1_11comp_targetILNS1_3genE2ELNS1_11target_archE906ELNS1_3gpuE6ELNS1_3repE0EEENS1_38merge_mergepath_config_static_selectorELNS0_4arch9wavefront6targetE1EEEvSK_,"axG",@progbits,_ZN7rocprim17ROCPRIM_400000_NS6detail17trampoline_kernelINS0_14default_configENS1_38merge_sort_block_merge_config_selectorIiNS0_10empty_typeEEEZZNS1_27merge_sort_block_merge_implIS3_N6thrust23THRUST_200600_302600_NS6detail15normal_iteratorINS9_10device_ptrIiEEEEPS5_m14custom_greaterIiEEE10hipError_tT0_T1_T2_jT3_P12ihipStream_tbPNSt15iterator_traitsISJ_E10value_typeEPNSP_ISK_E10value_typeEPSL_NS1_7vsmem_tEENKUlT_SJ_SK_SL_E_clIPiSE_SF_SF_EESI_SY_SJ_SK_SL_EUlSY_E0_NS1_11comp_targetILNS1_3genE2ELNS1_11target_archE906ELNS1_3gpuE6ELNS1_3repE0EEENS1_38merge_mergepath_config_static_selectorELNS0_4arch9wavefront6targetE1EEEvSK_,comdat
	.protected	_ZN7rocprim17ROCPRIM_400000_NS6detail17trampoline_kernelINS0_14default_configENS1_38merge_sort_block_merge_config_selectorIiNS0_10empty_typeEEEZZNS1_27merge_sort_block_merge_implIS3_N6thrust23THRUST_200600_302600_NS6detail15normal_iteratorINS9_10device_ptrIiEEEEPS5_m14custom_greaterIiEEE10hipError_tT0_T1_T2_jT3_P12ihipStream_tbPNSt15iterator_traitsISJ_E10value_typeEPNSP_ISK_E10value_typeEPSL_NS1_7vsmem_tEENKUlT_SJ_SK_SL_E_clIPiSE_SF_SF_EESI_SY_SJ_SK_SL_EUlSY_E0_NS1_11comp_targetILNS1_3genE2ELNS1_11target_archE906ELNS1_3gpuE6ELNS1_3repE0EEENS1_38merge_mergepath_config_static_selectorELNS0_4arch9wavefront6targetE1EEEvSK_ ; -- Begin function _ZN7rocprim17ROCPRIM_400000_NS6detail17trampoline_kernelINS0_14default_configENS1_38merge_sort_block_merge_config_selectorIiNS0_10empty_typeEEEZZNS1_27merge_sort_block_merge_implIS3_N6thrust23THRUST_200600_302600_NS6detail15normal_iteratorINS9_10device_ptrIiEEEEPS5_m14custom_greaterIiEEE10hipError_tT0_T1_T2_jT3_P12ihipStream_tbPNSt15iterator_traitsISJ_E10value_typeEPNSP_ISK_E10value_typeEPSL_NS1_7vsmem_tEENKUlT_SJ_SK_SL_E_clIPiSE_SF_SF_EESI_SY_SJ_SK_SL_EUlSY_E0_NS1_11comp_targetILNS1_3genE2ELNS1_11target_archE906ELNS1_3gpuE6ELNS1_3repE0EEENS1_38merge_mergepath_config_static_selectorELNS0_4arch9wavefront6targetE1EEEvSK_
	.globl	_ZN7rocprim17ROCPRIM_400000_NS6detail17trampoline_kernelINS0_14default_configENS1_38merge_sort_block_merge_config_selectorIiNS0_10empty_typeEEEZZNS1_27merge_sort_block_merge_implIS3_N6thrust23THRUST_200600_302600_NS6detail15normal_iteratorINS9_10device_ptrIiEEEEPS5_m14custom_greaterIiEEE10hipError_tT0_T1_T2_jT3_P12ihipStream_tbPNSt15iterator_traitsISJ_E10value_typeEPNSP_ISK_E10value_typeEPSL_NS1_7vsmem_tEENKUlT_SJ_SK_SL_E_clIPiSE_SF_SF_EESI_SY_SJ_SK_SL_EUlSY_E0_NS1_11comp_targetILNS1_3genE2ELNS1_11target_archE906ELNS1_3gpuE6ELNS1_3repE0EEENS1_38merge_mergepath_config_static_selectorELNS0_4arch9wavefront6targetE1EEEvSK_
	.p2align	8
	.type	_ZN7rocprim17ROCPRIM_400000_NS6detail17trampoline_kernelINS0_14default_configENS1_38merge_sort_block_merge_config_selectorIiNS0_10empty_typeEEEZZNS1_27merge_sort_block_merge_implIS3_N6thrust23THRUST_200600_302600_NS6detail15normal_iteratorINS9_10device_ptrIiEEEEPS5_m14custom_greaterIiEEE10hipError_tT0_T1_T2_jT3_P12ihipStream_tbPNSt15iterator_traitsISJ_E10value_typeEPNSP_ISK_E10value_typeEPSL_NS1_7vsmem_tEENKUlT_SJ_SK_SL_E_clIPiSE_SF_SF_EESI_SY_SJ_SK_SL_EUlSY_E0_NS1_11comp_targetILNS1_3genE2ELNS1_11target_archE906ELNS1_3gpuE6ELNS1_3repE0EEENS1_38merge_mergepath_config_static_selectorELNS0_4arch9wavefront6targetE1EEEvSK_,@function
_ZN7rocprim17ROCPRIM_400000_NS6detail17trampoline_kernelINS0_14default_configENS1_38merge_sort_block_merge_config_selectorIiNS0_10empty_typeEEEZZNS1_27merge_sort_block_merge_implIS3_N6thrust23THRUST_200600_302600_NS6detail15normal_iteratorINS9_10device_ptrIiEEEEPS5_m14custom_greaterIiEEE10hipError_tT0_T1_T2_jT3_P12ihipStream_tbPNSt15iterator_traitsISJ_E10value_typeEPNSP_ISK_E10value_typeEPSL_NS1_7vsmem_tEENKUlT_SJ_SK_SL_E_clIPiSE_SF_SF_EESI_SY_SJ_SK_SL_EUlSY_E0_NS1_11comp_targetILNS1_3genE2ELNS1_11target_archE906ELNS1_3gpuE6ELNS1_3repE0EEENS1_38merge_mergepath_config_static_selectorELNS0_4arch9wavefront6targetE1EEEvSK_: ; @_ZN7rocprim17ROCPRIM_400000_NS6detail17trampoline_kernelINS0_14default_configENS1_38merge_sort_block_merge_config_selectorIiNS0_10empty_typeEEEZZNS1_27merge_sort_block_merge_implIS3_N6thrust23THRUST_200600_302600_NS6detail15normal_iteratorINS9_10device_ptrIiEEEEPS5_m14custom_greaterIiEEE10hipError_tT0_T1_T2_jT3_P12ihipStream_tbPNSt15iterator_traitsISJ_E10value_typeEPNSP_ISK_E10value_typeEPSL_NS1_7vsmem_tEENKUlT_SJ_SK_SL_E_clIPiSE_SF_SF_EESI_SY_SJ_SK_SL_EUlSY_E0_NS1_11comp_targetILNS1_3genE2ELNS1_11target_archE906ELNS1_3gpuE6ELNS1_3repE0EEENS1_38merge_mergepath_config_static_selectorELNS0_4arch9wavefront6targetE1EEEvSK_
; %bb.0:
	.section	.rodata,"a",@progbits
	.p2align	6, 0x0
	.amdhsa_kernel _ZN7rocprim17ROCPRIM_400000_NS6detail17trampoline_kernelINS0_14default_configENS1_38merge_sort_block_merge_config_selectorIiNS0_10empty_typeEEEZZNS1_27merge_sort_block_merge_implIS3_N6thrust23THRUST_200600_302600_NS6detail15normal_iteratorINS9_10device_ptrIiEEEEPS5_m14custom_greaterIiEEE10hipError_tT0_T1_T2_jT3_P12ihipStream_tbPNSt15iterator_traitsISJ_E10value_typeEPNSP_ISK_E10value_typeEPSL_NS1_7vsmem_tEENKUlT_SJ_SK_SL_E_clIPiSE_SF_SF_EESI_SY_SJ_SK_SL_EUlSY_E0_NS1_11comp_targetILNS1_3genE2ELNS1_11target_archE906ELNS1_3gpuE6ELNS1_3repE0EEENS1_38merge_mergepath_config_static_selectorELNS0_4arch9wavefront6targetE1EEEvSK_
		.amdhsa_group_segment_fixed_size 0
		.amdhsa_private_segment_fixed_size 0
		.amdhsa_kernarg_size 72
		.amdhsa_user_sgpr_count 6
		.amdhsa_user_sgpr_private_segment_buffer 1
		.amdhsa_user_sgpr_dispatch_ptr 0
		.amdhsa_user_sgpr_queue_ptr 0
		.amdhsa_user_sgpr_kernarg_segment_ptr 1
		.amdhsa_user_sgpr_dispatch_id 0
		.amdhsa_user_sgpr_flat_scratch_init 0
		.amdhsa_user_sgpr_kernarg_preload_length 0
		.amdhsa_user_sgpr_kernarg_preload_offset 0
		.amdhsa_user_sgpr_private_segment_size 0
		.amdhsa_uses_dynamic_stack 0
		.amdhsa_system_sgpr_private_segment_wavefront_offset 0
		.amdhsa_system_sgpr_workgroup_id_x 1
		.amdhsa_system_sgpr_workgroup_id_y 0
		.amdhsa_system_sgpr_workgroup_id_z 0
		.amdhsa_system_sgpr_workgroup_info 0
		.amdhsa_system_vgpr_workitem_id 0
		.amdhsa_next_free_vgpr 1
		.amdhsa_next_free_sgpr 0
		.amdhsa_accum_offset 4
		.amdhsa_reserve_vcc 0
		.amdhsa_reserve_flat_scratch 0
		.amdhsa_float_round_mode_32 0
		.amdhsa_float_round_mode_16_64 0
		.amdhsa_float_denorm_mode_32 3
		.amdhsa_float_denorm_mode_16_64 3
		.amdhsa_dx10_clamp 1
		.amdhsa_ieee_mode 1
		.amdhsa_fp16_overflow 0
		.amdhsa_tg_split 0
		.amdhsa_exception_fp_ieee_invalid_op 0
		.amdhsa_exception_fp_denorm_src 0
		.amdhsa_exception_fp_ieee_div_zero 0
		.amdhsa_exception_fp_ieee_overflow 0
		.amdhsa_exception_fp_ieee_underflow 0
		.amdhsa_exception_fp_ieee_inexact 0
		.amdhsa_exception_int_div_zero 0
	.end_amdhsa_kernel
	.section	.text._ZN7rocprim17ROCPRIM_400000_NS6detail17trampoline_kernelINS0_14default_configENS1_38merge_sort_block_merge_config_selectorIiNS0_10empty_typeEEEZZNS1_27merge_sort_block_merge_implIS3_N6thrust23THRUST_200600_302600_NS6detail15normal_iteratorINS9_10device_ptrIiEEEEPS5_m14custom_greaterIiEEE10hipError_tT0_T1_T2_jT3_P12ihipStream_tbPNSt15iterator_traitsISJ_E10value_typeEPNSP_ISK_E10value_typeEPSL_NS1_7vsmem_tEENKUlT_SJ_SK_SL_E_clIPiSE_SF_SF_EESI_SY_SJ_SK_SL_EUlSY_E0_NS1_11comp_targetILNS1_3genE2ELNS1_11target_archE906ELNS1_3gpuE6ELNS1_3repE0EEENS1_38merge_mergepath_config_static_selectorELNS0_4arch9wavefront6targetE1EEEvSK_,"axG",@progbits,_ZN7rocprim17ROCPRIM_400000_NS6detail17trampoline_kernelINS0_14default_configENS1_38merge_sort_block_merge_config_selectorIiNS0_10empty_typeEEEZZNS1_27merge_sort_block_merge_implIS3_N6thrust23THRUST_200600_302600_NS6detail15normal_iteratorINS9_10device_ptrIiEEEEPS5_m14custom_greaterIiEEE10hipError_tT0_T1_T2_jT3_P12ihipStream_tbPNSt15iterator_traitsISJ_E10value_typeEPNSP_ISK_E10value_typeEPSL_NS1_7vsmem_tEENKUlT_SJ_SK_SL_E_clIPiSE_SF_SF_EESI_SY_SJ_SK_SL_EUlSY_E0_NS1_11comp_targetILNS1_3genE2ELNS1_11target_archE906ELNS1_3gpuE6ELNS1_3repE0EEENS1_38merge_mergepath_config_static_selectorELNS0_4arch9wavefront6targetE1EEEvSK_,comdat
.Lfunc_end3101:
	.size	_ZN7rocprim17ROCPRIM_400000_NS6detail17trampoline_kernelINS0_14default_configENS1_38merge_sort_block_merge_config_selectorIiNS0_10empty_typeEEEZZNS1_27merge_sort_block_merge_implIS3_N6thrust23THRUST_200600_302600_NS6detail15normal_iteratorINS9_10device_ptrIiEEEEPS5_m14custom_greaterIiEEE10hipError_tT0_T1_T2_jT3_P12ihipStream_tbPNSt15iterator_traitsISJ_E10value_typeEPNSP_ISK_E10value_typeEPSL_NS1_7vsmem_tEENKUlT_SJ_SK_SL_E_clIPiSE_SF_SF_EESI_SY_SJ_SK_SL_EUlSY_E0_NS1_11comp_targetILNS1_3genE2ELNS1_11target_archE906ELNS1_3gpuE6ELNS1_3repE0EEENS1_38merge_mergepath_config_static_selectorELNS0_4arch9wavefront6targetE1EEEvSK_, .Lfunc_end3101-_ZN7rocprim17ROCPRIM_400000_NS6detail17trampoline_kernelINS0_14default_configENS1_38merge_sort_block_merge_config_selectorIiNS0_10empty_typeEEEZZNS1_27merge_sort_block_merge_implIS3_N6thrust23THRUST_200600_302600_NS6detail15normal_iteratorINS9_10device_ptrIiEEEEPS5_m14custom_greaterIiEEE10hipError_tT0_T1_T2_jT3_P12ihipStream_tbPNSt15iterator_traitsISJ_E10value_typeEPNSP_ISK_E10value_typeEPSL_NS1_7vsmem_tEENKUlT_SJ_SK_SL_E_clIPiSE_SF_SF_EESI_SY_SJ_SK_SL_EUlSY_E0_NS1_11comp_targetILNS1_3genE2ELNS1_11target_archE906ELNS1_3gpuE6ELNS1_3repE0EEENS1_38merge_mergepath_config_static_selectorELNS0_4arch9wavefront6targetE1EEEvSK_
                                        ; -- End function
	.section	.AMDGPU.csdata,"",@progbits
; Kernel info:
; codeLenInByte = 0
; NumSgprs: 4
; NumVgprs: 0
; NumAgprs: 0
; TotalNumVgprs: 0
; ScratchSize: 0
; MemoryBound: 0
; FloatMode: 240
; IeeeMode: 1
; LDSByteSize: 0 bytes/workgroup (compile time only)
; SGPRBlocks: 0
; VGPRBlocks: 0
; NumSGPRsForWavesPerEU: 4
; NumVGPRsForWavesPerEU: 1
; AccumOffset: 4
; Occupancy: 8
; WaveLimiterHint : 0
; COMPUTE_PGM_RSRC2:SCRATCH_EN: 0
; COMPUTE_PGM_RSRC2:USER_SGPR: 6
; COMPUTE_PGM_RSRC2:TRAP_HANDLER: 0
; COMPUTE_PGM_RSRC2:TGID_X_EN: 1
; COMPUTE_PGM_RSRC2:TGID_Y_EN: 0
; COMPUTE_PGM_RSRC2:TGID_Z_EN: 0
; COMPUTE_PGM_RSRC2:TIDIG_COMP_CNT: 0
; COMPUTE_PGM_RSRC3_GFX90A:ACCUM_OFFSET: 0
; COMPUTE_PGM_RSRC3_GFX90A:TG_SPLIT: 0
	.section	.text._ZN7rocprim17ROCPRIM_400000_NS6detail17trampoline_kernelINS0_14default_configENS1_38merge_sort_block_merge_config_selectorIiNS0_10empty_typeEEEZZNS1_27merge_sort_block_merge_implIS3_N6thrust23THRUST_200600_302600_NS6detail15normal_iteratorINS9_10device_ptrIiEEEEPS5_m14custom_greaterIiEEE10hipError_tT0_T1_T2_jT3_P12ihipStream_tbPNSt15iterator_traitsISJ_E10value_typeEPNSP_ISK_E10value_typeEPSL_NS1_7vsmem_tEENKUlT_SJ_SK_SL_E_clIPiSE_SF_SF_EESI_SY_SJ_SK_SL_EUlSY_E0_NS1_11comp_targetILNS1_3genE9ELNS1_11target_archE1100ELNS1_3gpuE3ELNS1_3repE0EEENS1_38merge_mergepath_config_static_selectorELNS0_4arch9wavefront6targetE1EEEvSK_,"axG",@progbits,_ZN7rocprim17ROCPRIM_400000_NS6detail17trampoline_kernelINS0_14default_configENS1_38merge_sort_block_merge_config_selectorIiNS0_10empty_typeEEEZZNS1_27merge_sort_block_merge_implIS3_N6thrust23THRUST_200600_302600_NS6detail15normal_iteratorINS9_10device_ptrIiEEEEPS5_m14custom_greaterIiEEE10hipError_tT0_T1_T2_jT3_P12ihipStream_tbPNSt15iterator_traitsISJ_E10value_typeEPNSP_ISK_E10value_typeEPSL_NS1_7vsmem_tEENKUlT_SJ_SK_SL_E_clIPiSE_SF_SF_EESI_SY_SJ_SK_SL_EUlSY_E0_NS1_11comp_targetILNS1_3genE9ELNS1_11target_archE1100ELNS1_3gpuE3ELNS1_3repE0EEENS1_38merge_mergepath_config_static_selectorELNS0_4arch9wavefront6targetE1EEEvSK_,comdat
	.protected	_ZN7rocprim17ROCPRIM_400000_NS6detail17trampoline_kernelINS0_14default_configENS1_38merge_sort_block_merge_config_selectorIiNS0_10empty_typeEEEZZNS1_27merge_sort_block_merge_implIS3_N6thrust23THRUST_200600_302600_NS6detail15normal_iteratorINS9_10device_ptrIiEEEEPS5_m14custom_greaterIiEEE10hipError_tT0_T1_T2_jT3_P12ihipStream_tbPNSt15iterator_traitsISJ_E10value_typeEPNSP_ISK_E10value_typeEPSL_NS1_7vsmem_tEENKUlT_SJ_SK_SL_E_clIPiSE_SF_SF_EESI_SY_SJ_SK_SL_EUlSY_E0_NS1_11comp_targetILNS1_3genE9ELNS1_11target_archE1100ELNS1_3gpuE3ELNS1_3repE0EEENS1_38merge_mergepath_config_static_selectorELNS0_4arch9wavefront6targetE1EEEvSK_ ; -- Begin function _ZN7rocprim17ROCPRIM_400000_NS6detail17trampoline_kernelINS0_14default_configENS1_38merge_sort_block_merge_config_selectorIiNS0_10empty_typeEEEZZNS1_27merge_sort_block_merge_implIS3_N6thrust23THRUST_200600_302600_NS6detail15normal_iteratorINS9_10device_ptrIiEEEEPS5_m14custom_greaterIiEEE10hipError_tT0_T1_T2_jT3_P12ihipStream_tbPNSt15iterator_traitsISJ_E10value_typeEPNSP_ISK_E10value_typeEPSL_NS1_7vsmem_tEENKUlT_SJ_SK_SL_E_clIPiSE_SF_SF_EESI_SY_SJ_SK_SL_EUlSY_E0_NS1_11comp_targetILNS1_3genE9ELNS1_11target_archE1100ELNS1_3gpuE3ELNS1_3repE0EEENS1_38merge_mergepath_config_static_selectorELNS0_4arch9wavefront6targetE1EEEvSK_
	.globl	_ZN7rocprim17ROCPRIM_400000_NS6detail17trampoline_kernelINS0_14default_configENS1_38merge_sort_block_merge_config_selectorIiNS0_10empty_typeEEEZZNS1_27merge_sort_block_merge_implIS3_N6thrust23THRUST_200600_302600_NS6detail15normal_iteratorINS9_10device_ptrIiEEEEPS5_m14custom_greaterIiEEE10hipError_tT0_T1_T2_jT3_P12ihipStream_tbPNSt15iterator_traitsISJ_E10value_typeEPNSP_ISK_E10value_typeEPSL_NS1_7vsmem_tEENKUlT_SJ_SK_SL_E_clIPiSE_SF_SF_EESI_SY_SJ_SK_SL_EUlSY_E0_NS1_11comp_targetILNS1_3genE9ELNS1_11target_archE1100ELNS1_3gpuE3ELNS1_3repE0EEENS1_38merge_mergepath_config_static_selectorELNS0_4arch9wavefront6targetE1EEEvSK_
	.p2align	8
	.type	_ZN7rocprim17ROCPRIM_400000_NS6detail17trampoline_kernelINS0_14default_configENS1_38merge_sort_block_merge_config_selectorIiNS0_10empty_typeEEEZZNS1_27merge_sort_block_merge_implIS3_N6thrust23THRUST_200600_302600_NS6detail15normal_iteratorINS9_10device_ptrIiEEEEPS5_m14custom_greaterIiEEE10hipError_tT0_T1_T2_jT3_P12ihipStream_tbPNSt15iterator_traitsISJ_E10value_typeEPNSP_ISK_E10value_typeEPSL_NS1_7vsmem_tEENKUlT_SJ_SK_SL_E_clIPiSE_SF_SF_EESI_SY_SJ_SK_SL_EUlSY_E0_NS1_11comp_targetILNS1_3genE9ELNS1_11target_archE1100ELNS1_3gpuE3ELNS1_3repE0EEENS1_38merge_mergepath_config_static_selectorELNS0_4arch9wavefront6targetE1EEEvSK_,@function
_ZN7rocprim17ROCPRIM_400000_NS6detail17trampoline_kernelINS0_14default_configENS1_38merge_sort_block_merge_config_selectorIiNS0_10empty_typeEEEZZNS1_27merge_sort_block_merge_implIS3_N6thrust23THRUST_200600_302600_NS6detail15normal_iteratorINS9_10device_ptrIiEEEEPS5_m14custom_greaterIiEEE10hipError_tT0_T1_T2_jT3_P12ihipStream_tbPNSt15iterator_traitsISJ_E10value_typeEPNSP_ISK_E10value_typeEPSL_NS1_7vsmem_tEENKUlT_SJ_SK_SL_E_clIPiSE_SF_SF_EESI_SY_SJ_SK_SL_EUlSY_E0_NS1_11comp_targetILNS1_3genE9ELNS1_11target_archE1100ELNS1_3gpuE3ELNS1_3repE0EEENS1_38merge_mergepath_config_static_selectorELNS0_4arch9wavefront6targetE1EEEvSK_: ; @_ZN7rocprim17ROCPRIM_400000_NS6detail17trampoline_kernelINS0_14default_configENS1_38merge_sort_block_merge_config_selectorIiNS0_10empty_typeEEEZZNS1_27merge_sort_block_merge_implIS3_N6thrust23THRUST_200600_302600_NS6detail15normal_iteratorINS9_10device_ptrIiEEEEPS5_m14custom_greaterIiEEE10hipError_tT0_T1_T2_jT3_P12ihipStream_tbPNSt15iterator_traitsISJ_E10value_typeEPNSP_ISK_E10value_typeEPSL_NS1_7vsmem_tEENKUlT_SJ_SK_SL_E_clIPiSE_SF_SF_EESI_SY_SJ_SK_SL_EUlSY_E0_NS1_11comp_targetILNS1_3genE9ELNS1_11target_archE1100ELNS1_3gpuE3ELNS1_3repE0EEENS1_38merge_mergepath_config_static_selectorELNS0_4arch9wavefront6targetE1EEEvSK_
; %bb.0:
	.section	.rodata,"a",@progbits
	.p2align	6, 0x0
	.amdhsa_kernel _ZN7rocprim17ROCPRIM_400000_NS6detail17trampoline_kernelINS0_14default_configENS1_38merge_sort_block_merge_config_selectorIiNS0_10empty_typeEEEZZNS1_27merge_sort_block_merge_implIS3_N6thrust23THRUST_200600_302600_NS6detail15normal_iteratorINS9_10device_ptrIiEEEEPS5_m14custom_greaterIiEEE10hipError_tT0_T1_T2_jT3_P12ihipStream_tbPNSt15iterator_traitsISJ_E10value_typeEPNSP_ISK_E10value_typeEPSL_NS1_7vsmem_tEENKUlT_SJ_SK_SL_E_clIPiSE_SF_SF_EESI_SY_SJ_SK_SL_EUlSY_E0_NS1_11comp_targetILNS1_3genE9ELNS1_11target_archE1100ELNS1_3gpuE3ELNS1_3repE0EEENS1_38merge_mergepath_config_static_selectorELNS0_4arch9wavefront6targetE1EEEvSK_
		.amdhsa_group_segment_fixed_size 0
		.amdhsa_private_segment_fixed_size 0
		.amdhsa_kernarg_size 72
		.amdhsa_user_sgpr_count 6
		.amdhsa_user_sgpr_private_segment_buffer 1
		.amdhsa_user_sgpr_dispatch_ptr 0
		.amdhsa_user_sgpr_queue_ptr 0
		.amdhsa_user_sgpr_kernarg_segment_ptr 1
		.amdhsa_user_sgpr_dispatch_id 0
		.amdhsa_user_sgpr_flat_scratch_init 0
		.amdhsa_user_sgpr_kernarg_preload_length 0
		.amdhsa_user_sgpr_kernarg_preload_offset 0
		.amdhsa_user_sgpr_private_segment_size 0
		.amdhsa_uses_dynamic_stack 0
		.amdhsa_system_sgpr_private_segment_wavefront_offset 0
		.amdhsa_system_sgpr_workgroup_id_x 1
		.amdhsa_system_sgpr_workgroup_id_y 0
		.amdhsa_system_sgpr_workgroup_id_z 0
		.amdhsa_system_sgpr_workgroup_info 0
		.amdhsa_system_vgpr_workitem_id 0
		.amdhsa_next_free_vgpr 1
		.amdhsa_next_free_sgpr 0
		.amdhsa_accum_offset 4
		.amdhsa_reserve_vcc 0
		.amdhsa_reserve_flat_scratch 0
		.amdhsa_float_round_mode_32 0
		.amdhsa_float_round_mode_16_64 0
		.amdhsa_float_denorm_mode_32 3
		.amdhsa_float_denorm_mode_16_64 3
		.amdhsa_dx10_clamp 1
		.amdhsa_ieee_mode 1
		.amdhsa_fp16_overflow 0
		.amdhsa_tg_split 0
		.amdhsa_exception_fp_ieee_invalid_op 0
		.amdhsa_exception_fp_denorm_src 0
		.amdhsa_exception_fp_ieee_div_zero 0
		.amdhsa_exception_fp_ieee_overflow 0
		.amdhsa_exception_fp_ieee_underflow 0
		.amdhsa_exception_fp_ieee_inexact 0
		.amdhsa_exception_int_div_zero 0
	.end_amdhsa_kernel
	.section	.text._ZN7rocprim17ROCPRIM_400000_NS6detail17trampoline_kernelINS0_14default_configENS1_38merge_sort_block_merge_config_selectorIiNS0_10empty_typeEEEZZNS1_27merge_sort_block_merge_implIS3_N6thrust23THRUST_200600_302600_NS6detail15normal_iteratorINS9_10device_ptrIiEEEEPS5_m14custom_greaterIiEEE10hipError_tT0_T1_T2_jT3_P12ihipStream_tbPNSt15iterator_traitsISJ_E10value_typeEPNSP_ISK_E10value_typeEPSL_NS1_7vsmem_tEENKUlT_SJ_SK_SL_E_clIPiSE_SF_SF_EESI_SY_SJ_SK_SL_EUlSY_E0_NS1_11comp_targetILNS1_3genE9ELNS1_11target_archE1100ELNS1_3gpuE3ELNS1_3repE0EEENS1_38merge_mergepath_config_static_selectorELNS0_4arch9wavefront6targetE1EEEvSK_,"axG",@progbits,_ZN7rocprim17ROCPRIM_400000_NS6detail17trampoline_kernelINS0_14default_configENS1_38merge_sort_block_merge_config_selectorIiNS0_10empty_typeEEEZZNS1_27merge_sort_block_merge_implIS3_N6thrust23THRUST_200600_302600_NS6detail15normal_iteratorINS9_10device_ptrIiEEEEPS5_m14custom_greaterIiEEE10hipError_tT0_T1_T2_jT3_P12ihipStream_tbPNSt15iterator_traitsISJ_E10value_typeEPNSP_ISK_E10value_typeEPSL_NS1_7vsmem_tEENKUlT_SJ_SK_SL_E_clIPiSE_SF_SF_EESI_SY_SJ_SK_SL_EUlSY_E0_NS1_11comp_targetILNS1_3genE9ELNS1_11target_archE1100ELNS1_3gpuE3ELNS1_3repE0EEENS1_38merge_mergepath_config_static_selectorELNS0_4arch9wavefront6targetE1EEEvSK_,comdat
.Lfunc_end3102:
	.size	_ZN7rocprim17ROCPRIM_400000_NS6detail17trampoline_kernelINS0_14default_configENS1_38merge_sort_block_merge_config_selectorIiNS0_10empty_typeEEEZZNS1_27merge_sort_block_merge_implIS3_N6thrust23THRUST_200600_302600_NS6detail15normal_iteratorINS9_10device_ptrIiEEEEPS5_m14custom_greaterIiEEE10hipError_tT0_T1_T2_jT3_P12ihipStream_tbPNSt15iterator_traitsISJ_E10value_typeEPNSP_ISK_E10value_typeEPSL_NS1_7vsmem_tEENKUlT_SJ_SK_SL_E_clIPiSE_SF_SF_EESI_SY_SJ_SK_SL_EUlSY_E0_NS1_11comp_targetILNS1_3genE9ELNS1_11target_archE1100ELNS1_3gpuE3ELNS1_3repE0EEENS1_38merge_mergepath_config_static_selectorELNS0_4arch9wavefront6targetE1EEEvSK_, .Lfunc_end3102-_ZN7rocprim17ROCPRIM_400000_NS6detail17trampoline_kernelINS0_14default_configENS1_38merge_sort_block_merge_config_selectorIiNS0_10empty_typeEEEZZNS1_27merge_sort_block_merge_implIS3_N6thrust23THRUST_200600_302600_NS6detail15normal_iteratorINS9_10device_ptrIiEEEEPS5_m14custom_greaterIiEEE10hipError_tT0_T1_T2_jT3_P12ihipStream_tbPNSt15iterator_traitsISJ_E10value_typeEPNSP_ISK_E10value_typeEPSL_NS1_7vsmem_tEENKUlT_SJ_SK_SL_E_clIPiSE_SF_SF_EESI_SY_SJ_SK_SL_EUlSY_E0_NS1_11comp_targetILNS1_3genE9ELNS1_11target_archE1100ELNS1_3gpuE3ELNS1_3repE0EEENS1_38merge_mergepath_config_static_selectorELNS0_4arch9wavefront6targetE1EEEvSK_
                                        ; -- End function
	.section	.AMDGPU.csdata,"",@progbits
; Kernel info:
; codeLenInByte = 0
; NumSgprs: 4
; NumVgprs: 0
; NumAgprs: 0
; TotalNumVgprs: 0
; ScratchSize: 0
; MemoryBound: 0
; FloatMode: 240
; IeeeMode: 1
; LDSByteSize: 0 bytes/workgroup (compile time only)
; SGPRBlocks: 0
; VGPRBlocks: 0
; NumSGPRsForWavesPerEU: 4
; NumVGPRsForWavesPerEU: 1
; AccumOffset: 4
; Occupancy: 8
; WaveLimiterHint : 0
; COMPUTE_PGM_RSRC2:SCRATCH_EN: 0
; COMPUTE_PGM_RSRC2:USER_SGPR: 6
; COMPUTE_PGM_RSRC2:TRAP_HANDLER: 0
; COMPUTE_PGM_RSRC2:TGID_X_EN: 1
; COMPUTE_PGM_RSRC2:TGID_Y_EN: 0
; COMPUTE_PGM_RSRC2:TGID_Z_EN: 0
; COMPUTE_PGM_RSRC2:TIDIG_COMP_CNT: 0
; COMPUTE_PGM_RSRC3_GFX90A:ACCUM_OFFSET: 0
; COMPUTE_PGM_RSRC3_GFX90A:TG_SPLIT: 0
	.section	.text._ZN7rocprim17ROCPRIM_400000_NS6detail17trampoline_kernelINS0_14default_configENS1_38merge_sort_block_merge_config_selectorIiNS0_10empty_typeEEEZZNS1_27merge_sort_block_merge_implIS3_N6thrust23THRUST_200600_302600_NS6detail15normal_iteratorINS9_10device_ptrIiEEEEPS5_m14custom_greaterIiEEE10hipError_tT0_T1_T2_jT3_P12ihipStream_tbPNSt15iterator_traitsISJ_E10value_typeEPNSP_ISK_E10value_typeEPSL_NS1_7vsmem_tEENKUlT_SJ_SK_SL_E_clIPiSE_SF_SF_EESI_SY_SJ_SK_SL_EUlSY_E0_NS1_11comp_targetILNS1_3genE8ELNS1_11target_archE1030ELNS1_3gpuE2ELNS1_3repE0EEENS1_38merge_mergepath_config_static_selectorELNS0_4arch9wavefront6targetE1EEEvSK_,"axG",@progbits,_ZN7rocprim17ROCPRIM_400000_NS6detail17trampoline_kernelINS0_14default_configENS1_38merge_sort_block_merge_config_selectorIiNS0_10empty_typeEEEZZNS1_27merge_sort_block_merge_implIS3_N6thrust23THRUST_200600_302600_NS6detail15normal_iteratorINS9_10device_ptrIiEEEEPS5_m14custom_greaterIiEEE10hipError_tT0_T1_T2_jT3_P12ihipStream_tbPNSt15iterator_traitsISJ_E10value_typeEPNSP_ISK_E10value_typeEPSL_NS1_7vsmem_tEENKUlT_SJ_SK_SL_E_clIPiSE_SF_SF_EESI_SY_SJ_SK_SL_EUlSY_E0_NS1_11comp_targetILNS1_3genE8ELNS1_11target_archE1030ELNS1_3gpuE2ELNS1_3repE0EEENS1_38merge_mergepath_config_static_selectorELNS0_4arch9wavefront6targetE1EEEvSK_,comdat
	.protected	_ZN7rocprim17ROCPRIM_400000_NS6detail17trampoline_kernelINS0_14default_configENS1_38merge_sort_block_merge_config_selectorIiNS0_10empty_typeEEEZZNS1_27merge_sort_block_merge_implIS3_N6thrust23THRUST_200600_302600_NS6detail15normal_iteratorINS9_10device_ptrIiEEEEPS5_m14custom_greaterIiEEE10hipError_tT0_T1_T2_jT3_P12ihipStream_tbPNSt15iterator_traitsISJ_E10value_typeEPNSP_ISK_E10value_typeEPSL_NS1_7vsmem_tEENKUlT_SJ_SK_SL_E_clIPiSE_SF_SF_EESI_SY_SJ_SK_SL_EUlSY_E0_NS1_11comp_targetILNS1_3genE8ELNS1_11target_archE1030ELNS1_3gpuE2ELNS1_3repE0EEENS1_38merge_mergepath_config_static_selectorELNS0_4arch9wavefront6targetE1EEEvSK_ ; -- Begin function _ZN7rocprim17ROCPRIM_400000_NS6detail17trampoline_kernelINS0_14default_configENS1_38merge_sort_block_merge_config_selectorIiNS0_10empty_typeEEEZZNS1_27merge_sort_block_merge_implIS3_N6thrust23THRUST_200600_302600_NS6detail15normal_iteratorINS9_10device_ptrIiEEEEPS5_m14custom_greaterIiEEE10hipError_tT0_T1_T2_jT3_P12ihipStream_tbPNSt15iterator_traitsISJ_E10value_typeEPNSP_ISK_E10value_typeEPSL_NS1_7vsmem_tEENKUlT_SJ_SK_SL_E_clIPiSE_SF_SF_EESI_SY_SJ_SK_SL_EUlSY_E0_NS1_11comp_targetILNS1_3genE8ELNS1_11target_archE1030ELNS1_3gpuE2ELNS1_3repE0EEENS1_38merge_mergepath_config_static_selectorELNS0_4arch9wavefront6targetE1EEEvSK_
	.globl	_ZN7rocprim17ROCPRIM_400000_NS6detail17trampoline_kernelINS0_14default_configENS1_38merge_sort_block_merge_config_selectorIiNS0_10empty_typeEEEZZNS1_27merge_sort_block_merge_implIS3_N6thrust23THRUST_200600_302600_NS6detail15normal_iteratorINS9_10device_ptrIiEEEEPS5_m14custom_greaterIiEEE10hipError_tT0_T1_T2_jT3_P12ihipStream_tbPNSt15iterator_traitsISJ_E10value_typeEPNSP_ISK_E10value_typeEPSL_NS1_7vsmem_tEENKUlT_SJ_SK_SL_E_clIPiSE_SF_SF_EESI_SY_SJ_SK_SL_EUlSY_E0_NS1_11comp_targetILNS1_3genE8ELNS1_11target_archE1030ELNS1_3gpuE2ELNS1_3repE0EEENS1_38merge_mergepath_config_static_selectorELNS0_4arch9wavefront6targetE1EEEvSK_
	.p2align	8
	.type	_ZN7rocprim17ROCPRIM_400000_NS6detail17trampoline_kernelINS0_14default_configENS1_38merge_sort_block_merge_config_selectorIiNS0_10empty_typeEEEZZNS1_27merge_sort_block_merge_implIS3_N6thrust23THRUST_200600_302600_NS6detail15normal_iteratorINS9_10device_ptrIiEEEEPS5_m14custom_greaterIiEEE10hipError_tT0_T1_T2_jT3_P12ihipStream_tbPNSt15iterator_traitsISJ_E10value_typeEPNSP_ISK_E10value_typeEPSL_NS1_7vsmem_tEENKUlT_SJ_SK_SL_E_clIPiSE_SF_SF_EESI_SY_SJ_SK_SL_EUlSY_E0_NS1_11comp_targetILNS1_3genE8ELNS1_11target_archE1030ELNS1_3gpuE2ELNS1_3repE0EEENS1_38merge_mergepath_config_static_selectorELNS0_4arch9wavefront6targetE1EEEvSK_,@function
_ZN7rocprim17ROCPRIM_400000_NS6detail17trampoline_kernelINS0_14default_configENS1_38merge_sort_block_merge_config_selectorIiNS0_10empty_typeEEEZZNS1_27merge_sort_block_merge_implIS3_N6thrust23THRUST_200600_302600_NS6detail15normal_iteratorINS9_10device_ptrIiEEEEPS5_m14custom_greaterIiEEE10hipError_tT0_T1_T2_jT3_P12ihipStream_tbPNSt15iterator_traitsISJ_E10value_typeEPNSP_ISK_E10value_typeEPSL_NS1_7vsmem_tEENKUlT_SJ_SK_SL_E_clIPiSE_SF_SF_EESI_SY_SJ_SK_SL_EUlSY_E0_NS1_11comp_targetILNS1_3genE8ELNS1_11target_archE1030ELNS1_3gpuE2ELNS1_3repE0EEENS1_38merge_mergepath_config_static_selectorELNS0_4arch9wavefront6targetE1EEEvSK_: ; @_ZN7rocprim17ROCPRIM_400000_NS6detail17trampoline_kernelINS0_14default_configENS1_38merge_sort_block_merge_config_selectorIiNS0_10empty_typeEEEZZNS1_27merge_sort_block_merge_implIS3_N6thrust23THRUST_200600_302600_NS6detail15normal_iteratorINS9_10device_ptrIiEEEEPS5_m14custom_greaterIiEEE10hipError_tT0_T1_T2_jT3_P12ihipStream_tbPNSt15iterator_traitsISJ_E10value_typeEPNSP_ISK_E10value_typeEPSL_NS1_7vsmem_tEENKUlT_SJ_SK_SL_E_clIPiSE_SF_SF_EESI_SY_SJ_SK_SL_EUlSY_E0_NS1_11comp_targetILNS1_3genE8ELNS1_11target_archE1030ELNS1_3gpuE2ELNS1_3repE0EEENS1_38merge_mergepath_config_static_selectorELNS0_4arch9wavefront6targetE1EEEvSK_
; %bb.0:
	.section	.rodata,"a",@progbits
	.p2align	6, 0x0
	.amdhsa_kernel _ZN7rocprim17ROCPRIM_400000_NS6detail17trampoline_kernelINS0_14default_configENS1_38merge_sort_block_merge_config_selectorIiNS0_10empty_typeEEEZZNS1_27merge_sort_block_merge_implIS3_N6thrust23THRUST_200600_302600_NS6detail15normal_iteratorINS9_10device_ptrIiEEEEPS5_m14custom_greaterIiEEE10hipError_tT0_T1_T2_jT3_P12ihipStream_tbPNSt15iterator_traitsISJ_E10value_typeEPNSP_ISK_E10value_typeEPSL_NS1_7vsmem_tEENKUlT_SJ_SK_SL_E_clIPiSE_SF_SF_EESI_SY_SJ_SK_SL_EUlSY_E0_NS1_11comp_targetILNS1_3genE8ELNS1_11target_archE1030ELNS1_3gpuE2ELNS1_3repE0EEENS1_38merge_mergepath_config_static_selectorELNS0_4arch9wavefront6targetE1EEEvSK_
		.amdhsa_group_segment_fixed_size 0
		.amdhsa_private_segment_fixed_size 0
		.amdhsa_kernarg_size 72
		.amdhsa_user_sgpr_count 6
		.amdhsa_user_sgpr_private_segment_buffer 1
		.amdhsa_user_sgpr_dispatch_ptr 0
		.amdhsa_user_sgpr_queue_ptr 0
		.amdhsa_user_sgpr_kernarg_segment_ptr 1
		.amdhsa_user_sgpr_dispatch_id 0
		.amdhsa_user_sgpr_flat_scratch_init 0
		.amdhsa_user_sgpr_kernarg_preload_length 0
		.amdhsa_user_sgpr_kernarg_preload_offset 0
		.amdhsa_user_sgpr_private_segment_size 0
		.amdhsa_uses_dynamic_stack 0
		.amdhsa_system_sgpr_private_segment_wavefront_offset 0
		.amdhsa_system_sgpr_workgroup_id_x 1
		.amdhsa_system_sgpr_workgroup_id_y 0
		.amdhsa_system_sgpr_workgroup_id_z 0
		.amdhsa_system_sgpr_workgroup_info 0
		.amdhsa_system_vgpr_workitem_id 0
		.amdhsa_next_free_vgpr 1
		.amdhsa_next_free_sgpr 0
		.amdhsa_accum_offset 4
		.amdhsa_reserve_vcc 0
		.amdhsa_reserve_flat_scratch 0
		.amdhsa_float_round_mode_32 0
		.amdhsa_float_round_mode_16_64 0
		.amdhsa_float_denorm_mode_32 3
		.amdhsa_float_denorm_mode_16_64 3
		.amdhsa_dx10_clamp 1
		.amdhsa_ieee_mode 1
		.amdhsa_fp16_overflow 0
		.amdhsa_tg_split 0
		.amdhsa_exception_fp_ieee_invalid_op 0
		.amdhsa_exception_fp_denorm_src 0
		.amdhsa_exception_fp_ieee_div_zero 0
		.amdhsa_exception_fp_ieee_overflow 0
		.amdhsa_exception_fp_ieee_underflow 0
		.amdhsa_exception_fp_ieee_inexact 0
		.amdhsa_exception_int_div_zero 0
	.end_amdhsa_kernel
	.section	.text._ZN7rocprim17ROCPRIM_400000_NS6detail17trampoline_kernelINS0_14default_configENS1_38merge_sort_block_merge_config_selectorIiNS0_10empty_typeEEEZZNS1_27merge_sort_block_merge_implIS3_N6thrust23THRUST_200600_302600_NS6detail15normal_iteratorINS9_10device_ptrIiEEEEPS5_m14custom_greaterIiEEE10hipError_tT0_T1_T2_jT3_P12ihipStream_tbPNSt15iterator_traitsISJ_E10value_typeEPNSP_ISK_E10value_typeEPSL_NS1_7vsmem_tEENKUlT_SJ_SK_SL_E_clIPiSE_SF_SF_EESI_SY_SJ_SK_SL_EUlSY_E0_NS1_11comp_targetILNS1_3genE8ELNS1_11target_archE1030ELNS1_3gpuE2ELNS1_3repE0EEENS1_38merge_mergepath_config_static_selectorELNS0_4arch9wavefront6targetE1EEEvSK_,"axG",@progbits,_ZN7rocprim17ROCPRIM_400000_NS6detail17trampoline_kernelINS0_14default_configENS1_38merge_sort_block_merge_config_selectorIiNS0_10empty_typeEEEZZNS1_27merge_sort_block_merge_implIS3_N6thrust23THRUST_200600_302600_NS6detail15normal_iteratorINS9_10device_ptrIiEEEEPS5_m14custom_greaterIiEEE10hipError_tT0_T1_T2_jT3_P12ihipStream_tbPNSt15iterator_traitsISJ_E10value_typeEPNSP_ISK_E10value_typeEPSL_NS1_7vsmem_tEENKUlT_SJ_SK_SL_E_clIPiSE_SF_SF_EESI_SY_SJ_SK_SL_EUlSY_E0_NS1_11comp_targetILNS1_3genE8ELNS1_11target_archE1030ELNS1_3gpuE2ELNS1_3repE0EEENS1_38merge_mergepath_config_static_selectorELNS0_4arch9wavefront6targetE1EEEvSK_,comdat
.Lfunc_end3103:
	.size	_ZN7rocprim17ROCPRIM_400000_NS6detail17trampoline_kernelINS0_14default_configENS1_38merge_sort_block_merge_config_selectorIiNS0_10empty_typeEEEZZNS1_27merge_sort_block_merge_implIS3_N6thrust23THRUST_200600_302600_NS6detail15normal_iteratorINS9_10device_ptrIiEEEEPS5_m14custom_greaterIiEEE10hipError_tT0_T1_T2_jT3_P12ihipStream_tbPNSt15iterator_traitsISJ_E10value_typeEPNSP_ISK_E10value_typeEPSL_NS1_7vsmem_tEENKUlT_SJ_SK_SL_E_clIPiSE_SF_SF_EESI_SY_SJ_SK_SL_EUlSY_E0_NS1_11comp_targetILNS1_3genE8ELNS1_11target_archE1030ELNS1_3gpuE2ELNS1_3repE0EEENS1_38merge_mergepath_config_static_selectorELNS0_4arch9wavefront6targetE1EEEvSK_, .Lfunc_end3103-_ZN7rocprim17ROCPRIM_400000_NS6detail17trampoline_kernelINS0_14default_configENS1_38merge_sort_block_merge_config_selectorIiNS0_10empty_typeEEEZZNS1_27merge_sort_block_merge_implIS3_N6thrust23THRUST_200600_302600_NS6detail15normal_iteratorINS9_10device_ptrIiEEEEPS5_m14custom_greaterIiEEE10hipError_tT0_T1_T2_jT3_P12ihipStream_tbPNSt15iterator_traitsISJ_E10value_typeEPNSP_ISK_E10value_typeEPSL_NS1_7vsmem_tEENKUlT_SJ_SK_SL_E_clIPiSE_SF_SF_EESI_SY_SJ_SK_SL_EUlSY_E0_NS1_11comp_targetILNS1_3genE8ELNS1_11target_archE1030ELNS1_3gpuE2ELNS1_3repE0EEENS1_38merge_mergepath_config_static_selectorELNS0_4arch9wavefront6targetE1EEEvSK_
                                        ; -- End function
	.section	.AMDGPU.csdata,"",@progbits
; Kernel info:
; codeLenInByte = 0
; NumSgprs: 4
; NumVgprs: 0
; NumAgprs: 0
; TotalNumVgprs: 0
; ScratchSize: 0
; MemoryBound: 0
; FloatMode: 240
; IeeeMode: 1
; LDSByteSize: 0 bytes/workgroup (compile time only)
; SGPRBlocks: 0
; VGPRBlocks: 0
; NumSGPRsForWavesPerEU: 4
; NumVGPRsForWavesPerEU: 1
; AccumOffset: 4
; Occupancy: 8
; WaveLimiterHint : 0
; COMPUTE_PGM_RSRC2:SCRATCH_EN: 0
; COMPUTE_PGM_RSRC2:USER_SGPR: 6
; COMPUTE_PGM_RSRC2:TRAP_HANDLER: 0
; COMPUTE_PGM_RSRC2:TGID_X_EN: 1
; COMPUTE_PGM_RSRC2:TGID_Y_EN: 0
; COMPUTE_PGM_RSRC2:TGID_Z_EN: 0
; COMPUTE_PGM_RSRC2:TIDIG_COMP_CNT: 0
; COMPUTE_PGM_RSRC3_GFX90A:ACCUM_OFFSET: 0
; COMPUTE_PGM_RSRC3_GFX90A:TG_SPLIT: 0
	.section	.text._ZN7rocprim17ROCPRIM_400000_NS6detail17trampoline_kernelINS0_14default_configENS1_38merge_sort_block_merge_config_selectorIiNS0_10empty_typeEEEZZNS1_27merge_sort_block_merge_implIS3_N6thrust23THRUST_200600_302600_NS6detail15normal_iteratorINS9_10device_ptrIiEEEEPS5_m14custom_greaterIiEEE10hipError_tT0_T1_T2_jT3_P12ihipStream_tbPNSt15iterator_traitsISJ_E10value_typeEPNSP_ISK_E10value_typeEPSL_NS1_7vsmem_tEENKUlT_SJ_SK_SL_E_clIPiSE_SF_SF_EESI_SY_SJ_SK_SL_EUlSY_E1_NS1_11comp_targetILNS1_3genE0ELNS1_11target_archE4294967295ELNS1_3gpuE0ELNS1_3repE0EEENS1_36merge_oddeven_config_static_selectorELNS0_4arch9wavefront6targetE1EEEvSK_,"axG",@progbits,_ZN7rocprim17ROCPRIM_400000_NS6detail17trampoline_kernelINS0_14default_configENS1_38merge_sort_block_merge_config_selectorIiNS0_10empty_typeEEEZZNS1_27merge_sort_block_merge_implIS3_N6thrust23THRUST_200600_302600_NS6detail15normal_iteratorINS9_10device_ptrIiEEEEPS5_m14custom_greaterIiEEE10hipError_tT0_T1_T2_jT3_P12ihipStream_tbPNSt15iterator_traitsISJ_E10value_typeEPNSP_ISK_E10value_typeEPSL_NS1_7vsmem_tEENKUlT_SJ_SK_SL_E_clIPiSE_SF_SF_EESI_SY_SJ_SK_SL_EUlSY_E1_NS1_11comp_targetILNS1_3genE0ELNS1_11target_archE4294967295ELNS1_3gpuE0ELNS1_3repE0EEENS1_36merge_oddeven_config_static_selectorELNS0_4arch9wavefront6targetE1EEEvSK_,comdat
	.protected	_ZN7rocprim17ROCPRIM_400000_NS6detail17trampoline_kernelINS0_14default_configENS1_38merge_sort_block_merge_config_selectorIiNS0_10empty_typeEEEZZNS1_27merge_sort_block_merge_implIS3_N6thrust23THRUST_200600_302600_NS6detail15normal_iteratorINS9_10device_ptrIiEEEEPS5_m14custom_greaterIiEEE10hipError_tT0_T1_T2_jT3_P12ihipStream_tbPNSt15iterator_traitsISJ_E10value_typeEPNSP_ISK_E10value_typeEPSL_NS1_7vsmem_tEENKUlT_SJ_SK_SL_E_clIPiSE_SF_SF_EESI_SY_SJ_SK_SL_EUlSY_E1_NS1_11comp_targetILNS1_3genE0ELNS1_11target_archE4294967295ELNS1_3gpuE0ELNS1_3repE0EEENS1_36merge_oddeven_config_static_selectorELNS0_4arch9wavefront6targetE1EEEvSK_ ; -- Begin function _ZN7rocprim17ROCPRIM_400000_NS6detail17trampoline_kernelINS0_14default_configENS1_38merge_sort_block_merge_config_selectorIiNS0_10empty_typeEEEZZNS1_27merge_sort_block_merge_implIS3_N6thrust23THRUST_200600_302600_NS6detail15normal_iteratorINS9_10device_ptrIiEEEEPS5_m14custom_greaterIiEEE10hipError_tT0_T1_T2_jT3_P12ihipStream_tbPNSt15iterator_traitsISJ_E10value_typeEPNSP_ISK_E10value_typeEPSL_NS1_7vsmem_tEENKUlT_SJ_SK_SL_E_clIPiSE_SF_SF_EESI_SY_SJ_SK_SL_EUlSY_E1_NS1_11comp_targetILNS1_3genE0ELNS1_11target_archE4294967295ELNS1_3gpuE0ELNS1_3repE0EEENS1_36merge_oddeven_config_static_selectorELNS0_4arch9wavefront6targetE1EEEvSK_
	.globl	_ZN7rocprim17ROCPRIM_400000_NS6detail17trampoline_kernelINS0_14default_configENS1_38merge_sort_block_merge_config_selectorIiNS0_10empty_typeEEEZZNS1_27merge_sort_block_merge_implIS3_N6thrust23THRUST_200600_302600_NS6detail15normal_iteratorINS9_10device_ptrIiEEEEPS5_m14custom_greaterIiEEE10hipError_tT0_T1_T2_jT3_P12ihipStream_tbPNSt15iterator_traitsISJ_E10value_typeEPNSP_ISK_E10value_typeEPSL_NS1_7vsmem_tEENKUlT_SJ_SK_SL_E_clIPiSE_SF_SF_EESI_SY_SJ_SK_SL_EUlSY_E1_NS1_11comp_targetILNS1_3genE0ELNS1_11target_archE4294967295ELNS1_3gpuE0ELNS1_3repE0EEENS1_36merge_oddeven_config_static_selectorELNS0_4arch9wavefront6targetE1EEEvSK_
	.p2align	8
	.type	_ZN7rocprim17ROCPRIM_400000_NS6detail17trampoline_kernelINS0_14default_configENS1_38merge_sort_block_merge_config_selectorIiNS0_10empty_typeEEEZZNS1_27merge_sort_block_merge_implIS3_N6thrust23THRUST_200600_302600_NS6detail15normal_iteratorINS9_10device_ptrIiEEEEPS5_m14custom_greaterIiEEE10hipError_tT0_T1_T2_jT3_P12ihipStream_tbPNSt15iterator_traitsISJ_E10value_typeEPNSP_ISK_E10value_typeEPSL_NS1_7vsmem_tEENKUlT_SJ_SK_SL_E_clIPiSE_SF_SF_EESI_SY_SJ_SK_SL_EUlSY_E1_NS1_11comp_targetILNS1_3genE0ELNS1_11target_archE4294967295ELNS1_3gpuE0ELNS1_3repE0EEENS1_36merge_oddeven_config_static_selectorELNS0_4arch9wavefront6targetE1EEEvSK_,@function
_ZN7rocprim17ROCPRIM_400000_NS6detail17trampoline_kernelINS0_14default_configENS1_38merge_sort_block_merge_config_selectorIiNS0_10empty_typeEEEZZNS1_27merge_sort_block_merge_implIS3_N6thrust23THRUST_200600_302600_NS6detail15normal_iteratorINS9_10device_ptrIiEEEEPS5_m14custom_greaterIiEEE10hipError_tT0_T1_T2_jT3_P12ihipStream_tbPNSt15iterator_traitsISJ_E10value_typeEPNSP_ISK_E10value_typeEPSL_NS1_7vsmem_tEENKUlT_SJ_SK_SL_E_clIPiSE_SF_SF_EESI_SY_SJ_SK_SL_EUlSY_E1_NS1_11comp_targetILNS1_3genE0ELNS1_11target_archE4294967295ELNS1_3gpuE0ELNS1_3repE0EEENS1_36merge_oddeven_config_static_selectorELNS0_4arch9wavefront6targetE1EEEvSK_: ; @_ZN7rocprim17ROCPRIM_400000_NS6detail17trampoline_kernelINS0_14default_configENS1_38merge_sort_block_merge_config_selectorIiNS0_10empty_typeEEEZZNS1_27merge_sort_block_merge_implIS3_N6thrust23THRUST_200600_302600_NS6detail15normal_iteratorINS9_10device_ptrIiEEEEPS5_m14custom_greaterIiEEE10hipError_tT0_T1_T2_jT3_P12ihipStream_tbPNSt15iterator_traitsISJ_E10value_typeEPNSP_ISK_E10value_typeEPSL_NS1_7vsmem_tEENKUlT_SJ_SK_SL_E_clIPiSE_SF_SF_EESI_SY_SJ_SK_SL_EUlSY_E1_NS1_11comp_targetILNS1_3genE0ELNS1_11target_archE4294967295ELNS1_3gpuE0ELNS1_3repE0EEENS1_36merge_oddeven_config_static_selectorELNS0_4arch9wavefront6targetE1EEEvSK_
; %bb.0:
	.section	.rodata,"a",@progbits
	.p2align	6, 0x0
	.amdhsa_kernel _ZN7rocprim17ROCPRIM_400000_NS6detail17trampoline_kernelINS0_14default_configENS1_38merge_sort_block_merge_config_selectorIiNS0_10empty_typeEEEZZNS1_27merge_sort_block_merge_implIS3_N6thrust23THRUST_200600_302600_NS6detail15normal_iteratorINS9_10device_ptrIiEEEEPS5_m14custom_greaterIiEEE10hipError_tT0_T1_T2_jT3_P12ihipStream_tbPNSt15iterator_traitsISJ_E10value_typeEPNSP_ISK_E10value_typeEPSL_NS1_7vsmem_tEENKUlT_SJ_SK_SL_E_clIPiSE_SF_SF_EESI_SY_SJ_SK_SL_EUlSY_E1_NS1_11comp_targetILNS1_3genE0ELNS1_11target_archE4294967295ELNS1_3gpuE0ELNS1_3repE0EEENS1_36merge_oddeven_config_static_selectorELNS0_4arch9wavefront6targetE1EEEvSK_
		.amdhsa_group_segment_fixed_size 0
		.amdhsa_private_segment_fixed_size 0
		.amdhsa_kernarg_size 56
		.amdhsa_user_sgpr_count 6
		.amdhsa_user_sgpr_private_segment_buffer 1
		.amdhsa_user_sgpr_dispatch_ptr 0
		.amdhsa_user_sgpr_queue_ptr 0
		.amdhsa_user_sgpr_kernarg_segment_ptr 1
		.amdhsa_user_sgpr_dispatch_id 0
		.amdhsa_user_sgpr_flat_scratch_init 0
		.amdhsa_user_sgpr_kernarg_preload_length 0
		.amdhsa_user_sgpr_kernarg_preload_offset 0
		.amdhsa_user_sgpr_private_segment_size 0
		.amdhsa_uses_dynamic_stack 0
		.amdhsa_system_sgpr_private_segment_wavefront_offset 0
		.amdhsa_system_sgpr_workgroup_id_x 1
		.amdhsa_system_sgpr_workgroup_id_y 0
		.amdhsa_system_sgpr_workgroup_id_z 0
		.amdhsa_system_sgpr_workgroup_info 0
		.amdhsa_system_vgpr_workitem_id 0
		.amdhsa_next_free_vgpr 1
		.amdhsa_next_free_sgpr 0
		.amdhsa_accum_offset 4
		.amdhsa_reserve_vcc 0
		.amdhsa_reserve_flat_scratch 0
		.amdhsa_float_round_mode_32 0
		.amdhsa_float_round_mode_16_64 0
		.amdhsa_float_denorm_mode_32 3
		.amdhsa_float_denorm_mode_16_64 3
		.amdhsa_dx10_clamp 1
		.amdhsa_ieee_mode 1
		.amdhsa_fp16_overflow 0
		.amdhsa_tg_split 0
		.amdhsa_exception_fp_ieee_invalid_op 0
		.amdhsa_exception_fp_denorm_src 0
		.amdhsa_exception_fp_ieee_div_zero 0
		.amdhsa_exception_fp_ieee_overflow 0
		.amdhsa_exception_fp_ieee_underflow 0
		.amdhsa_exception_fp_ieee_inexact 0
		.amdhsa_exception_int_div_zero 0
	.end_amdhsa_kernel
	.section	.text._ZN7rocprim17ROCPRIM_400000_NS6detail17trampoline_kernelINS0_14default_configENS1_38merge_sort_block_merge_config_selectorIiNS0_10empty_typeEEEZZNS1_27merge_sort_block_merge_implIS3_N6thrust23THRUST_200600_302600_NS6detail15normal_iteratorINS9_10device_ptrIiEEEEPS5_m14custom_greaterIiEEE10hipError_tT0_T1_T2_jT3_P12ihipStream_tbPNSt15iterator_traitsISJ_E10value_typeEPNSP_ISK_E10value_typeEPSL_NS1_7vsmem_tEENKUlT_SJ_SK_SL_E_clIPiSE_SF_SF_EESI_SY_SJ_SK_SL_EUlSY_E1_NS1_11comp_targetILNS1_3genE0ELNS1_11target_archE4294967295ELNS1_3gpuE0ELNS1_3repE0EEENS1_36merge_oddeven_config_static_selectorELNS0_4arch9wavefront6targetE1EEEvSK_,"axG",@progbits,_ZN7rocprim17ROCPRIM_400000_NS6detail17trampoline_kernelINS0_14default_configENS1_38merge_sort_block_merge_config_selectorIiNS0_10empty_typeEEEZZNS1_27merge_sort_block_merge_implIS3_N6thrust23THRUST_200600_302600_NS6detail15normal_iteratorINS9_10device_ptrIiEEEEPS5_m14custom_greaterIiEEE10hipError_tT0_T1_T2_jT3_P12ihipStream_tbPNSt15iterator_traitsISJ_E10value_typeEPNSP_ISK_E10value_typeEPSL_NS1_7vsmem_tEENKUlT_SJ_SK_SL_E_clIPiSE_SF_SF_EESI_SY_SJ_SK_SL_EUlSY_E1_NS1_11comp_targetILNS1_3genE0ELNS1_11target_archE4294967295ELNS1_3gpuE0ELNS1_3repE0EEENS1_36merge_oddeven_config_static_selectorELNS0_4arch9wavefront6targetE1EEEvSK_,comdat
.Lfunc_end3104:
	.size	_ZN7rocprim17ROCPRIM_400000_NS6detail17trampoline_kernelINS0_14default_configENS1_38merge_sort_block_merge_config_selectorIiNS0_10empty_typeEEEZZNS1_27merge_sort_block_merge_implIS3_N6thrust23THRUST_200600_302600_NS6detail15normal_iteratorINS9_10device_ptrIiEEEEPS5_m14custom_greaterIiEEE10hipError_tT0_T1_T2_jT3_P12ihipStream_tbPNSt15iterator_traitsISJ_E10value_typeEPNSP_ISK_E10value_typeEPSL_NS1_7vsmem_tEENKUlT_SJ_SK_SL_E_clIPiSE_SF_SF_EESI_SY_SJ_SK_SL_EUlSY_E1_NS1_11comp_targetILNS1_3genE0ELNS1_11target_archE4294967295ELNS1_3gpuE0ELNS1_3repE0EEENS1_36merge_oddeven_config_static_selectorELNS0_4arch9wavefront6targetE1EEEvSK_, .Lfunc_end3104-_ZN7rocprim17ROCPRIM_400000_NS6detail17trampoline_kernelINS0_14default_configENS1_38merge_sort_block_merge_config_selectorIiNS0_10empty_typeEEEZZNS1_27merge_sort_block_merge_implIS3_N6thrust23THRUST_200600_302600_NS6detail15normal_iteratorINS9_10device_ptrIiEEEEPS5_m14custom_greaterIiEEE10hipError_tT0_T1_T2_jT3_P12ihipStream_tbPNSt15iterator_traitsISJ_E10value_typeEPNSP_ISK_E10value_typeEPSL_NS1_7vsmem_tEENKUlT_SJ_SK_SL_E_clIPiSE_SF_SF_EESI_SY_SJ_SK_SL_EUlSY_E1_NS1_11comp_targetILNS1_3genE0ELNS1_11target_archE4294967295ELNS1_3gpuE0ELNS1_3repE0EEENS1_36merge_oddeven_config_static_selectorELNS0_4arch9wavefront6targetE1EEEvSK_
                                        ; -- End function
	.section	.AMDGPU.csdata,"",@progbits
; Kernel info:
; codeLenInByte = 0
; NumSgprs: 4
; NumVgprs: 0
; NumAgprs: 0
; TotalNumVgprs: 0
; ScratchSize: 0
; MemoryBound: 0
; FloatMode: 240
; IeeeMode: 1
; LDSByteSize: 0 bytes/workgroup (compile time only)
; SGPRBlocks: 0
; VGPRBlocks: 0
; NumSGPRsForWavesPerEU: 4
; NumVGPRsForWavesPerEU: 1
; AccumOffset: 4
; Occupancy: 8
; WaveLimiterHint : 0
; COMPUTE_PGM_RSRC2:SCRATCH_EN: 0
; COMPUTE_PGM_RSRC2:USER_SGPR: 6
; COMPUTE_PGM_RSRC2:TRAP_HANDLER: 0
; COMPUTE_PGM_RSRC2:TGID_X_EN: 1
; COMPUTE_PGM_RSRC2:TGID_Y_EN: 0
; COMPUTE_PGM_RSRC2:TGID_Z_EN: 0
; COMPUTE_PGM_RSRC2:TIDIG_COMP_CNT: 0
; COMPUTE_PGM_RSRC3_GFX90A:ACCUM_OFFSET: 0
; COMPUTE_PGM_RSRC3_GFX90A:TG_SPLIT: 0
	.section	.text._ZN7rocprim17ROCPRIM_400000_NS6detail17trampoline_kernelINS0_14default_configENS1_38merge_sort_block_merge_config_selectorIiNS0_10empty_typeEEEZZNS1_27merge_sort_block_merge_implIS3_N6thrust23THRUST_200600_302600_NS6detail15normal_iteratorINS9_10device_ptrIiEEEEPS5_m14custom_greaterIiEEE10hipError_tT0_T1_T2_jT3_P12ihipStream_tbPNSt15iterator_traitsISJ_E10value_typeEPNSP_ISK_E10value_typeEPSL_NS1_7vsmem_tEENKUlT_SJ_SK_SL_E_clIPiSE_SF_SF_EESI_SY_SJ_SK_SL_EUlSY_E1_NS1_11comp_targetILNS1_3genE10ELNS1_11target_archE1201ELNS1_3gpuE5ELNS1_3repE0EEENS1_36merge_oddeven_config_static_selectorELNS0_4arch9wavefront6targetE1EEEvSK_,"axG",@progbits,_ZN7rocprim17ROCPRIM_400000_NS6detail17trampoline_kernelINS0_14default_configENS1_38merge_sort_block_merge_config_selectorIiNS0_10empty_typeEEEZZNS1_27merge_sort_block_merge_implIS3_N6thrust23THRUST_200600_302600_NS6detail15normal_iteratorINS9_10device_ptrIiEEEEPS5_m14custom_greaterIiEEE10hipError_tT0_T1_T2_jT3_P12ihipStream_tbPNSt15iterator_traitsISJ_E10value_typeEPNSP_ISK_E10value_typeEPSL_NS1_7vsmem_tEENKUlT_SJ_SK_SL_E_clIPiSE_SF_SF_EESI_SY_SJ_SK_SL_EUlSY_E1_NS1_11comp_targetILNS1_3genE10ELNS1_11target_archE1201ELNS1_3gpuE5ELNS1_3repE0EEENS1_36merge_oddeven_config_static_selectorELNS0_4arch9wavefront6targetE1EEEvSK_,comdat
	.protected	_ZN7rocprim17ROCPRIM_400000_NS6detail17trampoline_kernelINS0_14default_configENS1_38merge_sort_block_merge_config_selectorIiNS0_10empty_typeEEEZZNS1_27merge_sort_block_merge_implIS3_N6thrust23THRUST_200600_302600_NS6detail15normal_iteratorINS9_10device_ptrIiEEEEPS5_m14custom_greaterIiEEE10hipError_tT0_T1_T2_jT3_P12ihipStream_tbPNSt15iterator_traitsISJ_E10value_typeEPNSP_ISK_E10value_typeEPSL_NS1_7vsmem_tEENKUlT_SJ_SK_SL_E_clIPiSE_SF_SF_EESI_SY_SJ_SK_SL_EUlSY_E1_NS1_11comp_targetILNS1_3genE10ELNS1_11target_archE1201ELNS1_3gpuE5ELNS1_3repE0EEENS1_36merge_oddeven_config_static_selectorELNS0_4arch9wavefront6targetE1EEEvSK_ ; -- Begin function _ZN7rocprim17ROCPRIM_400000_NS6detail17trampoline_kernelINS0_14default_configENS1_38merge_sort_block_merge_config_selectorIiNS0_10empty_typeEEEZZNS1_27merge_sort_block_merge_implIS3_N6thrust23THRUST_200600_302600_NS6detail15normal_iteratorINS9_10device_ptrIiEEEEPS5_m14custom_greaterIiEEE10hipError_tT0_T1_T2_jT3_P12ihipStream_tbPNSt15iterator_traitsISJ_E10value_typeEPNSP_ISK_E10value_typeEPSL_NS1_7vsmem_tEENKUlT_SJ_SK_SL_E_clIPiSE_SF_SF_EESI_SY_SJ_SK_SL_EUlSY_E1_NS1_11comp_targetILNS1_3genE10ELNS1_11target_archE1201ELNS1_3gpuE5ELNS1_3repE0EEENS1_36merge_oddeven_config_static_selectorELNS0_4arch9wavefront6targetE1EEEvSK_
	.globl	_ZN7rocprim17ROCPRIM_400000_NS6detail17trampoline_kernelINS0_14default_configENS1_38merge_sort_block_merge_config_selectorIiNS0_10empty_typeEEEZZNS1_27merge_sort_block_merge_implIS3_N6thrust23THRUST_200600_302600_NS6detail15normal_iteratorINS9_10device_ptrIiEEEEPS5_m14custom_greaterIiEEE10hipError_tT0_T1_T2_jT3_P12ihipStream_tbPNSt15iterator_traitsISJ_E10value_typeEPNSP_ISK_E10value_typeEPSL_NS1_7vsmem_tEENKUlT_SJ_SK_SL_E_clIPiSE_SF_SF_EESI_SY_SJ_SK_SL_EUlSY_E1_NS1_11comp_targetILNS1_3genE10ELNS1_11target_archE1201ELNS1_3gpuE5ELNS1_3repE0EEENS1_36merge_oddeven_config_static_selectorELNS0_4arch9wavefront6targetE1EEEvSK_
	.p2align	8
	.type	_ZN7rocprim17ROCPRIM_400000_NS6detail17trampoline_kernelINS0_14default_configENS1_38merge_sort_block_merge_config_selectorIiNS0_10empty_typeEEEZZNS1_27merge_sort_block_merge_implIS3_N6thrust23THRUST_200600_302600_NS6detail15normal_iteratorINS9_10device_ptrIiEEEEPS5_m14custom_greaterIiEEE10hipError_tT0_T1_T2_jT3_P12ihipStream_tbPNSt15iterator_traitsISJ_E10value_typeEPNSP_ISK_E10value_typeEPSL_NS1_7vsmem_tEENKUlT_SJ_SK_SL_E_clIPiSE_SF_SF_EESI_SY_SJ_SK_SL_EUlSY_E1_NS1_11comp_targetILNS1_3genE10ELNS1_11target_archE1201ELNS1_3gpuE5ELNS1_3repE0EEENS1_36merge_oddeven_config_static_selectorELNS0_4arch9wavefront6targetE1EEEvSK_,@function
_ZN7rocprim17ROCPRIM_400000_NS6detail17trampoline_kernelINS0_14default_configENS1_38merge_sort_block_merge_config_selectorIiNS0_10empty_typeEEEZZNS1_27merge_sort_block_merge_implIS3_N6thrust23THRUST_200600_302600_NS6detail15normal_iteratorINS9_10device_ptrIiEEEEPS5_m14custom_greaterIiEEE10hipError_tT0_T1_T2_jT3_P12ihipStream_tbPNSt15iterator_traitsISJ_E10value_typeEPNSP_ISK_E10value_typeEPSL_NS1_7vsmem_tEENKUlT_SJ_SK_SL_E_clIPiSE_SF_SF_EESI_SY_SJ_SK_SL_EUlSY_E1_NS1_11comp_targetILNS1_3genE10ELNS1_11target_archE1201ELNS1_3gpuE5ELNS1_3repE0EEENS1_36merge_oddeven_config_static_selectorELNS0_4arch9wavefront6targetE1EEEvSK_: ; @_ZN7rocprim17ROCPRIM_400000_NS6detail17trampoline_kernelINS0_14default_configENS1_38merge_sort_block_merge_config_selectorIiNS0_10empty_typeEEEZZNS1_27merge_sort_block_merge_implIS3_N6thrust23THRUST_200600_302600_NS6detail15normal_iteratorINS9_10device_ptrIiEEEEPS5_m14custom_greaterIiEEE10hipError_tT0_T1_T2_jT3_P12ihipStream_tbPNSt15iterator_traitsISJ_E10value_typeEPNSP_ISK_E10value_typeEPSL_NS1_7vsmem_tEENKUlT_SJ_SK_SL_E_clIPiSE_SF_SF_EESI_SY_SJ_SK_SL_EUlSY_E1_NS1_11comp_targetILNS1_3genE10ELNS1_11target_archE1201ELNS1_3gpuE5ELNS1_3repE0EEENS1_36merge_oddeven_config_static_selectorELNS0_4arch9wavefront6targetE1EEEvSK_
; %bb.0:
	.section	.rodata,"a",@progbits
	.p2align	6, 0x0
	.amdhsa_kernel _ZN7rocprim17ROCPRIM_400000_NS6detail17trampoline_kernelINS0_14default_configENS1_38merge_sort_block_merge_config_selectorIiNS0_10empty_typeEEEZZNS1_27merge_sort_block_merge_implIS3_N6thrust23THRUST_200600_302600_NS6detail15normal_iteratorINS9_10device_ptrIiEEEEPS5_m14custom_greaterIiEEE10hipError_tT0_T1_T2_jT3_P12ihipStream_tbPNSt15iterator_traitsISJ_E10value_typeEPNSP_ISK_E10value_typeEPSL_NS1_7vsmem_tEENKUlT_SJ_SK_SL_E_clIPiSE_SF_SF_EESI_SY_SJ_SK_SL_EUlSY_E1_NS1_11comp_targetILNS1_3genE10ELNS1_11target_archE1201ELNS1_3gpuE5ELNS1_3repE0EEENS1_36merge_oddeven_config_static_selectorELNS0_4arch9wavefront6targetE1EEEvSK_
		.amdhsa_group_segment_fixed_size 0
		.amdhsa_private_segment_fixed_size 0
		.amdhsa_kernarg_size 56
		.amdhsa_user_sgpr_count 6
		.amdhsa_user_sgpr_private_segment_buffer 1
		.amdhsa_user_sgpr_dispatch_ptr 0
		.amdhsa_user_sgpr_queue_ptr 0
		.amdhsa_user_sgpr_kernarg_segment_ptr 1
		.amdhsa_user_sgpr_dispatch_id 0
		.amdhsa_user_sgpr_flat_scratch_init 0
		.amdhsa_user_sgpr_kernarg_preload_length 0
		.amdhsa_user_sgpr_kernarg_preload_offset 0
		.amdhsa_user_sgpr_private_segment_size 0
		.amdhsa_uses_dynamic_stack 0
		.amdhsa_system_sgpr_private_segment_wavefront_offset 0
		.amdhsa_system_sgpr_workgroup_id_x 1
		.amdhsa_system_sgpr_workgroup_id_y 0
		.amdhsa_system_sgpr_workgroup_id_z 0
		.amdhsa_system_sgpr_workgroup_info 0
		.amdhsa_system_vgpr_workitem_id 0
		.amdhsa_next_free_vgpr 1
		.amdhsa_next_free_sgpr 0
		.amdhsa_accum_offset 4
		.amdhsa_reserve_vcc 0
		.amdhsa_reserve_flat_scratch 0
		.amdhsa_float_round_mode_32 0
		.amdhsa_float_round_mode_16_64 0
		.amdhsa_float_denorm_mode_32 3
		.amdhsa_float_denorm_mode_16_64 3
		.amdhsa_dx10_clamp 1
		.amdhsa_ieee_mode 1
		.amdhsa_fp16_overflow 0
		.amdhsa_tg_split 0
		.amdhsa_exception_fp_ieee_invalid_op 0
		.amdhsa_exception_fp_denorm_src 0
		.amdhsa_exception_fp_ieee_div_zero 0
		.amdhsa_exception_fp_ieee_overflow 0
		.amdhsa_exception_fp_ieee_underflow 0
		.amdhsa_exception_fp_ieee_inexact 0
		.amdhsa_exception_int_div_zero 0
	.end_amdhsa_kernel
	.section	.text._ZN7rocprim17ROCPRIM_400000_NS6detail17trampoline_kernelINS0_14default_configENS1_38merge_sort_block_merge_config_selectorIiNS0_10empty_typeEEEZZNS1_27merge_sort_block_merge_implIS3_N6thrust23THRUST_200600_302600_NS6detail15normal_iteratorINS9_10device_ptrIiEEEEPS5_m14custom_greaterIiEEE10hipError_tT0_T1_T2_jT3_P12ihipStream_tbPNSt15iterator_traitsISJ_E10value_typeEPNSP_ISK_E10value_typeEPSL_NS1_7vsmem_tEENKUlT_SJ_SK_SL_E_clIPiSE_SF_SF_EESI_SY_SJ_SK_SL_EUlSY_E1_NS1_11comp_targetILNS1_3genE10ELNS1_11target_archE1201ELNS1_3gpuE5ELNS1_3repE0EEENS1_36merge_oddeven_config_static_selectorELNS0_4arch9wavefront6targetE1EEEvSK_,"axG",@progbits,_ZN7rocprim17ROCPRIM_400000_NS6detail17trampoline_kernelINS0_14default_configENS1_38merge_sort_block_merge_config_selectorIiNS0_10empty_typeEEEZZNS1_27merge_sort_block_merge_implIS3_N6thrust23THRUST_200600_302600_NS6detail15normal_iteratorINS9_10device_ptrIiEEEEPS5_m14custom_greaterIiEEE10hipError_tT0_T1_T2_jT3_P12ihipStream_tbPNSt15iterator_traitsISJ_E10value_typeEPNSP_ISK_E10value_typeEPSL_NS1_7vsmem_tEENKUlT_SJ_SK_SL_E_clIPiSE_SF_SF_EESI_SY_SJ_SK_SL_EUlSY_E1_NS1_11comp_targetILNS1_3genE10ELNS1_11target_archE1201ELNS1_3gpuE5ELNS1_3repE0EEENS1_36merge_oddeven_config_static_selectorELNS0_4arch9wavefront6targetE1EEEvSK_,comdat
.Lfunc_end3105:
	.size	_ZN7rocprim17ROCPRIM_400000_NS6detail17trampoline_kernelINS0_14default_configENS1_38merge_sort_block_merge_config_selectorIiNS0_10empty_typeEEEZZNS1_27merge_sort_block_merge_implIS3_N6thrust23THRUST_200600_302600_NS6detail15normal_iteratorINS9_10device_ptrIiEEEEPS5_m14custom_greaterIiEEE10hipError_tT0_T1_T2_jT3_P12ihipStream_tbPNSt15iterator_traitsISJ_E10value_typeEPNSP_ISK_E10value_typeEPSL_NS1_7vsmem_tEENKUlT_SJ_SK_SL_E_clIPiSE_SF_SF_EESI_SY_SJ_SK_SL_EUlSY_E1_NS1_11comp_targetILNS1_3genE10ELNS1_11target_archE1201ELNS1_3gpuE5ELNS1_3repE0EEENS1_36merge_oddeven_config_static_selectorELNS0_4arch9wavefront6targetE1EEEvSK_, .Lfunc_end3105-_ZN7rocprim17ROCPRIM_400000_NS6detail17trampoline_kernelINS0_14default_configENS1_38merge_sort_block_merge_config_selectorIiNS0_10empty_typeEEEZZNS1_27merge_sort_block_merge_implIS3_N6thrust23THRUST_200600_302600_NS6detail15normal_iteratorINS9_10device_ptrIiEEEEPS5_m14custom_greaterIiEEE10hipError_tT0_T1_T2_jT3_P12ihipStream_tbPNSt15iterator_traitsISJ_E10value_typeEPNSP_ISK_E10value_typeEPSL_NS1_7vsmem_tEENKUlT_SJ_SK_SL_E_clIPiSE_SF_SF_EESI_SY_SJ_SK_SL_EUlSY_E1_NS1_11comp_targetILNS1_3genE10ELNS1_11target_archE1201ELNS1_3gpuE5ELNS1_3repE0EEENS1_36merge_oddeven_config_static_selectorELNS0_4arch9wavefront6targetE1EEEvSK_
                                        ; -- End function
	.section	.AMDGPU.csdata,"",@progbits
; Kernel info:
; codeLenInByte = 0
; NumSgprs: 4
; NumVgprs: 0
; NumAgprs: 0
; TotalNumVgprs: 0
; ScratchSize: 0
; MemoryBound: 0
; FloatMode: 240
; IeeeMode: 1
; LDSByteSize: 0 bytes/workgroup (compile time only)
; SGPRBlocks: 0
; VGPRBlocks: 0
; NumSGPRsForWavesPerEU: 4
; NumVGPRsForWavesPerEU: 1
; AccumOffset: 4
; Occupancy: 8
; WaveLimiterHint : 0
; COMPUTE_PGM_RSRC2:SCRATCH_EN: 0
; COMPUTE_PGM_RSRC2:USER_SGPR: 6
; COMPUTE_PGM_RSRC2:TRAP_HANDLER: 0
; COMPUTE_PGM_RSRC2:TGID_X_EN: 1
; COMPUTE_PGM_RSRC2:TGID_Y_EN: 0
; COMPUTE_PGM_RSRC2:TGID_Z_EN: 0
; COMPUTE_PGM_RSRC2:TIDIG_COMP_CNT: 0
; COMPUTE_PGM_RSRC3_GFX90A:ACCUM_OFFSET: 0
; COMPUTE_PGM_RSRC3_GFX90A:TG_SPLIT: 0
	.section	.text._ZN7rocprim17ROCPRIM_400000_NS6detail17trampoline_kernelINS0_14default_configENS1_38merge_sort_block_merge_config_selectorIiNS0_10empty_typeEEEZZNS1_27merge_sort_block_merge_implIS3_N6thrust23THRUST_200600_302600_NS6detail15normal_iteratorINS9_10device_ptrIiEEEEPS5_m14custom_greaterIiEEE10hipError_tT0_T1_T2_jT3_P12ihipStream_tbPNSt15iterator_traitsISJ_E10value_typeEPNSP_ISK_E10value_typeEPSL_NS1_7vsmem_tEENKUlT_SJ_SK_SL_E_clIPiSE_SF_SF_EESI_SY_SJ_SK_SL_EUlSY_E1_NS1_11comp_targetILNS1_3genE5ELNS1_11target_archE942ELNS1_3gpuE9ELNS1_3repE0EEENS1_36merge_oddeven_config_static_selectorELNS0_4arch9wavefront6targetE1EEEvSK_,"axG",@progbits,_ZN7rocprim17ROCPRIM_400000_NS6detail17trampoline_kernelINS0_14default_configENS1_38merge_sort_block_merge_config_selectorIiNS0_10empty_typeEEEZZNS1_27merge_sort_block_merge_implIS3_N6thrust23THRUST_200600_302600_NS6detail15normal_iteratorINS9_10device_ptrIiEEEEPS5_m14custom_greaterIiEEE10hipError_tT0_T1_T2_jT3_P12ihipStream_tbPNSt15iterator_traitsISJ_E10value_typeEPNSP_ISK_E10value_typeEPSL_NS1_7vsmem_tEENKUlT_SJ_SK_SL_E_clIPiSE_SF_SF_EESI_SY_SJ_SK_SL_EUlSY_E1_NS1_11comp_targetILNS1_3genE5ELNS1_11target_archE942ELNS1_3gpuE9ELNS1_3repE0EEENS1_36merge_oddeven_config_static_selectorELNS0_4arch9wavefront6targetE1EEEvSK_,comdat
	.protected	_ZN7rocprim17ROCPRIM_400000_NS6detail17trampoline_kernelINS0_14default_configENS1_38merge_sort_block_merge_config_selectorIiNS0_10empty_typeEEEZZNS1_27merge_sort_block_merge_implIS3_N6thrust23THRUST_200600_302600_NS6detail15normal_iteratorINS9_10device_ptrIiEEEEPS5_m14custom_greaterIiEEE10hipError_tT0_T1_T2_jT3_P12ihipStream_tbPNSt15iterator_traitsISJ_E10value_typeEPNSP_ISK_E10value_typeEPSL_NS1_7vsmem_tEENKUlT_SJ_SK_SL_E_clIPiSE_SF_SF_EESI_SY_SJ_SK_SL_EUlSY_E1_NS1_11comp_targetILNS1_3genE5ELNS1_11target_archE942ELNS1_3gpuE9ELNS1_3repE0EEENS1_36merge_oddeven_config_static_selectorELNS0_4arch9wavefront6targetE1EEEvSK_ ; -- Begin function _ZN7rocprim17ROCPRIM_400000_NS6detail17trampoline_kernelINS0_14default_configENS1_38merge_sort_block_merge_config_selectorIiNS0_10empty_typeEEEZZNS1_27merge_sort_block_merge_implIS3_N6thrust23THRUST_200600_302600_NS6detail15normal_iteratorINS9_10device_ptrIiEEEEPS5_m14custom_greaterIiEEE10hipError_tT0_T1_T2_jT3_P12ihipStream_tbPNSt15iterator_traitsISJ_E10value_typeEPNSP_ISK_E10value_typeEPSL_NS1_7vsmem_tEENKUlT_SJ_SK_SL_E_clIPiSE_SF_SF_EESI_SY_SJ_SK_SL_EUlSY_E1_NS1_11comp_targetILNS1_3genE5ELNS1_11target_archE942ELNS1_3gpuE9ELNS1_3repE0EEENS1_36merge_oddeven_config_static_selectorELNS0_4arch9wavefront6targetE1EEEvSK_
	.globl	_ZN7rocprim17ROCPRIM_400000_NS6detail17trampoline_kernelINS0_14default_configENS1_38merge_sort_block_merge_config_selectorIiNS0_10empty_typeEEEZZNS1_27merge_sort_block_merge_implIS3_N6thrust23THRUST_200600_302600_NS6detail15normal_iteratorINS9_10device_ptrIiEEEEPS5_m14custom_greaterIiEEE10hipError_tT0_T1_T2_jT3_P12ihipStream_tbPNSt15iterator_traitsISJ_E10value_typeEPNSP_ISK_E10value_typeEPSL_NS1_7vsmem_tEENKUlT_SJ_SK_SL_E_clIPiSE_SF_SF_EESI_SY_SJ_SK_SL_EUlSY_E1_NS1_11comp_targetILNS1_3genE5ELNS1_11target_archE942ELNS1_3gpuE9ELNS1_3repE0EEENS1_36merge_oddeven_config_static_selectorELNS0_4arch9wavefront6targetE1EEEvSK_
	.p2align	8
	.type	_ZN7rocprim17ROCPRIM_400000_NS6detail17trampoline_kernelINS0_14default_configENS1_38merge_sort_block_merge_config_selectorIiNS0_10empty_typeEEEZZNS1_27merge_sort_block_merge_implIS3_N6thrust23THRUST_200600_302600_NS6detail15normal_iteratorINS9_10device_ptrIiEEEEPS5_m14custom_greaterIiEEE10hipError_tT0_T1_T2_jT3_P12ihipStream_tbPNSt15iterator_traitsISJ_E10value_typeEPNSP_ISK_E10value_typeEPSL_NS1_7vsmem_tEENKUlT_SJ_SK_SL_E_clIPiSE_SF_SF_EESI_SY_SJ_SK_SL_EUlSY_E1_NS1_11comp_targetILNS1_3genE5ELNS1_11target_archE942ELNS1_3gpuE9ELNS1_3repE0EEENS1_36merge_oddeven_config_static_selectorELNS0_4arch9wavefront6targetE1EEEvSK_,@function
_ZN7rocprim17ROCPRIM_400000_NS6detail17trampoline_kernelINS0_14default_configENS1_38merge_sort_block_merge_config_selectorIiNS0_10empty_typeEEEZZNS1_27merge_sort_block_merge_implIS3_N6thrust23THRUST_200600_302600_NS6detail15normal_iteratorINS9_10device_ptrIiEEEEPS5_m14custom_greaterIiEEE10hipError_tT0_T1_T2_jT3_P12ihipStream_tbPNSt15iterator_traitsISJ_E10value_typeEPNSP_ISK_E10value_typeEPSL_NS1_7vsmem_tEENKUlT_SJ_SK_SL_E_clIPiSE_SF_SF_EESI_SY_SJ_SK_SL_EUlSY_E1_NS1_11comp_targetILNS1_3genE5ELNS1_11target_archE942ELNS1_3gpuE9ELNS1_3repE0EEENS1_36merge_oddeven_config_static_selectorELNS0_4arch9wavefront6targetE1EEEvSK_: ; @_ZN7rocprim17ROCPRIM_400000_NS6detail17trampoline_kernelINS0_14default_configENS1_38merge_sort_block_merge_config_selectorIiNS0_10empty_typeEEEZZNS1_27merge_sort_block_merge_implIS3_N6thrust23THRUST_200600_302600_NS6detail15normal_iteratorINS9_10device_ptrIiEEEEPS5_m14custom_greaterIiEEE10hipError_tT0_T1_T2_jT3_P12ihipStream_tbPNSt15iterator_traitsISJ_E10value_typeEPNSP_ISK_E10value_typeEPSL_NS1_7vsmem_tEENKUlT_SJ_SK_SL_E_clIPiSE_SF_SF_EESI_SY_SJ_SK_SL_EUlSY_E1_NS1_11comp_targetILNS1_3genE5ELNS1_11target_archE942ELNS1_3gpuE9ELNS1_3repE0EEENS1_36merge_oddeven_config_static_selectorELNS0_4arch9wavefront6targetE1EEEvSK_
; %bb.0:
	.section	.rodata,"a",@progbits
	.p2align	6, 0x0
	.amdhsa_kernel _ZN7rocprim17ROCPRIM_400000_NS6detail17trampoline_kernelINS0_14default_configENS1_38merge_sort_block_merge_config_selectorIiNS0_10empty_typeEEEZZNS1_27merge_sort_block_merge_implIS3_N6thrust23THRUST_200600_302600_NS6detail15normal_iteratorINS9_10device_ptrIiEEEEPS5_m14custom_greaterIiEEE10hipError_tT0_T1_T2_jT3_P12ihipStream_tbPNSt15iterator_traitsISJ_E10value_typeEPNSP_ISK_E10value_typeEPSL_NS1_7vsmem_tEENKUlT_SJ_SK_SL_E_clIPiSE_SF_SF_EESI_SY_SJ_SK_SL_EUlSY_E1_NS1_11comp_targetILNS1_3genE5ELNS1_11target_archE942ELNS1_3gpuE9ELNS1_3repE0EEENS1_36merge_oddeven_config_static_selectorELNS0_4arch9wavefront6targetE1EEEvSK_
		.amdhsa_group_segment_fixed_size 0
		.amdhsa_private_segment_fixed_size 0
		.amdhsa_kernarg_size 56
		.amdhsa_user_sgpr_count 6
		.amdhsa_user_sgpr_private_segment_buffer 1
		.amdhsa_user_sgpr_dispatch_ptr 0
		.amdhsa_user_sgpr_queue_ptr 0
		.amdhsa_user_sgpr_kernarg_segment_ptr 1
		.amdhsa_user_sgpr_dispatch_id 0
		.amdhsa_user_sgpr_flat_scratch_init 0
		.amdhsa_user_sgpr_kernarg_preload_length 0
		.amdhsa_user_sgpr_kernarg_preload_offset 0
		.amdhsa_user_sgpr_private_segment_size 0
		.amdhsa_uses_dynamic_stack 0
		.amdhsa_system_sgpr_private_segment_wavefront_offset 0
		.amdhsa_system_sgpr_workgroup_id_x 1
		.amdhsa_system_sgpr_workgroup_id_y 0
		.amdhsa_system_sgpr_workgroup_id_z 0
		.amdhsa_system_sgpr_workgroup_info 0
		.amdhsa_system_vgpr_workitem_id 0
		.amdhsa_next_free_vgpr 1
		.amdhsa_next_free_sgpr 0
		.amdhsa_accum_offset 4
		.amdhsa_reserve_vcc 0
		.amdhsa_reserve_flat_scratch 0
		.amdhsa_float_round_mode_32 0
		.amdhsa_float_round_mode_16_64 0
		.amdhsa_float_denorm_mode_32 3
		.amdhsa_float_denorm_mode_16_64 3
		.amdhsa_dx10_clamp 1
		.amdhsa_ieee_mode 1
		.amdhsa_fp16_overflow 0
		.amdhsa_tg_split 0
		.amdhsa_exception_fp_ieee_invalid_op 0
		.amdhsa_exception_fp_denorm_src 0
		.amdhsa_exception_fp_ieee_div_zero 0
		.amdhsa_exception_fp_ieee_overflow 0
		.amdhsa_exception_fp_ieee_underflow 0
		.amdhsa_exception_fp_ieee_inexact 0
		.amdhsa_exception_int_div_zero 0
	.end_amdhsa_kernel
	.section	.text._ZN7rocprim17ROCPRIM_400000_NS6detail17trampoline_kernelINS0_14default_configENS1_38merge_sort_block_merge_config_selectorIiNS0_10empty_typeEEEZZNS1_27merge_sort_block_merge_implIS3_N6thrust23THRUST_200600_302600_NS6detail15normal_iteratorINS9_10device_ptrIiEEEEPS5_m14custom_greaterIiEEE10hipError_tT0_T1_T2_jT3_P12ihipStream_tbPNSt15iterator_traitsISJ_E10value_typeEPNSP_ISK_E10value_typeEPSL_NS1_7vsmem_tEENKUlT_SJ_SK_SL_E_clIPiSE_SF_SF_EESI_SY_SJ_SK_SL_EUlSY_E1_NS1_11comp_targetILNS1_3genE5ELNS1_11target_archE942ELNS1_3gpuE9ELNS1_3repE0EEENS1_36merge_oddeven_config_static_selectorELNS0_4arch9wavefront6targetE1EEEvSK_,"axG",@progbits,_ZN7rocprim17ROCPRIM_400000_NS6detail17trampoline_kernelINS0_14default_configENS1_38merge_sort_block_merge_config_selectorIiNS0_10empty_typeEEEZZNS1_27merge_sort_block_merge_implIS3_N6thrust23THRUST_200600_302600_NS6detail15normal_iteratorINS9_10device_ptrIiEEEEPS5_m14custom_greaterIiEEE10hipError_tT0_T1_T2_jT3_P12ihipStream_tbPNSt15iterator_traitsISJ_E10value_typeEPNSP_ISK_E10value_typeEPSL_NS1_7vsmem_tEENKUlT_SJ_SK_SL_E_clIPiSE_SF_SF_EESI_SY_SJ_SK_SL_EUlSY_E1_NS1_11comp_targetILNS1_3genE5ELNS1_11target_archE942ELNS1_3gpuE9ELNS1_3repE0EEENS1_36merge_oddeven_config_static_selectorELNS0_4arch9wavefront6targetE1EEEvSK_,comdat
.Lfunc_end3106:
	.size	_ZN7rocprim17ROCPRIM_400000_NS6detail17trampoline_kernelINS0_14default_configENS1_38merge_sort_block_merge_config_selectorIiNS0_10empty_typeEEEZZNS1_27merge_sort_block_merge_implIS3_N6thrust23THRUST_200600_302600_NS6detail15normal_iteratorINS9_10device_ptrIiEEEEPS5_m14custom_greaterIiEEE10hipError_tT0_T1_T2_jT3_P12ihipStream_tbPNSt15iterator_traitsISJ_E10value_typeEPNSP_ISK_E10value_typeEPSL_NS1_7vsmem_tEENKUlT_SJ_SK_SL_E_clIPiSE_SF_SF_EESI_SY_SJ_SK_SL_EUlSY_E1_NS1_11comp_targetILNS1_3genE5ELNS1_11target_archE942ELNS1_3gpuE9ELNS1_3repE0EEENS1_36merge_oddeven_config_static_selectorELNS0_4arch9wavefront6targetE1EEEvSK_, .Lfunc_end3106-_ZN7rocprim17ROCPRIM_400000_NS6detail17trampoline_kernelINS0_14default_configENS1_38merge_sort_block_merge_config_selectorIiNS0_10empty_typeEEEZZNS1_27merge_sort_block_merge_implIS3_N6thrust23THRUST_200600_302600_NS6detail15normal_iteratorINS9_10device_ptrIiEEEEPS5_m14custom_greaterIiEEE10hipError_tT0_T1_T2_jT3_P12ihipStream_tbPNSt15iterator_traitsISJ_E10value_typeEPNSP_ISK_E10value_typeEPSL_NS1_7vsmem_tEENKUlT_SJ_SK_SL_E_clIPiSE_SF_SF_EESI_SY_SJ_SK_SL_EUlSY_E1_NS1_11comp_targetILNS1_3genE5ELNS1_11target_archE942ELNS1_3gpuE9ELNS1_3repE0EEENS1_36merge_oddeven_config_static_selectorELNS0_4arch9wavefront6targetE1EEEvSK_
                                        ; -- End function
	.section	.AMDGPU.csdata,"",@progbits
; Kernel info:
; codeLenInByte = 0
; NumSgprs: 4
; NumVgprs: 0
; NumAgprs: 0
; TotalNumVgprs: 0
; ScratchSize: 0
; MemoryBound: 0
; FloatMode: 240
; IeeeMode: 1
; LDSByteSize: 0 bytes/workgroup (compile time only)
; SGPRBlocks: 0
; VGPRBlocks: 0
; NumSGPRsForWavesPerEU: 4
; NumVGPRsForWavesPerEU: 1
; AccumOffset: 4
; Occupancy: 8
; WaveLimiterHint : 0
; COMPUTE_PGM_RSRC2:SCRATCH_EN: 0
; COMPUTE_PGM_RSRC2:USER_SGPR: 6
; COMPUTE_PGM_RSRC2:TRAP_HANDLER: 0
; COMPUTE_PGM_RSRC2:TGID_X_EN: 1
; COMPUTE_PGM_RSRC2:TGID_Y_EN: 0
; COMPUTE_PGM_RSRC2:TGID_Z_EN: 0
; COMPUTE_PGM_RSRC2:TIDIG_COMP_CNT: 0
; COMPUTE_PGM_RSRC3_GFX90A:ACCUM_OFFSET: 0
; COMPUTE_PGM_RSRC3_GFX90A:TG_SPLIT: 0
	.section	.text._ZN7rocprim17ROCPRIM_400000_NS6detail17trampoline_kernelINS0_14default_configENS1_38merge_sort_block_merge_config_selectorIiNS0_10empty_typeEEEZZNS1_27merge_sort_block_merge_implIS3_N6thrust23THRUST_200600_302600_NS6detail15normal_iteratorINS9_10device_ptrIiEEEEPS5_m14custom_greaterIiEEE10hipError_tT0_T1_T2_jT3_P12ihipStream_tbPNSt15iterator_traitsISJ_E10value_typeEPNSP_ISK_E10value_typeEPSL_NS1_7vsmem_tEENKUlT_SJ_SK_SL_E_clIPiSE_SF_SF_EESI_SY_SJ_SK_SL_EUlSY_E1_NS1_11comp_targetILNS1_3genE4ELNS1_11target_archE910ELNS1_3gpuE8ELNS1_3repE0EEENS1_36merge_oddeven_config_static_selectorELNS0_4arch9wavefront6targetE1EEEvSK_,"axG",@progbits,_ZN7rocprim17ROCPRIM_400000_NS6detail17trampoline_kernelINS0_14default_configENS1_38merge_sort_block_merge_config_selectorIiNS0_10empty_typeEEEZZNS1_27merge_sort_block_merge_implIS3_N6thrust23THRUST_200600_302600_NS6detail15normal_iteratorINS9_10device_ptrIiEEEEPS5_m14custom_greaterIiEEE10hipError_tT0_T1_T2_jT3_P12ihipStream_tbPNSt15iterator_traitsISJ_E10value_typeEPNSP_ISK_E10value_typeEPSL_NS1_7vsmem_tEENKUlT_SJ_SK_SL_E_clIPiSE_SF_SF_EESI_SY_SJ_SK_SL_EUlSY_E1_NS1_11comp_targetILNS1_3genE4ELNS1_11target_archE910ELNS1_3gpuE8ELNS1_3repE0EEENS1_36merge_oddeven_config_static_selectorELNS0_4arch9wavefront6targetE1EEEvSK_,comdat
	.protected	_ZN7rocprim17ROCPRIM_400000_NS6detail17trampoline_kernelINS0_14default_configENS1_38merge_sort_block_merge_config_selectorIiNS0_10empty_typeEEEZZNS1_27merge_sort_block_merge_implIS3_N6thrust23THRUST_200600_302600_NS6detail15normal_iteratorINS9_10device_ptrIiEEEEPS5_m14custom_greaterIiEEE10hipError_tT0_T1_T2_jT3_P12ihipStream_tbPNSt15iterator_traitsISJ_E10value_typeEPNSP_ISK_E10value_typeEPSL_NS1_7vsmem_tEENKUlT_SJ_SK_SL_E_clIPiSE_SF_SF_EESI_SY_SJ_SK_SL_EUlSY_E1_NS1_11comp_targetILNS1_3genE4ELNS1_11target_archE910ELNS1_3gpuE8ELNS1_3repE0EEENS1_36merge_oddeven_config_static_selectorELNS0_4arch9wavefront6targetE1EEEvSK_ ; -- Begin function _ZN7rocprim17ROCPRIM_400000_NS6detail17trampoline_kernelINS0_14default_configENS1_38merge_sort_block_merge_config_selectorIiNS0_10empty_typeEEEZZNS1_27merge_sort_block_merge_implIS3_N6thrust23THRUST_200600_302600_NS6detail15normal_iteratorINS9_10device_ptrIiEEEEPS5_m14custom_greaterIiEEE10hipError_tT0_T1_T2_jT3_P12ihipStream_tbPNSt15iterator_traitsISJ_E10value_typeEPNSP_ISK_E10value_typeEPSL_NS1_7vsmem_tEENKUlT_SJ_SK_SL_E_clIPiSE_SF_SF_EESI_SY_SJ_SK_SL_EUlSY_E1_NS1_11comp_targetILNS1_3genE4ELNS1_11target_archE910ELNS1_3gpuE8ELNS1_3repE0EEENS1_36merge_oddeven_config_static_selectorELNS0_4arch9wavefront6targetE1EEEvSK_
	.globl	_ZN7rocprim17ROCPRIM_400000_NS6detail17trampoline_kernelINS0_14default_configENS1_38merge_sort_block_merge_config_selectorIiNS0_10empty_typeEEEZZNS1_27merge_sort_block_merge_implIS3_N6thrust23THRUST_200600_302600_NS6detail15normal_iteratorINS9_10device_ptrIiEEEEPS5_m14custom_greaterIiEEE10hipError_tT0_T1_T2_jT3_P12ihipStream_tbPNSt15iterator_traitsISJ_E10value_typeEPNSP_ISK_E10value_typeEPSL_NS1_7vsmem_tEENKUlT_SJ_SK_SL_E_clIPiSE_SF_SF_EESI_SY_SJ_SK_SL_EUlSY_E1_NS1_11comp_targetILNS1_3genE4ELNS1_11target_archE910ELNS1_3gpuE8ELNS1_3repE0EEENS1_36merge_oddeven_config_static_selectorELNS0_4arch9wavefront6targetE1EEEvSK_
	.p2align	8
	.type	_ZN7rocprim17ROCPRIM_400000_NS6detail17trampoline_kernelINS0_14default_configENS1_38merge_sort_block_merge_config_selectorIiNS0_10empty_typeEEEZZNS1_27merge_sort_block_merge_implIS3_N6thrust23THRUST_200600_302600_NS6detail15normal_iteratorINS9_10device_ptrIiEEEEPS5_m14custom_greaterIiEEE10hipError_tT0_T1_T2_jT3_P12ihipStream_tbPNSt15iterator_traitsISJ_E10value_typeEPNSP_ISK_E10value_typeEPSL_NS1_7vsmem_tEENKUlT_SJ_SK_SL_E_clIPiSE_SF_SF_EESI_SY_SJ_SK_SL_EUlSY_E1_NS1_11comp_targetILNS1_3genE4ELNS1_11target_archE910ELNS1_3gpuE8ELNS1_3repE0EEENS1_36merge_oddeven_config_static_selectorELNS0_4arch9wavefront6targetE1EEEvSK_,@function
_ZN7rocprim17ROCPRIM_400000_NS6detail17trampoline_kernelINS0_14default_configENS1_38merge_sort_block_merge_config_selectorIiNS0_10empty_typeEEEZZNS1_27merge_sort_block_merge_implIS3_N6thrust23THRUST_200600_302600_NS6detail15normal_iteratorINS9_10device_ptrIiEEEEPS5_m14custom_greaterIiEEE10hipError_tT0_T1_T2_jT3_P12ihipStream_tbPNSt15iterator_traitsISJ_E10value_typeEPNSP_ISK_E10value_typeEPSL_NS1_7vsmem_tEENKUlT_SJ_SK_SL_E_clIPiSE_SF_SF_EESI_SY_SJ_SK_SL_EUlSY_E1_NS1_11comp_targetILNS1_3genE4ELNS1_11target_archE910ELNS1_3gpuE8ELNS1_3repE0EEENS1_36merge_oddeven_config_static_selectorELNS0_4arch9wavefront6targetE1EEEvSK_: ; @_ZN7rocprim17ROCPRIM_400000_NS6detail17trampoline_kernelINS0_14default_configENS1_38merge_sort_block_merge_config_selectorIiNS0_10empty_typeEEEZZNS1_27merge_sort_block_merge_implIS3_N6thrust23THRUST_200600_302600_NS6detail15normal_iteratorINS9_10device_ptrIiEEEEPS5_m14custom_greaterIiEEE10hipError_tT0_T1_T2_jT3_P12ihipStream_tbPNSt15iterator_traitsISJ_E10value_typeEPNSP_ISK_E10value_typeEPSL_NS1_7vsmem_tEENKUlT_SJ_SK_SL_E_clIPiSE_SF_SF_EESI_SY_SJ_SK_SL_EUlSY_E1_NS1_11comp_targetILNS1_3genE4ELNS1_11target_archE910ELNS1_3gpuE8ELNS1_3repE0EEENS1_36merge_oddeven_config_static_selectorELNS0_4arch9wavefront6targetE1EEEvSK_
; %bb.0:
	s_load_dword s18, s[4:5], 0x20
	s_waitcnt lgkmcnt(0)
	s_lshr_b32 s0, s18, 8
	s_cmp_lg_u32 s6, s0
	s_cselect_b64 s[14:15], -1, 0
	s_cmp_eq_u32 s6, s0
	s_cselect_b64 s[12:13], -1, 0
	s_lshl_b32 s16, s6, 8
	s_sub_i32 s0, s18, s16
	v_cmp_gt_u32_e64 s[2:3], s0, v0
	s_or_b64 s[0:1], s[14:15], s[2:3]
	s_and_saveexec_b64 s[8:9], s[0:1]
	s_cbranch_execz .LBB3107_20
; %bb.1:
	s_load_dwordx4 s[8:11], s[4:5], 0x0
	s_load_dword s19, s[4:5], 0x28
	s_mov_b32 s17, 0
	s_lshl_b64 s[0:1], s[16:17], 2
	v_lshlrev_b32_e32 v1, 2, v0
	s_waitcnt lgkmcnt(0)
	s_add_u32 s0, s8, s0
	s_addc_u32 s1, s9, s1
	global_load_dword v2, v1, s[0:1]
	s_lshr_b32 s0, s19, 8
	s_sub_i32 s1, 0, s0
	s_and_b32 s1, s6, s1
	s_and_b32 s0, s1, s0
	s_lshl_b32 s20, s1, 8
	s_sub_i32 s6, 0, s19
	s_cmp_eq_u32 s0, 0
	s_cselect_b64 s[0:1], -1, 0
	s_and_b64 s[4:5], s[0:1], exec
	s_cselect_b32 s17, s19, s6
	s_add_i32 s17, s17, s20
	s_cmp_lt_u32 s17, s18
	v_add_u32_e32 v0, s16, v0
	s_cbranch_scc1 .LBB3107_3
; %bb.2:
	v_cmp_gt_u32_e32 vcc, s18, v0
	s_or_b64 s[4:5], vcc, s[14:15]
	s_and_b64 s[4:5], s[4:5], exec
	s_cbranch_execz .LBB3107_4
	s_branch .LBB3107_18
.LBB3107_3:
	s_mov_b64 s[4:5], 0
.LBB3107_4:
	s_min_u32 s14, s17, s18
	s_add_i32 s6, s14, s19
	s_min_u32 s15, s6, s18
	s_min_u32 s6, s20, s14
	s_add_i32 s20, s20, s14
	v_subrev_u32_e32 v0, s20, v0
	v_add_u32_e32 v3, s6, v0
	s_and_b64 vcc, exec, s[12:13]
	s_cbranch_vccz .LBB3107_12
; %bb.5:
                                        ; implicit-def: $vgpr0
	s_and_saveexec_b64 s[6:7], s[2:3]
	s_cbranch_execz .LBB3107_11
; %bb.6:
	s_cmp_ge_u32 s17, s15
	v_mov_b32_e32 v4, s14
	s_cbranch_scc1 .LBB3107_10
; %bb.7:
	s_mov_b64 s[2:3], 0
	v_mov_b32_e32 v5, s15
	v_mov_b32_e32 v4, s14
	;; [unrolled: 1-line block ×4, first 2 shown]
.LBB3107_8:                             ; =>This Inner Loop Header: Depth=1
	v_add_u32_e32 v0, v4, v5
	v_lshrrev_b32_e32 v0, 1, v0
	v_lshlrev_b64 v[8:9], 2, v[0:1]
	v_add_co_u32_e32 v8, vcc, s8, v8
	v_addc_co_u32_e32 v9, vcc, v6, v9, vcc
	global_load_dword v7, v[8:9], off
	v_add_u32_e32 v8, 1, v0
	s_waitcnt vmcnt(0)
	v_cmp_gt_i32_e32 vcc, v2, v7
	v_cndmask_b32_e64 v9, 0, 1, vcc
	v_cmp_le_i32_e32 vcc, v7, v2
	v_cndmask_b32_e64 v7, 0, 1, vcc
	v_cndmask_b32_e64 v7, v7, v9, s[0:1]
	v_and_b32_e32 v7, 1, v7
	v_cmp_eq_u32_e32 vcc, 1, v7
	v_cndmask_b32_e32 v5, v0, v5, vcc
	v_cndmask_b32_e32 v4, v4, v8, vcc
	v_cmp_ge_u32_e32 vcc, v4, v5
	s_or_b64 s[2:3], vcc, s[2:3]
	s_andn2_b64 exec, exec, s[2:3]
	s_cbranch_execnz .LBB3107_8
; %bb.9:
	s_or_b64 exec, exec, s[2:3]
.LBB3107_10:
	v_add_u32_e32 v0, v4, v3
	s_or_b64 s[4:5], s[4:5], exec
.LBB3107_11:
	s_or_b64 exec, exec, s[6:7]
	s_branch .LBB3107_18
.LBB3107_12:
                                        ; implicit-def: $vgpr0
	s_cbranch_execz .LBB3107_18
; %bb.13:
	s_cmp_ge_u32 s17, s15
	v_mov_b32_e32 v4, s14
	s_cbranch_scc1 .LBB3107_17
; %bb.14:
	s_mov_b64 s[2:3], 0
	v_mov_b32_e32 v5, s15
	v_mov_b32_e32 v4, s14
	;; [unrolled: 1-line block ×4, first 2 shown]
.LBB3107_15:                            ; =>This Inner Loop Header: Depth=1
	v_add_u32_e32 v0, v4, v5
	v_lshrrev_b32_e32 v0, 1, v0
	v_lshlrev_b64 v[8:9], 2, v[0:1]
	v_add_co_u32_e32 v8, vcc, s8, v8
	v_addc_co_u32_e32 v9, vcc, v6, v9, vcc
	global_load_dword v7, v[8:9], off
	v_add_u32_e32 v8, 1, v0
	s_waitcnt vmcnt(0)
	v_cmp_gt_i32_e32 vcc, v2, v7
	v_cndmask_b32_e64 v9, 0, 1, vcc
	v_cmp_le_i32_e32 vcc, v7, v2
	v_cndmask_b32_e64 v7, 0, 1, vcc
	v_cndmask_b32_e64 v7, v7, v9, s[0:1]
	v_and_b32_e32 v7, 1, v7
	v_cmp_eq_u32_e32 vcc, 1, v7
	v_cndmask_b32_e32 v5, v0, v5, vcc
	v_cndmask_b32_e32 v4, v4, v8, vcc
	v_cmp_ge_u32_e32 vcc, v4, v5
	s_or_b64 s[2:3], vcc, s[2:3]
	s_andn2_b64 exec, exec, s[2:3]
	s_cbranch_execnz .LBB3107_15
; %bb.16:
	s_or_b64 exec, exec, s[2:3]
.LBB3107_17:
	v_add_u32_e32 v0, v4, v3
	s_mov_b64 s[4:5], -1
.LBB3107_18:
	s_and_b64 exec, exec, s[4:5]
	s_cbranch_execz .LBB3107_20
; %bb.19:
	v_mov_b32_e32 v1, 0
	v_lshlrev_b64 v[0:1], 2, v[0:1]
	v_mov_b32_e32 v3, s11
	v_add_co_u32_e32 v0, vcc, s10, v0
	v_addc_co_u32_e32 v1, vcc, v3, v1, vcc
	s_waitcnt vmcnt(0)
	global_store_dword v[0:1], v2, off
.LBB3107_20:
	s_endpgm
	.section	.rodata,"a",@progbits
	.p2align	6, 0x0
	.amdhsa_kernel _ZN7rocprim17ROCPRIM_400000_NS6detail17trampoline_kernelINS0_14default_configENS1_38merge_sort_block_merge_config_selectorIiNS0_10empty_typeEEEZZNS1_27merge_sort_block_merge_implIS3_N6thrust23THRUST_200600_302600_NS6detail15normal_iteratorINS9_10device_ptrIiEEEEPS5_m14custom_greaterIiEEE10hipError_tT0_T1_T2_jT3_P12ihipStream_tbPNSt15iterator_traitsISJ_E10value_typeEPNSP_ISK_E10value_typeEPSL_NS1_7vsmem_tEENKUlT_SJ_SK_SL_E_clIPiSE_SF_SF_EESI_SY_SJ_SK_SL_EUlSY_E1_NS1_11comp_targetILNS1_3genE4ELNS1_11target_archE910ELNS1_3gpuE8ELNS1_3repE0EEENS1_36merge_oddeven_config_static_selectorELNS0_4arch9wavefront6targetE1EEEvSK_
		.amdhsa_group_segment_fixed_size 0
		.amdhsa_private_segment_fixed_size 0
		.amdhsa_kernarg_size 56
		.amdhsa_user_sgpr_count 6
		.amdhsa_user_sgpr_private_segment_buffer 1
		.amdhsa_user_sgpr_dispatch_ptr 0
		.amdhsa_user_sgpr_queue_ptr 0
		.amdhsa_user_sgpr_kernarg_segment_ptr 1
		.amdhsa_user_sgpr_dispatch_id 0
		.amdhsa_user_sgpr_flat_scratch_init 0
		.amdhsa_user_sgpr_kernarg_preload_length 0
		.amdhsa_user_sgpr_kernarg_preload_offset 0
		.amdhsa_user_sgpr_private_segment_size 0
		.amdhsa_uses_dynamic_stack 0
		.amdhsa_system_sgpr_private_segment_wavefront_offset 0
		.amdhsa_system_sgpr_workgroup_id_x 1
		.amdhsa_system_sgpr_workgroup_id_y 0
		.amdhsa_system_sgpr_workgroup_id_z 0
		.amdhsa_system_sgpr_workgroup_info 0
		.amdhsa_system_vgpr_workitem_id 0
		.amdhsa_next_free_vgpr 10
		.amdhsa_next_free_sgpr 21
		.amdhsa_accum_offset 12
		.amdhsa_reserve_vcc 1
		.amdhsa_reserve_flat_scratch 0
		.amdhsa_float_round_mode_32 0
		.amdhsa_float_round_mode_16_64 0
		.amdhsa_float_denorm_mode_32 3
		.amdhsa_float_denorm_mode_16_64 3
		.amdhsa_dx10_clamp 1
		.amdhsa_ieee_mode 1
		.amdhsa_fp16_overflow 0
		.amdhsa_tg_split 0
		.amdhsa_exception_fp_ieee_invalid_op 0
		.amdhsa_exception_fp_denorm_src 0
		.amdhsa_exception_fp_ieee_div_zero 0
		.amdhsa_exception_fp_ieee_overflow 0
		.amdhsa_exception_fp_ieee_underflow 0
		.amdhsa_exception_fp_ieee_inexact 0
		.amdhsa_exception_int_div_zero 0
	.end_amdhsa_kernel
	.section	.text._ZN7rocprim17ROCPRIM_400000_NS6detail17trampoline_kernelINS0_14default_configENS1_38merge_sort_block_merge_config_selectorIiNS0_10empty_typeEEEZZNS1_27merge_sort_block_merge_implIS3_N6thrust23THRUST_200600_302600_NS6detail15normal_iteratorINS9_10device_ptrIiEEEEPS5_m14custom_greaterIiEEE10hipError_tT0_T1_T2_jT3_P12ihipStream_tbPNSt15iterator_traitsISJ_E10value_typeEPNSP_ISK_E10value_typeEPSL_NS1_7vsmem_tEENKUlT_SJ_SK_SL_E_clIPiSE_SF_SF_EESI_SY_SJ_SK_SL_EUlSY_E1_NS1_11comp_targetILNS1_3genE4ELNS1_11target_archE910ELNS1_3gpuE8ELNS1_3repE0EEENS1_36merge_oddeven_config_static_selectorELNS0_4arch9wavefront6targetE1EEEvSK_,"axG",@progbits,_ZN7rocprim17ROCPRIM_400000_NS6detail17trampoline_kernelINS0_14default_configENS1_38merge_sort_block_merge_config_selectorIiNS0_10empty_typeEEEZZNS1_27merge_sort_block_merge_implIS3_N6thrust23THRUST_200600_302600_NS6detail15normal_iteratorINS9_10device_ptrIiEEEEPS5_m14custom_greaterIiEEE10hipError_tT0_T1_T2_jT3_P12ihipStream_tbPNSt15iterator_traitsISJ_E10value_typeEPNSP_ISK_E10value_typeEPSL_NS1_7vsmem_tEENKUlT_SJ_SK_SL_E_clIPiSE_SF_SF_EESI_SY_SJ_SK_SL_EUlSY_E1_NS1_11comp_targetILNS1_3genE4ELNS1_11target_archE910ELNS1_3gpuE8ELNS1_3repE0EEENS1_36merge_oddeven_config_static_selectorELNS0_4arch9wavefront6targetE1EEEvSK_,comdat
.Lfunc_end3107:
	.size	_ZN7rocprim17ROCPRIM_400000_NS6detail17trampoline_kernelINS0_14default_configENS1_38merge_sort_block_merge_config_selectorIiNS0_10empty_typeEEEZZNS1_27merge_sort_block_merge_implIS3_N6thrust23THRUST_200600_302600_NS6detail15normal_iteratorINS9_10device_ptrIiEEEEPS5_m14custom_greaterIiEEE10hipError_tT0_T1_T2_jT3_P12ihipStream_tbPNSt15iterator_traitsISJ_E10value_typeEPNSP_ISK_E10value_typeEPSL_NS1_7vsmem_tEENKUlT_SJ_SK_SL_E_clIPiSE_SF_SF_EESI_SY_SJ_SK_SL_EUlSY_E1_NS1_11comp_targetILNS1_3genE4ELNS1_11target_archE910ELNS1_3gpuE8ELNS1_3repE0EEENS1_36merge_oddeven_config_static_selectorELNS0_4arch9wavefront6targetE1EEEvSK_, .Lfunc_end3107-_ZN7rocprim17ROCPRIM_400000_NS6detail17trampoline_kernelINS0_14default_configENS1_38merge_sort_block_merge_config_selectorIiNS0_10empty_typeEEEZZNS1_27merge_sort_block_merge_implIS3_N6thrust23THRUST_200600_302600_NS6detail15normal_iteratorINS9_10device_ptrIiEEEEPS5_m14custom_greaterIiEEE10hipError_tT0_T1_T2_jT3_P12ihipStream_tbPNSt15iterator_traitsISJ_E10value_typeEPNSP_ISK_E10value_typeEPSL_NS1_7vsmem_tEENKUlT_SJ_SK_SL_E_clIPiSE_SF_SF_EESI_SY_SJ_SK_SL_EUlSY_E1_NS1_11comp_targetILNS1_3genE4ELNS1_11target_archE910ELNS1_3gpuE8ELNS1_3repE0EEENS1_36merge_oddeven_config_static_selectorELNS0_4arch9wavefront6targetE1EEEvSK_
                                        ; -- End function
	.section	.AMDGPU.csdata,"",@progbits
; Kernel info:
; codeLenInByte = 588
; NumSgprs: 25
; NumVgprs: 10
; NumAgprs: 0
; TotalNumVgprs: 10
; ScratchSize: 0
; MemoryBound: 0
; FloatMode: 240
; IeeeMode: 1
; LDSByteSize: 0 bytes/workgroup (compile time only)
; SGPRBlocks: 3
; VGPRBlocks: 1
; NumSGPRsForWavesPerEU: 25
; NumVGPRsForWavesPerEU: 10
; AccumOffset: 12
; Occupancy: 8
; WaveLimiterHint : 0
; COMPUTE_PGM_RSRC2:SCRATCH_EN: 0
; COMPUTE_PGM_RSRC2:USER_SGPR: 6
; COMPUTE_PGM_RSRC2:TRAP_HANDLER: 0
; COMPUTE_PGM_RSRC2:TGID_X_EN: 1
; COMPUTE_PGM_RSRC2:TGID_Y_EN: 0
; COMPUTE_PGM_RSRC2:TGID_Z_EN: 0
; COMPUTE_PGM_RSRC2:TIDIG_COMP_CNT: 0
; COMPUTE_PGM_RSRC3_GFX90A:ACCUM_OFFSET: 2
; COMPUTE_PGM_RSRC3_GFX90A:TG_SPLIT: 0
	.section	.text._ZN7rocprim17ROCPRIM_400000_NS6detail17trampoline_kernelINS0_14default_configENS1_38merge_sort_block_merge_config_selectorIiNS0_10empty_typeEEEZZNS1_27merge_sort_block_merge_implIS3_N6thrust23THRUST_200600_302600_NS6detail15normal_iteratorINS9_10device_ptrIiEEEEPS5_m14custom_greaterIiEEE10hipError_tT0_T1_T2_jT3_P12ihipStream_tbPNSt15iterator_traitsISJ_E10value_typeEPNSP_ISK_E10value_typeEPSL_NS1_7vsmem_tEENKUlT_SJ_SK_SL_E_clIPiSE_SF_SF_EESI_SY_SJ_SK_SL_EUlSY_E1_NS1_11comp_targetILNS1_3genE3ELNS1_11target_archE908ELNS1_3gpuE7ELNS1_3repE0EEENS1_36merge_oddeven_config_static_selectorELNS0_4arch9wavefront6targetE1EEEvSK_,"axG",@progbits,_ZN7rocprim17ROCPRIM_400000_NS6detail17trampoline_kernelINS0_14default_configENS1_38merge_sort_block_merge_config_selectorIiNS0_10empty_typeEEEZZNS1_27merge_sort_block_merge_implIS3_N6thrust23THRUST_200600_302600_NS6detail15normal_iteratorINS9_10device_ptrIiEEEEPS5_m14custom_greaterIiEEE10hipError_tT0_T1_T2_jT3_P12ihipStream_tbPNSt15iterator_traitsISJ_E10value_typeEPNSP_ISK_E10value_typeEPSL_NS1_7vsmem_tEENKUlT_SJ_SK_SL_E_clIPiSE_SF_SF_EESI_SY_SJ_SK_SL_EUlSY_E1_NS1_11comp_targetILNS1_3genE3ELNS1_11target_archE908ELNS1_3gpuE7ELNS1_3repE0EEENS1_36merge_oddeven_config_static_selectorELNS0_4arch9wavefront6targetE1EEEvSK_,comdat
	.protected	_ZN7rocprim17ROCPRIM_400000_NS6detail17trampoline_kernelINS0_14default_configENS1_38merge_sort_block_merge_config_selectorIiNS0_10empty_typeEEEZZNS1_27merge_sort_block_merge_implIS3_N6thrust23THRUST_200600_302600_NS6detail15normal_iteratorINS9_10device_ptrIiEEEEPS5_m14custom_greaterIiEEE10hipError_tT0_T1_T2_jT3_P12ihipStream_tbPNSt15iterator_traitsISJ_E10value_typeEPNSP_ISK_E10value_typeEPSL_NS1_7vsmem_tEENKUlT_SJ_SK_SL_E_clIPiSE_SF_SF_EESI_SY_SJ_SK_SL_EUlSY_E1_NS1_11comp_targetILNS1_3genE3ELNS1_11target_archE908ELNS1_3gpuE7ELNS1_3repE0EEENS1_36merge_oddeven_config_static_selectorELNS0_4arch9wavefront6targetE1EEEvSK_ ; -- Begin function _ZN7rocprim17ROCPRIM_400000_NS6detail17trampoline_kernelINS0_14default_configENS1_38merge_sort_block_merge_config_selectorIiNS0_10empty_typeEEEZZNS1_27merge_sort_block_merge_implIS3_N6thrust23THRUST_200600_302600_NS6detail15normal_iteratorINS9_10device_ptrIiEEEEPS5_m14custom_greaterIiEEE10hipError_tT0_T1_T2_jT3_P12ihipStream_tbPNSt15iterator_traitsISJ_E10value_typeEPNSP_ISK_E10value_typeEPSL_NS1_7vsmem_tEENKUlT_SJ_SK_SL_E_clIPiSE_SF_SF_EESI_SY_SJ_SK_SL_EUlSY_E1_NS1_11comp_targetILNS1_3genE3ELNS1_11target_archE908ELNS1_3gpuE7ELNS1_3repE0EEENS1_36merge_oddeven_config_static_selectorELNS0_4arch9wavefront6targetE1EEEvSK_
	.globl	_ZN7rocprim17ROCPRIM_400000_NS6detail17trampoline_kernelINS0_14default_configENS1_38merge_sort_block_merge_config_selectorIiNS0_10empty_typeEEEZZNS1_27merge_sort_block_merge_implIS3_N6thrust23THRUST_200600_302600_NS6detail15normal_iteratorINS9_10device_ptrIiEEEEPS5_m14custom_greaterIiEEE10hipError_tT0_T1_T2_jT3_P12ihipStream_tbPNSt15iterator_traitsISJ_E10value_typeEPNSP_ISK_E10value_typeEPSL_NS1_7vsmem_tEENKUlT_SJ_SK_SL_E_clIPiSE_SF_SF_EESI_SY_SJ_SK_SL_EUlSY_E1_NS1_11comp_targetILNS1_3genE3ELNS1_11target_archE908ELNS1_3gpuE7ELNS1_3repE0EEENS1_36merge_oddeven_config_static_selectorELNS0_4arch9wavefront6targetE1EEEvSK_
	.p2align	8
	.type	_ZN7rocprim17ROCPRIM_400000_NS6detail17trampoline_kernelINS0_14default_configENS1_38merge_sort_block_merge_config_selectorIiNS0_10empty_typeEEEZZNS1_27merge_sort_block_merge_implIS3_N6thrust23THRUST_200600_302600_NS6detail15normal_iteratorINS9_10device_ptrIiEEEEPS5_m14custom_greaterIiEEE10hipError_tT0_T1_T2_jT3_P12ihipStream_tbPNSt15iterator_traitsISJ_E10value_typeEPNSP_ISK_E10value_typeEPSL_NS1_7vsmem_tEENKUlT_SJ_SK_SL_E_clIPiSE_SF_SF_EESI_SY_SJ_SK_SL_EUlSY_E1_NS1_11comp_targetILNS1_3genE3ELNS1_11target_archE908ELNS1_3gpuE7ELNS1_3repE0EEENS1_36merge_oddeven_config_static_selectorELNS0_4arch9wavefront6targetE1EEEvSK_,@function
_ZN7rocprim17ROCPRIM_400000_NS6detail17trampoline_kernelINS0_14default_configENS1_38merge_sort_block_merge_config_selectorIiNS0_10empty_typeEEEZZNS1_27merge_sort_block_merge_implIS3_N6thrust23THRUST_200600_302600_NS6detail15normal_iteratorINS9_10device_ptrIiEEEEPS5_m14custom_greaterIiEEE10hipError_tT0_T1_T2_jT3_P12ihipStream_tbPNSt15iterator_traitsISJ_E10value_typeEPNSP_ISK_E10value_typeEPSL_NS1_7vsmem_tEENKUlT_SJ_SK_SL_E_clIPiSE_SF_SF_EESI_SY_SJ_SK_SL_EUlSY_E1_NS1_11comp_targetILNS1_3genE3ELNS1_11target_archE908ELNS1_3gpuE7ELNS1_3repE0EEENS1_36merge_oddeven_config_static_selectorELNS0_4arch9wavefront6targetE1EEEvSK_: ; @_ZN7rocprim17ROCPRIM_400000_NS6detail17trampoline_kernelINS0_14default_configENS1_38merge_sort_block_merge_config_selectorIiNS0_10empty_typeEEEZZNS1_27merge_sort_block_merge_implIS3_N6thrust23THRUST_200600_302600_NS6detail15normal_iteratorINS9_10device_ptrIiEEEEPS5_m14custom_greaterIiEEE10hipError_tT0_T1_T2_jT3_P12ihipStream_tbPNSt15iterator_traitsISJ_E10value_typeEPNSP_ISK_E10value_typeEPSL_NS1_7vsmem_tEENKUlT_SJ_SK_SL_E_clIPiSE_SF_SF_EESI_SY_SJ_SK_SL_EUlSY_E1_NS1_11comp_targetILNS1_3genE3ELNS1_11target_archE908ELNS1_3gpuE7ELNS1_3repE0EEENS1_36merge_oddeven_config_static_selectorELNS0_4arch9wavefront6targetE1EEEvSK_
; %bb.0:
	.section	.rodata,"a",@progbits
	.p2align	6, 0x0
	.amdhsa_kernel _ZN7rocprim17ROCPRIM_400000_NS6detail17trampoline_kernelINS0_14default_configENS1_38merge_sort_block_merge_config_selectorIiNS0_10empty_typeEEEZZNS1_27merge_sort_block_merge_implIS3_N6thrust23THRUST_200600_302600_NS6detail15normal_iteratorINS9_10device_ptrIiEEEEPS5_m14custom_greaterIiEEE10hipError_tT0_T1_T2_jT3_P12ihipStream_tbPNSt15iterator_traitsISJ_E10value_typeEPNSP_ISK_E10value_typeEPSL_NS1_7vsmem_tEENKUlT_SJ_SK_SL_E_clIPiSE_SF_SF_EESI_SY_SJ_SK_SL_EUlSY_E1_NS1_11comp_targetILNS1_3genE3ELNS1_11target_archE908ELNS1_3gpuE7ELNS1_3repE0EEENS1_36merge_oddeven_config_static_selectorELNS0_4arch9wavefront6targetE1EEEvSK_
		.amdhsa_group_segment_fixed_size 0
		.amdhsa_private_segment_fixed_size 0
		.amdhsa_kernarg_size 56
		.amdhsa_user_sgpr_count 6
		.amdhsa_user_sgpr_private_segment_buffer 1
		.amdhsa_user_sgpr_dispatch_ptr 0
		.amdhsa_user_sgpr_queue_ptr 0
		.amdhsa_user_sgpr_kernarg_segment_ptr 1
		.amdhsa_user_sgpr_dispatch_id 0
		.amdhsa_user_sgpr_flat_scratch_init 0
		.amdhsa_user_sgpr_kernarg_preload_length 0
		.amdhsa_user_sgpr_kernarg_preload_offset 0
		.amdhsa_user_sgpr_private_segment_size 0
		.amdhsa_uses_dynamic_stack 0
		.amdhsa_system_sgpr_private_segment_wavefront_offset 0
		.amdhsa_system_sgpr_workgroup_id_x 1
		.amdhsa_system_sgpr_workgroup_id_y 0
		.amdhsa_system_sgpr_workgroup_id_z 0
		.amdhsa_system_sgpr_workgroup_info 0
		.amdhsa_system_vgpr_workitem_id 0
		.amdhsa_next_free_vgpr 1
		.amdhsa_next_free_sgpr 0
		.amdhsa_accum_offset 4
		.amdhsa_reserve_vcc 0
		.amdhsa_reserve_flat_scratch 0
		.amdhsa_float_round_mode_32 0
		.amdhsa_float_round_mode_16_64 0
		.amdhsa_float_denorm_mode_32 3
		.amdhsa_float_denorm_mode_16_64 3
		.amdhsa_dx10_clamp 1
		.amdhsa_ieee_mode 1
		.amdhsa_fp16_overflow 0
		.amdhsa_tg_split 0
		.amdhsa_exception_fp_ieee_invalid_op 0
		.amdhsa_exception_fp_denorm_src 0
		.amdhsa_exception_fp_ieee_div_zero 0
		.amdhsa_exception_fp_ieee_overflow 0
		.amdhsa_exception_fp_ieee_underflow 0
		.amdhsa_exception_fp_ieee_inexact 0
		.amdhsa_exception_int_div_zero 0
	.end_amdhsa_kernel
	.section	.text._ZN7rocprim17ROCPRIM_400000_NS6detail17trampoline_kernelINS0_14default_configENS1_38merge_sort_block_merge_config_selectorIiNS0_10empty_typeEEEZZNS1_27merge_sort_block_merge_implIS3_N6thrust23THRUST_200600_302600_NS6detail15normal_iteratorINS9_10device_ptrIiEEEEPS5_m14custom_greaterIiEEE10hipError_tT0_T1_T2_jT3_P12ihipStream_tbPNSt15iterator_traitsISJ_E10value_typeEPNSP_ISK_E10value_typeEPSL_NS1_7vsmem_tEENKUlT_SJ_SK_SL_E_clIPiSE_SF_SF_EESI_SY_SJ_SK_SL_EUlSY_E1_NS1_11comp_targetILNS1_3genE3ELNS1_11target_archE908ELNS1_3gpuE7ELNS1_3repE0EEENS1_36merge_oddeven_config_static_selectorELNS0_4arch9wavefront6targetE1EEEvSK_,"axG",@progbits,_ZN7rocprim17ROCPRIM_400000_NS6detail17trampoline_kernelINS0_14default_configENS1_38merge_sort_block_merge_config_selectorIiNS0_10empty_typeEEEZZNS1_27merge_sort_block_merge_implIS3_N6thrust23THRUST_200600_302600_NS6detail15normal_iteratorINS9_10device_ptrIiEEEEPS5_m14custom_greaterIiEEE10hipError_tT0_T1_T2_jT3_P12ihipStream_tbPNSt15iterator_traitsISJ_E10value_typeEPNSP_ISK_E10value_typeEPSL_NS1_7vsmem_tEENKUlT_SJ_SK_SL_E_clIPiSE_SF_SF_EESI_SY_SJ_SK_SL_EUlSY_E1_NS1_11comp_targetILNS1_3genE3ELNS1_11target_archE908ELNS1_3gpuE7ELNS1_3repE0EEENS1_36merge_oddeven_config_static_selectorELNS0_4arch9wavefront6targetE1EEEvSK_,comdat
.Lfunc_end3108:
	.size	_ZN7rocprim17ROCPRIM_400000_NS6detail17trampoline_kernelINS0_14default_configENS1_38merge_sort_block_merge_config_selectorIiNS0_10empty_typeEEEZZNS1_27merge_sort_block_merge_implIS3_N6thrust23THRUST_200600_302600_NS6detail15normal_iteratorINS9_10device_ptrIiEEEEPS5_m14custom_greaterIiEEE10hipError_tT0_T1_T2_jT3_P12ihipStream_tbPNSt15iterator_traitsISJ_E10value_typeEPNSP_ISK_E10value_typeEPSL_NS1_7vsmem_tEENKUlT_SJ_SK_SL_E_clIPiSE_SF_SF_EESI_SY_SJ_SK_SL_EUlSY_E1_NS1_11comp_targetILNS1_3genE3ELNS1_11target_archE908ELNS1_3gpuE7ELNS1_3repE0EEENS1_36merge_oddeven_config_static_selectorELNS0_4arch9wavefront6targetE1EEEvSK_, .Lfunc_end3108-_ZN7rocprim17ROCPRIM_400000_NS6detail17trampoline_kernelINS0_14default_configENS1_38merge_sort_block_merge_config_selectorIiNS0_10empty_typeEEEZZNS1_27merge_sort_block_merge_implIS3_N6thrust23THRUST_200600_302600_NS6detail15normal_iteratorINS9_10device_ptrIiEEEEPS5_m14custom_greaterIiEEE10hipError_tT0_T1_T2_jT3_P12ihipStream_tbPNSt15iterator_traitsISJ_E10value_typeEPNSP_ISK_E10value_typeEPSL_NS1_7vsmem_tEENKUlT_SJ_SK_SL_E_clIPiSE_SF_SF_EESI_SY_SJ_SK_SL_EUlSY_E1_NS1_11comp_targetILNS1_3genE3ELNS1_11target_archE908ELNS1_3gpuE7ELNS1_3repE0EEENS1_36merge_oddeven_config_static_selectorELNS0_4arch9wavefront6targetE1EEEvSK_
                                        ; -- End function
	.section	.AMDGPU.csdata,"",@progbits
; Kernel info:
; codeLenInByte = 0
; NumSgprs: 4
; NumVgprs: 0
; NumAgprs: 0
; TotalNumVgprs: 0
; ScratchSize: 0
; MemoryBound: 0
; FloatMode: 240
; IeeeMode: 1
; LDSByteSize: 0 bytes/workgroup (compile time only)
; SGPRBlocks: 0
; VGPRBlocks: 0
; NumSGPRsForWavesPerEU: 4
; NumVGPRsForWavesPerEU: 1
; AccumOffset: 4
; Occupancy: 8
; WaveLimiterHint : 0
; COMPUTE_PGM_RSRC2:SCRATCH_EN: 0
; COMPUTE_PGM_RSRC2:USER_SGPR: 6
; COMPUTE_PGM_RSRC2:TRAP_HANDLER: 0
; COMPUTE_PGM_RSRC2:TGID_X_EN: 1
; COMPUTE_PGM_RSRC2:TGID_Y_EN: 0
; COMPUTE_PGM_RSRC2:TGID_Z_EN: 0
; COMPUTE_PGM_RSRC2:TIDIG_COMP_CNT: 0
; COMPUTE_PGM_RSRC3_GFX90A:ACCUM_OFFSET: 0
; COMPUTE_PGM_RSRC3_GFX90A:TG_SPLIT: 0
	.section	.text._ZN7rocprim17ROCPRIM_400000_NS6detail17trampoline_kernelINS0_14default_configENS1_38merge_sort_block_merge_config_selectorIiNS0_10empty_typeEEEZZNS1_27merge_sort_block_merge_implIS3_N6thrust23THRUST_200600_302600_NS6detail15normal_iteratorINS9_10device_ptrIiEEEEPS5_m14custom_greaterIiEEE10hipError_tT0_T1_T2_jT3_P12ihipStream_tbPNSt15iterator_traitsISJ_E10value_typeEPNSP_ISK_E10value_typeEPSL_NS1_7vsmem_tEENKUlT_SJ_SK_SL_E_clIPiSE_SF_SF_EESI_SY_SJ_SK_SL_EUlSY_E1_NS1_11comp_targetILNS1_3genE2ELNS1_11target_archE906ELNS1_3gpuE6ELNS1_3repE0EEENS1_36merge_oddeven_config_static_selectorELNS0_4arch9wavefront6targetE1EEEvSK_,"axG",@progbits,_ZN7rocprim17ROCPRIM_400000_NS6detail17trampoline_kernelINS0_14default_configENS1_38merge_sort_block_merge_config_selectorIiNS0_10empty_typeEEEZZNS1_27merge_sort_block_merge_implIS3_N6thrust23THRUST_200600_302600_NS6detail15normal_iteratorINS9_10device_ptrIiEEEEPS5_m14custom_greaterIiEEE10hipError_tT0_T1_T2_jT3_P12ihipStream_tbPNSt15iterator_traitsISJ_E10value_typeEPNSP_ISK_E10value_typeEPSL_NS1_7vsmem_tEENKUlT_SJ_SK_SL_E_clIPiSE_SF_SF_EESI_SY_SJ_SK_SL_EUlSY_E1_NS1_11comp_targetILNS1_3genE2ELNS1_11target_archE906ELNS1_3gpuE6ELNS1_3repE0EEENS1_36merge_oddeven_config_static_selectorELNS0_4arch9wavefront6targetE1EEEvSK_,comdat
	.protected	_ZN7rocprim17ROCPRIM_400000_NS6detail17trampoline_kernelINS0_14default_configENS1_38merge_sort_block_merge_config_selectorIiNS0_10empty_typeEEEZZNS1_27merge_sort_block_merge_implIS3_N6thrust23THRUST_200600_302600_NS6detail15normal_iteratorINS9_10device_ptrIiEEEEPS5_m14custom_greaterIiEEE10hipError_tT0_T1_T2_jT3_P12ihipStream_tbPNSt15iterator_traitsISJ_E10value_typeEPNSP_ISK_E10value_typeEPSL_NS1_7vsmem_tEENKUlT_SJ_SK_SL_E_clIPiSE_SF_SF_EESI_SY_SJ_SK_SL_EUlSY_E1_NS1_11comp_targetILNS1_3genE2ELNS1_11target_archE906ELNS1_3gpuE6ELNS1_3repE0EEENS1_36merge_oddeven_config_static_selectorELNS0_4arch9wavefront6targetE1EEEvSK_ ; -- Begin function _ZN7rocprim17ROCPRIM_400000_NS6detail17trampoline_kernelINS0_14default_configENS1_38merge_sort_block_merge_config_selectorIiNS0_10empty_typeEEEZZNS1_27merge_sort_block_merge_implIS3_N6thrust23THRUST_200600_302600_NS6detail15normal_iteratorINS9_10device_ptrIiEEEEPS5_m14custom_greaterIiEEE10hipError_tT0_T1_T2_jT3_P12ihipStream_tbPNSt15iterator_traitsISJ_E10value_typeEPNSP_ISK_E10value_typeEPSL_NS1_7vsmem_tEENKUlT_SJ_SK_SL_E_clIPiSE_SF_SF_EESI_SY_SJ_SK_SL_EUlSY_E1_NS1_11comp_targetILNS1_3genE2ELNS1_11target_archE906ELNS1_3gpuE6ELNS1_3repE0EEENS1_36merge_oddeven_config_static_selectorELNS0_4arch9wavefront6targetE1EEEvSK_
	.globl	_ZN7rocprim17ROCPRIM_400000_NS6detail17trampoline_kernelINS0_14default_configENS1_38merge_sort_block_merge_config_selectorIiNS0_10empty_typeEEEZZNS1_27merge_sort_block_merge_implIS3_N6thrust23THRUST_200600_302600_NS6detail15normal_iteratorINS9_10device_ptrIiEEEEPS5_m14custom_greaterIiEEE10hipError_tT0_T1_T2_jT3_P12ihipStream_tbPNSt15iterator_traitsISJ_E10value_typeEPNSP_ISK_E10value_typeEPSL_NS1_7vsmem_tEENKUlT_SJ_SK_SL_E_clIPiSE_SF_SF_EESI_SY_SJ_SK_SL_EUlSY_E1_NS1_11comp_targetILNS1_3genE2ELNS1_11target_archE906ELNS1_3gpuE6ELNS1_3repE0EEENS1_36merge_oddeven_config_static_selectorELNS0_4arch9wavefront6targetE1EEEvSK_
	.p2align	8
	.type	_ZN7rocprim17ROCPRIM_400000_NS6detail17trampoline_kernelINS0_14default_configENS1_38merge_sort_block_merge_config_selectorIiNS0_10empty_typeEEEZZNS1_27merge_sort_block_merge_implIS3_N6thrust23THRUST_200600_302600_NS6detail15normal_iteratorINS9_10device_ptrIiEEEEPS5_m14custom_greaterIiEEE10hipError_tT0_T1_T2_jT3_P12ihipStream_tbPNSt15iterator_traitsISJ_E10value_typeEPNSP_ISK_E10value_typeEPSL_NS1_7vsmem_tEENKUlT_SJ_SK_SL_E_clIPiSE_SF_SF_EESI_SY_SJ_SK_SL_EUlSY_E1_NS1_11comp_targetILNS1_3genE2ELNS1_11target_archE906ELNS1_3gpuE6ELNS1_3repE0EEENS1_36merge_oddeven_config_static_selectorELNS0_4arch9wavefront6targetE1EEEvSK_,@function
_ZN7rocprim17ROCPRIM_400000_NS6detail17trampoline_kernelINS0_14default_configENS1_38merge_sort_block_merge_config_selectorIiNS0_10empty_typeEEEZZNS1_27merge_sort_block_merge_implIS3_N6thrust23THRUST_200600_302600_NS6detail15normal_iteratorINS9_10device_ptrIiEEEEPS5_m14custom_greaterIiEEE10hipError_tT0_T1_T2_jT3_P12ihipStream_tbPNSt15iterator_traitsISJ_E10value_typeEPNSP_ISK_E10value_typeEPSL_NS1_7vsmem_tEENKUlT_SJ_SK_SL_E_clIPiSE_SF_SF_EESI_SY_SJ_SK_SL_EUlSY_E1_NS1_11comp_targetILNS1_3genE2ELNS1_11target_archE906ELNS1_3gpuE6ELNS1_3repE0EEENS1_36merge_oddeven_config_static_selectorELNS0_4arch9wavefront6targetE1EEEvSK_: ; @_ZN7rocprim17ROCPRIM_400000_NS6detail17trampoline_kernelINS0_14default_configENS1_38merge_sort_block_merge_config_selectorIiNS0_10empty_typeEEEZZNS1_27merge_sort_block_merge_implIS3_N6thrust23THRUST_200600_302600_NS6detail15normal_iteratorINS9_10device_ptrIiEEEEPS5_m14custom_greaterIiEEE10hipError_tT0_T1_T2_jT3_P12ihipStream_tbPNSt15iterator_traitsISJ_E10value_typeEPNSP_ISK_E10value_typeEPSL_NS1_7vsmem_tEENKUlT_SJ_SK_SL_E_clIPiSE_SF_SF_EESI_SY_SJ_SK_SL_EUlSY_E1_NS1_11comp_targetILNS1_3genE2ELNS1_11target_archE906ELNS1_3gpuE6ELNS1_3repE0EEENS1_36merge_oddeven_config_static_selectorELNS0_4arch9wavefront6targetE1EEEvSK_
; %bb.0:
	.section	.rodata,"a",@progbits
	.p2align	6, 0x0
	.amdhsa_kernel _ZN7rocprim17ROCPRIM_400000_NS6detail17trampoline_kernelINS0_14default_configENS1_38merge_sort_block_merge_config_selectorIiNS0_10empty_typeEEEZZNS1_27merge_sort_block_merge_implIS3_N6thrust23THRUST_200600_302600_NS6detail15normal_iteratorINS9_10device_ptrIiEEEEPS5_m14custom_greaterIiEEE10hipError_tT0_T1_T2_jT3_P12ihipStream_tbPNSt15iterator_traitsISJ_E10value_typeEPNSP_ISK_E10value_typeEPSL_NS1_7vsmem_tEENKUlT_SJ_SK_SL_E_clIPiSE_SF_SF_EESI_SY_SJ_SK_SL_EUlSY_E1_NS1_11comp_targetILNS1_3genE2ELNS1_11target_archE906ELNS1_3gpuE6ELNS1_3repE0EEENS1_36merge_oddeven_config_static_selectorELNS0_4arch9wavefront6targetE1EEEvSK_
		.amdhsa_group_segment_fixed_size 0
		.amdhsa_private_segment_fixed_size 0
		.amdhsa_kernarg_size 56
		.amdhsa_user_sgpr_count 6
		.amdhsa_user_sgpr_private_segment_buffer 1
		.amdhsa_user_sgpr_dispatch_ptr 0
		.amdhsa_user_sgpr_queue_ptr 0
		.amdhsa_user_sgpr_kernarg_segment_ptr 1
		.amdhsa_user_sgpr_dispatch_id 0
		.amdhsa_user_sgpr_flat_scratch_init 0
		.amdhsa_user_sgpr_kernarg_preload_length 0
		.amdhsa_user_sgpr_kernarg_preload_offset 0
		.amdhsa_user_sgpr_private_segment_size 0
		.amdhsa_uses_dynamic_stack 0
		.amdhsa_system_sgpr_private_segment_wavefront_offset 0
		.amdhsa_system_sgpr_workgroup_id_x 1
		.amdhsa_system_sgpr_workgroup_id_y 0
		.amdhsa_system_sgpr_workgroup_id_z 0
		.amdhsa_system_sgpr_workgroup_info 0
		.amdhsa_system_vgpr_workitem_id 0
		.amdhsa_next_free_vgpr 1
		.amdhsa_next_free_sgpr 0
		.amdhsa_accum_offset 4
		.amdhsa_reserve_vcc 0
		.amdhsa_reserve_flat_scratch 0
		.amdhsa_float_round_mode_32 0
		.amdhsa_float_round_mode_16_64 0
		.amdhsa_float_denorm_mode_32 3
		.amdhsa_float_denorm_mode_16_64 3
		.amdhsa_dx10_clamp 1
		.amdhsa_ieee_mode 1
		.amdhsa_fp16_overflow 0
		.amdhsa_tg_split 0
		.amdhsa_exception_fp_ieee_invalid_op 0
		.amdhsa_exception_fp_denorm_src 0
		.amdhsa_exception_fp_ieee_div_zero 0
		.amdhsa_exception_fp_ieee_overflow 0
		.amdhsa_exception_fp_ieee_underflow 0
		.amdhsa_exception_fp_ieee_inexact 0
		.amdhsa_exception_int_div_zero 0
	.end_amdhsa_kernel
	.section	.text._ZN7rocprim17ROCPRIM_400000_NS6detail17trampoline_kernelINS0_14default_configENS1_38merge_sort_block_merge_config_selectorIiNS0_10empty_typeEEEZZNS1_27merge_sort_block_merge_implIS3_N6thrust23THRUST_200600_302600_NS6detail15normal_iteratorINS9_10device_ptrIiEEEEPS5_m14custom_greaterIiEEE10hipError_tT0_T1_T2_jT3_P12ihipStream_tbPNSt15iterator_traitsISJ_E10value_typeEPNSP_ISK_E10value_typeEPSL_NS1_7vsmem_tEENKUlT_SJ_SK_SL_E_clIPiSE_SF_SF_EESI_SY_SJ_SK_SL_EUlSY_E1_NS1_11comp_targetILNS1_3genE2ELNS1_11target_archE906ELNS1_3gpuE6ELNS1_3repE0EEENS1_36merge_oddeven_config_static_selectorELNS0_4arch9wavefront6targetE1EEEvSK_,"axG",@progbits,_ZN7rocprim17ROCPRIM_400000_NS6detail17trampoline_kernelINS0_14default_configENS1_38merge_sort_block_merge_config_selectorIiNS0_10empty_typeEEEZZNS1_27merge_sort_block_merge_implIS3_N6thrust23THRUST_200600_302600_NS6detail15normal_iteratorINS9_10device_ptrIiEEEEPS5_m14custom_greaterIiEEE10hipError_tT0_T1_T2_jT3_P12ihipStream_tbPNSt15iterator_traitsISJ_E10value_typeEPNSP_ISK_E10value_typeEPSL_NS1_7vsmem_tEENKUlT_SJ_SK_SL_E_clIPiSE_SF_SF_EESI_SY_SJ_SK_SL_EUlSY_E1_NS1_11comp_targetILNS1_3genE2ELNS1_11target_archE906ELNS1_3gpuE6ELNS1_3repE0EEENS1_36merge_oddeven_config_static_selectorELNS0_4arch9wavefront6targetE1EEEvSK_,comdat
.Lfunc_end3109:
	.size	_ZN7rocprim17ROCPRIM_400000_NS6detail17trampoline_kernelINS0_14default_configENS1_38merge_sort_block_merge_config_selectorIiNS0_10empty_typeEEEZZNS1_27merge_sort_block_merge_implIS3_N6thrust23THRUST_200600_302600_NS6detail15normal_iteratorINS9_10device_ptrIiEEEEPS5_m14custom_greaterIiEEE10hipError_tT0_T1_T2_jT3_P12ihipStream_tbPNSt15iterator_traitsISJ_E10value_typeEPNSP_ISK_E10value_typeEPSL_NS1_7vsmem_tEENKUlT_SJ_SK_SL_E_clIPiSE_SF_SF_EESI_SY_SJ_SK_SL_EUlSY_E1_NS1_11comp_targetILNS1_3genE2ELNS1_11target_archE906ELNS1_3gpuE6ELNS1_3repE0EEENS1_36merge_oddeven_config_static_selectorELNS0_4arch9wavefront6targetE1EEEvSK_, .Lfunc_end3109-_ZN7rocprim17ROCPRIM_400000_NS6detail17trampoline_kernelINS0_14default_configENS1_38merge_sort_block_merge_config_selectorIiNS0_10empty_typeEEEZZNS1_27merge_sort_block_merge_implIS3_N6thrust23THRUST_200600_302600_NS6detail15normal_iteratorINS9_10device_ptrIiEEEEPS5_m14custom_greaterIiEEE10hipError_tT0_T1_T2_jT3_P12ihipStream_tbPNSt15iterator_traitsISJ_E10value_typeEPNSP_ISK_E10value_typeEPSL_NS1_7vsmem_tEENKUlT_SJ_SK_SL_E_clIPiSE_SF_SF_EESI_SY_SJ_SK_SL_EUlSY_E1_NS1_11comp_targetILNS1_3genE2ELNS1_11target_archE906ELNS1_3gpuE6ELNS1_3repE0EEENS1_36merge_oddeven_config_static_selectorELNS0_4arch9wavefront6targetE1EEEvSK_
                                        ; -- End function
	.section	.AMDGPU.csdata,"",@progbits
; Kernel info:
; codeLenInByte = 0
; NumSgprs: 4
; NumVgprs: 0
; NumAgprs: 0
; TotalNumVgprs: 0
; ScratchSize: 0
; MemoryBound: 0
; FloatMode: 240
; IeeeMode: 1
; LDSByteSize: 0 bytes/workgroup (compile time only)
; SGPRBlocks: 0
; VGPRBlocks: 0
; NumSGPRsForWavesPerEU: 4
; NumVGPRsForWavesPerEU: 1
; AccumOffset: 4
; Occupancy: 8
; WaveLimiterHint : 0
; COMPUTE_PGM_RSRC2:SCRATCH_EN: 0
; COMPUTE_PGM_RSRC2:USER_SGPR: 6
; COMPUTE_PGM_RSRC2:TRAP_HANDLER: 0
; COMPUTE_PGM_RSRC2:TGID_X_EN: 1
; COMPUTE_PGM_RSRC2:TGID_Y_EN: 0
; COMPUTE_PGM_RSRC2:TGID_Z_EN: 0
; COMPUTE_PGM_RSRC2:TIDIG_COMP_CNT: 0
; COMPUTE_PGM_RSRC3_GFX90A:ACCUM_OFFSET: 0
; COMPUTE_PGM_RSRC3_GFX90A:TG_SPLIT: 0
	.section	.text._ZN7rocprim17ROCPRIM_400000_NS6detail17trampoline_kernelINS0_14default_configENS1_38merge_sort_block_merge_config_selectorIiNS0_10empty_typeEEEZZNS1_27merge_sort_block_merge_implIS3_N6thrust23THRUST_200600_302600_NS6detail15normal_iteratorINS9_10device_ptrIiEEEEPS5_m14custom_greaterIiEEE10hipError_tT0_T1_T2_jT3_P12ihipStream_tbPNSt15iterator_traitsISJ_E10value_typeEPNSP_ISK_E10value_typeEPSL_NS1_7vsmem_tEENKUlT_SJ_SK_SL_E_clIPiSE_SF_SF_EESI_SY_SJ_SK_SL_EUlSY_E1_NS1_11comp_targetILNS1_3genE9ELNS1_11target_archE1100ELNS1_3gpuE3ELNS1_3repE0EEENS1_36merge_oddeven_config_static_selectorELNS0_4arch9wavefront6targetE1EEEvSK_,"axG",@progbits,_ZN7rocprim17ROCPRIM_400000_NS6detail17trampoline_kernelINS0_14default_configENS1_38merge_sort_block_merge_config_selectorIiNS0_10empty_typeEEEZZNS1_27merge_sort_block_merge_implIS3_N6thrust23THRUST_200600_302600_NS6detail15normal_iteratorINS9_10device_ptrIiEEEEPS5_m14custom_greaterIiEEE10hipError_tT0_T1_T2_jT3_P12ihipStream_tbPNSt15iterator_traitsISJ_E10value_typeEPNSP_ISK_E10value_typeEPSL_NS1_7vsmem_tEENKUlT_SJ_SK_SL_E_clIPiSE_SF_SF_EESI_SY_SJ_SK_SL_EUlSY_E1_NS1_11comp_targetILNS1_3genE9ELNS1_11target_archE1100ELNS1_3gpuE3ELNS1_3repE0EEENS1_36merge_oddeven_config_static_selectorELNS0_4arch9wavefront6targetE1EEEvSK_,comdat
	.protected	_ZN7rocprim17ROCPRIM_400000_NS6detail17trampoline_kernelINS0_14default_configENS1_38merge_sort_block_merge_config_selectorIiNS0_10empty_typeEEEZZNS1_27merge_sort_block_merge_implIS3_N6thrust23THRUST_200600_302600_NS6detail15normal_iteratorINS9_10device_ptrIiEEEEPS5_m14custom_greaterIiEEE10hipError_tT0_T1_T2_jT3_P12ihipStream_tbPNSt15iterator_traitsISJ_E10value_typeEPNSP_ISK_E10value_typeEPSL_NS1_7vsmem_tEENKUlT_SJ_SK_SL_E_clIPiSE_SF_SF_EESI_SY_SJ_SK_SL_EUlSY_E1_NS1_11comp_targetILNS1_3genE9ELNS1_11target_archE1100ELNS1_3gpuE3ELNS1_3repE0EEENS1_36merge_oddeven_config_static_selectorELNS0_4arch9wavefront6targetE1EEEvSK_ ; -- Begin function _ZN7rocprim17ROCPRIM_400000_NS6detail17trampoline_kernelINS0_14default_configENS1_38merge_sort_block_merge_config_selectorIiNS0_10empty_typeEEEZZNS1_27merge_sort_block_merge_implIS3_N6thrust23THRUST_200600_302600_NS6detail15normal_iteratorINS9_10device_ptrIiEEEEPS5_m14custom_greaterIiEEE10hipError_tT0_T1_T2_jT3_P12ihipStream_tbPNSt15iterator_traitsISJ_E10value_typeEPNSP_ISK_E10value_typeEPSL_NS1_7vsmem_tEENKUlT_SJ_SK_SL_E_clIPiSE_SF_SF_EESI_SY_SJ_SK_SL_EUlSY_E1_NS1_11comp_targetILNS1_3genE9ELNS1_11target_archE1100ELNS1_3gpuE3ELNS1_3repE0EEENS1_36merge_oddeven_config_static_selectorELNS0_4arch9wavefront6targetE1EEEvSK_
	.globl	_ZN7rocprim17ROCPRIM_400000_NS6detail17trampoline_kernelINS0_14default_configENS1_38merge_sort_block_merge_config_selectorIiNS0_10empty_typeEEEZZNS1_27merge_sort_block_merge_implIS3_N6thrust23THRUST_200600_302600_NS6detail15normal_iteratorINS9_10device_ptrIiEEEEPS5_m14custom_greaterIiEEE10hipError_tT0_T1_T2_jT3_P12ihipStream_tbPNSt15iterator_traitsISJ_E10value_typeEPNSP_ISK_E10value_typeEPSL_NS1_7vsmem_tEENKUlT_SJ_SK_SL_E_clIPiSE_SF_SF_EESI_SY_SJ_SK_SL_EUlSY_E1_NS1_11comp_targetILNS1_3genE9ELNS1_11target_archE1100ELNS1_3gpuE3ELNS1_3repE0EEENS1_36merge_oddeven_config_static_selectorELNS0_4arch9wavefront6targetE1EEEvSK_
	.p2align	8
	.type	_ZN7rocprim17ROCPRIM_400000_NS6detail17trampoline_kernelINS0_14default_configENS1_38merge_sort_block_merge_config_selectorIiNS0_10empty_typeEEEZZNS1_27merge_sort_block_merge_implIS3_N6thrust23THRUST_200600_302600_NS6detail15normal_iteratorINS9_10device_ptrIiEEEEPS5_m14custom_greaterIiEEE10hipError_tT0_T1_T2_jT3_P12ihipStream_tbPNSt15iterator_traitsISJ_E10value_typeEPNSP_ISK_E10value_typeEPSL_NS1_7vsmem_tEENKUlT_SJ_SK_SL_E_clIPiSE_SF_SF_EESI_SY_SJ_SK_SL_EUlSY_E1_NS1_11comp_targetILNS1_3genE9ELNS1_11target_archE1100ELNS1_3gpuE3ELNS1_3repE0EEENS1_36merge_oddeven_config_static_selectorELNS0_4arch9wavefront6targetE1EEEvSK_,@function
_ZN7rocprim17ROCPRIM_400000_NS6detail17trampoline_kernelINS0_14default_configENS1_38merge_sort_block_merge_config_selectorIiNS0_10empty_typeEEEZZNS1_27merge_sort_block_merge_implIS3_N6thrust23THRUST_200600_302600_NS6detail15normal_iteratorINS9_10device_ptrIiEEEEPS5_m14custom_greaterIiEEE10hipError_tT0_T1_T2_jT3_P12ihipStream_tbPNSt15iterator_traitsISJ_E10value_typeEPNSP_ISK_E10value_typeEPSL_NS1_7vsmem_tEENKUlT_SJ_SK_SL_E_clIPiSE_SF_SF_EESI_SY_SJ_SK_SL_EUlSY_E1_NS1_11comp_targetILNS1_3genE9ELNS1_11target_archE1100ELNS1_3gpuE3ELNS1_3repE0EEENS1_36merge_oddeven_config_static_selectorELNS0_4arch9wavefront6targetE1EEEvSK_: ; @_ZN7rocprim17ROCPRIM_400000_NS6detail17trampoline_kernelINS0_14default_configENS1_38merge_sort_block_merge_config_selectorIiNS0_10empty_typeEEEZZNS1_27merge_sort_block_merge_implIS3_N6thrust23THRUST_200600_302600_NS6detail15normal_iteratorINS9_10device_ptrIiEEEEPS5_m14custom_greaterIiEEE10hipError_tT0_T1_T2_jT3_P12ihipStream_tbPNSt15iterator_traitsISJ_E10value_typeEPNSP_ISK_E10value_typeEPSL_NS1_7vsmem_tEENKUlT_SJ_SK_SL_E_clIPiSE_SF_SF_EESI_SY_SJ_SK_SL_EUlSY_E1_NS1_11comp_targetILNS1_3genE9ELNS1_11target_archE1100ELNS1_3gpuE3ELNS1_3repE0EEENS1_36merge_oddeven_config_static_selectorELNS0_4arch9wavefront6targetE1EEEvSK_
; %bb.0:
	.section	.rodata,"a",@progbits
	.p2align	6, 0x0
	.amdhsa_kernel _ZN7rocprim17ROCPRIM_400000_NS6detail17trampoline_kernelINS0_14default_configENS1_38merge_sort_block_merge_config_selectorIiNS0_10empty_typeEEEZZNS1_27merge_sort_block_merge_implIS3_N6thrust23THRUST_200600_302600_NS6detail15normal_iteratorINS9_10device_ptrIiEEEEPS5_m14custom_greaterIiEEE10hipError_tT0_T1_T2_jT3_P12ihipStream_tbPNSt15iterator_traitsISJ_E10value_typeEPNSP_ISK_E10value_typeEPSL_NS1_7vsmem_tEENKUlT_SJ_SK_SL_E_clIPiSE_SF_SF_EESI_SY_SJ_SK_SL_EUlSY_E1_NS1_11comp_targetILNS1_3genE9ELNS1_11target_archE1100ELNS1_3gpuE3ELNS1_3repE0EEENS1_36merge_oddeven_config_static_selectorELNS0_4arch9wavefront6targetE1EEEvSK_
		.amdhsa_group_segment_fixed_size 0
		.amdhsa_private_segment_fixed_size 0
		.amdhsa_kernarg_size 56
		.amdhsa_user_sgpr_count 6
		.amdhsa_user_sgpr_private_segment_buffer 1
		.amdhsa_user_sgpr_dispatch_ptr 0
		.amdhsa_user_sgpr_queue_ptr 0
		.amdhsa_user_sgpr_kernarg_segment_ptr 1
		.amdhsa_user_sgpr_dispatch_id 0
		.amdhsa_user_sgpr_flat_scratch_init 0
		.amdhsa_user_sgpr_kernarg_preload_length 0
		.amdhsa_user_sgpr_kernarg_preload_offset 0
		.amdhsa_user_sgpr_private_segment_size 0
		.amdhsa_uses_dynamic_stack 0
		.amdhsa_system_sgpr_private_segment_wavefront_offset 0
		.amdhsa_system_sgpr_workgroup_id_x 1
		.amdhsa_system_sgpr_workgroup_id_y 0
		.amdhsa_system_sgpr_workgroup_id_z 0
		.amdhsa_system_sgpr_workgroup_info 0
		.amdhsa_system_vgpr_workitem_id 0
		.amdhsa_next_free_vgpr 1
		.amdhsa_next_free_sgpr 0
		.amdhsa_accum_offset 4
		.amdhsa_reserve_vcc 0
		.amdhsa_reserve_flat_scratch 0
		.amdhsa_float_round_mode_32 0
		.amdhsa_float_round_mode_16_64 0
		.amdhsa_float_denorm_mode_32 3
		.amdhsa_float_denorm_mode_16_64 3
		.amdhsa_dx10_clamp 1
		.amdhsa_ieee_mode 1
		.amdhsa_fp16_overflow 0
		.amdhsa_tg_split 0
		.amdhsa_exception_fp_ieee_invalid_op 0
		.amdhsa_exception_fp_denorm_src 0
		.amdhsa_exception_fp_ieee_div_zero 0
		.amdhsa_exception_fp_ieee_overflow 0
		.amdhsa_exception_fp_ieee_underflow 0
		.amdhsa_exception_fp_ieee_inexact 0
		.amdhsa_exception_int_div_zero 0
	.end_amdhsa_kernel
	.section	.text._ZN7rocprim17ROCPRIM_400000_NS6detail17trampoline_kernelINS0_14default_configENS1_38merge_sort_block_merge_config_selectorIiNS0_10empty_typeEEEZZNS1_27merge_sort_block_merge_implIS3_N6thrust23THRUST_200600_302600_NS6detail15normal_iteratorINS9_10device_ptrIiEEEEPS5_m14custom_greaterIiEEE10hipError_tT0_T1_T2_jT3_P12ihipStream_tbPNSt15iterator_traitsISJ_E10value_typeEPNSP_ISK_E10value_typeEPSL_NS1_7vsmem_tEENKUlT_SJ_SK_SL_E_clIPiSE_SF_SF_EESI_SY_SJ_SK_SL_EUlSY_E1_NS1_11comp_targetILNS1_3genE9ELNS1_11target_archE1100ELNS1_3gpuE3ELNS1_3repE0EEENS1_36merge_oddeven_config_static_selectorELNS0_4arch9wavefront6targetE1EEEvSK_,"axG",@progbits,_ZN7rocprim17ROCPRIM_400000_NS6detail17trampoline_kernelINS0_14default_configENS1_38merge_sort_block_merge_config_selectorIiNS0_10empty_typeEEEZZNS1_27merge_sort_block_merge_implIS3_N6thrust23THRUST_200600_302600_NS6detail15normal_iteratorINS9_10device_ptrIiEEEEPS5_m14custom_greaterIiEEE10hipError_tT0_T1_T2_jT3_P12ihipStream_tbPNSt15iterator_traitsISJ_E10value_typeEPNSP_ISK_E10value_typeEPSL_NS1_7vsmem_tEENKUlT_SJ_SK_SL_E_clIPiSE_SF_SF_EESI_SY_SJ_SK_SL_EUlSY_E1_NS1_11comp_targetILNS1_3genE9ELNS1_11target_archE1100ELNS1_3gpuE3ELNS1_3repE0EEENS1_36merge_oddeven_config_static_selectorELNS0_4arch9wavefront6targetE1EEEvSK_,comdat
.Lfunc_end3110:
	.size	_ZN7rocprim17ROCPRIM_400000_NS6detail17trampoline_kernelINS0_14default_configENS1_38merge_sort_block_merge_config_selectorIiNS0_10empty_typeEEEZZNS1_27merge_sort_block_merge_implIS3_N6thrust23THRUST_200600_302600_NS6detail15normal_iteratorINS9_10device_ptrIiEEEEPS5_m14custom_greaterIiEEE10hipError_tT0_T1_T2_jT3_P12ihipStream_tbPNSt15iterator_traitsISJ_E10value_typeEPNSP_ISK_E10value_typeEPSL_NS1_7vsmem_tEENKUlT_SJ_SK_SL_E_clIPiSE_SF_SF_EESI_SY_SJ_SK_SL_EUlSY_E1_NS1_11comp_targetILNS1_3genE9ELNS1_11target_archE1100ELNS1_3gpuE3ELNS1_3repE0EEENS1_36merge_oddeven_config_static_selectorELNS0_4arch9wavefront6targetE1EEEvSK_, .Lfunc_end3110-_ZN7rocprim17ROCPRIM_400000_NS6detail17trampoline_kernelINS0_14default_configENS1_38merge_sort_block_merge_config_selectorIiNS0_10empty_typeEEEZZNS1_27merge_sort_block_merge_implIS3_N6thrust23THRUST_200600_302600_NS6detail15normal_iteratorINS9_10device_ptrIiEEEEPS5_m14custom_greaterIiEEE10hipError_tT0_T1_T2_jT3_P12ihipStream_tbPNSt15iterator_traitsISJ_E10value_typeEPNSP_ISK_E10value_typeEPSL_NS1_7vsmem_tEENKUlT_SJ_SK_SL_E_clIPiSE_SF_SF_EESI_SY_SJ_SK_SL_EUlSY_E1_NS1_11comp_targetILNS1_3genE9ELNS1_11target_archE1100ELNS1_3gpuE3ELNS1_3repE0EEENS1_36merge_oddeven_config_static_selectorELNS0_4arch9wavefront6targetE1EEEvSK_
                                        ; -- End function
	.section	.AMDGPU.csdata,"",@progbits
; Kernel info:
; codeLenInByte = 0
; NumSgprs: 4
; NumVgprs: 0
; NumAgprs: 0
; TotalNumVgprs: 0
; ScratchSize: 0
; MemoryBound: 0
; FloatMode: 240
; IeeeMode: 1
; LDSByteSize: 0 bytes/workgroup (compile time only)
; SGPRBlocks: 0
; VGPRBlocks: 0
; NumSGPRsForWavesPerEU: 4
; NumVGPRsForWavesPerEU: 1
; AccumOffset: 4
; Occupancy: 8
; WaveLimiterHint : 0
; COMPUTE_PGM_RSRC2:SCRATCH_EN: 0
; COMPUTE_PGM_RSRC2:USER_SGPR: 6
; COMPUTE_PGM_RSRC2:TRAP_HANDLER: 0
; COMPUTE_PGM_RSRC2:TGID_X_EN: 1
; COMPUTE_PGM_RSRC2:TGID_Y_EN: 0
; COMPUTE_PGM_RSRC2:TGID_Z_EN: 0
; COMPUTE_PGM_RSRC2:TIDIG_COMP_CNT: 0
; COMPUTE_PGM_RSRC3_GFX90A:ACCUM_OFFSET: 0
; COMPUTE_PGM_RSRC3_GFX90A:TG_SPLIT: 0
	.section	.text._ZN7rocprim17ROCPRIM_400000_NS6detail17trampoline_kernelINS0_14default_configENS1_38merge_sort_block_merge_config_selectorIiNS0_10empty_typeEEEZZNS1_27merge_sort_block_merge_implIS3_N6thrust23THRUST_200600_302600_NS6detail15normal_iteratorINS9_10device_ptrIiEEEEPS5_m14custom_greaterIiEEE10hipError_tT0_T1_T2_jT3_P12ihipStream_tbPNSt15iterator_traitsISJ_E10value_typeEPNSP_ISK_E10value_typeEPSL_NS1_7vsmem_tEENKUlT_SJ_SK_SL_E_clIPiSE_SF_SF_EESI_SY_SJ_SK_SL_EUlSY_E1_NS1_11comp_targetILNS1_3genE8ELNS1_11target_archE1030ELNS1_3gpuE2ELNS1_3repE0EEENS1_36merge_oddeven_config_static_selectorELNS0_4arch9wavefront6targetE1EEEvSK_,"axG",@progbits,_ZN7rocprim17ROCPRIM_400000_NS6detail17trampoline_kernelINS0_14default_configENS1_38merge_sort_block_merge_config_selectorIiNS0_10empty_typeEEEZZNS1_27merge_sort_block_merge_implIS3_N6thrust23THRUST_200600_302600_NS6detail15normal_iteratorINS9_10device_ptrIiEEEEPS5_m14custom_greaterIiEEE10hipError_tT0_T1_T2_jT3_P12ihipStream_tbPNSt15iterator_traitsISJ_E10value_typeEPNSP_ISK_E10value_typeEPSL_NS1_7vsmem_tEENKUlT_SJ_SK_SL_E_clIPiSE_SF_SF_EESI_SY_SJ_SK_SL_EUlSY_E1_NS1_11comp_targetILNS1_3genE8ELNS1_11target_archE1030ELNS1_3gpuE2ELNS1_3repE0EEENS1_36merge_oddeven_config_static_selectorELNS0_4arch9wavefront6targetE1EEEvSK_,comdat
	.protected	_ZN7rocprim17ROCPRIM_400000_NS6detail17trampoline_kernelINS0_14default_configENS1_38merge_sort_block_merge_config_selectorIiNS0_10empty_typeEEEZZNS1_27merge_sort_block_merge_implIS3_N6thrust23THRUST_200600_302600_NS6detail15normal_iteratorINS9_10device_ptrIiEEEEPS5_m14custom_greaterIiEEE10hipError_tT0_T1_T2_jT3_P12ihipStream_tbPNSt15iterator_traitsISJ_E10value_typeEPNSP_ISK_E10value_typeEPSL_NS1_7vsmem_tEENKUlT_SJ_SK_SL_E_clIPiSE_SF_SF_EESI_SY_SJ_SK_SL_EUlSY_E1_NS1_11comp_targetILNS1_3genE8ELNS1_11target_archE1030ELNS1_3gpuE2ELNS1_3repE0EEENS1_36merge_oddeven_config_static_selectorELNS0_4arch9wavefront6targetE1EEEvSK_ ; -- Begin function _ZN7rocprim17ROCPRIM_400000_NS6detail17trampoline_kernelINS0_14default_configENS1_38merge_sort_block_merge_config_selectorIiNS0_10empty_typeEEEZZNS1_27merge_sort_block_merge_implIS3_N6thrust23THRUST_200600_302600_NS6detail15normal_iteratorINS9_10device_ptrIiEEEEPS5_m14custom_greaterIiEEE10hipError_tT0_T1_T2_jT3_P12ihipStream_tbPNSt15iterator_traitsISJ_E10value_typeEPNSP_ISK_E10value_typeEPSL_NS1_7vsmem_tEENKUlT_SJ_SK_SL_E_clIPiSE_SF_SF_EESI_SY_SJ_SK_SL_EUlSY_E1_NS1_11comp_targetILNS1_3genE8ELNS1_11target_archE1030ELNS1_3gpuE2ELNS1_3repE0EEENS1_36merge_oddeven_config_static_selectorELNS0_4arch9wavefront6targetE1EEEvSK_
	.globl	_ZN7rocprim17ROCPRIM_400000_NS6detail17trampoline_kernelINS0_14default_configENS1_38merge_sort_block_merge_config_selectorIiNS0_10empty_typeEEEZZNS1_27merge_sort_block_merge_implIS3_N6thrust23THRUST_200600_302600_NS6detail15normal_iteratorINS9_10device_ptrIiEEEEPS5_m14custom_greaterIiEEE10hipError_tT0_T1_T2_jT3_P12ihipStream_tbPNSt15iterator_traitsISJ_E10value_typeEPNSP_ISK_E10value_typeEPSL_NS1_7vsmem_tEENKUlT_SJ_SK_SL_E_clIPiSE_SF_SF_EESI_SY_SJ_SK_SL_EUlSY_E1_NS1_11comp_targetILNS1_3genE8ELNS1_11target_archE1030ELNS1_3gpuE2ELNS1_3repE0EEENS1_36merge_oddeven_config_static_selectorELNS0_4arch9wavefront6targetE1EEEvSK_
	.p2align	8
	.type	_ZN7rocprim17ROCPRIM_400000_NS6detail17trampoline_kernelINS0_14default_configENS1_38merge_sort_block_merge_config_selectorIiNS0_10empty_typeEEEZZNS1_27merge_sort_block_merge_implIS3_N6thrust23THRUST_200600_302600_NS6detail15normal_iteratorINS9_10device_ptrIiEEEEPS5_m14custom_greaterIiEEE10hipError_tT0_T1_T2_jT3_P12ihipStream_tbPNSt15iterator_traitsISJ_E10value_typeEPNSP_ISK_E10value_typeEPSL_NS1_7vsmem_tEENKUlT_SJ_SK_SL_E_clIPiSE_SF_SF_EESI_SY_SJ_SK_SL_EUlSY_E1_NS1_11comp_targetILNS1_3genE8ELNS1_11target_archE1030ELNS1_3gpuE2ELNS1_3repE0EEENS1_36merge_oddeven_config_static_selectorELNS0_4arch9wavefront6targetE1EEEvSK_,@function
_ZN7rocprim17ROCPRIM_400000_NS6detail17trampoline_kernelINS0_14default_configENS1_38merge_sort_block_merge_config_selectorIiNS0_10empty_typeEEEZZNS1_27merge_sort_block_merge_implIS3_N6thrust23THRUST_200600_302600_NS6detail15normal_iteratorINS9_10device_ptrIiEEEEPS5_m14custom_greaterIiEEE10hipError_tT0_T1_T2_jT3_P12ihipStream_tbPNSt15iterator_traitsISJ_E10value_typeEPNSP_ISK_E10value_typeEPSL_NS1_7vsmem_tEENKUlT_SJ_SK_SL_E_clIPiSE_SF_SF_EESI_SY_SJ_SK_SL_EUlSY_E1_NS1_11comp_targetILNS1_3genE8ELNS1_11target_archE1030ELNS1_3gpuE2ELNS1_3repE0EEENS1_36merge_oddeven_config_static_selectorELNS0_4arch9wavefront6targetE1EEEvSK_: ; @_ZN7rocprim17ROCPRIM_400000_NS6detail17trampoline_kernelINS0_14default_configENS1_38merge_sort_block_merge_config_selectorIiNS0_10empty_typeEEEZZNS1_27merge_sort_block_merge_implIS3_N6thrust23THRUST_200600_302600_NS6detail15normal_iteratorINS9_10device_ptrIiEEEEPS5_m14custom_greaterIiEEE10hipError_tT0_T1_T2_jT3_P12ihipStream_tbPNSt15iterator_traitsISJ_E10value_typeEPNSP_ISK_E10value_typeEPSL_NS1_7vsmem_tEENKUlT_SJ_SK_SL_E_clIPiSE_SF_SF_EESI_SY_SJ_SK_SL_EUlSY_E1_NS1_11comp_targetILNS1_3genE8ELNS1_11target_archE1030ELNS1_3gpuE2ELNS1_3repE0EEENS1_36merge_oddeven_config_static_selectorELNS0_4arch9wavefront6targetE1EEEvSK_
; %bb.0:
	.section	.rodata,"a",@progbits
	.p2align	6, 0x0
	.amdhsa_kernel _ZN7rocprim17ROCPRIM_400000_NS6detail17trampoline_kernelINS0_14default_configENS1_38merge_sort_block_merge_config_selectorIiNS0_10empty_typeEEEZZNS1_27merge_sort_block_merge_implIS3_N6thrust23THRUST_200600_302600_NS6detail15normal_iteratorINS9_10device_ptrIiEEEEPS5_m14custom_greaterIiEEE10hipError_tT0_T1_T2_jT3_P12ihipStream_tbPNSt15iterator_traitsISJ_E10value_typeEPNSP_ISK_E10value_typeEPSL_NS1_7vsmem_tEENKUlT_SJ_SK_SL_E_clIPiSE_SF_SF_EESI_SY_SJ_SK_SL_EUlSY_E1_NS1_11comp_targetILNS1_3genE8ELNS1_11target_archE1030ELNS1_3gpuE2ELNS1_3repE0EEENS1_36merge_oddeven_config_static_selectorELNS0_4arch9wavefront6targetE1EEEvSK_
		.amdhsa_group_segment_fixed_size 0
		.amdhsa_private_segment_fixed_size 0
		.amdhsa_kernarg_size 56
		.amdhsa_user_sgpr_count 6
		.amdhsa_user_sgpr_private_segment_buffer 1
		.amdhsa_user_sgpr_dispatch_ptr 0
		.amdhsa_user_sgpr_queue_ptr 0
		.amdhsa_user_sgpr_kernarg_segment_ptr 1
		.amdhsa_user_sgpr_dispatch_id 0
		.amdhsa_user_sgpr_flat_scratch_init 0
		.amdhsa_user_sgpr_kernarg_preload_length 0
		.amdhsa_user_sgpr_kernarg_preload_offset 0
		.amdhsa_user_sgpr_private_segment_size 0
		.amdhsa_uses_dynamic_stack 0
		.amdhsa_system_sgpr_private_segment_wavefront_offset 0
		.amdhsa_system_sgpr_workgroup_id_x 1
		.amdhsa_system_sgpr_workgroup_id_y 0
		.amdhsa_system_sgpr_workgroup_id_z 0
		.amdhsa_system_sgpr_workgroup_info 0
		.amdhsa_system_vgpr_workitem_id 0
		.amdhsa_next_free_vgpr 1
		.amdhsa_next_free_sgpr 0
		.amdhsa_accum_offset 4
		.amdhsa_reserve_vcc 0
		.amdhsa_reserve_flat_scratch 0
		.amdhsa_float_round_mode_32 0
		.amdhsa_float_round_mode_16_64 0
		.amdhsa_float_denorm_mode_32 3
		.amdhsa_float_denorm_mode_16_64 3
		.amdhsa_dx10_clamp 1
		.amdhsa_ieee_mode 1
		.amdhsa_fp16_overflow 0
		.amdhsa_tg_split 0
		.amdhsa_exception_fp_ieee_invalid_op 0
		.amdhsa_exception_fp_denorm_src 0
		.amdhsa_exception_fp_ieee_div_zero 0
		.amdhsa_exception_fp_ieee_overflow 0
		.amdhsa_exception_fp_ieee_underflow 0
		.amdhsa_exception_fp_ieee_inexact 0
		.amdhsa_exception_int_div_zero 0
	.end_amdhsa_kernel
	.section	.text._ZN7rocprim17ROCPRIM_400000_NS6detail17trampoline_kernelINS0_14default_configENS1_38merge_sort_block_merge_config_selectorIiNS0_10empty_typeEEEZZNS1_27merge_sort_block_merge_implIS3_N6thrust23THRUST_200600_302600_NS6detail15normal_iteratorINS9_10device_ptrIiEEEEPS5_m14custom_greaterIiEEE10hipError_tT0_T1_T2_jT3_P12ihipStream_tbPNSt15iterator_traitsISJ_E10value_typeEPNSP_ISK_E10value_typeEPSL_NS1_7vsmem_tEENKUlT_SJ_SK_SL_E_clIPiSE_SF_SF_EESI_SY_SJ_SK_SL_EUlSY_E1_NS1_11comp_targetILNS1_3genE8ELNS1_11target_archE1030ELNS1_3gpuE2ELNS1_3repE0EEENS1_36merge_oddeven_config_static_selectorELNS0_4arch9wavefront6targetE1EEEvSK_,"axG",@progbits,_ZN7rocprim17ROCPRIM_400000_NS6detail17trampoline_kernelINS0_14default_configENS1_38merge_sort_block_merge_config_selectorIiNS0_10empty_typeEEEZZNS1_27merge_sort_block_merge_implIS3_N6thrust23THRUST_200600_302600_NS6detail15normal_iteratorINS9_10device_ptrIiEEEEPS5_m14custom_greaterIiEEE10hipError_tT0_T1_T2_jT3_P12ihipStream_tbPNSt15iterator_traitsISJ_E10value_typeEPNSP_ISK_E10value_typeEPSL_NS1_7vsmem_tEENKUlT_SJ_SK_SL_E_clIPiSE_SF_SF_EESI_SY_SJ_SK_SL_EUlSY_E1_NS1_11comp_targetILNS1_3genE8ELNS1_11target_archE1030ELNS1_3gpuE2ELNS1_3repE0EEENS1_36merge_oddeven_config_static_selectorELNS0_4arch9wavefront6targetE1EEEvSK_,comdat
.Lfunc_end3111:
	.size	_ZN7rocprim17ROCPRIM_400000_NS6detail17trampoline_kernelINS0_14default_configENS1_38merge_sort_block_merge_config_selectorIiNS0_10empty_typeEEEZZNS1_27merge_sort_block_merge_implIS3_N6thrust23THRUST_200600_302600_NS6detail15normal_iteratorINS9_10device_ptrIiEEEEPS5_m14custom_greaterIiEEE10hipError_tT0_T1_T2_jT3_P12ihipStream_tbPNSt15iterator_traitsISJ_E10value_typeEPNSP_ISK_E10value_typeEPSL_NS1_7vsmem_tEENKUlT_SJ_SK_SL_E_clIPiSE_SF_SF_EESI_SY_SJ_SK_SL_EUlSY_E1_NS1_11comp_targetILNS1_3genE8ELNS1_11target_archE1030ELNS1_3gpuE2ELNS1_3repE0EEENS1_36merge_oddeven_config_static_selectorELNS0_4arch9wavefront6targetE1EEEvSK_, .Lfunc_end3111-_ZN7rocprim17ROCPRIM_400000_NS6detail17trampoline_kernelINS0_14default_configENS1_38merge_sort_block_merge_config_selectorIiNS0_10empty_typeEEEZZNS1_27merge_sort_block_merge_implIS3_N6thrust23THRUST_200600_302600_NS6detail15normal_iteratorINS9_10device_ptrIiEEEEPS5_m14custom_greaterIiEEE10hipError_tT0_T1_T2_jT3_P12ihipStream_tbPNSt15iterator_traitsISJ_E10value_typeEPNSP_ISK_E10value_typeEPSL_NS1_7vsmem_tEENKUlT_SJ_SK_SL_E_clIPiSE_SF_SF_EESI_SY_SJ_SK_SL_EUlSY_E1_NS1_11comp_targetILNS1_3genE8ELNS1_11target_archE1030ELNS1_3gpuE2ELNS1_3repE0EEENS1_36merge_oddeven_config_static_selectorELNS0_4arch9wavefront6targetE1EEEvSK_
                                        ; -- End function
	.section	.AMDGPU.csdata,"",@progbits
; Kernel info:
; codeLenInByte = 0
; NumSgprs: 4
; NumVgprs: 0
; NumAgprs: 0
; TotalNumVgprs: 0
; ScratchSize: 0
; MemoryBound: 0
; FloatMode: 240
; IeeeMode: 1
; LDSByteSize: 0 bytes/workgroup (compile time only)
; SGPRBlocks: 0
; VGPRBlocks: 0
; NumSGPRsForWavesPerEU: 4
; NumVGPRsForWavesPerEU: 1
; AccumOffset: 4
; Occupancy: 8
; WaveLimiterHint : 0
; COMPUTE_PGM_RSRC2:SCRATCH_EN: 0
; COMPUTE_PGM_RSRC2:USER_SGPR: 6
; COMPUTE_PGM_RSRC2:TRAP_HANDLER: 0
; COMPUTE_PGM_RSRC2:TGID_X_EN: 1
; COMPUTE_PGM_RSRC2:TGID_Y_EN: 0
; COMPUTE_PGM_RSRC2:TGID_Z_EN: 0
; COMPUTE_PGM_RSRC2:TIDIG_COMP_CNT: 0
; COMPUTE_PGM_RSRC3_GFX90A:ACCUM_OFFSET: 0
; COMPUTE_PGM_RSRC3_GFX90A:TG_SPLIT: 0
	.section	.text._ZN7rocprim17ROCPRIM_400000_NS6detail17trampoline_kernelINS0_14default_configENS1_38merge_sort_block_merge_config_selectorIiNS0_10empty_typeEEEZZNS1_27merge_sort_block_merge_implIS3_N6thrust23THRUST_200600_302600_NS6detail15normal_iteratorINS9_10device_ptrIiEEEEPS5_m14custom_greaterIiEEE10hipError_tT0_T1_T2_jT3_P12ihipStream_tbPNSt15iterator_traitsISJ_E10value_typeEPNSP_ISK_E10value_typeEPSL_NS1_7vsmem_tEENKUlT_SJ_SK_SL_E_clISE_PiSF_SF_EESI_SY_SJ_SK_SL_EUlSY_E_NS1_11comp_targetILNS1_3genE0ELNS1_11target_archE4294967295ELNS1_3gpuE0ELNS1_3repE0EEENS1_48merge_mergepath_partition_config_static_selectorELNS0_4arch9wavefront6targetE1EEEvSK_,"axG",@progbits,_ZN7rocprim17ROCPRIM_400000_NS6detail17trampoline_kernelINS0_14default_configENS1_38merge_sort_block_merge_config_selectorIiNS0_10empty_typeEEEZZNS1_27merge_sort_block_merge_implIS3_N6thrust23THRUST_200600_302600_NS6detail15normal_iteratorINS9_10device_ptrIiEEEEPS5_m14custom_greaterIiEEE10hipError_tT0_T1_T2_jT3_P12ihipStream_tbPNSt15iterator_traitsISJ_E10value_typeEPNSP_ISK_E10value_typeEPSL_NS1_7vsmem_tEENKUlT_SJ_SK_SL_E_clISE_PiSF_SF_EESI_SY_SJ_SK_SL_EUlSY_E_NS1_11comp_targetILNS1_3genE0ELNS1_11target_archE4294967295ELNS1_3gpuE0ELNS1_3repE0EEENS1_48merge_mergepath_partition_config_static_selectorELNS0_4arch9wavefront6targetE1EEEvSK_,comdat
	.protected	_ZN7rocprim17ROCPRIM_400000_NS6detail17trampoline_kernelINS0_14default_configENS1_38merge_sort_block_merge_config_selectorIiNS0_10empty_typeEEEZZNS1_27merge_sort_block_merge_implIS3_N6thrust23THRUST_200600_302600_NS6detail15normal_iteratorINS9_10device_ptrIiEEEEPS5_m14custom_greaterIiEEE10hipError_tT0_T1_T2_jT3_P12ihipStream_tbPNSt15iterator_traitsISJ_E10value_typeEPNSP_ISK_E10value_typeEPSL_NS1_7vsmem_tEENKUlT_SJ_SK_SL_E_clISE_PiSF_SF_EESI_SY_SJ_SK_SL_EUlSY_E_NS1_11comp_targetILNS1_3genE0ELNS1_11target_archE4294967295ELNS1_3gpuE0ELNS1_3repE0EEENS1_48merge_mergepath_partition_config_static_selectorELNS0_4arch9wavefront6targetE1EEEvSK_ ; -- Begin function _ZN7rocprim17ROCPRIM_400000_NS6detail17trampoline_kernelINS0_14default_configENS1_38merge_sort_block_merge_config_selectorIiNS0_10empty_typeEEEZZNS1_27merge_sort_block_merge_implIS3_N6thrust23THRUST_200600_302600_NS6detail15normal_iteratorINS9_10device_ptrIiEEEEPS5_m14custom_greaterIiEEE10hipError_tT0_T1_T2_jT3_P12ihipStream_tbPNSt15iterator_traitsISJ_E10value_typeEPNSP_ISK_E10value_typeEPSL_NS1_7vsmem_tEENKUlT_SJ_SK_SL_E_clISE_PiSF_SF_EESI_SY_SJ_SK_SL_EUlSY_E_NS1_11comp_targetILNS1_3genE0ELNS1_11target_archE4294967295ELNS1_3gpuE0ELNS1_3repE0EEENS1_48merge_mergepath_partition_config_static_selectorELNS0_4arch9wavefront6targetE1EEEvSK_
	.globl	_ZN7rocprim17ROCPRIM_400000_NS6detail17trampoline_kernelINS0_14default_configENS1_38merge_sort_block_merge_config_selectorIiNS0_10empty_typeEEEZZNS1_27merge_sort_block_merge_implIS3_N6thrust23THRUST_200600_302600_NS6detail15normal_iteratorINS9_10device_ptrIiEEEEPS5_m14custom_greaterIiEEE10hipError_tT0_T1_T2_jT3_P12ihipStream_tbPNSt15iterator_traitsISJ_E10value_typeEPNSP_ISK_E10value_typeEPSL_NS1_7vsmem_tEENKUlT_SJ_SK_SL_E_clISE_PiSF_SF_EESI_SY_SJ_SK_SL_EUlSY_E_NS1_11comp_targetILNS1_3genE0ELNS1_11target_archE4294967295ELNS1_3gpuE0ELNS1_3repE0EEENS1_48merge_mergepath_partition_config_static_selectorELNS0_4arch9wavefront6targetE1EEEvSK_
	.p2align	8
	.type	_ZN7rocprim17ROCPRIM_400000_NS6detail17trampoline_kernelINS0_14default_configENS1_38merge_sort_block_merge_config_selectorIiNS0_10empty_typeEEEZZNS1_27merge_sort_block_merge_implIS3_N6thrust23THRUST_200600_302600_NS6detail15normal_iteratorINS9_10device_ptrIiEEEEPS5_m14custom_greaterIiEEE10hipError_tT0_T1_T2_jT3_P12ihipStream_tbPNSt15iterator_traitsISJ_E10value_typeEPNSP_ISK_E10value_typeEPSL_NS1_7vsmem_tEENKUlT_SJ_SK_SL_E_clISE_PiSF_SF_EESI_SY_SJ_SK_SL_EUlSY_E_NS1_11comp_targetILNS1_3genE0ELNS1_11target_archE4294967295ELNS1_3gpuE0ELNS1_3repE0EEENS1_48merge_mergepath_partition_config_static_selectorELNS0_4arch9wavefront6targetE1EEEvSK_,@function
_ZN7rocprim17ROCPRIM_400000_NS6detail17trampoline_kernelINS0_14default_configENS1_38merge_sort_block_merge_config_selectorIiNS0_10empty_typeEEEZZNS1_27merge_sort_block_merge_implIS3_N6thrust23THRUST_200600_302600_NS6detail15normal_iteratorINS9_10device_ptrIiEEEEPS5_m14custom_greaterIiEEE10hipError_tT0_T1_T2_jT3_P12ihipStream_tbPNSt15iterator_traitsISJ_E10value_typeEPNSP_ISK_E10value_typeEPSL_NS1_7vsmem_tEENKUlT_SJ_SK_SL_E_clISE_PiSF_SF_EESI_SY_SJ_SK_SL_EUlSY_E_NS1_11comp_targetILNS1_3genE0ELNS1_11target_archE4294967295ELNS1_3gpuE0ELNS1_3repE0EEENS1_48merge_mergepath_partition_config_static_selectorELNS0_4arch9wavefront6targetE1EEEvSK_: ; @_ZN7rocprim17ROCPRIM_400000_NS6detail17trampoline_kernelINS0_14default_configENS1_38merge_sort_block_merge_config_selectorIiNS0_10empty_typeEEEZZNS1_27merge_sort_block_merge_implIS3_N6thrust23THRUST_200600_302600_NS6detail15normal_iteratorINS9_10device_ptrIiEEEEPS5_m14custom_greaterIiEEE10hipError_tT0_T1_T2_jT3_P12ihipStream_tbPNSt15iterator_traitsISJ_E10value_typeEPNSP_ISK_E10value_typeEPSL_NS1_7vsmem_tEENKUlT_SJ_SK_SL_E_clISE_PiSF_SF_EESI_SY_SJ_SK_SL_EUlSY_E_NS1_11comp_targetILNS1_3genE0ELNS1_11target_archE4294967295ELNS1_3gpuE0ELNS1_3repE0EEENS1_48merge_mergepath_partition_config_static_selectorELNS0_4arch9wavefront6targetE1EEEvSK_
; %bb.0:
	.section	.rodata,"a",@progbits
	.p2align	6, 0x0
	.amdhsa_kernel _ZN7rocprim17ROCPRIM_400000_NS6detail17trampoline_kernelINS0_14default_configENS1_38merge_sort_block_merge_config_selectorIiNS0_10empty_typeEEEZZNS1_27merge_sort_block_merge_implIS3_N6thrust23THRUST_200600_302600_NS6detail15normal_iteratorINS9_10device_ptrIiEEEEPS5_m14custom_greaterIiEEE10hipError_tT0_T1_T2_jT3_P12ihipStream_tbPNSt15iterator_traitsISJ_E10value_typeEPNSP_ISK_E10value_typeEPSL_NS1_7vsmem_tEENKUlT_SJ_SK_SL_E_clISE_PiSF_SF_EESI_SY_SJ_SK_SL_EUlSY_E_NS1_11comp_targetILNS1_3genE0ELNS1_11target_archE4294967295ELNS1_3gpuE0ELNS1_3repE0EEENS1_48merge_mergepath_partition_config_static_selectorELNS0_4arch9wavefront6targetE1EEEvSK_
		.amdhsa_group_segment_fixed_size 0
		.amdhsa_private_segment_fixed_size 0
		.amdhsa_kernarg_size 48
		.amdhsa_user_sgpr_count 6
		.amdhsa_user_sgpr_private_segment_buffer 1
		.amdhsa_user_sgpr_dispatch_ptr 0
		.amdhsa_user_sgpr_queue_ptr 0
		.amdhsa_user_sgpr_kernarg_segment_ptr 1
		.amdhsa_user_sgpr_dispatch_id 0
		.amdhsa_user_sgpr_flat_scratch_init 0
		.amdhsa_user_sgpr_kernarg_preload_length 0
		.amdhsa_user_sgpr_kernarg_preload_offset 0
		.amdhsa_user_sgpr_private_segment_size 0
		.amdhsa_uses_dynamic_stack 0
		.amdhsa_system_sgpr_private_segment_wavefront_offset 0
		.amdhsa_system_sgpr_workgroup_id_x 1
		.amdhsa_system_sgpr_workgroup_id_y 0
		.amdhsa_system_sgpr_workgroup_id_z 0
		.amdhsa_system_sgpr_workgroup_info 0
		.amdhsa_system_vgpr_workitem_id 0
		.amdhsa_next_free_vgpr 1
		.amdhsa_next_free_sgpr 0
		.amdhsa_accum_offset 4
		.amdhsa_reserve_vcc 0
		.amdhsa_reserve_flat_scratch 0
		.amdhsa_float_round_mode_32 0
		.amdhsa_float_round_mode_16_64 0
		.amdhsa_float_denorm_mode_32 3
		.amdhsa_float_denorm_mode_16_64 3
		.amdhsa_dx10_clamp 1
		.amdhsa_ieee_mode 1
		.amdhsa_fp16_overflow 0
		.amdhsa_tg_split 0
		.amdhsa_exception_fp_ieee_invalid_op 0
		.amdhsa_exception_fp_denorm_src 0
		.amdhsa_exception_fp_ieee_div_zero 0
		.amdhsa_exception_fp_ieee_overflow 0
		.amdhsa_exception_fp_ieee_underflow 0
		.amdhsa_exception_fp_ieee_inexact 0
		.amdhsa_exception_int_div_zero 0
	.end_amdhsa_kernel
	.section	.text._ZN7rocprim17ROCPRIM_400000_NS6detail17trampoline_kernelINS0_14default_configENS1_38merge_sort_block_merge_config_selectorIiNS0_10empty_typeEEEZZNS1_27merge_sort_block_merge_implIS3_N6thrust23THRUST_200600_302600_NS6detail15normal_iteratorINS9_10device_ptrIiEEEEPS5_m14custom_greaterIiEEE10hipError_tT0_T1_T2_jT3_P12ihipStream_tbPNSt15iterator_traitsISJ_E10value_typeEPNSP_ISK_E10value_typeEPSL_NS1_7vsmem_tEENKUlT_SJ_SK_SL_E_clISE_PiSF_SF_EESI_SY_SJ_SK_SL_EUlSY_E_NS1_11comp_targetILNS1_3genE0ELNS1_11target_archE4294967295ELNS1_3gpuE0ELNS1_3repE0EEENS1_48merge_mergepath_partition_config_static_selectorELNS0_4arch9wavefront6targetE1EEEvSK_,"axG",@progbits,_ZN7rocprim17ROCPRIM_400000_NS6detail17trampoline_kernelINS0_14default_configENS1_38merge_sort_block_merge_config_selectorIiNS0_10empty_typeEEEZZNS1_27merge_sort_block_merge_implIS3_N6thrust23THRUST_200600_302600_NS6detail15normal_iteratorINS9_10device_ptrIiEEEEPS5_m14custom_greaterIiEEE10hipError_tT0_T1_T2_jT3_P12ihipStream_tbPNSt15iterator_traitsISJ_E10value_typeEPNSP_ISK_E10value_typeEPSL_NS1_7vsmem_tEENKUlT_SJ_SK_SL_E_clISE_PiSF_SF_EESI_SY_SJ_SK_SL_EUlSY_E_NS1_11comp_targetILNS1_3genE0ELNS1_11target_archE4294967295ELNS1_3gpuE0ELNS1_3repE0EEENS1_48merge_mergepath_partition_config_static_selectorELNS0_4arch9wavefront6targetE1EEEvSK_,comdat
.Lfunc_end3112:
	.size	_ZN7rocprim17ROCPRIM_400000_NS6detail17trampoline_kernelINS0_14default_configENS1_38merge_sort_block_merge_config_selectorIiNS0_10empty_typeEEEZZNS1_27merge_sort_block_merge_implIS3_N6thrust23THRUST_200600_302600_NS6detail15normal_iteratorINS9_10device_ptrIiEEEEPS5_m14custom_greaterIiEEE10hipError_tT0_T1_T2_jT3_P12ihipStream_tbPNSt15iterator_traitsISJ_E10value_typeEPNSP_ISK_E10value_typeEPSL_NS1_7vsmem_tEENKUlT_SJ_SK_SL_E_clISE_PiSF_SF_EESI_SY_SJ_SK_SL_EUlSY_E_NS1_11comp_targetILNS1_3genE0ELNS1_11target_archE4294967295ELNS1_3gpuE0ELNS1_3repE0EEENS1_48merge_mergepath_partition_config_static_selectorELNS0_4arch9wavefront6targetE1EEEvSK_, .Lfunc_end3112-_ZN7rocprim17ROCPRIM_400000_NS6detail17trampoline_kernelINS0_14default_configENS1_38merge_sort_block_merge_config_selectorIiNS0_10empty_typeEEEZZNS1_27merge_sort_block_merge_implIS3_N6thrust23THRUST_200600_302600_NS6detail15normal_iteratorINS9_10device_ptrIiEEEEPS5_m14custom_greaterIiEEE10hipError_tT0_T1_T2_jT3_P12ihipStream_tbPNSt15iterator_traitsISJ_E10value_typeEPNSP_ISK_E10value_typeEPSL_NS1_7vsmem_tEENKUlT_SJ_SK_SL_E_clISE_PiSF_SF_EESI_SY_SJ_SK_SL_EUlSY_E_NS1_11comp_targetILNS1_3genE0ELNS1_11target_archE4294967295ELNS1_3gpuE0ELNS1_3repE0EEENS1_48merge_mergepath_partition_config_static_selectorELNS0_4arch9wavefront6targetE1EEEvSK_
                                        ; -- End function
	.section	.AMDGPU.csdata,"",@progbits
; Kernel info:
; codeLenInByte = 0
; NumSgprs: 4
; NumVgprs: 0
; NumAgprs: 0
; TotalNumVgprs: 0
; ScratchSize: 0
; MemoryBound: 0
; FloatMode: 240
; IeeeMode: 1
; LDSByteSize: 0 bytes/workgroup (compile time only)
; SGPRBlocks: 0
; VGPRBlocks: 0
; NumSGPRsForWavesPerEU: 4
; NumVGPRsForWavesPerEU: 1
; AccumOffset: 4
; Occupancy: 8
; WaveLimiterHint : 0
; COMPUTE_PGM_RSRC2:SCRATCH_EN: 0
; COMPUTE_PGM_RSRC2:USER_SGPR: 6
; COMPUTE_PGM_RSRC2:TRAP_HANDLER: 0
; COMPUTE_PGM_RSRC2:TGID_X_EN: 1
; COMPUTE_PGM_RSRC2:TGID_Y_EN: 0
; COMPUTE_PGM_RSRC2:TGID_Z_EN: 0
; COMPUTE_PGM_RSRC2:TIDIG_COMP_CNT: 0
; COMPUTE_PGM_RSRC3_GFX90A:ACCUM_OFFSET: 0
; COMPUTE_PGM_RSRC3_GFX90A:TG_SPLIT: 0
	.section	.text._ZN7rocprim17ROCPRIM_400000_NS6detail17trampoline_kernelINS0_14default_configENS1_38merge_sort_block_merge_config_selectorIiNS0_10empty_typeEEEZZNS1_27merge_sort_block_merge_implIS3_N6thrust23THRUST_200600_302600_NS6detail15normal_iteratorINS9_10device_ptrIiEEEEPS5_m14custom_greaterIiEEE10hipError_tT0_T1_T2_jT3_P12ihipStream_tbPNSt15iterator_traitsISJ_E10value_typeEPNSP_ISK_E10value_typeEPSL_NS1_7vsmem_tEENKUlT_SJ_SK_SL_E_clISE_PiSF_SF_EESI_SY_SJ_SK_SL_EUlSY_E_NS1_11comp_targetILNS1_3genE10ELNS1_11target_archE1201ELNS1_3gpuE5ELNS1_3repE0EEENS1_48merge_mergepath_partition_config_static_selectorELNS0_4arch9wavefront6targetE1EEEvSK_,"axG",@progbits,_ZN7rocprim17ROCPRIM_400000_NS6detail17trampoline_kernelINS0_14default_configENS1_38merge_sort_block_merge_config_selectorIiNS0_10empty_typeEEEZZNS1_27merge_sort_block_merge_implIS3_N6thrust23THRUST_200600_302600_NS6detail15normal_iteratorINS9_10device_ptrIiEEEEPS5_m14custom_greaterIiEEE10hipError_tT0_T1_T2_jT3_P12ihipStream_tbPNSt15iterator_traitsISJ_E10value_typeEPNSP_ISK_E10value_typeEPSL_NS1_7vsmem_tEENKUlT_SJ_SK_SL_E_clISE_PiSF_SF_EESI_SY_SJ_SK_SL_EUlSY_E_NS1_11comp_targetILNS1_3genE10ELNS1_11target_archE1201ELNS1_3gpuE5ELNS1_3repE0EEENS1_48merge_mergepath_partition_config_static_selectorELNS0_4arch9wavefront6targetE1EEEvSK_,comdat
	.protected	_ZN7rocprim17ROCPRIM_400000_NS6detail17trampoline_kernelINS0_14default_configENS1_38merge_sort_block_merge_config_selectorIiNS0_10empty_typeEEEZZNS1_27merge_sort_block_merge_implIS3_N6thrust23THRUST_200600_302600_NS6detail15normal_iteratorINS9_10device_ptrIiEEEEPS5_m14custom_greaterIiEEE10hipError_tT0_T1_T2_jT3_P12ihipStream_tbPNSt15iterator_traitsISJ_E10value_typeEPNSP_ISK_E10value_typeEPSL_NS1_7vsmem_tEENKUlT_SJ_SK_SL_E_clISE_PiSF_SF_EESI_SY_SJ_SK_SL_EUlSY_E_NS1_11comp_targetILNS1_3genE10ELNS1_11target_archE1201ELNS1_3gpuE5ELNS1_3repE0EEENS1_48merge_mergepath_partition_config_static_selectorELNS0_4arch9wavefront6targetE1EEEvSK_ ; -- Begin function _ZN7rocprim17ROCPRIM_400000_NS6detail17trampoline_kernelINS0_14default_configENS1_38merge_sort_block_merge_config_selectorIiNS0_10empty_typeEEEZZNS1_27merge_sort_block_merge_implIS3_N6thrust23THRUST_200600_302600_NS6detail15normal_iteratorINS9_10device_ptrIiEEEEPS5_m14custom_greaterIiEEE10hipError_tT0_T1_T2_jT3_P12ihipStream_tbPNSt15iterator_traitsISJ_E10value_typeEPNSP_ISK_E10value_typeEPSL_NS1_7vsmem_tEENKUlT_SJ_SK_SL_E_clISE_PiSF_SF_EESI_SY_SJ_SK_SL_EUlSY_E_NS1_11comp_targetILNS1_3genE10ELNS1_11target_archE1201ELNS1_3gpuE5ELNS1_3repE0EEENS1_48merge_mergepath_partition_config_static_selectorELNS0_4arch9wavefront6targetE1EEEvSK_
	.globl	_ZN7rocprim17ROCPRIM_400000_NS6detail17trampoline_kernelINS0_14default_configENS1_38merge_sort_block_merge_config_selectorIiNS0_10empty_typeEEEZZNS1_27merge_sort_block_merge_implIS3_N6thrust23THRUST_200600_302600_NS6detail15normal_iteratorINS9_10device_ptrIiEEEEPS5_m14custom_greaterIiEEE10hipError_tT0_T1_T2_jT3_P12ihipStream_tbPNSt15iterator_traitsISJ_E10value_typeEPNSP_ISK_E10value_typeEPSL_NS1_7vsmem_tEENKUlT_SJ_SK_SL_E_clISE_PiSF_SF_EESI_SY_SJ_SK_SL_EUlSY_E_NS1_11comp_targetILNS1_3genE10ELNS1_11target_archE1201ELNS1_3gpuE5ELNS1_3repE0EEENS1_48merge_mergepath_partition_config_static_selectorELNS0_4arch9wavefront6targetE1EEEvSK_
	.p2align	8
	.type	_ZN7rocprim17ROCPRIM_400000_NS6detail17trampoline_kernelINS0_14default_configENS1_38merge_sort_block_merge_config_selectorIiNS0_10empty_typeEEEZZNS1_27merge_sort_block_merge_implIS3_N6thrust23THRUST_200600_302600_NS6detail15normal_iteratorINS9_10device_ptrIiEEEEPS5_m14custom_greaterIiEEE10hipError_tT0_T1_T2_jT3_P12ihipStream_tbPNSt15iterator_traitsISJ_E10value_typeEPNSP_ISK_E10value_typeEPSL_NS1_7vsmem_tEENKUlT_SJ_SK_SL_E_clISE_PiSF_SF_EESI_SY_SJ_SK_SL_EUlSY_E_NS1_11comp_targetILNS1_3genE10ELNS1_11target_archE1201ELNS1_3gpuE5ELNS1_3repE0EEENS1_48merge_mergepath_partition_config_static_selectorELNS0_4arch9wavefront6targetE1EEEvSK_,@function
_ZN7rocprim17ROCPRIM_400000_NS6detail17trampoline_kernelINS0_14default_configENS1_38merge_sort_block_merge_config_selectorIiNS0_10empty_typeEEEZZNS1_27merge_sort_block_merge_implIS3_N6thrust23THRUST_200600_302600_NS6detail15normal_iteratorINS9_10device_ptrIiEEEEPS5_m14custom_greaterIiEEE10hipError_tT0_T1_T2_jT3_P12ihipStream_tbPNSt15iterator_traitsISJ_E10value_typeEPNSP_ISK_E10value_typeEPSL_NS1_7vsmem_tEENKUlT_SJ_SK_SL_E_clISE_PiSF_SF_EESI_SY_SJ_SK_SL_EUlSY_E_NS1_11comp_targetILNS1_3genE10ELNS1_11target_archE1201ELNS1_3gpuE5ELNS1_3repE0EEENS1_48merge_mergepath_partition_config_static_selectorELNS0_4arch9wavefront6targetE1EEEvSK_: ; @_ZN7rocprim17ROCPRIM_400000_NS6detail17trampoline_kernelINS0_14default_configENS1_38merge_sort_block_merge_config_selectorIiNS0_10empty_typeEEEZZNS1_27merge_sort_block_merge_implIS3_N6thrust23THRUST_200600_302600_NS6detail15normal_iteratorINS9_10device_ptrIiEEEEPS5_m14custom_greaterIiEEE10hipError_tT0_T1_T2_jT3_P12ihipStream_tbPNSt15iterator_traitsISJ_E10value_typeEPNSP_ISK_E10value_typeEPSL_NS1_7vsmem_tEENKUlT_SJ_SK_SL_E_clISE_PiSF_SF_EESI_SY_SJ_SK_SL_EUlSY_E_NS1_11comp_targetILNS1_3genE10ELNS1_11target_archE1201ELNS1_3gpuE5ELNS1_3repE0EEENS1_48merge_mergepath_partition_config_static_selectorELNS0_4arch9wavefront6targetE1EEEvSK_
; %bb.0:
	.section	.rodata,"a",@progbits
	.p2align	6, 0x0
	.amdhsa_kernel _ZN7rocprim17ROCPRIM_400000_NS6detail17trampoline_kernelINS0_14default_configENS1_38merge_sort_block_merge_config_selectorIiNS0_10empty_typeEEEZZNS1_27merge_sort_block_merge_implIS3_N6thrust23THRUST_200600_302600_NS6detail15normal_iteratorINS9_10device_ptrIiEEEEPS5_m14custom_greaterIiEEE10hipError_tT0_T1_T2_jT3_P12ihipStream_tbPNSt15iterator_traitsISJ_E10value_typeEPNSP_ISK_E10value_typeEPSL_NS1_7vsmem_tEENKUlT_SJ_SK_SL_E_clISE_PiSF_SF_EESI_SY_SJ_SK_SL_EUlSY_E_NS1_11comp_targetILNS1_3genE10ELNS1_11target_archE1201ELNS1_3gpuE5ELNS1_3repE0EEENS1_48merge_mergepath_partition_config_static_selectorELNS0_4arch9wavefront6targetE1EEEvSK_
		.amdhsa_group_segment_fixed_size 0
		.amdhsa_private_segment_fixed_size 0
		.amdhsa_kernarg_size 48
		.amdhsa_user_sgpr_count 6
		.amdhsa_user_sgpr_private_segment_buffer 1
		.amdhsa_user_sgpr_dispatch_ptr 0
		.amdhsa_user_sgpr_queue_ptr 0
		.amdhsa_user_sgpr_kernarg_segment_ptr 1
		.amdhsa_user_sgpr_dispatch_id 0
		.amdhsa_user_sgpr_flat_scratch_init 0
		.amdhsa_user_sgpr_kernarg_preload_length 0
		.amdhsa_user_sgpr_kernarg_preload_offset 0
		.amdhsa_user_sgpr_private_segment_size 0
		.amdhsa_uses_dynamic_stack 0
		.amdhsa_system_sgpr_private_segment_wavefront_offset 0
		.amdhsa_system_sgpr_workgroup_id_x 1
		.amdhsa_system_sgpr_workgroup_id_y 0
		.amdhsa_system_sgpr_workgroup_id_z 0
		.amdhsa_system_sgpr_workgroup_info 0
		.amdhsa_system_vgpr_workitem_id 0
		.amdhsa_next_free_vgpr 1
		.amdhsa_next_free_sgpr 0
		.amdhsa_accum_offset 4
		.amdhsa_reserve_vcc 0
		.amdhsa_reserve_flat_scratch 0
		.amdhsa_float_round_mode_32 0
		.amdhsa_float_round_mode_16_64 0
		.amdhsa_float_denorm_mode_32 3
		.amdhsa_float_denorm_mode_16_64 3
		.amdhsa_dx10_clamp 1
		.amdhsa_ieee_mode 1
		.amdhsa_fp16_overflow 0
		.amdhsa_tg_split 0
		.amdhsa_exception_fp_ieee_invalid_op 0
		.amdhsa_exception_fp_denorm_src 0
		.amdhsa_exception_fp_ieee_div_zero 0
		.amdhsa_exception_fp_ieee_overflow 0
		.amdhsa_exception_fp_ieee_underflow 0
		.amdhsa_exception_fp_ieee_inexact 0
		.amdhsa_exception_int_div_zero 0
	.end_amdhsa_kernel
	.section	.text._ZN7rocprim17ROCPRIM_400000_NS6detail17trampoline_kernelINS0_14default_configENS1_38merge_sort_block_merge_config_selectorIiNS0_10empty_typeEEEZZNS1_27merge_sort_block_merge_implIS3_N6thrust23THRUST_200600_302600_NS6detail15normal_iteratorINS9_10device_ptrIiEEEEPS5_m14custom_greaterIiEEE10hipError_tT0_T1_T2_jT3_P12ihipStream_tbPNSt15iterator_traitsISJ_E10value_typeEPNSP_ISK_E10value_typeEPSL_NS1_7vsmem_tEENKUlT_SJ_SK_SL_E_clISE_PiSF_SF_EESI_SY_SJ_SK_SL_EUlSY_E_NS1_11comp_targetILNS1_3genE10ELNS1_11target_archE1201ELNS1_3gpuE5ELNS1_3repE0EEENS1_48merge_mergepath_partition_config_static_selectorELNS0_4arch9wavefront6targetE1EEEvSK_,"axG",@progbits,_ZN7rocprim17ROCPRIM_400000_NS6detail17trampoline_kernelINS0_14default_configENS1_38merge_sort_block_merge_config_selectorIiNS0_10empty_typeEEEZZNS1_27merge_sort_block_merge_implIS3_N6thrust23THRUST_200600_302600_NS6detail15normal_iteratorINS9_10device_ptrIiEEEEPS5_m14custom_greaterIiEEE10hipError_tT0_T1_T2_jT3_P12ihipStream_tbPNSt15iterator_traitsISJ_E10value_typeEPNSP_ISK_E10value_typeEPSL_NS1_7vsmem_tEENKUlT_SJ_SK_SL_E_clISE_PiSF_SF_EESI_SY_SJ_SK_SL_EUlSY_E_NS1_11comp_targetILNS1_3genE10ELNS1_11target_archE1201ELNS1_3gpuE5ELNS1_3repE0EEENS1_48merge_mergepath_partition_config_static_selectorELNS0_4arch9wavefront6targetE1EEEvSK_,comdat
.Lfunc_end3113:
	.size	_ZN7rocprim17ROCPRIM_400000_NS6detail17trampoline_kernelINS0_14default_configENS1_38merge_sort_block_merge_config_selectorIiNS0_10empty_typeEEEZZNS1_27merge_sort_block_merge_implIS3_N6thrust23THRUST_200600_302600_NS6detail15normal_iteratorINS9_10device_ptrIiEEEEPS5_m14custom_greaterIiEEE10hipError_tT0_T1_T2_jT3_P12ihipStream_tbPNSt15iterator_traitsISJ_E10value_typeEPNSP_ISK_E10value_typeEPSL_NS1_7vsmem_tEENKUlT_SJ_SK_SL_E_clISE_PiSF_SF_EESI_SY_SJ_SK_SL_EUlSY_E_NS1_11comp_targetILNS1_3genE10ELNS1_11target_archE1201ELNS1_3gpuE5ELNS1_3repE0EEENS1_48merge_mergepath_partition_config_static_selectorELNS0_4arch9wavefront6targetE1EEEvSK_, .Lfunc_end3113-_ZN7rocprim17ROCPRIM_400000_NS6detail17trampoline_kernelINS0_14default_configENS1_38merge_sort_block_merge_config_selectorIiNS0_10empty_typeEEEZZNS1_27merge_sort_block_merge_implIS3_N6thrust23THRUST_200600_302600_NS6detail15normal_iteratorINS9_10device_ptrIiEEEEPS5_m14custom_greaterIiEEE10hipError_tT0_T1_T2_jT3_P12ihipStream_tbPNSt15iterator_traitsISJ_E10value_typeEPNSP_ISK_E10value_typeEPSL_NS1_7vsmem_tEENKUlT_SJ_SK_SL_E_clISE_PiSF_SF_EESI_SY_SJ_SK_SL_EUlSY_E_NS1_11comp_targetILNS1_3genE10ELNS1_11target_archE1201ELNS1_3gpuE5ELNS1_3repE0EEENS1_48merge_mergepath_partition_config_static_selectorELNS0_4arch9wavefront6targetE1EEEvSK_
                                        ; -- End function
	.section	.AMDGPU.csdata,"",@progbits
; Kernel info:
; codeLenInByte = 0
; NumSgprs: 4
; NumVgprs: 0
; NumAgprs: 0
; TotalNumVgprs: 0
; ScratchSize: 0
; MemoryBound: 0
; FloatMode: 240
; IeeeMode: 1
; LDSByteSize: 0 bytes/workgroup (compile time only)
; SGPRBlocks: 0
; VGPRBlocks: 0
; NumSGPRsForWavesPerEU: 4
; NumVGPRsForWavesPerEU: 1
; AccumOffset: 4
; Occupancy: 8
; WaveLimiterHint : 0
; COMPUTE_PGM_RSRC2:SCRATCH_EN: 0
; COMPUTE_PGM_RSRC2:USER_SGPR: 6
; COMPUTE_PGM_RSRC2:TRAP_HANDLER: 0
; COMPUTE_PGM_RSRC2:TGID_X_EN: 1
; COMPUTE_PGM_RSRC2:TGID_Y_EN: 0
; COMPUTE_PGM_RSRC2:TGID_Z_EN: 0
; COMPUTE_PGM_RSRC2:TIDIG_COMP_CNT: 0
; COMPUTE_PGM_RSRC3_GFX90A:ACCUM_OFFSET: 0
; COMPUTE_PGM_RSRC3_GFX90A:TG_SPLIT: 0
	.section	.text._ZN7rocprim17ROCPRIM_400000_NS6detail17trampoline_kernelINS0_14default_configENS1_38merge_sort_block_merge_config_selectorIiNS0_10empty_typeEEEZZNS1_27merge_sort_block_merge_implIS3_N6thrust23THRUST_200600_302600_NS6detail15normal_iteratorINS9_10device_ptrIiEEEEPS5_m14custom_greaterIiEEE10hipError_tT0_T1_T2_jT3_P12ihipStream_tbPNSt15iterator_traitsISJ_E10value_typeEPNSP_ISK_E10value_typeEPSL_NS1_7vsmem_tEENKUlT_SJ_SK_SL_E_clISE_PiSF_SF_EESI_SY_SJ_SK_SL_EUlSY_E_NS1_11comp_targetILNS1_3genE5ELNS1_11target_archE942ELNS1_3gpuE9ELNS1_3repE0EEENS1_48merge_mergepath_partition_config_static_selectorELNS0_4arch9wavefront6targetE1EEEvSK_,"axG",@progbits,_ZN7rocprim17ROCPRIM_400000_NS6detail17trampoline_kernelINS0_14default_configENS1_38merge_sort_block_merge_config_selectorIiNS0_10empty_typeEEEZZNS1_27merge_sort_block_merge_implIS3_N6thrust23THRUST_200600_302600_NS6detail15normal_iteratorINS9_10device_ptrIiEEEEPS5_m14custom_greaterIiEEE10hipError_tT0_T1_T2_jT3_P12ihipStream_tbPNSt15iterator_traitsISJ_E10value_typeEPNSP_ISK_E10value_typeEPSL_NS1_7vsmem_tEENKUlT_SJ_SK_SL_E_clISE_PiSF_SF_EESI_SY_SJ_SK_SL_EUlSY_E_NS1_11comp_targetILNS1_3genE5ELNS1_11target_archE942ELNS1_3gpuE9ELNS1_3repE0EEENS1_48merge_mergepath_partition_config_static_selectorELNS0_4arch9wavefront6targetE1EEEvSK_,comdat
	.protected	_ZN7rocprim17ROCPRIM_400000_NS6detail17trampoline_kernelINS0_14default_configENS1_38merge_sort_block_merge_config_selectorIiNS0_10empty_typeEEEZZNS1_27merge_sort_block_merge_implIS3_N6thrust23THRUST_200600_302600_NS6detail15normal_iteratorINS9_10device_ptrIiEEEEPS5_m14custom_greaterIiEEE10hipError_tT0_T1_T2_jT3_P12ihipStream_tbPNSt15iterator_traitsISJ_E10value_typeEPNSP_ISK_E10value_typeEPSL_NS1_7vsmem_tEENKUlT_SJ_SK_SL_E_clISE_PiSF_SF_EESI_SY_SJ_SK_SL_EUlSY_E_NS1_11comp_targetILNS1_3genE5ELNS1_11target_archE942ELNS1_3gpuE9ELNS1_3repE0EEENS1_48merge_mergepath_partition_config_static_selectorELNS0_4arch9wavefront6targetE1EEEvSK_ ; -- Begin function _ZN7rocprim17ROCPRIM_400000_NS6detail17trampoline_kernelINS0_14default_configENS1_38merge_sort_block_merge_config_selectorIiNS0_10empty_typeEEEZZNS1_27merge_sort_block_merge_implIS3_N6thrust23THRUST_200600_302600_NS6detail15normal_iteratorINS9_10device_ptrIiEEEEPS5_m14custom_greaterIiEEE10hipError_tT0_T1_T2_jT3_P12ihipStream_tbPNSt15iterator_traitsISJ_E10value_typeEPNSP_ISK_E10value_typeEPSL_NS1_7vsmem_tEENKUlT_SJ_SK_SL_E_clISE_PiSF_SF_EESI_SY_SJ_SK_SL_EUlSY_E_NS1_11comp_targetILNS1_3genE5ELNS1_11target_archE942ELNS1_3gpuE9ELNS1_3repE0EEENS1_48merge_mergepath_partition_config_static_selectorELNS0_4arch9wavefront6targetE1EEEvSK_
	.globl	_ZN7rocprim17ROCPRIM_400000_NS6detail17trampoline_kernelINS0_14default_configENS1_38merge_sort_block_merge_config_selectorIiNS0_10empty_typeEEEZZNS1_27merge_sort_block_merge_implIS3_N6thrust23THRUST_200600_302600_NS6detail15normal_iteratorINS9_10device_ptrIiEEEEPS5_m14custom_greaterIiEEE10hipError_tT0_T1_T2_jT3_P12ihipStream_tbPNSt15iterator_traitsISJ_E10value_typeEPNSP_ISK_E10value_typeEPSL_NS1_7vsmem_tEENKUlT_SJ_SK_SL_E_clISE_PiSF_SF_EESI_SY_SJ_SK_SL_EUlSY_E_NS1_11comp_targetILNS1_3genE5ELNS1_11target_archE942ELNS1_3gpuE9ELNS1_3repE0EEENS1_48merge_mergepath_partition_config_static_selectorELNS0_4arch9wavefront6targetE1EEEvSK_
	.p2align	8
	.type	_ZN7rocprim17ROCPRIM_400000_NS6detail17trampoline_kernelINS0_14default_configENS1_38merge_sort_block_merge_config_selectorIiNS0_10empty_typeEEEZZNS1_27merge_sort_block_merge_implIS3_N6thrust23THRUST_200600_302600_NS6detail15normal_iteratorINS9_10device_ptrIiEEEEPS5_m14custom_greaterIiEEE10hipError_tT0_T1_T2_jT3_P12ihipStream_tbPNSt15iterator_traitsISJ_E10value_typeEPNSP_ISK_E10value_typeEPSL_NS1_7vsmem_tEENKUlT_SJ_SK_SL_E_clISE_PiSF_SF_EESI_SY_SJ_SK_SL_EUlSY_E_NS1_11comp_targetILNS1_3genE5ELNS1_11target_archE942ELNS1_3gpuE9ELNS1_3repE0EEENS1_48merge_mergepath_partition_config_static_selectorELNS0_4arch9wavefront6targetE1EEEvSK_,@function
_ZN7rocprim17ROCPRIM_400000_NS6detail17trampoline_kernelINS0_14default_configENS1_38merge_sort_block_merge_config_selectorIiNS0_10empty_typeEEEZZNS1_27merge_sort_block_merge_implIS3_N6thrust23THRUST_200600_302600_NS6detail15normal_iteratorINS9_10device_ptrIiEEEEPS5_m14custom_greaterIiEEE10hipError_tT0_T1_T2_jT3_P12ihipStream_tbPNSt15iterator_traitsISJ_E10value_typeEPNSP_ISK_E10value_typeEPSL_NS1_7vsmem_tEENKUlT_SJ_SK_SL_E_clISE_PiSF_SF_EESI_SY_SJ_SK_SL_EUlSY_E_NS1_11comp_targetILNS1_3genE5ELNS1_11target_archE942ELNS1_3gpuE9ELNS1_3repE0EEENS1_48merge_mergepath_partition_config_static_selectorELNS0_4arch9wavefront6targetE1EEEvSK_: ; @_ZN7rocprim17ROCPRIM_400000_NS6detail17trampoline_kernelINS0_14default_configENS1_38merge_sort_block_merge_config_selectorIiNS0_10empty_typeEEEZZNS1_27merge_sort_block_merge_implIS3_N6thrust23THRUST_200600_302600_NS6detail15normal_iteratorINS9_10device_ptrIiEEEEPS5_m14custom_greaterIiEEE10hipError_tT0_T1_T2_jT3_P12ihipStream_tbPNSt15iterator_traitsISJ_E10value_typeEPNSP_ISK_E10value_typeEPSL_NS1_7vsmem_tEENKUlT_SJ_SK_SL_E_clISE_PiSF_SF_EESI_SY_SJ_SK_SL_EUlSY_E_NS1_11comp_targetILNS1_3genE5ELNS1_11target_archE942ELNS1_3gpuE9ELNS1_3repE0EEENS1_48merge_mergepath_partition_config_static_selectorELNS0_4arch9wavefront6targetE1EEEvSK_
; %bb.0:
	.section	.rodata,"a",@progbits
	.p2align	6, 0x0
	.amdhsa_kernel _ZN7rocprim17ROCPRIM_400000_NS6detail17trampoline_kernelINS0_14default_configENS1_38merge_sort_block_merge_config_selectorIiNS0_10empty_typeEEEZZNS1_27merge_sort_block_merge_implIS3_N6thrust23THRUST_200600_302600_NS6detail15normal_iteratorINS9_10device_ptrIiEEEEPS5_m14custom_greaterIiEEE10hipError_tT0_T1_T2_jT3_P12ihipStream_tbPNSt15iterator_traitsISJ_E10value_typeEPNSP_ISK_E10value_typeEPSL_NS1_7vsmem_tEENKUlT_SJ_SK_SL_E_clISE_PiSF_SF_EESI_SY_SJ_SK_SL_EUlSY_E_NS1_11comp_targetILNS1_3genE5ELNS1_11target_archE942ELNS1_3gpuE9ELNS1_3repE0EEENS1_48merge_mergepath_partition_config_static_selectorELNS0_4arch9wavefront6targetE1EEEvSK_
		.amdhsa_group_segment_fixed_size 0
		.amdhsa_private_segment_fixed_size 0
		.amdhsa_kernarg_size 48
		.amdhsa_user_sgpr_count 6
		.amdhsa_user_sgpr_private_segment_buffer 1
		.amdhsa_user_sgpr_dispatch_ptr 0
		.amdhsa_user_sgpr_queue_ptr 0
		.amdhsa_user_sgpr_kernarg_segment_ptr 1
		.amdhsa_user_sgpr_dispatch_id 0
		.amdhsa_user_sgpr_flat_scratch_init 0
		.amdhsa_user_sgpr_kernarg_preload_length 0
		.amdhsa_user_sgpr_kernarg_preload_offset 0
		.amdhsa_user_sgpr_private_segment_size 0
		.amdhsa_uses_dynamic_stack 0
		.amdhsa_system_sgpr_private_segment_wavefront_offset 0
		.amdhsa_system_sgpr_workgroup_id_x 1
		.amdhsa_system_sgpr_workgroup_id_y 0
		.amdhsa_system_sgpr_workgroup_id_z 0
		.amdhsa_system_sgpr_workgroup_info 0
		.amdhsa_system_vgpr_workitem_id 0
		.amdhsa_next_free_vgpr 1
		.amdhsa_next_free_sgpr 0
		.amdhsa_accum_offset 4
		.amdhsa_reserve_vcc 0
		.amdhsa_reserve_flat_scratch 0
		.amdhsa_float_round_mode_32 0
		.amdhsa_float_round_mode_16_64 0
		.amdhsa_float_denorm_mode_32 3
		.amdhsa_float_denorm_mode_16_64 3
		.amdhsa_dx10_clamp 1
		.amdhsa_ieee_mode 1
		.amdhsa_fp16_overflow 0
		.amdhsa_tg_split 0
		.amdhsa_exception_fp_ieee_invalid_op 0
		.amdhsa_exception_fp_denorm_src 0
		.amdhsa_exception_fp_ieee_div_zero 0
		.amdhsa_exception_fp_ieee_overflow 0
		.amdhsa_exception_fp_ieee_underflow 0
		.amdhsa_exception_fp_ieee_inexact 0
		.amdhsa_exception_int_div_zero 0
	.end_amdhsa_kernel
	.section	.text._ZN7rocprim17ROCPRIM_400000_NS6detail17trampoline_kernelINS0_14default_configENS1_38merge_sort_block_merge_config_selectorIiNS0_10empty_typeEEEZZNS1_27merge_sort_block_merge_implIS3_N6thrust23THRUST_200600_302600_NS6detail15normal_iteratorINS9_10device_ptrIiEEEEPS5_m14custom_greaterIiEEE10hipError_tT0_T1_T2_jT3_P12ihipStream_tbPNSt15iterator_traitsISJ_E10value_typeEPNSP_ISK_E10value_typeEPSL_NS1_7vsmem_tEENKUlT_SJ_SK_SL_E_clISE_PiSF_SF_EESI_SY_SJ_SK_SL_EUlSY_E_NS1_11comp_targetILNS1_3genE5ELNS1_11target_archE942ELNS1_3gpuE9ELNS1_3repE0EEENS1_48merge_mergepath_partition_config_static_selectorELNS0_4arch9wavefront6targetE1EEEvSK_,"axG",@progbits,_ZN7rocprim17ROCPRIM_400000_NS6detail17trampoline_kernelINS0_14default_configENS1_38merge_sort_block_merge_config_selectorIiNS0_10empty_typeEEEZZNS1_27merge_sort_block_merge_implIS3_N6thrust23THRUST_200600_302600_NS6detail15normal_iteratorINS9_10device_ptrIiEEEEPS5_m14custom_greaterIiEEE10hipError_tT0_T1_T2_jT3_P12ihipStream_tbPNSt15iterator_traitsISJ_E10value_typeEPNSP_ISK_E10value_typeEPSL_NS1_7vsmem_tEENKUlT_SJ_SK_SL_E_clISE_PiSF_SF_EESI_SY_SJ_SK_SL_EUlSY_E_NS1_11comp_targetILNS1_3genE5ELNS1_11target_archE942ELNS1_3gpuE9ELNS1_3repE0EEENS1_48merge_mergepath_partition_config_static_selectorELNS0_4arch9wavefront6targetE1EEEvSK_,comdat
.Lfunc_end3114:
	.size	_ZN7rocprim17ROCPRIM_400000_NS6detail17trampoline_kernelINS0_14default_configENS1_38merge_sort_block_merge_config_selectorIiNS0_10empty_typeEEEZZNS1_27merge_sort_block_merge_implIS3_N6thrust23THRUST_200600_302600_NS6detail15normal_iteratorINS9_10device_ptrIiEEEEPS5_m14custom_greaterIiEEE10hipError_tT0_T1_T2_jT3_P12ihipStream_tbPNSt15iterator_traitsISJ_E10value_typeEPNSP_ISK_E10value_typeEPSL_NS1_7vsmem_tEENKUlT_SJ_SK_SL_E_clISE_PiSF_SF_EESI_SY_SJ_SK_SL_EUlSY_E_NS1_11comp_targetILNS1_3genE5ELNS1_11target_archE942ELNS1_3gpuE9ELNS1_3repE0EEENS1_48merge_mergepath_partition_config_static_selectorELNS0_4arch9wavefront6targetE1EEEvSK_, .Lfunc_end3114-_ZN7rocprim17ROCPRIM_400000_NS6detail17trampoline_kernelINS0_14default_configENS1_38merge_sort_block_merge_config_selectorIiNS0_10empty_typeEEEZZNS1_27merge_sort_block_merge_implIS3_N6thrust23THRUST_200600_302600_NS6detail15normal_iteratorINS9_10device_ptrIiEEEEPS5_m14custom_greaterIiEEE10hipError_tT0_T1_T2_jT3_P12ihipStream_tbPNSt15iterator_traitsISJ_E10value_typeEPNSP_ISK_E10value_typeEPSL_NS1_7vsmem_tEENKUlT_SJ_SK_SL_E_clISE_PiSF_SF_EESI_SY_SJ_SK_SL_EUlSY_E_NS1_11comp_targetILNS1_3genE5ELNS1_11target_archE942ELNS1_3gpuE9ELNS1_3repE0EEENS1_48merge_mergepath_partition_config_static_selectorELNS0_4arch9wavefront6targetE1EEEvSK_
                                        ; -- End function
	.section	.AMDGPU.csdata,"",@progbits
; Kernel info:
; codeLenInByte = 0
; NumSgprs: 4
; NumVgprs: 0
; NumAgprs: 0
; TotalNumVgprs: 0
; ScratchSize: 0
; MemoryBound: 0
; FloatMode: 240
; IeeeMode: 1
; LDSByteSize: 0 bytes/workgroup (compile time only)
; SGPRBlocks: 0
; VGPRBlocks: 0
; NumSGPRsForWavesPerEU: 4
; NumVGPRsForWavesPerEU: 1
; AccumOffset: 4
; Occupancy: 8
; WaveLimiterHint : 0
; COMPUTE_PGM_RSRC2:SCRATCH_EN: 0
; COMPUTE_PGM_RSRC2:USER_SGPR: 6
; COMPUTE_PGM_RSRC2:TRAP_HANDLER: 0
; COMPUTE_PGM_RSRC2:TGID_X_EN: 1
; COMPUTE_PGM_RSRC2:TGID_Y_EN: 0
; COMPUTE_PGM_RSRC2:TGID_Z_EN: 0
; COMPUTE_PGM_RSRC2:TIDIG_COMP_CNT: 0
; COMPUTE_PGM_RSRC3_GFX90A:ACCUM_OFFSET: 0
; COMPUTE_PGM_RSRC3_GFX90A:TG_SPLIT: 0
	.section	.text._ZN7rocprim17ROCPRIM_400000_NS6detail17trampoline_kernelINS0_14default_configENS1_38merge_sort_block_merge_config_selectorIiNS0_10empty_typeEEEZZNS1_27merge_sort_block_merge_implIS3_N6thrust23THRUST_200600_302600_NS6detail15normal_iteratorINS9_10device_ptrIiEEEEPS5_m14custom_greaterIiEEE10hipError_tT0_T1_T2_jT3_P12ihipStream_tbPNSt15iterator_traitsISJ_E10value_typeEPNSP_ISK_E10value_typeEPSL_NS1_7vsmem_tEENKUlT_SJ_SK_SL_E_clISE_PiSF_SF_EESI_SY_SJ_SK_SL_EUlSY_E_NS1_11comp_targetILNS1_3genE4ELNS1_11target_archE910ELNS1_3gpuE8ELNS1_3repE0EEENS1_48merge_mergepath_partition_config_static_selectorELNS0_4arch9wavefront6targetE1EEEvSK_,"axG",@progbits,_ZN7rocprim17ROCPRIM_400000_NS6detail17trampoline_kernelINS0_14default_configENS1_38merge_sort_block_merge_config_selectorIiNS0_10empty_typeEEEZZNS1_27merge_sort_block_merge_implIS3_N6thrust23THRUST_200600_302600_NS6detail15normal_iteratorINS9_10device_ptrIiEEEEPS5_m14custom_greaterIiEEE10hipError_tT0_T1_T2_jT3_P12ihipStream_tbPNSt15iterator_traitsISJ_E10value_typeEPNSP_ISK_E10value_typeEPSL_NS1_7vsmem_tEENKUlT_SJ_SK_SL_E_clISE_PiSF_SF_EESI_SY_SJ_SK_SL_EUlSY_E_NS1_11comp_targetILNS1_3genE4ELNS1_11target_archE910ELNS1_3gpuE8ELNS1_3repE0EEENS1_48merge_mergepath_partition_config_static_selectorELNS0_4arch9wavefront6targetE1EEEvSK_,comdat
	.protected	_ZN7rocprim17ROCPRIM_400000_NS6detail17trampoline_kernelINS0_14default_configENS1_38merge_sort_block_merge_config_selectorIiNS0_10empty_typeEEEZZNS1_27merge_sort_block_merge_implIS3_N6thrust23THRUST_200600_302600_NS6detail15normal_iteratorINS9_10device_ptrIiEEEEPS5_m14custom_greaterIiEEE10hipError_tT0_T1_T2_jT3_P12ihipStream_tbPNSt15iterator_traitsISJ_E10value_typeEPNSP_ISK_E10value_typeEPSL_NS1_7vsmem_tEENKUlT_SJ_SK_SL_E_clISE_PiSF_SF_EESI_SY_SJ_SK_SL_EUlSY_E_NS1_11comp_targetILNS1_3genE4ELNS1_11target_archE910ELNS1_3gpuE8ELNS1_3repE0EEENS1_48merge_mergepath_partition_config_static_selectorELNS0_4arch9wavefront6targetE1EEEvSK_ ; -- Begin function _ZN7rocprim17ROCPRIM_400000_NS6detail17trampoline_kernelINS0_14default_configENS1_38merge_sort_block_merge_config_selectorIiNS0_10empty_typeEEEZZNS1_27merge_sort_block_merge_implIS3_N6thrust23THRUST_200600_302600_NS6detail15normal_iteratorINS9_10device_ptrIiEEEEPS5_m14custom_greaterIiEEE10hipError_tT0_T1_T2_jT3_P12ihipStream_tbPNSt15iterator_traitsISJ_E10value_typeEPNSP_ISK_E10value_typeEPSL_NS1_7vsmem_tEENKUlT_SJ_SK_SL_E_clISE_PiSF_SF_EESI_SY_SJ_SK_SL_EUlSY_E_NS1_11comp_targetILNS1_3genE4ELNS1_11target_archE910ELNS1_3gpuE8ELNS1_3repE0EEENS1_48merge_mergepath_partition_config_static_selectorELNS0_4arch9wavefront6targetE1EEEvSK_
	.globl	_ZN7rocprim17ROCPRIM_400000_NS6detail17trampoline_kernelINS0_14default_configENS1_38merge_sort_block_merge_config_selectorIiNS0_10empty_typeEEEZZNS1_27merge_sort_block_merge_implIS3_N6thrust23THRUST_200600_302600_NS6detail15normal_iteratorINS9_10device_ptrIiEEEEPS5_m14custom_greaterIiEEE10hipError_tT0_T1_T2_jT3_P12ihipStream_tbPNSt15iterator_traitsISJ_E10value_typeEPNSP_ISK_E10value_typeEPSL_NS1_7vsmem_tEENKUlT_SJ_SK_SL_E_clISE_PiSF_SF_EESI_SY_SJ_SK_SL_EUlSY_E_NS1_11comp_targetILNS1_3genE4ELNS1_11target_archE910ELNS1_3gpuE8ELNS1_3repE0EEENS1_48merge_mergepath_partition_config_static_selectorELNS0_4arch9wavefront6targetE1EEEvSK_
	.p2align	8
	.type	_ZN7rocprim17ROCPRIM_400000_NS6detail17trampoline_kernelINS0_14default_configENS1_38merge_sort_block_merge_config_selectorIiNS0_10empty_typeEEEZZNS1_27merge_sort_block_merge_implIS3_N6thrust23THRUST_200600_302600_NS6detail15normal_iteratorINS9_10device_ptrIiEEEEPS5_m14custom_greaterIiEEE10hipError_tT0_T1_T2_jT3_P12ihipStream_tbPNSt15iterator_traitsISJ_E10value_typeEPNSP_ISK_E10value_typeEPSL_NS1_7vsmem_tEENKUlT_SJ_SK_SL_E_clISE_PiSF_SF_EESI_SY_SJ_SK_SL_EUlSY_E_NS1_11comp_targetILNS1_3genE4ELNS1_11target_archE910ELNS1_3gpuE8ELNS1_3repE0EEENS1_48merge_mergepath_partition_config_static_selectorELNS0_4arch9wavefront6targetE1EEEvSK_,@function
_ZN7rocprim17ROCPRIM_400000_NS6detail17trampoline_kernelINS0_14default_configENS1_38merge_sort_block_merge_config_selectorIiNS0_10empty_typeEEEZZNS1_27merge_sort_block_merge_implIS3_N6thrust23THRUST_200600_302600_NS6detail15normal_iteratorINS9_10device_ptrIiEEEEPS5_m14custom_greaterIiEEE10hipError_tT0_T1_T2_jT3_P12ihipStream_tbPNSt15iterator_traitsISJ_E10value_typeEPNSP_ISK_E10value_typeEPSL_NS1_7vsmem_tEENKUlT_SJ_SK_SL_E_clISE_PiSF_SF_EESI_SY_SJ_SK_SL_EUlSY_E_NS1_11comp_targetILNS1_3genE4ELNS1_11target_archE910ELNS1_3gpuE8ELNS1_3repE0EEENS1_48merge_mergepath_partition_config_static_selectorELNS0_4arch9wavefront6targetE1EEEvSK_: ; @_ZN7rocprim17ROCPRIM_400000_NS6detail17trampoline_kernelINS0_14default_configENS1_38merge_sort_block_merge_config_selectorIiNS0_10empty_typeEEEZZNS1_27merge_sort_block_merge_implIS3_N6thrust23THRUST_200600_302600_NS6detail15normal_iteratorINS9_10device_ptrIiEEEEPS5_m14custom_greaterIiEEE10hipError_tT0_T1_T2_jT3_P12ihipStream_tbPNSt15iterator_traitsISJ_E10value_typeEPNSP_ISK_E10value_typeEPSL_NS1_7vsmem_tEENKUlT_SJ_SK_SL_E_clISE_PiSF_SF_EESI_SY_SJ_SK_SL_EUlSY_E_NS1_11comp_targetILNS1_3genE4ELNS1_11target_archE910ELNS1_3gpuE8ELNS1_3repE0EEENS1_48merge_mergepath_partition_config_static_selectorELNS0_4arch9wavefront6targetE1EEEvSK_
; %bb.0:
	s_load_dword s0, s[4:5], 0x0
	v_lshl_or_b32 v0, s6, 7, v0
	s_waitcnt lgkmcnt(0)
	v_cmp_gt_u32_e32 vcc, s0, v0
	s_and_saveexec_b64 s[0:1], vcc
	s_cbranch_execz .LBB3115_6
; %bb.1:
	s_load_dwordx4 s[0:3], s[4:5], 0x8
	s_load_dwordx2 s[6:7], s[4:5], 0x28
	v_mov_b32_e32 v5, 0
	s_waitcnt lgkmcnt(0)
	v_mov_b32_e32 v1, s0
	v_alignbit_b32 v1, s1, v1, 9
	v_and_b32_e32 v1, -2, v1
	v_add_u32_e32 v2, -1, v1
	v_sub_u32_e32 v1, 0, v1
	v_and_b32_e32 v4, v0, v1
	v_lshlrev_b64 v[8:9], 10, v[4:5]
	v_mov_b32_e32 v1, s3
	v_cmp_lt_u64_e32 vcc, s[2:3], v[8:9]
	v_mov_b32_e32 v4, s2
	v_and_b32_e32 v6, v2, v0
	v_cndmask_b32_e32 v3, v9, v1, vcc
	v_cndmask_b32_e32 v2, v8, v4, vcc
	v_mov_b32_e32 v7, s1
	v_add_co_u32_e32 v8, vcc, s0, v8
	v_addc_co_u32_e32 v9, vcc, v9, v7, vcc
	v_cmp_lt_u64_e32 vcc, s[2:3], v[8:9]
	v_cndmask_b32_e32 v8, v8, v4, vcc
	v_cndmask_b32_e32 v9, v9, v1, vcc
	v_add_co_u32_e32 v10, vcc, s0, v8
	v_addc_co_u32_e32 v11, vcc, v9, v7, vcc
	v_cmp_lt_u64_e32 vcc, s[2:3], v[10:11]
	v_cndmask_b32_e32 v12, v10, v4, vcc
	v_cndmask_b32_e32 v1, v11, v1, vcc
	v_sub_co_u32_e32 v10, vcc, v12, v2
	v_mov_b32_e32 v7, v5
	v_subb_co_u32_e32 v11, vcc, v1, v3, vcc
	v_lshlrev_b64 v[4:5], 10, v[6:7]
	v_cmp_lt_u64_e32 vcc, v[10:11], v[4:5]
	v_cndmask_b32_e32 v11, v5, v11, vcc
	v_cndmask_b32_e32 v10, v4, v10, vcc
	v_sub_co_u32_e32 v6, vcc, v8, v2
	v_subb_co_u32_e32 v7, vcc, v9, v3, vcc
	v_sub_co_u32_e32 v4, vcc, v8, v12
	v_subb_co_u32_e32 v1, vcc, v9, v1, vcc
	v_add_co_u32_e32 v4, vcc, v10, v4
	v_addc_co_u32_e32 v5, vcc, v11, v1, vcc
	v_cmp_gt_u64_e32 vcc, v[4:5], v[10:11]
	v_cndmask_b32_e64 v5, v5, 0, vcc
	v_cndmask_b32_e64 v4, v4, 0, vcc
	v_cmp_lt_u64_e32 vcc, v[10:11], v[6:7]
	v_cndmask_b32_e32 v7, v7, v11, vcc
	v_cndmask_b32_e32 v6, v6, v10, vcc
	v_cmp_lt_u64_e32 vcc, v[4:5], v[6:7]
	s_and_saveexec_b64 s[0:1], vcc
	s_cbranch_execz .LBB3115_5
; %bb.2:
	s_load_dwordx2 s[2:3], s[4:5], 0x18
	v_lshlrev_b64 v[12:13], 2, v[2:3]
	v_lshlrev_b64 v[8:9], 2, v[8:9]
	s_waitcnt lgkmcnt(0)
	v_mov_b32_e32 v14, s3
	v_add_co_u32_e32 v1, vcc, s2, v12
	v_addc_co_u32_e32 v12, vcc, v14, v13, vcc
	v_add_co_u32_e32 v13, vcc, s2, v8
	v_addc_co_u32_e32 v14, vcc, v14, v9, vcc
	v_lshlrev_b64 v[8:9], 2, v[10:11]
	v_add_co_u32_e32 v8, vcc, v13, v8
	v_addc_co_u32_e32 v9, vcc, v14, v9, vcc
	s_mov_b64 s[2:3], 0
.LBB3115_3:                             ; =>This Inner Loop Header: Depth=1
	v_add_co_u32_e32 v10, vcc, v6, v4
	v_addc_co_u32_e32 v11, vcc, v7, v5, vcc
	v_lshrrev_b64 v[10:11], 1, v[10:11]
	v_lshlrev_b64 v[16:17], 2, v[10:11]
	v_not_b32_e32 v15, v11
	v_not_b32_e32 v14, v10
	v_add_co_u32_e32 v16, vcc, v1, v16
	v_addc_co_u32_e32 v17, vcc, v12, v17, vcc
	v_lshlrev_b64 v[14:15], 2, v[14:15]
	v_add_co_u32_e32 v14, vcc, v8, v14
	v_addc_co_u32_e32 v15, vcc, v9, v15, vcc
	flat_load_dword v13, v[16:17]
	flat_load_dword v18, v[14:15]
	v_add_co_u32_e32 v14, vcc, 1, v10
	v_addc_co_u32_e32 v15, vcc, 0, v11, vcc
	s_waitcnt vmcnt(0) lgkmcnt(0)
	v_cmp_gt_i32_e32 vcc, v13, v18
	v_cndmask_b32_e32 v7, v7, v11, vcc
	v_cndmask_b32_e32 v6, v6, v10, vcc
	;; [unrolled: 1-line block ×4, first 2 shown]
	v_cmp_ge_u64_e32 vcc, v[4:5], v[6:7]
	s_or_b64 s[2:3], vcc, s[2:3]
	s_andn2_b64 exec, exec, s[2:3]
	s_cbranch_execnz .LBB3115_3
; %bb.4:
	s_or_b64 exec, exec, s[2:3]
.LBB3115_5:
	s_or_b64 exec, exec, s[0:1]
	v_add_co_u32_e32 v2, vcc, v4, v2
	v_mov_b32_e32 v1, 0
	v_addc_co_u32_e32 v3, vcc, v5, v3, vcc
	v_lshlrev_b64 v[0:1], 3, v[0:1]
	v_mov_b32_e32 v4, s7
	v_add_co_u32_e32 v0, vcc, s6, v0
	v_addc_co_u32_e32 v1, vcc, v4, v1, vcc
	global_store_dwordx2 v[0:1], v[2:3], off
.LBB3115_6:
	s_endpgm
	.section	.rodata,"a",@progbits
	.p2align	6, 0x0
	.amdhsa_kernel _ZN7rocprim17ROCPRIM_400000_NS6detail17trampoline_kernelINS0_14default_configENS1_38merge_sort_block_merge_config_selectorIiNS0_10empty_typeEEEZZNS1_27merge_sort_block_merge_implIS3_N6thrust23THRUST_200600_302600_NS6detail15normal_iteratorINS9_10device_ptrIiEEEEPS5_m14custom_greaterIiEEE10hipError_tT0_T1_T2_jT3_P12ihipStream_tbPNSt15iterator_traitsISJ_E10value_typeEPNSP_ISK_E10value_typeEPSL_NS1_7vsmem_tEENKUlT_SJ_SK_SL_E_clISE_PiSF_SF_EESI_SY_SJ_SK_SL_EUlSY_E_NS1_11comp_targetILNS1_3genE4ELNS1_11target_archE910ELNS1_3gpuE8ELNS1_3repE0EEENS1_48merge_mergepath_partition_config_static_selectorELNS0_4arch9wavefront6targetE1EEEvSK_
		.amdhsa_group_segment_fixed_size 0
		.amdhsa_private_segment_fixed_size 0
		.amdhsa_kernarg_size 48
		.amdhsa_user_sgpr_count 6
		.amdhsa_user_sgpr_private_segment_buffer 1
		.amdhsa_user_sgpr_dispatch_ptr 0
		.amdhsa_user_sgpr_queue_ptr 0
		.amdhsa_user_sgpr_kernarg_segment_ptr 1
		.amdhsa_user_sgpr_dispatch_id 0
		.amdhsa_user_sgpr_flat_scratch_init 0
		.amdhsa_user_sgpr_kernarg_preload_length 0
		.amdhsa_user_sgpr_kernarg_preload_offset 0
		.amdhsa_user_sgpr_private_segment_size 0
		.amdhsa_uses_dynamic_stack 0
		.amdhsa_system_sgpr_private_segment_wavefront_offset 0
		.amdhsa_system_sgpr_workgroup_id_x 1
		.amdhsa_system_sgpr_workgroup_id_y 0
		.amdhsa_system_sgpr_workgroup_id_z 0
		.amdhsa_system_sgpr_workgroup_info 0
		.amdhsa_system_vgpr_workitem_id 0
		.amdhsa_next_free_vgpr 19
		.amdhsa_next_free_sgpr 8
		.amdhsa_accum_offset 20
		.amdhsa_reserve_vcc 1
		.amdhsa_reserve_flat_scratch 0
		.amdhsa_float_round_mode_32 0
		.amdhsa_float_round_mode_16_64 0
		.amdhsa_float_denorm_mode_32 3
		.amdhsa_float_denorm_mode_16_64 3
		.amdhsa_dx10_clamp 1
		.amdhsa_ieee_mode 1
		.amdhsa_fp16_overflow 0
		.amdhsa_tg_split 0
		.amdhsa_exception_fp_ieee_invalid_op 0
		.amdhsa_exception_fp_denorm_src 0
		.amdhsa_exception_fp_ieee_div_zero 0
		.amdhsa_exception_fp_ieee_overflow 0
		.amdhsa_exception_fp_ieee_underflow 0
		.amdhsa_exception_fp_ieee_inexact 0
		.amdhsa_exception_int_div_zero 0
	.end_amdhsa_kernel
	.section	.text._ZN7rocprim17ROCPRIM_400000_NS6detail17trampoline_kernelINS0_14default_configENS1_38merge_sort_block_merge_config_selectorIiNS0_10empty_typeEEEZZNS1_27merge_sort_block_merge_implIS3_N6thrust23THRUST_200600_302600_NS6detail15normal_iteratorINS9_10device_ptrIiEEEEPS5_m14custom_greaterIiEEE10hipError_tT0_T1_T2_jT3_P12ihipStream_tbPNSt15iterator_traitsISJ_E10value_typeEPNSP_ISK_E10value_typeEPSL_NS1_7vsmem_tEENKUlT_SJ_SK_SL_E_clISE_PiSF_SF_EESI_SY_SJ_SK_SL_EUlSY_E_NS1_11comp_targetILNS1_3genE4ELNS1_11target_archE910ELNS1_3gpuE8ELNS1_3repE0EEENS1_48merge_mergepath_partition_config_static_selectorELNS0_4arch9wavefront6targetE1EEEvSK_,"axG",@progbits,_ZN7rocprim17ROCPRIM_400000_NS6detail17trampoline_kernelINS0_14default_configENS1_38merge_sort_block_merge_config_selectorIiNS0_10empty_typeEEEZZNS1_27merge_sort_block_merge_implIS3_N6thrust23THRUST_200600_302600_NS6detail15normal_iteratorINS9_10device_ptrIiEEEEPS5_m14custom_greaterIiEEE10hipError_tT0_T1_T2_jT3_P12ihipStream_tbPNSt15iterator_traitsISJ_E10value_typeEPNSP_ISK_E10value_typeEPSL_NS1_7vsmem_tEENKUlT_SJ_SK_SL_E_clISE_PiSF_SF_EESI_SY_SJ_SK_SL_EUlSY_E_NS1_11comp_targetILNS1_3genE4ELNS1_11target_archE910ELNS1_3gpuE8ELNS1_3repE0EEENS1_48merge_mergepath_partition_config_static_selectorELNS0_4arch9wavefront6targetE1EEEvSK_,comdat
.Lfunc_end3115:
	.size	_ZN7rocprim17ROCPRIM_400000_NS6detail17trampoline_kernelINS0_14default_configENS1_38merge_sort_block_merge_config_selectorIiNS0_10empty_typeEEEZZNS1_27merge_sort_block_merge_implIS3_N6thrust23THRUST_200600_302600_NS6detail15normal_iteratorINS9_10device_ptrIiEEEEPS5_m14custom_greaterIiEEE10hipError_tT0_T1_T2_jT3_P12ihipStream_tbPNSt15iterator_traitsISJ_E10value_typeEPNSP_ISK_E10value_typeEPSL_NS1_7vsmem_tEENKUlT_SJ_SK_SL_E_clISE_PiSF_SF_EESI_SY_SJ_SK_SL_EUlSY_E_NS1_11comp_targetILNS1_3genE4ELNS1_11target_archE910ELNS1_3gpuE8ELNS1_3repE0EEENS1_48merge_mergepath_partition_config_static_selectorELNS0_4arch9wavefront6targetE1EEEvSK_, .Lfunc_end3115-_ZN7rocprim17ROCPRIM_400000_NS6detail17trampoline_kernelINS0_14default_configENS1_38merge_sort_block_merge_config_selectorIiNS0_10empty_typeEEEZZNS1_27merge_sort_block_merge_implIS3_N6thrust23THRUST_200600_302600_NS6detail15normal_iteratorINS9_10device_ptrIiEEEEPS5_m14custom_greaterIiEEE10hipError_tT0_T1_T2_jT3_P12ihipStream_tbPNSt15iterator_traitsISJ_E10value_typeEPNSP_ISK_E10value_typeEPSL_NS1_7vsmem_tEENKUlT_SJ_SK_SL_E_clISE_PiSF_SF_EESI_SY_SJ_SK_SL_EUlSY_E_NS1_11comp_targetILNS1_3genE4ELNS1_11target_archE910ELNS1_3gpuE8ELNS1_3repE0EEENS1_48merge_mergepath_partition_config_static_selectorELNS0_4arch9wavefront6targetE1EEEvSK_
                                        ; -- End function
	.section	.AMDGPU.csdata,"",@progbits
; Kernel info:
; codeLenInByte = 500
; NumSgprs: 12
; NumVgprs: 19
; NumAgprs: 0
; TotalNumVgprs: 19
; ScratchSize: 0
; MemoryBound: 0
; FloatMode: 240
; IeeeMode: 1
; LDSByteSize: 0 bytes/workgroup (compile time only)
; SGPRBlocks: 1
; VGPRBlocks: 2
; NumSGPRsForWavesPerEU: 12
; NumVGPRsForWavesPerEU: 19
; AccumOffset: 20
; Occupancy: 8
; WaveLimiterHint : 0
; COMPUTE_PGM_RSRC2:SCRATCH_EN: 0
; COMPUTE_PGM_RSRC2:USER_SGPR: 6
; COMPUTE_PGM_RSRC2:TRAP_HANDLER: 0
; COMPUTE_PGM_RSRC2:TGID_X_EN: 1
; COMPUTE_PGM_RSRC2:TGID_Y_EN: 0
; COMPUTE_PGM_RSRC2:TGID_Z_EN: 0
; COMPUTE_PGM_RSRC2:TIDIG_COMP_CNT: 0
; COMPUTE_PGM_RSRC3_GFX90A:ACCUM_OFFSET: 4
; COMPUTE_PGM_RSRC3_GFX90A:TG_SPLIT: 0
	.section	.text._ZN7rocprim17ROCPRIM_400000_NS6detail17trampoline_kernelINS0_14default_configENS1_38merge_sort_block_merge_config_selectorIiNS0_10empty_typeEEEZZNS1_27merge_sort_block_merge_implIS3_N6thrust23THRUST_200600_302600_NS6detail15normal_iteratorINS9_10device_ptrIiEEEEPS5_m14custom_greaterIiEEE10hipError_tT0_T1_T2_jT3_P12ihipStream_tbPNSt15iterator_traitsISJ_E10value_typeEPNSP_ISK_E10value_typeEPSL_NS1_7vsmem_tEENKUlT_SJ_SK_SL_E_clISE_PiSF_SF_EESI_SY_SJ_SK_SL_EUlSY_E_NS1_11comp_targetILNS1_3genE3ELNS1_11target_archE908ELNS1_3gpuE7ELNS1_3repE0EEENS1_48merge_mergepath_partition_config_static_selectorELNS0_4arch9wavefront6targetE1EEEvSK_,"axG",@progbits,_ZN7rocprim17ROCPRIM_400000_NS6detail17trampoline_kernelINS0_14default_configENS1_38merge_sort_block_merge_config_selectorIiNS0_10empty_typeEEEZZNS1_27merge_sort_block_merge_implIS3_N6thrust23THRUST_200600_302600_NS6detail15normal_iteratorINS9_10device_ptrIiEEEEPS5_m14custom_greaterIiEEE10hipError_tT0_T1_T2_jT3_P12ihipStream_tbPNSt15iterator_traitsISJ_E10value_typeEPNSP_ISK_E10value_typeEPSL_NS1_7vsmem_tEENKUlT_SJ_SK_SL_E_clISE_PiSF_SF_EESI_SY_SJ_SK_SL_EUlSY_E_NS1_11comp_targetILNS1_3genE3ELNS1_11target_archE908ELNS1_3gpuE7ELNS1_3repE0EEENS1_48merge_mergepath_partition_config_static_selectorELNS0_4arch9wavefront6targetE1EEEvSK_,comdat
	.protected	_ZN7rocprim17ROCPRIM_400000_NS6detail17trampoline_kernelINS0_14default_configENS1_38merge_sort_block_merge_config_selectorIiNS0_10empty_typeEEEZZNS1_27merge_sort_block_merge_implIS3_N6thrust23THRUST_200600_302600_NS6detail15normal_iteratorINS9_10device_ptrIiEEEEPS5_m14custom_greaterIiEEE10hipError_tT0_T1_T2_jT3_P12ihipStream_tbPNSt15iterator_traitsISJ_E10value_typeEPNSP_ISK_E10value_typeEPSL_NS1_7vsmem_tEENKUlT_SJ_SK_SL_E_clISE_PiSF_SF_EESI_SY_SJ_SK_SL_EUlSY_E_NS1_11comp_targetILNS1_3genE3ELNS1_11target_archE908ELNS1_3gpuE7ELNS1_3repE0EEENS1_48merge_mergepath_partition_config_static_selectorELNS0_4arch9wavefront6targetE1EEEvSK_ ; -- Begin function _ZN7rocprim17ROCPRIM_400000_NS6detail17trampoline_kernelINS0_14default_configENS1_38merge_sort_block_merge_config_selectorIiNS0_10empty_typeEEEZZNS1_27merge_sort_block_merge_implIS3_N6thrust23THRUST_200600_302600_NS6detail15normal_iteratorINS9_10device_ptrIiEEEEPS5_m14custom_greaterIiEEE10hipError_tT0_T1_T2_jT3_P12ihipStream_tbPNSt15iterator_traitsISJ_E10value_typeEPNSP_ISK_E10value_typeEPSL_NS1_7vsmem_tEENKUlT_SJ_SK_SL_E_clISE_PiSF_SF_EESI_SY_SJ_SK_SL_EUlSY_E_NS1_11comp_targetILNS1_3genE3ELNS1_11target_archE908ELNS1_3gpuE7ELNS1_3repE0EEENS1_48merge_mergepath_partition_config_static_selectorELNS0_4arch9wavefront6targetE1EEEvSK_
	.globl	_ZN7rocprim17ROCPRIM_400000_NS6detail17trampoline_kernelINS0_14default_configENS1_38merge_sort_block_merge_config_selectorIiNS0_10empty_typeEEEZZNS1_27merge_sort_block_merge_implIS3_N6thrust23THRUST_200600_302600_NS6detail15normal_iteratorINS9_10device_ptrIiEEEEPS5_m14custom_greaterIiEEE10hipError_tT0_T1_T2_jT3_P12ihipStream_tbPNSt15iterator_traitsISJ_E10value_typeEPNSP_ISK_E10value_typeEPSL_NS1_7vsmem_tEENKUlT_SJ_SK_SL_E_clISE_PiSF_SF_EESI_SY_SJ_SK_SL_EUlSY_E_NS1_11comp_targetILNS1_3genE3ELNS1_11target_archE908ELNS1_3gpuE7ELNS1_3repE0EEENS1_48merge_mergepath_partition_config_static_selectorELNS0_4arch9wavefront6targetE1EEEvSK_
	.p2align	8
	.type	_ZN7rocprim17ROCPRIM_400000_NS6detail17trampoline_kernelINS0_14default_configENS1_38merge_sort_block_merge_config_selectorIiNS0_10empty_typeEEEZZNS1_27merge_sort_block_merge_implIS3_N6thrust23THRUST_200600_302600_NS6detail15normal_iteratorINS9_10device_ptrIiEEEEPS5_m14custom_greaterIiEEE10hipError_tT0_T1_T2_jT3_P12ihipStream_tbPNSt15iterator_traitsISJ_E10value_typeEPNSP_ISK_E10value_typeEPSL_NS1_7vsmem_tEENKUlT_SJ_SK_SL_E_clISE_PiSF_SF_EESI_SY_SJ_SK_SL_EUlSY_E_NS1_11comp_targetILNS1_3genE3ELNS1_11target_archE908ELNS1_3gpuE7ELNS1_3repE0EEENS1_48merge_mergepath_partition_config_static_selectorELNS0_4arch9wavefront6targetE1EEEvSK_,@function
_ZN7rocprim17ROCPRIM_400000_NS6detail17trampoline_kernelINS0_14default_configENS1_38merge_sort_block_merge_config_selectorIiNS0_10empty_typeEEEZZNS1_27merge_sort_block_merge_implIS3_N6thrust23THRUST_200600_302600_NS6detail15normal_iteratorINS9_10device_ptrIiEEEEPS5_m14custom_greaterIiEEE10hipError_tT0_T1_T2_jT3_P12ihipStream_tbPNSt15iterator_traitsISJ_E10value_typeEPNSP_ISK_E10value_typeEPSL_NS1_7vsmem_tEENKUlT_SJ_SK_SL_E_clISE_PiSF_SF_EESI_SY_SJ_SK_SL_EUlSY_E_NS1_11comp_targetILNS1_3genE3ELNS1_11target_archE908ELNS1_3gpuE7ELNS1_3repE0EEENS1_48merge_mergepath_partition_config_static_selectorELNS0_4arch9wavefront6targetE1EEEvSK_: ; @_ZN7rocprim17ROCPRIM_400000_NS6detail17trampoline_kernelINS0_14default_configENS1_38merge_sort_block_merge_config_selectorIiNS0_10empty_typeEEEZZNS1_27merge_sort_block_merge_implIS3_N6thrust23THRUST_200600_302600_NS6detail15normal_iteratorINS9_10device_ptrIiEEEEPS5_m14custom_greaterIiEEE10hipError_tT0_T1_T2_jT3_P12ihipStream_tbPNSt15iterator_traitsISJ_E10value_typeEPNSP_ISK_E10value_typeEPSL_NS1_7vsmem_tEENKUlT_SJ_SK_SL_E_clISE_PiSF_SF_EESI_SY_SJ_SK_SL_EUlSY_E_NS1_11comp_targetILNS1_3genE3ELNS1_11target_archE908ELNS1_3gpuE7ELNS1_3repE0EEENS1_48merge_mergepath_partition_config_static_selectorELNS0_4arch9wavefront6targetE1EEEvSK_
; %bb.0:
	.section	.rodata,"a",@progbits
	.p2align	6, 0x0
	.amdhsa_kernel _ZN7rocprim17ROCPRIM_400000_NS6detail17trampoline_kernelINS0_14default_configENS1_38merge_sort_block_merge_config_selectorIiNS0_10empty_typeEEEZZNS1_27merge_sort_block_merge_implIS3_N6thrust23THRUST_200600_302600_NS6detail15normal_iteratorINS9_10device_ptrIiEEEEPS5_m14custom_greaterIiEEE10hipError_tT0_T1_T2_jT3_P12ihipStream_tbPNSt15iterator_traitsISJ_E10value_typeEPNSP_ISK_E10value_typeEPSL_NS1_7vsmem_tEENKUlT_SJ_SK_SL_E_clISE_PiSF_SF_EESI_SY_SJ_SK_SL_EUlSY_E_NS1_11comp_targetILNS1_3genE3ELNS1_11target_archE908ELNS1_3gpuE7ELNS1_3repE0EEENS1_48merge_mergepath_partition_config_static_selectorELNS0_4arch9wavefront6targetE1EEEvSK_
		.amdhsa_group_segment_fixed_size 0
		.amdhsa_private_segment_fixed_size 0
		.amdhsa_kernarg_size 48
		.amdhsa_user_sgpr_count 6
		.amdhsa_user_sgpr_private_segment_buffer 1
		.amdhsa_user_sgpr_dispatch_ptr 0
		.amdhsa_user_sgpr_queue_ptr 0
		.amdhsa_user_sgpr_kernarg_segment_ptr 1
		.amdhsa_user_sgpr_dispatch_id 0
		.amdhsa_user_sgpr_flat_scratch_init 0
		.amdhsa_user_sgpr_kernarg_preload_length 0
		.amdhsa_user_sgpr_kernarg_preload_offset 0
		.amdhsa_user_sgpr_private_segment_size 0
		.amdhsa_uses_dynamic_stack 0
		.amdhsa_system_sgpr_private_segment_wavefront_offset 0
		.amdhsa_system_sgpr_workgroup_id_x 1
		.amdhsa_system_sgpr_workgroup_id_y 0
		.amdhsa_system_sgpr_workgroup_id_z 0
		.amdhsa_system_sgpr_workgroup_info 0
		.amdhsa_system_vgpr_workitem_id 0
		.amdhsa_next_free_vgpr 1
		.amdhsa_next_free_sgpr 0
		.amdhsa_accum_offset 4
		.amdhsa_reserve_vcc 0
		.amdhsa_reserve_flat_scratch 0
		.amdhsa_float_round_mode_32 0
		.amdhsa_float_round_mode_16_64 0
		.amdhsa_float_denorm_mode_32 3
		.amdhsa_float_denorm_mode_16_64 3
		.amdhsa_dx10_clamp 1
		.amdhsa_ieee_mode 1
		.amdhsa_fp16_overflow 0
		.amdhsa_tg_split 0
		.amdhsa_exception_fp_ieee_invalid_op 0
		.amdhsa_exception_fp_denorm_src 0
		.amdhsa_exception_fp_ieee_div_zero 0
		.amdhsa_exception_fp_ieee_overflow 0
		.amdhsa_exception_fp_ieee_underflow 0
		.amdhsa_exception_fp_ieee_inexact 0
		.amdhsa_exception_int_div_zero 0
	.end_amdhsa_kernel
	.section	.text._ZN7rocprim17ROCPRIM_400000_NS6detail17trampoline_kernelINS0_14default_configENS1_38merge_sort_block_merge_config_selectorIiNS0_10empty_typeEEEZZNS1_27merge_sort_block_merge_implIS3_N6thrust23THRUST_200600_302600_NS6detail15normal_iteratorINS9_10device_ptrIiEEEEPS5_m14custom_greaterIiEEE10hipError_tT0_T1_T2_jT3_P12ihipStream_tbPNSt15iterator_traitsISJ_E10value_typeEPNSP_ISK_E10value_typeEPSL_NS1_7vsmem_tEENKUlT_SJ_SK_SL_E_clISE_PiSF_SF_EESI_SY_SJ_SK_SL_EUlSY_E_NS1_11comp_targetILNS1_3genE3ELNS1_11target_archE908ELNS1_3gpuE7ELNS1_3repE0EEENS1_48merge_mergepath_partition_config_static_selectorELNS0_4arch9wavefront6targetE1EEEvSK_,"axG",@progbits,_ZN7rocprim17ROCPRIM_400000_NS6detail17trampoline_kernelINS0_14default_configENS1_38merge_sort_block_merge_config_selectorIiNS0_10empty_typeEEEZZNS1_27merge_sort_block_merge_implIS3_N6thrust23THRUST_200600_302600_NS6detail15normal_iteratorINS9_10device_ptrIiEEEEPS5_m14custom_greaterIiEEE10hipError_tT0_T1_T2_jT3_P12ihipStream_tbPNSt15iterator_traitsISJ_E10value_typeEPNSP_ISK_E10value_typeEPSL_NS1_7vsmem_tEENKUlT_SJ_SK_SL_E_clISE_PiSF_SF_EESI_SY_SJ_SK_SL_EUlSY_E_NS1_11comp_targetILNS1_3genE3ELNS1_11target_archE908ELNS1_3gpuE7ELNS1_3repE0EEENS1_48merge_mergepath_partition_config_static_selectorELNS0_4arch9wavefront6targetE1EEEvSK_,comdat
.Lfunc_end3116:
	.size	_ZN7rocprim17ROCPRIM_400000_NS6detail17trampoline_kernelINS0_14default_configENS1_38merge_sort_block_merge_config_selectorIiNS0_10empty_typeEEEZZNS1_27merge_sort_block_merge_implIS3_N6thrust23THRUST_200600_302600_NS6detail15normal_iteratorINS9_10device_ptrIiEEEEPS5_m14custom_greaterIiEEE10hipError_tT0_T1_T2_jT3_P12ihipStream_tbPNSt15iterator_traitsISJ_E10value_typeEPNSP_ISK_E10value_typeEPSL_NS1_7vsmem_tEENKUlT_SJ_SK_SL_E_clISE_PiSF_SF_EESI_SY_SJ_SK_SL_EUlSY_E_NS1_11comp_targetILNS1_3genE3ELNS1_11target_archE908ELNS1_3gpuE7ELNS1_3repE0EEENS1_48merge_mergepath_partition_config_static_selectorELNS0_4arch9wavefront6targetE1EEEvSK_, .Lfunc_end3116-_ZN7rocprim17ROCPRIM_400000_NS6detail17trampoline_kernelINS0_14default_configENS1_38merge_sort_block_merge_config_selectorIiNS0_10empty_typeEEEZZNS1_27merge_sort_block_merge_implIS3_N6thrust23THRUST_200600_302600_NS6detail15normal_iteratorINS9_10device_ptrIiEEEEPS5_m14custom_greaterIiEEE10hipError_tT0_T1_T2_jT3_P12ihipStream_tbPNSt15iterator_traitsISJ_E10value_typeEPNSP_ISK_E10value_typeEPSL_NS1_7vsmem_tEENKUlT_SJ_SK_SL_E_clISE_PiSF_SF_EESI_SY_SJ_SK_SL_EUlSY_E_NS1_11comp_targetILNS1_3genE3ELNS1_11target_archE908ELNS1_3gpuE7ELNS1_3repE0EEENS1_48merge_mergepath_partition_config_static_selectorELNS0_4arch9wavefront6targetE1EEEvSK_
                                        ; -- End function
	.section	.AMDGPU.csdata,"",@progbits
; Kernel info:
; codeLenInByte = 0
; NumSgprs: 4
; NumVgprs: 0
; NumAgprs: 0
; TotalNumVgprs: 0
; ScratchSize: 0
; MemoryBound: 0
; FloatMode: 240
; IeeeMode: 1
; LDSByteSize: 0 bytes/workgroup (compile time only)
; SGPRBlocks: 0
; VGPRBlocks: 0
; NumSGPRsForWavesPerEU: 4
; NumVGPRsForWavesPerEU: 1
; AccumOffset: 4
; Occupancy: 8
; WaveLimiterHint : 0
; COMPUTE_PGM_RSRC2:SCRATCH_EN: 0
; COMPUTE_PGM_RSRC2:USER_SGPR: 6
; COMPUTE_PGM_RSRC2:TRAP_HANDLER: 0
; COMPUTE_PGM_RSRC2:TGID_X_EN: 1
; COMPUTE_PGM_RSRC2:TGID_Y_EN: 0
; COMPUTE_PGM_RSRC2:TGID_Z_EN: 0
; COMPUTE_PGM_RSRC2:TIDIG_COMP_CNT: 0
; COMPUTE_PGM_RSRC3_GFX90A:ACCUM_OFFSET: 0
; COMPUTE_PGM_RSRC3_GFX90A:TG_SPLIT: 0
	.section	.text._ZN7rocprim17ROCPRIM_400000_NS6detail17trampoline_kernelINS0_14default_configENS1_38merge_sort_block_merge_config_selectorIiNS0_10empty_typeEEEZZNS1_27merge_sort_block_merge_implIS3_N6thrust23THRUST_200600_302600_NS6detail15normal_iteratorINS9_10device_ptrIiEEEEPS5_m14custom_greaterIiEEE10hipError_tT0_T1_T2_jT3_P12ihipStream_tbPNSt15iterator_traitsISJ_E10value_typeEPNSP_ISK_E10value_typeEPSL_NS1_7vsmem_tEENKUlT_SJ_SK_SL_E_clISE_PiSF_SF_EESI_SY_SJ_SK_SL_EUlSY_E_NS1_11comp_targetILNS1_3genE2ELNS1_11target_archE906ELNS1_3gpuE6ELNS1_3repE0EEENS1_48merge_mergepath_partition_config_static_selectorELNS0_4arch9wavefront6targetE1EEEvSK_,"axG",@progbits,_ZN7rocprim17ROCPRIM_400000_NS6detail17trampoline_kernelINS0_14default_configENS1_38merge_sort_block_merge_config_selectorIiNS0_10empty_typeEEEZZNS1_27merge_sort_block_merge_implIS3_N6thrust23THRUST_200600_302600_NS6detail15normal_iteratorINS9_10device_ptrIiEEEEPS5_m14custom_greaterIiEEE10hipError_tT0_T1_T2_jT3_P12ihipStream_tbPNSt15iterator_traitsISJ_E10value_typeEPNSP_ISK_E10value_typeEPSL_NS1_7vsmem_tEENKUlT_SJ_SK_SL_E_clISE_PiSF_SF_EESI_SY_SJ_SK_SL_EUlSY_E_NS1_11comp_targetILNS1_3genE2ELNS1_11target_archE906ELNS1_3gpuE6ELNS1_3repE0EEENS1_48merge_mergepath_partition_config_static_selectorELNS0_4arch9wavefront6targetE1EEEvSK_,comdat
	.protected	_ZN7rocprim17ROCPRIM_400000_NS6detail17trampoline_kernelINS0_14default_configENS1_38merge_sort_block_merge_config_selectorIiNS0_10empty_typeEEEZZNS1_27merge_sort_block_merge_implIS3_N6thrust23THRUST_200600_302600_NS6detail15normal_iteratorINS9_10device_ptrIiEEEEPS5_m14custom_greaterIiEEE10hipError_tT0_T1_T2_jT3_P12ihipStream_tbPNSt15iterator_traitsISJ_E10value_typeEPNSP_ISK_E10value_typeEPSL_NS1_7vsmem_tEENKUlT_SJ_SK_SL_E_clISE_PiSF_SF_EESI_SY_SJ_SK_SL_EUlSY_E_NS1_11comp_targetILNS1_3genE2ELNS1_11target_archE906ELNS1_3gpuE6ELNS1_3repE0EEENS1_48merge_mergepath_partition_config_static_selectorELNS0_4arch9wavefront6targetE1EEEvSK_ ; -- Begin function _ZN7rocprim17ROCPRIM_400000_NS6detail17trampoline_kernelINS0_14default_configENS1_38merge_sort_block_merge_config_selectorIiNS0_10empty_typeEEEZZNS1_27merge_sort_block_merge_implIS3_N6thrust23THRUST_200600_302600_NS6detail15normal_iteratorINS9_10device_ptrIiEEEEPS5_m14custom_greaterIiEEE10hipError_tT0_T1_T2_jT3_P12ihipStream_tbPNSt15iterator_traitsISJ_E10value_typeEPNSP_ISK_E10value_typeEPSL_NS1_7vsmem_tEENKUlT_SJ_SK_SL_E_clISE_PiSF_SF_EESI_SY_SJ_SK_SL_EUlSY_E_NS1_11comp_targetILNS1_3genE2ELNS1_11target_archE906ELNS1_3gpuE6ELNS1_3repE0EEENS1_48merge_mergepath_partition_config_static_selectorELNS0_4arch9wavefront6targetE1EEEvSK_
	.globl	_ZN7rocprim17ROCPRIM_400000_NS6detail17trampoline_kernelINS0_14default_configENS1_38merge_sort_block_merge_config_selectorIiNS0_10empty_typeEEEZZNS1_27merge_sort_block_merge_implIS3_N6thrust23THRUST_200600_302600_NS6detail15normal_iteratorINS9_10device_ptrIiEEEEPS5_m14custom_greaterIiEEE10hipError_tT0_T1_T2_jT3_P12ihipStream_tbPNSt15iterator_traitsISJ_E10value_typeEPNSP_ISK_E10value_typeEPSL_NS1_7vsmem_tEENKUlT_SJ_SK_SL_E_clISE_PiSF_SF_EESI_SY_SJ_SK_SL_EUlSY_E_NS1_11comp_targetILNS1_3genE2ELNS1_11target_archE906ELNS1_3gpuE6ELNS1_3repE0EEENS1_48merge_mergepath_partition_config_static_selectorELNS0_4arch9wavefront6targetE1EEEvSK_
	.p2align	8
	.type	_ZN7rocprim17ROCPRIM_400000_NS6detail17trampoline_kernelINS0_14default_configENS1_38merge_sort_block_merge_config_selectorIiNS0_10empty_typeEEEZZNS1_27merge_sort_block_merge_implIS3_N6thrust23THRUST_200600_302600_NS6detail15normal_iteratorINS9_10device_ptrIiEEEEPS5_m14custom_greaterIiEEE10hipError_tT0_T1_T2_jT3_P12ihipStream_tbPNSt15iterator_traitsISJ_E10value_typeEPNSP_ISK_E10value_typeEPSL_NS1_7vsmem_tEENKUlT_SJ_SK_SL_E_clISE_PiSF_SF_EESI_SY_SJ_SK_SL_EUlSY_E_NS1_11comp_targetILNS1_3genE2ELNS1_11target_archE906ELNS1_3gpuE6ELNS1_3repE0EEENS1_48merge_mergepath_partition_config_static_selectorELNS0_4arch9wavefront6targetE1EEEvSK_,@function
_ZN7rocprim17ROCPRIM_400000_NS6detail17trampoline_kernelINS0_14default_configENS1_38merge_sort_block_merge_config_selectorIiNS0_10empty_typeEEEZZNS1_27merge_sort_block_merge_implIS3_N6thrust23THRUST_200600_302600_NS6detail15normal_iteratorINS9_10device_ptrIiEEEEPS5_m14custom_greaterIiEEE10hipError_tT0_T1_T2_jT3_P12ihipStream_tbPNSt15iterator_traitsISJ_E10value_typeEPNSP_ISK_E10value_typeEPSL_NS1_7vsmem_tEENKUlT_SJ_SK_SL_E_clISE_PiSF_SF_EESI_SY_SJ_SK_SL_EUlSY_E_NS1_11comp_targetILNS1_3genE2ELNS1_11target_archE906ELNS1_3gpuE6ELNS1_3repE0EEENS1_48merge_mergepath_partition_config_static_selectorELNS0_4arch9wavefront6targetE1EEEvSK_: ; @_ZN7rocprim17ROCPRIM_400000_NS6detail17trampoline_kernelINS0_14default_configENS1_38merge_sort_block_merge_config_selectorIiNS0_10empty_typeEEEZZNS1_27merge_sort_block_merge_implIS3_N6thrust23THRUST_200600_302600_NS6detail15normal_iteratorINS9_10device_ptrIiEEEEPS5_m14custom_greaterIiEEE10hipError_tT0_T1_T2_jT3_P12ihipStream_tbPNSt15iterator_traitsISJ_E10value_typeEPNSP_ISK_E10value_typeEPSL_NS1_7vsmem_tEENKUlT_SJ_SK_SL_E_clISE_PiSF_SF_EESI_SY_SJ_SK_SL_EUlSY_E_NS1_11comp_targetILNS1_3genE2ELNS1_11target_archE906ELNS1_3gpuE6ELNS1_3repE0EEENS1_48merge_mergepath_partition_config_static_selectorELNS0_4arch9wavefront6targetE1EEEvSK_
; %bb.0:
	.section	.rodata,"a",@progbits
	.p2align	6, 0x0
	.amdhsa_kernel _ZN7rocprim17ROCPRIM_400000_NS6detail17trampoline_kernelINS0_14default_configENS1_38merge_sort_block_merge_config_selectorIiNS0_10empty_typeEEEZZNS1_27merge_sort_block_merge_implIS3_N6thrust23THRUST_200600_302600_NS6detail15normal_iteratorINS9_10device_ptrIiEEEEPS5_m14custom_greaterIiEEE10hipError_tT0_T1_T2_jT3_P12ihipStream_tbPNSt15iterator_traitsISJ_E10value_typeEPNSP_ISK_E10value_typeEPSL_NS1_7vsmem_tEENKUlT_SJ_SK_SL_E_clISE_PiSF_SF_EESI_SY_SJ_SK_SL_EUlSY_E_NS1_11comp_targetILNS1_3genE2ELNS1_11target_archE906ELNS1_3gpuE6ELNS1_3repE0EEENS1_48merge_mergepath_partition_config_static_selectorELNS0_4arch9wavefront6targetE1EEEvSK_
		.amdhsa_group_segment_fixed_size 0
		.amdhsa_private_segment_fixed_size 0
		.amdhsa_kernarg_size 48
		.amdhsa_user_sgpr_count 6
		.amdhsa_user_sgpr_private_segment_buffer 1
		.amdhsa_user_sgpr_dispatch_ptr 0
		.amdhsa_user_sgpr_queue_ptr 0
		.amdhsa_user_sgpr_kernarg_segment_ptr 1
		.amdhsa_user_sgpr_dispatch_id 0
		.amdhsa_user_sgpr_flat_scratch_init 0
		.amdhsa_user_sgpr_kernarg_preload_length 0
		.amdhsa_user_sgpr_kernarg_preload_offset 0
		.amdhsa_user_sgpr_private_segment_size 0
		.amdhsa_uses_dynamic_stack 0
		.amdhsa_system_sgpr_private_segment_wavefront_offset 0
		.amdhsa_system_sgpr_workgroup_id_x 1
		.amdhsa_system_sgpr_workgroup_id_y 0
		.amdhsa_system_sgpr_workgroup_id_z 0
		.amdhsa_system_sgpr_workgroup_info 0
		.amdhsa_system_vgpr_workitem_id 0
		.amdhsa_next_free_vgpr 1
		.amdhsa_next_free_sgpr 0
		.amdhsa_accum_offset 4
		.amdhsa_reserve_vcc 0
		.amdhsa_reserve_flat_scratch 0
		.amdhsa_float_round_mode_32 0
		.amdhsa_float_round_mode_16_64 0
		.amdhsa_float_denorm_mode_32 3
		.amdhsa_float_denorm_mode_16_64 3
		.amdhsa_dx10_clamp 1
		.amdhsa_ieee_mode 1
		.amdhsa_fp16_overflow 0
		.amdhsa_tg_split 0
		.amdhsa_exception_fp_ieee_invalid_op 0
		.amdhsa_exception_fp_denorm_src 0
		.amdhsa_exception_fp_ieee_div_zero 0
		.amdhsa_exception_fp_ieee_overflow 0
		.amdhsa_exception_fp_ieee_underflow 0
		.amdhsa_exception_fp_ieee_inexact 0
		.amdhsa_exception_int_div_zero 0
	.end_amdhsa_kernel
	.section	.text._ZN7rocprim17ROCPRIM_400000_NS6detail17trampoline_kernelINS0_14default_configENS1_38merge_sort_block_merge_config_selectorIiNS0_10empty_typeEEEZZNS1_27merge_sort_block_merge_implIS3_N6thrust23THRUST_200600_302600_NS6detail15normal_iteratorINS9_10device_ptrIiEEEEPS5_m14custom_greaterIiEEE10hipError_tT0_T1_T2_jT3_P12ihipStream_tbPNSt15iterator_traitsISJ_E10value_typeEPNSP_ISK_E10value_typeEPSL_NS1_7vsmem_tEENKUlT_SJ_SK_SL_E_clISE_PiSF_SF_EESI_SY_SJ_SK_SL_EUlSY_E_NS1_11comp_targetILNS1_3genE2ELNS1_11target_archE906ELNS1_3gpuE6ELNS1_3repE0EEENS1_48merge_mergepath_partition_config_static_selectorELNS0_4arch9wavefront6targetE1EEEvSK_,"axG",@progbits,_ZN7rocprim17ROCPRIM_400000_NS6detail17trampoline_kernelINS0_14default_configENS1_38merge_sort_block_merge_config_selectorIiNS0_10empty_typeEEEZZNS1_27merge_sort_block_merge_implIS3_N6thrust23THRUST_200600_302600_NS6detail15normal_iteratorINS9_10device_ptrIiEEEEPS5_m14custom_greaterIiEEE10hipError_tT0_T1_T2_jT3_P12ihipStream_tbPNSt15iterator_traitsISJ_E10value_typeEPNSP_ISK_E10value_typeEPSL_NS1_7vsmem_tEENKUlT_SJ_SK_SL_E_clISE_PiSF_SF_EESI_SY_SJ_SK_SL_EUlSY_E_NS1_11comp_targetILNS1_3genE2ELNS1_11target_archE906ELNS1_3gpuE6ELNS1_3repE0EEENS1_48merge_mergepath_partition_config_static_selectorELNS0_4arch9wavefront6targetE1EEEvSK_,comdat
.Lfunc_end3117:
	.size	_ZN7rocprim17ROCPRIM_400000_NS6detail17trampoline_kernelINS0_14default_configENS1_38merge_sort_block_merge_config_selectorIiNS0_10empty_typeEEEZZNS1_27merge_sort_block_merge_implIS3_N6thrust23THRUST_200600_302600_NS6detail15normal_iteratorINS9_10device_ptrIiEEEEPS5_m14custom_greaterIiEEE10hipError_tT0_T1_T2_jT3_P12ihipStream_tbPNSt15iterator_traitsISJ_E10value_typeEPNSP_ISK_E10value_typeEPSL_NS1_7vsmem_tEENKUlT_SJ_SK_SL_E_clISE_PiSF_SF_EESI_SY_SJ_SK_SL_EUlSY_E_NS1_11comp_targetILNS1_3genE2ELNS1_11target_archE906ELNS1_3gpuE6ELNS1_3repE0EEENS1_48merge_mergepath_partition_config_static_selectorELNS0_4arch9wavefront6targetE1EEEvSK_, .Lfunc_end3117-_ZN7rocprim17ROCPRIM_400000_NS6detail17trampoline_kernelINS0_14default_configENS1_38merge_sort_block_merge_config_selectorIiNS0_10empty_typeEEEZZNS1_27merge_sort_block_merge_implIS3_N6thrust23THRUST_200600_302600_NS6detail15normal_iteratorINS9_10device_ptrIiEEEEPS5_m14custom_greaterIiEEE10hipError_tT0_T1_T2_jT3_P12ihipStream_tbPNSt15iterator_traitsISJ_E10value_typeEPNSP_ISK_E10value_typeEPSL_NS1_7vsmem_tEENKUlT_SJ_SK_SL_E_clISE_PiSF_SF_EESI_SY_SJ_SK_SL_EUlSY_E_NS1_11comp_targetILNS1_3genE2ELNS1_11target_archE906ELNS1_3gpuE6ELNS1_3repE0EEENS1_48merge_mergepath_partition_config_static_selectorELNS0_4arch9wavefront6targetE1EEEvSK_
                                        ; -- End function
	.section	.AMDGPU.csdata,"",@progbits
; Kernel info:
; codeLenInByte = 0
; NumSgprs: 4
; NumVgprs: 0
; NumAgprs: 0
; TotalNumVgprs: 0
; ScratchSize: 0
; MemoryBound: 0
; FloatMode: 240
; IeeeMode: 1
; LDSByteSize: 0 bytes/workgroup (compile time only)
; SGPRBlocks: 0
; VGPRBlocks: 0
; NumSGPRsForWavesPerEU: 4
; NumVGPRsForWavesPerEU: 1
; AccumOffset: 4
; Occupancy: 8
; WaveLimiterHint : 0
; COMPUTE_PGM_RSRC2:SCRATCH_EN: 0
; COMPUTE_PGM_RSRC2:USER_SGPR: 6
; COMPUTE_PGM_RSRC2:TRAP_HANDLER: 0
; COMPUTE_PGM_RSRC2:TGID_X_EN: 1
; COMPUTE_PGM_RSRC2:TGID_Y_EN: 0
; COMPUTE_PGM_RSRC2:TGID_Z_EN: 0
; COMPUTE_PGM_RSRC2:TIDIG_COMP_CNT: 0
; COMPUTE_PGM_RSRC3_GFX90A:ACCUM_OFFSET: 0
; COMPUTE_PGM_RSRC3_GFX90A:TG_SPLIT: 0
	.section	.text._ZN7rocprim17ROCPRIM_400000_NS6detail17trampoline_kernelINS0_14default_configENS1_38merge_sort_block_merge_config_selectorIiNS0_10empty_typeEEEZZNS1_27merge_sort_block_merge_implIS3_N6thrust23THRUST_200600_302600_NS6detail15normal_iteratorINS9_10device_ptrIiEEEEPS5_m14custom_greaterIiEEE10hipError_tT0_T1_T2_jT3_P12ihipStream_tbPNSt15iterator_traitsISJ_E10value_typeEPNSP_ISK_E10value_typeEPSL_NS1_7vsmem_tEENKUlT_SJ_SK_SL_E_clISE_PiSF_SF_EESI_SY_SJ_SK_SL_EUlSY_E_NS1_11comp_targetILNS1_3genE9ELNS1_11target_archE1100ELNS1_3gpuE3ELNS1_3repE0EEENS1_48merge_mergepath_partition_config_static_selectorELNS0_4arch9wavefront6targetE1EEEvSK_,"axG",@progbits,_ZN7rocprim17ROCPRIM_400000_NS6detail17trampoline_kernelINS0_14default_configENS1_38merge_sort_block_merge_config_selectorIiNS0_10empty_typeEEEZZNS1_27merge_sort_block_merge_implIS3_N6thrust23THRUST_200600_302600_NS6detail15normal_iteratorINS9_10device_ptrIiEEEEPS5_m14custom_greaterIiEEE10hipError_tT0_T1_T2_jT3_P12ihipStream_tbPNSt15iterator_traitsISJ_E10value_typeEPNSP_ISK_E10value_typeEPSL_NS1_7vsmem_tEENKUlT_SJ_SK_SL_E_clISE_PiSF_SF_EESI_SY_SJ_SK_SL_EUlSY_E_NS1_11comp_targetILNS1_3genE9ELNS1_11target_archE1100ELNS1_3gpuE3ELNS1_3repE0EEENS1_48merge_mergepath_partition_config_static_selectorELNS0_4arch9wavefront6targetE1EEEvSK_,comdat
	.protected	_ZN7rocprim17ROCPRIM_400000_NS6detail17trampoline_kernelINS0_14default_configENS1_38merge_sort_block_merge_config_selectorIiNS0_10empty_typeEEEZZNS1_27merge_sort_block_merge_implIS3_N6thrust23THRUST_200600_302600_NS6detail15normal_iteratorINS9_10device_ptrIiEEEEPS5_m14custom_greaterIiEEE10hipError_tT0_T1_T2_jT3_P12ihipStream_tbPNSt15iterator_traitsISJ_E10value_typeEPNSP_ISK_E10value_typeEPSL_NS1_7vsmem_tEENKUlT_SJ_SK_SL_E_clISE_PiSF_SF_EESI_SY_SJ_SK_SL_EUlSY_E_NS1_11comp_targetILNS1_3genE9ELNS1_11target_archE1100ELNS1_3gpuE3ELNS1_3repE0EEENS1_48merge_mergepath_partition_config_static_selectorELNS0_4arch9wavefront6targetE1EEEvSK_ ; -- Begin function _ZN7rocprim17ROCPRIM_400000_NS6detail17trampoline_kernelINS0_14default_configENS1_38merge_sort_block_merge_config_selectorIiNS0_10empty_typeEEEZZNS1_27merge_sort_block_merge_implIS3_N6thrust23THRUST_200600_302600_NS6detail15normal_iteratorINS9_10device_ptrIiEEEEPS5_m14custom_greaterIiEEE10hipError_tT0_T1_T2_jT3_P12ihipStream_tbPNSt15iterator_traitsISJ_E10value_typeEPNSP_ISK_E10value_typeEPSL_NS1_7vsmem_tEENKUlT_SJ_SK_SL_E_clISE_PiSF_SF_EESI_SY_SJ_SK_SL_EUlSY_E_NS1_11comp_targetILNS1_3genE9ELNS1_11target_archE1100ELNS1_3gpuE3ELNS1_3repE0EEENS1_48merge_mergepath_partition_config_static_selectorELNS0_4arch9wavefront6targetE1EEEvSK_
	.globl	_ZN7rocprim17ROCPRIM_400000_NS6detail17trampoline_kernelINS0_14default_configENS1_38merge_sort_block_merge_config_selectorIiNS0_10empty_typeEEEZZNS1_27merge_sort_block_merge_implIS3_N6thrust23THRUST_200600_302600_NS6detail15normal_iteratorINS9_10device_ptrIiEEEEPS5_m14custom_greaterIiEEE10hipError_tT0_T1_T2_jT3_P12ihipStream_tbPNSt15iterator_traitsISJ_E10value_typeEPNSP_ISK_E10value_typeEPSL_NS1_7vsmem_tEENKUlT_SJ_SK_SL_E_clISE_PiSF_SF_EESI_SY_SJ_SK_SL_EUlSY_E_NS1_11comp_targetILNS1_3genE9ELNS1_11target_archE1100ELNS1_3gpuE3ELNS1_3repE0EEENS1_48merge_mergepath_partition_config_static_selectorELNS0_4arch9wavefront6targetE1EEEvSK_
	.p2align	8
	.type	_ZN7rocprim17ROCPRIM_400000_NS6detail17trampoline_kernelINS0_14default_configENS1_38merge_sort_block_merge_config_selectorIiNS0_10empty_typeEEEZZNS1_27merge_sort_block_merge_implIS3_N6thrust23THRUST_200600_302600_NS6detail15normal_iteratorINS9_10device_ptrIiEEEEPS5_m14custom_greaterIiEEE10hipError_tT0_T1_T2_jT3_P12ihipStream_tbPNSt15iterator_traitsISJ_E10value_typeEPNSP_ISK_E10value_typeEPSL_NS1_7vsmem_tEENKUlT_SJ_SK_SL_E_clISE_PiSF_SF_EESI_SY_SJ_SK_SL_EUlSY_E_NS1_11comp_targetILNS1_3genE9ELNS1_11target_archE1100ELNS1_3gpuE3ELNS1_3repE0EEENS1_48merge_mergepath_partition_config_static_selectorELNS0_4arch9wavefront6targetE1EEEvSK_,@function
_ZN7rocprim17ROCPRIM_400000_NS6detail17trampoline_kernelINS0_14default_configENS1_38merge_sort_block_merge_config_selectorIiNS0_10empty_typeEEEZZNS1_27merge_sort_block_merge_implIS3_N6thrust23THRUST_200600_302600_NS6detail15normal_iteratorINS9_10device_ptrIiEEEEPS5_m14custom_greaterIiEEE10hipError_tT0_T1_T2_jT3_P12ihipStream_tbPNSt15iterator_traitsISJ_E10value_typeEPNSP_ISK_E10value_typeEPSL_NS1_7vsmem_tEENKUlT_SJ_SK_SL_E_clISE_PiSF_SF_EESI_SY_SJ_SK_SL_EUlSY_E_NS1_11comp_targetILNS1_3genE9ELNS1_11target_archE1100ELNS1_3gpuE3ELNS1_3repE0EEENS1_48merge_mergepath_partition_config_static_selectorELNS0_4arch9wavefront6targetE1EEEvSK_: ; @_ZN7rocprim17ROCPRIM_400000_NS6detail17trampoline_kernelINS0_14default_configENS1_38merge_sort_block_merge_config_selectorIiNS0_10empty_typeEEEZZNS1_27merge_sort_block_merge_implIS3_N6thrust23THRUST_200600_302600_NS6detail15normal_iteratorINS9_10device_ptrIiEEEEPS5_m14custom_greaterIiEEE10hipError_tT0_T1_T2_jT3_P12ihipStream_tbPNSt15iterator_traitsISJ_E10value_typeEPNSP_ISK_E10value_typeEPSL_NS1_7vsmem_tEENKUlT_SJ_SK_SL_E_clISE_PiSF_SF_EESI_SY_SJ_SK_SL_EUlSY_E_NS1_11comp_targetILNS1_3genE9ELNS1_11target_archE1100ELNS1_3gpuE3ELNS1_3repE0EEENS1_48merge_mergepath_partition_config_static_selectorELNS0_4arch9wavefront6targetE1EEEvSK_
; %bb.0:
	.section	.rodata,"a",@progbits
	.p2align	6, 0x0
	.amdhsa_kernel _ZN7rocprim17ROCPRIM_400000_NS6detail17trampoline_kernelINS0_14default_configENS1_38merge_sort_block_merge_config_selectorIiNS0_10empty_typeEEEZZNS1_27merge_sort_block_merge_implIS3_N6thrust23THRUST_200600_302600_NS6detail15normal_iteratorINS9_10device_ptrIiEEEEPS5_m14custom_greaterIiEEE10hipError_tT0_T1_T2_jT3_P12ihipStream_tbPNSt15iterator_traitsISJ_E10value_typeEPNSP_ISK_E10value_typeEPSL_NS1_7vsmem_tEENKUlT_SJ_SK_SL_E_clISE_PiSF_SF_EESI_SY_SJ_SK_SL_EUlSY_E_NS1_11comp_targetILNS1_3genE9ELNS1_11target_archE1100ELNS1_3gpuE3ELNS1_3repE0EEENS1_48merge_mergepath_partition_config_static_selectorELNS0_4arch9wavefront6targetE1EEEvSK_
		.amdhsa_group_segment_fixed_size 0
		.amdhsa_private_segment_fixed_size 0
		.amdhsa_kernarg_size 48
		.amdhsa_user_sgpr_count 6
		.amdhsa_user_sgpr_private_segment_buffer 1
		.amdhsa_user_sgpr_dispatch_ptr 0
		.amdhsa_user_sgpr_queue_ptr 0
		.amdhsa_user_sgpr_kernarg_segment_ptr 1
		.amdhsa_user_sgpr_dispatch_id 0
		.amdhsa_user_sgpr_flat_scratch_init 0
		.amdhsa_user_sgpr_kernarg_preload_length 0
		.amdhsa_user_sgpr_kernarg_preload_offset 0
		.amdhsa_user_sgpr_private_segment_size 0
		.amdhsa_uses_dynamic_stack 0
		.amdhsa_system_sgpr_private_segment_wavefront_offset 0
		.amdhsa_system_sgpr_workgroup_id_x 1
		.amdhsa_system_sgpr_workgroup_id_y 0
		.amdhsa_system_sgpr_workgroup_id_z 0
		.amdhsa_system_sgpr_workgroup_info 0
		.amdhsa_system_vgpr_workitem_id 0
		.amdhsa_next_free_vgpr 1
		.amdhsa_next_free_sgpr 0
		.amdhsa_accum_offset 4
		.amdhsa_reserve_vcc 0
		.amdhsa_reserve_flat_scratch 0
		.amdhsa_float_round_mode_32 0
		.amdhsa_float_round_mode_16_64 0
		.amdhsa_float_denorm_mode_32 3
		.amdhsa_float_denorm_mode_16_64 3
		.amdhsa_dx10_clamp 1
		.amdhsa_ieee_mode 1
		.amdhsa_fp16_overflow 0
		.amdhsa_tg_split 0
		.amdhsa_exception_fp_ieee_invalid_op 0
		.amdhsa_exception_fp_denorm_src 0
		.amdhsa_exception_fp_ieee_div_zero 0
		.amdhsa_exception_fp_ieee_overflow 0
		.amdhsa_exception_fp_ieee_underflow 0
		.amdhsa_exception_fp_ieee_inexact 0
		.amdhsa_exception_int_div_zero 0
	.end_amdhsa_kernel
	.section	.text._ZN7rocprim17ROCPRIM_400000_NS6detail17trampoline_kernelINS0_14default_configENS1_38merge_sort_block_merge_config_selectorIiNS0_10empty_typeEEEZZNS1_27merge_sort_block_merge_implIS3_N6thrust23THRUST_200600_302600_NS6detail15normal_iteratorINS9_10device_ptrIiEEEEPS5_m14custom_greaterIiEEE10hipError_tT0_T1_T2_jT3_P12ihipStream_tbPNSt15iterator_traitsISJ_E10value_typeEPNSP_ISK_E10value_typeEPSL_NS1_7vsmem_tEENKUlT_SJ_SK_SL_E_clISE_PiSF_SF_EESI_SY_SJ_SK_SL_EUlSY_E_NS1_11comp_targetILNS1_3genE9ELNS1_11target_archE1100ELNS1_3gpuE3ELNS1_3repE0EEENS1_48merge_mergepath_partition_config_static_selectorELNS0_4arch9wavefront6targetE1EEEvSK_,"axG",@progbits,_ZN7rocprim17ROCPRIM_400000_NS6detail17trampoline_kernelINS0_14default_configENS1_38merge_sort_block_merge_config_selectorIiNS0_10empty_typeEEEZZNS1_27merge_sort_block_merge_implIS3_N6thrust23THRUST_200600_302600_NS6detail15normal_iteratorINS9_10device_ptrIiEEEEPS5_m14custom_greaterIiEEE10hipError_tT0_T1_T2_jT3_P12ihipStream_tbPNSt15iterator_traitsISJ_E10value_typeEPNSP_ISK_E10value_typeEPSL_NS1_7vsmem_tEENKUlT_SJ_SK_SL_E_clISE_PiSF_SF_EESI_SY_SJ_SK_SL_EUlSY_E_NS1_11comp_targetILNS1_3genE9ELNS1_11target_archE1100ELNS1_3gpuE3ELNS1_3repE0EEENS1_48merge_mergepath_partition_config_static_selectorELNS0_4arch9wavefront6targetE1EEEvSK_,comdat
.Lfunc_end3118:
	.size	_ZN7rocprim17ROCPRIM_400000_NS6detail17trampoline_kernelINS0_14default_configENS1_38merge_sort_block_merge_config_selectorIiNS0_10empty_typeEEEZZNS1_27merge_sort_block_merge_implIS3_N6thrust23THRUST_200600_302600_NS6detail15normal_iteratorINS9_10device_ptrIiEEEEPS5_m14custom_greaterIiEEE10hipError_tT0_T1_T2_jT3_P12ihipStream_tbPNSt15iterator_traitsISJ_E10value_typeEPNSP_ISK_E10value_typeEPSL_NS1_7vsmem_tEENKUlT_SJ_SK_SL_E_clISE_PiSF_SF_EESI_SY_SJ_SK_SL_EUlSY_E_NS1_11comp_targetILNS1_3genE9ELNS1_11target_archE1100ELNS1_3gpuE3ELNS1_3repE0EEENS1_48merge_mergepath_partition_config_static_selectorELNS0_4arch9wavefront6targetE1EEEvSK_, .Lfunc_end3118-_ZN7rocprim17ROCPRIM_400000_NS6detail17trampoline_kernelINS0_14default_configENS1_38merge_sort_block_merge_config_selectorIiNS0_10empty_typeEEEZZNS1_27merge_sort_block_merge_implIS3_N6thrust23THRUST_200600_302600_NS6detail15normal_iteratorINS9_10device_ptrIiEEEEPS5_m14custom_greaterIiEEE10hipError_tT0_T1_T2_jT3_P12ihipStream_tbPNSt15iterator_traitsISJ_E10value_typeEPNSP_ISK_E10value_typeEPSL_NS1_7vsmem_tEENKUlT_SJ_SK_SL_E_clISE_PiSF_SF_EESI_SY_SJ_SK_SL_EUlSY_E_NS1_11comp_targetILNS1_3genE9ELNS1_11target_archE1100ELNS1_3gpuE3ELNS1_3repE0EEENS1_48merge_mergepath_partition_config_static_selectorELNS0_4arch9wavefront6targetE1EEEvSK_
                                        ; -- End function
	.section	.AMDGPU.csdata,"",@progbits
; Kernel info:
; codeLenInByte = 0
; NumSgprs: 4
; NumVgprs: 0
; NumAgprs: 0
; TotalNumVgprs: 0
; ScratchSize: 0
; MemoryBound: 0
; FloatMode: 240
; IeeeMode: 1
; LDSByteSize: 0 bytes/workgroup (compile time only)
; SGPRBlocks: 0
; VGPRBlocks: 0
; NumSGPRsForWavesPerEU: 4
; NumVGPRsForWavesPerEU: 1
; AccumOffset: 4
; Occupancy: 8
; WaveLimiterHint : 0
; COMPUTE_PGM_RSRC2:SCRATCH_EN: 0
; COMPUTE_PGM_RSRC2:USER_SGPR: 6
; COMPUTE_PGM_RSRC2:TRAP_HANDLER: 0
; COMPUTE_PGM_RSRC2:TGID_X_EN: 1
; COMPUTE_PGM_RSRC2:TGID_Y_EN: 0
; COMPUTE_PGM_RSRC2:TGID_Z_EN: 0
; COMPUTE_PGM_RSRC2:TIDIG_COMP_CNT: 0
; COMPUTE_PGM_RSRC3_GFX90A:ACCUM_OFFSET: 0
; COMPUTE_PGM_RSRC3_GFX90A:TG_SPLIT: 0
	.section	.text._ZN7rocprim17ROCPRIM_400000_NS6detail17trampoline_kernelINS0_14default_configENS1_38merge_sort_block_merge_config_selectorIiNS0_10empty_typeEEEZZNS1_27merge_sort_block_merge_implIS3_N6thrust23THRUST_200600_302600_NS6detail15normal_iteratorINS9_10device_ptrIiEEEEPS5_m14custom_greaterIiEEE10hipError_tT0_T1_T2_jT3_P12ihipStream_tbPNSt15iterator_traitsISJ_E10value_typeEPNSP_ISK_E10value_typeEPSL_NS1_7vsmem_tEENKUlT_SJ_SK_SL_E_clISE_PiSF_SF_EESI_SY_SJ_SK_SL_EUlSY_E_NS1_11comp_targetILNS1_3genE8ELNS1_11target_archE1030ELNS1_3gpuE2ELNS1_3repE0EEENS1_48merge_mergepath_partition_config_static_selectorELNS0_4arch9wavefront6targetE1EEEvSK_,"axG",@progbits,_ZN7rocprim17ROCPRIM_400000_NS6detail17trampoline_kernelINS0_14default_configENS1_38merge_sort_block_merge_config_selectorIiNS0_10empty_typeEEEZZNS1_27merge_sort_block_merge_implIS3_N6thrust23THRUST_200600_302600_NS6detail15normal_iteratorINS9_10device_ptrIiEEEEPS5_m14custom_greaterIiEEE10hipError_tT0_T1_T2_jT3_P12ihipStream_tbPNSt15iterator_traitsISJ_E10value_typeEPNSP_ISK_E10value_typeEPSL_NS1_7vsmem_tEENKUlT_SJ_SK_SL_E_clISE_PiSF_SF_EESI_SY_SJ_SK_SL_EUlSY_E_NS1_11comp_targetILNS1_3genE8ELNS1_11target_archE1030ELNS1_3gpuE2ELNS1_3repE0EEENS1_48merge_mergepath_partition_config_static_selectorELNS0_4arch9wavefront6targetE1EEEvSK_,comdat
	.protected	_ZN7rocprim17ROCPRIM_400000_NS6detail17trampoline_kernelINS0_14default_configENS1_38merge_sort_block_merge_config_selectorIiNS0_10empty_typeEEEZZNS1_27merge_sort_block_merge_implIS3_N6thrust23THRUST_200600_302600_NS6detail15normal_iteratorINS9_10device_ptrIiEEEEPS5_m14custom_greaterIiEEE10hipError_tT0_T1_T2_jT3_P12ihipStream_tbPNSt15iterator_traitsISJ_E10value_typeEPNSP_ISK_E10value_typeEPSL_NS1_7vsmem_tEENKUlT_SJ_SK_SL_E_clISE_PiSF_SF_EESI_SY_SJ_SK_SL_EUlSY_E_NS1_11comp_targetILNS1_3genE8ELNS1_11target_archE1030ELNS1_3gpuE2ELNS1_3repE0EEENS1_48merge_mergepath_partition_config_static_selectorELNS0_4arch9wavefront6targetE1EEEvSK_ ; -- Begin function _ZN7rocprim17ROCPRIM_400000_NS6detail17trampoline_kernelINS0_14default_configENS1_38merge_sort_block_merge_config_selectorIiNS0_10empty_typeEEEZZNS1_27merge_sort_block_merge_implIS3_N6thrust23THRUST_200600_302600_NS6detail15normal_iteratorINS9_10device_ptrIiEEEEPS5_m14custom_greaterIiEEE10hipError_tT0_T1_T2_jT3_P12ihipStream_tbPNSt15iterator_traitsISJ_E10value_typeEPNSP_ISK_E10value_typeEPSL_NS1_7vsmem_tEENKUlT_SJ_SK_SL_E_clISE_PiSF_SF_EESI_SY_SJ_SK_SL_EUlSY_E_NS1_11comp_targetILNS1_3genE8ELNS1_11target_archE1030ELNS1_3gpuE2ELNS1_3repE0EEENS1_48merge_mergepath_partition_config_static_selectorELNS0_4arch9wavefront6targetE1EEEvSK_
	.globl	_ZN7rocprim17ROCPRIM_400000_NS6detail17trampoline_kernelINS0_14default_configENS1_38merge_sort_block_merge_config_selectorIiNS0_10empty_typeEEEZZNS1_27merge_sort_block_merge_implIS3_N6thrust23THRUST_200600_302600_NS6detail15normal_iteratorINS9_10device_ptrIiEEEEPS5_m14custom_greaterIiEEE10hipError_tT0_T1_T2_jT3_P12ihipStream_tbPNSt15iterator_traitsISJ_E10value_typeEPNSP_ISK_E10value_typeEPSL_NS1_7vsmem_tEENKUlT_SJ_SK_SL_E_clISE_PiSF_SF_EESI_SY_SJ_SK_SL_EUlSY_E_NS1_11comp_targetILNS1_3genE8ELNS1_11target_archE1030ELNS1_3gpuE2ELNS1_3repE0EEENS1_48merge_mergepath_partition_config_static_selectorELNS0_4arch9wavefront6targetE1EEEvSK_
	.p2align	8
	.type	_ZN7rocprim17ROCPRIM_400000_NS6detail17trampoline_kernelINS0_14default_configENS1_38merge_sort_block_merge_config_selectorIiNS0_10empty_typeEEEZZNS1_27merge_sort_block_merge_implIS3_N6thrust23THRUST_200600_302600_NS6detail15normal_iteratorINS9_10device_ptrIiEEEEPS5_m14custom_greaterIiEEE10hipError_tT0_T1_T2_jT3_P12ihipStream_tbPNSt15iterator_traitsISJ_E10value_typeEPNSP_ISK_E10value_typeEPSL_NS1_7vsmem_tEENKUlT_SJ_SK_SL_E_clISE_PiSF_SF_EESI_SY_SJ_SK_SL_EUlSY_E_NS1_11comp_targetILNS1_3genE8ELNS1_11target_archE1030ELNS1_3gpuE2ELNS1_3repE0EEENS1_48merge_mergepath_partition_config_static_selectorELNS0_4arch9wavefront6targetE1EEEvSK_,@function
_ZN7rocprim17ROCPRIM_400000_NS6detail17trampoline_kernelINS0_14default_configENS1_38merge_sort_block_merge_config_selectorIiNS0_10empty_typeEEEZZNS1_27merge_sort_block_merge_implIS3_N6thrust23THRUST_200600_302600_NS6detail15normal_iteratorINS9_10device_ptrIiEEEEPS5_m14custom_greaterIiEEE10hipError_tT0_T1_T2_jT3_P12ihipStream_tbPNSt15iterator_traitsISJ_E10value_typeEPNSP_ISK_E10value_typeEPSL_NS1_7vsmem_tEENKUlT_SJ_SK_SL_E_clISE_PiSF_SF_EESI_SY_SJ_SK_SL_EUlSY_E_NS1_11comp_targetILNS1_3genE8ELNS1_11target_archE1030ELNS1_3gpuE2ELNS1_3repE0EEENS1_48merge_mergepath_partition_config_static_selectorELNS0_4arch9wavefront6targetE1EEEvSK_: ; @_ZN7rocprim17ROCPRIM_400000_NS6detail17trampoline_kernelINS0_14default_configENS1_38merge_sort_block_merge_config_selectorIiNS0_10empty_typeEEEZZNS1_27merge_sort_block_merge_implIS3_N6thrust23THRUST_200600_302600_NS6detail15normal_iteratorINS9_10device_ptrIiEEEEPS5_m14custom_greaterIiEEE10hipError_tT0_T1_T2_jT3_P12ihipStream_tbPNSt15iterator_traitsISJ_E10value_typeEPNSP_ISK_E10value_typeEPSL_NS1_7vsmem_tEENKUlT_SJ_SK_SL_E_clISE_PiSF_SF_EESI_SY_SJ_SK_SL_EUlSY_E_NS1_11comp_targetILNS1_3genE8ELNS1_11target_archE1030ELNS1_3gpuE2ELNS1_3repE0EEENS1_48merge_mergepath_partition_config_static_selectorELNS0_4arch9wavefront6targetE1EEEvSK_
; %bb.0:
	.section	.rodata,"a",@progbits
	.p2align	6, 0x0
	.amdhsa_kernel _ZN7rocprim17ROCPRIM_400000_NS6detail17trampoline_kernelINS0_14default_configENS1_38merge_sort_block_merge_config_selectorIiNS0_10empty_typeEEEZZNS1_27merge_sort_block_merge_implIS3_N6thrust23THRUST_200600_302600_NS6detail15normal_iteratorINS9_10device_ptrIiEEEEPS5_m14custom_greaterIiEEE10hipError_tT0_T1_T2_jT3_P12ihipStream_tbPNSt15iterator_traitsISJ_E10value_typeEPNSP_ISK_E10value_typeEPSL_NS1_7vsmem_tEENKUlT_SJ_SK_SL_E_clISE_PiSF_SF_EESI_SY_SJ_SK_SL_EUlSY_E_NS1_11comp_targetILNS1_3genE8ELNS1_11target_archE1030ELNS1_3gpuE2ELNS1_3repE0EEENS1_48merge_mergepath_partition_config_static_selectorELNS0_4arch9wavefront6targetE1EEEvSK_
		.amdhsa_group_segment_fixed_size 0
		.amdhsa_private_segment_fixed_size 0
		.amdhsa_kernarg_size 48
		.amdhsa_user_sgpr_count 6
		.amdhsa_user_sgpr_private_segment_buffer 1
		.amdhsa_user_sgpr_dispatch_ptr 0
		.amdhsa_user_sgpr_queue_ptr 0
		.amdhsa_user_sgpr_kernarg_segment_ptr 1
		.amdhsa_user_sgpr_dispatch_id 0
		.amdhsa_user_sgpr_flat_scratch_init 0
		.amdhsa_user_sgpr_kernarg_preload_length 0
		.amdhsa_user_sgpr_kernarg_preload_offset 0
		.amdhsa_user_sgpr_private_segment_size 0
		.amdhsa_uses_dynamic_stack 0
		.amdhsa_system_sgpr_private_segment_wavefront_offset 0
		.amdhsa_system_sgpr_workgroup_id_x 1
		.amdhsa_system_sgpr_workgroup_id_y 0
		.amdhsa_system_sgpr_workgroup_id_z 0
		.amdhsa_system_sgpr_workgroup_info 0
		.amdhsa_system_vgpr_workitem_id 0
		.amdhsa_next_free_vgpr 1
		.amdhsa_next_free_sgpr 0
		.amdhsa_accum_offset 4
		.amdhsa_reserve_vcc 0
		.amdhsa_reserve_flat_scratch 0
		.amdhsa_float_round_mode_32 0
		.amdhsa_float_round_mode_16_64 0
		.amdhsa_float_denorm_mode_32 3
		.amdhsa_float_denorm_mode_16_64 3
		.amdhsa_dx10_clamp 1
		.amdhsa_ieee_mode 1
		.amdhsa_fp16_overflow 0
		.amdhsa_tg_split 0
		.amdhsa_exception_fp_ieee_invalid_op 0
		.amdhsa_exception_fp_denorm_src 0
		.amdhsa_exception_fp_ieee_div_zero 0
		.amdhsa_exception_fp_ieee_overflow 0
		.amdhsa_exception_fp_ieee_underflow 0
		.amdhsa_exception_fp_ieee_inexact 0
		.amdhsa_exception_int_div_zero 0
	.end_amdhsa_kernel
	.section	.text._ZN7rocprim17ROCPRIM_400000_NS6detail17trampoline_kernelINS0_14default_configENS1_38merge_sort_block_merge_config_selectorIiNS0_10empty_typeEEEZZNS1_27merge_sort_block_merge_implIS3_N6thrust23THRUST_200600_302600_NS6detail15normal_iteratorINS9_10device_ptrIiEEEEPS5_m14custom_greaterIiEEE10hipError_tT0_T1_T2_jT3_P12ihipStream_tbPNSt15iterator_traitsISJ_E10value_typeEPNSP_ISK_E10value_typeEPSL_NS1_7vsmem_tEENKUlT_SJ_SK_SL_E_clISE_PiSF_SF_EESI_SY_SJ_SK_SL_EUlSY_E_NS1_11comp_targetILNS1_3genE8ELNS1_11target_archE1030ELNS1_3gpuE2ELNS1_3repE0EEENS1_48merge_mergepath_partition_config_static_selectorELNS0_4arch9wavefront6targetE1EEEvSK_,"axG",@progbits,_ZN7rocprim17ROCPRIM_400000_NS6detail17trampoline_kernelINS0_14default_configENS1_38merge_sort_block_merge_config_selectorIiNS0_10empty_typeEEEZZNS1_27merge_sort_block_merge_implIS3_N6thrust23THRUST_200600_302600_NS6detail15normal_iteratorINS9_10device_ptrIiEEEEPS5_m14custom_greaterIiEEE10hipError_tT0_T1_T2_jT3_P12ihipStream_tbPNSt15iterator_traitsISJ_E10value_typeEPNSP_ISK_E10value_typeEPSL_NS1_7vsmem_tEENKUlT_SJ_SK_SL_E_clISE_PiSF_SF_EESI_SY_SJ_SK_SL_EUlSY_E_NS1_11comp_targetILNS1_3genE8ELNS1_11target_archE1030ELNS1_3gpuE2ELNS1_3repE0EEENS1_48merge_mergepath_partition_config_static_selectorELNS0_4arch9wavefront6targetE1EEEvSK_,comdat
.Lfunc_end3119:
	.size	_ZN7rocprim17ROCPRIM_400000_NS6detail17trampoline_kernelINS0_14default_configENS1_38merge_sort_block_merge_config_selectorIiNS0_10empty_typeEEEZZNS1_27merge_sort_block_merge_implIS3_N6thrust23THRUST_200600_302600_NS6detail15normal_iteratorINS9_10device_ptrIiEEEEPS5_m14custom_greaterIiEEE10hipError_tT0_T1_T2_jT3_P12ihipStream_tbPNSt15iterator_traitsISJ_E10value_typeEPNSP_ISK_E10value_typeEPSL_NS1_7vsmem_tEENKUlT_SJ_SK_SL_E_clISE_PiSF_SF_EESI_SY_SJ_SK_SL_EUlSY_E_NS1_11comp_targetILNS1_3genE8ELNS1_11target_archE1030ELNS1_3gpuE2ELNS1_3repE0EEENS1_48merge_mergepath_partition_config_static_selectorELNS0_4arch9wavefront6targetE1EEEvSK_, .Lfunc_end3119-_ZN7rocprim17ROCPRIM_400000_NS6detail17trampoline_kernelINS0_14default_configENS1_38merge_sort_block_merge_config_selectorIiNS0_10empty_typeEEEZZNS1_27merge_sort_block_merge_implIS3_N6thrust23THRUST_200600_302600_NS6detail15normal_iteratorINS9_10device_ptrIiEEEEPS5_m14custom_greaterIiEEE10hipError_tT0_T1_T2_jT3_P12ihipStream_tbPNSt15iterator_traitsISJ_E10value_typeEPNSP_ISK_E10value_typeEPSL_NS1_7vsmem_tEENKUlT_SJ_SK_SL_E_clISE_PiSF_SF_EESI_SY_SJ_SK_SL_EUlSY_E_NS1_11comp_targetILNS1_3genE8ELNS1_11target_archE1030ELNS1_3gpuE2ELNS1_3repE0EEENS1_48merge_mergepath_partition_config_static_selectorELNS0_4arch9wavefront6targetE1EEEvSK_
                                        ; -- End function
	.section	.AMDGPU.csdata,"",@progbits
; Kernel info:
; codeLenInByte = 0
; NumSgprs: 4
; NumVgprs: 0
; NumAgprs: 0
; TotalNumVgprs: 0
; ScratchSize: 0
; MemoryBound: 0
; FloatMode: 240
; IeeeMode: 1
; LDSByteSize: 0 bytes/workgroup (compile time only)
; SGPRBlocks: 0
; VGPRBlocks: 0
; NumSGPRsForWavesPerEU: 4
; NumVGPRsForWavesPerEU: 1
; AccumOffset: 4
; Occupancy: 8
; WaveLimiterHint : 0
; COMPUTE_PGM_RSRC2:SCRATCH_EN: 0
; COMPUTE_PGM_RSRC2:USER_SGPR: 6
; COMPUTE_PGM_RSRC2:TRAP_HANDLER: 0
; COMPUTE_PGM_RSRC2:TGID_X_EN: 1
; COMPUTE_PGM_RSRC2:TGID_Y_EN: 0
; COMPUTE_PGM_RSRC2:TGID_Z_EN: 0
; COMPUTE_PGM_RSRC2:TIDIG_COMP_CNT: 0
; COMPUTE_PGM_RSRC3_GFX90A:ACCUM_OFFSET: 0
; COMPUTE_PGM_RSRC3_GFX90A:TG_SPLIT: 0
	.section	.text._ZN7rocprim17ROCPRIM_400000_NS6detail17trampoline_kernelINS0_14default_configENS1_38merge_sort_block_merge_config_selectorIiNS0_10empty_typeEEEZZNS1_27merge_sort_block_merge_implIS3_N6thrust23THRUST_200600_302600_NS6detail15normal_iteratorINS9_10device_ptrIiEEEEPS5_m14custom_greaterIiEEE10hipError_tT0_T1_T2_jT3_P12ihipStream_tbPNSt15iterator_traitsISJ_E10value_typeEPNSP_ISK_E10value_typeEPSL_NS1_7vsmem_tEENKUlT_SJ_SK_SL_E_clISE_PiSF_SF_EESI_SY_SJ_SK_SL_EUlSY_E0_NS1_11comp_targetILNS1_3genE0ELNS1_11target_archE4294967295ELNS1_3gpuE0ELNS1_3repE0EEENS1_38merge_mergepath_config_static_selectorELNS0_4arch9wavefront6targetE1EEEvSK_,"axG",@progbits,_ZN7rocprim17ROCPRIM_400000_NS6detail17trampoline_kernelINS0_14default_configENS1_38merge_sort_block_merge_config_selectorIiNS0_10empty_typeEEEZZNS1_27merge_sort_block_merge_implIS3_N6thrust23THRUST_200600_302600_NS6detail15normal_iteratorINS9_10device_ptrIiEEEEPS5_m14custom_greaterIiEEE10hipError_tT0_T1_T2_jT3_P12ihipStream_tbPNSt15iterator_traitsISJ_E10value_typeEPNSP_ISK_E10value_typeEPSL_NS1_7vsmem_tEENKUlT_SJ_SK_SL_E_clISE_PiSF_SF_EESI_SY_SJ_SK_SL_EUlSY_E0_NS1_11comp_targetILNS1_3genE0ELNS1_11target_archE4294967295ELNS1_3gpuE0ELNS1_3repE0EEENS1_38merge_mergepath_config_static_selectorELNS0_4arch9wavefront6targetE1EEEvSK_,comdat
	.protected	_ZN7rocprim17ROCPRIM_400000_NS6detail17trampoline_kernelINS0_14default_configENS1_38merge_sort_block_merge_config_selectorIiNS0_10empty_typeEEEZZNS1_27merge_sort_block_merge_implIS3_N6thrust23THRUST_200600_302600_NS6detail15normal_iteratorINS9_10device_ptrIiEEEEPS5_m14custom_greaterIiEEE10hipError_tT0_T1_T2_jT3_P12ihipStream_tbPNSt15iterator_traitsISJ_E10value_typeEPNSP_ISK_E10value_typeEPSL_NS1_7vsmem_tEENKUlT_SJ_SK_SL_E_clISE_PiSF_SF_EESI_SY_SJ_SK_SL_EUlSY_E0_NS1_11comp_targetILNS1_3genE0ELNS1_11target_archE4294967295ELNS1_3gpuE0ELNS1_3repE0EEENS1_38merge_mergepath_config_static_selectorELNS0_4arch9wavefront6targetE1EEEvSK_ ; -- Begin function _ZN7rocprim17ROCPRIM_400000_NS6detail17trampoline_kernelINS0_14default_configENS1_38merge_sort_block_merge_config_selectorIiNS0_10empty_typeEEEZZNS1_27merge_sort_block_merge_implIS3_N6thrust23THRUST_200600_302600_NS6detail15normal_iteratorINS9_10device_ptrIiEEEEPS5_m14custom_greaterIiEEE10hipError_tT0_T1_T2_jT3_P12ihipStream_tbPNSt15iterator_traitsISJ_E10value_typeEPNSP_ISK_E10value_typeEPSL_NS1_7vsmem_tEENKUlT_SJ_SK_SL_E_clISE_PiSF_SF_EESI_SY_SJ_SK_SL_EUlSY_E0_NS1_11comp_targetILNS1_3genE0ELNS1_11target_archE4294967295ELNS1_3gpuE0ELNS1_3repE0EEENS1_38merge_mergepath_config_static_selectorELNS0_4arch9wavefront6targetE1EEEvSK_
	.globl	_ZN7rocprim17ROCPRIM_400000_NS6detail17trampoline_kernelINS0_14default_configENS1_38merge_sort_block_merge_config_selectorIiNS0_10empty_typeEEEZZNS1_27merge_sort_block_merge_implIS3_N6thrust23THRUST_200600_302600_NS6detail15normal_iteratorINS9_10device_ptrIiEEEEPS5_m14custom_greaterIiEEE10hipError_tT0_T1_T2_jT3_P12ihipStream_tbPNSt15iterator_traitsISJ_E10value_typeEPNSP_ISK_E10value_typeEPSL_NS1_7vsmem_tEENKUlT_SJ_SK_SL_E_clISE_PiSF_SF_EESI_SY_SJ_SK_SL_EUlSY_E0_NS1_11comp_targetILNS1_3genE0ELNS1_11target_archE4294967295ELNS1_3gpuE0ELNS1_3repE0EEENS1_38merge_mergepath_config_static_selectorELNS0_4arch9wavefront6targetE1EEEvSK_
	.p2align	8
	.type	_ZN7rocprim17ROCPRIM_400000_NS6detail17trampoline_kernelINS0_14default_configENS1_38merge_sort_block_merge_config_selectorIiNS0_10empty_typeEEEZZNS1_27merge_sort_block_merge_implIS3_N6thrust23THRUST_200600_302600_NS6detail15normal_iteratorINS9_10device_ptrIiEEEEPS5_m14custom_greaterIiEEE10hipError_tT0_T1_T2_jT3_P12ihipStream_tbPNSt15iterator_traitsISJ_E10value_typeEPNSP_ISK_E10value_typeEPSL_NS1_7vsmem_tEENKUlT_SJ_SK_SL_E_clISE_PiSF_SF_EESI_SY_SJ_SK_SL_EUlSY_E0_NS1_11comp_targetILNS1_3genE0ELNS1_11target_archE4294967295ELNS1_3gpuE0ELNS1_3repE0EEENS1_38merge_mergepath_config_static_selectorELNS0_4arch9wavefront6targetE1EEEvSK_,@function
_ZN7rocprim17ROCPRIM_400000_NS6detail17trampoline_kernelINS0_14default_configENS1_38merge_sort_block_merge_config_selectorIiNS0_10empty_typeEEEZZNS1_27merge_sort_block_merge_implIS3_N6thrust23THRUST_200600_302600_NS6detail15normal_iteratorINS9_10device_ptrIiEEEEPS5_m14custom_greaterIiEEE10hipError_tT0_T1_T2_jT3_P12ihipStream_tbPNSt15iterator_traitsISJ_E10value_typeEPNSP_ISK_E10value_typeEPSL_NS1_7vsmem_tEENKUlT_SJ_SK_SL_E_clISE_PiSF_SF_EESI_SY_SJ_SK_SL_EUlSY_E0_NS1_11comp_targetILNS1_3genE0ELNS1_11target_archE4294967295ELNS1_3gpuE0ELNS1_3repE0EEENS1_38merge_mergepath_config_static_selectorELNS0_4arch9wavefront6targetE1EEEvSK_: ; @_ZN7rocprim17ROCPRIM_400000_NS6detail17trampoline_kernelINS0_14default_configENS1_38merge_sort_block_merge_config_selectorIiNS0_10empty_typeEEEZZNS1_27merge_sort_block_merge_implIS3_N6thrust23THRUST_200600_302600_NS6detail15normal_iteratorINS9_10device_ptrIiEEEEPS5_m14custom_greaterIiEEE10hipError_tT0_T1_T2_jT3_P12ihipStream_tbPNSt15iterator_traitsISJ_E10value_typeEPNSP_ISK_E10value_typeEPSL_NS1_7vsmem_tEENKUlT_SJ_SK_SL_E_clISE_PiSF_SF_EESI_SY_SJ_SK_SL_EUlSY_E0_NS1_11comp_targetILNS1_3genE0ELNS1_11target_archE4294967295ELNS1_3gpuE0ELNS1_3repE0EEENS1_38merge_mergepath_config_static_selectorELNS0_4arch9wavefront6targetE1EEEvSK_
; %bb.0:
	.section	.rodata,"a",@progbits
	.p2align	6, 0x0
	.amdhsa_kernel _ZN7rocprim17ROCPRIM_400000_NS6detail17trampoline_kernelINS0_14default_configENS1_38merge_sort_block_merge_config_selectorIiNS0_10empty_typeEEEZZNS1_27merge_sort_block_merge_implIS3_N6thrust23THRUST_200600_302600_NS6detail15normal_iteratorINS9_10device_ptrIiEEEEPS5_m14custom_greaterIiEEE10hipError_tT0_T1_T2_jT3_P12ihipStream_tbPNSt15iterator_traitsISJ_E10value_typeEPNSP_ISK_E10value_typeEPSL_NS1_7vsmem_tEENKUlT_SJ_SK_SL_E_clISE_PiSF_SF_EESI_SY_SJ_SK_SL_EUlSY_E0_NS1_11comp_targetILNS1_3genE0ELNS1_11target_archE4294967295ELNS1_3gpuE0ELNS1_3repE0EEENS1_38merge_mergepath_config_static_selectorELNS0_4arch9wavefront6targetE1EEEvSK_
		.amdhsa_group_segment_fixed_size 0
		.amdhsa_private_segment_fixed_size 0
		.amdhsa_kernarg_size 72
		.amdhsa_user_sgpr_count 6
		.amdhsa_user_sgpr_private_segment_buffer 1
		.amdhsa_user_sgpr_dispatch_ptr 0
		.amdhsa_user_sgpr_queue_ptr 0
		.amdhsa_user_sgpr_kernarg_segment_ptr 1
		.amdhsa_user_sgpr_dispatch_id 0
		.amdhsa_user_sgpr_flat_scratch_init 0
		.amdhsa_user_sgpr_kernarg_preload_length 0
		.amdhsa_user_sgpr_kernarg_preload_offset 0
		.amdhsa_user_sgpr_private_segment_size 0
		.amdhsa_uses_dynamic_stack 0
		.amdhsa_system_sgpr_private_segment_wavefront_offset 0
		.amdhsa_system_sgpr_workgroup_id_x 1
		.amdhsa_system_sgpr_workgroup_id_y 0
		.amdhsa_system_sgpr_workgroup_id_z 0
		.amdhsa_system_sgpr_workgroup_info 0
		.amdhsa_system_vgpr_workitem_id 0
		.amdhsa_next_free_vgpr 1
		.amdhsa_next_free_sgpr 0
		.amdhsa_accum_offset 4
		.amdhsa_reserve_vcc 0
		.amdhsa_reserve_flat_scratch 0
		.amdhsa_float_round_mode_32 0
		.amdhsa_float_round_mode_16_64 0
		.amdhsa_float_denorm_mode_32 3
		.amdhsa_float_denorm_mode_16_64 3
		.amdhsa_dx10_clamp 1
		.amdhsa_ieee_mode 1
		.amdhsa_fp16_overflow 0
		.amdhsa_tg_split 0
		.amdhsa_exception_fp_ieee_invalid_op 0
		.amdhsa_exception_fp_denorm_src 0
		.amdhsa_exception_fp_ieee_div_zero 0
		.amdhsa_exception_fp_ieee_overflow 0
		.amdhsa_exception_fp_ieee_underflow 0
		.amdhsa_exception_fp_ieee_inexact 0
		.amdhsa_exception_int_div_zero 0
	.end_amdhsa_kernel
	.section	.text._ZN7rocprim17ROCPRIM_400000_NS6detail17trampoline_kernelINS0_14default_configENS1_38merge_sort_block_merge_config_selectorIiNS0_10empty_typeEEEZZNS1_27merge_sort_block_merge_implIS3_N6thrust23THRUST_200600_302600_NS6detail15normal_iteratorINS9_10device_ptrIiEEEEPS5_m14custom_greaterIiEEE10hipError_tT0_T1_T2_jT3_P12ihipStream_tbPNSt15iterator_traitsISJ_E10value_typeEPNSP_ISK_E10value_typeEPSL_NS1_7vsmem_tEENKUlT_SJ_SK_SL_E_clISE_PiSF_SF_EESI_SY_SJ_SK_SL_EUlSY_E0_NS1_11comp_targetILNS1_3genE0ELNS1_11target_archE4294967295ELNS1_3gpuE0ELNS1_3repE0EEENS1_38merge_mergepath_config_static_selectorELNS0_4arch9wavefront6targetE1EEEvSK_,"axG",@progbits,_ZN7rocprim17ROCPRIM_400000_NS6detail17trampoline_kernelINS0_14default_configENS1_38merge_sort_block_merge_config_selectorIiNS0_10empty_typeEEEZZNS1_27merge_sort_block_merge_implIS3_N6thrust23THRUST_200600_302600_NS6detail15normal_iteratorINS9_10device_ptrIiEEEEPS5_m14custom_greaterIiEEE10hipError_tT0_T1_T2_jT3_P12ihipStream_tbPNSt15iterator_traitsISJ_E10value_typeEPNSP_ISK_E10value_typeEPSL_NS1_7vsmem_tEENKUlT_SJ_SK_SL_E_clISE_PiSF_SF_EESI_SY_SJ_SK_SL_EUlSY_E0_NS1_11comp_targetILNS1_3genE0ELNS1_11target_archE4294967295ELNS1_3gpuE0ELNS1_3repE0EEENS1_38merge_mergepath_config_static_selectorELNS0_4arch9wavefront6targetE1EEEvSK_,comdat
.Lfunc_end3120:
	.size	_ZN7rocprim17ROCPRIM_400000_NS6detail17trampoline_kernelINS0_14default_configENS1_38merge_sort_block_merge_config_selectorIiNS0_10empty_typeEEEZZNS1_27merge_sort_block_merge_implIS3_N6thrust23THRUST_200600_302600_NS6detail15normal_iteratorINS9_10device_ptrIiEEEEPS5_m14custom_greaterIiEEE10hipError_tT0_T1_T2_jT3_P12ihipStream_tbPNSt15iterator_traitsISJ_E10value_typeEPNSP_ISK_E10value_typeEPSL_NS1_7vsmem_tEENKUlT_SJ_SK_SL_E_clISE_PiSF_SF_EESI_SY_SJ_SK_SL_EUlSY_E0_NS1_11comp_targetILNS1_3genE0ELNS1_11target_archE4294967295ELNS1_3gpuE0ELNS1_3repE0EEENS1_38merge_mergepath_config_static_selectorELNS0_4arch9wavefront6targetE1EEEvSK_, .Lfunc_end3120-_ZN7rocprim17ROCPRIM_400000_NS6detail17trampoline_kernelINS0_14default_configENS1_38merge_sort_block_merge_config_selectorIiNS0_10empty_typeEEEZZNS1_27merge_sort_block_merge_implIS3_N6thrust23THRUST_200600_302600_NS6detail15normal_iteratorINS9_10device_ptrIiEEEEPS5_m14custom_greaterIiEEE10hipError_tT0_T1_T2_jT3_P12ihipStream_tbPNSt15iterator_traitsISJ_E10value_typeEPNSP_ISK_E10value_typeEPSL_NS1_7vsmem_tEENKUlT_SJ_SK_SL_E_clISE_PiSF_SF_EESI_SY_SJ_SK_SL_EUlSY_E0_NS1_11comp_targetILNS1_3genE0ELNS1_11target_archE4294967295ELNS1_3gpuE0ELNS1_3repE0EEENS1_38merge_mergepath_config_static_selectorELNS0_4arch9wavefront6targetE1EEEvSK_
                                        ; -- End function
	.section	.AMDGPU.csdata,"",@progbits
; Kernel info:
; codeLenInByte = 0
; NumSgprs: 4
; NumVgprs: 0
; NumAgprs: 0
; TotalNumVgprs: 0
; ScratchSize: 0
; MemoryBound: 0
; FloatMode: 240
; IeeeMode: 1
; LDSByteSize: 0 bytes/workgroup (compile time only)
; SGPRBlocks: 0
; VGPRBlocks: 0
; NumSGPRsForWavesPerEU: 4
; NumVGPRsForWavesPerEU: 1
; AccumOffset: 4
; Occupancy: 8
; WaveLimiterHint : 0
; COMPUTE_PGM_RSRC2:SCRATCH_EN: 0
; COMPUTE_PGM_RSRC2:USER_SGPR: 6
; COMPUTE_PGM_RSRC2:TRAP_HANDLER: 0
; COMPUTE_PGM_RSRC2:TGID_X_EN: 1
; COMPUTE_PGM_RSRC2:TGID_Y_EN: 0
; COMPUTE_PGM_RSRC2:TGID_Z_EN: 0
; COMPUTE_PGM_RSRC2:TIDIG_COMP_CNT: 0
; COMPUTE_PGM_RSRC3_GFX90A:ACCUM_OFFSET: 0
; COMPUTE_PGM_RSRC3_GFX90A:TG_SPLIT: 0
	.section	.text._ZN7rocprim17ROCPRIM_400000_NS6detail17trampoline_kernelINS0_14default_configENS1_38merge_sort_block_merge_config_selectorIiNS0_10empty_typeEEEZZNS1_27merge_sort_block_merge_implIS3_N6thrust23THRUST_200600_302600_NS6detail15normal_iteratorINS9_10device_ptrIiEEEEPS5_m14custom_greaterIiEEE10hipError_tT0_T1_T2_jT3_P12ihipStream_tbPNSt15iterator_traitsISJ_E10value_typeEPNSP_ISK_E10value_typeEPSL_NS1_7vsmem_tEENKUlT_SJ_SK_SL_E_clISE_PiSF_SF_EESI_SY_SJ_SK_SL_EUlSY_E0_NS1_11comp_targetILNS1_3genE10ELNS1_11target_archE1201ELNS1_3gpuE5ELNS1_3repE0EEENS1_38merge_mergepath_config_static_selectorELNS0_4arch9wavefront6targetE1EEEvSK_,"axG",@progbits,_ZN7rocprim17ROCPRIM_400000_NS6detail17trampoline_kernelINS0_14default_configENS1_38merge_sort_block_merge_config_selectorIiNS0_10empty_typeEEEZZNS1_27merge_sort_block_merge_implIS3_N6thrust23THRUST_200600_302600_NS6detail15normal_iteratorINS9_10device_ptrIiEEEEPS5_m14custom_greaterIiEEE10hipError_tT0_T1_T2_jT3_P12ihipStream_tbPNSt15iterator_traitsISJ_E10value_typeEPNSP_ISK_E10value_typeEPSL_NS1_7vsmem_tEENKUlT_SJ_SK_SL_E_clISE_PiSF_SF_EESI_SY_SJ_SK_SL_EUlSY_E0_NS1_11comp_targetILNS1_3genE10ELNS1_11target_archE1201ELNS1_3gpuE5ELNS1_3repE0EEENS1_38merge_mergepath_config_static_selectorELNS0_4arch9wavefront6targetE1EEEvSK_,comdat
	.protected	_ZN7rocprim17ROCPRIM_400000_NS6detail17trampoline_kernelINS0_14default_configENS1_38merge_sort_block_merge_config_selectorIiNS0_10empty_typeEEEZZNS1_27merge_sort_block_merge_implIS3_N6thrust23THRUST_200600_302600_NS6detail15normal_iteratorINS9_10device_ptrIiEEEEPS5_m14custom_greaterIiEEE10hipError_tT0_T1_T2_jT3_P12ihipStream_tbPNSt15iterator_traitsISJ_E10value_typeEPNSP_ISK_E10value_typeEPSL_NS1_7vsmem_tEENKUlT_SJ_SK_SL_E_clISE_PiSF_SF_EESI_SY_SJ_SK_SL_EUlSY_E0_NS1_11comp_targetILNS1_3genE10ELNS1_11target_archE1201ELNS1_3gpuE5ELNS1_3repE0EEENS1_38merge_mergepath_config_static_selectorELNS0_4arch9wavefront6targetE1EEEvSK_ ; -- Begin function _ZN7rocprim17ROCPRIM_400000_NS6detail17trampoline_kernelINS0_14default_configENS1_38merge_sort_block_merge_config_selectorIiNS0_10empty_typeEEEZZNS1_27merge_sort_block_merge_implIS3_N6thrust23THRUST_200600_302600_NS6detail15normal_iteratorINS9_10device_ptrIiEEEEPS5_m14custom_greaterIiEEE10hipError_tT0_T1_T2_jT3_P12ihipStream_tbPNSt15iterator_traitsISJ_E10value_typeEPNSP_ISK_E10value_typeEPSL_NS1_7vsmem_tEENKUlT_SJ_SK_SL_E_clISE_PiSF_SF_EESI_SY_SJ_SK_SL_EUlSY_E0_NS1_11comp_targetILNS1_3genE10ELNS1_11target_archE1201ELNS1_3gpuE5ELNS1_3repE0EEENS1_38merge_mergepath_config_static_selectorELNS0_4arch9wavefront6targetE1EEEvSK_
	.globl	_ZN7rocprim17ROCPRIM_400000_NS6detail17trampoline_kernelINS0_14default_configENS1_38merge_sort_block_merge_config_selectorIiNS0_10empty_typeEEEZZNS1_27merge_sort_block_merge_implIS3_N6thrust23THRUST_200600_302600_NS6detail15normal_iteratorINS9_10device_ptrIiEEEEPS5_m14custom_greaterIiEEE10hipError_tT0_T1_T2_jT3_P12ihipStream_tbPNSt15iterator_traitsISJ_E10value_typeEPNSP_ISK_E10value_typeEPSL_NS1_7vsmem_tEENKUlT_SJ_SK_SL_E_clISE_PiSF_SF_EESI_SY_SJ_SK_SL_EUlSY_E0_NS1_11comp_targetILNS1_3genE10ELNS1_11target_archE1201ELNS1_3gpuE5ELNS1_3repE0EEENS1_38merge_mergepath_config_static_selectorELNS0_4arch9wavefront6targetE1EEEvSK_
	.p2align	8
	.type	_ZN7rocprim17ROCPRIM_400000_NS6detail17trampoline_kernelINS0_14default_configENS1_38merge_sort_block_merge_config_selectorIiNS0_10empty_typeEEEZZNS1_27merge_sort_block_merge_implIS3_N6thrust23THRUST_200600_302600_NS6detail15normal_iteratorINS9_10device_ptrIiEEEEPS5_m14custom_greaterIiEEE10hipError_tT0_T1_T2_jT3_P12ihipStream_tbPNSt15iterator_traitsISJ_E10value_typeEPNSP_ISK_E10value_typeEPSL_NS1_7vsmem_tEENKUlT_SJ_SK_SL_E_clISE_PiSF_SF_EESI_SY_SJ_SK_SL_EUlSY_E0_NS1_11comp_targetILNS1_3genE10ELNS1_11target_archE1201ELNS1_3gpuE5ELNS1_3repE0EEENS1_38merge_mergepath_config_static_selectorELNS0_4arch9wavefront6targetE1EEEvSK_,@function
_ZN7rocprim17ROCPRIM_400000_NS6detail17trampoline_kernelINS0_14default_configENS1_38merge_sort_block_merge_config_selectorIiNS0_10empty_typeEEEZZNS1_27merge_sort_block_merge_implIS3_N6thrust23THRUST_200600_302600_NS6detail15normal_iteratorINS9_10device_ptrIiEEEEPS5_m14custom_greaterIiEEE10hipError_tT0_T1_T2_jT3_P12ihipStream_tbPNSt15iterator_traitsISJ_E10value_typeEPNSP_ISK_E10value_typeEPSL_NS1_7vsmem_tEENKUlT_SJ_SK_SL_E_clISE_PiSF_SF_EESI_SY_SJ_SK_SL_EUlSY_E0_NS1_11comp_targetILNS1_3genE10ELNS1_11target_archE1201ELNS1_3gpuE5ELNS1_3repE0EEENS1_38merge_mergepath_config_static_selectorELNS0_4arch9wavefront6targetE1EEEvSK_: ; @_ZN7rocprim17ROCPRIM_400000_NS6detail17trampoline_kernelINS0_14default_configENS1_38merge_sort_block_merge_config_selectorIiNS0_10empty_typeEEEZZNS1_27merge_sort_block_merge_implIS3_N6thrust23THRUST_200600_302600_NS6detail15normal_iteratorINS9_10device_ptrIiEEEEPS5_m14custom_greaterIiEEE10hipError_tT0_T1_T2_jT3_P12ihipStream_tbPNSt15iterator_traitsISJ_E10value_typeEPNSP_ISK_E10value_typeEPSL_NS1_7vsmem_tEENKUlT_SJ_SK_SL_E_clISE_PiSF_SF_EESI_SY_SJ_SK_SL_EUlSY_E0_NS1_11comp_targetILNS1_3genE10ELNS1_11target_archE1201ELNS1_3gpuE5ELNS1_3repE0EEENS1_38merge_mergepath_config_static_selectorELNS0_4arch9wavefront6targetE1EEEvSK_
; %bb.0:
	.section	.rodata,"a",@progbits
	.p2align	6, 0x0
	.amdhsa_kernel _ZN7rocprim17ROCPRIM_400000_NS6detail17trampoline_kernelINS0_14default_configENS1_38merge_sort_block_merge_config_selectorIiNS0_10empty_typeEEEZZNS1_27merge_sort_block_merge_implIS3_N6thrust23THRUST_200600_302600_NS6detail15normal_iteratorINS9_10device_ptrIiEEEEPS5_m14custom_greaterIiEEE10hipError_tT0_T1_T2_jT3_P12ihipStream_tbPNSt15iterator_traitsISJ_E10value_typeEPNSP_ISK_E10value_typeEPSL_NS1_7vsmem_tEENKUlT_SJ_SK_SL_E_clISE_PiSF_SF_EESI_SY_SJ_SK_SL_EUlSY_E0_NS1_11comp_targetILNS1_3genE10ELNS1_11target_archE1201ELNS1_3gpuE5ELNS1_3repE0EEENS1_38merge_mergepath_config_static_selectorELNS0_4arch9wavefront6targetE1EEEvSK_
		.amdhsa_group_segment_fixed_size 0
		.amdhsa_private_segment_fixed_size 0
		.amdhsa_kernarg_size 72
		.amdhsa_user_sgpr_count 6
		.amdhsa_user_sgpr_private_segment_buffer 1
		.amdhsa_user_sgpr_dispatch_ptr 0
		.amdhsa_user_sgpr_queue_ptr 0
		.amdhsa_user_sgpr_kernarg_segment_ptr 1
		.amdhsa_user_sgpr_dispatch_id 0
		.amdhsa_user_sgpr_flat_scratch_init 0
		.amdhsa_user_sgpr_kernarg_preload_length 0
		.amdhsa_user_sgpr_kernarg_preload_offset 0
		.amdhsa_user_sgpr_private_segment_size 0
		.amdhsa_uses_dynamic_stack 0
		.amdhsa_system_sgpr_private_segment_wavefront_offset 0
		.amdhsa_system_sgpr_workgroup_id_x 1
		.amdhsa_system_sgpr_workgroup_id_y 0
		.amdhsa_system_sgpr_workgroup_id_z 0
		.amdhsa_system_sgpr_workgroup_info 0
		.amdhsa_system_vgpr_workitem_id 0
		.amdhsa_next_free_vgpr 1
		.amdhsa_next_free_sgpr 0
		.amdhsa_accum_offset 4
		.amdhsa_reserve_vcc 0
		.amdhsa_reserve_flat_scratch 0
		.amdhsa_float_round_mode_32 0
		.amdhsa_float_round_mode_16_64 0
		.amdhsa_float_denorm_mode_32 3
		.amdhsa_float_denorm_mode_16_64 3
		.amdhsa_dx10_clamp 1
		.amdhsa_ieee_mode 1
		.amdhsa_fp16_overflow 0
		.amdhsa_tg_split 0
		.amdhsa_exception_fp_ieee_invalid_op 0
		.amdhsa_exception_fp_denorm_src 0
		.amdhsa_exception_fp_ieee_div_zero 0
		.amdhsa_exception_fp_ieee_overflow 0
		.amdhsa_exception_fp_ieee_underflow 0
		.amdhsa_exception_fp_ieee_inexact 0
		.amdhsa_exception_int_div_zero 0
	.end_amdhsa_kernel
	.section	.text._ZN7rocprim17ROCPRIM_400000_NS6detail17trampoline_kernelINS0_14default_configENS1_38merge_sort_block_merge_config_selectorIiNS0_10empty_typeEEEZZNS1_27merge_sort_block_merge_implIS3_N6thrust23THRUST_200600_302600_NS6detail15normal_iteratorINS9_10device_ptrIiEEEEPS5_m14custom_greaterIiEEE10hipError_tT0_T1_T2_jT3_P12ihipStream_tbPNSt15iterator_traitsISJ_E10value_typeEPNSP_ISK_E10value_typeEPSL_NS1_7vsmem_tEENKUlT_SJ_SK_SL_E_clISE_PiSF_SF_EESI_SY_SJ_SK_SL_EUlSY_E0_NS1_11comp_targetILNS1_3genE10ELNS1_11target_archE1201ELNS1_3gpuE5ELNS1_3repE0EEENS1_38merge_mergepath_config_static_selectorELNS0_4arch9wavefront6targetE1EEEvSK_,"axG",@progbits,_ZN7rocprim17ROCPRIM_400000_NS6detail17trampoline_kernelINS0_14default_configENS1_38merge_sort_block_merge_config_selectorIiNS0_10empty_typeEEEZZNS1_27merge_sort_block_merge_implIS3_N6thrust23THRUST_200600_302600_NS6detail15normal_iteratorINS9_10device_ptrIiEEEEPS5_m14custom_greaterIiEEE10hipError_tT0_T1_T2_jT3_P12ihipStream_tbPNSt15iterator_traitsISJ_E10value_typeEPNSP_ISK_E10value_typeEPSL_NS1_7vsmem_tEENKUlT_SJ_SK_SL_E_clISE_PiSF_SF_EESI_SY_SJ_SK_SL_EUlSY_E0_NS1_11comp_targetILNS1_3genE10ELNS1_11target_archE1201ELNS1_3gpuE5ELNS1_3repE0EEENS1_38merge_mergepath_config_static_selectorELNS0_4arch9wavefront6targetE1EEEvSK_,comdat
.Lfunc_end3121:
	.size	_ZN7rocprim17ROCPRIM_400000_NS6detail17trampoline_kernelINS0_14default_configENS1_38merge_sort_block_merge_config_selectorIiNS0_10empty_typeEEEZZNS1_27merge_sort_block_merge_implIS3_N6thrust23THRUST_200600_302600_NS6detail15normal_iteratorINS9_10device_ptrIiEEEEPS5_m14custom_greaterIiEEE10hipError_tT0_T1_T2_jT3_P12ihipStream_tbPNSt15iterator_traitsISJ_E10value_typeEPNSP_ISK_E10value_typeEPSL_NS1_7vsmem_tEENKUlT_SJ_SK_SL_E_clISE_PiSF_SF_EESI_SY_SJ_SK_SL_EUlSY_E0_NS1_11comp_targetILNS1_3genE10ELNS1_11target_archE1201ELNS1_3gpuE5ELNS1_3repE0EEENS1_38merge_mergepath_config_static_selectorELNS0_4arch9wavefront6targetE1EEEvSK_, .Lfunc_end3121-_ZN7rocprim17ROCPRIM_400000_NS6detail17trampoline_kernelINS0_14default_configENS1_38merge_sort_block_merge_config_selectorIiNS0_10empty_typeEEEZZNS1_27merge_sort_block_merge_implIS3_N6thrust23THRUST_200600_302600_NS6detail15normal_iteratorINS9_10device_ptrIiEEEEPS5_m14custom_greaterIiEEE10hipError_tT0_T1_T2_jT3_P12ihipStream_tbPNSt15iterator_traitsISJ_E10value_typeEPNSP_ISK_E10value_typeEPSL_NS1_7vsmem_tEENKUlT_SJ_SK_SL_E_clISE_PiSF_SF_EESI_SY_SJ_SK_SL_EUlSY_E0_NS1_11comp_targetILNS1_3genE10ELNS1_11target_archE1201ELNS1_3gpuE5ELNS1_3repE0EEENS1_38merge_mergepath_config_static_selectorELNS0_4arch9wavefront6targetE1EEEvSK_
                                        ; -- End function
	.section	.AMDGPU.csdata,"",@progbits
; Kernel info:
; codeLenInByte = 0
; NumSgprs: 4
; NumVgprs: 0
; NumAgprs: 0
; TotalNumVgprs: 0
; ScratchSize: 0
; MemoryBound: 0
; FloatMode: 240
; IeeeMode: 1
; LDSByteSize: 0 bytes/workgroup (compile time only)
; SGPRBlocks: 0
; VGPRBlocks: 0
; NumSGPRsForWavesPerEU: 4
; NumVGPRsForWavesPerEU: 1
; AccumOffset: 4
; Occupancy: 8
; WaveLimiterHint : 0
; COMPUTE_PGM_RSRC2:SCRATCH_EN: 0
; COMPUTE_PGM_RSRC2:USER_SGPR: 6
; COMPUTE_PGM_RSRC2:TRAP_HANDLER: 0
; COMPUTE_PGM_RSRC2:TGID_X_EN: 1
; COMPUTE_PGM_RSRC2:TGID_Y_EN: 0
; COMPUTE_PGM_RSRC2:TGID_Z_EN: 0
; COMPUTE_PGM_RSRC2:TIDIG_COMP_CNT: 0
; COMPUTE_PGM_RSRC3_GFX90A:ACCUM_OFFSET: 0
; COMPUTE_PGM_RSRC3_GFX90A:TG_SPLIT: 0
	.section	.text._ZN7rocprim17ROCPRIM_400000_NS6detail17trampoline_kernelINS0_14default_configENS1_38merge_sort_block_merge_config_selectorIiNS0_10empty_typeEEEZZNS1_27merge_sort_block_merge_implIS3_N6thrust23THRUST_200600_302600_NS6detail15normal_iteratorINS9_10device_ptrIiEEEEPS5_m14custom_greaterIiEEE10hipError_tT0_T1_T2_jT3_P12ihipStream_tbPNSt15iterator_traitsISJ_E10value_typeEPNSP_ISK_E10value_typeEPSL_NS1_7vsmem_tEENKUlT_SJ_SK_SL_E_clISE_PiSF_SF_EESI_SY_SJ_SK_SL_EUlSY_E0_NS1_11comp_targetILNS1_3genE5ELNS1_11target_archE942ELNS1_3gpuE9ELNS1_3repE0EEENS1_38merge_mergepath_config_static_selectorELNS0_4arch9wavefront6targetE1EEEvSK_,"axG",@progbits,_ZN7rocprim17ROCPRIM_400000_NS6detail17trampoline_kernelINS0_14default_configENS1_38merge_sort_block_merge_config_selectorIiNS0_10empty_typeEEEZZNS1_27merge_sort_block_merge_implIS3_N6thrust23THRUST_200600_302600_NS6detail15normal_iteratorINS9_10device_ptrIiEEEEPS5_m14custom_greaterIiEEE10hipError_tT0_T1_T2_jT3_P12ihipStream_tbPNSt15iterator_traitsISJ_E10value_typeEPNSP_ISK_E10value_typeEPSL_NS1_7vsmem_tEENKUlT_SJ_SK_SL_E_clISE_PiSF_SF_EESI_SY_SJ_SK_SL_EUlSY_E0_NS1_11comp_targetILNS1_3genE5ELNS1_11target_archE942ELNS1_3gpuE9ELNS1_3repE0EEENS1_38merge_mergepath_config_static_selectorELNS0_4arch9wavefront6targetE1EEEvSK_,comdat
	.protected	_ZN7rocprim17ROCPRIM_400000_NS6detail17trampoline_kernelINS0_14default_configENS1_38merge_sort_block_merge_config_selectorIiNS0_10empty_typeEEEZZNS1_27merge_sort_block_merge_implIS3_N6thrust23THRUST_200600_302600_NS6detail15normal_iteratorINS9_10device_ptrIiEEEEPS5_m14custom_greaterIiEEE10hipError_tT0_T1_T2_jT3_P12ihipStream_tbPNSt15iterator_traitsISJ_E10value_typeEPNSP_ISK_E10value_typeEPSL_NS1_7vsmem_tEENKUlT_SJ_SK_SL_E_clISE_PiSF_SF_EESI_SY_SJ_SK_SL_EUlSY_E0_NS1_11comp_targetILNS1_3genE5ELNS1_11target_archE942ELNS1_3gpuE9ELNS1_3repE0EEENS1_38merge_mergepath_config_static_selectorELNS0_4arch9wavefront6targetE1EEEvSK_ ; -- Begin function _ZN7rocprim17ROCPRIM_400000_NS6detail17trampoline_kernelINS0_14default_configENS1_38merge_sort_block_merge_config_selectorIiNS0_10empty_typeEEEZZNS1_27merge_sort_block_merge_implIS3_N6thrust23THRUST_200600_302600_NS6detail15normal_iteratorINS9_10device_ptrIiEEEEPS5_m14custom_greaterIiEEE10hipError_tT0_T1_T2_jT3_P12ihipStream_tbPNSt15iterator_traitsISJ_E10value_typeEPNSP_ISK_E10value_typeEPSL_NS1_7vsmem_tEENKUlT_SJ_SK_SL_E_clISE_PiSF_SF_EESI_SY_SJ_SK_SL_EUlSY_E0_NS1_11comp_targetILNS1_3genE5ELNS1_11target_archE942ELNS1_3gpuE9ELNS1_3repE0EEENS1_38merge_mergepath_config_static_selectorELNS0_4arch9wavefront6targetE1EEEvSK_
	.globl	_ZN7rocprim17ROCPRIM_400000_NS6detail17trampoline_kernelINS0_14default_configENS1_38merge_sort_block_merge_config_selectorIiNS0_10empty_typeEEEZZNS1_27merge_sort_block_merge_implIS3_N6thrust23THRUST_200600_302600_NS6detail15normal_iteratorINS9_10device_ptrIiEEEEPS5_m14custom_greaterIiEEE10hipError_tT0_T1_T2_jT3_P12ihipStream_tbPNSt15iterator_traitsISJ_E10value_typeEPNSP_ISK_E10value_typeEPSL_NS1_7vsmem_tEENKUlT_SJ_SK_SL_E_clISE_PiSF_SF_EESI_SY_SJ_SK_SL_EUlSY_E0_NS1_11comp_targetILNS1_3genE5ELNS1_11target_archE942ELNS1_3gpuE9ELNS1_3repE0EEENS1_38merge_mergepath_config_static_selectorELNS0_4arch9wavefront6targetE1EEEvSK_
	.p2align	8
	.type	_ZN7rocprim17ROCPRIM_400000_NS6detail17trampoline_kernelINS0_14default_configENS1_38merge_sort_block_merge_config_selectorIiNS0_10empty_typeEEEZZNS1_27merge_sort_block_merge_implIS3_N6thrust23THRUST_200600_302600_NS6detail15normal_iteratorINS9_10device_ptrIiEEEEPS5_m14custom_greaterIiEEE10hipError_tT0_T1_T2_jT3_P12ihipStream_tbPNSt15iterator_traitsISJ_E10value_typeEPNSP_ISK_E10value_typeEPSL_NS1_7vsmem_tEENKUlT_SJ_SK_SL_E_clISE_PiSF_SF_EESI_SY_SJ_SK_SL_EUlSY_E0_NS1_11comp_targetILNS1_3genE5ELNS1_11target_archE942ELNS1_3gpuE9ELNS1_3repE0EEENS1_38merge_mergepath_config_static_selectorELNS0_4arch9wavefront6targetE1EEEvSK_,@function
_ZN7rocprim17ROCPRIM_400000_NS6detail17trampoline_kernelINS0_14default_configENS1_38merge_sort_block_merge_config_selectorIiNS0_10empty_typeEEEZZNS1_27merge_sort_block_merge_implIS3_N6thrust23THRUST_200600_302600_NS6detail15normal_iteratorINS9_10device_ptrIiEEEEPS5_m14custom_greaterIiEEE10hipError_tT0_T1_T2_jT3_P12ihipStream_tbPNSt15iterator_traitsISJ_E10value_typeEPNSP_ISK_E10value_typeEPSL_NS1_7vsmem_tEENKUlT_SJ_SK_SL_E_clISE_PiSF_SF_EESI_SY_SJ_SK_SL_EUlSY_E0_NS1_11comp_targetILNS1_3genE5ELNS1_11target_archE942ELNS1_3gpuE9ELNS1_3repE0EEENS1_38merge_mergepath_config_static_selectorELNS0_4arch9wavefront6targetE1EEEvSK_: ; @_ZN7rocprim17ROCPRIM_400000_NS6detail17trampoline_kernelINS0_14default_configENS1_38merge_sort_block_merge_config_selectorIiNS0_10empty_typeEEEZZNS1_27merge_sort_block_merge_implIS3_N6thrust23THRUST_200600_302600_NS6detail15normal_iteratorINS9_10device_ptrIiEEEEPS5_m14custom_greaterIiEEE10hipError_tT0_T1_T2_jT3_P12ihipStream_tbPNSt15iterator_traitsISJ_E10value_typeEPNSP_ISK_E10value_typeEPSL_NS1_7vsmem_tEENKUlT_SJ_SK_SL_E_clISE_PiSF_SF_EESI_SY_SJ_SK_SL_EUlSY_E0_NS1_11comp_targetILNS1_3genE5ELNS1_11target_archE942ELNS1_3gpuE9ELNS1_3repE0EEENS1_38merge_mergepath_config_static_selectorELNS0_4arch9wavefront6targetE1EEEvSK_
; %bb.0:
	.section	.rodata,"a",@progbits
	.p2align	6, 0x0
	.amdhsa_kernel _ZN7rocprim17ROCPRIM_400000_NS6detail17trampoline_kernelINS0_14default_configENS1_38merge_sort_block_merge_config_selectorIiNS0_10empty_typeEEEZZNS1_27merge_sort_block_merge_implIS3_N6thrust23THRUST_200600_302600_NS6detail15normal_iteratorINS9_10device_ptrIiEEEEPS5_m14custom_greaterIiEEE10hipError_tT0_T1_T2_jT3_P12ihipStream_tbPNSt15iterator_traitsISJ_E10value_typeEPNSP_ISK_E10value_typeEPSL_NS1_7vsmem_tEENKUlT_SJ_SK_SL_E_clISE_PiSF_SF_EESI_SY_SJ_SK_SL_EUlSY_E0_NS1_11comp_targetILNS1_3genE5ELNS1_11target_archE942ELNS1_3gpuE9ELNS1_3repE0EEENS1_38merge_mergepath_config_static_selectorELNS0_4arch9wavefront6targetE1EEEvSK_
		.amdhsa_group_segment_fixed_size 0
		.amdhsa_private_segment_fixed_size 0
		.amdhsa_kernarg_size 72
		.amdhsa_user_sgpr_count 6
		.amdhsa_user_sgpr_private_segment_buffer 1
		.amdhsa_user_sgpr_dispatch_ptr 0
		.amdhsa_user_sgpr_queue_ptr 0
		.amdhsa_user_sgpr_kernarg_segment_ptr 1
		.amdhsa_user_sgpr_dispatch_id 0
		.amdhsa_user_sgpr_flat_scratch_init 0
		.amdhsa_user_sgpr_kernarg_preload_length 0
		.amdhsa_user_sgpr_kernarg_preload_offset 0
		.amdhsa_user_sgpr_private_segment_size 0
		.amdhsa_uses_dynamic_stack 0
		.amdhsa_system_sgpr_private_segment_wavefront_offset 0
		.amdhsa_system_sgpr_workgroup_id_x 1
		.amdhsa_system_sgpr_workgroup_id_y 0
		.amdhsa_system_sgpr_workgroup_id_z 0
		.amdhsa_system_sgpr_workgroup_info 0
		.amdhsa_system_vgpr_workitem_id 0
		.amdhsa_next_free_vgpr 1
		.amdhsa_next_free_sgpr 0
		.amdhsa_accum_offset 4
		.amdhsa_reserve_vcc 0
		.amdhsa_reserve_flat_scratch 0
		.amdhsa_float_round_mode_32 0
		.amdhsa_float_round_mode_16_64 0
		.amdhsa_float_denorm_mode_32 3
		.amdhsa_float_denorm_mode_16_64 3
		.amdhsa_dx10_clamp 1
		.amdhsa_ieee_mode 1
		.amdhsa_fp16_overflow 0
		.amdhsa_tg_split 0
		.amdhsa_exception_fp_ieee_invalid_op 0
		.amdhsa_exception_fp_denorm_src 0
		.amdhsa_exception_fp_ieee_div_zero 0
		.amdhsa_exception_fp_ieee_overflow 0
		.amdhsa_exception_fp_ieee_underflow 0
		.amdhsa_exception_fp_ieee_inexact 0
		.amdhsa_exception_int_div_zero 0
	.end_amdhsa_kernel
	.section	.text._ZN7rocprim17ROCPRIM_400000_NS6detail17trampoline_kernelINS0_14default_configENS1_38merge_sort_block_merge_config_selectorIiNS0_10empty_typeEEEZZNS1_27merge_sort_block_merge_implIS3_N6thrust23THRUST_200600_302600_NS6detail15normal_iteratorINS9_10device_ptrIiEEEEPS5_m14custom_greaterIiEEE10hipError_tT0_T1_T2_jT3_P12ihipStream_tbPNSt15iterator_traitsISJ_E10value_typeEPNSP_ISK_E10value_typeEPSL_NS1_7vsmem_tEENKUlT_SJ_SK_SL_E_clISE_PiSF_SF_EESI_SY_SJ_SK_SL_EUlSY_E0_NS1_11comp_targetILNS1_3genE5ELNS1_11target_archE942ELNS1_3gpuE9ELNS1_3repE0EEENS1_38merge_mergepath_config_static_selectorELNS0_4arch9wavefront6targetE1EEEvSK_,"axG",@progbits,_ZN7rocprim17ROCPRIM_400000_NS6detail17trampoline_kernelINS0_14default_configENS1_38merge_sort_block_merge_config_selectorIiNS0_10empty_typeEEEZZNS1_27merge_sort_block_merge_implIS3_N6thrust23THRUST_200600_302600_NS6detail15normal_iteratorINS9_10device_ptrIiEEEEPS5_m14custom_greaterIiEEE10hipError_tT0_T1_T2_jT3_P12ihipStream_tbPNSt15iterator_traitsISJ_E10value_typeEPNSP_ISK_E10value_typeEPSL_NS1_7vsmem_tEENKUlT_SJ_SK_SL_E_clISE_PiSF_SF_EESI_SY_SJ_SK_SL_EUlSY_E0_NS1_11comp_targetILNS1_3genE5ELNS1_11target_archE942ELNS1_3gpuE9ELNS1_3repE0EEENS1_38merge_mergepath_config_static_selectorELNS0_4arch9wavefront6targetE1EEEvSK_,comdat
.Lfunc_end3122:
	.size	_ZN7rocprim17ROCPRIM_400000_NS6detail17trampoline_kernelINS0_14default_configENS1_38merge_sort_block_merge_config_selectorIiNS0_10empty_typeEEEZZNS1_27merge_sort_block_merge_implIS3_N6thrust23THRUST_200600_302600_NS6detail15normal_iteratorINS9_10device_ptrIiEEEEPS5_m14custom_greaterIiEEE10hipError_tT0_T1_T2_jT3_P12ihipStream_tbPNSt15iterator_traitsISJ_E10value_typeEPNSP_ISK_E10value_typeEPSL_NS1_7vsmem_tEENKUlT_SJ_SK_SL_E_clISE_PiSF_SF_EESI_SY_SJ_SK_SL_EUlSY_E0_NS1_11comp_targetILNS1_3genE5ELNS1_11target_archE942ELNS1_3gpuE9ELNS1_3repE0EEENS1_38merge_mergepath_config_static_selectorELNS0_4arch9wavefront6targetE1EEEvSK_, .Lfunc_end3122-_ZN7rocprim17ROCPRIM_400000_NS6detail17trampoline_kernelINS0_14default_configENS1_38merge_sort_block_merge_config_selectorIiNS0_10empty_typeEEEZZNS1_27merge_sort_block_merge_implIS3_N6thrust23THRUST_200600_302600_NS6detail15normal_iteratorINS9_10device_ptrIiEEEEPS5_m14custom_greaterIiEEE10hipError_tT0_T1_T2_jT3_P12ihipStream_tbPNSt15iterator_traitsISJ_E10value_typeEPNSP_ISK_E10value_typeEPSL_NS1_7vsmem_tEENKUlT_SJ_SK_SL_E_clISE_PiSF_SF_EESI_SY_SJ_SK_SL_EUlSY_E0_NS1_11comp_targetILNS1_3genE5ELNS1_11target_archE942ELNS1_3gpuE9ELNS1_3repE0EEENS1_38merge_mergepath_config_static_selectorELNS0_4arch9wavefront6targetE1EEEvSK_
                                        ; -- End function
	.section	.AMDGPU.csdata,"",@progbits
; Kernel info:
; codeLenInByte = 0
; NumSgprs: 4
; NumVgprs: 0
; NumAgprs: 0
; TotalNumVgprs: 0
; ScratchSize: 0
; MemoryBound: 0
; FloatMode: 240
; IeeeMode: 1
; LDSByteSize: 0 bytes/workgroup (compile time only)
; SGPRBlocks: 0
; VGPRBlocks: 0
; NumSGPRsForWavesPerEU: 4
; NumVGPRsForWavesPerEU: 1
; AccumOffset: 4
; Occupancy: 8
; WaveLimiterHint : 0
; COMPUTE_PGM_RSRC2:SCRATCH_EN: 0
; COMPUTE_PGM_RSRC2:USER_SGPR: 6
; COMPUTE_PGM_RSRC2:TRAP_HANDLER: 0
; COMPUTE_PGM_RSRC2:TGID_X_EN: 1
; COMPUTE_PGM_RSRC2:TGID_Y_EN: 0
; COMPUTE_PGM_RSRC2:TGID_Z_EN: 0
; COMPUTE_PGM_RSRC2:TIDIG_COMP_CNT: 0
; COMPUTE_PGM_RSRC3_GFX90A:ACCUM_OFFSET: 0
; COMPUTE_PGM_RSRC3_GFX90A:TG_SPLIT: 0
	.section	.text._ZN7rocprim17ROCPRIM_400000_NS6detail17trampoline_kernelINS0_14default_configENS1_38merge_sort_block_merge_config_selectorIiNS0_10empty_typeEEEZZNS1_27merge_sort_block_merge_implIS3_N6thrust23THRUST_200600_302600_NS6detail15normal_iteratorINS9_10device_ptrIiEEEEPS5_m14custom_greaterIiEEE10hipError_tT0_T1_T2_jT3_P12ihipStream_tbPNSt15iterator_traitsISJ_E10value_typeEPNSP_ISK_E10value_typeEPSL_NS1_7vsmem_tEENKUlT_SJ_SK_SL_E_clISE_PiSF_SF_EESI_SY_SJ_SK_SL_EUlSY_E0_NS1_11comp_targetILNS1_3genE4ELNS1_11target_archE910ELNS1_3gpuE8ELNS1_3repE0EEENS1_38merge_mergepath_config_static_selectorELNS0_4arch9wavefront6targetE1EEEvSK_,"axG",@progbits,_ZN7rocprim17ROCPRIM_400000_NS6detail17trampoline_kernelINS0_14default_configENS1_38merge_sort_block_merge_config_selectorIiNS0_10empty_typeEEEZZNS1_27merge_sort_block_merge_implIS3_N6thrust23THRUST_200600_302600_NS6detail15normal_iteratorINS9_10device_ptrIiEEEEPS5_m14custom_greaterIiEEE10hipError_tT0_T1_T2_jT3_P12ihipStream_tbPNSt15iterator_traitsISJ_E10value_typeEPNSP_ISK_E10value_typeEPSL_NS1_7vsmem_tEENKUlT_SJ_SK_SL_E_clISE_PiSF_SF_EESI_SY_SJ_SK_SL_EUlSY_E0_NS1_11comp_targetILNS1_3genE4ELNS1_11target_archE910ELNS1_3gpuE8ELNS1_3repE0EEENS1_38merge_mergepath_config_static_selectorELNS0_4arch9wavefront6targetE1EEEvSK_,comdat
	.protected	_ZN7rocprim17ROCPRIM_400000_NS6detail17trampoline_kernelINS0_14default_configENS1_38merge_sort_block_merge_config_selectorIiNS0_10empty_typeEEEZZNS1_27merge_sort_block_merge_implIS3_N6thrust23THRUST_200600_302600_NS6detail15normal_iteratorINS9_10device_ptrIiEEEEPS5_m14custom_greaterIiEEE10hipError_tT0_T1_T2_jT3_P12ihipStream_tbPNSt15iterator_traitsISJ_E10value_typeEPNSP_ISK_E10value_typeEPSL_NS1_7vsmem_tEENKUlT_SJ_SK_SL_E_clISE_PiSF_SF_EESI_SY_SJ_SK_SL_EUlSY_E0_NS1_11comp_targetILNS1_3genE4ELNS1_11target_archE910ELNS1_3gpuE8ELNS1_3repE0EEENS1_38merge_mergepath_config_static_selectorELNS0_4arch9wavefront6targetE1EEEvSK_ ; -- Begin function _ZN7rocprim17ROCPRIM_400000_NS6detail17trampoline_kernelINS0_14default_configENS1_38merge_sort_block_merge_config_selectorIiNS0_10empty_typeEEEZZNS1_27merge_sort_block_merge_implIS3_N6thrust23THRUST_200600_302600_NS6detail15normal_iteratorINS9_10device_ptrIiEEEEPS5_m14custom_greaterIiEEE10hipError_tT0_T1_T2_jT3_P12ihipStream_tbPNSt15iterator_traitsISJ_E10value_typeEPNSP_ISK_E10value_typeEPSL_NS1_7vsmem_tEENKUlT_SJ_SK_SL_E_clISE_PiSF_SF_EESI_SY_SJ_SK_SL_EUlSY_E0_NS1_11comp_targetILNS1_3genE4ELNS1_11target_archE910ELNS1_3gpuE8ELNS1_3repE0EEENS1_38merge_mergepath_config_static_selectorELNS0_4arch9wavefront6targetE1EEEvSK_
	.globl	_ZN7rocprim17ROCPRIM_400000_NS6detail17trampoline_kernelINS0_14default_configENS1_38merge_sort_block_merge_config_selectorIiNS0_10empty_typeEEEZZNS1_27merge_sort_block_merge_implIS3_N6thrust23THRUST_200600_302600_NS6detail15normal_iteratorINS9_10device_ptrIiEEEEPS5_m14custom_greaterIiEEE10hipError_tT0_T1_T2_jT3_P12ihipStream_tbPNSt15iterator_traitsISJ_E10value_typeEPNSP_ISK_E10value_typeEPSL_NS1_7vsmem_tEENKUlT_SJ_SK_SL_E_clISE_PiSF_SF_EESI_SY_SJ_SK_SL_EUlSY_E0_NS1_11comp_targetILNS1_3genE4ELNS1_11target_archE910ELNS1_3gpuE8ELNS1_3repE0EEENS1_38merge_mergepath_config_static_selectorELNS0_4arch9wavefront6targetE1EEEvSK_
	.p2align	8
	.type	_ZN7rocprim17ROCPRIM_400000_NS6detail17trampoline_kernelINS0_14default_configENS1_38merge_sort_block_merge_config_selectorIiNS0_10empty_typeEEEZZNS1_27merge_sort_block_merge_implIS3_N6thrust23THRUST_200600_302600_NS6detail15normal_iteratorINS9_10device_ptrIiEEEEPS5_m14custom_greaterIiEEE10hipError_tT0_T1_T2_jT3_P12ihipStream_tbPNSt15iterator_traitsISJ_E10value_typeEPNSP_ISK_E10value_typeEPSL_NS1_7vsmem_tEENKUlT_SJ_SK_SL_E_clISE_PiSF_SF_EESI_SY_SJ_SK_SL_EUlSY_E0_NS1_11comp_targetILNS1_3genE4ELNS1_11target_archE910ELNS1_3gpuE8ELNS1_3repE0EEENS1_38merge_mergepath_config_static_selectorELNS0_4arch9wavefront6targetE1EEEvSK_,@function
_ZN7rocprim17ROCPRIM_400000_NS6detail17trampoline_kernelINS0_14default_configENS1_38merge_sort_block_merge_config_selectorIiNS0_10empty_typeEEEZZNS1_27merge_sort_block_merge_implIS3_N6thrust23THRUST_200600_302600_NS6detail15normal_iteratorINS9_10device_ptrIiEEEEPS5_m14custom_greaterIiEEE10hipError_tT0_T1_T2_jT3_P12ihipStream_tbPNSt15iterator_traitsISJ_E10value_typeEPNSP_ISK_E10value_typeEPSL_NS1_7vsmem_tEENKUlT_SJ_SK_SL_E_clISE_PiSF_SF_EESI_SY_SJ_SK_SL_EUlSY_E0_NS1_11comp_targetILNS1_3genE4ELNS1_11target_archE910ELNS1_3gpuE8ELNS1_3repE0EEENS1_38merge_mergepath_config_static_selectorELNS0_4arch9wavefront6targetE1EEEvSK_: ; @_ZN7rocprim17ROCPRIM_400000_NS6detail17trampoline_kernelINS0_14default_configENS1_38merge_sort_block_merge_config_selectorIiNS0_10empty_typeEEEZZNS1_27merge_sort_block_merge_implIS3_N6thrust23THRUST_200600_302600_NS6detail15normal_iteratorINS9_10device_ptrIiEEEEPS5_m14custom_greaterIiEEE10hipError_tT0_T1_T2_jT3_P12ihipStream_tbPNSt15iterator_traitsISJ_E10value_typeEPNSP_ISK_E10value_typeEPSL_NS1_7vsmem_tEENKUlT_SJ_SK_SL_E_clISE_PiSF_SF_EESI_SY_SJ_SK_SL_EUlSY_E0_NS1_11comp_targetILNS1_3genE4ELNS1_11target_archE910ELNS1_3gpuE8ELNS1_3repE0EEENS1_38merge_mergepath_config_static_selectorELNS0_4arch9wavefront6targetE1EEEvSK_
; %bb.0:
	s_load_dwordx2 s[22:23], s[4:5], 0x48
	s_load_dword s0, s[4:5], 0x38
	s_add_u32 s10, s4, 0x48
	s_addc_u32 s11, s5, 0
	s_waitcnt lgkmcnt(0)
	s_mul_i32 s1, s23, s8
	s_add_i32 s1, s1, s7
	s_mul_i32 s1, s1, s22
	s_add_i32 s8, s1, s6
	s_cmp_ge_u32 s8, s0
	s_cbranch_scc1 .LBB3123_45
; %bb.1:
	s_load_dwordx2 s[0:1], s[4:5], 0x40
	s_load_dwordx4 s[12:15], s[4:5], 0x8
	s_load_dwordx4 s[16:19], s[4:5], 0x28
	s_mov_b32 s9, 0
	s_lshl_b64 s[2:3], s[8:9], 3
	s_waitcnt lgkmcnt(0)
	s_add_u32 s0, s0, s2
	s_addc_u32 s1, s1, s3
	v_mov_b32_e32 v1, s18
	v_alignbit_b32 v1, s19, v1, 9
	v_readfirstlane_b32 s4, v1
	s_and_b32 s4, s4, -2
	s_sub_i32 s30, 0, s4
	s_and_b32 s24, s8, s30
	s_mov_b32 s25, s9
	s_lshl_b64 s[4:5], s[24:25], 10
	s_lshl_b64 s[20:21], s[8:9], 10
	s_sub_u32 s7, s20, s4
	s_load_dwordx4 s[0:3], s[0:1], 0x0
	s_subb_u32 s23, s21, s5
	s_lshl_b64 s[24:25], s[24:25], 11
	s_add_u32 s24, s24, s18
	s_addc_u32 s25, s25, s19
	s_add_u32 s7, s24, s7
	s_addc_u32 s23, s25, s23
	s_waitcnt lgkmcnt(0)
	s_sub_u32 s26, s7, s2
	s_subb_u32 s3, s23, s3
	s_add_u32 s26, s26, 0x400
	s_addc_u32 s27, s3, 0
	v_pk_mov_b32 v[2:3], s[26:27], s[26:27] op_sel:[0,1]
	v_cmp_lt_u64_e32 vcc, s[16:17], v[2:3]
	s_and_b64 s[28:29], vcc, exec
	s_cselect_b32 s3, s16, s26
	s_or_b32 s26, s8, s30
	s_cmp_lg_u32 s26, -1
	s_cbranch_scc1 .LBB3123_3
; %bb.2:
	s_sub_u32 s4, s24, s4
	s_subb_u32 s5, s25, s5
	v_pk_mov_b32 v[2:3], s[4:5], s[4:5] op_sel:[0,1]
	v_cmp_lt_u64_e32 vcc, s[16:17], v[2:3]
	s_and_b64 s[2:3], vcc, exec
	s_cselect_b32 s2, s16, s4
	s_add_u32 s4, s4, s18
	s_addc_u32 s5, s5, s19
	v_pk_mov_b32 v[2:3], s[4:5], s[4:5] op_sel:[0,1]
	v_cmp_lt_u64_e32 vcc, s[16:17], v[2:3]
	s_and_b64 s[18:19], vcc, exec
	s_cselect_b32 s3, s16, s4
.LBB3123_3:
	s_lshr_b64 s[24:25], s[16:17], 10
	s_cmp_lg_u64 s[24:25], s[8:9]
	s_cselect_b64 s[18:19], -1, 0
	s_sub_u32 s4, s7, s0
	s_subb_u32 s5, s23, s1
	v_pk_mov_b32 v[2:3], s[4:5], s[4:5] op_sel:[0,1]
	v_cmp_lt_u64_e32 vcc, s[16:17], v[2:3]
	s_and_b64 s[26:27], vcc, exec
	s_cselect_b32 s26, s16, s4
	s_cselect_b32 s27, s17, s5
	s_sub_i32 s17, s2, s0
	s_sub_i32 s4, s3, s26
	s_lshl_b64 s[0:1], s[0:1], 2
	s_add_u32 s5, s12, s0
	s_addc_u32 s7, s13, s1
	s_lshl_b64 s[0:1], s[26:27], 2
	s_add_u32 s12, s12, s0
	s_addc_u32 s13, s13, s1
	s_cmp_lt_u32 s6, s22
	v_mov_b32_e32 v9, 0
	s_cselect_b32 s0, 12, 18
	global_load_dword v1, v9, s[10:11] offset:14
	s_add_u32 s0, s10, s0
	s_addc_u32 s1, s11, 0
	global_load_ushort v2, v9, s[0:1]
	s_cmp_eq_u64 s[24:25], s[8:9]
	s_waitcnt vmcnt(1)
	v_lshrrev_b32_e32 v3, 16, v1
	v_and_b32_e32 v1, 0xffff, v1
	v_mul_lo_u32 v1, v1, v3
	s_waitcnt vmcnt(0)
	v_mul_lo_u32 v15, v1, v2
	v_add_u32_e32 v12, v15, v0
	v_lshlrev_b32_e32 v1, 2, v0
	v_add_u32_e32 v10, v12, v15
	s_cbranch_scc1 .LBB3123_5
; %bb.4:
	v_subrev_u32_e32 v8, s17, v0
	v_lshlrev_b64 v[2:3], 2, v[8:9]
	v_mov_b32_e32 v4, s13
	v_add_co_u32_e32 v2, vcc, s12, v2
	v_addc_co_u32_e32 v3, vcc, v4, v3, vcc
	v_mov_b32_e32 v4, s7
	v_add_co_u32_e32 v5, vcc, s5, v1
	v_addc_co_u32_e32 v4, vcc, 0, v4, vcc
	v_cmp_gt_u32_e32 vcc, s17, v0
	v_subrev_u32_e32 v8, s17, v12
	v_cndmask_b32_e32 v3, v3, v4, vcc
	v_cndmask_b32_e32 v2, v2, v5, vcc
	v_lshlrev_b64 v[4:5], 2, v[8:9]
	global_load_dword v2, v[2:3], off
	v_mov_b32_e32 v3, s13
	v_add_co_u32_e32 v6, vcc, s12, v4
	v_mov_b32_e32 v13, v9
	v_addc_co_u32_e32 v3, vcc, v3, v5, vcc
	v_lshlrev_b64 v[4:5], 2, v[12:13]
	v_mov_b32_e32 v7, s7
	v_add_co_u32_e32 v4, vcc, s5, v4
	v_addc_co_u32_e32 v5, vcc, v7, v5, vcc
	v_cmp_gt_u32_e32 vcc, s17, v12
	v_cndmask_b32_e32 v5, v3, v5, vcc
	v_cndmask_b32_e32 v4, v6, v4, vcc
	v_subrev_u32_e32 v8, s17, v10
	global_load_dword v3, v[4:5], off
	v_lshlrev_b64 v[4:5], 2, v[8:9]
	v_mov_b32_e32 v6, s13
	v_add_co_u32_e32 v7, vcc, s12, v4
	v_mov_b32_e32 v11, v9
	v_addc_co_u32_e32 v6, vcc, v6, v5, vcc
	v_lshlrev_b64 v[4:5], 2, v[10:11]
	v_mov_b32_e32 v8, s7
	v_add_co_u32_e32 v4, vcc, s5, v4
	v_addc_co_u32_e32 v5, vcc, v8, v5, vcc
	v_cmp_gt_u32_e32 vcc, s17, v10
	v_cndmask_b32_e32 v5, v6, v5, vcc
	v_add_u32_e32 v6, v10, v15
	v_subrev_u32_e32 v8, s17, v6
	v_cndmask_b32_e32 v4, v7, v4, vcc
	v_lshlrev_b64 v[16:17], 2, v[8:9]
	global_load_dword v4, v[4:5], off
	v_mov_b32_e32 v5, s13
	v_add_co_u32_e32 v8, vcc, s12, v16
	v_mov_b32_e32 v7, v9
	v_addc_co_u32_e32 v5, vcc, v5, v17, vcc
	v_lshlrev_b64 v[16:17], 2, v[6:7]
	v_mov_b32_e32 v7, s7
	v_add_co_u32_e32 v11, vcc, s5, v16
	v_addc_co_u32_e32 v7, vcc, v7, v17, vcc
	v_cmp_gt_u32_e32 vcc, s17, v6
	v_cndmask_b32_e32 v17, v5, v7, vcc
	v_cndmask_b32_e32 v16, v8, v11, vcc
	global_load_dword v5, v[16:17], off
	v_add_u32_e32 v16, v6, v15
	v_subrev_u32_e32 v8, s17, v16
	v_lshlrev_b64 v[6:7], 2, v[8:9]
	v_mov_b32_e32 v8, s13
	v_add_co_u32_e32 v11, vcc, s12, v6
	v_mov_b32_e32 v17, v9
	v_addc_co_u32_e32 v8, vcc, v8, v7, vcc
	v_lshlrev_b64 v[6:7], 2, v[16:17]
	v_mov_b32_e32 v13, s7
	v_add_co_u32_e32 v6, vcc, s5, v6
	v_addc_co_u32_e32 v7, vcc, v13, v7, vcc
	v_cmp_gt_u32_e32 vcc, s17, v16
	v_add_u32_e32 v16, v16, v15
	v_cndmask_b32_e32 v7, v8, v7, vcc
	v_subrev_u32_e32 v8, s17, v16
	v_cndmask_b32_e32 v6, v11, v6, vcc
	v_lshlrev_b64 v[18:19], 2, v[8:9]
	global_load_dword v6, v[6:7], off
	v_mov_b32_e32 v7, s13
	v_add_co_u32_e32 v8, vcc, s12, v18
	v_addc_co_u32_e32 v7, vcc, v7, v19, vcc
	v_lshlrev_b64 v[18:19], 2, v[16:17]
	v_mov_b32_e32 v11, s7
	v_add_co_u32_e32 v13, vcc, s5, v18
	v_addc_co_u32_e32 v11, vcc, v11, v19, vcc
	v_cmp_gt_u32_e32 vcc, s17, v16
	v_add_u32_e32 v16, v16, v15
	v_cndmask_b32_e32 v19, v7, v11, vcc
	v_cndmask_b32_e32 v18, v8, v13, vcc
	v_subrev_u32_e32 v8, s17, v16
	global_load_dword v7, v[18:19], off
	v_lshlrev_b64 v[18:19], 2, v[8:9]
	v_mov_b32_e32 v8, s13
	v_add_co_u32_e32 v11, vcc, s12, v18
	v_addc_co_u32_e32 v13, vcc, v8, v19, vcc
	v_lshlrev_b64 v[8:9], 2, v[16:17]
	v_mov_b32_e32 v14, s7
	v_add_co_u32_e32 v8, vcc, s5, v8
	v_addc_co_u32_e32 v9, vcc, v14, v9, vcc
	v_cmp_gt_u32_e32 vcc, s17, v16
	v_cndmask_b32_e32 v9, v13, v9, vcc
	v_cndmask_b32_e32 v8, v11, v8, vcc
	global_load_dword v8, v[8:9], off
	v_add_u32_e32 v14, v16, v15
	s_add_i32 s6, s17, s4
	s_mov_b64 s[0:1], -1
	s_cbranch_execz .LBB3123_6
	s_branch .LBB3123_19
.LBB3123_5:
	s_mov_b64 s[0:1], 0
                                        ; implicit-def: $vgpr14
                                        ; implicit-def: $vgpr2_vgpr3_vgpr4_vgpr5_vgpr6_vgpr7_vgpr8_vgpr9
                                        ; implicit-def: $sgpr6
.LBB3123_6:
	s_add_i32 s6, s17, s4
	v_cmp_gt_u32_e32 vcc, s6, v0
                                        ; implicit-def: $vgpr2_vgpr3_vgpr4_vgpr5_vgpr6_vgpr7_vgpr8_vgpr9
	s_and_saveexec_b64 s[0:1], vcc
	s_cbranch_execnz .LBB3123_46
; %bb.7:
	s_or_b64 exec, exec, s[0:1]
	v_cmp_gt_u32_e32 vcc, s6, v12
	s_and_saveexec_b64 s[2:3], vcc
	s_cbranch_execnz .LBB3123_47
.LBB3123_8:
	s_or_b64 exec, exec, s[2:3]
	v_cmp_gt_u32_e32 vcc, s6, v10
	s_and_saveexec_b64 s[0:1], vcc
	s_cbranch_execz .LBB3123_10
.LBB3123_9:
	v_mov_b32_e32 v11, 0
	v_lshlrev_b64 v[12:13], 2, v[10:11]
	s_waitcnt vmcnt(4)
	v_mov_b32_e32 v4, s7
	v_add_co_u32_e32 v14, vcc, s5, v12
	v_addc_co_u32_e32 v4, vcc, v4, v13, vcc
	v_subrev_u32_e32 v12, s17, v10
	v_mov_b32_e32 v13, v11
	v_lshlrev_b64 v[12:13], 2, v[12:13]
	v_mov_b32_e32 v11, s13
	v_add_co_u32_e32 v12, vcc, s12, v12
	v_addc_co_u32_e32 v11, vcc, v11, v13, vcc
	v_cmp_gt_u32_e32 vcc, s17, v10
	v_cndmask_b32_e32 v13, v11, v4, vcc
	v_cndmask_b32_e32 v12, v12, v14, vcc
	global_load_dword v4, v[12:13], off
.LBB3123_10:
	s_or_b64 exec, exec, s[0:1]
	v_add_u32_e32 v10, v10, v15
	v_cmp_gt_u32_e32 vcc, s6, v10
	s_and_saveexec_b64 s[0:1], vcc
	s_cbranch_execz .LBB3123_12
; %bb.11:
	v_mov_b32_e32 v11, 0
	v_lshlrev_b64 v[12:13], 2, v[10:11]
	s_waitcnt vmcnt(3)
	v_mov_b32_e32 v5, s7
	v_add_co_u32_e32 v14, vcc, s5, v12
	v_addc_co_u32_e32 v5, vcc, v5, v13, vcc
	v_subrev_u32_e32 v12, s17, v10
	v_mov_b32_e32 v13, v11
	v_lshlrev_b64 v[12:13], 2, v[12:13]
	v_mov_b32_e32 v11, s13
	v_add_co_u32_e32 v12, vcc, s12, v12
	v_addc_co_u32_e32 v11, vcc, v11, v13, vcc
	v_cmp_gt_u32_e32 vcc, s17, v10
	v_cndmask_b32_e32 v13, v11, v5, vcc
	v_cndmask_b32_e32 v12, v12, v14, vcc
	global_load_dword v5, v[12:13], off
.LBB3123_12:
	s_or_b64 exec, exec, s[0:1]
	v_add_u32_e32 v10, v10, v15
	v_cmp_gt_u32_e32 vcc, s6, v10
	s_and_saveexec_b64 s[0:1], vcc
	s_cbranch_execz .LBB3123_14
; %bb.13:
	v_mov_b32_e32 v11, 0
	v_lshlrev_b64 v[12:13], 2, v[10:11]
	s_waitcnt vmcnt(2)
	v_mov_b32_e32 v6, s7
	v_add_co_u32_e32 v14, vcc, s5, v12
	v_addc_co_u32_e32 v6, vcc, v6, v13, vcc
	v_subrev_u32_e32 v12, s17, v10
	v_mov_b32_e32 v13, v11
	v_lshlrev_b64 v[12:13], 2, v[12:13]
	v_mov_b32_e32 v11, s13
	v_add_co_u32_e32 v12, vcc, s12, v12
	v_addc_co_u32_e32 v11, vcc, v11, v13, vcc
	v_cmp_gt_u32_e32 vcc, s17, v10
	v_cndmask_b32_e32 v13, v11, v6, vcc
	v_cndmask_b32_e32 v12, v12, v14, vcc
	global_load_dword v6, v[12:13], off
.LBB3123_14:
	;; [unrolled: 23-line block ×4, first 2 shown]
	s_or_b64 exec, exec, s[0:1]
	v_add_u32_e32 v14, v10, v15
	v_cmp_gt_u32_e64 s[0:1], s6, v14
.LBB3123_19:
	v_mov_b32_e32 v11, s6
	s_and_saveexec_b64 s[2:3], s[0:1]
	s_cbranch_execz .LBB3123_21
; %bb.20:
	v_subrev_u32_e32 v10, s17, v14
	v_mov_b32_e32 v11, 0
	v_lshlrev_b64 v[12:13], 2, v[10:11]
	v_mov_b32_e32 v9, s13
	v_add_co_u32_e32 v12, vcc, s12, v12
	v_mov_b32_e32 v15, v11
	v_addc_co_u32_e32 v9, vcc, v9, v13, vcc
	v_lshlrev_b64 v[10:11], 2, v[14:15]
	v_mov_b32_e32 v13, s7
	v_add_co_u32_e32 v10, vcc, s5, v10
	v_addc_co_u32_e32 v11, vcc, v13, v11, vcc
	v_cmp_gt_u32_e32 vcc, s17, v14
	v_cndmask_b32_e32 v11, v9, v11, vcc
	v_cndmask_b32_e32 v10, v12, v10, vcc
	global_load_dword v9, v[10:11], off
	v_mov_b32_e32 v11, s6
.LBB3123_21:
	s_or_b64 exec, exec, s[2:3]
	v_lshlrev_b32_e32 v10, 3, v0
	v_min_u32_e32 v13, v11, v10
	v_sub_u32_e64 v12, v13, s4 clamp
	v_min_u32_e32 v14, s17, v13
	v_cmp_lt_u32_e32 vcc, v12, v14
	s_waitcnt vmcnt(0)
	ds_write2st64_b32 v1, v2, v3 offset1:2
	ds_write2st64_b32 v1, v4, v5 offset0:4 offset1:6
	ds_write2st64_b32 v1, v6, v7 offset0:8 offset1:10
	;; [unrolled: 1-line block ×3, first 2 shown]
	s_waitcnt lgkmcnt(0)
	s_barrier
	s_and_saveexec_b64 s[0:1], vcc
	s_cbranch_execz .LBB3123_25
; %bb.22:
	v_lshlrev_b32_e32 v15, 2, v13
	v_lshl_add_u32 v15, s17, 2, v15
	s_mov_b64 s[2:3], 0
.LBB3123_23:                            ; =>This Inner Loop Header: Depth=1
	v_add_u32_e32 v16, v14, v12
	v_lshrrev_b32_e32 v16, 1, v16
	v_not_b32_e32 v17, v16
	v_lshlrev_b32_e32 v18, 2, v16
	v_lshl_add_u32 v17, v17, 2, v15
	ds_read_b32 v18, v18
	ds_read_b32 v17, v17
	v_add_u32_e32 v19, 1, v16
	s_waitcnt lgkmcnt(0)
	v_cmp_gt_i32_e32 vcc, v18, v17
	v_cndmask_b32_e32 v14, v14, v16, vcc
	v_cndmask_b32_e32 v12, v19, v12, vcc
	v_cmp_ge_u32_e32 vcc, v12, v14
	s_or_b64 s[2:3], vcc, s[2:3]
	s_andn2_b64 exec, exec, s[2:3]
	s_cbranch_execnz .LBB3123_23
; %bb.24:
	s_or_b64 exec, exec, s[2:3]
.LBB3123_25:
	s_or_b64 exec, exec, s[0:1]
	v_sub_u32_e32 v13, v13, v12
	v_add_u32_e32 v13, s17, v13
	v_cmp_ge_u32_e32 vcc, s17, v12
	v_cmp_le_u32_e64 s[0:1], v13, v11
	s_or_b64 s[0:1], vcc, s[0:1]
	s_and_saveexec_b64 s[22:23], s[0:1]
	s_cbranch_execz .LBB3123_31
; %bb.26:
	v_cmp_gt_u32_e32 vcc, s17, v12
                                        ; implicit-def: $vgpr2
	s_and_saveexec_b64 s[0:1], vcc
	s_cbranch_execz .LBB3123_28
; %bb.27:
	v_lshlrev_b32_e32 v2, 2, v12
	ds_read_b32 v2, v2
.LBB3123_28:
	s_or_b64 exec, exec, s[0:1]
	v_cmp_ge_u32_e64 s[0:1], v13, v11
	v_cmp_lt_u32_e64 s[2:3], v13, v11
                                        ; implicit-def: $vgpr3
	s_and_saveexec_b64 s[4:5], s[2:3]
	s_cbranch_execz .LBB3123_30
; %bb.29:
	v_lshlrev_b32_e32 v3, 2, v13
	ds_read_b32 v3, v3
.LBB3123_30:
	s_or_b64 exec, exec, s[4:5]
	s_waitcnt lgkmcnt(0)
	v_cmp_le_i32_e64 s[2:3], v2, v3
	s_and_b64 s[2:3], vcc, s[2:3]
	s_or_b64 vcc, s[0:1], s[2:3]
	v_mov_b32_e32 v5, s17
	v_cndmask_b32_e32 v4, v13, v12, vcc
	v_cndmask_b32_e32 v6, v11, v5, vcc
	v_add_u32_e32 v4, 1, v4
	v_add_u32_e32 v6, -1, v6
	v_min_u32_e32 v6, v4, v6
	v_lshlrev_b32_e32 v6, 2, v6
	ds_read_b32 v6, v6
	v_cndmask_b32_e32 v8, v4, v13, vcc
	v_cndmask_b32_e32 v4, v12, v4, vcc
	v_cmp_gt_u32_e64 s[2:3], s17, v4
	v_cmp_ge_u32_e64 s[0:1], v8, v11
	s_waitcnt lgkmcnt(0)
	v_cndmask_b32_e32 v7, v6, v3, vcc
	v_cndmask_b32_e32 v6, v2, v6, vcc
	v_cmp_le_i32_e64 s[4:5], v6, v7
	s_and_b64 s[2:3], s[2:3], s[4:5]
	s_or_b64 s[0:1], s[0:1], s[2:3]
	v_cndmask_b32_e64 v9, v8, v4, s[0:1]
	v_cndmask_b32_e64 v12, v11, v5, s[0:1]
	v_add_u32_e32 v9, 1, v9
	v_add_u32_e32 v12, -1, v12
	v_min_u32_e32 v12, v9, v12
	v_lshlrev_b32_e32 v12, 2, v12
	ds_read_b32 v12, v12
	v_cndmask_b32_e64 v4, v4, v9, s[0:1]
	v_cndmask_b32_e64 v8, v9, v8, s[0:1]
	v_cmp_gt_u32_e64 s[4:5], s17, v4
	v_cmp_ge_u32_e64 s[2:3], v8, v11
	s_waitcnt lgkmcnt(0)
	v_cndmask_b32_e64 v13, v12, v7, s[0:1]
	v_cndmask_b32_e64 v12, v6, v12, s[0:1]
	v_cmp_le_i32_e64 s[6:7], v12, v13
	s_and_b64 s[4:5], s[4:5], s[6:7]
	s_or_b64 s[2:3], s[2:3], s[4:5]
	v_cndmask_b32_e64 v9, v8, v4, s[2:3]
	v_cndmask_b32_e64 v14, v11, v5, s[2:3]
	v_add_u32_e32 v9, 1, v9
	v_add_u32_e32 v14, -1, v14
	v_min_u32_e32 v14, v9, v14
	v_lshlrev_b32_e32 v14, 2, v14
	ds_read_b32 v14, v14
	v_cndmask_b32_e64 v4, v4, v9, s[2:3]
	v_cndmask_b32_e64 v8, v9, v8, s[2:3]
	v_cmp_gt_u32_e64 s[6:7], s17, v4
	v_cmp_ge_u32_e64 s[4:5], v8, v11
	s_waitcnt lgkmcnt(0)
	v_cndmask_b32_e64 v15, v14, v13, s[2:3]
	v_cndmask_b32_e64 v14, v12, v14, s[2:3]
	v_cmp_le_i32_e64 s[8:9], v14, v15
	s_and_b64 s[6:7], s[6:7], s[8:9]
	s_or_b64 s[4:5], s[4:5], s[6:7]
	v_cndmask_b32_e64 v9, v8, v4, s[4:5]
	v_cndmask_b32_e64 v16, v11, v5, s[4:5]
	v_add_u32_e32 v9, 1, v9
	v_add_u32_e32 v16, -1, v16
	v_min_u32_e32 v16, v9, v16
	v_lshlrev_b32_e32 v16, 2, v16
	ds_read_b32 v16, v16
	v_cndmask_b32_e64 v4, v4, v9, s[4:5]
	v_cndmask_b32_e64 v8, v9, v8, s[4:5]
	v_cmp_gt_u32_e64 s[8:9], s17, v4
	v_cmp_ge_u32_e64 s[6:7], v8, v11
	s_waitcnt lgkmcnt(0)
	v_cndmask_b32_e64 v17, v16, v15, s[4:5]
	v_cndmask_b32_e64 v16, v14, v16, s[4:5]
	v_cmp_le_i32_e64 s[10:11], v16, v17
	s_and_b64 s[8:9], s[8:9], s[10:11]
	s_or_b64 s[6:7], s[6:7], s[8:9]
	v_cndmask_b32_e64 v9, v8, v4, s[6:7]
	v_cndmask_b32_e64 v18, v11, v5, s[6:7]
	v_add_u32_e32 v9, 1, v9
	v_add_u32_e32 v18, -1, v18
	v_min_u32_e32 v18, v9, v18
	v_lshlrev_b32_e32 v18, 2, v18
	ds_read_b32 v18, v18
	v_cndmask_b32_e64 v8, v9, v8, s[6:7]
	v_cndmask_b32_e64 v9, v4, v9, s[6:7]
	v_cmp_gt_u32_e64 s[10:11], s17, v9
	v_cmp_ge_u32_e64 s[8:9], v8, v11
	s_waitcnt lgkmcnt(0)
	v_cndmask_b32_e64 v19, v18, v17, s[6:7]
	v_cndmask_b32_e64 v18, v16, v18, s[6:7]
	v_cmp_le_i32_e64 s[12:13], v18, v19
	s_and_b64 s[10:11], s[10:11], s[12:13]
	s_or_b64 s[8:9], s[8:9], s[10:11]
	v_cndmask_b32_e64 v4, v8, v9, s[8:9]
	v_cndmask_b32_e64 v20, v11, v5, s[8:9]
	v_add_u32_e32 v21, 1, v4
	v_add_u32_e32 v4, -1, v20
	v_min_u32_e32 v4, v21, v4
	v_lshlrev_b32_e32 v4, 2, v4
	ds_read_b32 v20, v4
	v_cndmask_b32_e64 v4, v13, v12, s[2:3]
	v_cndmask_b32_e64 v9, v9, v21, s[8:9]
	v_cndmask_b32_e32 v2, v3, v2, vcc
	v_cndmask_b32_e64 v3, v7, v6, s[0:1]
	s_waitcnt lgkmcnt(0)
	v_cndmask_b32_e64 v12, v20, v19, s[8:9]
	v_cndmask_b32_e64 v13, v18, v20, s[8:9]
	;; [unrolled: 1-line block ×3, first 2 shown]
	v_cmp_gt_u32_e64 s[0:1], s17, v9
	v_cmp_le_i32_e64 s[2:3], v13, v12
	v_cmp_ge_u32_e32 vcc, v20, v11
	s_and_b64 s[0:1], s[0:1], s[2:3]
	s_or_b64 vcc, vcc, s[0:1]
	v_cndmask_b32_e32 v6, v20, v9, vcc
	v_cndmask_b32_e32 v5, v11, v5, vcc
	v_add_u32_e32 v21, 1, v6
	v_add_u32_e32 v5, -1, v5
	v_min_u32_e32 v5, v21, v5
	v_lshlrev_b32_e32 v5, 2, v5
	ds_read_b32 v22, v5
	v_cndmask_b32_e32 v8, v12, v13, vcc
	v_cndmask_b32_e32 v9, v9, v21, vcc
	v_cndmask_b32_e64 v5, v15, v14, s[4:5]
	v_cndmask_b32_e32 v14, v21, v20, vcc
	s_waitcnt lgkmcnt(0)
	v_cndmask_b32_e32 v12, v22, v12, vcc
	v_cndmask_b32_e32 v13, v13, v22, vcc
	v_cmp_gt_u32_e64 s[0:1], s17, v9
	v_cmp_le_i32_e64 s[2:3], v13, v12
	v_cmp_ge_u32_e32 vcc, v14, v11
	s_and_b64 s[0:1], s[0:1], s[2:3]
	s_or_b64 vcc, vcc, s[0:1]
	v_cndmask_b32_e64 v6, v17, v16, s[6:7]
	v_cndmask_b32_e64 v7, v19, v18, s[8:9]
	v_cndmask_b32_e32 v9, v12, v13, vcc
.LBB3123_31:
	s_or_b64 exec, exec, s[22:23]
	v_and_b32_e32 v11, 0x7c, v0
	v_lshl_add_u32 v10, v10, 2, v11
	s_barrier
	s_barrier
	ds_write2_b32 v10, v2, v3 offset1:1
	ds_write2_b32 v10, v4, v5 offset0:2 offset1:3
	ds_write2_b32 v10, v6, v7 offset0:4 offset1:5
	;; [unrolled: 1-line block ×3, first 2 shown]
	v_lshrrev_b32_e32 v2, 3, v0
	v_and_b32_e32 v2, 12, v2
	v_or_b32_e32 v10, 0x80, v0
	v_add_u32_e32 v11, v1, v2
	v_lshrrev_b32_e32 v2, 3, v10
	v_and_b32_e32 v2, 28, v2
	v_or_b32_e32 v9, 0x100, v0
	v_add_u32_e32 v12, v1, v2
	;; [unrolled: 4-line block ×6, first 2 shown]
	v_lshrrev_b32_e32 v2, 3, v5
	s_lshl_b64 s[0:1], s[20:21], 2
	v_and_b32_e32 v2, 0x6c, v2
	v_or_b32_e32 v4, 0x380, v0
	s_add_u32 s0, s14, s0
	v_add_u32_e32 v17, v1, v2
	v_lshrrev_b32_e32 v2, 3, v4
	s_addc_u32 s1, s15, s1
	v_and_b32_e32 v2, 0x7c, v2
	v_add_u32_e32 v18, v1, v2
	v_mov_b32_e32 v3, s1
	v_add_co_u32_e32 v2, vcc, s0, v1
	v_addc_co_u32_e32 v3, vcc, 0, v3, vcc
	s_and_b64 vcc, exec, s[18:19]
	s_waitcnt lgkmcnt(0)
	s_cbranch_vccz .LBB3123_33
; %bb.32:
	s_barrier
	ds_read_b32 v19, v11
	ds_read_b32 v20, v12 offset:512
	ds_read_b32 v21, v13 offset:1024
	;; [unrolled: 1-line block ×7, first 2 shown]
	s_waitcnt lgkmcnt(7)
	global_store_dword v[2:3], v19, off
	s_waitcnt lgkmcnt(6)
	global_store_dword v[2:3], v20, off offset:512
	s_waitcnt lgkmcnt(5)
	global_store_dword v[2:3], v21, off offset:1024
	;; [unrolled: 2-line block ×6, first 2 shown]
	s_mov_b64 s[0:1], -1
	s_cbranch_execz .LBB3123_34
	s_branch .LBB3123_43
.LBB3123_33:
	s_mov_b64 s[0:1], 0
                                        ; implicit-def: $vgpr1
.LBB3123_34:
	s_barrier
	s_waitcnt lgkmcnt(0)
	ds_read_b32 v21, v12 offset:512
	ds_read_b32 v20, v13 offset:1024
	;; [unrolled: 1-line block ×7, first 2 shown]
	s_sub_i32 s2, s16, s20
	v_cmp_gt_u32_e32 vcc, s2, v0
	s_and_saveexec_b64 s[0:1], vcc
	s_cbranch_execnz .LBB3123_48
; %bb.35:
	s_or_b64 exec, exec, s[0:1]
	v_cmp_gt_u32_e32 vcc, s2, v10
	s_and_saveexec_b64 s[0:1], vcc
	s_cbranch_execnz .LBB3123_49
.LBB3123_36:
	s_or_b64 exec, exec, s[0:1]
	v_cmp_gt_u32_e32 vcc, s2, v9
	s_and_saveexec_b64 s[0:1], vcc
	s_cbranch_execnz .LBB3123_50
.LBB3123_37:
	s_or_b64 exec, exec, s[0:1]
	v_cmp_gt_u32_e32 vcc, s2, v8
	s_and_saveexec_b64 s[0:1], vcc
	s_cbranch_execnz .LBB3123_51
.LBB3123_38:
	s_or_b64 exec, exec, s[0:1]
	v_cmp_gt_u32_e32 vcc, s2, v7
	s_and_saveexec_b64 s[0:1], vcc
	s_cbranch_execnz .LBB3123_52
.LBB3123_39:
	s_or_b64 exec, exec, s[0:1]
	v_cmp_gt_u32_e32 vcc, s2, v6
	s_and_saveexec_b64 s[0:1], vcc
	s_cbranch_execnz .LBB3123_53
.LBB3123_40:
	s_or_b64 exec, exec, s[0:1]
	v_cmp_gt_u32_e32 vcc, s2, v5
	s_and_saveexec_b64 s[0:1], vcc
	s_cbranch_execz .LBB3123_42
.LBB3123_41:
	s_waitcnt lgkmcnt(1)
	global_store_dword v[2:3], v12, off offset:3072
.LBB3123_42:
	s_or_b64 exec, exec, s[0:1]
	v_cmp_gt_u32_e64 s[0:1], s2, v4
.LBB3123_43:
	s_and_saveexec_b64 s[2:3], s[0:1]
	s_cbranch_execz .LBB3123_45
; %bb.44:
	s_waitcnt lgkmcnt(0)
	global_store_dword v[2:3], v1, off offset:3584
.LBB3123_45:
	s_endpgm
.LBB3123_46:
	s_waitcnt vmcnt(6)
	v_mov_b32_e32 v2, s7
	s_waitcnt vmcnt(4)
	v_add_co_u32_e32 v4, vcc, s5, v1
	v_mov_b32_e32 v3, 0
	s_waitcnt vmcnt(3)
	v_addc_co_u32_e32 v5, vcc, 0, v2, vcc
	v_subrev_u32_e32 v2, s17, v0
	v_lshlrev_b64 v[2:3], 2, v[2:3]
	s_waitcnt vmcnt(2)
	v_mov_b32_e32 v6, s13
	v_add_co_u32_e32 v2, vcc, s12, v2
	v_addc_co_u32_e32 v3, vcc, v6, v3, vcc
	v_cmp_gt_u32_e32 vcc, s17, v0
	v_cndmask_b32_e32 v3, v3, v5, vcc
	v_cndmask_b32_e32 v2, v2, v4, vcc
	global_load_dword v2, v[2:3], off
	s_or_b64 exec, exec, s[0:1]
	v_cmp_gt_u32_e32 vcc, s6, v12
	s_and_saveexec_b64 s[2:3], vcc
	s_cbranch_execz .LBB3123_8
.LBB3123_47:
	v_mov_b32_e32 v13, 0
	v_lshlrev_b64 v[16:17], 2, v[12:13]
	s_waitcnt vmcnt(5)
	v_mov_b32_e32 v3, s7
	v_add_co_u32_e32 v11, vcc, s5, v16
	v_addc_co_u32_e32 v3, vcc, v3, v17, vcc
	v_cmp_gt_u32_e32 vcc, s17, v12
	v_subrev_u32_e32 v12, s17, v12
	v_lshlrev_b64 v[12:13], 2, v[12:13]
	v_mov_b32_e32 v14, s13
	v_add_co_u32_e64 v12, s[0:1], s12, v12
	v_addc_co_u32_e64 v13, s[0:1], v14, v13, s[0:1]
	v_cndmask_b32_e32 v13, v13, v3, vcc
	v_cndmask_b32_e32 v12, v12, v11, vcc
	global_load_dword v3, v[12:13], off
	s_or_b64 exec, exec, s[2:3]
	v_cmp_gt_u32_e32 vcc, s6, v10
	s_and_saveexec_b64 s[0:1], vcc
	s_cbranch_execnz .LBB3123_9
	s_branch .LBB3123_10
.LBB3123_48:
	ds_read_b32 v0, v11
	s_waitcnt lgkmcnt(0)
	global_store_dword v[2:3], v0, off
	s_or_b64 exec, exec, s[0:1]
	v_cmp_gt_u32_e32 vcc, s2, v10
	s_and_saveexec_b64 s[0:1], vcc
	s_cbranch_execz .LBB3123_36
.LBB3123_49:
	s_waitcnt lgkmcnt(6)
	global_store_dword v[2:3], v21, off offset:512
	s_or_b64 exec, exec, s[0:1]
	v_cmp_gt_u32_e32 vcc, s2, v9
	s_and_saveexec_b64 s[0:1], vcc
	s_cbranch_execz .LBB3123_37
.LBB3123_50:
	s_waitcnt lgkmcnt(5)
	global_store_dword v[2:3], v20, off offset:1024
	s_or_b64 exec, exec, s[0:1]
	v_cmp_gt_u32_e32 vcc, s2, v8
	s_and_saveexec_b64 s[0:1], vcc
	s_cbranch_execz .LBB3123_38
.LBB3123_51:
	s_waitcnt lgkmcnt(4)
	global_store_dword v[2:3], v19, off offset:1536
	s_or_b64 exec, exec, s[0:1]
	v_cmp_gt_u32_e32 vcc, s2, v7
	s_and_saveexec_b64 s[0:1], vcc
	s_cbranch_execz .LBB3123_39
.LBB3123_52:
	s_waitcnt lgkmcnt(3)
	global_store_dword v[2:3], v14, off offset:2048
	s_or_b64 exec, exec, s[0:1]
	v_cmp_gt_u32_e32 vcc, s2, v6
	s_and_saveexec_b64 s[0:1], vcc
	s_cbranch_execz .LBB3123_40
.LBB3123_53:
	s_waitcnt lgkmcnt(2)
	global_store_dword v[2:3], v13, off offset:2560
	s_or_b64 exec, exec, s[0:1]
	v_cmp_gt_u32_e32 vcc, s2, v5
	s_and_saveexec_b64 s[0:1], vcc
	s_cbranch_execnz .LBB3123_41
	s_branch .LBB3123_42
	.section	.rodata,"a",@progbits
	.p2align	6, 0x0
	.amdhsa_kernel _ZN7rocprim17ROCPRIM_400000_NS6detail17trampoline_kernelINS0_14default_configENS1_38merge_sort_block_merge_config_selectorIiNS0_10empty_typeEEEZZNS1_27merge_sort_block_merge_implIS3_N6thrust23THRUST_200600_302600_NS6detail15normal_iteratorINS9_10device_ptrIiEEEEPS5_m14custom_greaterIiEEE10hipError_tT0_T1_T2_jT3_P12ihipStream_tbPNSt15iterator_traitsISJ_E10value_typeEPNSP_ISK_E10value_typeEPSL_NS1_7vsmem_tEENKUlT_SJ_SK_SL_E_clISE_PiSF_SF_EESI_SY_SJ_SK_SL_EUlSY_E0_NS1_11comp_targetILNS1_3genE4ELNS1_11target_archE910ELNS1_3gpuE8ELNS1_3repE0EEENS1_38merge_mergepath_config_static_selectorELNS0_4arch9wavefront6targetE1EEEvSK_
		.amdhsa_group_segment_fixed_size 4224
		.amdhsa_private_segment_fixed_size 0
		.amdhsa_kernarg_size 328
		.amdhsa_user_sgpr_count 6
		.amdhsa_user_sgpr_private_segment_buffer 1
		.amdhsa_user_sgpr_dispatch_ptr 0
		.amdhsa_user_sgpr_queue_ptr 0
		.amdhsa_user_sgpr_kernarg_segment_ptr 1
		.amdhsa_user_sgpr_dispatch_id 0
		.amdhsa_user_sgpr_flat_scratch_init 0
		.amdhsa_user_sgpr_kernarg_preload_length 0
		.amdhsa_user_sgpr_kernarg_preload_offset 0
		.amdhsa_user_sgpr_private_segment_size 0
		.amdhsa_uses_dynamic_stack 0
		.amdhsa_system_sgpr_private_segment_wavefront_offset 0
		.amdhsa_system_sgpr_workgroup_id_x 1
		.amdhsa_system_sgpr_workgroup_id_y 1
		.amdhsa_system_sgpr_workgroup_id_z 1
		.amdhsa_system_sgpr_workgroup_info 0
		.amdhsa_system_vgpr_workitem_id 0
		.amdhsa_next_free_vgpr 26
		.amdhsa_next_free_sgpr 31
		.amdhsa_accum_offset 28
		.amdhsa_reserve_vcc 1
		.amdhsa_reserve_flat_scratch 0
		.amdhsa_float_round_mode_32 0
		.amdhsa_float_round_mode_16_64 0
		.amdhsa_float_denorm_mode_32 3
		.amdhsa_float_denorm_mode_16_64 3
		.amdhsa_dx10_clamp 1
		.amdhsa_ieee_mode 1
		.amdhsa_fp16_overflow 0
		.amdhsa_tg_split 0
		.amdhsa_exception_fp_ieee_invalid_op 0
		.amdhsa_exception_fp_denorm_src 0
		.amdhsa_exception_fp_ieee_div_zero 0
		.amdhsa_exception_fp_ieee_overflow 0
		.amdhsa_exception_fp_ieee_underflow 0
		.amdhsa_exception_fp_ieee_inexact 0
		.amdhsa_exception_int_div_zero 0
	.end_amdhsa_kernel
	.section	.text._ZN7rocprim17ROCPRIM_400000_NS6detail17trampoline_kernelINS0_14default_configENS1_38merge_sort_block_merge_config_selectorIiNS0_10empty_typeEEEZZNS1_27merge_sort_block_merge_implIS3_N6thrust23THRUST_200600_302600_NS6detail15normal_iteratorINS9_10device_ptrIiEEEEPS5_m14custom_greaterIiEEE10hipError_tT0_T1_T2_jT3_P12ihipStream_tbPNSt15iterator_traitsISJ_E10value_typeEPNSP_ISK_E10value_typeEPSL_NS1_7vsmem_tEENKUlT_SJ_SK_SL_E_clISE_PiSF_SF_EESI_SY_SJ_SK_SL_EUlSY_E0_NS1_11comp_targetILNS1_3genE4ELNS1_11target_archE910ELNS1_3gpuE8ELNS1_3repE0EEENS1_38merge_mergepath_config_static_selectorELNS0_4arch9wavefront6targetE1EEEvSK_,"axG",@progbits,_ZN7rocprim17ROCPRIM_400000_NS6detail17trampoline_kernelINS0_14default_configENS1_38merge_sort_block_merge_config_selectorIiNS0_10empty_typeEEEZZNS1_27merge_sort_block_merge_implIS3_N6thrust23THRUST_200600_302600_NS6detail15normal_iteratorINS9_10device_ptrIiEEEEPS5_m14custom_greaterIiEEE10hipError_tT0_T1_T2_jT3_P12ihipStream_tbPNSt15iterator_traitsISJ_E10value_typeEPNSP_ISK_E10value_typeEPSL_NS1_7vsmem_tEENKUlT_SJ_SK_SL_E_clISE_PiSF_SF_EESI_SY_SJ_SK_SL_EUlSY_E0_NS1_11comp_targetILNS1_3genE4ELNS1_11target_archE910ELNS1_3gpuE8ELNS1_3repE0EEENS1_38merge_mergepath_config_static_selectorELNS0_4arch9wavefront6targetE1EEEvSK_,comdat
.Lfunc_end3123:
	.size	_ZN7rocprim17ROCPRIM_400000_NS6detail17trampoline_kernelINS0_14default_configENS1_38merge_sort_block_merge_config_selectorIiNS0_10empty_typeEEEZZNS1_27merge_sort_block_merge_implIS3_N6thrust23THRUST_200600_302600_NS6detail15normal_iteratorINS9_10device_ptrIiEEEEPS5_m14custom_greaterIiEEE10hipError_tT0_T1_T2_jT3_P12ihipStream_tbPNSt15iterator_traitsISJ_E10value_typeEPNSP_ISK_E10value_typeEPSL_NS1_7vsmem_tEENKUlT_SJ_SK_SL_E_clISE_PiSF_SF_EESI_SY_SJ_SK_SL_EUlSY_E0_NS1_11comp_targetILNS1_3genE4ELNS1_11target_archE910ELNS1_3gpuE8ELNS1_3repE0EEENS1_38merge_mergepath_config_static_selectorELNS0_4arch9wavefront6targetE1EEEvSK_, .Lfunc_end3123-_ZN7rocprim17ROCPRIM_400000_NS6detail17trampoline_kernelINS0_14default_configENS1_38merge_sort_block_merge_config_selectorIiNS0_10empty_typeEEEZZNS1_27merge_sort_block_merge_implIS3_N6thrust23THRUST_200600_302600_NS6detail15normal_iteratorINS9_10device_ptrIiEEEEPS5_m14custom_greaterIiEEE10hipError_tT0_T1_T2_jT3_P12ihipStream_tbPNSt15iterator_traitsISJ_E10value_typeEPNSP_ISK_E10value_typeEPSL_NS1_7vsmem_tEENKUlT_SJ_SK_SL_E_clISE_PiSF_SF_EESI_SY_SJ_SK_SL_EUlSY_E0_NS1_11comp_targetILNS1_3genE4ELNS1_11target_archE910ELNS1_3gpuE8ELNS1_3repE0EEENS1_38merge_mergepath_config_static_selectorELNS0_4arch9wavefront6targetE1EEEvSK_
                                        ; -- End function
	.section	.AMDGPU.csdata,"",@progbits
; Kernel info:
; codeLenInByte = 3648
; NumSgprs: 35
; NumVgprs: 26
; NumAgprs: 0
; TotalNumVgprs: 26
; ScratchSize: 0
; MemoryBound: 0
; FloatMode: 240
; IeeeMode: 1
; LDSByteSize: 4224 bytes/workgroup (compile time only)
; SGPRBlocks: 4
; VGPRBlocks: 3
; NumSGPRsForWavesPerEU: 35
; NumVGPRsForWavesPerEU: 26
; AccumOffset: 28
; Occupancy: 8
; WaveLimiterHint : 1
; COMPUTE_PGM_RSRC2:SCRATCH_EN: 0
; COMPUTE_PGM_RSRC2:USER_SGPR: 6
; COMPUTE_PGM_RSRC2:TRAP_HANDLER: 0
; COMPUTE_PGM_RSRC2:TGID_X_EN: 1
; COMPUTE_PGM_RSRC2:TGID_Y_EN: 1
; COMPUTE_PGM_RSRC2:TGID_Z_EN: 1
; COMPUTE_PGM_RSRC2:TIDIG_COMP_CNT: 0
; COMPUTE_PGM_RSRC3_GFX90A:ACCUM_OFFSET: 6
; COMPUTE_PGM_RSRC3_GFX90A:TG_SPLIT: 0
	.section	.text._ZN7rocprim17ROCPRIM_400000_NS6detail17trampoline_kernelINS0_14default_configENS1_38merge_sort_block_merge_config_selectorIiNS0_10empty_typeEEEZZNS1_27merge_sort_block_merge_implIS3_N6thrust23THRUST_200600_302600_NS6detail15normal_iteratorINS9_10device_ptrIiEEEEPS5_m14custom_greaterIiEEE10hipError_tT0_T1_T2_jT3_P12ihipStream_tbPNSt15iterator_traitsISJ_E10value_typeEPNSP_ISK_E10value_typeEPSL_NS1_7vsmem_tEENKUlT_SJ_SK_SL_E_clISE_PiSF_SF_EESI_SY_SJ_SK_SL_EUlSY_E0_NS1_11comp_targetILNS1_3genE3ELNS1_11target_archE908ELNS1_3gpuE7ELNS1_3repE0EEENS1_38merge_mergepath_config_static_selectorELNS0_4arch9wavefront6targetE1EEEvSK_,"axG",@progbits,_ZN7rocprim17ROCPRIM_400000_NS6detail17trampoline_kernelINS0_14default_configENS1_38merge_sort_block_merge_config_selectorIiNS0_10empty_typeEEEZZNS1_27merge_sort_block_merge_implIS3_N6thrust23THRUST_200600_302600_NS6detail15normal_iteratorINS9_10device_ptrIiEEEEPS5_m14custom_greaterIiEEE10hipError_tT0_T1_T2_jT3_P12ihipStream_tbPNSt15iterator_traitsISJ_E10value_typeEPNSP_ISK_E10value_typeEPSL_NS1_7vsmem_tEENKUlT_SJ_SK_SL_E_clISE_PiSF_SF_EESI_SY_SJ_SK_SL_EUlSY_E0_NS1_11comp_targetILNS1_3genE3ELNS1_11target_archE908ELNS1_3gpuE7ELNS1_3repE0EEENS1_38merge_mergepath_config_static_selectorELNS0_4arch9wavefront6targetE1EEEvSK_,comdat
	.protected	_ZN7rocprim17ROCPRIM_400000_NS6detail17trampoline_kernelINS0_14default_configENS1_38merge_sort_block_merge_config_selectorIiNS0_10empty_typeEEEZZNS1_27merge_sort_block_merge_implIS3_N6thrust23THRUST_200600_302600_NS6detail15normal_iteratorINS9_10device_ptrIiEEEEPS5_m14custom_greaterIiEEE10hipError_tT0_T1_T2_jT3_P12ihipStream_tbPNSt15iterator_traitsISJ_E10value_typeEPNSP_ISK_E10value_typeEPSL_NS1_7vsmem_tEENKUlT_SJ_SK_SL_E_clISE_PiSF_SF_EESI_SY_SJ_SK_SL_EUlSY_E0_NS1_11comp_targetILNS1_3genE3ELNS1_11target_archE908ELNS1_3gpuE7ELNS1_3repE0EEENS1_38merge_mergepath_config_static_selectorELNS0_4arch9wavefront6targetE1EEEvSK_ ; -- Begin function _ZN7rocprim17ROCPRIM_400000_NS6detail17trampoline_kernelINS0_14default_configENS1_38merge_sort_block_merge_config_selectorIiNS0_10empty_typeEEEZZNS1_27merge_sort_block_merge_implIS3_N6thrust23THRUST_200600_302600_NS6detail15normal_iteratorINS9_10device_ptrIiEEEEPS5_m14custom_greaterIiEEE10hipError_tT0_T1_T2_jT3_P12ihipStream_tbPNSt15iterator_traitsISJ_E10value_typeEPNSP_ISK_E10value_typeEPSL_NS1_7vsmem_tEENKUlT_SJ_SK_SL_E_clISE_PiSF_SF_EESI_SY_SJ_SK_SL_EUlSY_E0_NS1_11comp_targetILNS1_3genE3ELNS1_11target_archE908ELNS1_3gpuE7ELNS1_3repE0EEENS1_38merge_mergepath_config_static_selectorELNS0_4arch9wavefront6targetE1EEEvSK_
	.globl	_ZN7rocprim17ROCPRIM_400000_NS6detail17trampoline_kernelINS0_14default_configENS1_38merge_sort_block_merge_config_selectorIiNS0_10empty_typeEEEZZNS1_27merge_sort_block_merge_implIS3_N6thrust23THRUST_200600_302600_NS6detail15normal_iteratorINS9_10device_ptrIiEEEEPS5_m14custom_greaterIiEEE10hipError_tT0_T1_T2_jT3_P12ihipStream_tbPNSt15iterator_traitsISJ_E10value_typeEPNSP_ISK_E10value_typeEPSL_NS1_7vsmem_tEENKUlT_SJ_SK_SL_E_clISE_PiSF_SF_EESI_SY_SJ_SK_SL_EUlSY_E0_NS1_11comp_targetILNS1_3genE3ELNS1_11target_archE908ELNS1_3gpuE7ELNS1_3repE0EEENS1_38merge_mergepath_config_static_selectorELNS0_4arch9wavefront6targetE1EEEvSK_
	.p2align	8
	.type	_ZN7rocprim17ROCPRIM_400000_NS6detail17trampoline_kernelINS0_14default_configENS1_38merge_sort_block_merge_config_selectorIiNS0_10empty_typeEEEZZNS1_27merge_sort_block_merge_implIS3_N6thrust23THRUST_200600_302600_NS6detail15normal_iteratorINS9_10device_ptrIiEEEEPS5_m14custom_greaterIiEEE10hipError_tT0_T1_T2_jT3_P12ihipStream_tbPNSt15iterator_traitsISJ_E10value_typeEPNSP_ISK_E10value_typeEPSL_NS1_7vsmem_tEENKUlT_SJ_SK_SL_E_clISE_PiSF_SF_EESI_SY_SJ_SK_SL_EUlSY_E0_NS1_11comp_targetILNS1_3genE3ELNS1_11target_archE908ELNS1_3gpuE7ELNS1_3repE0EEENS1_38merge_mergepath_config_static_selectorELNS0_4arch9wavefront6targetE1EEEvSK_,@function
_ZN7rocprim17ROCPRIM_400000_NS6detail17trampoline_kernelINS0_14default_configENS1_38merge_sort_block_merge_config_selectorIiNS0_10empty_typeEEEZZNS1_27merge_sort_block_merge_implIS3_N6thrust23THRUST_200600_302600_NS6detail15normal_iteratorINS9_10device_ptrIiEEEEPS5_m14custom_greaterIiEEE10hipError_tT0_T1_T2_jT3_P12ihipStream_tbPNSt15iterator_traitsISJ_E10value_typeEPNSP_ISK_E10value_typeEPSL_NS1_7vsmem_tEENKUlT_SJ_SK_SL_E_clISE_PiSF_SF_EESI_SY_SJ_SK_SL_EUlSY_E0_NS1_11comp_targetILNS1_3genE3ELNS1_11target_archE908ELNS1_3gpuE7ELNS1_3repE0EEENS1_38merge_mergepath_config_static_selectorELNS0_4arch9wavefront6targetE1EEEvSK_: ; @_ZN7rocprim17ROCPRIM_400000_NS6detail17trampoline_kernelINS0_14default_configENS1_38merge_sort_block_merge_config_selectorIiNS0_10empty_typeEEEZZNS1_27merge_sort_block_merge_implIS3_N6thrust23THRUST_200600_302600_NS6detail15normal_iteratorINS9_10device_ptrIiEEEEPS5_m14custom_greaterIiEEE10hipError_tT0_T1_T2_jT3_P12ihipStream_tbPNSt15iterator_traitsISJ_E10value_typeEPNSP_ISK_E10value_typeEPSL_NS1_7vsmem_tEENKUlT_SJ_SK_SL_E_clISE_PiSF_SF_EESI_SY_SJ_SK_SL_EUlSY_E0_NS1_11comp_targetILNS1_3genE3ELNS1_11target_archE908ELNS1_3gpuE7ELNS1_3repE0EEENS1_38merge_mergepath_config_static_selectorELNS0_4arch9wavefront6targetE1EEEvSK_
; %bb.0:
	.section	.rodata,"a",@progbits
	.p2align	6, 0x0
	.amdhsa_kernel _ZN7rocprim17ROCPRIM_400000_NS6detail17trampoline_kernelINS0_14default_configENS1_38merge_sort_block_merge_config_selectorIiNS0_10empty_typeEEEZZNS1_27merge_sort_block_merge_implIS3_N6thrust23THRUST_200600_302600_NS6detail15normal_iteratorINS9_10device_ptrIiEEEEPS5_m14custom_greaterIiEEE10hipError_tT0_T1_T2_jT3_P12ihipStream_tbPNSt15iterator_traitsISJ_E10value_typeEPNSP_ISK_E10value_typeEPSL_NS1_7vsmem_tEENKUlT_SJ_SK_SL_E_clISE_PiSF_SF_EESI_SY_SJ_SK_SL_EUlSY_E0_NS1_11comp_targetILNS1_3genE3ELNS1_11target_archE908ELNS1_3gpuE7ELNS1_3repE0EEENS1_38merge_mergepath_config_static_selectorELNS0_4arch9wavefront6targetE1EEEvSK_
		.amdhsa_group_segment_fixed_size 0
		.amdhsa_private_segment_fixed_size 0
		.amdhsa_kernarg_size 72
		.amdhsa_user_sgpr_count 6
		.amdhsa_user_sgpr_private_segment_buffer 1
		.amdhsa_user_sgpr_dispatch_ptr 0
		.amdhsa_user_sgpr_queue_ptr 0
		.amdhsa_user_sgpr_kernarg_segment_ptr 1
		.amdhsa_user_sgpr_dispatch_id 0
		.amdhsa_user_sgpr_flat_scratch_init 0
		.amdhsa_user_sgpr_kernarg_preload_length 0
		.amdhsa_user_sgpr_kernarg_preload_offset 0
		.amdhsa_user_sgpr_private_segment_size 0
		.amdhsa_uses_dynamic_stack 0
		.amdhsa_system_sgpr_private_segment_wavefront_offset 0
		.amdhsa_system_sgpr_workgroup_id_x 1
		.amdhsa_system_sgpr_workgroup_id_y 0
		.amdhsa_system_sgpr_workgroup_id_z 0
		.amdhsa_system_sgpr_workgroup_info 0
		.amdhsa_system_vgpr_workitem_id 0
		.amdhsa_next_free_vgpr 1
		.amdhsa_next_free_sgpr 0
		.amdhsa_accum_offset 4
		.amdhsa_reserve_vcc 0
		.amdhsa_reserve_flat_scratch 0
		.amdhsa_float_round_mode_32 0
		.amdhsa_float_round_mode_16_64 0
		.amdhsa_float_denorm_mode_32 3
		.amdhsa_float_denorm_mode_16_64 3
		.amdhsa_dx10_clamp 1
		.amdhsa_ieee_mode 1
		.amdhsa_fp16_overflow 0
		.amdhsa_tg_split 0
		.amdhsa_exception_fp_ieee_invalid_op 0
		.amdhsa_exception_fp_denorm_src 0
		.amdhsa_exception_fp_ieee_div_zero 0
		.amdhsa_exception_fp_ieee_overflow 0
		.amdhsa_exception_fp_ieee_underflow 0
		.amdhsa_exception_fp_ieee_inexact 0
		.amdhsa_exception_int_div_zero 0
	.end_amdhsa_kernel
	.section	.text._ZN7rocprim17ROCPRIM_400000_NS6detail17trampoline_kernelINS0_14default_configENS1_38merge_sort_block_merge_config_selectorIiNS0_10empty_typeEEEZZNS1_27merge_sort_block_merge_implIS3_N6thrust23THRUST_200600_302600_NS6detail15normal_iteratorINS9_10device_ptrIiEEEEPS5_m14custom_greaterIiEEE10hipError_tT0_T1_T2_jT3_P12ihipStream_tbPNSt15iterator_traitsISJ_E10value_typeEPNSP_ISK_E10value_typeEPSL_NS1_7vsmem_tEENKUlT_SJ_SK_SL_E_clISE_PiSF_SF_EESI_SY_SJ_SK_SL_EUlSY_E0_NS1_11comp_targetILNS1_3genE3ELNS1_11target_archE908ELNS1_3gpuE7ELNS1_3repE0EEENS1_38merge_mergepath_config_static_selectorELNS0_4arch9wavefront6targetE1EEEvSK_,"axG",@progbits,_ZN7rocprim17ROCPRIM_400000_NS6detail17trampoline_kernelINS0_14default_configENS1_38merge_sort_block_merge_config_selectorIiNS0_10empty_typeEEEZZNS1_27merge_sort_block_merge_implIS3_N6thrust23THRUST_200600_302600_NS6detail15normal_iteratorINS9_10device_ptrIiEEEEPS5_m14custom_greaterIiEEE10hipError_tT0_T1_T2_jT3_P12ihipStream_tbPNSt15iterator_traitsISJ_E10value_typeEPNSP_ISK_E10value_typeEPSL_NS1_7vsmem_tEENKUlT_SJ_SK_SL_E_clISE_PiSF_SF_EESI_SY_SJ_SK_SL_EUlSY_E0_NS1_11comp_targetILNS1_3genE3ELNS1_11target_archE908ELNS1_3gpuE7ELNS1_3repE0EEENS1_38merge_mergepath_config_static_selectorELNS0_4arch9wavefront6targetE1EEEvSK_,comdat
.Lfunc_end3124:
	.size	_ZN7rocprim17ROCPRIM_400000_NS6detail17trampoline_kernelINS0_14default_configENS1_38merge_sort_block_merge_config_selectorIiNS0_10empty_typeEEEZZNS1_27merge_sort_block_merge_implIS3_N6thrust23THRUST_200600_302600_NS6detail15normal_iteratorINS9_10device_ptrIiEEEEPS5_m14custom_greaterIiEEE10hipError_tT0_T1_T2_jT3_P12ihipStream_tbPNSt15iterator_traitsISJ_E10value_typeEPNSP_ISK_E10value_typeEPSL_NS1_7vsmem_tEENKUlT_SJ_SK_SL_E_clISE_PiSF_SF_EESI_SY_SJ_SK_SL_EUlSY_E0_NS1_11comp_targetILNS1_3genE3ELNS1_11target_archE908ELNS1_3gpuE7ELNS1_3repE0EEENS1_38merge_mergepath_config_static_selectorELNS0_4arch9wavefront6targetE1EEEvSK_, .Lfunc_end3124-_ZN7rocprim17ROCPRIM_400000_NS6detail17trampoline_kernelINS0_14default_configENS1_38merge_sort_block_merge_config_selectorIiNS0_10empty_typeEEEZZNS1_27merge_sort_block_merge_implIS3_N6thrust23THRUST_200600_302600_NS6detail15normal_iteratorINS9_10device_ptrIiEEEEPS5_m14custom_greaterIiEEE10hipError_tT0_T1_T2_jT3_P12ihipStream_tbPNSt15iterator_traitsISJ_E10value_typeEPNSP_ISK_E10value_typeEPSL_NS1_7vsmem_tEENKUlT_SJ_SK_SL_E_clISE_PiSF_SF_EESI_SY_SJ_SK_SL_EUlSY_E0_NS1_11comp_targetILNS1_3genE3ELNS1_11target_archE908ELNS1_3gpuE7ELNS1_3repE0EEENS1_38merge_mergepath_config_static_selectorELNS0_4arch9wavefront6targetE1EEEvSK_
                                        ; -- End function
	.section	.AMDGPU.csdata,"",@progbits
; Kernel info:
; codeLenInByte = 0
; NumSgprs: 4
; NumVgprs: 0
; NumAgprs: 0
; TotalNumVgprs: 0
; ScratchSize: 0
; MemoryBound: 0
; FloatMode: 240
; IeeeMode: 1
; LDSByteSize: 0 bytes/workgroup (compile time only)
; SGPRBlocks: 0
; VGPRBlocks: 0
; NumSGPRsForWavesPerEU: 4
; NumVGPRsForWavesPerEU: 1
; AccumOffset: 4
; Occupancy: 8
; WaveLimiterHint : 0
; COMPUTE_PGM_RSRC2:SCRATCH_EN: 0
; COMPUTE_PGM_RSRC2:USER_SGPR: 6
; COMPUTE_PGM_RSRC2:TRAP_HANDLER: 0
; COMPUTE_PGM_RSRC2:TGID_X_EN: 1
; COMPUTE_PGM_RSRC2:TGID_Y_EN: 0
; COMPUTE_PGM_RSRC2:TGID_Z_EN: 0
; COMPUTE_PGM_RSRC2:TIDIG_COMP_CNT: 0
; COMPUTE_PGM_RSRC3_GFX90A:ACCUM_OFFSET: 0
; COMPUTE_PGM_RSRC3_GFX90A:TG_SPLIT: 0
	.section	.text._ZN7rocprim17ROCPRIM_400000_NS6detail17trampoline_kernelINS0_14default_configENS1_38merge_sort_block_merge_config_selectorIiNS0_10empty_typeEEEZZNS1_27merge_sort_block_merge_implIS3_N6thrust23THRUST_200600_302600_NS6detail15normal_iteratorINS9_10device_ptrIiEEEEPS5_m14custom_greaterIiEEE10hipError_tT0_T1_T2_jT3_P12ihipStream_tbPNSt15iterator_traitsISJ_E10value_typeEPNSP_ISK_E10value_typeEPSL_NS1_7vsmem_tEENKUlT_SJ_SK_SL_E_clISE_PiSF_SF_EESI_SY_SJ_SK_SL_EUlSY_E0_NS1_11comp_targetILNS1_3genE2ELNS1_11target_archE906ELNS1_3gpuE6ELNS1_3repE0EEENS1_38merge_mergepath_config_static_selectorELNS0_4arch9wavefront6targetE1EEEvSK_,"axG",@progbits,_ZN7rocprim17ROCPRIM_400000_NS6detail17trampoline_kernelINS0_14default_configENS1_38merge_sort_block_merge_config_selectorIiNS0_10empty_typeEEEZZNS1_27merge_sort_block_merge_implIS3_N6thrust23THRUST_200600_302600_NS6detail15normal_iteratorINS9_10device_ptrIiEEEEPS5_m14custom_greaterIiEEE10hipError_tT0_T1_T2_jT3_P12ihipStream_tbPNSt15iterator_traitsISJ_E10value_typeEPNSP_ISK_E10value_typeEPSL_NS1_7vsmem_tEENKUlT_SJ_SK_SL_E_clISE_PiSF_SF_EESI_SY_SJ_SK_SL_EUlSY_E0_NS1_11comp_targetILNS1_3genE2ELNS1_11target_archE906ELNS1_3gpuE6ELNS1_3repE0EEENS1_38merge_mergepath_config_static_selectorELNS0_4arch9wavefront6targetE1EEEvSK_,comdat
	.protected	_ZN7rocprim17ROCPRIM_400000_NS6detail17trampoline_kernelINS0_14default_configENS1_38merge_sort_block_merge_config_selectorIiNS0_10empty_typeEEEZZNS1_27merge_sort_block_merge_implIS3_N6thrust23THRUST_200600_302600_NS6detail15normal_iteratorINS9_10device_ptrIiEEEEPS5_m14custom_greaterIiEEE10hipError_tT0_T1_T2_jT3_P12ihipStream_tbPNSt15iterator_traitsISJ_E10value_typeEPNSP_ISK_E10value_typeEPSL_NS1_7vsmem_tEENKUlT_SJ_SK_SL_E_clISE_PiSF_SF_EESI_SY_SJ_SK_SL_EUlSY_E0_NS1_11comp_targetILNS1_3genE2ELNS1_11target_archE906ELNS1_3gpuE6ELNS1_3repE0EEENS1_38merge_mergepath_config_static_selectorELNS0_4arch9wavefront6targetE1EEEvSK_ ; -- Begin function _ZN7rocprim17ROCPRIM_400000_NS6detail17trampoline_kernelINS0_14default_configENS1_38merge_sort_block_merge_config_selectorIiNS0_10empty_typeEEEZZNS1_27merge_sort_block_merge_implIS3_N6thrust23THRUST_200600_302600_NS6detail15normal_iteratorINS9_10device_ptrIiEEEEPS5_m14custom_greaterIiEEE10hipError_tT0_T1_T2_jT3_P12ihipStream_tbPNSt15iterator_traitsISJ_E10value_typeEPNSP_ISK_E10value_typeEPSL_NS1_7vsmem_tEENKUlT_SJ_SK_SL_E_clISE_PiSF_SF_EESI_SY_SJ_SK_SL_EUlSY_E0_NS1_11comp_targetILNS1_3genE2ELNS1_11target_archE906ELNS1_3gpuE6ELNS1_3repE0EEENS1_38merge_mergepath_config_static_selectorELNS0_4arch9wavefront6targetE1EEEvSK_
	.globl	_ZN7rocprim17ROCPRIM_400000_NS6detail17trampoline_kernelINS0_14default_configENS1_38merge_sort_block_merge_config_selectorIiNS0_10empty_typeEEEZZNS1_27merge_sort_block_merge_implIS3_N6thrust23THRUST_200600_302600_NS6detail15normal_iteratorINS9_10device_ptrIiEEEEPS5_m14custom_greaterIiEEE10hipError_tT0_T1_T2_jT3_P12ihipStream_tbPNSt15iterator_traitsISJ_E10value_typeEPNSP_ISK_E10value_typeEPSL_NS1_7vsmem_tEENKUlT_SJ_SK_SL_E_clISE_PiSF_SF_EESI_SY_SJ_SK_SL_EUlSY_E0_NS1_11comp_targetILNS1_3genE2ELNS1_11target_archE906ELNS1_3gpuE6ELNS1_3repE0EEENS1_38merge_mergepath_config_static_selectorELNS0_4arch9wavefront6targetE1EEEvSK_
	.p2align	8
	.type	_ZN7rocprim17ROCPRIM_400000_NS6detail17trampoline_kernelINS0_14default_configENS1_38merge_sort_block_merge_config_selectorIiNS0_10empty_typeEEEZZNS1_27merge_sort_block_merge_implIS3_N6thrust23THRUST_200600_302600_NS6detail15normal_iteratorINS9_10device_ptrIiEEEEPS5_m14custom_greaterIiEEE10hipError_tT0_T1_T2_jT3_P12ihipStream_tbPNSt15iterator_traitsISJ_E10value_typeEPNSP_ISK_E10value_typeEPSL_NS1_7vsmem_tEENKUlT_SJ_SK_SL_E_clISE_PiSF_SF_EESI_SY_SJ_SK_SL_EUlSY_E0_NS1_11comp_targetILNS1_3genE2ELNS1_11target_archE906ELNS1_3gpuE6ELNS1_3repE0EEENS1_38merge_mergepath_config_static_selectorELNS0_4arch9wavefront6targetE1EEEvSK_,@function
_ZN7rocprim17ROCPRIM_400000_NS6detail17trampoline_kernelINS0_14default_configENS1_38merge_sort_block_merge_config_selectorIiNS0_10empty_typeEEEZZNS1_27merge_sort_block_merge_implIS3_N6thrust23THRUST_200600_302600_NS6detail15normal_iteratorINS9_10device_ptrIiEEEEPS5_m14custom_greaterIiEEE10hipError_tT0_T1_T2_jT3_P12ihipStream_tbPNSt15iterator_traitsISJ_E10value_typeEPNSP_ISK_E10value_typeEPSL_NS1_7vsmem_tEENKUlT_SJ_SK_SL_E_clISE_PiSF_SF_EESI_SY_SJ_SK_SL_EUlSY_E0_NS1_11comp_targetILNS1_3genE2ELNS1_11target_archE906ELNS1_3gpuE6ELNS1_3repE0EEENS1_38merge_mergepath_config_static_selectorELNS0_4arch9wavefront6targetE1EEEvSK_: ; @_ZN7rocprim17ROCPRIM_400000_NS6detail17trampoline_kernelINS0_14default_configENS1_38merge_sort_block_merge_config_selectorIiNS0_10empty_typeEEEZZNS1_27merge_sort_block_merge_implIS3_N6thrust23THRUST_200600_302600_NS6detail15normal_iteratorINS9_10device_ptrIiEEEEPS5_m14custom_greaterIiEEE10hipError_tT0_T1_T2_jT3_P12ihipStream_tbPNSt15iterator_traitsISJ_E10value_typeEPNSP_ISK_E10value_typeEPSL_NS1_7vsmem_tEENKUlT_SJ_SK_SL_E_clISE_PiSF_SF_EESI_SY_SJ_SK_SL_EUlSY_E0_NS1_11comp_targetILNS1_3genE2ELNS1_11target_archE906ELNS1_3gpuE6ELNS1_3repE0EEENS1_38merge_mergepath_config_static_selectorELNS0_4arch9wavefront6targetE1EEEvSK_
; %bb.0:
	.section	.rodata,"a",@progbits
	.p2align	6, 0x0
	.amdhsa_kernel _ZN7rocprim17ROCPRIM_400000_NS6detail17trampoline_kernelINS0_14default_configENS1_38merge_sort_block_merge_config_selectorIiNS0_10empty_typeEEEZZNS1_27merge_sort_block_merge_implIS3_N6thrust23THRUST_200600_302600_NS6detail15normal_iteratorINS9_10device_ptrIiEEEEPS5_m14custom_greaterIiEEE10hipError_tT0_T1_T2_jT3_P12ihipStream_tbPNSt15iterator_traitsISJ_E10value_typeEPNSP_ISK_E10value_typeEPSL_NS1_7vsmem_tEENKUlT_SJ_SK_SL_E_clISE_PiSF_SF_EESI_SY_SJ_SK_SL_EUlSY_E0_NS1_11comp_targetILNS1_3genE2ELNS1_11target_archE906ELNS1_3gpuE6ELNS1_3repE0EEENS1_38merge_mergepath_config_static_selectorELNS0_4arch9wavefront6targetE1EEEvSK_
		.amdhsa_group_segment_fixed_size 0
		.amdhsa_private_segment_fixed_size 0
		.amdhsa_kernarg_size 72
		.amdhsa_user_sgpr_count 6
		.amdhsa_user_sgpr_private_segment_buffer 1
		.amdhsa_user_sgpr_dispatch_ptr 0
		.amdhsa_user_sgpr_queue_ptr 0
		.amdhsa_user_sgpr_kernarg_segment_ptr 1
		.amdhsa_user_sgpr_dispatch_id 0
		.amdhsa_user_sgpr_flat_scratch_init 0
		.amdhsa_user_sgpr_kernarg_preload_length 0
		.amdhsa_user_sgpr_kernarg_preload_offset 0
		.amdhsa_user_sgpr_private_segment_size 0
		.amdhsa_uses_dynamic_stack 0
		.amdhsa_system_sgpr_private_segment_wavefront_offset 0
		.amdhsa_system_sgpr_workgroup_id_x 1
		.amdhsa_system_sgpr_workgroup_id_y 0
		.amdhsa_system_sgpr_workgroup_id_z 0
		.amdhsa_system_sgpr_workgroup_info 0
		.amdhsa_system_vgpr_workitem_id 0
		.amdhsa_next_free_vgpr 1
		.amdhsa_next_free_sgpr 0
		.amdhsa_accum_offset 4
		.amdhsa_reserve_vcc 0
		.amdhsa_reserve_flat_scratch 0
		.amdhsa_float_round_mode_32 0
		.amdhsa_float_round_mode_16_64 0
		.amdhsa_float_denorm_mode_32 3
		.amdhsa_float_denorm_mode_16_64 3
		.amdhsa_dx10_clamp 1
		.amdhsa_ieee_mode 1
		.amdhsa_fp16_overflow 0
		.amdhsa_tg_split 0
		.amdhsa_exception_fp_ieee_invalid_op 0
		.amdhsa_exception_fp_denorm_src 0
		.amdhsa_exception_fp_ieee_div_zero 0
		.amdhsa_exception_fp_ieee_overflow 0
		.amdhsa_exception_fp_ieee_underflow 0
		.amdhsa_exception_fp_ieee_inexact 0
		.amdhsa_exception_int_div_zero 0
	.end_amdhsa_kernel
	.section	.text._ZN7rocprim17ROCPRIM_400000_NS6detail17trampoline_kernelINS0_14default_configENS1_38merge_sort_block_merge_config_selectorIiNS0_10empty_typeEEEZZNS1_27merge_sort_block_merge_implIS3_N6thrust23THRUST_200600_302600_NS6detail15normal_iteratorINS9_10device_ptrIiEEEEPS5_m14custom_greaterIiEEE10hipError_tT0_T1_T2_jT3_P12ihipStream_tbPNSt15iterator_traitsISJ_E10value_typeEPNSP_ISK_E10value_typeEPSL_NS1_7vsmem_tEENKUlT_SJ_SK_SL_E_clISE_PiSF_SF_EESI_SY_SJ_SK_SL_EUlSY_E0_NS1_11comp_targetILNS1_3genE2ELNS1_11target_archE906ELNS1_3gpuE6ELNS1_3repE0EEENS1_38merge_mergepath_config_static_selectorELNS0_4arch9wavefront6targetE1EEEvSK_,"axG",@progbits,_ZN7rocprim17ROCPRIM_400000_NS6detail17trampoline_kernelINS0_14default_configENS1_38merge_sort_block_merge_config_selectorIiNS0_10empty_typeEEEZZNS1_27merge_sort_block_merge_implIS3_N6thrust23THRUST_200600_302600_NS6detail15normal_iteratorINS9_10device_ptrIiEEEEPS5_m14custom_greaterIiEEE10hipError_tT0_T1_T2_jT3_P12ihipStream_tbPNSt15iterator_traitsISJ_E10value_typeEPNSP_ISK_E10value_typeEPSL_NS1_7vsmem_tEENKUlT_SJ_SK_SL_E_clISE_PiSF_SF_EESI_SY_SJ_SK_SL_EUlSY_E0_NS1_11comp_targetILNS1_3genE2ELNS1_11target_archE906ELNS1_3gpuE6ELNS1_3repE0EEENS1_38merge_mergepath_config_static_selectorELNS0_4arch9wavefront6targetE1EEEvSK_,comdat
.Lfunc_end3125:
	.size	_ZN7rocprim17ROCPRIM_400000_NS6detail17trampoline_kernelINS0_14default_configENS1_38merge_sort_block_merge_config_selectorIiNS0_10empty_typeEEEZZNS1_27merge_sort_block_merge_implIS3_N6thrust23THRUST_200600_302600_NS6detail15normal_iteratorINS9_10device_ptrIiEEEEPS5_m14custom_greaterIiEEE10hipError_tT0_T1_T2_jT3_P12ihipStream_tbPNSt15iterator_traitsISJ_E10value_typeEPNSP_ISK_E10value_typeEPSL_NS1_7vsmem_tEENKUlT_SJ_SK_SL_E_clISE_PiSF_SF_EESI_SY_SJ_SK_SL_EUlSY_E0_NS1_11comp_targetILNS1_3genE2ELNS1_11target_archE906ELNS1_3gpuE6ELNS1_3repE0EEENS1_38merge_mergepath_config_static_selectorELNS0_4arch9wavefront6targetE1EEEvSK_, .Lfunc_end3125-_ZN7rocprim17ROCPRIM_400000_NS6detail17trampoline_kernelINS0_14default_configENS1_38merge_sort_block_merge_config_selectorIiNS0_10empty_typeEEEZZNS1_27merge_sort_block_merge_implIS3_N6thrust23THRUST_200600_302600_NS6detail15normal_iteratorINS9_10device_ptrIiEEEEPS5_m14custom_greaterIiEEE10hipError_tT0_T1_T2_jT3_P12ihipStream_tbPNSt15iterator_traitsISJ_E10value_typeEPNSP_ISK_E10value_typeEPSL_NS1_7vsmem_tEENKUlT_SJ_SK_SL_E_clISE_PiSF_SF_EESI_SY_SJ_SK_SL_EUlSY_E0_NS1_11comp_targetILNS1_3genE2ELNS1_11target_archE906ELNS1_3gpuE6ELNS1_3repE0EEENS1_38merge_mergepath_config_static_selectorELNS0_4arch9wavefront6targetE1EEEvSK_
                                        ; -- End function
	.section	.AMDGPU.csdata,"",@progbits
; Kernel info:
; codeLenInByte = 0
; NumSgprs: 4
; NumVgprs: 0
; NumAgprs: 0
; TotalNumVgprs: 0
; ScratchSize: 0
; MemoryBound: 0
; FloatMode: 240
; IeeeMode: 1
; LDSByteSize: 0 bytes/workgroup (compile time only)
; SGPRBlocks: 0
; VGPRBlocks: 0
; NumSGPRsForWavesPerEU: 4
; NumVGPRsForWavesPerEU: 1
; AccumOffset: 4
; Occupancy: 8
; WaveLimiterHint : 0
; COMPUTE_PGM_RSRC2:SCRATCH_EN: 0
; COMPUTE_PGM_RSRC2:USER_SGPR: 6
; COMPUTE_PGM_RSRC2:TRAP_HANDLER: 0
; COMPUTE_PGM_RSRC2:TGID_X_EN: 1
; COMPUTE_PGM_RSRC2:TGID_Y_EN: 0
; COMPUTE_PGM_RSRC2:TGID_Z_EN: 0
; COMPUTE_PGM_RSRC2:TIDIG_COMP_CNT: 0
; COMPUTE_PGM_RSRC3_GFX90A:ACCUM_OFFSET: 0
; COMPUTE_PGM_RSRC3_GFX90A:TG_SPLIT: 0
	.section	.text._ZN7rocprim17ROCPRIM_400000_NS6detail17trampoline_kernelINS0_14default_configENS1_38merge_sort_block_merge_config_selectorIiNS0_10empty_typeEEEZZNS1_27merge_sort_block_merge_implIS3_N6thrust23THRUST_200600_302600_NS6detail15normal_iteratorINS9_10device_ptrIiEEEEPS5_m14custom_greaterIiEEE10hipError_tT0_T1_T2_jT3_P12ihipStream_tbPNSt15iterator_traitsISJ_E10value_typeEPNSP_ISK_E10value_typeEPSL_NS1_7vsmem_tEENKUlT_SJ_SK_SL_E_clISE_PiSF_SF_EESI_SY_SJ_SK_SL_EUlSY_E0_NS1_11comp_targetILNS1_3genE9ELNS1_11target_archE1100ELNS1_3gpuE3ELNS1_3repE0EEENS1_38merge_mergepath_config_static_selectorELNS0_4arch9wavefront6targetE1EEEvSK_,"axG",@progbits,_ZN7rocprim17ROCPRIM_400000_NS6detail17trampoline_kernelINS0_14default_configENS1_38merge_sort_block_merge_config_selectorIiNS0_10empty_typeEEEZZNS1_27merge_sort_block_merge_implIS3_N6thrust23THRUST_200600_302600_NS6detail15normal_iteratorINS9_10device_ptrIiEEEEPS5_m14custom_greaterIiEEE10hipError_tT0_T1_T2_jT3_P12ihipStream_tbPNSt15iterator_traitsISJ_E10value_typeEPNSP_ISK_E10value_typeEPSL_NS1_7vsmem_tEENKUlT_SJ_SK_SL_E_clISE_PiSF_SF_EESI_SY_SJ_SK_SL_EUlSY_E0_NS1_11comp_targetILNS1_3genE9ELNS1_11target_archE1100ELNS1_3gpuE3ELNS1_3repE0EEENS1_38merge_mergepath_config_static_selectorELNS0_4arch9wavefront6targetE1EEEvSK_,comdat
	.protected	_ZN7rocprim17ROCPRIM_400000_NS6detail17trampoline_kernelINS0_14default_configENS1_38merge_sort_block_merge_config_selectorIiNS0_10empty_typeEEEZZNS1_27merge_sort_block_merge_implIS3_N6thrust23THRUST_200600_302600_NS6detail15normal_iteratorINS9_10device_ptrIiEEEEPS5_m14custom_greaterIiEEE10hipError_tT0_T1_T2_jT3_P12ihipStream_tbPNSt15iterator_traitsISJ_E10value_typeEPNSP_ISK_E10value_typeEPSL_NS1_7vsmem_tEENKUlT_SJ_SK_SL_E_clISE_PiSF_SF_EESI_SY_SJ_SK_SL_EUlSY_E0_NS1_11comp_targetILNS1_3genE9ELNS1_11target_archE1100ELNS1_3gpuE3ELNS1_3repE0EEENS1_38merge_mergepath_config_static_selectorELNS0_4arch9wavefront6targetE1EEEvSK_ ; -- Begin function _ZN7rocprim17ROCPRIM_400000_NS6detail17trampoline_kernelINS0_14default_configENS1_38merge_sort_block_merge_config_selectorIiNS0_10empty_typeEEEZZNS1_27merge_sort_block_merge_implIS3_N6thrust23THRUST_200600_302600_NS6detail15normal_iteratorINS9_10device_ptrIiEEEEPS5_m14custom_greaterIiEEE10hipError_tT0_T1_T2_jT3_P12ihipStream_tbPNSt15iterator_traitsISJ_E10value_typeEPNSP_ISK_E10value_typeEPSL_NS1_7vsmem_tEENKUlT_SJ_SK_SL_E_clISE_PiSF_SF_EESI_SY_SJ_SK_SL_EUlSY_E0_NS1_11comp_targetILNS1_3genE9ELNS1_11target_archE1100ELNS1_3gpuE3ELNS1_3repE0EEENS1_38merge_mergepath_config_static_selectorELNS0_4arch9wavefront6targetE1EEEvSK_
	.globl	_ZN7rocprim17ROCPRIM_400000_NS6detail17trampoline_kernelINS0_14default_configENS1_38merge_sort_block_merge_config_selectorIiNS0_10empty_typeEEEZZNS1_27merge_sort_block_merge_implIS3_N6thrust23THRUST_200600_302600_NS6detail15normal_iteratorINS9_10device_ptrIiEEEEPS5_m14custom_greaterIiEEE10hipError_tT0_T1_T2_jT3_P12ihipStream_tbPNSt15iterator_traitsISJ_E10value_typeEPNSP_ISK_E10value_typeEPSL_NS1_7vsmem_tEENKUlT_SJ_SK_SL_E_clISE_PiSF_SF_EESI_SY_SJ_SK_SL_EUlSY_E0_NS1_11comp_targetILNS1_3genE9ELNS1_11target_archE1100ELNS1_3gpuE3ELNS1_3repE0EEENS1_38merge_mergepath_config_static_selectorELNS0_4arch9wavefront6targetE1EEEvSK_
	.p2align	8
	.type	_ZN7rocprim17ROCPRIM_400000_NS6detail17trampoline_kernelINS0_14default_configENS1_38merge_sort_block_merge_config_selectorIiNS0_10empty_typeEEEZZNS1_27merge_sort_block_merge_implIS3_N6thrust23THRUST_200600_302600_NS6detail15normal_iteratorINS9_10device_ptrIiEEEEPS5_m14custom_greaterIiEEE10hipError_tT0_T1_T2_jT3_P12ihipStream_tbPNSt15iterator_traitsISJ_E10value_typeEPNSP_ISK_E10value_typeEPSL_NS1_7vsmem_tEENKUlT_SJ_SK_SL_E_clISE_PiSF_SF_EESI_SY_SJ_SK_SL_EUlSY_E0_NS1_11comp_targetILNS1_3genE9ELNS1_11target_archE1100ELNS1_3gpuE3ELNS1_3repE0EEENS1_38merge_mergepath_config_static_selectorELNS0_4arch9wavefront6targetE1EEEvSK_,@function
_ZN7rocprim17ROCPRIM_400000_NS6detail17trampoline_kernelINS0_14default_configENS1_38merge_sort_block_merge_config_selectorIiNS0_10empty_typeEEEZZNS1_27merge_sort_block_merge_implIS3_N6thrust23THRUST_200600_302600_NS6detail15normal_iteratorINS9_10device_ptrIiEEEEPS5_m14custom_greaterIiEEE10hipError_tT0_T1_T2_jT3_P12ihipStream_tbPNSt15iterator_traitsISJ_E10value_typeEPNSP_ISK_E10value_typeEPSL_NS1_7vsmem_tEENKUlT_SJ_SK_SL_E_clISE_PiSF_SF_EESI_SY_SJ_SK_SL_EUlSY_E0_NS1_11comp_targetILNS1_3genE9ELNS1_11target_archE1100ELNS1_3gpuE3ELNS1_3repE0EEENS1_38merge_mergepath_config_static_selectorELNS0_4arch9wavefront6targetE1EEEvSK_: ; @_ZN7rocprim17ROCPRIM_400000_NS6detail17trampoline_kernelINS0_14default_configENS1_38merge_sort_block_merge_config_selectorIiNS0_10empty_typeEEEZZNS1_27merge_sort_block_merge_implIS3_N6thrust23THRUST_200600_302600_NS6detail15normal_iteratorINS9_10device_ptrIiEEEEPS5_m14custom_greaterIiEEE10hipError_tT0_T1_T2_jT3_P12ihipStream_tbPNSt15iterator_traitsISJ_E10value_typeEPNSP_ISK_E10value_typeEPSL_NS1_7vsmem_tEENKUlT_SJ_SK_SL_E_clISE_PiSF_SF_EESI_SY_SJ_SK_SL_EUlSY_E0_NS1_11comp_targetILNS1_3genE9ELNS1_11target_archE1100ELNS1_3gpuE3ELNS1_3repE0EEENS1_38merge_mergepath_config_static_selectorELNS0_4arch9wavefront6targetE1EEEvSK_
; %bb.0:
	.section	.rodata,"a",@progbits
	.p2align	6, 0x0
	.amdhsa_kernel _ZN7rocprim17ROCPRIM_400000_NS6detail17trampoline_kernelINS0_14default_configENS1_38merge_sort_block_merge_config_selectorIiNS0_10empty_typeEEEZZNS1_27merge_sort_block_merge_implIS3_N6thrust23THRUST_200600_302600_NS6detail15normal_iteratorINS9_10device_ptrIiEEEEPS5_m14custom_greaterIiEEE10hipError_tT0_T1_T2_jT3_P12ihipStream_tbPNSt15iterator_traitsISJ_E10value_typeEPNSP_ISK_E10value_typeEPSL_NS1_7vsmem_tEENKUlT_SJ_SK_SL_E_clISE_PiSF_SF_EESI_SY_SJ_SK_SL_EUlSY_E0_NS1_11comp_targetILNS1_3genE9ELNS1_11target_archE1100ELNS1_3gpuE3ELNS1_3repE0EEENS1_38merge_mergepath_config_static_selectorELNS0_4arch9wavefront6targetE1EEEvSK_
		.amdhsa_group_segment_fixed_size 0
		.amdhsa_private_segment_fixed_size 0
		.amdhsa_kernarg_size 72
		.amdhsa_user_sgpr_count 6
		.amdhsa_user_sgpr_private_segment_buffer 1
		.amdhsa_user_sgpr_dispatch_ptr 0
		.amdhsa_user_sgpr_queue_ptr 0
		.amdhsa_user_sgpr_kernarg_segment_ptr 1
		.amdhsa_user_sgpr_dispatch_id 0
		.amdhsa_user_sgpr_flat_scratch_init 0
		.amdhsa_user_sgpr_kernarg_preload_length 0
		.amdhsa_user_sgpr_kernarg_preload_offset 0
		.amdhsa_user_sgpr_private_segment_size 0
		.amdhsa_uses_dynamic_stack 0
		.amdhsa_system_sgpr_private_segment_wavefront_offset 0
		.amdhsa_system_sgpr_workgroup_id_x 1
		.amdhsa_system_sgpr_workgroup_id_y 0
		.amdhsa_system_sgpr_workgroup_id_z 0
		.amdhsa_system_sgpr_workgroup_info 0
		.amdhsa_system_vgpr_workitem_id 0
		.amdhsa_next_free_vgpr 1
		.amdhsa_next_free_sgpr 0
		.amdhsa_accum_offset 4
		.amdhsa_reserve_vcc 0
		.amdhsa_reserve_flat_scratch 0
		.amdhsa_float_round_mode_32 0
		.amdhsa_float_round_mode_16_64 0
		.amdhsa_float_denorm_mode_32 3
		.amdhsa_float_denorm_mode_16_64 3
		.amdhsa_dx10_clamp 1
		.amdhsa_ieee_mode 1
		.amdhsa_fp16_overflow 0
		.amdhsa_tg_split 0
		.amdhsa_exception_fp_ieee_invalid_op 0
		.amdhsa_exception_fp_denorm_src 0
		.amdhsa_exception_fp_ieee_div_zero 0
		.amdhsa_exception_fp_ieee_overflow 0
		.amdhsa_exception_fp_ieee_underflow 0
		.amdhsa_exception_fp_ieee_inexact 0
		.amdhsa_exception_int_div_zero 0
	.end_amdhsa_kernel
	.section	.text._ZN7rocprim17ROCPRIM_400000_NS6detail17trampoline_kernelINS0_14default_configENS1_38merge_sort_block_merge_config_selectorIiNS0_10empty_typeEEEZZNS1_27merge_sort_block_merge_implIS3_N6thrust23THRUST_200600_302600_NS6detail15normal_iteratorINS9_10device_ptrIiEEEEPS5_m14custom_greaterIiEEE10hipError_tT0_T1_T2_jT3_P12ihipStream_tbPNSt15iterator_traitsISJ_E10value_typeEPNSP_ISK_E10value_typeEPSL_NS1_7vsmem_tEENKUlT_SJ_SK_SL_E_clISE_PiSF_SF_EESI_SY_SJ_SK_SL_EUlSY_E0_NS1_11comp_targetILNS1_3genE9ELNS1_11target_archE1100ELNS1_3gpuE3ELNS1_3repE0EEENS1_38merge_mergepath_config_static_selectorELNS0_4arch9wavefront6targetE1EEEvSK_,"axG",@progbits,_ZN7rocprim17ROCPRIM_400000_NS6detail17trampoline_kernelINS0_14default_configENS1_38merge_sort_block_merge_config_selectorIiNS0_10empty_typeEEEZZNS1_27merge_sort_block_merge_implIS3_N6thrust23THRUST_200600_302600_NS6detail15normal_iteratorINS9_10device_ptrIiEEEEPS5_m14custom_greaterIiEEE10hipError_tT0_T1_T2_jT3_P12ihipStream_tbPNSt15iterator_traitsISJ_E10value_typeEPNSP_ISK_E10value_typeEPSL_NS1_7vsmem_tEENKUlT_SJ_SK_SL_E_clISE_PiSF_SF_EESI_SY_SJ_SK_SL_EUlSY_E0_NS1_11comp_targetILNS1_3genE9ELNS1_11target_archE1100ELNS1_3gpuE3ELNS1_3repE0EEENS1_38merge_mergepath_config_static_selectorELNS0_4arch9wavefront6targetE1EEEvSK_,comdat
.Lfunc_end3126:
	.size	_ZN7rocprim17ROCPRIM_400000_NS6detail17trampoline_kernelINS0_14default_configENS1_38merge_sort_block_merge_config_selectorIiNS0_10empty_typeEEEZZNS1_27merge_sort_block_merge_implIS3_N6thrust23THRUST_200600_302600_NS6detail15normal_iteratorINS9_10device_ptrIiEEEEPS5_m14custom_greaterIiEEE10hipError_tT0_T1_T2_jT3_P12ihipStream_tbPNSt15iterator_traitsISJ_E10value_typeEPNSP_ISK_E10value_typeEPSL_NS1_7vsmem_tEENKUlT_SJ_SK_SL_E_clISE_PiSF_SF_EESI_SY_SJ_SK_SL_EUlSY_E0_NS1_11comp_targetILNS1_3genE9ELNS1_11target_archE1100ELNS1_3gpuE3ELNS1_3repE0EEENS1_38merge_mergepath_config_static_selectorELNS0_4arch9wavefront6targetE1EEEvSK_, .Lfunc_end3126-_ZN7rocprim17ROCPRIM_400000_NS6detail17trampoline_kernelINS0_14default_configENS1_38merge_sort_block_merge_config_selectorIiNS0_10empty_typeEEEZZNS1_27merge_sort_block_merge_implIS3_N6thrust23THRUST_200600_302600_NS6detail15normal_iteratorINS9_10device_ptrIiEEEEPS5_m14custom_greaterIiEEE10hipError_tT0_T1_T2_jT3_P12ihipStream_tbPNSt15iterator_traitsISJ_E10value_typeEPNSP_ISK_E10value_typeEPSL_NS1_7vsmem_tEENKUlT_SJ_SK_SL_E_clISE_PiSF_SF_EESI_SY_SJ_SK_SL_EUlSY_E0_NS1_11comp_targetILNS1_3genE9ELNS1_11target_archE1100ELNS1_3gpuE3ELNS1_3repE0EEENS1_38merge_mergepath_config_static_selectorELNS0_4arch9wavefront6targetE1EEEvSK_
                                        ; -- End function
	.section	.AMDGPU.csdata,"",@progbits
; Kernel info:
; codeLenInByte = 0
; NumSgprs: 4
; NumVgprs: 0
; NumAgprs: 0
; TotalNumVgprs: 0
; ScratchSize: 0
; MemoryBound: 0
; FloatMode: 240
; IeeeMode: 1
; LDSByteSize: 0 bytes/workgroup (compile time only)
; SGPRBlocks: 0
; VGPRBlocks: 0
; NumSGPRsForWavesPerEU: 4
; NumVGPRsForWavesPerEU: 1
; AccumOffset: 4
; Occupancy: 8
; WaveLimiterHint : 0
; COMPUTE_PGM_RSRC2:SCRATCH_EN: 0
; COMPUTE_PGM_RSRC2:USER_SGPR: 6
; COMPUTE_PGM_RSRC2:TRAP_HANDLER: 0
; COMPUTE_PGM_RSRC2:TGID_X_EN: 1
; COMPUTE_PGM_RSRC2:TGID_Y_EN: 0
; COMPUTE_PGM_RSRC2:TGID_Z_EN: 0
; COMPUTE_PGM_RSRC2:TIDIG_COMP_CNT: 0
; COMPUTE_PGM_RSRC3_GFX90A:ACCUM_OFFSET: 0
; COMPUTE_PGM_RSRC3_GFX90A:TG_SPLIT: 0
	.section	.text._ZN7rocprim17ROCPRIM_400000_NS6detail17trampoline_kernelINS0_14default_configENS1_38merge_sort_block_merge_config_selectorIiNS0_10empty_typeEEEZZNS1_27merge_sort_block_merge_implIS3_N6thrust23THRUST_200600_302600_NS6detail15normal_iteratorINS9_10device_ptrIiEEEEPS5_m14custom_greaterIiEEE10hipError_tT0_T1_T2_jT3_P12ihipStream_tbPNSt15iterator_traitsISJ_E10value_typeEPNSP_ISK_E10value_typeEPSL_NS1_7vsmem_tEENKUlT_SJ_SK_SL_E_clISE_PiSF_SF_EESI_SY_SJ_SK_SL_EUlSY_E0_NS1_11comp_targetILNS1_3genE8ELNS1_11target_archE1030ELNS1_3gpuE2ELNS1_3repE0EEENS1_38merge_mergepath_config_static_selectorELNS0_4arch9wavefront6targetE1EEEvSK_,"axG",@progbits,_ZN7rocprim17ROCPRIM_400000_NS6detail17trampoline_kernelINS0_14default_configENS1_38merge_sort_block_merge_config_selectorIiNS0_10empty_typeEEEZZNS1_27merge_sort_block_merge_implIS3_N6thrust23THRUST_200600_302600_NS6detail15normal_iteratorINS9_10device_ptrIiEEEEPS5_m14custom_greaterIiEEE10hipError_tT0_T1_T2_jT3_P12ihipStream_tbPNSt15iterator_traitsISJ_E10value_typeEPNSP_ISK_E10value_typeEPSL_NS1_7vsmem_tEENKUlT_SJ_SK_SL_E_clISE_PiSF_SF_EESI_SY_SJ_SK_SL_EUlSY_E0_NS1_11comp_targetILNS1_3genE8ELNS1_11target_archE1030ELNS1_3gpuE2ELNS1_3repE0EEENS1_38merge_mergepath_config_static_selectorELNS0_4arch9wavefront6targetE1EEEvSK_,comdat
	.protected	_ZN7rocprim17ROCPRIM_400000_NS6detail17trampoline_kernelINS0_14default_configENS1_38merge_sort_block_merge_config_selectorIiNS0_10empty_typeEEEZZNS1_27merge_sort_block_merge_implIS3_N6thrust23THRUST_200600_302600_NS6detail15normal_iteratorINS9_10device_ptrIiEEEEPS5_m14custom_greaterIiEEE10hipError_tT0_T1_T2_jT3_P12ihipStream_tbPNSt15iterator_traitsISJ_E10value_typeEPNSP_ISK_E10value_typeEPSL_NS1_7vsmem_tEENKUlT_SJ_SK_SL_E_clISE_PiSF_SF_EESI_SY_SJ_SK_SL_EUlSY_E0_NS1_11comp_targetILNS1_3genE8ELNS1_11target_archE1030ELNS1_3gpuE2ELNS1_3repE0EEENS1_38merge_mergepath_config_static_selectorELNS0_4arch9wavefront6targetE1EEEvSK_ ; -- Begin function _ZN7rocprim17ROCPRIM_400000_NS6detail17trampoline_kernelINS0_14default_configENS1_38merge_sort_block_merge_config_selectorIiNS0_10empty_typeEEEZZNS1_27merge_sort_block_merge_implIS3_N6thrust23THRUST_200600_302600_NS6detail15normal_iteratorINS9_10device_ptrIiEEEEPS5_m14custom_greaterIiEEE10hipError_tT0_T1_T2_jT3_P12ihipStream_tbPNSt15iterator_traitsISJ_E10value_typeEPNSP_ISK_E10value_typeEPSL_NS1_7vsmem_tEENKUlT_SJ_SK_SL_E_clISE_PiSF_SF_EESI_SY_SJ_SK_SL_EUlSY_E0_NS1_11comp_targetILNS1_3genE8ELNS1_11target_archE1030ELNS1_3gpuE2ELNS1_3repE0EEENS1_38merge_mergepath_config_static_selectorELNS0_4arch9wavefront6targetE1EEEvSK_
	.globl	_ZN7rocprim17ROCPRIM_400000_NS6detail17trampoline_kernelINS0_14default_configENS1_38merge_sort_block_merge_config_selectorIiNS0_10empty_typeEEEZZNS1_27merge_sort_block_merge_implIS3_N6thrust23THRUST_200600_302600_NS6detail15normal_iteratorINS9_10device_ptrIiEEEEPS5_m14custom_greaterIiEEE10hipError_tT0_T1_T2_jT3_P12ihipStream_tbPNSt15iterator_traitsISJ_E10value_typeEPNSP_ISK_E10value_typeEPSL_NS1_7vsmem_tEENKUlT_SJ_SK_SL_E_clISE_PiSF_SF_EESI_SY_SJ_SK_SL_EUlSY_E0_NS1_11comp_targetILNS1_3genE8ELNS1_11target_archE1030ELNS1_3gpuE2ELNS1_3repE0EEENS1_38merge_mergepath_config_static_selectorELNS0_4arch9wavefront6targetE1EEEvSK_
	.p2align	8
	.type	_ZN7rocprim17ROCPRIM_400000_NS6detail17trampoline_kernelINS0_14default_configENS1_38merge_sort_block_merge_config_selectorIiNS0_10empty_typeEEEZZNS1_27merge_sort_block_merge_implIS3_N6thrust23THRUST_200600_302600_NS6detail15normal_iteratorINS9_10device_ptrIiEEEEPS5_m14custom_greaterIiEEE10hipError_tT0_T1_T2_jT3_P12ihipStream_tbPNSt15iterator_traitsISJ_E10value_typeEPNSP_ISK_E10value_typeEPSL_NS1_7vsmem_tEENKUlT_SJ_SK_SL_E_clISE_PiSF_SF_EESI_SY_SJ_SK_SL_EUlSY_E0_NS1_11comp_targetILNS1_3genE8ELNS1_11target_archE1030ELNS1_3gpuE2ELNS1_3repE0EEENS1_38merge_mergepath_config_static_selectorELNS0_4arch9wavefront6targetE1EEEvSK_,@function
_ZN7rocprim17ROCPRIM_400000_NS6detail17trampoline_kernelINS0_14default_configENS1_38merge_sort_block_merge_config_selectorIiNS0_10empty_typeEEEZZNS1_27merge_sort_block_merge_implIS3_N6thrust23THRUST_200600_302600_NS6detail15normal_iteratorINS9_10device_ptrIiEEEEPS5_m14custom_greaterIiEEE10hipError_tT0_T1_T2_jT3_P12ihipStream_tbPNSt15iterator_traitsISJ_E10value_typeEPNSP_ISK_E10value_typeEPSL_NS1_7vsmem_tEENKUlT_SJ_SK_SL_E_clISE_PiSF_SF_EESI_SY_SJ_SK_SL_EUlSY_E0_NS1_11comp_targetILNS1_3genE8ELNS1_11target_archE1030ELNS1_3gpuE2ELNS1_3repE0EEENS1_38merge_mergepath_config_static_selectorELNS0_4arch9wavefront6targetE1EEEvSK_: ; @_ZN7rocprim17ROCPRIM_400000_NS6detail17trampoline_kernelINS0_14default_configENS1_38merge_sort_block_merge_config_selectorIiNS0_10empty_typeEEEZZNS1_27merge_sort_block_merge_implIS3_N6thrust23THRUST_200600_302600_NS6detail15normal_iteratorINS9_10device_ptrIiEEEEPS5_m14custom_greaterIiEEE10hipError_tT0_T1_T2_jT3_P12ihipStream_tbPNSt15iterator_traitsISJ_E10value_typeEPNSP_ISK_E10value_typeEPSL_NS1_7vsmem_tEENKUlT_SJ_SK_SL_E_clISE_PiSF_SF_EESI_SY_SJ_SK_SL_EUlSY_E0_NS1_11comp_targetILNS1_3genE8ELNS1_11target_archE1030ELNS1_3gpuE2ELNS1_3repE0EEENS1_38merge_mergepath_config_static_selectorELNS0_4arch9wavefront6targetE1EEEvSK_
; %bb.0:
	.section	.rodata,"a",@progbits
	.p2align	6, 0x0
	.amdhsa_kernel _ZN7rocprim17ROCPRIM_400000_NS6detail17trampoline_kernelINS0_14default_configENS1_38merge_sort_block_merge_config_selectorIiNS0_10empty_typeEEEZZNS1_27merge_sort_block_merge_implIS3_N6thrust23THRUST_200600_302600_NS6detail15normal_iteratorINS9_10device_ptrIiEEEEPS5_m14custom_greaterIiEEE10hipError_tT0_T1_T2_jT3_P12ihipStream_tbPNSt15iterator_traitsISJ_E10value_typeEPNSP_ISK_E10value_typeEPSL_NS1_7vsmem_tEENKUlT_SJ_SK_SL_E_clISE_PiSF_SF_EESI_SY_SJ_SK_SL_EUlSY_E0_NS1_11comp_targetILNS1_3genE8ELNS1_11target_archE1030ELNS1_3gpuE2ELNS1_3repE0EEENS1_38merge_mergepath_config_static_selectorELNS0_4arch9wavefront6targetE1EEEvSK_
		.amdhsa_group_segment_fixed_size 0
		.amdhsa_private_segment_fixed_size 0
		.amdhsa_kernarg_size 72
		.amdhsa_user_sgpr_count 6
		.amdhsa_user_sgpr_private_segment_buffer 1
		.amdhsa_user_sgpr_dispatch_ptr 0
		.amdhsa_user_sgpr_queue_ptr 0
		.amdhsa_user_sgpr_kernarg_segment_ptr 1
		.amdhsa_user_sgpr_dispatch_id 0
		.amdhsa_user_sgpr_flat_scratch_init 0
		.amdhsa_user_sgpr_kernarg_preload_length 0
		.amdhsa_user_sgpr_kernarg_preload_offset 0
		.amdhsa_user_sgpr_private_segment_size 0
		.amdhsa_uses_dynamic_stack 0
		.amdhsa_system_sgpr_private_segment_wavefront_offset 0
		.amdhsa_system_sgpr_workgroup_id_x 1
		.amdhsa_system_sgpr_workgroup_id_y 0
		.amdhsa_system_sgpr_workgroup_id_z 0
		.amdhsa_system_sgpr_workgroup_info 0
		.amdhsa_system_vgpr_workitem_id 0
		.amdhsa_next_free_vgpr 1
		.amdhsa_next_free_sgpr 0
		.amdhsa_accum_offset 4
		.amdhsa_reserve_vcc 0
		.amdhsa_reserve_flat_scratch 0
		.amdhsa_float_round_mode_32 0
		.amdhsa_float_round_mode_16_64 0
		.amdhsa_float_denorm_mode_32 3
		.amdhsa_float_denorm_mode_16_64 3
		.amdhsa_dx10_clamp 1
		.amdhsa_ieee_mode 1
		.amdhsa_fp16_overflow 0
		.amdhsa_tg_split 0
		.amdhsa_exception_fp_ieee_invalid_op 0
		.amdhsa_exception_fp_denorm_src 0
		.amdhsa_exception_fp_ieee_div_zero 0
		.amdhsa_exception_fp_ieee_overflow 0
		.amdhsa_exception_fp_ieee_underflow 0
		.amdhsa_exception_fp_ieee_inexact 0
		.amdhsa_exception_int_div_zero 0
	.end_amdhsa_kernel
	.section	.text._ZN7rocprim17ROCPRIM_400000_NS6detail17trampoline_kernelINS0_14default_configENS1_38merge_sort_block_merge_config_selectorIiNS0_10empty_typeEEEZZNS1_27merge_sort_block_merge_implIS3_N6thrust23THRUST_200600_302600_NS6detail15normal_iteratorINS9_10device_ptrIiEEEEPS5_m14custom_greaterIiEEE10hipError_tT0_T1_T2_jT3_P12ihipStream_tbPNSt15iterator_traitsISJ_E10value_typeEPNSP_ISK_E10value_typeEPSL_NS1_7vsmem_tEENKUlT_SJ_SK_SL_E_clISE_PiSF_SF_EESI_SY_SJ_SK_SL_EUlSY_E0_NS1_11comp_targetILNS1_3genE8ELNS1_11target_archE1030ELNS1_3gpuE2ELNS1_3repE0EEENS1_38merge_mergepath_config_static_selectorELNS0_4arch9wavefront6targetE1EEEvSK_,"axG",@progbits,_ZN7rocprim17ROCPRIM_400000_NS6detail17trampoline_kernelINS0_14default_configENS1_38merge_sort_block_merge_config_selectorIiNS0_10empty_typeEEEZZNS1_27merge_sort_block_merge_implIS3_N6thrust23THRUST_200600_302600_NS6detail15normal_iteratorINS9_10device_ptrIiEEEEPS5_m14custom_greaterIiEEE10hipError_tT0_T1_T2_jT3_P12ihipStream_tbPNSt15iterator_traitsISJ_E10value_typeEPNSP_ISK_E10value_typeEPSL_NS1_7vsmem_tEENKUlT_SJ_SK_SL_E_clISE_PiSF_SF_EESI_SY_SJ_SK_SL_EUlSY_E0_NS1_11comp_targetILNS1_3genE8ELNS1_11target_archE1030ELNS1_3gpuE2ELNS1_3repE0EEENS1_38merge_mergepath_config_static_selectorELNS0_4arch9wavefront6targetE1EEEvSK_,comdat
.Lfunc_end3127:
	.size	_ZN7rocprim17ROCPRIM_400000_NS6detail17trampoline_kernelINS0_14default_configENS1_38merge_sort_block_merge_config_selectorIiNS0_10empty_typeEEEZZNS1_27merge_sort_block_merge_implIS3_N6thrust23THRUST_200600_302600_NS6detail15normal_iteratorINS9_10device_ptrIiEEEEPS5_m14custom_greaterIiEEE10hipError_tT0_T1_T2_jT3_P12ihipStream_tbPNSt15iterator_traitsISJ_E10value_typeEPNSP_ISK_E10value_typeEPSL_NS1_7vsmem_tEENKUlT_SJ_SK_SL_E_clISE_PiSF_SF_EESI_SY_SJ_SK_SL_EUlSY_E0_NS1_11comp_targetILNS1_3genE8ELNS1_11target_archE1030ELNS1_3gpuE2ELNS1_3repE0EEENS1_38merge_mergepath_config_static_selectorELNS0_4arch9wavefront6targetE1EEEvSK_, .Lfunc_end3127-_ZN7rocprim17ROCPRIM_400000_NS6detail17trampoline_kernelINS0_14default_configENS1_38merge_sort_block_merge_config_selectorIiNS0_10empty_typeEEEZZNS1_27merge_sort_block_merge_implIS3_N6thrust23THRUST_200600_302600_NS6detail15normal_iteratorINS9_10device_ptrIiEEEEPS5_m14custom_greaterIiEEE10hipError_tT0_T1_T2_jT3_P12ihipStream_tbPNSt15iterator_traitsISJ_E10value_typeEPNSP_ISK_E10value_typeEPSL_NS1_7vsmem_tEENKUlT_SJ_SK_SL_E_clISE_PiSF_SF_EESI_SY_SJ_SK_SL_EUlSY_E0_NS1_11comp_targetILNS1_3genE8ELNS1_11target_archE1030ELNS1_3gpuE2ELNS1_3repE0EEENS1_38merge_mergepath_config_static_selectorELNS0_4arch9wavefront6targetE1EEEvSK_
                                        ; -- End function
	.section	.AMDGPU.csdata,"",@progbits
; Kernel info:
; codeLenInByte = 0
; NumSgprs: 4
; NumVgprs: 0
; NumAgprs: 0
; TotalNumVgprs: 0
; ScratchSize: 0
; MemoryBound: 0
; FloatMode: 240
; IeeeMode: 1
; LDSByteSize: 0 bytes/workgroup (compile time only)
; SGPRBlocks: 0
; VGPRBlocks: 0
; NumSGPRsForWavesPerEU: 4
; NumVGPRsForWavesPerEU: 1
; AccumOffset: 4
; Occupancy: 8
; WaveLimiterHint : 0
; COMPUTE_PGM_RSRC2:SCRATCH_EN: 0
; COMPUTE_PGM_RSRC2:USER_SGPR: 6
; COMPUTE_PGM_RSRC2:TRAP_HANDLER: 0
; COMPUTE_PGM_RSRC2:TGID_X_EN: 1
; COMPUTE_PGM_RSRC2:TGID_Y_EN: 0
; COMPUTE_PGM_RSRC2:TGID_Z_EN: 0
; COMPUTE_PGM_RSRC2:TIDIG_COMP_CNT: 0
; COMPUTE_PGM_RSRC3_GFX90A:ACCUM_OFFSET: 0
; COMPUTE_PGM_RSRC3_GFX90A:TG_SPLIT: 0
	.section	.text._ZN7rocprim17ROCPRIM_400000_NS6detail17trampoline_kernelINS0_14default_configENS1_38merge_sort_block_merge_config_selectorIiNS0_10empty_typeEEEZZNS1_27merge_sort_block_merge_implIS3_N6thrust23THRUST_200600_302600_NS6detail15normal_iteratorINS9_10device_ptrIiEEEEPS5_m14custom_greaterIiEEE10hipError_tT0_T1_T2_jT3_P12ihipStream_tbPNSt15iterator_traitsISJ_E10value_typeEPNSP_ISK_E10value_typeEPSL_NS1_7vsmem_tEENKUlT_SJ_SK_SL_E_clISE_PiSF_SF_EESI_SY_SJ_SK_SL_EUlSY_E1_NS1_11comp_targetILNS1_3genE0ELNS1_11target_archE4294967295ELNS1_3gpuE0ELNS1_3repE0EEENS1_36merge_oddeven_config_static_selectorELNS0_4arch9wavefront6targetE1EEEvSK_,"axG",@progbits,_ZN7rocprim17ROCPRIM_400000_NS6detail17trampoline_kernelINS0_14default_configENS1_38merge_sort_block_merge_config_selectorIiNS0_10empty_typeEEEZZNS1_27merge_sort_block_merge_implIS3_N6thrust23THRUST_200600_302600_NS6detail15normal_iteratorINS9_10device_ptrIiEEEEPS5_m14custom_greaterIiEEE10hipError_tT0_T1_T2_jT3_P12ihipStream_tbPNSt15iterator_traitsISJ_E10value_typeEPNSP_ISK_E10value_typeEPSL_NS1_7vsmem_tEENKUlT_SJ_SK_SL_E_clISE_PiSF_SF_EESI_SY_SJ_SK_SL_EUlSY_E1_NS1_11comp_targetILNS1_3genE0ELNS1_11target_archE4294967295ELNS1_3gpuE0ELNS1_3repE0EEENS1_36merge_oddeven_config_static_selectorELNS0_4arch9wavefront6targetE1EEEvSK_,comdat
	.protected	_ZN7rocprim17ROCPRIM_400000_NS6detail17trampoline_kernelINS0_14default_configENS1_38merge_sort_block_merge_config_selectorIiNS0_10empty_typeEEEZZNS1_27merge_sort_block_merge_implIS3_N6thrust23THRUST_200600_302600_NS6detail15normal_iteratorINS9_10device_ptrIiEEEEPS5_m14custom_greaterIiEEE10hipError_tT0_T1_T2_jT3_P12ihipStream_tbPNSt15iterator_traitsISJ_E10value_typeEPNSP_ISK_E10value_typeEPSL_NS1_7vsmem_tEENKUlT_SJ_SK_SL_E_clISE_PiSF_SF_EESI_SY_SJ_SK_SL_EUlSY_E1_NS1_11comp_targetILNS1_3genE0ELNS1_11target_archE4294967295ELNS1_3gpuE0ELNS1_3repE0EEENS1_36merge_oddeven_config_static_selectorELNS0_4arch9wavefront6targetE1EEEvSK_ ; -- Begin function _ZN7rocprim17ROCPRIM_400000_NS6detail17trampoline_kernelINS0_14default_configENS1_38merge_sort_block_merge_config_selectorIiNS0_10empty_typeEEEZZNS1_27merge_sort_block_merge_implIS3_N6thrust23THRUST_200600_302600_NS6detail15normal_iteratorINS9_10device_ptrIiEEEEPS5_m14custom_greaterIiEEE10hipError_tT0_T1_T2_jT3_P12ihipStream_tbPNSt15iterator_traitsISJ_E10value_typeEPNSP_ISK_E10value_typeEPSL_NS1_7vsmem_tEENKUlT_SJ_SK_SL_E_clISE_PiSF_SF_EESI_SY_SJ_SK_SL_EUlSY_E1_NS1_11comp_targetILNS1_3genE0ELNS1_11target_archE4294967295ELNS1_3gpuE0ELNS1_3repE0EEENS1_36merge_oddeven_config_static_selectorELNS0_4arch9wavefront6targetE1EEEvSK_
	.globl	_ZN7rocprim17ROCPRIM_400000_NS6detail17trampoline_kernelINS0_14default_configENS1_38merge_sort_block_merge_config_selectorIiNS0_10empty_typeEEEZZNS1_27merge_sort_block_merge_implIS3_N6thrust23THRUST_200600_302600_NS6detail15normal_iteratorINS9_10device_ptrIiEEEEPS5_m14custom_greaterIiEEE10hipError_tT0_T1_T2_jT3_P12ihipStream_tbPNSt15iterator_traitsISJ_E10value_typeEPNSP_ISK_E10value_typeEPSL_NS1_7vsmem_tEENKUlT_SJ_SK_SL_E_clISE_PiSF_SF_EESI_SY_SJ_SK_SL_EUlSY_E1_NS1_11comp_targetILNS1_3genE0ELNS1_11target_archE4294967295ELNS1_3gpuE0ELNS1_3repE0EEENS1_36merge_oddeven_config_static_selectorELNS0_4arch9wavefront6targetE1EEEvSK_
	.p2align	8
	.type	_ZN7rocprim17ROCPRIM_400000_NS6detail17trampoline_kernelINS0_14default_configENS1_38merge_sort_block_merge_config_selectorIiNS0_10empty_typeEEEZZNS1_27merge_sort_block_merge_implIS3_N6thrust23THRUST_200600_302600_NS6detail15normal_iteratorINS9_10device_ptrIiEEEEPS5_m14custom_greaterIiEEE10hipError_tT0_T1_T2_jT3_P12ihipStream_tbPNSt15iterator_traitsISJ_E10value_typeEPNSP_ISK_E10value_typeEPSL_NS1_7vsmem_tEENKUlT_SJ_SK_SL_E_clISE_PiSF_SF_EESI_SY_SJ_SK_SL_EUlSY_E1_NS1_11comp_targetILNS1_3genE0ELNS1_11target_archE4294967295ELNS1_3gpuE0ELNS1_3repE0EEENS1_36merge_oddeven_config_static_selectorELNS0_4arch9wavefront6targetE1EEEvSK_,@function
_ZN7rocprim17ROCPRIM_400000_NS6detail17trampoline_kernelINS0_14default_configENS1_38merge_sort_block_merge_config_selectorIiNS0_10empty_typeEEEZZNS1_27merge_sort_block_merge_implIS3_N6thrust23THRUST_200600_302600_NS6detail15normal_iteratorINS9_10device_ptrIiEEEEPS5_m14custom_greaterIiEEE10hipError_tT0_T1_T2_jT3_P12ihipStream_tbPNSt15iterator_traitsISJ_E10value_typeEPNSP_ISK_E10value_typeEPSL_NS1_7vsmem_tEENKUlT_SJ_SK_SL_E_clISE_PiSF_SF_EESI_SY_SJ_SK_SL_EUlSY_E1_NS1_11comp_targetILNS1_3genE0ELNS1_11target_archE4294967295ELNS1_3gpuE0ELNS1_3repE0EEENS1_36merge_oddeven_config_static_selectorELNS0_4arch9wavefront6targetE1EEEvSK_: ; @_ZN7rocprim17ROCPRIM_400000_NS6detail17trampoline_kernelINS0_14default_configENS1_38merge_sort_block_merge_config_selectorIiNS0_10empty_typeEEEZZNS1_27merge_sort_block_merge_implIS3_N6thrust23THRUST_200600_302600_NS6detail15normal_iteratorINS9_10device_ptrIiEEEEPS5_m14custom_greaterIiEEE10hipError_tT0_T1_T2_jT3_P12ihipStream_tbPNSt15iterator_traitsISJ_E10value_typeEPNSP_ISK_E10value_typeEPSL_NS1_7vsmem_tEENKUlT_SJ_SK_SL_E_clISE_PiSF_SF_EESI_SY_SJ_SK_SL_EUlSY_E1_NS1_11comp_targetILNS1_3genE0ELNS1_11target_archE4294967295ELNS1_3gpuE0ELNS1_3repE0EEENS1_36merge_oddeven_config_static_selectorELNS0_4arch9wavefront6targetE1EEEvSK_
; %bb.0:
	.section	.rodata,"a",@progbits
	.p2align	6, 0x0
	.amdhsa_kernel _ZN7rocprim17ROCPRIM_400000_NS6detail17trampoline_kernelINS0_14default_configENS1_38merge_sort_block_merge_config_selectorIiNS0_10empty_typeEEEZZNS1_27merge_sort_block_merge_implIS3_N6thrust23THRUST_200600_302600_NS6detail15normal_iteratorINS9_10device_ptrIiEEEEPS5_m14custom_greaterIiEEE10hipError_tT0_T1_T2_jT3_P12ihipStream_tbPNSt15iterator_traitsISJ_E10value_typeEPNSP_ISK_E10value_typeEPSL_NS1_7vsmem_tEENKUlT_SJ_SK_SL_E_clISE_PiSF_SF_EESI_SY_SJ_SK_SL_EUlSY_E1_NS1_11comp_targetILNS1_3genE0ELNS1_11target_archE4294967295ELNS1_3gpuE0ELNS1_3repE0EEENS1_36merge_oddeven_config_static_selectorELNS0_4arch9wavefront6targetE1EEEvSK_
		.amdhsa_group_segment_fixed_size 0
		.amdhsa_private_segment_fixed_size 0
		.amdhsa_kernarg_size 56
		.amdhsa_user_sgpr_count 6
		.amdhsa_user_sgpr_private_segment_buffer 1
		.amdhsa_user_sgpr_dispatch_ptr 0
		.amdhsa_user_sgpr_queue_ptr 0
		.amdhsa_user_sgpr_kernarg_segment_ptr 1
		.amdhsa_user_sgpr_dispatch_id 0
		.amdhsa_user_sgpr_flat_scratch_init 0
		.amdhsa_user_sgpr_kernarg_preload_length 0
		.amdhsa_user_sgpr_kernarg_preload_offset 0
		.amdhsa_user_sgpr_private_segment_size 0
		.amdhsa_uses_dynamic_stack 0
		.amdhsa_system_sgpr_private_segment_wavefront_offset 0
		.amdhsa_system_sgpr_workgroup_id_x 1
		.amdhsa_system_sgpr_workgroup_id_y 0
		.amdhsa_system_sgpr_workgroup_id_z 0
		.amdhsa_system_sgpr_workgroup_info 0
		.amdhsa_system_vgpr_workitem_id 0
		.amdhsa_next_free_vgpr 1
		.amdhsa_next_free_sgpr 0
		.amdhsa_accum_offset 4
		.amdhsa_reserve_vcc 0
		.amdhsa_reserve_flat_scratch 0
		.amdhsa_float_round_mode_32 0
		.amdhsa_float_round_mode_16_64 0
		.amdhsa_float_denorm_mode_32 3
		.amdhsa_float_denorm_mode_16_64 3
		.amdhsa_dx10_clamp 1
		.amdhsa_ieee_mode 1
		.amdhsa_fp16_overflow 0
		.amdhsa_tg_split 0
		.amdhsa_exception_fp_ieee_invalid_op 0
		.amdhsa_exception_fp_denorm_src 0
		.amdhsa_exception_fp_ieee_div_zero 0
		.amdhsa_exception_fp_ieee_overflow 0
		.amdhsa_exception_fp_ieee_underflow 0
		.amdhsa_exception_fp_ieee_inexact 0
		.amdhsa_exception_int_div_zero 0
	.end_amdhsa_kernel
	.section	.text._ZN7rocprim17ROCPRIM_400000_NS6detail17trampoline_kernelINS0_14default_configENS1_38merge_sort_block_merge_config_selectorIiNS0_10empty_typeEEEZZNS1_27merge_sort_block_merge_implIS3_N6thrust23THRUST_200600_302600_NS6detail15normal_iteratorINS9_10device_ptrIiEEEEPS5_m14custom_greaterIiEEE10hipError_tT0_T1_T2_jT3_P12ihipStream_tbPNSt15iterator_traitsISJ_E10value_typeEPNSP_ISK_E10value_typeEPSL_NS1_7vsmem_tEENKUlT_SJ_SK_SL_E_clISE_PiSF_SF_EESI_SY_SJ_SK_SL_EUlSY_E1_NS1_11comp_targetILNS1_3genE0ELNS1_11target_archE4294967295ELNS1_3gpuE0ELNS1_3repE0EEENS1_36merge_oddeven_config_static_selectorELNS0_4arch9wavefront6targetE1EEEvSK_,"axG",@progbits,_ZN7rocprim17ROCPRIM_400000_NS6detail17trampoline_kernelINS0_14default_configENS1_38merge_sort_block_merge_config_selectorIiNS0_10empty_typeEEEZZNS1_27merge_sort_block_merge_implIS3_N6thrust23THRUST_200600_302600_NS6detail15normal_iteratorINS9_10device_ptrIiEEEEPS5_m14custom_greaterIiEEE10hipError_tT0_T1_T2_jT3_P12ihipStream_tbPNSt15iterator_traitsISJ_E10value_typeEPNSP_ISK_E10value_typeEPSL_NS1_7vsmem_tEENKUlT_SJ_SK_SL_E_clISE_PiSF_SF_EESI_SY_SJ_SK_SL_EUlSY_E1_NS1_11comp_targetILNS1_3genE0ELNS1_11target_archE4294967295ELNS1_3gpuE0ELNS1_3repE0EEENS1_36merge_oddeven_config_static_selectorELNS0_4arch9wavefront6targetE1EEEvSK_,comdat
.Lfunc_end3128:
	.size	_ZN7rocprim17ROCPRIM_400000_NS6detail17trampoline_kernelINS0_14default_configENS1_38merge_sort_block_merge_config_selectorIiNS0_10empty_typeEEEZZNS1_27merge_sort_block_merge_implIS3_N6thrust23THRUST_200600_302600_NS6detail15normal_iteratorINS9_10device_ptrIiEEEEPS5_m14custom_greaterIiEEE10hipError_tT0_T1_T2_jT3_P12ihipStream_tbPNSt15iterator_traitsISJ_E10value_typeEPNSP_ISK_E10value_typeEPSL_NS1_7vsmem_tEENKUlT_SJ_SK_SL_E_clISE_PiSF_SF_EESI_SY_SJ_SK_SL_EUlSY_E1_NS1_11comp_targetILNS1_3genE0ELNS1_11target_archE4294967295ELNS1_3gpuE0ELNS1_3repE0EEENS1_36merge_oddeven_config_static_selectorELNS0_4arch9wavefront6targetE1EEEvSK_, .Lfunc_end3128-_ZN7rocprim17ROCPRIM_400000_NS6detail17trampoline_kernelINS0_14default_configENS1_38merge_sort_block_merge_config_selectorIiNS0_10empty_typeEEEZZNS1_27merge_sort_block_merge_implIS3_N6thrust23THRUST_200600_302600_NS6detail15normal_iteratorINS9_10device_ptrIiEEEEPS5_m14custom_greaterIiEEE10hipError_tT0_T1_T2_jT3_P12ihipStream_tbPNSt15iterator_traitsISJ_E10value_typeEPNSP_ISK_E10value_typeEPSL_NS1_7vsmem_tEENKUlT_SJ_SK_SL_E_clISE_PiSF_SF_EESI_SY_SJ_SK_SL_EUlSY_E1_NS1_11comp_targetILNS1_3genE0ELNS1_11target_archE4294967295ELNS1_3gpuE0ELNS1_3repE0EEENS1_36merge_oddeven_config_static_selectorELNS0_4arch9wavefront6targetE1EEEvSK_
                                        ; -- End function
	.section	.AMDGPU.csdata,"",@progbits
; Kernel info:
; codeLenInByte = 0
; NumSgprs: 4
; NumVgprs: 0
; NumAgprs: 0
; TotalNumVgprs: 0
; ScratchSize: 0
; MemoryBound: 0
; FloatMode: 240
; IeeeMode: 1
; LDSByteSize: 0 bytes/workgroup (compile time only)
; SGPRBlocks: 0
; VGPRBlocks: 0
; NumSGPRsForWavesPerEU: 4
; NumVGPRsForWavesPerEU: 1
; AccumOffset: 4
; Occupancy: 8
; WaveLimiterHint : 0
; COMPUTE_PGM_RSRC2:SCRATCH_EN: 0
; COMPUTE_PGM_RSRC2:USER_SGPR: 6
; COMPUTE_PGM_RSRC2:TRAP_HANDLER: 0
; COMPUTE_PGM_RSRC2:TGID_X_EN: 1
; COMPUTE_PGM_RSRC2:TGID_Y_EN: 0
; COMPUTE_PGM_RSRC2:TGID_Z_EN: 0
; COMPUTE_PGM_RSRC2:TIDIG_COMP_CNT: 0
; COMPUTE_PGM_RSRC3_GFX90A:ACCUM_OFFSET: 0
; COMPUTE_PGM_RSRC3_GFX90A:TG_SPLIT: 0
	.section	.text._ZN7rocprim17ROCPRIM_400000_NS6detail17trampoline_kernelINS0_14default_configENS1_38merge_sort_block_merge_config_selectorIiNS0_10empty_typeEEEZZNS1_27merge_sort_block_merge_implIS3_N6thrust23THRUST_200600_302600_NS6detail15normal_iteratorINS9_10device_ptrIiEEEEPS5_m14custom_greaterIiEEE10hipError_tT0_T1_T2_jT3_P12ihipStream_tbPNSt15iterator_traitsISJ_E10value_typeEPNSP_ISK_E10value_typeEPSL_NS1_7vsmem_tEENKUlT_SJ_SK_SL_E_clISE_PiSF_SF_EESI_SY_SJ_SK_SL_EUlSY_E1_NS1_11comp_targetILNS1_3genE10ELNS1_11target_archE1201ELNS1_3gpuE5ELNS1_3repE0EEENS1_36merge_oddeven_config_static_selectorELNS0_4arch9wavefront6targetE1EEEvSK_,"axG",@progbits,_ZN7rocprim17ROCPRIM_400000_NS6detail17trampoline_kernelINS0_14default_configENS1_38merge_sort_block_merge_config_selectorIiNS0_10empty_typeEEEZZNS1_27merge_sort_block_merge_implIS3_N6thrust23THRUST_200600_302600_NS6detail15normal_iteratorINS9_10device_ptrIiEEEEPS5_m14custom_greaterIiEEE10hipError_tT0_T1_T2_jT3_P12ihipStream_tbPNSt15iterator_traitsISJ_E10value_typeEPNSP_ISK_E10value_typeEPSL_NS1_7vsmem_tEENKUlT_SJ_SK_SL_E_clISE_PiSF_SF_EESI_SY_SJ_SK_SL_EUlSY_E1_NS1_11comp_targetILNS1_3genE10ELNS1_11target_archE1201ELNS1_3gpuE5ELNS1_3repE0EEENS1_36merge_oddeven_config_static_selectorELNS0_4arch9wavefront6targetE1EEEvSK_,comdat
	.protected	_ZN7rocprim17ROCPRIM_400000_NS6detail17trampoline_kernelINS0_14default_configENS1_38merge_sort_block_merge_config_selectorIiNS0_10empty_typeEEEZZNS1_27merge_sort_block_merge_implIS3_N6thrust23THRUST_200600_302600_NS6detail15normal_iteratorINS9_10device_ptrIiEEEEPS5_m14custom_greaterIiEEE10hipError_tT0_T1_T2_jT3_P12ihipStream_tbPNSt15iterator_traitsISJ_E10value_typeEPNSP_ISK_E10value_typeEPSL_NS1_7vsmem_tEENKUlT_SJ_SK_SL_E_clISE_PiSF_SF_EESI_SY_SJ_SK_SL_EUlSY_E1_NS1_11comp_targetILNS1_3genE10ELNS1_11target_archE1201ELNS1_3gpuE5ELNS1_3repE0EEENS1_36merge_oddeven_config_static_selectorELNS0_4arch9wavefront6targetE1EEEvSK_ ; -- Begin function _ZN7rocprim17ROCPRIM_400000_NS6detail17trampoline_kernelINS0_14default_configENS1_38merge_sort_block_merge_config_selectorIiNS0_10empty_typeEEEZZNS1_27merge_sort_block_merge_implIS3_N6thrust23THRUST_200600_302600_NS6detail15normal_iteratorINS9_10device_ptrIiEEEEPS5_m14custom_greaterIiEEE10hipError_tT0_T1_T2_jT3_P12ihipStream_tbPNSt15iterator_traitsISJ_E10value_typeEPNSP_ISK_E10value_typeEPSL_NS1_7vsmem_tEENKUlT_SJ_SK_SL_E_clISE_PiSF_SF_EESI_SY_SJ_SK_SL_EUlSY_E1_NS1_11comp_targetILNS1_3genE10ELNS1_11target_archE1201ELNS1_3gpuE5ELNS1_3repE0EEENS1_36merge_oddeven_config_static_selectorELNS0_4arch9wavefront6targetE1EEEvSK_
	.globl	_ZN7rocprim17ROCPRIM_400000_NS6detail17trampoline_kernelINS0_14default_configENS1_38merge_sort_block_merge_config_selectorIiNS0_10empty_typeEEEZZNS1_27merge_sort_block_merge_implIS3_N6thrust23THRUST_200600_302600_NS6detail15normal_iteratorINS9_10device_ptrIiEEEEPS5_m14custom_greaterIiEEE10hipError_tT0_T1_T2_jT3_P12ihipStream_tbPNSt15iterator_traitsISJ_E10value_typeEPNSP_ISK_E10value_typeEPSL_NS1_7vsmem_tEENKUlT_SJ_SK_SL_E_clISE_PiSF_SF_EESI_SY_SJ_SK_SL_EUlSY_E1_NS1_11comp_targetILNS1_3genE10ELNS1_11target_archE1201ELNS1_3gpuE5ELNS1_3repE0EEENS1_36merge_oddeven_config_static_selectorELNS0_4arch9wavefront6targetE1EEEvSK_
	.p2align	8
	.type	_ZN7rocprim17ROCPRIM_400000_NS6detail17trampoline_kernelINS0_14default_configENS1_38merge_sort_block_merge_config_selectorIiNS0_10empty_typeEEEZZNS1_27merge_sort_block_merge_implIS3_N6thrust23THRUST_200600_302600_NS6detail15normal_iteratorINS9_10device_ptrIiEEEEPS5_m14custom_greaterIiEEE10hipError_tT0_T1_T2_jT3_P12ihipStream_tbPNSt15iterator_traitsISJ_E10value_typeEPNSP_ISK_E10value_typeEPSL_NS1_7vsmem_tEENKUlT_SJ_SK_SL_E_clISE_PiSF_SF_EESI_SY_SJ_SK_SL_EUlSY_E1_NS1_11comp_targetILNS1_3genE10ELNS1_11target_archE1201ELNS1_3gpuE5ELNS1_3repE0EEENS1_36merge_oddeven_config_static_selectorELNS0_4arch9wavefront6targetE1EEEvSK_,@function
_ZN7rocprim17ROCPRIM_400000_NS6detail17trampoline_kernelINS0_14default_configENS1_38merge_sort_block_merge_config_selectorIiNS0_10empty_typeEEEZZNS1_27merge_sort_block_merge_implIS3_N6thrust23THRUST_200600_302600_NS6detail15normal_iteratorINS9_10device_ptrIiEEEEPS5_m14custom_greaterIiEEE10hipError_tT0_T1_T2_jT3_P12ihipStream_tbPNSt15iterator_traitsISJ_E10value_typeEPNSP_ISK_E10value_typeEPSL_NS1_7vsmem_tEENKUlT_SJ_SK_SL_E_clISE_PiSF_SF_EESI_SY_SJ_SK_SL_EUlSY_E1_NS1_11comp_targetILNS1_3genE10ELNS1_11target_archE1201ELNS1_3gpuE5ELNS1_3repE0EEENS1_36merge_oddeven_config_static_selectorELNS0_4arch9wavefront6targetE1EEEvSK_: ; @_ZN7rocprim17ROCPRIM_400000_NS6detail17trampoline_kernelINS0_14default_configENS1_38merge_sort_block_merge_config_selectorIiNS0_10empty_typeEEEZZNS1_27merge_sort_block_merge_implIS3_N6thrust23THRUST_200600_302600_NS6detail15normal_iteratorINS9_10device_ptrIiEEEEPS5_m14custom_greaterIiEEE10hipError_tT0_T1_T2_jT3_P12ihipStream_tbPNSt15iterator_traitsISJ_E10value_typeEPNSP_ISK_E10value_typeEPSL_NS1_7vsmem_tEENKUlT_SJ_SK_SL_E_clISE_PiSF_SF_EESI_SY_SJ_SK_SL_EUlSY_E1_NS1_11comp_targetILNS1_3genE10ELNS1_11target_archE1201ELNS1_3gpuE5ELNS1_3repE0EEENS1_36merge_oddeven_config_static_selectorELNS0_4arch9wavefront6targetE1EEEvSK_
; %bb.0:
	.section	.rodata,"a",@progbits
	.p2align	6, 0x0
	.amdhsa_kernel _ZN7rocprim17ROCPRIM_400000_NS6detail17trampoline_kernelINS0_14default_configENS1_38merge_sort_block_merge_config_selectorIiNS0_10empty_typeEEEZZNS1_27merge_sort_block_merge_implIS3_N6thrust23THRUST_200600_302600_NS6detail15normal_iteratorINS9_10device_ptrIiEEEEPS5_m14custom_greaterIiEEE10hipError_tT0_T1_T2_jT3_P12ihipStream_tbPNSt15iterator_traitsISJ_E10value_typeEPNSP_ISK_E10value_typeEPSL_NS1_7vsmem_tEENKUlT_SJ_SK_SL_E_clISE_PiSF_SF_EESI_SY_SJ_SK_SL_EUlSY_E1_NS1_11comp_targetILNS1_3genE10ELNS1_11target_archE1201ELNS1_3gpuE5ELNS1_3repE0EEENS1_36merge_oddeven_config_static_selectorELNS0_4arch9wavefront6targetE1EEEvSK_
		.amdhsa_group_segment_fixed_size 0
		.amdhsa_private_segment_fixed_size 0
		.amdhsa_kernarg_size 56
		.amdhsa_user_sgpr_count 6
		.amdhsa_user_sgpr_private_segment_buffer 1
		.amdhsa_user_sgpr_dispatch_ptr 0
		.amdhsa_user_sgpr_queue_ptr 0
		.amdhsa_user_sgpr_kernarg_segment_ptr 1
		.amdhsa_user_sgpr_dispatch_id 0
		.amdhsa_user_sgpr_flat_scratch_init 0
		.amdhsa_user_sgpr_kernarg_preload_length 0
		.amdhsa_user_sgpr_kernarg_preload_offset 0
		.amdhsa_user_sgpr_private_segment_size 0
		.amdhsa_uses_dynamic_stack 0
		.amdhsa_system_sgpr_private_segment_wavefront_offset 0
		.amdhsa_system_sgpr_workgroup_id_x 1
		.amdhsa_system_sgpr_workgroup_id_y 0
		.amdhsa_system_sgpr_workgroup_id_z 0
		.amdhsa_system_sgpr_workgroup_info 0
		.amdhsa_system_vgpr_workitem_id 0
		.amdhsa_next_free_vgpr 1
		.amdhsa_next_free_sgpr 0
		.amdhsa_accum_offset 4
		.amdhsa_reserve_vcc 0
		.amdhsa_reserve_flat_scratch 0
		.amdhsa_float_round_mode_32 0
		.amdhsa_float_round_mode_16_64 0
		.amdhsa_float_denorm_mode_32 3
		.amdhsa_float_denorm_mode_16_64 3
		.amdhsa_dx10_clamp 1
		.amdhsa_ieee_mode 1
		.amdhsa_fp16_overflow 0
		.amdhsa_tg_split 0
		.amdhsa_exception_fp_ieee_invalid_op 0
		.amdhsa_exception_fp_denorm_src 0
		.amdhsa_exception_fp_ieee_div_zero 0
		.amdhsa_exception_fp_ieee_overflow 0
		.amdhsa_exception_fp_ieee_underflow 0
		.amdhsa_exception_fp_ieee_inexact 0
		.amdhsa_exception_int_div_zero 0
	.end_amdhsa_kernel
	.section	.text._ZN7rocprim17ROCPRIM_400000_NS6detail17trampoline_kernelINS0_14default_configENS1_38merge_sort_block_merge_config_selectorIiNS0_10empty_typeEEEZZNS1_27merge_sort_block_merge_implIS3_N6thrust23THRUST_200600_302600_NS6detail15normal_iteratorINS9_10device_ptrIiEEEEPS5_m14custom_greaterIiEEE10hipError_tT0_T1_T2_jT3_P12ihipStream_tbPNSt15iterator_traitsISJ_E10value_typeEPNSP_ISK_E10value_typeEPSL_NS1_7vsmem_tEENKUlT_SJ_SK_SL_E_clISE_PiSF_SF_EESI_SY_SJ_SK_SL_EUlSY_E1_NS1_11comp_targetILNS1_3genE10ELNS1_11target_archE1201ELNS1_3gpuE5ELNS1_3repE0EEENS1_36merge_oddeven_config_static_selectorELNS0_4arch9wavefront6targetE1EEEvSK_,"axG",@progbits,_ZN7rocprim17ROCPRIM_400000_NS6detail17trampoline_kernelINS0_14default_configENS1_38merge_sort_block_merge_config_selectorIiNS0_10empty_typeEEEZZNS1_27merge_sort_block_merge_implIS3_N6thrust23THRUST_200600_302600_NS6detail15normal_iteratorINS9_10device_ptrIiEEEEPS5_m14custom_greaterIiEEE10hipError_tT0_T1_T2_jT3_P12ihipStream_tbPNSt15iterator_traitsISJ_E10value_typeEPNSP_ISK_E10value_typeEPSL_NS1_7vsmem_tEENKUlT_SJ_SK_SL_E_clISE_PiSF_SF_EESI_SY_SJ_SK_SL_EUlSY_E1_NS1_11comp_targetILNS1_3genE10ELNS1_11target_archE1201ELNS1_3gpuE5ELNS1_3repE0EEENS1_36merge_oddeven_config_static_selectorELNS0_4arch9wavefront6targetE1EEEvSK_,comdat
.Lfunc_end3129:
	.size	_ZN7rocprim17ROCPRIM_400000_NS6detail17trampoline_kernelINS0_14default_configENS1_38merge_sort_block_merge_config_selectorIiNS0_10empty_typeEEEZZNS1_27merge_sort_block_merge_implIS3_N6thrust23THRUST_200600_302600_NS6detail15normal_iteratorINS9_10device_ptrIiEEEEPS5_m14custom_greaterIiEEE10hipError_tT0_T1_T2_jT3_P12ihipStream_tbPNSt15iterator_traitsISJ_E10value_typeEPNSP_ISK_E10value_typeEPSL_NS1_7vsmem_tEENKUlT_SJ_SK_SL_E_clISE_PiSF_SF_EESI_SY_SJ_SK_SL_EUlSY_E1_NS1_11comp_targetILNS1_3genE10ELNS1_11target_archE1201ELNS1_3gpuE5ELNS1_3repE0EEENS1_36merge_oddeven_config_static_selectorELNS0_4arch9wavefront6targetE1EEEvSK_, .Lfunc_end3129-_ZN7rocprim17ROCPRIM_400000_NS6detail17trampoline_kernelINS0_14default_configENS1_38merge_sort_block_merge_config_selectorIiNS0_10empty_typeEEEZZNS1_27merge_sort_block_merge_implIS3_N6thrust23THRUST_200600_302600_NS6detail15normal_iteratorINS9_10device_ptrIiEEEEPS5_m14custom_greaterIiEEE10hipError_tT0_T1_T2_jT3_P12ihipStream_tbPNSt15iterator_traitsISJ_E10value_typeEPNSP_ISK_E10value_typeEPSL_NS1_7vsmem_tEENKUlT_SJ_SK_SL_E_clISE_PiSF_SF_EESI_SY_SJ_SK_SL_EUlSY_E1_NS1_11comp_targetILNS1_3genE10ELNS1_11target_archE1201ELNS1_3gpuE5ELNS1_3repE0EEENS1_36merge_oddeven_config_static_selectorELNS0_4arch9wavefront6targetE1EEEvSK_
                                        ; -- End function
	.section	.AMDGPU.csdata,"",@progbits
; Kernel info:
; codeLenInByte = 0
; NumSgprs: 4
; NumVgprs: 0
; NumAgprs: 0
; TotalNumVgprs: 0
; ScratchSize: 0
; MemoryBound: 0
; FloatMode: 240
; IeeeMode: 1
; LDSByteSize: 0 bytes/workgroup (compile time only)
; SGPRBlocks: 0
; VGPRBlocks: 0
; NumSGPRsForWavesPerEU: 4
; NumVGPRsForWavesPerEU: 1
; AccumOffset: 4
; Occupancy: 8
; WaveLimiterHint : 0
; COMPUTE_PGM_RSRC2:SCRATCH_EN: 0
; COMPUTE_PGM_RSRC2:USER_SGPR: 6
; COMPUTE_PGM_RSRC2:TRAP_HANDLER: 0
; COMPUTE_PGM_RSRC2:TGID_X_EN: 1
; COMPUTE_PGM_RSRC2:TGID_Y_EN: 0
; COMPUTE_PGM_RSRC2:TGID_Z_EN: 0
; COMPUTE_PGM_RSRC2:TIDIG_COMP_CNT: 0
; COMPUTE_PGM_RSRC3_GFX90A:ACCUM_OFFSET: 0
; COMPUTE_PGM_RSRC3_GFX90A:TG_SPLIT: 0
	.section	.text._ZN7rocprim17ROCPRIM_400000_NS6detail17trampoline_kernelINS0_14default_configENS1_38merge_sort_block_merge_config_selectorIiNS0_10empty_typeEEEZZNS1_27merge_sort_block_merge_implIS3_N6thrust23THRUST_200600_302600_NS6detail15normal_iteratorINS9_10device_ptrIiEEEEPS5_m14custom_greaterIiEEE10hipError_tT0_T1_T2_jT3_P12ihipStream_tbPNSt15iterator_traitsISJ_E10value_typeEPNSP_ISK_E10value_typeEPSL_NS1_7vsmem_tEENKUlT_SJ_SK_SL_E_clISE_PiSF_SF_EESI_SY_SJ_SK_SL_EUlSY_E1_NS1_11comp_targetILNS1_3genE5ELNS1_11target_archE942ELNS1_3gpuE9ELNS1_3repE0EEENS1_36merge_oddeven_config_static_selectorELNS0_4arch9wavefront6targetE1EEEvSK_,"axG",@progbits,_ZN7rocprim17ROCPRIM_400000_NS6detail17trampoline_kernelINS0_14default_configENS1_38merge_sort_block_merge_config_selectorIiNS0_10empty_typeEEEZZNS1_27merge_sort_block_merge_implIS3_N6thrust23THRUST_200600_302600_NS6detail15normal_iteratorINS9_10device_ptrIiEEEEPS5_m14custom_greaterIiEEE10hipError_tT0_T1_T2_jT3_P12ihipStream_tbPNSt15iterator_traitsISJ_E10value_typeEPNSP_ISK_E10value_typeEPSL_NS1_7vsmem_tEENKUlT_SJ_SK_SL_E_clISE_PiSF_SF_EESI_SY_SJ_SK_SL_EUlSY_E1_NS1_11comp_targetILNS1_3genE5ELNS1_11target_archE942ELNS1_3gpuE9ELNS1_3repE0EEENS1_36merge_oddeven_config_static_selectorELNS0_4arch9wavefront6targetE1EEEvSK_,comdat
	.protected	_ZN7rocprim17ROCPRIM_400000_NS6detail17trampoline_kernelINS0_14default_configENS1_38merge_sort_block_merge_config_selectorIiNS0_10empty_typeEEEZZNS1_27merge_sort_block_merge_implIS3_N6thrust23THRUST_200600_302600_NS6detail15normal_iteratorINS9_10device_ptrIiEEEEPS5_m14custom_greaterIiEEE10hipError_tT0_T1_T2_jT3_P12ihipStream_tbPNSt15iterator_traitsISJ_E10value_typeEPNSP_ISK_E10value_typeEPSL_NS1_7vsmem_tEENKUlT_SJ_SK_SL_E_clISE_PiSF_SF_EESI_SY_SJ_SK_SL_EUlSY_E1_NS1_11comp_targetILNS1_3genE5ELNS1_11target_archE942ELNS1_3gpuE9ELNS1_3repE0EEENS1_36merge_oddeven_config_static_selectorELNS0_4arch9wavefront6targetE1EEEvSK_ ; -- Begin function _ZN7rocprim17ROCPRIM_400000_NS6detail17trampoline_kernelINS0_14default_configENS1_38merge_sort_block_merge_config_selectorIiNS0_10empty_typeEEEZZNS1_27merge_sort_block_merge_implIS3_N6thrust23THRUST_200600_302600_NS6detail15normal_iteratorINS9_10device_ptrIiEEEEPS5_m14custom_greaterIiEEE10hipError_tT0_T1_T2_jT3_P12ihipStream_tbPNSt15iterator_traitsISJ_E10value_typeEPNSP_ISK_E10value_typeEPSL_NS1_7vsmem_tEENKUlT_SJ_SK_SL_E_clISE_PiSF_SF_EESI_SY_SJ_SK_SL_EUlSY_E1_NS1_11comp_targetILNS1_3genE5ELNS1_11target_archE942ELNS1_3gpuE9ELNS1_3repE0EEENS1_36merge_oddeven_config_static_selectorELNS0_4arch9wavefront6targetE1EEEvSK_
	.globl	_ZN7rocprim17ROCPRIM_400000_NS6detail17trampoline_kernelINS0_14default_configENS1_38merge_sort_block_merge_config_selectorIiNS0_10empty_typeEEEZZNS1_27merge_sort_block_merge_implIS3_N6thrust23THRUST_200600_302600_NS6detail15normal_iteratorINS9_10device_ptrIiEEEEPS5_m14custom_greaterIiEEE10hipError_tT0_T1_T2_jT3_P12ihipStream_tbPNSt15iterator_traitsISJ_E10value_typeEPNSP_ISK_E10value_typeEPSL_NS1_7vsmem_tEENKUlT_SJ_SK_SL_E_clISE_PiSF_SF_EESI_SY_SJ_SK_SL_EUlSY_E1_NS1_11comp_targetILNS1_3genE5ELNS1_11target_archE942ELNS1_3gpuE9ELNS1_3repE0EEENS1_36merge_oddeven_config_static_selectorELNS0_4arch9wavefront6targetE1EEEvSK_
	.p2align	8
	.type	_ZN7rocprim17ROCPRIM_400000_NS6detail17trampoline_kernelINS0_14default_configENS1_38merge_sort_block_merge_config_selectorIiNS0_10empty_typeEEEZZNS1_27merge_sort_block_merge_implIS3_N6thrust23THRUST_200600_302600_NS6detail15normal_iteratorINS9_10device_ptrIiEEEEPS5_m14custom_greaterIiEEE10hipError_tT0_T1_T2_jT3_P12ihipStream_tbPNSt15iterator_traitsISJ_E10value_typeEPNSP_ISK_E10value_typeEPSL_NS1_7vsmem_tEENKUlT_SJ_SK_SL_E_clISE_PiSF_SF_EESI_SY_SJ_SK_SL_EUlSY_E1_NS1_11comp_targetILNS1_3genE5ELNS1_11target_archE942ELNS1_3gpuE9ELNS1_3repE0EEENS1_36merge_oddeven_config_static_selectorELNS0_4arch9wavefront6targetE1EEEvSK_,@function
_ZN7rocprim17ROCPRIM_400000_NS6detail17trampoline_kernelINS0_14default_configENS1_38merge_sort_block_merge_config_selectorIiNS0_10empty_typeEEEZZNS1_27merge_sort_block_merge_implIS3_N6thrust23THRUST_200600_302600_NS6detail15normal_iteratorINS9_10device_ptrIiEEEEPS5_m14custom_greaterIiEEE10hipError_tT0_T1_T2_jT3_P12ihipStream_tbPNSt15iterator_traitsISJ_E10value_typeEPNSP_ISK_E10value_typeEPSL_NS1_7vsmem_tEENKUlT_SJ_SK_SL_E_clISE_PiSF_SF_EESI_SY_SJ_SK_SL_EUlSY_E1_NS1_11comp_targetILNS1_3genE5ELNS1_11target_archE942ELNS1_3gpuE9ELNS1_3repE0EEENS1_36merge_oddeven_config_static_selectorELNS0_4arch9wavefront6targetE1EEEvSK_: ; @_ZN7rocprim17ROCPRIM_400000_NS6detail17trampoline_kernelINS0_14default_configENS1_38merge_sort_block_merge_config_selectorIiNS0_10empty_typeEEEZZNS1_27merge_sort_block_merge_implIS3_N6thrust23THRUST_200600_302600_NS6detail15normal_iteratorINS9_10device_ptrIiEEEEPS5_m14custom_greaterIiEEE10hipError_tT0_T1_T2_jT3_P12ihipStream_tbPNSt15iterator_traitsISJ_E10value_typeEPNSP_ISK_E10value_typeEPSL_NS1_7vsmem_tEENKUlT_SJ_SK_SL_E_clISE_PiSF_SF_EESI_SY_SJ_SK_SL_EUlSY_E1_NS1_11comp_targetILNS1_3genE5ELNS1_11target_archE942ELNS1_3gpuE9ELNS1_3repE0EEENS1_36merge_oddeven_config_static_selectorELNS0_4arch9wavefront6targetE1EEEvSK_
; %bb.0:
	.section	.rodata,"a",@progbits
	.p2align	6, 0x0
	.amdhsa_kernel _ZN7rocprim17ROCPRIM_400000_NS6detail17trampoline_kernelINS0_14default_configENS1_38merge_sort_block_merge_config_selectorIiNS0_10empty_typeEEEZZNS1_27merge_sort_block_merge_implIS3_N6thrust23THRUST_200600_302600_NS6detail15normal_iteratorINS9_10device_ptrIiEEEEPS5_m14custom_greaterIiEEE10hipError_tT0_T1_T2_jT3_P12ihipStream_tbPNSt15iterator_traitsISJ_E10value_typeEPNSP_ISK_E10value_typeEPSL_NS1_7vsmem_tEENKUlT_SJ_SK_SL_E_clISE_PiSF_SF_EESI_SY_SJ_SK_SL_EUlSY_E1_NS1_11comp_targetILNS1_3genE5ELNS1_11target_archE942ELNS1_3gpuE9ELNS1_3repE0EEENS1_36merge_oddeven_config_static_selectorELNS0_4arch9wavefront6targetE1EEEvSK_
		.amdhsa_group_segment_fixed_size 0
		.amdhsa_private_segment_fixed_size 0
		.amdhsa_kernarg_size 56
		.amdhsa_user_sgpr_count 6
		.amdhsa_user_sgpr_private_segment_buffer 1
		.amdhsa_user_sgpr_dispatch_ptr 0
		.amdhsa_user_sgpr_queue_ptr 0
		.amdhsa_user_sgpr_kernarg_segment_ptr 1
		.amdhsa_user_sgpr_dispatch_id 0
		.amdhsa_user_sgpr_flat_scratch_init 0
		.amdhsa_user_sgpr_kernarg_preload_length 0
		.amdhsa_user_sgpr_kernarg_preload_offset 0
		.amdhsa_user_sgpr_private_segment_size 0
		.amdhsa_uses_dynamic_stack 0
		.amdhsa_system_sgpr_private_segment_wavefront_offset 0
		.amdhsa_system_sgpr_workgroup_id_x 1
		.amdhsa_system_sgpr_workgroup_id_y 0
		.amdhsa_system_sgpr_workgroup_id_z 0
		.amdhsa_system_sgpr_workgroup_info 0
		.amdhsa_system_vgpr_workitem_id 0
		.amdhsa_next_free_vgpr 1
		.amdhsa_next_free_sgpr 0
		.amdhsa_accum_offset 4
		.amdhsa_reserve_vcc 0
		.amdhsa_reserve_flat_scratch 0
		.amdhsa_float_round_mode_32 0
		.amdhsa_float_round_mode_16_64 0
		.amdhsa_float_denorm_mode_32 3
		.amdhsa_float_denorm_mode_16_64 3
		.amdhsa_dx10_clamp 1
		.amdhsa_ieee_mode 1
		.amdhsa_fp16_overflow 0
		.amdhsa_tg_split 0
		.amdhsa_exception_fp_ieee_invalid_op 0
		.amdhsa_exception_fp_denorm_src 0
		.amdhsa_exception_fp_ieee_div_zero 0
		.amdhsa_exception_fp_ieee_overflow 0
		.amdhsa_exception_fp_ieee_underflow 0
		.amdhsa_exception_fp_ieee_inexact 0
		.amdhsa_exception_int_div_zero 0
	.end_amdhsa_kernel
	.section	.text._ZN7rocprim17ROCPRIM_400000_NS6detail17trampoline_kernelINS0_14default_configENS1_38merge_sort_block_merge_config_selectorIiNS0_10empty_typeEEEZZNS1_27merge_sort_block_merge_implIS3_N6thrust23THRUST_200600_302600_NS6detail15normal_iteratorINS9_10device_ptrIiEEEEPS5_m14custom_greaterIiEEE10hipError_tT0_T1_T2_jT3_P12ihipStream_tbPNSt15iterator_traitsISJ_E10value_typeEPNSP_ISK_E10value_typeEPSL_NS1_7vsmem_tEENKUlT_SJ_SK_SL_E_clISE_PiSF_SF_EESI_SY_SJ_SK_SL_EUlSY_E1_NS1_11comp_targetILNS1_3genE5ELNS1_11target_archE942ELNS1_3gpuE9ELNS1_3repE0EEENS1_36merge_oddeven_config_static_selectorELNS0_4arch9wavefront6targetE1EEEvSK_,"axG",@progbits,_ZN7rocprim17ROCPRIM_400000_NS6detail17trampoline_kernelINS0_14default_configENS1_38merge_sort_block_merge_config_selectorIiNS0_10empty_typeEEEZZNS1_27merge_sort_block_merge_implIS3_N6thrust23THRUST_200600_302600_NS6detail15normal_iteratorINS9_10device_ptrIiEEEEPS5_m14custom_greaterIiEEE10hipError_tT0_T1_T2_jT3_P12ihipStream_tbPNSt15iterator_traitsISJ_E10value_typeEPNSP_ISK_E10value_typeEPSL_NS1_7vsmem_tEENKUlT_SJ_SK_SL_E_clISE_PiSF_SF_EESI_SY_SJ_SK_SL_EUlSY_E1_NS1_11comp_targetILNS1_3genE5ELNS1_11target_archE942ELNS1_3gpuE9ELNS1_3repE0EEENS1_36merge_oddeven_config_static_selectorELNS0_4arch9wavefront6targetE1EEEvSK_,comdat
.Lfunc_end3130:
	.size	_ZN7rocprim17ROCPRIM_400000_NS6detail17trampoline_kernelINS0_14default_configENS1_38merge_sort_block_merge_config_selectorIiNS0_10empty_typeEEEZZNS1_27merge_sort_block_merge_implIS3_N6thrust23THRUST_200600_302600_NS6detail15normal_iteratorINS9_10device_ptrIiEEEEPS5_m14custom_greaterIiEEE10hipError_tT0_T1_T2_jT3_P12ihipStream_tbPNSt15iterator_traitsISJ_E10value_typeEPNSP_ISK_E10value_typeEPSL_NS1_7vsmem_tEENKUlT_SJ_SK_SL_E_clISE_PiSF_SF_EESI_SY_SJ_SK_SL_EUlSY_E1_NS1_11comp_targetILNS1_3genE5ELNS1_11target_archE942ELNS1_3gpuE9ELNS1_3repE0EEENS1_36merge_oddeven_config_static_selectorELNS0_4arch9wavefront6targetE1EEEvSK_, .Lfunc_end3130-_ZN7rocprim17ROCPRIM_400000_NS6detail17trampoline_kernelINS0_14default_configENS1_38merge_sort_block_merge_config_selectorIiNS0_10empty_typeEEEZZNS1_27merge_sort_block_merge_implIS3_N6thrust23THRUST_200600_302600_NS6detail15normal_iteratorINS9_10device_ptrIiEEEEPS5_m14custom_greaterIiEEE10hipError_tT0_T1_T2_jT3_P12ihipStream_tbPNSt15iterator_traitsISJ_E10value_typeEPNSP_ISK_E10value_typeEPSL_NS1_7vsmem_tEENKUlT_SJ_SK_SL_E_clISE_PiSF_SF_EESI_SY_SJ_SK_SL_EUlSY_E1_NS1_11comp_targetILNS1_3genE5ELNS1_11target_archE942ELNS1_3gpuE9ELNS1_3repE0EEENS1_36merge_oddeven_config_static_selectorELNS0_4arch9wavefront6targetE1EEEvSK_
                                        ; -- End function
	.section	.AMDGPU.csdata,"",@progbits
; Kernel info:
; codeLenInByte = 0
; NumSgprs: 4
; NumVgprs: 0
; NumAgprs: 0
; TotalNumVgprs: 0
; ScratchSize: 0
; MemoryBound: 0
; FloatMode: 240
; IeeeMode: 1
; LDSByteSize: 0 bytes/workgroup (compile time only)
; SGPRBlocks: 0
; VGPRBlocks: 0
; NumSGPRsForWavesPerEU: 4
; NumVGPRsForWavesPerEU: 1
; AccumOffset: 4
; Occupancy: 8
; WaveLimiterHint : 0
; COMPUTE_PGM_RSRC2:SCRATCH_EN: 0
; COMPUTE_PGM_RSRC2:USER_SGPR: 6
; COMPUTE_PGM_RSRC2:TRAP_HANDLER: 0
; COMPUTE_PGM_RSRC2:TGID_X_EN: 1
; COMPUTE_PGM_RSRC2:TGID_Y_EN: 0
; COMPUTE_PGM_RSRC2:TGID_Z_EN: 0
; COMPUTE_PGM_RSRC2:TIDIG_COMP_CNT: 0
; COMPUTE_PGM_RSRC3_GFX90A:ACCUM_OFFSET: 0
; COMPUTE_PGM_RSRC3_GFX90A:TG_SPLIT: 0
	.section	.text._ZN7rocprim17ROCPRIM_400000_NS6detail17trampoline_kernelINS0_14default_configENS1_38merge_sort_block_merge_config_selectorIiNS0_10empty_typeEEEZZNS1_27merge_sort_block_merge_implIS3_N6thrust23THRUST_200600_302600_NS6detail15normal_iteratorINS9_10device_ptrIiEEEEPS5_m14custom_greaterIiEEE10hipError_tT0_T1_T2_jT3_P12ihipStream_tbPNSt15iterator_traitsISJ_E10value_typeEPNSP_ISK_E10value_typeEPSL_NS1_7vsmem_tEENKUlT_SJ_SK_SL_E_clISE_PiSF_SF_EESI_SY_SJ_SK_SL_EUlSY_E1_NS1_11comp_targetILNS1_3genE4ELNS1_11target_archE910ELNS1_3gpuE8ELNS1_3repE0EEENS1_36merge_oddeven_config_static_selectorELNS0_4arch9wavefront6targetE1EEEvSK_,"axG",@progbits,_ZN7rocprim17ROCPRIM_400000_NS6detail17trampoline_kernelINS0_14default_configENS1_38merge_sort_block_merge_config_selectorIiNS0_10empty_typeEEEZZNS1_27merge_sort_block_merge_implIS3_N6thrust23THRUST_200600_302600_NS6detail15normal_iteratorINS9_10device_ptrIiEEEEPS5_m14custom_greaterIiEEE10hipError_tT0_T1_T2_jT3_P12ihipStream_tbPNSt15iterator_traitsISJ_E10value_typeEPNSP_ISK_E10value_typeEPSL_NS1_7vsmem_tEENKUlT_SJ_SK_SL_E_clISE_PiSF_SF_EESI_SY_SJ_SK_SL_EUlSY_E1_NS1_11comp_targetILNS1_3genE4ELNS1_11target_archE910ELNS1_3gpuE8ELNS1_3repE0EEENS1_36merge_oddeven_config_static_selectorELNS0_4arch9wavefront6targetE1EEEvSK_,comdat
	.protected	_ZN7rocprim17ROCPRIM_400000_NS6detail17trampoline_kernelINS0_14default_configENS1_38merge_sort_block_merge_config_selectorIiNS0_10empty_typeEEEZZNS1_27merge_sort_block_merge_implIS3_N6thrust23THRUST_200600_302600_NS6detail15normal_iteratorINS9_10device_ptrIiEEEEPS5_m14custom_greaterIiEEE10hipError_tT0_T1_T2_jT3_P12ihipStream_tbPNSt15iterator_traitsISJ_E10value_typeEPNSP_ISK_E10value_typeEPSL_NS1_7vsmem_tEENKUlT_SJ_SK_SL_E_clISE_PiSF_SF_EESI_SY_SJ_SK_SL_EUlSY_E1_NS1_11comp_targetILNS1_3genE4ELNS1_11target_archE910ELNS1_3gpuE8ELNS1_3repE0EEENS1_36merge_oddeven_config_static_selectorELNS0_4arch9wavefront6targetE1EEEvSK_ ; -- Begin function _ZN7rocprim17ROCPRIM_400000_NS6detail17trampoline_kernelINS0_14default_configENS1_38merge_sort_block_merge_config_selectorIiNS0_10empty_typeEEEZZNS1_27merge_sort_block_merge_implIS3_N6thrust23THRUST_200600_302600_NS6detail15normal_iteratorINS9_10device_ptrIiEEEEPS5_m14custom_greaterIiEEE10hipError_tT0_T1_T2_jT3_P12ihipStream_tbPNSt15iterator_traitsISJ_E10value_typeEPNSP_ISK_E10value_typeEPSL_NS1_7vsmem_tEENKUlT_SJ_SK_SL_E_clISE_PiSF_SF_EESI_SY_SJ_SK_SL_EUlSY_E1_NS1_11comp_targetILNS1_3genE4ELNS1_11target_archE910ELNS1_3gpuE8ELNS1_3repE0EEENS1_36merge_oddeven_config_static_selectorELNS0_4arch9wavefront6targetE1EEEvSK_
	.globl	_ZN7rocprim17ROCPRIM_400000_NS6detail17trampoline_kernelINS0_14default_configENS1_38merge_sort_block_merge_config_selectorIiNS0_10empty_typeEEEZZNS1_27merge_sort_block_merge_implIS3_N6thrust23THRUST_200600_302600_NS6detail15normal_iteratorINS9_10device_ptrIiEEEEPS5_m14custom_greaterIiEEE10hipError_tT0_T1_T2_jT3_P12ihipStream_tbPNSt15iterator_traitsISJ_E10value_typeEPNSP_ISK_E10value_typeEPSL_NS1_7vsmem_tEENKUlT_SJ_SK_SL_E_clISE_PiSF_SF_EESI_SY_SJ_SK_SL_EUlSY_E1_NS1_11comp_targetILNS1_3genE4ELNS1_11target_archE910ELNS1_3gpuE8ELNS1_3repE0EEENS1_36merge_oddeven_config_static_selectorELNS0_4arch9wavefront6targetE1EEEvSK_
	.p2align	8
	.type	_ZN7rocprim17ROCPRIM_400000_NS6detail17trampoline_kernelINS0_14default_configENS1_38merge_sort_block_merge_config_selectorIiNS0_10empty_typeEEEZZNS1_27merge_sort_block_merge_implIS3_N6thrust23THRUST_200600_302600_NS6detail15normal_iteratorINS9_10device_ptrIiEEEEPS5_m14custom_greaterIiEEE10hipError_tT0_T1_T2_jT3_P12ihipStream_tbPNSt15iterator_traitsISJ_E10value_typeEPNSP_ISK_E10value_typeEPSL_NS1_7vsmem_tEENKUlT_SJ_SK_SL_E_clISE_PiSF_SF_EESI_SY_SJ_SK_SL_EUlSY_E1_NS1_11comp_targetILNS1_3genE4ELNS1_11target_archE910ELNS1_3gpuE8ELNS1_3repE0EEENS1_36merge_oddeven_config_static_selectorELNS0_4arch9wavefront6targetE1EEEvSK_,@function
_ZN7rocprim17ROCPRIM_400000_NS6detail17trampoline_kernelINS0_14default_configENS1_38merge_sort_block_merge_config_selectorIiNS0_10empty_typeEEEZZNS1_27merge_sort_block_merge_implIS3_N6thrust23THRUST_200600_302600_NS6detail15normal_iteratorINS9_10device_ptrIiEEEEPS5_m14custom_greaterIiEEE10hipError_tT0_T1_T2_jT3_P12ihipStream_tbPNSt15iterator_traitsISJ_E10value_typeEPNSP_ISK_E10value_typeEPSL_NS1_7vsmem_tEENKUlT_SJ_SK_SL_E_clISE_PiSF_SF_EESI_SY_SJ_SK_SL_EUlSY_E1_NS1_11comp_targetILNS1_3genE4ELNS1_11target_archE910ELNS1_3gpuE8ELNS1_3repE0EEENS1_36merge_oddeven_config_static_selectorELNS0_4arch9wavefront6targetE1EEEvSK_: ; @_ZN7rocprim17ROCPRIM_400000_NS6detail17trampoline_kernelINS0_14default_configENS1_38merge_sort_block_merge_config_selectorIiNS0_10empty_typeEEEZZNS1_27merge_sort_block_merge_implIS3_N6thrust23THRUST_200600_302600_NS6detail15normal_iteratorINS9_10device_ptrIiEEEEPS5_m14custom_greaterIiEEE10hipError_tT0_T1_T2_jT3_P12ihipStream_tbPNSt15iterator_traitsISJ_E10value_typeEPNSP_ISK_E10value_typeEPSL_NS1_7vsmem_tEENKUlT_SJ_SK_SL_E_clISE_PiSF_SF_EESI_SY_SJ_SK_SL_EUlSY_E1_NS1_11comp_targetILNS1_3genE4ELNS1_11target_archE910ELNS1_3gpuE8ELNS1_3repE0EEENS1_36merge_oddeven_config_static_selectorELNS0_4arch9wavefront6targetE1EEEvSK_
; %bb.0:
	s_load_dword s18, s[4:5], 0x20
	s_waitcnt lgkmcnt(0)
	s_lshr_b32 s0, s18, 8
	s_cmp_lg_u32 s6, s0
	s_cselect_b64 s[14:15], -1, 0
	s_cmp_eq_u32 s6, s0
	s_cselect_b64 s[12:13], -1, 0
	s_lshl_b32 s16, s6, 8
	s_sub_i32 s0, s18, s16
	v_cmp_gt_u32_e64 s[2:3], s0, v0
	s_or_b64 s[0:1], s[14:15], s[2:3]
	s_and_saveexec_b64 s[8:9], s[0:1]
	s_cbranch_execz .LBB3131_20
; %bb.1:
	s_load_dwordx4 s[8:11], s[4:5], 0x0
	s_load_dword s19, s[4:5], 0x28
	s_mov_b32 s17, 0
	s_lshl_b64 s[0:1], s[16:17], 2
	v_lshlrev_b32_e32 v1, 2, v0
	s_waitcnt lgkmcnt(0)
	s_add_u32 s0, s8, s0
	s_addc_u32 s1, s9, s1
	global_load_dword v2, v1, s[0:1]
	s_lshr_b32 s0, s19, 8
	s_sub_i32 s1, 0, s0
	s_and_b32 s1, s6, s1
	s_and_b32 s0, s1, s0
	s_lshl_b32 s20, s1, 8
	s_sub_i32 s6, 0, s19
	s_cmp_eq_u32 s0, 0
	s_cselect_b64 s[0:1], -1, 0
	s_and_b64 s[4:5], s[0:1], exec
	s_cselect_b32 s17, s19, s6
	s_add_i32 s17, s17, s20
	s_cmp_lt_u32 s17, s18
	v_add_u32_e32 v0, s16, v0
	s_cbranch_scc1 .LBB3131_3
; %bb.2:
	v_cmp_gt_u32_e32 vcc, s18, v0
	s_or_b64 s[4:5], vcc, s[14:15]
	s_and_b64 s[4:5], s[4:5], exec
	s_cbranch_execz .LBB3131_4
	s_branch .LBB3131_18
.LBB3131_3:
	s_mov_b64 s[4:5], 0
.LBB3131_4:
	s_min_u32 s14, s17, s18
	s_add_i32 s6, s14, s19
	s_min_u32 s15, s6, s18
	s_min_u32 s6, s20, s14
	s_add_i32 s20, s20, s14
	v_subrev_u32_e32 v0, s20, v0
	v_add_u32_e32 v3, s6, v0
	s_and_b64 vcc, exec, s[12:13]
	s_cbranch_vccz .LBB3131_12
; %bb.5:
                                        ; implicit-def: $vgpr0
	s_and_saveexec_b64 s[6:7], s[2:3]
	s_cbranch_execz .LBB3131_11
; %bb.6:
	s_cmp_ge_u32 s17, s15
	v_mov_b32_e32 v4, s14
	s_cbranch_scc1 .LBB3131_10
; %bb.7:
	s_mov_b64 s[2:3], 0
	v_mov_b32_e32 v5, s15
	v_mov_b32_e32 v4, s14
	;; [unrolled: 1-line block ×4, first 2 shown]
.LBB3131_8:                             ; =>This Inner Loop Header: Depth=1
	v_add_u32_e32 v0, v4, v5
	v_lshrrev_b32_e32 v0, 1, v0
	v_lshlrev_b64 v[8:9], 2, v[0:1]
	v_add_co_u32_e32 v8, vcc, s8, v8
	v_addc_co_u32_e32 v9, vcc, v6, v9, vcc
	global_load_dword v7, v[8:9], off
	v_add_u32_e32 v8, 1, v0
	s_waitcnt vmcnt(0)
	v_cmp_gt_i32_e32 vcc, v2, v7
	v_cndmask_b32_e64 v9, 0, 1, vcc
	v_cmp_le_i32_e32 vcc, v7, v2
	v_cndmask_b32_e64 v7, 0, 1, vcc
	v_cndmask_b32_e64 v7, v7, v9, s[0:1]
	v_and_b32_e32 v7, 1, v7
	v_cmp_eq_u32_e32 vcc, 1, v7
	v_cndmask_b32_e32 v5, v0, v5, vcc
	v_cndmask_b32_e32 v4, v4, v8, vcc
	v_cmp_ge_u32_e32 vcc, v4, v5
	s_or_b64 s[2:3], vcc, s[2:3]
	s_andn2_b64 exec, exec, s[2:3]
	s_cbranch_execnz .LBB3131_8
; %bb.9:
	s_or_b64 exec, exec, s[2:3]
.LBB3131_10:
	v_add_u32_e32 v0, v4, v3
	s_or_b64 s[4:5], s[4:5], exec
.LBB3131_11:
	s_or_b64 exec, exec, s[6:7]
	s_branch .LBB3131_18
.LBB3131_12:
                                        ; implicit-def: $vgpr0
	s_cbranch_execz .LBB3131_18
; %bb.13:
	s_cmp_ge_u32 s17, s15
	v_mov_b32_e32 v4, s14
	s_cbranch_scc1 .LBB3131_17
; %bb.14:
	s_mov_b64 s[2:3], 0
	v_mov_b32_e32 v5, s15
	v_mov_b32_e32 v4, s14
	;; [unrolled: 1-line block ×4, first 2 shown]
.LBB3131_15:                            ; =>This Inner Loop Header: Depth=1
	v_add_u32_e32 v0, v4, v5
	v_lshrrev_b32_e32 v0, 1, v0
	v_lshlrev_b64 v[8:9], 2, v[0:1]
	v_add_co_u32_e32 v8, vcc, s8, v8
	v_addc_co_u32_e32 v9, vcc, v6, v9, vcc
	global_load_dword v7, v[8:9], off
	v_add_u32_e32 v8, 1, v0
	s_waitcnt vmcnt(0)
	v_cmp_gt_i32_e32 vcc, v2, v7
	v_cndmask_b32_e64 v9, 0, 1, vcc
	v_cmp_le_i32_e32 vcc, v7, v2
	v_cndmask_b32_e64 v7, 0, 1, vcc
	v_cndmask_b32_e64 v7, v7, v9, s[0:1]
	v_and_b32_e32 v7, 1, v7
	v_cmp_eq_u32_e32 vcc, 1, v7
	v_cndmask_b32_e32 v5, v0, v5, vcc
	v_cndmask_b32_e32 v4, v4, v8, vcc
	v_cmp_ge_u32_e32 vcc, v4, v5
	s_or_b64 s[2:3], vcc, s[2:3]
	s_andn2_b64 exec, exec, s[2:3]
	s_cbranch_execnz .LBB3131_15
; %bb.16:
	s_or_b64 exec, exec, s[2:3]
.LBB3131_17:
	v_add_u32_e32 v0, v4, v3
	s_mov_b64 s[4:5], -1
.LBB3131_18:
	s_and_b64 exec, exec, s[4:5]
	s_cbranch_execz .LBB3131_20
; %bb.19:
	v_mov_b32_e32 v1, 0
	v_lshlrev_b64 v[0:1], 2, v[0:1]
	v_mov_b32_e32 v3, s11
	v_add_co_u32_e32 v0, vcc, s10, v0
	v_addc_co_u32_e32 v1, vcc, v3, v1, vcc
	s_waitcnt vmcnt(0)
	global_store_dword v[0:1], v2, off
.LBB3131_20:
	s_endpgm
	.section	.rodata,"a",@progbits
	.p2align	6, 0x0
	.amdhsa_kernel _ZN7rocprim17ROCPRIM_400000_NS6detail17trampoline_kernelINS0_14default_configENS1_38merge_sort_block_merge_config_selectorIiNS0_10empty_typeEEEZZNS1_27merge_sort_block_merge_implIS3_N6thrust23THRUST_200600_302600_NS6detail15normal_iteratorINS9_10device_ptrIiEEEEPS5_m14custom_greaterIiEEE10hipError_tT0_T1_T2_jT3_P12ihipStream_tbPNSt15iterator_traitsISJ_E10value_typeEPNSP_ISK_E10value_typeEPSL_NS1_7vsmem_tEENKUlT_SJ_SK_SL_E_clISE_PiSF_SF_EESI_SY_SJ_SK_SL_EUlSY_E1_NS1_11comp_targetILNS1_3genE4ELNS1_11target_archE910ELNS1_3gpuE8ELNS1_3repE0EEENS1_36merge_oddeven_config_static_selectorELNS0_4arch9wavefront6targetE1EEEvSK_
		.amdhsa_group_segment_fixed_size 0
		.amdhsa_private_segment_fixed_size 0
		.amdhsa_kernarg_size 56
		.amdhsa_user_sgpr_count 6
		.amdhsa_user_sgpr_private_segment_buffer 1
		.amdhsa_user_sgpr_dispatch_ptr 0
		.amdhsa_user_sgpr_queue_ptr 0
		.amdhsa_user_sgpr_kernarg_segment_ptr 1
		.amdhsa_user_sgpr_dispatch_id 0
		.amdhsa_user_sgpr_flat_scratch_init 0
		.amdhsa_user_sgpr_kernarg_preload_length 0
		.amdhsa_user_sgpr_kernarg_preload_offset 0
		.amdhsa_user_sgpr_private_segment_size 0
		.amdhsa_uses_dynamic_stack 0
		.amdhsa_system_sgpr_private_segment_wavefront_offset 0
		.amdhsa_system_sgpr_workgroup_id_x 1
		.amdhsa_system_sgpr_workgroup_id_y 0
		.amdhsa_system_sgpr_workgroup_id_z 0
		.amdhsa_system_sgpr_workgroup_info 0
		.amdhsa_system_vgpr_workitem_id 0
		.amdhsa_next_free_vgpr 10
		.amdhsa_next_free_sgpr 21
		.amdhsa_accum_offset 12
		.amdhsa_reserve_vcc 1
		.amdhsa_reserve_flat_scratch 0
		.amdhsa_float_round_mode_32 0
		.amdhsa_float_round_mode_16_64 0
		.amdhsa_float_denorm_mode_32 3
		.amdhsa_float_denorm_mode_16_64 3
		.amdhsa_dx10_clamp 1
		.amdhsa_ieee_mode 1
		.amdhsa_fp16_overflow 0
		.amdhsa_tg_split 0
		.amdhsa_exception_fp_ieee_invalid_op 0
		.amdhsa_exception_fp_denorm_src 0
		.amdhsa_exception_fp_ieee_div_zero 0
		.amdhsa_exception_fp_ieee_overflow 0
		.amdhsa_exception_fp_ieee_underflow 0
		.amdhsa_exception_fp_ieee_inexact 0
		.amdhsa_exception_int_div_zero 0
	.end_amdhsa_kernel
	.section	.text._ZN7rocprim17ROCPRIM_400000_NS6detail17trampoline_kernelINS0_14default_configENS1_38merge_sort_block_merge_config_selectorIiNS0_10empty_typeEEEZZNS1_27merge_sort_block_merge_implIS3_N6thrust23THRUST_200600_302600_NS6detail15normal_iteratorINS9_10device_ptrIiEEEEPS5_m14custom_greaterIiEEE10hipError_tT0_T1_T2_jT3_P12ihipStream_tbPNSt15iterator_traitsISJ_E10value_typeEPNSP_ISK_E10value_typeEPSL_NS1_7vsmem_tEENKUlT_SJ_SK_SL_E_clISE_PiSF_SF_EESI_SY_SJ_SK_SL_EUlSY_E1_NS1_11comp_targetILNS1_3genE4ELNS1_11target_archE910ELNS1_3gpuE8ELNS1_3repE0EEENS1_36merge_oddeven_config_static_selectorELNS0_4arch9wavefront6targetE1EEEvSK_,"axG",@progbits,_ZN7rocprim17ROCPRIM_400000_NS6detail17trampoline_kernelINS0_14default_configENS1_38merge_sort_block_merge_config_selectorIiNS0_10empty_typeEEEZZNS1_27merge_sort_block_merge_implIS3_N6thrust23THRUST_200600_302600_NS6detail15normal_iteratorINS9_10device_ptrIiEEEEPS5_m14custom_greaterIiEEE10hipError_tT0_T1_T2_jT3_P12ihipStream_tbPNSt15iterator_traitsISJ_E10value_typeEPNSP_ISK_E10value_typeEPSL_NS1_7vsmem_tEENKUlT_SJ_SK_SL_E_clISE_PiSF_SF_EESI_SY_SJ_SK_SL_EUlSY_E1_NS1_11comp_targetILNS1_3genE4ELNS1_11target_archE910ELNS1_3gpuE8ELNS1_3repE0EEENS1_36merge_oddeven_config_static_selectorELNS0_4arch9wavefront6targetE1EEEvSK_,comdat
.Lfunc_end3131:
	.size	_ZN7rocprim17ROCPRIM_400000_NS6detail17trampoline_kernelINS0_14default_configENS1_38merge_sort_block_merge_config_selectorIiNS0_10empty_typeEEEZZNS1_27merge_sort_block_merge_implIS3_N6thrust23THRUST_200600_302600_NS6detail15normal_iteratorINS9_10device_ptrIiEEEEPS5_m14custom_greaterIiEEE10hipError_tT0_T1_T2_jT3_P12ihipStream_tbPNSt15iterator_traitsISJ_E10value_typeEPNSP_ISK_E10value_typeEPSL_NS1_7vsmem_tEENKUlT_SJ_SK_SL_E_clISE_PiSF_SF_EESI_SY_SJ_SK_SL_EUlSY_E1_NS1_11comp_targetILNS1_3genE4ELNS1_11target_archE910ELNS1_3gpuE8ELNS1_3repE0EEENS1_36merge_oddeven_config_static_selectorELNS0_4arch9wavefront6targetE1EEEvSK_, .Lfunc_end3131-_ZN7rocprim17ROCPRIM_400000_NS6detail17trampoline_kernelINS0_14default_configENS1_38merge_sort_block_merge_config_selectorIiNS0_10empty_typeEEEZZNS1_27merge_sort_block_merge_implIS3_N6thrust23THRUST_200600_302600_NS6detail15normal_iteratorINS9_10device_ptrIiEEEEPS5_m14custom_greaterIiEEE10hipError_tT0_T1_T2_jT3_P12ihipStream_tbPNSt15iterator_traitsISJ_E10value_typeEPNSP_ISK_E10value_typeEPSL_NS1_7vsmem_tEENKUlT_SJ_SK_SL_E_clISE_PiSF_SF_EESI_SY_SJ_SK_SL_EUlSY_E1_NS1_11comp_targetILNS1_3genE4ELNS1_11target_archE910ELNS1_3gpuE8ELNS1_3repE0EEENS1_36merge_oddeven_config_static_selectorELNS0_4arch9wavefront6targetE1EEEvSK_
                                        ; -- End function
	.section	.AMDGPU.csdata,"",@progbits
; Kernel info:
; codeLenInByte = 588
; NumSgprs: 25
; NumVgprs: 10
; NumAgprs: 0
; TotalNumVgprs: 10
; ScratchSize: 0
; MemoryBound: 0
; FloatMode: 240
; IeeeMode: 1
; LDSByteSize: 0 bytes/workgroup (compile time only)
; SGPRBlocks: 3
; VGPRBlocks: 1
; NumSGPRsForWavesPerEU: 25
; NumVGPRsForWavesPerEU: 10
; AccumOffset: 12
; Occupancy: 8
; WaveLimiterHint : 0
; COMPUTE_PGM_RSRC2:SCRATCH_EN: 0
; COMPUTE_PGM_RSRC2:USER_SGPR: 6
; COMPUTE_PGM_RSRC2:TRAP_HANDLER: 0
; COMPUTE_PGM_RSRC2:TGID_X_EN: 1
; COMPUTE_PGM_RSRC2:TGID_Y_EN: 0
; COMPUTE_PGM_RSRC2:TGID_Z_EN: 0
; COMPUTE_PGM_RSRC2:TIDIG_COMP_CNT: 0
; COMPUTE_PGM_RSRC3_GFX90A:ACCUM_OFFSET: 2
; COMPUTE_PGM_RSRC3_GFX90A:TG_SPLIT: 0
	.section	.text._ZN7rocprim17ROCPRIM_400000_NS6detail17trampoline_kernelINS0_14default_configENS1_38merge_sort_block_merge_config_selectorIiNS0_10empty_typeEEEZZNS1_27merge_sort_block_merge_implIS3_N6thrust23THRUST_200600_302600_NS6detail15normal_iteratorINS9_10device_ptrIiEEEEPS5_m14custom_greaterIiEEE10hipError_tT0_T1_T2_jT3_P12ihipStream_tbPNSt15iterator_traitsISJ_E10value_typeEPNSP_ISK_E10value_typeEPSL_NS1_7vsmem_tEENKUlT_SJ_SK_SL_E_clISE_PiSF_SF_EESI_SY_SJ_SK_SL_EUlSY_E1_NS1_11comp_targetILNS1_3genE3ELNS1_11target_archE908ELNS1_3gpuE7ELNS1_3repE0EEENS1_36merge_oddeven_config_static_selectorELNS0_4arch9wavefront6targetE1EEEvSK_,"axG",@progbits,_ZN7rocprim17ROCPRIM_400000_NS6detail17trampoline_kernelINS0_14default_configENS1_38merge_sort_block_merge_config_selectorIiNS0_10empty_typeEEEZZNS1_27merge_sort_block_merge_implIS3_N6thrust23THRUST_200600_302600_NS6detail15normal_iteratorINS9_10device_ptrIiEEEEPS5_m14custom_greaterIiEEE10hipError_tT0_T1_T2_jT3_P12ihipStream_tbPNSt15iterator_traitsISJ_E10value_typeEPNSP_ISK_E10value_typeEPSL_NS1_7vsmem_tEENKUlT_SJ_SK_SL_E_clISE_PiSF_SF_EESI_SY_SJ_SK_SL_EUlSY_E1_NS1_11comp_targetILNS1_3genE3ELNS1_11target_archE908ELNS1_3gpuE7ELNS1_3repE0EEENS1_36merge_oddeven_config_static_selectorELNS0_4arch9wavefront6targetE1EEEvSK_,comdat
	.protected	_ZN7rocprim17ROCPRIM_400000_NS6detail17trampoline_kernelINS0_14default_configENS1_38merge_sort_block_merge_config_selectorIiNS0_10empty_typeEEEZZNS1_27merge_sort_block_merge_implIS3_N6thrust23THRUST_200600_302600_NS6detail15normal_iteratorINS9_10device_ptrIiEEEEPS5_m14custom_greaterIiEEE10hipError_tT0_T1_T2_jT3_P12ihipStream_tbPNSt15iterator_traitsISJ_E10value_typeEPNSP_ISK_E10value_typeEPSL_NS1_7vsmem_tEENKUlT_SJ_SK_SL_E_clISE_PiSF_SF_EESI_SY_SJ_SK_SL_EUlSY_E1_NS1_11comp_targetILNS1_3genE3ELNS1_11target_archE908ELNS1_3gpuE7ELNS1_3repE0EEENS1_36merge_oddeven_config_static_selectorELNS0_4arch9wavefront6targetE1EEEvSK_ ; -- Begin function _ZN7rocprim17ROCPRIM_400000_NS6detail17trampoline_kernelINS0_14default_configENS1_38merge_sort_block_merge_config_selectorIiNS0_10empty_typeEEEZZNS1_27merge_sort_block_merge_implIS3_N6thrust23THRUST_200600_302600_NS6detail15normal_iteratorINS9_10device_ptrIiEEEEPS5_m14custom_greaterIiEEE10hipError_tT0_T1_T2_jT3_P12ihipStream_tbPNSt15iterator_traitsISJ_E10value_typeEPNSP_ISK_E10value_typeEPSL_NS1_7vsmem_tEENKUlT_SJ_SK_SL_E_clISE_PiSF_SF_EESI_SY_SJ_SK_SL_EUlSY_E1_NS1_11comp_targetILNS1_3genE3ELNS1_11target_archE908ELNS1_3gpuE7ELNS1_3repE0EEENS1_36merge_oddeven_config_static_selectorELNS0_4arch9wavefront6targetE1EEEvSK_
	.globl	_ZN7rocprim17ROCPRIM_400000_NS6detail17trampoline_kernelINS0_14default_configENS1_38merge_sort_block_merge_config_selectorIiNS0_10empty_typeEEEZZNS1_27merge_sort_block_merge_implIS3_N6thrust23THRUST_200600_302600_NS6detail15normal_iteratorINS9_10device_ptrIiEEEEPS5_m14custom_greaterIiEEE10hipError_tT0_T1_T2_jT3_P12ihipStream_tbPNSt15iterator_traitsISJ_E10value_typeEPNSP_ISK_E10value_typeEPSL_NS1_7vsmem_tEENKUlT_SJ_SK_SL_E_clISE_PiSF_SF_EESI_SY_SJ_SK_SL_EUlSY_E1_NS1_11comp_targetILNS1_3genE3ELNS1_11target_archE908ELNS1_3gpuE7ELNS1_3repE0EEENS1_36merge_oddeven_config_static_selectorELNS0_4arch9wavefront6targetE1EEEvSK_
	.p2align	8
	.type	_ZN7rocprim17ROCPRIM_400000_NS6detail17trampoline_kernelINS0_14default_configENS1_38merge_sort_block_merge_config_selectorIiNS0_10empty_typeEEEZZNS1_27merge_sort_block_merge_implIS3_N6thrust23THRUST_200600_302600_NS6detail15normal_iteratorINS9_10device_ptrIiEEEEPS5_m14custom_greaterIiEEE10hipError_tT0_T1_T2_jT3_P12ihipStream_tbPNSt15iterator_traitsISJ_E10value_typeEPNSP_ISK_E10value_typeEPSL_NS1_7vsmem_tEENKUlT_SJ_SK_SL_E_clISE_PiSF_SF_EESI_SY_SJ_SK_SL_EUlSY_E1_NS1_11comp_targetILNS1_3genE3ELNS1_11target_archE908ELNS1_3gpuE7ELNS1_3repE0EEENS1_36merge_oddeven_config_static_selectorELNS0_4arch9wavefront6targetE1EEEvSK_,@function
_ZN7rocprim17ROCPRIM_400000_NS6detail17trampoline_kernelINS0_14default_configENS1_38merge_sort_block_merge_config_selectorIiNS0_10empty_typeEEEZZNS1_27merge_sort_block_merge_implIS3_N6thrust23THRUST_200600_302600_NS6detail15normal_iteratorINS9_10device_ptrIiEEEEPS5_m14custom_greaterIiEEE10hipError_tT0_T1_T2_jT3_P12ihipStream_tbPNSt15iterator_traitsISJ_E10value_typeEPNSP_ISK_E10value_typeEPSL_NS1_7vsmem_tEENKUlT_SJ_SK_SL_E_clISE_PiSF_SF_EESI_SY_SJ_SK_SL_EUlSY_E1_NS1_11comp_targetILNS1_3genE3ELNS1_11target_archE908ELNS1_3gpuE7ELNS1_3repE0EEENS1_36merge_oddeven_config_static_selectorELNS0_4arch9wavefront6targetE1EEEvSK_: ; @_ZN7rocprim17ROCPRIM_400000_NS6detail17trampoline_kernelINS0_14default_configENS1_38merge_sort_block_merge_config_selectorIiNS0_10empty_typeEEEZZNS1_27merge_sort_block_merge_implIS3_N6thrust23THRUST_200600_302600_NS6detail15normal_iteratorINS9_10device_ptrIiEEEEPS5_m14custom_greaterIiEEE10hipError_tT0_T1_T2_jT3_P12ihipStream_tbPNSt15iterator_traitsISJ_E10value_typeEPNSP_ISK_E10value_typeEPSL_NS1_7vsmem_tEENKUlT_SJ_SK_SL_E_clISE_PiSF_SF_EESI_SY_SJ_SK_SL_EUlSY_E1_NS1_11comp_targetILNS1_3genE3ELNS1_11target_archE908ELNS1_3gpuE7ELNS1_3repE0EEENS1_36merge_oddeven_config_static_selectorELNS0_4arch9wavefront6targetE1EEEvSK_
; %bb.0:
	.section	.rodata,"a",@progbits
	.p2align	6, 0x0
	.amdhsa_kernel _ZN7rocprim17ROCPRIM_400000_NS6detail17trampoline_kernelINS0_14default_configENS1_38merge_sort_block_merge_config_selectorIiNS0_10empty_typeEEEZZNS1_27merge_sort_block_merge_implIS3_N6thrust23THRUST_200600_302600_NS6detail15normal_iteratorINS9_10device_ptrIiEEEEPS5_m14custom_greaterIiEEE10hipError_tT0_T1_T2_jT3_P12ihipStream_tbPNSt15iterator_traitsISJ_E10value_typeEPNSP_ISK_E10value_typeEPSL_NS1_7vsmem_tEENKUlT_SJ_SK_SL_E_clISE_PiSF_SF_EESI_SY_SJ_SK_SL_EUlSY_E1_NS1_11comp_targetILNS1_3genE3ELNS1_11target_archE908ELNS1_3gpuE7ELNS1_3repE0EEENS1_36merge_oddeven_config_static_selectorELNS0_4arch9wavefront6targetE1EEEvSK_
		.amdhsa_group_segment_fixed_size 0
		.amdhsa_private_segment_fixed_size 0
		.amdhsa_kernarg_size 56
		.amdhsa_user_sgpr_count 6
		.amdhsa_user_sgpr_private_segment_buffer 1
		.amdhsa_user_sgpr_dispatch_ptr 0
		.amdhsa_user_sgpr_queue_ptr 0
		.amdhsa_user_sgpr_kernarg_segment_ptr 1
		.amdhsa_user_sgpr_dispatch_id 0
		.amdhsa_user_sgpr_flat_scratch_init 0
		.amdhsa_user_sgpr_kernarg_preload_length 0
		.amdhsa_user_sgpr_kernarg_preload_offset 0
		.amdhsa_user_sgpr_private_segment_size 0
		.amdhsa_uses_dynamic_stack 0
		.amdhsa_system_sgpr_private_segment_wavefront_offset 0
		.amdhsa_system_sgpr_workgroup_id_x 1
		.amdhsa_system_sgpr_workgroup_id_y 0
		.amdhsa_system_sgpr_workgroup_id_z 0
		.amdhsa_system_sgpr_workgroup_info 0
		.amdhsa_system_vgpr_workitem_id 0
		.amdhsa_next_free_vgpr 1
		.amdhsa_next_free_sgpr 0
		.amdhsa_accum_offset 4
		.amdhsa_reserve_vcc 0
		.amdhsa_reserve_flat_scratch 0
		.amdhsa_float_round_mode_32 0
		.amdhsa_float_round_mode_16_64 0
		.amdhsa_float_denorm_mode_32 3
		.amdhsa_float_denorm_mode_16_64 3
		.amdhsa_dx10_clamp 1
		.amdhsa_ieee_mode 1
		.amdhsa_fp16_overflow 0
		.amdhsa_tg_split 0
		.amdhsa_exception_fp_ieee_invalid_op 0
		.amdhsa_exception_fp_denorm_src 0
		.amdhsa_exception_fp_ieee_div_zero 0
		.amdhsa_exception_fp_ieee_overflow 0
		.amdhsa_exception_fp_ieee_underflow 0
		.amdhsa_exception_fp_ieee_inexact 0
		.amdhsa_exception_int_div_zero 0
	.end_amdhsa_kernel
	.section	.text._ZN7rocprim17ROCPRIM_400000_NS6detail17trampoline_kernelINS0_14default_configENS1_38merge_sort_block_merge_config_selectorIiNS0_10empty_typeEEEZZNS1_27merge_sort_block_merge_implIS3_N6thrust23THRUST_200600_302600_NS6detail15normal_iteratorINS9_10device_ptrIiEEEEPS5_m14custom_greaterIiEEE10hipError_tT0_T1_T2_jT3_P12ihipStream_tbPNSt15iterator_traitsISJ_E10value_typeEPNSP_ISK_E10value_typeEPSL_NS1_7vsmem_tEENKUlT_SJ_SK_SL_E_clISE_PiSF_SF_EESI_SY_SJ_SK_SL_EUlSY_E1_NS1_11comp_targetILNS1_3genE3ELNS1_11target_archE908ELNS1_3gpuE7ELNS1_3repE0EEENS1_36merge_oddeven_config_static_selectorELNS0_4arch9wavefront6targetE1EEEvSK_,"axG",@progbits,_ZN7rocprim17ROCPRIM_400000_NS6detail17trampoline_kernelINS0_14default_configENS1_38merge_sort_block_merge_config_selectorIiNS0_10empty_typeEEEZZNS1_27merge_sort_block_merge_implIS3_N6thrust23THRUST_200600_302600_NS6detail15normal_iteratorINS9_10device_ptrIiEEEEPS5_m14custom_greaterIiEEE10hipError_tT0_T1_T2_jT3_P12ihipStream_tbPNSt15iterator_traitsISJ_E10value_typeEPNSP_ISK_E10value_typeEPSL_NS1_7vsmem_tEENKUlT_SJ_SK_SL_E_clISE_PiSF_SF_EESI_SY_SJ_SK_SL_EUlSY_E1_NS1_11comp_targetILNS1_3genE3ELNS1_11target_archE908ELNS1_3gpuE7ELNS1_3repE0EEENS1_36merge_oddeven_config_static_selectorELNS0_4arch9wavefront6targetE1EEEvSK_,comdat
.Lfunc_end3132:
	.size	_ZN7rocprim17ROCPRIM_400000_NS6detail17trampoline_kernelINS0_14default_configENS1_38merge_sort_block_merge_config_selectorIiNS0_10empty_typeEEEZZNS1_27merge_sort_block_merge_implIS3_N6thrust23THRUST_200600_302600_NS6detail15normal_iteratorINS9_10device_ptrIiEEEEPS5_m14custom_greaterIiEEE10hipError_tT0_T1_T2_jT3_P12ihipStream_tbPNSt15iterator_traitsISJ_E10value_typeEPNSP_ISK_E10value_typeEPSL_NS1_7vsmem_tEENKUlT_SJ_SK_SL_E_clISE_PiSF_SF_EESI_SY_SJ_SK_SL_EUlSY_E1_NS1_11comp_targetILNS1_3genE3ELNS1_11target_archE908ELNS1_3gpuE7ELNS1_3repE0EEENS1_36merge_oddeven_config_static_selectorELNS0_4arch9wavefront6targetE1EEEvSK_, .Lfunc_end3132-_ZN7rocprim17ROCPRIM_400000_NS6detail17trampoline_kernelINS0_14default_configENS1_38merge_sort_block_merge_config_selectorIiNS0_10empty_typeEEEZZNS1_27merge_sort_block_merge_implIS3_N6thrust23THRUST_200600_302600_NS6detail15normal_iteratorINS9_10device_ptrIiEEEEPS5_m14custom_greaterIiEEE10hipError_tT0_T1_T2_jT3_P12ihipStream_tbPNSt15iterator_traitsISJ_E10value_typeEPNSP_ISK_E10value_typeEPSL_NS1_7vsmem_tEENKUlT_SJ_SK_SL_E_clISE_PiSF_SF_EESI_SY_SJ_SK_SL_EUlSY_E1_NS1_11comp_targetILNS1_3genE3ELNS1_11target_archE908ELNS1_3gpuE7ELNS1_3repE0EEENS1_36merge_oddeven_config_static_selectorELNS0_4arch9wavefront6targetE1EEEvSK_
                                        ; -- End function
	.section	.AMDGPU.csdata,"",@progbits
; Kernel info:
; codeLenInByte = 0
; NumSgprs: 4
; NumVgprs: 0
; NumAgprs: 0
; TotalNumVgprs: 0
; ScratchSize: 0
; MemoryBound: 0
; FloatMode: 240
; IeeeMode: 1
; LDSByteSize: 0 bytes/workgroup (compile time only)
; SGPRBlocks: 0
; VGPRBlocks: 0
; NumSGPRsForWavesPerEU: 4
; NumVGPRsForWavesPerEU: 1
; AccumOffset: 4
; Occupancy: 8
; WaveLimiterHint : 0
; COMPUTE_PGM_RSRC2:SCRATCH_EN: 0
; COMPUTE_PGM_RSRC2:USER_SGPR: 6
; COMPUTE_PGM_RSRC2:TRAP_HANDLER: 0
; COMPUTE_PGM_RSRC2:TGID_X_EN: 1
; COMPUTE_PGM_RSRC2:TGID_Y_EN: 0
; COMPUTE_PGM_RSRC2:TGID_Z_EN: 0
; COMPUTE_PGM_RSRC2:TIDIG_COMP_CNT: 0
; COMPUTE_PGM_RSRC3_GFX90A:ACCUM_OFFSET: 0
; COMPUTE_PGM_RSRC3_GFX90A:TG_SPLIT: 0
	.section	.text._ZN7rocprim17ROCPRIM_400000_NS6detail17trampoline_kernelINS0_14default_configENS1_38merge_sort_block_merge_config_selectorIiNS0_10empty_typeEEEZZNS1_27merge_sort_block_merge_implIS3_N6thrust23THRUST_200600_302600_NS6detail15normal_iteratorINS9_10device_ptrIiEEEEPS5_m14custom_greaterIiEEE10hipError_tT0_T1_T2_jT3_P12ihipStream_tbPNSt15iterator_traitsISJ_E10value_typeEPNSP_ISK_E10value_typeEPSL_NS1_7vsmem_tEENKUlT_SJ_SK_SL_E_clISE_PiSF_SF_EESI_SY_SJ_SK_SL_EUlSY_E1_NS1_11comp_targetILNS1_3genE2ELNS1_11target_archE906ELNS1_3gpuE6ELNS1_3repE0EEENS1_36merge_oddeven_config_static_selectorELNS0_4arch9wavefront6targetE1EEEvSK_,"axG",@progbits,_ZN7rocprim17ROCPRIM_400000_NS6detail17trampoline_kernelINS0_14default_configENS1_38merge_sort_block_merge_config_selectorIiNS0_10empty_typeEEEZZNS1_27merge_sort_block_merge_implIS3_N6thrust23THRUST_200600_302600_NS6detail15normal_iteratorINS9_10device_ptrIiEEEEPS5_m14custom_greaterIiEEE10hipError_tT0_T1_T2_jT3_P12ihipStream_tbPNSt15iterator_traitsISJ_E10value_typeEPNSP_ISK_E10value_typeEPSL_NS1_7vsmem_tEENKUlT_SJ_SK_SL_E_clISE_PiSF_SF_EESI_SY_SJ_SK_SL_EUlSY_E1_NS1_11comp_targetILNS1_3genE2ELNS1_11target_archE906ELNS1_3gpuE6ELNS1_3repE0EEENS1_36merge_oddeven_config_static_selectorELNS0_4arch9wavefront6targetE1EEEvSK_,comdat
	.protected	_ZN7rocprim17ROCPRIM_400000_NS6detail17trampoline_kernelINS0_14default_configENS1_38merge_sort_block_merge_config_selectorIiNS0_10empty_typeEEEZZNS1_27merge_sort_block_merge_implIS3_N6thrust23THRUST_200600_302600_NS6detail15normal_iteratorINS9_10device_ptrIiEEEEPS5_m14custom_greaterIiEEE10hipError_tT0_T1_T2_jT3_P12ihipStream_tbPNSt15iterator_traitsISJ_E10value_typeEPNSP_ISK_E10value_typeEPSL_NS1_7vsmem_tEENKUlT_SJ_SK_SL_E_clISE_PiSF_SF_EESI_SY_SJ_SK_SL_EUlSY_E1_NS1_11comp_targetILNS1_3genE2ELNS1_11target_archE906ELNS1_3gpuE6ELNS1_3repE0EEENS1_36merge_oddeven_config_static_selectorELNS0_4arch9wavefront6targetE1EEEvSK_ ; -- Begin function _ZN7rocprim17ROCPRIM_400000_NS6detail17trampoline_kernelINS0_14default_configENS1_38merge_sort_block_merge_config_selectorIiNS0_10empty_typeEEEZZNS1_27merge_sort_block_merge_implIS3_N6thrust23THRUST_200600_302600_NS6detail15normal_iteratorINS9_10device_ptrIiEEEEPS5_m14custom_greaterIiEEE10hipError_tT0_T1_T2_jT3_P12ihipStream_tbPNSt15iterator_traitsISJ_E10value_typeEPNSP_ISK_E10value_typeEPSL_NS1_7vsmem_tEENKUlT_SJ_SK_SL_E_clISE_PiSF_SF_EESI_SY_SJ_SK_SL_EUlSY_E1_NS1_11comp_targetILNS1_3genE2ELNS1_11target_archE906ELNS1_3gpuE6ELNS1_3repE0EEENS1_36merge_oddeven_config_static_selectorELNS0_4arch9wavefront6targetE1EEEvSK_
	.globl	_ZN7rocprim17ROCPRIM_400000_NS6detail17trampoline_kernelINS0_14default_configENS1_38merge_sort_block_merge_config_selectorIiNS0_10empty_typeEEEZZNS1_27merge_sort_block_merge_implIS3_N6thrust23THRUST_200600_302600_NS6detail15normal_iteratorINS9_10device_ptrIiEEEEPS5_m14custom_greaterIiEEE10hipError_tT0_T1_T2_jT3_P12ihipStream_tbPNSt15iterator_traitsISJ_E10value_typeEPNSP_ISK_E10value_typeEPSL_NS1_7vsmem_tEENKUlT_SJ_SK_SL_E_clISE_PiSF_SF_EESI_SY_SJ_SK_SL_EUlSY_E1_NS1_11comp_targetILNS1_3genE2ELNS1_11target_archE906ELNS1_3gpuE6ELNS1_3repE0EEENS1_36merge_oddeven_config_static_selectorELNS0_4arch9wavefront6targetE1EEEvSK_
	.p2align	8
	.type	_ZN7rocprim17ROCPRIM_400000_NS6detail17trampoline_kernelINS0_14default_configENS1_38merge_sort_block_merge_config_selectorIiNS0_10empty_typeEEEZZNS1_27merge_sort_block_merge_implIS3_N6thrust23THRUST_200600_302600_NS6detail15normal_iteratorINS9_10device_ptrIiEEEEPS5_m14custom_greaterIiEEE10hipError_tT0_T1_T2_jT3_P12ihipStream_tbPNSt15iterator_traitsISJ_E10value_typeEPNSP_ISK_E10value_typeEPSL_NS1_7vsmem_tEENKUlT_SJ_SK_SL_E_clISE_PiSF_SF_EESI_SY_SJ_SK_SL_EUlSY_E1_NS1_11comp_targetILNS1_3genE2ELNS1_11target_archE906ELNS1_3gpuE6ELNS1_3repE0EEENS1_36merge_oddeven_config_static_selectorELNS0_4arch9wavefront6targetE1EEEvSK_,@function
_ZN7rocprim17ROCPRIM_400000_NS6detail17trampoline_kernelINS0_14default_configENS1_38merge_sort_block_merge_config_selectorIiNS0_10empty_typeEEEZZNS1_27merge_sort_block_merge_implIS3_N6thrust23THRUST_200600_302600_NS6detail15normal_iteratorINS9_10device_ptrIiEEEEPS5_m14custom_greaterIiEEE10hipError_tT0_T1_T2_jT3_P12ihipStream_tbPNSt15iterator_traitsISJ_E10value_typeEPNSP_ISK_E10value_typeEPSL_NS1_7vsmem_tEENKUlT_SJ_SK_SL_E_clISE_PiSF_SF_EESI_SY_SJ_SK_SL_EUlSY_E1_NS1_11comp_targetILNS1_3genE2ELNS1_11target_archE906ELNS1_3gpuE6ELNS1_3repE0EEENS1_36merge_oddeven_config_static_selectorELNS0_4arch9wavefront6targetE1EEEvSK_: ; @_ZN7rocprim17ROCPRIM_400000_NS6detail17trampoline_kernelINS0_14default_configENS1_38merge_sort_block_merge_config_selectorIiNS0_10empty_typeEEEZZNS1_27merge_sort_block_merge_implIS3_N6thrust23THRUST_200600_302600_NS6detail15normal_iteratorINS9_10device_ptrIiEEEEPS5_m14custom_greaterIiEEE10hipError_tT0_T1_T2_jT3_P12ihipStream_tbPNSt15iterator_traitsISJ_E10value_typeEPNSP_ISK_E10value_typeEPSL_NS1_7vsmem_tEENKUlT_SJ_SK_SL_E_clISE_PiSF_SF_EESI_SY_SJ_SK_SL_EUlSY_E1_NS1_11comp_targetILNS1_3genE2ELNS1_11target_archE906ELNS1_3gpuE6ELNS1_3repE0EEENS1_36merge_oddeven_config_static_selectorELNS0_4arch9wavefront6targetE1EEEvSK_
; %bb.0:
	.section	.rodata,"a",@progbits
	.p2align	6, 0x0
	.amdhsa_kernel _ZN7rocprim17ROCPRIM_400000_NS6detail17trampoline_kernelINS0_14default_configENS1_38merge_sort_block_merge_config_selectorIiNS0_10empty_typeEEEZZNS1_27merge_sort_block_merge_implIS3_N6thrust23THRUST_200600_302600_NS6detail15normal_iteratorINS9_10device_ptrIiEEEEPS5_m14custom_greaterIiEEE10hipError_tT0_T1_T2_jT3_P12ihipStream_tbPNSt15iterator_traitsISJ_E10value_typeEPNSP_ISK_E10value_typeEPSL_NS1_7vsmem_tEENKUlT_SJ_SK_SL_E_clISE_PiSF_SF_EESI_SY_SJ_SK_SL_EUlSY_E1_NS1_11comp_targetILNS1_3genE2ELNS1_11target_archE906ELNS1_3gpuE6ELNS1_3repE0EEENS1_36merge_oddeven_config_static_selectorELNS0_4arch9wavefront6targetE1EEEvSK_
		.amdhsa_group_segment_fixed_size 0
		.amdhsa_private_segment_fixed_size 0
		.amdhsa_kernarg_size 56
		.amdhsa_user_sgpr_count 6
		.amdhsa_user_sgpr_private_segment_buffer 1
		.amdhsa_user_sgpr_dispatch_ptr 0
		.amdhsa_user_sgpr_queue_ptr 0
		.amdhsa_user_sgpr_kernarg_segment_ptr 1
		.amdhsa_user_sgpr_dispatch_id 0
		.amdhsa_user_sgpr_flat_scratch_init 0
		.amdhsa_user_sgpr_kernarg_preload_length 0
		.amdhsa_user_sgpr_kernarg_preload_offset 0
		.amdhsa_user_sgpr_private_segment_size 0
		.amdhsa_uses_dynamic_stack 0
		.amdhsa_system_sgpr_private_segment_wavefront_offset 0
		.amdhsa_system_sgpr_workgroup_id_x 1
		.amdhsa_system_sgpr_workgroup_id_y 0
		.amdhsa_system_sgpr_workgroup_id_z 0
		.amdhsa_system_sgpr_workgroup_info 0
		.amdhsa_system_vgpr_workitem_id 0
		.amdhsa_next_free_vgpr 1
		.amdhsa_next_free_sgpr 0
		.amdhsa_accum_offset 4
		.amdhsa_reserve_vcc 0
		.amdhsa_reserve_flat_scratch 0
		.amdhsa_float_round_mode_32 0
		.amdhsa_float_round_mode_16_64 0
		.amdhsa_float_denorm_mode_32 3
		.amdhsa_float_denorm_mode_16_64 3
		.amdhsa_dx10_clamp 1
		.amdhsa_ieee_mode 1
		.amdhsa_fp16_overflow 0
		.amdhsa_tg_split 0
		.amdhsa_exception_fp_ieee_invalid_op 0
		.amdhsa_exception_fp_denorm_src 0
		.amdhsa_exception_fp_ieee_div_zero 0
		.amdhsa_exception_fp_ieee_overflow 0
		.amdhsa_exception_fp_ieee_underflow 0
		.amdhsa_exception_fp_ieee_inexact 0
		.amdhsa_exception_int_div_zero 0
	.end_amdhsa_kernel
	.section	.text._ZN7rocprim17ROCPRIM_400000_NS6detail17trampoline_kernelINS0_14default_configENS1_38merge_sort_block_merge_config_selectorIiNS0_10empty_typeEEEZZNS1_27merge_sort_block_merge_implIS3_N6thrust23THRUST_200600_302600_NS6detail15normal_iteratorINS9_10device_ptrIiEEEEPS5_m14custom_greaterIiEEE10hipError_tT0_T1_T2_jT3_P12ihipStream_tbPNSt15iterator_traitsISJ_E10value_typeEPNSP_ISK_E10value_typeEPSL_NS1_7vsmem_tEENKUlT_SJ_SK_SL_E_clISE_PiSF_SF_EESI_SY_SJ_SK_SL_EUlSY_E1_NS1_11comp_targetILNS1_3genE2ELNS1_11target_archE906ELNS1_3gpuE6ELNS1_3repE0EEENS1_36merge_oddeven_config_static_selectorELNS0_4arch9wavefront6targetE1EEEvSK_,"axG",@progbits,_ZN7rocprim17ROCPRIM_400000_NS6detail17trampoline_kernelINS0_14default_configENS1_38merge_sort_block_merge_config_selectorIiNS0_10empty_typeEEEZZNS1_27merge_sort_block_merge_implIS3_N6thrust23THRUST_200600_302600_NS6detail15normal_iteratorINS9_10device_ptrIiEEEEPS5_m14custom_greaterIiEEE10hipError_tT0_T1_T2_jT3_P12ihipStream_tbPNSt15iterator_traitsISJ_E10value_typeEPNSP_ISK_E10value_typeEPSL_NS1_7vsmem_tEENKUlT_SJ_SK_SL_E_clISE_PiSF_SF_EESI_SY_SJ_SK_SL_EUlSY_E1_NS1_11comp_targetILNS1_3genE2ELNS1_11target_archE906ELNS1_3gpuE6ELNS1_3repE0EEENS1_36merge_oddeven_config_static_selectorELNS0_4arch9wavefront6targetE1EEEvSK_,comdat
.Lfunc_end3133:
	.size	_ZN7rocprim17ROCPRIM_400000_NS6detail17trampoline_kernelINS0_14default_configENS1_38merge_sort_block_merge_config_selectorIiNS0_10empty_typeEEEZZNS1_27merge_sort_block_merge_implIS3_N6thrust23THRUST_200600_302600_NS6detail15normal_iteratorINS9_10device_ptrIiEEEEPS5_m14custom_greaterIiEEE10hipError_tT0_T1_T2_jT3_P12ihipStream_tbPNSt15iterator_traitsISJ_E10value_typeEPNSP_ISK_E10value_typeEPSL_NS1_7vsmem_tEENKUlT_SJ_SK_SL_E_clISE_PiSF_SF_EESI_SY_SJ_SK_SL_EUlSY_E1_NS1_11comp_targetILNS1_3genE2ELNS1_11target_archE906ELNS1_3gpuE6ELNS1_3repE0EEENS1_36merge_oddeven_config_static_selectorELNS0_4arch9wavefront6targetE1EEEvSK_, .Lfunc_end3133-_ZN7rocprim17ROCPRIM_400000_NS6detail17trampoline_kernelINS0_14default_configENS1_38merge_sort_block_merge_config_selectorIiNS0_10empty_typeEEEZZNS1_27merge_sort_block_merge_implIS3_N6thrust23THRUST_200600_302600_NS6detail15normal_iteratorINS9_10device_ptrIiEEEEPS5_m14custom_greaterIiEEE10hipError_tT0_T1_T2_jT3_P12ihipStream_tbPNSt15iterator_traitsISJ_E10value_typeEPNSP_ISK_E10value_typeEPSL_NS1_7vsmem_tEENKUlT_SJ_SK_SL_E_clISE_PiSF_SF_EESI_SY_SJ_SK_SL_EUlSY_E1_NS1_11comp_targetILNS1_3genE2ELNS1_11target_archE906ELNS1_3gpuE6ELNS1_3repE0EEENS1_36merge_oddeven_config_static_selectorELNS0_4arch9wavefront6targetE1EEEvSK_
                                        ; -- End function
	.section	.AMDGPU.csdata,"",@progbits
; Kernel info:
; codeLenInByte = 0
; NumSgprs: 4
; NumVgprs: 0
; NumAgprs: 0
; TotalNumVgprs: 0
; ScratchSize: 0
; MemoryBound: 0
; FloatMode: 240
; IeeeMode: 1
; LDSByteSize: 0 bytes/workgroup (compile time only)
; SGPRBlocks: 0
; VGPRBlocks: 0
; NumSGPRsForWavesPerEU: 4
; NumVGPRsForWavesPerEU: 1
; AccumOffset: 4
; Occupancy: 8
; WaveLimiterHint : 0
; COMPUTE_PGM_RSRC2:SCRATCH_EN: 0
; COMPUTE_PGM_RSRC2:USER_SGPR: 6
; COMPUTE_PGM_RSRC2:TRAP_HANDLER: 0
; COMPUTE_PGM_RSRC2:TGID_X_EN: 1
; COMPUTE_PGM_RSRC2:TGID_Y_EN: 0
; COMPUTE_PGM_RSRC2:TGID_Z_EN: 0
; COMPUTE_PGM_RSRC2:TIDIG_COMP_CNT: 0
; COMPUTE_PGM_RSRC3_GFX90A:ACCUM_OFFSET: 0
; COMPUTE_PGM_RSRC3_GFX90A:TG_SPLIT: 0
	.section	.text._ZN7rocprim17ROCPRIM_400000_NS6detail17trampoline_kernelINS0_14default_configENS1_38merge_sort_block_merge_config_selectorIiNS0_10empty_typeEEEZZNS1_27merge_sort_block_merge_implIS3_N6thrust23THRUST_200600_302600_NS6detail15normal_iteratorINS9_10device_ptrIiEEEEPS5_m14custom_greaterIiEEE10hipError_tT0_T1_T2_jT3_P12ihipStream_tbPNSt15iterator_traitsISJ_E10value_typeEPNSP_ISK_E10value_typeEPSL_NS1_7vsmem_tEENKUlT_SJ_SK_SL_E_clISE_PiSF_SF_EESI_SY_SJ_SK_SL_EUlSY_E1_NS1_11comp_targetILNS1_3genE9ELNS1_11target_archE1100ELNS1_3gpuE3ELNS1_3repE0EEENS1_36merge_oddeven_config_static_selectorELNS0_4arch9wavefront6targetE1EEEvSK_,"axG",@progbits,_ZN7rocprim17ROCPRIM_400000_NS6detail17trampoline_kernelINS0_14default_configENS1_38merge_sort_block_merge_config_selectorIiNS0_10empty_typeEEEZZNS1_27merge_sort_block_merge_implIS3_N6thrust23THRUST_200600_302600_NS6detail15normal_iteratorINS9_10device_ptrIiEEEEPS5_m14custom_greaterIiEEE10hipError_tT0_T1_T2_jT3_P12ihipStream_tbPNSt15iterator_traitsISJ_E10value_typeEPNSP_ISK_E10value_typeEPSL_NS1_7vsmem_tEENKUlT_SJ_SK_SL_E_clISE_PiSF_SF_EESI_SY_SJ_SK_SL_EUlSY_E1_NS1_11comp_targetILNS1_3genE9ELNS1_11target_archE1100ELNS1_3gpuE3ELNS1_3repE0EEENS1_36merge_oddeven_config_static_selectorELNS0_4arch9wavefront6targetE1EEEvSK_,comdat
	.protected	_ZN7rocprim17ROCPRIM_400000_NS6detail17trampoline_kernelINS0_14default_configENS1_38merge_sort_block_merge_config_selectorIiNS0_10empty_typeEEEZZNS1_27merge_sort_block_merge_implIS3_N6thrust23THRUST_200600_302600_NS6detail15normal_iteratorINS9_10device_ptrIiEEEEPS5_m14custom_greaterIiEEE10hipError_tT0_T1_T2_jT3_P12ihipStream_tbPNSt15iterator_traitsISJ_E10value_typeEPNSP_ISK_E10value_typeEPSL_NS1_7vsmem_tEENKUlT_SJ_SK_SL_E_clISE_PiSF_SF_EESI_SY_SJ_SK_SL_EUlSY_E1_NS1_11comp_targetILNS1_3genE9ELNS1_11target_archE1100ELNS1_3gpuE3ELNS1_3repE0EEENS1_36merge_oddeven_config_static_selectorELNS0_4arch9wavefront6targetE1EEEvSK_ ; -- Begin function _ZN7rocprim17ROCPRIM_400000_NS6detail17trampoline_kernelINS0_14default_configENS1_38merge_sort_block_merge_config_selectorIiNS0_10empty_typeEEEZZNS1_27merge_sort_block_merge_implIS3_N6thrust23THRUST_200600_302600_NS6detail15normal_iteratorINS9_10device_ptrIiEEEEPS5_m14custom_greaterIiEEE10hipError_tT0_T1_T2_jT3_P12ihipStream_tbPNSt15iterator_traitsISJ_E10value_typeEPNSP_ISK_E10value_typeEPSL_NS1_7vsmem_tEENKUlT_SJ_SK_SL_E_clISE_PiSF_SF_EESI_SY_SJ_SK_SL_EUlSY_E1_NS1_11comp_targetILNS1_3genE9ELNS1_11target_archE1100ELNS1_3gpuE3ELNS1_3repE0EEENS1_36merge_oddeven_config_static_selectorELNS0_4arch9wavefront6targetE1EEEvSK_
	.globl	_ZN7rocprim17ROCPRIM_400000_NS6detail17trampoline_kernelINS0_14default_configENS1_38merge_sort_block_merge_config_selectorIiNS0_10empty_typeEEEZZNS1_27merge_sort_block_merge_implIS3_N6thrust23THRUST_200600_302600_NS6detail15normal_iteratorINS9_10device_ptrIiEEEEPS5_m14custom_greaterIiEEE10hipError_tT0_T1_T2_jT3_P12ihipStream_tbPNSt15iterator_traitsISJ_E10value_typeEPNSP_ISK_E10value_typeEPSL_NS1_7vsmem_tEENKUlT_SJ_SK_SL_E_clISE_PiSF_SF_EESI_SY_SJ_SK_SL_EUlSY_E1_NS1_11comp_targetILNS1_3genE9ELNS1_11target_archE1100ELNS1_3gpuE3ELNS1_3repE0EEENS1_36merge_oddeven_config_static_selectorELNS0_4arch9wavefront6targetE1EEEvSK_
	.p2align	8
	.type	_ZN7rocprim17ROCPRIM_400000_NS6detail17trampoline_kernelINS0_14default_configENS1_38merge_sort_block_merge_config_selectorIiNS0_10empty_typeEEEZZNS1_27merge_sort_block_merge_implIS3_N6thrust23THRUST_200600_302600_NS6detail15normal_iteratorINS9_10device_ptrIiEEEEPS5_m14custom_greaterIiEEE10hipError_tT0_T1_T2_jT3_P12ihipStream_tbPNSt15iterator_traitsISJ_E10value_typeEPNSP_ISK_E10value_typeEPSL_NS1_7vsmem_tEENKUlT_SJ_SK_SL_E_clISE_PiSF_SF_EESI_SY_SJ_SK_SL_EUlSY_E1_NS1_11comp_targetILNS1_3genE9ELNS1_11target_archE1100ELNS1_3gpuE3ELNS1_3repE0EEENS1_36merge_oddeven_config_static_selectorELNS0_4arch9wavefront6targetE1EEEvSK_,@function
_ZN7rocprim17ROCPRIM_400000_NS6detail17trampoline_kernelINS0_14default_configENS1_38merge_sort_block_merge_config_selectorIiNS0_10empty_typeEEEZZNS1_27merge_sort_block_merge_implIS3_N6thrust23THRUST_200600_302600_NS6detail15normal_iteratorINS9_10device_ptrIiEEEEPS5_m14custom_greaterIiEEE10hipError_tT0_T1_T2_jT3_P12ihipStream_tbPNSt15iterator_traitsISJ_E10value_typeEPNSP_ISK_E10value_typeEPSL_NS1_7vsmem_tEENKUlT_SJ_SK_SL_E_clISE_PiSF_SF_EESI_SY_SJ_SK_SL_EUlSY_E1_NS1_11comp_targetILNS1_3genE9ELNS1_11target_archE1100ELNS1_3gpuE3ELNS1_3repE0EEENS1_36merge_oddeven_config_static_selectorELNS0_4arch9wavefront6targetE1EEEvSK_: ; @_ZN7rocprim17ROCPRIM_400000_NS6detail17trampoline_kernelINS0_14default_configENS1_38merge_sort_block_merge_config_selectorIiNS0_10empty_typeEEEZZNS1_27merge_sort_block_merge_implIS3_N6thrust23THRUST_200600_302600_NS6detail15normal_iteratorINS9_10device_ptrIiEEEEPS5_m14custom_greaterIiEEE10hipError_tT0_T1_T2_jT3_P12ihipStream_tbPNSt15iterator_traitsISJ_E10value_typeEPNSP_ISK_E10value_typeEPSL_NS1_7vsmem_tEENKUlT_SJ_SK_SL_E_clISE_PiSF_SF_EESI_SY_SJ_SK_SL_EUlSY_E1_NS1_11comp_targetILNS1_3genE9ELNS1_11target_archE1100ELNS1_3gpuE3ELNS1_3repE0EEENS1_36merge_oddeven_config_static_selectorELNS0_4arch9wavefront6targetE1EEEvSK_
; %bb.0:
	.section	.rodata,"a",@progbits
	.p2align	6, 0x0
	.amdhsa_kernel _ZN7rocprim17ROCPRIM_400000_NS6detail17trampoline_kernelINS0_14default_configENS1_38merge_sort_block_merge_config_selectorIiNS0_10empty_typeEEEZZNS1_27merge_sort_block_merge_implIS3_N6thrust23THRUST_200600_302600_NS6detail15normal_iteratorINS9_10device_ptrIiEEEEPS5_m14custom_greaterIiEEE10hipError_tT0_T1_T2_jT3_P12ihipStream_tbPNSt15iterator_traitsISJ_E10value_typeEPNSP_ISK_E10value_typeEPSL_NS1_7vsmem_tEENKUlT_SJ_SK_SL_E_clISE_PiSF_SF_EESI_SY_SJ_SK_SL_EUlSY_E1_NS1_11comp_targetILNS1_3genE9ELNS1_11target_archE1100ELNS1_3gpuE3ELNS1_3repE0EEENS1_36merge_oddeven_config_static_selectorELNS0_4arch9wavefront6targetE1EEEvSK_
		.amdhsa_group_segment_fixed_size 0
		.amdhsa_private_segment_fixed_size 0
		.amdhsa_kernarg_size 56
		.amdhsa_user_sgpr_count 6
		.amdhsa_user_sgpr_private_segment_buffer 1
		.amdhsa_user_sgpr_dispatch_ptr 0
		.amdhsa_user_sgpr_queue_ptr 0
		.amdhsa_user_sgpr_kernarg_segment_ptr 1
		.amdhsa_user_sgpr_dispatch_id 0
		.amdhsa_user_sgpr_flat_scratch_init 0
		.amdhsa_user_sgpr_kernarg_preload_length 0
		.amdhsa_user_sgpr_kernarg_preload_offset 0
		.amdhsa_user_sgpr_private_segment_size 0
		.amdhsa_uses_dynamic_stack 0
		.amdhsa_system_sgpr_private_segment_wavefront_offset 0
		.amdhsa_system_sgpr_workgroup_id_x 1
		.amdhsa_system_sgpr_workgroup_id_y 0
		.amdhsa_system_sgpr_workgroup_id_z 0
		.amdhsa_system_sgpr_workgroup_info 0
		.amdhsa_system_vgpr_workitem_id 0
		.amdhsa_next_free_vgpr 1
		.amdhsa_next_free_sgpr 0
		.amdhsa_accum_offset 4
		.amdhsa_reserve_vcc 0
		.amdhsa_reserve_flat_scratch 0
		.amdhsa_float_round_mode_32 0
		.amdhsa_float_round_mode_16_64 0
		.amdhsa_float_denorm_mode_32 3
		.amdhsa_float_denorm_mode_16_64 3
		.amdhsa_dx10_clamp 1
		.amdhsa_ieee_mode 1
		.amdhsa_fp16_overflow 0
		.amdhsa_tg_split 0
		.amdhsa_exception_fp_ieee_invalid_op 0
		.amdhsa_exception_fp_denorm_src 0
		.amdhsa_exception_fp_ieee_div_zero 0
		.amdhsa_exception_fp_ieee_overflow 0
		.amdhsa_exception_fp_ieee_underflow 0
		.amdhsa_exception_fp_ieee_inexact 0
		.amdhsa_exception_int_div_zero 0
	.end_amdhsa_kernel
	.section	.text._ZN7rocprim17ROCPRIM_400000_NS6detail17trampoline_kernelINS0_14default_configENS1_38merge_sort_block_merge_config_selectorIiNS0_10empty_typeEEEZZNS1_27merge_sort_block_merge_implIS3_N6thrust23THRUST_200600_302600_NS6detail15normal_iteratorINS9_10device_ptrIiEEEEPS5_m14custom_greaterIiEEE10hipError_tT0_T1_T2_jT3_P12ihipStream_tbPNSt15iterator_traitsISJ_E10value_typeEPNSP_ISK_E10value_typeEPSL_NS1_7vsmem_tEENKUlT_SJ_SK_SL_E_clISE_PiSF_SF_EESI_SY_SJ_SK_SL_EUlSY_E1_NS1_11comp_targetILNS1_3genE9ELNS1_11target_archE1100ELNS1_3gpuE3ELNS1_3repE0EEENS1_36merge_oddeven_config_static_selectorELNS0_4arch9wavefront6targetE1EEEvSK_,"axG",@progbits,_ZN7rocprim17ROCPRIM_400000_NS6detail17trampoline_kernelINS0_14default_configENS1_38merge_sort_block_merge_config_selectorIiNS0_10empty_typeEEEZZNS1_27merge_sort_block_merge_implIS3_N6thrust23THRUST_200600_302600_NS6detail15normal_iteratorINS9_10device_ptrIiEEEEPS5_m14custom_greaterIiEEE10hipError_tT0_T1_T2_jT3_P12ihipStream_tbPNSt15iterator_traitsISJ_E10value_typeEPNSP_ISK_E10value_typeEPSL_NS1_7vsmem_tEENKUlT_SJ_SK_SL_E_clISE_PiSF_SF_EESI_SY_SJ_SK_SL_EUlSY_E1_NS1_11comp_targetILNS1_3genE9ELNS1_11target_archE1100ELNS1_3gpuE3ELNS1_3repE0EEENS1_36merge_oddeven_config_static_selectorELNS0_4arch9wavefront6targetE1EEEvSK_,comdat
.Lfunc_end3134:
	.size	_ZN7rocprim17ROCPRIM_400000_NS6detail17trampoline_kernelINS0_14default_configENS1_38merge_sort_block_merge_config_selectorIiNS0_10empty_typeEEEZZNS1_27merge_sort_block_merge_implIS3_N6thrust23THRUST_200600_302600_NS6detail15normal_iteratorINS9_10device_ptrIiEEEEPS5_m14custom_greaterIiEEE10hipError_tT0_T1_T2_jT3_P12ihipStream_tbPNSt15iterator_traitsISJ_E10value_typeEPNSP_ISK_E10value_typeEPSL_NS1_7vsmem_tEENKUlT_SJ_SK_SL_E_clISE_PiSF_SF_EESI_SY_SJ_SK_SL_EUlSY_E1_NS1_11comp_targetILNS1_3genE9ELNS1_11target_archE1100ELNS1_3gpuE3ELNS1_3repE0EEENS1_36merge_oddeven_config_static_selectorELNS0_4arch9wavefront6targetE1EEEvSK_, .Lfunc_end3134-_ZN7rocprim17ROCPRIM_400000_NS6detail17trampoline_kernelINS0_14default_configENS1_38merge_sort_block_merge_config_selectorIiNS0_10empty_typeEEEZZNS1_27merge_sort_block_merge_implIS3_N6thrust23THRUST_200600_302600_NS6detail15normal_iteratorINS9_10device_ptrIiEEEEPS5_m14custom_greaterIiEEE10hipError_tT0_T1_T2_jT3_P12ihipStream_tbPNSt15iterator_traitsISJ_E10value_typeEPNSP_ISK_E10value_typeEPSL_NS1_7vsmem_tEENKUlT_SJ_SK_SL_E_clISE_PiSF_SF_EESI_SY_SJ_SK_SL_EUlSY_E1_NS1_11comp_targetILNS1_3genE9ELNS1_11target_archE1100ELNS1_3gpuE3ELNS1_3repE0EEENS1_36merge_oddeven_config_static_selectorELNS0_4arch9wavefront6targetE1EEEvSK_
                                        ; -- End function
	.section	.AMDGPU.csdata,"",@progbits
; Kernel info:
; codeLenInByte = 0
; NumSgprs: 4
; NumVgprs: 0
; NumAgprs: 0
; TotalNumVgprs: 0
; ScratchSize: 0
; MemoryBound: 0
; FloatMode: 240
; IeeeMode: 1
; LDSByteSize: 0 bytes/workgroup (compile time only)
; SGPRBlocks: 0
; VGPRBlocks: 0
; NumSGPRsForWavesPerEU: 4
; NumVGPRsForWavesPerEU: 1
; AccumOffset: 4
; Occupancy: 8
; WaveLimiterHint : 0
; COMPUTE_PGM_RSRC2:SCRATCH_EN: 0
; COMPUTE_PGM_RSRC2:USER_SGPR: 6
; COMPUTE_PGM_RSRC2:TRAP_HANDLER: 0
; COMPUTE_PGM_RSRC2:TGID_X_EN: 1
; COMPUTE_PGM_RSRC2:TGID_Y_EN: 0
; COMPUTE_PGM_RSRC2:TGID_Z_EN: 0
; COMPUTE_PGM_RSRC2:TIDIG_COMP_CNT: 0
; COMPUTE_PGM_RSRC3_GFX90A:ACCUM_OFFSET: 0
; COMPUTE_PGM_RSRC3_GFX90A:TG_SPLIT: 0
	.section	.text._ZN7rocprim17ROCPRIM_400000_NS6detail17trampoline_kernelINS0_14default_configENS1_38merge_sort_block_merge_config_selectorIiNS0_10empty_typeEEEZZNS1_27merge_sort_block_merge_implIS3_N6thrust23THRUST_200600_302600_NS6detail15normal_iteratorINS9_10device_ptrIiEEEEPS5_m14custom_greaterIiEEE10hipError_tT0_T1_T2_jT3_P12ihipStream_tbPNSt15iterator_traitsISJ_E10value_typeEPNSP_ISK_E10value_typeEPSL_NS1_7vsmem_tEENKUlT_SJ_SK_SL_E_clISE_PiSF_SF_EESI_SY_SJ_SK_SL_EUlSY_E1_NS1_11comp_targetILNS1_3genE8ELNS1_11target_archE1030ELNS1_3gpuE2ELNS1_3repE0EEENS1_36merge_oddeven_config_static_selectorELNS0_4arch9wavefront6targetE1EEEvSK_,"axG",@progbits,_ZN7rocprim17ROCPRIM_400000_NS6detail17trampoline_kernelINS0_14default_configENS1_38merge_sort_block_merge_config_selectorIiNS0_10empty_typeEEEZZNS1_27merge_sort_block_merge_implIS3_N6thrust23THRUST_200600_302600_NS6detail15normal_iteratorINS9_10device_ptrIiEEEEPS5_m14custom_greaterIiEEE10hipError_tT0_T1_T2_jT3_P12ihipStream_tbPNSt15iterator_traitsISJ_E10value_typeEPNSP_ISK_E10value_typeEPSL_NS1_7vsmem_tEENKUlT_SJ_SK_SL_E_clISE_PiSF_SF_EESI_SY_SJ_SK_SL_EUlSY_E1_NS1_11comp_targetILNS1_3genE8ELNS1_11target_archE1030ELNS1_3gpuE2ELNS1_3repE0EEENS1_36merge_oddeven_config_static_selectorELNS0_4arch9wavefront6targetE1EEEvSK_,comdat
	.protected	_ZN7rocprim17ROCPRIM_400000_NS6detail17trampoline_kernelINS0_14default_configENS1_38merge_sort_block_merge_config_selectorIiNS0_10empty_typeEEEZZNS1_27merge_sort_block_merge_implIS3_N6thrust23THRUST_200600_302600_NS6detail15normal_iteratorINS9_10device_ptrIiEEEEPS5_m14custom_greaterIiEEE10hipError_tT0_T1_T2_jT3_P12ihipStream_tbPNSt15iterator_traitsISJ_E10value_typeEPNSP_ISK_E10value_typeEPSL_NS1_7vsmem_tEENKUlT_SJ_SK_SL_E_clISE_PiSF_SF_EESI_SY_SJ_SK_SL_EUlSY_E1_NS1_11comp_targetILNS1_3genE8ELNS1_11target_archE1030ELNS1_3gpuE2ELNS1_3repE0EEENS1_36merge_oddeven_config_static_selectorELNS0_4arch9wavefront6targetE1EEEvSK_ ; -- Begin function _ZN7rocprim17ROCPRIM_400000_NS6detail17trampoline_kernelINS0_14default_configENS1_38merge_sort_block_merge_config_selectorIiNS0_10empty_typeEEEZZNS1_27merge_sort_block_merge_implIS3_N6thrust23THRUST_200600_302600_NS6detail15normal_iteratorINS9_10device_ptrIiEEEEPS5_m14custom_greaterIiEEE10hipError_tT0_T1_T2_jT3_P12ihipStream_tbPNSt15iterator_traitsISJ_E10value_typeEPNSP_ISK_E10value_typeEPSL_NS1_7vsmem_tEENKUlT_SJ_SK_SL_E_clISE_PiSF_SF_EESI_SY_SJ_SK_SL_EUlSY_E1_NS1_11comp_targetILNS1_3genE8ELNS1_11target_archE1030ELNS1_3gpuE2ELNS1_3repE0EEENS1_36merge_oddeven_config_static_selectorELNS0_4arch9wavefront6targetE1EEEvSK_
	.globl	_ZN7rocprim17ROCPRIM_400000_NS6detail17trampoline_kernelINS0_14default_configENS1_38merge_sort_block_merge_config_selectorIiNS0_10empty_typeEEEZZNS1_27merge_sort_block_merge_implIS3_N6thrust23THRUST_200600_302600_NS6detail15normal_iteratorINS9_10device_ptrIiEEEEPS5_m14custom_greaterIiEEE10hipError_tT0_T1_T2_jT3_P12ihipStream_tbPNSt15iterator_traitsISJ_E10value_typeEPNSP_ISK_E10value_typeEPSL_NS1_7vsmem_tEENKUlT_SJ_SK_SL_E_clISE_PiSF_SF_EESI_SY_SJ_SK_SL_EUlSY_E1_NS1_11comp_targetILNS1_3genE8ELNS1_11target_archE1030ELNS1_3gpuE2ELNS1_3repE0EEENS1_36merge_oddeven_config_static_selectorELNS0_4arch9wavefront6targetE1EEEvSK_
	.p2align	8
	.type	_ZN7rocprim17ROCPRIM_400000_NS6detail17trampoline_kernelINS0_14default_configENS1_38merge_sort_block_merge_config_selectorIiNS0_10empty_typeEEEZZNS1_27merge_sort_block_merge_implIS3_N6thrust23THRUST_200600_302600_NS6detail15normal_iteratorINS9_10device_ptrIiEEEEPS5_m14custom_greaterIiEEE10hipError_tT0_T1_T2_jT3_P12ihipStream_tbPNSt15iterator_traitsISJ_E10value_typeEPNSP_ISK_E10value_typeEPSL_NS1_7vsmem_tEENKUlT_SJ_SK_SL_E_clISE_PiSF_SF_EESI_SY_SJ_SK_SL_EUlSY_E1_NS1_11comp_targetILNS1_3genE8ELNS1_11target_archE1030ELNS1_3gpuE2ELNS1_3repE0EEENS1_36merge_oddeven_config_static_selectorELNS0_4arch9wavefront6targetE1EEEvSK_,@function
_ZN7rocprim17ROCPRIM_400000_NS6detail17trampoline_kernelINS0_14default_configENS1_38merge_sort_block_merge_config_selectorIiNS0_10empty_typeEEEZZNS1_27merge_sort_block_merge_implIS3_N6thrust23THRUST_200600_302600_NS6detail15normal_iteratorINS9_10device_ptrIiEEEEPS5_m14custom_greaterIiEEE10hipError_tT0_T1_T2_jT3_P12ihipStream_tbPNSt15iterator_traitsISJ_E10value_typeEPNSP_ISK_E10value_typeEPSL_NS1_7vsmem_tEENKUlT_SJ_SK_SL_E_clISE_PiSF_SF_EESI_SY_SJ_SK_SL_EUlSY_E1_NS1_11comp_targetILNS1_3genE8ELNS1_11target_archE1030ELNS1_3gpuE2ELNS1_3repE0EEENS1_36merge_oddeven_config_static_selectorELNS0_4arch9wavefront6targetE1EEEvSK_: ; @_ZN7rocprim17ROCPRIM_400000_NS6detail17trampoline_kernelINS0_14default_configENS1_38merge_sort_block_merge_config_selectorIiNS0_10empty_typeEEEZZNS1_27merge_sort_block_merge_implIS3_N6thrust23THRUST_200600_302600_NS6detail15normal_iteratorINS9_10device_ptrIiEEEEPS5_m14custom_greaterIiEEE10hipError_tT0_T1_T2_jT3_P12ihipStream_tbPNSt15iterator_traitsISJ_E10value_typeEPNSP_ISK_E10value_typeEPSL_NS1_7vsmem_tEENKUlT_SJ_SK_SL_E_clISE_PiSF_SF_EESI_SY_SJ_SK_SL_EUlSY_E1_NS1_11comp_targetILNS1_3genE8ELNS1_11target_archE1030ELNS1_3gpuE2ELNS1_3repE0EEENS1_36merge_oddeven_config_static_selectorELNS0_4arch9wavefront6targetE1EEEvSK_
; %bb.0:
	.section	.rodata,"a",@progbits
	.p2align	6, 0x0
	.amdhsa_kernel _ZN7rocprim17ROCPRIM_400000_NS6detail17trampoline_kernelINS0_14default_configENS1_38merge_sort_block_merge_config_selectorIiNS0_10empty_typeEEEZZNS1_27merge_sort_block_merge_implIS3_N6thrust23THRUST_200600_302600_NS6detail15normal_iteratorINS9_10device_ptrIiEEEEPS5_m14custom_greaterIiEEE10hipError_tT0_T1_T2_jT3_P12ihipStream_tbPNSt15iterator_traitsISJ_E10value_typeEPNSP_ISK_E10value_typeEPSL_NS1_7vsmem_tEENKUlT_SJ_SK_SL_E_clISE_PiSF_SF_EESI_SY_SJ_SK_SL_EUlSY_E1_NS1_11comp_targetILNS1_3genE8ELNS1_11target_archE1030ELNS1_3gpuE2ELNS1_3repE0EEENS1_36merge_oddeven_config_static_selectorELNS0_4arch9wavefront6targetE1EEEvSK_
		.amdhsa_group_segment_fixed_size 0
		.amdhsa_private_segment_fixed_size 0
		.amdhsa_kernarg_size 56
		.amdhsa_user_sgpr_count 6
		.amdhsa_user_sgpr_private_segment_buffer 1
		.amdhsa_user_sgpr_dispatch_ptr 0
		.amdhsa_user_sgpr_queue_ptr 0
		.amdhsa_user_sgpr_kernarg_segment_ptr 1
		.amdhsa_user_sgpr_dispatch_id 0
		.amdhsa_user_sgpr_flat_scratch_init 0
		.amdhsa_user_sgpr_kernarg_preload_length 0
		.amdhsa_user_sgpr_kernarg_preload_offset 0
		.amdhsa_user_sgpr_private_segment_size 0
		.amdhsa_uses_dynamic_stack 0
		.amdhsa_system_sgpr_private_segment_wavefront_offset 0
		.amdhsa_system_sgpr_workgroup_id_x 1
		.amdhsa_system_sgpr_workgroup_id_y 0
		.amdhsa_system_sgpr_workgroup_id_z 0
		.amdhsa_system_sgpr_workgroup_info 0
		.amdhsa_system_vgpr_workitem_id 0
		.amdhsa_next_free_vgpr 1
		.amdhsa_next_free_sgpr 0
		.amdhsa_accum_offset 4
		.amdhsa_reserve_vcc 0
		.amdhsa_reserve_flat_scratch 0
		.amdhsa_float_round_mode_32 0
		.amdhsa_float_round_mode_16_64 0
		.amdhsa_float_denorm_mode_32 3
		.amdhsa_float_denorm_mode_16_64 3
		.amdhsa_dx10_clamp 1
		.amdhsa_ieee_mode 1
		.amdhsa_fp16_overflow 0
		.amdhsa_tg_split 0
		.amdhsa_exception_fp_ieee_invalid_op 0
		.amdhsa_exception_fp_denorm_src 0
		.amdhsa_exception_fp_ieee_div_zero 0
		.amdhsa_exception_fp_ieee_overflow 0
		.amdhsa_exception_fp_ieee_underflow 0
		.amdhsa_exception_fp_ieee_inexact 0
		.amdhsa_exception_int_div_zero 0
	.end_amdhsa_kernel
	.section	.text._ZN7rocprim17ROCPRIM_400000_NS6detail17trampoline_kernelINS0_14default_configENS1_38merge_sort_block_merge_config_selectorIiNS0_10empty_typeEEEZZNS1_27merge_sort_block_merge_implIS3_N6thrust23THRUST_200600_302600_NS6detail15normal_iteratorINS9_10device_ptrIiEEEEPS5_m14custom_greaterIiEEE10hipError_tT0_T1_T2_jT3_P12ihipStream_tbPNSt15iterator_traitsISJ_E10value_typeEPNSP_ISK_E10value_typeEPSL_NS1_7vsmem_tEENKUlT_SJ_SK_SL_E_clISE_PiSF_SF_EESI_SY_SJ_SK_SL_EUlSY_E1_NS1_11comp_targetILNS1_3genE8ELNS1_11target_archE1030ELNS1_3gpuE2ELNS1_3repE0EEENS1_36merge_oddeven_config_static_selectorELNS0_4arch9wavefront6targetE1EEEvSK_,"axG",@progbits,_ZN7rocprim17ROCPRIM_400000_NS6detail17trampoline_kernelINS0_14default_configENS1_38merge_sort_block_merge_config_selectorIiNS0_10empty_typeEEEZZNS1_27merge_sort_block_merge_implIS3_N6thrust23THRUST_200600_302600_NS6detail15normal_iteratorINS9_10device_ptrIiEEEEPS5_m14custom_greaterIiEEE10hipError_tT0_T1_T2_jT3_P12ihipStream_tbPNSt15iterator_traitsISJ_E10value_typeEPNSP_ISK_E10value_typeEPSL_NS1_7vsmem_tEENKUlT_SJ_SK_SL_E_clISE_PiSF_SF_EESI_SY_SJ_SK_SL_EUlSY_E1_NS1_11comp_targetILNS1_3genE8ELNS1_11target_archE1030ELNS1_3gpuE2ELNS1_3repE0EEENS1_36merge_oddeven_config_static_selectorELNS0_4arch9wavefront6targetE1EEEvSK_,comdat
.Lfunc_end3135:
	.size	_ZN7rocprim17ROCPRIM_400000_NS6detail17trampoline_kernelINS0_14default_configENS1_38merge_sort_block_merge_config_selectorIiNS0_10empty_typeEEEZZNS1_27merge_sort_block_merge_implIS3_N6thrust23THRUST_200600_302600_NS6detail15normal_iteratorINS9_10device_ptrIiEEEEPS5_m14custom_greaterIiEEE10hipError_tT0_T1_T2_jT3_P12ihipStream_tbPNSt15iterator_traitsISJ_E10value_typeEPNSP_ISK_E10value_typeEPSL_NS1_7vsmem_tEENKUlT_SJ_SK_SL_E_clISE_PiSF_SF_EESI_SY_SJ_SK_SL_EUlSY_E1_NS1_11comp_targetILNS1_3genE8ELNS1_11target_archE1030ELNS1_3gpuE2ELNS1_3repE0EEENS1_36merge_oddeven_config_static_selectorELNS0_4arch9wavefront6targetE1EEEvSK_, .Lfunc_end3135-_ZN7rocprim17ROCPRIM_400000_NS6detail17trampoline_kernelINS0_14default_configENS1_38merge_sort_block_merge_config_selectorIiNS0_10empty_typeEEEZZNS1_27merge_sort_block_merge_implIS3_N6thrust23THRUST_200600_302600_NS6detail15normal_iteratorINS9_10device_ptrIiEEEEPS5_m14custom_greaterIiEEE10hipError_tT0_T1_T2_jT3_P12ihipStream_tbPNSt15iterator_traitsISJ_E10value_typeEPNSP_ISK_E10value_typeEPSL_NS1_7vsmem_tEENKUlT_SJ_SK_SL_E_clISE_PiSF_SF_EESI_SY_SJ_SK_SL_EUlSY_E1_NS1_11comp_targetILNS1_3genE8ELNS1_11target_archE1030ELNS1_3gpuE2ELNS1_3repE0EEENS1_36merge_oddeven_config_static_selectorELNS0_4arch9wavefront6targetE1EEEvSK_
                                        ; -- End function
	.section	.AMDGPU.csdata,"",@progbits
; Kernel info:
; codeLenInByte = 0
; NumSgprs: 4
; NumVgprs: 0
; NumAgprs: 0
; TotalNumVgprs: 0
; ScratchSize: 0
; MemoryBound: 0
; FloatMode: 240
; IeeeMode: 1
; LDSByteSize: 0 bytes/workgroup (compile time only)
; SGPRBlocks: 0
; VGPRBlocks: 0
; NumSGPRsForWavesPerEU: 4
; NumVGPRsForWavesPerEU: 1
; AccumOffset: 4
; Occupancy: 8
; WaveLimiterHint : 0
; COMPUTE_PGM_RSRC2:SCRATCH_EN: 0
; COMPUTE_PGM_RSRC2:USER_SGPR: 6
; COMPUTE_PGM_RSRC2:TRAP_HANDLER: 0
; COMPUTE_PGM_RSRC2:TGID_X_EN: 1
; COMPUTE_PGM_RSRC2:TGID_Y_EN: 0
; COMPUTE_PGM_RSRC2:TGID_Z_EN: 0
; COMPUTE_PGM_RSRC2:TIDIG_COMP_CNT: 0
; COMPUTE_PGM_RSRC3_GFX90A:ACCUM_OFFSET: 0
; COMPUTE_PGM_RSRC3_GFX90A:TG_SPLIT: 0
	.section	.text._ZN7rocprim17ROCPRIM_400000_NS6detail17trampoline_kernelINS0_14default_configENS1_25transform_config_selectorIiLb0EEEZNS1_14transform_implILb0ES3_S5_PiN6thrust23THRUST_200600_302600_NS6detail15normal_iteratorINS9_10device_ptrIiEEEENS0_8identityIiEEEE10hipError_tT2_T3_mT4_P12ihipStream_tbEUlT_E_NS1_11comp_targetILNS1_3genE0ELNS1_11target_archE4294967295ELNS1_3gpuE0ELNS1_3repE0EEENS1_30default_config_static_selectorELNS0_4arch9wavefront6targetE1EEEvT1_,"axG",@progbits,_ZN7rocprim17ROCPRIM_400000_NS6detail17trampoline_kernelINS0_14default_configENS1_25transform_config_selectorIiLb0EEEZNS1_14transform_implILb0ES3_S5_PiN6thrust23THRUST_200600_302600_NS6detail15normal_iteratorINS9_10device_ptrIiEEEENS0_8identityIiEEEE10hipError_tT2_T3_mT4_P12ihipStream_tbEUlT_E_NS1_11comp_targetILNS1_3genE0ELNS1_11target_archE4294967295ELNS1_3gpuE0ELNS1_3repE0EEENS1_30default_config_static_selectorELNS0_4arch9wavefront6targetE1EEEvT1_,comdat
	.protected	_ZN7rocprim17ROCPRIM_400000_NS6detail17trampoline_kernelINS0_14default_configENS1_25transform_config_selectorIiLb0EEEZNS1_14transform_implILb0ES3_S5_PiN6thrust23THRUST_200600_302600_NS6detail15normal_iteratorINS9_10device_ptrIiEEEENS0_8identityIiEEEE10hipError_tT2_T3_mT4_P12ihipStream_tbEUlT_E_NS1_11comp_targetILNS1_3genE0ELNS1_11target_archE4294967295ELNS1_3gpuE0ELNS1_3repE0EEENS1_30default_config_static_selectorELNS0_4arch9wavefront6targetE1EEEvT1_ ; -- Begin function _ZN7rocprim17ROCPRIM_400000_NS6detail17trampoline_kernelINS0_14default_configENS1_25transform_config_selectorIiLb0EEEZNS1_14transform_implILb0ES3_S5_PiN6thrust23THRUST_200600_302600_NS6detail15normal_iteratorINS9_10device_ptrIiEEEENS0_8identityIiEEEE10hipError_tT2_T3_mT4_P12ihipStream_tbEUlT_E_NS1_11comp_targetILNS1_3genE0ELNS1_11target_archE4294967295ELNS1_3gpuE0ELNS1_3repE0EEENS1_30default_config_static_selectorELNS0_4arch9wavefront6targetE1EEEvT1_
	.globl	_ZN7rocprim17ROCPRIM_400000_NS6detail17trampoline_kernelINS0_14default_configENS1_25transform_config_selectorIiLb0EEEZNS1_14transform_implILb0ES3_S5_PiN6thrust23THRUST_200600_302600_NS6detail15normal_iteratorINS9_10device_ptrIiEEEENS0_8identityIiEEEE10hipError_tT2_T3_mT4_P12ihipStream_tbEUlT_E_NS1_11comp_targetILNS1_3genE0ELNS1_11target_archE4294967295ELNS1_3gpuE0ELNS1_3repE0EEENS1_30default_config_static_selectorELNS0_4arch9wavefront6targetE1EEEvT1_
	.p2align	8
	.type	_ZN7rocprim17ROCPRIM_400000_NS6detail17trampoline_kernelINS0_14default_configENS1_25transform_config_selectorIiLb0EEEZNS1_14transform_implILb0ES3_S5_PiN6thrust23THRUST_200600_302600_NS6detail15normal_iteratorINS9_10device_ptrIiEEEENS0_8identityIiEEEE10hipError_tT2_T3_mT4_P12ihipStream_tbEUlT_E_NS1_11comp_targetILNS1_3genE0ELNS1_11target_archE4294967295ELNS1_3gpuE0ELNS1_3repE0EEENS1_30default_config_static_selectorELNS0_4arch9wavefront6targetE1EEEvT1_,@function
_ZN7rocprim17ROCPRIM_400000_NS6detail17trampoline_kernelINS0_14default_configENS1_25transform_config_selectorIiLb0EEEZNS1_14transform_implILb0ES3_S5_PiN6thrust23THRUST_200600_302600_NS6detail15normal_iteratorINS9_10device_ptrIiEEEENS0_8identityIiEEEE10hipError_tT2_T3_mT4_P12ihipStream_tbEUlT_E_NS1_11comp_targetILNS1_3genE0ELNS1_11target_archE4294967295ELNS1_3gpuE0ELNS1_3repE0EEENS1_30default_config_static_selectorELNS0_4arch9wavefront6targetE1EEEvT1_: ; @_ZN7rocprim17ROCPRIM_400000_NS6detail17trampoline_kernelINS0_14default_configENS1_25transform_config_selectorIiLb0EEEZNS1_14transform_implILb0ES3_S5_PiN6thrust23THRUST_200600_302600_NS6detail15normal_iteratorINS9_10device_ptrIiEEEENS0_8identityIiEEEE10hipError_tT2_T3_mT4_P12ihipStream_tbEUlT_E_NS1_11comp_targetILNS1_3genE0ELNS1_11target_archE4294967295ELNS1_3gpuE0ELNS1_3repE0EEENS1_30default_config_static_selectorELNS0_4arch9wavefront6targetE1EEEvT1_
; %bb.0:
	.section	.rodata,"a",@progbits
	.p2align	6, 0x0
	.amdhsa_kernel _ZN7rocprim17ROCPRIM_400000_NS6detail17trampoline_kernelINS0_14default_configENS1_25transform_config_selectorIiLb0EEEZNS1_14transform_implILb0ES3_S5_PiN6thrust23THRUST_200600_302600_NS6detail15normal_iteratorINS9_10device_ptrIiEEEENS0_8identityIiEEEE10hipError_tT2_T3_mT4_P12ihipStream_tbEUlT_E_NS1_11comp_targetILNS1_3genE0ELNS1_11target_archE4294967295ELNS1_3gpuE0ELNS1_3repE0EEENS1_30default_config_static_selectorELNS0_4arch9wavefront6targetE1EEEvT1_
		.amdhsa_group_segment_fixed_size 0
		.amdhsa_private_segment_fixed_size 0
		.amdhsa_kernarg_size 40
		.amdhsa_user_sgpr_count 6
		.amdhsa_user_sgpr_private_segment_buffer 1
		.amdhsa_user_sgpr_dispatch_ptr 0
		.amdhsa_user_sgpr_queue_ptr 0
		.amdhsa_user_sgpr_kernarg_segment_ptr 1
		.amdhsa_user_sgpr_dispatch_id 0
		.amdhsa_user_sgpr_flat_scratch_init 0
		.amdhsa_user_sgpr_kernarg_preload_length 0
		.amdhsa_user_sgpr_kernarg_preload_offset 0
		.amdhsa_user_sgpr_private_segment_size 0
		.amdhsa_uses_dynamic_stack 0
		.amdhsa_system_sgpr_private_segment_wavefront_offset 0
		.amdhsa_system_sgpr_workgroup_id_x 1
		.amdhsa_system_sgpr_workgroup_id_y 0
		.amdhsa_system_sgpr_workgroup_id_z 0
		.amdhsa_system_sgpr_workgroup_info 0
		.amdhsa_system_vgpr_workitem_id 0
		.amdhsa_next_free_vgpr 1
		.amdhsa_next_free_sgpr 0
		.amdhsa_accum_offset 4
		.amdhsa_reserve_vcc 0
		.amdhsa_reserve_flat_scratch 0
		.amdhsa_float_round_mode_32 0
		.amdhsa_float_round_mode_16_64 0
		.amdhsa_float_denorm_mode_32 3
		.amdhsa_float_denorm_mode_16_64 3
		.amdhsa_dx10_clamp 1
		.amdhsa_ieee_mode 1
		.amdhsa_fp16_overflow 0
		.amdhsa_tg_split 0
		.amdhsa_exception_fp_ieee_invalid_op 0
		.amdhsa_exception_fp_denorm_src 0
		.amdhsa_exception_fp_ieee_div_zero 0
		.amdhsa_exception_fp_ieee_overflow 0
		.amdhsa_exception_fp_ieee_underflow 0
		.amdhsa_exception_fp_ieee_inexact 0
		.amdhsa_exception_int_div_zero 0
	.end_amdhsa_kernel
	.section	.text._ZN7rocprim17ROCPRIM_400000_NS6detail17trampoline_kernelINS0_14default_configENS1_25transform_config_selectorIiLb0EEEZNS1_14transform_implILb0ES3_S5_PiN6thrust23THRUST_200600_302600_NS6detail15normal_iteratorINS9_10device_ptrIiEEEENS0_8identityIiEEEE10hipError_tT2_T3_mT4_P12ihipStream_tbEUlT_E_NS1_11comp_targetILNS1_3genE0ELNS1_11target_archE4294967295ELNS1_3gpuE0ELNS1_3repE0EEENS1_30default_config_static_selectorELNS0_4arch9wavefront6targetE1EEEvT1_,"axG",@progbits,_ZN7rocprim17ROCPRIM_400000_NS6detail17trampoline_kernelINS0_14default_configENS1_25transform_config_selectorIiLb0EEEZNS1_14transform_implILb0ES3_S5_PiN6thrust23THRUST_200600_302600_NS6detail15normal_iteratorINS9_10device_ptrIiEEEENS0_8identityIiEEEE10hipError_tT2_T3_mT4_P12ihipStream_tbEUlT_E_NS1_11comp_targetILNS1_3genE0ELNS1_11target_archE4294967295ELNS1_3gpuE0ELNS1_3repE0EEENS1_30default_config_static_selectorELNS0_4arch9wavefront6targetE1EEEvT1_,comdat
.Lfunc_end3136:
	.size	_ZN7rocprim17ROCPRIM_400000_NS6detail17trampoline_kernelINS0_14default_configENS1_25transform_config_selectorIiLb0EEEZNS1_14transform_implILb0ES3_S5_PiN6thrust23THRUST_200600_302600_NS6detail15normal_iteratorINS9_10device_ptrIiEEEENS0_8identityIiEEEE10hipError_tT2_T3_mT4_P12ihipStream_tbEUlT_E_NS1_11comp_targetILNS1_3genE0ELNS1_11target_archE4294967295ELNS1_3gpuE0ELNS1_3repE0EEENS1_30default_config_static_selectorELNS0_4arch9wavefront6targetE1EEEvT1_, .Lfunc_end3136-_ZN7rocprim17ROCPRIM_400000_NS6detail17trampoline_kernelINS0_14default_configENS1_25transform_config_selectorIiLb0EEEZNS1_14transform_implILb0ES3_S5_PiN6thrust23THRUST_200600_302600_NS6detail15normal_iteratorINS9_10device_ptrIiEEEENS0_8identityIiEEEE10hipError_tT2_T3_mT4_P12ihipStream_tbEUlT_E_NS1_11comp_targetILNS1_3genE0ELNS1_11target_archE4294967295ELNS1_3gpuE0ELNS1_3repE0EEENS1_30default_config_static_selectorELNS0_4arch9wavefront6targetE1EEEvT1_
                                        ; -- End function
	.section	.AMDGPU.csdata,"",@progbits
; Kernel info:
; codeLenInByte = 0
; NumSgprs: 4
; NumVgprs: 0
; NumAgprs: 0
; TotalNumVgprs: 0
; ScratchSize: 0
; MemoryBound: 0
; FloatMode: 240
; IeeeMode: 1
; LDSByteSize: 0 bytes/workgroup (compile time only)
; SGPRBlocks: 0
; VGPRBlocks: 0
; NumSGPRsForWavesPerEU: 4
; NumVGPRsForWavesPerEU: 1
; AccumOffset: 4
; Occupancy: 8
; WaveLimiterHint : 0
; COMPUTE_PGM_RSRC2:SCRATCH_EN: 0
; COMPUTE_PGM_RSRC2:USER_SGPR: 6
; COMPUTE_PGM_RSRC2:TRAP_HANDLER: 0
; COMPUTE_PGM_RSRC2:TGID_X_EN: 1
; COMPUTE_PGM_RSRC2:TGID_Y_EN: 0
; COMPUTE_PGM_RSRC2:TGID_Z_EN: 0
; COMPUTE_PGM_RSRC2:TIDIG_COMP_CNT: 0
; COMPUTE_PGM_RSRC3_GFX90A:ACCUM_OFFSET: 0
; COMPUTE_PGM_RSRC3_GFX90A:TG_SPLIT: 0
	.section	.text._ZN7rocprim17ROCPRIM_400000_NS6detail17trampoline_kernelINS0_14default_configENS1_25transform_config_selectorIiLb0EEEZNS1_14transform_implILb0ES3_S5_PiN6thrust23THRUST_200600_302600_NS6detail15normal_iteratorINS9_10device_ptrIiEEEENS0_8identityIiEEEE10hipError_tT2_T3_mT4_P12ihipStream_tbEUlT_E_NS1_11comp_targetILNS1_3genE5ELNS1_11target_archE942ELNS1_3gpuE9ELNS1_3repE0EEENS1_30default_config_static_selectorELNS0_4arch9wavefront6targetE1EEEvT1_,"axG",@progbits,_ZN7rocprim17ROCPRIM_400000_NS6detail17trampoline_kernelINS0_14default_configENS1_25transform_config_selectorIiLb0EEEZNS1_14transform_implILb0ES3_S5_PiN6thrust23THRUST_200600_302600_NS6detail15normal_iteratorINS9_10device_ptrIiEEEENS0_8identityIiEEEE10hipError_tT2_T3_mT4_P12ihipStream_tbEUlT_E_NS1_11comp_targetILNS1_3genE5ELNS1_11target_archE942ELNS1_3gpuE9ELNS1_3repE0EEENS1_30default_config_static_selectorELNS0_4arch9wavefront6targetE1EEEvT1_,comdat
	.protected	_ZN7rocprim17ROCPRIM_400000_NS6detail17trampoline_kernelINS0_14default_configENS1_25transform_config_selectorIiLb0EEEZNS1_14transform_implILb0ES3_S5_PiN6thrust23THRUST_200600_302600_NS6detail15normal_iteratorINS9_10device_ptrIiEEEENS0_8identityIiEEEE10hipError_tT2_T3_mT4_P12ihipStream_tbEUlT_E_NS1_11comp_targetILNS1_3genE5ELNS1_11target_archE942ELNS1_3gpuE9ELNS1_3repE0EEENS1_30default_config_static_selectorELNS0_4arch9wavefront6targetE1EEEvT1_ ; -- Begin function _ZN7rocprim17ROCPRIM_400000_NS6detail17trampoline_kernelINS0_14default_configENS1_25transform_config_selectorIiLb0EEEZNS1_14transform_implILb0ES3_S5_PiN6thrust23THRUST_200600_302600_NS6detail15normal_iteratorINS9_10device_ptrIiEEEENS0_8identityIiEEEE10hipError_tT2_T3_mT4_P12ihipStream_tbEUlT_E_NS1_11comp_targetILNS1_3genE5ELNS1_11target_archE942ELNS1_3gpuE9ELNS1_3repE0EEENS1_30default_config_static_selectorELNS0_4arch9wavefront6targetE1EEEvT1_
	.globl	_ZN7rocprim17ROCPRIM_400000_NS6detail17trampoline_kernelINS0_14default_configENS1_25transform_config_selectorIiLb0EEEZNS1_14transform_implILb0ES3_S5_PiN6thrust23THRUST_200600_302600_NS6detail15normal_iteratorINS9_10device_ptrIiEEEENS0_8identityIiEEEE10hipError_tT2_T3_mT4_P12ihipStream_tbEUlT_E_NS1_11comp_targetILNS1_3genE5ELNS1_11target_archE942ELNS1_3gpuE9ELNS1_3repE0EEENS1_30default_config_static_selectorELNS0_4arch9wavefront6targetE1EEEvT1_
	.p2align	8
	.type	_ZN7rocprim17ROCPRIM_400000_NS6detail17trampoline_kernelINS0_14default_configENS1_25transform_config_selectorIiLb0EEEZNS1_14transform_implILb0ES3_S5_PiN6thrust23THRUST_200600_302600_NS6detail15normal_iteratorINS9_10device_ptrIiEEEENS0_8identityIiEEEE10hipError_tT2_T3_mT4_P12ihipStream_tbEUlT_E_NS1_11comp_targetILNS1_3genE5ELNS1_11target_archE942ELNS1_3gpuE9ELNS1_3repE0EEENS1_30default_config_static_selectorELNS0_4arch9wavefront6targetE1EEEvT1_,@function
_ZN7rocprim17ROCPRIM_400000_NS6detail17trampoline_kernelINS0_14default_configENS1_25transform_config_selectorIiLb0EEEZNS1_14transform_implILb0ES3_S5_PiN6thrust23THRUST_200600_302600_NS6detail15normal_iteratorINS9_10device_ptrIiEEEENS0_8identityIiEEEE10hipError_tT2_T3_mT4_P12ihipStream_tbEUlT_E_NS1_11comp_targetILNS1_3genE5ELNS1_11target_archE942ELNS1_3gpuE9ELNS1_3repE0EEENS1_30default_config_static_selectorELNS0_4arch9wavefront6targetE1EEEvT1_: ; @_ZN7rocprim17ROCPRIM_400000_NS6detail17trampoline_kernelINS0_14default_configENS1_25transform_config_selectorIiLb0EEEZNS1_14transform_implILb0ES3_S5_PiN6thrust23THRUST_200600_302600_NS6detail15normal_iteratorINS9_10device_ptrIiEEEENS0_8identityIiEEEE10hipError_tT2_T3_mT4_P12ihipStream_tbEUlT_E_NS1_11comp_targetILNS1_3genE5ELNS1_11target_archE942ELNS1_3gpuE9ELNS1_3repE0EEENS1_30default_config_static_selectorELNS0_4arch9wavefront6targetE1EEEvT1_
; %bb.0:
	.section	.rodata,"a",@progbits
	.p2align	6, 0x0
	.amdhsa_kernel _ZN7rocprim17ROCPRIM_400000_NS6detail17trampoline_kernelINS0_14default_configENS1_25transform_config_selectorIiLb0EEEZNS1_14transform_implILb0ES3_S5_PiN6thrust23THRUST_200600_302600_NS6detail15normal_iteratorINS9_10device_ptrIiEEEENS0_8identityIiEEEE10hipError_tT2_T3_mT4_P12ihipStream_tbEUlT_E_NS1_11comp_targetILNS1_3genE5ELNS1_11target_archE942ELNS1_3gpuE9ELNS1_3repE0EEENS1_30default_config_static_selectorELNS0_4arch9wavefront6targetE1EEEvT1_
		.amdhsa_group_segment_fixed_size 0
		.amdhsa_private_segment_fixed_size 0
		.amdhsa_kernarg_size 40
		.amdhsa_user_sgpr_count 6
		.amdhsa_user_sgpr_private_segment_buffer 1
		.amdhsa_user_sgpr_dispatch_ptr 0
		.amdhsa_user_sgpr_queue_ptr 0
		.amdhsa_user_sgpr_kernarg_segment_ptr 1
		.amdhsa_user_sgpr_dispatch_id 0
		.amdhsa_user_sgpr_flat_scratch_init 0
		.amdhsa_user_sgpr_kernarg_preload_length 0
		.amdhsa_user_sgpr_kernarg_preload_offset 0
		.amdhsa_user_sgpr_private_segment_size 0
		.amdhsa_uses_dynamic_stack 0
		.amdhsa_system_sgpr_private_segment_wavefront_offset 0
		.amdhsa_system_sgpr_workgroup_id_x 1
		.amdhsa_system_sgpr_workgroup_id_y 0
		.amdhsa_system_sgpr_workgroup_id_z 0
		.amdhsa_system_sgpr_workgroup_info 0
		.amdhsa_system_vgpr_workitem_id 0
		.amdhsa_next_free_vgpr 1
		.amdhsa_next_free_sgpr 0
		.amdhsa_accum_offset 4
		.amdhsa_reserve_vcc 0
		.amdhsa_reserve_flat_scratch 0
		.amdhsa_float_round_mode_32 0
		.amdhsa_float_round_mode_16_64 0
		.amdhsa_float_denorm_mode_32 3
		.amdhsa_float_denorm_mode_16_64 3
		.amdhsa_dx10_clamp 1
		.amdhsa_ieee_mode 1
		.amdhsa_fp16_overflow 0
		.amdhsa_tg_split 0
		.amdhsa_exception_fp_ieee_invalid_op 0
		.amdhsa_exception_fp_denorm_src 0
		.amdhsa_exception_fp_ieee_div_zero 0
		.amdhsa_exception_fp_ieee_overflow 0
		.amdhsa_exception_fp_ieee_underflow 0
		.amdhsa_exception_fp_ieee_inexact 0
		.amdhsa_exception_int_div_zero 0
	.end_amdhsa_kernel
	.section	.text._ZN7rocprim17ROCPRIM_400000_NS6detail17trampoline_kernelINS0_14default_configENS1_25transform_config_selectorIiLb0EEEZNS1_14transform_implILb0ES3_S5_PiN6thrust23THRUST_200600_302600_NS6detail15normal_iteratorINS9_10device_ptrIiEEEENS0_8identityIiEEEE10hipError_tT2_T3_mT4_P12ihipStream_tbEUlT_E_NS1_11comp_targetILNS1_3genE5ELNS1_11target_archE942ELNS1_3gpuE9ELNS1_3repE0EEENS1_30default_config_static_selectorELNS0_4arch9wavefront6targetE1EEEvT1_,"axG",@progbits,_ZN7rocprim17ROCPRIM_400000_NS6detail17trampoline_kernelINS0_14default_configENS1_25transform_config_selectorIiLb0EEEZNS1_14transform_implILb0ES3_S5_PiN6thrust23THRUST_200600_302600_NS6detail15normal_iteratorINS9_10device_ptrIiEEEENS0_8identityIiEEEE10hipError_tT2_T3_mT4_P12ihipStream_tbEUlT_E_NS1_11comp_targetILNS1_3genE5ELNS1_11target_archE942ELNS1_3gpuE9ELNS1_3repE0EEENS1_30default_config_static_selectorELNS0_4arch9wavefront6targetE1EEEvT1_,comdat
.Lfunc_end3137:
	.size	_ZN7rocprim17ROCPRIM_400000_NS6detail17trampoline_kernelINS0_14default_configENS1_25transform_config_selectorIiLb0EEEZNS1_14transform_implILb0ES3_S5_PiN6thrust23THRUST_200600_302600_NS6detail15normal_iteratorINS9_10device_ptrIiEEEENS0_8identityIiEEEE10hipError_tT2_T3_mT4_P12ihipStream_tbEUlT_E_NS1_11comp_targetILNS1_3genE5ELNS1_11target_archE942ELNS1_3gpuE9ELNS1_3repE0EEENS1_30default_config_static_selectorELNS0_4arch9wavefront6targetE1EEEvT1_, .Lfunc_end3137-_ZN7rocprim17ROCPRIM_400000_NS6detail17trampoline_kernelINS0_14default_configENS1_25transform_config_selectorIiLb0EEEZNS1_14transform_implILb0ES3_S5_PiN6thrust23THRUST_200600_302600_NS6detail15normal_iteratorINS9_10device_ptrIiEEEENS0_8identityIiEEEE10hipError_tT2_T3_mT4_P12ihipStream_tbEUlT_E_NS1_11comp_targetILNS1_3genE5ELNS1_11target_archE942ELNS1_3gpuE9ELNS1_3repE0EEENS1_30default_config_static_selectorELNS0_4arch9wavefront6targetE1EEEvT1_
                                        ; -- End function
	.section	.AMDGPU.csdata,"",@progbits
; Kernel info:
; codeLenInByte = 0
; NumSgprs: 4
; NumVgprs: 0
; NumAgprs: 0
; TotalNumVgprs: 0
; ScratchSize: 0
; MemoryBound: 0
; FloatMode: 240
; IeeeMode: 1
; LDSByteSize: 0 bytes/workgroup (compile time only)
; SGPRBlocks: 0
; VGPRBlocks: 0
; NumSGPRsForWavesPerEU: 4
; NumVGPRsForWavesPerEU: 1
; AccumOffset: 4
; Occupancy: 8
; WaveLimiterHint : 0
; COMPUTE_PGM_RSRC2:SCRATCH_EN: 0
; COMPUTE_PGM_RSRC2:USER_SGPR: 6
; COMPUTE_PGM_RSRC2:TRAP_HANDLER: 0
; COMPUTE_PGM_RSRC2:TGID_X_EN: 1
; COMPUTE_PGM_RSRC2:TGID_Y_EN: 0
; COMPUTE_PGM_RSRC2:TGID_Z_EN: 0
; COMPUTE_PGM_RSRC2:TIDIG_COMP_CNT: 0
; COMPUTE_PGM_RSRC3_GFX90A:ACCUM_OFFSET: 0
; COMPUTE_PGM_RSRC3_GFX90A:TG_SPLIT: 0
	.section	.text._ZN7rocprim17ROCPRIM_400000_NS6detail17trampoline_kernelINS0_14default_configENS1_25transform_config_selectorIiLb0EEEZNS1_14transform_implILb0ES3_S5_PiN6thrust23THRUST_200600_302600_NS6detail15normal_iteratorINS9_10device_ptrIiEEEENS0_8identityIiEEEE10hipError_tT2_T3_mT4_P12ihipStream_tbEUlT_E_NS1_11comp_targetILNS1_3genE4ELNS1_11target_archE910ELNS1_3gpuE8ELNS1_3repE0EEENS1_30default_config_static_selectorELNS0_4arch9wavefront6targetE1EEEvT1_,"axG",@progbits,_ZN7rocprim17ROCPRIM_400000_NS6detail17trampoline_kernelINS0_14default_configENS1_25transform_config_selectorIiLb0EEEZNS1_14transform_implILb0ES3_S5_PiN6thrust23THRUST_200600_302600_NS6detail15normal_iteratorINS9_10device_ptrIiEEEENS0_8identityIiEEEE10hipError_tT2_T3_mT4_P12ihipStream_tbEUlT_E_NS1_11comp_targetILNS1_3genE4ELNS1_11target_archE910ELNS1_3gpuE8ELNS1_3repE0EEENS1_30default_config_static_selectorELNS0_4arch9wavefront6targetE1EEEvT1_,comdat
	.protected	_ZN7rocprim17ROCPRIM_400000_NS6detail17trampoline_kernelINS0_14default_configENS1_25transform_config_selectorIiLb0EEEZNS1_14transform_implILb0ES3_S5_PiN6thrust23THRUST_200600_302600_NS6detail15normal_iteratorINS9_10device_ptrIiEEEENS0_8identityIiEEEE10hipError_tT2_T3_mT4_P12ihipStream_tbEUlT_E_NS1_11comp_targetILNS1_3genE4ELNS1_11target_archE910ELNS1_3gpuE8ELNS1_3repE0EEENS1_30default_config_static_selectorELNS0_4arch9wavefront6targetE1EEEvT1_ ; -- Begin function _ZN7rocprim17ROCPRIM_400000_NS6detail17trampoline_kernelINS0_14default_configENS1_25transform_config_selectorIiLb0EEEZNS1_14transform_implILb0ES3_S5_PiN6thrust23THRUST_200600_302600_NS6detail15normal_iteratorINS9_10device_ptrIiEEEENS0_8identityIiEEEE10hipError_tT2_T3_mT4_P12ihipStream_tbEUlT_E_NS1_11comp_targetILNS1_3genE4ELNS1_11target_archE910ELNS1_3gpuE8ELNS1_3repE0EEENS1_30default_config_static_selectorELNS0_4arch9wavefront6targetE1EEEvT1_
	.globl	_ZN7rocprim17ROCPRIM_400000_NS6detail17trampoline_kernelINS0_14default_configENS1_25transform_config_selectorIiLb0EEEZNS1_14transform_implILb0ES3_S5_PiN6thrust23THRUST_200600_302600_NS6detail15normal_iteratorINS9_10device_ptrIiEEEENS0_8identityIiEEEE10hipError_tT2_T3_mT4_P12ihipStream_tbEUlT_E_NS1_11comp_targetILNS1_3genE4ELNS1_11target_archE910ELNS1_3gpuE8ELNS1_3repE0EEENS1_30default_config_static_selectorELNS0_4arch9wavefront6targetE1EEEvT1_
	.p2align	8
	.type	_ZN7rocprim17ROCPRIM_400000_NS6detail17trampoline_kernelINS0_14default_configENS1_25transform_config_selectorIiLb0EEEZNS1_14transform_implILb0ES3_S5_PiN6thrust23THRUST_200600_302600_NS6detail15normal_iteratorINS9_10device_ptrIiEEEENS0_8identityIiEEEE10hipError_tT2_T3_mT4_P12ihipStream_tbEUlT_E_NS1_11comp_targetILNS1_3genE4ELNS1_11target_archE910ELNS1_3gpuE8ELNS1_3repE0EEENS1_30default_config_static_selectorELNS0_4arch9wavefront6targetE1EEEvT1_,@function
_ZN7rocprim17ROCPRIM_400000_NS6detail17trampoline_kernelINS0_14default_configENS1_25transform_config_selectorIiLb0EEEZNS1_14transform_implILb0ES3_S5_PiN6thrust23THRUST_200600_302600_NS6detail15normal_iteratorINS9_10device_ptrIiEEEENS0_8identityIiEEEE10hipError_tT2_T3_mT4_P12ihipStream_tbEUlT_E_NS1_11comp_targetILNS1_3genE4ELNS1_11target_archE910ELNS1_3gpuE8ELNS1_3repE0EEENS1_30default_config_static_selectorELNS0_4arch9wavefront6targetE1EEEvT1_: ; @_ZN7rocprim17ROCPRIM_400000_NS6detail17trampoline_kernelINS0_14default_configENS1_25transform_config_selectorIiLb0EEEZNS1_14transform_implILb0ES3_S5_PiN6thrust23THRUST_200600_302600_NS6detail15normal_iteratorINS9_10device_ptrIiEEEENS0_8identityIiEEEE10hipError_tT2_T3_mT4_P12ihipStream_tbEUlT_E_NS1_11comp_targetILNS1_3genE4ELNS1_11target_archE910ELNS1_3gpuE8ELNS1_3repE0EEENS1_30default_config_static_selectorELNS0_4arch9wavefront6targetE1EEEvT1_
; %bb.0:
	s_load_dwordx8 s[8:15], s[4:5], 0x0
	s_load_dword s2, s[4:5], 0x28
	v_lshlrev_b32_e32 v1, 2, v0
	s_waitcnt lgkmcnt(0)
	s_lshl_b64 s[0:1], s[10:11], 2
	s_add_u32 s4, s8, s0
	s_addc_u32 s5, s9, s1
	s_add_u32 s10, s14, s0
	s_addc_u32 s11, s15, s1
	s_lshl_b32 s0, s6, 11
	s_mov_b32 s1, 0
	s_add_i32 s7, s2, -1
	s_lshl_b64 s[2:3], s[0:1], 2
	s_add_u32 s8, s4, s2
	s_addc_u32 s9, s5, s3
	s_cmp_lg_u32 s6, s7
	s_cbranch_scc0 .LBB3138_2
; %bb.1:
	v_mov_b32_e32 v2, s9
	v_add_co_u32_e32 v3, vcc, s8, v1
	v_addc_co_u32_e32 v4, vcc, 0, v2, vcc
	v_add_co_u32_e32 v2, vcc, 0x1000, v3
	global_load_dword v6, v1, s[8:9]
	v_addc_co_u32_e32 v3, vcc, 0, v4, vcc
	global_load_dword v3, v[2:3], off
	s_add_u32 s1, s10, s2
	s_addc_u32 s4, s11, s3
	v_mov_b32_e32 v2, s4
	v_add_co_u32_e32 v4, vcc, s1, v1
	v_addc_co_u32_e32 v5, vcc, 0, v2, vcc
	s_mov_b64 s[4:5], -1
	s_waitcnt vmcnt(1)
	flat_store_dword v[4:5], v6
	s_cbranch_execz .LBB3138_3
	s_branch .LBB3138_12
.LBB3138_2:
	s_mov_b64 s[4:5], 0
                                        ; implicit-def: $vgpr3
                                        ; implicit-def: $vgpr4_vgpr5
.LBB3138_3:
	s_sub_i32 s6, s12, s0
	v_cmp_gt_u32_e32 vcc, s6, v0
                                        ; implicit-def: $vgpr2_vgpr3
	s_and_saveexec_b64 s[0:1], vcc
	s_cbranch_execz .LBB3138_5
; %bb.4:
	global_load_dword v2, v1, s[8:9]
.LBB3138_5:
	s_or_b64 exec, exec, s[0:1]
	v_or_b32_e32 v0, 0x400, v0
	v_cmp_gt_u32_e64 s[0:1], s6, v0
	s_and_saveexec_b64 s[6:7], s[0:1]
	s_cbranch_execz .LBB3138_7
; %bb.6:
	v_lshlrev_b32_e32 v0, 2, v0
	global_load_dword v3, v0, s[8:9]
.LBB3138_7:
	s_or_b64 exec, exec, s[6:7]
	s_add_u32 s2, s10, s2
	s_addc_u32 s3, s11, s3
	v_mov_b32_e32 v0, s3
	v_add_co_u32_e64 v4, s[2:3], s2, v1
	v_addc_co_u32_e64 v5, s[2:3], 0, v0, s[2:3]
	s_and_saveexec_b64 s[2:3], vcc
	s_cbranch_execz .LBB3138_9
; %bb.8:
	s_waitcnt vmcnt(0)
	flat_store_dword v[4:5], v2
.LBB3138_9:
	s_or_b64 exec, exec, s[2:3]
	s_and_saveexec_b64 s[2:3], s[0:1]
; %bb.10:
	s_or_b64 s[4:5], s[4:5], exec
; %bb.11:
	s_or_b64 exec, exec, s[2:3]
.LBB3138_12:
	s_and_saveexec_b64 s[0:1], s[4:5]
	s_cbranch_execnz .LBB3138_14
; %bb.13:
	s_endpgm
.LBB3138_14:
	v_add_co_u32_e32 v0, vcc, 0x1000, v4
	v_addc_co_u32_e32 v1, vcc, 0, v5, vcc
	s_waitcnt vmcnt(0)
	flat_store_dword v[0:1], v3
	s_endpgm
	.section	.rodata,"a",@progbits
	.p2align	6, 0x0
	.amdhsa_kernel _ZN7rocprim17ROCPRIM_400000_NS6detail17trampoline_kernelINS0_14default_configENS1_25transform_config_selectorIiLb0EEEZNS1_14transform_implILb0ES3_S5_PiN6thrust23THRUST_200600_302600_NS6detail15normal_iteratorINS9_10device_ptrIiEEEENS0_8identityIiEEEE10hipError_tT2_T3_mT4_P12ihipStream_tbEUlT_E_NS1_11comp_targetILNS1_3genE4ELNS1_11target_archE910ELNS1_3gpuE8ELNS1_3repE0EEENS1_30default_config_static_selectorELNS0_4arch9wavefront6targetE1EEEvT1_
		.amdhsa_group_segment_fixed_size 0
		.amdhsa_private_segment_fixed_size 0
		.amdhsa_kernarg_size 296
		.amdhsa_user_sgpr_count 6
		.amdhsa_user_sgpr_private_segment_buffer 1
		.amdhsa_user_sgpr_dispatch_ptr 0
		.amdhsa_user_sgpr_queue_ptr 0
		.amdhsa_user_sgpr_kernarg_segment_ptr 1
		.amdhsa_user_sgpr_dispatch_id 0
		.amdhsa_user_sgpr_flat_scratch_init 0
		.amdhsa_user_sgpr_kernarg_preload_length 0
		.amdhsa_user_sgpr_kernarg_preload_offset 0
		.amdhsa_user_sgpr_private_segment_size 0
		.amdhsa_uses_dynamic_stack 0
		.amdhsa_system_sgpr_private_segment_wavefront_offset 0
		.amdhsa_system_sgpr_workgroup_id_x 1
		.amdhsa_system_sgpr_workgroup_id_y 0
		.amdhsa_system_sgpr_workgroup_id_z 0
		.amdhsa_system_sgpr_workgroup_info 0
		.amdhsa_system_vgpr_workitem_id 0
		.amdhsa_next_free_vgpr 7
		.amdhsa_next_free_sgpr 16
		.amdhsa_accum_offset 8
		.amdhsa_reserve_vcc 1
		.amdhsa_reserve_flat_scratch 0
		.amdhsa_float_round_mode_32 0
		.amdhsa_float_round_mode_16_64 0
		.amdhsa_float_denorm_mode_32 3
		.amdhsa_float_denorm_mode_16_64 3
		.amdhsa_dx10_clamp 1
		.amdhsa_ieee_mode 1
		.amdhsa_fp16_overflow 0
		.amdhsa_tg_split 0
		.amdhsa_exception_fp_ieee_invalid_op 0
		.amdhsa_exception_fp_denorm_src 0
		.amdhsa_exception_fp_ieee_div_zero 0
		.amdhsa_exception_fp_ieee_overflow 0
		.amdhsa_exception_fp_ieee_underflow 0
		.amdhsa_exception_fp_ieee_inexact 0
		.amdhsa_exception_int_div_zero 0
	.end_amdhsa_kernel
	.section	.text._ZN7rocprim17ROCPRIM_400000_NS6detail17trampoline_kernelINS0_14default_configENS1_25transform_config_selectorIiLb0EEEZNS1_14transform_implILb0ES3_S5_PiN6thrust23THRUST_200600_302600_NS6detail15normal_iteratorINS9_10device_ptrIiEEEENS0_8identityIiEEEE10hipError_tT2_T3_mT4_P12ihipStream_tbEUlT_E_NS1_11comp_targetILNS1_3genE4ELNS1_11target_archE910ELNS1_3gpuE8ELNS1_3repE0EEENS1_30default_config_static_selectorELNS0_4arch9wavefront6targetE1EEEvT1_,"axG",@progbits,_ZN7rocprim17ROCPRIM_400000_NS6detail17trampoline_kernelINS0_14default_configENS1_25transform_config_selectorIiLb0EEEZNS1_14transform_implILb0ES3_S5_PiN6thrust23THRUST_200600_302600_NS6detail15normal_iteratorINS9_10device_ptrIiEEEENS0_8identityIiEEEE10hipError_tT2_T3_mT4_P12ihipStream_tbEUlT_E_NS1_11comp_targetILNS1_3genE4ELNS1_11target_archE910ELNS1_3gpuE8ELNS1_3repE0EEENS1_30default_config_static_selectorELNS0_4arch9wavefront6targetE1EEEvT1_,comdat
.Lfunc_end3138:
	.size	_ZN7rocprim17ROCPRIM_400000_NS6detail17trampoline_kernelINS0_14default_configENS1_25transform_config_selectorIiLb0EEEZNS1_14transform_implILb0ES3_S5_PiN6thrust23THRUST_200600_302600_NS6detail15normal_iteratorINS9_10device_ptrIiEEEENS0_8identityIiEEEE10hipError_tT2_T3_mT4_P12ihipStream_tbEUlT_E_NS1_11comp_targetILNS1_3genE4ELNS1_11target_archE910ELNS1_3gpuE8ELNS1_3repE0EEENS1_30default_config_static_selectorELNS0_4arch9wavefront6targetE1EEEvT1_, .Lfunc_end3138-_ZN7rocprim17ROCPRIM_400000_NS6detail17trampoline_kernelINS0_14default_configENS1_25transform_config_selectorIiLb0EEEZNS1_14transform_implILb0ES3_S5_PiN6thrust23THRUST_200600_302600_NS6detail15normal_iteratorINS9_10device_ptrIiEEEENS0_8identityIiEEEE10hipError_tT2_T3_mT4_P12ihipStream_tbEUlT_E_NS1_11comp_targetILNS1_3genE4ELNS1_11target_archE910ELNS1_3gpuE8ELNS1_3repE0EEENS1_30default_config_static_selectorELNS0_4arch9wavefront6targetE1EEEvT1_
                                        ; -- End function
	.section	.AMDGPU.csdata,"",@progbits
; Kernel info:
; codeLenInByte = 336
; NumSgprs: 20
; NumVgprs: 7
; NumAgprs: 0
; TotalNumVgprs: 7
; ScratchSize: 0
; MemoryBound: 0
; FloatMode: 240
; IeeeMode: 1
; LDSByteSize: 0 bytes/workgroup (compile time only)
; SGPRBlocks: 2
; VGPRBlocks: 0
; NumSGPRsForWavesPerEU: 20
; NumVGPRsForWavesPerEU: 7
; AccumOffset: 8
; Occupancy: 8
; WaveLimiterHint : 1
; COMPUTE_PGM_RSRC2:SCRATCH_EN: 0
; COMPUTE_PGM_RSRC2:USER_SGPR: 6
; COMPUTE_PGM_RSRC2:TRAP_HANDLER: 0
; COMPUTE_PGM_RSRC2:TGID_X_EN: 1
; COMPUTE_PGM_RSRC2:TGID_Y_EN: 0
; COMPUTE_PGM_RSRC2:TGID_Z_EN: 0
; COMPUTE_PGM_RSRC2:TIDIG_COMP_CNT: 0
; COMPUTE_PGM_RSRC3_GFX90A:ACCUM_OFFSET: 1
; COMPUTE_PGM_RSRC3_GFX90A:TG_SPLIT: 0
	.section	.text._ZN7rocprim17ROCPRIM_400000_NS6detail17trampoline_kernelINS0_14default_configENS1_25transform_config_selectorIiLb0EEEZNS1_14transform_implILb0ES3_S5_PiN6thrust23THRUST_200600_302600_NS6detail15normal_iteratorINS9_10device_ptrIiEEEENS0_8identityIiEEEE10hipError_tT2_T3_mT4_P12ihipStream_tbEUlT_E_NS1_11comp_targetILNS1_3genE3ELNS1_11target_archE908ELNS1_3gpuE7ELNS1_3repE0EEENS1_30default_config_static_selectorELNS0_4arch9wavefront6targetE1EEEvT1_,"axG",@progbits,_ZN7rocprim17ROCPRIM_400000_NS6detail17trampoline_kernelINS0_14default_configENS1_25transform_config_selectorIiLb0EEEZNS1_14transform_implILb0ES3_S5_PiN6thrust23THRUST_200600_302600_NS6detail15normal_iteratorINS9_10device_ptrIiEEEENS0_8identityIiEEEE10hipError_tT2_T3_mT4_P12ihipStream_tbEUlT_E_NS1_11comp_targetILNS1_3genE3ELNS1_11target_archE908ELNS1_3gpuE7ELNS1_3repE0EEENS1_30default_config_static_selectorELNS0_4arch9wavefront6targetE1EEEvT1_,comdat
	.protected	_ZN7rocprim17ROCPRIM_400000_NS6detail17trampoline_kernelINS0_14default_configENS1_25transform_config_selectorIiLb0EEEZNS1_14transform_implILb0ES3_S5_PiN6thrust23THRUST_200600_302600_NS6detail15normal_iteratorINS9_10device_ptrIiEEEENS0_8identityIiEEEE10hipError_tT2_T3_mT4_P12ihipStream_tbEUlT_E_NS1_11comp_targetILNS1_3genE3ELNS1_11target_archE908ELNS1_3gpuE7ELNS1_3repE0EEENS1_30default_config_static_selectorELNS0_4arch9wavefront6targetE1EEEvT1_ ; -- Begin function _ZN7rocprim17ROCPRIM_400000_NS6detail17trampoline_kernelINS0_14default_configENS1_25transform_config_selectorIiLb0EEEZNS1_14transform_implILb0ES3_S5_PiN6thrust23THRUST_200600_302600_NS6detail15normal_iteratorINS9_10device_ptrIiEEEENS0_8identityIiEEEE10hipError_tT2_T3_mT4_P12ihipStream_tbEUlT_E_NS1_11comp_targetILNS1_3genE3ELNS1_11target_archE908ELNS1_3gpuE7ELNS1_3repE0EEENS1_30default_config_static_selectorELNS0_4arch9wavefront6targetE1EEEvT1_
	.globl	_ZN7rocprim17ROCPRIM_400000_NS6detail17trampoline_kernelINS0_14default_configENS1_25transform_config_selectorIiLb0EEEZNS1_14transform_implILb0ES3_S5_PiN6thrust23THRUST_200600_302600_NS6detail15normal_iteratorINS9_10device_ptrIiEEEENS0_8identityIiEEEE10hipError_tT2_T3_mT4_P12ihipStream_tbEUlT_E_NS1_11comp_targetILNS1_3genE3ELNS1_11target_archE908ELNS1_3gpuE7ELNS1_3repE0EEENS1_30default_config_static_selectorELNS0_4arch9wavefront6targetE1EEEvT1_
	.p2align	8
	.type	_ZN7rocprim17ROCPRIM_400000_NS6detail17trampoline_kernelINS0_14default_configENS1_25transform_config_selectorIiLb0EEEZNS1_14transform_implILb0ES3_S5_PiN6thrust23THRUST_200600_302600_NS6detail15normal_iteratorINS9_10device_ptrIiEEEENS0_8identityIiEEEE10hipError_tT2_T3_mT4_P12ihipStream_tbEUlT_E_NS1_11comp_targetILNS1_3genE3ELNS1_11target_archE908ELNS1_3gpuE7ELNS1_3repE0EEENS1_30default_config_static_selectorELNS0_4arch9wavefront6targetE1EEEvT1_,@function
_ZN7rocprim17ROCPRIM_400000_NS6detail17trampoline_kernelINS0_14default_configENS1_25transform_config_selectorIiLb0EEEZNS1_14transform_implILb0ES3_S5_PiN6thrust23THRUST_200600_302600_NS6detail15normal_iteratorINS9_10device_ptrIiEEEENS0_8identityIiEEEE10hipError_tT2_T3_mT4_P12ihipStream_tbEUlT_E_NS1_11comp_targetILNS1_3genE3ELNS1_11target_archE908ELNS1_3gpuE7ELNS1_3repE0EEENS1_30default_config_static_selectorELNS0_4arch9wavefront6targetE1EEEvT1_: ; @_ZN7rocprim17ROCPRIM_400000_NS6detail17trampoline_kernelINS0_14default_configENS1_25transform_config_selectorIiLb0EEEZNS1_14transform_implILb0ES3_S5_PiN6thrust23THRUST_200600_302600_NS6detail15normal_iteratorINS9_10device_ptrIiEEEENS0_8identityIiEEEE10hipError_tT2_T3_mT4_P12ihipStream_tbEUlT_E_NS1_11comp_targetILNS1_3genE3ELNS1_11target_archE908ELNS1_3gpuE7ELNS1_3repE0EEENS1_30default_config_static_selectorELNS0_4arch9wavefront6targetE1EEEvT1_
; %bb.0:
	.section	.rodata,"a",@progbits
	.p2align	6, 0x0
	.amdhsa_kernel _ZN7rocprim17ROCPRIM_400000_NS6detail17trampoline_kernelINS0_14default_configENS1_25transform_config_selectorIiLb0EEEZNS1_14transform_implILb0ES3_S5_PiN6thrust23THRUST_200600_302600_NS6detail15normal_iteratorINS9_10device_ptrIiEEEENS0_8identityIiEEEE10hipError_tT2_T3_mT4_P12ihipStream_tbEUlT_E_NS1_11comp_targetILNS1_3genE3ELNS1_11target_archE908ELNS1_3gpuE7ELNS1_3repE0EEENS1_30default_config_static_selectorELNS0_4arch9wavefront6targetE1EEEvT1_
		.amdhsa_group_segment_fixed_size 0
		.amdhsa_private_segment_fixed_size 0
		.amdhsa_kernarg_size 40
		.amdhsa_user_sgpr_count 6
		.amdhsa_user_sgpr_private_segment_buffer 1
		.amdhsa_user_sgpr_dispatch_ptr 0
		.amdhsa_user_sgpr_queue_ptr 0
		.amdhsa_user_sgpr_kernarg_segment_ptr 1
		.amdhsa_user_sgpr_dispatch_id 0
		.amdhsa_user_sgpr_flat_scratch_init 0
		.amdhsa_user_sgpr_kernarg_preload_length 0
		.amdhsa_user_sgpr_kernarg_preload_offset 0
		.amdhsa_user_sgpr_private_segment_size 0
		.amdhsa_uses_dynamic_stack 0
		.amdhsa_system_sgpr_private_segment_wavefront_offset 0
		.amdhsa_system_sgpr_workgroup_id_x 1
		.amdhsa_system_sgpr_workgroup_id_y 0
		.amdhsa_system_sgpr_workgroup_id_z 0
		.amdhsa_system_sgpr_workgroup_info 0
		.amdhsa_system_vgpr_workitem_id 0
		.amdhsa_next_free_vgpr 1
		.amdhsa_next_free_sgpr 0
		.amdhsa_accum_offset 4
		.amdhsa_reserve_vcc 0
		.amdhsa_reserve_flat_scratch 0
		.amdhsa_float_round_mode_32 0
		.amdhsa_float_round_mode_16_64 0
		.amdhsa_float_denorm_mode_32 3
		.amdhsa_float_denorm_mode_16_64 3
		.amdhsa_dx10_clamp 1
		.amdhsa_ieee_mode 1
		.amdhsa_fp16_overflow 0
		.amdhsa_tg_split 0
		.amdhsa_exception_fp_ieee_invalid_op 0
		.amdhsa_exception_fp_denorm_src 0
		.amdhsa_exception_fp_ieee_div_zero 0
		.amdhsa_exception_fp_ieee_overflow 0
		.amdhsa_exception_fp_ieee_underflow 0
		.amdhsa_exception_fp_ieee_inexact 0
		.amdhsa_exception_int_div_zero 0
	.end_amdhsa_kernel
	.section	.text._ZN7rocprim17ROCPRIM_400000_NS6detail17trampoline_kernelINS0_14default_configENS1_25transform_config_selectorIiLb0EEEZNS1_14transform_implILb0ES3_S5_PiN6thrust23THRUST_200600_302600_NS6detail15normal_iteratorINS9_10device_ptrIiEEEENS0_8identityIiEEEE10hipError_tT2_T3_mT4_P12ihipStream_tbEUlT_E_NS1_11comp_targetILNS1_3genE3ELNS1_11target_archE908ELNS1_3gpuE7ELNS1_3repE0EEENS1_30default_config_static_selectorELNS0_4arch9wavefront6targetE1EEEvT1_,"axG",@progbits,_ZN7rocprim17ROCPRIM_400000_NS6detail17trampoline_kernelINS0_14default_configENS1_25transform_config_selectorIiLb0EEEZNS1_14transform_implILb0ES3_S5_PiN6thrust23THRUST_200600_302600_NS6detail15normal_iteratorINS9_10device_ptrIiEEEENS0_8identityIiEEEE10hipError_tT2_T3_mT4_P12ihipStream_tbEUlT_E_NS1_11comp_targetILNS1_3genE3ELNS1_11target_archE908ELNS1_3gpuE7ELNS1_3repE0EEENS1_30default_config_static_selectorELNS0_4arch9wavefront6targetE1EEEvT1_,comdat
.Lfunc_end3139:
	.size	_ZN7rocprim17ROCPRIM_400000_NS6detail17trampoline_kernelINS0_14default_configENS1_25transform_config_selectorIiLb0EEEZNS1_14transform_implILb0ES3_S5_PiN6thrust23THRUST_200600_302600_NS6detail15normal_iteratorINS9_10device_ptrIiEEEENS0_8identityIiEEEE10hipError_tT2_T3_mT4_P12ihipStream_tbEUlT_E_NS1_11comp_targetILNS1_3genE3ELNS1_11target_archE908ELNS1_3gpuE7ELNS1_3repE0EEENS1_30default_config_static_selectorELNS0_4arch9wavefront6targetE1EEEvT1_, .Lfunc_end3139-_ZN7rocprim17ROCPRIM_400000_NS6detail17trampoline_kernelINS0_14default_configENS1_25transform_config_selectorIiLb0EEEZNS1_14transform_implILb0ES3_S5_PiN6thrust23THRUST_200600_302600_NS6detail15normal_iteratorINS9_10device_ptrIiEEEENS0_8identityIiEEEE10hipError_tT2_T3_mT4_P12ihipStream_tbEUlT_E_NS1_11comp_targetILNS1_3genE3ELNS1_11target_archE908ELNS1_3gpuE7ELNS1_3repE0EEENS1_30default_config_static_selectorELNS0_4arch9wavefront6targetE1EEEvT1_
                                        ; -- End function
	.section	.AMDGPU.csdata,"",@progbits
; Kernel info:
; codeLenInByte = 0
; NumSgprs: 4
; NumVgprs: 0
; NumAgprs: 0
; TotalNumVgprs: 0
; ScratchSize: 0
; MemoryBound: 0
; FloatMode: 240
; IeeeMode: 1
; LDSByteSize: 0 bytes/workgroup (compile time only)
; SGPRBlocks: 0
; VGPRBlocks: 0
; NumSGPRsForWavesPerEU: 4
; NumVGPRsForWavesPerEU: 1
; AccumOffset: 4
; Occupancy: 8
; WaveLimiterHint : 0
; COMPUTE_PGM_RSRC2:SCRATCH_EN: 0
; COMPUTE_PGM_RSRC2:USER_SGPR: 6
; COMPUTE_PGM_RSRC2:TRAP_HANDLER: 0
; COMPUTE_PGM_RSRC2:TGID_X_EN: 1
; COMPUTE_PGM_RSRC2:TGID_Y_EN: 0
; COMPUTE_PGM_RSRC2:TGID_Z_EN: 0
; COMPUTE_PGM_RSRC2:TIDIG_COMP_CNT: 0
; COMPUTE_PGM_RSRC3_GFX90A:ACCUM_OFFSET: 0
; COMPUTE_PGM_RSRC3_GFX90A:TG_SPLIT: 0
	.section	.text._ZN7rocprim17ROCPRIM_400000_NS6detail17trampoline_kernelINS0_14default_configENS1_25transform_config_selectorIiLb0EEEZNS1_14transform_implILb0ES3_S5_PiN6thrust23THRUST_200600_302600_NS6detail15normal_iteratorINS9_10device_ptrIiEEEENS0_8identityIiEEEE10hipError_tT2_T3_mT4_P12ihipStream_tbEUlT_E_NS1_11comp_targetILNS1_3genE2ELNS1_11target_archE906ELNS1_3gpuE6ELNS1_3repE0EEENS1_30default_config_static_selectorELNS0_4arch9wavefront6targetE1EEEvT1_,"axG",@progbits,_ZN7rocprim17ROCPRIM_400000_NS6detail17trampoline_kernelINS0_14default_configENS1_25transform_config_selectorIiLb0EEEZNS1_14transform_implILb0ES3_S5_PiN6thrust23THRUST_200600_302600_NS6detail15normal_iteratorINS9_10device_ptrIiEEEENS0_8identityIiEEEE10hipError_tT2_T3_mT4_P12ihipStream_tbEUlT_E_NS1_11comp_targetILNS1_3genE2ELNS1_11target_archE906ELNS1_3gpuE6ELNS1_3repE0EEENS1_30default_config_static_selectorELNS0_4arch9wavefront6targetE1EEEvT1_,comdat
	.protected	_ZN7rocprim17ROCPRIM_400000_NS6detail17trampoline_kernelINS0_14default_configENS1_25transform_config_selectorIiLb0EEEZNS1_14transform_implILb0ES3_S5_PiN6thrust23THRUST_200600_302600_NS6detail15normal_iteratorINS9_10device_ptrIiEEEENS0_8identityIiEEEE10hipError_tT2_T3_mT4_P12ihipStream_tbEUlT_E_NS1_11comp_targetILNS1_3genE2ELNS1_11target_archE906ELNS1_3gpuE6ELNS1_3repE0EEENS1_30default_config_static_selectorELNS0_4arch9wavefront6targetE1EEEvT1_ ; -- Begin function _ZN7rocprim17ROCPRIM_400000_NS6detail17trampoline_kernelINS0_14default_configENS1_25transform_config_selectorIiLb0EEEZNS1_14transform_implILb0ES3_S5_PiN6thrust23THRUST_200600_302600_NS6detail15normal_iteratorINS9_10device_ptrIiEEEENS0_8identityIiEEEE10hipError_tT2_T3_mT4_P12ihipStream_tbEUlT_E_NS1_11comp_targetILNS1_3genE2ELNS1_11target_archE906ELNS1_3gpuE6ELNS1_3repE0EEENS1_30default_config_static_selectorELNS0_4arch9wavefront6targetE1EEEvT1_
	.globl	_ZN7rocprim17ROCPRIM_400000_NS6detail17trampoline_kernelINS0_14default_configENS1_25transform_config_selectorIiLb0EEEZNS1_14transform_implILb0ES3_S5_PiN6thrust23THRUST_200600_302600_NS6detail15normal_iteratorINS9_10device_ptrIiEEEENS0_8identityIiEEEE10hipError_tT2_T3_mT4_P12ihipStream_tbEUlT_E_NS1_11comp_targetILNS1_3genE2ELNS1_11target_archE906ELNS1_3gpuE6ELNS1_3repE0EEENS1_30default_config_static_selectorELNS0_4arch9wavefront6targetE1EEEvT1_
	.p2align	8
	.type	_ZN7rocprim17ROCPRIM_400000_NS6detail17trampoline_kernelINS0_14default_configENS1_25transform_config_selectorIiLb0EEEZNS1_14transform_implILb0ES3_S5_PiN6thrust23THRUST_200600_302600_NS6detail15normal_iteratorINS9_10device_ptrIiEEEENS0_8identityIiEEEE10hipError_tT2_T3_mT4_P12ihipStream_tbEUlT_E_NS1_11comp_targetILNS1_3genE2ELNS1_11target_archE906ELNS1_3gpuE6ELNS1_3repE0EEENS1_30default_config_static_selectorELNS0_4arch9wavefront6targetE1EEEvT1_,@function
_ZN7rocprim17ROCPRIM_400000_NS6detail17trampoline_kernelINS0_14default_configENS1_25transform_config_selectorIiLb0EEEZNS1_14transform_implILb0ES3_S5_PiN6thrust23THRUST_200600_302600_NS6detail15normal_iteratorINS9_10device_ptrIiEEEENS0_8identityIiEEEE10hipError_tT2_T3_mT4_P12ihipStream_tbEUlT_E_NS1_11comp_targetILNS1_3genE2ELNS1_11target_archE906ELNS1_3gpuE6ELNS1_3repE0EEENS1_30default_config_static_selectorELNS0_4arch9wavefront6targetE1EEEvT1_: ; @_ZN7rocprim17ROCPRIM_400000_NS6detail17trampoline_kernelINS0_14default_configENS1_25transform_config_selectorIiLb0EEEZNS1_14transform_implILb0ES3_S5_PiN6thrust23THRUST_200600_302600_NS6detail15normal_iteratorINS9_10device_ptrIiEEEENS0_8identityIiEEEE10hipError_tT2_T3_mT4_P12ihipStream_tbEUlT_E_NS1_11comp_targetILNS1_3genE2ELNS1_11target_archE906ELNS1_3gpuE6ELNS1_3repE0EEENS1_30default_config_static_selectorELNS0_4arch9wavefront6targetE1EEEvT1_
; %bb.0:
	.section	.rodata,"a",@progbits
	.p2align	6, 0x0
	.amdhsa_kernel _ZN7rocprim17ROCPRIM_400000_NS6detail17trampoline_kernelINS0_14default_configENS1_25transform_config_selectorIiLb0EEEZNS1_14transform_implILb0ES3_S5_PiN6thrust23THRUST_200600_302600_NS6detail15normal_iteratorINS9_10device_ptrIiEEEENS0_8identityIiEEEE10hipError_tT2_T3_mT4_P12ihipStream_tbEUlT_E_NS1_11comp_targetILNS1_3genE2ELNS1_11target_archE906ELNS1_3gpuE6ELNS1_3repE0EEENS1_30default_config_static_selectorELNS0_4arch9wavefront6targetE1EEEvT1_
		.amdhsa_group_segment_fixed_size 0
		.amdhsa_private_segment_fixed_size 0
		.amdhsa_kernarg_size 40
		.amdhsa_user_sgpr_count 6
		.amdhsa_user_sgpr_private_segment_buffer 1
		.amdhsa_user_sgpr_dispatch_ptr 0
		.amdhsa_user_sgpr_queue_ptr 0
		.amdhsa_user_sgpr_kernarg_segment_ptr 1
		.amdhsa_user_sgpr_dispatch_id 0
		.amdhsa_user_sgpr_flat_scratch_init 0
		.amdhsa_user_sgpr_kernarg_preload_length 0
		.amdhsa_user_sgpr_kernarg_preload_offset 0
		.amdhsa_user_sgpr_private_segment_size 0
		.amdhsa_uses_dynamic_stack 0
		.amdhsa_system_sgpr_private_segment_wavefront_offset 0
		.amdhsa_system_sgpr_workgroup_id_x 1
		.amdhsa_system_sgpr_workgroup_id_y 0
		.amdhsa_system_sgpr_workgroup_id_z 0
		.amdhsa_system_sgpr_workgroup_info 0
		.amdhsa_system_vgpr_workitem_id 0
		.amdhsa_next_free_vgpr 1
		.amdhsa_next_free_sgpr 0
		.amdhsa_accum_offset 4
		.amdhsa_reserve_vcc 0
		.amdhsa_reserve_flat_scratch 0
		.amdhsa_float_round_mode_32 0
		.amdhsa_float_round_mode_16_64 0
		.amdhsa_float_denorm_mode_32 3
		.amdhsa_float_denorm_mode_16_64 3
		.amdhsa_dx10_clamp 1
		.amdhsa_ieee_mode 1
		.amdhsa_fp16_overflow 0
		.amdhsa_tg_split 0
		.amdhsa_exception_fp_ieee_invalid_op 0
		.amdhsa_exception_fp_denorm_src 0
		.amdhsa_exception_fp_ieee_div_zero 0
		.amdhsa_exception_fp_ieee_overflow 0
		.amdhsa_exception_fp_ieee_underflow 0
		.amdhsa_exception_fp_ieee_inexact 0
		.amdhsa_exception_int_div_zero 0
	.end_amdhsa_kernel
	.section	.text._ZN7rocprim17ROCPRIM_400000_NS6detail17trampoline_kernelINS0_14default_configENS1_25transform_config_selectorIiLb0EEEZNS1_14transform_implILb0ES3_S5_PiN6thrust23THRUST_200600_302600_NS6detail15normal_iteratorINS9_10device_ptrIiEEEENS0_8identityIiEEEE10hipError_tT2_T3_mT4_P12ihipStream_tbEUlT_E_NS1_11comp_targetILNS1_3genE2ELNS1_11target_archE906ELNS1_3gpuE6ELNS1_3repE0EEENS1_30default_config_static_selectorELNS0_4arch9wavefront6targetE1EEEvT1_,"axG",@progbits,_ZN7rocprim17ROCPRIM_400000_NS6detail17trampoline_kernelINS0_14default_configENS1_25transform_config_selectorIiLb0EEEZNS1_14transform_implILb0ES3_S5_PiN6thrust23THRUST_200600_302600_NS6detail15normal_iteratorINS9_10device_ptrIiEEEENS0_8identityIiEEEE10hipError_tT2_T3_mT4_P12ihipStream_tbEUlT_E_NS1_11comp_targetILNS1_3genE2ELNS1_11target_archE906ELNS1_3gpuE6ELNS1_3repE0EEENS1_30default_config_static_selectorELNS0_4arch9wavefront6targetE1EEEvT1_,comdat
.Lfunc_end3140:
	.size	_ZN7rocprim17ROCPRIM_400000_NS6detail17trampoline_kernelINS0_14default_configENS1_25transform_config_selectorIiLb0EEEZNS1_14transform_implILb0ES3_S5_PiN6thrust23THRUST_200600_302600_NS6detail15normal_iteratorINS9_10device_ptrIiEEEENS0_8identityIiEEEE10hipError_tT2_T3_mT4_P12ihipStream_tbEUlT_E_NS1_11comp_targetILNS1_3genE2ELNS1_11target_archE906ELNS1_3gpuE6ELNS1_3repE0EEENS1_30default_config_static_selectorELNS0_4arch9wavefront6targetE1EEEvT1_, .Lfunc_end3140-_ZN7rocprim17ROCPRIM_400000_NS6detail17trampoline_kernelINS0_14default_configENS1_25transform_config_selectorIiLb0EEEZNS1_14transform_implILb0ES3_S5_PiN6thrust23THRUST_200600_302600_NS6detail15normal_iteratorINS9_10device_ptrIiEEEENS0_8identityIiEEEE10hipError_tT2_T3_mT4_P12ihipStream_tbEUlT_E_NS1_11comp_targetILNS1_3genE2ELNS1_11target_archE906ELNS1_3gpuE6ELNS1_3repE0EEENS1_30default_config_static_selectorELNS0_4arch9wavefront6targetE1EEEvT1_
                                        ; -- End function
	.section	.AMDGPU.csdata,"",@progbits
; Kernel info:
; codeLenInByte = 0
; NumSgprs: 4
; NumVgprs: 0
; NumAgprs: 0
; TotalNumVgprs: 0
; ScratchSize: 0
; MemoryBound: 0
; FloatMode: 240
; IeeeMode: 1
; LDSByteSize: 0 bytes/workgroup (compile time only)
; SGPRBlocks: 0
; VGPRBlocks: 0
; NumSGPRsForWavesPerEU: 4
; NumVGPRsForWavesPerEU: 1
; AccumOffset: 4
; Occupancy: 8
; WaveLimiterHint : 0
; COMPUTE_PGM_RSRC2:SCRATCH_EN: 0
; COMPUTE_PGM_RSRC2:USER_SGPR: 6
; COMPUTE_PGM_RSRC2:TRAP_HANDLER: 0
; COMPUTE_PGM_RSRC2:TGID_X_EN: 1
; COMPUTE_PGM_RSRC2:TGID_Y_EN: 0
; COMPUTE_PGM_RSRC2:TGID_Z_EN: 0
; COMPUTE_PGM_RSRC2:TIDIG_COMP_CNT: 0
; COMPUTE_PGM_RSRC3_GFX90A:ACCUM_OFFSET: 0
; COMPUTE_PGM_RSRC3_GFX90A:TG_SPLIT: 0
	.section	.text._ZN7rocprim17ROCPRIM_400000_NS6detail17trampoline_kernelINS0_14default_configENS1_25transform_config_selectorIiLb0EEEZNS1_14transform_implILb0ES3_S5_PiN6thrust23THRUST_200600_302600_NS6detail15normal_iteratorINS9_10device_ptrIiEEEENS0_8identityIiEEEE10hipError_tT2_T3_mT4_P12ihipStream_tbEUlT_E_NS1_11comp_targetILNS1_3genE10ELNS1_11target_archE1201ELNS1_3gpuE5ELNS1_3repE0EEENS1_30default_config_static_selectorELNS0_4arch9wavefront6targetE1EEEvT1_,"axG",@progbits,_ZN7rocprim17ROCPRIM_400000_NS6detail17trampoline_kernelINS0_14default_configENS1_25transform_config_selectorIiLb0EEEZNS1_14transform_implILb0ES3_S5_PiN6thrust23THRUST_200600_302600_NS6detail15normal_iteratorINS9_10device_ptrIiEEEENS0_8identityIiEEEE10hipError_tT2_T3_mT4_P12ihipStream_tbEUlT_E_NS1_11comp_targetILNS1_3genE10ELNS1_11target_archE1201ELNS1_3gpuE5ELNS1_3repE0EEENS1_30default_config_static_selectorELNS0_4arch9wavefront6targetE1EEEvT1_,comdat
	.protected	_ZN7rocprim17ROCPRIM_400000_NS6detail17trampoline_kernelINS0_14default_configENS1_25transform_config_selectorIiLb0EEEZNS1_14transform_implILb0ES3_S5_PiN6thrust23THRUST_200600_302600_NS6detail15normal_iteratorINS9_10device_ptrIiEEEENS0_8identityIiEEEE10hipError_tT2_T3_mT4_P12ihipStream_tbEUlT_E_NS1_11comp_targetILNS1_3genE10ELNS1_11target_archE1201ELNS1_3gpuE5ELNS1_3repE0EEENS1_30default_config_static_selectorELNS0_4arch9wavefront6targetE1EEEvT1_ ; -- Begin function _ZN7rocprim17ROCPRIM_400000_NS6detail17trampoline_kernelINS0_14default_configENS1_25transform_config_selectorIiLb0EEEZNS1_14transform_implILb0ES3_S5_PiN6thrust23THRUST_200600_302600_NS6detail15normal_iteratorINS9_10device_ptrIiEEEENS0_8identityIiEEEE10hipError_tT2_T3_mT4_P12ihipStream_tbEUlT_E_NS1_11comp_targetILNS1_3genE10ELNS1_11target_archE1201ELNS1_3gpuE5ELNS1_3repE0EEENS1_30default_config_static_selectorELNS0_4arch9wavefront6targetE1EEEvT1_
	.globl	_ZN7rocprim17ROCPRIM_400000_NS6detail17trampoline_kernelINS0_14default_configENS1_25transform_config_selectorIiLb0EEEZNS1_14transform_implILb0ES3_S5_PiN6thrust23THRUST_200600_302600_NS6detail15normal_iteratorINS9_10device_ptrIiEEEENS0_8identityIiEEEE10hipError_tT2_T3_mT4_P12ihipStream_tbEUlT_E_NS1_11comp_targetILNS1_3genE10ELNS1_11target_archE1201ELNS1_3gpuE5ELNS1_3repE0EEENS1_30default_config_static_selectorELNS0_4arch9wavefront6targetE1EEEvT1_
	.p2align	8
	.type	_ZN7rocprim17ROCPRIM_400000_NS6detail17trampoline_kernelINS0_14default_configENS1_25transform_config_selectorIiLb0EEEZNS1_14transform_implILb0ES3_S5_PiN6thrust23THRUST_200600_302600_NS6detail15normal_iteratorINS9_10device_ptrIiEEEENS0_8identityIiEEEE10hipError_tT2_T3_mT4_P12ihipStream_tbEUlT_E_NS1_11comp_targetILNS1_3genE10ELNS1_11target_archE1201ELNS1_3gpuE5ELNS1_3repE0EEENS1_30default_config_static_selectorELNS0_4arch9wavefront6targetE1EEEvT1_,@function
_ZN7rocprim17ROCPRIM_400000_NS6detail17trampoline_kernelINS0_14default_configENS1_25transform_config_selectorIiLb0EEEZNS1_14transform_implILb0ES3_S5_PiN6thrust23THRUST_200600_302600_NS6detail15normal_iteratorINS9_10device_ptrIiEEEENS0_8identityIiEEEE10hipError_tT2_T3_mT4_P12ihipStream_tbEUlT_E_NS1_11comp_targetILNS1_3genE10ELNS1_11target_archE1201ELNS1_3gpuE5ELNS1_3repE0EEENS1_30default_config_static_selectorELNS0_4arch9wavefront6targetE1EEEvT1_: ; @_ZN7rocprim17ROCPRIM_400000_NS6detail17trampoline_kernelINS0_14default_configENS1_25transform_config_selectorIiLb0EEEZNS1_14transform_implILb0ES3_S5_PiN6thrust23THRUST_200600_302600_NS6detail15normal_iteratorINS9_10device_ptrIiEEEENS0_8identityIiEEEE10hipError_tT2_T3_mT4_P12ihipStream_tbEUlT_E_NS1_11comp_targetILNS1_3genE10ELNS1_11target_archE1201ELNS1_3gpuE5ELNS1_3repE0EEENS1_30default_config_static_selectorELNS0_4arch9wavefront6targetE1EEEvT1_
; %bb.0:
	.section	.rodata,"a",@progbits
	.p2align	6, 0x0
	.amdhsa_kernel _ZN7rocprim17ROCPRIM_400000_NS6detail17trampoline_kernelINS0_14default_configENS1_25transform_config_selectorIiLb0EEEZNS1_14transform_implILb0ES3_S5_PiN6thrust23THRUST_200600_302600_NS6detail15normal_iteratorINS9_10device_ptrIiEEEENS0_8identityIiEEEE10hipError_tT2_T3_mT4_P12ihipStream_tbEUlT_E_NS1_11comp_targetILNS1_3genE10ELNS1_11target_archE1201ELNS1_3gpuE5ELNS1_3repE0EEENS1_30default_config_static_selectorELNS0_4arch9wavefront6targetE1EEEvT1_
		.amdhsa_group_segment_fixed_size 0
		.amdhsa_private_segment_fixed_size 0
		.amdhsa_kernarg_size 40
		.amdhsa_user_sgpr_count 6
		.amdhsa_user_sgpr_private_segment_buffer 1
		.amdhsa_user_sgpr_dispatch_ptr 0
		.amdhsa_user_sgpr_queue_ptr 0
		.amdhsa_user_sgpr_kernarg_segment_ptr 1
		.amdhsa_user_sgpr_dispatch_id 0
		.amdhsa_user_sgpr_flat_scratch_init 0
		.amdhsa_user_sgpr_kernarg_preload_length 0
		.amdhsa_user_sgpr_kernarg_preload_offset 0
		.amdhsa_user_sgpr_private_segment_size 0
		.amdhsa_uses_dynamic_stack 0
		.amdhsa_system_sgpr_private_segment_wavefront_offset 0
		.amdhsa_system_sgpr_workgroup_id_x 1
		.amdhsa_system_sgpr_workgroup_id_y 0
		.amdhsa_system_sgpr_workgroup_id_z 0
		.amdhsa_system_sgpr_workgroup_info 0
		.amdhsa_system_vgpr_workitem_id 0
		.amdhsa_next_free_vgpr 1
		.amdhsa_next_free_sgpr 0
		.amdhsa_accum_offset 4
		.amdhsa_reserve_vcc 0
		.amdhsa_reserve_flat_scratch 0
		.amdhsa_float_round_mode_32 0
		.amdhsa_float_round_mode_16_64 0
		.amdhsa_float_denorm_mode_32 3
		.amdhsa_float_denorm_mode_16_64 3
		.amdhsa_dx10_clamp 1
		.amdhsa_ieee_mode 1
		.amdhsa_fp16_overflow 0
		.amdhsa_tg_split 0
		.amdhsa_exception_fp_ieee_invalid_op 0
		.amdhsa_exception_fp_denorm_src 0
		.amdhsa_exception_fp_ieee_div_zero 0
		.amdhsa_exception_fp_ieee_overflow 0
		.amdhsa_exception_fp_ieee_underflow 0
		.amdhsa_exception_fp_ieee_inexact 0
		.amdhsa_exception_int_div_zero 0
	.end_amdhsa_kernel
	.section	.text._ZN7rocprim17ROCPRIM_400000_NS6detail17trampoline_kernelINS0_14default_configENS1_25transform_config_selectorIiLb0EEEZNS1_14transform_implILb0ES3_S5_PiN6thrust23THRUST_200600_302600_NS6detail15normal_iteratorINS9_10device_ptrIiEEEENS0_8identityIiEEEE10hipError_tT2_T3_mT4_P12ihipStream_tbEUlT_E_NS1_11comp_targetILNS1_3genE10ELNS1_11target_archE1201ELNS1_3gpuE5ELNS1_3repE0EEENS1_30default_config_static_selectorELNS0_4arch9wavefront6targetE1EEEvT1_,"axG",@progbits,_ZN7rocprim17ROCPRIM_400000_NS6detail17trampoline_kernelINS0_14default_configENS1_25transform_config_selectorIiLb0EEEZNS1_14transform_implILb0ES3_S5_PiN6thrust23THRUST_200600_302600_NS6detail15normal_iteratorINS9_10device_ptrIiEEEENS0_8identityIiEEEE10hipError_tT2_T3_mT4_P12ihipStream_tbEUlT_E_NS1_11comp_targetILNS1_3genE10ELNS1_11target_archE1201ELNS1_3gpuE5ELNS1_3repE0EEENS1_30default_config_static_selectorELNS0_4arch9wavefront6targetE1EEEvT1_,comdat
.Lfunc_end3141:
	.size	_ZN7rocprim17ROCPRIM_400000_NS6detail17trampoline_kernelINS0_14default_configENS1_25transform_config_selectorIiLb0EEEZNS1_14transform_implILb0ES3_S5_PiN6thrust23THRUST_200600_302600_NS6detail15normal_iteratorINS9_10device_ptrIiEEEENS0_8identityIiEEEE10hipError_tT2_T3_mT4_P12ihipStream_tbEUlT_E_NS1_11comp_targetILNS1_3genE10ELNS1_11target_archE1201ELNS1_3gpuE5ELNS1_3repE0EEENS1_30default_config_static_selectorELNS0_4arch9wavefront6targetE1EEEvT1_, .Lfunc_end3141-_ZN7rocprim17ROCPRIM_400000_NS6detail17trampoline_kernelINS0_14default_configENS1_25transform_config_selectorIiLb0EEEZNS1_14transform_implILb0ES3_S5_PiN6thrust23THRUST_200600_302600_NS6detail15normal_iteratorINS9_10device_ptrIiEEEENS0_8identityIiEEEE10hipError_tT2_T3_mT4_P12ihipStream_tbEUlT_E_NS1_11comp_targetILNS1_3genE10ELNS1_11target_archE1201ELNS1_3gpuE5ELNS1_3repE0EEENS1_30default_config_static_selectorELNS0_4arch9wavefront6targetE1EEEvT1_
                                        ; -- End function
	.section	.AMDGPU.csdata,"",@progbits
; Kernel info:
; codeLenInByte = 0
; NumSgprs: 4
; NumVgprs: 0
; NumAgprs: 0
; TotalNumVgprs: 0
; ScratchSize: 0
; MemoryBound: 0
; FloatMode: 240
; IeeeMode: 1
; LDSByteSize: 0 bytes/workgroup (compile time only)
; SGPRBlocks: 0
; VGPRBlocks: 0
; NumSGPRsForWavesPerEU: 4
; NumVGPRsForWavesPerEU: 1
; AccumOffset: 4
; Occupancy: 8
; WaveLimiterHint : 0
; COMPUTE_PGM_RSRC2:SCRATCH_EN: 0
; COMPUTE_PGM_RSRC2:USER_SGPR: 6
; COMPUTE_PGM_RSRC2:TRAP_HANDLER: 0
; COMPUTE_PGM_RSRC2:TGID_X_EN: 1
; COMPUTE_PGM_RSRC2:TGID_Y_EN: 0
; COMPUTE_PGM_RSRC2:TGID_Z_EN: 0
; COMPUTE_PGM_RSRC2:TIDIG_COMP_CNT: 0
; COMPUTE_PGM_RSRC3_GFX90A:ACCUM_OFFSET: 0
; COMPUTE_PGM_RSRC3_GFX90A:TG_SPLIT: 0
	.section	.text._ZN7rocprim17ROCPRIM_400000_NS6detail17trampoline_kernelINS0_14default_configENS1_25transform_config_selectorIiLb0EEEZNS1_14transform_implILb0ES3_S5_PiN6thrust23THRUST_200600_302600_NS6detail15normal_iteratorINS9_10device_ptrIiEEEENS0_8identityIiEEEE10hipError_tT2_T3_mT4_P12ihipStream_tbEUlT_E_NS1_11comp_targetILNS1_3genE10ELNS1_11target_archE1200ELNS1_3gpuE4ELNS1_3repE0EEENS1_30default_config_static_selectorELNS0_4arch9wavefront6targetE1EEEvT1_,"axG",@progbits,_ZN7rocprim17ROCPRIM_400000_NS6detail17trampoline_kernelINS0_14default_configENS1_25transform_config_selectorIiLb0EEEZNS1_14transform_implILb0ES3_S5_PiN6thrust23THRUST_200600_302600_NS6detail15normal_iteratorINS9_10device_ptrIiEEEENS0_8identityIiEEEE10hipError_tT2_T3_mT4_P12ihipStream_tbEUlT_E_NS1_11comp_targetILNS1_3genE10ELNS1_11target_archE1200ELNS1_3gpuE4ELNS1_3repE0EEENS1_30default_config_static_selectorELNS0_4arch9wavefront6targetE1EEEvT1_,comdat
	.protected	_ZN7rocprim17ROCPRIM_400000_NS6detail17trampoline_kernelINS0_14default_configENS1_25transform_config_selectorIiLb0EEEZNS1_14transform_implILb0ES3_S5_PiN6thrust23THRUST_200600_302600_NS6detail15normal_iteratorINS9_10device_ptrIiEEEENS0_8identityIiEEEE10hipError_tT2_T3_mT4_P12ihipStream_tbEUlT_E_NS1_11comp_targetILNS1_3genE10ELNS1_11target_archE1200ELNS1_3gpuE4ELNS1_3repE0EEENS1_30default_config_static_selectorELNS0_4arch9wavefront6targetE1EEEvT1_ ; -- Begin function _ZN7rocprim17ROCPRIM_400000_NS6detail17trampoline_kernelINS0_14default_configENS1_25transform_config_selectorIiLb0EEEZNS1_14transform_implILb0ES3_S5_PiN6thrust23THRUST_200600_302600_NS6detail15normal_iteratorINS9_10device_ptrIiEEEENS0_8identityIiEEEE10hipError_tT2_T3_mT4_P12ihipStream_tbEUlT_E_NS1_11comp_targetILNS1_3genE10ELNS1_11target_archE1200ELNS1_3gpuE4ELNS1_3repE0EEENS1_30default_config_static_selectorELNS0_4arch9wavefront6targetE1EEEvT1_
	.globl	_ZN7rocprim17ROCPRIM_400000_NS6detail17trampoline_kernelINS0_14default_configENS1_25transform_config_selectorIiLb0EEEZNS1_14transform_implILb0ES3_S5_PiN6thrust23THRUST_200600_302600_NS6detail15normal_iteratorINS9_10device_ptrIiEEEENS0_8identityIiEEEE10hipError_tT2_T3_mT4_P12ihipStream_tbEUlT_E_NS1_11comp_targetILNS1_3genE10ELNS1_11target_archE1200ELNS1_3gpuE4ELNS1_3repE0EEENS1_30default_config_static_selectorELNS0_4arch9wavefront6targetE1EEEvT1_
	.p2align	8
	.type	_ZN7rocprim17ROCPRIM_400000_NS6detail17trampoline_kernelINS0_14default_configENS1_25transform_config_selectorIiLb0EEEZNS1_14transform_implILb0ES3_S5_PiN6thrust23THRUST_200600_302600_NS6detail15normal_iteratorINS9_10device_ptrIiEEEENS0_8identityIiEEEE10hipError_tT2_T3_mT4_P12ihipStream_tbEUlT_E_NS1_11comp_targetILNS1_3genE10ELNS1_11target_archE1200ELNS1_3gpuE4ELNS1_3repE0EEENS1_30default_config_static_selectorELNS0_4arch9wavefront6targetE1EEEvT1_,@function
_ZN7rocprim17ROCPRIM_400000_NS6detail17trampoline_kernelINS0_14default_configENS1_25transform_config_selectorIiLb0EEEZNS1_14transform_implILb0ES3_S5_PiN6thrust23THRUST_200600_302600_NS6detail15normal_iteratorINS9_10device_ptrIiEEEENS0_8identityIiEEEE10hipError_tT2_T3_mT4_P12ihipStream_tbEUlT_E_NS1_11comp_targetILNS1_3genE10ELNS1_11target_archE1200ELNS1_3gpuE4ELNS1_3repE0EEENS1_30default_config_static_selectorELNS0_4arch9wavefront6targetE1EEEvT1_: ; @_ZN7rocprim17ROCPRIM_400000_NS6detail17trampoline_kernelINS0_14default_configENS1_25transform_config_selectorIiLb0EEEZNS1_14transform_implILb0ES3_S5_PiN6thrust23THRUST_200600_302600_NS6detail15normal_iteratorINS9_10device_ptrIiEEEENS0_8identityIiEEEE10hipError_tT2_T3_mT4_P12ihipStream_tbEUlT_E_NS1_11comp_targetILNS1_3genE10ELNS1_11target_archE1200ELNS1_3gpuE4ELNS1_3repE0EEENS1_30default_config_static_selectorELNS0_4arch9wavefront6targetE1EEEvT1_
; %bb.0:
	.section	.rodata,"a",@progbits
	.p2align	6, 0x0
	.amdhsa_kernel _ZN7rocprim17ROCPRIM_400000_NS6detail17trampoline_kernelINS0_14default_configENS1_25transform_config_selectorIiLb0EEEZNS1_14transform_implILb0ES3_S5_PiN6thrust23THRUST_200600_302600_NS6detail15normal_iteratorINS9_10device_ptrIiEEEENS0_8identityIiEEEE10hipError_tT2_T3_mT4_P12ihipStream_tbEUlT_E_NS1_11comp_targetILNS1_3genE10ELNS1_11target_archE1200ELNS1_3gpuE4ELNS1_3repE0EEENS1_30default_config_static_selectorELNS0_4arch9wavefront6targetE1EEEvT1_
		.amdhsa_group_segment_fixed_size 0
		.amdhsa_private_segment_fixed_size 0
		.amdhsa_kernarg_size 40
		.amdhsa_user_sgpr_count 6
		.amdhsa_user_sgpr_private_segment_buffer 1
		.amdhsa_user_sgpr_dispatch_ptr 0
		.amdhsa_user_sgpr_queue_ptr 0
		.amdhsa_user_sgpr_kernarg_segment_ptr 1
		.amdhsa_user_sgpr_dispatch_id 0
		.amdhsa_user_sgpr_flat_scratch_init 0
		.amdhsa_user_sgpr_kernarg_preload_length 0
		.amdhsa_user_sgpr_kernarg_preload_offset 0
		.amdhsa_user_sgpr_private_segment_size 0
		.amdhsa_uses_dynamic_stack 0
		.amdhsa_system_sgpr_private_segment_wavefront_offset 0
		.amdhsa_system_sgpr_workgroup_id_x 1
		.amdhsa_system_sgpr_workgroup_id_y 0
		.amdhsa_system_sgpr_workgroup_id_z 0
		.amdhsa_system_sgpr_workgroup_info 0
		.amdhsa_system_vgpr_workitem_id 0
		.amdhsa_next_free_vgpr 1
		.amdhsa_next_free_sgpr 0
		.amdhsa_accum_offset 4
		.amdhsa_reserve_vcc 0
		.amdhsa_reserve_flat_scratch 0
		.amdhsa_float_round_mode_32 0
		.amdhsa_float_round_mode_16_64 0
		.amdhsa_float_denorm_mode_32 3
		.amdhsa_float_denorm_mode_16_64 3
		.amdhsa_dx10_clamp 1
		.amdhsa_ieee_mode 1
		.amdhsa_fp16_overflow 0
		.amdhsa_tg_split 0
		.amdhsa_exception_fp_ieee_invalid_op 0
		.amdhsa_exception_fp_denorm_src 0
		.amdhsa_exception_fp_ieee_div_zero 0
		.amdhsa_exception_fp_ieee_overflow 0
		.amdhsa_exception_fp_ieee_underflow 0
		.amdhsa_exception_fp_ieee_inexact 0
		.amdhsa_exception_int_div_zero 0
	.end_amdhsa_kernel
	.section	.text._ZN7rocprim17ROCPRIM_400000_NS6detail17trampoline_kernelINS0_14default_configENS1_25transform_config_selectorIiLb0EEEZNS1_14transform_implILb0ES3_S5_PiN6thrust23THRUST_200600_302600_NS6detail15normal_iteratorINS9_10device_ptrIiEEEENS0_8identityIiEEEE10hipError_tT2_T3_mT4_P12ihipStream_tbEUlT_E_NS1_11comp_targetILNS1_3genE10ELNS1_11target_archE1200ELNS1_3gpuE4ELNS1_3repE0EEENS1_30default_config_static_selectorELNS0_4arch9wavefront6targetE1EEEvT1_,"axG",@progbits,_ZN7rocprim17ROCPRIM_400000_NS6detail17trampoline_kernelINS0_14default_configENS1_25transform_config_selectorIiLb0EEEZNS1_14transform_implILb0ES3_S5_PiN6thrust23THRUST_200600_302600_NS6detail15normal_iteratorINS9_10device_ptrIiEEEENS0_8identityIiEEEE10hipError_tT2_T3_mT4_P12ihipStream_tbEUlT_E_NS1_11comp_targetILNS1_3genE10ELNS1_11target_archE1200ELNS1_3gpuE4ELNS1_3repE0EEENS1_30default_config_static_selectorELNS0_4arch9wavefront6targetE1EEEvT1_,comdat
.Lfunc_end3142:
	.size	_ZN7rocprim17ROCPRIM_400000_NS6detail17trampoline_kernelINS0_14default_configENS1_25transform_config_selectorIiLb0EEEZNS1_14transform_implILb0ES3_S5_PiN6thrust23THRUST_200600_302600_NS6detail15normal_iteratorINS9_10device_ptrIiEEEENS0_8identityIiEEEE10hipError_tT2_T3_mT4_P12ihipStream_tbEUlT_E_NS1_11comp_targetILNS1_3genE10ELNS1_11target_archE1200ELNS1_3gpuE4ELNS1_3repE0EEENS1_30default_config_static_selectorELNS0_4arch9wavefront6targetE1EEEvT1_, .Lfunc_end3142-_ZN7rocprim17ROCPRIM_400000_NS6detail17trampoline_kernelINS0_14default_configENS1_25transform_config_selectorIiLb0EEEZNS1_14transform_implILb0ES3_S5_PiN6thrust23THRUST_200600_302600_NS6detail15normal_iteratorINS9_10device_ptrIiEEEENS0_8identityIiEEEE10hipError_tT2_T3_mT4_P12ihipStream_tbEUlT_E_NS1_11comp_targetILNS1_3genE10ELNS1_11target_archE1200ELNS1_3gpuE4ELNS1_3repE0EEENS1_30default_config_static_selectorELNS0_4arch9wavefront6targetE1EEEvT1_
                                        ; -- End function
	.section	.AMDGPU.csdata,"",@progbits
; Kernel info:
; codeLenInByte = 0
; NumSgprs: 4
; NumVgprs: 0
; NumAgprs: 0
; TotalNumVgprs: 0
; ScratchSize: 0
; MemoryBound: 0
; FloatMode: 240
; IeeeMode: 1
; LDSByteSize: 0 bytes/workgroup (compile time only)
; SGPRBlocks: 0
; VGPRBlocks: 0
; NumSGPRsForWavesPerEU: 4
; NumVGPRsForWavesPerEU: 1
; AccumOffset: 4
; Occupancy: 8
; WaveLimiterHint : 0
; COMPUTE_PGM_RSRC2:SCRATCH_EN: 0
; COMPUTE_PGM_RSRC2:USER_SGPR: 6
; COMPUTE_PGM_RSRC2:TRAP_HANDLER: 0
; COMPUTE_PGM_RSRC2:TGID_X_EN: 1
; COMPUTE_PGM_RSRC2:TGID_Y_EN: 0
; COMPUTE_PGM_RSRC2:TGID_Z_EN: 0
; COMPUTE_PGM_RSRC2:TIDIG_COMP_CNT: 0
; COMPUTE_PGM_RSRC3_GFX90A:ACCUM_OFFSET: 0
; COMPUTE_PGM_RSRC3_GFX90A:TG_SPLIT: 0
	.section	.text._ZN7rocprim17ROCPRIM_400000_NS6detail17trampoline_kernelINS0_14default_configENS1_25transform_config_selectorIiLb0EEEZNS1_14transform_implILb0ES3_S5_PiN6thrust23THRUST_200600_302600_NS6detail15normal_iteratorINS9_10device_ptrIiEEEENS0_8identityIiEEEE10hipError_tT2_T3_mT4_P12ihipStream_tbEUlT_E_NS1_11comp_targetILNS1_3genE9ELNS1_11target_archE1100ELNS1_3gpuE3ELNS1_3repE0EEENS1_30default_config_static_selectorELNS0_4arch9wavefront6targetE1EEEvT1_,"axG",@progbits,_ZN7rocprim17ROCPRIM_400000_NS6detail17trampoline_kernelINS0_14default_configENS1_25transform_config_selectorIiLb0EEEZNS1_14transform_implILb0ES3_S5_PiN6thrust23THRUST_200600_302600_NS6detail15normal_iteratorINS9_10device_ptrIiEEEENS0_8identityIiEEEE10hipError_tT2_T3_mT4_P12ihipStream_tbEUlT_E_NS1_11comp_targetILNS1_3genE9ELNS1_11target_archE1100ELNS1_3gpuE3ELNS1_3repE0EEENS1_30default_config_static_selectorELNS0_4arch9wavefront6targetE1EEEvT1_,comdat
	.protected	_ZN7rocprim17ROCPRIM_400000_NS6detail17trampoline_kernelINS0_14default_configENS1_25transform_config_selectorIiLb0EEEZNS1_14transform_implILb0ES3_S5_PiN6thrust23THRUST_200600_302600_NS6detail15normal_iteratorINS9_10device_ptrIiEEEENS0_8identityIiEEEE10hipError_tT2_T3_mT4_P12ihipStream_tbEUlT_E_NS1_11comp_targetILNS1_3genE9ELNS1_11target_archE1100ELNS1_3gpuE3ELNS1_3repE0EEENS1_30default_config_static_selectorELNS0_4arch9wavefront6targetE1EEEvT1_ ; -- Begin function _ZN7rocprim17ROCPRIM_400000_NS6detail17trampoline_kernelINS0_14default_configENS1_25transform_config_selectorIiLb0EEEZNS1_14transform_implILb0ES3_S5_PiN6thrust23THRUST_200600_302600_NS6detail15normal_iteratorINS9_10device_ptrIiEEEENS0_8identityIiEEEE10hipError_tT2_T3_mT4_P12ihipStream_tbEUlT_E_NS1_11comp_targetILNS1_3genE9ELNS1_11target_archE1100ELNS1_3gpuE3ELNS1_3repE0EEENS1_30default_config_static_selectorELNS0_4arch9wavefront6targetE1EEEvT1_
	.globl	_ZN7rocprim17ROCPRIM_400000_NS6detail17trampoline_kernelINS0_14default_configENS1_25transform_config_selectorIiLb0EEEZNS1_14transform_implILb0ES3_S5_PiN6thrust23THRUST_200600_302600_NS6detail15normal_iteratorINS9_10device_ptrIiEEEENS0_8identityIiEEEE10hipError_tT2_T3_mT4_P12ihipStream_tbEUlT_E_NS1_11comp_targetILNS1_3genE9ELNS1_11target_archE1100ELNS1_3gpuE3ELNS1_3repE0EEENS1_30default_config_static_selectorELNS0_4arch9wavefront6targetE1EEEvT1_
	.p2align	8
	.type	_ZN7rocprim17ROCPRIM_400000_NS6detail17trampoline_kernelINS0_14default_configENS1_25transform_config_selectorIiLb0EEEZNS1_14transform_implILb0ES3_S5_PiN6thrust23THRUST_200600_302600_NS6detail15normal_iteratorINS9_10device_ptrIiEEEENS0_8identityIiEEEE10hipError_tT2_T3_mT4_P12ihipStream_tbEUlT_E_NS1_11comp_targetILNS1_3genE9ELNS1_11target_archE1100ELNS1_3gpuE3ELNS1_3repE0EEENS1_30default_config_static_selectorELNS0_4arch9wavefront6targetE1EEEvT1_,@function
_ZN7rocprim17ROCPRIM_400000_NS6detail17trampoline_kernelINS0_14default_configENS1_25transform_config_selectorIiLb0EEEZNS1_14transform_implILb0ES3_S5_PiN6thrust23THRUST_200600_302600_NS6detail15normal_iteratorINS9_10device_ptrIiEEEENS0_8identityIiEEEE10hipError_tT2_T3_mT4_P12ihipStream_tbEUlT_E_NS1_11comp_targetILNS1_3genE9ELNS1_11target_archE1100ELNS1_3gpuE3ELNS1_3repE0EEENS1_30default_config_static_selectorELNS0_4arch9wavefront6targetE1EEEvT1_: ; @_ZN7rocprim17ROCPRIM_400000_NS6detail17trampoline_kernelINS0_14default_configENS1_25transform_config_selectorIiLb0EEEZNS1_14transform_implILb0ES3_S5_PiN6thrust23THRUST_200600_302600_NS6detail15normal_iteratorINS9_10device_ptrIiEEEENS0_8identityIiEEEE10hipError_tT2_T3_mT4_P12ihipStream_tbEUlT_E_NS1_11comp_targetILNS1_3genE9ELNS1_11target_archE1100ELNS1_3gpuE3ELNS1_3repE0EEENS1_30default_config_static_selectorELNS0_4arch9wavefront6targetE1EEEvT1_
; %bb.0:
	.section	.rodata,"a",@progbits
	.p2align	6, 0x0
	.amdhsa_kernel _ZN7rocprim17ROCPRIM_400000_NS6detail17trampoline_kernelINS0_14default_configENS1_25transform_config_selectorIiLb0EEEZNS1_14transform_implILb0ES3_S5_PiN6thrust23THRUST_200600_302600_NS6detail15normal_iteratorINS9_10device_ptrIiEEEENS0_8identityIiEEEE10hipError_tT2_T3_mT4_P12ihipStream_tbEUlT_E_NS1_11comp_targetILNS1_3genE9ELNS1_11target_archE1100ELNS1_3gpuE3ELNS1_3repE0EEENS1_30default_config_static_selectorELNS0_4arch9wavefront6targetE1EEEvT1_
		.amdhsa_group_segment_fixed_size 0
		.amdhsa_private_segment_fixed_size 0
		.amdhsa_kernarg_size 40
		.amdhsa_user_sgpr_count 6
		.amdhsa_user_sgpr_private_segment_buffer 1
		.amdhsa_user_sgpr_dispatch_ptr 0
		.amdhsa_user_sgpr_queue_ptr 0
		.amdhsa_user_sgpr_kernarg_segment_ptr 1
		.amdhsa_user_sgpr_dispatch_id 0
		.amdhsa_user_sgpr_flat_scratch_init 0
		.amdhsa_user_sgpr_kernarg_preload_length 0
		.amdhsa_user_sgpr_kernarg_preload_offset 0
		.amdhsa_user_sgpr_private_segment_size 0
		.amdhsa_uses_dynamic_stack 0
		.amdhsa_system_sgpr_private_segment_wavefront_offset 0
		.amdhsa_system_sgpr_workgroup_id_x 1
		.amdhsa_system_sgpr_workgroup_id_y 0
		.amdhsa_system_sgpr_workgroup_id_z 0
		.amdhsa_system_sgpr_workgroup_info 0
		.amdhsa_system_vgpr_workitem_id 0
		.amdhsa_next_free_vgpr 1
		.amdhsa_next_free_sgpr 0
		.amdhsa_accum_offset 4
		.amdhsa_reserve_vcc 0
		.amdhsa_reserve_flat_scratch 0
		.amdhsa_float_round_mode_32 0
		.amdhsa_float_round_mode_16_64 0
		.amdhsa_float_denorm_mode_32 3
		.amdhsa_float_denorm_mode_16_64 3
		.amdhsa_dx10_clamp 1
		.amdhsa_ieee_mode 1
		.amdhsa_fp16_overflow 0
		.amdhsa_tg_split 0
		.amdhsa_exception_fp_ieee_invalid_op 0
		.amdhsa_exception_fp_denorm_src 0
		.amdhsa_exception_fp_ieee_div_zero 0
		.amdhsa_exception_fp_ieee_overflow 0
		.amdhsa_exception_fp_ieee_underflow 0
		.amdhsa_exception_fp_ieee_inexact 0
		.amdhsa_exception_int_div_zero 0
	.end_amdhsa_kernel
	.section	.text._ZN7rocprim17ROCPRIM_400000_NS6detail17trampoline_kernelINS0_14default_configENS1_25transform_config_selectorIiLb0EEEZNS1_14transform_implILb0ES3_S5_PiN6thrust23THRUST_200600_302600_NS6detail15normal_iteratorINS9_10device_ptrIiEEEENS0_8identityIiEEEE10hipError_tT2_T3_mT4_P12ihipStream_tbEUlT_E_NS1_11comp_targetILNS1_3genE9ELNS1_11target_archE1100ELNS1_3gpuE3ELNS1_3repE0EEENS1_30default_config_static_selectorELNS0_4arch9wavefront6targetE1EEEvT1_,"axG",@progbits,_ZN7rocprim17ROCPRIM_400000_NS6detail17trampoline_kernelINS0_14default_configENS1_25transform_config_selectorIiLb0EEEZNS1_14transform_implILb0ES3_S5_PiN6thrust23THRUST_200600_302600_NS6detail15normal_iteratorINS9_10device_ptrIiEEEENS0_8identityIiEEEE10hipError_tT2_T3_mT4_P12ihipStream_tbEUlT_E_NS1_11comp_targetILNS1_3genE9ELNS1_11target_archE1100ELNS1_3gpuE3ELNS1_3repE0EEENS1_30default_config_static_selectorELNS0_4arch9wavefront6targetE1EEEvT1_,comdat
.Lfunc_end3143:
	.size	_ZN7rocprim17ROCPRIM_400000_NS6detail17trampoline_kernelINS0_14default_configENS1_25transform_config_selectorIiLb0EEEZNS1_14transform_implILb0ES3_S5_PiN6thrust23THRUST_200600_302600_NS6detail15normal_iteratorINS9_10device_ptrIiEEEENS0_8identityIiEEEE10hipError_tT2_T3_mT4_P12ihipStream_tbEUlT_E_NS1_11comp_targetILNS1_3genE9ELNS1_11target_archE1100ELNS1_3gpuE3ELNS1_3repE0EEENS1_30default_config_static_selectorELNS0_4arch9wavefront6targetE1EEEvT1_, .Lfunc_end3143-_ZN7rocprim17ROCPRIM_400000_NS6detail17trampoline_kernelINS0_14default_configENS1_25transform_config_selectorIiLb0EEEZNS1_14transform_implILb0ES3_S5_PiN6thrust23THRUST_200600_302600_NS6detail15normal_iteratorINS9_10device_ptrIiEEEENS0_8identityIiEEEE10hipError_tT2_T3_mT4_P12ihipStream_tbEUlT_E_NS1_11comp_targetILNS1_3genE9ELNS1_11target_archE1100ELNS1_3gpuE3ELNS1_3repE0EEENS1_30default_config_static_selectorELNS0_4arch9wavefront6targetE1EEEvT1_
                                        ; -- End function
	.section	.AMDGPU.csdata,"",@progbits
; Kernel info:
; codeLenInByte = 0
; NumSgprs: 4
; NumVgprs: 0
; NumAgprs: 0
; TotalNumVgprs: 0
; ScratchSize: 0
; MemoryBound: 0
; FloatMode: 240
; IeeeMode: 1
; LDSByteSize: 0 bytes/workgroup (compile time only)
; SGPRBlocks: 0
; VGPRBlocks: 0
; NumSGPRsForWavesPerEU: 4
; NumVGPRsForWavesPerEU: 1
; AccumOffset: 4
; Occupancy: 8
; WaveLimiterHint : 0
; COMPUTE_PGM_RSRC2:SCRATCH_EN: 0
; COMPUTE_PGM_RSRC2:USER_SGPR: 6
; COMPUTE_PGM_RSRC2:TRAP_HANDLER: 0
; COMPUTE_PGM_RSRC2:TGID_X_EN: 1
; COMPUTE_PGM_RSRC2:TGID_Y_EN: 0
; COMPUTE_PGM_RSRC2:TGID_Z_EN: 0
; COMPUTE_PGM_RSRC2:TIDIG_COMP_CNT: 0
; COMPUTE_PGM_RSRC3_GFX90A:ACCUM_OFFSET: 0
; COMPUTE_PGM_RSRC3_GFX90A:TG_SPLIT: 0
	.section	.text._ZN7rocprim17ROCPRIM_400000_NS6detail17trampoline_kernelINS0_14default_configENS1_25transform_config_selectorIiLb0EEEZNS1_14transform_implILb0ES3_S5_PiN6thrust23THRUST_200600_302600_NS6detail15normal_iteratorINS9_10device_ptrIiEEEENS0_8identityIiEEEE10hipError_tT2_T3_mT4_P12ihipStream_tbEUlT_E_NS1_11comp_targetILNS1_3genE8ELNS1_11target_archE1030ELNS1_3gpuE2ELNS1_3repE0EEENS1_30default_config_static_selectorELNS0_4arch9wavefront6targetE1EEEvT1_,"axG",@progbits,_ZN7rocprim17ROCPRIM_400000_NS6detail17trampoline_kernelINS0_14default_configENS1_25transform_config_selectorIiLb0EEEZNS1_14transform_implILb0ES3_S5_PiN6thrust23THRUST_200600_302600_NS6detail15normal_iteratorINS9_10device_ptrIiEEEENS0_8identityIiEEEE10hipError_tT2_T3_mT4_P12ihipStream_tbEUlT_E_NS1_11comp_targetILNS1_3genE8ELNS1_11target_archE1030ELNS1_3gpuE2ELNS1_3repE0EEENS1_30default_config_static_selectorELNS0_4arch9wavefront6targetE1EEEvT1_,comdat
	.protected	_ZN7rocprim17ROCPRIM_400000_NS6detail17trampoline_kernelINS0_14default_configENS1_25transform_config_selectorIiLb0EEEZNS1_14transform_implILb0ES3_S5_PiN6thrust23THRUST_200600_302600_NS6detail15normal_iteratorINS9_10device_ptrIiEEEENS0_8identityIiEEEE10hipError_tT2_T3_mT4_P12ihipStream_tbEUlT_E_NS1_11comp_targetILNS1_3genE8ELNS1_11target_archE1030ELNS1_3gpuE2ELNS1_3repE0EEENS1_30default_config_static_selectorELNS0_4arch9wavefront6targetE1EEEvT1_ ; -- Begin function _ZN7rocprim17ROCPRIM_400000_NS6detail17trampoline_kernelINS0_14default_configENS1_25transform_config_selectorIiLb0EEEZNS1_14transform_implILb0ES3_S5_PiN6thrust23THRUST_200600_302600_NS6detail15normal_iteratorINS9_10device_ptrIiEEEENS0_8identityIiEEEE10hipError_tT2_T3_mT4_P12ihipStream_tbEUlT_E_NS1_11comp_targetILNS1_3genE8ELNS1_11target_archE1030ELNS1_3gpuE2ELNS1_3repE0EEENS1_30default_config_static_selectorELNS0_4arch9wavefront6targetE1EEEvT1_
	.globl	_ZN7rocprim17ROCPRIM_400000_NS6detail17trampoline_kernelINS0_14default_configENS1_25transform_config_selectorIiLb0EEEZNS1_14transform_implILb0ES3_S5_PiN6thrust23THRUST_200600_302600_NS6detail15normal_iteratorINS9_10device_ptrIiEEEENS0_8identityIiEEEE10hipError_tT2_T3_mT4_P12ihipStream_tbEUlT_E_NS1_11comp_targetILNS1_3genE8ELNS1_11target_archE1030ELNS1_3gpuE2ELNS1_3repE0EEENS1_30default_config_static_selectorELNS0_4arch9wavefront6targetE1EEEvT1_
	.p2align	8
	.type	_ZN7rocprim17ROCPRIM_400000_NS6detail17trampoline_kernelINS0_14default_configENS1_25transform_config_selectorIiLb0EEEZNS1_14transform_implILb0ES3_S5_PiN6thrust23THRUST_200600_302600_NS6detail15normal_iteratorINS9_10device_ptrIiEEEENS0_8identityIiEEEE10hipError_tT2_T3_mT4_P12ihipStream_tbEUlT_E_NS1_11comp_targetILNS1_3genE8ELNS1_11target_archE1030ELNS1_3gpuE2ELNS1_3repE0EEENS1_30default_config_static_selectorELNS0_4arch9wavefront6targetE1EEEvT1_,@function
_ZN7rocprim17ROCPRIM_400000_NS6detail17trampoline_kernelINS0_14default_configENS1_25transform_config_selectorIiLb0EEEZNS1_14transform_implILb0ES3_S5_PiN6thrust23THRUST_200600_302600_NS6detail15normal_iteratorINS9_10device_ptrIiEEEENS0_8identityIiEEEE10hipError_tT2_T3_mT4_P12ihipStream_tbEUlT_E_NS1_11comp_targetILNS1_3genE8ELNS1_11target_archE1030ELNS1_3gpuE2ELNS1_3repE0EEENS1_30default_config_static_selectorELNS0_4arch9wavefront6targetE1EEEvT1_: ; @_ZN7rocprim17ROCPRIM_400000_NS6detail17trampoline_kernelINS0_14default_configENS1_25transform_config_selectorIiLb0EEEZNS1_14transform_implILb0ES3_S5_PiN6thrust23THRUST_200600_302600_NS6detail15normal_iteratorINS9_10device_ptrIiEEEENS0_8identityIiEEEE10hipError_tT2_T3_mT4_P12ihipStream_tbEUlT_E_NS1_11comp_targetILNS1_3genE8ELNS1_11target_archE1030ELNS1_3gpuE2ELNS1_3repE0EEENS1_30default_config_static_selectorELNS0_4arch9wavefront6targetE1EEEvT1_
; %bb.0:
	.section	.rodata,"a",@progbits
	.p2align	6, 0x0
	.amdhsa_kernel _ZN7rocprim17ROCPRIM_400000_NS6detail17trampoline_kernelINS0_14default_configENS1_25transform_config_selectorIiLb0EEEZNS1_14transform_implILb0ES3_S5_PiN6thrust23THRUST_200600_302600_NS6detail15normal_iteratorINS9_10device_ptrIiEEEENS0_8identityIiEEEE10hipError_tT2_T3_mT4_P12ihipStream_tbEUlT_E_NS1_11comp_targetILNS1_3genE8ELNS1_11target_archE1030ELNS1_3gpuE2ELNS1_3repE0EEENS1_30default_config_static_selectorELNS0_4arch9wavefront6targetE1EEEvT1_
		.amdhsa_group_segment_fixed_size 0
		.amdhsa_private_segment_fixed_size 0
		.amdhsa_kernarg_size 40
		.amdhsa_user_sgpr_count 6
		.amdhsa_user_sgpr_private_segment_buffer 1
		.amdhsa_user_sgpr_dispatch_ptr 0
		.amdhsa_user_sgpr_queue_ptr 0
		.amdhsa_user_sgpr_kernarg_segment_ptr 1
		.amdhsa_user_sgpr_dispatch_id 0
		.amdhsa_user_sgpr_flat_scratch_init 0
		.amdhsa_user_sgpr_kernarg_preload_length 0
		.amdhsa_user_sgpr_kernarg_preload_offset 0
		.amdhsa_user_sgpr_private_segment_size 0
		.amdhsa_uses_dynamic_stack 0
		.amdhsa_system_sgpr_private_segment_wavefront_offset 0
		.amdhsa_system_sgpr_workgroup_id_x 1
		.amdhsa_system_sgpr_workgroup_id_y 0
		.amdhsa_system_sgpr_workgroup_id_z 0
		.amdhsa_system_sgpr_workgroup_info 0
		.amdhsa_system_vgpr_workitem_id 0
		.amdhsa_next_free_vgpr 1
		.amdhsa_next_free_sgpr 0
		.amdhsa_accum_offset 4
		.amdhsa_reserve_vcc 0
		.amdhsa_reserve_flat_scratch 0
		.amdhsa_float_round_mode_32 0
		.amdhsa_float_round_mode_16_64 0
		.amdhsa_float_denorm_mode_32 3
		.amdhsa_float_denorm_mode_16_64 3
		.amdhsa_dx10_clamp 1
		.amdhsa_ieee_mode 1
		.amdhsa_fp16_overflow 0
		.amdhsa_tg_split 0
		.amdhsa_exception_fp_ieee_invalid_op 0
		.amdhsa_exception_fp_denorm_src 0
		.amdhsa_exception_fp_ieee_div_zero 0
		.amdhsa_exception_fp_ieee_overflow 0
		.amdhsa_exception_fp_ieee_underflow 0
		.amdhsa_exception_fp_ieee_inexact 0
		.amdhsa_exception_int_div_zero 0
	.end_amdhsa_kernel
	.section	.text._ZN7rocprim17ROCPRIM_400000_NS6detail17trampoline_kernelINS0_14default_configENS1_25transform_config_selectorIiLb0EEEZNS1_14transform_implILb0ES3_S5_PiN6thrust23THRUST_200600_302600_NS6detail15normal_iteratorINS9_10device_ptrIiEEEENS0_8identityIiEEEE10hipError_tT2_T3_mT4_P12ihipStream_tbEUlT_E_NS1_11comp_targetILNS1_3genE8ELNS1_11target_archE1030ELNS1_3gpuE2ELNS1_3repE0EEENS1_30default_config_static_selectorELNS0_4arch9wavefront6targetE1EEEvT1_,"axG",@progbits,_ZN7rocprim17ROCPRIM_400000_NS6detail17trampoline_kernelINS0_14default_configENS1_25transform_config_selectorIiLb0EEEZNS1_14transform_implILb0ES3_S5_PiN6thrust23THRUST_200600_302600_NS6detail15normal_iteratorINS9_10device_ptrIiEEEENS0_8identityIiEEEE10hipError_tT2_T3_mT4_P12ihipStream_tbEUlT_E_NS1_11comp_targetILNS1_3genE8ELNS1_11target_archE1030ELNS1_3gpuE2ELNS1_3repE0EEENS1_30default_config_static_selectorELNS0_4arch9wavefront6targetE1EEEvT1_,comdat
.Lfunc_end3144:
	.size	_ZN7rocprim17ROCPRIM_400000_NS6detail17trampoline_kernelINS0_14default_configENS1_25transform_config_selectorIiLb0EEEZNS1_14transform_implILb0ES3_S5_PiN6thrust23THRUST_200600_302600_NS6detail15normal_iteratorINS9_10device_ptrIiEEEENS0_8identityIiEEEE10hipError_tT2_T3_mT4_P12ihipStream_tbEUlT_E_NS1_11comp_targetILNS1_3genE8ELNS1_11target_archE1030ELNS1_3gpuE2ELNS1_3repE0EEENS1_30default_config_static_selectorELNS0_4arch9wavefront6targetE1EEEvT1_, .Lfunc_end3144-_ZN7rocprim17ROCPRIM_400000_NS6detail17trampoline_kernelINS0_14default_configENS1_25transform_config_selectorIiLb0EEEZNS1_14transform_implILb0ES3_S5_PiN6thrust23THRUST_200600_302600_NS6detail15normal_iteratorINS9_10device_ptrIiEEEENS0_8identityIiEEEE10hipError_tT2_T3_mT4_P12ihipStream_tbEUlT_E_NS1_11comp_targetILNS1_3genE8ELNS1_11target_archE1030ELNS1_3gpuE2ELNS1_3repE0EEENS1_30default_config_static_selectorELNS0_4arch9wavefront6targetE1EEEvT1_
                                        ; -- End function
	.section	.AMDGPU.csdata,"",@progbits
; Kernel info:
; codeLenInByte = 0
; NumSgprs: 4
; NumVgprs: 0
; NumAgprs: 0
; TotalNumVgprs: 0
; ScratchSize: 0
; MemoryBound: 0
; FloatMode: 240
; IeeeMode: 1
; LDSByteSize: 0 bytes/workgroup (compile time only)
; SGPRBlocks: 0
; VGPRBlocks: 0
; NumSGPRsForWavesPerEU: 4
; NumVGPRsForWavesPerEU: 1
; AccumOffset: 4
; Occupancy: 8
; WaveLimiterHint : 0
; COMPUTE_PGM_RSRC2:SCRATCH_EN: 0
; COMPUTE_PGM_RSRC2:USER_SGPR: 6
; COMPUTE_PGM_RSRC2:TRAP_HANDLER: 0
; COMPUTE_PGM_RSRC2:TGID_X_EN: 1
; COMPUTE_PGM_RSRC2:TGID_Y_EN: 0
; COMPUTE_PGM_RSRC2:TGID_Z_EN: 0
; COMPUTE_PGM_RSRC2:TIDIG_COMP_CNT: 0
; COMPUTE_PGM_RSRC3_GFX90A:ACCUM_OFFSET: 0
; COMPUTE_PGM_RSRC3_GFX90A:TG_SPLIT: 0
	.section	.text._ZN7rocprim17ROCPRIM_400000_NS6detail44device_merge_sort_compile_time_verifier_archINS1_11comp_targetILNS1_3genE0ELNS1_11target_archE4294967295ELNS1_3gpuE0ELNS1_3repE0EEES8_NS0_14default_configES9_NS1_37merge_sort_block_sort_config_selectorIjNS0_10empty_typeEEENS1_38merge_sort_block_merge_config_selectorIjSB_EEEEvv,"axG",@progbits,_ZN7rocprim17ROCPRIM_400000_NS6detail44device_merge_sort_compile_time_verifier_archINS1_11comp_targetILNS1_3genE0ELNS1_11target_archE4294967295ELNS1_3gpuE0ELNS1_3repE0EEES8_NS0_14default_configES9_NS1_37merge_sort_block_sort_config_selectorIjNS0_10empty_typeEEENS1_38merge_sort_block_merge_config_selectorIjSB_EEEEvv,comdat
	.protected	_ZN7rocprim17ROCPRIM_400000_NS6detail44device_merge_sort_compile_time_verifier_archINS1_11comp_targetILNS1_3genE0ELNS1_11target_archE4294967295ELNS1_3gpuE0ELNS1_3repE0EEES8_NS0_14default_configES9_NS1_37merge_sort_block_sort_config_selectorIjNS0_10empty_typeEEENS1_38merge_sort_block_merge_config_selectorIjSB_EEEEvv ; -- Begin function _ZN7rocprim17ROCPRIM_400000_NS6detail44device_merge_sort_compile_time_verifier_archINS1_11comp_targetILNS1_3genE0ELNS1_11target_archE4294967295ELNS1_3gpuE0ELNS1_3repE0EEES8_NS0_14default_configES9_NS1_37merge_sort_block_sort_config_selectorIjNS0_10empty_typeEEENS1_38merge_sort_block_merge_config_selectorIjSB_EEEEvv
	.globl	_ZN7rocprim17ROCPRIM_400000_NS6detail44device_merge_sort_compile_time_verifier_archINS1_11comp_targetILNS1_3genE0ELNS1_11target_archE4294967295ELNS1_3gpuE0ELNS1_3repE0EEES8_NS0_14default_configES9_NS1_37merge_sort_block_sort_config_selectorIjNS0_10empty_typeEEENS1_38merge_sort_block_merge_config_selectorIjSB_EEEEvv
	.p2align	8
	.type	_ZN7rocprim17ROCPRIM_400000_NS6detail44device_merge_sort_compile_time_verifier_archINS1_11comp_targetILNS1_3genE0ELNS1_11target_archE4294967295ELNS1_3gpuE0ELNS1_3repE0EEES8_NS0_14default_configES9_NS1_37merge_sort_block_sort_config_selectorIjNS0_10empty_typeEEENS1_38merge_sort_block_merge_config_selectorIjSB_EEEEvv,@function
_ZN7rocprim17ROCPRIM_400000_NS6detail44device_merge_sort_compile_time_verifier_archINS1_11comp_targetILNS1_3genE0ELNS1_11target_archE4294967295ELNS1_3gpuE0ELNS1_3repE0EEES8_NS0_14default_configES9_NS1_37merge_sort_block_sort_config_selectorIjNS0_10empty_typeEEENS1_38merge_sort_block_merge_config_selectorIjSB_EEEEvv: ; @_ZN7rocprim17ROCPRIM_400000_NS6detail44device_merge_sort_compile_time_verifier_archINS1_11comp_targetILNS1_3genE0ELNS1_11target_archE4294967295ELNS1_3gpuE0ELNS1_3repE0EEES8_NS0_14default_configES9_NS1_37merge_sort_block_sort_config_selectorIjNS0_10empty_typeEEENS1_38merge_sort_block_merge_config_selectorIjSB_EEEEvv
; %bb.0:
	s_endpgm
	.section	.rodata,"a",@progbits
	.p2align	6, 0x0
	.amdhsa_kernel _ZN7rocprim17ROCPRIM_400000_NS6detail44device_merge_sort_compile_time_verifier_archINS1_11comp_targetILNS1_3genE0ELNS1_11target_archE4294967295ELNS1_3gpuE0ELNS1_3repE0EEES8_NS0_14default_configES9_NS1_37merge_sort_block_sort_config_selectorIjNS0_10empty_typeEEENS1_38merge_sort_block_merge_config_selectorIjSB_EEEEvv
		.amdhsa_group_segment_fixed_size 0
		.amdhsa_private_segment_fixed_size 0
		.amdhsa_kernarg_size 0
		.amdhsa_user_sgpr_count 4
		.amdhsa_user_sgpr_private_segment_buffer 1
		.amdhsa_user_sgpr_dispatch_ptr 0
		.amdhsa_user_sgpr_queue_ptr 0
		.amdhsa_user_sgpr_kernarg_segment_ptr 0
		.amdhsa_user_sgpr_dispatch_id 0
		.amdhsa_user_sgpr_flat_scratch_init 0
		.amdhsa_user_sgpr_kernarg_preload_length 0
		.amdhsa_user_sgpr_kernarg_preload_offset 0
		.amdhsa_user_sgpr_private_segment_size 0
		.amdhsa_uses_dynamic_stack 0
		.amdhsa_system_sgpr_private_segment_wavefront_offset 0
		.amdhsa_system_sgpr_workgroup_id_x 1
		.amdhsa_system_sgpr_workgroup_id_y 0
		.amdhsa_system_sgpr_workgroup_id_z 0
		.amdhsa_system_sgpr_workgroup_info 0
		.amdhsa_system_vgpr_workitem_id 0
		.amdhsa_next_free_vgpr 1
		.amdhsa_next_free_sgpr 0
		.amdhsa_accum_offset 4
		.amdhsa_reserve_vcc 0
		.amdhsa_reserve_flat_scratch 0
		.amdhsa_float_round_mode_32 0
		.amdhsa_float_round_mode_16_64 0
		.amdhsa_float_denorm_mode_32 3
		.amdhsa_float_denorm_mode_16_64 3
		.amdhsa_dx10_clamp 1
		.amdhsa_ieee_mode 1
		.amdhsa_fp16_overflow 0
		.amdhsa_tg_split 0
		.amdhsa_exception_fp_ieee_invalid_op 0
		.amdhsa_exception_fp_denorm_src 0
		.amdhsa_exception_fp_ieee_div_zero 0
		.amdhsa_exception_fp_ieee_overflow 0
		.amdhsa_exception_fp_ieee_underflow 0
		.amdhsa_exception_fp_ieee_inexact 0
		.amdhsa_exception_int_div_zero 0
	.end_amdhsa_kernel
	.section	.text._ZN7rocprim17ROCPRIM_400000_NS6detail44device_merge_sort_compile_time_verifier_archINS1_11comp_targetILNS1_3genE0ELNS1_11target_archE4294967295ELNS1_3gpuE0ELNS1_3repE0EEES8_NS0_14default_configES9_NS1_37merge_sort_block_sort_config_selectorIjNS0_10empty_typeEEENS1_38merge_sort_block_merge_config_selectorIjSB_EEEEvv,"axG",@progbits,_ZN7rocprim17ROCPRIM_400000_NS6detail44device_merge_sort_compile_time_verifier_archINS1_11comp_targetILNS1_3genE0ELNS1_11target_archE4294967295ELNS1_3gpuE0ELNS1_3repE0EEES8_NS0_14default_configES9_NS1_37merge_sort_block_sort_config_selectorIjNS0_10empty_typeEEENS1_38merge_sort_block_merge_config_selectorIjSB_EEEEvv,comdat
.Lfunc_end3145:
	.size	_ZN7rocprim17ROCPRIM_400000_NS6detail44device_merge_sort_compile_time_verifier_archINS1_11comp_targetILNS1_3genE0ELNS1_11target_archE4294967295ELNS1_3gpuE0ELNS1_3repE0EEES8_NS0_14default_configES9_NS1_37merge_sort_block_sort_config_selectorIjNS0_10empty_typeEEENS1_38merge_sort_block_merge_config_selectorIjSB_EEEEvv, .Lfunc_end3145-_ZN7rocprim17ROCPRIM_400000_NS6detail44device_merge_sort_compile_time_verifier_archINS1_11comp_targetILNS1_3genE0ELNS1_11target_archE4294967295ELNS1_3gpuE0ELNS1_3repE0EEES8_NS0_14default_configES9_NS1_37merge_sort_block_sort_config_selectorIjNS0_10empty_typeEEENS1_38merge_sort_block_merge_config_selectorIjSB_EEEEvv
                                        ; -- End function
	.section	.AMDGPU.csdata,"",@progbits
; Kernel info:
; codeLenInByte = 4
; NumSgprs: 4
; NumVgprs: 0
; NumAgprs: 0
; TotalNumVgprs: 0
; ScratchSize: 0
; MemoryBound: 0
; FloatMode: 240
; IeeeMode: 1
; LDSByteSize: 0 bytes/workgroup (compile time only)
; SGPRBlocks: 0
; VGPRBlocks: 0
; NumSGPRsForWavesPerEU: 4
; NumVGPRsForWavesPerEU: 1
; AccumOffset: 4
; Occupancy: 8
; WaveLimiterHint : 0
; COMPUTE_PGM_RSRC2:SCRATCH_EN: 0
; COMPUTE_PGM_RSRC2:USER_SGPR: 4
; COMPUTE_PGM_RSRC2:TRAP_HANDLER: 0
; COMPUTE_PGM_RSRC2:TGID_X_EN: 1
; COMPUTE_PGM_RSRC2:TGID_Y_EN: 0
; COMPUTE_PGM_RSRC2:TGID_Z_EN: 0
; COMPUTE_PGM_RSRC2:TIDIG_COMP_CNT: 0
; COMPUTE_PGM_RSRC3_GFX90A:ACCUM_OFFSET: 0
; COMPUTE_PGM_RSRC3_GFX90A:TG_SPLIT: 0
	.section	.text._ZN7rocprim17ROCPRIM_400000_NS6detail44device_merge_sort_compile_time_verifier_archINS1_11comp_targetILNS1_3genE5ELNS1_11target_archE942ELNS1_3gpuE9ELNS1_3repE0EEES8_NS0_14default_configES9_NS1_37merge_sort_block_sort_config_selectorIjNS0_10empty_typeEEENS1_38merge_sort_block_merge_config_selectorIjSB_EEEEvv,"axG",@progbits,_ZN7rocprim17ROCPRIM_400000_NS6detail44device_merge_sort_compile_time_verifier_archINS1_11comp_targetILNS1_3genE5ELNS1_11target_archE942ELNS1_3gpuE9ELNS1_3repE0EEES8_NS0_14default_configES9_NS1_37merge_sort_block_sort_config_selectorIjNS0_10empty_typeEEENS1_38merge_sort_block_merge_config_selectorIjSB_EEEEvv,comdat
	.protected	_ZN7rocprim17ROCPRIM_400000_NS6detail44device_merge_sort_compile_time_verifier_archINS1_11comp_targetILNS1_3genE5ELNS1_11target_archE942ELNS1_3gpuE9ELNS1_3repE0EEES8_NS0_14default_configES9_NS1_37merge_sort_block_sort_config_selectorIjNS0_10empty_typeEEENS1_38merge_sort_block_merge_config_selectorIjSB_EEEEvv ; -- Begin function _ZN7rocprim17ROCPRIM_400000_NS6detail44device_merge_sort_compile_time_verifier_archINS1_11comp_targetILNS1_3genE5ELNS1_11target_archE942ELNS1_3gpuE9ELNS1_3repE0EEES8_NS0_14default_configES9_NS1_37merge_sort_block_sort_config_selectorIjNS0_10empty_typeEEENS1_38merge_sort_block_merge_config_selectorIjSB_EEEEvv
	.globl	_ZN7rocprim17ROCPRIM_400000_NS6detail44device_merge_sort_compile_time_verifier_archINS1_11comp_targetILNS1_3genE5ELNS1_11target_archE942ELNS1_3gpuE9ELNS1_3repE0EEES8_NS0_14default_configES9_NS1_37merge_sort_block_sort_config_selectorIjNS0_10empty_typeEEENS1_38merge_sort_block_merge_config_selectorIjSB_EEEEvv
	.p2align	8
	.type	_ZN7rocprim17ROCPRIM_400000_NS6detail44device_merge_sort_compile_time_verifier_archINS1_11comp_targetILNS1_3genE5ELNS1_11target_archE942ELNS1_3gpuE9ELNS1_3repE0EEES8_NS0_14default_configES9_NS1_37merge_sort_block_sort_config_selectorIjNS0_10empty_typeEEENS1_38merge_sort_block_merge_config_selectorIjSB_EEEEvv,@function
_ZN7rocprim17ROCPRIM_400000_NS6detail44device_merge_sort_compile_time_verifier_archINS1_11comp_targetILNS1_3genE5ELNS1_11target_archE942ELNS1_3gpuE9ELNS1_3repE0EEES8_NS0_14default_configES9_NS1_37merge_sort_block_sort_config_selectorIjNS0_10empty_typeEEENS1_38merge_sort_block_merge_config_selectorIjSB_EEEEvv: ; @_ZN7rocprim17ROCPRIM_400000_NS6detail44device_merge_sort_compile_time_verifier_archINS1_11comp_targetILNS1_3genE5ELNS1_11target_archE942ELNS1_3gpuE9ELNS1_3repE0EEES8_NS0_14default_configES9_NS1_37merge_sort_block_sort_config_selectorIjNS0_10empty_typeEEENS1_38merge_sort_block_merge_config_selectorIjSB_EEEEvv
; %bb.0:
	s_endpgm
	.section	.rodata,"a",@progbits
	.p2align	6, 0x0
	.amdhsa_kernel _ZN7rocprim17ROCPRIM_400000_NS6detail44device_merge_sort_compile_time_verifier_archINS1_11comp_targetILNS1_3genE5ELNS1_11target_archE942ELNS1_3gpuE9ELNS1_3repE0EEES8_NS0_14default_configES9_NS1_37merge_sort_block_sort_config_selectorIjNS0_10empty_typeEEENS1_38merge_sort_block_merge_config_selectorIjSB_EEEEvv
		.amdhsa_group_segment_fixed_size 0
		.amdhsa_private_segment_fixed_size 0
		.amdhsa_kernarg_size 0
		.amdhsa_user_sgpr_count 4
		.amdhsa_user_sgpr_private_segment_buffer 1
		.amdhsa_user_sgpr_dispatch_ptr 0
		.amdhsa_user_sgpr_queue_ptr 0
		.amdhsa_user_sgpr_kernarg_segment_ptr 0
		.amdhsa_user_sgpr_dispatch_id 0
		.amdhsa_user_sgpr_flat_scratch_init 0
		.amdhsa_user_sgpr_kernarg_preload_length 0
		.amdhsa_user_sgpr_kernarg_preload_offset 0
		.amdhsa_user_sgpr_private_segment_size 0
		.amdhsa_uses_dynamic_stack 0
		.amdhsa_system_sgpr_private_segment_wavefront_offset 0
		.amdhsa_system_sgpr_workgroup_id_x 1
		.amdhsa_system_sgpr_workgroup_id_y 0
		.amdhsa_system_sgpr_workgroup_id_z 0
		.amdhsa_system_sgpr_workgroup_info 0
		.amdhsa_system_vgpr_workitem_id 0
		.amdhsa_next_free_vgpr 1
		.amdhsa_next_free_sgpr 0
		.amdhsa_accum_offset 4
		.amdhsa_reserve_vcc 0
		.amdhsa_reserve_flat_scratch 0
		.amdhsa_float_round_mode_32 0
		.amdhsa_float_round_mode_16_64 0
		.amdhsa_float_denorm_mode_32 3
		.amdhsa_float_denorm_mode_16_64 3
		.amdhsa_dx10_clamp 1
		.amdhsa_ieee_mode 1
		.amdhsa_fp16_overflow 0
		.amdhsa_tg_split 0
		.amdhsa_exception_fp_ieee_invalid_op 0
		.amdhsa_exception_fp_denorm_src 0
		.amdhsa_exception_fp_ieee_div_zero 0
		.amdhsa_exception_fp_ieee_overflow 0
		.amdhsa_exception_fp_ieee_underflow 0
		.amdhsa_exception_fp_ieee_inexact 0
		.amdhsa_exception_int_div_zero 0
	.end_amdhsa_kernel
	.section	.text._ZN7rocprim17ROCPRIM_400000_NS6detail44device_merge_sort_compile_time_verifier_archINS1_11comp_targetILNS1_3genE5ELNS1_11target_archE942ELNS1_3gpuE9ELNS1_3repE0EEES8_NS0_14default_configES9_NS1_37merge_sort_block_sort_config_selectorIjNS0_10empty_typeEEENS1_38merge_sort_block_merge_config_selectorIjSB_EEEEvv,"axG",@progbits,_ZN7rocprim17ROCPRIM_400000_NS6detail44device_merge_sort_compile_time_verifier_archINS1_11comp_targetILNS1_3genE5ELNS1_11target_archE942ELNS1_3gpuE9ELNS1_3repE0EEES8_NS0_14default_configES9_NS1_37merge_sort_block_sort_config_selectorIjNS0_10empty_typeEEENS1_38merge_sort_block_merge_config_selectorIjSB_EEEEvv,comdat
.Lfunc_end3146:
	.size	_ZN7rocprim17ROCPRIM_400000_NS6detail44device_merge_sort_compile_time_verifier_archINS1_11comp_targetILNS1_3genE5ELNS1_11target_archE942ELNS1_3gpuE9ELNS1_3repE0EEES8_NS0_14default_configES9_NS1_37merge_sort_block_sort_config_selectorIjNS0_10empty_typeEEENS1_38merge_sort_block_merge_config_selectorIjSB_EEEEvv, .Lfunc_end3146-_ZN7rocprim17ROCPRIM_400000_NS6detail44device_merge_sort_compile_time_verifier_archINS1_11comp_targetILNS1_3genE5ELNS1_11target_archE942ELNS1_3gpuE9ELNS1_3repE0EEES8_NS0_14default_configES9_NS1_37merge_sort_block_sort_config_selectorIjNS0_10empty_typeEEENS1_38merge_sort_block_merge_config_selectorIjSB_EEEEvv
                                        ; -- End function
	.section	.AMDGPU.csdata,"",@progbits
; Kernel info:
; codeLenInByte = 4
; NumSgprs: 4
; NumVgprs: 0
; NumAgprs: 0
; TotalNumVgprs: 0
; ScratchSize: 0
; MemoryBound: 0
; FloatMode: 240
; IeeeMode: 1
; LDSByteSize: 0 bytes/workgroup (compile time only)
; SGPRBlocks: 0
; VGPRBlocks: 0
; NumSGPRsForWavesPerEU: 4
; NumVGPRsForWavesPerEU: 1
; AccumOffset: 4
; Occupancy: 8
; WaveLimiterHint : 0
; COMPUTE_PGM_RSRC2:SCRATCH_EN: 0
; COMPUTE_PGM_RSRC2:USER_SGPR: 4
; COMPUTE_PGM_RSRC2:TRAP_HANDLER: 0
; COMPUTE_PGM_RSRC2:TGID_X_EN: 1
; COMPUTE_PGM_RSRC2:TGID_Y_EN: 0
; COMPUTE_PGM_RSRC2:TGID_Z_EN: 0
; COMPUTE_PGM_RSRC2:TIDIG_COMP_CNT: 0
; COMPUTE_PGM_RSRC3_GFX90A:ACCUM_OFFSET: 0
; COMPUTE_PGM_RSRC3_GFX90A:TG_SPLIT: 0
	.section	.text._ZN7rocprim17ROCPRIM_400000_NS6detail44device_merge_sort_compile_time_verifier_archINS1_11comp_targetILNS1_3genE4ELNS1_11target_archE910ELNS1_3gpuE8ELNS1_3repE0EEES8_NS0_14default_configES9_NS1_37merge_sort_block_sort_config_selectorIjNS0_10empty_typeEEENS1_38merge_sort_block_merge_config_selectorIjSB_EEEEvv,"axG",@progbits,_ZN7rocprim17ROCPRIM_400000_NS6detail44device_merge_sort_compile_time_verifier_archINS1_11comp_targetILNS1_3genE4ELNS1_11target_archE910ELNS1_3gpuE8ELNS1_3repE0EEES8_NS0_14default_configES9_NS1_37merge_sort_block_sort_config_selectorIjNS0_10empty_typeEEENS1_38merge_sort_block_merge_config_selectorIjSB_EEEEvv,comdat
	.protected	_ZN7rocprim17ROCPRIM_400000_NS6detail44device_merge_sort_compile_time_verifier_archINS1_11comp_targetILNS1_3genE4ELNS1_11target_archE910ELNS1_3gpuE8ELNS1_3repE0EEES8_NS0_14default_configES9_NS1_37merge_sort_block_sort_config_selectorIjNS0_10empty_typeEEENS1_38merge_sort_block_merge_config_selectorIjSB_EEEEvv ; -- Begin function _ZN7rocprim17ROCPRIM_400000_NS6detail44device_merge_sort_compile_time_verifier_archINS1_11comp_targetILNS1_3genE4ELNS1_11target_archE910ELNS1_3gpuE8ELNS1_3repE0EEES8_NS0_14default_configES9_NS1_37merge_sort_block_sort_config_selectorIjNS0_10empty_typeEEENS1_38merge_sort_block_merge_config_selectorIjSB_EEEEvv
	.globl	_ZN7rocprim17ROCPRIM_400000_NS6detail44device_merge_sort_compile_time_verifier_archINS1_11comp_targetILNS1_3genE4ELNS1_11target_archE910ELNS1_3gpuE8ELNS1_3repE0EEES8_NS0_14default_configES9_NS1_37merge_sort_block_sort_config_selectorIjNS0_10empty_typeEEENS1_38merge_sort_block_merge_config_selectorIjSB_EEEEvv
	.p2align	8
	.type	_ZN7rocprim17ROCPRIM_400000_NS6detail44device_merge_sort_compile_time_verifier_archINS1_11comp_targetILNS1_3genE4ELNS1_11target_archE910ELNS1_3gpuE8ELNS1_3repE0EEES8_NS0_14default_configES9_NS1_37merge_sort_block_sort_config_selectorIjNS0_10empty_typeEEENS1_38merge_sort_block_merge_config_selectorIjSB_EEEEvv,@function
_ZN7rocprim17ROCPRIM_400000_NS6detail44device_merge_sort_compile_time_verifier_archINS1_11comp_targetILNS1_3genE4ELNS1_11target_archE910ELNS1_3gpuE8ELNS1_3repE0EEES8_NS0_14default_configES9_NS1_37merge_sort_block_sort_config_selectorIjNS0_10empty_typeEEENS1_38merge_sort_block_merge_config_selectorIjSB_EEEEvv: ; @_ZN7rocprim17ROCPRIM_400000_NS6detail44device_merge_sort_compile_time_verifier_archINS1_11comp_targetILNS1_3genE4ELNS1_11target_archE910ELNS1_3gpuE8ELNS1_3repE0EEES8_NS0_14default_configES9_NS1_37merge_sort_block_sort_config_selectorIjNS0_10empty_typeEEENS1_38merge_sort_block_merge_config_selectorIjSB_EEEEvv
; %bb.0:
	s_endpgm
	.section	.rodata,"a",@progbits
	.p2align	6, 0x0
	.amdhsa_kernel _ZN7rocprim17ROCPRIM_400000_NS6detail44device_merge_sort_compile_time_verifier_archINS1_11comp_targetILNS1_3genE4ELNS1_11target_archE910ELNS1_3gpuE8ELNS1_3repE0EEES8_NS0_14default_configES9_NS1_37merge_sort_block_sort_config_selectorIjNS0_10empty_typeEEENS1_38merge_sort_block_merge_config_selectorIjSB_EEEEvv
		.amdhsa_group_segment_fixed_size 0
		.amdhsa_private_segment_fixed_size 0
		.amdhsa_kernarg_size 0
		.amdhsa_user_sgpr_count 4
		.amdhsa_user_sgpr_private_segment_buffer 1
		.amdhsa_user_sgpr_dispatch_ptr 0
		.amdhsa_user_sgpr_queue_ptr 0
		.amdhsa_user_sgpr_kernarg_segment_ptr 0
		.amdhsa_user_sgpr_dispatch_id 0
		.amdhsa_user_sgpr_flat_scratch_init 0
		.amdhsa_user_sgpr_kernarg_preload_length 0
		.amdhsa_user_sgpr_kernarg_preload_offset 0
		.amdhsa_user_sgpr_private_segment_size 0
		.amdhsa_uses_dynamic_stack 0
		.amdhsa_system_sgpr_private_segment_wavefront_offset 0
		.amdhsa_system_sgpr_workgroup_id_x 1
		.amdhsa_system_sgpr_workgroup_id_y 0
		.amdhsa_system_sgpr_workgroup_id_z 0
		.amdhsa_system_sgpr_workgroup_info 0
		.amdhsa_system_vgpr_workitem_id 0
		.amdhsa_next_free_vgpr 1
		.amdhsa_next_free_sgpr 0
		.amdhsa_accum_offset 4
		.amdhsa_reserve_vcc 0
		.amdhsa_reserve_flat_scratch 0
		.amdhsa_float_round_mode_32 0
		.amdhsa_float_round_mode_16_64 0
		.amdhsa_float_denorm_mode_32 3
		.amdhsa_float_denorm_mode_16_64 3
		.amdhsa_dx10_clamp 1
		.amdhsa_ieee_mode 1
		.amdhsa_fp16_overflow 0
		.amdhsa_tg_split 0
		.amdhsa_exception_fp_ieee_invalid_op 0
		.amdhsa_exception_fp_denorm_src 0
		.amdhsa_exception_fp_ieee_div_zero 0
		.amdhsa_exception_fp_ieee_overflow 0
		.amdhsa_exception_fp_ieee_underflow 0
		.amdhsa_exception_fp_ieee_inexact 0
		.amdhsa_exception_int_div_zero 0
	.end_amdhsa_kernel
	.section	.text._ZN7rocprim17ROCPRIM_400000_NS6detail44device_merge_sort_compile_time_verifier_archINS1_11comp_targetILNS1_3genE4ELNS1_11target_archE910ELNS1_3gpuE8ELNS1_3repE0EEES8_NS0_14default_configES9_NS1_37merge_sort_block_sort_config_selectorIjNS0_10empty_typeEEENS1_38merge_sort_block_merge_config_selectorIjSB_EEEEvv,"axG",@progbits,_ZN7rocprim17ROCPRIM_400000_NS6detail44device_merge_sort_compile_time_verifier_archINS1_11comp_targetILNS1_3genE4ELNS1_11target_archE910ELNS1_3gpuE8ELNS1_3repE0EEES8_NS0_14default_configES9_NS1_37merge_sort_block_sort_config_selectorIjNS0_10empty_typeEEENS1_38merge_sort_block_merge_config_selectorIjSB_EEEEvv,comdat
.Lfunc_end3147:
	.size	_ZN7rocprim17ROCPRIM_400000_NS6detail44device_merge_sort_compile_time_verifier_archINS1_11comp_targetILNS1_3genE4ELNS1_11target_archE910ELNS1_3gpuE8ELNS1_3repE0EEES8_NS0_14default_configES9_NS1_37merge_sort_block_sort_config_selectorIjNS0_10empty_typeEEENS1_38merge_sort_block_merge_config_selectorIjSB_EEEEvv, .Lfunc_end3147-_ZN7rocprim17ROCPRIM_400000_NS6detail44device_merge_sort_compile_time_verifier_archINS1_11comp_targetILNS1_3genE4ELNS1_11target_archE910ELNS1_3gpuE8ELNS1_3repE0EEES8_NS0_14default_configES9_NS1_37merge_sort_block_sort_config_selectorIjNS0_10empty_typeEEENS1_38merge_sort_block_merge_config_selectorIjSB_EEEEvv
                                        ; -- End function
	.section	.AMDGPU.csdata,"",@progbits
; Kernel info:
; codeLenInByte = 4
; NumSgprs: 4
; NumVgprs: 0
; NumAgprs: 0
; TotalNumVgprs: 0
; ScratchSize: 0
; MemoryBound: 0
; FloatMode: 240
; IeeeMode: 1
; LDSByteSize: 0 bytes/workgroup (compile time only)
; SGPRBlocks: 0
; VGPRBlocks: 0
; NumSGPRsForWavesPerEU: 4
; NumVGPRsForWavesPerEU: 1
; AccumOffset: 4
; Occupancy: 8
; WaveLimiterHint : 0
; COMPUTE_PGM_RSRC2:SCRATCH_EN: 0
; COMPUTE_PGM_RSRC2:USER_SGPR: 4
; COMPUTE_PGM_RSRC2:TRAP_HANDLER: 0
; COMPUTE_PGM_RSRC2:TGID_X_EN: 1
; COMPUTE_PGM_RSRC2:TGID_Y_EN: 0
; COMPUTE_PGM_RSRC2:TGID_Z_EN: 0
; COMPUTE_PGM_RSRC2:TIDIG_COMP_CNT: 0
; COMPUTE_PGM_RSRC3_GFX90A:ACCUM_OFFSET: 0
; COMPUTE_PGM_RSRC3_GFX90A:TG_SPLIT: 0
	.section	.text._ZN7rocprim17ROCPRIM_400000_NS6detail44device_merge_sort_compile_time_verifier_archINS1_11comp_targetILNS1_3genE3ELNS1_11target_archE908ELNS1_3gpuE7ELNS1_3repE0EEES8_NS0_14default_configES9_NS1_37merge_sort_block_sort_config_selectorIjNS0_10empty_typeEEENS1_38merge_sort_block_merge_config_selectorIjSB_EEEEvv,"axG",@progbits,_ZN7rocprim17ROCPRIM_400000_NS6detail44device_merge_sort_compile_time_verifier_archINS1_11comp_targetILNS1_3genE3ELNS1_11target_archE908ELNS1_3gpuE7ELNS1_3repE0EEES8_NS0_14default_configES9_NS1_37merge_sort_block_sort_config_selectorIjNS0_10empty_typeEEENS1_38merge_sort_block_merge_config_selectorIjSB_EEEEvv,comdat
	.protected	_ZN7rocprim17ROCPRIM_400000_NS6detail44device_merge_sort_compile_time_verifier_archINS1_11comp_targetILNS1_3genE3ELNS1_11target_archE908ELNS1_3gpuE7ELNS1_3repE0EEES8_NS0_14default_configES9_NS1_37merge_sort_block_sort_config_selectorIjNS0_10empty_typeEEENS1_38merge_sort_block_merge_config_selectorIjSB_EEEEvv ; -- Begin function _ZN7rocprim17ROCPRIM_400000_NS6detail44device_merge_sort_compile_time_verifier_archINS1_11comp_targetILNS1_3genE3ELNS1_11target_archE908ELNS1_3gpuE7ELNS1_3repE0EEES8_NS0_14default_configES9_NS1_37merge_sort_block_sort_config_selectorIjNS0_10empty_typeEEENS1_38merge_sort_block_merge_config_selectorIjSB_EEEEvv
	.globl	_ZN7rocprim17ROCPRIM_400000_NS6detail44device_merge_sort_compile_time_verifier_archINS1_11comp_targetILNS1_3genE3ELNS1_11target_archE908ELNS1_3gpuE7ELNS1_3repE0EEES8_NS0_14default_configES9_NS1_37merge_sort_block_sort_config_selectorIjNS0_10empty_typeEEENS1_38merge_sort_block_merge_config_selectorIjSB_EEEEvv
	.p2align	8
	.type	_ZN7rocprim17ROCPRIM_400000_NS6detail44device_merge_sort_compile_time_verifier_archINS1_11comp_targetILNS1_3genE3ELNS1_11target_archE908ELNS1_3gpuE7ELNS1_3repE0EEES8_NS0_14default_configES9_NS1_37merge_sort_block_sort_config_selectorIjNS0_10empty_typeEEENS1_38merge_sort_block_merge_config_selectorIjSB_EEEEvv,@function
_ZN7rocprim17ROCPRIM_400000_NS6detail44device_merge_sort_compile_time_verifier_archINS1_11comp_targetILNS1_3genE3ELNS1_11target_archE908ELNS1_3gpuE7ELNS1_3repE0EEES8_NS0_14default_configES9_NS1_37merge_sort_block_sort_config_selectorIjNS0_10empty_typeEEENS1_38merge_sort_block_merge_config_selectorIjSB_EEEEvv: ; @_ZN7rocprim17ROCPRIM_400000_NS6detail44device_merge_sort_compile_time_verifier_archINS1_11comp_targetILNS1_3genE3ELNS1_11target_archE908ELNS1_3gpuE7ELNS1_3repE0EEES8_NS0_14default_configES9_NS1_37merge_sort_block_sort_config_selectorIjNS0_10empty_typeEEENS1_38merge_sort_block_merge_config_selectorIjSB_EEEEvv
; %bb.0:
	s_endpgm
	.section	.rodata,"a",@progbits
	.p2align	6, 0x0
	.amdhsa_kernel _ZN7rocprim17ROCPRIM_400000_NS6detail44device_merge_sort_compile_time_verifier_archINS1_11comp_targetILNS1_3genE3ELNS1_11target_archE908ELNS1_3gpuE7ELNS1_3repE0EEES8_NS0_14default_configES9_NS1_37merge_sort_block_sort_config_selectorIjNS0_10empty_typeEEENS1_38merge_sort_block_merge_config_selectorIjSB_EEEEvv
		.amdhsa_group_segment_fixed_size 0
		.amdhsa_private_segment_fixed_size 0
		.amdhsa_kernarg_size 0
		.amdhsa_user_sgpr_count 4
		.amdhsa_user_sgpr_private_segment_buffer 1
		.amdhsa_user_sgpr_dispatch_ptr 0
		.amdhsa_user_sgpr_queue_ptr 0
		.amdhsa_user_sgpr_kernarg_segment_ptr 0
		.amdhsa_user_sgpr_dispatch_id 0
		.amdhsa_user_sgpr_flat_scratch_init 0
		.amdhsa_user_sgpr_kernarg_preload_length 0
		.amdhsa_user_sgpr_kernarg_preload_offset 0
		.amdhsa_user_sgpr_private_segment_size 0
		.amdhsa_uses_dynamic_stack 0
		.amdhsa_system_sgpr_private_segment_wavefront_offset 0
		.amdhsa_system_sgpr_workgroup_id_x 1
		.amdhsa_system_sgpr_workgroup_id_y 0
		.amdhsa_system_sgpr_workgroup_id_z 0
		.amdhsa_system_sgpr_workgroup_info 0
		.amdhsa_system_vgpr_workitem_id 0
		.amdhsa_next_free_vgpr 1
		.amdhsa_next_free_sgpr 0
		.amdhsa_accum_offset 4
		.amdhsa_reserve_vcc 0
		.amdhsa_reserve_flat_scratch 0
		.amdhsa_float_round_mode_32 0
		.amdhsa_float_round_mode_16_64 0
		.amdhsa_float_denorm_mode_32 3
		.amdhsa_float_denorm_mode_16_64 3
		.amdhsa_dx10_clamp 1
		.amdhsa_ieee_mode 1
		.amdhsa_fp16_overflow 0
		.amdhsa_tg_split 0
		.amdhsa_exception_fp_ieee_invalid_op 0
		.amdhsa_exception_fp_denorm_src 0
		.amdhsa_exception_fp_ieee_div_zero 0
		.amdhsa_exception_fp_ieee_overflow 0
		.amdhsa_exception_fp_ieee_underflow 0
		.amdhsa_exception_fp_ieee_inexact 0
		.amdhsa_exception_int_div_zero 0
	.end_amdhsa_kernel
	.section	.text._ZN7rocprim17ROCPRIM_400000_NS6detail44device_merge_sort_compile_time_verifier_archINS1_11comp_targetILNS1_3genE3ELNS1_11target_archE908ELNS1_3gpuE7ELNS1_3repE0EEES8_NS0_14default_configES9_NS1_37merge_sort_block_sort_config_selectorIjNS0_10empty_typeEEENS1_38merge_sort_block_merge_config_selectorIjSB_EEEEvv,"axG",@progbits,_ZN7rocprim17ROCPRIM_400000_NS6detail44device_merge_sort_compile_time_verifier_archINS1_11comp_targetILNS1_3genE3ELNS1_11target_archE908ELNS1_3gpuE7ELNS1_3repE0EEES8_NS0_14default_configES9_NS1_37merge_sort_block_sort_config_selectorIjNS0_10empty_typeEEENS1_38merge_sort_block_merge_config_selectorIjSB_EEEEvv,comdat
.Lfunc_end3148:
	.size	_ZN7rocprim17ROCPRIM_400000_NS6detail44device_merge_sort_compile_time_verifier_archINS1_11comp_targetILNS1_3genE3ELNS1_11target_archE908ELNS1_3gpuE7ELNS1_3repE0EEES8_NS0_14default_configES9_NS1_37merge_sort_block_sort_config_selectorIjNS0_10empty_typeEEENS1_38merge_sort_block_merge_config_selectorIjSB_EEEEvv, .Lfunc_end3148-_ZN7rocprim17ROCPRIM_400000_NS6detail44device_merge_sort_compile_time_verifier_archINS1_11comp_targetILNS1_3genE3ELNS1_11target_archE908ELNS1_3gpuE7ELNS1_3repE0EEES8_NS0_14default_configES9_NS1_37merge_sort_block_sort_config_selectorIjNS0_10empty_typeEEENS1_38merge_sort_block_merge_config_selectorIjSB_EEEEvv
                                        ; -- End function
	.section	.AMDGPU.csdata,"",@progbits
; Kernel info:
; codeLenInByte = 4
; NumSgprs: 4
; NumVgprs: 0
; NumAgprs: 0
; TotalNumVgprs: 0
; ScratchSize: 0
; MemoryBound: 0
; FloatMode: 240
; IeeeMode: 1
; LDSByteSize: 0 bytes/workgroup (compile time only)
; SGPRBlocks: 0
; VGPRBlocks: 0
; NumSGPRsForWavesPerEU: 4
; NumVGPRsForWavesPerEU: 1
; AccumOffset: 4
; Occupancy: 8
; WaveLimiterHint : 0
; COMPUTE_PGM_RSRC2:SCRATCH_EN: 0
; COMPUTE_PGM_RSRC2:USER_SGPR: 4
; COMPUTE_PGM_RSRC2:TRAP_HANDLER: 0
; COMPUTE_PGM_RSRC2:TGID_X_EN: 1
; COMPUTE_PGM_RSRC2:TGID_Y_EN: 0
; COMPUTE_PGM_RSRC2:TGID_Z_EN: 0
; COMPUTE_PGM_RSRC2:TIDIG_COMP_CNT: 0
; COMPUTE_PGM_RSRC3_GFX90A:ACCUM_OFFSET: 0
; COMPUTE_PGM_RSRC3_GFX90A:TG_SPLIT: 0
	.section	.text._ZN7rocprim17ROCPRIM_400000_NS6detail44device_merge_sort_compile_time_verifier_archINS1_11comp_targetILNS1_3genE2ELNS1_11target_archE906ELNS1_3gpuE6ELNS1_3repE0EEES8_NS0_14default_configES9_NS1_37merge_sort_block_sort_config_selectorIjNS0_10empty_typeEEENS1_38merge_sort_block_merge_config_selectorIjSB_EEEEvv,"axG",@progbits,_ZN7rocprim17ROCPRIM_400000_NS6detail44device_merge_sort_compile_time_verifier_archINS1_11comp_targetILNS1_3genE2ELNS1_11target_archE906ELNS1_3gpuE6ELNS1_3repE0EEES8_NS0_14default_configES9_NS1_37merge_sort_block_sort_config_selectorIjNS0_10empty_typeEEENS1_38merge_sort_block_merge_config_selectorIjSB_EEEEvv,comdat
	.protected	_ZN7rocprim17ROCPRIM_400000_NS6detail44device_merge_sort_compile_time_verifier_archINS1_11comp_targetILNS1_3genE2ELNS1_11target_archE906ELNS1_3gpuE6ELNS1_3repE0EEES8_NS0_14default_configES9_NS1_37merge_sort_block_sort_config_selectorIjNS0_10empty_typeEEENS1_38merge_sort_block_merge_config_selectorIjSB_EEEEvv ; -- Begin function _ZN7rocprim17ROCPRIM_400000_NS6detail44device_merge_sort_compile_time_verifier_archINS1_11comp_targetILNS1_3genE2ELNS1_11target_archE906ELNS1_3gpuE6ELNS1_3repE0EEES8_NS0_14default_configES9_NS1_37merge_sort_block_sort_config_selectorIjNS0_10empty_typeEEENS1_38merge_sort_block_merge_config_selectorIjSB_EEEEvv
	.globl	_ZN7rocprim17ROCPRIM_400000_NS6detail44device_merge_sort_compile_time_verifier_archINS1_11comp_targetILNS1_3genE2ELNS1_11target_archE906ELNS1_3gpuE6ELNS1_3repE0EEES8_NS0_14default_configES9_NS1_37merge_sort_block_sort_config_selectorIjNS0_10empty_typeEEENS1_38merge_sort_block_merge_config_selectorIjSB_EEEEvv
	.p2align	8
	.type	_ZN7rocprim17ROCPRIM_400000_NS6detail44device_merge_sort_compile_time_verifier_archINS1_11comp_targetILNS1_3genE2ELNS1_11target_archE906ELNS1_3gpuE6ELNS1_3repE0EEES8_NS0_14default_configES9_NS1_37merge_sort_block_sort_config_selectorIjNS0_10empty_typeEEENS1_38merge_sort_block_merge_config_selectorIjSB_EEEEvv,@function
_ZN7rocprim17ROCPRIM_400000_NS6detail44device_merge_sort_compile_time_verifier_archINS1_11comp_targetILNS1_3genE2ELNS1_11target_archE906ELNS1_3gpuE6ELNS1_3repE0EEES8_NS0_14default_configES9_NS1_37merge_sort_block_sort_config_selectorIjNS0_10empty_typeEEENS1_38merge_sort_block_merge_config_selectorIjSB_EEEEvv: ; @_ZN7rocprim17ROCPRIM_400000_NS6detail44device_merge_sort_compile_time_verifier_archINS1_11comp_targetILNS1_3genE2ELNS1_11target_archE906ELNS1_3gpuE6ELNS1_3repE0EEES8_NS0_14default_configES9_NS1_37merge_sort_block_sort_config_selectorIjNS0_10empty_typeEEENS1_38merge_sort_block_merge_config_selectorIjSB_EEEEvv
; %bb.0:
	s_endpgm
	.section	.rodata,"a",@progbits
	.p2align	6, 0x0
	.amdhsa_kernel _ZN7rocprim17ROCPRIM_400000_NS6detail44device_merge_sort_compile_time_verifier_archINS1_11comp_targetILNS1_3genE2ELNS1_11target_archE906ELNS1_3gpuE6ELNS1_3repE0EEES8_NS0_14default_configES9_NS1_37merge_sort_block_sort_config_selectorIjNS0_10empty_typeEEENS1_38merge_sort_block_merge_config_selectorIjSB_EEEEvv
		.amdhsa_group_segment_fixed_size 0
		.amdhsa_private_segment_fixed_size 0
		.amdhsa_kernarg_size 0
		.amdhsa_user_sgpr_count 4
		.amdhsa_user_sgpr_private_segment_buffer 1
		.amdhsa_user_sgpr_dispatch_ptr 0
		.amdhsa_user_sgpr_queue_ptr 0
		.amdhsa_user_sgpr_kernarg_segment_ptr 0
		.amdhsa_user_sgpr_dispatch_id 0
		.amdhsa_user_sgpr_flat_scratch_init 0
		.amdhsa_user_sgpr_kernarg_preload_length 0
		.amdhsa_user_sgpr_kernarg_preload_offset 0
		.amdhsa_user_sgpr_private_segment_size 0
		.amdhsa_uses_dynamic_stack 0
		.amdhsa_system_sgpr_private_segment_wavefront_offset 0
		.amdhsa_system_sgpr_workgroup_id_x 1
		.amdhsa_system_sgpr_workgroup_id_y 0
		.amdhsa_system_sgpr_workgroup_id_z 0
		.amdhsa_system_sgpr_workgroup_info 0
		.amdhsa_system_vgpr_workitem_id 0
		.amdhsa_next_free_vgpr 1
		.amdhsa_next_free_sgpr 0
		.amdhsa_accum_offset 4
		.amdhsa_reserve_vcc 0
		.amdhsa_reserve_flat_scratch 0
		.amdhsa_float_round_mode_32 0
		.amdhsa_float_round_mode_16_64 0
		.amdhsa_float_denorm_mode_32 3
		.amdhsa_float_denorm_mode_16_64 3
		.amdhsa_dx10_clamp 1
		.amdhsa_ieee_mode 1
		.amdhsa_fp16_overflow 0
		.amdhsa_tg_split 0
		.amdhsa_exception_fp_ieee_invalid_op 0
		.amdhsa_exception_fp_denorm_src 0
		.amdhsa_exception_fp_ieee_div_zero 0
		.amdhsa_exception_fp_ieee_overflow 0
		.amdhsa_exception_fp_ieee_underflow 0
		.amdhsa_exception_fp_ieee_inexact 0
		.amdhsa_exception_int_div_zero 0
	.end_amdhsa_kernel
	.section	.text._ZN7rocprim17ROCPRIM_400000_NS6detail44device_merge_sort_compile_time_verifier_archINS1_11comp_targetILNS1_3genE2ELNS1_11target_archE906ELNS1_3gpuE6ELNS1_3repE0EEES8_NS0_14default_configES9_NS1_37merge_sort_block_sort_config_selectorIjNS0_10empty_typeEEENS1_38merge_sort_block_merge_config_selectorIjSB_EEEEvv,"axG",@progbits,_ZN7rocprim17ROCPRIM_400000_NS6detail44device_merge_sort_compile_time_verifier_archINS1_11comp_targetILNS1_3genE2ELNS1_11target_archE906ELNS1_3gpuE6ELNS1_3repE0EEES8_NS0_14default_configES9_NS1_37merge_sort_block_sort_config_selectorIjNS0_10empty_typeEEENS1_38merge_sort_block_merge_config_selectorIjSB_EEEEvv,comdat
.Lfunc_end3149:
	.size	_ZN7rocprim17ROCPRIM_400000_NS6detail44device_merge_sort_compile_time_verifier_archINS1_11comp_targetILNS1_3genE2ELNS1_11target_archE906ELNS1_3gpuE6ELNS1_3repE0EEES8_NS0_14default_configES9_NS1_37merge_sort_block_sort_config_selectorIjNS0_10empty_typeEEENS1_38merge_sort_block_merge_config_selectorIjSB_EEEEvv, .Lfunc_end3149-_ZN7rocprim17ROCPRIM_400000_NS6detail44device_merge_sort_compile_time_verifier_archINS1_11comp_targetILNS1_3genE2ELNS1_11target_archE906ELNS1_3gpuE6ELNS1_3repE0EEES8_NS0_14default_configES9_NS1_37merge_sort_block_sort_config_selectorIjNS0_10empty_typeEEENS1_38merge_sort_block_merge_config_selectorIjSB_EEEEvv
                                        ; -- End function
	.section	.AMDGPU.csdata,"",@progbits
; Kernel info:
; codeLenInByte = 4
; NumSgprs: 4
; NumVgprs: 0
; NumAgprs: 0
; TotalNumVgprs: 0
; ScratchSize: 0
; MemoryBound: 0
; FloatMode: 240
; IeeeMode: 1
; LDSByteSize: 0 bytes/workgroup (compile time only)
; SGPRBlocks: 0
; VGPRBlocks: 0
; NumSGPRsForWavesPerEU: 4
; NumVGPRsForWavesPerEU: 1
; AccumOffset: 4
; Occupancy: 8
; WaveLimiterHint : 0
; COMPUTE_PGM_RSRC2:SCRATCH_EN: 0
; COMPUTE_PGM_RSRC2:USER_SGPR: 4
; COMPUTE_PGM_RSRC2:TRAP_HANDLER: 0
; COMPUTE_PGM_RSRC2:TGID_X_EN: 1
; COMPUTE_PGM_RSRC2:TGID_Y_EN: 0
; COMPUTE_PGM_RSRC2:TGID_Z_EN: 0
; COMPUTE_PGM_RSRC2:TIDIG_COMP_CNT: 0
; COMPUTE_PGM_RSRC3_GFX90A:ACCUM_OFFSET: 0
; COMPUTE_PGM_RSRC3_GFX90A:TG_SPLIT: 0
	.section	.text._ZN7rocprim17ROCPRIM_400000_NS6detail44device_merge_sort_compile_time_verifier_archINS1_11comp_targetILNS1_3genE10ELNS1_11target_archE1201ELNS1_3gpuE5ELNS1_3repE0EEES8_NS0_14default_configES9_NS1_37merge_sort_block_sort_config_selectorIjNS0_10empty_typeEEENS1_38merge_sort_block_merge_config_selectorIjSB_EEEEvv,"axG",@progbits,_ZN7rocprim17ROCPRIM_400000_NS6detail44device_merge_sort_compile_time_verifier_archINS1_11comp_targetILNS1_3genE10ELNS1_11target_archE1201ELNS1_3gpuE5ELNS1_3repE0EEES8_NS0_14default_configES9_NS1_37merge_sort_block_sort_config_selectorIjNS0_10empty_typeEEENS1_38merge_sort_block_merge_config_selectorIjSB_EEEEvv,comdat
	.protected	_ZN7rocprim17ROCPRIM_400000_NS6detail44device_merge_sort_compile_time_verifier_archINS1_11comp_targetILNS1_3genE10ELNS1_11target_archE1201ELNS1_3gpuE5ELNS1_3repE0EEES8_NS0_14default_configES9_NS1_37merge_sort_block_sort_config_selectorIjNS0_10empty_typeEEENS1_38merge_sort_block_merge_config_selectorIjSB_EEEEvv ; -- Begin function _ZN7rocprim17ROCPRIM_400000_NS6detail44device_merge_sort_compile_time_verifier_archINS1_11comp_targetILNS1_3genE10ELNS1_11target_archE1201ELNS1_3gpuE5ELNS1_3repE0EEES8_NS0_14default_configES9_NS1_37merge_sort_block_sort_config_selectorIjNS0_10empty_typeEEENS1_38merge_sort_block_merge_config_selectorIjSB_EEEEvv
	.globl	_ZN7rocprim17ROCPRIM_400000_NS6detail44device_merge_sort_compile_time_verifier_archINS1_11comp_targetILNS1_3genE10ELNS1_11target_archE1201ELNS1_3gpuE5ELNS1_3repE0EEES8_NS0_14default_configES9_NS1_37merge_sort_block_sort_config_selectorIjNS0_10empty_typeEEENS1_38merge_sort_block_merge_config_selectorIjSB_EEEEvv
	.p2align	8
	.type	_ZN7rocprim17ROCPRIM_400000_NS6detail44device_merge_sort_compile_time_verifier_archINS1_11comp_targetILNS1_3genE10ELNS1_11target_archE1201ELNS1_3gpuE5ELNS1_3repE0EEES8_NS0_14default_configES9_NS1_37merge_sort_block_sort_config_selectorIjNS0_10empty_typeEEENS1_38merge_sort_block_merge_config_selectorIjSB_EEEEvv,@function
_ZN7rocprim17ROCPRIM_400000_NS6detail44device_merge_sort_compile_time_verifier_archINS1_11comp_targetILNS1_3genE10ELNS1_11target_archE1201ELNS1_3gpuE5ELNS1_3repE0EEES8_NS0_14default_configES9_NS1_37merge_sort_block_sort_config_selectorIjNS0_10empty_typeEEENS1_38merge_sort_block_merge_config_selectorIjSB_EEEEvv: ; @_ZN7rocprim17ROCPRIM_400000_NS6detail44device_merge_sort_compile_time_verifier_archINS1_11comp_targetILNS1_3genE10ELNS1_11target_archE1201ELNS1_3gpuE5ELNS1_3repE0EEES8_NS0_14default_configES9_NS1_37merge_sort_block_sort_config_selectorIjNS0_10empty_typeEEENS1_38merge_sort_block_merge_config_selectorIjSB_EEEEvv
; %bb.0:
	s_endpgm
	.section	.rodata,"a",@progbits
	.p2align	6, 0x0
	.amdhsa_kernel _ZN7rocprim17ROCPRIM_400000_NS6detail44device_merge_sort_compile_time_verifier_archINS1_11comp_targetILNS1_3genE10ELNS1_11target_archE1201ELNS1_3gpuE5ELNS1_3repE0EEES8_NS0_14default_configES9_NS1_37merge_sort_block_sort_config_selectorIjNS0_10empty_typeEEENS1_38merge_sort_block_merge_config_selectorIjSB_EEEEvv
		.amdhsa_group_segment_fixed_size 0
		.amdhsa_private_segment_fixed_size 0
		.amdhsa_kernarg_size 0
		.amdhsa_user_sgpr_count 4
		.amdhsa_user_sgpr_private_segment_buffer 1
		.amdhsa_user_sgpr_dispatch_ptr 0
		.amdhsa_user_sgpr_queue_ptr 0
		.amdhsa_user_sgpr_kernarg_segment_ptr 0
		.amdhsa_user_sgpr_dispatch_id 0
		.amdhsa_user_sgpr_flat_scratch_init 0
		.amdhsa_user_sgpr_kernarg_preload_length 0
		.amdhsa_user_sgpr_kernarg_preload_offset 0
		.amdhsa_user_sgpr_private_segment_size 0
		.amdhsa_uses_dynamic_stack 0
		.amdhsa_system_sgpr_private_segment_wavefront_offset 0
		.amdhsa_system_sgpr_workgroup_id_x 1
		.amdhsa_system_sgpr_workgroup_id_y 0
		.amdhsa_system_sgpr_workgroup_id_z 0
		.amdhsa_system_sgpr_workgroup_info 0
		.amdhsa_system_vgpr_workitem_id 0
		.amdhsa_next_free_vgpr 1
		.amdhsa_next_free_sgpr 0
		.amdhsa_accum_offset 4
		.amdhsa_reserve_vcc 0
		.amdhsa_reserve_flat_scratch 0
		.amdhsa_float_round_mode_32 0
		.amdhsa_float_round_mode_16_64 0
		.amdhsa_float_denorm_mode_32 3
		.amdhsa_float_denorm_mode_16_64 3
		.amdhsa_dx10_clamp 1
		.amdhsa_ieee_mode 1
		.amdhsa_fp16_overflow 0
		.amdhsa_tg_split 0
		.amdhsa_exception_fp_ieee_invalid_op 0
		.amdhsa_exception_fp_denorm_src 0
		.amdhsa_exception_fp_ieee_div_zero 0
		.amdhsa_exception_fp_ieee_overflow 0
		.amdhsa_exception_fp_ieee_underflow 0
		.amdhsa_exception_fp_ieee_inexact 0
		.amdhsa_exception_int_div_zero 0
	.end_amdhsa_kernel
	.section	.text._ZN7rocprim17ROCPRIM_400000_NS6detail44device_merge_sort_compile_time_verifier_archINS1_11comp_targetILNS1_3genE10ELNS1_11target_archE1201ELNS1_3gpuE5ELNS1_3repE0EEES8_NS0_14default_configES9_NS1_37merge_sort_block_sort_config_selectorIjNS0_10empty_typeEEENS1_38merge_sort_block_merge_config_selectorIjSB_EEEEvv,"axG",@progbits,_ZN7rocprim17ROCPRIM_400000_NS6detail44device_merge_sort_compile_time_verifier_archINS1_11comp_targetILNS1_3genE10ELNS1_11target_archE1201ELNS1_3gpuE5ELNS1_3repE0EEES8_NS0_14default_configES9_NS1_37merge_sort_block_sort_config_selectorIjNS0_10empty_typeEEENS1_38merge_sort_block_merge_config_selectorIjSB_EEEEvv,comdat
.Lfunc_end3150:
	.size	_ZN7rocprim17ROCPRIM_400000_NS6detail44device_merge_sort_compile_time_verifier_archINS1_11comp_targetILNS1_3genE10ELNS1_11target_archE1201ELNS1_3gpuE5ELNS1_3repE0EEES8_NS0_14default_configES9_NS1_37merge_sort_block_sort_config_selectorIjNS0_10empty_typeEEENS1_38merge_sort_block_merge_config_selectorIjSB_EEEEvv, .Lfunc_end3150-_ZN7rocprim17ROCPRIM_400000_NS6detail44device_merge_sort_compile_time_verifier_archINS1_11comp_targetILNS1_3genE10ELNS1_11target_archE1201ELNS1_3gpuE5ELNS1_3repE0EEES8_NS0_14default_configES9_NS1_37merge_sort_block_sort_config_selectorIjNS0_10empty_typeEEENS1_38merge_sort_block_merge_config_selectorIjSB_EEEEvv
                                        ; -- End function
	.section	.AMDGPU.csdata,"",@progbits
; Kernel info:
; codeLenInByte = 4
; NumSgprs: 4
; NumVgprs: 0
; NumAgprs: 0
; TotalNumVgprs: 0
; ScratchSize: 0
; MemoryBound: 0
; FloatMode: 240
; IeeeMode: 1
; LDSByteSize: 0 bytes/workgroup (compile time only)
; SGPRBlocks: 0
; VGPRBlocks: 0
; NumSGPRsForWavesPerEU: 4
; NumVGPRsForWavesPerEU: 1
; AccumOffset: 4
; Occupancy: 8
; WaveLimiterHint : 0
; COMPUTE_PGM_RSRC2:SCRATCH_EN: 0
; COMPUTE_PGM_RSRC2:USER_SGPR: 4
; COMPUTE_PGM_RSRC2:TRAP_HANDLER: 0
; COMPUTE_PGM_RSRC2:TGID_X_EN: 1
; COMPUTE_PGM_RSRC2:TGID_Y_EN: 0
; COMPUTE_PGM_RSRC2:TGID_Z_EN: 0
; COMPUTE_PGM_RSRC2:TIDIG_COMP_CNT: 0
; COMPUTE_PGM_RSRC3_GFX90A:ACCUM_OFFSET: 0
; COMPUTE_PGM_RSRC3_GFX90A:TG_SPLIT: 0
	.section	.text._ZN7rocprim17ROCPRIM_400000_NS6detail44device_merge_sort_compile_time_verifier_archINS1_11comp_targetILNS1_3genE10ELNS1_11target_archE1200ELNS1_3gpuE4ELNS1_3repE0EEENS3_ILS4_10ELS5_1201ELS6_5ELS7_0EEENS0_14default_configESA_NS1_37merge_sort_block_sort_config_selectorIjNS0_10empty_typeEEENS1_38merge_sort_block_merge_config_selectorIjSC_EEEEvv,"axG",@progbits,_ZN7rocprim17ROCPRIM_400000_NS6detail44device_merge_sort_compile_time_verifier_archINS1_11comp_targetILNS1_3genE10ELNS1_11target_archE1200ELNS1_3gpuE4ELNS1_3repE0EEENS3_ILS4_10ELS5_1201ELS6_5ELS7_0EEENS0_14default_configESA_NS1_37merge_sort_block_sort_config_selectorIjNS0_10empty_typeEEENS1_38merge_sort_block_merge_config_selectorIjSC_EEEEvv,comdat
	.protected	_ZN7rocprim17ROCPRIM_400000_NS6detail44device_merge_sort_compile_time_verifier_archINS1_11comp_targetILNS1_3genE10ELNS1_11target_archE1200ELNS1_3gpuE4ELNS1_3repE0EEENS3_ILS4_10ELS5_1201ELS6_5ELS7_0EEENS0_14default_configESA_NS1_37merge_sort_block_sort_config_selectorIjNS0_10empty_typeEEENS1_38merge_sort_block_merge_config_selectorIjSC_EEEEvv ; -- Begin function _ZN7rocprim17ROCPRIM_400000_NS6detail44device_merge_sort_compile_time_verifier_archINS1_11comp_targetILNS1_3genE10ELNS1_11target_archE1200ELNS1_3gpuE4ELNS1_3repE0EEENS3_ILS4_10ELS5_1201ELS6_5ELS7_0EEENS0_14default_configESA_NS1_37merge_sort_block_sort_config_selectorIjNS0_10empty_typeEEENS1_38merge_sort_block_merge_config_selectorIjSC_EEEEvv
	.globl	_ZN7rocprim17ROCPRIM_400000_NS6detail44device_merge_sort_compile_time_verifier_archINS1_11comp_targetILNS1_3genE10ELNS1_11target_archE1200ELNS1_3gpuE4ELNS1_3repE0EEENS3_ILS4_10ELS5_1201ELS6_5ELS7_0EEENS0_14default_configESA_NS1_37merge_sort_block_sort_config_selectorIjNS0_10empty_typeEEENS1_38merge_sort_block_merge_config_selectorIjSC_EEEEvv
	.p2align	8
	.type	_ZN7rocprim17ROCPRIM_400000_NS6detail44device_merge_sort_compile_time_verifier_archINS1_11comp_targetILNS1_3genE10ELNS1_11target_archE1200ELNS1_3gpuE4ELNS1_3repE0EEENS3_ILS4_10ELS5_1201ELS6_5ELS7_0EEENS0_14default_configESA_NS1_37merge_sort_block_sort_config_selectorIjNS0_10empty_typeEEENS1_38merge_sort_block_merge_config_selectorIjSC_EEEEvv,@function
_ZN7rocprim17ROCPRIM_400000_NS6detail44device_merge_sort_compile_time_verifier_archINS1_11comp_targetILNS1_3genE10ELNS1_11target_archE1200ELNS1_3gpuE4ELNS1_3repE0EEENS3_ILS4_10ELS5_1201ELS6_5ELS7_0EEENS0_14default_configESA_NS1_37merge_sort_block_sort_config_selectorIjNS0_10empty_typeEEENS1_38merge_sort_block_merge_config_selectorIjSC_EEEEvv: ; @_ZN7rocprim17ROCPRIM_400000_NS6detail44device_merge_sort_compile_time_verifier_archINS1_11comp_targetILNS1_3genE10ELNS1_11target_archE1200ELNS1_3gpuE4ELNS1_3repE0EEENS3_ILS4_10ELS5_1201ELS6_5ELS7_0EEENS0_14default_configESA_NS1_37merge_sort_block_sort_config_selectorIjNS0_10empty_typeEEENS1_38merge_sort_block_merge_config_selectorIjSC_EEEEvv
; %bb.0:
	s_endpgm
	.section	.rodata,"a",@progbits
	.p2align	6, 0x0
	.amdhsa_kernel _ZN7rocprim17ROCPRIM_400000_NS6detail44device_merge_sort_compile_time_verifier_archINS1_11comp_targetILNS1_3genE10ELNS1_11target_archE1200ELNS1_3gpuE4ELNS1_3repE0EEENS3_ILS4_10ELS5_1201ELS6_5ELS7_0EEENS0_14default_configESA_NS1_37merge_sort_block_sort_config_selectorIjNS0_10empty_typeEEENS1_38merge_sort_block_merge_config_selectorIjSC_EEEEvv
		.amdhsa_group_segment_fixed_size 0
		.amdhsa_private_segment_fixed_size 0
		.amdhsa_kernarg_size 0
		.amdhsa_user_sgpr_count 4
		.amdhsa_user_sgpr_private_segment_buffer 1
		.amdhsa_user_sgpr_dispatch_ptr 0
		.amdhsa_user_sgpr_queue_ptr 0
		.amdhsa_user_sgpr_kernarg_segment_ptr 0
		.amdhsa_user_sgpr_dispatch_id 0
		.amdhsa_user_sgpr_flat_scratch_init 0
		.amdhsa_user_sgpr_kernarg_preload_length 0
		.amdhsa_user_sgpr_kernarg_preload_offset 0
		.amdhsa_user_sgpr_private_segment_size 0
		.amdhsa_uses_dynamic_stack 0
		.amdhsa_system_sgpr_private_segment_wavefront_offset 0
		.amdhsa_system_sgpr_workgroup_id_x 1
		.amdhsa_system_sgpr_workgroup_id_y 0
		.amdhsa_system_sgpr_workgroup_id_z 0
		.amdhsa_system_sgpr_workgroup_info 0
		.amdhsa_system_vgpr_workitem_id 0
		.amdhsa_next_free_vgpr 1
		.amdhsa_next_free_sgpr 0
		.amdhsa_accum_offset 4
		.amdhsa_reserve_vcc 0
		.amdhsa_reserve_flat_scratch 0
		.amdhsa_float_round_mode_32 0
		.amdhsa_float_round_mode_16_64 0
		.amdhsa_float_denorm_mode_32 3
		.amdhsa_float_denorm_mode_16_64 3
		.amdhsa_dx10_clamp 1
		.amdhsa_ieee_mode 1
		.amdhsa_fp16_overflow 0
		.amdhsa_tg_split 0
		.amdhsa_exception_fp_ieee_invalid_op 0
		.amdhsa_exception_fp_denorm_src 0
		.amdhsa_exception_fp_ieee_div_zero 0
		.amdhsa_exception_fp_ieee_overflow 0
		.amdhsa_exception_fp_ieee_underflow 0
		.amdhsa_exception_fp_ieee_inexact 0
		.amdhsa_exception_int_div_zero 0
	.end_amdhsa_kernel
	.section	.text._ZN7rocprim17ROCPRIM_400000_NS6detail44device_merge_sort_compile_time_verifier_archINS1_11comp_targetILNS1_3genE10ELNS1_11target_archE1200ELNS1_3gpuE4ELNS1_3repE0EEENS3_ILS4_10ELS5_1201ELS6_5ELS7_0EEENS0_14default_configESA_NS1_37merge_sort_block_sort_config_selectorIjNS0_10empty_typeEEENS1_38merge_sort_block_merge_config_selectorIjSC_EEEEvv,"axG",@progbits,_ZN7rocprim17ROCPRIM_400000_NS6detail44device_merge_sort_compile_time_verifier_archINS1_11comp_targetILNS1_3genE10ELNS1_11target_archE1200ELNS1_3gpuE4ELNS1_3repE0EEENS3_ILS4_10ELS5_1201ELS6_5ELS7_0EEENS0_14default_configESA_NS1_37merge_sort_block_sort_config_selectorIjNS0_10empty_typeEEENS1_38merge_sort_block_merge_config_selectorIjSC_EEEEvv,comdat
.Lfunc_end3151:
	.size	_ZN7rocprim17ROCPRIM_400000_NS6detail44device_merge_sort_compile_time_verifier_archINS1_11comp_targetILNS1_3genE10ELNS1_11target_archE1200ELNS1_3gpuE4ELNS1_3repE0EEENS3_ILS4_10ELS5_1201ELS6_5ELS7_0EEENS0_14default_configESA_NS1_37merge_sort_block_sort_config_selectorIjNS0_10empty_typeEEENS1_38merge_sort_block_merge_config_selectorIjSC_EEEEvv, .Lfunc_end3151-_ZN7rocprim17ROCPRIM_400000_NS6detail44device_merge_sort_compile_time_verifier_archINS1_11comp_targetILNS1_3genE10ELNS1_11target_archE1200ELNS1_3gpuE4ELNS1_3repE0EEENS3_ILS4_10ELS5_1201ELS6_5ELS7_0EEENS0_14default_configESA_NS1_37merge_sort_block_sort_config_selectorIjNS0_10empty_typeEEENS1_38merge_sort_block_merge_config_selectorIjSC_EEEEvv
                                        ; -- End function
	.section	.AMDGPU.csdata,"",@progbits
; Kernel info:
; codeLenInByte = 4
; NumSgprs: 4
; NumVgprs: 0
; NumAgprs: 0
; TotalNumVgprs: 0
; ScratchSize: 0
; MemoryBound: 0
; FloatMode: 240
; IeeeMode: 1
; LDSByteSize: 0 bytes/workgroup (compile time only)
; SGPRBlocks: 0
; VGPRBlocks: 0
; NumSGPRsForWavesPerEU: 4
; NumVGPRsForWavesPerEU: 1
; AccumOffset: 4
; Occupancy: 8
; WaveLimiterHint : 0
; COMPUTE_PGM_RSRC2:SCRATCH_EN: 0
; COMPUTE_PGM_RSRC2:USER_SGPR: 4
; COMPUTE_PGM_RSRC2:TRAP_HANDLER: 0
; COMPUTE_PGM_RSRC2:TGID_X_EN: 1
; COMPUTE_PGM_RSRC2:TGID_Y_EN: 0
; COMPUTE_PGM_RSRC2:TGID_Z_EN: 0
; COMPUTE_PGM_RSRC2:TIDIG_COMP_CNT: 0
; COMPUTE_PGM_RSRC3_GFX90A:ACCUM_OFFSET: 0
; COMPUTE_PGM_RSRC3_GFX90A:TG_SPLIT: 0
	.section	.text._ZN7rocprim17ROCPRIM_400000_NS6detail44device_merge_sort_compile_time_verifier_archINS1_11comp_targetILNS1_3genE9ELNS1_11target_archE1100ELNS1_3gpuE3ELNS1_3repE0EEES8_NS0_14default_configES9_NS1_37merge_sort_block_sort_config_selectorIjNS0_10empty_typeEEENS1_38merge_sort_block_merge_config_selectorIjSB_EEEEvv,"axG",@progbits,_ZN7rocprim17ROCPRIM_400000_NS6detail44device_merge_sort_compile_time_verifier_archINS1_11comp_targetILNS1_3genE9ELNS1_11target_archE1100ELNS1_3gpuE3ELNS1_3repE0EEES8_NS0_14default_configES9_NS1_37merge_sort_block_sort_config_selectorIjNS0_10empty_typeEEENS1_38merge_sort_block_merge_config_selectorIjSB_EEEEvv,comdat
	.protected	_ZN7rocprim17ROCPRIM_400000_NS6detail44device_merge_sort_compile_time_verifier_archINS1_11comp_targetILNS1_3genE9ELNS1_11target_archE1100ELNS1_3gpuE3ELNS1_3repE0EEES8_NS0_14default_configES9_NS1_37merge_sort_block_sort_config_selectorIjNS0_10empty_typeEEENS1_38merge_sort_block_merge_config_selectorIjSB_EEEEvv ; -- Begin function _ZN7rocprim17ROCPRIM_400000_NS6detail44device_merge_sort_compile_time_verifier_archINS1_11comp_targetILNS1_3genE9ELNS1_11target_archE1100ELNS1_3gpuE3ELNS1_3repE0EEES8_NS0_14default_configES9_NS1_37merge_sort_block_sort_config_selectorIjNS0_10empty_typeEEENS1_38merge_sort_block_merge_config_selectorIjSB_EEEEvv
	.globl	_ZN7rocprim17ROCPRIM_400000_NS6detail44device_merge_sort_compile_time_verifier_archINS1_11comp_targetILNS1_3genE9ELNS1_11target_archE1100ELNS1_3gpuE3ELNS1_3repE0EEES8_NS0_14default_configES9_NS1_37merge_sort_block_sort_config_selectorIjNS0_10empty_typeEEENS1_38merge_sort_block_merge_config_selectorIjSB_EEEEvv
	.p2align	8
	.type	_ZN7rocprim17ROCPRIM_400000_NS6detail44device_merge_sort_compile_time_verifier_archINS1_11comp_targetILNS1_3genE9ELNS1_11target_archE1100ELNS1_3gpuE3ELNS1_3repE0EEES8_NS0_14default_configES9_NS1_37merge_sort_block_sort_config_selectorIjNS0_10empty_typeEEENS1_38merge_sort_block_merge_config_selectorIjSB_EEEEvv,@function
_ZN7rocprim17ROCPRIM_400000_NS6detail44device_merge_sort_compile_time_verifier_archINS1_11comp_targetILNS1_3genE9ELNS1_11target_archE1100ELNS1_3gpuE3ELNS1_3repE0EEES8_NS0_14default_configES9_NS1_37merge_sort_block_sort_config_selectorIjNS0_10empty_typeEEENS1_38merge_sort_block_merge_config_selectorIjSB_EEEEvv: ; @_ZN7rocprim17ROCPRIM_400000_NS6detail44device_merge_sort_compile_time_verifier_archINS1_11comp_targetILNS1_3genE9ELNS1_11target_archE1100ELNS1_3gpuE3ELNS1_3repE0EEES8_NS0_14default_configES9_NS1_37merge_sort_block_sort_config_selectorIjNS0_10empty_typeEEENS1_38merge_sort_block_merge_config_selectorIjSB_EEEEvv
; %bb.0:
	s_endpgm
	.section	.rodata,"a",@progbits
	.p2align	6, 0x0
	.amdhsa_kernel _ZN7rocprim17ROCPRIM_400000_NS6detail44device_merge_sort_compile_time_verifier_archINS1_11comp_targetILNS1_3genE9ELNS1_11target_archE1100ELNS1_3gpuE3ELNS1_3repE0EEES8_NS0_14default_configES9_NS1_37merge_sort_block_sort_config_selectorIjNS0_10empty_typeEEENS1_38merge_sort_block_merge_config_selectorIjSB_EEEEvv
		.amdhsa_group_segment_fixed_size 0
		.amdhsa_private_segment_fixed_size 0
		.amdhsa_kernarg_size 0
		.amdhsa_user_sgpr_count 4
		.amdhsa_user_sgpr_private_segment_buffer 1
		.amdhsa_user_sgpr_dispatch_ptr 0
		.amdhsa_user_sgpr_queue_ptr 0
		.amdhsa_user_sgpr_kernarg_segment_ptr 0
		.amdhsa_user_sgpr_dispatch_id 0
		.amdhsa_user_sgpr_flat_scratch_init 0
		.amdhsa_user_sgpr_kernarg_preload_length 0
		.amdhsa_user_sgpr_kernarg_preload_offset 0
		.amdhsa_user_sgpr_private_segment_size 0
		.amdhsa_uses_dynamic_stack 0
		.amdhsa_system_sgpr_private_segment_wavefront_offset 0
		.amdhsa_system_sgpr_workgroup_id_x 1
		.amdhsa_system_sgpr_workgroup_id_y 0
		.amdhsa_system_sgpr_workgroup_id_z 0
		.amdhsa_system_sgpr_workgroup_info 0
		.amdhsa_system_vgpr_workitem_id 0
		.amdhsa_next_free_vgpr 1
		.amdhsa_next_free_sgpr 0
		.amdhsa_accum_offset 4
		.amdhsa_reserve_vcc 0
		.amdhsa_reserve_flat_scratch 0
		.amdhsa_float_round_mode_32 0
		.amdhsa_float_round_mode_16_64 0
		.amdhsa_float_denorm_mode_32 3
		.amdhsa_float_denorm_mode_16_64 3
		.amdhsa_dx10_clamp 1
		.amdhsa_ieee_mode 1
		.amdhsa_fp16_overflow 0
		.amdhsa_tg_split 0
		.amdhsa_exception_fp_ieee_invalid_op 0
		.amdhsa_exception_fp_denorm_src 0
		.amdhsa_exception_fp_ieee_div_zero 0
		.amdhsa_exception_fp_ieee_overflow 0
		.amdhsa_exception_fp_ieee_underflow 0
		.amdhsa_exception_fp_ieee_inexact 0
		.amdhsa_exception_int_div_zero 0
	.end_amdhsa_kernel
	.section	.text._ZN7rocprim17ROCPRIM_400000_NS6detail44device_merge_sort_compile_time_verifier_archINS1_11comp_targetILNS1_3genE9ELNS1_11target_archE1100ELNS1_3gpuE3ELNS1_3repE0EEES8_NS0_14default_configES9_NS1_37merge_sort_block_sort_config_selectorIjNS0_10empty_typeEEENS1_38merge_sort_block_merge_config_selectorIjSB_EEEEvv,"axG",@progbits,_ZN7rocprim17ROCPRIM_400000_NS6detail44device_merge_sort_compile_time_verifier_archINS1_11comp_targetILNS1_3genE9ELNS1_11target_archE1100ELNS1_3gpuE3ELNS1_3repE0EEES8_NS0_14default_configES9_NS1_37merge_sort_block_sort_config_selectorIjNS0_10empty_typeEEENS1_38merge_sort_block_merge_config_selectorIjSB_EEEEvv,comdat
.Lfunc_end3152:
	.size	_ZN7rocprim17ROCPRIM_400000_NS6detail44device_merge_sort_compile_time_verifier_archINS1_11comp_targetILNS1_3genE9ELNS1_11target_archE1100ELNS1_3gpuE3ELNS1_3repE0EEES8_NS0_14default_configES9_NS1_37merge_sort_block_sort_config_selectorIjNS0_10empty_typeEEENS1_38merge_sort_block_merge_config_selectorIjSB_EEEEvv, .Lfunc_end3152-_ZN7rocprim17ROCPRIM_400000_NS6detail44device_merge_sort_compile_time_verifier_archINS1_11comp_targetILNS1_3genE9ELNS1_11target_archE1100ELNS1_3gpuE3ELNS1_3repE0EEES8_NS0_14default_configES9_NS1_37merge_sort_block_sort_config_selectorIjNS0_10empty_typeEEENS1_38merge_sort_block_merge_config_selectorIjSB_EEEEvv
                                        ; -- End function
	.section	.AMDGPU.csdata,"",@progbits
; Kernel info:
; codeLenInByte = 4
; NumSgprs: 4
; NumVgprs: 0
; NumAgprs: 0
; TotalNumVgprs: 0
; ScratchSize: 0
; MemoryBound: 0
; FloatMode: 240
; IeeeMode: 1
; LDSByteSize: 0 bytes/workgroup (compile time only)
; SGPRBlocks: 0
; VGPRBlocks: 0
; NumSGPRsForWavesPerEU: 4
; NumVGPRsForWavesPerEU: 1
; AccumOffset: 4
; Occupancy: 8
; WaveLimiterHint : 0
; COMPUTE_PGM_RSRC2:SCRATCH_EN: 0
; COMPUTE_PGM_RSRC2:USER_SGPR: 4
; COMPUTE_PGM_RSRC2:TRAP_HANDLER: 0
; COMPUTE_PGM_RSRC2:TGID_X_EN: 1
; COMPUTE_PGM_RSRC2:TGID_Y_EN: 0
; COMPUTE_PGM_RSRC2:TGID_Z_EN: 0
; COMPUTE_PGM_RSRC2:TIDIG_COMP_CNT: 0
; COMPUTE_PGM_RSRC3_GFX90A:ACCUM_OFFSET: 0
; COMPUTE_PGM_RSRC3_GFX90A:TG_SPLIT: 0
	.section	.text._ZN7rocprim17ROCPRIM_400000_NS6detail44device_merge_sort_compile_time_verifier_archINS1_11comp_targetILNS1_3genE8ELNS1_11target_archE1030ELNS1_3gpuE2ELNS1_3repE0EEES8_NS0_14default_configES9_NS1_37merge_sort_block_sort_config_selectorIjNS0_10empty_typeEEENS1_38merge_sort_block_merge_config_selectorIjSB_EEEEvv,"axG",@progbits,_ZN7rocprim17ROCPRIM_400000_NS6detail44device_merge_sort_compile_time_verifier_archINS1_11comp_targetILNS1_3genE8ELNS1_11target_archE1030ELNS1_3gpuE2ELNS1_3repE0EEES8_NS0_14default_configES9_NS1_37merge_sort_block_sort_config_selectorIjNS0_10empty_typeEEENS1_38merge_sort_block_merge_config_selectorIjSB_EEEEvv,comdat
	.protected	_ZN7rocprim17ROCPRIM_400000_NS6detail44device_merge_sort_compile_time_verifier_archINS1_11comp_targetILNS1_3genE8ELNS1_11target_archE1030ELNS1_3gpuE2ELNS1_3repE0EEES8_NS0_14default_configES9_NS1_37merge_sort_block_sort_config_selectorIjNS0_10empty_typeEEENS1_38merge_sort_block_merge_config_selectorIjSB_EEEEvv ; -- Begin function _ZN7rocprim17ROCPRIM_400000_NS6detail44device_merge_sort_compile_time_verifier_archINS1_11comp_targetILNS1_3genE8ELNS1_11target_archE1030ELNS1_3gpuE2ELNS1_3repE0EEES8_NS0_14default_configES9_NS1_37merge_sort_block_sort_config_selectorIjNS0_10empty_typeEEENS1_38merge_sort_block_merge_config_selectorIjSB_EEEEvv
	.globl	_ZN7rocprim17ROCPRIM_400000_NS6detail44device_merge_sort_compile_time_verifier_archINS1_11comp_targetILNS1_3genE8ELNS1_11target_archE1030ELNS1_3gpuE2ELNS1_3repE0EEES8_NS0_14default_configES9_NS1_37merge_sort_block_sort_config_selectorIjNS0_10empty_typeEEENS1_38merge_sort_block_merge_config_selectorIjSB_EEEEvv
	.p2align	8
	.type	_ZN7rocprim17ROCPRIM_400000_NS6detail44device_merge_sort_compile_time_verifier_archINS1_11comp_targetILNS1_3genE8ELNS1_11target_archE1030ELNS1_3gpuE2ELNS1_3repE0EEES8_NS0_14default_configES9_NS1_37merge_sort_block_sort_config_selectorIjNS0_10empty_typeEEENS1_38merge_sort_block_merge_config_selectorIjSB_EEEEvv,@function
_ZN7rocprim17ROCPRIM_400000_NS6detail44device_merge_sort_compile_time_verifier_archINS1_11comp_targetILNS1_3genE8ELNS1_11target_archE1030ELNS1_3gpuE2ELNS1_3repE0EEES8_NS0_14default_configES9_NS1_37merge_sort_block_sort_config_selectorIjNS0_10empty_typeEEENS1_38merge_sort_block_merge_config_selectorIjSB_EEEEvv: ; @_ZN7rocprim17ROCPRIM_400000_NS6detail44device_merge_sort_compile_time_verifier_archINS1_11comp_targetILNS1_3genE8ELNS1_11target_archE1030ELNS1_3gpuE2ELNS1_3repE0EEES8_NS0_14default_configES9_NS1_37merge_sort_block_sort_config_selectorIjNS0_10empty_typeEEENS1_38merge_sort_block_merge_config_selectorIjSB_EEEEvv
; %bb.0:
	s_endpgm
	.section	.rodata,"a",@progbits
	.p2align	6, 0x0
	.amdhsa_kernel _ZN7rocprim17ROCPRIM_400000_NS6detail44device_merge_sort_compile_time_verifier_archINS1_11comp_targetILNS1_3genE8ELNS1_11target_archE1030ELNS1_3gpuE2ELNS1_3repE0EEES8_NS0_14default_configES9_NS1_37merge_sort_block_sort_config_selectorIjNS0_10empty_typeEEENS1_38merge_sort_block_merge_config_selectorIjSB_EEEEvv
		.amdhsa_group_segment_fixed_size 0
		.amdhsa_private_segment_fixed_size 0
		.amdhsa_kernarg_size 0
		.amdhsa_user_sgpr_count 4
		.amdhsa_user_sgpr_private_segment_buffer 1
		.amdhsa_user_sgpr_dispatch_ptr 0
		.amdhsa_user_sgpr_queue_ptr 0
		.amdhsa_user_sgpr_kernarg_segment_ptr 0
		.amdhsa_user_sgpr_dispatch_id 0
		.amdhsa_user_sgpr_flat_scratch_init 0
		.amdhsa_user_sgpr_kernarg_preload_length 0
		.amdhsa_user_sgpr_kernarg_preload_offset 0
		.amdhsa_user_sgpr_private_segment_size 0
		.amdhsa_uses_dynamic_stack 0
		.amdhsa_system_sgpr_private_segment_wavefront_offset 0
		.amdhsa_system_sgpr_workgroup_id_x 1
		.amdhsa_system_sgpr_workgroup_id_y 0
		.amdhsa_system_sgpr_workgroup_id_z 0
		.amdhsa_system_sgpr_workgroup_info 0
		.amdhsa_system_vgpr_workitem_id 0
		.amdhsa_next_free_vgpr 1
		.amdhsa_next_free_sgpr 0
		.amdhsa_accum_offset 4
		.amdhsa_reserve_vcc 0
		.amdhsa_reserve_flat_scratch 0
		.amdhsa_float_round_mode_32 0
		.amdhsa_float_round_mode_16_64 0
		.amdhsa_float_denorm_mode_32 3
		.amdhsa_float_denorm_mode_16_64 3
		.amdhsa_dx10_clamp 1
		.amdhsa_ieee_mode 1
		.amdhsa_fp16_overflow 0
		.amdhsa_tg_split 0
		.amdhsa_exception_fp_ieee_invalid_op 0
		.amdhsa_exception_fp_denorm_src 0
		.amdhsa_exception_fp_ieee_div_zero 0
		.amdhsa_exception_fp_ieee_overflow 0
		.amdhsa_exception_fp_ieee_underflow 0
		.amdhsa_exception_fp_ieee_inexact 0
		.amdhsa_exception_int_div_zero 0
	.end_amdhsa_kernel
	.section	.text._ZN7rocprim17ROCPRIM_400000_NS6detail44device_merge_sort_compile_time_verifier_archINS1_11comp_targetILNS1_3genE8ELNS1_11target_archE1030ELNS1_3gpuE2ELNS1_3repE0EEES8_NS0_14default_configES9_NS1_37merge_sort_block_sort_config_selectorIjNS0_10empty_typeEEENS1_38merge_sort_block_merge_config_selectorIjSB_EEEEvv,"axG",@progbits,_ZN7rocprim17ROCPRIM_400000_NS6detail44device_merge_sort_compile_time_verifier_archINS1_11comp_targetILNS1_3genE8ELNS1_11target_archE1030ELNS1_3gpuE2ELNS1_3repE0EEES8_NS0_14default_configES9_NS1_37merge_sort_block_sort_config_selectorIjNS0_10empty_typeEEENS1_38merge_sort_block_merge_config_selectorIjSB_EEEEvv,comdat
.Lfunc_end3153:
	.size	_ZN7rocprim17ROCPRIM_400000_NS6detail44device_merge_sort_compile_time_verifier_archINS1_11comp_targetILNS1_3genE8ELNS1_11target_archE1030ELNS1_3gpuE2ELNS1_3repE0EEES8_NS0_14default_configES9_NS1_37merge_sort_block_sort_config_selectorIjNS0_10empty_typeEEENS1_38merge_sort_block_merge_config_selectorIjSB_EEEEvv, .Lfunc_end3153-_ZN7rocprim17ROCPRIM_400000_NS6detail44device_merge_sort_compile_time_verifier_archINS1_11comp_targetILNS1_3genE8ELNS1_11target_archE1030ELNS1_3gpuE2ELNS1_3repE0EEES8_NS0_14default_configES9_NS1_37merge_sort_block_sort_config_selectorIjNS0_10empty_typeEEENS1_38merge_sort_block_merge_config_selectorIjSB_EEEEvv
                                        ; -- End function
	.section	.AMDGPU.csdata,"",@progbits
; Kernel info:
; codeLenInByte = 4
; NumSgprs: 4
; NumVgprs: 0
; NumAgprs: 0
; TotalNumVgprs: 0
; ScratchSize: 0
; MemoryBound: 0
; FloatMode: 240
; IeeeMode: 1
; LDSByteSize: 0 bytes/workgroup (compile time only)
; SGPRBlocks: 0
; VGPRBlocks: 0
; NumSGPRsForWavesPerEU: 4
; NumVGPRsForWavesPerEU: 1
; AccumOffset: 4
; Occupancy: 8
; WaveLimiterHint : 0
; COMPUTE_PGM_RSRC2:SCRATCH_EN: 0
; COMPUTE_PGM_RSRC2:USER_SGPR: 4
; COMPUTE_PGM_RSRC2:TRAP_HANDLER: 0
; COMPUTE_PGM_RSRC2:TGID_X_EN: 1
; COMPUTE_PGM_RSRC2:TGID_Y_EN: 0
; COMPUTE_PGM_RSRC2:TGID_Z_EN: 0
; COMPUTE_PGM_RSRC2:TIDIG_COMP_CNT: 0
; COMPUTE_PGM_RSRC3_GFX90A:ACCUM_OFFSET: 0
; COMPUTE_PGM_RSRC3_GFX90A:TG_SPLIT: 0
	.section	.text._ZN7rocprim17ROCPRIM_400000_NS6detail17trampoline_kernelINS0_14default_configENS1_37merge_sort_block_sort_config_selectorIjNS0_10empty_typeEEEZNS1_21merge_sort_block_sortIS3_N6thrust23THRUST_200600_302600_NS6detail15normal_iteratorINS9_10device_ptrIjEEEESE_PS5_SF_14custom_greaterIjEEE10hipError_tT0_T1_T2_T3_mRjT4_P12ihipStream_tbNS1_7vsmem_tEEUlT_E_NS1_11comp_targetILNS1_3genE0ELNS1_11target_archE4294967295ELNS1_3gpuE0ELNS1_3repE0EEENS1_30default_config_static_selectorELNS0_4arch9wavefront6targetE1EEEvSK_,"axG",@progbits,_ZN7rocprim17ROCPRIM_400000_NS6detail17trampoline_kernelINS0_14default_configENS1_37merge_sort_block_sort_config_selectorIjNS0_10empty_typeEEEZNS1_21merge_sort_block_sortIS3_N6thrust23THRUST_200600_302600_NS6detail15normal_iteratorINS9_10device_ptrIjEEEESE_PS5_SF_14custom_greaterIjEEE10hipError_tT0_T1_T2_T3_mRjT4_P12ihipStream_tbNS1_7vsmem_tEEUlT_E_NS1_11comp_targetILNS1_3genE0ELNS1_11target_archE4294967295ELNS1_3gpuE0ELNS1_3repE0EEENS1_30default_config_static_selectorELNS0_4arch9wavefront6targetE1EEEvSK_,comdat
	.protected	_ZN7rocprim17ROCPRIM_400000_NS6detail17trampoline_kernelINS0_14default_configENS1_37merge_sort_block_sort_config_selectorIjNS0_10empty_typeEEEZNS1_21merge_sort_block_sortIS3_N6thrust23THRUST_200600_302600_NS6detail15normal_iteratorINS9_10device_ptrIjEEEESE_PS5_SF_14custom_greaterIjEEE10hipError_tT0_T1_T2_T3_mRjT4_P12ihipStream_tbNS1_7vsmem_tEEUlT_E_NS1_11comp_targetILNS1_3genE0ELNS1_11target_archE4294967295ELNS1_3gpuE0ELNS1_3repE0EEENS1_30default_config_static_selectorELNS0_4arch9wavefront6targetE1EEEvSK_ ; -- Begin function _ZN7rocprim17ROCPRIM_400000_NS6detail17trampoline_kernelINS0_14default_configENS1_37merge_sort_block_sort_config_selectorIjNS0_10empty_typeEEEZNS1_21merge_sort_block_sortIS3_N6thrust23THRUST_200600_302600_NS6detail15normal_iteratorINS9_10device_ptrIjEEEESE_PS5_SF_14custom_greaterIjEEE10hipError_tT0_T1_T2_T3_mRjT4_P12ihipStream_tbNS1_7vsmem_tEEUlT_E_NS1_11comp_targetILNS1_3genE0ELNS1_11target_archE4294967295ELNS1_3gpuE0ELNS1_3repE0EEENS1_30default_config_static_selectorELNS0_4arch9wavefront6targetE1EEEvSK_
	.globl	_ZN7rocprim17ROCPRIM_400000_NS6detail17trampoline_kernelINS0_14default_configENS1_37merge_sort_block_sort_config_selectorIjNS0_10empty_typeEEEZNS1_21merge_sort_block_sortIS3_N6thrust23THRUST_200600_302600_NS6detail15normal_iteratorINS9_10device_ptrIjEEEESE_PS5_SF_14custom_greaterIjEEE10hipError_tT0_T1_T2_T3_mRjT4_P12ihipStream_tbNS1_7vsmem_tEEUlT_E_NS1_11comp_targetILNS1_3genE0ELNS1_11target_archE4294967295ELNS1_3gpuE0ELNS1_3repE0EEENS1_30default_config_static_selectorELNS0_4arch9wavefront6targetE1EEEvSK_
	.p2align	8
	.type	_ZN7rocprim17ROCPRIM_400000_NS6detail17trampoline_kernelINS0_14default_configENS1_37merge_sort_block_sort_config_selectorIjNS0_10empty_typeEEEZNS1_21merge_sort_block_sortIS3_N6thrust23THRUST_200600_302600_NS6detail15normal_iteratorINS9_10device_ptrIjEEEESE_PS5_SF_14custom_greaterIjEEE10hipError_tT0_T1_T2_T3_mRjT4_P12ihipStream_tbNS1_7vsmem_tEEUlT_E_NS1_11comp_targetILNS1_3genE0ELNS1_11target_archE4294967295ELNS1_3gpuE0ELNS1_3repE0EEENS1_30default_config_static_selectorELNS0_4arch9wavefront6targetE1EEEvSK_,@function
_ZN7rocprim17ROCPRIM_400000_NS6detail17trampoline_kernelINS0_14default_configENS1_37merge_sort_block_sort_config_selectorIjNS0_10empty_typeEEEZNS1_21merge_sort_block_sortIS3_N6thrust23THRUST_200600_302600_NS6detail15normal_iteratorINS9_10device_ptrIjEEEESE_PS5_SF_14custom_greaterIjEEE10hipError_tT0_T1_T2_T3_mRjT4_P12ihipStream_tbNS1_7vsmem_tEEUlT_E_NS1_11comp_targetILNS1_3genE0ELNS1_11target_archE4294967295ELNS1_3gpuE0ELNS1_3repE0EEENS1_30default_config_static_selectorELNS0_4arch9wavefront6targetE1EEEvSK_: ; @_ZN7rocprim17ROCPRIM_400000_NS6detail17trampoline_kernelINS0_14default_configENS1_37merge_sort_block_sort_config_selectorIjNS0_10empty_typeEEEZNS1_21merge_sort_block_sortIS3_N6thrust23THRUST_200600_302600_NS6detail15normal_iteratorINS9_10device_ptrIjEEEESE_PS5_SF_14custom_greaterIjEEE10hipError_tT0_T1_T2_T3_mRjT4_P12ihipStream_tbNS1_7vsmem_tEEUlT_E_NS1_11comp_targetILNS1_3genE0ELNS1_11target_archE4294967295ELNS1_3gpuE0ELNS1_3repE0EEENS1_30default_config_static_selectorELNS0_4arch9wavefront6targetE1EEEvSK_
; %bb.0:
	.section	.rodata,"a",@progbits
	.p2align	6, 0x0
	.amdhsa_kernel _ZN7rocprim17ROCPRIM_400000_NS6detail17trampoline_kernelINS0_14default_configENS1_37merge_sort_block_sort_config_selectorIjNS0_10empty_typeEEEZNS1_21merge_sort_block_sortIS3_N6thrust23THRUST_200600_302600_NS6detail15normal_iteratorINS9_10device_ptrIjEEEESE_PS5_SF_14custom_greaterIjEEE10hipError_tT0_T1_T2_T3_mRjT4_P12ihipStream_tbNS1_7vsmem_tEEUlT_E_NS1_11comp_targetILNS1_3genE0ELNS1_11target_archE4294967295ELNS1_3gpuE0ELNS1_3repE0EEENS1_30default_config_static_selectorELNS0_4arch9wavefront6targetE1EEEvSK_
		.amdhsa_group_segment_fixed_size 0
		.amdhsa_private_segment_fixed_size 0
		.amdhsa_kernarg_size 64
		.amdhsa_user_sgpr_count 6
		.amdhsa_user_sgpr_private_segment_buffer 1
		.amdhsa_user_sgpr_dispatch_ptr 0
		.amdhsa_user_sgpr_queue_ptr 0
		.amdhsa_user_sgpr_kernarg_segment_ptr 1
		.amdhsa_user_sgpr_dispatch_id 0
		.amdhsa_user_sgpr_flat_scratch_init 0
		.amdhsa_user_sgpr_kernarg_preload_length 0
		.amdhsa_user_sgpr_kernarg_preload_offset 0
		.amdhsa_user_sgpr_private_segment_size 0
		.amdhsa_uses_dynamic_stack 0
		.amdhsa_system_sgpr_private_segment_wavefront_offset 0
		.amdhsa_system_sgpr_workgroup_id_x 1
		.amdhsa_system_sgpr_workgroup_id_y 0
		.amdhsa_system_sgpr_workgroup_id_z 0
		.amdhsa_system_sgpr_workgroup_info 0
		.amdhsa_system_vgpr_workitem_id 0
		.amdhsa_next_free_vgpr 1
		.amdhsa_next_free_sgpr 0
		.amdhsa_accum_offset 4
		.amdhsa_reserve_vcc 0
		.amdhsa_reserve_flat_scratch 0
		.amdhsa_float_round_mode_32 0
		.amdhsa_float_round_mode_16_64 0
		.amdhsa_float_denorm_mode_32 3
		.amdhsa_float_denorm_mode_16_64 3
		.amdhsa_dx10_clamp 1
		.amdhsa_ieee_mode 1
		.amdhsa_fp16_overflow 0
		.amdhsa_tg_split 0
		.amdhsa_exception_fp_ieee_invalid_op 0
		.amdhsa_exception_fp_denorm_src 0
		.amdhsa_exception_fp_ieee_div_zero 0
		.amdhsa_exception_fp_ieee_overflow 0
		.amdhsa_exception_fp_ieee_underflow 0
		.amdhsa_exception_fp_ieee_inexact 0
		.amdhsa_exception_int_div_zero 0
	.end_amdhsa_kernel
	.section	.text._ZN7rocprim17ROCPRIM_400000_NS6detail17trampoline_kernelINS0_14default_configENS1_37merge_sort_block_sort_config_selectorIjNS0_10empty_typeEEEZNS1_21merge_sort_block_sortIS3_N6thrust23THRUST_200600_302600_NS6detail15normal_iteratorINS9_10device_ptrIjEEEESE_PS5_SF_14custom_greaterIjEEE10hipError_tT0_T1_T2_T3_mRjT4_P12ihipStream_tbNS1_7vsmem_tEEUlT_E_NS1_11comp_targetILNS1_3genE0ELNS1_11target_archE4294967295ELNS1_3gpuE0ELNS1_3repE0EEENS1_30default_config_static_selectorELNS0_4arch9wavefront6targetE1EEEvSK_,"axG",@progbits,_ZN7rocprim17ROCPRIM_400000_NS6detail17trampoline_kernelINS0_14default_configENS1_37merge_sort_block_sort_config_selectorIjNS0_10empty_typeEEEZNS1_21merge_sort_block_sortIS3_N6thrust23THRUST_200600_302600_NS6detail15normal_iteratorINS9_10device_ptrIjEEEESE_PS5_SF_14custom_greaterIjEEE10hipError_tT0_T1_T2_T3_mRjT4_P12ihipStream_tbNS1_7vsmem_tEEUlT_E_NS1_11comp_targetILNS1_3genE0ELNS1_11target_archE4294967295ELNS1_3gpuE0ELNS1_3repE0EEENS1_30default_config_static_selectorELNS0_4arch9wavefront6targetE1EEEvSK_,comdat
.Lfunc_end3154:
	.size	_ZN7rocprim17ROCPRIM_400000_NS6detail17trampoline_kernelINS0_14default_configENS1_37merge_sort_block_sort_config_selectorIjNS0_10empty_typeEEEZNS1_21merge_sort_block_sortIS3_N6thrust23THRUST_200600_302600_NS6detail15normal_iteratorINS9_10device_ptrIjEEEESE_PS5_SF_14custom_greaterIjEEE10hipError_tT0_T1_T2_T3_mRjT4_P12ihipStream_tbNS1_7vsmem_tEEUlT_E_NS1_11comp_targetILNS1_3genE0ELNS1_11target_archE4294967295ELNS1_3gpuE0ELNS1_3repE0EEENS1_30default_config_static_selectorELNS0_4arch9wavefront6targetE1EEEvSK_, .Lfunc_end3154-_ZN7rocprim17ROCPRIM_400000_NS6detail17trampoline_kernelINS0_14default_configENS1_37merge_sort_block_sort_config_selectorIjNS0_10empty_typeEEEZNS1_21merge_sort_block_sortIS3_N6thrust23THRUST_200600_302600_NS6detail15normal_iteratorINS9_10device_ptrIjEEEESE_PS5_SF_14custom_greaterIjEEE10hipError_tT0_T1_T2_T3_mRjT4_P12ihipStream_tbNS1_7vsmem_tEEUlT_E_NS1_11comp_targetILNS1_3genE0ELNS1_11target_archE4294967295ELNS1_3gpuE0ELNS1_3repE0EEENS1_30default_config_static_selectorELNS0_4arch9wavefront6targetE1EEEvSK_
                                        ; -- End function
	.section	.AMDGPU.csdata,"",@progbits
; Kernel info:
; codeLenInByte = 0
; NumSgprs: 4
; NumVgprs: 0
; NumAgprs: 0
; TotalNumVgprs: 0
; ScratchSize: 0
; MemoryBound: 0
; FloatMode: 240
; IeeeMode: 1
; LDSByteSize: 0 bytes/workgroup (compile time only)
; SGPRBlocks: 0
; VGPRBlocks: 0
; NumSGPRsForWavesPerEU: 4
; NumVGPRsForWavesPerEU: 1
; AccumOffset: 4
; Occupancy: 8
; WaveLimiterHint : 0
; COMPUTE_PGM_RSRC2:SCRATCH_EN: 0
; COMPUTE_PGM_RSRC2:USER_SGPR: 6
; COMPUTE_PGM_RSRC2:TRAP_HANDLER: 0
; COMPUTE_PGM_RSRC2:TGID_X_EN: 1
; COMPUTE_PGM_RSRC2:TGID_Y_EN: 0
; COMPUTE_PGM_RSRC2:TGID_Z_EN: 0
; COMPUTE_PGM_RSRC2:TIDIG_COMP_CNT: 0
; COMPUTE_PGM_RSRC3_GFX90A:ACCUM_OFFSET: 0
; COMPUTE_PGM_RSRC3_GFX90A:TG_SPLIT: 0
	.section	.text._ZN7rocprim17ROCPRIM_400000_NS6detail17trampoline_kernelINS0_14default_configENS1_37merge_sort_block_sort_config_selectorIjNS0_10empty_typeEEEZNS1_21merge_sort_block_sortIS3_N6thrust23THRUST_200600_302600_NS6detail15normal_iteratorINS9_10device_ptrIjEEEESE_PS5_SF_14custom_greaterIjEEE10hipError_tT0_T1_T2_T3_mRjT4_P12ihipStream_tbNS1_7vsmem_tEEUlT_E_NS1_11comp_targetILNS1_3genE5ELNS1_11target_archE942ELNS1_3gpuE9ELNS1_3repE0EEENS1_30default_config_static_selectorELNS0_4arch9wavefront6targetE1EEEvSK_,"axG",@progbits,_ZN7rocprim17ROCPRIM_400000_NS6detail17trampoline_kernelINS0_14default_configENS1_37merge_sort_block_sort_config_selectorIjNS0_10empty_typeEEEZNS1_21merge_sort_block_sortIS3_N6thrust23THRUST_200600_302600_NS6detail15normal_iteratorINS9_10device_ptrIjEEEESE_PS5_SF_14custom_greaterIjEEE10hipError_tT0_T1_T2_T3_mRjT4_P12ihipStream_tbNS1_7vsmem_tEEUlT_E_NS1_11comp_targetILNS1_3genE5ELNS1_11target_archE942ELNS1_3gpuE9ELNS1_3repE0EEENS1_30default_config_static_selectorELNS0_4arch9wavefront6targetE1EEEvSK_,comdat
	.protected	_ZN7rocprim17ROCPRIM_400000_NS6detail17trampoline_kernelINS0_14default_configENS1_37merge_sort_block_sort_config_selectorIjNS0_10empty_typeEEEZNS1_21merge_sort_block_sortIS3_N6thrust23THRUST_200600_302600_NS6detail15normal_iteratorINS9_10device_ptrIjEEEESE_PS5_SF_14custom_greaterIjEEE10hipError_tT0_T1_T2_T3_mRjT4_P12ihipStream_tbNS1_7vsmem_tEEUlT_E_NS1_11comp_targetILNS1_3genE5ELNS1_11target_archE942ELNS1_3gpuE9ELNS1_3repE0EEENS1_30default_config_static_selectorELNS0_4arch9wavefront6targetE1EEEvSK_ ; -- Begin function _ZN7rocprim17ROCPRIM_400000_NS6detail17trampoline_kernelINS0_14default_configENS1_37merge_sort_block_sort_config_selectorIjNS0_10empty_typeEEEZNS1_21merge_sort_block_sortIS3_N6thrust23THRUST_200600_302600_NS6detail15normal_iteratorINS9_10device_ptrIjEEEESE_PS5_SF_14custom_greaterIjEEE10hipError_tT0_T1_T2_T3_mRjT4_P12ihipStream_tbNS1_7vsmem_tEEUlT_E_NS1_11comp_targetILNS1_3genE5ELNS1_11target_archE942ELNS1_3gpuE9ELNS1_3repE0EEENS1_30default_config_static_selectorELNS0_4arch9wavefront6targetE1EEEvSK_
	.globl	_ZN7rocprim17ROCPRIM_400000_NS6detail17trampoline_kernelINS0_14default_configENS1_37merge_sort_block_sort_config_selectorIjNS0_10empty_typeEEEZNS1_21merge_sort_block_sortIS3_N6thrust23THRUST_200600_302600_NS6detail15normal_iteratorINS9_10device_ptrIjEEEESE_PS5_SF_14custom_greaterIjEEE10hipError_tT0_T1_T2_T3_mRjT4_P12ihipStream_tbNS1_7vsmem_tEEUlT_E_NS1_11comp_targetILNS1_3genE5ELNS1_11target_archE942ELNS1_3gpuE9ELNS1_3repE0EEENS1_30default_config_static_selectorELNS0_4arch9wavefront6targetE1EEEvSK_
	.p2align	8
	.type	_ZN7rocprim17ROCPRIM_400000_NS6detail17trampoline_kernelINS0_14default_configENS1_37merge_sort_block_sort_config_selectorIjNS0_10empty_typeEEEZNS1_21merge_sort_block_sortIS3_N6thrust23THRUST_200600_302600_NS6detail15normal_iteratorINS9_10device_ptrIjEEEESE_PS5_SF_14custom_greaterIjEEE10hipError_tT0_T1_T2_T3_mRjT4_P12ihipStream_tbNS1_7vsmem_tEEUlT_E_NS1_11comp_targetILNS1_3genE5ELNS1_11target_archE942ELNS1_3gpuE9ELNS1_3repE0EEENS1_30default_config_static_selectorELNS0_4arch9wavefront6targetE1EEEvSK_,@function
_ZN7rocprim17ROCPRIM_400000_NS6detail17trampoline_kernelINS0_14default_configENS1_37merge_sort_block_sort_config_selectorIjNS0_10empty_typeEEEZNS1_21merge_sort_block_sortIS3_N6thrust23THRUST_200600_302600_NS6detail15normal_iteratorINS9_10device_ptrIjEEEESE_PS5_SF_14custom_greaterIjEEE10hipError_tT0_T1_T2_T3_mRjT4_P12ihipStream_tbNS1_7vsmem_tEEUlT_E_NS1_11comp_targetILNS1_3genE5ELNS1_11target_archE942ELNS1_3gpuE9ELNS1_3repE0EEENS1_30default_config_static_selectorELNS0_4arch9wavefront6targetE1EEEvSK_: ; @_ZN7rocprim17ROCPRIM_400000_NS6detail17trampoline_kernelINS0_14default_configENS1_37merge_sort_block_sort_config_selectorIjNS0_10empty_typeEEEZNS1_21merge_sort_block_sortIS3_N6thrust23THRUST_200600_302600_NS6detail15normal_iteratorINS9_10device_ptrIjEEEESE_PS5_SF_14custom_greaterIjEEE10hipError_tT0_T1_T2_T3_mRjT4_P12ihipStream_tbNS1_7vsmem_tEEUlT_E_NS1_11comp_targetILNS1_3genE5ELNS1_11target_archE942ELNS1_3gpuE9ELNS1_3repE0EEENS1_30default_config_static_selectorELNS0_4arch9wavefront6targetE1EEEvSK_
; %bb.0:
	.section	.rodata,"a",@progbits
	.p2align	6, 0x0
	.amdhsa_kernel _ZN7rocprim17ROCPRIM_400000_NS6detail17trampoline_kernelINS0_14default_configENS1_37merge_sort_block_sort_config_selectorIjNS0_10empty_typeEEEZNS1_21merge_sort_block_sortIS3_N6thrust23THRUST_200600_302600_NS6detail15normal_iteratorINS9_10device_ptrIjEEEESE_PS5_SF_14custom_greaterIjEEE10hipError_tT0_T1_T2_T3_mRjT4_P12ihipStream_tbNS1_7vsmem_tEEUlT_E_NS1_11comp_targetILNS1_3genE5ELNS1_11target_archE942ELNS1_3gpuE9ELNS1_3repE0EEENS1_30default_config_static_selectorELNS0_4arch9wavefront6targetE1EEEvSK_
		.amdhsa_group_segment_fixed_size 0
		.amdhsa_private_segment_fixed_size 0
		.amdhsa_kernarg_size 64
		.amdhsa_user_sgpr_count 6
		.amdhsa_user_sgpr_private_segment_buffer 1
		.amdhsa_user_sgpr_dispatch_ptr 0
		.amdhsa_user_sgpr_queue_ptr 0
		.amdhsa_user_sgpr_kernarg_segment_ptr 1
		.amdhsa_user_sgpr_dispatch_id 0
		.amdhsa_user_sgpr_flat_scratch_init 0
		.amdhsa_user_sgpr_kernarg_preload_length 0
		.amdhsa_user_sgpr_kernarg_preload_offset 0
		.amdhsa_user_sgpr_private_segment_size 0
		.amdhsa_uses_dynamic_stack 0
		.amdhsa_system_sgpr_private_segment_wavefront_offset 0
		.amdhsa_system_sgpr_workgroup_id_x 1
		.amdhsa_system_sgpr_workgroup_id_y 0
		.amdhsa_system_sgpr_workgroup_id_z 0
		.amdhsa_system_sgpr_workgroup_info 0
		.amdhsa_system_vgpr_workitem_id 0
		.amdhsa_next_free_vgpr 1
		.amdhsa_next_free_sgpr 0
		.amdhsa_accum_offset 4
		.amdhsa_reserve_vcc 0
		.amdhsa_reserve_flat_scratch 0
		.amdhsa_float_round_mode_32 0
		.amdhsa_float_round_mode_16_64 0
		.amdhsa_float_denorm_mode_32 3
		.amdhsa_float_denorm_mode_16_64 3
		.amdhsa_dx10_clamp 1
		.amdhsa_ieee_mode 1
		.amdhsa_fp16_overflow 0
		.amdhsa_tg_split 0
		.amdhsa_exception_fp_ieee_invalid_op 0
		.amdhsa_exception_fp_denorm_src 0
		.amdhsa_exception_fp_ieee_div_zero 0
		.amdhsa_exception_fp_ieee_overflow 0
		.amdhsa_exception_fp_ieee_underflow 0
		.amdhsa_exception_fp_ieee_inexact 0
		.amdhsa_exception_int_div_zero 0
	.end_amdhsa_kernel
	.section	.text._ZN7rocprim17ROCPRIM_400000_NS6detail17trampoline_kernelINS0_14default_configENS1_37merge_sort_block_sort_config_selectorIjNS0_10empty_typeEEEZNS1_21merge_sort_block_sortIS3_N6thrust23THRUST_200600_302600_NS6detail15normal_iteratorINS9_10device_ptrIjEEEESE_PS5_SF_14custom_greaterIjEEE10hipError_tT0_T1_T2_T3_mRjT4_P12ihipStream_tbNS1_7vsmem_tEEUlT_E_NS1_11comp_targetILNS1_3genE5ELNS1_11target_archE942ELNS1_3gpuE9ELNS1_3repE0EEENS1_30default_config_static_selectorELNS0_4arch9wavefront6targetE1EEEvSK_,"axG",@progbits,_ZN7rocprim17ROCPRIM_400000_NS6detail17trampoline_kernelINS0_14default_configENS1_37merge_sort_block_sort_config_selectorIjNS0_10empty_typeEEEZNS1_21merge_sort_block_sortIS3_N6thrust23THRUST_200600_302600_NS6detail15normal_iteratorINS9_10device_ptrIjEEEESE_PS5_SF_14custom_greaterIjEEE10hipError_tT0_T1_T2_T3_mRjT4_P12ihipStream_tbNS1_7vsmem_tEEUlT_E_NS1_11comp_targetILNS1_3genE5ELNS1_11target_archE942ELNS1_3gpuE9ELNS1_3repE0EEENS1_30default_config_static_selectorELNS0_4arch9wavefront6targetE1EEEvSK_,comdat
.Lfunc_end3155:
	.size	_ZN7rocprim17ROCPRIM_400000_NS6detail17trampoline_kernelINS0_14default_configENS1_37merge_sort_block_sort_config_selectorIjNS0_10empty_typeEEEZNS1_21merge_sort_block_sortIS3_N6thrust23THRUST_200600_302600_NS6detail15normal_iteratorINS9_10device_ptrIjEEEESE_PS5_SF_14custom_greaterIjEEE10hipError_tT0_T1_T2_T3_mRjT4_P12ihipStream_tbNS1_7vsmem_tEEUlT_E_NS1_11comp_targetILNS1_3genE5ELNS1_11target_archE942ELNS1_3gpuE9ELNS1_3repE0EEENS1_30default_config_static_selectorELNS0_4arch9wavefront6targetE1EEEvSK_, .Lfunc_end3155-_ZN7rocprim17ROCPRIM_400000_NS6detail17trampoline_kernelINS0_14default_configENS1_37merge_sort_block_sort_config_selectorIjNS0_10empty_typeEEEZNS1_21merge_sort_block_sortIS3_N6thrust23THRUST_200600_302600_NS6detail15normal_iteratorINS9_10device_ptrIjEEEESE_PS5_SF_14custom_greaterIjEEE10hipError_tT0_T1_T2_T3_mRjT4_P12ihipStream_tbNS1_7vsmem_tEEUlT_E_NS1_11comp_targetILNS1_3genE5ELNS1_11target_archE942ELNS1_3gpuE9ELNS1_3repE0EEENS1_30default_config_static_selectorELNS0_4arch9wavefront6targetE1EEEvSK_
                                        ; -- End function
	.section	.AMDGPU.csdata,"",@progbits
; Kernel info:
; codeLenInByte = 0
; NumSgprs: 4
; NumVgprs: 0
; NumAgprs: 0
; TotalNumVgprs: 0
; ScratchSize: 0
; MemoryBound: 0
; FloatMode: 240
; IeeeMode: 1
; LDSByteSize: 0 bytes/workgroup (compile time only)
; SGPRBlocks: 0
; VGPRBlocks: 0
; NumSGPRsForWavesPerEU: 4
; NumVGPRsForWavesPerEU: 1
; AccumOffset: 4
; Occupancy: 8
; WaveLimiterHint : 0
; COMPUTE_PGM_RSRC2:SCRATCH_EN: 0
; COMPUTE_PGM_RSRC2:USER_SGPR: 6
; COMPUTE_PGM_RSRC2:TRAP_HANDLER: 0
; COMPUTE_PGM_RSRC2:TGID_X_EN: 1
; COMPUTE_PGM_RSRC2:TGID_Y_EN: 0
; COMPUTE_PGM_RSRC2:TGID_Z_EN: 0
; COMPUTE_PGM_RSRC2:TIDIG_COMP_CNT: 0
; COMPUTE_PGM_RSRC3_GFX90A:ACCUM_OFFSET: 0
; COMPUTE_PGM_RSRC3_GFX90A:TG_SPLIT: 0
	.section	.text._ZN7rocprim17ROCPRIM_400000_NS6detail17trampoline_kernelINS0_14default_configENS1_37merge_sort_block_sort_config_selectorIjNS0_10empty_typeEEEZNS1_21merge_sort_block_sortIS3_N6thrust23THRUST_200600_302600_NS6detail15normal_iteratorINS9_10device_ptrIjEEEESE_PS5_SF_14custom_greaterIjEEE10hipError_tT0_T1_T2_T3_mRjT4_P12ihipStream_tbNS1_7vsmem_tEEUlT_E_NS1_11comp_targetILNS1_3genE4ELNS1_11target_archE910ELNS1_3gpuE8ELNS1_3repE0EEENS1_30default_config_static_selectorELNS0_4arch9wavefront6targetE1EEEvSK_,"axG",@progbits,_ZN7rocprim17ROCPRIM_400000_NS6detail17trampoline_kernelINS0_14default_configENS1_37merge_sort_block_sort_config_selectorIjNS0_10empty_typeEEEZNS1_21merge_sort_block_sortIS3_N6thrust23THRUST_200600_302600_NS6detail15normal_iteratorINS9_10device_ptrIjEEEESE_PS5_SF_14custom_greaterIjEEE10hipError_tT0_T1_T2_T3_mRjT4_P12ihipStream_tbNS1_7vsmem_tEEUlT_E_NS1_11comp_targetILNS1_3genE4ELNS1_11target_archE910ELNS1_3gpuE8ELNS1_3repE0EEENS1_30default_config_static_selectorELNS0_4arch9wavefront6targetE1EEEvSK_,comdat
	.protected	_ZN7rocprim17ROCPRIM_400000_NS6detail17trampoline_kernelINS0_14default_configENS1_37merge_sort_block_sort_config_selectorIjNS0_10empty_typeEEEZNS1_21merge_sort_block_sortIS3_N6thrust23THRUST_200600_302600_NS6detail15normal_iteratorINS9_10device_ptrIjEEEESE_PS5_SF_14custom_greaterIjEEE10hipError_tT0_T1_T2_T3_mRjT4_P12ihipStream_tbNS1_7vsmem_tEEUlT_E_NS1_11comp_targetILNS1_3genE4ELNS1_11target_archE910ELNS1_3gpuE8ELNS1_3repE0EEENS1_30default_config_static_selectorELNS0_4arch9wavefront6targetE1EEEvSK_ ; -- Begin function _ZN7rocprim17ROCPRIM_400000_NS6detail17trampoline_kernelINS0_14default_configENS1_37merge_sort_block_sort_config_selectorIjNS0_10empty_typeEEEZNS1_21merge_sort_block_sortIS3_N6thrust23THRUST_200600_302600_NS6detail15normal_iteratorINS9_10device_ptrIjEEEESE_PS5_SF_14custom_greaterIjEEE10hipError_tT0_T1_T2_T3_mRjT4_P12ihipStream_tbNS1_7vsmem_tEEUlT_E_NS1_11comp_targetILNS1_3genE4ELNS1_11target_archE910ELNS1_3gpuE8ELNS1_3repE0EEENS1_30default_config_static_selectorELNS0_4arch9wavefront6targetE1EEEvSK_
	.globl	_ZN7rocprim17ROCPRIM_400000_NS6detail17trampoline_kernelINS0_14default_configENS1_37merge_sort_block_sort_config_selectorIjNS0_10empty_typeEEEZNS1_21merge_sort_block_sortIS3_N6thrust23THRUST_200600_302600_NS6detail15normal_iteratorINS9_10device_ptrIjEEEESE_PS5_SF_14custom_greaterIjEEE10hipError_tT0_T1_T2_T3_mRjT4_P12ihipStream_tbNS1_7vsmem_tEEUlT_E_NS1_11comp_targetILNS1_3genE4ELNS1_11target_archE910ELNS1_3gpuE8ELNS1_3repE0EEENS1_30default_config_static_selectorELNS0_4arch9wavefront6targetE1EEEvSK_
	.p2align	8
	.type	_ZN7rocprim17ROCPRIM_400000_NS6detail17trampoline_kernelINS0_14default_configENS1_37merge_sort_block_sort_config_selectorIjNS0_10empty_typeEEEZNS1_21merge_sort_block_sortIS3_N6thrust23THRUST_200600_302600_NS6detail15normal_iteratorINS9_10device_ptrIjEEEESE_PS5_SF_14custom_greaterIjEEE10hipError_tT0_T1_T2_T3_mRjT4_P12ihipStream_tbNS1_7vsmem_tEEUlT_E_NS1_11comp_targetILNS1_3genE4ELNS1_11target_archE910ELNS1_3gpuE8ELNS1_3repE0EEENS1_30default_config_static_selectorELNS0_4arch9wavefront6targetE1EEEvSK_,@function
_ZN7rocprim17ROCPRIM_400000_NS6detail17trampoline_kernelINS0_14default_configENS1_37merge_sort_block_sort_config_selectorIjNS0_10empty_typeEEEZNS1_21merge_sort_block_sortIS3_N6thrust23THRUST_200600_302600_NS6detail15normal_iteratorINS9_10device_ptrIjEEEESE_PS5_SF_14custom_greaterIjEEE10hipError_tT0_T1_T2_T3_mRjT4_P12ihipStream_tbNS1_7vsmem_tEEUlT_E_NS1_11comp_targetILNS1_3genE4ELNS1_11target_archE910ELNS1_3gpuE8ELNS1_3repE0EEENS1_30default_config_static_selectorELNS0_4arch9wavefront6targetE1EEEvSK_: ; @_ZN7rocprim17ROCPRIM_400000_NS6detail17trampoline_kernelINS0_14default_configENS1_37merge_sort_block_sort_config_selectorIjNS0_10empty_typeEEEZNS1_21merge_sort_block_sortIS3_N6thrust23THRUST_200600_302600_NS6detail15normal_iteratorINS9_10device_ptrIjEEEESE_PS5_SF_14custom_greaterIjEEE10hipError_tT0_T1_T2_T3_mRjT4_P12ihipStream_tbNS1_7vsmem_tEEUlT_E_NS1_11comp_targetILNS1_3genE4ELNS1_11target_archE910ELNS1_3gpuE8ELNS1_3repE0EEENS1_30default_config_static_selectorELNS0_4arch9wavefront6targetE1EEEvSK_
; %bb.0:
	s_load_dwordx2 s[18:19], s[4:5], 0x40
	s_load_dword s0, s[4:5], 0x0
	s_add_u32 s16, s4, 64
	s_addc_u32 s17, s5, 0
	s_waitcnt lgkmcnt(0)
	s_mul_i32 s1, s19, s8
	s_add_i32 s1, s1, s7
	s_mul_i32 s1, s1, s18
	s_add_i32 s20, s1, s6
	s_cmp_ge_u32 s20, s0
	s_cbranch_scc1 .LBB3156_166
; %bb.1:
	s_load_dwordx2 s[22:23], s[4:5], 0x8
	s_load_dwordx4 s[0:3], s[4:5], 0x18
	s_mov_b32 s21, 0
	s_lshl_b64 s[4:5], s[20:21], 13
	v_and_b32_e32 v12, 0x3ff, v0
	s_waitcnt lgkmcnt(0)
	s_lshr_b64 s[8:9], s[22:23], 11
	s_add_u32 s7, s0, s4
	s_addc_u32 s19, s1, s5
	s_add_u32 s33, s2, s4
	s_addc_u32 s38, s3, s5
	s_cmp_lg_u64 s[8:9], s[20:21]
	v_bfe_u32 v16, v0, 10, 10
	v_bfe_u32 v17, v0, 20, 10
	v_lshlrev_b32_e32 v11, 2, v12
	v_lshrrev_b32_e32 v18, 3, v12
	v_lshlrev_b32_e32 v15, 3, v12
	v_lshrrev_b32_e32 v14, 2, v12
	s_cbranch_scc0 .LBB3156_85
; %bb.2:
	v_mov_b32_e32 v1, s19
	v_add_co_u32_e32 v0, vcc, s7, v11
	v_addc_co_u32_e32 v1, vcc, 0, v1, vcc
	v_add_co_u32_e32 v2, vcc, 0x1000, v0
	v_addc_co_u32_e32 v3, vcc, 0, v1, vcc
	flat_load_dword v4, v[0:1]
	flat_load_dword v5, v[0:1] offset:1024
	flat_load_dword v6, v[0:1] offset:2048
	flat_load_dword v7, v[0:1] offset:3072
	flat_load_dword v8, v[2:3]
	flat_load_dword v9, v[2:3] offset:1024
	flat_load_dword v10, v[2:3] offset:2048
	;; [unrolled: 1-line block ×3, first 2 shown]
	v_and_b32_e32 v0, 0x7c, v18
	v_add_u32_e32 v1, 0x100, v12
	v_add_u32_e32 v2, 0x200, v12
	;; [unrolled: 1-line block ×3, first 2 shown]
	v_or_b32_e32 v20, 0x400, v12
	v_add_u32_e32 v21, 0x500, v12
	v_add_u32_e32 v22, 0x600, v12
	;; [unrolled: 1-line block ×4, first 2 shown]
	v_lshrrev_b32_e32 v0, 3, v1
	v_lshrrev_b32_e32 v1, 3, v2
	;; [unrolled: 1-line block ×7, first 2 shown]
	v_add_lshl_u32 v27, v14, v15, 2
	v_and_b32_e32 v0, 0xfc, v0
	v_and_b32_e32 v1, 0xfc, v1
	;; [unrolled: 1-line block ×7, first 2 shown]
	v_add_u32_e32 v20, v0, v11
	v_add_u32_e32 v21, v1, v11
	;; [unrolled: 1-line block ×7, first 2 shown]
	s_movk_i32 s2, 0x800
	s_waitcnt vmcnt(0) lgkmcnt(0)
	ds_write_b32 v19, v4
	ds_write_b32 v20, v5 offset:1024
	ds_write_b32 v21, v6 offset:2048
	;; [unrolled: 1-line block ×7, first 2 shown]
	s_waitcnt lgkmcnt(0)
	s_barrier
	ds_read2_b32 v[8:9], v27 offset1:1
	ds_read2_b32 v[2:3], v27 offset0:2 offset1:3
	ds_read2_b32 v[4:5], v27 offset0:4 offset1:5
	;; [unrolled: 1-line block ×3, first 2 shown]
	s_waitcnt lgkmcnt(0)
	s_barrier
	s_load_dword s0, s[16:17], 0xc
	v_mov_b32_e32 v13, 0
	v_mov_b32_e32 v0, v8
	s_waitcnt lgkmcnt(0)
	s_lshr_b32 s3, s0, 16
	s_cmp_lt_u32 s6, s18
	s_cselect_b32 s0, 12, 18
	s_add_u32 s0, s16, s0
	s_addc_u32 s1, s17, 0
	global_load_ushort v1, v13, s[0:1]
	v_mad_u32_u24 v10, v17, s3, v16
	s_waitcnt vmcnt(0)
	v_mul_lo_u32 v1, v10, v1
	v_add_lshl_u32 v1, v1, v12, 3
	v_cmp_gt_u32_e32 vcc, s2, v1
	v_mov_b32_e32 v10, v2
	s_and_saveexec_b64 s[0:1], vcc
	s_cbranch_execz .LBB3156_4
; %bb.3:
	v_cmp_gt_u32_e32 vcc, v8, v9
	v_cndmask_b32_e32 v0, v8, v9, vcc
	v_cndmask_b32_e32 v10, v9, v8, vcc
	v_cmp_gt_u32_e32 vcc, v2, v3
	v_min_u32_e32 v27, v8, v9
	v_max_u32_e32 v8, v8, v9
	v_cndmask_b32_e32 v9, v3, v2, vcc
	v_cndmask_b32_e32 v28, v2, v3, vcc
	v_cmp_gt_u32_e32 vcc, v4, v5
	v_max_u32_e32 v29, v2, v3
	v_min_u32_e32 v2, v2, v3
	v_cndmask_b32_e32 v3, v5, v4, vcc
	v_cndmask_b32_e32 v30, v4, v5, vcc
	v_cmp_gt_u32_e32 vcc, v6, v7
	v_max_u32_e32 v31, v4, v5
	v_min_u32_e32 v4, v4, v5
	;; [unrolled: 5-line block ×3, first 2 shown]
	v_cndmask_b32_e32 v7, v28, v8, vcc
	v_cndmask_b32_e32 v10, v10, v2, vcc
	v_cmp_gt_u32_e32 vcc, v29, v4
	v_cndmask_b32_e32 v30, v30, v29, vcc
	v_cndmask_b32_e32 v9, v9, v4, vcc
	v_cmp_gt_u32_e32 vcc, v31, v6
	v_max_u32_e32 v28, v8, v2
	v_min_u32_e32 v8, v8, v2
	v_max_u32_e32 v34, v29, v4
	v_min_u32_e32 v4, v29, v4
	v_cndmask_b32_e32 v29, v32, v31, vcc
	v_cndmask_b32_e32 v3, v3, v6, vcc
	v_cmp_lt_u32_e32 vcc, v2, v27
	v_max_u32_e32 v32, v31, v6
	v_min_u32_e32 v6, v31, v6
	v_cndmask_b32_e32 v0, v0, v8, vcc
	v_cndmask_b32_e32 v2, v10, v27, vcc
	;; [unrolled: 1-line block ×4, first 2 shown]
	v_cmp_gt_u32_e32 vcc, v28, v4
	v_cndmask_b32_e32 v9, v9, v28, vcc
	v_cndmask_b32_e32 v7, v7, v4, vcc
	v_cmp_gt_u32_e32 vcc, v34, v6
	v_max_u32_e32 v27, v28, v4
	v_min_u32_e32 v4, v28, v4
	v_cndmask_b32_e32 v3, v3, v34, vcc
	v_cndmask_b32_e32 v28, v30, v6, vcc
	v_cmp_gt_u32_e32 vcc, v31, v33
	v_max_u32_e32 v30, v34, v6
	v_min_u32_e32 v6, v34, v6
	v_cndmask_b32_e32 v5, v5, v32, vcc
	v_cndmask_b32_e32 v29, v29, v33, vcc
	;; [unrolled: 1-line block ×4, first 2 shown]
	v_cmp_gt_u32_e32 vcc, v8, v4
	v_cndmask_b32_e32 v7, v7, v8, vcc
	v_cndmask_b32_e32 v2, v2, v4, vcc
	v_cmp_gt_u32_e32 vcc, v27, v6
	v_max_u32_e32 v33, v8, v4
	v_min_u32_e32 v4, v8, v4
	v_cndmask_b32_e32 v8, v28, v27, vcc
	v_cndmask_b32_e32 v9, v9, v6, vcc
	v_cmp_gt_u32_e32 vcc, v30, v32
	v_max_u32_e32 v28, v27, v6
	v_min_u32_e32 v6, v27, v6
	;; [unrolled: 5-line block ×3, first 2 shown]
	v_cndmask_b32_e32 v0, v0, v4, vcc
	v_cndmask_b32_e32 v2, v2, v10, vcc
	v_cmp_gt_u32_e32 vcc, v33, v6
	v_cndmask_b32_e32 v9, v9, v33, vcc
	v_cndmask_b32_e32 v7, v7, v6, vcc
	v_cmp_gt_u32_e32 vcc, v28, v30
	v_min_u32_e32 v32, v10, v4
	v_max_u32_e32 v4, v10, v4
	v_max_u32_e32 v10, v33, v6
	v_min_u32_e32 v6, v33, v6
	v_cndmask_b32_e32 v3, v3, v28, vcc
	v_cndmask_b32_e32 v8, v8, v30, vcc
	v_cmp_gt_u32_e32 vcc, v29, v31
	v_max_u32_e32 v33, v28, v30
	v_min_u32_e32 v28, v28, v30
	v_cndmask_b32_e32 v5, v5, v29, vcc
	v_cndmask_b32_e32 v27, v27, v31, vcc
	v_cmp_gt_u32_e32 vcc, v4, v6
	;; [unrolled: 5-line block ×3, first 2 shown]
	v_cndmask_b32_e32 v34, v8, v10, vcc
	v_cndmask_b32_e32 v9, v9, v28, vcc
	v_cmp_gt_u32_e32 vcc, v33, v29
	v_max_u32_e32 v31, v4, v6
	v_min_u32_e32 v4, v4, v6
	v_max_u32_e32 v35, v10, v28
	v_min_u32_e32 v10, v10, v28
	v_cndmask_b32_e32 v27, v27, v33, vcc
	v_cndmask_b32_e32 v3, v3, v29, vcc
	v_cmp_lt_u32_e32 vcc, v6, v32
	v_max_u32_e32 v28, v33, v29
	v_min_u32_e32 v29, v33, v29
	v_cndmask_b32_e32 v0, v0, v4, vcc
	v_cndmask_b32_e32 v2, v2, v32, vcc
	;; [unrolled: 1-line block ×4, first 2 shown]
	v_cmp_gt_u32_e32 vcc, v31, v10
	v_cndmask_b32_e32 v6, v7, v10, vcc
	v_cndmask_b32_e32 v32, v9, v31, vcc
	v_cmp_gt_u32_e32 vcc, v35, v29
	v_max_u32_e32 v36, v31, v10
	v_min_u32_e32 v9, v31, v10
	v_cndmask_b32_e32 v31, v3, v35, vcc
	v_cndmask_b32_e32 v34, v34, v29, vcc
	v_cmp_gt_u32_e32 vcc, v33, v30
	v_min_u32_e32 v3, v35, v29
	v_cndmask_b32_e32 v7, v5, v28, vcc
	v_cndmask_b32_e32 v27, v27, v30, vcc
	;; [unrolled: 1-line block ×3, first 2 shown]
	v_cmp_gt_u32_e32 vcc, v4, v9
	v_max_u32_e32 v37, v35, v29
	v_cndmask_b32_e32 v9, v2, v9, vcc
	v_cndmask_b32_e32 v10, v6, v4, vcc
	v_cmp_gt_u32_e32 vcc, v36, v3
	v_cndmask_b32_e32 v3, v32, v3, vcc
	v_cndmask_b32_e32 v4, v34, v36, vcc
	v_cmp_gt_u32_e32 vcc, v37, v5
	v_cndmask_b32_e32 v5, v31, v5, vcc
	v_cndmask_b32_e32 v6, v27, v37, vcc
.LBB3156_4:
	s_or_b64 exec, exec, s[0:1]
	v_mbcnt_lo_u32_b32 v2, -1, 0
	v_mbcnt_hi_u32_b32 v2, -1, v2
	v_and_b32_e32 v1, 0xfffffe00, v1
	v_sub_u32_e64 v28, s2, v1 clamp
	v_lshlrev_b32_e32 v27, 2, v1
	v_lshlrev_b32_e32 v1, 5, v2
	v_add_u32_e32 v29, v27, v1
	ds_write_b96 v29, v[8:10]
	ds_write2_b32 v29, v3, v4 offset0:3 offset1:4
	ds_write2_b32 v29, v5, v6 offset0:5 offset1:6
	ds_write_b32 v29, v7 offset:28
	v_lshlrev_b32_e32 v8, 3, v2
	v_or_b32_e32 v1, 8, v8
	v_min_u32_e32 v1, v28, v1
	v_add_u32_e32 v2, 8, v1
	v_and_b32_e32 v32, 0x3f0, v8
	v_min_u32_e32 v2, v28, v2
	v_and_b32_e32 v30, 8, v8
	v_min_u32_e32 v33, v28, v30
	v_sub_u32_e32 v34, v1, v32
	v_sub_u32_e32 v31, v2, v1
	v_sub_u32_e64 v31, v33, v31 clamp
	v_min_u32_e32 v34, v33, v34
	v_lshl_add_u32 v30, v32, 2, v27
	v_cmp_lt_u32_e32 vcc, v31, v34
	; wave barrier
	s_and_saveexec_b64 s[0:1], vcc
	s_cbranch_execz .LBB3156_8
; %bb.5:
	v_lshlrev_b32_e32 v35, 2, v1
	v_lshlrev_b32_e32 v36, 2, v33
	v_add3_u32 v35, v27, v35, v36
	s_mov_b64 s[2:3], 0
.LBB3156_6:                             ; =>This Inner Loop Header: Depth=1
	v_add_u32_e32 v36, v34, v31
	v_lshrrev_b32_e32 v36, 1, v36
	v_not_b32_e32 v37, v36
	v_lshl_add_u32 v38, v36, 2, v30
	v_lshl_add_u32 v37, v37, 2, v35
	ds_read_b32 v38, v38
	ds_read_b32 v37, v37
	v_add_u32_e32 v39, 1, v36
	s_waitcnt lgkmcnt(0)
	v_cmp_gt_u32_e32 vcc, v38, v37
	v_cndmask_b32_e32 v34, v34, v36, vcc
	v_cndmask_b32_e32 v31, v39, v31, vcc
	v_cmp_ge_u32_e32 vcc, v31, v34
	s_or_b64 s[2:3], vcc, s[2:3]
	s_andn2_b64 exec, exec, s[2:3]
	s_cbranch_execnz .LBB3156_6
; %bb.7:
	s_or_b64 exec, exec, s[2:3]
.LBB3156_8:
	s_or_b64 exec, exec, s[0:1]
	v_add_u32_e32 v33, v1, v33
	v_add_u32_e32 v32, v31, v32
	v_sub_u32_e32 v33, v33, v31
	v_cmp_le_u32_e32 vcc, v32, v1
	v_cmp_le_u32_e64 s[0:1], v33, v2
	s_or_b64 s[0:1], vcc, s[0:1]
	s_and_saveexec_b64 s[24:25], s[0:1]
	s_cbranch_execz .LBB3156_14
; %bb.9:
	v_cmp_lt_u32_e32 vcc, v32, v1
                                        ; implicit-def: $vgpr0
	s_and_saveexec_b64 s[0:1], vcc
	s_cbranch_execz .LBB3156_11
; %bb.10:
	v_lshl_add_u32 v0, v31, 2, v30
	ds_read_b32 v0, v0
.LBB3156_11:
	s_or_b64 exec, exec, s[0:1]
	v_cmp_ge_u32_e64 s[0:1], v33, v2
	v_cmp_lt_u32_e64 s[2:3], v33, v2
                                        ; implicit-def: $vgpr3
	s_and_saveexec_b64 s[4:5], s[2:3]
	s_cbranch_execz .LBB3156_13
; %bb.12:
	v_lshl_add_u32 v3, v33, 2, v27
	ds_read_b32 v3, v3
.LBB3156_13:
	s_or_b64 exec, exec, s[4:5]
	s_waitcnt lgkmcnt(0)
	v_cmp_le_u32_e64 s[2:3], v0, v3
	s_and_b64 s[2:3], vcc, s[2:3]
	s_or_b64 vcc, s[0:1], s[2:3]
	v_cndmask_b32_e32 v4, v33, v32, vcc
	v_cndmask_b32_e32 v5, v2, v1, vcc
	v_add_u32_e32 v4, 1, v4
	v_add_u32_e32 v5, -1, v5
	v_min_u32_e32 v5, v4, v5
	v_lshl_add_u32 v5, v5, 2, v27
	ds_read_b32 v5, v5
	v_cndmask_b32_e32 v6, v4, v33, vcc
	v_cndmask_b32_e32 v4, v32, v4, vcc
	v_cmp_lt_u32_e64 s[2:3], v4, v1
	v_cmp_ge_u32_e64 s[0:1], v6, v2
	s_waitcnt lgkmcnt(0)
	v_cndmask_b32_e32 v7, v5, v3, vcc
	v_cndmask_b32_e32 v5, v0, v5, vcc
	v_cmp_le_u32_e64 s[4:5], v5, v7
	s_and_b64 s[2:3], s[2:3], s[4:5]
	s_or_b64 s[0:1], s[0:1], s[2:3]
	v_cndmask_b32_e64 v9, v6, v4, s[0:1]
	v_cndmask_b32_e64 v10, v2, v1, s[0:1]
	v_add_u32_e32 v9, 1, v9
	v_add_u32_e32 v10, -1, v10
	v_min_u32_e32 v10, v9, v10
	v_lshl_add_u32 v10, v10, 2, v27
	ds_read_b32 v10, v10
	v_cndmask_b32_e64 v4, v4, v9, s[0:1]
	v_cndmask_b32_e64 v6, v9, v6, s[0:1]
	v_cmp_lt_u32_e64 s[4:5], v4, v1
	v_cmp_ge_u32_e64 s[2:3], v6, v2
	s_waitcnt lgkmcnt(0)
	v_cndmask_b32_e64 v30, v10, v7, s[0:1]
	v_cndmask_b32_e64 v10, v5, v10, s[0:1]
	v_cmp_le_u32_e64 s[8:9], v10, v30
	s_and_b64 s[4:5], s[4:5], s[8:9]
	s_or_b64 s[2:3], s[2:3], s[4:5]
	v_cndmask_b32_e64 v9, v6, v4, s[2:3]
	v_cndmask_b32_e64 v31, v2, v1, s[2:3]
	v_add_u32_e32 v9, 1, v9
	v_add_u32_e32 v31, -1, v31
	v_min_u32_e32 v31, v9, v31
	v_lshl_add_u32 v31, v31, 2, v27
	ds_read_b32 v31, v31
	v_cndmask_b32_e64 v4, v4, v9, s[2:3]
	v_cndmask_b32_e64 v6, v9, v6, s[2:3]
	v_cmp_lt_u32_e64 s[8:9], v4, v1
	v_cmp_ge_u32_e64 s[4:5], v6, v2
	s_waitcnt lgkmcnt(0)
	v_cndmask_b32_e64 v32, v31, v30, s[2:3]
	v_cndmask_b32_e64 v31, v10, v31, s[2:3]
	;; [unrolled: 17-line block ×4, first 2 shown]
	v_cmp_le_u32_e64 s[14:15], v35, v36
	s_and_b64 s[12:13], s[12:13], s[14:15]
	s_or_b64 s[10:11], s[10:11], s[12:13]
	v_cndmask_b32_e64 v9, v6, v4, s[10:11]
	v_cndmask_b32_e64 v37, v2, v1, s[10:11]
	v_add_u32_e32 v38, 1, v9
	v_add_u32_e32 v9, -1, v37
	v_min_u32_e32 v9, v38, v9
	v_lshl_add_u32 v9, v9, 2, v27
	ds_read_b32 v37, v9
	v_cndmask_b32_e64 v9, v7, v5, s[0:1]
	v_cndmask_b32_e64 v10, v30, v10, s[2:3]
	v_cndmask_b32_e32 v0, v3, v0, vcc
	v_cndmask_b32_e64 v5, v36, v35, s[10:11]
	s_waitcnt lgkmcnt(0)
	v_cndmask_b32_e64 v7, v37, v36, s[10:11]
	v_cndmask_b32_e64 v30, v35, v37, s[10:11]
	;; [unrolled: 1-line block ×4, first 2 shown]
	v_cmp_lt_u32_e64 s[0:1], v38, v1
	v_cmp_le_u32_e64 s[2:3], v30, v7
	v_cmp_ge_u32_e32 vcc, v37, v2
	s_and_b64 s[0:1], s[0:1], s[2:3]
	s_or_b64 vcc, vcc, s[0:1]
	v_cndmask_b32_e32 v3, v37, v38, vcc
	v_cndmask_b32_e32 v4, v2, v1, vcc
	v_add_u32_e32 v39, 1, v3
	v_add_u32_e32 v3, -1, v4
	v_min_u32_e32 v3, v39, v3
	v_lshl_add_u32 v3, v3, 2, v27
	ds_read_b32 v40, v3
	v_cndmask_b32_e64 v3, v32, v31, s[4:5]
	v_cndmask_b32_e32 v6, v7, v30, vcc
	v_cndmask_b32_e32 v32, v38, v39, vcc
	v_cndmask_b32_e64 v4, v34, v33, s[8:9]
	s_waitcnt lgkmcnt(0)
	v_cndmask_b32_e32 v30, v30, v40, vcc
	v_cndmask_b32_e32 v7, v40, v7, vcc
	;; [unrolled: 1-line block ×3, first 2 shown]
	v_min_u32_e32 v33, v30, v7
	v_cmp_lt_u32_e32 vcc, v32, v1
	v_cndmask_b32_e32 v1, v7, v33, vcc
	v_cmp_lt_u32_e32 vcc, v31, v2
	v_cndmask_b32_e32 v7, v30, v1, vcc
.LBB3156_14:
	s_or_b64 exec, exec, s[24:25]
	v_mov_b32_e32 v1, v9
	v_mov_b32_e32 v2, v10
	v_and_b32_e32 v32, 0x3e0, v8
	; wave barrier
	ds_write_b128 v29, v[0:3]
	ds_write_b128 v29, v[4:7] offset:16
	v_or_b32_e32 v1, 16, v32
	v_min_u32_e32 v1, v28, v1
	v_add_u32_e32 v2, 16, v1
	v_min_u32_e32 v2, v28, v2
	v_and_b32_e32 v30, 24, v8
	v_min_u32_e32 v33, v28, v30
	v_sub_u32_e32 v34, v1, v32
	v_sub_u32_e32 v31, v2, v1
	v_sub_u32_e64 v31, v33, v31 clamp
	v_min_u32_e32 v34, v33, v34
	v_lshl_add_u32 v30, v32, 2, v27
	v_cmp_lt_u32_e32 vcc, v31, v34
	; wave barrier
	s_and_saveexec_b64 s[0:1], vcc
	s_cbranch_execz .LBB3156_18
; %bb.15:
	v_lshlrev_b32_e32 v35, 2, v1
	v_lshlrev_b32_e32 v36, 2, v33
	v_add3_u32 v35, v27, v35, v36
	s_mov_b64 s[2:3], 0
.LBB3156_16:                            ; =>This Inner Loop Header: Depth=1
	v_add_u32_e32 v36, v34, v31
	v_lshrrev_b32_e32 v36, 1, v36
	v_not_b32_e32 v37, v36
	v_lshl_add_u32 v38, v36, 2, v30
	v_lshl_add_u32 v37, v37, 2, v35
	ds_read_b32 v38, v38
	ds_read_b32 v37, v37
	v_add_u32_e32 v39, 1, v36
	s_waitcnt lgkmcnt(0)
	v_cmp_gt_u32_e32 vcc, v38, v37
	v_cndmask_b32_e32 v34, v34, v36, vcc
	v_cndmask_b32_e32 v31, v39, v31, vcc
	v_cmp_ge_u32_e32 vcc, v31, v34
	s_or_b64 s[2:3], vcc, s[2:3]
	s_andn2_b64 exec, exec, s[2:3]
	s_cbranch_execnz .LBB3156_16
; %bb.17:
	s_or_b64 exec, exec, s[2:3]
.LBB3156_18:
	s_or_b64 exec, exec, s[0:1]
	v_add_u32_e32 v33, v1, v33
	v_add_u32_e32 v32, v31, v32
	v_sub_u32_e32 v33, v33, v31
	v_cmp_le_u32_e32 vcc, v32, v1
	v_cmp_le_u32_e64 s[0:1], v33, v2
	s_or_b64 s[0:1], vcc, s[0:1]
	s_and_saveexec_b64 s[24:25], s[0:1]
	s_cbranch_execz .LBB3156_24
; %bb.19:
	v_cmp_lt_u32_e32 vcc, v32, v1
                                        ; implicit-def: $vgpr0
	s_and_saveexec_b64 s[0:1], vcc
	s_cbranch_execz .LBB3156_21
; %bb.20:
	v_lshl_add_u32 v0, v31, 2, v30
	ds_read_b32 v0, v0
.LBB3156_21:
	s_or_b64 exec, exec, s[0:1]
	v_cmp_ge_u32_e64 s[0:1], v33, v2
	v_cmp_lt_u32_e64 s[2:3], v33, v2
                                        ; implicit-def: $vgpr3
	s_and_saveexec_b64 s[4:5], s[2:3]
	s_cbranch_execz .LBB3156_23
; %bb.22:
	v_lshl_add_u32 v3, v33, 2, v27
	ds_read_b32 v3, v3
.LBB3156_23:
	s_or_b64 exec, exec, s[4:5]
	s_waitcnt lgkmcnt(0)
	v_cmp_le_u32_e64 s[2:3], v0, v3
	s_and_b64 s[2:3], vcc, s[2:3]
	s_or_b64 vcc, s[0:1], s[2:3]
	v_cndmask_b32_e32 v4, v33, v32, vcc
	v_cndmask_b32_e32 v5, v2, v1, vcc
	v_add_u32_e32 v4, 1, v4
	v_add_u32_e32 v5, -1, v5
	v_min_u32_e32 v5, v4, v5
	v_lshl_add_u32 v5, v5, 2, v27
	ds_read_b32 v5, v5
	v_cndmask_b32_e32 v6, v4, v33, vcc
	v_cndmask_b32_e32 v4, v32, v4, vcc
	v_cmp_lt_u32_e64 s[2:3], v4, v1
	v_cmp_ge_u32_e64 s[0:1], v6, v2
	s_waitcnt lgkmcnt(0)
	v_cndmask_b32_e32 v7, v5, v3, vcc
	v_cndmask_b32_e32 v5, v0, v5, vcc
	v_cmp_le_u32_e64 s[4:5], v5, v7
	s_and_b64 s[2:3], s[2:3], s[4:5]
	s_or_b64 s[0:1], s[0:1], s[2:3]
	v_cndmask_b32_e64 v9, v6, v4, s[0:1]
	v_cndmask_b32_e64 v10, v2, v1, s[0:1]
	v_add_u32_e32 v9, 1, v9
	v_add_u32_e32 v10, -1, v10
	v_min_u32_e32 v10, v9, v10
	v_lshl_add_u32 v10, v10, 2, v27
	ds_read_b32 v10, v10
	v_cndmask_b32_e64 v4, v4, v9, s[0:1]
	v_cndmask_b32_e64 v6, v9, v6, s[0:1]
	v_cmp_lt_u32_e64 s[4:5], v4, v1
	v_cmp_ge_u32_e64 s[2:3], v6, v2
	s_waitcnt lgkmcnt(0)
	v_cndmask_b32_e64 v30, v10, v7, s[0:1]
	v_cndmask_b32_e64 v10, v5, v10, s[0:1]
	v_cmp_le_u32_e64 s[8:9], v10, v30
	s_and_b64 s[4:5], s[4:5], s[8:9]
	s_or_b64 s[2:3], s[2:3], s[4:5]
	v_cndmask_b32_e64 v9, v6, v4, s[2:3]
	v_cndmask_b32_e64 v31, v2, v1, s[2:3]
	v_add_u32_e32 v9, 1, v9
	v_add_u32_e32 v31, -1, v31
	v_min_u32_e32 v31, v9, v31
	v_lshl_add_u32 v31, v31, 2, v27
	ds_read_b32 v31, v31
	v_cndmask_b32_e64 v4, v4, v9, s[2:3]
	v_cndmask_b32_e64 v6, v9, v6, s[2:3]
	v_cmp_lt_u32_e64 s[8:9], v4, v1
	v_cmp_ge_u32_e64 s[4:5], v6, v2
	s_waitcnt lgkmcnt(0)
	v_cndmask_b32_e64 v32, v31, v30, s[2:3]
	v_cndmask_b32_e64 v31, v10, v31, s[2:3]
	v_cmp_le_u32_e64 s[10:11], v31, v32
	s_and_b64 s[8:9], s[8:9], s[10:11]
	s_or_b64 s[4:5], s[4:5], s[8:9]
	v_cndmask_b32_e64 v9, v6, v4, s[4:5]
	v_cndmask_b32_e64 v33, v2, v1, s[4:5]
	v_add_u32_e32 v9, 1, v9
	v_add_u32_e32 v33, -1, v33
	v_min_u32_e32 v33, v9, v33
	v_lshl_add_u32 v33, v33, 2, v27
	ds_read_b32 v33, v33
	v_cndmask_b32_e64 v4, v4, v9, s[4:5]
	v_cndmask_b32_e64 v6, v9, v6, s[4:5]
	v_cmp_lt_u32_e64 s[10:11], v4, v1
	v_cmp_ge_u32_e64 s[8:9], v6, v2
	s_waitcnt lgkmcnt(0)
	v_cndmask_b32_e64 v34, v33, v32, s[4:5]
	v_cndmask_b32_e64 v33, v31, v33, s[4:5]
	v_cmp_le_u32_e64 s[12:13], v33, v34
	s_and_b64 s[10:11], s[10:11], s[12:13]
	s_or_b64 s[8:9], s[8:9], s[10:11]
	v_cndmask_b32_e64 v9, v6, v4, s[8:9]
	v_cndmask_b32_e64 v35, v2, v1, s[8:9]
	v_add_u32_e32 v9, 1, v9
	v_add_u32_e32 v35, -1, v35
	v_min_u32_e32 v35, v9, v35
	v_lshl_add_u32 v35, v35, 2, v27
	ds_read_b32 v35, v35
	v_cndmask_b32_e64 v4, v4, v9, s[8:9]
	v_cndmask_b32_e64 v6, v9, v6, s[8:9]
	v_cmp_lt_u32_e64 s[12:13], v4, v1
	v_cmp_ge_u32_e64 s[10:11], v6, v2
	s_waitcnt lgkmcnt(0)
	v_cndmask_b32_e64 v36, v35, v34, s[8:9]
	v_cndmask_b32_e64 v35, v33, v35, s[8:9]
	v_cmp_le_u32_e64 s[14:15], v35, v36
	s_and_b64 s[12:13], s[12:13], s[14:15]
	s_or_b64 s[10:11], s[10:11], s[12:13]
	v_cndmask_b32_e64 v9, v6, v4, s[10:11]
	v_cndmask_b32_e64 v37, v2, v1, s[10:11]
	v_add_u32_e32 v38, 1, v9
	v_add_u32_e32 v9, -1, v37
	v_min_u32_e32 v9, v38, v9
	v_lshl_add_u32 v9, v9, 2, v27
	ds_read_b32 v37, v9
	v_cndmask_b32_e64 v9, v7, v5, s[0:1]
	v_cndmask_b32_e64 v10, v30, v10, s[2:3]
	v_cndmask_b32_e32 v0, v3, v0, vcc
	v_cndmask_b32_e64 v5, v36, v35, s[10:11]
	s_waitcnt lgkmcnt(0)
	v_cndmask_b32_e64 v7, v37, v36, s[10:11]
	v_cndmask_b32_e64 v30, v35, v37, s[10:11]
	;; [unrolled: 1-line block ×4, first 2 shown]
	v_cmp_lt_u32_e64 s[0:1], v38, v1
	v_cmp_le_u32_e64 s[2:3], v30, v7
	v_cmp_ge_u32_e32 vcc, v37, v2
	s_and_b64 s[0:1], s[0:1], s[2:3]
	s_or_b64 vcc, vcc, s[0:1]
	v_cndmask_b32_e32 v3, v37, v38, vcc
	v_cndmask_b32_e32 v4, v2, v1, vcc
	v_add_u32_e32 v39, 1, v3
	v_add_u32_e32 v3, -1, v4
	v_min_u32_e32 v3, v39, v3
	v_lshl_add_u32 v3, v3, 2, v27
	ds_read_b32 v40, v3
	v_cndmask_b32_e64 v3, v32, v31, s[4:5]
	v_cndmask_b32_e32 v6, v7, v30, vcc
	v_cndmask_b32_e32 v32, v38, v39, vcc
	v_cndmask_b32_e64 v4, v34, v33, s[8:9]
	s_waitcnt lgkmcnt(0)
	v_cndmask_b32_e32 v30, v30, v40, vcc
	v_cndmask_b32_e32 v7, v40, v7, vcc
	;; [unrolled: 1-line block ×3, first 2 shown]
	v_min_u32_e32 v33, v30, v7
	v_cmp_lt_u32_e32 vcc, v32, v1
	v_cndmask_b32_e32 v1, v7, v33, vcc
	v_cmp_lt_u32_e32 vcc, v31, v2
	v_cndmask_b32_e32 v7, v30, v1, vcc
.LBB3156_24:
	s_or_b64 exec, exec, s[24:25]
	v_mov_b32_e32 v1, v9
	v_mov_b32_e32 v2, v10
	v_and_b32_e32 v32, 0x3c0, v8
	; wave barrier
	ds_write_b128 v29, v[0:3]
	ds_write_b128 v29, v[4:7] offset:16
	v_or_b32_e32 v1, 32, v32
	v_min_u32_e32 v1, v28, v1
	v_add_u32_e32 v2, 32, v1
	v_min_u32_e32 v2, v28, v2
	v_and_b32_e32 v30, 56, v8
	v_min_u32_e32 v33, v28, v30
	v_sub_u32_e32 v34, v1, v32
	v_sub_u32_e32 v31, v2, v1
	v_sub_u32_e64 v31, v33, v31 clamp
	v_min_u32_e32 v34, v33, v34
	v_lshl_add_u32 v30, v32, 2, v27
	v_cmp_lt_u32_e32 vcc, v31, v34
	; wave barrier
	s_and_saveexec_b64 s[0:1], vcc
	s_cbranch_execz .LBB3156_28
; %bb.25:
	v_lshlrev_b32_e32 v35, 2, v1
	v_lshlrev_b32_e32 v36, 2, v33
	v_add3_u32 v35, v27, v35, v36
	s_mov_b64 s[2:3], 0
.LBB3156_26:                            ; =>This Inner Loop Header: Depth=1
	v_add_u32_e32 v36, v34, v31
	v_lshrrev_b32_e32 v36, 1, v36
	v_not_b32_e32 v37, v36
	v_lshl_add_u32 v38, v36, 2, v30
	v_lshl_add_u32 v37, v37, 2, v35
	ds_read_b32 v38, v38
	ds_read_b32 v37, v37
	v_add_u32_e32 v39, 1, v36
	s_waitcnt lgkmcnt(0)
	v_cmp_gt_u32_e32 vcc, v38, v37
	v_cndmask_b32_e32 v34, v34, v36, vcc
	v_cndmask_b32_e32 v31, v39, v31, vcc
	v_cmp_ge_u32_e32 vcc, v31, v34
	s_or_b64 s[2:3], vcc, s[2:3]
	s_andn2_b64 exec, exec, s[2:3]
	s_cbranch_execnz .LBB3156_26
; %bb.27:
	s_or_b64 exec, exec, s[2:3]
.LBB3156_28:
	s_or_b64 exec, exec, s[0:1]
	v_add_u32_e32 v33, v1, v33
	v_add_u32_e32 v32, v31, v32
	v_sub_u32_e32 v33, v33, v31
	v_cmp_le_u32_e32 vcc, v32, v1
	v_cmp_le_u32_e64 s[0:1], v33, v2
	s_or_b64 s[0:1], vcc, s[0:1]
	s_and_saveexec_b64 s[24:25], s[0:1]
	s_cbranch_execz .LBB3156_34
; %bb.29:
	v_cmp_lt_u32_e32 vcc, v32, v1
                                        ; implicit-def: $vgpr0
	s_and_saveexec_b64 s[0:1], vcc
	s_cbranch_execz .LBB3156_31
; %bb.30:
	v_lshl_add_u32 v0, v31, 2, v30
	ds_read_b32 v0, v0
.LBB3156_31:
	s_or_b64 exec, exec, s[0:1]
	v_cmp_ge_u32_e64 s[0:1], v33, v2
	v_cmp_lt_u32_e64 s[2:3], v33, v2
                                        ; implicit-def: $vgpr3
	s_and_saveexec_b64 s[4:5], s[2:3]
	s_cbranch_execz .LBB3156_33
; %bb.32:
	v_lshl_add_u32 v3, v33, 2, v27
	ds_read_b32 v3, v3
.LBB3156_33:
	s_or_b64 exec, exec, s[4:5]
	s_waitcnt lgkmcnt(0)
	v_cmp_le_u32_e64 s[2:3], v0, v3
	s_and_b64 s[2:3], vcc, s[2:3]
	s_or_b64 vcc, s[0:1], s[2:3]
	v_cndmask_b32_e32 v4, v33, v32, vcc
	v_cndmask_b32_e32 v5, v2, v1, vcc
	v_add_u32_e32 v4, 1, v4
	v_add_u32_e32 v5, -1, v5
	v_min_u32_e32 v5, v4, v5
	v_lshl_add_u32 v5, v5, 2, v27
	ds_read_b32 v5, v5
	v_cndmask_b32_e32 v6, v4, v33, vcc
	v_cndmask_b32_e32 v4, v32, v4, vcc
	v_cmp_lt_u32_e64 s[2:3], v4, v1
	v_cmp_ge_u32_e64 s[0:1], v6, v2
	s_waitcnt lgkmcnt(0)
	v_cndmask_b32_e32 v7, v5, v3, vcc
	v_cndmask_b32_e32 v5, v0, v5, vcc
	v_cmp_le_u32_e64 s[4:5], v5, v7
	s_and_b64 s[2:3], s[2:3], s[4:5]
	s_or_b64 s[0:1], s[0:1], s[2:3]
	v_cndmask_b32_e64 v9, v6, v4, s[0:1]
	v_cndmask_b32_e64 v10, v2, v1, s[0:1]
	v_add_u32_e32 v9, 1, v9
	v_add_u32_e32 v10, -1, v10
	v_min_u32_e32 v10, v9, v10
	v_lshl_add_u32 v10, v10, 2, v27
	ds_read_b32 v10, v10
	v_cndmask_b32_e64 v4, v4, v9, s[0:1]
	v_cndmask_b32_e64 v6, v9, v6, s[0:1]
	v_cmp_lt_u32_e64 s[4:5], v4, v1
	v_cmp_ge_u32_e64 s[2:3], v6, v2
	s_waitcnt lgkmcnt(0)
	v_cndmask_b32_e64 v30, v10, v7, s[0:1]
	v_cndmask_b32_e64 v10, v5, v10, s[0:1]
	v_cmp_le_u32_e64 s[8:9], v10, v30
	s_and_b64 s[4:5], s[4:5], s[8:9]
	s_or_b64 s[2:3], s[2:3], s[4:5]
	v_cndmask_b32_e64 v9, v6, v4, s[2:3]
	v_cndmask_b32_e64 v31, v2, v1, s[2:3]
	v_add_u32_e32 v9, 1, v9
	v_add_u32_e32 v31, -1, v31
	v_min_u32_e32 v31, v9, v31
	v_lshl_add_u32 v31, v31, 2, v27
	ds_read_b32 v31, v31
	v_cndmask_b32_e64 v4, v4, v9, s[2:3]
	v_cndmask_b32_e64 v6, v9, v6, s[2:3]
	v_cmp_lt_u32_e64 s[8:9], v4, v1
	v_cmp_ge_u32_e64 s[4:5], v6, v2
	s_waitcnt lgkmcnt(0)
	v_cndmask_b32_e64 v32, v31, v30, s[2:3]
	v_cndmask_b32_e64 v31, v10, v31, s[2:3]
	;; [unrolled: 17-line block ×4, first 2 shown]
	v_cmp_le_u32_e64 s[14:15], v35, v36
	s_and_b64 s[12:13], s[12:13], s[14:15]
	s_or_b64 s[10:11], s[10:11], s[12:13]
	v_cndmask_b32_e64 v9, v6, v4, s[10:11]
	v_cndmask_b32_e64 v37, v2, v1, s[10:11]
	v_add_u32_e32 v38, 1, v9
	v_add_u32_e32 v9, -1, v37
	v_min_u32_e32 v9, v38, v9
	v_lshl_add_u32 v9, v9, 2, v27
	ds_read_b32 v37, v9
	v_cndmask_b32_e64 v9, v7, v5, s[0:1]
	v_cndmask_b32_e64 v10, v30, v10, s[2:3]
	v_cndmask_b32_e32 v0, v3, v0, vcc
	v_cndmask_b32_e64 v5, v36, v35, s[10:11]
	s_waitcnt lgkmcnt(0)
	v_cndmask_b32_e64 v7, v37, v36, s[10:11]
	v_cndmask_b32_e64 v30, v35, v37, s[10:11]
	;; [unrolled: 1-line block ×4, first 2 shown]
	v_cmp_lt_u32_e64 s[0:1], v38, v1
	v_cmp_le_u32_e64 s[2:3], v30, v7
	v_cmp_ge_u32_e32 vcc, v37, v2
	s_and_b64 s[0:1], s[0:1], s[2:3]
	s_or_b64 vcc, vcc, s[0:1]
	v_cndmask_b32_e32 v3, v37, v38, vcc
	v_cndmask_b32_e32 v4, v2, v1, vcc
	v_add_u32_e32 v39, 1, v3
	v_add_u32_e32 v3, -1, v4
	v_min_u32_e32 v3, v39, v3
	v_lshl_add_u32 v3, v3, 2, v27
	ds_read_b32 v40, v3
	v_cndmask_b32_e64 v3, v32, v31, s[4:5]
	v_cndmask_b32_e32 v6, v7, v30, vcc
	v_cndmask_b32_e32 v32, v38, v39, vcc
	v_cndmask_b32_e64 v4, v34, v33, s[8:9]
	s_waitcnt lgkmcnt(0)
	v_cndmask_b32_e32 v30, v30, v40, vcc
	v_cndmask_b32_e32 v7, v40, v7, vcc
	;; [unrolled: 1-line block ×3, first 2 shown]
	v_min_u32_e32 v33, v30, v7
	v_cmp_lt_u32_e32 vcc, v32, v1
	v_cndmask_b32_e32 v1, v7, v33, vcc
	v_cmp_lt_u32_e32 vcc, v31, v2
	v_cndmask_b32_e32 v7, v30, v1, vcc
.LBB3156_34:
	s_or_b64 exec, exec, s[24:25]
	v_mov_b32_e32 v1, v9
	v_mov_b32_e32 v2, v10
	; wave barrier
	ds_write_b128 v29, v[0:3]
	ds_write_b128 v29, v[4:7] offset:16
	v_and_b32_e32 v29, 0x380, v8
	v_or_b32_e32 v1, 64, v29
	v_min_u32_e32 v1, v28, v1
	v_add_u32_e32 v2, 64, v1
	v_min_u32_e32 v2, v28, v2
	v_and_b32_e32 v8, 0x78, v8
	v_min_u32_e32 v30, v28, v8
	v_sub_u32_e32 v31, v1, v29
	v_sub_u32_e32 v28, v2, v1
	v_sub_u32_e64 v28, v30, v28 clamp
	v_min_u32_e32 v31, v30, v31
	v_lshl_add_u32 v8, v29, 2, v27
	v_cmp_lt_u32_e32 vcc, v28, v31
	; wave barrier
	s_and_saveexec_b64 s[0:1], vcc
	s_cbranch_execz .LBB3156_38
; %bb.35:
	v_lshlrev_b32_e32 v32, 2, v1
	v_lshlrev_b32_e32 v33, 2, v30
	v_add3_u32 v32, v27, v32, v33
	s_mov_b64 s[2:3], 0
.LBB3156_36:                            ; =>This Inner Loop Header: Depth=1
	v_add_u32_e32 v33, v31, v28
	v_lshrrev_b32_e32 v33, 1, v33
	v_not_b32_e32 v34, v33
	v_lshl_add_u32 v35, v33, 2, v8
	v_lshl_add_u32 v34, v34, 2, v32
	ds_read_b32 v35, v35
	ds_read_b32 v34, v34
	v_add_u32_e32 v36, 1, v33
	s_waitcnt lgkmcnt(0)
	v_cmp_gt_u32_e32 vcc, v35, v34
	v_cndmask_b32_e32 v31, v31, v33, vcc
	v_cndmask_b32_e32 v28, v36, v28, vcc
	v_cmp_ge_u32_e32 vcc, v28, v31
	s_or_b64 s[2:3], vcc, s[2:3]
	s_andn2_b64 exec, exec, s[2:3]
	s_cbranch_execnz .LBB3156_36
; %bb.37:
	s_or_b64 exec, exec, s[2:3]
.LBB3156_38:
	s_or_b64 exec, exec, s[0:1]
	v_add_u32_e32 v30, v1, v30
	v_add_u32_e32 v29, v28, v29
	v_sub_u32_e32 v30, v30, v28
	v_cmp_le_u32_e32 vcc, v29, v1
	v_cmp_le_u32_e64 s[0:1], v30, v2
	s_or_b64 s[0:1], vcc, s[0:1]
	s_and_saveexec_b64 s[24:25], s[0:1]
	s_cbranch_execz .LBB3156_44
; %bb.39:
	v_cmp_lt_u32_e32 vcc, v29, v1
                                        ; implicit-def: $vgpr0
	s_and_saveexec_b64 s[0:1], vcc
	s_cbranch_execz .LBB3156_41
; %bb.40:
	v_lshl_add_u32 v0, v28, 2, v8
	ds_read_b32 v0, v0
.LBB3156_41:
	s_or_b64 exec, exec, s[0:1]
	v_cmp_ge_u32_e64 s[0:1], v30, v2
	v_cmp_lt_u32_e64 s[2:3], v30, v2
                                        ; implicit-def: $vgpr3
	s_and_saveexec_b64 s[4:5], s[2:3]
	s_cbranch_execz .LBB3156_43
; %bb.42:
	v_lshl_add_u32 v3, v30, 2, v27
	ds_read_b32 v3, v3
.LBB3156_43:
	s_or_b64 exec, exec, s[4:5]
	s_waitcnt lgkmcnt(0)
	v_cmp_le_u32_e64 s[2:3], v0, v3
	s_and_b64 s[2:3], vcc, s[2:3]
	s_or_b64 vcc, s[0:1], s[2:3]
	v_cndmask_b32_e32 v4, v30, v29, vcc
	v_cndmask_b32_e32 v5, v2, v1, vcc
	v_add_u32_e32 v4, 1, v4
	v_add_u32_e32 v5, -1, v5
	v_min_u32_e32 v5, v4, v5
	v_lshl_add_u32 v5, v5, 2, v27
	ds_read_b32 v5, v5
	v_cndmask_b32_e32 v6, v4, v30, vcc
	v_cndmask_b32_e32 v4, v29, v4, vcc
	v_cmp_lt_u32_e64 s[2:3], v4, v1
	v_cmp_ge_u32_e64 s[0:1], v6, v2
	s_waitcnt lgkmcnt(0)
	v_cndmask_b32_e32 v7, v5, v3, vcc
	v_cndmask_b32_e32 v5, v0, v5, vcc
	v_cmp_le_u32_e64 s[4:5], v5, v7
	s_and_b64 s[2:3], s[2:3], s[4:5]
	s_or_b64 s[0:1], s[0:1], s[2:3]
	v_cndmask_b32_e64 v8, v6, v4, s[0:1]
	v_cndmask_b32_e64 v9, v2, v1, s[0:1]
	v_add_u32_e32 v8, 1, v8
	v_add_u32_e32 v9, -1, v9
	v_min_u32_e32 v9, v8, v9
	v_lshl_add_u32 v9, v9, 2, v27
	ds_read_b32 v9, v9
	v_cndmask_b32_e64 v4, v4, v8, s[0:1]
	v_cndmask_b32_e64 v6, v8, v6, s[0:1]
	v_cmp_lt_u32_e64 s[4:5], v4, v1
	v_cmp_ge_u32_e64 s[2:3], v6, v2
	s_waitcnt lgkmcnt(0)
	v_cndmask_b32_e64 v10, v9, v7, s[0:1]
	v_cndmask_b32_e64 v28, v5, v9, s[0:1]
	v_cmp_le_u32_e64 s[8:9], v28, v10
	s_and_b64 s[4:5], s[4:5], s[8:9]
	s_or_b64 s[2:3], s[2:3], s[4:5]
	v_cndmask_b32_e64 v8, v6, v4, s[2:3]
	v_cndmask_b32_e64 v9, v2, v1, s[2:3]
	v_add_u32_e32 v8, 1, v8
	v_add_u32_e32 v9, -1, v9
	v_min_u32_e32 v9, v8, v9
	v_lshl_add_u32 v9, v9, 2, v27
	ds_read_b32 v9, v9
	v_cndmask_b32_e64 v4, v4, v8, s[2:3]
	v_cndmask_b32_e64 v6, v8, v6, s[2:3]
	v_cmp_lt_u32_e64 s[8:9], v4, v1
	v_cmp_ge_u32_e64 s[4:5], v6, v2
	s_waitcnt lgkmcnt(0)
	v_cndmask_b32_e64 v29, v9, v10, s[2:3]
	v_cndmask_b32_e64 v30, v28, v9, s[2:3]
	;; [unrolled: 17-line block ×4, first 2 shown]
	v_cmp_le_u32_e64 s[14:15], v34, v33
	s_and_b64 s[12:13], s[12:13], s[14:15]
	s_or_b64 s[10:11], s[10:11], s[12:13]
	v_cndmask_b32_e64 v8, v6, v4, s[10:11]
	v_cndmask_b32_e64 v9, v2, v1, s[10:11]
	v_add_u32_e32 v8, 1, v8
	v_add_u32_e32 v9, -1, v9
	v_min_u32_e32 v9, v8, v9
	v_lshl_add_u32 v9, v9, 2, v27
	ds_read_b32 v35, v9
	v_cndmask_b32_e64 v9, v7, v5, s[0:1]
	v_cndmask_b32_e64 v10, v10, v28, s[2:3]
	v_cndmask_b32_e32 v0, v3, v0, vcc
	v_cndmask_b32_e64 v5, v33, v34, s[10:11]
	s_waitcnt lgkmcnt(0)
	v_cndmask_b32_e64 v7, v35, v33, s[10:11]
	v_cndmask_b32_e64 v28, v34, v35, s[10:11]
	;; [unrolled: 1-line block ×4, first 2 shown]
	v_cmp_lt_u32_e64 s[0:1], v8, v1
	v_cmp_le_u32_e64 s[2:3], v28, v7
	v_cmp_ge_u32_e32 vcc, v35, v2
	s_and_b64 s[0:1], s[0:1], s[2:3]
	s_or_b64 vcc, vcc, s[0:1]
	v_cndmask_b32_e32 v3, v35, v8, vcc
	v_cndmask_b32_e32 v4, v2, v1, vcc
	v_add_u32_e32 v36, 1, v3
	v_add_u32_e32 v3, -1, v4
	v_min_u32_e32 v3, v36, v3
	v_lshl_add_u32 v3, v3, 2, v27
	ds_read_b32 v27, v3
	v_cndmask_b32_e32 v6, v7, v28, vcc
	v_cndmask_b32_e32 v8, v8, v36, vcc
	v_cndmask_b32_e64 v3, v29, v30, s[4:5]
	v_cndmask_b32_e32 v29, v36, v35, vcc
	s_waitcnt lgkmcnt(0)
	v_cndmask_b32_e32 v28, v28, v27, vcc
	v_cndmask_b32_e32 v7, v27, v7, vcc
	v_min_u32_e32 v27, v28, v7
	v_cmp_lt_u32_e32 vcc, v8, v1
	v_cndmask_b32_e32 v1, v7, v27, vcc
	v_cmp_lt_u32_e32 vcc, v29, v2
	v_cndmask_b32_e64 v4, v31, v32, s[8:9]
	v_cndmask_b32_e32 v7, v28, v1, vcc
.LBB3156_44:
	s_or_b64 exec, exec, s[24:25]
	v_lshlrev_b32_e32 v8, 5, v12
	v_mov_b32_e32 v1, v9
	v_mov_b32_e32 v2, v10
	v_and_b32_e32 v29, 0x1f00, v15
	; wave barrier
	s_waitcnt lgkmcnt(0)
	s_barrier
	ds_write_b128 v8, v[0:3]
	ds_write_b128 v8, v[4:7] offset:16
	v_or_b32_e32 v2, 0x80, v29
	v_min_u32_e32 v1, 0x800, v2
	v_min_u32_e32 v2, 0x780, v2
	v_add_u32_e32 v2, 0x80, v2
	v_and_b32_e32 v30, 0xf8, v15
	v_sub_u32_e32 v31, v1, v29
	v_sub_u32_e32 v28, v2, v1
	v_sub_u32_e64 v28, v30, v28 clamp
	v_min_u32_e32 v31, v30, v31
	v_lshlrev_b32_e32 v27, 2, v29
	v_cmp_lt_u32_e32 vcc, v28, v31
	s_waitcnt lgkmcnt(0)
	s_barrier
	s_and_saveexec_b64 s[0:1], vcc
	s_cbranch_execz .LBB3156_48
; %bb.45:
	v_lshlrev_b32_e32 v32, 2, v30
	v_lshl_add_u32 v32, v1, 2, v32
	s_mov_b64 s[2:3], 0
.LBB3156_46:                            ; =>This Inner Loop Header: Depth=1
	v_add_u32_e32 v33, v31, v28
	v_lshrrev_b32_e32 v33, 1, v33
	v_not_b32_e32 v34, v33
	v_lshl_add_u32 v35, v33, 2, v27
	v_lshl_add_u32 v34, v34, 2, v32
	ds_read_b32 v35, v35
	ds_read_b32 v34, v34
	v_add_u32_e32 v36, 1, v33
	s_waitcnt lgkmcnt(0)
	v_cmp_gt_u32_e32 vcc, v35, v34
	v_cndmask_b32_e32 v31, v31, v33, vcc
	v_cndmask_b32_e32 v28, v36, v28, vcc
	v_cmp_ge_u32_e32 vcc, v28, v31
	s_or_b64 s[2:3], vcc, s[2:3]
	s_andn2_b64 exec, exec, s[2:3]
	s_cbranch_execnz .LBB3156_46
; %bb.47:
	s_or_b64 exec, exec, s[2:3]
.LBB3156_48:
	s_or_b64 exec, exec, s[0:1]
	v_sub_u32_e32 v30, v30, v28
	v_add_u32_e32 v29, v28, v29
	v_add_u32_e32 v30, v30, v1
	v_cmp_le_u32_e32 vcc, v29, v1
	v_cmp_le_u32_e64 s[0:1], v30, v2
	s_or_b64 s[0:1], vcc, s[0:1]
	s_and_saveexec_b64 s[24:25], s[0:1]
	s_cbranch_execz .LBB3156_54
; %bb.49:
	v_cmp_lt_u32_e32 vcc, v29, v1
                                        ; implicit-def: $vgpr0
	s_and_saveexec_b64 s[0:1], vcc
	s_cbranch_execz .LBB3156_51
; %bb.50:
	v_lshl_add_u32 v0, v28, 2, v27
	ds_read_b32 v0, v0
.LBB3156_51:
	s_or_b64 exec, exec, s[0:1]
	v_cmp_ge_u32_e64 s[0:1], v30, v2
	v_cmp_lt_u32_e64 s[2:3], v30, v2
                                        ; implicit-def: $vgpr3
	s_and_saveexec_b64 s[4:5], s[2:3]
	s_cbranch_execz .LBB3156_53
; %bb.52:
	v_lshlrev_b32_e32 v3, 2, v30
	ds_read_b32 v3, v3
.LBB3156_53:
	s_or_b64 exec, exec, s[4:5]
	s_waitcnt lgkmcnt(0)
	v_cmp_le_u32_e64 s[2:3], v0, v3
	s_and_b64 s[2:3], vcc, s[2:3]
	s_or_b64 vcc, s[0:1], s[2:3]
	v_cndmask_b32_e32 v4, v30, v29, vcc
	v_cndmask_b32_e32 v5, v2, v1, vcc
	v_add_u32_e32 v4, 1, v4
	v_add_u32_e32 v5, -1, v5
	v_min_u32_e32 v5, v4, v5
	v_lshlrev_b32_e32 v5, 2, v5
	ds_read_b32 v5, v5
	v_cndmask_b32_e32 v6, v4, v30, vcc
	v_cndmask_b32_e32 v4, v29, v4, vcc
	v_cmp_lt_u32_e64 s[2:3], v4, v1
	v_cmp_ge_u32_e64 s[0:1], v6, v2
	s_waitcnt lgkmcnt(0)
	v_cndmask_b32_e32 v7, v5, v3, vcc
	v_cndmask_b32_e32 v5, v0, v5, vcc
	v_cmp_le_u32_e64 s[4:5], v5, v7
	s_and_b64 s[2:3], s[2:3], s[4:5]
	s_or_b64 s[0:1], s[0:1], s[2:3]
	v_cndmask_b32_e64 v9, v6, v4, s[0:1]
	v_cndmask_b32_e64 v10, v2, v1, s[0:1]
	v_add_u32_e32 v9, 1, v9
	v_add_u32_e32 v10, -1, v10
	v_min_u32_e32 v10, v9, v10
	v_lshlrev_b32_e32 v10, 2, v10
	ds_read_b32 v10, v10
	v_cndmask_b32_e64 v4, v4, v9, s[0:1]
	v_cndmask_b32_e64 v6, v9, v6, s[0:1]
	v_cmp_lt_u32_e64 s[4:5], v4, v1
	v_cmp_ge_u32_e64 s[2:3], v6, v2
	s_waitcnt lgkmcnt(0)
	v_cndmask_b32_e64 v27, v10, v7, s[0:1]
	v_cndmask_b32_e64 v10, v5, v10, s[0:1]
	v_cmp_le_u32_e64 s[8:9], v10, v27
	s_and_b64 s[4:5], s[4:5], s[8:9]
	s_or_b64 s[2:3], s[2:3], s[4:5]
	v_cndmask_b32_e64 v9, v6, v4, s[2:3]
	v_cndmask_b32_e64 v28, v2, v1, s[2:3]
	v_add_u32_e32 v9, 1, v9
	v_add_u32_e32 v28, -1, v28
	v_min_u32_e32 v28, v9, v28
	v_lshlrev_b32_e32 v28, 2, v28
	ds_read_b32 v28, v28
	v_cndmask_b32_e64 v4, v4, v9, s[2:3]
	v_cndmask_b32_e64 v6, v9, v6, s[2:3]
	v_cmp_lt_u32_e64 s[8:9], v4, v1
	v_cmp_ge_u32_e64 s[4:5], v6, v2
	s_waitcnt lgkmcnt(0)
	v_cndmask_b32_e64 v29, v28, v27, s[2:3]
	v_cndmask_b32_e64 v28, v10, v28, s[2:3]
	;; [unrolled: 17-line block ×4, first 2 shown]
	v_cmp_le_u32_e64 s[14:15], v32, v33
	s_and_b64 s[12:13], s[12:13], s[14:15]
	s_or_b64 s[10:11], s[10:11], s[12:13]
	v_cndmask_b32_e64 v9, v6, v4, s[10:11]
	v_cndmask_b32_e64 v34, v2, v1, s[10:11]
	v_add_u32_e32 v35, 1, v9
	v_add_u32_e32 v9, -1, v34
	v_min_u32_e32 v9, v35, v9
	v_lshlrev_b32_e32 v9, 2, v9
	ds_read_b32 v34, v9
	v_cndmask_b32_e64 v9, v7, v5, s[0:1]
	v_cndmask_b32_e64 v10, v27, v10, s[2:3]
	v_cndmask_b32_e32 v0, v3, v0, vcc
	v_cndmask_b32_e64 v5, v33, v32, s[10:11]
	s_waitcnt lgkmcnt(0)
	v_cndmask_b32_e64 v7, v34, v33, s[10:11]
	v_cndmask_b32_e64 v27, v32, v34, s[10:11]
	;; [unrolled: 1-line block ×4, first 2 shown]
	v_cmp_lt_u32_e64 s[0:1], v35, v1
	v_cmp_le_u32_e64 s[2:3], v27, v7
	v_cmp_ge_u32_e32 vcc, v34, v2
	s_and_b64 s[0:1], s[0:1], s[2:3]
	s_or_b64 vcc, vcc, s[0:1]
	v_cndmask_b32_e32 v3, v34, v35, vcc
	v_cndmask_b32_e32 v4, v2, v1, vcc
	v_add_u32_e32 v36, 1, v3
	v_add_u32_e32 v3, -1, v4
	v_min_u32_e32 v3, v36, v3
	v_lshlrev_b32_e32 v3, 2, v3
	ds_read_b32 v37, v3
	v_cndmask_b32_e64 v3, v29, v28, s[4:5]
	v_cndmask_b32_e32 v6, v7, v27, vcc
	v_cndmask_b32_e32 v29, v35, v36, vcc
	v_cndmask_b32_e64 v4, v31, v30, s[8:9]
	s_waitcnt lgkmcnt(0)
	v_cndmask_b32_e32 v27, v27, v37, vcc
	v_cndmask_b32_e32 v7, v37, v7, vcc
	;; [unrolled: 1-line block ×3, first 2 shown]
	v_min_u32_e32 v30, v27, v7
	v_cmp_lt_u32_e32 vcc, v29, v1
	v_cndmask_b32_e32 v1, v7, v30, vcc
	v_cmp_lt_u32_e32 vcc, v28, v2
	v_cndmask_b32_e32 v7, v27, v1, vcc
.LBB3156_54:
	s_or_b64 exec, exec, s[24:25]
	v_mov_b32_e32 v1, v9
	v_mov_b32_e32 v2, v10
	v_and_b32_e32 v29, 0x1e00, v15
	s_barrier
	ds_write_b128 v8, v[0:3]
	ds_write_b128 v8, v[4:7] offset:16
	v_or_b32_e32 v2, 0x100, v29
	v_min_u32_e32 v1, 0x800, v2
	v_min_u32_e32 v2, 0x700, v2
	v_add_u32_e32 v2, 0x100, v2
	v_and_b32_e32 v30, 0x1f8, v15
	v_sub_u32_e32 v31, v1, v29
	v_sub_u32_e32 v28, v2, v1
	v_sub_u32_e64 v28, v30, v28 clamp
	v_min_u32_e32 v31, v30, v31
	v_lshlrev_b32_e32 v27, 2, v29
	v_cmp_lt_u32_e32 vcc, v28, v31
	s_waitcnt lgkmcnt(0)
	s_barrier
	s_and_saveexec_b64 s[0:1], vcc
	s_cbranch_execz .LBB3156_58
; %bb.55:
	v_lshlrev_b32_e32 v32, 2, v30
	v_lshl_add_u32 v32, v1, 2, v32
	s_mov_b64 s[2:3], 0
.LBB3156_56:                            ; =>This Inner Loop Header: Depth=1
	v_add_u32_e32 v33, v31, v28
	v_lshrrev_b32_e32 v33, 1, v33
	v_not_b32_e32 v34, v33
	v_lshl_add_u32 v35, v33, 2, v27
	v_lshl_add_u32 v34, v34, 2, v32
	ds_read_b32 v35, v35
	ds_read_b32 v34, v34
	v_add_u32_e32 v36, 1, v33
	s_waitcnt lgkmcnt(0)
	v_cmp_gt_u32_e32 vcc, v35, v34
	v_cndmask_b32_e32 v31, v31, v33, vcc
	v_cndmask_b32_e32 v28, v36, v28, vcc
	v_cmp_ge_u32_e32 vcc, v28, v31
	s_or_b64 s[2:3], vcc, s[2:3]
	s_andn2_b64 exec, exec, s[2:3]
	s_cbranch_execnz .LBB3156_56
; %bb.57:
	s_or_b64 exec, exec, s[2:3]
.LBB3156_58:
	s_or_b64 exec, exec, s[0:1]
	v_sub_u32_e32 v30, v30, v28
	v_add_u32_e32 v29, v28, v29
	v_add_u32_e32 v30, v30, v1
	v_cmp_le_u32_e32 vcc, v29, v1
	v_cmp_le_u32_e64 s[0:1], v30, v2
	s_or_b64 s[0:1], vcc, s[0:1]
	s_and_saveexec_b64 s[24:25], s[0:1]
	s_cbranch_execz .LBB3156_64
; %bb.59:
	v_cmp_lt_u32_e32 vcc, v29, v1
                                        ; implicit-def: $vgpr0
	s_and_saveexec_b64 s[0:1], vcc
	s_cbranch_execz .LBB3156_61
; %bb.60:
	v_lshl_add_u32 v0, v28, 2, v27
	ds_read_b32 v0, v0
.LBB3156_61:
	s_or_b64 exec, exec, s[0:1]
	v_cmp_ge_u32_e64 s[0:1], v30, v2
	v_cmp_lt_u32_e64 s[2:3], v30, v2
                                        ; implicit-def: $vgpr3
	s_and_saveexec_b64 s[4:5], s[2:3]
	s_cbranch_execz .LBB3156_63
; %bb.62:
	v_lshlrev_b32_e32 v3, 2, v30
	ds_read_b32 v3, v3
.LBB3156_63:
	s_or_b64 exec, exec, s[4:5]
	s_waitcnt lgkmcnt(0)
	v_cmp_le_u32_e64 s[2:3], v0, v3
	s_and_b64 s[2:3], vcc, s[2:3]
	s_or_b64 vcc, s[0:1], s[2:3]
	v_cndmask_b32_e32 v4, v30, v29, vcc
	v_cndmask_b32_e32 v5, v2, v1, vcc
	v_add_u32_e32 v4, 1, v4
	v_add_u32_e32 v5, -1, v5
	v_min_u32_e32 v5, v4, v5
	v_lshlrev_b32_e32 v5, 2, v5
	ds_read_b32 v5, v5
	v_cndmask_b32_e32 v6, v4, v30, vcc
	v_cndmask_b32_e32 v4, v29, v4, vcc
	v_cmp_lt_u32_e64 s[2:3], v4, v1
	v_cmp_ge_u32_e64 s[0:1], v6, v2
	s_waitcnt lgkmcnt(0)
	v_cndmask_b32_e32 v7, v5, v3, vcc
	v_cndmask_b32_e32 v5, v0, v5, vcc
	v_cmp_le_u32_e64 s[4:5], v5, v7
	s_and_b64 s[2:3], s[2:3], s[4:5]
	s_or_b64 s[0:1], s[0:1], s[2:3]
	v_cndmask_b32_e64 v9, v6, v4, s[0:1]
	v_cndmask_b32_e64 v10, v2, v1, s[0:1]
	v_add_u32_e32 v9, 1, v9
	v_add_u32_e32 v10, -1, v10
	v_min_u32_e32 v10, v9, v10
	v_lshlrev_b32_e32 v10, 2, v10
	ds_read_b32 v10, v10
	v_cndmask_b32_e64 v4, v4, v9, s[0:1]
	v_cndmask_b32_e64 v6, v9, v6, s[0:1]
	v_cmp_lt_u32_e64 s[4:5], v4, v1
	v_cmp_ge_u32_e64 s[2:3], v6, v2
	s_waitcnt lgkmcnt(0)
	v_cndmask_b32_e64 v27, v10, v7, s[0:1]
	v_cndmask_b32_e64 v10, v5, v10, s[0:1]
	v_cmp_le_u32_e64 s[8:9], v10, v27
	s_and_b64 s[4:5], s[4:5], s[8:9]
	s_or_b64 s[2:3], s[2:3], s[4:5]
	v_cndmask_b32_e64 v9, v6, v4, s[2:3]
	v_cndmask_b32_e64 v28, v2, v1, s[2:3]
	v_add_u32_e32 v9, 1, v9
	v_add_u32_e32 v28, -1, v28
	v_min_u32_e32 v28, v9, v28
	v_lshlrev_b32_e32 v28, 2, v28
	ds_read_b32 v28, v28
	v_cndmask_b32_e64 v4, v4, v9, s[2:3]
	v_cndmask_b32_e64 v6, v9, v6, s[2:3]
	v_cmp_lt_u32_e64 s[8:9], v4, v1
	v_cmp_ge_u32_e64 s[4:5], v6, v2
	s_waitcnt lgkmcnt(0)
	v_cndmask_b32_e64 v29, v28, v27, s[2:3]
	v_cndmask_b32_e64 v28, v10, v28, s[2:3]
	;; [unrolled: 17-line block ×4, first 2 shown]
	v_cmp_le_u32_e64 s[14:15], v32, v33
	s_and_b64 s[12:13], s[12:13], s[14:15]
	s_or_b64 s[10:11], s[10:11], s[12:13]
	v_cndmask_b32_e64 v9, v6, v4, s[10:11]
	v_cndmask_b32_e64 v34, v2, v1, s[10:11]
	v_add_u32_e32 v35, 1, v9
	v_add_u32_e32 v9, -1, v34
	v_min_u32_e32 v9, v35, v9
	v_lshlrev_b32_e32 v9, 2, v9
	ds_read_b32 v34, v9
	v_cndmask_b32_e64 v9, v7, v5, s[0:1]
	v_cndmask_b32_e64 v10, v27, v10, s[2:3]
	v_cndmask_b32_e32 v0, v3, v0, vcc
	v_cndmask_b32_e64 v5, v33, v32, s[10:11]
	s_waitcnt lgkmcnt(0)
	v_cndmask_b32_e64 v7, v34, v33, s[10:11]
	v_cndmask_b32_e64 v27, v32, v34, s[10:11]
	;; [unrolled: 1-line block ×4, first 2 shown]
	v_cmp_lt_u32_e64 s[0:1], v35, v1
	v_cmp_le_u32_e64 s[2:3], v27, v7
	v_cmp_ge_u32_e32 vcc, v34, v2
	s_and_b64 s[0:1], s[0:1], s[2:3]
	s_or_b64 vcc, vcc, s[0:1]
	v_cndmask_b32_e32 v3, v34, v35, vcc
	v_cndmask_b32_e32 v4, v2, v1, vcc
	v_add_u32_e32 v36, 1, v3
	v_add_u32_e32 v3, -1, v4
	v_min_u32_e32 v3, v36, v3
	v_lshlrev_b32_e32 v3, 2, v3
	ds_read_b32 v37, v3
	v_cndmask_b32_e64 v3, v29, v28, s[4:5]
	v_cndmask_b32_e32 v6, v7, v27, vcc
	v_cndmask_b32_e32 v29, v35, v36, vcc
	v_cndmask_b32_e64 v4, v31, v30, s[8:9]
	s_waitcnt lgkmcnt(0)
	v_cndmask_b32_e32 v27, v27, v37, vcc
	v_cndmask_b32_e32 v7, v37, v7, vcc
	;; [unrolled: 1-line block ×3, first 2 shown]
	v_min_u32_e32 v30, v27, v7
	v_cmp_lt_u32_e32 vcc, v29, v1
	v_cndmask_b32_e32 v1, v7, v30, vcc
	v_cmp_lt_u32_e32 vcc, v28, v2
	v_cndmask_b32_e32 v7, v27, v1, vcc
.LBB3156_64:
	s_or_b64 exec, exec, s[24:25]
	v_mov_b32_e32 v1, v9
	v_mov_b32_e32 v2, v10
	v_and_b32_e32 v29, 0x1c00, v15
	s_barrier
	ds_write_b128 v8, v[0:3]
	ds_write_b128 v8, v[4:7] offset:16
	v_or_b32_e32 v2, 0x200, v29
	v_min_u32_e32 v1, 0x800, v2
	v_min_u32_e32 v2, 0x600, v2
	v_add_u32_e32 v2, 0x200, v2
	v_and_b32_e32 v30, 0x3f8, v15
	v_sub_u32_e32 v31, v1, v29
	v_sub_u32_e32 v28, v2, v1
	v_sub_u32_e64 v28, v30, v28 clamp
	v_min_u32_e32 v31, v30, v31
	v_lshlrev_b32_e32 v27, 2, v29
	v_cmp_lt_u32_e32 vcc, v28, v31
	s_waitcnt lgkmcnt(0)
	s_barrier
	s_and_saveexec_b64 s[0:1], vcc
	s_cbranch_execz .LBB3156_68
; %bb.65:
	v_lshlrev_b32_e32 v32, 2, v30
	v_lshl_add_u32 v32, v1, 2, v32
	s_mov_b64 s[2:3], 0
.LBB3156_66:                            ; =>This Inner Loop Header: Depth=1
	v_add_u32_e32 v33, v31, v28
	v_lshrrev_b32_e32 v33, 1, v33
	v_not_b32_e32 v34, v33
	v_lshl_add_u32 v35, v33, 2, v27
	v_lshl_add_u32 v34, v34, 2, v32
	ds_read_b32 v35, v35
	ds_read_b32 v34, v34
	v_add_u32_e32 v36, 1, v33
	s_waitcnt lgkmcnt(0)
	v_cmp_gt_u32_e32 vcc, v35, v34
	v_cndmask_b32_e32 v31, v31, v33, vcc
	v_cndmask_b32_e32 v28, v36, v28, vcc
	v_cmp_ge_u32_e32 vcc, v28, v31
	s_or_b64 s[2:3], vcc, s[2:3]
	s_andn2_b64 exec, exec, s[2:3]
	s_cbranch_execnz .LBB3156_66
; %bb.67:
	s_or_b64 exec, exec, s[2:3]
.LBB3156_68:
	s_or_b64 exec, exec, s[0:1]
	v_sub_u32_e32 v30, v30, v28
	v_add_u32_e32 v29, v28, v29
	v_add_u32_e32 v30, v30, v1
	v_cmp_le_u32_e32 vcc, v29, v1
	v_cmp_le_u32_e64 s[0:1], v30, v2
	s_or_b64 s[0:1], vcc, s[0:1]
	s_and_saveexec_b64 s[24:25], s[0:1]
	s_cbranch_execz .LBB3156_74
; %bb.69:
	v_cmp_lt_u32_e32 vcc, v29, v1
                                        ; implicit-def: $vgpr0
	s_and_saveexec_b64 s[0:1], vcc
	s_cbranch_execz .LBB3156_71
; %bb.70:
	v_lshl_add_u32 v0, v28, 2, v27
	ds_read_b32 v0, v0
.LBB3156_71:
	s_or_b64 exec, exec, s[0:1]
	v_cmp_ge_u32_e64 s[0:1], v30, v2
	v_cmp_lt_u32_e64 s[2:3], v30, v2
                                        ; implicit-def: $vgpr3
	s_and_saveexec_b64 s[4:5], s[2:3]
	s_cbranch_execz .LBB3156_73
; %bb.72:
	v_lshlrev_b32_e32 v3, 2, v30
	ds_read_b32 v3, v3
.LBB3156_73:
	s_or_b64 exec, exec, s[4:5]
	s_waitcnt lgkmcnt(0)
	v_cmp_le_u32_e64 s[2:3], v0, v3
	s_and_b64 s[2:3], vcc, s[2:3]
	s_or_b64 vcc, s[0:1], s[2:3]
	v_cndmask_b32_e32 v4, v30, v29, vcc
	v_cndmask_b32_e32 v5, v2, v1, vcc
	v_add_u32_e32 v4, 1, v4
	v_add_u32_e32 v5, -1, v5
	v_min_u32_e32 v5, v4, v5
	v_lshlrev_b32_e32 v5, 2, v5
	ds_read_b32 v5, v5
	v_cndmask_b32_e32 v6, v4, v30, vcc
	v_cndmask_b32_e32 v4, v29, v4, vcc
	v_cmp_lt_u32_e64 s[2:3], v4, v1
	v_cmp_ge_u32_e64 s[0:1], v6, v2
	s_waitcnt lgkmcnt(0)
	v_cndmask_b32_e32 v7, v5, v3, vcc
	v_cndmask_b32_e32 v5, v0, v5, vcc
	v_cmp_le_u32_e64 s[4:5], v5, v7
	s_and_b64 s[2:3], s[2:3], s[4:5]
	s_or_b64 s[0:1], s[0:1], s[2:3]
	v_cndmask_b32_e64 v9, v6, v4, s[0:1]
	v_cndmask_b32_e64 v10, v2, v1, s[0:1]
	v_add_u32_e32 v9, 1, v9
	v_add_u32_e32 v10, -1, v10
	v_min_u32_e32 v10, v9, v10
	v_lshlrev_b32_e32 v10, 2, v10
	ds_read_b32 v10, v10
	v_cndmask_b32_e64 v4, v4, v9, s[0:1]
	v_cndmask_b32_e64 v6, v9, v6, s[0:1]
	v_cmp_lt_u32_e64 s[4:5], v4, v1
	v_cmp_ge_u32_e64 s[2:3], v6, v2
	s_waitcnt lgkmcnt(0)
	v_cndmask_b32_e64 v27, v10, v7, s[0:1]
	v_cndmask_b32_e64 v10, v5, v10, s[0:1]
	v_cmp_le_u32_e64 s[8:9], v10, v27
	s_and_b64 s[4:5], s[4:5], s[8:9]
	s_or_b64 s[2:3], s[2:3], s[4:5]
	v_cndmask_b32_e64 v9, v6, v4, s[2:3]
	v_cndmask_b32_e64 v28, v2, v1, s[2:3]
	v_add_u32_e32 v9, 1, v9
	v_add_u32_e32 v28, -1, v28
	v_min_u32_e32 v28, v9, v28
	v_lshlrev_b32_e32 v28, 2, v28
	ds_read_b32 v28, v28
	v_cndmask_b32_e64 v4, v4, v9, s[2:3]
	v_cndmask_b32_e64 v6, v9, v6, s[2:3]
	v_cmp_lt_u32_e64 s[8:9], v4, v1
	v_cmp_ge_u32_e64 s[4:5], v6, v2
	s_waitcnt lgkmcnt(0)
	v_cndmask_b32_e64 v29, v28, v27, s[2:3]
	v_cndmask_b32_e64 v28, v10, v28, s[2:3]
	;; [unrolled: 17-line block ×4, first 2 shown]
	v_cmp_le_u32_e64 s[14:15], v32, v33
	s_and_b64 s[12:13], s[12:13], s[14:15]
	s_or_b64 s[10:11], s[10:11], s[12:13]
	v_cndmask_b32_e64 v9, v6, v4, s[10:11]
	v_cndmask_b32_e64 v34, v2, v1, s[10:11]
	v_add_u32_e32 v35, 1, v9
	v_add_u32_e32 v9, -1, v34
	v_min_u32_e32 v9, v35, v9
	v_lshlrev_b32_e32 v9, 2, v9
	ds_read_b32 v34, v9
	v_cndmask_b32_e64 v9, v7, v5, s[0:1]
	v_cndmask_b32_e64 v10, v27, v10, s[2:3]
	v_cndmask_b32_e32 v0, v3, v0, vcc
	v_cndmask_b32_e64 v5, v33, v32, s[10:11]
	s_waitcnt lgkmcnt(0)
	v_cndmask_b32_e64 v7, v34, v33, s[10:11]
	v_cndmask_b32_e64 v27, v32, v34, s[10:11]
	;; [unrolled: 1-line block ×4, first 2 shown]
	v_cmp_lt_u32_e64 s[0:1], v35, v1
	v_cmp_le_u32_e64 s[2:3], v27, v7
	v_cmp_ge_u32_e32 vcc, v34, v2
	s_and_b64 s[0:1], s[0:1], s[2:3]
	s_or_b64 vcc, vcc, s[0:1]
	v_cndmask_b32_e32 v3, v34, v35, vcc
	v_cndmask_b32_e32 v4, v2, v1, vcc
	v_add_u32_e32 v36, 1, v3
	v_add_u32_e32 v3, -1, v4
	v_min_u32_e32 v3, v36, v3
	v_lshlrev_b32_e32 v3, 2, v3
	ds_read_b32 v37, v3
	v_cndmask_b32_e64 v3, v29, v28, s[4:5]
	v_cndmask_b32_e32 v6, v7, v27, vcc
	v_cndmask_b32_e32 v29, v35, v36, vcc
	v_cndmask_b32_e64 v4, v31, v30, s[8:9]
	s_waitcnt lgkmcnt(0)
	v_cndmask_b32_e32 v27, v27, v37, vcc
	v_cndmask_b32_e32 v7, v37, v7, vcc
	v_cndmask_b32_e32 v28, v36, v34, vcc
	v_min_u32_e32 v30, v27, v7
	v_cmp_lt_u32_e32 vcc, v29, v1
	v_cndmask_b32_e32 v1, v7, v30, vcc
	v_cmp_lt_u32_e32 vcc, v28, v2
	v_cndmask_b32_e32 v7, v27, v1, vcc
.LBB3156_74:
	s_or_b64 exec, exec, s[24:25]
	v_mov_b32_e32 v1, v9
	v_mov_b32_e32 v2, v10
	v_and_b32_e32 v28, 0x1800, v15
	s_barrier
	ds_write_b128 v8, v[0:3]
	ds_write_b128 v8, v[4:7] offset:16
	v_or_b32_e32 v1, 0x400, v28
	v_min_u32_e32 v1, 0x800, v1
	v_and_b32_e32 v29, 0x7f8, v15
	v_sub_u32_e32 v30, v1, v28
	v_sub_u32_e32 v27, 0x800, v1
	v_sub_u32_e64 v27, v29, v27 clamp
	v_min_u32_e32 v30, v29, v30
	v_lshlrev_b32_e32 v2, 2, v28
	v_cmp_lt_u32_e32 vcc, v27, v30
	s_waitcnt lgkmcnt(0)
	s_barrier
	s_and_saveexec_b64 s[0:1], vcc
	s_cbranch_execz .LBB3156_78
; %bb.75:
	v_lshlrev_b32_e32 v31, 2, v29
	v_lshl_add_u32 v31, v1, 2, v31
	s_mov_b64 s[2:3], 0
.LBB3156_76:                            ; =>This Inner Loop Header: Depth=1
	v_add_u32_e32 v32, v30, v27
	v_lshrrev_b32_e32 v32, 1, v32
	v_not_b32_e32 v33, v32
	v_lshl_add_u32 v34, v32, 2, v2
	v_lshl_add_u32 v33, v33, 2, v31
	ds_read_b32 v34, v34
	ds_read_b32 v33, v33
	v_add_u32_e32 v35, 1, v32
	s_waitcnt lgkmcnt(0)
	v_cmp_gt_u32_e32 vcc, v34, v33
	v_cndmask_b32_e32 v30, v30, v32, vcc
	v_cndmask_b32_e32 v27, v35, v27, vcc
	v_cmp_ge_u32_e32 vcc, v27, v30
	s_or_b64 s[2:3], vcc, s[2:3]
	s_andn2_b64 exec, exec, s[2:3]
	s_cbranch_execnz .LBB3156_76
; %bb.77:
	s_or_b64 exec, exec, s[2:3]
.LBB3156_78:
	s_or_b64 exec, exec, s[0:1]
	v_sub_u32_e32 v29, v29, v27
	v_add_u32_e32 v28, v27, v28
	v_add_u32_e32 v29, v29, v1
	s_movk_i32 s0, 0x801
	v_cmp_le_u32_e32 vcc, v28, v1
	v_cmp_gt_u32_e64 s[0:1], s0, v29
	s_or_b64 s[0:1], vcc, s[0:1]
	s_and_saveexec_b64 s[24:25], s[0:1]
	s_cbranch_execz .LBB3156_84
; %bb.79:
	v_cmp_lt_u32_e32 vcc, v28, v1
                                        ; implicit-def: $vgpr0
	s_and_saveexec_b64 s[0:1], vcc
	s_cbranch_execz .LBB3156_81
; %bb.80:
	v_lshl_add_u32 v0, v27, 2, v2
	ds_read_b32 v0, v0
.LBB3156_81:
	s_or_b64 exec, exec, s[0:1]
	s_movk_i32 s26, 0x7ff
	s_movk_i32 s23, 0x800
	v_cmp_lt_u32_e64 s[0:1], s26, v29
	v_cmp_gt_u32_e64 s[2:3], s23, v29
                                        ; implicit-def: $vgpr2
	s_and_saveexec_b64 s[4:5], s[2:3]
	s_cbranch_execz .LBB3156_83
; %bb.82:
	v_lshlrev_b32_e32 v2, 2, v29
	ds_read_b32 v2, v2
.LBB3156_83:
	s_or_b64 exec, exec, s[4:5]
	s_waitcnt lgkmcnt(0)
	v_cmp_le_u32_e64 s[2:3], v0, v2
	s_and_b64 s[2:3], vcc, s[2:3]
	s_or_b64 vcc, s[0:1], s[2:3]
	v_cndmask_b32_e32 v3, v29, v28, vcc
	v_add_u32_e32 v4, -1, v1
	v_mov_b32_e32 v5, 0x7ff
	v_add_u32_e32 v3, 1, v3
	v_cndmask_b32_e32 v6, v5, v4, vcc
	v_min_u32_e32 v6, v3, v6
	v_lshlrev_b32_e32 v6, 2, v6
	ds_read_b32 v6, v6
	v_cndmask_b32_e32 v9, v3, v29, vcc
	v_cndmask_b32_e32 v3, v28, v3, vcc
	v_cmp_lt_u32_e64 s[2:3], v3, v1
	v_cmp_lt_u32_e64 s[0:1], s26, v9
	s_waitcnt lgkmcnt(0)
	v_cndmask_b32_e32 v7, v6, v2, vcc
	v_cndmask_b32_e32 v6, v0, v6, vcc
	v_cmp_le_u32_e64 s[4:5], v6, v7
	s_and_b64 s[2:3], s[2:3], s[4:5]
	s_or_b64 s[0:1], s[0:1], s[2:3]
	v_cndmask_b32_e64 v10, v9, v3, s[0:1]
	v_add_u32_e32 v10, 1, v10
	v_cndmask_b32_e64 v27, v5, v4, s[0:1]
	v_min_u32_e32 v27, v10, v27
	v_lshlrev_b32_e32 v27, 2, v27
	ds_read_b32 v27, v27
	v_cndmask_b32_e64 v3, v3, v10, s[0:1]
	v_cndmask_b32_e64 v9, v10, v9, s[0:1]
	v_cmp_lt_u32_e64 s[4:5], v3, v1
	v_cmp_lt_u32_e64 s[2:3], s26, v9
	s_waitcnt lgkmcnt(0)
	v_cndmask_b32_e64 v28, v27, v7, s[0:1]
	v_cndmask_b32_e64 v27, v6, v27, s[0:1]
	v_cmp_le_u32_e64 s[8:9], v27, v28
	s_and_b64 s[4:5], s[4:5], s[8:9]
	s_or_b64 s[2:3], s[2:3], s[4:5]
	v_cndmask_b32_e64 v10, v9, v3, s[2:3]
	v_add_u32_e32 v10, 1, v10
	v_cndmask_b32_e64 v29, v5, v4, s[2:3]
	v_min_u32_e32 v29, v10, v29
	v_lshlrev_b32_e32 v29, 2, v29
	ds_read_b32 v29, v29
	v_cndmask_b32_e64 v3, v3, v10, s[2:3]
	v_cndmask_b32_e64 v9, v10, v9, s[2:3]
	v_cmp_lt_u32_e64 s[8:9], v3, v1
	v_cmp_lt_u32_e64 s[4:5], s26, v9
	s_waitcnt lgkmcnt(0)
	v_cndmask_b32_e64 v30, v29, v28, s[2:3]
	v_cndmask_b32_e64 v29, v27, v29, s[2:3]
	;; [unrolled: 16-line block ×4, first 2 shown]
	v_cmp_le_u32_e64 s[14:15], v33, v34
	s_and_b64 s[12:13], s[12:13], s[14:15]
	s_or_b64 s[10:11], s[10:11], s[12:13]
	v_cndmask_b32_e64 v9, v35, v3, s[10:11]
	v_add_u32_e32 v36, 1, v9
	v_cndmask_b32_e64 v9, v5, v4, s[10:11]
	v_min_u32_e32 v9, v36, v9
	v_lshlrev_b32_e32 v9, 2, v9
	ds_read_b32 v37, v9
	v_cndmask_b32_e32 v0, v2, v0, vcc
	v_cndmask_b32_e64 v9, v7, v6, s[0:1]
	v_cndmask_b32_e64 v10, v28, v27, s[2:3]
	;; [unrolled: 1-line block ×3, first 2 shown]
	s_waitcnt lgkmcnt(0)
	v_cndmask_b32_e64 v2, v37, v34, s[10:11]
	v_cndmask_b32_e64 v7, v33, v37, s[10:11]
	;; [unrolled: 1-line block ×3, first 2 shown]
	v_cmp_lt_u32_e64 s[0:1], v28, v1
	v_cmp_le_u32_e64 s[2:3], v7, v2
	v_cmp_lt_u32_e32 vcc, s26, v27
	s_and_b64 s[0:1], s[0:1], s[2:3]
	s_or_b64 vcc, vcc, s[0:1]
	v_cndmask_b32_e32 v3, v27, v28, vcc
	v_add_u32_e32 v35, 1, v3
	v_cndmask_b32_e32 v3, v5, v4, vcc
	v_min_u32_e32 v3, v35, v3
	v_lshlrev_b32_e32 v3, 2, v3
	ds_read_b32 v36, v3
	v_cndmask_b32_e32 v6, v2, v7, vcc
	v_cndmask_b32_e32 v28, v28, v35, vcc
	v_cndmask_b32_e64 v3, v30, v29, s[4:5]
	v_cndmask_b32_e32 v27, v35, v27, vcc
	s_waitcnt lgkmcnt(0)
	v_cndmask_b32_e32 v7, v7, v36, vcc
	v_cndmask_b32_e32 v2, v36, v2, vcc
	v_min_u32_e32 v29, v7, v2
	v_cmp_lt_u32_e32 vcc, v28, v1
	v_cndmask_b32_e32 v1, v2, v29, vcc
	v_cmp_gt_u32_e32 vcc, s23, v27
	v_cndmask_b32_e64 v4, v32, v31, s[8:9]
	v_cndmask_b32_e64 v5, v34, v33, s[10:11]
	v_cndmask_b32_e32 v7, v7, v1, vcc
.LBB3156_84:
	s_or_b64 exec, exec, s[24:25]
	v_lshl_add_u32 v1, v14, 2, v8
	s_barrier
	s_barrier
	ds_write2_b32 v1, v0, v9 offset1:1
	ds_write2_b32 v1, v10, v3 offset0:2 offset1:3
	ds_write2_b32 v1, v4, v5 offset0:4 offset1:5
	;; [unrolled: 1-line block ×3, first 2 shown]
	s_waitcnt lgkmcnt(0)
	s_barrier
	ds_read_b32 v3, v19
	ds_read_b32 v4, v20 offset:1024
	ds_read_b32 v5, v21 offset:2048
	;; [unrolled: 1-line block ×7, first 2 shown]
	v_mov_b32_e32 v1, s38
	v_add_co_u32_e32 v0, vcc, s33, v11
	v_addc_co_u32_e32 v1, vcc, 0, v1, vcc
	s_waitcnt lgkmcnt(7)
	flat_store_dword v[0:1], v3
	s_waitcnt lgkmcnt(0)
	flat_store_dword v[0:1], v4 offset:1024
	flat_store_dword v[0:1], v5 offset:2048
	;; [unrolled: 1-line block ×3, first 2 shown]
	v_add_co_u32_e32 v0, vcc, 0x1000, v0
	v_addc_co_u32_e32 v1, vcc, 0, v1, vcc
	flat_store_dword v[0:1], v7
	flat_store_dword v[0:1], v8 offset:1024
	flat_store_dword v[0:1], v9 offset:2048
	s_mov_b64 s[36:37], -1
	s_branch .LBB3156_164
.LBB3156_85:
	s_mov_b64 s[36:37], 0
                                        ; implicit-def: $vgpr2
	s_cbranch_execz .LBB3156_164
; %bb.86:
	s_lshl_b64 s[0:1], s[20:21], 11
	s_sub_i32 s39, s22, s0
	v_cmp_gt_u32_e32 vcc, s39, v12
                                        ; implicit-def: $vgpr0_vgpr1_vgpr2_vgpr3_vgpr4_vgpr5_vgpr6_vgpr7
	s_and_saveexec_b64 s[2:3], vcc
	s_cbranch_execz .LBB3156_88
; %bb.87:
	v_mov_b32_e32 v1, s19
	v_add_co_u32_e64 v0, s[0:1], s7, v11
	v_addc_co_u32_e64 v1, s[0:1], 0, v1, s[0:1]
	flat_load_dword v0, v[0:1]
.LBB3156_88:
	s_or_b64 exec, exec, s[2:3]
	v_add_u32_e32 v9, 0x100, v12
	v_cmp_gt_u32_e64 s[0:1], s39, v9
	s_and_saveexec_b64 s[4:5], s[0:1]
	s_cbranch_execz .LBB3156_90
; %bb.89:
	v_mov_b32_e32 v1, s19
	v_add_co_u32_e64 v20, s[2:3], s7, v11
	v_addc_co_u32_e64 v21, s[2:3], 0, v1, s[2:3]
	flat_load_dword v1, v[20:21] offset:1024
.LBB3156_90:
	s_or_b64 exec, exec, s[4:5]
	v_add_u32_e32 v10, 0x200, v12
	v_cmp_gt_u32_e64 s[2:3], s39, v10
	s_and_saveexec_b64 s[8:9], s[2:3]
	s_cbranch_execz .LBB3156_92
; %bb.91:
	v_mov_b32_e32 v2, s19
	v_add_co_u32_e64 v20, s[4:5], s7, v11
	v_addc_co_u32_e64 v21, s[4:5], 0, v2, s[4:5]
	flat_load_dword v2, v[20:21] offset:2048
.LBB3156_92:
	;; [unrolled: 11-line block ×3, first 2 shown]
	s_or_b64 exec, exec, s[10:11]
	v_or_b32_e32 v19, 0x400, v12
	v_cmp_gt_u32_e64 s[26:27], s39, v19
	s_and_saveexec_b64 s[10:11], s[26:27]
	s_cbranch_execz .LBB3156_96
; %bb.95:
	v_lshlrev_b32_e32 v4, 2, v19
	v_mov_b32_e32 v8, s19
	v_add_co_u32_e64 v20, s[8:9], s7, v4
	v_addc_co_u32_e64 v21, s[8:9], 0, v8, s[8:9]
	flat_load_dword v4, v[20:21]
.LBB3156_96:
	s_or_b64 exec, exec, s[10:11]
	v_add_u32_e32 v20, 0x500, v12
	v_cmp_gt_u32_e64 s[8:9], s39, v20
	s_and_saveexec_b64 s[12:13], s[8:9]
	s_cbranch_execz .LBB3156_98
; %bb.97:
	v_lshlrev_b32_e32 v5, 2, v20
	v_mov_b32_e32 v8, s19
	v_add_co_u32_e64 v22, s[10:11], s7, v5
	v_addc_co_u32_e64 v23, s[10:11], 0, v8, s[10:11]
	flat_load_dword v5, v[22:23]
.LBB3156_98:
	s_or_b64 exec, exec, s[12:13]
	v_add_u32_e32 v21, 0x600, v12
	;; [unrolled: 12-line block ×3, first 2 shown]
	v_cmp_gt_u32_e64 s[36:37], s39, v22
	s_and_saveexec_b64 s[14:15], s[36:37]
	s_cbranch_execz .LBB3156_102
; %bb.101:
	v_lshlrev_b32_e32 v7, 2, v22
	v_mov_b32_e32 v8, s19
	v_add_co_u32_e64 v24, s[12:13], s7, v7
	v_addc_co_u32_e64 v25, s[12:13], 0, v8, s[12:13]
	flat_load_dword v7, v[24:25]
.LBB3156_102:
	s_or_b64 exec, exec, s[14:15]
	v_and_b32_e32 v8, 0x7c, v18
	v_add_u32_e32 v8, v8, v11
	s_waitcnt vmcnt(0) lgkmcnt(0)
	ds_write_b32 v8, v0
	v_lshrrev_b32_e32 v0, 3, v9
	v_and_b32_e32 v0, 0xfc, v0
	v_add_u32_e32 v9, v0, v11
	v_lshrrev_b32_e32 v0, 3, v10
	v_and_b32_e32 v0, 0xfc, v0
	v_add_u32_e32 v10, v0, v11
	;; [unrolled: 3-line block ×6, first 2 shown]
	v_lshrrev_b32_e32 v0, 3, v22
	v_and_b32_e32 v0, 0x1fc, v0
	ds_write_b32 v20, v6 offset:6144
	v_add_u32_e32 v21, v0, v11
	v_add_lshl_u32 v6, v14, v15, 2
	ds_write_b32 v9, v1 offset:1024
	ds_write_b32 v10, v2 offset:2048
	;; [unrolled: 1-line block ×6, first 2 shown]
	s_waitcnt lgkmcnt(0)
	s_barrier
	ds_read2_b32 v[0:1], v6 offset1:1
	ds_read2_b32 v[2:3], v6 offset0:2 offset1:3
	ds_read2_b32 v[4:5], v6 offset0:4 offset1:5
	;; [unrolled: 1-line block ×3, first 2 shown]
	s_waitcnt lgkmcnt(0)
	s_barrier
	s_load_dword s7, s[16:17], 0xc
	v_mov_b32_e32 v22, 0
	v_cmp_gt_u32_e64 s[28:29], v2, v3
	v_cmp_gt_u32_e64 s[30:31], v4, v5
	;; [unrolled: 1-line block ×3, first 2 shown]
	s_waitcnt lgkmcnt(0)
	s_lshr_b32 s12, s7, 16
	s_cmp_lt_u32 s6, s18
	s_cselect_b32 s6, 12, 18
	s_add_u32 s6, s16, s6
	s_addc_u32 s7, s17, 0
	global_load_ushort v22, v22, s[6:7]
	v_mad_u32_u24 v16, v17, s12, v16
	v_cmp_gt_u32_e64 s[6:7], v0, v1
	s_waitcnt vmcnt(0)
	v_mul_lo_u32 v16, v16, v22
	v_add_lshl_u32 v16, v16, v12, 3
	v_sub_u32_e64 v17, s39, v16 clamp
	v_cmp_lt_u32_e64 s[24:25], 1, v17
	v_cmp_lt_u32_e64 s[22:23], 3, v17
	;; [unrolled: 1-line block ×4, first 2 shown]
	s_and_b64 s[6:7], s[24:25], s[6:7]
	s_and_b64 s[28:29], s[22:23], s[28:29]
	;; [unrolled: 1-line block ×3, first 2 shown]
	v_cmp_lt_u32_e64 s[14:15], 2, v17
	v_cmp_lt_u32_e64 s[16:17], 4, v17
	;; [unrolled: 1-line block ×3, first 2 shown]
	v_cndmask_b32_e64 v17, v0, v1, s[6:7]
	v_cndmask_b32_e64 v22, v3, v2, s[28:29]
	s_and_b64 s[34:35], s[12:13], s[34:35]
	v_cndmask_b32_e64 v0, v1, v0, s[6:7]
	v_cndmask_b32_e64 v1, v2, v3, s[28:29]
	;; [unrolled: 1-line block ×5, first 2 shown]
	v_cmp_gt_u32_e64 s[6:7], v0, v1
	v_cmp_gt_u32_e64 s[28:29], v22, v2
	v_cmp_gt_u32_e64 s[30:31], v23, v3
	s_and_b64 s[6:7], s[14:15], s[6:7]
	s_and_b64 s[28:29], s[16:17], s[28:29]
	v_cndmask_b32_e64 v4, v1, v0, s[6:7]
	s_and_b64 s[30:31], s[18:19], s[30:31]
	v_cndmask_b32_e64 v0, v0, v1, s[6:7]
	v_cndmask_b32_e64 v1, v22, v2, s[28:29]
	;; [unrolled: 1-line block ×6, first 2 shown]
	v_cmp_gt_u32_e64 s[28:29], v17, v0
	v_cmp_gt_u32_e64 s[30:31], v4, v1
	;; [unrolled: 1-line block ×3, first 2 shown]
	s_and_b64 s[28:29], s[24:25], s[28:29]
	s_and_b64 s[30:31], s[22:23], s[30:31]
	v_cmp_gt_u32_e64 s[34:35], v5, v2
	s_and_b64 s[6:7], s[12:13], s[6:7]
	v_cndmask_b32_e64 v7, v17, v0, s[28:29]
	v_cndmask_b32_e64 v22, v1, v4, s[30:31]
	;; [unrolled: 1-line block ×5, first 2 shown]
	s_and_b64 s[34:35], s[20:21], s[34:35]
	v_cndmask_b32_e64 v6, v6, v24, s[6:7]
	v_cmp_gt_u32_e64 s[6:7], v0, v1
	v_cndmask_b32_e64 v23, v2, v5, s[34:35]
	v_cndmask_b32_e64 v2, v5, v2, s[34:35]
	s_and_b64 s[6:7], s[14:15], s[6:7]
	v_cndmask_b32_e64 v4, v1, v0, s[6:7]
	v_cndmask_b32_e64 v0, v0, v1, s[6:7]
	v_cmp_gt_u32_e64 s[6:7], v22, v2
	s_and_b64 s[6:7], s[16:17], s[6:7]
	v_cndmask_b32_e64 v1, v2, v22, s[6:7]
	v_cndmask_b32_e64 v2, v22, v2, s[6:7]
	v_cmp_gt_u32_e64 s[6:7], v23, v6
	;; [unrolled: 4-line block ×16, first 2 shown]
	v_mbcnt_lo_u32_b32 v17, -1, 0
	s_and_b64 s[6:7], s[18:19], s[6:7]
	v_mbcnt_hi_u32_b32 v23, -1, v17
	v_cndmask_b32_e64 v6, v22, v5, s[6:7]
	v_cndmask_b32_e64 v5, v5, v22, s[6:7]
	v_and_b32_e32 v16, 0xfffffe00, v16
	v_lshlrev_b32_e32 v22, 5, v23
	v_lshlrev_b32_e32 v23, 3, v23
	v_sub_u32_e64 v17, s39, v16 clamp
	v_or_b32_e32 v24, 8, v23
	v_min_u32_e32 v24, v17, v24
	v_add_u32_e32 v25, 8, v24
	v_and_b32_e32 v28, 0x3f0, v23
	v_min_u32_e32 v25, v17, v25
	v_and_b32_e32 v26, 8, v23
	v_min_u32_e32 v29, v17, v26
	v_sub_u32_e32 v30, v24, v28
	v_sub_u32_e32 v27, v25, v24
	v_lshlrev_b32_e32 v16, 2, v16
	v_sub_u32_e64 v27, v29, v27 clamp
	v_min_u32_e32 v30, v29, v30
	v_add_u32_e32 v22, v16, v22
	v_lshl_add_u32 v26, v28, 2, v16
	v_cmp_lt_u32_e64 s[6:7], v27, v30
	ds_write_b128 v22, v[0:3]
	ds_write_b128 v22, v[4:7] offset:16
	; wave barrier
	s_and_saveexec_b64 s[12:13], s[6:7]
	s_cbranch_execz .LBB3156_106
; %bb.103:
	v_lshlrev_b32_e32 v31, 2, v24
	v_lshlrev_b32_e32 v32, 2, v29
	v_add3_u32 v31, v16, v31, v32
	s_mov_b64 s[14:15], 0
.LBB3156_104:                           ; =>This Inner Loop Header: Depth=1
	v_add_u32_e32 v32, v30, v27
	v_lshrrev_b32_e32 v32, 1, v32
	v_not_b32_e32 v33, v32
	v_lshl_add_u32 v34, v32, 2, v26
	v_lshl_add_u32 v33, v33, 2, v31
	ds_read_b32 v34, v34
	ds_read_b32 v33, v33
	v_add_u32_e32 v35, 1, v32
	s_waitcnt lgkmcnt(0)
	v_cmp_gt_u32_e64 s[6:7], v34, v33
	v_cndmask_b32_e64 v30, v30, v32, s[6:7]
	v_cndmask_b32_e64 v27, v35, v27, s[6:7]
	v_cmp_ge_u32_e64 s[6:7], v27, v30
	s_or_b64 s[14:15], s[6:7], s[14:15]
	s_andn2_b64 exec, exec, s[14:15]
	s_cbranch_execnz .LBB3156_104
; %bb.105:
	s_or_b64 exec, exec, s[14:15]
.LBB3156_106:
	s_or_b64 exec, exec, s[12:13]
	v_add_u32_e32 v29, v24, v29
	v_add_u32_e32 v28, v27, v28
	v_sub_u32_e32 v29, v29, v27
	v_cmp_le_u32_e64 s[6:7], v28, v24
	v_cmp_le_u32_e64 s[12:13], v29, v25
	s_or_b64 s[6:7], s[6:7], s[12:13]
	s_and_saveexec_b64 s[12:13], s[6:7]
	s_xor_b64 s[28:29], exec, s[12:13]
	s_cbranch_execz .LBB3156_112
; %bb.107:
	v_cmp_lt_u32_e64 s[12:13], v28, v24
                                        ; implicit-def: $vgpr0
	s_and_saveexec_b64 s[6:7], s[12:13]
	s_cbranch_execz .LBB3156_109
; %bb.108:
	v_lshl_add_u32 v0, v27, 2, v26
	ds_read_b32 v0, v0
.LBB3156_109:
	s_or_b64 exec, exec, s[6:7]
	v_cmp_ge_u32_e64 s[14:15], v29, v25
	v_cmp_lt_u32_e64 s[6:7], v29, v25
                                        ; implicit-def: $vgpr1
	s_and_saveexec_b64 s[16:17], s[6:7]
	s_cbranch_execz .LBB3156_111
; %bb.110:
	v_lshl_add_u32 v1, v29, 2, v16
	ds_read_b32 v1, v1
.LBB3156_111:
	s_or_b64 exec, exec, s[16:17]
	s_waitcnt lgkmcnt(0)
	v_cmp_le_u32_e64 s[6:7], v0, v1
	s_and_b64 s[6:7], s[12:13], s[6:7]
	s_or_b64 s[6:7], s[14:15], s[6:7]
	v_cndmask_b32_e64 v2, v29, v28, s[6:7]
	v_cndmask_b32_e64 v3, v25, v24, s[6:7]
	v_add_u32_e32 v2, 1, v2
	v_add_u32_e32 v3, -1, v3
	v_min_u32_e32 v3, v2, v3
	v_lshl_add_u32 v3, v3, 2, v16
	ds_read_b32 v3, v3
	v_cndmask_b32_e64 v4, v2, v29, s[6:7]
	v_cndmask_b32_e64 v2, v28, v2, s[6:7]
	v_cmp_lt_u32_e64 s[14:15], v2, v24
	v_cmp_ge_u32_e64 s[12:13], v4, v25
	s_waitcnt lgkmcnt(0)
	v_cndmask_b32_e64 v5, v3, v1, s[6:7]
	v_cndmask_b32_e64 v3, v0, v3, s[6:7]
	v_cmp_le_u32_e64 s[16:17], v3, v5
	s_and_b64 s[14:15], s[14:15], s[16:17]
	s_or_b64 s[12:13], s[12:13], s[14:15]
	v_cndmask_b32_e64 v6, v4, v2, s[12:13]
	v_cndmask_b32_e64 v7, v25, v24, s[12:13]
	v_add_u32_e32 v6, 1, v6
	v_add_u32_e32 v7, -1, v7
	v_min_u32_e32 v7, v6, v7
	v_lshl_add_u32 v7, v7, 2, v16
	ds_read_b32 v7, v7
	v_cndmask_b32_e64 v2, v2, v6, s[12:13]
	v_cndmask_b32_e64 v4, v6, v4, s[12:13]
	v_cmp_lt_u32_e64 s[16:17], v2, v24
	v_cmp_ge_u32_e64 s[14:15], v4, v25
	s_waitcnt lgkmcnt(0)
	v_cndmask_b32_e64 v26, v7, v5, s[12:13]
	v_cndmask_b32_e64 v7, v3, v7, s[12:13]
	;; [unrolled: 17-line block ×5, first 2 shown]
	v_cmp_le_u32_e64 s[24:25], v31, v32
	s_and_b64 s[22:23], s[22:23], s[24:25]
	s_or_b64 s[20:21], s[20:21], s[22:23]
	v_cndmask_b32_e64 v2, v4, v6, s[20:21]
	v_cndmask_b32_e64 v33, v25, v24, s[20:21]
	v_add_u32_e32 v34, 1, v2
	v_add_u32_e32 v2, -1, v33
	v_min_u32_e32 v2, v34, v2
	v_lshl_add_u32 v2, v2, 2, v16
	ds_read_b32 v33, v2
	v_cndmask_b32_e64 v2, v26, v7, s[14:15]
	v_cndmask_b32_e64 v0, v1, v0, s[6:7]
	v_cndmask_b32_e64 v1, v5, v3, s[12:13]
	v_cndmask_b32_e64 v5, v32, v31, s[20:21]
	s_waitcnt lgkmcnt(0)
	v_cndmask_b32_e64 v7, v33, v32, s[20:21]
	v_cndmask_b32_e64 v26, v31, v33, s[20:21]
	;; [unrolled: 1-line block ×4, first 2 shown]
	v_cmp_lt_u32_e64 s[12:13], v34, v24
	v_cmp_le_u32_e64 s[14:15], v26, v7
	v_cmp_ge_u32_e64 s[6:7], v33, v25
	s_and_b64 s[12:13], s[12:13], s[14:15]
	s_or_b64 s[6:7], s[6:7], s[12:13]
	v_cndmask_b32_e64 v3, v33, v34, s[6:7]
	v_cndmask_b32_e64 v4, v25, v24, s[6:7]
	v_add_u32_e32 v35, 1, v3
	v_add_u32_e32 v3, -1, v4
	v_min_u32_e32 v3, v35, v3
	v_lshl_add_u32 v3, v3, 2, v16
	ds_read_b32 v36, v3
	v_cndmask_b32_e64 v3, v28, v27, s[16:17]
	v_cndmask_b32_e64 v6, v7, v26, s[6:7]
	;; [unrolled: 1-line block ×4, first 2 shown]
	s_waitcnt lgkmcnt(0)
	v_cndmask_b32_e64 v26, v26, v36, s[6:7]
	v_cndmask_b32_e64 v7, v36, v7, s[6:7]
	v_cndmask_b32_e64 v27, v35, v33, s[6:7]
	v_min_u32_e32 v29, v26, v7
	v_cmp_lt_u32_e64 s[6:7], v28, v24
	v_cndmask_b32_e64 v7, v7, v29, s[6:7]
	v_cmp_lt_u32_e64 s[6:7], v27, v25
	v_cndmask_b32_e64 v7, v26, v7, s[6:7]
.LBB3156_112:
	s_andn2_saveexec_b64 s[6:7], s[28:29]
	s_or_b64 exec, exec, s[6:7]
	v_and_b32_e32 v28, 0x3e0, v23
	v_or_b32_e32 v24, 16, v28
	v_min_u32_e32 v24, v17, v24
	v_add_u32_e32 v25, 16, v24
	v_min_u32_e32 v25, v17, v25
	v_and_b32_e32 v26, 24, v23
	v_min_u32_e32 v29, v17, v26
	v_sub_u32_e32 v30, v24, v28
	v_sub_u32_e32 v27, v25, v24
	v_sub_u32_e64 v27, v29, v27 clamp
	v_min_u32_e32 v30, v29, v30
	v_lshl_add_u32 v26, v28, 2, v16
	v_cmp_lt_u32_e64 s[6:7], v27, v30
	; wave barrier
	ds_write_b128 v22, v[0:3]
	ds_write_b128 v22, v[4:7] offset:16
	; wave barrier
	s_and_saveexec_b64 s[12:13], s[6:7]
	s_cbranch_execz .LBB3156_116
; %bb.113:
	v_lshlrev_b32_e32 v31, 2, v24
	v_lshlrev_b32_e32 v32, 2, v29
	v_add3_u32 v31, v16, v31, v32
	s_mov_b64 s[14:15], 0
.LBB3156_114:                           ; =>This Inner Loop Header: Depth=1
	v_add_u32_e32 v32, v30, v27
	v_lshrrev_b32_e32 v32, 1, v32
	v_not_b32_e32 v33, v32
	v_lshl_add_u32 v34, v32, 2, v26
	v_lshl_add_u32 v33, v33, 2, v31
	ds_read_b32 v34, v34
	ds_read_b32 v33, v33
	v_add_u32_e32 v35, 1, v32
	s_waitcnt lgkmcnt(0)
	v_cmp_gt_u32_e64 s[6:7], v34, v33
	v_cndmask_b32_e64 v30, v30, v32, s[6:7]
	v_cndmask_b32_e64 v27, v35, v27, s[6:7]
	v_cmp_ge_u32_e64 s[6:7], v27, v30
	s_or_b64 s[14:15], s[6:7], s[14:15]
	s_andn2_b64 exec, exec, s[14:15]
	s_cbranch_execnz .LBB3156_114
; %bb.115:
	s_or_b64 exec, exec, s[14:15]
.LBB3156_116:
	s_or_b64 exec, exec, s[12:13]
	v_add_u32_e32 v29, v24, v29
	v_add_u32_e32 v28, v27, v28
	v_sub_u32_e32 v29, v29, v27
	v_cmp_le_u32_e64 s[6:7], v28, v24
	v_cmp_le_u32_e64 s[12:13], v29, v25
	s_or_b64 s[6:7], s[6:7], s[12:13]
	s_and_saveexec_b64 s[28:29], s[6:7]
	s_cbranch_execz .LBB3156_122
; %bb.117:
	v_cmp_lt_u32_e64 s[12:13], v28, v24
                                        ; implicit-def: $vgpr0
	s_and_saveexec_b64 s[6:7], s[12:13]
	s_cbranch_execz .LBB3156_119
; %bb.118:
	v_lshl_add_u32 v0, v27, 2, v26
	ds_read_b32 v0, v0
.LBB3156_119:
	s_or_b64 exec, exec, s[6:7]
	v_cmp_ge_u32_e64 s[14:15], v29, v25
	v_cmp_lt_u32_e64 s[6:7], v29, v25
                                        ; implicit-def: $vgpr1
	s_and_saveexec_b64 s[16:17], s[6:7]
	s_cbranch_execz .LBB3156_121
; %bb.120:
	v_lshl_add_u32 v1, v29, 2, v16
	ds_read_b32 v1, v1
.LBB3156_121:
	s_or_b64 exec, exec, s[16:17]
	s_waitcnt lgkmcnt(0)
	v_cmp_le_u32_e64 s[6:7], v0, v1
	s_and_b64 s[6:7], s[12:13], s[6:7]
	s_or_b64 s[6:7], s[14:15], s[6:7]
	v_cndmask_b32_e64 v2, v29, v28, s[6:7]
	v_cndmask_b32_e64 v3, v25, v24, s[6:7]
	v_add_u32_e32 v2, 1, v2
	v_add_u32_e32 v3, -1, v3
	v_min_u32_e32 v3, v2, v3
	v_lshl_add_u32 v3, v3, 2, v16
	ds_read_b32 v3, v3
	v_cndmask_b32_e64 v4, v2, v29, s[6:7]
	v_cndmask_b32_e64 v2, v28, v2, s[6:7]
	v_cmp_lt_u32_e64 s[14:15], v2, v24
	v_cmp_ge_u32_e64 s[12:13], v4, v25
	s_waitcnt lgkmcnt(0)
	v_cndmask_b32_e64 v5, v3, v1, s[6:7]
	v_cndmask_b32_e64 v3, v0, v3, s[6:7]
	v_cmp_le_u32_e64 s[16:17], v3, v5
	s_and_b64 s[14:15], s[14:15], s[16:17]
	s_or_b64 s[12:13], s[12:13], s[14:15]
	v_cndmask_b32_e64 v6, v4, v2, s[12:13]
	v_cndmask_b32_e64 v7, v25, v24, s[12:13]
	v_add_u32_e32 v6, 1, v6
	v_add_u32_e32 v7, -1, v7
	v_min_u32_e32 v7, v6, v7
	v_lshl_add_u32 v7, v7, 2, v16
	ds_read_b32 v7, v7
	v_cndmask_b32_e64 v2, v2, v6, s[12:13]
	v_cndmask_b32_e64 v4, v6, v4, s[12:13]
	v_cmp_lt_u32_e64 s[16:17], v2, v24
	v_cmp_ge_u32_e64 s[14:15], v4, v25
	s_waitcnt lgkmcnt(0)
	v_cndmask_b32_e64 v26, v7, v5, s[12:13]
	v_cndmask_b32_e64 v7, v3, v7, s[12:13]
	;; [unrolled: 17-line block ×5, first 2 shown]
	v_cmp_le_u32_e64 s[24:25], v31, v32
	s_and_b64 s[22:23], s[22:23], s[24:25]
	s_or_b64 s[20:21], s[20:21], s[22:23]
	v_cndmask_b32_e64 v2, v4, v6, s[20:21]
	v_cndmask_b32_e64 v33, v25, v24, s[20:21]
	v_add_u32_e32 v34, 1, v2
	v_add_u32_e32 v2, -1, v33
	v_min_u32_e32 v2, v34, v2
	v_lshl_add_u32 v2, v2, 2, v16
	ds_read_b32 v33, v2
	v_cndmask_b32_e64 v2, v26, v7, s[14:15]
	v_cndmask_b32_e64 v0, v1, v0, s[6:7]
	;; [unrolled: 1-line block ×4, first 2 shown]
	s_waitcnt lgkmcnt(0)
	v_cndmask_b32_e64 v7, v33, v32, s[20:21]
	v_cndmask_b32_e64 v26, v31, v33, s[20:21]
	;; [unrolled: 1-line block ×4, first 2 shown]
	v_cmp_lt_u32_e64 s[12:13], v34, v24
	v_cmp_le_u32_e64 s[14:15], v26, v7
	v_cmp_ge_u32_e64 s[6:7], v33, v25
	s_and_b64 s[12:13], s[12:13], s[14:15]
	s_or_b64 s[6:7], s[6:7], s[12:13]
	v_cndmask_b32_e64 v3, v33, v34, s[6:7]
	v_cndmask_b32_e64 v4, v25, v24, s[6:7]
	v_add_u32_e32 v35, 1, v3
	v_add_u32_e32 v3, -1, v4
	v_min_u32_e32 v3, v35, v3
	v_lshl_add_u32 v3, v3, 2, v16
	ds_read_b32 v36, v3
	v_cndmask_b32_e64 v3, v28, v27, s[16:17]
	v_cndmask_b32_e64 v6, v7, v26, s[6:7]
	;; [unrolled: 1-line block ×4, first 2 shown]
	s_waitcnt lgkmcnt(0)
	v_cndmask_b32_e64 v26, v26, v36, s[6:7]
	v_cndmask_b32_e64 v7, v36, v7, s[6:7]
	;; [unrolled: 1-line block ×3, first 2 shown]
	v_min_u32_e32 v29, v26, v7
	v_cmp_lt_u32_e64 s[6:7], v28, v24
	v_cndmask_b32_e64 v7, v7, v29, s[6:7]
	v_cmp_lt_u32_e64 s[6:7], v27, v25
	v_cndmask_b32_e64 v7, v26, v7, s[6:7]
.LBB3156_122:
	s_or_b64 exec, exec, s[28:29]
	v_and_b32_e32 v28, 0x3c0, v23
	v_or_b32_e32 v24, 32, v28
	v_min_u32_e32 v24, v17, v24
	v_add_u32_e32 v25, 32, v24
	v_min_u32_e32 v25, v17, v25
	v_and_b32_e32 v26, 56, v23
	v_min_u32_e32 v29, v17, v26
	v_sub_u32_e32 v30, v24, v28
	v_sub_u32_e32 v27, v25, v24
	v_sub_u32_e64 v27, v29, v27 clamp
	v_min_u32_e32 v30, v29, v30
	v_lshl_add_u32 v26, v28, 2, v16
	v_cmp_lt_u32_e64 s[6:7], v27, v30
	; wave barrier
	ds_write_b128 v22, v[0:3]
	ds_write_b128 v22, v[4:7] offset:16
	; wave barrier
	s_and_saveexec_b64 s[12:13], s[6:7]
	s_cbranch_execz .LBB3156_126
; %bb.123:
	v_lshlrev_b32_e32 v31, 2, v24
	v_lshlrev_b32_e32 v32, 2, v29
	v_add3_u32 v31, v16, v31, v32
	s_mov_b64 s[14:15], 0
.LBB3156_124:                           ; =>This Inner Loop Header: Depth=1
	v_add_u32_e32 v32, v30, v27
	v_lshrrev_b32_e32 v32, 1, v32
	v_not_b32_e32 v33, v32
	v_lshl_add_u32 v34, v32, 2, v26
	v_lshl_add_u32 v33, v33, 2, v31
	ds_read_b32 v34, v34
	ds_read_b32 v33, v33
	v_add_u32_e32 v35, 1, v32
	s_waitcnt lgkmcnt(0)
	v_cmp_gt_u32_e64 s[6:7], v34, v33
	v_cndmask_b32_e64 v30, v30, v32, s[6:7]
	v_cndmask_b32_e64 v27, v35, v27, s[6:7]
	v_cmp_ge_u32_e64 s[6:7], v27, v30
	s_or_b64 s[14:15], s[6:7], s[14:15]
	s_andn2_b64 exec, exec, s[14:15]
	s_cbranch_execnz .LBB3156_124
; %bb.125:
	s_or_b64 exec, exec, s[14:15]
.LBB3156_126:
	s_or_b64 exec, exec, s[12:13]
	v_add_u32_e32 v29, v24, v29
	v_add_u32_e32 v28, v27, v28
	v_sub_u32_e32 v29, v29, v27
	v_cmp_le_u32_e64 s[6:7], v28, v24
	v_cmp_le_u32_e64 s[12:13], v29, v25
	s_or_b64 s[6:7], s[6:7], s[12:13]
	s_and_saveexec_b64 s[28:29], s[6:7]
	s_cbranch_execz .LBB3156_132
; %bb.127:
	v_cmp_lt_u32_e64 s[12:13], v28, v24
                                        ; implicit-def: $vgpr0
	s_and_saveexec_b64 s[6:7], s[12:13]
	s_cbranch_execz .LBB3156_129
; %bb.128:
	v_lshl_add_u32 v0, v27, 2, v26
	ds_read_b32 v0, v0
.LBB3156_129:
	s_or_b64 exec, exec, s[6:7]
	v_cmp_ge_u32_e64 s[14:15], v29, v25
	v_cmp_lt_u32_e64 s[6:7], v29, v25
                                        ; implicit-def: $vgpr1
	s_and_saveexec_b64 s[16:17], s[6:7]
	s_cbranch_execz .LBB3156_131
; %bb.130:
	v_lshl_add_u32 v1, v29, 2, v16
	ds_read_b32 v1, v1
.LBB3156_131:
	s_or_b64 exec, exec, s[16:17]
	s_waitcnt lgkmcnt(0)
	v_cmp_le_u32_e64 s[6:7], v0, v1
	s_and_b64 s[6:7], s[12:13], s[6:7]
	s_or_b64 s[6:7], s[14:15], s[6:7]
	v_cndmask_b32_e64 v2, v29, v28, s[6:7]
	v_cndmask_b32_e64 v3, v25, v24, s[6:7]
	v_add_u32_e32 v2, 1, v2
	v_add_u32_e32 v3, -1, v3
	v_min_u32_e32 v3, v2, v3
	v_lshl_add_u32 v3, v3, 2, v16
	ds_read_b32 v3, v3
	v_cndmask_b32_e64 v4, v2, v29, s[6:7]
	v_cndmask_b32_e64 v2, v28, v2, s[6:7]
	v_cmp_lt_u32_e64 s[14:15], v2, v24
	v_cmp_ge_u32_e64 s[12:13], v4, v25
	s_waitcnt lgkmcnt(0)
	v_cndmask_b32_e64 v5, v3, v1, s[6:7]
	v_cndmask_b32_e64 v3, v0, v3, s[6:7]
	v_cmp_le_u32_e64 s[16:17], v3, v5
	s_and_b64 s[14:15], s[14:15], s[16:17]
	s_or_b64 s[12:13], s[12:13], s[14:15]
	v_cndmask_b32_e64 v6, v4, v2, s[12:13]
	v_cndmask_b32_e64 v7, v25, v24, s[12:13]
	v_add_u32_e32 v6, 1, v6
	v_add_u32_e32 v7, -1, v7
	v_min_u32_e32 v7, v6, v7
	v_lshl_add_u32 v7, v7, 2, v16
	ds_read_b32 v7, v7
	v_cndmask_b32_e64 v2, v2, v6, s[12:13]
	v_cndmask_b32_e64 v4, v6, v4, s[12:13]
	v_cmp_lt_u32_e64 s[16:17], v2, v24
	v_cmp_ge_u32_e64 s[14:15], v4, v25
	s_waitcnt lgkmcnt(0)
	v_cndmask_b32_e64 v26, v7, v5, s[12:13]
	v_cndmask_b32_e64 v7, v3, v7, s[12:13]
	;; [unrolled: 17-line block ×5, first 2 shown]
	v_cmp_le_u32_e64 s[24:25], v31, v32
	s_and_b64 s[22:23], s[22:23], s[24:25]
	s_or_b64 s[20:21], s[20:21], s[22:23]
	v_cndmask_b32_e64 v2, v4, v6, s[20:21]
	v_cndmask_b32_e64 v33, v25, v24, s[20:21]
	v_add_u32_e32 v34, 1, v2
	v_add_u32_e32 v2, -1, v33
	v_min_u32_e32 v2, v34, v2
	v_lshl_add_u32 v2, v2, 2, v16
	ds_read_b32 v33, v2
	v_cndmask_b32_e64 v2, v26, v7, s[14:15]
	v_cndmask_b32_e64 v0, v1, v0, s[6:7]
	v_cndmask_b32_e64 v1, v5, v3, s[12:13]
	v_cndmask_b32_e64 v5, v32, v31, s[20:21]
	s_waitcnt lgkmcnt(0)
	v_cndmask_b32_e64 v7, v33, v32, s[20:21]
	v_cndmask_b32_e64 v26, v31, v33, s[20:21]
	;; [unrolled: 1-line block ×4, first 2 shown]
	v_cmp_lt_u32_e64 s[12:13], v34, v24
	v_cmp_le_u32_e64 s[14:15], v26, v7
	v_cmp_ge_u32_e64 s[6:7], v33, v25
	s_and_b64 s[12:13], s[12:13], s[14:15]
	s_or_b64 s[6:7], s[6:7], s[12:13]
	v_cndmask_b32_e64 v3, v33, v34, s[6:7]
	v_cndmask_b32_e64 v4, v25, v24, s[6:7]
	v_add_u32_e32 v35, 1, v3
	v_add_u32_e32 v3, -1, v4
	v_min_u32_e32 v3, v35, v3
	v_lshl_add_u32 v3, v3, 2, v16
	ds_read_b32 v36, v3
	v_cndmask_b32_e64 v3, v28, v27, s[16:17]
	v_cndmask_b32_e64 v6, v7, v26, s[6:7]
	;; [unrolled: 1-line block ×4, first 2 shown]
	s_waitcnt lgkmcnt(0)
	v_cndmask_b32_e64 v26, v26, v36, s[6:7]
	v_cndmask_b32_e64 v7, v36, v7, s[6:7]
	;; [unrolled: 1-line block ×3, first 2 shown]
	v_min_u32_e32 v29, v26, v7
	v_cmp_lt_u32_e64 s[6:7], v28, v24
	v_cndmask_b32_e64 v7, v7, v29, s[6:7]
	v_cmp_lt_u32_e64 s[6:7], v27, v25
	v_cndmask_b32_e64 v7, v26, v7, s[6:7]
.LBB3156_132:
	s_or_b64 exec, exec, s[28:29]
	v_and_b32_e32 v25, 0x380, v23
	; wave barrier
	ds_write_b128 v22, v[0:3]
	ds_write_b128 v22, v[4:7] offset:16
	v_or_b32_e32 v22, 64, v25
	v_min_u32_e32 v22, v17, v22
	v_add_u32_e32 v24, 64, v22
	v_min_u32_e32 v24, v17, v24
	v_and_b32_e32 v23, 0x78, v23
	v_min_u32_e32 v26, v17, v23
	v_sub_u32_e32 v27, v22, v25
	v_sub_u32_e32 v23, v24, v22
	v_sub_u32_e64 v23, v26, v23 clamp
	v_min_u32_e32 v27, v26, v27
	v_lshl_add_u32 v17, v25, 2, v16
	v_cmp_lt_u32_e64 s[6:7], v23, v27
	; wave barrier
	s_and_saveexec_b64 s[12:13], s[6:7]
	s_cbranch_execz .LBB3156_136
; %bb.133:
	v_lshlrev_b32_e32 v28, 2, v22
	v_lshlrev_b32_e32 v29, 2, v26
	v_add3_u32 v28, v16, v28, v29
	s_mov_b64 s[14:15], 0
.LBB3156_134:                           ; =>This Inner Loop Header: Depth=1
	v_add_u32_e32 v29, v27, v23
	v_lshrrev_b32_e32 v29, 1, v29
	v_not_b32_e32 v30, v29
	v_lshl_add_u32 v31, v29, 2, v17
	v_lshl_add_u32 v30, v30, 2, v28
	ds_read_b32 v31, v31
	ds_read_b32 v30, v30
	v_add_u32_e32 v32, 1, v29
	s_waitcnt lgkmcnt(0)
	v_cmp_gt_u32_e64 s[6:7], v31, v30
	v_cndmask_b32_e64 v27, v27, v29, s[6:7]
	v_cndmask_b32_e64 v23, v32, v23, s[6:7]
	v_cmp_ge_u32_e64 s[6:7], v23, v27
	s_or_b64 s[14:15], s[6:7], s[14:15]
	s_andn2_b64 exec, exec, s[14:15]
	s_cbranch_execnz .LBB3156_134
; %bb.135:
	s_or_b64 exec, exec, s[14:15]
.LBB3156_136:
	s_or_b64 exec, exec, s[12:13]
	v_add_u32_e32 v26, v22, v26
	v_add_u32_e32 v25, v23, v25
	v_sub_u32_e32 v26, v26, v23
	v_cmp_le_u32_e64 s[6:7], v25, v22
	v_cmp_le_u32_e64 s[12:13], v26, v24
	s_or_b64 s[6:7], s[6:7], s[12:13]
	s_and_saveexec_b64 s[28:29], s[6:7]
	s_cbranch_execz .LBB3156_142
; %bb.137:
	v_cmp_lt_u32_e64 s[12:13], v25, v22
                                        ; implicit-def: $vgpr0
	s_and_saveexec_b64 s[6:7], s[12:13]
	s_cbranch_execz .LBB3156_139
; %bb.138:
	v_lshl_add_u32 v0, v23, 2, v17
	ds_read_b32 v0, v0
.LBB3156_139:
	s_or_b64 exec, exec, s[6:7]
	v_cmp_ge_u32_e64 s[14:15], v26, v24
	v_cmp_lt_u32_e64 s[6:7], v26, v24
                                        ; implicit-def: $vgpr1
	s_and_saveexec_b64 s[16:17], s[6:7]
	s_cbranch_execz .LBB3156_141
; %bb.140:
	v_lshl_add_u32 v1, v26, 2, v16
	ds_read_b32 v1, v1
.LBB3156_141:
	s_or_b64 exec, exec, s[16:17]
	s_waitcnt lgkmcnt(0)
	v_cmp_le_u32_e64 s[6:7], v0, v1
	s_and_b64 s[6:7], s[12:13], s[6:7]
	s_or_b64 s[6:7], s[14:15], s[6:7]
	v_cndmask_b32_e64 v2, v26, v25, s[6:7]
	v_cndmask_b32_e64 v3, v24, v22, s[6:7]
	v_add_u32_e32 v2, 1, v2
	v_add_u32_e32 v3, -1, v3
	v_min_u32_e32 v3, v2, v3
	v_lshl_add_u32 v3, v3, 2, v16
	ds_read_b32 v3, v3
	v_cndmask_b32_e64 v4, v2, v26, s[6:7]
	v_cndmask_b32_e64 v2, v25, v2, s[6:7]
	v_cmp_lt_u32_e64 s[14:15], v2, v22
	v_cmp_ge_u32_e64 s[12:13], v4, v24
	s_waitcnt lgkmcnt(0)
	v_cndmask_b32_e64 v5, v3, v1, s[6:7]
	v_cndmask_b32_e64 v3, v0, v3, s[6:7]
	v_cmp_le_u32_e64 s[16:17], v3, v5
	s_and_b64 s[14:15], s[14:15], s[16:17]
	s_or_b64 s[12:13], s[12:13], s[14:15]
	v_cndmask_b32_e64 v6, v4, v2, s[12:13]
	v_cndmask_b32_e64 v7, v24, v22, s[12:13]
	v_add_u32_e32 v6, 1, v6
	v_add_u32_e32 v7, -1, v7
	v_min_u32_e32 v7, v6, v7
	v_lshl_add_u32 v7, v7, 2, v16
	ds_read_b32 v7, v7
	v_cndmask_b32_e64 v2, v2, v6, s[12:13]
	v_cndmask_b32_e64 v4, v6, v4, s[12:13]
	v_cmp_lt_u32_e64 s[16:17], v2, v22
	v_cmp_ge_u32_e64 s[14:15], v4, v24
	s_waitcnt lgkmcnt(0)
	v_cndmask_b32_e64 v17, v7, v5, s[12:13]
	v_cndmask_b32_e64 v7, v3, v7, s[12:13]
	;; [unrolled: 17-line block ×5, first 2 shown]
	v_cmp_le_u32_e64 s[24:25], v28, v29
	s_and_b64 s[22:23], s[22:23], s[24:25]
	s_or_b64 s[20:21], s[20:21], s[22:23]
	v_cndmask_b32_e64 v2, v4, v6, s[20:21]
	v_cndmask_b32_e64 v30, v24, v22, s[20:21]
	v_add_u32_e32 v31, 1, v2
	v_add_u32_e32 v2, -1, v30
	v_min_u32_e32 v2, v31, v2
	v_lshl_add_u32 v2, v2, 2, v16
	ds_read_b32 v30, v2
	v_cndmask_b32_e64 v2, v17, v7, s[14:15]
	v_cndmask_b32_e64 v0, v1, v0, s[6:7]
	;; [unrolled: 1-line block ×4, first 2 shown]
	s_waitcnt lgkmcnt(0)
	v_cndmask_b32_e64 v7, v30, v29, s[20:21]
	v_cndmask_b32_e64 v17, v28, v30, s[20:21]
	;; [unrolled: 1-line block ×4, first 2 shown]
	v_cmp_lt_u32_e64 s[12:13], v31, v22
	v_cmp_le_u32_e64 s[14:15], v17, v7
	v_cmp_ge_u32_e64 s[6:7], v30, v24
	s_and_b64 s[12:13], s[12:13], s[14:15]
	s_or_b64 s[6:7], s[6:7], s[12:13]
	v_cndmask_b32_e64 v3, v30, v31, s[6:7]
	v_cndmask_b32_e64 v4, v24, v22, s[6:7]
	v_add_u32_e32 v32, 1, v3
	v_add_u32_e32 v3, -1, v4
	v_min_u32_e32 v3, v32, v3
	v_lshl_add_u32 v3, v3, 2, v16
	ds_read_b32 v16, v3
	v_cndmask_b32_e64 v6, v7, v17, s[6:7]
	v_cndmask_b32_e64 v3, v25, v23, s[16:17]
	;; [unrolled: 1-line block ×4, first 2 shown]
	s_waitcnt lgkmcnt(0)
	v_cndmask_b32_e64 v17, v17, v16, s[6:7]
	v_cndmask_b32_e64 v7, v16, v7, s[6:7]
	;; [unrolled: 1-line block ×3, first 2 shown]
	v_min_u32_e32 v25, v17, v7
	v_cmp_lt_u32_e64 s[6:7], v16, v22
	v_cndmask_b32_e64 v7, v7, v25, s[6:7]
	v_cmp_lt_u32_e64 s[6:7], v23, v24
	v_cndmask_b32_e64 v7, v17, v7, s[6:7]
.LBB3156_142:
	s_or_b64 exec, exec, s[28:29]
	s_cmpk_lt_u32 s39, 0x81
	v_lshlrev_b32_e32 v16, 5, v12
	; wave barrier
	s_waitcnt lgkmcnt(0)
	s_barrier
	s_cbranch_scc1 .LBB3156_155
; %bb.143:
	s_movk_i32 s30, 0x80
	s_branch .LBB3156_146
.LBB3156_144:                           ;   in Loop: Header=BB3156_146 Depth=1
	s_or_b64 exec, exec, s[16:17]
	s_waitcnt lgkmcnt(0)
	v_cmp_le_u32_e64 s[6:7], v0, v1
	s_and_b64 s[6:7], s[12:13], s[6:7]
	s_or_b64 s[6:7], s[14:15], s[6:7]
	v_cndmask_b32_e64 v2, v26, v25, s[6:7]
	v_cndmask_b32_e64 v3, v22, v17, s[6:7]
	v_add_u32_e32 v2, 1, v2
	v_add_u32_e32 v3, -1, v3
	v_min_u32_e32 v3, v2, v3
	v_lshlrev_b32_e32 v3, 2, v3
	ds_read_b32 v3, v3
	v_cndmask_b32_e64 v4, v2, v26, s[6:7]
	v_cndmask_b32_e64 v2, v25, v2, s[6:7]
	v_cmp_lt_u32_e64 s[14:15], v2, v17
	v_cmp_ge_u32_e64 s[12:13], v4, v22
	s_waitcnt lgkmcnt(0)
	v_cndmask_b32_e64 v5, v3, v1, s[6:7]
	v_cndmask_b32_e64 v3, v0, v3, s[6:7]
	v_cmp_le_u32_e64 s[16:17], v3, v5
	s_and_b64 s[14:15], s[14:15], s[16:17]
	s_or_b64 s[12:13], s[12:13], s[14:15]
	v_cndmask_b32_e64 v6, v4, v2, s[12:13]
	v_cndmask_b32_e64 v7, v22, v17, s[12:13]
	v_add_u32_e32 v6, 1, v6
	v_add_u32_e32 v7, -1, v7
	v_min_u32_e32 v7, v6, v7
	v_lshlrev_b32_e32 v7, 2, v7
	ds_read_b32 v7, v7
	v_cndmask_b32_e64 v2, v2, v6, s[12:13]
	v_cndmask_b32_e64 v4, v6, v4, s[12:13]
	v_cmp_lt_u32_e64 s[16:17], v2, v17
	v_cmp_ge_u32_e64 s[14:15], v4, v22
	s_waitcnt lgkmcnt(0)
	v_cndmask_b32_e64 v23, v7, v5, s[12:13]
	v_cndmask_b32_e64 v7, v3, v7, s[12:13]
	;; [unrolled: 17-line block ×5, first 2 shown]
	v_cmp_le_u32_e64 s[24:25], v28, v29
	s_and_b64 s[22:23], s[22:23], s[24:25]
	s_or_b64 s[20:21], s[20:21], s[22:23]
	v_cndmask_b32_e64 v2, v4, v6, s[20:21]
	v_cndmask_b32_e64 v30, v22, v17, s[20:21]
	v_add_u32_e32 v31, 1, v2
	v_add_u32_e32 v2, -1, v30
	v_min_u32_e32 v2, v31, v2
	v_lshlrev_b32_e32 v2, 2, v2
	ds_read_b32 v30, v2
	v_cndmask_b32_e64 v2, v23, v7, s[14:15]
	v_cndmask_b32_e64 v0, v1, v0, s[6:7]
	;; [unrolled: 1-line block ×4, first 2 shown]
	s_waitcnt lgkmcnt(0)
	v_cndmask_b32_e64 v7, v30, v29, s[20:21]
	v_cndmask_b32_e64 v23, v28, v30, s[20:21]
	;; [unrolled: 1-line block ×4, first 2 shown]
	v_cmp_lt_u32_e64 s[12:13], v31, v17
	v_cmp_le_u32_e64 s[14:15], v23, v7
	v_cmp_ge_u32_e64 s[6:7], v30, v22
	s_and_b64 s[12:13], s[12:13], s[14:15]
	s_or_b64 s[6:7], s[6:7], s[12:13]
	v_cndmask_b32_e64 v3, v30, v31, s[6:7]
	v_cndmask_b32_e64 v4, v22, v17, s[6:7]
	v_add_u32_e32 v32, 1, v3
	v_add_u32_e32 v3, -1, v4
	v_min_u32_e32 v3, v32, v3
	v_lshlrev_b32_e32 v3, 2, v3
	ds_read_b32 v33, v3
	v_cndmask_b32_e64 v3, v25, v24, s[16:17]
	v_cndmask_b32_e64 v6, v7, v23, s[6:7]
	;; [unrolled: 1-line block ×4, first 2 shown]
	s_waitcnt lgkmcnt(0)
	v_cndmask_b32_e64 v23, v23, v33, s[6:7]
	v_cndmask_b32_e64 v7, v33, v7, s[6:7]
	;; [unrolled: 1-line block ×3, first 2 shown]
	v_min_u32_e32 v26, v23, v7
	v_cmp_lt_u32_e64 s[6:7], v25, v17
	v_cndmask_b32_e64 v7, v7, v26, s[6:7]
	v_cmp_lt_u32_e64 s[6:7], v24, v22
	v_cndmask_b32_e64 v7, v23, v7, s[6:7]
.LBB3156_145:                           ;   in Loop: Header=BB3156_146 Depth=1
	s_or_b64 exec, exec, s[28:29]
	s_cmp_lt_u32 s30, s39
	s_barrier
	s_cbranch_scc0 .LBB3156_155
.LBB3156_146:                           ; =>This Loop Header: Depth=1
                                        ;     Child Loop BB3156_148 Depth 2
	s_mov_b32 s6, s30
	s_lshl_b32 s30, s30, 1
	s_sub_i32 s12, 0, s30
	v_and_b32_e32 v25, s12, v15
	v_add_u32_e32 v17, s6, v25
	v_min_u32_e32 v17, s39, v17
	s_add_i32 s7, s30, -1
	v_add_u32_e32 v22, s6, v17
	v_min_u32_e32 v22, s39, v22
	v_and_b32_e32 v23, s7, v15
	v_min_u32_e32 v26, s39, v23
	v_sub_u32_e32 v27, v17, v25
	v_sub_u32_e32 v24, v22, v17
	v_sub_u32_e64 v24, v26, v24 clamp
	v_min_u32_e32 v27, v26, v27
	v_lshlrev_b32_e32 v23, 2, v25
	v_cmp_lt_u32_e64 s[6:7], v24, v27
	ds_write_b128 v16, v[0:3]
	ds_write_b128 v16, v[4:7] offset:16
	s_waitcnt lgkmcnt(0)
	s_barrier
	s_and_saveexec_b64 s[12:13], s[6:7]
	s_cbranch_execz .LBB3156_150
; %bb.147:                              ;   in Loop: Header=BB3156_146 Depth=1
	v_lshlrev_b32_e32 v28, 2, v26
	v_lshl_add_u32 v28, v17, 2, v28
	s_mov_b64 s[14:15], 0
.LBB3156_148:                           ;   Parent Loop BB3156_146 Depth=1
                                        ; =>  This Inner Loop Header: Depth=2
	v_add_u32_e32 v29, v27, v24
	v_lshrrev_b32_e32 v29, 1, v29
	v_not_b32_e32 v30, v29
	v_lshl_add_u32 v31, v29, 2, v23
	v_lshl_add_u32 v30, v30, 2, v28
	ds_read_b32 v31, v31
	ds_read_b32 v30, v30
	v_add_u32_e32 v32, 1, v29
	s_waitcnt lgkmcnt(0)
	v_cmp_gt_u32_e64 s[6:7], v31, v30
	v_cndmask_b32_e64 v27, v27, v29, s[6:7]
	v_cndmask_b32_e64 v24, v32, v24, s[6:7]
	v_cmp_ge_u32_e64 s[6:7], v24, v27
	s_or_b64 s[14:15], s[6:7], s[14:15]
	s_andn2_b64 exec, exec, s[14:15]
	s_cbranch_execnz .LBB3156_148
; %bb.149:                              ;   in Loop: Header=BB3156_146 Depth=1
	s_or_b64 exec, exec, s[14:15]
.LBB3156_150:                           ;   in Loop: Header=BB3156_146 Depth=1
	s_or_b64 exec, exec, s[12:13]
	v_sub_u32_e32 v26, v26, v24
	v_add_u32_e32 v25, v24, v25
	v_add_u32_e32 v26, v26, v17
	v_cmp_le_u32_e64 s[6:7], v25, v17
	v_cmp_le_u32_e64 s[12:13], v26, v22
	s_or_b64 s[6:7], s[6:7], s[12:13]
	s_and_saveexec_b64 s[28:29], s[6:7]
	s_cbranch_execz .LBB3156_145
; %bb.151:                              ;   in Loop: Header=BB3156_146 Depth=1
	v_cmp_lt_u32_e64 s[12:13], v25, v17
                                        ; implicit-def: $vgpr0
	s_and_saveexec_b64 s[6:7], s[12:13]
	s_cbranch_execz .LBB3156_153
; %bb.152:                              ;   in Loop: Header=BB3156_146 Depth=1
	v_lshl_add_u32 v0, v24, 2, v23
	ds_read_b32 v0, v0
.LBB3156_153:                           ;   in Loop: Header=BB3156_146 Depth=1
	s_or_b64 exec, exec, s[6:7]
	v_cmp_ge_u32_e64 s[14:15], v26, v22
	v_cmp_lt_u32_e64 s[6:7], v26, v22
                                        ; implicit-def: $vgpr1
	s_and_saveexec_b64 s[16:17], s[6:7]
	s_cbranch_execz .LBB3156_144
; %bb.154:                              ;   in Loop: Header=BB3156_146 Depth=1
	v_lshlrev_b32_e32 v1, 2, v26
	ds_read_b32 v1, v1
	s_branch .LBB3156_144
.LBB3156_155:
	v_lshl_add_u32 v14, v14, 2, v16
	s_barrier
	ds_write2_b32 v14, v0, v1 offset1:1
	ds_write2_b32 v14, v2, v3 offset0:2 offset1:3
	ds_write2_b32 v14, v4, v5 offset0:4 offset1:5
	;; [unrolled: 1-line block ×3, first 2 shown]
	s_waitcnt lgkmcnt(0)
	s_barrier
	ds_read_b32 v9, v9 offset:1024
	ds_read_b32 v7, v10 offset:2048
	ds_read_b32 v6, v13 offset:3072
	ds_read_b32 v5, v18 offset:4096
	ds_read_b32 v4, v19 offset:5120
	ds_read_b32 v3, v20 offset:6144
	ds_read_b32 v2, v21 offset:7168
	v_mov_b32_e32 v1, s38
	v_add_co_u32_e64 v0, s[6:7], s33, v11
	v_mov_b32_e32 v13, 0
	v_addc_co_u32_e64 v1, s[6:7], 0, v1, s[6:7]
	s_and_saveexec_b64 s[6:7], vcc
	s_cbranch_execnz .LBB3156_167
; %bb.156:
	s_or_b64 exec, exec, s[6:7]
	s_and_saveexec_b64 s[6:7], s[0:1]
	s_cbranch_execnz .LBB3156_168
.LBB3156_157:
	s_or_b64 exec, exec, s[6:7]
	s_and_saveexec_b64 s[0:1], s[2:3]
	s_cbranch_execnz .LBB3156_169
.LBB3156_158:
	s_or_b64 exec, exec, s[0:1]
	s_and_saveexec_b64 s[0:1], s[4:5]
	s_cbranch_execnz .LBB3156_170
.LBB3156_159:
	s_or_b64 exec, exec, s[0:1]
	s_and_saveexec_b64 s[0:1], s[26:27]
	s_cbranch_execnz .LBB3156_171
.LBB3156_160:
	s_or_b64 exec, exec, s[0:1]
	s_and_saveexec_b64 s[0:1], s[8:9]
	s_cbranch_execnz .LBB3156_172
.LBB3156_161:
	s_or_b64 exec, exec, s[0:1]
	s_and_saveexec_b64 s[0:1], s[10:11]
	s_cbranch_execz .LBB3156_163
.LBB3156_162:
	v_add_co_u32_e32 v0, vcc, 0x1000, v0
	v_addc_co_u32_e32 v1, vcc, 0, v1, vcc
	s_waitcnt lgkmcnt(0)
	flat_store_dword v[0:1], v3 offset:2048
.LBB3156_163:
	s_or_b64 exec, exec, s[0:1]
.LBB3156_164:
	s_and_saveexec_b64 s[0:1], s[36:37]
	s_cbranch_execz .LBB3156_166
; %bb.165:
	v_lshlrev_b64 v[0:1], 2, v[12:13]
	s_waitcnt lgkmcnt(0)
	v_mov_b32_e32 v3, s38
	v_add_co_u32_e32 v0, vcc, s33, v0
	v_addc_co_u32_e32 v1, vcc, v3, v1, vcc
	v_add_co_u32_e32 v0, vcc, 0x1000, v0
	v_addc_co_u32_e32 v1, vcc, 0, v1, vcc
	flat_store_dword v[0:1], v2 offset:3072
.LBB3156_166:
	s_endpgm
.LBB3156_167:
	ds_read_b32 v8, v8
	s_waitcnt lgkmcnt(0)
	flat_store_dword v[0:1], v8
	s_or_b64 exec, exec, s[6:7]
	s_and_saveexec_b64 s[6:7], s[0:1]
	s_cbranch_execz .LBB3156_157
.LBB3156_168:
	s_waitcnt lgkmcnt(0)
	flat_store_dword v[0:1], v9 offset:1024
	s_or_b64 exec, exec, s[6:7]
	s_and_saveexec_b64 s[0:1], s[2:3]
	s_cbranch_execz .LBB3156_158
.LBB3156_169:
	s_waitcnt lgkmcnt(0)
	flat_store_dword v[0:1], v7 offset:2048
	s_or_b64 exec, exec, s[0:1]
	s_and_saveexec_b64 s[0:1], s[4:5]
	s_cbranch_execz .LBB3156_159
.LBB3156_170:
	s_waitcnt lgkmcnt(0)
	flat_store_dword v[0:1], v6 offset:3072
	s_or_b64 exec, exec, s[0:1]
	s_and_saveexec_b64 s[0:1], s[26:27]
	s_cbranch_execz .LBB3156_160
.LBB3156_171:
	s_waitcnt lgkmcnt(0)
	v_add_co_u32_e32 v6, vcc, 0x1000, v0
	v_addc_co_u32_e32 v7, vcc, 0, v1, vcc
	flat_store_dword v[6:7], v5
	s_or_b64 exec, exec, s[0:1]
	s_and_saveexec_b64 s[0:1], s[8:9]
	s_cbranch_execz .LBB3156_161
.LBB3156_172:
	s_waitcnt lgkmcnt(0)
	v_add_co_u32_e32 v6, vcc, 0x1000, v0
	v_addc_co_u32_e32 v7, vcc, 0, v1, vcc
	flat_store_dword v[6:7], v4 offset:1024
	s_or_b64 exec, exec, s[0:1]
	s_and_saveexec_b64 s[0:1], s[10:11]
	s_cbranch_execnz .LBB3156_162
	s_branch .LBB3156_163
	.section	.rodata,"a",@progbits
	.p2align	6, 0x0
	.amdhsa_kernel _ZN7rocprim17ROCPRIM_400000_NS6detail17trampoline_kernelINS0_14default_configENS1_37merge_sort_block_sort_config_selectorIjNS0_10empty_typeEEEZNS1_21merge_sort_block_sortIS3_N6thrust23THRUST_200600_302600_NS6detail15normal_iteratorINS9_10device_ptrIjEEEESE_PS5_SF_14custom_greaterIjEEE10hipError_tT0_T1_T2_T3_mRjT4_P12ihipStream_tbNS1_7vsmem_tEEUlT_E_NS1_11comp_targetILNS1_3genE4ELNS1_11target_archE910ELNS1_3gpuE8ELNS1_3repE0EEENS1_30default_config_static_selectorELNS0_4arch9wavefront6targetE1EEEvSK_
		.amdhsa_group_segment_fixed_size 8448
		.amdhsa_private_segment_fixed_size 0
		.amdhsa_kernarg_size 320
		.amdhsa_user_sgpr_count 6
		.amdhsa_user_sgpr_private_segment_buffer 1
		.amdhsa_user_sgpr_dispatch_ptr 0
		.amdhsa_user_sgpr_queue_ptr 0
		.amdhsa_user_sgpr_kernarg_segment_ptr 1
		.amdhsa_user_sgpr_dispatch_id 0
		.amdhsa_user_sgpr_flat_scratch_init 0
		.amdhsa_user_sgpr_kernarg_preload_length 0
		.amdhsa_user_sgpr_kernarg_preload_offset 0
		.amdhsa_user_sgpr_private_segment_size 0
		.amdhsa_uses_dynamic_stack 0
		.amdhsa_system_sgpr_private_segment_wavefront_offset 0
		.amdhsa_system_sgpr_workgroup_id_x 1
		.amdhsa_system_sgpr_workgroup_id_y 1
		.amdhsa_system_sgpr_workgroup_id_z 1
		.amdhsa_system_sgpr_workgroup_info 0
		.amdhsa_system_vgpr_workitem_id 2
		.amdhsa_next_free_vgpr 41
		.amdhsa_next_free_sgpr 40
		.amdhsa_accum_offset 44
		.amdhsa_reserve_vcc 1
		.amdhsa_reserve_flat_scratch 0
		.amdhsa_float_round_mode_32 0
		.amdhsa_float_round_mode_16_64 0
		.amdhsa_float_denorm_mode_32 3
		.amdhsa_float_denorm_mode_16_64 3
		.amdhsa_dx10_clamp 1
		.amdhsa_ieee_mode 1
		.amdhsa_fp16_overflow 0
		.amdhsa_tg_split 0
		.amdhsa_exception_fp_ieee_invalid_op 0
		.amdhsa_exception_fp_denorm_src 0
		.amdhsa_exception_fp_ieee_div_zero 0
		.amdhsa_exception_fp_ieee_overflow 0
		.amdhsa_exception_fp_ieee_underflow 0
		.amdhsa_exception_fp_ieee_inexact 0
		.amdhsa_exception_int_div_zero 0
	.end_amdhsa_kernel
	.section	.text._ZN7rocprim17ROCPRIM_400000_NS6detail17trampoline_kernelINS0_14default_configENS1_37merge_sort_block_sort_config_selectorIjNS0_10empty_typeEEEZNS1_21merge_sort_block_sortIS3_N6thrust23THRUST_200600_302600_NS6detail15normal_iteratorINS9_10device_ptrIjEEEESE_PS5_SF_14custom_greaterIjEEE10hipError_tT0_T1_T2_T3_mRjT4_P12ihipStream_tbNS1_7vsmem_tEEUlT_E_NS1_11comp_targetILNS1_3genE4ELNS1_11target_archE910ELNS1_3gpuE8ELNS1_3repE0EEENS1_30default_config_static_selectorELNS0_4arch9wavefront6targetE1EEEvSK_,"axG",@progbits,_ZN7rocprim17ROCPRIM_400000_NS6detail17trampoline_kernelINS0_14default_configENS1_37merge_sort_block_sort_config_selectorIjNS0_10empty_typeEEEZNS1_21merge_sort_block_sortIS3_N6thrust23THRUST_200600_302600_NS6detail15normal_iteratorINS9_10device_ptrIjEEEESE_PS5_SF_14custom_greaterIjEEE10hipError_tT0_T1_T2_T3_mRjT4_P12ihipStream_tbNS1_7vsmem_tEEUlT_E_NS1_11comp_targetILNS1_3genE4ELNS1_11target_archE910ELNS1_3gpuE8ELNS1_3repE0EEENS1_30default_config_static_selectorELNS0_4arch9wavefront6targetE1EEEvSK_,comdat
.Lfunc_end3156:
	.size	_ZN7rocprim17ROCPRIM_400000_NS6detail17trampoline_kernelINS0_14default_configENS1_37merge_sort_block_sort_config_selectorIjNS0_10empty_typeEEEZNS1_21merge_sort_block_sortIS3_N6thrust23THRUST_200600_302600_NS6detail15normal_iteratorINS9_10device_ptrIjEEEESE_PS5_SF_14custom_greaterIjEEE10hipError_tT0_T1_T2_T3_mRjT4_P12ihipStream_tbNS1_7vsmem_tEEUlT_E_NS1_11comp_targetILNS1_3genE4ELNS1_11target_archE910ELNS1_3gpuE8ELNS1_3repE0EEENS1_30default_config_static_selectorELNS0_4arch9wavefront6targetE1EEEvSK_, .Lfunc_end3156-_ZN7rocprim17ROCPRIM_400000_NS6detail17trampoline_kernelINS0_14default_configENS1_37merge_sort_block_sort_config_selectorIjNS0_10empty_typeEEEZNS1_21merge_sort_block_sortIS3_N6thrust23THRUST_200600_302600_NS6detail15normal_iteratorINS9_10device_ptrIjEEEESE_PS5_SF_14custom_greaterIjEEE10hipError_tT0_T1_T2_T3_mRjT4_P12ihipStream_tbNS1_7vsmem_tEEUlT_E_NS1_11comp_targetILNS1_3genE4ELNS1_11target_archE910ELNS1_3gpuE8ELNS1_3repE0EEENS1_30default_config_static_selectorELNS0_4arch9wavefront6targetE1EEEvSK_
                                        ; -- End function
	.section	.AMDGPU.csdata,"",@progbits
; Kernel info:
; codeLenInByte = 18472
; NumSgprs: 44
; NumVgprs: 41
; NumAgprs: 0
; TotalNumVgprs: 41
; ScratchSize: 0
; MemoryBound: 0
; FloatMode: 240
; IeeeMode: 1
; LDSByteSize: 8448 bytes/workgroup (compile time only)
; SGPRBlocks: 5
; VGPRBlocks: 5
; NumSGPRsForWavesPerEU: 44
; NumVGPRsForWavesPerEU: 41
; AccumOffset: 44
; Occupancy: 7
; WaveLimiterHint : 1
; COMPUTE_PGM_RSRC2:SCRATCH_EN: 0
; COMPUTE_PGM_RSRC2:USER_SGPR: 6
; COMPUTE_PGM_RSRC2:TRAP_HANDLER: 0
; COMPUTE_PGM_RSRC2:TGID_X_EN: 1
; COMPUTE_PGM_RSRC2:TGID_Y_EN: 1
; COMPUTE_PGM_RSRC2:TGID_Z_EN: 1
; COMPUTE_PGM_RSRC2:TIDIG_COMP_CNT: 2
; COMPUTE_PGM_RSRC3_GFX90A:ACCUM_OFFSET: 10
; COMPUTE_PGM_RSRC3_GFX90A:TG_SPLIT: 0
	.section	.text._ZN7rocprim17ROCPRIM_400000_NS6detail17trampoline_kernelINS0_14default_configENS1_37merge_sort_block_sort_config_selectorIjNS0_10empty_typeEEEZNS1_21merge_sort_block_sortIS3_N6thrust23THRUST_200600_302600_NS6detail15normal_iteratorINS9_10device_ptrIjEEEESE_PS5_SF_14custom_greaterIjEEE10hipError_tT0_T1_T2_T3_mRjT4_P12ihipStream_tbNS1_7vsmem_tEEUlT_E_NS1_11comp_targetILNS1_3genE3ELNS1_11target_archE908ELNS1_3gpuE7ELNS1_3repE0EEENS1_30default_config_static_selectorELNS0_4arch9wavefront6targetE1EEEvSK_,"axG",@progbits,_ZN7rocprim17ROCPRIM_400000_NS6detail17trampoline_kernelINS0_14default_configENS1_37merge_sort_block_sort_config_selectorIjNS0_10empty_typeEEEZNS1_21merge_sort_block_sortIS3_N6thrust23THRUST_200600_302600_NS6detail15normal_iteratorINS9_10device_ptrIjEEEESE_PS5_SF_14custom_greaterIjEEE10hipError_tT0_T1_T2_T3_mRjT4_P12ihipStream_tbNS1_7vsmem_tEEUlT_E_NS1_11comp_targetILNS1_3genE3ELNS1_11target_archE908ELNS1_3gpuE7ELNS1_3repE0EEENS1_30default_config_static_selectorELNS0_4arch9wavefront6targetE1EEEvSK_,comdat
	.protected	_ZN7rocprim17ROCPRIM_400000_NS6detail17trampoline_kernelINS0_14default_configENS1_37merge_sort_block_sort_config_selectorIjNS0_10empty_typeEEEZNS1_21merge_sort_block_sortIS3_N6thrust23THRUST_200600_302600_NS6detail15normal_iteratorINS9_10device_ptrIjEEEESE_PS5_SF_14custom_greaterIjEEE10hipError_tT0_T1_T2_T3_mRjT4_P12ihipStream_tbNS1_7vsmem_tEEUlT_E_NS1_11comp_targetILNS1_3genE3ELNS1_11target_archE908ELNS1_3gpuE7ELNS1_3repE0EEENS1_30default_config_static_selectorELNS0_4arch9wavefront6targetE1EEEvSK_ ; -- Begin function _ZN7rocprim17ROCPRIM_400000_NS6detail17trampoline_kernelINS0_14default_configENS1_37merge_sort_block_sort_config_selectorIjNS0_10empty_typeEEEZNS1_21merge_sort_block_sortIS3_N6thrust23THRUST_200600_302600_NS6detail15normal_iteratorINS9_10device_ptrIjEEEESE_PS5_SF_14custom_greaterIjEEE10hipError_tT0_T1_T2_T3_mRjT4_P12ihipStream_tbNS1_7vsmem_tEEUlT_E_NS1_11comp_targetILNS1_3genE3ELNS1_11target_archE908ELNS1_3gpuE7ELNS1_3repE0EEENS1_30default_config_static_selectorELNS0_4arch9wavefront6targetE1EEEvSK_
	.globl	_ZN7rocprim17ROCPRIM_400000_NS6detail17trampoline_kernelINS0_14default_configENS1_37merge_sort_block_sort_config_selectorIjNS0_10empty_typeEEEZNS1_21merge_sort_block_sortIS3_N6thrust23THRUST_200600_302600_NS6detail15normal_iteratorINS9_10device_ptrIjEEEESE_PS5_SF_14custom_greaterIjEEE10hipError_tT0_T1_T2_T3_mRjT4_P12ihipStream_tbNS1_7vsmem_tEEUlT_E_NS1_11comp_targetILNS1_3genE3ELNS1_11target_archE908ELNS1_3gpuE7ELNS1_3repE0EEENS1_30default_config_static_selectorELNS0_4arch9wavefront6targetE1EEEvSK_
	.p2align	8
	.type	_ZN7rocprim17ROCPRIM_400000_NS6detail17trampoline_kernelINS0_14default_configENS1_37merge_sort_block_sort_config_selectorIjNS0_10empty_typeEEEZNS1_21merge_sort_block_sortIS3_N6thrust23THRUST_200600_302600_NS6detail15normal_iteratorINS9_10device_ptrIjEEEESE_PS5_SF_14custom_greaterIjEEE10hipError_tT0_T1_T2_T3_mRjT4_P12ihipStream_tbNS1_7vsmem_tEEUlT_E_NS1_11comp_targetILNS1_3genE3ELNS1_11target_archE908ELNS1_3gpuE7ELNS1_3repE0EEENS1_30default_config_static_selectorELNS0_4arch9wavefront6targetE1EEEvSK_,@function
_ZN7rocprim17ROCPRIM_400000_NS6detail17trampoline_kernelINS0_14default_configENS1_37merge_sort_block_sort_config_selectorIjNS0_10empty_typeEEEZNS1_21merge_sort_block_sortIS3_N6thrust23THRUST_200600_302600_NS6detail15normal_iteratorINS9_10device_ptrIjEEEESE_PS5_SF_14custom_greaterIjEEE10hipError_tT0_T1_T2_T3_mRjT4_P12ihipStream_tbNS1_7vsmem_tEEUlT_E_NS1_11comp_targetILNS1_3genE3ELNS1_11target_archE908ELNS1_3gpuE7ELNS1_3repE0EEENS1_30default_config_static_selectorELNS0_4arch9wavefront6targetE1EEEvSK_: ; @_ZN7rocprim17ROCPRIM_400000_NS6detail17trampoline_kernelINS0_14default_configENS1_37merge_sort_block_sort_config_selectorIjNS0_10empty_typeEEEZNS1_21merge_sort_block_sortIS3_N6thrust23THRUST_200600_302600_NS6detail15normal_iteratorINS9_10device_ptrIjEEEESE_PS5_SF_14custom_greaterIjEEE10hipError_tT0_T1_T2_T3_mRjT4_P12ihipStream_tbNS1_7vsmem_tEEUlT_E_NS1_11comp_targetILNS1_3genE3ELNS1_11target_archE908ELNS1_3gpuE7ELNS1_3repE0EEENS1_30default_config_static_selectorELNS0_4arch9wavefront6targetE1EEEvSK_
; %bb.0:
	.section	.rodata,"a",@progbits
	.p2align	6, 0x0
	.amdhsa_kernel _ZN7rocprim17ROCPRIM_400000_NS6detail17trampoline_kernelINS0_14default_configENS1_37merge_sort_block_sort_config_selectorIjNS0_10empty_typeEEEZNS1_21merge_sort_block_sortIS3_N6thrust23THRUST_200600_302600_NS6detail15normal_iteratorINS9_10device_ptrIjEEEESE_PS5_SF_14custom_greaterIjEEE10hipError_tT0_T1_T2_T3_mRjT4_P12ihipStream_tbNS1_7vsmem_tEEUlT_E_NS1_11comp_targetILNS1_3genE3ELNS1_11target_archE908ELNS1_3gpuE7ELNS1_3repE0EEENS1_30default_config_static_selectorELNS0_4arch9wavefront6targetE1EEEvSK_
		.amdhsa_group_segment_fixed_size 0
		.amdhsa_private_segment_fixed_size 0
		.amdhsa_kernarg_size 64
		.amdhsa_user_sgpr_count 6
		.amdhsa_user_sgpr_private_segment_buffer 1
		.amdhsa_user_sgpr_dispatch_ptr 0
		.amdhsa_user_sgpr_queue_ptr 0
		.amdhsa_user_sgpr_kernarg_segment_ptr 1
		.amdhsa_user_sgpr_dispatch_id 0
		.amdhsa_user_sgpr_flat_scratch_init 0
		.amdhsa_user_sgpr_kernarg_preload_length 0
		.amdhsa_user_sgpr_kernarg_preload_offset 0
		.amdhsa_user_sgpr_private_segment_size 0
		.amdhsa_uses_dynamic_stack 0
		.amdhsa_system_sgpr_private_segment_wavefront_offset 0
		.amdhsa_system_sgpr_workgroup_id_x 1
		.amdhsa_system_sgpr_workgroup_id_y 0
		.amdhsa_system_sgpr_workgroup_id_z 0
		.amdhsa_system_sgpr_workgroup_info 0
		.amdhsa_system_vgpr_workitem_id 0
		.amdhsa_next_free_vgpr 1
		.amdhsa_next_free_sgpr 0
		.amdhsa_accum_offset 4
		.amdhsa_reserve_vcc 0
		.amdhsa_reserve_flat_scratch 0
		.amdhsa_float_round_mode_32 0
		.amdhsa_float_round_mode_16_64 0
		.amdhsa_float_denorm_mode_32 3
		.amdhsa_float_denorm_mode_16_64 3
		.amdhsa_dx10_clamp 1
		.amdhsa_ieee_mode 1
		.amdhsa_fp16_overflow 0
		.amdhsa_tg_split 0
		.amdhsa_exception_fp_ieee_invalid_op 0
		.amdhsa_exception_fp_denorm_src 0
		.amdhsa_exception_fp_ieee_div_zero 0
		.amdhsa_exception_fp_ieee_overflow 0
		.amdhsa_exception_fp_ieee_underflow 0
		.amdhsa_exception_fp_ieee_inexact 0
		.amdhsa_exception_int_div_zero 0
	.end_amdhsa_kernel
	.section	.text._ZN7rocprim17ROCPRIM_400000_NS6detail17trampoline_kernelINS0_14default_configENS1_37merge_sort_block_sort_config_selectorIjNS0_10empty_typeEEEZNS1_21merge_sort_block_sortIS3_N6thrust23THRUST_200600_302600_NS6detail15normal_iteratorINS9_10device_ptrIjEEEESE_PS5_SF_14custom_greaterIjEEE10hipError_tT0_T1_T2_T3_mRjT4_P12ihipStream_tbNS1_7vsmem_tEEUlT_E_NS1_11comp_targetILNS1_3genE3ELNS1_11target_archE908ELNS1_3gpuE7ELNS1_3repE0EEENS1_30default_config_static_selectorELNS0_4arch9wavefront6targetE1EEEvSK_,"axG",@progbits,_ZN7rocprim17ROCPRIM_400000_NS6detail17trampoline_kernelINS0_14default_configENS1_37merge_sort_block_sort_config_selectorIjNS0_10empty_typeEEEZNS1_21merge_sort_block_sortIS3_N6thrust23THRUST_200600_302600_NS6detail15normal_iteratorINS9_10device_ptrIjEEEESE_PS5_SF_14custom_greaterIjEEE10hipError_tT0_T1_T2_T3_mRjT4_P12ihipStream_tbNS1_7vsmem_tEEUlT_E_NS1_11comp_targetILNS1_3genE3ELNS1_11target_archE908ELNS1_3gpuE7ELNS1_3repE0EEENS1_30default_config_static_selectorELNS0_4arch9wavefront6targetE1EEEvSK_,comdat
.Lfunc_end3157:
	.size	_ZN7rocprim17ROCPRIM_400000_NS6detail17trampoline_kernelINS0_14default_configENS1_37merge_sort_block_sort_config_selectorIjNS0_10empty_typeEEEZNS1_21merge_sort_block_sortIS3_N6thrust23THRUST_200600_302600_NS6detail15normal_iteratorINS9_10device_ptrIjEEEESE_PS5_SF_14custom_greaterIjEEE10hipError_tT0_T1_T2_T3_mRjT4_P12ihipStream_tbNS1_7vsmem_tEEUlT_E_NS1_11comp_targetILNS1_3genE3ELNS1_11target_archE908ELNS1_3gpuE7ELNS1_3repE0EEENS1_30default_config_static_selectorELNS0_4arch9wavefront6targetE1EEEvSK_, .Lfunc_end3157-_ZN7rocprim17ROCPRIM_400000_NS6detail17trampoline_kernelINS0_14default_configENS1_37merge_sort_block_sort_config_selectorIjNS0_10empty_typeEEEZNS1_21merge_sort_block_sortIS3_N6thrust23THRUST_200600_302600_NS6detail15normal_iteratorINS9_10device_ptrIjEEEESE_PS5_SF_14custom_greaterIjEEE10hipError_tT0_T1_T2_T3_mRjT4_P12ihipStream_tbNS1_7vsmem_tEEUlT_E_NS1_11comp_targetILNS1_3genE3ELNS1_11target_archE908ELNS1_3gpuE7ELNS1_3repE0EEENS1_30default_config_static_selectorELNS0_4arch9wavefront6targetE1EEEvSK_
                                        ; -- End function
	.section	.AMDGPU.csdata,"",@progbits
; Kernel info:
; codeLenInByte = 0
; NumSgprs: 4
; NumVgprs: 0
; NumAgprs: 0
; TotalNumVgprs: 0
; ScratchSize: 0
; MemoryBound: 0
; FloatMode: 240
; IeeeMode: 1
; LDSByteSize: 0 bytes/workgroup (compile time only)
; SGPRBlocks: 0
; VGPRBlocks: 0
; NumSGPRsForWavesPerEU: 4
; NumVGPRsForWavesPerEU: 1
; AccumOffset: 4
; Occupancy: 8
; WaveLimiterHint : 0
; COMPUTE_PGM_RSRC2:SCRATCH_EN: 0
; COMPUTE_PGM_RSRC2:USER_SGPR: 6
; COMPUTE_PGM_RSRC2:TRAP_HANDLER: 0
; COMPUTE_PGM_RSRC2:TGID_X_EN: 1
; COMPUTE_PGM_RSRC2:TGID_Y_EN: 0
; COMPUTE_PGM_RSRC2:TGID_Z_EN: 0
; COMPUTE_PGM_RSRC2:TIDIG_COMP_CNT: 0
; COMPUTE_PGM_RSRC3_GFX90A:ACCUM_OFFSET: 0
; COMPUTE_PGM_RSRC3_GFX90A:TG_SPLIT: 0
	.section	.text._ZN7rocprim17ROCPRIM_400000_NS6detail17trampoline_kernelINS0_14default_configENS1_37merge_sort_block_sort_config_selectorIjNS0_10empty_typeEEEZNS1_21merge_sort_block_sortIS3_N6thrust23THRUST_200600_302600_NS6detail15normal_iteratorINS9_10device_ptrIjEEEESE_PS5_SF_14custom_greaterIjEEE10hipError_tT0_T1_T2_T3_mRjT4_P12ihipStream_tbNS1_7vsmem_tEEUlT_E_NS1_11comp_targetILNS1_3genE2ELNS1_11target_archE906ELNS1_3gpuE6ELNS1_3repE0EEENS1_30default_config_static_selectorELNS0_4arch9wavefront6targetE1EEEvSK_,"axG",@progbits,_ZN7rocprim17ROCPRIM_400000_NS6detail17trampoline_kernelINS0_14default_configENS1_37merge_sort_block_sort_config_selectorIjNS0_10empty_typeEEEZNS1_21merge_sort_block_sortIS3_N6thrust23THRUST_200600_302600_NS6detail15normal_iteratorINS9_10device_ptrIjEEEESE_PS5_SF_14custom_greaterIjEEE10hipError_tT0_T1_T2_T3_mRjT4_P12ihipStream_tbNS1_7vsmem_tEEUlT_E_NS1_11comp_targetILNS1_3genE2ELNS1_11target_archE906ELNS1_3gpuE6ELNS1_3repE0EEENS1_30default_config_static_selectorELNS0_4arch9wavefront6targetE1EEEvSK_,comdat
	.protected	_ZN7rocprim17ROCPRIM_400000_NS6detail17trampoline_kernelINS0_14default_configENS1_37merge_sort_block_sort_config_selectorIjNS0_10empty_typeEEEZNS1_21merge_sort_block_sortIS3_N6thrust23THRUST_200600_302600_NS6detail15normal_iteratorINS9_10device_ptrIjEEEESE_PS5_SF_14custom_greaterIjEEE10hipError_tT0_T1_T2_T3_mRjT4_P12ihipStream_tbNS1_7vsmem_tEEUlT_E_NS1_11comp_targetILNS1_3genE2ELNS1_11target_archE906ELNS1_3gpuE6ELNS1_3repE0EEENS1_30default_config_static_selectorELNS0_4arch9wavefront6targetE1EEEvSK_ ; -- Begin function _ZN7rocprim17ROCPRIM_400000_NS6detail17trampoline_kernelINS0_14default_configENS1_37merge_sort_block_sort_config_selectorIjNS0_10empty_typeEEEZNS1_21merge_sort_block_sortIS3_N6thrust23THRUST_200600_302600_NS6detail15normal_iteratorINS9_10device_ptrIjEEEESE_PS5_SF_14custom_greaterIjEEE10hipError_tT0_T1_T2_T3_mRjT4_P12ihipStream_tbNS1_7vsmem_tEEUlT_E_NS1_11comp_targetILNS1_3genE2ELNS1_11target_archE906ELNS1_3gpuE6ELNS1_3repE0EEENS1_30default_config_static_selectorELNS0_4arch9wavefront6targetE1EEEvSK_
	.globl	_ZN7rocprim17ROCPRIM_400000_NS6detail17trampoline_kernelINS0_14default_configENS1_37merge_sort_block_sort_config_selectorIjNS0_10empty_typeEEEZNS1_21merge_sort_block_sortIS3_N6thrust23THRUST_200600_302600_NS6detail15normal_iteratorINS9_10device_ptrIjEEEESE_PS5_SF_14custom_greaterIjEEE10hipError_tT0_T1_T2_T3_mRjT4_P12ihipStream_tbNS1_7vsmem_tEEUlT_E_NS1_11comp_targetILNS1_3genE2ELNS1_11target_archE906ELNS1_3gpuE6ELNS1_3repE0EEENS1_30default_config_static_selectorELNS0_4arch9wavefront6targetE1EEEvSK_
	.p2align	8
	.type	_ZN7rocprim17ROCPRIM_400000_NS6detail17trampoline_kernelINS0_14default_configENS1_37merge_sort_block_sort_config_selectorIjNS0_10empty_typeEEEZNS1_21merge_sort_block_sortIS3_N6thrust23THRUST_200600_302600_NS6detail15normal_iteratorINS9_10device_ptrIjEEEESE_PS5_SF_14custom_greaterIjEEE10hipError_tT0_T1_T2_T3_mRjT4_P12ihipStream_tbNS1_7vsmem_tEEUlT_E_NS1_11comp_targetILNS1_3genE2ELNS1_11target_archE906ELNS1_3gpuE6ELNS1_3repE0EEENS1_30default_config_static_selectorELNS0_4arch9wavefront6targetE1EEEvSK_,@function
_ZN7rocprim17ROCPRIM_400000_NS6detail17trampoline_kernelINS0_14default_configENS1_37merge_sort_block_sort_config_selectorIjNS0_10empty_typeEEEZNS1_21merge_sort_block_sortIS3_N6thrust23THRUST_200600_302600_NS6detail15normal_iteratorINS9_10device_ptrIjEEEESE_PS5_SF_14custom_greaterIjEEE10hipError_tT0_T1_T2_T3_mRjT4_P12ihipStream_tbNS1_7vsmem_tEEUlT_E_NS1_11comp_targetILNS1_3genE2ELNS1_11target_archE906ELNS1_3gpuE6ELNS1_3repE0EEENS1_30default_config_static_selectorELNS0_4arch9wavefront6targetE1EEEvSK_: ; @_ZN7rocprim17ROCPRIM_400000_NS6detail17trampoline_kernelINS0_14default_configENS1_37merge_sort_block_sort_config_selectorIjNS0_10empty_typeEEEZNS1_21merge_sort_block_sortIS3_N6thrust23THRUST_200600_302600_NS6detail15normal_iteratorINS9_10device_ptrIjEEEESE_PS5_SF_14custom_greaterIjEEE10hipError_tT0_T1_T2_T3_mRjT4_P12ihipStream_tbNS1_7vsmem_tEEUlT_E_NS1_11comp_targetILNS1_3genE2ELNS1_11target_archE906ELNS1_3gpuE6ELNS1_3repE0EEENS1_30default_config_static_selectorELNS0_4arch9wavefront6targetE1EEEvSK_
; %bb.0:
	.section	.rodata,"a",@progbits
	.p2align	6, 0x0
	.amdhsa_kernel _ZN7rocprim17ROCPRIM_400000_NS6detail17trampoline_kernelINS0_14default_configENS1_37merge_sort_block_sort_config_selectorIjNS0_10empty_typeEEEZNS1_21merge_sort_block_sortIS3_N6thrust23THRUST_200600_302600_NS6detail15normal_iteratorINS9_10device_ptrIjEEEESE_PS5_SF_14custom_greaterIjEEE10hipError_tT0_T1_T2_T3_mRjT4_P12ihipStream_tbNS1_7vsmem_tEEUlT_E_NS1_11comp_targetILNS1_3genE2ELNS1_11target_archE906ELNS1_3gpuE6ELNS1_3repE0EEENS1_30default_config_static_selectorELNS0_4arch9wavefront6targetE1EEEvSK_
		.amdhsa_group_segment_fixed_size 0
		.amdhsa_private_segment_fixed_size 0
		.amdhsa_kernarg_size 64
		.amdhsa_user_sgpr_count 6
		.amdhsa_user_sgpr_private_segment_buffer 1
		.amdhsa_user_sgpr_dispatch_ptr 0
		.amdhsa_user_sgpr_queue_ptr 0
		.amdhsa_user_sgpr_kernarg_segment_ptr 1
		.amdhsa_user_sgpr_dispatch_id 0
		.amdhsa_user_sgpr_flat_scratch_init 0
		.amdhsa_user_sgpr_kernarg_preload_length 0
		.amdhsa_user_sgpr_kernarg_preload_offset 0
		.amdhsa_user_sgpr_private_segment_size 0
		.amdhsa_uses_dynamic_stack 0
		.amdhsa_system_sgpr_private_segment_wavefront_offset 0
		.amdhsa_system_sgpr_workgroup_id_x 1
		.amdhsa_system_sgpr_workgroup_id_y 0
		.amdhsa_system_sgpr_workgroup_id_z 0
		.amdhsa_system_sgpr_workgroup_info 0
		.amdhsa_system_vgpr_workitem_id 0
		.amdhsa_next_free_vgpr 1
		.amdhsa_next_free_sgpr 0
		.amdhsa_accum_offset 4
		.amdhsa_reserve_vcc 0
		.amdhsa_reserve_flat_scratch 0
		.amdhsa_float_round_mode_32 0
		.amdhsa_float_round_mode_16_64 0
		.amdhsa_float_denorm_mode_32 3
		.amdhsa_float_denorm_mode_16_64 3
		.amdhsa_dx10_clamp 1
		.amdhsa_ieee_mode 1
		.amdhsa_fp16_overflow 0
		.amdhsa_tg_split 0
		.amdhsa_exception_fp_ieee_invalid_op 0
		.amdhsa_exception_fp_denorm_src 0
		.amdhsa_exception_fp_ieee_div_zero 0
		.amdhsa_exception_fp_ieee_overflow 0
		.amdhsa_exception_fp_ieee_underflow 0
		.amdhsa_exception_fp_ieee_inexact 0
		.amdhsa_exception_int_div_zero 0
	.end_amdhsa_kernel
	.section	.text._ZN7rocprim17ROCPRIM_400000_NS6detail17trampoline_kernelINS0_14default_configENS1_37merge_sort_block_sort_config_selectorIjNS0_10empty_typeEEEZNS1_21merge_sort_block_sortIS3_N6thrust23THRUST_200600_302600_NS6detail15normal_iteratorINS9_10device_ptrIjEEEESE_PS5_SF_14custom_greaterIjEEE10hipError_tT0_T1_T2_T3_mRjT4_P12ihipStream_tbNS1_7vsmem_tEEUlT_E_NS1_11comp_targetILNS1_3genE2ELNS1_11target_archE906ELNS1_3gpuE6ELNS1_3repE0EEENS1_30default_config_static_selectorELNS0_4arch9wavefront6targetE1EEEvSK_,"axG",@progbits,_ZN7rocprim17ROCPRIM_400000_NS6detail17trampoline_kernelINS0_14default_configENS1_37merge_sort_block_sort_config_selectorIjNS0_10empty_typeEEEZNS1_21merge_sort_block_sortIS3_N6thrust23THRUST_200600_302600_NS6detail15normal_iteratorINS9_10device_ptrIjEEEESE_PS5_SF_14custom_greaterIjEEE10hipError_tT0_T1_T2_T3_mRjT4_P12ihipStream_tbNS1_7vsmem_tEEUlT_E_NS1_11comp_targetILNS1_3genE2ELNS1_11target_archE906ELNS1_3gpuE6ELNS1_3repE0EEENS1_30default_config_static_selectorELNS0_4arch9wavefront6targetE1EEEvSK_,comdat
.Lfunc_end3158:
	.size	_ZN7rocprim17ROCPRIM_400000_NS6detail17trampoline_kernelINS0_14default_configENS1_37merge_sort_block_sort_config_selectorIjNS0_10empty_typeEEEZNS1_21merge_sort_block_sortIS3_N6thrust23THRUST_200600_302600_NS6detail15normal_iteratorINS9_10device_ptrIjEEEESE_PS5_SF_14custom_greaterIjEEE10hipError_tT0_T1_T2_T3_mRjT4_P12ihipStream_tbNS1_7vsmem_tEEUlT_E_NS1_11comp_targetILNS1_3genE2ELNS1_11target_archE906ELNS1_3gpuE6ELNS1_3repE0EEENS1_30default_config_static_selectorELNS0_4arch9wavefront6targetE1EEEvSK_, .Lfunc_end3158-_ZN7rocprim17ROCPRIM_400000_NS6detail17trampoline_kernelINS0_14default_configENS1_37merge_sort_block_sort_config_selectorIjNS0_10empty_typeEEEZNS1_21merge_sort_block_sortIS3_N6thrust23THRUST_200600_302600_NS6detail15normal_iteratorINS9_10device_ptrIjEEEESE_PS5_SF_14custom_greaterIjEEE10hipError_tT0_T1_T2_T3_mRjT4_P12ihipStream_tbNS1_7vsmem_tEEUlT_E_NS1_11comp_targetILNS1_3genE2ELNS1_11target_archE906ELNS1_3gpuE6ELNS1_3repE0EEENS1_30default_config_static_selectorELNS0_4arch9wavefront6targetE1EEEvSK_
                                        ; -- End function
	.section	.AMDGPU.csdata,"",@progbits
; Kernel info:
; codeLenInByte = 0
; NumSgprs: 4
; NumVgprs: 0
; NumAgprs: 0
; TotalNumVgprs: 0
; ScratchSize: 0
; MemoryBound: 0
; FloatMode: 240
; IeeeMode: 1
; LDSByteSize: 0 bytes/workgroup (compile time only)
; SGPRBlocks: 0
; VGPRBlocks: 0
; NumSGPRsForWavesPerEU: 4
; NumVGPRsForWavesPerEU: 1
; AccumOffset: 4
; Occupancy: 8
; WaveLimiterHint : 0
; COMPUTE_PGM_RSRC2:SCRATCH_EN: 0
; COMPUTE_PGM_RSRC2:USER_SGPR: 6
; COMPUTE_PGM_RSRC2:TRAP_HANDLER: 0
; COMPUTE_PGM_RSRC2:TGID_X_EN: 1
; COMPUTE_PGM_RSRC2:TGID_Y_EN: 0
; COMPUTE_PGM_RSRC2:TGID_Z_EN: 0
; COMPUTE_PGM_RSRC2:TIDIG_COMP_CNT: 0
; COMPUTE_PGM_RSRC3_GFX90A:ACCUM_OFFSET: 0
; COMPUTE_PGM_RSRC3_GFX90A:TG_SPLIT: 0
	.section	.text._ZN7rocprim17ROCPRIM_400000_NS6detail17trampoline_kernelINS0_14default_configENS1_37merge_sort_block_sort_config_selectorIjNS0_10empty_typeEEEZNS1_21merge_sort_block_sortIS3_N6thrust23THRUST_200600_302600_NS6detail15normal_iteratorINS9_10device_ptrIjEEEESE_PS5_SF_14custom_greaterIjEEE10hipError_tT0_T1_T2_T3_mRjT4_P12ihipStream_tbNS1_7vsmem_tEEUlT_E_NS1_11comp_targetILNS1_3genE10ELNS1_11target_archE1201ELNS1_3gpuE5ELNS1_3repE0EEENS1_30default_config_static_selectorELNS0_4arch9wavefront6targetE1EEEvSK_,"axG",@progbits,_ZN7rocprim17ROCPRIM_400000_NS6detail17trampoline_kernelINS0_14default_configENS1_37merge_sort_block_sort_config_selectorIjNS0_10empty_typeEEEZNS1_21merge_sort_block_sortIS3_N6thrust23THRUST_200600_302600_NS6detail15normal_iteratorINS9_10device_ptrIjEEEESE_PS5_SF_14custom_greaterIjEEE10hipError_tT0_T1_T2_T3_mRjT4_P12ihipStream_tbNS1_7vsmem_tEEUlT_E_NS1_11comp_targetILNS1_3genE10ELNS1_11target_archE1201ELNS1_3gpuE5ELNS1_3repE0EEENS1_30default_config_static_selectorELNS0_4arch9wavefront6targetE1EEEvSK_,comdat
	.protected	_ZN7rocprim17ROCPRIM_400000_NS6detail17trampoline_kernelINS0_14default_configENS1_37merge_sort_block_sort_config_selectorIjNS0_10empty_typeEEEZNS1_21merge_sort_block_sortIS3_N6thrust23THRUST_200600_302600_NS6detail15normal_iteratorINS9_10device_ptrIjEEEESE_PS5_SF_14custom_greaterIjEEE10hipError_tT0_T1_T2_T3_mRjT4_P12ihipStream_tbNS1_7vsmem_tEEUlT_E_NS1_11comp_targetILNS1_3genE10ELNS1_11target_archE1201ELNS1_3gpuE5ELNS1_3repE0EEENS1_30default_config_static_selectorELNS0_4arch9wavefront6targetE1EEEvSK_ ; -- Begin function _ZN7rocprim17ROCPRIM_400000_NS6detail17trampoline_kernelINS0_14default_configENS1_37merge_sort_block_sort_config_selectorIjNS0_10empty_typeEEEZNS1_21merge_sort_block_sortIS3_N6thrust23THRUST_200600_302600_NS6detail15normal_iteratorINS9_10device_ptrIjEEEESE_PS5_SF_14custom_greaterIjEEE10hipError_tT0_T1_T2_T3_mRjT4_P12ihipStream_tbNS1_7vsmem_tEEUlT_E_NS1_11comp_targetILNS1_3genE10ELNS1_11target_archE1201ELNS1_3gpuE5ELNS1_3repE0EEENS1_30default_config_static_selectorELNS0_4arch9wavefront6targetE1EEEvSK_
	.globl	_ZN7rocprim17ROCPRIM_400000_NS6detail17trampoline_kernelINS0_14default_configENS1_37merge_sort_block_sort_config_selectorIjNS0_10empty_typeEEEZNS1_21merge_sort_block_sortIS3_N6thrust23THRUST_200600_302600_NS6detail15normal_iteratorINS9_10device_ptrIjEEEESE_PS5_SF_14custom_greaterIjEEE10hipError_tT0_T1_T2_T3_mRjT4_P12ihipStream_tbNS1_7vsmem_tEEUlT_E_NS1_11comp_targetILNS1_3genE10ELNS1_11target_archE1201ELNS1_3gpuE5ELNS1_3repE0EEENS1_30default_config_static_selectorELNS0_4arch9wavefront6targetE1EEEvSK_
	.p2align	8
	.type	_ZN7rocprim17ROCPRIM_400000_NS6detail17trampoline_kernelINS0_14default_configENS1_37merge_sort_block_sort_config_selectorIjNS0_10empty_typeEEEZNS1_21merge_sort_block_sortIS3_N6thrust23THRUST_200600_302600_NS6detail15normal_iteratorINS9_10device_ptrIjEEEESE_PS5_SF_14custom_greaterIjEEE10hipError_tT0_T1_T2_T3_mRjT4_P12ihipStream_tbNS1_7vsmem_tEEUlT_E_NS1_11comp_targetILNS1_3genE10ELNS1_11target_archE1201ELNS1_3gpuE5ELNS1_3repE0EEENS1_30default_config_static_selectorELNS0_4arch9wavefront6targetE1EEEvSK_,@function
_ZN7rocprim17ROCPRIM_400000_NS6detail17trampoline_kernelINS0_14default_configENS1_37merge_sort_block_sort_config_selectorIjNS0_10empty_typeEEEZNS1_21merge_sort_block_sortIS3_N6thrust23THRUST_200600_302600_NS6detail15normal_iteratorINS9_10device_ptrIjEEEESE_PS5_SF_14custom_greaterIjEEE10hipError_tT0_T1_T2_T3_mRjT4_P12ihipStream_tbNS1_7vsmem_tEEUlT_E_NS1_11comp_targetILNS1_3genE10ELNS1_11target_archE1201ELNS1_3gpuE5ELNS1_3repE0EEENS1_30default_config_static_selectorELNS0_4arch9wavefront6targetE1EEEvSK_: ; @_ZN7rocprim17ROCPRIM_400000_NS6detail17trampoline_kernelINS0_14default_configENS1_37merge_sort_block_sort_config_selectorIjNS0_10empty_typeEEEZNS1_21merge_sort_block_sortIS3_N6thrust23THRUST_200600_302600_NS6detail15normal_iteratorINS9_10device_ptrIjEEEESE_PS5_SF_14custom_greaterIjEEE10hipError_tT0_T1_T2_T3_mRjT4_P12ihipStream_tbNS1_7vsmem_tEEUlT_E_NS1_11comp_targetILNS1_3genE10ELNS1_11target_archE1201ELNS1_3gpuE5ELNS1_3repE0EEENS1_30default_config_static_selectorELNS0_4arch9wavefront6targetE1EEEvSK_
; %bb.0:
	.section	.rodata,"a",@progbits
	.p2align	6, 0x0
	.amdhsa_kernel _ZN7rocprim17ROCPRIM_400000_NS6detail17trampoline_kernelINS0_14default_configENS1_37merge_sort_block_sort_config_selectorIjNS0_10empty_typeEEEZNS1_21merge_sort_block_sortIS3_N6thrust23THRUST_200600_302600_NS6detail15normal_iteratorINS9_10device_ptrIjEEEESE_PS5_SF_14custom_greaterIjEEE10hipError_tT0_T1_T2_T3_mRjT4_P12ihipStream_tbNS1_7vsmem_tEEUlT_E_NS1_11comp_targetILNS1_3genE10ELNS1_11target_archE1201ELNS1_3gpuE5ELNS1_3repE0EEENS1_30default_config_static_selectorELNS0_4arch9wavefront6targetE1EEEvSK_
		.amdhsa_group_segment_fixed_size 0
		.amdhsa_private_segment_fixed_size 0
		.amdhsa_kernarg_size 64
		.amdhsa_user_sgpr_count 6
		.amdhsa_user_sgpr_private_segment_buffer 1
		.amdhsa_user_sgpr_dispatch_ptr 0
		.amdhsa_user_sgpr_queue_ptr 0
		.amdhsa_user_sgpr_kernarg_segment_ptr 1
		.amdhsa_user_sgpr_dispatch_id 0
		.amdhsa_user_sgpr_flat_scratch_init 0
		.amdhsa_user_sgpr_kernarg_preload_length 0
		.amdhsa_user_sgpr_kernarg_preload_offset 0
		.amdhsa_user_sgpr_private_segment_size 0
		.amdhsa_uses_dynamic_stack 0
		.amdhsa_system_sgpr_private_segment_wavefront_offset 0
		.amdhsa_system_sgpr_workgroup_id_x 1
		.amdhsa_system_sgpr_workgroup_id_y 0
		.amdhsa_system_sgpr_workgroup_id_z 0
		.amdhsa_system_sgpr_workgroup_info 0
		.amdhsa_system_vgpr_workitem_id 0
		.amdhsa_next_free_vgpr 1
		.amdhsa_next_free_sgpr 0
		.amdhsa_accum_offset 4
		.amdhsa_reserve_vcc 0
		.amdhsa_reserve_flat_scratch 0
		.amdhsa_float_round_mode_32 0
		.amdhsa_float_round_mode_16_64 0
		.amdhsa_float_denorm_mode_32 3
		.amdhsa_float_denorm_mode_16_64 3
		.amdhsa_dx10_clamp 1
		.amdhsa_ieee_mode 1
		.amdhsa_fp16_overflow 0
		.amdhsa_tg_split 0
		.amdhsa_exception_fp_ieee_invalid_op 0
		.amdhsa_exception_fp_denorm_src 0
		.amdhsa_exception_fp_ieee_div_zero 0
		.amdhsa_exception_fp_ieee_overflow 0
		.amdhsa_exception_fp_ieee_underflow 0
		.amdhsa_exception_fp_ieee_inexact 0
		.amdhsa_exception_int_div_zero 0
	.end_amdhsa_kernel
	.section	.text._ZN7rocprim17ROCPRIM_400000_NS6detail17trampoline_kernelINS0_14default_configENS1_37merge_sort_block_sort_config_selectorIjNS0_10empty_typeEEEZNS1_21merge_sort_block_sortIS3_N6thrust23THRUST_200600_302600_NS6detail15normal_iteratorINS9_10device_ptrIjEEEESE_PS5_SF_14custom_greaterIjEEE10hipError_tT0_T1_T2_T3_mRjT4_P12ihipStream_tbNS1_7vsmem_tEEUlT_E_NS1_11comp_targetILNS1_3genE10ELNS1_11target_archE1201ELNS1_3gpuE5ELNS1_3repE0EEENS1_30default_config_static_selectorELNS0_4arch9wavefront6targetE1EEEvSK_,"axG",@progbits,_ZN7rocprim17ROCPRIM_400000_NS6detail17trampoline_kernelINS0_14default_configENS1_37merge_sort_block_sort_config_selectorIjNS0_10empty_typeEEEZNS1_21merge_sort_block_sortIS3_N6thrust23THRUST_200600_302600_NS6detail15normal_iteratorINS9_10device_ptrIjEEEESE_PS5_SF_14custom_greaterIjEEE10hipError_tT0_T1_T2_T3_mRjT4_P12ihipStream_tbNS1_7vsmem_tEEUlT_E_NS1_11comp_targetILNS1_3genE10ELNS1_11target_archE1201ELNS1_3gpuE5ELNS1_3repE0EEENS1_30default_config_static_selectorELNS0_4arch9wavefront6targetE1EEEvSK_,comdat
.Lfunc_end3159:
	.size	_ZN7rocprim17ROCPRIM_400000_NS6detail17trampoline_kernelINS0_14default_configENS1_37merge_sort_block_sort_config_selectorIjNS0_10empty_typeEEEZNS1_21merge_sort_block_sortIS3_N6thrust23THRUST_200600_302600_NS6detail15normal_iteratorINS9_10device_ptrIjEEEESE_PS5_SF_14custom_greaterIjEEE10hipError_tT0_T1_T2_T3_mRjT4_P12ihipStream_tbNS1_7vsmem_tEEUlT_E_NS1_11comp_targetILNS1_3genE10ELNS1_11target_archE1201ELNS1_3gpuE5ELNS1_3repE0EEENS1_30default_config_static_selectorELNS0_4arch9wavefront6targetE1EEEvSK_, .Lfunc_end3159-_ZN7rocprim17ROCPRIM_400000_NS6detail17trampoline_kernelINS0_14default_configENS1_37merge_sort_block_sort_config_selectorIjNS0_10empty_typeEEEZNS1_21merge_sort_block_sortIS3_N6thrust23THRUST_200600_302600_NS6detail15normal_iteratorINS9_10device_ptrIjEEEESE_PS5_SF_14custom_greaterIjEEE10hipError_tT0_T1_T2_T3_mRjT4_P12ihipStream_tbNS1_7vsmem_tEEUlT_E_NS1_11comp_targetILNS1_3genE10ELNS1_11target_archE1201ELNS1_3gpuE5ELNS1_3repE0EEENS1_30default_config_static_selectorELNS0_4arch9wavefront6targetE1EEEvSK_
                                        ; -- End function
	.section	.AMDGPU.csdata,"",@progbits
; Kernel info:
; codeLenInByte = 0
; NumSgprs: 4
; NumVgprs: 0
; NumAgprs: 0
; TotalNumVgprs: 0
; ScratchSize: 0
; MemoryBound: 0
; FloatMode: 240
; IeeeMode: 1
; LDSByteSize: 0 bytes/workgroup (compile time only)
; SGPRBlocks: 0
; VGPRBlocks: 0
; NumSGPRsForWavesPerEU: 4
; NumVGPRsForWavesPerEU: 1
; AccumOffset: 4
; Occupancy: 8
; WaveLimiterHint : 0
; COMPUTE_PGM_RSRC2:SCRATCH_EN: 0
; COMPUTE_PGM_RSRC2:USER_SGPR: 6
; COMPUTE_PGM_RSRC2:TRAP_HANDLER: 0
; COMPUTE_PGM_RSRC2:TGID_X_EN: 1
; COMPUTE_PGM_RSRC2:TGID_Y_EN: 0
; COMPUTE_PGM_RSRC2:TGID_Z_EN: 0
; COMPUTE_PGM_RSRC2:TIDIG_COMP_CNT: 0
; COMPUTE_PGM_RSRC3_GFX90A:ACCUM_OFFSET: 0
; COMPUTE_PGM_RSRC3_GFX90A:TG_SPLIT: 0
	.section	.text._ZN7rocprim17ROCPRIM_400000_NS6detail17trampoline_kernelINS0_14default_configENS1_37merge_sort_block_sort_config_selectorIjNS0_10empty_typeEEEZNS1_21merge_sort_block_sortIS3_N6thrust23THRUST_200600_302600_NS6detail15normal_iteratorINS9_10device_ptrIjEEEESE_PS5_SF_14custom_greaterIjEEE10hipError_tT0_T1_T2_T3_mRjT4_P12ihipStream_tbNS1_7vsmem_tEEUlT_E_NS1_11comp_targetILNS1_3genE10ELNS1_11target_archE1200ELNS1_3gpuE4ELNS1_3repE0EEENS1_30default_config_static_selectorELNS0_4arch9wavefront6targetE1EEEvSK_,"axG",@progbits,_ZN7rocprim17ROCPRIM_400000_NS6detail17trampoline_kernelINS0_14default_configENS1_37merge_sort_block_sort_config_selectorIjNS0_10empty_typeEEEZNS1_21merge_sort_block_sortIS3_N6thrust23THRUST_200600_302600_NS6detail15normal_iteratorINS9_10device_ptrIjEEEESE_PS5_SF_14custom_greaterIjEEE10hipError_tT0_T1_T2_T3_mRjT4_P12ihipStream_tbNS1_7vsmem_tEEUlT_E_NS1_11comp_targetILNS1_3genE10ELNS1_11target_archE1200ELNS1_3gpuE4ELNS1_3repE0EEENS1_30default_config_static_selectorELNS0_4arch9wavefront6targetE1EEEvSK_,comdat
	.protected	_ZN7rocprim17ROCPRIM_400000_NS6detail17trampoline_kernelINS0_14default_configENS1_37merge_sort_block_sort_config_selectorIjNS0_10empty_typeEEEZNS1_21merge_sort_block_sortIS3_N6thrust23THRUST_200600_302600_NS6detail15normal_iteratorINS9_10device_ptrIjEEEESE_PS5_SF_14custom_greaterIjEEE10hipError_tT0_T1_T2_T3_mRjT4_P12ihipStream_tbNS1_7vsmem_tEEUlT_E_NS1_11comp_targetILNS1_3genE10ELNS1_11target_archE1200ELNS1_3gpuE4ELNS1_3repE0EEENS1_30default_config_static_selectorELNS0_4arch9wavefront6targetE1EEEvSK_ ; -- Begin function _ZN7rocprim17ROCPRIM_400000_NS6detail17trampoline_kernelINS0_14default_configENS1_37merge_sort_block_sort_config_selectorIjNS0_10empty_typeEEEZNS1_21merge_sort_block_sortIS3_N6thrust23THRUST_200600_302600_NS6detail15normal_iteratorINS9_10device_ptrIjEEEESE_PS5_SF_14custom_greaterIjEEE10hipError_tT0_T1_T2_T3_mRjT4_P12ihipStream_tbNS1_7vsmem_tEEUlT_E_NS1_11comp_targetILNS1_3genE10ELNS1_11target_archE1200ELNS1_3gpuE4ELNS1_3repE0EEENS1_30default_config_static_selectorELNS0_4arch9wavefront6targetE1EEEvSK_
	.globl	_ZN7rocprim17ROCPRIM_400000_NS6detail17trampoline_kernelINS0_14default_configENS1_37merge_sort_block_sort_config_selectorIjNS0_10empty_typeEEEZNS1_21merge_sort_block_sortIS3_N6thrust23THRUST_200600_302600_NS6detail15normal_iteratorINS9_10device_ptrIjEEEESE_PS5_SF_14custom_greaterIjEEE10hipError_tT0_T1_T2_T3_mRjT4_P12ihipStream_tbNS1_7vsmem_tEEUlT_E_NS1_11comp_targetILNS1_3genE10ELNS1_11target_archE1200ELNS1_3gpuE4ELNS1_3repE0EEENS1_30default_config_static_selectorELNS0_4arch9wavefront6targetE1EEEvSK_
	.p2align	8
	.type	_ZN7rocprim17ROCPRIM_400000_NS6detail17trampoline_kernelINS0_14default_configENS1_37merge_sort_block_sort_config_selectorIjNS0_10empty_typeEEEZNS1_21merge_sort_block_sortIS3_N6thrust23THRUST_200600_302600_NS6detail15normal_iteratorINS9_10device_ptrIjEEEESE_PS5_SF_14custom_greaterIjEEE10hipError_tT0_T1_T2_T3_mRjT4_P12ihipStream_tbNS1_7vsmem_tEEUlT_E_NS1_11comp_targetILNS1_3genE10ELNS1_11target_archE1200ELNS1_3gpuE4ELNS1_3repE0EEENS1_30default_config_static_selectorELNS0_4arch9wavefront6targetE1EEEvSK_,@function
_ZN7rocprim17ROCPRIM_400000_NS6detail17trampoline_kernelINS0_14default_configENS1_37merge_sort_block_sort_config_selectorIjNS0_10empty_typeEEEZNS1_21merge_sort_block_sortIS3_N6thrust23THRUST_200600_302600_NS6detail15normal_iteratorINS9_10device_ptrIjEEEESE_PS5_SF_14custom_greaterIjEEE10hipError_tT0_T1_T2_T3_mRjT4_P12ihipStream_tbNS1_7vsmem_tEEUlT_E_NS1_11comp_targetILNS1_3genE10ELNS1_11target_archE1200ELNS1_3gpuE4ELNS1_3repE0EEENS1_30default_config_static_selectorELNS0_4arch9wavefront6targetE1EEEvSK_: ; @_ZN7rocprim17ROCPRIM_400000_NS6detail17trampoline_kernelINS0_14default_configENS1_37merge_sort_block_sort_config_selectorIjNS0_10empty_typeEEEZNS1_21merge_sort_block_sortIS3_N6thrust23THRUST_200600_302600_NS6detail15normal_iteratorINS9_10device_ptrIjEEEESE_PS5_SF_14custom_greaterIjEEE10hipError_tT0_T1_T2_T3_mRjT4_P12ihipStream_tbNS1_7vsmem_tEEUlT_E_NS1_11comp_targetILNS1_3genE10ELNS1_11target_archE1200ELNS1_3gpuE4ELNS1_3repE0EEENS1_30default_config_static_selectorELNS0_4arch9wavefront6targetE1EEEvSK_
; %bb.0:
	.section	.rodata,"a",@progbits
	.p2align	6, 0x0
	.amdhsa_kernel _ZN7rocprim17ROCPRIM_400000_NS6detail17trampoline_kernelINS0_14default_configENS1_37merge_sort_block_sort_config_selectorIjNS0_10empty_typeEEEZNS1_21merge_sort_block_sortIS3_N6thrust23THRUST_200600_302600_NS6detail15normal_iteratorINS9_10device_ptrIjEEEESE_PS5_SF_14custom_greaterIjEEE10hipError_tT0_T1_T2_T3_mRjT4_P12ihipStream_tbNS1_7vsmem_tEEUlT_E_NS1_11comp_targetILNS1_3genE10ELNS1_11target_archE1200ELNS1_3gpuE4ELNS1_3repE0EEENS1_30default_config_static_selectorELNS0_4arch9wavefront6targetE1EEEvSK_
		.amdhsa_group_segment_fixed_size 0
		.amdhsa_private_segment_fixed_size 0
		.amdhsa_kernarg_size 64
		.amdhsa_user_sgpr_count 6
		.amdhsa_user_sgpr_private_segment_buffer 1
		.amdhsa_user_sgpr_dispatch_ptr 0
		.amdhsa_user_sgpr_queue_ptr 0
		.amdhsa_user_sgpr_kernarg_segment_ptr 1
		.amdhsa_user_sgpr_dispatch_id 0
		.amdhsa_user_sgpr_flat_scratch_init 0
		.amdhsa_user_sgpr_kernarg_preload_length 0
		.amdhsa_user_sgpr_kernarg_preload_offset 0
		.amdhsa_user_sgpr_private_segment_size 0
		.amdhsa_uses_dynamic_stack 0
		.amdhsa_system_sgpr_private_segment_wavefront_offset 0
		.amdhsa_system_sgpr_workgroup_id_x 1
		.amdhsa_system_sgpr_workgroup_id_y 0
		.amdhsa_system_sgpr_workgroup_id_z 0
		.amdhsa_system_sgpr_workgroup_info 0
		.amdhsa_system_vgpr_workitem_id 0
		.amdhsa_next_free_vgpr 1
		.amdhsa_next_free_sgpr 0
		.amdhsa_accum_offset 4
		.amdhsa_reserve_vcc 0
		.amdhsa_reserve_flat_scratch 0
		.amdhsa_float_round_mode_32 0
		.amdhsa_float_round_mode_16_64 0
		.amdhsa_float_denorm_mode_32 3
		.amdhsa_float_denorm_mode_16_64 3
		.amdhsa_dx10_clamp 1
		.amdhsa_ieee_mode 1
		.amdhsa_fp16_overflow 0
		.amdhsa_tg_split 0
		.amdhsa_exception_fp_ieee_invalid_op 0
		.amdhsa_exception_fp_denorm_src 0
		.amdhsa_exception_fp_ieee_div_zero 0
		.amdhsa_exception_fp_ieee_overflow 0
		.amdhsa_exception_fp_ieee_underflow 0
		.amdhsa_exception_fp_ieee_inexact 0
		.amdhsa_exception_int_div_zero 0
	.end_amdhsa_kernel
	.section	.text._ZN7rocprim17ROCPRIM_400000_NS6detail17trampoline_kernelINS0_14default_configENS1_37merge_sort_block_sort_config_selectorIjNS0_10empty_typeEEEZNS1_21merge_sort_block_sortIS3_N6thrust23THRUST_200600_302600_NS6detail15normal_iteratorINS9_10device_ptrIjEEEESE_PS5_SF_14custom_greaterIjEEE10hipError_tT0_T1_T2_T3_mRjT4_P12ihipStream_tbNS1_7vsmem_tEEUlT_E_NS1_11comp_targetILNS1_3genE10ELNS1_11target_archE1200ELNS1_3gpuE4ELNS1_3repE0EEENS1_30default_config_static_selectorELNS0_4arch9wavefront6targetE1EEEvSK_,"axG",@progbits,_ZN7rocprim17ROCPRIM_400000_NS6detail17trampoline_kernelINS0_14default_configENS1_37merge_sort_block_sort_config_selectorIjNS0_10empty_typeEEEZNS1_21merge_sort_block_sortIS3_N6thrust23THRUST_200600_302600_NS6detail15normal_iteratorINS9_10device_ptrIjEEEESE_PS5_SF_14custom_greaterIjEEE10hipError_tT0_T1_T2_T3_mRjT4_P12ihipStream_tbNS1_7vsmem_tEEUlT_E_NS1_11comp_targetILNS1_3genE10ELNS1_11target_archE1200ELNS1_3gpuE4ELNS1_3repE0EEENS1_30default_config_static_selectorELNS0_4arch9wavefront6targetE1EEEvSK_,comdat
.Lfunc_end3160:
	.size	_ZN7rocprim17ROCPRIM_400000_NS6detail17trampoline_kernelINS0_14default_configENS1_37merge_sort_block_sort_config_selectorIjNS0_10empty_typeEEEZNS1_21merge_sort_block_sortIS3_N6thrust23THRUST_200600_302600_NS6detail15normal_iteratorINS9_10device_ptrIjEEEESE_PS5_SF_14custom_greaterIjEEE10hipError_tT0_T1_T2_T3_mRjT4_P12ihipStream_tbNS1_7vsmem_tEEUlT_E_NS1_11comp_targetILNS1_3genE10ELNS1_11target_archE1200ELNS1_3gpuE4ELNS1_3repE0EEENS1_30default_config_static_selectorELNS0_4arch9wavefront6targetE1EEEvSK_, .Lfunc_end3160-_ZN7rocprim17ROCPRIM_400000_NS6detail17trampoline_kernelINS0_14default_configENS1_37merge_sort_block_sort_config_selectorIjNS0_10empty_typeEEEZNS1_21merge_sort_block_sortIS3_N6thrust23THRUST_200600_302600_NS6detail15normal_iteratorINS9_10device_ptrIjEEEESE_PS5_SF_14custom_greaterIjEEE10hipError_tT0_T1_T2_T3_mRjT4_P12ihipStream_tbNS1_7vsmem_tEEUlT_E_NS1_11comp_targetILNS1_3genE10ELNS1_11target_archE1200ELNS1_3gpuE4ELNS1_3repE0EEENS1_30default_config_static_selectorELNS0_4arch9wavefront6targetE1EEEvSK_
                                        ; -- End function
	.section	.AMDGPU.csdata,"",@progbits
; Kernel info:
; codeLenInByte = 0
; NumSgprs: 4
; NumVgprs: 0
; NumAgprs: 0
; TotalNumVgprs: 0
; ScratchSize: 0
; MemoryBound: 0
; FloatMode: 240
; IeeeMode: 1
; LDSByteSize: 0 bytes/workgroup (compile time only)
; SGPRBlocks: 0
; VGPRBlocks: 0
; NumSGPRsForWavesPerEU: 4
; NumVGPRsForWavesPerEU: 1
; AccumOffset: 4
; Occupancy: 8
; WaveLimiterHint : 0
; COMPUTE_PGM_RSRC2:SCRATCH_EN: 0
; COMPUTE_PGM_RSRC2:USER_SGPR: 6
; COMPUTE_PGM_RSRC2:TRAP_HANDLER: 0
; COMPUTE_PGM_RSRC2:TGID_X_EN: 1
; COMPUTE_PGM_RSRC2:TGID_Y_EN: 0
; COMPUTE_PGM_RSRC2:TGID_Z_EN: 0
; COMPUTE_PGM_RSRC2:TIDIG_COMP_CNT: 0
; COMPUTE_PGM_RSRC3_GFX90A:ACCUM_OFFSET: 0
; COMPUTE_PGM_RSRC3_GFX90A:TG_SPLIT: 0
	.section	.text._ZN7rocprim17ROCPRIM_400000_NS6detail17trampoline_kernelINS0_14default_configENS1_37merge_sort_block_sort_config_selectorIjNS0_10empty_typeEEEZNS1_21merge_sort_block_sortIS3_N6thrust23THRUST_200600_302600_NS6detail15normal_iteratorINS9_10device_ptrIjEEEESE_PS5_SF_14custom_greaterIjEEE10hipError_tT0_T1_T2_T3_mRjT4_P12ihipStream_tbNS1_7vsmem_tEEUlT_E_NS1_11comp_targetILNS1_3genE9ELNS1_11target_archE1100ELNS1_3gpuE3ELNS1_3repE0EEENS1_30default_config_static_selectorELNS0_4arch9wavefront6targetE1EEEvSK_,"axG",@progbits,_ZN7rocprim17ROCPRIM_400000_NS6detail17trampoline_kernelINS0_14default_configENS1_37merge_sort_block_sort_config_selectorIjNS0_10empty_typeEEEZNS1_21merge_sort_block_sortIS3_N6thrust23THRUST_200600_302600_NS6detail15normal_iteratorINS9_10device_ptrIjEEEESE_PS5_SF_14custom_greaterIjEEE10hipError_tT0_T1_T2_T3_mRjT4_P12ihipStream_tbNS1_7vsmem_tEEUlT_E_NS1_11comp_targetILNS1_3genE9ELNS1_11target_archE1100ELNS1_3gpuE3ELNS1_3repE0EEENS1_30default_config_static_selectorELNS0_4arch9wavefront6targetE1EEEvSK_,comdat
	.protected	_ZN7rocprim17ROCPRIM_400000_NS6detail17trampoline_kernelINS0_14default_configENS1_37merge_sort_block_sort_config_selectorIjNS0_10empty_typeEEEZNS1_21merge_sort_block_sortIS3_N6thrust23THRUST_200600_302600_NS6detail15normal_iteratorINS9_10device_ptrIjEEEESE_PS5_SF_14custom_greaterIjEEE10hipError_tT0_T1_T2_T3_mRjT4_P12ihipStream_tbNS1_7vsmem_tEEUlT_E_NS1_11comp_targetILNS1_3genE9ELNS1_11target_archE1100ELNS1_3gpuE3ELNS1_3repE0EEENS1_30default_config_static_selectorELNS0_4arch9wavefront6targetE1EEEvSK_ ; -- Begin function _ZN7rocprim17ROCPRIM_400000_NS6detail17trampoline_kernelINS0_14default_configENS1_37merge_sort_block_sort_config_selectorIjNS0_10empty_typeEEEZNS1_21merge_sort_block_sortIS3_N6thrust23THRUST_200600_302600_NS6detail15normal_iteratorINS9_10device_ptrIjEEEESE_PS5_SF_14custom_greaterIjEEE10hipError_tT0_T1_T2_T3_mRjT4_P12ihipStream_tbNS1_7vsmem_tEEUlT_E_NS1_11comp_targetILNS1_3genE9ELNS1_11target_archE1100ELNS1_3gpuE3ELNS1_3repE0EEENS1_30default_config_static_selectorELNS0_4arch9wavefront6targetE1EEEvSK_
	.globl	_ZN7rocprim17ROCPRIM_400000_NS6detail17trampoline_kernelINS0_14default_configENS1_37merge_sort_block_sort_config_selectorIjNS0_10empty_typeEEEZNS1_21merge_sort_block_sortIS3_N6thrust23THRUST_200600_302600_NS6detail15normal_iteratorINS9_10device_ptrIjEEEESE_PS5_SF_14custom_greaterIjEEE10hipError_tT0_T1_T2_T3_mRjT4_P12ihipStream_tbNS1_7vsmem_tEEUlT_E_NS1_11comp_targetILNS1_3genE9ELNS1_11target_archE1100ELNS1_3gpuE3ELNS1_3repE0EEENS1_30default_config_static_selectorELNS0_4arch9wavefront6targetE1EEEvSK_
	.p2align	8
	.type	_ZN7rocprim17ROCPRIM_400000_NS6detail17trampoline_kernelINS0_14default_configENS1_37merge_sort_block_sort_config_selectorIjNS0_10empty_typeEEEZNS1_21merge_sort_block_sortIS3_N6thrust23THRUST_200600_302600_NS6detail15normal_iteratorINS9_10device_ptrIjEEEESE_PS5_SF_14custom_greaterIjEEE10hipError_tT0_T1_T2_T3_mRjT4_P12ihipStream_tbNS1_7vsmem_tEEUlT_E_NS1_11comp_targetILNS1_3genE9ELNS1_11target_archE1100ELNS1_3gpuE3ELNS1_3repE0EEENS1_30default_config_static_selectorELNS0_4arch9wavefront6targetE1EEEvSK_,@function
_ZN7rocprim17ROCPRIM_400000_NS6detail17trampoline_kernelINS0_14default_configENS1_37merge_sort_block_sort_config_selectorIjNS0_10empty_typeEEEZNS1_21merge_sort_block_sortIS3_N6thrust23THRUST_200600_302600_NS6detail15normal_iteratorINS9_10device_ptrIjEEEESE_PS5_SF_14custom_greaterIjEEE10hipError_tT0_T1_T2_T3_mRjT4_P12ihipStream_tbNS1_7vsmem_tEEUlT_E_NS1_11comp_targetILNS1_3genE9ELNS1_11target_archE1100ELNS1_3gpuE3ELNS1_3repE0EEENS1_30default_config_static_selectorELNS0_4arch9wavefront6targetE1EEEvSK_: ; @_ZN7rocprim17ROCPRIM_400000_NS6detail17trampoline_kernelINS0_14default_configENS1_37merge_sort_block_sort_config_selectorIjNS0_10empty_typeEEEZNS1_21merge_sort_block_sortIS3_N6thrust23THRUST_200600_302600_NS6detail15normal_iteratorINS9_10device_ptrIjEEEESE_PS5_SF_14custom_greaterIjEEE10hipError_tT0_T1_T2_T3_mRjT4_P12ihipStream_tbNS1_7vsmem_tEEUlT_E_NS1_11comp_targetILNS1_3genE9ELNS1_11target_archE1100ELNS1_3gpuE3ELNS1_3repE0EEENS1_30default_config_static_selectorELNS0_4arch9wavefront6targetE1EEEvSK_
; %bb.0:
	.section	.rodata,"a",@progbits
	.p2align	6, 0x0
	.amdhsa_kernel _ZN7rocprim17ROCPRIM_400000_NS6detail17trampoline_kernelINS0_14default_configENS1_37merge_sort_block_sort_config_selectorIjNS0_10empty_typeEEEZNS1_21merge_sort_block_sortIS3_N6thrust23THRUST_200600_302600_NS6detail15normal_iteratorINS9_10device_ptrIjEEEESE_PS5_SF_14custom_greaterIjEEE10hipError_tT0_T1_T2_T3_mRjT4_P12ihipStream_tbNS1_7vsmem_tEEUlT_E_NS1_11comp_targetILNS1_3genE9ELNS1_11target_archE1100ELNS1_3gpuE3ELNS1_3repE0EEENS1_30default_config_static_selectorELNS0_4arch9wavefront6targetE1EEEvSK_
		.amdhsa_group_segment_fixed_size 0
		.amdhsa_private_segment_fixed_size 0
		.amdhsa_kernarg_size 64
		.amdhsa_user_sgpr_count 6
		.amdhsa_user_sgpr_private_segment_buffer 1
		.amdhsa_user_sgpr_dispatch_ptr 0
		.amdhsa_user_sgpr_queue_ptr 0
		.amdhsa_user_sgpr_kernarg_segment_ptr 1
		.amdhsa_user_sgpr_dispatch_id 0
		.amdhsa_user_sgpr_flat_scratch_init 0
		.amdhsa_user_sgpr_kernarg_preload_length 0
		.amdhsa_user_sgpr_kernarg_preload_offset 0
		.amdhsa_user_sgpr_private_segment_size 0
		.amdhsa_uses_dynamic_stack 0
		.amdhsa_system_sgpr_private_segment_wavefront_offset 0
		.amdhsa_system_sgpr_workgroup_id_x 1
		.amdhsa_system_sgpr_workgroup_id_y 0
		.amdhsa_system_sgpr_workgroup_id_z 0
		.amdhsa_system_sgpr_workgroup_info 0
		.amdhsa_system_vgpr_workitem_id 0
		.amdhsa_next_free_vgpr 1
		.amdhsa_next_free_sgpr 0
		.amdhsa_accum_offset 4
		.amdhsa_reserve_vcc 0
		.amdhsa_reserve_flat_scratch 0
		.amdhsa_float_round_mode_32 0
		.amdhsa_float_round_mode_16_64 0
		.amdhsa_float_denorm_mode_32 3
		.amdhsa_float_denorm_mode_16_64 3
		.amdhsa_dx10_clamp 1
		.amdhsa_ieee_mode 1
		.amdhsa_fp16_overflow 0
		.amdhsa_tg_split 0
		.amdhsa_exception_fp_ieee_invalid_op 0
		.amdhsa_exception_fp_denorm_src 0
		.amdhsa_exception_fp_ieee_div_zero 0
		.amdhsa_exception_fp_ieee_overflow 0
		.amdhsa_exception_fp_ieee_underflow 0
		.amdhsa_exception_fp_ieee_inexact 0
		.amdhsa_exception_int_div_zero 0
	.end_amdhsa_kernel
	.section	.text._ZN7rocprim17ROCPRIM_400000_NS6detail17trampoline_kernelINS0_14default_configENS1_37merge_sort_block_sort_config_selectorIjNS0_10empty_typeEEEZNS1_21merge_sort_block_sortIS3_N6thrust23THRUST_200600_302600_NS6detail15normal_iteratorINS9_10device_ptrIjEEEESE_PS5_SF_14custom_greaterIjEEE10hipError_tT0_T1_T2_T3_mRjT4_P12ihipStream_tbNS1_7vsmem_tEEUlT_E_NS1_11comp_targetILNS1_3genE9ELNS1_11target_archE1100ELNS1_3gpuE3ELNS1_3repE0EEENS1_30default_config_static_selectorELNS0_4arch9wavefront6targetE1EEEvSK_,"axG",@progbits,_ZN7rocprim17ROCPRIM_400000_NS6detail17trampoline_kernelINS0_14default_configENS1_37merge_sort_block_sort_config_selectorIjNS0_10empty_typeEEEZNS1_21merge_sort_block_sortIS3_N6thrust23THRUST_200600_302600_NS6detail15normal_iteratorINS9_10device_ptrIjEEEESE_PS5_SF_14custom_greaterIjEEE10hipError_tT0_T1_T2_T3_mRjT4_P12ihipStream_tbNS1_7vsmem_tEEUlT_E_NS1_11comp_targetILNS1_3genE9ELNS1_11target_archE1100ELNS1_3gpuE3ELNS1_3repE0EEENS1_30default_config_static_selectorELNS0_4arch9wavefront6targetE1EEEvSK_,comdat
.Lfunc_end3161:
	.size	_ZN7rocprim17ROCPRIM_400000_NS6detail17trampoline_kernelINS0_14default_configENS1_37merge_sort_block_sort_config_selectorIjNS0_10empty_typeEEEZNS1_21merge_sort_block_sortIS3_N6thrust23THRUST_200600_302600_NS6detail15normal_iteratorINS9_10device_ptrIjEEEESE_PS5_SF_14custom_greaterIjEEE10hipError_tT0_T1_T2_T3_mRjT4_P12ihipStream_tbNS1_7vsmem_tEEUlT_E_NS1_11comp_targetILNS1_3genE9ELNS1_11target_archE1100ELNS1_3gpuE3ELNS1_3repE0EEENS1_30default_config_static_selectorELNS0_4arch9wavefront6targetE1EEEvSK_, .Lfunc_end3161-_ZN7rocprim17ROCPRIM_400000_NS6detail17trampoline_kernelINS0_14default_configENS1_37merge_sort_block_sort_config_selectorIjNS0_10empty_typeEEEZNS1_21merge_sort_block_sortIS3_N6thrust23THRUST_200600_302600_NS6detail15normal_iteratorINS9_10device_ptrIjEEEESE_PS5_SF_14custom_greaterIjEEE10hipError_tT0_T1_T2_T3_mRjT4_P12ihipStream_tbNS1_7vsmem_tEEUlT_E_NS1_11comp_targetILNS1_3genE9ELNS1_11target_archE1100ELNS1_3gpuE3ELNS1_3repE0EEENS1_30default_config_static_selectorELNS0_4arch9wavefront6targetE1EEEvSK_
                                        ; -- End function
	.section	.AMDGPU.csdata,"",@progbits
; Kernel info:
; codeLenInByte = 0
; NumSgprs: 4
; NumVgprs: 0
; NumAgprs: 0
; TotalNumVgprs: 0
; ScratchSize: 0
; MemoryBound: 0
; FloatMode: 240
; IeeeMode: 1
; LDSByteSize: 0 bytes/workgroup (compile time only)
; SGPRBlocks: 0
; VGPRBlocks: 0
; NumSGPRsForWavesPerEU: 4
; NumVGPRsForWavesPerEU: 1
; AccumOffset: 4
; Occupancy: 8
; WaveLimiterHint : 0
; COMPUTE_PGM_RSRC2:SCRATCH_EN: 0
; COMPUTE_PGM_RSRC2:USER_SGPR: 6
; COMPUTE_PGM_RSRC2:TRAP_HANDLER: 0
; COMPUTE_PGM_RSRC2:TGID_X_EN: 1
; COMPUTE_PGM_RSRC2:TGID_Y_EN: 0
; COMPUTE_PGM_RSRC2:TGID_Z_EN: 0
; COMPUTE_PGM_RSRC2:TIDIG_COMP_CNT: 0
; COMPUTE_PGM_RSRC3_GFX90A:ACCUM_OFFSET: 0
; COMPUTE_PGM_RSRC3_GFX90A:TG_SPLIT: 0
	.section	.text._ZN7rocprim17ROCPRIM_400000_NS6detail17trampoline_kernelINS0_14default_configENS1_37merge_sort_block_sort_config_selectorIjNS0_10empty_typeEEEZNS1_21merge_sort_block_sortIS3_N6thrust23THRUST_200600_302600_NS6detail15normal_iteratorINS9_10device_ptrIjEEEESE_PS5_SF_14custom_greaterIjEEE10hipError_tT0_T1_T2_T3_mRjT4_P12ihipStream_tbNS1_7vsmem_tEEUlT_E_NS1_11comp_targetILNS1_3genE8ELNS1_11target_archE1030ELNS1_3gpuE2ELNS1_3repE0EEENS1_30default_config_static_selectorELNS0_4arch9wavefront6targetE1EEEvSK_,"axG",@progbits,_ZN7rocprim17ROCPRIM_400000_NS6detail17trampoline_kernelINS0_14default_configENS1_37merge_sort_block_sort_config_selectorIjNS0_10empty_typeEEEZNS1_21merge_sort_block_sortIS3_N6thrust23THRUST_200600_302600_NS6detail15normal_iteratorINS9_10device_ptrIjEEEESE_PS5_SF_14custom_greaterIjEEE10hipError_tT0_T1_T2_T3_mRjT4_P12ihipStream_tbNS1_7vsmem_tEEUlT_E_NS1_11comp_targetILNS1_3genE8ELNS1_11target_archE1030ELNS1_3gpuE2ELNS1_3repE0EEENS1_30default_config_static_selectorELNS0_4arch9wavefront6targetE1EEEvSK_,comdat
	.protected	_ZN7rocprim17ROCPRIM_400000_NS6detail17trampoline_kernelINS0_14default_configENS1_37merge_sort_block_sort_config_selectorIjNS0_10empty_typeEEEZNS1_21merge_sort_block_sortIS3_N6thrust23THRUST_200600_302600_NS6detail15normal_iteratorINS9_10device_ptrIjEEEESE_PS5_SF_14custom_greaterIjEEE10hipError_tT0_T1_T2_T3_mRjT4_P12ihipStream_tbNS1_7vsmem_tEEUlT_E_NS1_11comp_targetILNS1_3genE8ELNS1_11target_archE1030ELNS1_3gpuE2ELNS1_3repE0EEENS1_30default_config_static_selectorELNS0_4arch9wavefront6targetE1EEEvSK_ ; -- Begin function _ZN7rocprim17ROCPRIM_400000_NS6detail17trampoline_kernelINS0_14default_configENS1_37merge_sort_block_sort_config_selectorIjNS0_10empty_typeEEEZNS1_21merge_sort_block_sortIS3_N6thrust23THRUST_200600_302600_NS6detail15normal_iteratorINS9_10device_ptrIjEEEESE_PS5_SF_14custom_greaterIjEEE10hipError_tT0_T1_T2_T3_mRjT4_P12ihipStream_tbNS1_7vsmem_tEEUlT_E_NS1_11comp_targetILNS1_3genE8ELNS1_11target_archE1030ELNS1_3gpuE2ELNS1_3repE0EEENS1_30default_config_static_selectorELNS0_4arch9wavefront6targetE1EEEvSK_
	.globl	_ZN7rocprim17ROCPRIM_400000_NS6detail17trampoline_kernelINS0_14default_configENS1_37merge_sort_block_sort_config_selectorIjNS0_10empty_typeEEEZNS1_21merge_sort_block_sortIS3_N6thrust23THRUST_200600_302600_NS6detail15normal_iteratorINS9_10device_ptrIjEEEESE_PS5_SF_14custom_greaterIjEEE10hipError_tT0_T1_T2_T3_mRjT4_P12ihipStream_tbNS1_7vsmem_tEEUlT_E_NS1_11comp_targetILNS1_3genE8ELNS1_11target_archE1030ELNS1_3gpuE2ELNS1_3repE0EEENS1_30default_config_static_selectorELNS0_4arch9wavefront6targetE1EEEvSK_
	.p2align	8
	.type	_ZN7rocprim17ROCPRIM_400000_NS6detail17trampoline_kernelINS0_14default_configENS1_37merge_sort_block_sort_config_selectorIjNS0_10empty_typeEEEZNS1_21merge_sort_block_sortIS3_N6thrust23THRUST_200600_302600_NS6detail15normal_iteratorINS9_10device_ptrIjEEEESE_PS5_SF_14custom_greaterIjEEE10hipError_tT0_T1_T2_T3_mRjT4_P12ihipStream_tbNS1_7vsmem_tEEUlT_E_NS1_11comp_targetILNS1_3genE8ELNS1_11target_archE1030ELNS1_3gpuE2ELNS1_3repE0EEENS1_30default_config_static_selectorELNS0_4arch9wavefront6targetE1EEEvSK_,@function
_ZN7rocprim17ROCPRIM_400000_NS6detail17trampoline_kernelINS0_14default_configENS1_37merge_sort_block_sort_config_selectorIjNS0_10empty_typeEEEZNS1_21merge_sort_block_sortIS3_N6thrust23THRUST_200600_302600_NS6detail15normal_iteratorINS9_10device_ptrIjEEEESE_PS5_SF_14custom_greaterIjEEE10hipError_tT0_T1_T2_T3_mRjT4_P12ihipStream_tbNS1_7vsmem_tEEUlT_E_NS1_11comp_targetILNS1_3genE8ELNS1_11target_archE1030ELNS1_3gpuE2ELNS1_3repE0EEENS1_30default_config_static_selectorELNS0_4arch9wavefront6targetE1EEEvSK_: ; @_ZN7rocprim17ROCPRIM_400000_NS6detail17trampoline_kernelINS0_14default_configENS1_37merge_sort_block_sort_config_selectorIjNS0_10empty_typeEEEZNS1_21merge_sort_block_sortIS3_N6thrust23THRUST_200600_302600_NS6detail15normal_iteratorINS9_10device_ptrIjEEEESE_PS5_SF_14custom_greaterIjEEE10hipError_tT0_T1_T2_T3_mRjT4_P12ihipStream_tbNS1_7vsmem_tEEUlT_E_NS1_11comp_targetILNS1_3genE8ELNS1_11target_archE1030ELNS1_3gpuE2ELNS1_3repE0EEENS1_30default_config_static_selectorELNS0_4arch9wavefront6targetE1EEEvSK_
; %bb.0:
	.section	.rodata,"a",@progbits
	.p2align	6, 0x0
	.amdhsa_kernel _ZN7rocprim17ROCPRIM_400000_NS6detail17trampoline_kernelINS0_14default_configENS1_37merge_sort_block_sort_config_selectorIjNS0_10empty_typeEEEZNS1_21merge_sort_block_sortIS3_N6thrust23THRUST_200600_302600_NS6detail15normal_iteratorINS9_10device_ptrIjEEEESE_PS5_SF_14custom_greaterIjEEE10hipError_tT0_T1_T2_T3_mRjT4_P12ihipStream_tbNS1_7vsmem_tEEUlT_E_NS1_11comp_targetILNS1_3genE8ELNS1_11target_archE1030ELNS1_3gpuE2ELNS1_3repE0EEENS1_30default_config_static_selectorELNS0_4arch9wavefront6targetE1EEEvSK_
		.amdhsa_group_segment_fixed_size 0
		.amdhsa_private_segment_fixed_size 0
		.amdhsa_kernarg_size 64
		.amdhsa_user_sgpr_count 6
		.amdhsa_user_sgpr_private_segment_buffer 1
		.amdhsa_user_sgpr_dispatch_ptr 0
		.amdhsa_user_sgpr_queue_ptr 0
		.amdhsa_user_sgpr_kernarg_segment_ptr 1
		.amdhsa_user_sgpr_dispatch_id 0
		.amdhsa_user_sgpr_flat_scratch_init 0
		.amdhsa_user_sgpr_kernarg_preload_length 0
		.amdhsa_user_sgpr_kernarg_preload_offset 0
		.amdhsa_user_sgpr_private_segment_size 0
		.amdhsa_uses_dynamic_stack 0
		.amdhsa_system_sgpr_private_segment_wavefront_offset 0
		.amdhsa_system_sgpr_workgroup_id_x 1
		.amdhsa_system_sgpr_workgroup_id_y 0
		.amdhsa_system_sgpr_workgroup_id_z 0
		.amdhsa_system_sgpr_workgroup_info 0
		.amdhsa_system_vgpr_workitem_id 0
		.amdhsa_next_free_vgpr 1
		.amdhsa_next_free_sgpr 0
		.amdhsa_accum_offset 4
		.amdhsa_reserve_vcc 0
		.amdhsa_reserve_flat_scratch 0
		.amdhsa_float_round_mode_32 0
		.amdhsa_float_round_mode_16_64 0
		.amdhsa_float_denorm_mode_32 3
		.amdhsa_float_denorm_mode_16_64 3
		.amdhsa_dx10_clamp 1
		.amdhsa_ieee_mode 1
		.amdhsa_fp16_overflow 0
		.amdhsa_tg_split 0
		.amdhsa_exception_fp_ieee_invalid_op 0
		.amdhsa_exception_fp_denorm_src 0
		.amdhsa_exception_fp_ieee_div_zero 0
		.amdhsa_exception_fp_ieee_overflow 0
		.amdhsa_exception_fp_ieee_underflow 0
		.amdhsa_exception_fp_ieee_inexact 0
		.amdhsa_exception_int_div_zero 0
	.end_amdhsa_kernel
	.section	.text._ZN7rocprim17ROCPRIM_400000_NS6detail17trampoline_kernelINS0_14default_configENS1_37merge_sort_block_sort_config_selectorIjNS0_10empty_typeEEEZNS1_21merge_sort_block_sortIS3_N6thrust23THRUST_200600_302600_NS6detail15normal_iteratorINS9_10device_ptrIjEEEESE_PS5_SF_14custom_greaterIjEEE10hipError_tT0_T1_T2_T3_mRjT4_P12ihipStream_tbNS1_7vsmem_tEEUlT_E_NS1_11comp_targetILNS1_3genE8ELNS1_11target_archE1030ELNS1_3gpuE2ELNS1_3repE0EEENS1_30default_config_static_selectorELNS0_4arch9wavefront6targetE1EEEvSK_,"axG",@progbits,_ZN7rocprim17ROCPRIM_400000_NS6detail17trampoline_kernelINS0_14default_configENS1_37merge_sort_block_sort_config_selectorIjNS0_10empty_typeEEEZNS1_21merge_sort_block_sortIS3_N6thrust23THRUST_200600_302600_NS6detail15normal_iteratorINS9_10device_ptrIjEEEESE_PS5_SF_14custom_greaterIjEEE10hipError_tT0_T1_T2_T3_mRjT4_P12ihipStream_tbNS1_7vsmem_tEEUlT_E_NS1_11comp_targetILNS1_3genE8ELNS1_11target_archE1030ELNS1_3gpuE2ELNS1_3repE0EEENS1_30default_config_static_selectorELNS0_4arch9wavefront6targetE1EEEvSK_,comdat
.Lfunc_end3162:
	.size	_ZN7rocprim17ROCPRIM_400000_NS6detail17trampoline_kernelINS0_14default_configENS1_37merge_sort_block_sort_config_selectorIjNS0_10empty_typeEEEZNS1_21merge_sort_block_sortIS3_N6thrust23THRUST_200600_302600_NS6detail15normal_iteratorINS9_10device_ptrIjEEEESE_PS5_SF_14custom_greaterIjEEE10hipError_tT0_T1_T2_T3_mRjT4_P12ihipStream_tbNS1_7vsmem_tEEUlT_E_NS1_11comp_targetILNS1_3genE8ELNS1_11target_archE1030ELNS1_3gpuE2ELNS1_3repE0EEENS1_30default_config_static_selectorELNS0_4arch9wavefront6targetE1EEEvSK_, .Lfunc_end3162-_ZN7rocprim17ROCPRIM_400000_NS6detail17trampoline_kernelINS0_14default_configENS1_37merge_sort_block_sort_config_selectorIjNS0_10empty_typeEEEZNS1_21merge_sort_block_sortIS3_N6thrust23THRUST_200600_302600_NS6detail15normal_iteratorINS9_10device_ptrIjEEEESE_PS5_SF_14custom_greaterIjEEE10hipError_tT0_T1_T2_T3_mRjT4_P12ihipStream_tbNS1_7vsmem_tEEUlT_E_NS1_11comp_targetILNS1_3genE8ELNS1_11target_archE1030ELNS1_3gpuE2ELNS1_3repE0EEENS1_30default_config_static_selectorELNS0_4arch9wavefront6targetE1EEEvSK_
                                        ; -- End function
	.section	.AMDGPU.csdata,"",@progbits
; Kernel info:
; codeLenInByte = 0
; NumSgprs: 4
; NumVgprs: 0
; NumAgprs: 0
; TotalNumVgprs: 0
; ScratchSize: 0
; MemoryBound: 0
; FloatMode: 240
; IeeeMode: 1
; LDSByteSize: 0 bytes/workgroup (compile time only)
; SGPRBlocks: 0
; VGPRBlocks: 0
; NumSGPRsForWavesPerEU: 4
; NumVGPRsForWavesPerEU: 1
; AccumOffset: 4
; Occupancy: 8
; WaveLimiterHint : 0
; COMPUTE_PGM_RSRC2:SCRATCH_EN: 0
; COMPUTE_PGM_RSRC2:USER_SGPR: 6
; COMPUTE_PGM_RSRC2:TRAP_HANDLER: 0
; COMPUTE_PGM_RSRC2:TGID_X_EN: 1
; COMPUTE_PGM_RSRC2:TGID_Y_EN: 0
; COMPUTE_PGM_RSRC2:TGID_Z_EN: 0
; COMPUTE_PGM_RSRC2:TIDIG_COMP_CNT: 0
; COMPUTE_PGM_RSRC3_GFX90A:ACCUM_OFFSET: 0
; COMPUTE_PGM_RSRC3_GFX90A:TG_SPLIT: 0
	.section	.text._ZN7rocprim17ROCPRIM_400000_NS6detail17trampoline_kernelINS0_14default_configENS1_38merge_sort_block_merge_config_selectorIjNS0_10empty_typeEEEZZNS1_27merge_sort_block_merge_implIS3_N6thrust23THRUST_200600_302600_NS6detail15normal_iteratorINS9_10device_ptrIjEEEEPS5_m14custom_greaterIjEEE10hipError_tT0_T1_T2_jT3_P12ihipStream_tbPNSt15iterator_traitsISJ_E10value_typeEPNSP_ISK_E10value_typeEPSL_NS1_7vsmem_tEENKUlT_SJ_SK_SL_E_clIPjSE_SF_SF_EESI_SY_SJ_SK_SL_EUlSY_E_NS1_11comp_targetILNS1_3genE0ELNS1_11target_archE4294967295ELNS1_3gpuE0ELNS1_3repE0EEENS1_48merge_mergepath_partition_config_static_selectorELNS0_4arch9wavefront6targetE1EEEvSK_,"axG",@progbits,_ZN7rocprim17ROCPRIM_400000_NS6detail17trampoline_kernelINS0_14default_configENS1_38merge_sort_block_merge_config_selectorIjNS0_10empty_typeEEEZZNS1_27merge_sort_block_merge_implIS3_N6thrust23THRUST_200600_302600_NS6detail15normal_iteratorINS9_10device_ptrIjEEEEPS5_m14custom_greaterIjEEE10hipError_tT0_T1_T2_jT3_P12ihipStream_tbPNSt15iterator_traitsISJ_E10value_typeEPNSP_ISK_E10value_typeEPSL_NS1_7vsmem_tEENKUlT_SJ_SK_SL_E_clIPjSE_SF_SF_EESI_SY_SJ_SK_SL_EUlSY_E_NS1_11comp_targetILNS1_3genE0ELNS1_11target_archE4294967295ELNS1_3gpuE0ELNS1_3repE0EEENS1_48merge_mergepath_partition_config_static_selectorELNS0_4arch9wavefront6targetE1EEEvSK_,comdat
	.protected	_ZN7rocprim17ROCPRIM_400000_NS6detail17trampoline_kernelINS0_14default_configENS1_38merge_sort_block_merge_config_selectorIjNS0_10empty_typeEEEZZNS1_27merge_sort_block_merge_implIS3_N6thrust23THRUST_200600_302600_NS6detail15normal_iteratorINS9_10device_ptrIjEEEEPS5_m14custom_greaterIjEEE10hipError_tT0_T1_T2_jT3_P12ihipStream_tbPNSt15iterator_traitsISJ_E10value_typeEPNSP_ISK_E10value_typeEPSL_NS1_7vsmem_tEENKUlT_SJ_SK_SL_E_clIPjSE_SF_SF_EESI_SY_SJ_SK_SL_EUlSY_E_NS1_11comp_targetILNS1_3genE0ELNS1_11target_archE4294967295ELNS1_3gpuE0ELNS1_3repE0EEENS1_48merge_mergepath_partition_config_static_selectorELNS0_4arch9wavefront6targetE1EEEvSK_ ; -- Begin function _ZN7rocprim17ROCPRIM_400000_NS6detail17trampoline_kernelINS0_14default_configENS1_38merge_sort_block_merge_config_selectorIjNS0_10empty_typeEEEZZNS1_27merge_sort_block_merge_implIS3_N6thrust23THRUST_200600_302600_NS6detail15normal_iteratorINS9_10device_ptrIjEEEEPS5_m14custom_greaterIjEEE10hipError_tT0_T1_T2_jT3_P12ihipStream_tbPNSt15iterator_traitsISJ_E10value_typeEPNSP_ISK_E10value_typeEPSL_NS1_7vsmem_tEENKUlT_SJ_SK_SL_E_clIPjSE_SF_SF_EESI_SY_SJ_SK_SL_EUlSY_E_NS1_11comp_targetILNS1_3genE0ELNS1_11target_archE4294967295ELNS1_3gpuE0ELNS1_3repE0EEENS1_48merge_mergepath_partition_config_static_selectorELNS0_4arch9wavefront6targetE1EEEvSK_
	.globl	_ZN7rocprim17ROCPRIM_400000_NS6detail17trampoline_kernelINS0_14default_configENS1_38merge_sort_block_merge_config_selectorIjNS0_10empty_typeEEEZZNS1_27merge_sort_block_merge_implIS3_N6thrust23THRUST_200600_302600_NS6detail15normal_iteratorINS9_10device_ptrIjEEEEPS5_m14custom_greaterIjEEE10hipError_tT0_T1_T2_jT3_P12ihipStream_tbPNSt15iterator_traitsISJ_E10value_typeEPNSP_ISK_E10value_typeEPSL_NS1_7vsmem_tEENKUlT_SJ_SK_SL_E_clIPjSE_SF_SF_EESI_SY_SJ_SK_SL_EUlSY_E_NS1_11comp_targetILNS1_3genE0ELNS1_11target_archE4294967295ELNS1_3gpuE0ELNS1_3repE0EEENS1_48merge_mergepath_partition_config_static_selectorELNS0_4arch9wavefront6targetE1EEEvSK_
	.p2align	8
	.type	_ZN7rocprim17ROCPRIM_400000_NS6detail17trampoline_kernelINS0_14default_configENS1_38merge_sort_block_merge_config_selectorIjNS0_10empty_typeEEEZZNS1_27merge_sort_block_merge_implIS3_N6thrust23THRUST_200600_302600_NS6detail15normal_iteratorINS9_10device_ptrIjEEEEPS5_m14custom_greaterIjEEE10hipError_tT0_T1_T2_jT3_P12ihipStream_tbPNSt15iterator_traitsISJ_E10value_typeEPNSP_ISK_E10value_typeEPSL_NS1_7vsmem_tEENKUlT_SJ_SK_SL_E_clIPjSE_SF_SF_EESI_SY_SJ_SK_SL_EUlSY_E_NS1_11comp_targetILNS1_3genE0ELNS1_11target_archE4294967295ELNS1_3gpuE0ELNS1_3repE0EEENS1_48merge_mergepath_partition_config_static_selectorELNS0_4arch9wavefront6targetE1EEEvSK_,@function
_ZN7rocprim17ROCPRIM_400000_NS6detail17trampoline_kernelINS0_14default_configENS1_38merge_sort_block_merge_config_selectorIjNS0_10empty_typeEEEZZNS1_27merge_sort_block_merge_implIS3_N6thrust23THRUST_200600_302600_NS6detail15normal_iteratorINS9_10device_ptrIjEEEEPS5_m14custom_greaterIjEEE10hipError_tT0_T1_T2_jT3_P12ihipStream_tbPNSt15iterator_traitsISJ_E10value_typeEPNSP_ISK_E10value_typeEPSL_NS1_7vsmem_tEENKUlT_SJ_SK_SL_E_clIPjSE_SF_SF_EESI_SY_SJ_SK_SL_EUlSY_E_NS1_11comp_targetILNS1_3genE0ELNS1_11target_archE4294967295ELNS1_3gpuE0ELNS1_3repE0EEENS1_48merge_mergepath_partition_config_static_selectorELNS0_4arch9wavefront6targetE1EEEvSK_: ; @_ZN7rocprim17ROCPRIM_400000_NS6detail17trampoline_kernelINS0_14default_configENS1_38merge_sort_block_merge_config_selectorIjNS0_10empty_typeEEEZZNS1_27merge_sort_block_merge_implIS3_N6thrust23THRUST_200600_302600_NS6detail15normal_iteratorINS9_10device_ptrIjEEEEPS5_m14custom_greaterIjEEE10hipError_tT0_T1_T2_jT3_P12ihipStream_tbPNSt15iterator_traitsISJ_E10value_typeEPNSP_ISK_E10value_typeEPSL_NS1_7vsmem_tEENKUlT_SJ_SK_SL_E_clIPjSE_SF_SF_EESI_SY_SJ_SK_SL_EUlSY_E_NS1_11comp_targetILNS1_3genE0ELNS1_11target_archE4294967295ELNS1_3gpuE0ELNS1_3repE0EEENS1_48merge_mergepath_partition_config_static_selectorELNS0_4arch9wavefront6targetE1EEEvSK_
; %bb.0:
	.section	.rodata,"a",@progbits
	.p2align	6, 0x0
	.amdhsa_kernel _ZN7rocprim17ROCPRIM_400000_NS6detail17trampoline_kernelINS0_14default_configENS1_38merge_sort_block_merge_config_selectorIjNS0_10empty_typeEEEZZNS1_27merge_sort_block_merge_implIS3_N6thrust23THRUST_200600_302600_NS6detail15normal_iteratorINS9_10device_ptrIjEEEEPS5_m14custom_greaterIjEEE10hipError_tT0_T1_T2_jT3_P12ihipStream_tbPNSt15iterator_traitsISJ_E10value_typeEPNSP_ISK_E10value_typeEPSL_NS1_7vsmem_tEENKUlT_SJ_SK_SL_E_clIPjSE_SF_SF_EESI_SY_SJ_SK_SL_EUlSY_E_NS1_11comp_targetILNS1_3genE0ELNS1_11target_archE4294967295ELNS1_3gpuE0ELNS1_3repE0EEENS1_48merge_mergepath_partition_config_static_selectorELNS0_4arch9wavefront6targetE1EEEvSK_
		.amdhsa_group_segment_fixed_size 0
		.amdhsa_private_segment_fixed_size 0
		.amdhsa_kernarg_size 48
		.amdhsa_user_sgpr_count 6
		.amdhsa_user_sgpr_private_segment_buffer 1
		.amdhsa_user_sgpr_dispatch_ptr 0
		.amdhsa_user_sgpr_queue_ptr 0
		.amdhsa_user_sgpr_kernarg_segment_ptr 1
		.amdhsa_user_sgpr_dispatch_id 0
		.amdhsa_user_sgpr_flat_scratch_init 0
		.amdhsa_user_sgpr_kernarg_preload_length 0
		.amdhsa_user_sgpr_kernarg_preload_offset 0
		.amdhsa_user_sgpr_private_segment_size 0
		.amdhsa_uses_dynamic_stack 0
		.amdhsa_system_sgpr_private_segment_wavefront_offset 0
		.amdhsa_system_sgpr_workgroup_id_x 1
		.amdhsa_system_sgpr_workgroup_id_y 0
		.amdhsa_system_sgpr_workgroup_id_z 0
		.amdhsa_system_sgpr_workgroup_info 0
		.amdhsa_system_vgpr_workitem_id 0
		.amdhsa_next_free_vgpr 1
		.amdhsa_next_free_sgpr 0
		.amdhsa_accum_offset 4
		.amdhsa_reserve_vcc 0
		.amdhsa_reserve_flat_scratch 0
		.amdhsa_float_round_mode_32 0
		.amdhsa_float_round_mode_16_64 0
		.amdhsa_float_denorm_mode_32 3
		.amdhsa_float_denorm_mode_16_64 3
		.amdhsa_dx10_clamp 1
		.amdhsa_ieee_mode 1
		.amdhsa_fp16_overflow 0
		.amdhsa_tg_split 0
		.amdhsa_exception_fp_ieee_invalid_op 0
		.amdhsa_exception_fp_denorm_src 0
		.amdhsa_exception_fp_ieee_div_zero 0
		.amdhsa_exception_fp_ieee_overflow 0
		.amdhsa_exception_fp_ieee_underflow 0
		.amdhsa_exception_fp_ieee_inexact 0
		.amdhsa_exception_int_div_zero 0
	.end_amdhsa_kernel
	.section	.text._ZN7rocprim17ROCPRIM_400000_NS6detail17trampoline_kernelINS0_14default_configENS1_38merge_sort_block_merge_config_selectorIjNS0_10empty_typeEEEZZNS1_27merge_sort_block_merge_implIS3_N6thrust23THRUST_200600_302600_NS6detail15normal_iteratorINS9_10device_ptrIjEEEEPS5_m14custom_greaterIjEEE10hipError_tT0_T1_T2_jT3_P12ihipStream_tbPNSt15iterator_traitsISJ_E10value_typeEPNSP_ISK_E10value_typeEPSL_NS1_7vsmem_tEENKUlT_SJ_SK_SL_E_clIPjSE_SF_SF_EESI_SY_SJ_SK_SL_EUlSY_E_NS1_11comp_targetILNS1_3genE0ELNS1_11target_archE4294967295ELNS1_3gpuE0ELNS1_3repE0EEENS1_48merge_mergepath_partition_config_static_selectorELNS0_4arch9wavefront6targetE1EEEvSK_,"axG",@progbits,_ZN7rocprim17ROCPRIM_400000_NS6detail17trampoline_kernelINS0_14default_configENS1_38merge_sort_block_merge_config_selectorIjNS0_10empty_typeEEEZZNS1_27merge_sort_block_merge_implIS3_N6thrust23THRUST_200600_302600_NS6detail15normal_iteratorINS9_10device_ptrIjEEEEPS5_m14custom_greaterIjEEE10hipError_tT0_T1_T2_jT3_P12ihipStream_tbPNSt15iterator_traitsISJ_E10value_typeEPNSP_ISK_E10value_typeEPSL_NS1_7vsmem_tEENKUlT_SJ_SK_SL_E_clIPjSE_SF_SF_EESI_SY_SJ_SK_SL_EUlSY_E_NS1_11comp_targetILNS1_3genE0ELNS1_11target_archE4294967295ELNS1_3gpuE0ELNS1_3repE0EEENS1_48merge_mergepath_partition_config_static_selectorELNS0_4arch9wavefront6targetE1EEEvSK_,comdat
.Lfunc_end3163:
	.size	_ZN7rocprim17ROCPRIM_400000_NS6detail17trampoline_kernelINS0_14default_configENS1_38merge_sort_block_merge_config_selectorIjNS0_10empty_typeEEEZZNS1_27merge_sort_block_merge_implIS3_N6thrust23THRUST_200600_302600_NS6detail15normal_iteratorINS9_10device_ptrIjEEEEPS5_m14custom_greaterIjEEE10hipError_tT0_T1_T2_jT3_P12ihipStream_tbPNSt15iterator_traitsISJ_E10value_typeEPNSP_ISK_E10value_typeEPSL_NS1_7vsmem_tEENKUlT_SJ_SK_SL_E_clIPjSE_SF_SF_EESI_SY_SJ_SK_SL_EUlSY_E_NS1_11comp_targetILNS1_3genE0ELNS1_11target_archE4294967295ELNS1_3gpuE0ELNS1_3repE0EEENS1_48merge_mergepath_partition_config_static_selectorELNS0_4arch9wavefront6targetE1EEEvSK_, .Lfunc_end3163-_ZN7rocprim17ROCPRIM_400000_NS6detail17trampoline_kernelINS0_14default_configENS1_38merge_sort_block_merge_config_selectorIjNS0_10empty_typeEEEZZNS1_27merge_sort_block_merge_implIS3_N6thrust23THRUST_200600_302600_NS6detail15normal_iteratorINS9_10device_ptrIjEEEEPS5_m14custom_greaterIjEEE10hipError_tT0_T1_T2_jT3_P12ihipStream_tbPNSt15iterator_traitsISJ_E10value_typeEPNSP_ISK_E10value_typeEPSL_NS1_7vsmem_tEENKUlT_SJ_SK_SL_E_clIPjSE_SF_SF_EESI_SY_SJ_SK_SL_EUlSY_E_NS1_11comp_targetILNS1_3genE0ELNS1_11target_archE4294967295ELNS1_3gpuE0ELNS1_3repE0EEENS1_48merge_mergepath_partition_config_static_selectorELNS0_4arch9wavefront6targetE1EEEvSK_
                                        ; -- End function
	.section	.AMDGPU.csdata,"",@progbits
; Kernel info:
; codeLenInByte = 0
; NumSgprs: 4
; NumVgprs: 0
; NumAgprs: 0
; TotalNumVgprs: 0
; ScratchSize: 0
; MemoryBound: 0
; FloatMode: 240
; IeeeMode: 1
; LDSByteSize: 0 bytes/workgroup (compile time only)
; SGPRBlocks: 0
; VGPRBlocks: 0
; NumSGPRsForWavesPerEU: 4
; NumVGPRsForWavesPerEU: 1
; AccumOffset: 4
; Occupancy: 8
; WaveLimiterHint : 0
; COMPUTE_PGM_RSRC2:SCRATCH_EN: 0
; COMPUTE_PGM_RSRC2:USER_SGPR: 6
; COMPUTE_PGM_RSRC2:TRAP_HANDLER: 0
; COMPUTE_PGM_RSRC2:TGID_X_EN: 1
; COMPUTE_PGM_RSRC2:TGID_Y_EN: 0
; COMPUTE_PGM_RSRC2:TGID_Z_EN: 0
; COMPUTE_PGM_RSRC2:TIDIG_COMP_CNT: 0
; COMPUTE_PGM_RSRC3_GFX90A:ACCUM_OFFSET: 0
; COMPUTE_PGM_RSRC3_GFX90A:TG_SPLIT: 0
	.section	.text._ZN7rocprim17ROCPRIM_400000_NS6detail17trampoline_kernelINS0_14default_configENS1_38merge_sort_block_merge_config_selectorIjNS0_10empty_typeEEEZZNS1_27merge_sort_block_merge_implIS3_N6thrust23THRUST_200600_302600_NS6detail15normal_iteratorINS9_10device_ptrIjEEEEPS5_m14custom_greaterIjEEE10hipError_tT0_T1_T2_jT3_P12ihipStream_tbPNSt15iterator_traitsISJ_E10value_typeEPNSP_ISK_E10value_typeEPSL_NS1_7vsmem_tEENKUlT_SJ_SK_SL_E_clIPjSE_SF_SF_EESI_SY_SJ_SK_SL_EUlSY_E_NS1_11comp_targetILNS1_3genE10ELNS1_11target_archE1201ELNS1_3gpuE5ELNS1_3repE0EEENS1_48merge_mergepath_partition_config_static_selectorELNS0_4arch9wavefront6targetE1EEEvSK_,"axG",@progbits,_ZN7rocprim17ROCPRIM_400000_NS6detail17trampoline_kernelINS0_14default_configENS1_38merge_sort_block_merge_config_selectorIjNS0_10empty_typeEEEZZNS1_27merge_sort_block_merge_implIS3_N6thrust23THRUST_200600_302600_NS6detail15normal_iteratorINS9_10device_ptrIjEEEEPS5_m14custom_greaterIjEEE10hipError_tT0_T1_T2_jT3_P12ihipStream_tbPNSt15iterator_traitsISJ_E10value_typeEPNSP_ISK_E10value_typeEPSL_NS1_7vsmem_tEENKUlT_SJ_SK_SL_E_clIPjSE_SF_SF_EESI_SY_SJ_SK_SL_EUlSY_E_NS1_11comp_targetILNS1_3genE10ELNS1_11target_archE1201ELNS1_3gpuE5ELNS1_3repE0EEENS1_48merge_mergepath_partition_config_static_selectorELNS0_4arch9wavefront6targetE1EEEvSK_,comdat
	.protected	_ZN7rocprim17ROCPRIM_400000_NS6detail17trampoline_kernelINS0_14default_configENS1_38merge_sort_block_merge_config_selectorIjNS0_10empty_typeEEEZZNS1_27merge_sort_block_merge_implIS3_N6thrust23THRUST_200600_302600_NS6detail15normal_iteratorINS9_10device_ptrIjEEEEPS5_m14custom_greaterIjEEE10hipError_tT0_T1_T2_jT3_P12ihipStream_tbPNSt15iterator_traitsISJ_E10value_typeEPNSP_ISK_E10value_typeEPSL_NS1_7vsmem_tEENKUlT_SJ_SK_SL_E_clIPjSE_SF_SF_EESI_SY_SJ_SK_SL_EUlSY_E_NS1_11comp_targetILNS1_3genE10ELNS1_11target_archE1201ELNS1_3gpuE5ELNS1_3repE0EEENS1_48merge_mergepath_partition_config_static_selectorELNS0_4arch9wavefront6targetE1EEEvSK_ ; -- Begin function _ZN7rocprim17ROCPRIM_400000_NS6detail17trampoline_kernelINS0_14default_configENS1_38merge_sort_block_merge_config_selectorIjNS0_10empty_typeEEEZZNS1_27merge_sort_block_merge_implIS3_N6thrust23THRUST_200600_302600_NS6detail15normal_iteratorINS9_10device_ptrIjEEEEPS5_m14custom_greaterIjEEE10hipError_tT0_T1_T2_jT3_P12ihipStream_tbPNSt15iterator_traitsISJ_E10value_typeEPNSP_ISK_E10value_typeEPSL_NS1_7vsmem_tEENKUlT_SJ_SK_SL_E_clIPjSE_SF_SF_EESI_SY_SJ_SK_SL_EUlSY_E_NS1_11comp_targetILNS1_3genE10ELNS1_11target_archE1201ELNS1_3gpuE5ELNS1_3repE0EEENS1_48merge_mergepath_partition_config_static_selectorELNS0_4arch9wavefront6targetE1EEEvSK_
	.globl	_ZN7rocprim17ROCPRIM_400000_NS6detail17trampoline_kernelINS0_14default_configENS1_38merge_sort_block_merge_config_selectorIjNS0_10empty_typeEEEZZNS1_27merge_sort_block_merge_implIS3_N6thrust23THRUST_200600_302600_NS6detail15normal_iteratorINS9_10device_ptrIjEEEEPS5_m14custom_greaterIjEEE10hipError_tT0_T1_T2_jT3_P12ihipStream_tbPNSt15iterator_traitsISJ_E10value_typeEPNSP_ISK_E10value_typeEPSL_NS1_7vsmem_tEENKUlT_SJ_SK_SL_E_clIPjSE_SF_SF_EESI_SY_SJ_SK_SL_EUlSY_E_NS1_11comp_targetILNS1_3genE10ELNS1_11target_archE1201ELNS1_3gpuE5ELNS1_3repE0EEENS1_48merge_mergepath_partition_config_static_selectorELNS0_4arch9wavefront6targetE1EEEvSK_
	.p2align	8
	.type	_ZN7rocprim17ROCPRIM_400000_NS6detail17trampoline_kernelINS0_14default_configENS1_38merge_sort_block_merge_config_selectorIjNS0_10empty_typeEEEZZNS1_27merge_sort_block_merge_implIS3_N6thrust23THRUST_200600_302600_NS6detail15normal_iteratorINS9_10device_ptrIjEEEEPS5_m14custom_greaterIjEEE10hipError_tT0_T1_T2_jT3_P12ihipStream_tbPNSt15iterator_traitsISJ_E10value_typeEPNSP_ISK_E10value_typeEPSL_NS1_7vsmem_tEENKUlT_SJ_SK_SL_E_clIPjSE_SF_SF_EESI_SY_SJ_SK_SL_EUlSY_E_NS1_11comp_targetILNS1_3genE10ELNS1_11target_archE1201ELNS1_3gpuE5ELNS1_3repE0EEENS1_48merge_mergepath_partition_config_static_selectorELNS0_4arch9wavefront6targetE1EEEvSK_,@function
_ZN7rocprim17ROCPRIM_400000_NS6detail17trampoline_kernelINS0_14default_configENS1_38merge_sort_block_merge_config_selectorIjNS0_10empty_typeEEEZZNS1_27merge_sort_block_merge_implIS3_N6thrust23THRUST_200600_302600_NS6detail15normal_iteratorINS9_10device_ptrIjEEEEPS5_m14custom_greaterIjEEE10hipError_tT0_T1_T2_jT3_P12ihipStream_tbPNSt15iterator_traitsISJ_E10value_typeEPNSP_ISK_E10value_typeEPSL_NS1_7vsmem_tEENKUlT_SJ_SK_SL_E_clIPjSE_SF_SF_EESI_SY_SJ_SK_SL_EUlSY_E_NS1_11comp_targetILNS1_3genE10ELNS1_11target_archE1201ELNS1_3gpuE5ELNS1_3repE0EEENS1_48merge_mergepath_partition_config_static_selectorELNS0_4arch9wavefront6targetE1EEEvSK_: ; @_ZN7rocprim17ROCPRIM_400000_NS6detail17trampoline_kernelINS0_14default_configENS1_38merge_sort_block_merge_config_selectorIjNS0_10empty_typeEEEZZNS1_27merge_sort_block_merge_implIS3_N6thrust23THRUST_200600_302600_NS6detail15normal_iteratorINS9_10device_ptrIjEEEEPS5_m14custom_greaterIjEEE10hipError_tT0_T1_T2_jT3_P12ihipStream_tbPNSt15iterator_traitsISJ_E10value_typeEPNSP_ISK_E10value_typeEPSL_NS1_7vsmem_tEENKUlT_SJ_SK_SL_E_clIPjSE_SF_SF_EESI_SY_SJ_SK_SL_EUlSY_E_NS1_11comp_targetILNS1_3genE10ELNS1_11target_archE1201ELNS1_3gpuE5ELNS1_3repE0EEENS1_48merge_mergepath_partition_config_static_selectorELNS0_4arch9wavefront6targetE1EEEvSK_
; %bb.0:
	.section	.rodata,"a",@progbits
	.p2align	6, 0x0
	.amdhsa_kernel _ZN7rocprim17ROCPRIM_400000_NS6detail17trampoline_kernelINS0_14default_configENS1_38merge_sort_block_merge_config_selectorIjNS0_10empty_typeEEEZZNS1_27merge_sort_block_merge_implIS3_N6thrust23THRUST_200600_302600_NS6detail15normal_iteratorINS9_10device_ptrIjEEEEPS5_m14custom_greaterIjEEE10hipError_tT0_T1_T2_jT3_P12ihipStream_tbPNSt15iterator_traitsISJ_E10value_typeEPNSP_ISK_E10value_typeEPSL_NS1_7vsmem_tEENKUlT_SJ_SK_SL_E_clIPjSE_SF_SF_EESI_SY_SJ_SK_SL_EUlSY_E_NS1_11comp_targetILNS1_3genE10ELNS1_11target_archE1201ELNS1_3gpuE5ELNS1_3repE0EEENS1_48merge_mergepath_partition_config_static_selectorELNS0_4arch9wavefront6targetE1EEEvSK_
		.amdhsa_group_segment_fixed_size 0
		.amdhsa_private_segment_fixed_size 0
		.amdhsa_kernarg_size 48
		.amdhsa_user_sgpr_count 6
		.amdhsa_user_sgpr_private_segment_buffer 1
		.amdhsa_user_sgpr_dispatch_ptr 0
		.amdhsa_user_sgpr_queue_ptr 0
		.amdhsa_user_sgpr_kernarg_segment_ptr 1
		.amdhsa_user_sgpr_dispatch_id 0
		.amdhsa_user_sgpr_flat_scratch_init 0
		.amdhsa_user_sgpr_kernarg_preload_length 0
		.amdhsa_user_sgpr_kernarg_preload_offset 0
		.amdhsa_user_sgpr_private_segment_size 0
		.amdhsa_uses_dynamic_stack 0
		.amdhsa_system_sgpr_private_segment_wavefront_offset 0
		.amdhsa_system_sgpr_workgroup_id_x 1
		.amdhsa_system_sgpr_workgroup_id_y 0
		.amdhsa_system_sgpr_workgroup_id_z 0
		.amdhsa_system_sgpr_workgroup_info 0
		.amdhsa_system_vgpr_workitem_id 0
		.amdhsa_next_free_vgpr 1
		.amdhsa_next_free_sgpr 0
		.amdhsa_accum_offset 4
		.amdhsa_reserve_vcc 0
		.amdhsa_reserve_flat_scratch 0
		.amdhsa_float_round_mode_32 0
		.amdhsa_float_round_mode_16_64 0
		.amdhsa_float_denorm_mode_32 3
		.amdhsa_float_denorm_mode_16_64 3
		.amdhsa_dx10_clamp 1
		.amdhsa_ieee_mode 1
		.amdhsa_fp16_overflow 0
		.amdhsa_tg_split 0
		.amdhsa_exception_fp_ieee_invalid_op 0
		.amdhsa_exception_fp_denorm_src 0
		.amdhsa_exception_fp_ieee_div_zero 0
		.amdhsa_exception_fp_ieee_overflow 0
		.amdhsa_exception_fp_ieee_underflow 0
		.amdhsa_exception_fp_ieee_inexact 0
		.amdhsa_exception_int_div_zero 0
	.end_amdhsa_kernel
	.section	.text._ZN7rocprim17ROCPRIM_400000_NS6detail17trampoline_kernelINS0_14default_configENS1_38merge_sort_block_merge_config_selectorIjNS0_10empty_typeEEEZZNS1_27merge_sort_block_merge_implIS3_N6thrust23THRUST_200600_302600_NS6detail15normal_iteratorINS9_10device_ptrIjEEEEPS5_m14custom_greaterIjEEE10hipError_tT0_T1_T2_jT3_P12ihipStream_tbPNSt15iterator_traitsISJ_E10value_typeEPNSP_ISK_E10value_typeEPSL_NS1_7vsmem_tEENKUlT_SJ_SK_SL_E_clIPjSE_SF_SF_EESI_SY_SJ_SK_SL_EUlSY_E_NS1_11comp_targetILNS1_3genE10ELNS1_11target_archE1201ELNS1_3gpuE5ELNS1_3repE0EEENS1_48merge_mergepath_partition_config_static_selectorELNS0_4arch9wavefront6targetE1EEEvSK_,"axG",@progbits,_ZN7rocprim17ROCPRIM_400000_NS6detail17trampoline_kernelINS0_14default_configENS1_38merge_sort_block_merge_config_selectorIjNS0_10empty_typeEEEZZNS1_27merge_sort_block_merge_implIS3_N6thrust23THRUST_200600_302600_NS6detail15normal_iteratorINS9_10device_ptrIjEEEEPS5_m14custom_greaterIjEEE10hipError_tT0_T1_T2_jT3_P12ihipStream_tbPNSt15iterator_traitsISJ_E10value_typeEPNSP_ISK_E10value_typeEPSL_NS1_7vsmem_tEENKUlT_SJ_SK_SL_E_clIPjSE_SF_SF_EESI_SY_SJ_SK_SL_EUlSY_E_NS1_11comp_targetILNS1_3genE10ELNS1_11target_archE1201ELNS1_3gpuE5ELNS1_3repE0EEENS1_48merge_mergepath_partition_config_static_selectorELNS0_4arch9wavefront6targetE1EEEvSK_,comdat
.Lfunc_end3164:
	.size	_ZN7rocprim17ROCPRIM_400000_NS6detail17trampoline_kernelINS0_14default_configENS1_38merge_sort_block_merge_config_selectorIjNS0_10empty_typeEEEZZNS1_27merge_sort_block_merge_implIS3_N6thrust23THRUST_200600_302600_NS6detail15normal_iteratorINS9_10device_ptrIjEEEEPS5_m14custom_greaterIjEEE10hipError_tT0_T1_T2_jT3_P12ihipStream_tbPNSt15iterator_traitsISJ_E10value_typeEPNSP_ISK_E10value_typeEPSL_NS1_7vsmem_tEENKUlT_SJ_SK_SL_E_clIPjSE_SF_SF_EESI_SY_SJ_SK_SL_EUlSY_E_NS1_11comp_targetILNS1_3genE10ELNS1_11target_archE1201ELNS1_3gpuE5ELNS1_3repE0EEENS1_48merge_mergepath_partition_config_static_selectorELNS0_4arch9wavefront6targetE1EEEvSK_, .Lfunc_end3164-_ZN7rocprim17ROCPRIM_400000_NS6detail17trampoline_kernelINS0_14default_configENS1_38merge_sort_block_merge_config_selectorIjNS0_10empty_typeEEEZZNS1_27merge_sort_block_merge_implIS3_N6thrust23THRUST_200600_302600_NS6detail15normal_iteratorINS9_10device_ptrIjEEEEPS5_m14custom_greaterIjEEE10hipError_tT0_T1_T2_jT3_P12ihipStream_tbPNSt15iterator_traitsISJ_E10value_typeEPNSP_ISK_E10value_typeEPSL_NS1_7vsmem_tEENKUlT_SJ_SK_SL_E_clIPjSE_SF_SF_EESI_SY_SJ_SK_SL_EUlSY_E_NS1_11comp_targetILNS1_3genE10ELNS1_11target_archE1201ELNS1_3gpuE5ELNS1_3repE0EEENS1_48merge_mergepath_partition_config_static_selectorELNS0_4arch9wavefront6targetE1EEEvSK_
                                        ; -- End function
	.section	.AMDGPU.csdata,"",@progbits
; Kernel info:
; codeLenInByte = 0
; NumSgprs: 4
; NumVgprs: 0
; NumAgprs: 0
; TotalNumVgprs: 0
; ScratchSize: 0
; MemoryBound: 0
; FloatMode: 240
; IeeeMode: 1
; LDSByteSize: 0 bytes/workgroup (compile time only)
; SGPRBlocks: 0
; VGPRBlocks: 0
; NumSGPRsForWavesPerEU: 4
; NumVGPRsForWavesPerEU: 1
; AccumOffset: 4
; Occupancy: 8
; WaveLimiterHint : 0
; COMPUTE_PGM_RSRC2:SCRATCH_EN: 0
; COMPUTE_PGM_RSRC2:USER_SGPR: 6
; COMPUTE_PGM_RSRC2:TRAP_HANDLER: 0
; COMPUTE_PGM_RSRC2:TGID_X_EN: 1
; COMPUTE_PGM_RSRC2:TGID_Y_EN: 0
; COMPUTE_PGM_RSRC2:TGID_Z_EN: 0
; COMPUTE_PGM_RSRC2:TIDIG_COMP_CNT: 0
; COMPUTE_PGM_RSRC3_GFX90A:ACCUM_OFFSET: 0
; COMPUTE_PGM_RSRC3_GFX90A:TG_SPLIT: 0
	.section	.text._ZN7rocprim17ROCPRIM_400000_NS6detail17trampoline_kernelINS0_14default_configENS1_38merge_sort_block_merge_config_selectorIjNS0_10empty_typeEEEZZNS1_27merge_sort_block_merge_implIS3_N6thrust23THRUST_200600_302600_NS6detail15normal_iteratorINS9_10device_ptrIjEEEEPS5_m14custom_greaterIjEEE10hipError_tT0_T1_T2_jT3_P12ihipStream_tbPNSt15iterator_traitsISJ_E10value_typeEPNSP_ISK_E10value_typeEPSL_NS1_7vsmem_tEENKUlT_SJ_SK_SL_E_clIPjSE_SF_SF_EESI_SY_SJ_SK_SL_EUlSY_E_NS1_11comp_targetILNS1_3genE5ELNS1_11target_archE942ELNS1_3gpuE9ELNS1_3repE0EEENS1_48merge_mergepath_partition_config_static_selectorELNS0_4arch9wavefront6targetE1EEEvSK_,"axG",@progbits,_ZN7rocprim17ROCPRIM_400000_NS6detail17trampoline_kernelINS0_14default_configENS1_38merge_sort_block_merge_config_selectorIjNS0_10empty_typeEEEZZNS1_27merge_sort_block_merge_implIS3_N6thrust23THRUST_200600_302600_NS6detail15normal_iteratorINS9_10device_ptrIjEEEEPS5_m14custom_greaterIjEEE10hipError_tT0_T1_T2_jT3_P12ihipStream_tbPNSt15iterator_traitsISJ_E10value_typeEPNSP_ISK_E10value_typeEPSL_NS1_7vsmem_tEENKUlT_SJ_SK_SL_E_clIPjSE_SF_SF_EESI_SY_SJ_SK_SL_EUlSY_E_NS1_11comp_targetILNS1_3genE5ELNS1_11target_archE942ELNS1_3gpuE9ELNS1_3repE0EEENS1_48merge_mergepath_partition_config_static_selectorELNS0_4arch9wavefront6targetE1EEEvSK_,comdat
	.protected	_ZN7rocprim17ROCPRIM_400000_NS6detail17trampoline_kernelINS0_14default_configENS1_38merge_sort_block_merge_config_selectorIjNS0_10empty_typeEEEZZNS1_27merge_sort_block_merge_implIS3_N6thrust23THRUST_200600_302600_NS6detail15normal_iteratorINS9_10device_ptrIjEEEEPS5_m14custom_greaterIjEEE10hipError_tT0_T1_T2_jT3_P12ihipStream_tbPNSt15iterator_traitsISJ_E10value_typeEPNSP_ISK_E10value_typeEPSL_NS1_7vsmem_tEENKUlT_SJ_SK_SL_E_clIPjSE_SF_SF_EESI_SY_SJ_SK_SL_EUlSY_E_NS1_11comp_targetILNS1_3genE5ELNS1_11target_archE942ELNS1_3gpuE9ELNS1_3repE0EEENS1_48merge_mergepath_partition_config_static_selectorELNS0_4arch9wavefront6targetE1EEEvSK_ ; -- Begin function _ZN7rocprim17ROCPRIM_400000_NS6detail17trampoline_kernelINS0_14default_configENS1_38merge_sort_block_merge_config_selectorIjNS0_10empty_typeEEEZZNS1_27merge_sort_block_merge_implIS3_N6thrust23THRUST_200600_302600_NS6detail15normal_iteratorINS9_10device_ptrIjEEEEPS5_m14custom_greaterIjEEE10hipError_tT0_T1_T2_jT3_P12ihipStream_tbPNSt15iterator_traitsISJ_E10value_typeEPNSP_ISK_E10value_typeEPSL_NS1_7vsmem_tEENKUlT_SJ_SK_SL_E_clIPjSE_SF_SF_EESI_SY_SJ_SK_SL_EUlSY_E_NS1_11comp_targetILNS1_3genE5ELNS1_11target_archE942ELNS1_3gpuE9ELNS1_3repE0EEENS1_48merge_mergepath_partition_config_static_selectorELNS0_4arch9wavefront6targetE1EEEvSK_
	.globl	_ZN7rocprim17ROCPRIM_400000_NS6detail17trampoline_kernelINS0_14default_configENS1_38merge_sort_block_merge_config_selectorIjNS0_10empty_typeEEEZZNS1_27merge_sort_block_merge_implIS3_N6thrust23THRUST_200600_302600_NS6detail15normal_iteratorINS9_10device_ptrIjEEEEPS5_m14custom_greaterIjEEE10hipError_tT0_T1_T2_jT3_P12ihipStream_tbPNSt15iterator_traitsISJ_E10value_typeEPNSP_ISK_E10value_typeEPSL_NS1_7vsmem_tEENKUlT_SJ_SK_SL_E_clIPjSE_SF_SF_EESI_SY_SJ_SK_SL_EUlSY_E_NS1_11comp_targetILNS1_3genE5ELNS1_11target_archE942ELNS1_3gpuE9ELNS1_3repE0EEENS1_48merge_mergepath_partition_config_static_selectorELNS0_4arch9wavefront6targetE1EEEvSK_
	.p2align	8
	.type	_ZN7rocprim17ROCPRIM_400000_NS6detail17trampoline_kernelINS0_14default_configENS1_38merge_sort_block_merge_config_selectorIjNS0_10empty_typeEEEZZNS1_27merge_sort_block_merge_implIS3_N6thrust23THRUST_200600_302600_NS6detail15normal_iteratorINS9_10device_ptrIjEEEEPS5_m14custom_greaterIjEEE10hipError_tT0_T1_T2_jT3_P12ihipStream_tbPNSt15iterator_traitsISJ_E10value_typeEPNSP_ISK_E10value_typeEPSL_NS1_7vsmem_tEENKUlT_SJ_SK_SL_E_clIPjSE_SF_SF_EESI_SY_SJ_SK_SL_EUlSY_E_NS1_11comp_targetILNS1_3genE5ELNS1_11target_archE942ELNS1_3gpuE9ELNS1_3repE0EEENS1_48merge_mergepath_partition_config_static_selectorELNS0_4arch9wavefront6targetE1EEEvSK_,@function
_ZN7rocprim17ROCPRIM_400000_NS6detail17trampoline_kernelINS0_14default_configENS1_38merge_sort_block_merge_config_selectorIjNS0_10empty_typeEEEZZNS1_27merge_sort_block_merge_implIS3_N6thrust23THRUST_200600_302600_NS6detail15normal_iteratorINS9_10device_ptrIjEEEEPS5_m14custom_greaterIjEEE10hipError_tT0_T1_T2_jT3_P12ihipStream_tbPNSt15iterator_traitsISJ_E10value_typeEPNSP_ISK_E10value_typeEPSL_NS1_7vsmem_tEENKUlT_SJ_SK_SL_E_clIPjSE_SF_SF_EESI_SY_SJ_SK_SL_EUlSY_E_NS1_11comp_targetILNS1_3genE5ELNS1_11target_archE942ELNS1_3gpuE9ELNS1_3repE0EEENS1_48merge_mergepath_partition_config_static_selectorELNS0_4arch9wavefront6targetE1EEEvSK_: ; @_ZN7rocprim17ROCPRIM_400000_NS6detail17trampoline_kernelINS0_14default_configENS1_38merge_sort_block_merge_config_selectorIjNS0_10empty_typeEEEZZNS1_27merge_sort_block_merge_implIS3_N6thrust23THRUST_200600_302600_NS6detail15normal_iteratorINS9_10device_ptrIjEEEEPS5_m14custom_greaterIjEEE10hipError_tT0_T1_T2_jT3_P12ihipStream_tbPNSt15iterator_traitsISJ_E10value_typeEPNSP_ISK_E10value_typeEPSL_NS1_7vsmem_tEENKUlT_SJ_SK_SL_E_clIPjSE_SF_SF_EESI_SY_SJ_SK_SL_EUlSY_E_NS1_11comp_targetILNS1_3genE5ELNS1_11target_archE942ELNS1_3gpuE9ELNS1_3repE0EEENS1_48merge_mergepath_partition_config_static_selectorELNS0_4arch9wavefront6targetE1EEEvSK_
; %bb.0:
	.section	.rodata,"a",@progbits
	.p2align	6, 0x0
	.amdhsa_kernel _ZN7rocprim17ROCPRIM_400000_NS6detail17trampoline_kernelINS0_14default_configENS1_38merge_sort_block_merge_config_selectorIjNS0_10empty_typeEEEZZNS1_27merge_sort_block_merge_implIS3_N6thrust23THRUST_200600_302600_NS6detail15normal_iteratorINS9_10device_ptrIjEEEEPS5_m14custom_greaterIjEEE10hipError_tT0_T1_T2_jT3_P12ihipStream_tbPNSt15iterator_traitsISJ_E10value_typeEPNSP_ISK_E10value_typeEPSL_NS1_7vsmem_tEENKUlT_SJ_SK_SL_E_clIPjSE_SF_SF_EESI_SY_SJ_SK_SL_EUlSY_E_NS1_11comp_targetILNS1_3genE5ELNS1_11target_archE942ELNS1_3gpuE9ELNS1_3repE0EEENS1_48merge_mergepath_partition_config_static_selectorELNS0_4arch9wavefront6targetE1EEEvSK_
		.amdhsa_group_segment_fixed_size 0
		.amdhsa_private_segment_fixed_size 0
		.amdhsa_kernarg_size 48
		.amdhsa_user_sgpr_count 6
		.amdhsa_user_sgpr_private_segment_buffer 1
		.amdhsa_user_sgpr_dispatch_ptr 0
		.amdhsa_user_sgpr_queue_ptr 0
		.amdhsa_user_sgpr_kernarg_segment_ptr 1
		.amdhsa_user_sgpr_dispatch_id 0
		.amdhsa_user_sgpr_flat_scratch_init 0
		.amdhsa_user_sgpr_kernarg_preload_length 0
		.amdhsa_user_sgpr_kernarg_preload_offset 0
		.amdhsa_user_sgpr_private_segment_size 0
		.amdhsa_uses_dynamic_stack 0
		.amdhsa_system_sgpr_private_segment_wavefront_offset 0
		.amdhsa_system_sgpr_workgroup_id_x 1
		.amdhsa_system_sgpr_workgroup_id_y 0
		.amdhsa_system_sgpr_workgroup_id_z 0
		.amdhsa_system_sgpr_workgroup_info 0
		.amdhsa_system_vgpr_workitem_id 0
		.amdhsa_next_free_vgpr 1
		.amdhsa_next_free_sgpr 0
		.amdhsa_accum_offset 4
		.amdhsa_reserve_vcc 0
		.amdhsa_reserve_flat_scratch 0
		.amdhsa_float_round_mode_32 0
		.amdhsa_float_round_mode_16_64 0
		.amdhsa_float_denorm_mode_32 3
		.amdhsa_float_denorm_mode_16_64 3
		.amdhsa_dx10_clamp 1
		.amdhsa_ieee_mode 1
		.amdhsa_fp16_overflow 0
		.amdhsa_tg_split 0
		.amdhsa_exception_fp_ieee_invalid_op 0
		.amdhsa_exception_fp_denorm_src 0
		.amdhsa_exception_fp_ieee_div_zero 0
		.amdhsa_exception_fp_ieee_overflow 0
		.amdhsa_exception_fp_ieee_underflow 0
		.amdhsa_exception_fp_ieee_inexact 0
		.amdhsa_exception_int_div_zero 0
	.end_amdhsa_kernel
	.section	.text._ZN7rocprim17ROCPRIM_400000_NS6detail17trampoline_kernelINS0_14default_configENS1_38merge_sort_block_merge_config_selectorIjNS0_10empty_typeEEEZZNS1_27merge_sort_block_merge_implIS3_N6thrust23THRUST_200600_302600_NS6detail15normal_iteratorINS9_10device_ptrIjEEEEPS5_m14custom_greaterIjEEE10hipError_tT0_T1_T2_jT3_P12ihipStream_tbPNSt15iterator_traitsISJ_E10value_typeEPNSP_ISK_E10value_typeEPSL_NS1_7vsmem_tEENKUlT_SJ_SK_SL_E_clIPjSE_SF_SF_EESI_SY_SJ_SK_SL_EUlSY_E_NS1_11comp_targetILNS1_3genE5ELNS1_11target_archE942ELNS1_3gpuE9ELNS1_3repE0EEENS1_48merge_mergepath_partition_config_static_selectorELNS0_4arch9wavefront6targetE1EEEvSK_,"axG",@progbits,_ZN7rocprim17ROCPRIM_400000_NS6detail17trampoline_kernelINS0_14default_configENS1_38merge_sort_block_merge_config_selectorIjNS0_10empty_typeEEEZZNS1_27merge_sort_block_merge_implIS3_N6thrust23THRUST_200600_302600_NS6detail15normal_iteratorINS9_10device_ptrIjEEEEPS5_m14custom_greaterIjEEE10hipError_tT0_T1_T2_jT3_P12ihipStream_tbPNSt15iterator_traitsISJ_E10value_typeEPNSP_ISK_E10value_typeEPSL_NS1_7vsmem_tEENKUlT_SJ_SK_SL_E_clIPjSE_SF_SF_EESI_SY_SJ_SK_SL_EUlSY_E_NS1_11comp_targetILNS1_3genE5ELNS1_11target_archE942ELNS1_3gpuE9ELNS1_3repE0EEENS1_48merge_mergepath_partition_config_static_selectorELNS0_4arch9wavefront6targetE1EEEvSK_,comdat
.Lfunc_end3165:
	.size	_ZN7rocprim17ROCPRIM_400000_NS6detail17trampoline_kernelINS0_14default_configENS1_38merge_sort_block_merge_config_selectorIjNS0_10empty_typeEEEZZNS1_27merge_sort_block_merge_implIS3_N6thrust23THRUST_200600_302600_NS6detail15normal_iteratorINS9_10device_ptrIjEEEEPS5_m14custom_greaterIjEEE10hipError_tT0_T1_T2_jT3_P12ihipStream_tbPNSt15iterator_traitsISJ_E10value_typeEPNSP_ISK_E10value_typeEPSL_NS1_7vsmem_tEENKUlT_SJ_SK_SL_E_clIPjSE_SF_SF_EESI_SY_SJ_SK_SL_EUlSY_E_NS1_11comp_targetILNS1_3genE5ELNS1_11target_archE942ELNS1_3gpuE9ELNS1_3repE0EEENS1_48merge_mergepath_partition_config_static_selectorELNS0_4arch9wavefront6targetE1EEEvSK_, .Lfunc_end3165-_ZN7rocprim17ROCPRIM_400000_NS6detail17trampoline_kernelINS0_14default_configENS1_38merge_sort_block_merge_config_selectorIjNS0_10empty_typeEEEZZNS1_27merge_sort_block_merge_implIS3_N6thrust23THRUST_200600_302600_NS6detail15normal_iteratorINS9_10device_ptrIjEEEEPS5_m14custom_greaterIjEEE10hipError_tT0_T1_T2_jT3_P12ihipStream_tbPNSt15iterator_traitsISJ_E10value_typeEPNSP_ISK_E10value_typeEPSL_NS1_7vsmem_tEENKUlT_SJ_SK_SL_E_clIPjSE_SF_SF_EESI_SY_SJ_SK_SL_EUlSY_E_NS1_11comp_targetILNS1_3genE5ELNS1_11target_archE942ELNS1_3gpuE9ELNS1_3repE0EEENS1_48merge_mergepath_partition_config_static_selectorELNS0_4arch9wavefront6targetE1EEEvSK_
                                        ; -- End function
	.section	.AMDGPU.csdata,"",@progbits
; Kernel info:
; codeLenInByte = 0
; NumSgprs: 4
; NumVgprs: 0
; NumAgprs: 0
; TotalNumVgprs: 0
; ScratchSize: 0
; MemoryBound: 0
; FloatMode: 240
; IeeeMode: 1
; LDSByteSize: 0 bytes/workgroup (compile time only)
; SGPRBlocks: 0
; VGPRBlocks: 0
; NumSGPRsForWavesPerEU: 4
; NumVGPRsForWavesPerEU: 1
; AccumOffset: 4
; Occupancy: 8
; WaveLimiterHint : 0
; COMPUTE_PGM_RSRC2:SCRATCH_EN: 0
; COMPUTE_PGM_RSRC2:USER_SGPR: 6
; COMPUTE_PGM_RSRC2:TRAP_HANDLER: 0
; COMPUTE_PGM_RSRC2:TGID_X_EN: 1
; COMPUTE_PGM_RSRC2:TGID_Y_EN: 0
; COMPUTE_PGM_RSRC2:TGID_Z_EN: 0
; COMPUTE_PGM_RSRC2:TIDIG_COMP_CNT: 0
; COMPUTE_PGM_RSRC3_GFX90A:ACCUM_OFFSET: 0
; COMPUTE_PGM_RSRC3_GFX90A:TG_SPLIT: 0
	.section	.text._ZN7rocprim17ROCPRIM_400000_NS6detail17trampoline_kernelINS0_14default_configENS1_38merge_sort_block_merge_config_selectorIjNS0_10empty_typeEEEZZNS1_27merge_sort_block_merge_implIS3_N6thrust23THRUST_200600_302600_NS6detail15normal_iteratorINS9_10device_ptrIjEEEEPS5_m14custom_greaterIjEEE10hipError_tT0_T1_T2_jT3_P12ihipStream_tbPNSt15iterator_traitsISJ_E10value_typeEPNSP_ISK_E10value_typeEPSL_NS1_7vsmem_tEENKUlT_SJ_SK_SL_E_clIPjSE_SF_SF_EESI_SY_SJ_SK_SL_EUlSY_E_NS1_11comp_targetILNS1_3genE4ELNS1_11target_archE910ELNS1_3gpuE8ELNS1_3repE0EEENS1_48merge_mergepath_partition_config_static_selectorELNS0_4arch9wavefront6targetE1EEEvSK_,"axG",@progbits,_ZN7rocprim17ROCPRIM_400000_NS6detail17trampoline_kernelINS0_14default_configENS1_38merge_sort_block_merge_config_selectorIjNS0_10empty_typeEEEZZNS1_27merge_sort_block_merge_implIS3_N6thrust23THRUST_200600_302600_NS6detail15normal_iteratorINS9_10device_ptrIjEEEEPS5_m14custom_greaterIjEEE10hipError_tT0_T1_T2_jT3_P12ihipStream_tbPNSt15iterator_traitsISJ_E10value_typeEPNSP_ISK_E10value_typeEPSL_NS1_7vsmem_tEENKUlT_SJ_SK_SL_E_clIPjSE_SF_SF_EESI_SY_SJ_SK_SL_EUlSY_E_NS1_11comp_targetILNS1_3genE4ELNS1_11target_archE910ELNS1_3gpuE8ELNS1_3repE0EEENS1_48merge_mergepath_partition_config_static_selectorELNS0_4arch9wavefront6targetE1EEEvSK_,comdat
	.protected	_ZN7rocprim17ROCPRIM_400000_NS6detail17trampoline_kernelINS0_14default_configENS1_38merge_sort_block_merge_config_selectorIjNS0_10empty_typeEEEZZNS1_27merge_sort_block_merge_implIS3_N6thrust23THRUST_200600_302600_NS6detail15normal_iteratorINS9_10device_ptrIjEEEEPS5_m14custom_greaterIjEEE10hipError_tT0_T1_T2_jT3_P12ihipStream_tbPNSt15iterator_traitsISJ_E10value_typeEPNSP_ISK_E10value_typeEPSL_NS1_7vsmem_tEENKUlT_SJ_SK_SL_E_clIPjSE_SF_SF_EESI_SY_SJ_SK_SL_EUlSY_E_NS1_11comp_targetILNS1_3genE4ELNS1_11target_archE910ELNS1_3gpuE8ELNS1_3repE0EEENS1_48merge_mergepath_partition_config_static_selectorELNS0_4arch9wavefront6targetE1EEEvSK_ ; -- Begin function _ZN7rocprim17ROCPRIM_400000_NS6detail17trampoline_kernelINS0_14default_configENS1_38merge_sort_block_merge_config_selectorIjNS0_10empty_typeEEEZZNS1_27merge_sort_block_merge_implIS3_N6thrust23THRUST_200600_302600_NS6detail15normal_iteratorINS9_10device_ptrIjEEEEPS5_m14custom_greaterIjEEE10hipError_tT0_T1_T2_jT3_P12ihipStream_tbPNSt15iterator_traitsISJ_E10value_typeEPNSP_ISK_E10value_typeEPSL_NS1_7vsmem_tEENKUlT_SJ_SK_SL_E_clIPjSE_SF_SF_EESI_SY_SJ_SK_SL_EUlSY_E_NS1_11comp_targetILNS1_3genE4ELNS1_11target_archE910ELNS1_3gpuE8ELNS1_3repE0EEENS1_48merge_mergepath_partition_config_static_selectorELNS0_4arch9wavefront6targetE1EEEvSK_
	.globl	_ZN7rocprim17ROCPRIM_400000_NS6detail17trampoline_kernelINS0_14default_configENS1_38merge_sort_block_merge_config_selectorIjNS0_10empty_typeEEEZZNS1_27merge_sort_block_merge_implIS3_N6thrust23THRUST_200600_302600_NS6detail15normal_iteratorINS9_10device_ptrIjEEEEPS5_m14custom_greaterIjEEE10hipError_tT0_T1_T2_jT3_P12ihipStream_tbPNSt15iterator_traitsISJ_E10value_typeEPNSP_ISK_E10value_typeEPSL_NS1_7vsmem_tEENKUlT_SJ_SK_SL_E_clIPjSE_SF_SF_EESI_SY_SJ_SK_SL_EUlSY_E_NS1_11comp_targetILNS1_3genE4ELNS1_11target_archE910ELNS1_3gpuE8ELNS1_3repE0EEENS1_48merge_mergepath_partition_config_static_selectorELNS0_4arch9wavefront6targetE1EEEvSK_
	.p2align	8
	.type	_ZN7rocprim17ROCPRIM_400000_NS6detail17trampoline_kernelINS0_14default_configENS1_38merge_sort_block_merge_config_selectorIjNS0_10empty_typeEEEZZNS1_27merge_sort_block_merge_implIS3_N6thrust23THRUST_200600_302600_NS6detail15normal_iteratorINS9_10device_ptrIjEEEEPS5_m14custom_greaterIjEEE10hipError_tT0_T1_T2_jT3_P12ihipStream_tbPNSt15iterator_traitsISJ_E10value_typeEPNSP_ISK_E10value_typeEPSL_NS1_7vsmem_tEENKUlT_SJ_SK_SL_E_clIPjSE_SF_SF_EESI_SY_SJ_SK_SL_EUlSY_E_NS1_11comp_targetILNS1_3genE4ELNS1_11target_archE910ELNS1_3gpuE8ELNS1_3repE0EEENS1_48merge_mergepath_partition_config_static_selectorELNS0_4arch9wavefront6targetE1EEEvSK_,@function
_ZN7rocprim17ROCPRIM_400000_NS6detail17trampoline_kernelINS0_14default_configENS1_38merge_sort_block_merge_config_selectorIjNS0_10empty_typeEEEZZNS1_27merge_sort_block_merge_implIS3_N6thrust23THRUST_200600_302600_NS6detail15normal_iteratorINS9_10device_ptrIjEEEEPS5_m14custom_greaterIjEEE10hipError_tT0_T1_T2_jT3_P12ihipStream_tbPNSt15iterator_traitsISJ_E10value_typeEPNSP_ISK_E10value_typeEPSL_NS1_7vsmem_tEENKUlT_SJ_SK_SL_E_clIPjSE_SF_SF_EESI_SY_SJ_SK_SL_EUlSY_E_NS1_11comp_targetILNS1_3genE4ELNS1_11target_archE910ELNS1_3gpuE8ELNS1_3repE0EEENS1_48merge_mergepath_partition_config_static_selectorELNS0_4arch9wavefront6targetE1EEEvSK_: ; @_ZN7rocprim17ROCPRIM_400000_NS6detail17trampoline_kernelINS0_14default_configENS1_38merge_sort_block_merge_config_selectorIjNS0_10empty_typeEEEZZNS1_27merge_sort_block_merge_implIS3_N6thrust23THRUST_200600_302600_NS6detail15normal_iteratorINS9_10device_ptrIjEEEEPS5_m14custom_greaterIjEEE10hipError_tT0_T1_T2_jT3_P12ihipStream_tbPNSt15iterator_traitsISJ_E10value_typeEPNSP_ISK_E10value_typeEPSL_NS1_7vsmem_tEENKUlT_SJ_SK_SL_E_clIPjSE_SF_SF_EESI_SY_SJ_SK_SL_EUlSY_E_NS1_11comp_targetILNS1_3genE4ELNS1_11target_archE910ELNS1_3gpuE8ELNS1_3repE0EEENS1_48merge_mergepath_partition_config_static_selectorELNS0_4arch9wavefront6targetE1EEEvSK_
; %bb.0:
	s_load_dword s0, s[4:5], 0x0
	v_lshl_or_b32 v0, s6, 7, v0
	s_waitcnt lgkmcnt(0)
	v_cmp_gt_u32_e32 vcc, s0, v0
	s_and_saveexec_b64 s[0:1], vcc
	s_cbranch_execz .LBB3166_6
; %bb.1:
	s_load_dwordx4 s[0:3], s[4:5], 0x8
	s_load_dwordx2 s[6:7], s[4:5], 0x28
	v_mov_b32_e32 v5, 0
	s_waitcnt lgkmcnt(0)
	v_mov_b32_e32 v1, s0
	v_alignbit_b32 v1, s1, v1, 9
	v_and_b32_e32 v1, -2, v1
	v_add_u32_e32 v2, -1, v1
	v_sub_u32_e32 v1, 0, v1
	v_and_b32_e32 v4, v0, v1
	v_lshlrev_b64 v[8:9], 10, v[4:5]
	v_mov_b32_e32 v1, s3
	v_cmp_lt_u64_e32 vcc, s[2:3], v[8:9]
	v_mov_b32_e32 v4, s2
	v_and_b32_e32 v6, v2, v0
	v_cndmask_b32_e32 v3, v9, v1, vcc
	v_cndmask_b32_e32 v2, v8, v4, vcc
	v_mov_b32_e32 v7, s1
	v_add_co_u32_e32 v8, vcc, s0, v8
	v_addc_co_u32_e32 v9, vcc, v9, v7, vcc
	v_cmp_lt_u64_e32 vcc, s[2:3], v[8:9]
	v_cndmask_b32_e32 v8, v8, v4, vcc
	v_cndmask_b32_e32 v9, v9, v1, vcc
	v_add_co_u32_e32 v10, vcc, s0, v8
	v_addc_co_u32_e32 v11, vcc, v9, v7, vcc
	v_cmp_lt_u64_e32 vcc, s[2:3], v[10:11]
	v_cndmask_b32_e32 v12, v10, v4, vcc
	v_cndmask_b32_e32 v1, v11, v1, vcc
	v_sub_co_u32_e32 v10, vcc, v12, v2
	v_mov_b32_e32 v7, v5
	v_subb_co_u32_e32 v11, vcc, v1, v3, vcc
	v_lshlrev_b64 v[4:5], 10, v[6:7]
	v_cmp_lt_u64_e32 vcc, v[10:11], v[4:5]
	v_cndmask_b32_e32 v11, v5, v11, vcc
	v_cndmask_b32_e32 v10, v4, v10, vcc
	v_sub_co_u32_e32 v6, vcc, v8, v2
	v_subb_co_u32_e32 v7, vcc, v9, v3, vcc
	v_sub_co_u32_e32 v4, vcc, v8, v12
	v_subb_co_u32_e32 v1, vcc, v9, v1, vcc
	v_add_co_u32_e32 v4, vcc, v10, v4
	v_addc_co_u32_e32 v5, vcc, v11, v1, vcc
	v_cmp_gt_u64_e32 vcc, v[4:5], v[10:11]
	v_cndmask_b32_e64 v5, v5, 0, vcc
	v_cndmask_b32_e64 v4, v4, 0, vcc
	v_cmp_lt_u64_e32 vcc, v[10:11], v[6:7]
	v_cndmask_b32_e32 v7, v7, v11, vcc
	v_cndmask_b32_e32 v6, v6, v10, vcc
	v_cmp_lt_u64_e32 vcc, v[4:5], v[6:7]
	s_and_saveexec_b64 s[0:1], vcc
	s_cbranch_execz .LBB3166_5
; %bb.2:
	s_load_dwordx2 s[2:3], s[4:5], 0x18
	v_lshlrev_b64 v[12:13], 2, v[2:3]
	v_lshlrev_b64 v[8:9], 2, v[8:9]
	s_waitcnt lgkmcnt(0)
	v_mov_b32_e32 v14, s3
	v_add_co_u32_e32 v1, vcc, s2, v12
	v_addc_co_u32_e32 v12, vcc, v14, v13, vcc
	v_add_co_u32_e32 v13, vcc, s2, v8
	v_addc_co_u32_e32 v14, vcc, v14, v9, vcc
	v_lshlrev_b64 v[8:9], 2, v[10:11]
	v_add_co_u32_e32 v8, vcc, v13, v8
	v_addc_co_u32_e32 v9, vcc, v14, v9, vcc
	s_mov_b64 s[2:3], 0
.LBB3166_3:                             ; =>This Inner Loop Header: Depth=1
	v_add_co_u32_e32 v10, vcc, v6, v4
	v_addc_co_u32_e32 v11, vcc, v7, v5, vcc
	v_lshrrev_b64 v[10:11], 1, v[10:11]
	v_lshlrev_b64 v[16:17], 2, v[10:11]
	v_not_b32_e32 v15, v11
	v_not_b32_e32 v14, v10
	v_add_co_u32_e32 v16, vcc, v1, v16
	v_addc_co_u32_e32 v17, vcc, v12, v17, vcc
	v_lshlrev_b64 v[14:15], 2, v[14:15]
	v_add_co_u32_e32 v14, vcc, v8, v14
	v_addc_co_u32_e32 v15, vcc, v9, v15, vcc
	global_load_dword v13, v[16:17], off
	global_load_dword v18, v[14:15], off
	v_add_co_u32_e32 v14, vcc, 1, v10
	v_addc_co_u32_e32 v15, vcc, 0, v11, vcc
	s_waitcnt vmcnt(0)
	v_cmp_gt_u32_e32 vcc, v13, v18
	v_cndmask_b32_e32 v7, v7, v11, vcc
	v_cndmask_b32_e32 v6, v6, v10, vcc
	;; [unrolled: 1-line block ×4, first 2 shown]
	v_cmp_ge_u64_e32 vcc, v[4:5], v[6:7]
	s_or_b64 s[2:3], vcc, s[2:3]
	s_andn2_b64 exec, exec, s[2:3]
	s_cbranch_execnz .LBB3166_3
; %bb.4:
	s_or_b64 exec, exec, s[2:3]
.LBB3166_5:
	s_or_b64 exec, exec, s[0:1]
	v_add_co_u32_e32 v2, vcc, v4, v2
	v_mov_b32_e32 v1, 0
	v_addc_co_u32_e32 v3, vcc, v5, v3, vcc
	v_lshlrev_b64 v[0:1], 3, v[0:1]
	v_mov_b32_e32 v4, s7
	v_add_co_u32_e32 v0, vcc, s6, v0
	v_addc_co_u32_e32 v1, vcc, v4, v1, vcc
	global_store_dwordx2 v[0:1], v[2:3], off
.LBB3166_6:
	s_endpgm
	.section	.rodata,"a",@progbits
	.p2align	6, 0x0
	.amdhsa_kernel _ZN7rocprim17ROCPRIM_400000_NS6detail17trampoline_kernelINS0_14default_configENS1_38merge_sort_block_merge_config_selectorIjNS0_10empty_typeEEEZZNS1_27merge_sort_block_merge_implIS3_N6thrust23THRUST_200600_302600_NS6detail15normal_iteratorINS9_10device_ptrIjEEEEPS5_m14custom_greaterIjEEE10hipError_tT0_T1_T2_jT3_P12ihipStream_tbPNSt15iterator_traitsISJ_E10value_typeEPNSP_ISK_E10value_typeEPSL_NS1_7vsmem_tEENKUlT_SJ_SK_SL_E_clIPjSE_SF_SF_EESI_SY_SJ_SK_SL_EUlSY_E_NS1_11comp_targetILNS1_3genE4ELNS1_11target_archE910ELNS1_3gpuE8ELNS1_3repE0EEENS1_48merge_mergepath_partition_config_static_selectorELNS0_4arch9wavefront6targetE1EEEvSK_
		.amdhsa_group_segment_fixed_size 0
		.amdhsa_private_segment_fixed_size 0
		.amdhsa_kernarg_size 48
		.amdhsa_user_sgpr_count 6
		.amdhsa_user_sgpr_private_segment_buffer 1
		.amdhsa_user_sgpr_dispatch_ptr 0
		.amdhsa_user_sgpr_queue_ptr 0
		.amdhsa_user_sgpr_kernarg_segment_ptr 1
		.amdhsa_user_sgpr_dispatch_id 0
		.amdhsa_user_sgpr_flat_scratch_init 0
		.amdhsa_user_sgpr_kernarg_preload_length 0
		.amdhsa_user_sgpr_kernarg_preload_offset 0
		.amdhsa_user_sgpr_private_segment_size 0
		.amdhsa_uses_dynamic_stack 0
		.amdhsa_system_sgpr_private_segment_wavefront_offset 0
		.amdhsa_system_sgpr_workgroup_id_x 1
		.amdhsa_system_sgpr_workgroup_id_y 0
		.amdhsa_system_sgpr_workgroup_id_z 0
		.amdhsa_system_sgpr_workgroup_info 0
		.amdhsa_system_vgpr_workitem_id 0
		.amdhsa_next_free_vgpr 19
		.amdhsa_next_free_sgpr 8
		.amdhsa_accum_offset 20
		.amdhsa_reserve_vcc 1
		.amdhsa_reserve_flat_scratch 0
		.amdhsa_float_round_mode_32 0
		.amdhsa_float_round_mode_16_64 0
		.amdhsa_float_denorm_mode_32 3
		.amdhsa_float_denorm_mode_16_64 3
		.amdhsa_dx10_clamp 1
		.amdhsa_ieee_mode 1
		.amdhsa_fp16_overflow 0
		.amdhsa_tg_split 0
		.amdhsa_exception_fp_ieee_invalid_op 0
		.amdhsa_exception_fp_denorm_src 0
		.amdhsa_exception_fp_ieee_div_zero 0
		.amdhsa_exception_fp_ieee_overflow 0
		.amdhsa_exception_fp_ieee_underflow 0
		.amdhsa_exception_fp_ieee_inexact 0
		.amdhsa_exception_int_div_zero 0
	.end_amdhsa_kernel
	.section	.text._ZN7rocprim17ROCPRIM_400000_NS6detail17trampoline_kernelINS0_14default_configENS1_38merge_sort_block_merge_config_selectorIjNS0_10empty_typeEEEZZNS1_27merge_sort_block_merge_implIS3_N6thrust23THRUST_200600_302600_NS6detail15normal_iteratorINS9_10device_ptrIjEEEEPS5_m14custom_greaterIjEEE10hipError_tT0_T1_T2_jT3_P12ihipStream_tbPNSt15iterator_traitsISJ_E10value_typeEPNSP_ISK_E10value_typeEPSL_NS1_7vsmem_tEENKUlT_SJ_SK_SL_E_clIPjSE_SF_SF_EESI_SY_SJ_SK_SL_EUlSY_E_NS1_11comp_targetILNS1_3genE4ELNS1_11target_archE910ELNS1_3gpuE8ELNS1_3repE0EEENS1_48merge_mergepath_partition_config_static_selectorELNS0_4arch9wavefront6targetE1EEEvSK_,"axG",@progbits,_ZN7rocprim17ROCPRIM_400000_NS6detail17trampoline_kernelINS0_14default_configENS1_38merge_sort_block_merge_config_selectorIjNS0_10empty_typeEEEZZNS1_27merge_sort_block_merge_implIS3_N6thrust23THRUST_200600_302600_NS6detail15normal_iteratorINS9_10device_ptrIjEEEEPS5_m14custom_greaterIjEEE10hipError_tT0_T1_T2_jT3_P12ihipStream_tbPNSt15iterator_traitsISJ_E10value_typeEPNSP_ISK_E10value_typeEPSL_NS1_7vsmem_tEENKUlT_SJ_SK_SL_E_clIPjSE_SF_SF_EESI_SY_SJ_SK_SL_EUlSY_E_NS1_11comp_targetILNS1_3genE4ELNS1_11target_archE910ELNS1_3gpuE8ELNS1_3repE0EEENS1_48merge_mergepath_partition_config_static_selectorELNS0_4arch9wavefront6targetE1EEEvSK_,comdat
.Lfunc_end3166:
	.size	_ZN7rocprim17ROCPRIM_400000_NS6detail17trampoline_kernelINS0_14default_configENS1_38merge_sort_block_merge_config_selectorIjNS0_10empty_typeEEEZZNS1_27merge_sort_block_merge_implIS3_N6thrust23THRUST_200600_302600_NS6detail15normal_iteratorINS9_10device_ptrIjEEEEPS5_m14custom_greaterIjEEE10hipError_tT0_T1_T2_jT3_P12ihipStream_tbPNSt15iterator_traitsISJ_E10value_typeEPNSP_ISK_E10value_typeEPSL_NS1_7vsmem_tEENKUlT_SJ_SK_SL_E_clIPjSE_SF_SF_EESI_SY_SJ_SK_SL_EUlSY_E_NS1_11comp_targetILNS1_3genE4ELNS1_11target_archE910ELNS1_3gpuE8ELNS1_3repE0EEENS1_48merge_mergepath_partition_config_static_selectorELNS0_4arch9wavefront6targetE1EEEvSK_, .Lfunc_end3166-_ZN7rocprim17ROCPRIM_400000_NS6detail17trampoline_kernelINS0_14default_configENS1_38merge_sort_block_merge_config_selectorIjNS0_10empty_typeEEEZZNS1_27merge_sort_block_merge_implIS3_N6thrust23THRUST_200600_302600_NS6detail15normal_iteratorINS9_10device_ptrIjEEEEPS5_m14custom_greaterIjEEE10hipError_tT0_T1_T2_jT3_P12ihipStream_tbPNSt15iterator_traitsISJ_E10value_typeEPNSP_ISK_E10value_typeEPSL_NS1_7vsmem_tEENKUlT_SJ_SK_SL_E_clIPjSE_SF_SF_EESI_SY_SJ_SK_SL_EUlSY_E_NS1_11comp_targetILNS1_3genE4ELNS1_11target_archE910ELNS1_3gpuE8ELNS1_3repE0EEENS1_48merge_mergepath_partition_config_static_selectorELNS0_4arch9wavefront6targetE1EEEvSK_
                                        ; -- End function
	.section	.AMDGPU.csdata,"",@progbits
; Kernel info:
; codeLenInByte = 500
; NumSgprs: 12
; NumVgprs: 19
; NumAgprs: 0
; TotalNumVgprs: 19
; ScratchSize: 0
; MemoryBound: 0
; FloatMode: 240
; IeeeMode: 1
; LDSByteSize: 0 bytes/workgroup (compile time only)
; SGPRBlocks: 1
; VGPRBlocks: 2
; NumSGPRsForWavesPerEU: 12
; NumVGPRsForWavesPerEU: 19
; AccumOffset: 20
; Occupancy: 8
; WaveLimiterHint : 0
; COMPUTE_PGM_RSRC2:SCRATCH_EN: 0
; COMPUTE_PGM_RSRC2:USER_SGPR: 6
; COMPUTE_PGM_RSRC2:TRAP_HANDLER: 0
; COMPUTE_PGM_RSRC2:TGID_X_EN: 1
; COMPUTE_PGM_RSRC2:TGID_Y_EN: 0
; COMPUTE_PGM_RSRC2:TGID_Z_EN: 0
; COMPUTE_PGM_RSRC2:TIDIG_COMP_CNT: 0
; COMPUTE_PGM_RSRC3_GFX90A:ACCUM_OFFSET: 4
; COMPUTE_PGM_RSRC3_GFX90A:TG_SPLIT: 0
	.section	.text._ZN7rocprim17ROCPRIM_400000_NS6detail17trampoline_kernelINS0_14default_configENS1_38merge_sort_block_merge_config_selectorIjNS0_10empty_typeEEEZZNS1_27merge_sort_block_merge_implIS3_N6thrust23THRUST_200600_302600_NS6detail15normal_iteratorINS9_10device_ptrIjEEEEPS5_m14custom_greaterIjEEE10hipError_tT0_T1_T2_jT3_P12ihipStream_tbPNSt15iterator_traitsISJ_E10value_typeEPNSP_ISK_E10value_typeEPSL_NS1_7vsmem_tEENKUlT_SJ_SK_SL_E_clIPjSE_SF_SF_EESI_SY_SJ_SK_SL_EUlSY_E_NS1_11comp_targetILNS1_3genE3ELNS1_11target_archE908ELNS1_3gpuE7ELNS1_3repE0EEENS1_48merge_mergepath_partition_config_static_selectorELNS0_4arch9wavefront6targetE1EEEvSK_,"axG",@progbits,_ZN7rocprim17ROCPRIM_400000_NS6detail17trampoline_kernelINS0_14default_configENS1_38merge_sort_block_merge_config_selectorIjNS0_10empty_typeEEEZZNS1_27merge_sort_block_merge_implIS3_N6thrust23THRUST_200600_302600_NS6detail15normal_iteratorINS9_10device_ptrIjEEEEPS5_m14custom_greaterIjEEE10hipError_tT0_T1_T2_jT3_P12ihipStream_tbPNSt15iterator_traitsISJ_E10value_typeEPNSP_ISK_E10value_typeEPSL_NS1_7vsmem_tEENKUlT_SJ_SK_SL_E_clIPjSE_SF_SF_EESI_SY_SJ_SK_SL_EUlSY_E_NS1_11comp_targetILNS1_3genE3ELNS1_11target_archE908ELNS1_3gpuE7ELNS1_3repE0EEENS1_48merge_mergepath_partition_config_static_selectorELNS0_4arch9wavefront6targetE1EEEvSK_,comdat
	.protected	_ZN7rocprim17ROCPRIM_400000_NS6detail17trampoline_kernelINS0_14default_configENS1_38merge_sort_block_merge_config_selectorIjNS0_10empty_typeEEEZZNS1_27merge_sort_block_merge_implIS3_N6thrust23THRUST_200600_302600_NS6detail15normal_iteratorINS9_10device_ptrIjEEEEPS5_m14custom_greaterIjEEE10hipError_tT0_T1_T2_jT3_P12ihipStream_tbPNSt15iterator_traitsISJ_E10value_typeEPNSP_ISK_E10value_typeEPSL_NS1_7vsmem_tEENKUlT_SJ_SK_SL_E_clIPjSE_SF_SF_EESI_SY_SJ_SK_SL_EUlSY_E_NS1_11comp_targetILNS1_3genE3ELNS1_11target_archE908ELNS1_3gpuE7ELNS1_3repE0EEENS1_48merge_mergepath_partition_config_static_selectorELNS0_4arch9wavefront6targetE1EEEvSK_ ; -- Begin function _ZN7rocprim17ROCPRIM_400000_NS6detail17trampoline_kernelINS0_14default_configENS1_38merge_sort_block_merge_config_selectorIjNS0_10empty_typeEEEZZNS1_27merge_sort_block_merge_implIS3_N6thrust23THRUST_200600_302600_NS6detail15normal_iteratorINS9_10device_ptrIjEEEEPS5_m14custom_greaterIjEEE10hipError_tT0_T1_T2_jT3_P12ihipStream_tbPNSt15iterator_traitsISJ_E10value_typeEPNSP_ISK_E10value_typeEPSL_NS1_7vsmem_tEENKUlT_SJ_SK_SL_E_clIPjSE_SF_SF_EESI_SY_SJ_SK_SL_EUlSY_E_NS1_11comp_targetILNS1_3genE3ELNS1_11target_archE908ELNS1_3gpuE7ELNS1_3repE0EEENS1_48merge_mergepath_partition_config_static_selectorELNS0_4arch9wavefront6targetE1EEEvSK_
	.globl	_ZN7rocprim17ROCPRIM_400000_NS6detail17trampoline_kernelINS0_14default_configENS1_38merge_sort_block_merge_config_selectorIjNS0_10empty_typeEEEZZNS1_27merge_sort_block_merge_implIS3_N6thrust23THRUST_200600_302600_NS6detail15normal_iteratorINS9_10device_ptrIjEEEEPS5_m14custom_greaterIjEEE10hipError_tT0_T1_T2_jT3_P12ihipStream_tbPNSt15iterator_traitsISJ_E10value_typeEPNSP_ISK_E10value_typeEPSL_NS1_7vsmem_tEENKUlT_SJ_SK_SL_E_clIPjSE_SF_SF_EESI_SY_SJ_SK_SL_EUlSY_E_NS1_11comp_targetILNS1_3genE3ELNS1_11target_archE908ELNS1_3gpuE7ELNS1_3repE0EEENS1_48merge_mergepath_partition_config_static_selectorELNS0_4arch9wavefront6targetE1EEEvSK_
	.p2align	8
	.type	_ZN7rocprim17ROCPRIM_400000_NS6detail17trampoline_kernelINS0_14default_configENS1_38merge_sort_block_merge_config_selectorIjNS0_10empty_typeEEEZZNS1_27merge_sort_block_merge_implIS3_N6thrust23THRUST_200600_302600_NS6detail15normal_iteratorINS9_10device_ptrIjEEEEPS5_m14custom_greaterIjEEE10hipError_tT0_T1_T2_jT3_P12ihipStream_tbPNSt15iterator_traitsISJ_E10value_typeEPNSP_ISK_E10value_typeEPSL_NS1_7vsmem_tEENKUlT_SJ_SK_SL_E_clIPjSE_SF_SF_EESI_SY_SJ_SK_SL_EUlSY_E_NS1_11comp_targetILNS1_3genE3ELNS1_11target_archE908ELNS1_3gpuE7ELNS1_3repE0EEENS1_48merge_mergepath_partition_config_static_selectorELNS0_4arch9wavefront6targetE1EEEvSK_,@function
_ZN7rocprim17ROCPRIM_400000_NS6detail17trampoline_kernelINS0_14default_configENS1_38merge_sort_block_merge_config_selectorIjNS0_10empty_typeEEEZZNS1_27merge_sort_block_merge_implIS3_N6thrust23THRUST_200600_302600_NS6detail15normal_iteratorINS9_10device_ptrIjEEEEPS5_m14custom_greaterIjEEE10hipError_tT0_T1_T2_jT3_P12ihipStream_tbPNSt15iterator_traitsISJ_E10value_typeEPNSP_ISK_E10value_typeEPSL_NS1_7vsmem_tEENKUlT_SJ_SK_SL_E_clIPjSE_SF_SF_EESI_SY_SJ_SK_SL_EUlSY_E_NS1_11comp_targetILNS1_3genE3ELNS1_11target_archE908ELNS1_3gpuE7ELNS1_3repE0EEENS1_48merge_mergepath_partition_config_static_selectorELNS0_4arch9wavefront6targetE1EEEvSK_: ; @_ZN7rocprim17ROCPRIM_400000_NS6detail17trampoline_kernelINS0_14default_configENS1_38merge_sort_block_merge_config_selectorIjNS0_10empty_typeEEEZZNS1_27merge_sort_block_merge_implIS3_N6thrust23THRUST_200600_302600_NS6detail15normal_iteratorINS9_10device_ptrIjEEEEPS5_m14custom_greaterIjEEE10hipError_tT0_T1_T2_jT3_P12ihipStream_tbPNSt15iterator_traitsISJ_E10value_typeEPNSP_ISK_E10value_typeEPSL_NS1_7vsmem_tEENKUlT_SJ_SK_SL_E_clIPjSE_SF_SF_EESI_SY_SJ_SK_SL_EUlSY_E_NS1_11comp_targetILNS1_3genE3ELNS1_11target_archE908ELNS1_3gpuE7ELNS1_3repE0EEENS1_48merge_mergepath_partition_config_static_selectorELNS0_4arch9wavefront6targetE1EEEvSK_
; %bb.0:
	.section	.rodata,"a",@progbits
	.p2align	6, 0x0
	.amdhsa_kernel _ZN7rocprim17ROCPRIM_400000_NS6detail17trampoline_kernelINS0_14default_configENS1_38merge_sort_block_merge_config_selectorIjNS0_10empty_typeEEEZZNS1_27merge_sort_block_merge_implIS3_N6thrust23THRUST_200600_302600_NS6detail15normal_iteratorINS9_10device_ptrIjEEEEPS5_m14custom_greaterIjEEE10hipError_tT0_T1_T2_jT3_P12ihipStream_tbPNSt15iterator_traitsISJ_E10value_typeEPNSP_ISK_E10value_typeEPSL_NS1_7vsmem_tEENKUlT_SJ_SK_SL_E_clIPjSE_SF_SF_EESI_SY_SJ_SK_SL_EUlSY_E_NS1_11comp_targetILNS1_3genE3ELNS1_11target_archE908ELNS1_3gpuE7ELNS1_3repE0EEENS1_48merge_mergepath_partition_config_static_selectorELNS0_4arch9wavefront6targetE1EEEvSK_
		.amdhsa_group_segment_fixed_size 0
		.amdhsa_private_segment_fixed_size 0
		.amdhsa_kernarg_size 48
		.amdhsa_user_sgpr_count 6
		.amdhsa_user_sgpr_private_segment_buffer 1
		.amdhsa_user_sgpr_dispatch_ptr 0
		.amdhsa_user_sgpr_queue_ptr 0
		.amdhsa_user_sgpr_kernarg_segment_ptr 1
		.amdhsa_user_sgpr_dispatch_id 0
		.amdhsa_user_sgpr_flat_scratch_init 0
		.amdhsa_user_sgpr_kernarg_preload_length 0
		.amdhsa_user_sgpr_kernarg_preload_offset 0
		.amdhsa_user_sgpr_private_segment_size 0
		.amdhsa_uses_dynamic_stack 0
		.amdhsa_system_sgpr_private_segment_wavefront_offset 0
		.amdhsa_system_sgpr_workgroup_id_x 1
		.amdhsa_system_sgpr_workgroup_id_y 0
		.amdhsa_system_sgpr_workgroup_id_z 0
		.amdhsa_system_sgpr_workgroup_info 0
		.amdhsa_system_vgpr_workitem_id 0
		.amdhsa_next_free_vgpr 1
		.amdhsa_next_free_sgpr 0
		.amdhsa_accum_offset 4
		.amdhsa_reserve_vcc 0
		.amdhsa_reserve_flat_scratch 0
		.amdhsa_float_round_mode_32 0
		.amdhsa_float_round_mode_16_64 0
		.amdhsa_float_denorm_mode_32 3
		.amdhsa_float_denorm_mode_16_64 3
		.amdhsa_dx10_clamp 1
		.amdhsa_ieee_mode 1
		.amdhsa_fp16_overflow 0
		.amdhsa_tg_split 0
		.amdhsa_exception_fp_ieee_invalid_op 0
		.amdhsa_exception_fp_denorm_src 0
		.amdhsa_exception_fp_ieee_div_zero 0
		.amdhsa_exception_fp_ieee_overflow 0
		.amdhsa_exception_fp_ieee_underflow 0
		.amdhsa_exception_fp_ieee_inexact 0
		.amdhsa_exception_int_div_zero 0
	.end_amdhsa_kernel
	.section	.text._ZN7rocprim17ROCPRIM_400000_NS6detail17trampoline_kernelINS0_14default_configENS1_38merge_sort_block_merge_config_selectorIjNS0_10empty_typeEEEZZNS1_27merge_sort_block_merge_implIS3_N6thrust23THRUST_200600_302600_NS6detail15normal_iteratorINS9_10device_ptrIjEEEEPS5_m14custom_greaterIjEEE10hipError_tT0_T1_T2_jT3_P12ihipStream_tbPNSt15iterator_traitsISJ_E10value_typeEPNSP_ISK_E10value_typeEPSL_NS1_7vsmem_tEENKUlT_SJ_SK_SL_E_clIPjSE_SF_SF_EESI_SY_SJ_SK_SL_EUlSY_E_NS1_11comp_targetILNS1_3genE3ELNS1_11target_archE908ELNS1_3gpuE7ELNS1_3repE0EEENS1_48merge_mergepath_partition_config_static_selectorELNS0_4arch9wavefront6targetE1EEEvSK_,"axG",@progbits,_ZN7rocprim17ROCPRIM_400000_NS6detail17trampoline_kernelINS0_14default_configENS1_38merge_sort_block_merge_config_selectorIjNS0_10empty_typeEEEZZNS1_27merge_sort_block_merge_implIS3_N6thrust23THRUST_200600_302600_NS6detail15normal_iteratorINS9_10device_ptrIjEEEEPS5_m14custom_greaterIjEEE10hipError_tT0_T1_T2_jT3_P12ihipStream_tbPNSt15iterator_traitsISJ_E10value_typeEPNSP_ISK_E10value_typeEPSL_NS1_7vsmem_tEENKUlT_SJ_SK_SL_E_clIPjSE_SF_SF_EESI_SY_SJ_SK_SL_EUlSY_E_NS1_11comp_targetILNS1_3genE3ELNS1_11target_archE908ELNS1_3gpuE7ELNS1_3repE0EEENS1_48merge_mergepath_partition_config_static_selectorELNS0_4arch9wavefront6targetE1EEEvSK_,comdat
.Lfunc_end3167:
	.size	_ZN7rocprim17ROCPRIM_400000_NS6detail17trampoline_kernelINS0_14default_configENS1_38merge_sort_block_merge_config_selectorIjNS0_10empty_typeEEEZZNS1_27merge_sort_block_merge_implIS3_N6thrust23THRUST_200600_302600_NS6detail15normal_iteratorINS9_10device_ptrIjEEEEPS5_m14custom_greaterIjEEE10hipError_tT0_T1_T2_jT3_P12ihipStream_tbPNSt15iterator_traitsISJ_E10value_typeEPNSP_ISK_E10value_typeEPSL_NS1_7vsmem_tEENKUlT_SJ_SK_SL_E_clIPjSE_SF_SF_EESI_SY_SJ_SK_SL_EUlSY_E_NS1_11comp_targetILNS1_3genE3ELNS1_11target_archE908ELNS1_3gpuE7ELNS1_3repE0EEENS1_48merge_mergepath_partition_config_static_selectorELNS0_4arch9wavefront6targetE1EEEvSK_, .Lfunc_end3167-_ZN7rocprim17ROCPRIM_400000_NS6detail17trampoline_kernelINS0_14default_configENS1_38merge_sort_block_merge_config_selectorIjNS0_10empty_typeEEEZZNS1_27merge_sort_block_merge_implIS3_N6thrust23THRUST_200600_302600_NS6detail15normal_iteratorINS9_10device_ptrIjEEEEPS5_m14custom_greaterIjEEE10hipError_tT0_T1_T2_jT3_P12ihipStream_tbPNSt15iterator_traitsISJ_E10value_typeEPNSP_ISK_E10value_typeEPSL_NS1_7vsmem_tEENKUlT_SJ_SK_SL_E_clIPjSE_SF_SF_EESI_SY_SJ_SK_SL_EUlSY_E_NS1_11comp_targetILNS1_3genE3ELNS1_11target_archE908ELNS1_3gpuE7ELNS1_3repE0EEENS1_48merge_mergepath_partition_config_static_selectorELNS0_4arch9wavefront6targetE1EEEvSK_
                                        ; -- End function
	.section	.AMDGPU.csdata,"",@progbits
; Kernel info:
; codeLenInByte = 0
; NumSgprs: 4
; NumVgprs: 0
; NumAgprs: 0
; TotalNumVgprs: 0
; ScratchSize: 0
; MemoryBound: 0
; FloatMode: 240
; IeeeMode: 1
; LDSByteSize: 0 bytes/workgroup (compile time only)
; SGPRBlocks: 0
; VGPRBlocks: 0
; NumSGPRsForWavesPerEU: 4
; NumVGPRsForWavesPerEU: 1
; AccumOffset: 4
; Occupancy: 8
; WaveLimiterHint : 0
; COMPUTE_PGM_RSRC2:SCRATCH_EN: 0
; COMPUTE_PGM_RSRC2:USER_SGPR: 6
; COMPUTE_PGM_RSRC2:TRAP_HANDLER: 0
; COMPUTE_PGM_RSRC2:TGID_X_EN: 1
; COMPUTE_PGM_RSRC2:TGID_Y_EN: 0
; COMPUTE_PGM_RSRC2:TGID_Z_EN: 0
; COMPUTE_PGM_RSRC2:TIDIG_COMP_CNT: 0
; COMPUTE_PGM_RSRC3_GFX90A:ACCUM_OFFSET: 0
; COMPUTE_PGM_RSRC3_GFX90A:TG_SPLIT: 0
	.section	.text._ZN7rocprim17ROCPRIM_400000_NS6detail17trampoline_kernelINS0_14default_configENS1_38merge_sort_block_merge_config_selectorIjNS0_10empty_typeEEEZZNS1_27merge_sort_block_merge_implIS3_N6thrust23THRUST_200600_302600_NS6detail15normal_iteratorINS9_10device_ptrIjEEEEPS5_m14custom_greaterIjEEE10hipError_tT0_T1_T2_jT3_P12ihipStream_tbPNSt15iterator_traitsISJ_E10value_typeEPNSP_ISK_E10value_typeEPSL_NS1_7vsmem_tEENKUlT_SJ_SK_SL_E_clIPjSE_SF_SF_EESI_SY_SJ_SK_SL_EUlSY_E_NS1_11comp_targetILNS1_3genE2ELNS1_11target_archE906ELNS1_3gpuE6ELNS1_3repE0EEENS1_48merge_mergepath_partition_config_static_selectorELNS0_4arch9wavefront6targetE1EEEvSK_,"axG",@progbits,_ZN7rocprim17ROCPRIM_400000_NS6detail17trampoline_kernelINS0_14default_configENS1_38merge_sort_block_merge_config_selectorIjNS0_10empty_typeEEEZZNS1_27merge_sort_block_merge_implIS3_N6thrust23THRUST_200600_302600_NS6detail15normal_iteratorINS9_10device_ptrIjEEEEPS5_m14custom_greaterIjEEE10hipError_tT0_T1_T2_jT3_P12ihipStream_tbPNSt15iterator_traitsISJ_E10value_typeEPNSP_ISK_E10value_typeEPSL_NS1_7vsmem_tEENKUlT_SJ_SK_SL_E_clIPjSE_SF_SF_EESI_SY_SJ_SK_SL_EUlSY_E_NS1_11comp_targetILNS1_3genE2ELNS1_11target_archE906ELNS1_3gpuE6ELNS1_3repE0EEENS1_48merge_mergepath_partition_config_static_selectorELNS0_4arch9wavefront6targetE1EEEvSK_,comdat
	.protected	_ZN7rocprim17ROCPRIM_400000_NS6detail17trampoline_kernelINS0_14default_configENS1_38merge_sort_block_merge_config_selectorIjNS0_10empty_typeEEEZZNS1_27merge_sort_block_merge_implIS3_N6thrust23THRUST_200600_302600_NS6detail15normal_iteratorINS9_10device_ptrIjEEEEPS5_m14custom_greaterIjEEE10hipError_tT0_T1_T2_jT3_P12ihipStream_tbPNSt15iterator_traitsISJ_E10value_typeEPNSP_ISK_E10value_typeEPSL_NS1_7vsmem_tEENKUlT_SJ_SK_SL_E_clIPjSE_SF_SF_EESI_SY_SJ_SK_SL_EUlSY_E_NS1_11comp_targetILNS1_3genE2ELNS1_11target_archE906ELNS1_3gpuE6ELNS1_3repE0EEENS1_48merge_mergepath_partition_config_static_selectorELNS0_4arch9wavefront6targetE1EEEvSK_ ; -- Begin function _ZN7rocprim17ROCPRIM_400000_NS6detail17trampoline_kernelINS0_14default_configENS1_38merge_sort_block_merge_config_selectorIjNS0_10empty_typeEEEZZNS1_27merge_sort_block_merge_implIS3_N6thrust23THRUST_200600_302600_NS6detail15normal_iteratorINS9_10device_ptrIjEEEEPS5_m14custom_greaterIjEEE10hipError_tT0_T1_T2_jT3_P12ihipStream_tbPNSt15iterator_traitsISJ_E10value_typeEPNSP_ISK_E10value_typeEPSL_NS1_7vsmem_tEENKUlT_SJ_SK_SL_E_clIPjSE_SF_SF_EESI_SY_SJ_SK_SL_EUlSY_E_NS1_11comp_targetILNS1_3genE2ELNS1_11target_archE906ELNS1_3gpuE6ELNS1_3repE0EEENS1_48merge_mergepath_partition_config_static_selectorELNS0_4arch9wavefront6targetE1EEEvSK_
	.globl	_ZN7rocprim17ROCPRIM_400000_NS6detail17trampoline_kernelINS0_14default_configENS1_38merge_sort_block_merge_config_selectorIjNS0_10empty_typeEEEZZNS1_27merge_sort_block_merge_implIS3_N6thrust23THRUST_200600_302600_NS6detail15normal_iteratorINS9_10device_ptrIjEEEEPS5_m14custom_greaterIjEEE10hipError_tT0_T1_T2_jT3_P12ihipStream_tbPNSt15iterator_traitsISJ_E10value_typeEPNSP_ISK_E10value_typeEPSL_NS1_7vsmem_tEENKUlT_SJ_SK_SL_E_clIPjSE_SF_SF_EESI_SY_SJ_SK_SL_EUlSY_E_NS1_11comp_targetILNS1_3genE2ELNS1_11target_archE906ELNS1_3gpuE6ELNS1_3repE0EEENS1_48merge_mergepath_partition_config_static_selectorELNS0_4arch9wavefront6targetE1EEEvSK_
	.p2align	8
	.type	_ZN7rocprim17ROCPRIM_400000_NS6detail17trampoline_kernelINS0_14default_configENS1_38merge_sort_block_merge_config_selectorIjNS0_10empty_typeEEEZZNS1_27merge_sort_block_merge_implIS3_N6thrust23THRUST_200600_302600_NS6detail15normal_iteratorINS9_10device_ptrIjEEEEPS5_m14custom_greaterIjEEE10hipError_tT0_T1_T2_jT3_P12ihipStream_tbPNSt15iterator_traitsISJ_E10value_typeEPNSP_ISK_E10value_typeEPSL_NS1_7vsmem_tEENKUlT_SJ_SK_SL_E_clIPjSE_SF_SF_EESI_SY_SJ_SK_SL_EUlSY_E_NS1_11comp_targetILNS1_3genE2ELNS1_11target_archE906ELNS1_3gpuE6ELNS1_3repE0EEENS1_48merge_mergepath_partition_config_static_selectorELNS0_4arch9wavefront6targetE1EEEvSK_,@function
_ZN7rocprim17ROCPRIM_400000_NS6detail17trampoline_kernelINS0_14default_configENS1_38merge_sort_block_merge_config_selectorIjNS0_10empty_typeEEEZZNS1_27merge_sort_block_merge_implIS3_N6thrust23THRUST_200600_302600_NS6detail15normal_iteratorINS9_10device_ptrIjEEEEPS5_m14custom_greaterIjEEE10hipError_tT0_T1_T2_jT3_P12ihipStream_tbPNSt15iterator_traitsISJ_E10value_typeEPNSP_ISK_E10value_typeEPSL_NS1_7vsmem_tEENKUlT_SJ_SK_SL_E_clIPjSE_SF_SF_EESI_SY_SJ_SK_SL_EUlSY_E_NS1_11comp_targetILNS1_3genE2ELNS1_11target_archE906ELNS1_3gpuE6ELNS1_3repE0EEENS1_48merge_mergepath_partition_config_static_selectorELNS0_4arch9wavefront6targetE1EEEvSK_: ; @_ZN7rocprim17ROCPRIM_400000_NS6detail17trampoline_kernelINS0_14default_configENS1_38merge_sort_block_merge_config_selectorIjNS0_10empty_typeEEEZZNS1_27merge_sort_block_merge_implIS3_N6thrust23THRUST_200600_302600_NS6detail15normal_iteratorINS9_10device_ptrIjEEEEPS5_m14custom_greaterIjEEE10hipError_tT0_T1_T2_jT3_P12ihipStream_tbPNSt15iterator_traitsISJ_E10value_typeEPNSP_ISK_E10value_typeEPSL_NS1_7vsmem_tEENKUlT_SJ_SK_SL_E_clIPjSE_SF_SF_EESI_SY_SJ_SK_SL_EUlSY_E_NS1_11comp_targetILNS1_3genE2ELNS1_11target_archE906ELNS1_3gpuE6ELNS1_3repE0EEENS1_48merge_mergepath_partition_config_static_selectorELNS0_4arch9wavefront6targetE1EEEvSK_
; %bb.0:
	.section	.rodata,"a",@progbits
	.p2align	6, 0x0
	.amdhsa_kernel _ZN7rocprim17ROCPRIM_400000_NS6detail17trampoline_kernelINS0_14default_configENS1_38merge_sort_block_merge_config_selectorIjNS0_10empty_typeEEEZZNS1_27merge_sort_block_merge_implIS3_N6thrust23THRUST_200600_302600_NS6detail15normal_iteratorINS9_10device_ptrIjEEEEPS5_m14custom_greaterIjEEE10hipError_tT0_T1_T2_jT3_P12ihipStream_tbPNSt15iterator_traitsISJ_E10value_typeEPNSP_ISK_E10value_typeEPSL_NS1_7vsmem_tEENKUlT_SJ_SK_SL_E_clIPjSE_SF_SF_EESI_SY_SJ_SK_SL_EUlSY_E_NS1_11comp_targetILNS1_3genE2ELNS1_11target_archE906ELNS1_3gpuE6ELNS1_3repE0EEENS1_48merge_mergepath_partition_config_static_selectorELNS0_4arch9wavefront6targetE1EEEvSK_
		.amdhsa_group_segment_fixed_size 0
		.amdhsa_private_segment_fixed_size 0
		.amdhsa_kernarg_size 48
		.amdhsa_user_sgpr_count 6
		.amdhsa_user_sgpr_private_segment_buffer 1
		.amdhsa_user_sgpr_dispatch_ptr 0
		.amdhsa_user_sgpr_queue_ptr 0
		.amdhsa_user_sgpr_kernarg_segment_ptr 1
		.amdhsa_user_sgpr_dispatch_id 0
		.amdhsa_user_sgpr_flat_scratch_init 0
		.amdhsa_user_sgpr_kernarg_preload_length 0
		.amdhsa_user_sgpr_kernarg_preload_offset 0
		.amdhsa_user_sgpr_private_segment_size 0
		.amdhsa_uses_dynamic_stack 0
		.amdhsa_system_sgpr_private_segment_wavefront_offset 0
		.amdhsa_system_sgpr_workgroup_id_x 1
		.amdhsa_system_sgpr_workgroup_id_y 0
		.amdhsa_system_sgpr_workgroup_id_z 0
		.amdhsa_system_sgpr_workgroup_info 0
		.amdhsa_system_vgpr_workitem_id 0
		.amdhsa_next_free_vgpr 1
		.amdhsa_next_free_sgpr 0
		.amdhsa_accum_offset 4
		.amdhsa_reserve_vcc 0
		.amdhsa_reserve_flat_scratch 0
		.amdhsa_float_round_mode_32 0
		.amdhsa_float_round_mode_16_64 0
		.amdhsa_float_denorm_mode_32 3
		.amdhsa_float_denorm_mode_16_64 3
		.amdhsa_dx10_clamp 1
		.amdhsa_ieee_mode 1
		.amdhsa_fp16_overflow 0
		.amdhsa_tg_split 0
		.amdhsa_exception_fp_ieee_invalid_op 0
		.amdhsa_exception_fp_denorm_src 0
		.amdhsa_exception_fp_ieee_div_zero 0
		.amdhsa_exception_fp_ieee_overflow 0
		.amdhsa_exception_fp_ieee_underflow 0
		.amdhsa_exception_fp_ieee_inexact 0
		.amdhsa_exception_int_div_zero 0
	.end_amdhsa_kernel
	.section	.text._ZN7rocprim17ROCPRIM_400000_NS6detail17trampoline_kernelINS0_14default_configENS1_38merge_sort_block_merge_config_selectorIjNS0_10empty_typeEEEZZNS1_27merge_sort_block_merge_implIS3_N6thrust23THRUST_200600_302600_NS6detail15normal_iteratorINS9_10device_ptrIjEEEEPS5_m14custom_greaterIjEEE10hipError_tT0_T1_T2_jT3_P12ihipStream_tbPNSt15iterator_traitsISJ_E10value_typeEPNSP_ISK_E10value_typeEPSL_NS1_7vsmem_tEENKUlT_SJ_SK_SL_E_clIPjSE_SF_SF_EESI_SY_SJ_SK_SL_EUlSY_E_NS1_11comp_targetILNS1_3genE2ELNS1_11target_archE906ELNS1_3gpuE6ELNS1_3repE0EEENS1_48merge_mergepath_partition_config_static_selectorELNS0_4arch9wavefront6targetE1EEEvSK_,"axG",@progbits,_ZN7rocprim17ROCPRIM_400000_NS6detail17trampoline_kernelINS0_14default_configENS1_38merge_sort_block_merge_config_selectorIjNS0_10empty_typeEEEZZNS1_27merge_sort_block_merge_implIS3_N6thrust23THRUST_200600_302600_NS6detail15normal_iteratorINS9_10device_ptrIjEEEEPS5_m14custom_greaterIjEEE10hipError_tT0_T1_T2_jT3_P12ihipStream_tbPNSt15iterator_traitsISJ_E10value_typeEPNSP_ISK_E10value_typeEPSL_NS1_7vsmem_tEENKUlT_SJ_SK_SL_E_clIPjSE_SF_SF_EESI_SY_SJ_SK_SL_EUlSY_E_NS1_11comp_targetILNS1_3genE2ELNS1_11target_archE906ELNS1_3gpuE6ELNS1_3repE0EEENS1_48merge_mergepath_partition_config_static_selectorELNS0_4arch9wavefront6targetE1EEEvSK_,comdat
.Lfunc_end3168:
	.size	_ZN7rocprim17ROCPRIM_400000_NS6detail17trampoline_kernelINS0_14default_configENS1_38merge_sort_block_merge_config_selectorIjNS0_10empty_typeEEEZZNS1_27merge_sort_block_merge_implIS3_N6thrust23THRUST_200600_302600_NS6detail15normal_iteratorINS9_10device_ptrIjEEEEPS5_m14custom_greaterIjEEE10hipError_tT0_T1_T2_jT3_P12ihipStream_tbPNSt15iterator_traitsISJ_E10value_typeEPNSP_ISK_E10value_typeEPSL_NS1_7vsmem_tEENKUlT_SJ_SK_SL_E_clIPjSE_SF_SF_EESI_SY_SJ_SK_SL_EUlSY_E_NS1_11comp_targetILNS1_3genE2ELNS1_11target_archE906ELNS1_3gpuE6ELNS1_3repE0EEENS1_48merge_mergepath_partition_config_static_selectorELNS0_4arch9wavefront6targetE1EEEvSK_, .Lfunc_end3168-_ZN7rocprim17ROCPRIM_400000_NS6detail17trampoline_kernelINS0_14default_configENS1_38merge_sort_block_merge_config_selectorIjNS0_10empty_typeEEEZZNS1_27merge_sort_block_merge_implIS3_N6thrust23THRUST_200600_302600_NS6detail15normal_iteratorINS9_10device_ptrIjEEEEPS5_m14custom_greaterIjEEE10hipError_tT0_T1_T2_jT3_P12ihipStream_tbPNSt15iterator_traitsISJ_E10value_typeEPNSP_ISK_E10value_typeEPSL_NS1_7vsmem_tEENKUlT_SJ_SK_SL_E_clIPjSE_SF_SF_EESI_SY_SJ_SK_SL_EUlSY_E_NS1_11comp_targetILNS1_3genE2ELNS1_11target_archE906ELNS1_3gpuE6ELNS1_3repE0EEENS1_48merge_mergepath_partition_config_static_selectorELNS0_4arch9wavefront6targetE1EEEvSK_
                                        ; -- End function
	.section	.AMDGPU.csdata,"",@progbits
; Kernel info:
; codeLenInByte = 0
; NumSgprs: 4
; NumVgprs: 0
; NumAgprs: 0
; TotalNumVgprs: 0
; ScratchSize: 0
; MemoryBound: 0
; FloatMode: 240
; IeeeMode: 1
; LDSByteSize: 0 bytes/workgroup (compile time only)
; SGPRBlocks: 0
; VGPRBlocks: 0
; NumSGPRsForWavesPerEU: 4
; NumVGPRsForWavesPerEU: 1
; AccumOffset: 4
; Occupancy: 8
; WaveLimiterHint : 0
; COMPUTE_PGM_RSRC2:SCRATCH_EN: 0
; COMPUTE_PGM_RSRC2:USER_SGPR: 6
; COMPUTE_PGM_RSRC2:TRAP_HANDLER: 0
; COMPUTE_PGM_RSRC2:TGID_X_EN: 1
; COMPUTE_PGM_RSRC2:TGID_Y_EN: 0
; COMPUTE_PGM_RSRC2:TGID_Z_EN: 0
; COMPUTE_PGM_RSRC2:TIDIG_COMP_CNT: 0
; COMPUTE_PGM_RSRC3_GFX90A:ACCUM_OFFSET: 0
; COMPUTE_PGM_RSRC3_GFX90A:TG_SPLIT: 0
	.section	.text._ZN7rocprim17ROCPRIM_400000_NS6detail17trampoline_kernelINS0_14default_configENS1_38merge_sort_block_merge_config_selectorIjNS0_10empty_typeEEEZZNS1_27merge_sort_block_merge_implIS3_N6thrust23THRUST_200600_302600_NS6detail15normal_iteratorINS9_10device_ptrIjEEEEPS5_m14custom_greaterIjEEE10hipError_tT0_T1_T2_jT3_P12ihipStream_tbPNSt15iterator_traitsISJ_E10value_typeEPNSP_ISK_E10value_typeEPSL_NS1_7vsmem_tEENKUlT_SJ_SK_SL_E_clIPjSE_SF_SF_EESI_SY_SJ_SK_SL_EUlSY_E_NS1_11comp_targetILNS1_3genE9ELNS1_11target_archE1100ELNS1_3gpuE3ELNS1_3repE0EEENS1_48merge_mergepath_partition_config_static_selectorELNS0_4arch9wavefront6targetE1EEEvSK_,"axG",@progbits,_ZN7rocprim17ROCPRIM_400000_NS6detail17trampoline_kernelINS0_14default_configENS1_38merge_sort_block_merge_config_selectorIjNS0_10empty_typeEEEZZNS1_27merge_sort_block_merge_implIS3_N6thrust23THRUST_200600_302600_NS6detail15normal_iteratorINS9_10device_ptrIjEEEEPS5_m14custom_greaterIjEEE10hipError_tT0_T1_T2_jT3_P12ihipStream_tbPNSt15iterator_traitsISJ_E10value_typeEPNSP_ISK_E10value_typeEPSL_NS1_7vsmem_tEENKUlT_SJ_SK_SL_E_clIPjSE_SF_SF_EESI_SY_SJ_SK_SL_EUlSY_E_NS1_11comp_targetILNS1_3genE9ELNS1_11target_archE1100ELNS1_3gpuE3ELNS1_3repE0EEENS1_48merge_mergepath_partition_config_static_selectorELNS0_4arch9wavefront6targetE1EEEvSK_,comdat
	.protected	_ZN7rocprim17ROCPRIM_400000_NS6detail17trampoline_kernelINS0_14default_configENS1_38merge_sort_block_merge_config_selectorIjNS0_10empty_typeEEEZZNS1_27merge_sort_block_merge_implIS3_N6thrust23THRUST_200600_302600_NS6detail15normal_iteratorINS9_10device_ptrIjEEEEPS5_m14custom_greaterIjEEE10hipError_tT0_T1_T2_jT3_P12ihipStream_tbPNSt15iterator_traitsISJ_E10value_typeEPNSP_ISK_E10value_typeEPSL_NS1_7vsmem_tEENKUlT_SJ_SK_SL_E_clIPjSE_SF_SF_EESI_SY_SJ_SK_SL_EUlSY_E_NS1_11comp_targetILNS1_3genE9ELNS1_11target_archE1100ELNS1_3gpuE3ELNS1_3repE0EEENS1_48merge_mergepath_partition_config_static_selectorELNS0_4arch9wavefront6targetE1EEEvSK_ ; -- Begin function _ZN7rocprim17ROCPRIM_400000_NS6detail17trampoline_kernelINS0_14default_configENS1_38merge_sort_block_merge_config_selectorIjNS0_10empty_typeEEEZZNS1_27merge_sort_block_merge_implIS3_N6thrust23THRUST_200600_302600_NS6detail15normal_iteratorINS9_10device_ptrIjEEEEPS5_m14custom_greaterIjEEE10hipError_tT0_T1_T2_jT3_P12ihipStream_tbPNSt15iterator_traitsISJ_E10value_typeEPNSP_ISK_E10value_typeEPSL_NS1_7vsmem_tEENKUlT_SJ_SK_SL_E_clIPjSE_SF_SF_EESI_SY_SJ_SK_SL_EUlSY_E_NS1_11comp_targetILNS1_3genE9ELNS1_11target_archE1100ELNS1_3gpuE3ELNS1_3repE0EEENS1_48merge_mergepath_partition_config_static_selectorELNS0_4arch9wavefront6targetE1EEEvSK_
	.globl	_ZN7rocprim17ROCPRIM_400000_NS6detail17trampoline_kernelINS0_14default_configENS1_38merge_sort_block_merge_config_selectorIjNS0_10empty_typeEEEZZNS1_27merge_sort_block_merge_implIS3_N6thrust23THRUST_200600_302600_NS6detail15normal_iteratorINS9_10device_ptrIjEEEEPS5_m14custom_greaterIjEEE10hipError_tT0_T1_T2_jT3_P12ihipStream_tbPNSt15iterator_traitsISJ_E10value_typeEPNSP_ISK_E10value_typeEPSL_NS1_7vsmem_tEENKUlT_SJ_SK_SL_E_clIPjSE_SF_SF_EESI_SY_SJ_SK_SL_EUlSY_E_NS1_11comp_targetILNS1_3genE9ELNS1_11target_archE1100ELNS1_3gpuE3ELNS1_3repE0EEENS1_48merge_mergepath_partition_config_static_selectorELNS0_4arch9wavefront6targetE1EEEvSK_
	.p2align	8
	.type	_ZN7rocprim17ROCPRIM_400000_NS6detail17trampoline_kernelINS0_14default_configENS1_38merge_sort_block_merge_config_selectorIjNS0_10empty_typeEEEZZNS1_27merge_sort_block_merge_implIS3_N6thrust23THRUST_200600_302600_NS6detail15normal_iteratorINS9_10device_ptrIjEEEEPS5_m14custom_greaterIjEEE10hipError_tT0_T1_T2_jT3_P12ihipStream_tbPNSt15iterator_traitsISJ_E10value_typeEPNSP_ISK_E10value_typeEPSL_NS1_7vsmem_tEENKUlT_SJ_SK_SL_E_clIPjSE_SF_SF_EESI_SY_SJ_SK_SL_EUlSY_E_NS1_11comp_targetILNS1_3genE9ELNS1_11target_archE1100ELNS1_3gpuE3ELNS1_3repE0EEENS1_48merge_mergepath_partition_config_static_selectorELNS0_4arch9wavefront6targetE1EEEvSK_,@function
_ZN7rocprim17ROCPRIM_400000_NS6detail17trampoline_kernelINS0_14default_configENS1_38merge_sort_block_merge_config_selectorIjNS0_10empty_typeEEEZZNS1_27merge_sort_block_merge_implIS3_N6thrust23THRUST_200600_302600_NS6detail15normal_iteratorINS9_10device_ptrIjEEEEPS5_m14custom_greaterIjEEE10hipError_tT0_T1_T2_jT3_P12ihipStream_tbPNSt15iterator_traitsISJ_E10value_typeEPNSP_ISK_E10value_typeEPSL_NS1_7vsmem_tEENKUlT_SJ_SK_SL_E_clIPjSE_SF_SF_EESI_SY_SJ_SK_SL_EUlSY_E_NS1_11comp_targetILNS1_3genE9ELNS1_11target_archE1100ELNS1_3gpuE3ELNS1_3repE0EEENS1_48merge_mergepath_partition_config_static_selectorELNS0_4arch9wavefront6targetE1EEEvSK_: ; @_ZN7rocprim17ROCPRIM_400000_NS6detail17trampoline_kernelINS0_14default_configENS1_38merge_sort_block_merge_config_selectorIjNS0_10empty_typeEEEZZNS1_27merge_sort_block_merge_implIS3_N6thrust23THRUST_200600_302600_NS6detail15normal_iteratorINS9_10device_ptrIjEEEEPS5_m14custom_greaterIjEEE10hipError_tT0_T1_T2_jT3_P12ihipStream_tbPNSt15iterator_traitsISJ_E10value_typeEPNSP_ISK_E10value_typeEPSL_NS1_7vsmem_tEENKUlT_SJ_SK_SL_E_clIPjSE_SF_SF_EESI_SY_SJ_SK_SL_EUlSY_E_NS1_11comp_targetILNS1_3genE9ELNS1_11target_archE1100ELNS1_3gpuE3ELNS1_3repE0EEENS1_48merge_mergepath_partition_config_static_selectorELNS0_4arch9wavefront6targetE1EEEvSK_
; %bb.0:
	.section	.rodata,"a",@progbits
	.p2align	6, 0x0
	.amdhsa_kernel _ZN7rocprim17ROCPRIM_400000_NS6detail17trampoline_kernelINS0_14default_configENS1_38merge_sort_block_merge_config_selectorIjNS0_10empty_typeEEEZZNS1_27merge_sort_block_merge_implIS3_N6thrust23THRUST_200600_302600_NS6detail15normal_iteratorINS9_10device_ptrIjEEEEPS5_m14custom_greaterIjEEE10hipError_tT0_T1_T2_jT3_P12ihipStream_tbPNSt15iterator_traitsISJ_E10value_typeEPNSP_ISK_E10value_typeEPSL_NS1_7vsmem_tEENKUlT_SJ_SK_SL_E_clIPjSE_SF_SF_EESI_SY_SJ_SK_SL_EUlSY_E_NS1_11comp_targetILNS1_3genE9ELNS1_11target_archE1100ELNS1_3gpuE3ELNS1_3repE0EEENS1_48merge_mergepath_partition_config_static_selectorELNS0_4arch9wavefront6targetE1EEEvSK_
		.amdhsa_group_segment_fixed_size 0
		.amdhsa_private_segment_fixed_size 0
		.amdhsa_kernarg_size 48
		.amdhsa_user_sgpr_count 6
		.amdhsa_user_sgpr_private_segment_buffer 1
		.amdhsa_user_sgpr_dispatch_ptr 0
		.amdhsa_user_sgpr_queue_ptr 0
		.amdhsa_user_sgpr_kernarg_segment_ptr 1
		.amdhsa_user_sgpr_dispatch_id 0
		.amdhsa_user_sgpr_flat_scratch_init 0
		.amdhsa_user_sgpr_kernarg_preload_length 0
		.amdhsa_user_sgpr_kernarg_preload_offset 0
		.amdhsa_user_sgpr_private_segment_size 0
		.amdhsa_uses_dynamic_stack 0
		.amdhsa_system_sgpr_private_segment_wavefront_offset 0
		.amdhsa_system_sgpr_workgroup_id_x 1
		.amdhsa_system_sgpr_workgroup_id_y 0
		.amdhsa_system_sgpr_workgroup_id_z 0
		.amdhsa_system_sgpr_workgroup_info 0
		.amdhsa_system_vgpr_workitem_id 0
		.amdhsa_next_free_vgpr 1
		.amdhsa_next_free_sgpr 0
		.amdhsa_accum_offset 4
		.amdhsa_reserve_vcc 0
		.amdhsa_reserve_flat_scratch 0
		.amdhsa_float_round_mode_32 0
		.amdhsa_float_round_mode_16_64 0
		.amdhsa_float_denorm_mode_32 3
		.amdhsa_float_denorm_mode_16_64 3
		.amdhsa_dx10_clamp 1
		.amdhsa_ieee_mode 1
		.amdhsa_fp16_overflow 0
		.amdhsa_tg_split 0
		.amdhsa_exception_fp_ieee_invalid_op 0
		.amdhsa_exception_fp_denorm_src 0
		.amdhsa_exception_fp_ieee_div_zero 0
		.amdhsa_exception_fp_ieee_overflow 0
		.amdhsa_exception_fp_ieee_underflow 0
		.amdhsa_exception_fp_ieee_inexact 0
		.amdhsa_exception_int_div_zero 0
	.end_amdhsa_kernel
	.section	.text._ZN7rocprim17ROCPRIM_400000_NS6detail17trampoline_kernelINS0_14default_configENS1_38merge_sort_block_merge_config_selectorIjNS0_10empty_typeEEEZZNS1_27merge_sort_block_merge_implIS3_N6thrust23THRUST_200600_302600_NS6detail15normal_iteratorINS9_10device_ptrIjEEEEPS5_m14custom_greaterIjEEE10hipError_tT0_T1_T2_jT3_P12ihipStream_tbPNSt15iterator_traitsISJ_E10value_typeEPNSP_ISK_E10value_typeEPSL_NS1_7vsmem_tEENKUlT_SJ_SK_SL_E_clIPjSE_SF_SF_EESI_SY_SJ_SK_SL_EUlSY_E_NS1_11comp_targetILNS1_3genE9ELNS1_11target_archE1100ELNS1_3gpuE3ELNS1_3repE0EEENS1_48merge_mergepath_partition_config_static_selectorELNS0_4arch9wavefront6targetE1EEEvSK_,"axG",@progbits,_ZN7rocprim17ROCPRIM_400000_NS6detail17trampoline_kernelINS0_14default_configENS1_38merge_sort_block_merge_config_selectorIjNS0_10empty_typeEEEZZNS1_27merge_sort_block_merge_implIS3_N6thrust23THRUST_200600_302600_NS6detail15normal_iteratorINS9_10device_ptrIjEEEEPS5_m14custom_greaterIjEEE10hipError_tT0_T1_T2_jT3_P12ihipStream_tbPNSt15iterator_traitsISJ_E10value_typeEPNSP_ISK_E10value_typeEPSL_NS1_7vsmem_tEENKUlT_SJ_SK_SL_E_clIPjSE_SF_SF_EESI_SY_SJ_SK_SL_EUlSY_E_NS1_11comp_targetILNS1_3genE9ELNS1_11target_archE1100ELNS1_3gpuE3ELNS1_3repE0EEENS1_48merge_mergepath_partition_config_static_selectorELNS0_4arch9wavefront6targetE1EEEvSK_,comdat
.Lfunc_end3169:
	.size	_ZN7rocprim17ROCPRIM_400000_NS6detail17trampoline_kernelINS0_14default_configENS1_38merge_sort_block_merge_config_selectorIjNS0_10empty_typeEEEZZNS1_27merge_sort_block_merge_implIS3_N6thrust23THRUST_200600_302600_NS6detail15normal_iteratorINS9_10device_ptrIjEEEEPS5_m14custom_greaterIjEEE10hipError_tT0_T1_T2_jT3_P12ihipStream_tbPNSt15iterator_traitsISJ_E10value_typeEPNSP_ISK_E10value_typeEPSL_NS1_7vsmem_tEENKUlT_SJ_SK_SL_E_clIPjSE_SF_SF_EESI_SY_SJ_SK_SL_EUlSY_E_NS1_11comp_targetILNS1_3genE9ELNS1_11target_archE1100ELNS1_3gpuE3ELNS1_3repE0EEENS1_48merge_mergepath_partition_config_static_selectorELNS0_4arch9wavefront6targetE1EEEvSK_, .Lfunc_end3169-_ZN7rocprim17ROCPRIM_400000_NS6detail17trampoline_kernelINS0_14default_configENS1_38merge_sort_block_merge_config_selectorIjNS0_10empty_typeEEEZZNS1_27merge_sort_block_merge_implIS3_N6thrust23THRUST_200600_302600_NS6detail15normal_iteratorINS9_10device_ptrIjEEEEPS5_m14custom_greaterIjEEE10hipError_tT0_T1_T2_jT3_P12ihipStream_tbPNSt15iterator_traitsISJ_E10value_typeEPNSP_ISK_E10value_typeEPSL_NS1_7vsmem_tEENKUlT_SJ_SK_SL_E_clIPjSE_SF_SF_EESI_SY_SJ_SK_SL_EUlSY_E_NS1_11comp_targetILNS1_3genE9ELNS1_11target_archE1100ELNS1_3gpuE3ELNS1_3repE0EEENS1_48merge_mergepath_partition_config_static_selectorELNS0_4arch9wavefront6targetE1EEEvSK_
                                        ; -- End function
	.section	.AMDGPU.csdata,"",@progbits
; Kernel info:
; codeLenInByte = 0
; NumSgprs: 4
; NumVgprs: 0
; NumAgprs: 0
; TotalNumVgprs: 0
; ScratchSize: 0
; MemoryBound: 0
; FloatMode: 240
; IeeeMode: 1
; LDSByteSize: 0 bytes/workgroup (compile time only)
; SGPRBlocks: 0
; VGPRBlocks: 0
; NumSGPRsForWavesPerEU: 4
; NumVGPRsForWavesPerEU: 1
; AccumOffset: 4
; Occupancy: 8
; WaveLimiterHint : 0
; COMPUTE_PGM_RSRC2:SCRATCH_EN: 0
; COMPUTE_PGM_RSRC2:USER_SGPR: 6
; COMPUTE_PGM_RSRC2:TRAP_HANDLER: 0
; COMPUTE_PGM_RSRC2:TGID_X_EN: 1
; COMPUTE_PGM_RSRC2:TGID_Y_EN: 0
; COMPUTE_PGM_RSRC2:TGID_Z_EN: 0
; COMPUTE_PGM_RSRC2:TIDIG_COMP_CNT: 0
; COMPUTE_PGM_RSRC3_GFX90A:ACCUM_OFFSET: 0
; COMPUTE_PGM_RSRC3_GFX90A:TG_SPLIT: 0
	.section	.text._ZN7rocprim17ROCPRIM_400000_NS6detail17trampoline_kernelINS0_14default_configENS1_38merge_sort_block_merge_config_selectorIjNS0_10empty_typeEEEZZNS1_27merge_sort_block_merge_implIS3_N6thrust23THRUST_200600_302600_NS6detail15normal_iteratorINS9_10device_ptrIjEEEEPS5_m14custom_greaterIjEEE10hipError_tT0_T1_T2_jT3_P12ihipStream_tbPNSt15iterator_traitsISJ_E10value_typeEPNSP_ISK_E10value_typeEPSL_NS1_7vsmem_tEENKUlT_SJ_SK_SL_E_clIPjSE_SF_SF_EESI_SY_SJ_SK_SL_EUlSY_E_NS1_11comp_targetILNS1_3genE8ELNS1_11target_archE1030ELNS1_3gpuE2ELNS1_3repE0EEENS1_48merge_mergepath_partition_config_static_selectorELNS0_4arch9wavefront6targetE1EEEvSK_,"axG",@progbits,_ZN7rocprim17ROCPRIM_400000_NS6detail17trampoline_kernelINS0_14default_configENS1_38merge_sort_block_merge_config_selectorIjNS0_10empty_typeEEEZZNS1_27merge_sort_block_merge_implIS3_N6thrust23THRUST_200600_302600_NS6detail15normal_iteratorINS9_10device_ptrIjEEEEPS5_m14custom_greaterIjEEE10hipError_tT0_T1_T2_jT3_P12ihipStream_tbPNSt15iterator_traitsISJ_E10value_typeEPNSP_ISK_E10value_typeEPSL_NS1_7vsmem_tEENKUlT_SJ_SK_SL_E_clIPjSE_SF_SF_EESI_SY_SJ_SK_SL_EUlSY_E_NS1_11comp_targetILNS1_3genE8ELNS1_11target_archE1030ELNS1_3gpuE2ELNS1_3repE0EEENS1_48merge_mergepath_partition_config_static_selectorELNS0_4arch9wavefront6targetE1EEEvSK_,comdat
	.protected	_ZN7rocprim17ROCPRIM_400000_NS6detail17trampoline_kernelINS0_14default_configENS1_38merge_sort_block_merge_config_selectorIjNS0_10empty_typeEEEZZNS1_27merge_sort_block_merge_implIS3_N6thrust23THRUST_200600_302600_NS6detail15normal_iteratorINS9_10device_ptrIjEEEEPS5_m14custom_greaterIjEEE10hipError_tT0_T1_T2_jT3_P12ihipStream_tbPNSt15iterator_traitsISJ_E10value_typeEPNSP_ISK_E10value_typeEPSL_NS1_7vsmem_tEENKUlT_SJ_SK_SL_E_clIPjSE_SF_SF_EESI_SY_SJ_SK_SL_EUlSY_E_NS1_11comp_targetILNS1_3genE8ELNS1_11target_archE1030ELNS1_3gpuE2ELNS1_3repE0EEENS1_48merge_mergepath_partition_config_static_selectorELNS0_4arch9wavefront6targetE1EEEvSK_ ; -- Begin function _ZN7rocprim17ROCPRIM_400000_NS6detail17trampoline_kernelINS0_14default_configENS1_38merge_sort_block_merge_config_selectorIjNS0_10empty_typeEEEZZNS1_27merge_sort_block_merge_implIS3_N6thrust23THRUST_200600_302600_NS6detail15normal_iteratorINS9_10device_ptrIjEEEEPS5_m14custom_greaterIjEEE10hipError_tT0_T1_T2_jT3_P12ihipStream_tbPNSt15iterator_traitsISJ_E10value_typeEPNSP_ISK_E10value_typeEPSL_NS1_7vsmem_tEENKUlT_SJ_SK_SL_E_clIPjSE_SF_SF_EESI_SY_SJ_SK_SL_EUlSY_E_NS1_11comp_targetILNS1_3genE8ELNS1_11target_archE1030ELNS1_3gpuE2ELNS1_3repE0EEENS1_48merge_mergepath_partition_config_static_selectorELNS0_4arch9wavefront6targetE1EEEvSK_
	.globl	_ZN7rocprim17ROCPRIM_400000_NS6detail17trampoline_kernelINS0_14default_configENS1_38merge_sort_block_merge_config_selectorIjNS0_10empty_typeEEEZZNS1_27merge_sort_block_merge_implIS3_N6thrust23THRUST_200600_302600_NS6detail15normal_iteratorINS9_10device_ptrIjEEEEPS5_m14custom_greaterIjEEE10hipError_tT0_T1_T2_jT3_P12ihipStream_tbPNSt15iterator_traitsISJ_E10value_typeEPNSP_ISK_E10value_typeEPSL_NS1_7vsmem_tEENKUlT_SJ_SK_SL_E_clIPjSE_SF_SF_EESI_SY_SJ_SK_SL_EUlSY_E_NS1_11comp_targetILNS1_3genE8ELNS1_11target_archE1030ELNS1_3gpuE2ELNS1_3repE0EEENS1_48merge_mergepath_partition_config_static_selectorELNS0_4arch9wavefront6targetE1EEEvSK_
	.p2align	8
	.type	_ZN7rocprim17ROCPRIM_400000_NS6detail17trampoline_kernelINS0_14default_configENS1_38merge_sort_block_merge_config_selectorIjNS0_10empty_typeEEEZZNS1_27merge_sort_block_merge_implIS3_N6thrust23THRUST_200600_302600_NS6detail15normal_iteratorINS9_10device_ptrIjEEEEPS5_m14custom_greaterIjEEE10hipError_tT0_T1_T2_jT3_P12ihipStream_tbPNSt15iterator_traitsISJ_E10value_typeEPNSP_ISK_E10value_typeEPSL_NS1_7vsmem_tEENKUlT_SJ_SK_SL_E_clIPjSE_SF_SF_EESI_SY_SJ_SK_SL_EUlSY_E_NS1_11comp_targetILNS1_3genE8ELNS1_11target_archE1030ELNS1_3gpuE2ELNS1_3repE0EEENS1_48merge_mergepath_partition_config_static_selectorELNS0_4arch9wavefront6targetE1EEEvSK_,@function
_ZN7rocprim17ROCPRIM_400000_NS6detail17trampoline_kernelINS0_14default_configENS1_38merge_sort_block_merge_config_selectorIjNS0_10empty_typeEEEZZNS1_27merge_sort_block_merge_implIS3_N6thrust23THRUST_200600_302600_NS6detail15normal_iteratorINS9_10device_ptrIjEEEEPS5_m14custom_greaterIjEEE10hipError_tT0_T1_T2_jT3_P12ihipStream_tbPNSt15iterator_traitsISJ_E10value_typeEPNSP_ISK_E10value_typeEPSL_NS1_7vsmem_tEENKUlT_SJ_SK_SL_E_clIPjSE_SF_SF_EESI_SY_SJ_SK_SL_EUlSY_E_NS1_11comp_targetILNS1_3genE8ELNS1_11target_archE1030ELNS1_3gpuE2ELNS1_3repE0EEENS1_48merge_mergepath_partition_config_static_selectorELNS0_4arch9wavefront6targetE1EEEvSK_: ; @_ZN7rocprim17ROCPRIM_400000_NS6detail17trampoline_kernelINS0_14default_configENS1_38merge_sort_block_merge_config_selectorIjNS0_10empty_typeEEEZZNS1_27merge_sort_block_merge_implIS3_N6thrust23THRUST_200600_302600_NS6detail15normal_iteratorINS9_10device_ptrIjEEEEPS5_m14custom_greaterIjEEE10hipError_tT0_T1_T2_jT3_P12ihipStream_tbPNSt15iterator_traitsISJ_E10value_typeEPNSP_ISK_E10value_typeEPSL_NS1_7vsmem_tEENKUlT_SJ_SK_SL_E_clIPjSE_SF_SF_EESI_SY_SJ_SK_SL_EUlSY_E_NS1_11comp_targetILNS1_3genE8ELNS1_11target_archE1030ELNS1_3gpuE2ELNS1_3repE0EEENS1_48merge_mergepath_partition_config_static_selectorELNS0_4arch9wavefront6targetE1EEEvSK_
; %bb.0:
	.section	.rodata,"a",@progbits
	.p2align	6, 0x0
	.amdhsa_kernel _ZN7rocprim17ROCPRIM_400000_NS6detail17trampoline_kernelINS0_14default_configENS1_38merge_sort_block_merge_config_selectorIjNS0_10empty_typeEEEZZNS1_27merge_sort_block_merge_implIS3_N6thrust23THRUST_200600_302600_NS6detail15normal_iteratorINS9_10device_ptrIjEEEEPS5_m14custom_greaterIjEEE10hipError_tT0_T1_T2_jT3_P12ihipStream_tbPNSt15iterator_traitsISJ_E10value_typeEPNSP_ISK_E10value_typeEPSL_NS1_7vsmem_tEENKUlT_SJ_SK_SL_E_clIPjSE_SF_SF_EESI_SY_SJ_SK_SL_EUlSY_E_NS1_11comp_targetILNS1_3genE8ELNS1_11target_archE1030ELNS1_3gpuE2ELNS1_3repE0EEENS1_48merge_mergepath_partition_config_static_selectorELNS0_4arch9wavefront6targetE1EEEvSK_
		.amdhsa_group_segment_fixed_size 0
		.amdhsa_private_segment_fixed_size 0
		.amdhsa_kernarg_size 48
		.amdhsa_user_sgpr_count 6
		.amdhsa_user_sgpr_private_segment_buffer 1
		.amdhsa_user_sgpr_dispatch_ptr 0
		.amdhsa_user_sgpr_queue_ptr 0
		.amdhsa_user_sgpr_kernarg_segment_ptr 1
		.amdhsa_user_sgpr_dispatch_id 0
		.amdhsa_user_sgpr_flat_scratch_init 0
		.amdhsa_user_sgpr_kernarg_preload_length 0
		.amdhsa_user_sgpr_kernarg_preload_offset 0
		.amdhsa_user_sgpr_private_segment_size 0
		.amdhsa_uses_dynamic_stack 0
		.amdhsa_system_sgpr_private_segment_wavefront_offset 0
		.amdhsa_system_sgpr_workgroup_id_x 1
		.amdhsa_system_sgpr_workgroup_id_y 0
		.amdhsa_system_sgpr_workgroup_id_z 0
		.amdhsa_system_sgpr_workgroup_info 0
		.amdhsa_system_vgpr_workitem_id 0
		.amdhsa_next_free_vgpr 1
		.amdhsa_next_free_sgpr 0
		.amdhsa_accum_offset 4
		.amdhsa_reserve_vcc 0
		.amdhsa_reserve_flat_scratch 0
		.amdhsa_float_round_mode_32 0
		.amdhsa_float_round_mode_16_64 0
		.amdhsa_float_denorm_mode_32 3
		.amdhsa_float_denorm_mode_16_64 3
		.amdhsa_dx10_clamp 1
		.amdhsa_ieee_mode 1
		.amdhsa_fp16_overflow 0
		.amdhsa_tg_split 0
		.amdhsa_exception_fp_ieee_invalid_op 0
		.amdhsa_exception_fp_denorm_src 0
		.amdhsa_exception_fp_ieee_div_zero 0
		.amdhsa_exception_fp_ieee_overflow 0
		.amdhsa_exception_fp_ieee_underflow 0
		.amdhsa_exception_fp_ieee_inexact 0
		.amdhsa_exception_int_div_zero 0
	.end_amdhsa_kernel
	.section	.text._ZN7rocprim17ROCPRIM_400000_NS6detail17trampoline_kernelINS0_14default_configENS1_38merge_sort_block_merge_config_selectorIjNS0_10empty_typeEEEZZNS1_27merge_sort_block_merge_implIS3_N6thrust23THRUST_200600_302600_NS6detail15normal_iteratorINS9_10device_ptrIjEEEEPS5_m14custom_greaterIjEEE10hipError_tT0_T1_T2_jT3_P12ihipStream_tbPNSt15iterator_traitsISJ_E10value_typeEPNSP_ISK_E10value_typeEPSL_NS1_7vsmem_tEENKUlT_SJ_SK_SL_E_clIPjSE_SF_SF_EESI_SY_SJ_SK_SL_EUlSY_E_NS1_11comp_targetILNS1_3genE8ELNS1_11target_archE1030ELNS1_3gpuE2ELNS1_3repE0EEENS1_48merge_mergepath_partition_config_static_selectorELNS0_4arch9wavefront6targetE1EEEvSK_,"axG",@progbits,_ZN7rocprim17ROCPRIM_400000_NS6detail17trampoline_kernelINS0_14default_configENS1_38merge_sort_block_merge_config_selectorIjNS0_10empty_typeEEEZZNS1_27merge_sort_block_merge_implIS3_N6thrust23THRUST_200600_302600_NS6detail15normal_iteratorINS9_10device_ptrIjEEEEPS5_m14custom_greaterIjEEE10hipError_tT0_T1_T2_jT3_P12ihipStream_tbPNSt15iterator_traitsISJ_E10value_typeEPNSP_ISK_E10value_typeEPSL_NS1_7vsmem_tEENKUlT_SJ_SK_SL_E_clIPjSE_SF_SF_EESI_SY_SJ_SK_SL_EUlSY_E_NS1_11comp_targetILNS1_3genE8ELNS1_11target_archE1030ELNS1_3gpuE2ELNS1_3repE0EEENS1_48merge_mergepath_partition_config_static_selectorELNS0_4arch9wavefront6targetE1EEEvSK_,comdat
.Lfunc_end3170:
	.size	_ZN7rocprim17ROCPRIM_400000_NS6detail17trampoline_kernelINS0_14default_configENS1_38merge_sort_block_merge_config_selectorIjNS0_10empty_typeEEEZZNS1_27merge_sort_block_merge_implIS3_N6thrust23THRUST_200600_302600_NS6detail15normal_iteratorINS9_10device_ptrIjEEEEPS5_m14custom_greaterIjEEE10hipError_tT0_T1_T2_jT3_P12ihipStream_tbPNSt15iterator_traitsISJ_E10value_typeEPNSP_ISK_E10value_typeEPSL_NS1_7vsmem_tEENKUlT_SJ_SK_SL_E_clIPjSE_SF_SF_EESI_SY_SJ_SK_SL_EUlSY_E_NS1_11comp_targetILNS1_3genE8ELNS1_11target_archE1030ELNS1_3gpuE2ELNS1_3repE0EEENS1_48merge_mergepath_partition_config_static_selectorELNS0_4arch9wavefront6targetE1EEEvSK_, .Lfunc_end3170-_ZN7rocprim17ROCPRIM_400000_NS6detail17trampoline_kernelINS0_14default_configENS1_38merge_sort_block_merge_config_selectorIjNS0_10empty_typeEEEZZNS1_27merge_sort_block_merge_implIS3_N6thrust23THRUST_200600_302600_NS6detail15normal_iteratorINS9_10device_ptrIjEEEEPS5_m14custom_greaterIjEEE10hipError_tT0_T1_T2_jT3_P12ihipStream_tbPNSt15iterator_traitsISJ_E10value_typeEPNSP_ISK_E10value_typeEPSL_NS1_7vsmem_tEENKUlT_SJ_SK_SL_E_clIPjSE_SF_SF_EESI_SY_SJ_SK_SL_EUlSY_E_NS1_11comp_targetILNS1_3genE8ELNS1_11target_archE1030ELNS1_3gpuE2ELNS1_3repE0EEENS1_48merge_mergepath_partition_config_static_selectorELNS0_4arch9wavefront6targetE1EEEvSK_
                                        ; -- End function
	.section	.AMDGPU.csdata,"",@progbits
; Kernel info:
; codeLenInByte = 0
; NumSgprs: 4
; NumVgprs: 0
; NumAgprs: 0
; TotalNumVgprs: 0
; ScratchSize: 0
; MemoryBound: 0
; FloatMode: 240
; IeeeMode: 1
; LDSByteSize: 0 bytes/workgroup (compile time only)
; SGPRBlocks: 0
; VGPRBlocks: 0
; NumSGPRsForWavesPerEU: 4
; NumVGPRsForWavesPerEU: 1
; AccumOffset: 4
; Occupancy: 8
; WaveLimiterHint : 0
; COMPUTE_PGM_RSRC2:SCRATCH_EN: 0
; COMPUTE_PGM_RSRC2:USER_SGPR: 6
; COMPUTE_PGM_RSRC2:TRAP_HANDLER: 0
; COMPUTE_PGM_RSRC2:TGID_X_EN: 1
; COMPUTE_PGM_RSRC2:TGID_Y_EN: 0
; COMPUTE_PGM_RSRC2:TGID_Z_EN: 0
; COMPUTE_PGM_RSRC2:TIDIG_COMP_CNT: 0
; COMPUTE_PGM_RSRC3_GFX90A:ACCUM_OFFSET: 0
; COMPUTE_PGM_RSRC3_GFX90A:TG_SPLIT: 0
	.section	.text._ZN7rocprim17ROCPRIM_400000_NS6detail17trampoline_kernelINS0_14default_configENS1_38merge_sort_block_merge_config_selectorIjNS0_10empty_typeEEEZZNS1_27merge_sort_block_merge_implIS3_N6thrust23THRUST_200600_302600_NS6detail15normal_iteratorINS9_10device_ptrIjEEEEPS5_m14custom_greaterIjEEE10hipError_tT0_T1_T2_jT3_P12ihipStream_tbPNSt15iterator_traitsISJ_E10value_typeEPNSP_ISK_E10value_typeEPSL_NS1_7vsmem_tEENKUlT_SJ_SK_SL_E_clIPjSE_SF_SF_EESI_SY_SJ_SK_SL_EUlSY_E0_NS1_11comp_targetILNS1_3genE0ELNS1_11target_archE4294967295ELNS1_3gpuE0ELNS1_3repE0EEENS1_38merge_mergepath_config_static_selectorELNS0_4arch9wavefront6targetE1EEEvSK_,"axG",@progbits,_ZN7rocprim17ROCPRIM_400000_NS6detail17trampoline_kernelINS0_14default_configENS1_38merge_sort_block_merge_config_selectorIjNS0_10empty_typeEEEZZNS1_27merge_sort_block_merge_implIS3_N6thrust23THRUST_200600_302600_NS6detail15normal_iteratorINS9_10device_ptrIjEEEEPS5_m14custom_greaterIjEEE10hipError_tT0_T1_T2_jT3_P12ihipStream_tbPNSt15iterator_traitsISJ_E10value_typeEPNSP_ISK_E10value_typeEPSL_NS1_7vsmem_tEENKUlT_SJ_SK_SL_E_clIPjSE_SF_SF_EESI_SY_SJ_SK_SL_EUlSY_E0_NS1_11comp_targetILNS1_3genE0ELNS1_11target_archE4294967295ELNS1_3gpuE0ELNS1_3repE0EEENS1_38merge_mergepath_config_static_selectorELNS0_4arch9wavefront6targetE1EEEvSK_,comdat
	.protected	_ZN7rocprim17ROCPRIM_400000_NS6detail17trampoline_kernelINS0_14default_configENS1_38merge_sort_block_merge_config_selectorIjNS0_10empty_typeEEEZZNS1_27merge_sort_block_merge_implIS3_N6thrust23THRUST_200600_302600_NS6detail15normal_iteratorINS9_10device_ptrIjEEEEPS5_m14custom_greaterIjEEE10hipError_tT0_T1_T2_jT3_P12ihipStream_tbPNSt15iterator_traitsISJ_E10value_typeEPNSP_ISK_E10value_typeEPSL_NS1_7vsmem_tEENKUlT_SJ_SK_SL_E_clIPjSE_SF_SF_EESI_SY_SJ_SK_SL_EUlSY_E0_NS1_11comp_targetILNS1_3genE0ELNS1_11target_archE4294967295ELNS1_3gpuE0ELNS1_3repE0EEENS1_38merge_mergepath_config_static_selectorELNS0_4arch9wavefront6targetE1EEEvSK_ ; -- Begin function _ZN7rocprim17ROCPRIM_400000_NS6detail17trampoline_kernelINS0_14default_configENS1_38merge_sort_block_merge_config_selectorIjNS0_10empty_typeEEEZZNS1_27merge_sort_block_merge_implIS3_N6thrust23THRUST_200600_302600_NS6detail15normal_iteratorINS9_10device_ptrIjEEEEPS5_m14custom_greaterIjEEE10hipError_tT0_T1_T2_jT3_P12ihipStream_tbPNSt15iterator_traitsISJ_E10value_typeEPNSP_ISK_E10value_typeEPSL_NS1_7vsmem_tEENKUlT_SJ_SK_SL_E_clIPjSE_SF_SF_EESI_SY_SJ_SK_SL_EUlSY_E0_NS1_11comp_targetILNS1_3genE0ELNS1_11target_archE4294967295ELNS1_3gpuE0ELNS1_3repE0EEENS1_38merge_mergepath_config_static_selectorELNS0_4arch9wavefront6targetE1EEEvSK_
	.globl	_ZN7rocprim17ROCPRIM_400000_NS6detail17trampoline_kernelINS0_14default_configENS1_38merge_sort_block_merge_config_selectorIjNS0_10empty_typeEEEZZNS1_27merge_sort_block_merge_implIS3_N6thrust23THRUST_200600_302600_NS6detail15normal_iteratorINS9_10device_ptrIjEEEEPS5_m14custom_greaterIjEEE10hipError_tT0_T1_T2_jT3_P12ihipStream_tbPNSt15iterator_traitsISJ_E10value_typeEPNSP_ISK_E10value_typeEPSL_NS1_7vsmem_tEENKUlT_SJ_SK_SL_E_clIPjSE_SF_SF_EESI_SY_SJ_SK_SL_EUlSY_E0_NS1_11comp_targetILNS1_3genE0ELNS1_11target_archE4294967295ELNS1_3gpuE0ELNS1_3repE0EEENS1_38merge_mergepath_config_static_selectorELNS0_4arch9wavefront6targetE1EEEvSK_
	.p2align	8
	.type	_ZN7rocprim17ROCPRIM_400000_NS6detail17trampoline_kernelINS0_14default_configENS1_38merge_sort_block_merge_config_selectorIjNS0_10empty_typeEEEZZNS1_27merge_sort_block_merge_implIS3_N6thrust23THRUST_200600_302600_NS6detail15normal_iteratorINS9_10device_ptrIjEEEEPS5_m14custom_greaterIjEEE10hipError_tT0_T1_T2_jT3_P12ihipStream_tbPNSt15iterator_traitsISJ_E10value_typeEPNSP_ISK_E10value_typeEPSL_NS1_7vsmem_tEENKUlT_SJ_SK_SL_E_clIPjSE_SF_SF_EESI_SY_SJ_SK_SL_EUlSY_E0_NS1_11comp_targetILNS1_3genE0ELNS1_11target_archE4294967295ELNS1_3gpuE0ELNS1_3repE0EEENS1_38merge_mergepath_config_static_selectorELNS0_4arch9wavefront6targetE1EEEvSK_,@function
_ZN7rocprim17ROCPRIM_400000_NS6detail17trampoline_kernelINS0_14default_configENS1_38merge_sort_block_merge_config_selectorIjNS0_10empty_typeEEEZZNS1_27merge_sort_block_merge_implIS3_N6thrust23THRUST_200600_302600_NS6detail15normal_iteratorINS9_10device_ptrIjEEEEPS5_m14custom_greaterIjEEE10hipError_tT0_T1_T2_jT3_P12ihipStream_tbPNSt15iterator_traitsISJ_E10value_typeEPNSP_ISK_E10value_typeEPSL_NS1_7vsmem_tEENKUlT_SJ_SK_SL_E_clIPjSE_SF_SF_EESI_SY_SJ_SK_SL_EUlSY_E0_NS1_11comp_targetILNS1_3genE0ELNS1_11target_archE4294967295ELNS1_3gpuE0ELNS1_3repE0EEENS1_38merge_mergepath_config_static_selectorELNS0_4arch9wavefront6targetE1EEEvSK_: ; @_ZN7rocprim17ROCPRIM_400000_NS6detail17trampoline_kernelINS0_14default_configENS1_38merge_sort_block_merge_config_selectorIjNS0_10empty_typeEEEZZNS1_27merge_sort_block_merge_implIS3_N6thrust23THRUST_200600_302600_NS6detail15normal_iteratorINS9_10device_ptrIjEEEEPS5_m14custom_greaterIjEEE10hipError_tT0_T1_T2_jT3_P12ihipStream_tbPNSt15iterator_traitsISJ_E10value_typeEPNSP_ISK_E10value_typeEPSL_NS1_7vsmem_tEENKUlT_SJ_SK_SL_E_clIPjSE_SF_SF_EESI_SY_SJ_SK_SL_EUlSY_E0_NS1_11comp_targetILNS1_3genE0ELNS1_11target_archE4294967295ELNS1_3gpuE0ELNS1_3repE0EEENS1_38merge_mergepath_config_static_selectorELNS0_4arch9wavefront6targetE1EEEvSK_
; %bb.0:
	.section	.rodata,"a",@progbits
	.p2align	6, 0x0
	.amdhsa_kernel _ZN7rocprim17ROCPRIM_400000_NS6detail17trampoline_kernelINS0_14default_configENS1_38merge_sort_block_merge_config_selectorIjNS0_10empty_typeEEEZZNS1_27merge_sort_block_merge_implIS3_N6thrust23THRUST_200600_302600_NS6detail15normal_iteratorINS9_10device_ptrIjEEEEPS5_m14custom_greaterIjEEE10hipError_tT0_T1_T2_jT3_P12ihipStream_tbPNSt15iterator_traitsISJ_E10value_typeEPNSP_ISK_E10value_typeEPSL_NS1_7vsmem_tEENKUlT_SJ_SK_SL_E_clIPjSE_SF_SF_EESI_SY_SJ_SK_SL_EUlSY_E0_NS1_11comp_targetILNS1_3genE0ELNS1_11target_archE4294967295ELNS1_3gpuE0ELNS1_3repE0EEENS1_38merge_mergepath_config_static_selectorELNS0_4arch9wavefront6targetE1EEEvSK_
		.amdhsa_group_segment_fixed_size 0
		.amdhsa_private_segment_fixed_size 0
		.amdhsa_kernarg_size 72
		.amdhsa_user_sgpr_count 6
		.amdhsa_user_sgpr_private_segment_buffer 1
		.amdhsa_user_sgpr_dispatch_ptr 0
		.amdhsa_user_sgpr_queue_ptr 0
		.amdhsa_user_sgpr_kernarg_segment_ptr 1
		.amdhsa_user_sgpr_dispatch_id 0
		.amdhsa_user_sgpr_flat_scratch_init 0
		.amdhsa_user_sgpr_kernarg_preload_length 0
		.amdhsa_user_sgpr_kernarg_preload_offset 0
		.amdhsa_user_sgpr_private_segment_size 0
		.amdhsa_uses_dynamic_stack 0
		.amdhsa_system_sgpr_private_segment_wavefront_offset 0
		.amdhsa_system_sgpr_workgroup_id_x 1
		.amdhsa_system_sgpr_workgroup_id_y 0
		.amdhsa_system_sgpr_workgroup_id_z 0
		.amdhsa_system_sgpr_workgroup_info 0
		.amdhsa_system_vgpr_workitem_id 0
		.amdhsa_next_free_vgpr 1
		.amdhsa_next_free_sgpr 0
		.amdhsa_accum_offset 4
		.amdhsa_reserve_vcc 0
		.amdhsa_reserve_flat_scratch 0
		.amdhsa_float_round_mode_32 0
		.amdhsa_float_round_mode_16_64 0
		.amdhsa_float_denorm_mode_32 3
		.amdhsa_float_denorm_mode_16_64 3
		.amdhsa_dx10_clamp 1
		.amdhsa_ieee_mode 1
		.amdhsa_fp16_overflow 0
		.amdhsa_tg_split 0
		.amdhsa_exception_fp_ieee_invalid_op 0
		.amdhsa_exception_fp_denorm_src 0
		.amdhsa_exception_fp_ieee_div_zero 0
		.amdhsa_exception_fp_ieee_overflow 0
		.amdhsa_exception_fp_ieee_underflow 0
		.amdhsa_exception_fp_ieee_inexact 0
		.amdhsa_exception_int_div_zero 0
	.end_amdhsa_kernel
	.section	.text._ZN7rocprim17ROCPRIM_400000_NS6detail17trampoline_kernelINS0_14default_configENS1_38merge_sort_block_merge_config_selectorIjNS0_10empty_typeEEEZZNS1_27merge_sort_block_merge_implIS3_N6thrust23THRUST_200600_302600_NS6detail15normal_iteratorINS9_10device_ptrIjEEEEPS5_m14custom_greaterIjEEE10hipError_tT0_T1_T2_jT3_P12ihipStream_tbPNSt15iterator_traitsISJ_E10value_typeEPNSP_ISK_E10value_typeEPSL_NS1_7vsmem_tEENKUlT_SJ_SK_SL_E_clIPjSE_SF_SF_EESI_SY_SJ_SK_SL_EUlSY_E0_NS1_11comp_targetILNS1_3genE0ELNS1_11target_archE4294967295ELNS1_3gpuE0ELNS1_3repE0EEENS1_38merge_mergepath_config_static_selectorELNS0_4arch9wavefront6targetE1EEEvSK_,"axG",@progbits,_ZN7rocprim17ROCPRIM_400000_NS6detail17trampoline_kernelINS0_14default_configENS1_38merge_sort_block_merge_config_selectorIjNS0_10empty_typeEEEZZNS1_27merge_sort_block_merge_implIS3_N6thrust23THRUST_200600_302600_NS6detail15normal_iteratorINS9_10device_ptrIjEEEEPS5_m14custom_greaterIjEEE10hipError_tT0_T1_T2_jT3_P12ihipStream_tbPNSt15iterator_traitsISJ_E10value_typeEPNSP_ISK_E10value_typeEPSL_NS1_7vsmem_tEENKUlT_SJ_SK_SL_E_clIPjSE_SF_SF_EESI_SY_SJ_SK_SL_EUlSY_E0_NS1_11comp_targetILNS1_3genE0ELNS1_11target_archE4294967295ELNS1_3gpuE0ELNS1_3repE0EEENS1_38merge_mergepath_config_static_selectorELNS0_4arch9wavefront6targetE1EEEvSK_,comdat
.Lfunc_end3171:
	.size	_ZN7rocprim17ROCPRIM_400000_NS6detail17trampoline_kernelINS0_14default_configENS1_38merge_sort_block_merge_config_selectorIjNS0_10empty_typeEEEZZNS1_27merge_sort_block_merge_implIS3_N6thrust23THRUST_200600_302600_NS6detail15normal_iteratorINS9_10device_ptrIjEEEEPS5_m14custom_greaterIjEEE10hipError_tT0_T1_T2_jT3_P12ihipStream_tbPNSt15iterator_traitsISJ_E10value_typeEPNSP_ISK_E10value_typeEPSL_NS1_7vsmem_tEENKUlT_SJ_SK_SL_E_clIPjSE_SF_SF_EESI_SY_SJ_SK_SL_EUlSY_E0_NS1_11comp_targetILNS1_3genE0ELNS1_11target_archE4294967295ELNS1_3gpuE0ELNS1_3repE0EEENS1_38merge_mergepath_config_static_selectorELNS0_4arch9wavefront6targetE1EEEvSK_, .Lfunc_end3171-_ZN7rocprim17ROCPRIM_400000_NS6detail17trampoline_kernelINS0_14default_configENS1_38merge_sort_block_merge_config_selectorIjNS0_10empty_typeEEEZZNS1_27merge_sort_block_merge_implIS3_N6thrust23THRUST_200600_302600_NS6detail15normal_iteratorINS9_10device_ptrIjEEEEPS5_m14custom_greaterIjEEE10hipError_tT0_T1_T2_jT3_P12ihipStream_tbPNSt15iterator_traitsISJ_E10value_typeEPNSP_ISK_E10value_typeEPSL_NS1_7vsmem_tEENKUlT_SJ_SK_SL_E_clIPjSE_SF_SF_EESI_SY_SJ_SK_SL_EUlSY_E0_NS1_11comp_targetILNS1_3genE0ELNS1_11target_archE4294967295ELNS1_3gpuE0ELNS1_3repE0EEENS1_38merge_mergepath_config_static_selectorELNS0_4arch9wavefront6targetE1EEEvSK_
                                        ; -- End function
	.section	.AMDGPU.csdata,"",@progbits
; Kernel info:
; codeLenInByte = 0
; NumSgprs: 4
; NumVgprs: 0
; NumAgprs: 0
; TotalNumVgprs: 0
; ScratchSize: 0
; MemoryBound: 0
; FloatMode: 240
; IeeeMode: 1
; LDSByteSize: 0 bytes/workgroup (compile time only)
; SGPRBlocks: 0
; VGPRBlocks: 0
; NumSGPRsForWavesPerEU: 4
; NumVGPRsForWavesPerEU: 1
; AccumOffset: 4
; Occupancy: 8
; WaveLimiterHint : 0
; COMPUTE_PGM_RSRC2:SCRATCH_EN: 0
; COMPUTE_PGM_RSRC2:USER_SGPR: 6
; COMPUTE_PGM_RSRC2:TRAP_HANDLER: 0
; COMPUTE_PGM_RSRC2:TGID_X_EN: 1
; COMPUTE_PGM_RSRC2:TGID_Y_EN: 0
; COMPUTE_PGM_RSRC2:TGID_Z_EN: 0
; COMPUTE_PGM_RSRC2:TIDIG_COMP_CNT: 0
; COMPUTE_PGM_RSRC3_GFX90A:ACCUM_OFFSET: 0
; COMPUTE_PGM_RSRC3_GFX90A:TG_SPLIT: 0
	.section	.text._ZN7rocprim17ROCPRIM_400000_NS6detail17trampoline_kernelINS0_14default_configENS1_38merge_sort_block_merge_config_selectorIjNS0_10empty_typeEEEZZNS1_27merge_sort_block_merge_implIS3_N6thrust23THRUST_200600_302600_NS6detail15normal_iteratorINS9_10device_ptrIjEEEEPS5_m14custom_greaterIjEEE10hipError_tT0_T1_T2_jT3_P12ihipStream_tbPNSt15iterator_traitsISJ_E10value_typeEPNSP_ISK_E10value_typeEPSL_NS1_7vsmem_tEENKUlT_SJ_SK_SL_E_clIPjSE_SF_SF_EESI_SY_SJ_SK_SL_EUlSY_E0_NS1_11comp_targetILNS1_3genE10ELNS1_11target_archE1201ELNS1_3gpuE5ELNS1_3repE0EEENS1_38merge_mergepath_config_static_selectorELNS0_4arch9wavefront6targetE1EEEvSK_,"axG",@progbits,_ZN7rocprim17ROCPRIM_400000_NS6detail17trampoline_kernelINS0_14default_configENS1_38merge_sort_block_merge_config_selectorIjNS0_10empty_typeEEEZZNS1_27merge_sort_block_merge_implIS3_N6thrust23THRUST_200600_302600_NS6detail15normal_iteratorINS9_10device_ptrIjEEEEPS5_m14custom_greaterIjEEE10hipError_tT0_T1_T2_jT3_P12ihipStream_tbPNSt15iterator_traitsISJ_E10value_typeEPNSP_ISK_E10value_typeEPSL_NS1_7vsmem_tEENKUlT_SJ_SK_SL_E_clIPjSE_SF_SF_EESI_SY_SJ_SK_SL_EUlSY_E0_NS1_11comp_targetILNS1_3genE10ELNS1_11target_archE1201ELNS1_3gpuE5ELNS1_3repE0EEENS1_38merge_mergepath_config_static_selectorELNS0_4arch9wavefront6targetE1EEEvSK_,comdat
	.protected	_ZN7rocprim17ROCPRIM_400000_NS6detail17trampoline_kernelINS0_14default_configENS1_38merge_sort_block_merge_config_selectorIjNS0_10empty_typeEEEZZNS1_27merge_sort_block_merge_implIS3_N6thrust23THRUST_200600_302600_NS6detail15normal_iteratorINS9_10device_ptrIjEEEEPS5_m14custom_greaterIjEEE10hipError_tT0_T1_T2_jT3_P12ihipStream_tbPNSt15iterator_traitsISJ_E10value_typeEPNSP_ISK_E10value_typeEPSL_NS1_7vsmem_tEENKUlT_SJ_SK_SL_E_clIPjSE_SF_SF_EESI_SY_SJ_SK_SL_EUlSY_E0_NS1_11comp_targetILNS1_3genE10ELNS1_11target_archE1201ELNS1_3gpuE5ELNS1_3repE0EEENS1_38merge_mergepath_config_static_selectorELNS0_4arch9wavefront6targetE1EEEvSK_ ; -- Begin function _ZN7rocprim17ROCPRIM_400000_NS6detail17trampoline_kernelINS0_14default_configENS1_38merge_sort_block_merge_config_selectorIjNS0_10empty_typeEEEZZNS1_27merge_sort_block_merge_implIS3_N6thrust23THRUST_200600_302600_NS6detail15normal_iteratorINS9_10device_ptrIjEEEEPS5_m14custom_greaterIjEEE10hipError_tT0_T1_T2_jT3_P12ihipStream_tbPNSt15iterator_traitsISJ_E10value_typeEPNSP_ISK_E10value_typeEPSL_NS1_7vsmem_tEENKUlT_SJ_SK_SL_E_clIPjSE_SF_SF_EESI_SY_SJ_SK_SL_EUlSY_E0_NS1_11comp_targetILNS1_3genE10ELNS1_11target_archE1201ELNS1_3gpuE5ELNS1_3repE0EEENS1_38merge_mergepath_config_static_selectorELNS0_4arch9wavefront6targetE1EEEvSK_
	.globl	_ZN7rocprim17ROCPRIM_400000_NS6detail17trampoline_kernelINS0_14default_configENS1_38merge_sort_block_merge_config_selectorIjNS0_10empty_typeEEEZZNS1_27merge_sort_block_merge_implIS3_N6thrust23THRUST_200600_302600_NS6detail15normal_iteratorINS9_10device_ptrIjEEEEPS5_m14custom_greaterIjEEE10hipError_tT0_T1_T2_jT3_P12ihipStream_tbPNSt15iterator_traitsISJ_E10value_typeEPNSP_ISK_E10value_typeEPSL_NS1_7vsmem_tEENKUlT_SJ_SK_SL_E_clIPjSE_SF_SF_EESI_SY_SJ_SK_SL_EUlSY_E0_NS1_11comp_targetILNS1_3genE10ELNS1_11target_archE1201ELNS1_3gpuE5ELNS1_3repE0EEENS1_38merge_mergepath_config_static_selectorELNS0_4arch9wavefront6targetE1EEEvSK_
	.p2align	8
	.type	_ZN7rocprim17ROCPRIM_400000_NS6detail17trampoline_kernelINS0_14default_configENS1_38merge_sort_block_merge_config_selectorIjNS0_10empty_typeEEEZZNS1_27merge_sort_block_merge_implIS3_N6thrust23THRUST_200600_302600_NS6detail15normal_iteratorINS9_10device_ptrIjEEEEPS5_m14custom_greaterIjEEE10hipError_tT0_T1_T2_jT3_P12ihipStream_tbPNSt15iterator_traitsISJ_E10value_typeEPNSP_ISK_E10value_typeEPSL_NS1_7vsmem_tEENKUlT_SJ_SK_SL_E_clIPjSE_SF_SF_EESI_SY_SJ_SK_SL_EUlSY_E0_NS1_11comp_targetILNS1_3genE10ELNS1_11target_archE1201ELNS1_3gpuE5ELNS1_3repE0EEENS1_38merge_mergepath_config_static_selectorELNS0_4arch9wavefront6targetE1EEEvSK_,@function
_ZN7rocprim17ROCPRIM_400000_NS6detail17trampoline_kernelINS0_14default_configENS1_38merge_sort_block_merge_config_selectorIjNS0_10empty_typeEEEZZNS1_27merge_sort_block_merge_implIS3_N6thrust23THRUST_200600_302600_NS6detail15normal_iteratorINS9_10device_ptrIjEEEEPS5_m14custom_greaterIjEEE10hipError_tT0_T1_T2_jT3_P12ihipStream_tbPNSt15iterator_traitsISJ_E10value_typeEPNSP_ISK_E10value_typeEPSL_NS1_7vsmem_tEENKUlT_SJ_SK_SL_E_clIPjSE_SF_SF_EESI_SY_SJ_SK_SL_EUlSY_E0_NS1_11comp_targetILNS1_3genE10ELNS1_11target_archE1201ELNS1_3gpuE5ELNS1_3repE0EEENS1_38merge_mergepath_config_static_selectorELNS0_4arch9wavefront6targetE1EEEvSK_: ; @_ZN7rocprim17ROCPRIM_400000_NS6detail17trampoline_kernelINS0_14default_configENS1_38merge_sort_block_merge_config_selectorIjNS0_10empty_typeEEEZZNS1_27merge_sort_block_merge_implIS3_N6thrust23THRUST_200600_302600_NS6detail15normal_iteratorINS9_10device_ptrIjEEEEPS5_m14custom_greaterIjEEE10hipError_tT0_T1_T2_jT3_P12ihipStream_tbPNSt15iterator_traitsISJ_E10value_typeEPNSP_ISK_E10value_typeEPSL_NS1_7vsmem_tEENKUlT_SJ_SK_SL_E_clIPjSE_SF_SF_EESI_SY_SJ_SK_SL_EUlSY_E0_NS1_11comp_targetILNS1_3genE10ELNS1_11target_archE1201ELNS1_3gpuE5ELNS1_3repE0EEENS1_38merge_mergepath_config_static_selectorELNS0_4arch9wavefront6targetE1EEEvSK_
; %bb.0:
	.section	.rodata,"a",@progbits
	.p2align	6, 0x0
	.amdhsa_kernel _ZN7rocprim17ROCPRIM_400000_NS6detail17trampoline_kernelINS0_14default_configENS1_38merge_sort_block_merge_config_selectorIjNS0_10empty_typeEEEZZNS1_27merge_sort_block_merge_implIS3_N6thrust23THRUST_200600_302600_NS6detail15normal_iteratorINS9_10device_ptrIjEEEEPS5_m14custom_greaterIjEEE10hipError_tT0_T1_T2_jT3_P12ihipStream_tbPNSt15iterator_traitsISJ_E10value_typeEPNSP_ISK_E10value_typeEPSL_NS1_7vsmem_tEENKUlT_SJ_SK_SL_E_clIPjSE_SF_SF_EESI_SY_SJ_SK_SL_EUlSY_E0_NS1_11comp_targetILNS1_3genE10ELNS1_11target_archE1201ELNS1_3gpuE5ELNS1_3repE0EEENS1_38merge_mergepath_config_static_selectorELNS0_4arch9wavefront6targetE1EEEvSK_
		.amdhsa_group_segment_fixed_size 0
		.amdhsa_private_segment_fixed_size 0
		.amdhsa_kernarg_size 72
		.amdhsa_user_sgpr_count 6
		.amdhsa_user_sgpr_private_segment_buffer 1
		.amdhsa_user_sgpr_dispatch_ptr 0
		.amdhsa_user_sgpr_queue_ptr 0
		.amdhsa_user_sgpr_kernarg_segment_ptr 1
		.amdhsa_user_sgpr_dispatch_id 0
		.amdhsa_user_sgpr_flat_scratch_init 0
		.amdhsa_user_sgpr_kernarg_preload_length 0
		.amdhsa_user_sgpr_kernarg_preload_offset 0
		.amdhsa_user_sgpr_private_segment_size 0
		.amdhsa_uses_dynamic_stack 0
		.amdhsa_system_sgpr_private_segment_wavefront_offset 0
		.amdhsa_system_sgpr_workgroup_id_x 1
		.amdhsa_system_sgpr_workgroup_id_y 0
		.amdhsa_system_sgpr_workgroup_id_z 0
		.amdhsa_system_sgpr_workgroup_info 0
		.amdhsa_system_vgpr_workitem_id 0
		.amdhsa_next_free_vgpr 1
		.amdhsa_next_free_sgpr 0
		.amdhsa_accum_offset 4
		.amdhsa_reserve_vcc 0
		.amdhsa_reserve_flat_scratch 0
		.amdhsa_float_round_mode_32 0
		.amdhsa_float_round_mode_16_64 0
		.amdhsa_float_denorm_mode_32 3
		.amdhsa_float_denorm_mode_16_64 3
		.amdhsa_dx10_clamp 1
		.amdhsa_ieee_mode 1
		.amdhsa_fp16_overflow 0
		.amdhsa_tg_split 0
		.amdhsa_exception_fp_ieee_invalid_op 0
		.amdhsa_exception_fp_denorm_src 0
		.amdhsa_exception_fp_ieee_div_zero 0
		.amdhsa_exception_fp_ieee_overflow 0
		.amdhsa_exception_fp_ieee_underflow 0
		.amdhsa_exception_fp_ieee_inexact 0
		.amdhsa_exception_int_div_zero 0
	.end_amdhsa_kernel
	.section	.text._ZN7rocprim17ROCPRIM_400000_NS6detail17trampoline_kernelINS0_14default_configENS1_38merge_sort_block_merge_config_selectorIjNS0_10empty_typeEEEZZNS1_27merge_sort_block_merge_implIS3_N6thrust23THRUST_200600_302600_NS6detail15normal_iteratorINS9_10device_ptrIjEEEEPS5_m14custom_greaterIjEEE10hipError_tT0_T1_T2_jT3_P12ihipStream_tbPNSt15iterator_traitsISJ_E10value_typeEPNSP_ISK_E10value_typeEPSL_NS1_7vsmem_tEENKUlT_SJ_SK_SL_E_clIPjSE_SF_SF_EESI_SY_SJ_SK_SL_EUlSY_E0_NS1_11comp_targetILNS1_3genE10ELNS1_11target_archE1201ELNS1_3gpuE5ELNS1_3repE0EEENS1_38merge_mergepath_config_static_selectorELNS0_4arch9wavefront6targetE1EEEvSK_,"axG",@progbits,_ZN7rocprim17ROCPRIM_400000_NS6detail17trampoline_kernelINS0_14default_configENS1_38merge_sort_block_merge_config_selectorIjNS0_10empty_typeEEEZZNS1_27merge_sort_block_merge_implIS3_N6thrust23THRUST_200600_302600_NS6detail15normal_iteratorINS9_10device_ptrIjEEEEPS5_m14custom_greaterIjEEE10hipError_tT0_T1_T2_jT3_P12ihipStream_tbPNSt15iterator_traitsISJ_E10value_typeEPNSP_ISK_E10value_typeEPSL_NS1_7vsmem_tEENKUlT_SJ_SK_SL_E_clIPjSE_SF_SF_EESI_SY_SJ_SK_SL_EUlSY_E0_NS1_11comp_targetILNS1_3genE10ELNS1_11target_archE1201ELNS1_3gpuE5ELNS1_3repE0EEENS1_38merge_mergepath_config_static_selectorELNS0_4arch9wavefront6targetE1EEEvSK_,comdat
.Lfunc_end3172:
	.size	_ZN7rocprim17ROCPRIM_400000_NS6detail17trampoline_kernelINS0_14default_configENS1_38merge_sort_block_merge_config_selectorIjNS0_10empty_typeEEEZZNS1_27merge_sort_block_merge_implIS3_N6thrust23THRUST_200600_302600_NS6detail15normal_iteratorINS9_10device_ptrIjEEEEPS5_m14custom_greaterIjEEE10hipError_tT0_T1_T2_jT3_P12ihipStream_tbPNSt15iterator_traitsISJ_E10value_typeEPNSP_ISK_E10value_typeEPSL_NS1_7vsmem_tEENKUlT_SJ_SK_SL_E_clIPjSE_SF_SF_EESI_SY_SJ_SK_SL_EUlSY_E0_NS1_11comp_targetILNS1_3genE10ELNS1_11target_archE1201ELNS1_3gpuE5ELNS1_3repE0EEENS1_38merge_mergepath_config_static_selectorELNS0_4arch9wavefront6targetE1EEEvSK_, .Lfunc_end3172-_ZN7rocprim17ROCPRIM_400000_NS6detail17trampoline_kernelINS0_14default_configENS1_38merge_sort_block_merge_config_selectorIjNS0_10empty_typeEEEZZNS1_27merge_sort_block_merge_implIS3_N6thrust23THRUST_200600_302600_NS6detail15normal_iteratorINS9_10device_ptrIjEEEEPS5_m14custom_greaterIjEEE10hipError_tT0_T1_T2_jT3_P12ihipStream_tbPNSt15iterator_traitsISJ_E10value_typeEPNSP_ISK_E10value_typeEPSL_NS1_7vsmem_tEENKUlT_SJ_SK_SL_E_clIPjSE_SF_SF_EESI_SY_SJ_SK_SL_EUlSY_E0_NS1_11comp_targetILNS1_3genE10ELNS1_11target_archE1201ELNS1_3gpuE5ELNS1_3repE0EEENS1_38merge_mergepath_config_static_selectorELNS0_4arch9wavefront6targetE1EEEvSK_
                                        ; -- End function
	.section	.AMDGPU.csdata,"",@progbits
; Kernel info:
; codeLenInByte = 0
; NumSgprs: 4
; NumVgprs: 0
; NumAgprs: 0
; TotalNumVgprs: 0
; ScratchSize: 0
; MemoryBound: 0
; FloatMode: 240
; IeeeMode: 1
; LDSByteSize: 0 bytes/workgroup (compile time only)
; SGPRBlocks: 0
; VGPRBlocks: 0
; NumSGPRsForWavesPerEU: 4
; NumVGPRsForWavesPerEU: 1
; AccumOffset: 4
; Occupancy: 8
; WaveLimiterHint : 0
; COMPUTE_PGM_RSRC2:SCRATCH_EN: 0
; COMPUTE_PGM_RSRC2:USER_SGPR: 6
; COMPUTE_PGM_RSRC2:TRAP_HANDLER: 0
; COMPUTE_PGM_RSRC2:TGID_X_EN: 1
; COMPUTE_PGM_RSRC2:TGID_Y_EN: 0
; COMPUTE_PGM_RSRC2:TGID_Z_EN: 0
; COMPUTE_PGM_RSRC2:TIDIG_COMP_CNT: 0
; COMPUTE_PGM_RSRC3_GFX90A:ACCUM_OFFSET: 0
; COMPUTE_PGM_RSRC3_GFX90A:TG_SPLIT: 0
	.section	.text._ZN7rocprim17ROCPRIM_400000_NS6detail17trampoline_kernelINS0_14default_configENS1_38merge_sort_block_merge_config_selectorIjNS0_10empty_typeEEEZZNS1_27merge_sort_block_merge_implIS3_N6thrust23THRUST_200600_302600_NS6detail15normal_iteratorINS9_10device_ptrIjEEEEPS5_m14custom_greaterIjEEE10hipError_tT0_T1_T2_jT3_P12ihipStream_tbPNSt15iterator_traitsISJ_E10value_typeEPNSP_ISK_E10value_typeEPSL_NS1_7vsmem_tEENKUlT_SJ_SK_SL_E_clIPjSE_SF_SF_EESI_SY_SJ_SK_SL_EUlSY_E0_NS1_11comp_targetILNS1_3genE5ELNS1_11target_archE942ELNS1_3gpuE9ELNS1_3repE0EEENS1_38merge_mergepath_config_static_selectorELNS0_4arch9wavefront6targetE1EEEvSK_,"axG",@progbits,_ZN7rocprim17ROCPRIM_400000_NS6detail17trampoline_kernelINS0_14default_configENS1_38merge_sort_block_merge_config_selectorIjNS0_10empty_typeEEEZZNS1_27merge_sort_block_merge_implIS3_N6thrust23THRUST_200600_302600_NS6detail15normal_iteratorINS9_10device_ptrIjEEEEPS5_m14custom_greaterIjEEE10hipError_tT0_T1_T2_jT3_P12ihipStream_tbPNSt15iterator_traitsISJ_E10value_typeEPNSP_ISK_E10value_typeEPSL_NS1_7vsmem_tEENKUlT_SJ_SK_SL_E_clIPjSE_SF_SF_EESI_SY_SJ_SK_SL_EUlSY_E0_NS1_11comp_targetILNS1_3genE5ELNS1_11target_archE942ELNS1_3gpuE9ELNS1_3repE0EEENS1_38merge_mergepath_config_static_selectorELNS0_4arch9wavefront6targetE1EEEvSK_,comdat
	.protected	_ZN7rocprim17ROCPRIM_400000_NS6detail17trampoline_kernelINS0_14default_configENS1_38merge_sort_block_merge_config_selectorIjNS0_10empty_typeEEEZZNS1_27merge_sort_block_merge_implIS3_N6thrust23THRUST_200600_302600_NS6detail15normal_iteratorINS9_10device_ptrIjEEEEPS5_m14custom_greaterIjEEE10hipError_tT0_T1_T2_jT3_P12ihipStream_tbPNSt15iterator_traitsISJ_E10value_typeEPNSP_ISK_E10value_typeEPSL_NS1_7vsmem_tEENKUlT_SJ_SK_SL_E_clIPjSE_SF_SF_EESI_SY_SJ_SK_SL_EUlSY_E0_NS1_11comp_targetILNS1_3genE5ELNS1_11target_archE942ELNS1_3gpuE9ELNS1_3repE0EEENS1_38merge_mergepath_config_static_selectorELNS0_4arch9wavefront6targetE1EEEvSK_ ; -- Begin function _ZN7rocprim17ROCPRIM_400000_NS6detail17trampoline_kernelINS0_14default_configENS1_38merge_sort_block_merge_config_selectorIjNS0_10empty_typeEEEZZNS1_27merge_sort_block_merge_implIS3_N6thrust23THRUST_200600_302600_NS6detail15normal_iteratorINS9_10device_ptrIjEEEEPS5_m14custom_greaterIjEEE10hipError_tT0_T1_T2_jT3_P12ihipStream_tbPNSt15iterator_traitsISJ_E10value_typeEPNSP_ISK_E10value_typeEPSL_NS1_7vsmem_tEENKUlT_SJ_SK_SL_E_clIPjSE_SF_SF_EESI_SY_SJ_SK_SL_EUlSY_E0_NS1_11comp_targetILNS1_3genE5ELNS1_11target_archE942ELNS1_3gpuE9ELNS1_3repE0EEENS1_38merge_mergepath_config_static_selectorELNS0_4arch9wavefront6targetE1EEEvSK_
	.globl	_ZN7rocprim17ROCPRIM_400000_NS6detail17trampoline_kernelINS0_14default_configENS1_38merge_sort_block_merge_config_selectorIjNS0_10empty_typeEEEZZNS1_27merge_sort_block_merge_implIS3_N6thrust23THRUST_200600_302600_NS6detail15normal_iteratorINS9_10device_ptrIjEEEEPS5_m14custom_greaterIjEEE10hipError_tT0_T1_T2_jT3_P12ihipStream_tbPNSt15iterator_traitsISJ_E10value_typeEPNSP_ISK_E10value_typeEPSL_NS1_7vsmem_tEENKUlT_SJ_SK_SL_E_clIPjSE_SF_SF_EESI_SY_SJ_SK_SL_EUlSY_E0_NS1_11comp_targetILNS1_3genE5ELNS1_11target_archE942ELNS1_3gpuE9ELNS1_3repE0EEENS1_38merge_mergepath_config_static_selectorELNS0_4arch9wavefront6targetE1EEEvSK_
	.p2align	8
	.type	_ZN7rocprim17ROCPRIM_400000_NS6detail17trampoline_kernelINS0_14default_configENS1_38merge_sort_block_merge_config_selectorIjNS0_10empty_typeEEEZZNS1_27merge_sort_block_merge_implIS3_N6thrust23THRUST_200600_302600_NS6detail15normal_iteratorINS9_10device_ptrIjEEEEPS5_m14custom_greaterIjEEE10hipError_tT0_T1_T2_jT3_P12ihipStream_tbPNSt15iterator_traitsISJ_E10value_typeEPNSP_ISK_E10value_typeEPSL_NS1_7vsmem_tEENKUlT_SJ_SK_SL_E_clIPjSE_SF_SF_EESI_SY_SJ_SK_SL_EUlSY_E0_NS1_11comp_targetILNS1_3genE5ELNS1_11target_archE942ELNS1_3gpuE9ELNS1_3repE0EEENS1_38merge_mergepath_config_static_selectorELNS0_4arch9wavefront6targetE1EEEvSK_,@function
_ZN7rocprim17ROCPRIM_400000_NS6detail17trampoline_kernelINS0_14default_configENS1_38merge_sort_block_merge_config_selectorIjNS0_10empty_typeEEEZZNS1_27merge_sort_block_merge_implIS3_N6thrust23THRUST_200600_302600_NS6detail15normal_iteratorINS9_10device_ptrIjEEEEPS5_m14custom_greaterIjEEE10hipError_tT0_T1_T2_jT3_P12ihipStream_tbPNSt15iterator_traitsISJ_E10value_typeEPNSP_ISK_E10value_typeEPSL_NS1_7vsmem_tEENKUlT_SJ_SK_SL_E_clIPjSE_SF_SF_EESI_SY_SJ_SK_SL_EUlSY_E0_NS1_11comp_targetILNS1_3genE5ELNS1_11target_archE942ELNS1_3gpuE9ELNS1_3repE0EEENS1_38merge_mergepath_config_static_selectorELNS0_4arch9wavefront6targetE1EEEvSK_: ; @_ZN7rocprim17ROCPRIM_400000_NS6detail17trampoline_kernelINS0_14default_configENS1_38merge_sort_block_merge_config_selectorIjNS0_10empty_typeEEEZZNS1_27merge_sort_block_merge_implIS3_N6thrust23THRUST_200600_302600_NS6detail15normal_iteratorINS9_10device_ptrIjEEEEPS5_m14custom_greaterIjEEE10hipError_tT0_T1_T2_jT3_P12ihipStream_tbPNSt15iterator_traitsISJ_E10value_typeEPNSP_ISK_E10value_typeEPSL_NS1_7vsmem_tEENKUlT_SJ_SK_SL_E_clIPjSE_SF_SF_EESI_SY_SJ_SK_SL_EUlSY_E0_NS1_11comp_targetILNS1_3genE5ELNS1_11target_archE942ELNS1_3gpuE9ELNS1_3repE0EEENS1_38merge_mergepath_config_static_selectorELNS0_4arch9wavefront6targetE1EEEvSK_
; %bb.0:
	.section	.rodata,"a",@progbits
	.p2align	6, 0x0
	.amdhsa_kernel _ZN7rocprim17ROCPRIM_400000_NS6detail17trampoline_kernelINS0_14default_configENS1_38merge_sort_block_merge_config_selectorIjNS0_10empty_typeEEEZZNS1_27merge_sort_block_merge_implIS3_N6thrust23THRUST_200600_302600_NS6detail15normal_iteratorINS9_10device_ptrIjEEEEPS5_m14custom_greaterIjEEE10hipError_tT0_T1_T2_jT3_P12ihipStream_tbPNSt15iterator_traitsISJ_E10value_typeEPNSP_ISK_E10value_typeEPSL_NS1_7vsmem_tEENKUlT_SJ_SK_SL_E_clIPjSE_SF_SF_EESI_SY_SJ_SK_SL_EUlSY_E0_NS1_11comp_targetILNS1_3genE5ELNS1_11target_archE942ELNS1_3gpuE9ELNS1_3repE0EEENS1_38merge_mergepath_config_static_selectorELNS0_4arch9wavefront6targetE1EEEvSK_
		.amdhsa_group_segment_fixed_size 0
		.amdhsa_private_segment_fixed_size 0
		.amdhsa_kernarg_size 72
		.amdhsa_user_sgpr_count 6
		.amdhsa_user_sgpr_private_segment_buffer 1
		.amdhsa_user_sgpr_dispatch_ptr 0
		.amdhsa_user_sgpr_queue_ptr 0
		.amdhsa_user_sgpr_kernarg_segment_ptr 1
		.amdhsa_user_sgpr_dispatch_id 0
		.amdhsa_user_sgpr_flat_scratch_init 0
		.amdhsa_user_sgpr_kernarg_preload_length 0
		.amdhsa_user_sgpr_kernarg_preload_offset 0
		.amdhsa_user_sgpr_private_segment_size 0
		.amdhsa_uses_dynamic_stack 0
		.amdhsa_system_sgpr_private_segment_wavefront_offset 0
		.amdhsa_system_sgpr_workgroup_id_x 1
		.amdhsa_system_sgpr_workgroup_id_y 0
		.amdhsa_system_sgpr_workgroup_id_z 0
		.amdhsa_system_sgpr_workgroup_info 0
		.amdhsa_system_vgpr_workitem_id 0
		.amdhsa_next_free_vgpr 1
		.amdhsa_next_free_sgpr 0
		.amdhsa_accum_offset 4
		.amdhsa_reserve_vcc 0
		.amdhsa_reserve_flat_scratch 0
		.amdhsa_float_round_mode_32 0
		.amdhsa_float_round_mode_16_64 0
		.amdhsa_float_denorm_mode_32 3
		.amdhsa_float_denorm_mode_16_64 3
		.amdhsa_dx10_clamp 1
		.amdhsa_ieee_mode 1
		.amdhsa_fp16_overflow 0
		.amdhsa_tg_split 0
		.amdhsa_exception_fp_ieee_invalid_op 0
		.amdhsa_exception_fp_denorm_src 0
		.amdhsa_exception_fp_ieee_div_zero 0
		.amdhsa_exception_fp_ieee_overflow 0
		.amdhsa_exception_fp_ieee_underflow 0
		.amdhsa_exception_fp_ieee_inexact 0
		.amdhsa_exception_int_div_zero 0
	.end_amdhsa_kernel
	.section	.text._ZN7rocprim17ROCPRIM_400000_NS6detail17trampoline_kernelINS0_14default_configENS1_38merge_sort_block_merge_config_selectorIjNS0_10empty_typeEEEZZNS1_27merge_sort_block_merge_implIS3_N6thrust23THRUST_200600_302600_NS6detail15normal_iteratorINS9_10device_ptrIjEEEEPS5_m14custom_greaterIjEEE10hipError_tT0_T1_T2_jT3_P12ihipStream_tbPNSt15iterator_traitsISJ_E10value_typeEPNSP_ISK_E10value_typeEPSL_NS1_7vsmem_tEENKUlT_SJ_SK_SL_E_clIPjSE_SF_SF_EESI_SY_SJ_SK_SL_EUlSY_E0_NS1_11comp_targetILNS1_3genE5ELNS1_11target_archE942ELNS1_3gpuE9ELNS1_3repE0EEENS1_38merge_mergepath_config_static_selectorELNS0_4arch9wavefront6targetE1EEEvSK_,"axG",@progbits,_ZN7rocprim17ROCPRIM_400000_NS6detail17trampoline_kernelINS0_14default_configENS1_38merge_sort_block_merge_config_selectorIjNS0_10empty_typeEEEZZNS1_27merge_sort_block_merge_implIS3_N6thrust23THRUST_200600_302600_NS6detail15normal_iteratorINS9_10device_ptrIjEEEEPS5_m14custom_greaterIjEEE10hipError_tT0_T1_T2_jT3_P12ihipStream_tbPNSt15iterator_traitsISJ_E10value_typeEPNSP_ISK_E10value_typeEPSL_NS1_7vsmem_tEENKUlT_SJ_SK_SL_E_clIPjSE_SF_SF_EESI_SY_SJ_SK_SL_EUlSY_E0_NS1_11comp_targetILNS1_3genE5ELNS1_11target_archE942ELNS1_3gpuE9ELNS1_3repE0EEENS1_38merge_mergepath_config_static_selectorELNS0_4arch9wavefront6targetE1EEEvSK_,comdat
.Lfunc_end3173:
	.size	_ZN7rocprim17ROCPRIM_400000_NS6detail17trampoline_kernelINS0_14default_configENS1_38merge_sort_block_merge_config_selectorIjNS0_10empty_typeEEEZZNS1_27merge_sort_block_merge_implIS3_N6thrust23THRUST_200600_302600_NS6detail15normal_iteratorINS9_10device_ptrIjEEEEPS5_m14custom_greaterIjEEE10hipError_tT0_T1_T2_jT3_P12ihipStream_tbPNSt15iterator_traitsISJ_E10value_typeEPNSP_ISK_E10value_typeEPSL_NS1_7vsmem_tEENKUlT_SJ_SK_SL_E_clIPjSE_SF_SF_EESI_SY_SJ_SK_SL_EUlSY_E0_NS1_11comp_targetILNS1_3genE5ELNS1_11target_archE942ELNS1_3gpuE9ELNS1_3repE0EEENS1_38merge_mergepath_config_static_selectorELNS0_4arch9wavefront6targetE1EEEvSK_, .Lfunc_end3173-_ZN7rocprim17ROCPRIM_400000_NS6detail17trampoline_kernelINS0_14default_configENS1_38merge_sort_block_merge_config_selectorIjNS0_10empty_typeEEEZZNS1_27merge_sort_block_merge_implIS3_N6thrust23THRUST_200600_302600_NS6detail15normal_iteratorINS9_10device_ptrIjEEEEPS5_m14custom_greaterIjEEE10hipError_tT0_T1_T2_jT3_P12ihipStream_tbPNSt15iterator_traitsISJ_E10value_typeEPNSP_ISK_E10value_typeEPSL_NS1_7vsmem_tEENKUlT_SJ_SK_SL_E_clIPjSE_SF_SF_EESI_SY_SJ_SK_SL_EUlSY_E0_NS1_11comp_targetILNS1_3genE5ELNS1_11target_archE942ELNS1_3gpuE9ELNS1_3repE0EEENS1_38merge_mergepath_config_static_selectorELNS0_4arch9wavefront6targetE1EEEvSK_
                                        ; -- End function
	.section	.AMDGPU.csdata,"",@progbits
; Kernel info:
; codeLenInByte = 0
; NumSgprs: 4
; NumVgprs: 0
; NumAgprs: 0
; TotalNumVgprs: 0
; ScratchSize: 0
; MemoryBound: 0
; FloatMode: 240
; IeeeMode: 1
; LDSByteSize: 0 bytes/workgroup (compile time only)
; SGPRBlocks: 0
; VGPRBlocks: 0
; NumSGPRsForWavesPerEU: 4
; NumVGPRsForWavesPerEU: 1
; AccumOffset: 4
; Occupancy: 8
; WaveLimiterHint : 0
; COMPUTE_PGM_RSRC2:SCRATCH_EN: 0
; COMPUTE_PGM_RSRC2:USER_SGPR: 6
; COMPUTE_PGM_RSRC2:TRAP_HANDLER: 0
; COMPUTE_PGM_RSRC2:TGID_X_EN: 1
; COMPUTE_PGM_RSRC2:TGID_Y_EN: 0
; COMPUTE_PGM_RSRC2:TGID_Z_EN: 0
; COMPUTE_PGM_RSRC2:TIDIG_COMP_CNT: 0
; COMPUTE_PGM_RSRC3_GFX90A:ACCUM_OFFSET: 0
; COMPUTE_PGM_RSRC3_GFX90A:TG_SPLIT: 0
	.section	.text._ZN7rocprim17ROCPRIM_400000_NS6detail17trampoline_kernelINS0_14default_configENS1_38merge_sort_block_merge_config_selectorIjNS0_10empty_typeEEEZZNS1_27merge_sort_block_merge_implIS3_N6thrust23THRUST_200600_302600_NS6detail15normal_iteratorINS9_10device_ptrIjEEEEPS5_m14custom_greaterIjEEE10hipError_tT0_T1_T2_jT3_P12ihipStream_tbPNSt15iterator_traitsISJ_E10value_typeEPNSP_ISK_E10value_typeEPSL_NS1_7vsmem_tEENKUlT_SJ_SK_SL_E_clIPjSE_SF_SF_EESI_SY_SJ_SK_SL_EUlSY_E0_NS1_11comp_targetILNS1_3genE4ELNS1_11target_archE910ELNS1_3gpuE8ELNS1_3repE0EEENS1_38merge_mergepath_config_static_selectorELNS0_4arch9wavefront6targetE1EEEvSK_,"axG",@progbits,_ZN7rocprim17ROCPRIM_400000_NS6detail17trampoline_kernelINS0_14default_configENS1_38merge_sort_block_merge_config_selectorIjNS0_10empty_typeEEEZZNS1_27merge_sort_block_merge_implIS3_N6thrust23THRUST_200600_302600_NS6detail15normal_iteratorINS9_10device_ptrIjEEEEPS5_m14custom_greaterIjEEE10hipError_tT0_T1_T2_jT3_P12ihipStream_tbPNSt15iterator_traitsISJ_E10value_typeEPNSP_ISK_E10value_typeEPSL_NS1_7vsmem_tEENKUlT_SJ_SK_SL_E_clIPjSE_SF_SF_EESI_SY_SJ_SK_SL_EUlSY_E0_NS1_11comp_targetILNS1_3genE4ELNS1_11target_archE910ELNS1_3gpuE8ELNS1_3repE0EEENS1_38merge_mergepath_config_static_selectorELNS0_4arch9wavefront6targetE1EEEvSK_,comdat
	.protected	_ZN7rocprim17ROCPRIM_400000_NS6detail17trampoline_kernelINS0_14default_configENS1_38merge_sort_block_merge_config_selectorIjNS0_10empty_typeEEEZZNS1_27merge_sort_block_merge_implIS3_N6thrust23THRUST_200600_302600_NS6detail15normal_iteratorINS9_10device_ptrIjEEEEPS5_m14custom_greaterIjEEE10hipError_tT0_T1_T2_jT3_P12ihipStream_tbPNSt15iterator_traitsISJ_E10value_typeEPNSP_ISK_E10value_typeEPSL_NS1_7vsmem_tEENKUlT_SJ_SK_SL_E_clIPjSE_SF_SF_EESI_SY_SJ_SK_SL_EUlSY_E0_NS1_11comp_targetILNS1_3genE4ELNS1_11target_archE910ELNS1_3gpuE8ELNS1_3repE0EEENS1_38merge_mergepath_config_static_selectorELNS0_4arch9wavefront6targetE1EEEvSK_ ; -- Begin function _ZN7rocprim17ROCPRIM_400000_NS6detail17trampoline_kernelINS0_14default_configENS1_38merge_sort_block_merge_config_selectorIjNS0_10empty_typeEEEZZNS1_27merge_sort_block_merge_implIS3_N6thrust23THRUST_200600_302600_NS6detail15normal_iteratorINS9_10device_ptrIjEEEEPS5_m14custom_greaterIjEEE10hipError_tT0_T1_T2_jT3_P12ihipStream_tbPNSt15iterator_traitsISJ_E10value_typeEPNSP_ISK_E10value_typeEPSL_NS1_7vsmem_tEENKUlT_SJ_SK_SL_E_clIPjSE_SF_SF_EESI_SY_SJ_SK_SL_EUlSY_E0_NS1_11comp_targetILNS1_3genE4ELNS1_11target_archE910ELNS1_3gpuE8ELNS1_3repE0EEENS1_38merge_mergepath_config_static_selectorELNS0_4arch9wavefront6targetE1EEEvSK_
	.globl	_ZN7rocprim17ROCPRIM_400000_NS6detail17trampoline_kernelINS0_14default_configENS1_38merge_sort_block_merge_config_selectorIjNS0_10empty_typeEEEZZNS1_27merge_sort_block_merge_implIS3_N6thrust23THRUST_200600_302600_NS6detail15normal_iteratorINS9_10device_ptrIjEEEEPS5_m14custom_greaterIjEEE10hipError_tT0_T1_T2_jT3_P12ihipStream_tbPNSt15iterator_traitsISJ_E10value_typeEPNSP_ISK_E10value_typeEPSL_NS1_7vsmem_tEENKUlT_SJ_SK_SL_E_clIPjSE_SF_SF_EESI_SY_SJ_SK_SL_EUlSY_E0_NS1_11comp_targetILNS1_3genE4ELNS1_11target_archE910ELNS1_3gpuE8ELNS1_3repE0EEENS1_38merge_mergepath_config_static_selectorELNS0_4arch9wavefront6targetE1EEEvSK_
	.p2align	8
	.type	_ZN7rocprim17ROCPRIM_400000_NS6detail17trampoline_kernelINS0_14default_configENS1_38merge_sort_block_merge_config_selectorIjNS0_10empty_typeEEEZZNS1_27merge_sort_block_merge_implIS3_N6thrust23THRUST_200600_302600_NS6detail15normal_iteratorINS9_10device_ptrIjEEEEPS5_m14custom_greaterIjEEE10hipError_tT0_T1_T2_jT3_P12ihipStream_tbPNSt15iterator_traitsISJ_E10value_typeEPNSP_ISK_E10value_typeEPSL_NS1_7vsmem_tEENKUlT_SJ_SK_SL_E_clIPjSE_SF_SF_EESI_SY_SJ_SK_SL_EUlSY_E0_NS1_11comp_targetILNS1_3genE4ELNS1_11target_archE910ELNS1_3gpuE8ELNS1_3repE0EEENS1_38merge_mergepath_config_static_selectorELNS0_4arch9wavefront6targetE1EEEvSK_,@function
_ZN7rocprim17ROCPRIM_400000_NS6detail17trampoline_kernelINS0_14default_configENS1_38merge_sort_block_merge_config_selectorIjNS0_10empty_typeEEEZZNS1_27merge_sort_block_merge_implIS3_N6thrust23THRUST_200600_302600_NS6detail15normal_iteratorINS9_10device_ptrIjEEEEPS5_m14custom_greaterIjEEE10hipError_tT0_T1_T2_jT3_P12ihipStream_tbPNSt15iterator_traitsISJ_E10value_typeEPNSP_ISK_E10value_typeEPSL_NS1_7vsmem_tEENKUlT_SJ_SK_SL_E_clIPjSE_SF_SF_EESI_SY_SJ_SK_SL_EUlSY_E0_NS1_11comp_targetILNS1_3genE4ELNS1_11target_archE910ELNS1_3gpuE8ELNS1_3repE0EEENS1_38merge_mergepath_config_static_selectorELNS0_4arch9wavefront6targetE1EEEvSK_: ; @_ZN7rocprim17ROCPRIM_400000_NS6detail17trampoline_kernelINS0_14default_configENS1_38merge_sort_block_merge_config_selectorIjNS0_10empty_typeEEEZZNS1_27merge_sort_block_merge_implIS3_N6thrust23THRUST_200600_302600_NS6detail15normal_iteratorINS9_10device_ptrIjEEEEPS5_m14custom_greaterIjEEE10hipError_tT0_T1_T2_jT3_P12ihipStream_tbPNSt15iterator_traitsISJ_E10value_typeEPNSP_ISK_E10value_typeEPSL_NS1_7vsmem_tEENKUlT_SJ_SK_SL_E_clIPjSE_SF_SF_EESI_SY_SJ_SK_SL_EUlSY_E0_NS1_11comp_targetILNS1_3genE4ELNS1_11target_archE910ELNS1_3gpuE8ELNS1_3repE0EEENS1_38merge_mergepath_config_static_selectorELNS0_4arch9wavefront6targetE1EEEvSK_
; %bb.0:
	s_load_dwordx2 s[22:23], s[4:5], 0x48
	s_load_dword s0, s[4:5], 0x38
	s_add_u32 s10, s4, 0x48
	s_addc_u32 s11, s5, 0
	s_waitcnt lgkmcnt(0)
	s_mul_i32 s1, s23, s8
	s_add_i32 s1, s1, s7
	s_mul_i32 s1, s1, s22
	s_add_i32 s8, s1, s6
	s_cmp_ge_u32 s8, s0
	s_cbranch_scc1 .LBB3174_45
; %bb.1:
	s_load_dwordx2 s[0:1], s[4:5], 0x40
	s_load_dwordx4 s[12:15], s[4:5], 0x8
	s_load_dwordx4 s[16:19], s[4:5], 0x28
	s_mov_b32 s9, 0
	s_lshl_b64 s[2:3], s[8:9], 3
	s_waitcnt lgkmcnt(0)
	s_add_u32 s0, s0, s2
	s_addc_u32 s1, s1, s3
	v_mov_b32_e32 v1, s18
	v_alignbit_b32 v1, s19, v1, 9
	v_readfirstlane_b32 s4, v1
	s_and_b32 s4, s4, -2
	s_sub_i32 s30, 0, s4
	s_and_b32 s24, s8, s30
	s_mov_b32 s25, s9
	s_lshl_b64 s[4:5], s[24:25], 10
	s_lshl_b64 s[20:21], s[8:9], 10
	s_sub_u32 s7, s20, s4
	s_load_dwordx4 s[0:3], s[0:1], 0x0
	s_subb_u32 s23, s21, s5
	s_lshl_b64 s[24:25], s[24:25], 11
	s_add_u32 s24, s24, s18
	s_addc_u32 s25, s25, s19
	s_add_u32 s7, s24, s7
	s_addc_u32 s23, s25, s23
	s_waitcnt lgkmcnt(0)
	s_sub_u32 s26, s7, s2
	s_subb_u32 s3, s23, s3
	s_add_u32 s26, s26, 0x400
	s_addc_u32 s27, s3, 0
	v_pk_mov_b32 v[2:3], s[26:27], s[26:27] op_sel:[0,1]
	v_cmp_lt_u64_e32 vcc, s[16:17], v[2:3]
	s_and_b64 s[28:29], vcc, exec
	s_cselect_b32 s3, s16, s26
	s_or_b32 s26, s8, s30
	s_cmp_lg_u32 s26, -1
	s_cbranch_scc1 .LBB3174_3
; %bb.2:
	s_sub_u32 s4, s24, s4
	s_subb_u32 s5, s25, s5
	v_pk_mov_b32 v[2:3], s[4:5], s[4:5] op_sel:[0,1]
	v_cmp_lt_u64_e32 vcc, s[16:17], v[2:3]
	s_and_b64 s[2:3], vcc, exec
	s_cselect_b32 s2, s16, s4
	s_add_u32 s4, s4, s18
	s_addc_u32 s5, s5, s19
	v_pk_mov_b32 v[2:3], s[4:5], s[4:5] op_sel:[0,1]
	v_cmp_lt_u64_e32 vcc, s[16:17], v[2:3]
	s_and_b64 s[18:19], vcc, exec
	s_cselect_b32 s3, s16, s4
.LBB3174_3:
	s_lshr_b64 s[26:27], s[16:17], 10
	s_cmp_lg_u64 s[26:27], s[8:9]
	s_cselect_b64 s[18:19], -1, 0
	s_sub_u32 s4, s7, s0
	s_subb_u32 s5, s23, s1
	v_pk_mov_b32 v[2:3], s[4:5], s[4:5] op_sel:[0,1]
	v_cmp_lt_u64_e32 vcc, s[16:17], v[2:3]
	s_and_b64 s[24:25], vcc, exec
	s_cselect_b32 s28, s16, s4
	s_cselect_b32 s29, s17, s5
	s_sub_i32 s17, s2, s0
	s_sub_i32 s4, s3, s28
	s_lshl_b64 s[0:1], s[0:1], 2
	s_add_u32 s23, s12, s0
	s_addc_u32 s25, s13, s1
	s_lshl_b64 s[0:1], s[28:29], 2
	s_add_u32 s5, s12, s0
	s_addc_u32 s7, s13, s1
	s_cmp_lt_u32 s6, s22
	v_mov_b32_e32 v15, 0
	s_cselect_b32 s0, 12, 18
	global_load_dword v1, v15, s[10:11] offset:14
	s_add_u32 s0, s10, s0
	s_addc_u32 s1, s11, 0
	global_load_ushort v2, v15, s[0:1]
	s_cmp_eq_u64 s[26:27], s[8:9]
	s_waitcnt vmcnt(1)
	v_lshrrev_b32_e32 v3, 16, v1
	v_and_b32_e32 v1, 0xffff, v1
	v_mul_lo_u32 v1, v1, v3
	s_waitcnt vmcnt(0)
	v_mul_lo_u32 v16, v1, v2
	v_add_u32_e32 v12, v16, v0
	v_lshlrev_b32_e32 v1, 2, v0
	v_add_u32_e32 v10, v12, v16
	s_cbranch_scc1 .LBB3174_5
; %bb.4:
	v_mov_b32_e32 v2, s25
	v_add_co_u32_e32 v4, vcc, s23, v1
	v_subrev_u32_e32 v14, s17, v0
	v_addc_co_u32_e32 v5, vcc, 0, v2, vcc
	v_lshlrev_b64 v[2:3], 2, v[14:15]
	v_mov_b32_e32 v6, s7
	v_add_co_u32_e32 v2, vcc, s5, v2
	v_addc_co_u32_e32 v3, vcc, v6, v3, vcc
	v_cmp_gt_u32_e32 vcc, s17, v0
	v_mov_b32_e32 v13, v15
	v_cndmask_b32_e32 v3, v3, v5, vcc
	v_cndmask_b32_e32 v2, v2, v4, vcc
	v_lshlrev_b64 v[4:5], 2, v[12:13]
	global_load_dword v2, v[2:3], off
	v_mov_b32_e32 v3, s25
	v_add_co_u32_e32 v6, vcc, s23, v4
	v_subrev_u32_e32 v14, s17, v12
	v_addc_co_u32_e32 v3, vcc, v3, v5, vcc
	v_lshlrev_b64 v[4:5], 2, v[14:15]
	v_mov_b32_e32 v7, s7
	v_add_co_u32_e32 v4, vcc, s5, v4
	v_addc_co_u32_e32 v5, vcc, v7, v5, vcc
	v_cmp_gt_u32_e32 vcc, s17, v12
	v_cndmask_b32_e32 v5, v5, v3, vcc
	v_cndmask_b32_e32 v4, v4, v6, vcc
	v_mov_b32_e32 v11, v15
	global_load_dword v3, v[4:5], off
	v_lshlrev_b64 v[4:5], 2, v[10:11]
	v_mov_b32_e32 v6, s25
	v_add_co_u32_e32 v7, vcc, s23, v4
	v_subrev_u32_e32 v14, s17, v10
	v_addc_co_u32_e32 v6, vcc, v6, v5, vcc
	v_lshlrev_b64 v[4:5], 2, v[14:15]
	v_mov_b32_e32 v8, s7
	v_add_co_u32_e32 v4, vcc, s5, v4
	v_addc_co_u32_e32 v5, vcc, v8, v5, vcc
	v_cmp_gt_u32_e32 vcc, s17, v10
	v_add_u32_e32 v14, v10, v16
	v_cndmask_b32_e32 v5, v5, v6, vcc
	v_cndmask_b32_e32 v4, v4, v7, vcc
	v_lshlrev_b64 v[6:7], 2, v[14:15]
	global_load_dword v4, v[4:5], off
	v_mov_b32_e32 v5, s25
	v_add_co_u32_e32 v8, vcc, s23, v6
	v_addc_co_u32_e32 v5, vcc, v5, v7, vcc
	v_subrev_u32_e32 v6, s17, v14
	v_mov_b32_e32 v7, v15
	v_lshlrev_b64 v[6:7], 2, v[6:7]
	v_mov_b32_e32 v9, s7
	v_add_co_u32_e32 v6, vcc, s5, v6
	v_addc_co_u32_e32 v7, vcc, v9, v7, vcc
	v_cmp_gt_u32_e32 vcc, s17, v14
	v_cndmask_b32_e32 v7, v7, v5, vcc
	v_cndmask_b32_e32 v6, v6, v8, vcc
	v_add_u32_e32 v14, v14, v16
	global_load_dword v5, v[6:7], off
	v_lshlrev_b64 v[6:7], 2, v[14:15]
	v_mov_b32_e32 v8, s25
	v_add_co_u32_e32 v9, vcc, s23, v6
	v_addc_co_u32_e32 v8, vcc, v8, v7, vcc
	v_subrev_u32_e32 v6, s17, v14
	v_mov_b32_e32 v7, v15
	v_lshlrev_b64 v[6:7], 2, v[6:7]
	v_mov_b32_e32 v11, s7
	v_add_co_u32_e32 v6, vcc, s5, v6
	v_addc_co_u32_e32 v7, vcc, v11, v7, vcc
	v_cmp_gt_u32_e32 vcc, s17, v14
	v_add_u32_e32 v14, v14, v16
	v_cndmask_b32_e32 v7, v7, v8, vcc
	v_cndmask_b32_e32 v6, v6, v9, vcc
	v_lshlrev_b64 v[8:9], 2, v[14:15]
	global_load_dword v6, v[6:7], off
	v_mov_b32_e32 v7, s25
	v_add_co_u32_e32 v11, vcc, s23, v8
	v_addc_co_u32_e32 v7, vcc, v7, v9, vcc
	v_subrev_u32_e32 v8, s17, v14
	v_mov_b32_e32 v9, v15
	v_lshlrev_b64 v[8:9], 2, v[8:9]
	v_mov_b32_e32 v13, s7
	v_add_co_u32_e32 v8, vcc, s5, v8
	v_addc_co_u32_e32 v9, vcc, v13, v9, vcc
	v_cmp_gt_u32_e32 vcc, s17, v14
	v_cndmask_b32_e32 v9, v9, v7, vcc
	v_cndmask_b32_e32 v8, v8, v11, vcc
	v_add_u32_e32 v14, v14, v16
	global_load_dword v7, v[8:9], off
	v_lshlrev_b64 v[8:9], 2, v[14:15]
	v_mov_b32_e32 v11, s25
	v_add_co_u32_e32 v13, vcc, s23, v8
	v_addc_co_u32_e32 v11, vcc, v11, v9, vcc
	v_subrev_u32_e32 v8, s17, v14
	v_mov_b32_e32 v9, v15
	v_lshlrev_b64 v[8:9], 2, v[8:9]
	v_mov_b32_e32 v17, s7
	v_add_co_u32_e32 v8, vcc, s5, v8
	v_addc_co_u32_e32 v9, vcc, v17, v9, vcc
	v_cmp_gt_u32_e32 vcc, s17, v14
	v_add_u32_e32 v14, v14, v16
	v_cndmask_b32_e32 v9, v9, v11, vcc
	v_cndmask_b32_e32 v8, v8, v13, vcc
	v_lshlrev_b64 v[18:19], 2, v[14:15]
	global_load_dword v8, v[8:9], off
	v_mov_b32_e32 v9, s25
	v_add_co_u32_e32 v11, vcc, s23, v18
	v_addc_co_u32_e32 v9, vcc, v9, v19, vcc
	v_cmp_gt_u32_e32 vcc, s17, v14
	v_subrev_u32_e32 v14, s17, v14
	v_lshlrev_b64 v[14:15], 2, v[14:15]
	v_mov_b32_e32 v13, s7
	v_add_co_u32_e64 v14, s[0:1], s5, v14
	v_addc_co_u32_e64 v13, s[0:1], v13, v15, s[0:1]
	v_cndmask_b32_e32 v15, v13, v9, vcc
	v_cndmask_b32_e32 v14, v14, v11, vcc
	global_load_dword v9, v[14:15], off
	s_add_i32 s24, s17, s4
	s_cbranch_execz .LBB3174_6
	s_branch .LBB3174_21
.LBB3174_5:
                                        ; implicit-def: $vgpr2_vgpr3_vgpr4_vgpr5_vgpr6_vgpr7_vgpr8_vgpr9
                                        ; implicit-def: $sgpr24
.LBB3174_6:
	s_add_i32 s24, s17, s4
	v_cmp_gt_u32_e32 vcc, s24, v0
                                        ; implicit-def: $vgpr2_vgpr3_vgpr4_vgpr5_vgpr6_vgpr7_vgpr8_vgpr9
	s_and_saveexec_b64 s[0:1], vcc
	s_cbranch_execnz .LBB3174_46
; %bb.7:
	s_or_b64 exec, exec, s[0:1]
	v_cmp_gt_u32_e32 vcc, s24, v12
	s_and_saveexec_b64 s[2:3], vcc
	s_cbranch_execnz .LBB3174_47
.LBB3174_8:
	s_or_b64 exec, exec, s[2:3]
	v_cmp_gt_u32_e32 vcc, s24, v10
	s_and_saveexec_b64 s[0:1], vcc
	s_cbranch_execz .LBB3174_10
.LBB3174_9:
	v_mov_b32_e32 v11, 0
	v_lshlrev_b64 v[12:13], 2, v[10:11]
	s_waitcnt vmcnt(5)
	v_mov_b32_e32 v4, s25
	v_add_co_u32_e32 v14, vcc, s23, v12
	v_addc_co_u32_e32 v4, vcc, v4, v13, vcc
	v_subrev_u32_e32 v12, s17, v10
	v_mov_b32_e32 v13, v11
	v_lshlrev_b64 v[12:13], 2, v[12:13]
	v_mov_b32_e32 v11, s7
	v_add_co_u32_e32 v12, vcc, s5, v12
	v_addc_co_u32_e32 v11, vcc, v11, v13, vcc
	v_cmp_gt_u32_e32 vcc, s17, v10
	v_cndmask_b32_e32 v13, v11, v4, vcc
	v_cndmask_b32_e32 v12, v12, v14, vcc
	global_load_dword v4, v[12:13], off
.LBB3174_10:
	s_or_b64 exec, exec, s[0:1]
	v_add_u32_e32 v10, v10, v16
	v_cmp_gt_u32_e32 vcc, s24, v10
	s_and_saveexec_b64 s[0:1], vcc
	s_cbranch_execz .LBB3174_12
; %bb.11:
	v_mov_b32_e32 v11, 0
	v_lshlrev_b64 v[12:13], 2, v[10:11]
	s_waitcnt vmcnt(4)
	v_mov_b32_e32 v5, s25
	v_add_co_u32_e32 v14, vcc, s23, v12
	v_addc_co_u32_e32 v5, vcc, v5, v13, vcc
	v_subrev_u32_e32 v12, s17, v10
	v_mov_b32_e32 v13, v11
	v_lshlrev_b64 v[12:13], 2, v[12:13]
	v_mov_b32_e32 v11, s7
	v_add_co_u32_e32 v12, vcc, s5, v12
	v_addc_co_u32_e32 v11, vcc, v11, v13, vcc
	v_cmp_gt_u32_e32 vcc, s17, v10
	v_cndmask_b32_e32 v13, v11, v5, vcc
	v_cndmask_b32_e32 v12, v12, v14, vcc
	global_load_dword v5, v[12:13], off
.LBB3174_12:
	s_or_b64 exec, exec, s[0:1]
	v_add_u32_e32 v10, v10, v16
	v_cmp_gt_u32_e32 vcc, s24, v10
	s_and_saveexec_b64 s[0:1], vcc
	s_cbranch_execz .LBB3174_14
; %bb.13:
	v_mov_b32_e32 v11, 0
	v_lshlrev_b64 v[12:13], 2, v[10:11]
	s_waitcnt vmcnt(3)
	v_mov_b32_e32 v6, s25
	v_add_co_u32_e32 v14, vcc, s23, v12
	v_addc_co_u32_e32 v6, vcc, v6, v13, vcc
	v_subrev_u32_e32 v12, s17, v10
	v_mov_b32_e32 v13, v11
	v_lshlrev_b64 v[12:13], 2, v[12:13]
	v_mov_b32_e32 v11, s7
	v_add_co_u32_e32 v12, vcc, s5, v12
	v_addc_co_u32_e32 v11, vcc, v11, v13, vcc
	v_cmp_gt_u32_e32 vcc, s17, v10
	v_cndmask_b32_e32 v13, v11, v6, vcc
	v_cndmask_b32_e32 v12, v12, v14, vcc
	global_load_dword v6, v[12:13], off
.LBB3174_14:
	;; [unrolled: 23-line block ×4, first 2 shown]
	s_or_b64 exec, exec, s[0:1]
	v_add_u32_e32 v10, v10, v16
	v_cmp_gt_u32_e32 vcc, s24, v10
	s_and_saveexec_b64 s[2:3], vcc
	s_cbranch_execz .LBB3174_20
; %bb.19:
	v_mov_b32_e32 v11, 0
	v_lshlrev_b64 v[12:13], 2, v[10:11]
	s_waitcnt vmcnt(0)
	v_mov_b32_e32 v9, s25
	v_add_co_u32_e32 v12, vcc, s23, v12
	v_addc_co_u32_e32 v9, vcc, v9, v13, vcc
	v_cmp_gt_u32_e32 vcc, s17, v10
	v_subrev_u32_e32 v10, s17, v10
	v_lshlrev_b64 v[10:11], 2, v[10:11]
	v_mov_b32_e32 v13, s7
	v_add_co_u32_e64 v10, s[0:1], s5, v10
	v_addc_co_u32_e64 v11, s[0:1], v13, v11, s[0:1]
	v_cndmask_b32_e32 v11, v11, v9, vcc
	v_cndmask_b32_e32 v10, v10, v12, vcc
	global_load_dword v9, v[10:11], off
.LBB3174_20:
	s_or_b64 exec, exec, s[2:3]
.LBB3174_21:
	v_lshlrev_b32_e32 v10, 3, v0
	v_min_u32_e32 v12, s24, v10
	v_sub_u32_e64 v11, v12, s4 clamp
	v_min_u32_e32 v13, s17, v12
	v_cmp_lt_u32_e32 vcc, v11, v13
	s_waitcnt vmcnt(0)
	ds_write2st64_b32 v1, v2, v3 offset1:2
	ds_write2st64_b32 v1, v4, v5 offset0:4 offset1:6
	ds_write2st64_b32 v1, v6, v7 offset0:8 offset1:10
	;; [unrolled: 1-line block ×3, first 2 shown]
	s_waitcnt lgkmcnt(0)
	s_barrier
	s_and_saveexec_b64 s[0:1], vcc
	s_cbranch_execz .LBB3174_25
; %bb.22:
	v_lshlrev_b32_e32 v14, 2, v12
	v_lshl_add_u32 v14, s17, 2, v14
	s_mov_b64 s[2:3], 0
.LBB3174_23:                            ; =>This Inner Loop Header: Depth=1
	v_add_u32_e32 v15, v13, v11
	v_lshrrev_b32_e32 v15, 1, v15
	v_not_b32_e32 v16, v15
	v_lshlrev_b32_e32 v17, 2, v15
	v_lshl_add_u32 v16, v16, 2, v14
	ds_read_b32 v17, v17
	ds_read_b32 v16, v16
	v_add_u32_e32 v18, 1, v15
	s_waitcnt lgkmcnt(0)
	v_cmp_gt_u32_e32 vcc, v17, v16
	v_cndmask_b32_e32 v13, v13, v15, vcc
	v_cndmask_b32_e32 v11, v18, v11, vcc
	v_cmp_ge_u32_e32 vcc, v11, v13
	s_or_b64 s[2:3], vcc, s[2:3]
	s_andn2_b64 exec, exec, s[2:3]
	s_cbranch_execnz .LBB3174_23
; %bb.24:
	s_or_b64 exec, exec, s[2:3]
.LBB3174_25:
	s_or_b64 exec, exec, s[0:1]
	v_sub_u32_e32 v12, v12, v11
	v_add_u32_e32 v12, s17, v12
	v_cmp_ge_u32_e32 vcc, s17, v11
	v_cmp_ge_u32_e64 s[0:1], s24, v12
	s_or_b64 s[0:1], vcc, s[0:1]
	s_and_saveexec_b64 s[22:23], s[0:1]
	s_cbranch_execz .LBB3174_31
; %bb.26:
	v_cmp_gt_u32_e32 vcc, s17, v11
                                        ; implicit-def: $vgpr2
	s_and_saveexec_b64 s[0:1], vcc
	s_cbranch_execz .LBB3174_28
; %bb.27:
	v_lshlrev_b32_e32 v2, 2, v11
	ds_read_b32 v2, v2
.LBB3174_28:
	s_or_b64 exec, exec, s[0:1]
	v_cmp_le_u32_e64 s[0:1], s24, v12
	v_cmp_gt_u32_e64 s[2:3], s24, v12
                                        ; implicit-def: $vgpr3
	s_and_saveexec_b64 s[4:5], s[2:3]
	s_cbranch_execz .LBB3174_30
; %bb.29:
	v_lshlrev_b32_e32 v3, 2, v12
	ds_read_b32 v3, v3
.LBB3174_30:
	s_or_b64 exec, exec, s[4:5]
	s_waitcnt lgkmcnt(0)
	v_cmp_le_u32_e64 s[2:3], v2, v3
	s_and_b64 s[2:3], vcc, s[2:3]
	s_or_b64 vcc, s[0:1], s[2:3]
	v_mov_b32_e32 v5, s24
	v_mov_b32_e32 v6, s17
	v_cndmask_b32_e32 v4, v12, v11, vcc
	v_cndmask_b32_e32 v7, v5, v6, vcc
	v_add_u32_e32 v4, 1, v4
	v_add_u32_e32 v7, -1, v7
	v_min_u32_e32 v7, v4, v7
	v_lshlrev_b32_e32 v7, 2, v7
	ds_read_b32 v7, v7
	v_cndmask_b32_e32 v9, v4, v12, vcc
	v_cndmask_b32_e32 v4, v11, v4, vcc
	v_cmp_gt_u32_e64 s[2:3], s17, v4
	v_cmp_le_u32_e64 s[0:1], s24, v9
	s_waitcnt lgkmcnt(0)
	v_cndmask_b32_e32 v8, v7, v3, vcc
	v_cndmask_b32_e32 v7, v2, v7, vcc
	v_cmp_le_u32_e64 s[4:5], v7, v8
	s_and_b64 s[2:3], s[2:3], s[4:5]
	s_or_b64 s[0:1], s[0:1], s[2:3]
	v_cndmask_b32_e64 v11, v9, v4, s[0:1]
	v_cndmask_b32_e64 v12, v5, v6, s[0:1]
	v_add_u32_e32 v11, 1, v11
	v_add_u32_e32 v12, -1, v12
	v_min_u32_e32 v12, v11, v12
	v_lshlrev_b32_e32 v12, 2, v12
	ds_read_b32 v12, v12
	v_cndmask_b32_e64 v4, v4, v11, s[0:1]
	v_cndmask_b32_e64 v9, v11, v9, s[0:1]
	v_cmp_gt_u32_e64 s[4:5], s17, v4
	v_cmp_le_u32_e64 s[2:3], s24, v9
	s_waitcnt lgkmcnt(0)
	v_cndmask_b32_e64 v13, v12, v8, s[0:1]
	v_cndmask_b32_e64 v12, v7, v12, s[0:1]
	v_cmp_le_u32_e64 s[6:7], v12, v13
	s_and_b64 s[4:5], s[4:5], s[6:7]
	s_or_b64 s[2:3], s[2:3], s[4:5]
	v_cndmask_b32_e64 v11, v9, v4, s[2:3]
	v_cndmask_b32_e64 v14, v5, v6, s[2:3]
	v_add_u32_e32 v11, 1, v11
	v_add_u32_e32 v14, -1, v14
	v_min_u32_e32 v14, v11, v14
	v_lshlrev_b32_e32 v14, 2, v14
	ds_read_b32 v14, v14
	v_cndmask_b32_e64 v4, v4, v11, s[2:3]
	v_cndmask_b32_e64 v9, v11, v9, s[2:3]
	v_cmp_gt_u32_e64 s[6:7], s17, v4
	v_cmp_le_u32_e64 s[4:5], s24, v9
	s_waitcnt lgkmcnt(0)
	v_cndmask_b32_e64 v15, v14, v13, s[2:3]
	v_cndmask_b32_e64 v14, v12, v14, s[2:3]
	;; [unrolled: 17-line block ×4, first 2 shown]
	v_cmp_le_u32_e64 s[12:13], v18, v19
	s_and_b64 s[10:11], s[10:11], s[12:13]
	s_or_b64 s[8:9], s[8:9], s[10:11]
	v_cndmask_b32_e64 v4, v9, v11, s[8:9]
	v_cndmask_b32_e64 v20, v5, v6, s[8:9]
	v_add_u32_e32 v21, 1, v4
	v_add_u32_e32 v4, -1, v20
	v_min_u32_e32 v4, v21, v4
	v_lshlrev_b32_e32 v4, 2, v4
	ds_read_b32 v20, v4
	v_cndmask_b32_e64 v4, v13, v12, s[2:3]
	v_cndmask_b32_e64 v11, v11, v21, s[8:9]
	v_cndmask_b32_e32 v2, v3, v2, vcc
	v_cndmask_b32_e64 v3, v8, v7, s[0:1]
	s_waitcnt lgkmcnt(0)
	v_cndmask_b32_e64 v12, v20, v19, s[8:9]
	v_cndmask_b32_e64 v13, v18, v20, s[8:9]
	;; [unrolled: 1-line block ×3, first 2 shown]
	v_cmp_gt_u32_e64 s[0:1], s17, v11
	v_cmp_le_u32_e64 s[2:3], v13, v12
	v_cmp_le_u32_e32 vcc, s24, v9
	s_and_b64 s[0:1], s[0:1], s[2:3]
	s_or_b64 vcc, vcc, s[0:1]
	v_cndmask_b32_e32 v7, v9, v11, vcc
	v_cndmask_b32_e32 v5, v5, v6, vcc
	v_add_u32_e32 v20, 1, v7
	v_add_u32_e32 v5, -1, v5
	v_min_u32_e32 v5, v20, v5
	v_lshlrev_b32_e32 v5, 2, v5
	ds_read_b32 v21, v5
	v_cndmask_b32_e32 v8, v12, v13, vcc
	v_cndmask_b32_e32 v11, v11, v20, vcc
	;; [unrolled: 1-line block ×3, first 2 shown]
	v_cmp_gt_u32_e64 s[0:1], s17, v11
	s_waitcnt lgkmcnt(0)
	v_cndmask_b32_e32 v12, v21, v12, vcc
	v_cndmask_b32_e32 v13, v13, v21, vcc
	v_cmp_le_u32_e64 s[2:3], v13, v12
	v_cmp_le_u32_e32 vcc, s24, v9
	s_and_b64 s[0:1], s[0:1], s[2:3]
	s_or_b64 vcc, vcc, s[0:1]
	v_cndmask_b32_e64 v5, v15, v14, s[4:5]
	v_cndmask_b32_e64 v6, v17, v16, s[6:7]
	;; [unrolled: 1-line block ×3, first 2 shown]
	v_cndmask_b32_e32 v9, v12, v13, vcc
.LBB3174_31:
	s_or_b64 exec, exec, s[22:23]
	v_and_b32_e32 v11, 0x7c, v0
	v_lshl_add_u32 v10, v10, 2, v11
	s_barrier
	s_barrier
	ds_write2_b32 v10, v2, v3 offset1:1
	ds_write2_b32 v10, v4, v5 offset0:2 offset1:3
	ds_write2_b32 v10, v6, v7 offset0:4 offset1:5
	;; [unrolled: 1-line block ×3, first 2 shown]
	v_lshrrev_b32_e32 v2, 3, v0
	v_and_b32_e32 v2, 12, v2
	v_or_b32_e32 v10, 0x80, v0
	v_add_u32_e32 v11, v1, v2
	v_lshrrev_b32_e32 v2, 3, v10
	v_and_b32_e32 v2, 28, v2
	v_or_b32_e32 v9, 0x100, v0
	v_add_u32_e32 v12, v1, v2
	;; [unrolled: 4-line block ×6, first 2 shown]
	v_lshrrev_b32_e32 v2, 3, v5
	s_lshl_b64 s[0:1], s[20:21], 2
	v_and_b32_e32 v2, 0x6c, v2
	v_or_b32_e32 v4, 0x380, v0
	s_add_u32 s0, s14, s0
	v_add_u32_e32 v17, v1, v2
	v_lshrrev_b32_e32 v2, 3, v4
	s_addc_u32 s1, s15, s1
	v_and_b32_e32 v2, 0x7c, v2
	v_add_u32_e32 v18, v1, v2
	v_mov_b32_e32 v3, s1
	v_add_co_u32_e32 v2, vcc, s0, v1
	v_addc_co_u32_e32 v3, vcc, 0, v3, vcc
	s_and_b64 vcc, exec, s[18:19]
	s_waitcnt lgkmcnt(0)
	s_cbranch_vccz .LBB3174_33
; %bb.32:
	s_barrier
	ds_read_b32 v19, v11
	ds_read_b32 v20, v12 offset:512
	ds_read_b32 v21, v13 offset:1024
	;; [unrolled: 1-line block ×7, first 2 shown]
	s_waitcnt lgkmcnt(7)
	global_store_dword v[2:3], v19, off
	s_waitcnt lgkmcnt(6)
	global_store_dword v[2:3], v20, off offset:512
	s_waitcnt lgkmcnt(5)
	global_store_dword v[2:3], v21, off offset:1024
	;; [unrolled: 2-line block ×6, first 2 shown]
	s_mov_b64 s[0:1], -1
	s_cbranch_execz .LBB3174_34
	s_branch .LBB3174_43
.LBB3174_33:
	s_mov_b64 s[0:1], 0
                                        ; implicit-def: $vgpr1
.LBB3174_34:
	s_barrier
	s_waitcnt lgkmcnt(0)
	ds_read_b32 v21, v12 offset:512
	ds_read_b32 v20, v13 offset:1024
	;; [unrolled: 1-line block ×7, first 2 shown]
	s_sub_i32 s2, s16, s20
	v_cmp_gt_u32_e32 vcc, s2, v0
	s_and_saveexec_b64 s[0:1], vcc
	s_cbranch_execnz .LBB3174_48
; %bb.35:
	s_or_b64 exec, exec, s[0:1]
	v_cmp_gt_u32_e32 vcc, s2, v10
	s_and_saveexec_b64 s[0:1], vcc
	s_cbranch_execnz .LBB3174_49
.LBB3174_36:
	s_or_b64 exec, exec, s[0:1]
	v_cmp_gt_u32_e32 vcc, s2, v9
	s_and_saveexec_b64 s[0:1], vcc
	s_cbranch_execnz .LBB3174_50
.LBB3174_37:
	s_or_b64 exec, exec, s[0:1]
	v_cmp_gt_u32_e32 vcc, s2, v8
	s_and_saveexec_b64 s[0:1], vcc
	s_cbranch_execnz .LBB3174_51
.LBB3174_38:
	s_or_b64 exec, exec, s[0:1]
	v_cmp_gt_u32_e32 vcc, s2, v7
	s_and_saveexec_b64 s[0:1], vcc
	s_cbranch_execnz .LBB3174_52
.LBB3174_39:
	s_or_b64 exec, exec, s[0:1]
	v_cmp_gt_u32_e32 vcc, s2, v6
	s_and_saveexec_b64 s[0:1], vcc
	s_cbranch_execnz .LBB3174_53
.LBB3174_40:
	s_or_b64 exec, exec, s[0:1]
	v_cmp_gt_u32_e32 vcc, s2, v5
	s_and_saveexec_b64 s[0:1], vcc
	s_cbranch_execz .LBB3174_42
.LBB3174_41:
	s_waitcnt lgkmcnt(1)
	global_store_dword v[2:3], v12, off offset:3072
.LBB3174_42:
	s_or_b64 exec, exec, s[0:1]
	v_cmp_gt_u32_e64 s[0:1], s2, v4
.LBB3174_43:
	s_and_saveexec_b64 s[2:3], s[0:1]
	s_cbranch_execz .LBB3174_45
; %bb.44:
	s_waitcnt lgkmcnt(0)
	global_store_dword v[2:3], v1, off offset:3584
.LBB3174_45:
	s_endpgm
.LBB3174_46:
	s_waitcnt vmcnt(7)
	v_mov_b32_e32 v2, s25
	s_waitcnt vmcnt(5)
	v_add_co_u32_e32 v4, vcc, s23, v1
	v_mov_b32_e32 v3, 0
	s_waitcnt vmcnt(4)
	v_addc_co_u32_e32 v5, vcc, 0, v2, vcc
	v_subrev_u32_e32 v2, s17, v0
	v_lshlrev_b64 v[2:3], 2, v[2:3]
	s_waitcnt vmcnt(3)
	v_mov_b32_e32 v6, s7
	v_add_co_u32_e32 v2, vcc, s5, v2
	v_addc_co_u32_e32 v3, vcc, v6, v3, vcc
	v_cmp_gt_u32_e32 vcc, s17, v0
	v_cndmask_b32_e32 v3, v3, v5, vcc
	v_cndmask_b32_e32 v2, v2, v4, vcc
	global_load_dword v2, v[2:3], off
	s_or_b64 exec, exec, s[0:1]
	v_cmp_gt_u32_e32 vcc, s24, v12
	s_and_saveexec_b64 s[2:3], vcc
	s_cbranch_execz .LBB3174_8
.LBB3174_47:
	v_mov_b32_e32 v13, 0
	v_lshlrev_b64 v[14:15], 2, v[12:13]
	s_waitcnt vmcnt(6)
	v_mov_b32_e32 v3, s25
	v_add_co_u32_e32 v11, vcc, s23, v14
	v_addc_co_u32_e32 v3, vcc, v3, v15, vcc
	v_cmp_gt_u32_e32 vcc, s17, v12
	v_subrev_u32_e32 v12, s17, v12
	v_lshlrev_b64 v[12:13], 2, v[12:13]
	v_mov_b32_e32 v14, s7
	v_add_co_u32_e64 v12, s[0:1], s5, v12
	v_addc_co_u32_e64 v13, s[0:1], v14, v13, s[0:1]
	v_cndmask_b32_e32 v13, v13, v3, vcc
	v_cndmask_b32_e32 v12, v12, v11, vcc
	global_load_dword v3, v[12:13], off
	s_or_b64 exec, exec, s[2:3]
	v_cmp_gt_u32_e32 vcc, s24, v10
	s_and_saveexec_b64 s[0:1], vcc
	s_cbranch_execnz .LBB3174_9
	s_branch .LBB3174_10
.LBB3174_48:
	ds_read_b32 v0, v11
	s_waitcnt lgkmcnt(0)
	global_store_dword v[2:3], v0, off
	s_or_b64 exec, exec, s[0:1]
	v_cmp_gt_u32_e32 vcc, s2, v10
	s_and_saveexec_b64 s[0:1], vcc
	s_cbranch_execz .LBB3174_36
.LBB3174_49:
	s_waitcnt lgkmcnt(6)
	global_store_dword v[2:3], v21, off offset:512
	s_or_b64 exec, exec, s[0:1]
	v_cmp_gt_u32_e32 vcc, s2, v9
	s_and_saveexec_b64 s[0:1], vcc
	s_cbranch_execz .LBB3174_37
.LBB3174_50:
	s_waitcnt lgkmcnt(5)
	global_store_dword v[2:3], v20, off offset:1024
	s_or_b64 exec, exec, s[0:1]
	v_cmp_gt_u32_e32 vcc, s2, v8
	s_and_saveexec_b64 s[0:1], vcc
	s_cbranch_execz .LBB3174_38
.LBB3174_51:
	s_waitcnt lgkmcnt(4)
	global_store_dword v[2:3], v19, off offset:1536
	s_or_b64 exec, exec, s[0:1]
	v_cmp_gt_u32_e32 vcc, s2, v7
	s_and_saveexec_b64 s[0:1], vcc
	s_cbranch_execz .LBB3174_39
.LBB3174_52:
	s_waitcnt lgkmcnt(3)
	global_store_dword v[2:3], v14, off offset:2048
	s_or_b64 exec, exec, s[0:1]
	v_cmp_gt_u32_e32 vcc, s2, v6
	s_and_saveexec_b64 s[0:1], vcc
	s_cbranch_execz .LBB3174_40
.LBB3174_53:
	s_waitcnt lgkmcnt(2)
	global_store_dword v[2:3], v13, off offset:2560
	s_or_b64 exec, exec, s[0:1]
	v_cmp_gt_u32_e32 vcc, s2, v5
	s_and_saveexec_b64 s[0:1], vcc
	s_cbranch_execnz .LBB3174_41
	s_branch .LBB3174_42
	.section	.rodata,"a",@progbits
	.p2align	6, 0x0
	.amdhsa_kernel _ZN7rocprim17ROCPRIM_400000_NS6detail17trampoline_kernelINS0_14default_configENS1_38merge_sort_block_merge_config_selectorIjNS0_10empty_typeEEEZZNS1_27merge_sort_block_merge_implIS3_N6thrust23THRUST_200600_302600_NS6detail15normal_iteratorINS9_10device_ptrIjEEEEPS5_m14custom_greaterIjEEE10hipError_tT0_T1_T2_jT3_P12ihipStream_tbPNSt15iterator_traitsISJ_E10value_typeEPNSP_ISK_E10value_typeEPSL_NS1_7vsmem_tEENKUlT_SJ_SK_SL_E_clIPjSE_SF_SF_EESI_SY_SJ_SK_SL_EUlSY_E0_NS1_11comp_targetILNS1_3genE4ELNS1_11target_archE910ELNS1_3gpuE8ELNS1_3repE0EEENS1_38merge_mergepath_config_static_selectorELNS0_4arch9wavefront6targetE1EEEvSK_
		.amdhsa_group_segment_fixed_size 4224
		.amdhsa_private_segment_fixed_size 0
		.amdhsa_kernarg_size 328
		.amdhsa_user_sgpr_count 6
		.amdhsa_user_sgpr_private_segment_buffer 1
		.amdhsa_user_sgpr_dispatch_ptr 0
		.amdhsa_user_sgpr_queue_ptr 0
		.amdhsa_user_sgpr_kernarg_segment_ptr 1
		.amdhsa_user_sgpr_dispatch_id 0
		.amdhsa_user_sgpr_flat_scratch_init 0
		.amdhsa_user_sgpr_kernarg_preload_length 0
		.amdhsa_user_sgpr_kernarg_preload_offset 0
		.amdhsa_user_sgpr_private_segment_size 0
		.amdhsa_uses_dynamic_stack 0
		.amdhsa_system_sgpr_private_segment_wavefront_offset 0
		.amdhsa_system_sgpr_workgroup_id_x 1
		.amdhsa_system_sgpr_workgroup_id_y 1
		.amdhsa_system_sgpr_workgroup_id_z 1
		.amdhsa_system_sgpr_workgroup_info 0
		.amdhsa_system_vgpr_workitem_id 0
		.amdhsa_next_free_vgpr 26
		.amdhsa_next_free_sgpr 31
		.amdhsa_accum_offset 28
		.amdhsa_reserve_vcc 1
		.amdhsa_reserve_flat_scratch 0
		.amdhsa_float_round_mode_32 0
		.amdhsa_float_round_mode_16_64 0
		.amdhsa_float_denorm_mode_32 3
		.amdhsa_float_denorm_mode_16_64 3
		.amdhsa_dx10_clamp 1
		.amdhsa_ieee_mode 1
		.amdhsa_fp16_overflow 0
		.amdhsa_tg_split 0
		.amdhsa_exception_fp_ieee_invalid_op 0
		.amdhsa_exception_fp_denorm_src 0
		.amdhsa_exception_fp_ieee_div_zero 0
		.amdhsa_exception_fp_ieee_overflow 0
		.amdhsa_exception_fp_ieee_underflow 0
		.amdhsa_exception_fp_ieee_inexact 0
		.amdhsa_exception_int_div_zero 0
	.end_amdhsa_kernel
	.section	.text._ZN7rocprim17ROCPRIM_400000_NS6detail17trampoline_kernelINS0_14default_configENS1_38merge_sort_block_merge_config_selectorIjNS0_10empty_typeEEEZZNS1_27merge_sort_block_merge_implIS3_N6thrust23THRUST_200600_302600_NS6detail15normal_iteratorINS9_10device_ptrIjEEEEPS5_m14custom_greaterIjEEE10hipError_tT0_T1_T2_jT3_P12ihipStream_tbPNSt15iterator_traitsISJ_E10value_typeEPNSP_ISK_E10value_typeEPSL_NS1_7vsmem_tEENKUlT_SJ_SK_SL_E_clIPjSE_SF_SF_EESI_SY_SJ_SK_SL_EUlSY_E0_NS1_11comp_targetILNS1_3genE4ELNS1_11target_archE910ELNS1_3gpuE8ELNS1_3repE0EEENS1_38merge_mergepath_config_static_selectorELNS0_4arch9wavefront6targetE1EEEvSK_,"axG",@progbits,_ZN7rocprim17ROCPRIM_400000_NS6detail17trampoline_kernelINS0_14default_configENS1_38merge_sort_block_merge_config_selectorIjNS0_10empty_typeEEEZZNS1_27merge_sort_block_merge_implIS3_N6thrust23THRUST_200600_302600_NS6detail15normal_iteratorINS9_10device_ptrIjEEEEPS5_m14custom_greaterIjEEE10hipError_tT0_T1_T2_jT3_P12ihipStream_tbPNSt15iterator_traitsISJ_E10value_typeEPNSP_ISK_E10value_typeEPSL_NS1_7vsmem_tEENKUlT_SJ_SK_SL_E_clIPjSE_SF_SF_EESI_SY_SJ_SK_SL_EUlSY_E0_NS1_11comp_targetILNS1_3genE4ELNS1_11target_archE910ELNS1_3gpuE8ELNS1_3repE0EEENS1_38merge_mergepath_config_static_selectorELNS0_4arch9wavefront6targetE1EEEvSK_,comdat
.Lfunc_end3174:
	.size	_ZN7rocprim17ROCPRIM_400000_NS6detail17trampoline_kernelINS0_14default_configENS1_38merge_sort_block_merge_config_selectorIjNS0_10empty_typeEEEZZNS1_27merge_sort_block_merge_implIS3_N6thrust23THRUST_200600_302600_NS6detail15normal_iteratorINS9_10device_ptrIjEEEEPS5_m14custom_greaterIjEEE10hipError_tT0_T1_T2_jT3_P12ihipStream_tbPNSt15iterator_traitsISJ_E10value_typeEPNSP_ISK_E10value_typeEPSL_NS1_7vsmem_tEENKUlT_SJ_SK_SL_E_clIPjSE_SF_SF_EESI_SY_SJ_SK_SL_EUlSY_E0_NS1_11comp_targetILNS1_3genE4ELNS1_11target_archE910ELNS1_3gpuE8ELNS1_3repE0EEENS1_38merge_mergepath_config_static_selectorELNS0_4arch9wavefront6targetE1EEEvSK_, .Lfunc_end3174-_ZN7rocprim17ROCPRIM_400000_NS6detail17trampoline_kernelINS0_14default_configENS1_38merge_sort_block_merge_config_selectorIjNS0_10empty_typeEEEZZNS1_27merge_sort_block_merge_implIS3_N6thrust23THRUST_200600_302600_NS6detail15normal_iteratorINS9_10device_ptrIjEEEEPS5_m14custom_greaterIjEEE10hipError_tT0_T1_T2_jT3_P12ihipStream_tbPNSt15iterator_traitsISJ_E10value_typeEPNSP_ISK_E10value_typeEPSL_NS1_7vsmem_tEENKUlT_SJ_SK_SL_E_clIPjSE_SF_SF_EESI_SY_SJ_SK_SL_EUlSY_E0_NS1_11comp_targetILNS1_3genE4ELNS1_11target_archE910ELNS1_3gpuE8ELNS1_3repE0EEENS1_38merge_mergepath_config_static_selectorELNS0_4arch9wavefront6targetE1EEEvSK_
                                        ; -- End function
	.section	.AMDGPU.csdata,"",@progbits
; Kernel info:
; codeLenInByte = 3720
; NumSgprs: 35
; NumVgprs: 26
; NumAgprs: 0
; TotalNumVgprs: 26
; ScratchSize: 0
; MemoryBound: 0
; FloatMode: 240
; IeeeMode: 1
; LDSByteSize: 4224 bytes/workgroup (compile time only)
; SGPRBlocks: 4
; VGPRBlocks: 3
; NumSGPRsForWavesPerEU: 35
; NumVGPRsForWavesPerEU: 26
; AccumOffset: 28
; Occupancy: 8
; WaveLimiterHint : 1
; COMPUTE_PGM_RSRC2:SCRATCH_EN: 0
; COMPUTE_PGM_RSRC2:USER_SGPR: 6
; COMPUTE_PGM_RSRC2:TRAP_HANDLER: 0
; COMPUTE_PGM_RSRC2:TGID_X_EN: 1
; COMPUTE_PGM_RSRC2:TGID_Y_EN: 1
; COMPUTE_PGM_RSRC2:TGID_Z_EN: 1
; COMPUTE_PGM_RSRC2:TIDIG_COMP_CNT: 0
; COMPUTE_PGM_RSRC3_GFX90A:ACCUM_OFFSET: 6
; COMPUTE_PGM_RSRC3_GFX90A:TG_SPLIT: 0
	.section	.text._ZN7rocprim17ROCPRIM_400000_NS6detail17trampoline_kernelINS0_14default_configENS1_38merge_sort_block_merge_config_selectorIjNS0_10empty_typeEEEZZNS1_27merge_sort_block_merge_implIS3_N6thrust23THRUST_200600_302600_NS6detail15normal_iteratorINS9_10device_ptrIjEEEEPS5_m14custom_greaterIjEEE10hipError_tT0_T1_T2_jT3_P12ihipStream_tbPNSt15iterator_traitsISJ_E10value_typeEPNSP_ISK_E10value_typeEPSL_NS1_7vsmem_tEENKUlT_SJ_SK_SL_E_clIPjSE_SF_SF_EESI_SY_SJ_SK_SL_EUlSY_E0_NS1_11comp_targetILNS1_3genE3ELNS1_11target_archE908ELNS1_3gpuE7ELNS1_3repE0EEENS1_38merge_mergepath_config_static_selectorELNS0_4arch9wavefront6targetE1EEEvSK_,"axG",@progbits,_ZN7rocprim17ROCPRIM_400000_NS6detail17trampoline_kernelINS0_14default_configENS1_38merge_sort_block_merge_config_selectorIjNS0_10empty_typeEEEZZNS1_27merge_sort_block_merge_implIS3_N6thrust23THRUST_200600_302600_NS6detail15normal_iteratorINS9_10device_ptrIjEEEEPS5_m14custom_greaterIjEEE10hipError_tT0_T1_T2_jT3_P12ihipStream_tbPNSt15iterator_traitsISJ_E10value_typeEPNSP_ISK_E10value_typeEPSL_NS1_7vsmem_tEENKUlT_SJ_SK_SL_E_clIPjSE_SF_SF_EESI_SY_SJ_SK_SL_EUlSY_E0_NS1_11comp_targetILNS1_3genE3ELNS1_11target_archE908ELNS1_3gpuE7ELNS1_3repE0EEENS1_38merge_mergepath_config_static_selectorELNS0_4arch9wavefront6targetE1EEEvSK_,comdat
	.protected	_ZN7rocprim17ROCPRIM_400000_NS6detail17trampoline_kernelINS0_14default_configENS1_38merge_sort_block_merge_config_selectorIjNS0_10empty_typeEEEZZNS1_27merge_sort_block_merge_implIS3_N6thrust23THRUST_200600_302600_NS6detail15normal_iteratorINS9_10device_ptrIjEEEEPS5_m14custom_greaterIjEEE10hipError_tT0_T1_T2_jT3_P12ihipStream_tbPNSt15iterator_traitsISJ_E10value_typeEPNSP_ISK_E10value_typeEPSL_NS1_7vsmem_tEENKUlT_SJ_SK_SL_E_clIPjSE_SF_SF_EESI_SY_SJ_SK_SL_EUlSY_E0_NS1_11comp_targetILNS1_3genE3ELNS1_11target_archE908ELNS1_3gpuE7ELNS1_3repE0EEENS1_38merge_mergepath_config_static_selectorELNS0_4arch9wavefront6targetE1EEEvSK_ ; -- Begin function _ZN7rocprim17ROCPRIM_400000_NS6detail17trampoline_kernelINS0_14default_configENS1_38merge_sort_block_merge_config_selectorIjNS0_10empty_typeEEEZZNS1_27merge_sort_block_merge_implIS3_N6thrust23THRUST_200600_302600_NS6detail15normal_iteratorINS9_10device_ptrIjEEEEPS5_m14custom_greaterIjEEE10hipError_tT0_T1_T2_jT3_P12ihipStream_tbPNSt15iterator_traitsISJ_E10value_typeEPNSP_ISK_E10value_typeEPSL_NS1_7vsmem_tEENKUlT_SJ_SK_SL_E_clIPjSE_SF_SF_EESI_SY_SJ_SK_SL_EUlSY_E0_NS1_11comp_targetILNS1_3genE3ELNS1_11target_archE908ELNS1_3gpuE7ELNS1_3repE0EEENS1_38merge_mergepath_config_static_selectorELNS0_4arch9wavefront6targetE1EEEvSK_
	.globl	_ZN7rocprim17ROCPRIM_400000_NS6detail17trampoline_kernelINS0_14default_configENS1_38merge_sort_block_merge_config_selectorIjNS0_10empty_typeEEEZZNS1_27merge_sort_block_merge_implIS3_N6thrust23THRUST_200600_302600_NS6detail15normal_iteratorINS9_10device_ptrIjEEEEPS5_m14custom_greaterIjEEE10hipError_tT0_T1_T2_jT3_P12ihipStream_tbPNSt15iterator_traitsISJ_E10value_typeEPNSP_ISK_E10value_typeEPSL_NS1_7vsmem_tEENKUlT_SJ_SK_SL_E_clIPjSE_SF_SF_EESI_SY_SJ_SK_SL_EUlSY_E0_NS1_11comp_targetILNS1_3genE3ELNS1_11target_archE908ELNS1_3gpuE7ELNS1_3repE0EEENS1_38merge_mergepath_config_static_selectorELNS0_4arch9wavefront6targetE1EEEvSK_
	.p2align	8
	.type	_ZN7rocprim17ROCPRIM_400000_NS6detail17trampoline_kernelINS0_14default_configENS1_38merge_sort_block_merge_config_selectorIjNS0_10empty_typeEEEZZNS1_27merge_sort_block_merge_implIS3_N6thrust23THRUST_200600_302600_NS6detail15normal_iteratorINS9_10device_ptrIjEEEEPS5_m14custom_greaterIjEEE10hipError_tT0_T1_T2_jT3_P12ihipStream_tbPNSt15iterator_traitsISJ_E10value_typeEPNSP_ISK_E10value_typeEPSL_NS1_7vsmem_tEENKUlT_SJ_SK_SL_E_clIPjSE_SF_SF_EESI_SY_SJ_SK_SL_EUlSY_E0_NS1_11comp_targetILNS1_3genE3ELNS1_11target_archE908ELNS1_3gpuE7ELNS1_3repE0EEENS1_38merge_mergepath_config_static_selectorELNS0_4arch9wavefront6targetE1EEEvSK_,@function
_ZN7rocprim17ROCPRIM_400000_NS6detail17trampoline_kernelINS0_14default_configENS1_38merge_sort_block_merge_config_selectorIjNS0_10empty_typeEEEZZNS1_27merge_sort_block_merge_implIS3_N6thrust23THRUST_200600_302600_NS6detail15normal_iteratorINS9_10device_ptrIjEEEEPS5_m14custom_greaterIjEEE10hipError_tT0_T1_T2_jT3_P12ihipStream_tbPNSt15iterator_traitsISJ_E10value_typeEPNSP_ISK_E10value_typeEPSL_NS1_7vsmem_tEENKUlT_SJ_SK_SL_E_clIPjSE_SF_SF_EESI_SY_SJ_SK_SL_EUlSY_E0_NS1_11comp_targetILNS1_3genE3ELNS1_11target_archE908ELNS1_3gpuE7ELNS1_3repE0EEENS1_38merge_mergepath_config_static_selectorELNS0_4arch9wavefront6targetE1EEEvSK_: ; @_ZN7rocprim17ROCPRIM_400000_NS6detail17trampoline_kernelINS0_14default_configENS1_38merge_sort_block_merge_config_selectorIjNS0_10empty_typeEEEZZNS1_27merge_sort_block_merge_implIS3_N6thrust23THRUST_200600_302600_NS6detail15normal_iteratorINS9_10device_ptrIjEEEEPS5_m14custom_greaterIjEEE10hipError_tT0_T1_T2_jT3_P12ihipStream_tbPNSt15iterator_traitsISJ_E10value_typeEPNSP_ISK_E10value_typeEPSL_NS1_7vsmem_tEENKUlT_SJ_SK_SL_E_clIPjSE_SF_SF_EESI_SY_SJ_SK_SL_EUlSY_E0_NS1_11comp_targetILNS1_3genE3ELNS1_11target_archE908ELNS1_3gpuE7ELNS1_3repE0EEENS1_38merge_mergepath_config_static_selectorELNS0_4arch9wavefront6targetE1EEEvSK_
; %bb.0:
	.section	.rodata,"a",@progbits
	.p2align	6, 0x0
	.amdhsa_kernel _ZN7rocprim17ROCPRIM_400000_NS6detail17trampoline_kernelINS0_14default_configENS1_38merge_sort_block_merge_config_selectorIjNS0_10empty_typeEEEZZNS1_27merge_sort_block_merge_implIS3_N6thrust23THRUST_200600_302600_NS6detail15normal_iteratorINS9_10device_ptrIjEEEEPS5_m14custom_greaterIjEEE10hipError_tT0_T1_T2_jT3_P12ihipStream_tbPNSt15iterator_traitsISJ_E10value_typeEPNSP_ISK_E10value_typeEPSL_NS1_7vsmem_tEENKUlT_SJ_SK_SL_E_clIPjSE_SF_SF_EESI_SY_SJ_SK_SL_EUlSY_E0_NS1_11comp_targetILNS1_3genE3ELNS1_11target_archE908ELNS1_3gpuE7ELNS1_3repE0EEENS1_38merge_mergepath_config_static_selectorELNS0_4arch9wavefront6targetE1EEEvSK_
		.amdhsa_group_segment_fixed_size 0
		.amdhsa_private_segment_fixed_size 0
		.amdhsa_kernarg_size 72
		.amdhsa_user_sgpr_count 6
		.amdhsa_user_sgpr_private_segment_buffer 1
		.amdhsa_user_sgpr_dispatch_ptr 0
		.amdhsa_user_sgpr_queue_ptr 0
		.amdhsa_user_sgpr_kernarg_segment_ptr 1
		.amdhsa_user_sgpr_dispatch_id 0
		.amdhsa_user_sgpr_flat_scratch_init 0
		.amdhsa_user_sgpr_kernarg_preload_length 0
		.amdhsa_user_sgpr_kernarg_preload_offset 0
		.amdhsa_user_sgpr_private_segment_size 0
		.amdhsa_uses_dynamic_stack 0
		.amdhsa_system_sgpr_private_segment_wavefront_offset 0
		.amdhsa_system_sgpr_workgroup_id_x 1
		.amdhsa_system_sgpr_workgroup_id_y 0
		.amdhsa_system_sgpr_workgroup_id_z 0
		.amdhsa_system_sgpr_workgroup_info 0
		.amdhsa_system_vgpr_workitem_id 0
		.amdhsa_next_free_vgpr 1
		.amdhsa_next_free_sgpr 0
		.amdhsa_accum_offset 4
		.amdhsa_reserve_vcc 0
		.amdhsa_reserve_flat_scratch 0
		.amdhsa_float_round_mode_32 0
		.amdhsa_float_round_mode_16_64 0
		.amdhsa_float_denorm_mode_32 3
		.amdhsa_float_denorm_mode_16_64 3
		.amdhsa_dx10_clamp 1
		.amdhsa_ieee_mode 1
		.amdhsa_fp16_overflow 0
		.amdhsa_tg_split 0
		.amdhsa_exception_fp_ieee_invalid_op 0
		.amdhsa_exception_fp_denorm_src 0
		.amdhsa_exception_fp_ieee_div_zero 0
		.amdhsa_exception_fp_ieee_overflow 0
		.amdhsa_exception_fp_ieee_underflow 0
		.amdhsa_exception_fp_ieee_inexact 0
		.amdhsa_exception_int_div_zero 0
	.end_amdhsa_kernel
	.section	.text._ZN7rocprim17ROCPRIM_400000_NS6detail17trampoline_kernelINS0_14default_configENS1_38merge_sort_block_merge_config_selectorIjNS0_10empty_typeEEEZZNS1_27merge_sort_block_merge_implIS3_N6thrust23THRUST_200600_302600_NS6detail15normal_iteratorINS9_10device_ptrIjEEEEPS5_m14custom_greaterIjEEE10hipError_tT0_T1_T2_jT3_P12ihipStream_tbPNSt15iterator_traitsISJ_E10value_typeEPNSP_ISK_E10value_typeEPSL_NS1_7vsmem_tEENKUlT_SJ_SK_SL_E_clIPjSE_SF_SF_EESI_SY_SJ_SK_SL_EUlSY_E0_NS1_11comp_targetILNS1_3genE3ELNS1_11target_archE908ELNS1_3gpuE7ELNS1_3repE0EEENS1_38merge_mergepath_config_static_selectorELNS0_4arch9wavefront6targetE1EEEvSK_,"axG",@progbits,_ZN7rocprim17ROCPRIM_400000_NS6detail17trampoline_kernelINS0_14default_configENS1_38merge_sort_block_merge_config_selectorIjNS0_10empty_typeEEEZZNS1_27merge_sort_block_merge_implIS3_N6thrust23THRUST_200600_302600_NS6detail15normal_iteratorINS9_10device_ptrIjEEEEPS5_m14custom_greaterIjEEE10hipError_tT0_T1_T2_jT3_P12ihipStream_tbPNSt15iterator_traitsISJ_E10value_typeEPNSP_ISK_E10value_typeEPSL_NS1_7vsmem_tEENKUlT_SJ_SK_SL_E_clIPjSE_SF_SF_EESI_SY_SJ_SK_SL_EUlSY_E0_NS1_11comp_targetILNS1_3genE3ELNS1_11target_archE908ELNS1_3gpuE7ELNS1_3repE0EEENS1_38merge_mergepath_config_static_selectorELNS0_4arch9wavefront6targetE1EEEvSK_,comdat
.Lfunc_end3175:
	.size	_ZN7rocprim17ROCPRIM_400000_NS6detail17trampoline_kernelINS0_14default_configENS1_38merge_sort_block_merge_config_selectorIjNS0_10empty_typeEEEZZNS1_27merge_sort_block_merge_implIS3_N6thrust23THRUST_200600_302600_NS6detail15normal_iteratorINS9_10device_ptrIjEEEEPS5_m14custom_greaterIjEEE10hipError_tT0_T1_T2_jT3_P12ihipStream_tbPNSt15iterator_traitsISJ_E10value_typeEPNSP_ISK_E10value_typeEPSL_NS1_7vsmem_tEENKUlT_SJ_SK_SL_E_clIPjSE_SF_SF_EESI_SY_SJ_SK_SL_EUlSY_E0_NS1_11comp_targetILNS1_3genE3ELNS1_11target_archE908ELNS1_3gpuE7ELNS1_3repE0EEENS1_38merge_mergepath_config_static_selectorELNS0_4arch9wavefront6targetE1EEEvSK_, .Lfunc_end3175-_ZN7rocprim17ROCPRIM_400000_NS6detail17trampoline_kernelINS0_14default_configENS1_38merge_sort_block_merge_config_selectorIjNS0_10empty_typeEEEZZNS1_27merge_sort_block_merge_implIS3_N6thrust23THRUST_200600_302600_NS6detail15normal_iteratorINS9_10device_ptrIjEEEEPS5_m14custom_greaterIjEEE10hipError_tT0_T1_T2_jT3_P12ihipStream_tbPNSt15iterator_traitsISJ_E10value_typeEPNSP_ISK_E10value_typeEPSL_NS1_7vsmem_tEENKUlT_SJ_SK_SL_E_clIPjSE_SF_SF_EESI_SY_SJ_SK_SL_EUlSY_E0_NS1_11comp_targetILNS1_3genE3ELNS1_11target_archE908ELNS1_3gpuE7ELNS1_3repE0EEENS1_38merge_mergepath_config_static_selectorELNS0_4arch9wavefront6targetE1EEEvSK_
                                        ; -- End function
	.section	.AMDGPU.csdata,"",@progbits
; Kernel info:
; codeLenInByte = 0
; NumSgprs: 4
; NumVgprs: 0
; NumAgprs: 0
; TotalNumVgprs: 0
; ScratchSize: 0
; MemoryBound: 0
; FloatMode: 240
; IeeeMode: 1
; LDSByteSize: 0 bytes/workgroup (compile time only)
; SGPRBlocks: 0
; VGPRBlocks: 0
; NumSGPRsForWavesPerEU: 4
; NumVGPRsForWavesPerEU: 1
; AccumOffset: 4
; Occupancy: 8
; WaveLimiterHint : 0
; COMPUTE_PGM_RSRC2:SCRATCH_EN: 0
; COMPUTE_PGM_RSRC2:USER_SGPR: 6
; COMPUTE_PGM_RSRC2:TRAP_HANDLER: 0
; COMPUTE_PGM_RSRC2:TGID_X_EN: 1
; COMPUTE_PGM_RSRC2:TGID_Y_EN: 0
; COMPUTE_PGM_RSRC2:TGID_Z_EN: 0
; COMPUTE_PGM_RSRC2:TIDIG_COMP_CNT: 0
; COMPUTE_PGM_RSRC3_GFX90A:ACCUM_OFFSET: 0
; COMPUTE_PGM_RSRC3_GFX90A:TG_SPLIT: 0
	.section	.text._ZN7rocprim17ROCPRIM_400000_NS6detail17trampoline_kernelINS0_14default_configENS1_38merge_sort_block_merge_config_selectorIjNS0_10empty_typeEEEZZNS1_27merge_sort_block_merge_implIS3_N6thrust23THRUST_200600_302600_NS6detail15normal_iteratorINS9_10device_ptrIjEEEEPS5_m14custom_greaterIjEEE10hipError_tT0_T1_T2_jT3_P12ihipStream_tbPNSt15iterator_traitsISJ_E10value_typeEPNSP_ISK_E10value_typeEPSL_NS1_7vsmem_tEENKUlT_SJ_SK_SL_E_clIPjSE_SF_SF_EESI_SY_SJ_SK_SL_EUlSY_E0_NS1_11comp_targetILNS1_3genE2ELNS1_11target_archE906ELNS1_3gpuE6ELNS1_3repE0EEENS1_38merge_mergepath_config_static_selectorELNS0_4arch9wavefront6targetE1EEEvSK_,"axG",@progbits,_ZN7rocprim17ROCPRIM_400000_NS6detail17trampoline_kernelINS0_14default_configENS1_38merge_sort_block_merge_config_selectorIjNS0_10empty_typeEEEZZNS1_27merge_sort_block_merge_implIS3_N6thrust23THRUST_200600_302600_NS6detail15normal_iteratorINS9_10device_ptrIjEEEEPS5_m14custom_greaterIjEEE10hipError_tT0_T1_T2_jT3_P12ihipStream_tbPNSt15iterator_traitsISJ_E10value_typeEPNSP_ISK_E10value_typeEPSL_NS1_7vsmem_tEENKUlT_SJ_SK_SL_E_clIPjSE_SF_SF_EESI_SY_SJ_SK_SL_EUlSY_E0_NS1_11comp_targetILNS1_3genE2ELNS1_11target_archE906ELNS1_3gpuE6ELNS1_3repE0EEENS1_38merge_mergepath_config_static_selectorELNS0_4arch9wavefront6targetE1EEEvSK_,comdat
	.protected	_ZN7rocprim17ROCPRIM_400000_NS6detail17trampoline_kernelINS0_14default_configENS1_38merge_sort_block_merge_config_selectorIjNS0_10empty_typeEEEZZNS1_27merge_sort_block_merge_implIS3_N6thrust23THRUST_200600_302600_NS6detail15normal_iteratorINS9_10device_ptrIjEEEEPS5_m14custom_greaterIjEEE10hipError_tT0_T1_T2_jT3_P12ihipStream_tbPNSt15iterator_traitsISJ_E10value_typeEPNSP_ISK_E10value_typeEPSL_NS1_7vsmem_tEENKUlT_SJ_SK_SL_E_clIPjSE_SF_SF_EESI_SY_SJ_SK_SL_EUlSY_E0_NS1_11comp_targetILNS1_3genE2ELNS1_11target_archE906ELNS1_3gpuE6ELNS1_3repE0EEENS1_38merge_mergepath_config_static_selectorELNS0_4arch9wavefront6targetE1EEEvSK_ ; -- Begin function _ZN7rocprim17ROCPRIM_400000_NS6detail17trampoline_kernelINS0_14default_configENS1_38merge_sort_block_merge_config_selectorIjNS0_10empty_typeEEEZZNS1_27merge_sort_block_merge_implIS3_N6thrust23THRUST_200600_302600_NS6detail15normal_iteratorINS9_10device_ptrIjEEEEPS5_m14custom_greaterIjEEE10hipError_tT0_T1_T2_jT3_P12ihipStream_tbPNSt15iterator_traitsISJ_E10value_typeEPNSP_ISK_E10value_typeEPSL_NS1_7vsmem_tEENKUlT_SJ_SK_SL_E_clIPjSE_SF_SF_EESI_SY_SJ_SK_SL_EUlSY_E0_NS1_11comp_targetILNS1_3genE2ELNS1_11target_archE906ELNS1_3gpuE6ELNS1_3repE0EEENS1_38merge_mergepath_config_static_selectorELNS0_4arch9wavefront6targetE1EEEvSK_
	.globl	_ZN7rocprim17ROCPRIM_400000_NS6detail17trampoline_kernelINS0_14default_configENS1_38merge_sort_block_merge_config_selectorIjNS0_10empty_typeEEEZZNS1_27merge_sort_block_merge_implIS3_N6thrust23THRUST_200600_302600_NS6detail15normal_iteratorINS9_10device_ptrIjEEEEPS5_m14custom_greaterIjEEE10hipError_tT0_T1_T2_jT3_P12ihipStream_tbPNSt15iterator_traitsISJ_E10value_typeEPNSP_ISK_E10value_typeEPSL_NS1_7vsmem_tEENKUlT_SJ_SK_SL_E_clIPjSE_SF_SF_EESI_SY_SJ_SK_SL_EUlSY_E0_NS1_11comp_targetILNS1_3genE2ELNS1_11target_archE906ELNS1_3gpuE6ELNS1_3repE0EEENS1_38merge_mergepath_config_static_selectorELNS0_4arch9wavefront6targetE1EEEvSK_
	.p2align	8
	.type	_ZN7rocprim17ROCPRIM_400000_NS6detail17trampoline_kernelINS0_14default_configENS1_38merge_sort_block_merge_config_selectorIjNS0_10empty_typeEEEZZNS1_27merge_sort_block_merge_implIS3_N6thrust23THRUST_200600_302600_NS6detail15normal_iteratorINS9_10device_ptrIjEEEEPS5_m14custom_greaterIjEEE10hipError_tT0_T1_T2_jT3_P12ihipStream_tbPNSt15iterator_traitsISJ_E10value_typeEPNSP_ISK_E10value_typeEPSL_NS1_7vsmem_tEENKUlT_SJ_SK_SL_E_clIPjSE_SF_SF_EESI_SY_SJ_SK_SL_EUlSY_E0_NS1_11comp_targetILNS1_3genE2ELNS1_11target_archE906ELNS1_3gpuE6ELNS1_3repE0EEENS1_38merge_mergepath_config_static_selectorELNS0_4arch9wavefront6targetE1EEEvSK_,@function
_ZN7rocprim17ROCPRIM_400000_NS6detail17trampoline_kernelINS0_14default_configENS1_38merge_sort_block_merge_config_selectorIjNS0_10empty_typeEEEZZNS1_27merge_sort_block_merge_implIS3_N6thrust23THRUST_200600_302600_NS6detail15normal_iteratorINS9_10device_ptrIjEEEEPS5_m14custom_greaterIjEEE10hipError_tT0_T1_T2_jT3_P12ihipStream_tbPNSt15iterator_traitsISJ_E10value_typeEPNSP_ISK_E10value_typeEPSL_NS1_7vsmem_tEENKUlT_SJ_SK_SL_E_clIPjSE_SF_SF_EESI_SY_SJ_SK_SL_EUlSY_E0_NS1_11comp_targetILNS1_3genE2ELNS1_11target_archE906ELNS1_3gpuE6ELNS1_3repE0EEENS1_38merge_mergepath_config_static_selectorELNS0_4arch9wavefront6targetE1EEEvSK_: ; @_ZN7rocprim17ROCPRIM_400000_NS6detail17trampoline_kernelINS0_14default_configENS1_38merge_sort_block_merge_config_selectorIjNS0_10empty_typeEEEZZNS1_27merge_sort_block_merge_implIS3_N6thrust23THRUST_200600_302600_NS6detail15normal_iteratorINS9_10device_ptrIjEEEEPS5_m14custom_greaterIjEEE10hipError_tT0_T1_T2_jT3_P12ihipStream_tbPNSt15iterator_traitsISJ_E10value_typeEPNSP_ISK_E10value_typeEPSL_NS1_7vsmem_tEENKUlT_SJ_SK_SL_E_clIPjSE_SF_SF_EESI_SY_SJ_SK_SL_EUlSY_E0_NS1_11comp_targetILNS1_3genE2ELNS1_11target_archE906ELNS1_3gpuE6ELNS1_3repE0EEENS1_38merge_mergepath_config_static_selectorELNS0_4arch9wavefront6targetE1EEEvSK_
; %bb.0:
	.section	.rodata,"a",@progbits
	.p2align	6, 0x0
	.amdhsa_kernel _ZN7rocprim17ROCPRIM_400000_NS6detail17trampoline_kernelINS0_14default_configENS1_38merge_sort_block_merge_config_selectorIjNS0_10empty_typeEEEZZNS1_27merge_sort_block_merge_implIS3_N6thrust23THRUST_200600_302600_NS6detail15normal_iteratorINS9_10device_ptrIjEEEEPS5_m14custom_greaterIjEEE10hipError_tT0_T1_T2_jT3_P12ihipStream_tbPNSt15iterator_traitsISJ_E10value_typeEPNSP_ISK_E10value_typeEPSL_NS1_7vsmem_tEENKUlT_SJ_SK_SL_E_clIPjSE_SF_SF_EESI_SY_SJ_SK_SL_EUlSY_E0_NS1_11comp_targetILNS1_3genE2ELNS1_11target_archE906ELNS1_3gpuE6ELNS1_3repE0EEENS1_38merge_mergepath_config_static_selectorELNS0_4arch9wavefront6targetE1EEEvSK_
		.amdhsa_group_segment_fixed_size 0
		.amdhsa_private_segment_fixed_size 0
		.amdhsa_kernarg_size 72
		.amdhsa_user_sgpr_count 6
		.amdhsa_user_sgpr_private_segment_buffer 1
		.amdhsa_user_sgpr_dispatch_ptr 0
		.amdhsa_user_sgpr_queue_ptr 0
		.amdhsa_user_sgpr_kernarg_segment_ptr 1
		.amdhsa_user_sgpr_dispatch_id 0
		.amdhsa_user_sgpr_flat_scratch_init 0
		.amdhsa_user_sgpr_kernarg_preload_length 0
		.amdhsa_user_sgpr_kernarg_preload_offset 0
		.amdhsa_user_sgpr_private_segment_size 0
		.amdhsa_uses_dynamic_stack 0
		.amdhsa_system_sgpr_private_segment_wavefront_offset 0
		.amdhsa_system_sgpr_workgroup_id_x 1
		.amdhsa_system_sgpr_workgroup_id_y 0
		.amdhsa_system_sgpr_workgroup_id_z 0
		.amdhsa_system_sgpr_workgroup_info 0
		.amdhsa_system_vgpr_workitem_id 0
		.amdhsa_next_free_vgpr 1
		.amdhsa_next_free_sgpr 0
		.amdhsa_accum_offset 4
		.amdhsa_reserve_vcc 0
		.amdhsa_reserve_flat_scratch 0
		.amdhsa_float_round_mode_32 0
		.amdhsa_float_round_mode_16_64 0
		.amdhsa_float_denorm_mode_32 3
		.amdhsa_float_denorm_mode_16_64 3
		.amdhsa_dx10_clamp 1
		.amdhsa_ieee_mode 1
		.amdhsa_fp16_overflow 0
		.amdhsa_tg_split 0
		.amdhsa_exception_fp_ieee_invalid_op 0
		.amdhsa_exception_fp_denorm_src 0
		.amdhsa_exception_fp_ieee_div_zero 0
		.amdhsa_exception_fp_ieee_overflow 0
		.amdhsa_exception_fp_ieee_underflow 0
		.amdhsa_exception_fp_ieee_inexact 0
		.amdhsa_exception_int_div_zero 0
	.end_amdhsa_kernel
	.section	.text._ZN7rocprim17ROCPRIM_400000_NS6detail17trampoline_kernelINS0_14default_configENS1_38merge_sort_block_merge_config_selectorIjNS0_10empty_typeEEEZZNS1_27merge_sort_block_merge_implIS3_N6thrust23THRUST_200600_302600_NS6detail15normal_iteratorINS9_10device_ptrIjEEEEPS5_m14custom_greaterIjEEE10hipError_tT0_T1_T2_jT3_P12ihipStream_tbPNSt15iterator_traitsISJ_E10value_typeEPNSP_ISK_E10value_typeEPSL_NS1_7vsmem_tEENKUlT_SJ_SK_SL_E_clIPjSE_SF_SF_EESI_SY_SJ_SK_SL_EUlSY_E0_NS1_11comp_targetILNS1_3genE2ELNS1_11target_archE906ELNS1_3gpuE6ELNS1_3repE0EEENS1_38merge_mergepath_config_static_selectorELNS0_4arch9wavefront6targetE1EEEvSK_,"axG",@progbits,_ZN7rocprim17ROCPRIM_400000_NS6detail17trampoline_kernelINS0_14default_configENS1_38merge_sort_block_merge_config_selectorIjNS0_10empty_typeEEEZZNS1_27merge_sort_block_merge_implIS3_N6thrust23THRUST_200600_302600_NS6detail15normal_iteratorINS9_10device_ptrIjEEEEPS5_m14custom_greaterIjEEE10hipError_tT0_T1_T2_jT3_P12ihipStream_tbPNSt15iterator_traitsISJ_E10value_typeEPNSP_ISK_E10value_typeEPSL_NS1_7vsmem_tEENKUlT_SJ_SK_SL_E_clIPjSE_SF_SF_EESI_SY_SJ_SK_SL_EUlSY_E0_NS1_11comp_targetILNS1_3genE2ELNS1_11target_archE906ELNS1_3gpuE6ELNS1_3repE0EEENS1_38merge_mergepath_config_static_selectorELNS0_4arch9wavefront6targetE1EEEvSK_,comdat
.Lfunc_end3176:
	.size	_ZN7rocprim17ROCPRIM_400000_NS6detail17trampoline_kernelINS0_14default_configENS1_38merge_sort_block_merge_config_selectorIjNS0_10empty_typeEEEZZNS1_27merge_sort_block_merge_implIS3_N6thrust23THRUST_200600_302600_NS6detail15normal_iteratorINS9_10device_ptrIjEEEEPS5_m14custom_greaterIjEEE10hipError_tT0_T1_T2_jT3_P12ihipStream_tbPNSt15iterator_traitsISJ_E10value_typeEPNSP_ISK_E10value_typeEPSL_NS1_7vsmem_tEENKUlT_SJ_SK_SL_E_clIPjSE_SF_SF_EESI_SY_SJ_SK_SL_EUlSY_E0_NS1_11comp_targetILNS1_3genE2ELNS1_11target_archE906ELNS1_3gpuE6ELNS1_3repE0EEENS1_38merge_mergepath_config_static_selectorELNS0_4arch9wavefront6targetE1EEEvSK_, .Lfunc_end3176-_ZN7rocprim17ROCPRIM_400000_NS6detail17trampoline_kernelINS0_14default_configENS1_38merge_sort_block_merge_config_selectorIjNS0_10empty_typeEEEZZNS1_27merge_sort_block_merge_implIS3_N6thrust23THRUST_200600_302600_NS6detail15normal_iteratorINS9_10device_ptrIjEEEEPS5_m14custom_greaterIjEEE10hipError_tT0_T1_T2_jT3_P12ihipStream_tbPNSt15iterator_traitsISJ_E10value_typeEPNSP_ISK_E10value_typeEPSL_NS1_7vsmem_tEENKUlT_SJ_SK_SL_E_clIPjSE_SF_SF_EESI_SY_SJ_SK_SL_EUlSY_E0_NS1_11comp_targetILNS1_3genE2ELNS1_11target_archE906ELNS1_3gpuE6ELNS1_3repE0EEENS1_38merge_mergepath_config_static_selectorELNS0_4arch9wavefront6targetE1EEEvSK_
                                        ; -- End function
	.section	.AMDGPU.csdata,"",@progbits
; Kernel info:
; codeLenInByte = 0
; NumSgprs: 4
; NumVgprs: 0
; NumAgprs: 0
; TotalNumVgprs: 0
; ScratchSize: 0
; MemoryBound: 0
; FloatMode: 240
; IeeeMode: 1
; LDSByteSize: 0 bytes/workgroup (compile time only)
; SGPRBlocks: 0
; VGPRBlocks: 0
; NumSGPRsForWavesPerEU: 4
; NumVGPRsForWavesPerEU: 1
; AccumOffset: 4
; Occupancy: 8
; WaveLimiterHint : 0
; COMPUTE_PGM_RSRC2:SCRATCH_EN: 0
; COMPUTE_PGM_RSRC2:USER_SGPR: 6
; COMPUTE_PGM_RSRC2:TRAP_HANDLER: 0
; COMPUTE_PGM_RSRC2:TGID_X_EN: 1
; COMPUTE_PGM_RSRC2:TGID_Y_EN: 0
; COMPUTE_PGM_RSRC2:TGID_Z_EN: 0
; COMPUTE_PGM_RSRC2:TIDIG_COMP_CNT: 0
; COMPUTE_PGM_RSRC3_GFX90A:ACCUM_OFFSET: 0
; COMPUTE_PGM_RSRC3_GFX90A:TG_SPLIT: 0
	.section	.text._ZN7rocprim17ROCPRIM_400000_NS6detail17trampoline_kernelINS0_14default_configENS1_38merge_sort_block_merge_config_selectorIjNS0_10empty_typeEEEZZNS1_27merge_sort_block_merge_implIS3_N6thrust23THRUST_200600_302600_NS6detail15normal_iteratorINS9_10device_ptrIjEEEEPS5_m14custom_greaterIjEEE10hipError_tT0_T1_T2_jT3_P12ihipStream_tbPNSt15iterator_traitsISJ_E10value_typeEPNSP_ISK_E10value_typeEPSL_NS1_7vsmem_tEENKUlT_SJ_SK_SL_E_clIPjSE_SF_SF_EESI_SY_SJ_SK_SL_EUlSY_E0_NS1_11comp_targetILNS1_3genE9ELNS1_11target_archE1100ELNS1_3gpuE3ELNS1_3repE0EEENS1_38merge_mergepath_config_static_selectorELNS0_4arch9wavefront6targetE1EEEvSK_,"axG",@progbits,_ZN7rocprim17ROCPRIM_400000_NS6detail17trampoline_kernelINS0_14default_configENS1_38merge_sort_block_merge_config_selectorIjNS0_10empty_typeEEEZZNS1_27merge_sort_block_merge_implIS3_N6thrust23THRUST_200600_302600_NS6detail15normal_iteratorINS9_10device_ptrIjEEEEPS5_m14custom_greaterIjEEE10hipError_tT0_T1_T2_jT3_P12ihipStream_tbPNSt15iterator_traitsISJ_E10value_typeEPNSP_ISK_E10value_typeEPSL_NS1_7vsmem_tEENKUlT_SJ_SK_SL_E_clIPjSE_SF_SF_EESI_SY_SJ_SK_SL_EUlSY_E0_NS1_11comp_targetILNS1_3genE9ELNS1_11target_archE1100ELNS1_3gpuE3ELNS1_3repE0EEENS1_38merge_mergepath_config_static_selectorELNS0_4arch9wavefront6targetE1EEEvSK_,comdat
	.protected	_ZN7rocprim17ROCPRIM_400000_NS6detail17trampoline_kernelINS0_14default_configENS1_38merge_sort_block_merge_config_selectorIjNS0_10empty_typeEEEZZNS1_27merge_sort_block_merge_implIS3_N6thrust23THRUST_200600_302600_NS6detail15normal_iteratorINS9_10device_ptrIjEEEEPS5_m14custom_greaterIjEEE10hipError_tT0_T1_T2_jT3_P12ihipStream_tbPNSt15iterator_traitsISJ_E10value_typeEPNSP_ISK_E10value_typeEPSL_NS1_7vsmem_tEENKUlT_SJ_SK_SL_E_clIPjSE_SF_SF_EESI_SY_SJ_SK_SL_EUlSY_E0_NS1_11comp_targetILNS1_3genE9ELNS1_11target_archE1100ELNS1_3gpuE3ELNS1_3repE0EEENS1_38merge_mergepath_config_static_selectorELNS0_4arch9wavefront6targetE1EEEvSK_ ; -- Begin function _ZN7rocprim17ROCPRIM_400000_NS6detail17trampoline_kernelINS0_14default_configENS1_38merge_sort_block_merge_config_selectorIjNS0_10empty_typeEEEZZNS1_27merge_sort_block_merge_implIS3_N6thrust23THRUST_200600_302600_NS6detail15normal_iteratorINS9_10device_ptrIjEEEEPS5_m14custom_greaterIjEEE10hipError_tT0_T1_T2_jT3_P12ihipStream_tbPNSt15iterator_traitsISJ_E10value_typeEPNSP_ISK_E10value_typeEPSL_NS1_7vsmem_tEENKUlT_SJ_SK_SL_E_clIPjSE_SF_SF_EESI_SY_SJ_SK_SL_EUlSY_E0_NS1_11comp_targetILNS1_3genE9ELNS1_11target_archE1100ELNS1_3gpuE3ELNS1_3repE0EEENS1_38merge_mergepath_config_static_selectorELNS0_4arch9wavefront6targetE1EEEvSK_
	.globl	_ZN7rocprim17ROCPRIM_400000_NS6detail17trampoline_kernelINS0_14default_configENS1_38merge_sort_block_merge_config_selectorIjNS0_10empty_typeEEEZZNS1_27merge_sort_block_merge_implIS3_N6thrust23THRUST_200600_302600_NS6detail15normal_iteratorINS9_10device_ptrIjEEEEPS5_m14custom_greaterIjEEE10hipError_tT0_T1_T2_jT3_P12ihipStream_tbPNSt15iterator_traitsISJ_E10value_typeEPNSP_ISK_E10value_typeEPSL_NS1_7vsmem_tEENKUlT_SJ_SK_SL_E_clIPjSE_SF_SF_EESI_SY_SJ_SK_SL_EUlSY_E0_NS1_11comp_targetILNS1_3genE9ELNS1_11target_archE1100ELNS1_3gpuE3ELNS1_3repE0EEENS1_38merge_mergepath_config_static_selectorELNS0_4arch9wavefront6targetE1EEEvSK_
	.p2align	8
	.type	_ZN7rocprim17ROCPRIM_400000_NS6detail17trampoline_kernelINS0_14default_configENS1_38merge_sort_block_merge_config_selectorIjNS0_10empty_typeEEEZZNS1_27merge_sort_block_merge_implIS3_N6thrust23THRUST_200600_302600_NS6detail15normal_iteratorINS9_10device_ptrIjEEEEPS5_m14custom_greaterIjEEE10hipError_tT0_T1_T2_jT3_P12ihipStream_tbPNSt15iterator_traitsISJ_E10value_typeEPNSP_ISK_E10value_typeEPSL_NS1_7vsmem_tEENKUlT_SJ_SK_SL_E_clIPjSE_SF_SF_EESI_SY_SJ_SK_SL_EUlSY_E0_NS1_11comp_targetILNS1_3genE9ELNS1_11target_archE1100ELNS1_3gpuE3ELNS1_3repE0EEENS1_38merge_mergepath_config_static_selectorELNS0_4arch9wavefront6targetE1EEEvSK_,@function
_ZN7rocprim17ROCPRIM_400000_NS6detail17trampoline_kernelINS0_14default_configENS1_38merge_sort_block_merge_config_selectorIjNS0_10empty_typeEEEZZNS1_27merge_sort_block_merge_implIS3_N6thrust23THRUST_200600_302600_NS6detail15normal_iteratorINS9_10device_ptrIjEEEEPS5_m14custom_greaterIjEEE10hipError_tT0_T1_T2_jT3_P12ihipStream_tbPNSt15iterator_traitsISJ_E10value_typeEPNSP_ISK_E10value_typeEPSL_NS1_7vsmem_tEENKUlT_SJ_SK_SL_E_clIPjSE_SF_SF_EESI_SY_SJ_SK_SL_EUlSY_E0_NS1_11comp_targetILNS1_3genE9ELNS1_11target_archE1100ELNS1_3gpuE3ELNS1_3repE0EEENS1_38merge_mergepath_config_static_selectorELNS0_4arch9wavefront6targetE1EEEvSK_: ; @_ZN7rocprim17ROCPRIM_400000_NS6detail17trampoline_kernelINS0_14default_configENS1_38merge_sort_block_merge_config_selectorIjNS0_10empty_typeEEEZZNS1_27merge_sort_block_merge_implIS3_N6thrust23THRUST_200600_302600_NS6detail15normal_iteratorINS9_10device_ptrIjEEEEPS5_m14custom_greaterIjEEE10hipError_tT0_T1_T2_jT3_P12ihipStream_tbPNSt15iterator_traitsISJ_E10value_typeEPNSP_ISK_E10value_typeEPSL_NS1_7vsmem_tEENKUlT_SJ_SK_SL_E_clIPjSE_SF_SF_EESI_SY_SJ_SK_SL_EUlSY_E0_NS1_11comp_targetILNS1_3genE9ELNS1_11target_archE1100ELNS1_3gpuE3ELNS1_3repE0EEENS1_38merge_mergepath_config_static_selectorELNS0_4arch9wavefront6targetE1EEEvSK_
; %bb.0:
	.section	.rodata,"a",@progbits
	.p2align	6, 0x0
	.amdhsa_kernel _ZN7rocprim17ROCPRIM_400000_NS6detail17trampoline_kernelINS0_14default_configENS1_38merge_sort_block_merge_config_selectorIjNS0_10empty_typeEEEZZNS1_27merge_sort_block_merge_implIS3_N6thrust23THRUST_200600_302600_NS6detail15normal_iteratorINS9_10device_ptrIjEEEEPS5_m14custom_greaterIjEEE10hipError_tT0_T1_T2_jT3_P12ihipStream_tbPNSt15iterator_traitsISJ_E10value_typeEPNSP_ISK_E10value_typeEPSL_NS1_7vsmem_tEENKUlT_SJ_SK_SL_E_clIPjSE_SF_SF_EESI_SY_SJ_SK_SL_EUlSY_E0_NS1_11comp_targetILNS1_3genE9ELNS1_11target_archE1100ELNS1_3gpuE3ELNS1_3repE0EEENS1_38merge_mergepath_config_static_selectorELNS0_4arch9wavefront6targetE1EEEvSK_
		.amdhsa_group_segment_fixed_size 0
		.amdhsa_private_segment_fixed_size 0
		.amdhsa_kernarg_size 72
		.amdhsa_user_sgpr_count 6
		.amdhsa_user_sgpr_private_segment_buffer 1
		.amdhsa_user_sgpr_dispatch_ptr 0
		.amdhsa_user_sgpr_queue_ptr 0
		.amdhsa_user_sgpr_kernarg_segment_ptr 1
		.amdhsa_user_sgpr_dispatch_id 0
		.amdhsa_user_sgpr_flat_scratch_init 0
		.amdhsa_user_sgpr_kernarg_preload_length 0
		.amdhsa_user_sgpr_kernarg_preload_offset 0
		.amdhsa_user_sgpr_private_segment_size 0
		.amdhsa_uses_dynamic_stack 0
		.amdhsa_system_sgpr_private_segment_wavefront_offset 0
		.amdhsa_system_sgpr_workgroup_id_x 1
		.amdhsa_system_sgpr_workgroup_id_y 0
		.amdhsa_system_sgpr_workgroup_id_z 0
		.amdhsa_system_sgpr_workgroup_info 0
		.amdhsa_system_vgpr_workitem_id 0
		.amdhsa_next_free_vgpr 1
		.amdhsa_next_free_sgpr 0
		.amdhsa_accum_offset 4
		.amdhsa_reserve_vcc 0
		.amdhsa_reserve_flat_scratch 0
		.amdhsa_float_round_mode_32 0
		.amdhsa_float_round_mode_16_64 0
		.amdhsa_float_denorm_mode_32 3
		.amdhsa_float_denorm_mode_16_64 3
		.amdhsa_dx10_clamp 1
		.amdhsa_ieee_mode 1
		.amdhsa_fp16_overflow 0
		.amdhsa_tg_split 0
		.amdhsa_exception_fp_ieee_invalid_op 0
		.amdhsa_exception_fp_denorm_src 0
		.amdhsa_exception_fp_ieee_div_zero 0
		.amdhsa_exception_fp_ieee_overflow 0
		.amdhsa_exception_fp_ieee_underflow 0
		.amdhsa_exception_fp_ieee_inexact 0
		.amdhsa_exception_int_div_zero 0
	.end_amdhsa_kernel
	.section	.text._ZN7rocprim17ROCPRIM_400000_NS6detail17trampoline_kernelINS0_14default_configENS1_38merge_sort_block_merge_config_selectorIjNS0_10empty_typeEEEZZNS1_27merge_sort_block_merge_implIS3_N6thrust23THRUST_200600_302600_NS6detail15normal_iteratorINS9_10device_ptrIjEEEEPS5_m14custom_greaterIjEEE10hipError_tT0_T1_T2_jT3_P12ihipStream_tbPNSt15iterator_traitsISJ_E10value_typeEPNSP_ISK_E10value_typeEPSL_NS1_7vsmem_tEENKUlT_SJ_SK_SL_E_clIPjSE_SF_SF_EESI_SY_SJ_SK_SL_EUlSY_E0_NS1_11comp_targetILNS1_3genE9ELNS1_11target_archE1100ELNS1_3gpuE3ELNS1_3repE0EEENS1_38merge_mergepath_config_static_selectorELNS0_4arch9wavefront6targetE1EEEvSK_,"axG",@progbits,_ZN7rocprim17ROCPRIM_400000_NS6detail17trampoline_kernelINS0_14default_configENS1_38merge_sort_block_merge_config_selectorIjNS0_10empty_typeEEEZZNS1_27merge_sort_block_merge_implIS3_N6thrust23THRUST_200600_302600_NS6detail15normal_iteratorINS9_10device_ptrIjEEEEPS5_m14custom_greaterIjEEE10hipError_tT0_T1_T2_jT3_P12ihipStream_tbPNSt15iterator_traitsISJ_E10value_typeEPNSP_ISK_E10value_typeEPSL_NS1_7vsmem_tEENKUlT_SJ_SK_SL_E_clIPjSE_SF_SF_EESI_SY_SJ_SK_SL_EUlSY_E0_NS1_11comp_targetILNS1_3genE9ELNS1_11target_archE1100ELNS1_3gpuE3ELNS1_3repE0EEENS1_38merge_mergepath_config_static_selectorELNS0_4arch9wavefront6targetE1EEEvSK_,comdat
.Lfunc_end3177:
	.size	_ZN7rocprim17ROCPRIM_400000_NS6detail17trampoline_kernelINS0_14default_configENS1_38merge_sort_block_merge_config_selectorIjNS0_10empty_typeEEEZZNS1_27merge_sort_block_merge_implIS3_N6thrust23THRUST_200600_302600_NS6detail15normal_iteratorINS9_10device_ptrIjEEEEPS5_m14custom_greaterIjEEE10hipError_tT0_T1_T2_jT3_P12ihipStream_tbPNSt15iterator_traitsISJ_E10value_typeEPNSP_ISK_E10value_typeEPSL_NS1_7vsmem_tEENKUlT_SJ_SK_SL_E_clIPjSE_SF_SF_EESI_SY_SJ_SK_SL_EUlSY_E0_NS1_11comp_targetILNS1_3genE9ELNS1_11target_archE1100ELNS1_3gpuE3ELNS1_3repE0EEENS1_38merge_mergepath_config_static_selectorELNS0_4arch9wavefront6targetE1EEEvSK_, .Lfunc_end3177-_ZN7rocprim17ROCPRIM_400000_NS6detail17trampoline_kernelINS0_14default_configENS1_38merge_sort_block_merge_config_selectorIjNS0_10empty_typeEEEZZNS1_27merge_sort_block_merge_implIS3_N6thrust23THRUST_200600_302600_NS6detail15normal_iteratorINS9_10device_ptrIjEEEEPS5_m14custom_greaterIjEEE10hipError_tT0_T1_T2_jT3_P12ihipStream_tbPNSt15iterator_traitsISJ_E10value_typeEPNSP_ISK_E10value_typeEPSL_NS1_7vsmem_tEENKUlT_SJ_SK_SL_E_clIPjSE_SF_SF_EESI_SY_SJ_SK_SL_EUlSY_E0_NS1_11comp_targetILNS1_3genE9ELNS1_11target_archE1100ELNS1_3gpuE3ELNS1_3repE0EEENS1_38merge_mergepath_config_static_selectorELNS0_4arch9wavefront6targetE1EEEvSK_
                                        ; -- End function
	.section	.AMDGPU.csdata,"",@progbits
; Kernel info:
; codeLenInByte = 0
; NumSgprs: 4
; NumVgprs: 0
; NumAgprs: 0
; TotalNumVgprs: 0
; ScratchSize: 0
; MemoryBound: 0
; FloatMode: 240
; IeeeMode: 1
; LDSByteSize: 0 bytes/workgroup (compile time only)
; SGPRBlocks: 0
; VGPRBlocks: 0
; NumSGPRsForWavesPerEU: 4
; NumVGPRsForWavesPerEU: 1
; AccumOffset: 4
; Occupancy: 8
; WaveLimiterHint : 0
; COMPUTE_PGM_RSRC2:SCRATCH_EN: 0
; COMPUTE_PGM_RSRC2:USER_SGPR: 6
; COMPUTE_PGM_RSRC2:TRAP_HANDLER: 0
; COMPUTE_PGM_RSRC2:TGID_X_EN: 1
; COMPUTE_PGM_RSRC2:TGID_Y_EN: 0
; COMPUTE_PGM_RSRC2:TGID_Z_EN: 0
; COMPUTE_PGM_RSRC2:TIDIG_COMP_CNT: 0
; COMPUTE_PGM_RSRC3_GFX90A:ACCUM_OFFSET: 0
; COMPUTE_PGM_RSRC3_GFX90A:TG_SPLIT: 0
	.section	.text._ZN7rocprim17ROCPRIM_400000_NS6detail17trampoline_kernelINS0_14default_configENS1_38merge_sort_block_merge_config_selectorIjNS0_10empty_typeEEEZZNS1_27merge_sort_block_merge_implIS3_N6thrust23THRUST_200600_302600_NS6detail15normal_iteratorINS9_10device_ptrIjEEEEPS5_m14custom_greaterIjEEE10hipError_tT0_T1_T2_jT3_P12ihipStream_tbPNSt15iterator_traitsISJ_E10value_typeEPNSP_ISK_E10value_typeEPSL_NS1_7vsmem_tEENKUlT_SJ_SK_SL_E_clIPjSE_SF_SF_EESI_SY_SJ_SK_SL_EUlSY_E0_NS1_11comp_targetILNS1_3genE8ELNS1_11target_archE1030ELNS1_3gpuE2ELNS1_3repE0EEENS1_38merge_mergepath_config_static_selectorELNS0_4arch9wavefront6targetE1EEEvSK_,"axG",@progbits,_ZN7rocprim17ROCPRIM_400000_NS6detail17trampoline_kernelINS0_14default_configENS1_38merge_sort_block_merge_config_selectorIjNS0_10empty_typeEEEZZNS1_27merge_sort_block_merge_implIS3_N6thrust23THRUST_200600_302600_NS6detail15normal_iteratorINS9_10device_ptrIjEEEEPS5_m14custom_greaterIjEEE10hipError_tT0_T1_T2_jT3_P12ihipStream_tbPNSt15iterator_traitsISJ_E10value_typeEPNSP_ISK_E10value_typeEPSL_NS1_7vsmem_tEENKUlT_SJ_SK_SL_E_clIPjSE_SF_SF_EESI_SY_SJ_SK_SL_EUlSY_E0_NS1_11comp_targetILNS1_3genE8ELNS1_11target_archE1030ELNS1_3gpuE2ELNS1_3repE0EEENS1_38merge_mergepath_config_static_selectorELNS0_4arch9wavefront6targetE1EEEvSK_,comdat
	.protected	_ZN7rocprim17ROCPRIM_400000_NS6detail17trampoline_kernelINS0_14default_configENS1_38merge_sort_block_merge_config_selectorIjNS0_10empty_typeEEEZZNS1_27merge_sort_block_merge_implIS3_N6thrust23THRUST_200600_302600_NS6detail15normal_iteratorINS9_10device_ptrIjEEEEPS5_m14custom_greaterIjEEE10hipError_tT0_T1_T2_jT3_P12ihipStream_tbPNSt15iterator_traitsISJ_E10value_typeEPNSP_ISK_E10value_typeEPSL_NS1_7vsmem_tEENKUlT_SJ_SK_SL_E_clIPjSE_SF_SF_EESI_SY_SJ_SK_SL_EUlSY_E0_NS1_11comp_targetILNS1_3genE8ELNS1_11target_archE1030ELNS1_3gpuE2ELNS1_3repE0EEENS1_38merge_mergepath_config_static_selectorELNS0_4arch9wavefront6targetE1EEEvSK_ ; -- Begin function _ZN7rocprim17ROCPRIM_400000_NS6detail17trampoline_kernelINS0_14default_configENS1_38merge_sort_block_merge_config_selectorIjNS0_10empty_typeEEEZZNS1_27merge_sort_block_merge_implIS3_N6thrust23THRUST_200600_302600_NS6detail15normal_iteratorINS9_10device_ptrIjEEEEPS5_m14custom_greaterIjEEE10hipError_tT0_T1_T2_jT3_P12ihipStream_tbPNSt15iterator_traitsISJ_E10value_typeEPNSP_ISK_E10value_typeEPSL_NS1_7vsmem_tEENKUlT_SJ_SK_SL_E_clIPjSE_SF_SF_EESI_SY_SJ_SK_SL_EUlSY_E0_NS1_11comp_targetILNS1_3genE8ELNS1_11target_archE1030ELNS1_3gpuE2ELNS1_3repE0EEENS1_38merge_mergepath_config_static_selectorELNS0_4arch9wavefront6targetE1EEEvSK_
	.globl	_ZN7rocprim17ROCPRIM_400000_NS6detail17trampoline_kernelINS0_14default_configENS1_38merge_sort_block_merge_config_selectorIjNS0_10empty_typeEEEZZNS1_27merge_sort_block_merge_implIS3_N6thrust23THRUST_200600_302600_NS6detail15normal_iteratorINS9_10device_ptrIjEEEEPS5_m14custom_greaterIjEEE10hipError_tT0_T1_T2_jT3_P12ihipStream_tbPNSt15iterator_traitsISJ_E10value_typeEPNSP_ISK_E10value_typeEPSL_NS1_7vsmem_tEENKUlT_SJ_SK_SL_E_clIPjSE_SF_SF_EESI_SY_SJ_SK_SL_EUlSY_E0_NS1_11comp_targetILNS1_3genE8ELNS1_11target_archE1030ELNS1_3gpuE2ELNS1_3repE0EEENS1_38merge_mergepath_config_static_selectorELNS0_4arch9wavefront6targetE1EEEvSK_
	.p2align	8
	.type	_ZN7rocprim17ROCPRIM_400000_NS6detail17trampoline_kernelINS0_14default_configENS1_38merge_sort_block_merge_config_selectorIjNS0_10empty_typeEEEZZNS1_27merge_sort_block_merge_implIS3_N6thrust23THRUST_200600_302600_NS6detail15normal_iteratorINS9_10device_ptrIjEEEEPS5_m14custom_greaterIjEEE10hipError_tT0_T1_T2_jT3_P12ihipStream_tbPNSt15iterator_traitsISJ_E10value_typeEPNSP_ISK_E10value_typeEPSL_NS1_7vsmem_tEENKUlT_SJ_SK_SL_E_clIPjSE_SF_SF_EESI_SY_SJ_SK_SL_EUlSY_E0_NS1_11comp_targetILNS1_3genE8ELNS1_11target_archE1030ELNS1_3gpuE2ELNS1_3repE0EEENS1_38merge_mergepath_config_static_selectorELNS0_4arch9wavefront6targetE1EEEvSK_,@function
_ZN7rocprim17ROCPRIM_400000_NS6detail17trampoline_kernelINS0_14default_configENS1_38merge_sort_block_merge_config_selectorIjNS0_10empty_typeEEEZZNS1_27merge_sort_block_merge_implIS3_N6thrust23THRUST_200600_302600_NS6detail15normal_iteratorINS9_10device_ptrIjEEEEPS5_m14custom_greaterIjEEE10hipError_tT0_T1_T2_jT3_P12ihipStream_tbPNSt15iterator_traitsISJ_E10value_typeEPNSP_ISK_E10value_typeEPSL_NS1_7vsmem_tEENKUlT_SJ_SK_SL_E_clIPjSE_SF_SF_EESI_SY_SJ_SK_SL_EUlSY_E0_NS1_11comp_targetILNS1_3genE8ELNS1_11target_archE1030ELNS1_3gpuE2ELNS1_3repE0EEENS1_38merge_mergepath_config_static_selectorELNS0_4arch9wavefront6targetE1EEEvSK_: ; @_ZN7rocprim17ROCPRIM_400000_NS6detail17trampoline_kernelINS0_14default_configENS1_38merge_sort_block_merge_config_selectorIjNS0_10empty_typeEEEZZNS1_27merge_sort_block_merge_implIS3_N6thrust23THRUST_200600_302600_NS6detail15normal_iteratorINS9_10device_ptrIjEEEEPS5_m14custom_greaterIjEEE10hipError_tT0_T1_T2_jT3_P12ihipStream_tbPNSt15iterator_traitsISJ_E10value_typeEPNSP_ISK_E10value_typeEPSL_NS1_7vsmem_tEENKUlT_SJ_SK_SL_E_clIPjSE_SF_SF_EESI_SY_SJ_SK_SL_EUlSY_E0_NS1_11comp_targetILNS1_3genE8ELNS1_11target_archE1030ELNS1_3gpuE2ELNS1_3repE0EEENS1_38merge_mergepath_config_static_selectorELNS0_4arch9wavefront6targetE1EEEvSK_
; %bb.0:
	.section	.rodata,"a",@progbits
	.p2align	6, 0x0
	.amdhsa_kernel _ZN7rocprim17ROCPRIM_400000_NS6detail17trampoline_kernelINS0_14default_configENS1_38merge_sort_block_merge_config_selectorIjNS0_10empty_typeEEEZZNS1_27merge_sort_block_merge_implIS3_N6thrust23THRUST_200600_302600_NS6detail15normal_iteratorINS9_10device_ptrIjEEEEPS5_m14custom_greaterIjEEE10hipError_tT0_T1_T2_jT3_P12ihipStream_tbPNSt15iterator_traitsISJ_E10value_typeEPNSP_ISK_E10value_typeEPSL_NS1_7vsmem_tEENKUlT_SJ_SK_SL_E_clIPjSE_SF_SF_EESI_SY_SJ_SK_SL_EUlSY_E0_NS1_11comp_targetILNS1_3genE8ELNS1_11target_archE1030ELNS1_3gpuE2ELNS1_3repE0EEENS1_38merge_mergepath_config_static_selectorELNS0_4arch9wavefront6targetE1EEEvSK_
		.amdhsa_group_segment_fixed_size 0
		.amdhsa_private_segment_fixed_size 0
		.amdhsa_kernarg_size 72
		.amdhsa_user_sgpr_count 6
		.amdhsa_user_sgpr_private_segment_buffer 1
		.amdhsa_user_sgpr_dispatch_ptr 0
		.amdhsa_user_sgpr_queue_ptr 0
		.amdhsa_user_sgpr_kernarg_segment_ptr 1
		.amdhsa_user_sgpr_dispatch_id 0
		.amdhsa_user_sgpr_flat_scratch_init 0
		.amdhsa_user_sgpr_kernarg_preload_length 0
		.amdhsa_user_sgpr_kernarg_preload_offset 0
		.amdhsa_user_sgpr_private_segment_size 0
		.amdhsa_uses_dynamic_stack 0
		.amdhsa_system_sgpr_private_segment_wavefront_offset 0
		.amdhsa_system_sgpr_workgroup_id_x 1
		.amdhsa_system_sgpr_workgroup_id_y 0
		.amdhsa_system_sgpr_workgroup_id_z 0
		.amdhsa_system_sgpr_workgroup_info 0
		.amdhsa_system_vgpr_workitem_id 0
		.amdhsa_next_free_vgpr 1
		.amdhsa_next_free_sgpr 0
		.amdhsa_accum_offset 4
		.amdhsa_reserve_vcc 0
		.amdhsa_reserve_flat_scratch 0
		.amdhsa_float_round_mode_32 0
		.amdhsa_float_round_mode_16_64 0
		.amdhsa_float_denorm_mode_32 3
		.amdhsa_float_denorm_mode_16_64 3
		.amdhsa_dx10_clamp 1
		.amdhsa_ieee_mode 1
		.amdhsa_fp16_overflow 0
		.amdhsa_tg_split 0
		.amdhsa_exception_fp_ieee_invalid_op 0
		.amdhsa_exception_fp_denorm_src 0
		.amdhsa_exception_fp_ieee_div_zero 0
		.amdhsa_exception_fp_ieee_overflow 0
		.amdhsa_exception_fp_ieee_underflow 0
		.amdhsa_exception_fp_ieee_inexact 0
		.amdhsa_exception_int_div_zero 0
	.end_amdhsa_kernel
	.section	.text._ZN7rocprim17ROCPRIM_400000_NS6detail17trampoline_kernelINS0_14default_configENS1_38merge_sort_block_merge_config_selectorIjNS0_10empty_typeEEEZZNS1_27merge_sort_block_merge_implIS3_N6thrust23THRUST_200600_302600_NS6detail15normal_iteratorINS9_10device_ptrIjEEEEPS5_m14custom_greaterIjEEE10hipError_tT0_T1_T2_jT3_P12ihipStream_tbPNSt15iterator_traitsISJ_E10value_typeEPNSP_ISK_E10value_typeEPSL_NS1_7vsmem_tEENKUlT_SJ_SK_SL_E_clIPjSE_SF_SF_EESI_SY_SJ_SK_SL_EUlSY_E0_NS1_11comp_targetILNS1_3genE8ELNS1_11target_archE1030ELNS1_3gpuE2ELNS1_3repE0EEENS1_38merge_mergepath_config_static_selectorELNS0_4arch9wavefront6targetE1EEEvSK_,"axG",@progbits,_ZN7rocprim17ROCPRIM_400000_NS6detail17trampoline_kernelINS0_14default_configENS1_38merge_sort_block_merge_config_selectorIjNS0_10empty_typeEEEZZNS1_27merge_sort_block_merge_implIS3_N6thrust23THRUST_200600_302600_NS6detail15normal_iteratorINS9_10device_ptrIjEEEEPS5_m14custom_greaterIjEEE10hipError_tT0_T1_T2_jT3_P12ihipStream_tbPNSt15iterator_traitsISJ_E10value_typeEPNSP_ISK_E10value_typeEPSL_NS1_7vsmem_tEENKUlT_SJ_SK_SL_E_clIPjSE_SF_SF_EESI_SY_SJ_SK_SL_EUlSY_E0_NS1_11comp_targetILNS1_3genE8ELNS1_11target_archE1030ELNS1_3gpuE2ELNS1_3repE0EEENS1_38merge_mergepath_config_static_selectorELNS0_4arch9wavefront6targetE1EEEvSK_,comdat
.Lfunc_end3178:
	.size	_ZN7rocprim17ROCPRIM_400000_NS6detail17trampoline_kernelINS0_14default_configENS1_38merge_sort_block_merge_config_selectorIjNS0_10empty_typeEEEZZNS1_27merge_sort_block_merge_implIS3_N6thrust23THRUST_200600_302600_NS6detail15normal_iteratorINS9_10device_ptrIjEEEEPS5_m14custom_greaterIjEEE10hipError_tT0_T1_T2_jT3_P12ihipStream_tbPNSt15iterator_traitsISJ_E10value_typeEPNSP_ISK_E10value_typeEPSL_NS1_7vsmem_tEENKUlT_SJ_SK_SL_E_clIPjSE_SF_SF_EESI_SY_SJ_SK_SL_EUlSY_E0_NS1_11comp_targetILNS1_3genE8ELNS1_11target_archE1030ELNS1_3gpuE2ELNS1_3repE0EEENS1_38merge_mergepath_config_static_selectorELNS0_4arch9wavefront6targetE1EEEvSK_, .Lfunc_end3178-_ZN7rocprim17ROCPRIM_400000_NS6detail17trampoline_kernelINS0_14default_configENS1_38merge_sort_block_merge_config_selectorIjNS0_10empty_typeEEEZZNS1_27merge_sort_block_merge_implIS3_N6thrust23THRUST_200600_302600_NS6detail15normal_iteratorINS9_10device_ptrIjEEEEPS5_m14custom_greaterIjEEE10hipError_tT0_T1_T2_jT3_P12ihipStream_tbPNSt15iterator_traitsISJ_E10value_typeEPNSP_ISK_E10value_typeEPSL_NS1_7vsmem_tEENKUlT_SJ_SK_SL_E_clIPjSE_SF_SF_EESI_SY_SJ_SK_SL_EUlSY_E0_NS1_11comp_targetILNS1_3genE8ELNS1_11target_archE1030ELNS1_3gpuE2ELNS1_3repE0EEENS1_38merge_mergepath_config_static_selectorELNS0_4arch9wavefront6targetE1EEEvSK_
                                        ; -- End function
	.section	.AMDGPU.csdata,"",@progbits
; Kernel info:
; codeLenInByte = 0
; NumSgprs: 4
; NumVgprs: 0
; NumAgprs: 0
; TotalNumVgprs: 0
; ScratchSize: 0
; MemoryBound: 0
; FloatMode: 240
; IeeeMode: 1
; LDSByteSize: 0 bytes/workgroup (compile time only)
; SGPRBlocks: 0
; VGPRBlocks: 0
; NumSGPRsForWavesPerEU: 4
; NumVGPRsForWavesPerEU: 1
; AccumOffset: 4
; Occupancy: 8
; WaveLimiterHint : 0
; COMPUTE_PGM_RSRC2:SCRATCH_EN: 0
; COMPUTE_PGM_RSRC2:USER_SGPR: 6
; COMPUTE_PGM_RSRC2:TRAP_HANDLER: 0
; COMPUTE_PGM_RSRC2:TGID_X_EN: 1
; COMPUTE_PGM_RSRC2:TGID_Y_EN: 0
; COMPUTE_PGM_RSRC2:TGID_Z_EN: 0
; COMPUTE_PGM_RSRC2:TIDIG_COMP_CNT: 0
; COMPUTE_PGM_RSRC3_GFX90A:ACCUM_OFFSET: 0
; COMPUTE_PGM_RSRC3_GFX90A:TG_SPLIT: 0
	.section	.text._ZN7rocprim17ROCPRIM_400000_NS6detail17trampoline_kernelINS0_14default_configENS1_38merge_sort_block_merge_config_selectorIjNS0_10empty_typeEEEZZNS1_27merge_sort_block_merge_implIS3_N6thrust23THRUST_200600_302600_NS6detail15normal_iteratorINS9_10device_ptrIjEEEEPS5_m14custom_greaterIjEEE10hipError_tT0_T1_T2_jT3_P12ihipStream_tbPNSt15iterator_traitsISJ_E10value_typeEPNSP_ISK_E10value_typeEPSL_NS1_7vsmem_tEENKUlT_SJ_SK_SL_E_clIPjSE_SF_SF_EESI_SY_SJ_SK_SL_EUlSY_E1_NS1_11comp_targetILNS1_3genE0ELNS1_11target_archE4294967295ELNS1_3gpuE0ELNS1_3repE0EEENS1_36merge_oddeven_config_static_selectorELNS0_4arch9wavefront6targetE1EEEvSK_,"axG",@progbits,_ZN7rocprim17ROCPRIM_400000_NS6detail17trampoline_kernelINS0_14default_configENS1_38merge_sort_block_merge_config_selectorIjNS0_10empty_typeEEEZZNS1_27merge_sort_block_merge_implIS3_N6thrust23THRUST_200600_302600_NS6detail15normal_iteratorINS9_10device_ptrIjEEEEPS5_m14custom_greaterIjEEE10hipError_tT0_T1_T2_jT3_P12ihipStream_tbPNSt15iterator_traitsISJ_E10value_typeEPNSP_ISK_E10value_typeEPSL_NS1_7vsmem_tEENKUlT_SJ_SK_SL_E_clIPjSE_SF_SF_EESI_SY_SJ_SK_SL_EUlSY_E1_NS1_11comp_targetILNS1_3genE0ELNS1_11target_archE4294967295ELNS1_3gpuE0ELNS1_3repE0EEENS1_36merge_oddeven_config_static_selectorELNS0_4arch9wavefront6targetE1EEEvSK_,comdat
	.protected	_ZN7rocprim17ROCPRIM_400000_NS6detail17trampoline_kernelINS0_14default_configENS1_38merge_sort_block_merge_config_selectorIjNS0_10empty_typeEEEZZNS1_27merge_sort_block_merge_implIS3_N6thrust23THRUST_200600_302600_NS6detail15normal_iteratorINS9_10device_ptrIjEEEEPS5_m14custom_greaterIjEEE10hipError_tT0_T1_T2_jT3_P12ihipStream_tbPNSt15iterator_traitsISJ_E10value_typeEPNSP_ISK_E10value_typeEPSL_NS1_7vsmem_tEENKUlT_SJ_SK_SL_E_clIPjSE_SF_SF_EESI_SY_SJ_SK_SL_EUlSY_E1_NS1_11comp_targetILNS1_3genE0ELNS1_11target_archE4294967295ELNS1_3gpuE0ELNS1_3repE0EEENS1_36merge_oddeven_config_static_selectorELNS0_4arch9wavefront6targetE1EEEvSK_ ; -- Begin function _ZN7rocprim17ROCPRIM_400000_NS6detail17trampoline_kernelINS0_14default_configENS1_38merge_sort_block_merge_config_selectorIjNS0_10empty_typeEEEZZNS1_27merge_sort_block_merge_implIS3_N6thrust23THRUST_200600_302600_NS6detail15normal_iteratorINS9_10device_ptrIjEEEEPS5_m14custom_greaterIjEEE10hipError_tT0_T1_T2_jT3_P12ihipStream_tbPNSt15iterator_traitsISJ_E10value_typeEPNSP_ISK_E10value_typeEPSL_NS1_7vsmem_tEENKUlT_SJ_SK_SL_E_clIPjSE_SF_SF_EESI_SY_SJ_SK_SL_EUlSY_E1_NS1_11comp_targetILNS1_3genE0ELNS1_11target_archE4294967295ELNS1_3gpuE0ELNS1_3repE0EEENS1_36merge_oddeven_config_static_selectorELNS0_4arch9wavefront6targetE1EEEvSK_
	.globl	_ZN7rocprim17ROCPRIM_400000_NS6detail17trampoline_kernelINS0_14default_configENS1_38merge_sort_block_merge_config_selectorIjNS0_10empty_typeEEEZZNS1_27merge_sort_block_merge_implIS3_N6thrust23THRUST_200600_302600_NS6detail15normal_iteratorINS9_10device_ptrIjEEEEPS5_m14custom_greaterIjEEE10hipError_tT0_T1_T2_jT3_P12ihipStream_tbPNSt15iterator_traitsISJ_E10value_typeEPNSP_ISK_E10value_typeEPSL_NS1_7vsmem_tEENKUlT_SJ_SK_SL_E_clIPjSE_SF_SF_EESI_SY_SJ_SK_SL_EUlSY_E1_NS1_11comp_targetILNS1_3genE0ELNS1_11target_archE4294967295ELNS1_3gpuE0ELNS1_3repE0EEENS1_36merge_oddeven_config_static_selectorELNS0_4arch9wavefront6targetE1EEEvSK_
	.p2align	8
	.type	_ZN7rocprim17ROCPRIM_400000_NS6detail17trampoline_kernelINS0_14default_configENS1_38merge_sort_block_merge_config_selectorIjNS0_10empty_typeEEEZZNS1_27merge_sort_block_merge_implIS3_N6thrust23THRUST_200600_302600_NS6detail15normal_iteratorINS9_10device_ptrIjEEEEPS5_m14custom_greaterIjEEE10hipError_tT0_T1_T2_jT3_P12ihipStream_tbPNSt15iterator_traitsISJ_E10value_typeEPNSP_ISK_E10value_typeEPSL_NS1_7vsmem_tEENKUlT_SJ_SK_SL_E_clIPjSE_SF_SF_EESI_SY_SJ_SK_SL_EUlSY_E1_NS1_11comp_targetILNS1_3genE0ELNS1_11target_archE4294967295ELNS1_3gpuE0ELNS1_3repE0EEENS1_36merge_oddeven_config_static_selectorELNS0_4arch9wavefront6targetE1EEEvSK_,@function
_ZN7rocprim17ROCPRIM_400000_NS6detail17trampoline_kernelINS0_14default_configENS1_38merge_sort_block_merge_config_selectorIjNS0_10empty_typeEEEZZNS1_27merge_sort_block_merge_implIS3_N6thrust23THRUST_200600_302600_NS6detail15normal_iteratorINS9_10device_ptrIjEEEEPS5_m14custom_greaterIjEEE10hipError_tT0_T1_T2_jT3_P12ihipStream_tbPNSt15iterator_traitsISJ_E10value_typeEPNSP_ISK_E10value_typeEPSL_NS1_7vsmem_tEENKUlT_SJ_SK_SL_E_clIPjSE_SF_SF_EESI_SY_SJ_SK_SL_EUlSY_E1_NS1_11comp_targetILNS1_3genE0ELNS1_11target_archE4294967295ELNS1_3gpuE0ELNS1_3repE0EEENS1_36merge_oddeven_config_static_selectorELNS0_4arch9wavefront6targetE1EEEvSK_: ; @_ZN7rocprim17ROCPRIM_400000_NS6detail17trampoline_kernelINS0_14default_configENS1_38merge_sort_block_merge_config_selectorIjNS0_10empty_typeEEEZZNS1_27merge_sort_block_merge_implIS3_N6thrust23THRUST_200600_302600_NS6detail15normal_iteratorINS9_10device_ptrIjEEEEPS5_m14custom_greaterIjEEE10hipError_tT0_T1_T2_jT3_P12ihipStream_tbPNSt15iterator_traitsISJ_E10value_typeEPNSP_ISK_E10value_typeEPSL_NS1_7vsmem_tEENKUlT_SJ_SK_SL_E_clIPjSE_SF_SF_EESI_SY_SJ_SK_SL_EUlSY_E1_NS1_11comp_targetILNS1_3genE0ELNS1_11target_archE4294967295ELNS1_3gpuE0ELNS1_3repE0EEENS1_36merge_oddeven_config_static_selectorELNS0_4arch9wavefront6targetE1EEEvSK_
; %bb.0:
	.section	.rodata,"a",@progbits
	.p2align	6, 0x0
	.amdhsa_kernel _ZN7rocprim17ROCPRIM_400000_NS6detail17trampoline_kernelINS0_14default_configENS1_38merge_sort_block_merge_config_selectorIjNS0_10empty_typeEEEZZNS1_27merge_sort_block_merge_implIS3_N6thrust23THRUST_200600_302600_NS6detail15normal_iteratorINS9_10device_ptrIjEEEEPS5_m14custom_greaterIjEEE10hipError_tT0_T1_T2_jT3_P12ihipStream_tbPNSt15iterator_traitsISJ_E10value_typeEPNSP_ISK_E10value_typeEPSL_NS1_7vsmem_tEENKUlT_SJ_SK_SL_E_clIPjSE_SF_SF_EESI_SY_SJ_SK_SL_EUlSY_E1_NS1_11comp_targetILNS1_3genE0ELNS1_11target_archE4294967295ELNS1_3gpuE0ELNS1_3repE0EEENS1_36merge_oddeven_config_static_selectorELNS0_4arch9wavefront6targetE1EEEvSK_
		.amdhsa_group_segment_fixed_size 0
		.amdhsa_private_segment_fixed_size 0
		.amdhsa_kernarg_size 56
		.amdhsa_user_sgpr_count 6
		.amdhsa_user_sgpr_private_segment_buffer 1
		.amdhsa_user_sgpr_dispatch_ptr 0
		.amdhsa_user_sgpr_queue_ptr 0
		.amdhsa_user_sgpr_kernarg_segment_ptr 1
		.amdhsa_user_sgpr_dispatch_id 0
		.amdhsa_user_sgpr_flat_scratch_init 0
		.amdhsa_user_sgpr_kernarg_preload_length 0
		.amdhsa_user_sgpr_kernarg_preload_offset 0
		.amdhsa_user_sgpr_private_segment_size 0
		.amdhsa_uses_dynamic_stack 0
		.amdhsa_system_sgpr_private_segment_wavefront_offset 0
		.amdhsa_system_sgpr_workgroup_id_x 1
		.amdhsa_system_sgpr_workgroup_id_y 0
		.amdhsa_system_sgpr_workgroup_id_z 0
		.amdhsa_system_sgpr_workgroup_info 0
		.amdhsa_system_vgpr_workitem_id 0
		.amdhsa_next_free_vgpr 1
		.amdhsa_next_free_sgpr 0
		.amdhsa_accum_offset 4
		.amdhsa_reserve_vcc 0
		.amdhsa_reserve_flat_scratch 0
		.amdhsa_float_round_mode_32 0
		.amdhsa_float_round_mode_16_64 0
		.amdhsa_float_denorm_mode_32 3
		.amdhsa_float_denorm_mode_16_64 3
		.amdhsa_dx10_clamp 1
		.amdhsa_ieee_mode 1
		.amdhsa_fp16_overflow 0
		.amdhsa_tg_split 0
		.amdhsa_exception_fp_ieee_invalid_op 0
		.amdhsa_exception_fp_denorm_src 0
		.amdhsa_exception_fp_ieee_div_zero 0
		.amdhsa_exception_fp_ieee_overflow 0
		.amdhsa_exception_fp_ieee_underflow 0
		.amdhsa_exception_fp_ieee_inexact 0
		.amdhsa_exception_int_div_zero 0
	.end_amdhsa_kernel
	.section	.text._ZN7rocprim17ROCPRIM_400000_NS6detail17trampoline_kernelINS0_14default_configENS1_38merge_sort_block_merge_config_selectorIjNS0_10empty_typeEEEZZNS1_27merge_sort_block_merge_implIS3_N6thrust23THRUST_200600_302600_NS6detail15normal_iteratorINS9_10device_ptrIjEEEEPS5_m14custom_greaterIjEEE10hipError_tT0_T1_T2_jT3_P12ihipStream_tbPNSt15iterator_traitsISJ_E10value_typeEPNSP_ISK_E10value_typeEPSL_NS1_7vsmem_tEENKUlT_SJ_SK_SL_E_clIPjSE_SF_SF_EESI_SY_SJ_SK_SL_EUlSY_E1_NS1_11comp_targetILNS1_3genE0ELNS1_11target_archE4294967295ELNS1_3gpuE0ELNS1_3repE0EEENS1_36merge_oddeven_config_static_selectorELNS0_4arch9wavefront6targetE1EEEvSK_,"axG",@progbits,_ZN7rocprim17ROCPRIM_400000_NS6detail17trampoline_kernelINS0_14default_configENS1_38merge_sort_block_merge_config_selectorIjNS0_10empty_typeEEEZZNS1_27merge_sort_block_merge_implIS3_N6thrust23THRUST_200600_302600_NS6detail15normal_iteratorINS9_10device_ptrIjEEEEPS5_m14custom_greaterIjEEE10hipError_tT0_T1_T2_jT3_P12ihipStream_tbPNSt15iterator_traitsISJ_E10value_typeEPNSP_ISK_E10value_typeEPSL_NS1_7vsmem_tEENKUlT_SJ_SK_SL_E_clIPjSE_SF_SF_EESI_SY_SJ_SK_SL_EUlSY_E1_NS1_11comp_targetILNS1_3genE0ELNS1_11target_archE4294967295ELNS1_3gpuE0ELNS1_3repE0EEENS1_36merge_oddeven_config_static_selectorELNS0_4arch9wavefront6targetE1EEEvSK_,comdat
.Lfunc_end3179:
	.size	_ZN7rocprim17ROCPRIM_400000_NS6detail17trampoline_kernelINS0_14default_configENS1_38merge_sort_block_merge_config_selectorIjNS0_10empty_typeEEEZZNS1_27merge_sort_block_merge_implIS3_N6thrust23THRUST_200600_302600_NS6detail15normal_iteratorINS9_10device_ptrIjEEEEPS5_m14custom_greaterIjEEE10hipError_tT0_T1_T2_jT3_P12ihipStream_tbPNSt15iterator_traitsISJ_E10value_typeEPNSP_ISK_E10value_typeEPSL_NS1_7vsmem_tEENKUlT_SJ_SK_SL_E_clIPjSE_SF_SF_EESI_SY_SJ_SK_SL_EUlSY_E1_NS1_11comp_targetILNS1_3genE0ELNS1_11target_archE4294967295ELNS1_3gpuE0ELNS1_3repE0EEENS1_36merge_oddeven_config_static_selectorELNS0_4arch9wavefront6targetE1EEEvSK_, .Lfunc_end3179-_ZN7rocprim17ROCPRIM_400000_NS6detail17trampoline_kernelINS0_14default_configENS1_38merge_sort_block_merge_config_selectorIjNS0_10empty_typeEEEZZNS1_27merge_sort_block_merge_implIS3_N6thrust23THRUST_200600_302600_NS6detail15normal_iteratorINS9_10device_ptrIjEEEEPS5_m14custom_greaterIjEEE10hipError_tT0_T1_T2_jT3_P12ihipStream_tbPNSt15iterator_traitsISJ_E10value_typeEPNSP_ISK_E10value_typeEPSL_NS1_7vsmem_tEENKUlT_SJ_SK_SL_E_clIPjSE_SF_SF_EESI_SY_SJ_SK_SL_EUlSY_E1_NS1_11comp_targetILNS1_3genE0ELNS1_11target_archE4294967295ELNS1_3gpuE0ELNS1_3repE0EEENS1_36merge_oddeven_config_static_selectorELNS0_4arch9wavefront6targetE1EEEvSK_
                                        ; -- End function
	.section	.AMDGPU.csdata,"",@progbits
; Kernel info:
; codeLenInByte = 0
; NumSgprs: 4
; NumVgprs: 0
; NumAgprs: 0
; TotalNumVgprs: 0
; ScratchSize: 0
; MemoryBound: 0
; FloatMode: 240
; IeeeMode: 1
; LDSByteSize: 0 bytes/workgroup (compile time only)
; SGPRBlocks: 0
; VGPRBlocks: 0
; NumSGPRsForWavesPerEU: 4
; NumVGPRsForWavesPerEU: 1
; AccumOffset: 4
; Occupancy: 8
; WaveLimiterHint : 0
; COMPUTE_PGM_RSRC2:SCRATCH_EN: 0
; COMPUTE_PGM_RSRC2:USER_SGPR: 6
; COMPUTE_PGM_RSRC2:TRAP_HANDLER: 0
; COMPUTE_PGM_RSRC2:TGID_X_EN: 1
; COMPUTE_PGM_RSRC2:TGID_Y_EN: 0
; COMPUTE_PGM_RSRC2:TGID_Z_EN: 0
; COMPUTE_PGM_RSRC2:TIDIG_COMP_CNT: 0
; COMPUTE_PGM_RSRC3_GFX90A:ACCUM_OFFSET: 0
; COMPUTE_PGM_RSRC3_GFX90A:TG_SPLIT: 0
	.section	.text._ZN7rocprim17ROCPRIM_400000_NS6detail17trampoline_kernelINS0_14default_configENS1_38merge_sort_block_merge_config_selectorIjNS0_10empty_typeEEEZZNS1_27merge_sort_block_merge_implIS3_N6thrust23THRUST_200600_302600_NS6detail15normal_iteratorINS9_10device_ptrIjEEEEPS5_m14custom_greaterIjEEE10hipError_tT0_T1_T2_jT3_P12ihipStream_tbPNSt15iterator_traitsISJ_E10value_typeEPNSP_ISK_E10value_typeEPSL_NS1_7vsmem_tEENKUlT_SJ_SK_SL_E_clIPjSE_SF_SF_EESI_SY_SJ_SK_SL_EUlSY_E1_NS1_11comp_targetILNS1_3genE10ELNS1_11target_archE1201ELNS1_3gpuE5ELNS1_3repE0EEENS1_36merge_oddeven_config_static_selectorELNS0_4arch9wavefront6targetE1EEEvSK_,"axG",@progbits,_ZN7rocprim17ROCPRIM_400000_NS6detail17trampoline_kernelINS0_14default_configENS1_38merge_sort_block_merge_config_selectorIjNS0_10empty_typeEEEZZNS1_27merge_sort_block_merge_implIS3_N6thrust23THRUST_200600_302600_NS6detail15normal_iteratorINS9_10device_ptrIjEEEEPS5_m14custom_greaterIjEEE10hipError_tT0_T1_T2_jT3_P12ihipStream_tbPNSt15iterator_traitsISJ_E10value_typeEPNSP_ISK_E10value_typeEPSL_NS1_7vsmem_tEENKUlT_SJ_SK_SL_E_clIPjSE_SF_SF_EESI_SY_SJ_SK_SL_EUlSY_E1_NS1_11comp_targetILNS1_3genE10ELNS1_11target_archE1201ELNS1_3gpuE5ELNS1_3repE0EEENS1_36merge_oddeven_config_static_selectorELNS0_4arch9wavefront6targetE1EEEvSK_,comdat
	.protected	_ZN7rocprim17ROCPRIM_400000_NS6detail17trampoline_kernelINS0_14default_configENS1_38merge_sort_block_merge_config_selectorIjNS0_10empty_typeEEEZZNS1_27merge_sort_block_merge_implIS3_N6thrust23THRUST_200600_302600_NS6detail15normal_iteratorINS9_10device_ptrIjEEEEPS5_m14custom_greaterIjEEE10hipError_tT0_T1_T2_jT3_P12ihipStream_tbPNSt15iterator_traitsISJ_E10value_typeEPNSP_ISK_E10value_typeEPSL_NS1_7vsmem_tEENKUlT_SJ_SK_SL_E_clIPjSE_SF_SF_EESI_SY_SJ_SK_SL_EUlSY_E1_NS1_11comp_targetILNS1_3genE10ELNS1_11target_archE1201ELNS1_3gpuE5ELNS1_3repE0EEENS1_36merge_oddeven_config_static_selectorELNS0_4arch9wavefront6targetE1EEEvSK_ ; -- Begin function _ZN7rocprim17ROCPRIM_400000_NS6detail17trampoline_kernelINS0_14default_configENS1_38merge_sort_block_merge_config_selectorIjNS0_10empty_typeEEEZZNS1_27merge_sort_block_merge_implIS3_N6thrust23THRUST_200600_302600_NS6detail15normal_iteratorINS9_10device_ptrIjEEEEPS5_m14custom_greaterIjEEE10hipError_tT0_T1_T2_jT3_P12ihipStream_tbPNSt15iterator_traitsISJ_E10value_typeEPNSP_ISK_E10value_typeEPSL_NS1_7vsmem_tEENKUlT_SJ_SK_SL_E_clIPjSE_SF_SF_EESI_SY_SJ_SK_SL_EUlSY_E1_NS1_11comp_targetILNS1_3genE10ELNS1_11target_archE1201ELNS1_3gpuE5ELNS1_3repE0EEENS1_36merge_oddeven_config_static_selectorELNS0_4arch9wavefront6targetE1EEEvSK_
	.globl	_ZN7rocprim17ROCPRIM_400000_NS6detail17trampoline_kernelINS0_14default_configENS1_38merge_sort_block_merge_config_selectorIjNS0_10empty_typeEEEZZNS1_27merge_sort_block_merge_implIS3_N6thrust23THRUST_200600_302600_NS6detail15normal_iteratorINS9_10device_ptrIjEEEEPS5_m14custom_greaterIjEEE10hipError_tT0_T1_T2_jT3_P12ihipStream_tbPNSt15iterator_traitsISJ_E10value_typeEPNSP_ISK_E10value_typeEPSL_NS1_7vsmem_tEENKUlT_SJ_SK_SL_E_clIPjSE_SF_SF_EESI_SY_SJ_SK_SL_EUlSY_E1_NS1_11comp_targetILNS1_3genE10ELNS1_11target_archE1201ELNS1_3gpuE5ELNS1_3repE0EEENS1_36merge_oddeven_config_static_selectorELNS0_4arch9wavefront6targetE1EEEvSK_
	.p2align	8
	.type	_ZN7rocprim17ROCPRIM_400000_NS6detail17trampoline_kernelINS0_14default_configENS1_38merge_sort_block_merge_config_selectorIjNS0_10empty_typeEEEZZNS1_27merge_sort_block_merge_implIS3_N6thrust23THRUST_200600_302600_NS6detail15normal_iteratorINS9_10device_ptrIjEEEEPS5_m14custom_greaterIjEEE10hipError_tT0_T1_T2_jT3_P12ihipStream_tbPNSt15iterator_traitsISJ_E10value_typeEPNSP_ISK_E10value_typeEPSL_NS1_7vsmem_tEENKUlT_SJ_SK_SL_E_clIPjSE_SF_SF_EESI_SY_SJ_SK_SL_EUlSY_E1_NS1_11comp_targetILNS1_3genE10ELNS1_11target_archE1201ELNS1_3gpuE5ELNS1_3repE0EEENS1_36merge_oddeven_config_static_selectorELNS0_4arch9wavefront6targetE1EEEvSK_,@function
_ZN7rocprim17ROCPRIM_400000_NS6detail17trampoline_kernelINS0_14default_configENS1_38merge_sort_block_merge_config_selectorIjNS0_10empty_typeEEEZZNS1_27merge_sort_block_merge_implIS3_N6thrust23THRUST_200600_302600_NS6detail15normal_iteratorINS9_10device_ptrIjEEEEPS5_m14custom_greaterIjEEE10hipError_tT0_T1_T2_jT3_P12ihipStream_tbPNSt15iterator_traitsISJ_E10value_typeEPNSP_ISK_E10value_typeEPSL_NS1_7vsmem_tEENKUlT_SJ_SK_SL_E_clIPjSE_SF_SF_EESI_SY_SJ_SK_SL_EUlSY_E1_NS1_11comp_targetILNS1_3genE10ELNS1_11target_archE1201ELNS1_3gpuE5ELNS1_3repE0EEENS1_36merge_oddeven_config_static_selectorELNS0_4arch9wavefront6targetE1EEEvSK_: ; @_ZN7rocprim17ROCPRIM_400000_NS6detail17trampoline_kernelINS0_14default_configENS1_38merge_sort_block_merge_config_selectorIjNS0_10empty_typeEEEZZNS1_27merge_sort_block_merge_implIS3_N6thrust23THRUST_200600_302600_NS6detail15normal_iteratorINS9_10device_ptrIjEEEEPS5_m14custom_greaterIjEEE10hipError_tT0_T1_T2_jT3_P12ihipStream_tbPNSt15iterator_traitsISJ_E10value_typeEPNSP_ISK_E10value_typeEPSL_NS1_7vsmem_tEENKUlT_SJ_SK_SL_E_clIPjSE_SF_SF_EESI_SY_SJ_SK_SL_EUlSY_E1_NS1_11comp_targetILNS1_3genE10ELNS1_11target_archE1201ELNS1_3gpuE5ELNS1_3repE0EEENS1_36merge_oddeven_config_static_selectorELNS0_4arch9wavefront6targetE1EEEvSK_
; %bb.0:
	.section	.rodata,"a",@progbits
	.p2align	6, 0x0
	.amdhsa_kernel _ZN7rocprim17ROCPRIM_400000_NS6detail17trampoline_kernelINS0_14default_configENS1_38merge_sort_block_merge_config_selectorIjNS0_10empty_typeEEEZZNS1_27merge_sort_block_merge_implIS3_N6thrust23THRUST_200600_302600_NS6detail15normal_iteratorINS9_10device_ptrIjEEEEPS5_m14custom_greaterIjEEE10hipError_tT0_T1_T2_jT3_P12ihipStream_tbPNSt15iterator_traitsISJ_E10value_typeEPNSP_ISK_E10value_typeEPSL_NS1_7vsmem_tEENKUlT_SJ_SK_SL_E_clIPjSE_SF_SF_EESI_SY_SJ_SK_SL_EUlSY_E1_NS1_11comp_targetILNS1_3genE10ELNS1_11target_archE1201ELNS1_3gpuE5ELNS1_3repE0EEENS1_36merge_oddeven_config_static_selectorELNS0_4arch9wavefront6targetE1EEEvSK_
		.amdhsa_group_segment_fixed_size 0
		.amdhsa_private_segment_fixed_size 0
		.amdhsa_kernarg_size 56
		.amdhsa_user_sgpr_count 6
		.amdhsa_user_sgpr_private_segment_buffer 1
		.amdhsa_user_sgpr_dispatch_ptr 0
		.amdhsa_user_sgpr_queue_ptr 0
		.amdhsa_user_sgpr_kernarg_segment_ptr 1
		.amdhsa_user_sgpr_dispatch_id 0
		.amdhsa_user_sgpr_flat_scratch_init 0
		.amdhsa_user_sgpr_kernarg_preload_length 0
		.amdhsa_user_sgpr_kernarg_preload_offset 0
		.amdhsa_user_sgpr_private_segment_size 0
		.amdhsa_uses_dynamic_stack 0
		.amdhsa_system_sgpr_private_segment_wavefront_offset 0
		.amdhsa_system_sgpr_workgroup_id_x 1
		.amdhsa_system_sgpr_workgroup_id_y 0
		.amdhsa_system_sgpr_workgroup_id_z 0
		.amdhsa_system_sgpr_workgroup_info 0
		.amdhsa_system_vgpr_workitem_id 0
		.amdhsa_next_free_vgpr 1
		.amdhsa_next_free_sgpr 0
		.amdhsa_accum_offset 4
		.amdhsa_reserve_vcc 0
		.amdhsa_reserve_flat_scratch 0
		.amdhsa_float_round_mode_32 0
		.amdhsa_float_round_mode_16_64 0
		.amdhsa_float_denorm_mode_32 3
		.amdhsa_float_denorm_mode_16_64 3
		.amdhsa_dx10_clamp 1
		.amdhsa_ieee_mode 1
		.amdhsa_fp16_overflow 0
		.amdhsa_tg_split 0
		.amdhsa_exception_fp_ieee_invalid_op 0
		.amdhsa_exception_fp_denorm_src 0
		.amdhsa_exception_fp_ieee_div_zero 0
		.amdhsa_exception_fp_ieee_overflow 0
		.amdhsa_exception_fp_ieee_underflow 0
		.amdhsa_exception_fp_ieee_inexact 0
		.amdhsa_exception_int_div_zero 0
	.end_amdhsa_kernel
	.section	.text._ZN7rocprim17ROCPRIM_400000_NS6detail17trampoline_kernelINS0_14default_configENS1_38merge_sort_block_merge_config_selectorIjNS0_10empty_typeEEEZZNS1_27merge_sort_block_merge_implIS3_N6thrust23THRUST_200600_302600_NS6detail15normal_iteratorINS9_10device_ptrIjEEEEPS5_m14custom_greaterIjEEE10hipError_tT0_T1_T2_jT3_P12ihipStream_tbPNSt15iterator_traitsISJ_E10value_typeEPNSP_ISK_E10value_typeEPSL_NS1_7vsmem_tEENKUlT_SJ_SK_SL_E_clIPjSE_SF_SF_EESI_SY_SJ_SK_SL_EUlSY_E1_NS1_11comp_targetILNS1_3genE10ELNS1_11target_archE1201ELNS1_3gpuE5ELNS1_3repE0EEENS1_36merge_oddeven_config_static_selectorELNS0_4arch9wavefront6targetE1EEEvSK_,"axG",@progbits,_ZN7rocprim17ROCPRIM_400000_NS6detail17trampoline_kernelINS0_14default_configENS1_38merge_sort_block_merge_config_selectorIjNS0_10empty_typeEEEZZNS1_27merge_sort_block_merge_implIS3_N6thrust23THRUST_200600_302600_NS6detail15normal_iteratorINS9_10device_ptrIjEEEEPS5_m14custom_greaterIjEEE10hipError_tT0_T1_T2_jT3_P12ihipStream_tbPNSt15iterator_traitsISJ_E10value_typeEPNSP_ISK_E10value_typeEPSL_NS1_7vsmem_tEENKUlT_SJ_SK_SL_E_clIPjSE_SF_SF_EESI_SY_SJ_SK_SL_EUlSY_E1_NS1_11comp_targetILNS1_3genE10ELNS1_11target_archE1201ELNS1_3gpuE5ELNS1_3repE0EEENS1_36merge_oddeven_config_static_selectorELNS0_4arch9wavefront6targetE1EEEvSK_,comdat
.Lfunc_end3180:
	.size	_ZN7rocprim17ROCPRIM_400000_NS6detail17trampoline_kernelINS0_14default_configENS1_38merge_sort_block_merge_config_selectorIjNS0_10empty_typeEEEZZNS1_27merge_sort_block_merge_implIS3_N6thrust23THRUST_200600_302600_NS6detail15normal_iteratorINS9_10device_ptrIjEEEEPS5_m14custom_greaterIjEEE10hipError_tT0_T1_T2_jT3_P12ihipStream_tbPNSt15iterator_traitsISJ_E10value_typeEPNSP_ISK_E10value_typeEPSL_NS1_7vsmem_tEENKUlT_SJ_SK_SL_E_clIPjSE_SF_SF_EESI_SY_SJ_SK_SL_EUlSY_E1_NS1_11comp_targetILNS1_3genE10ELNS1_11target_archE1201ELNS1_3gpuE5ELNS1_3repE0EEENS1_36merge_oddeven_config_static_selectorELNS0_4arch9wavefront6targetE1EEEvSK_, .Lfunc_end3180-_ZN7rocprim17ROCPRIM_400000_NS6detail17trampoline_kernelINS0_14default_configENS1_38merge_sort_block_merge_config_selectorIjNS0_10empty_typeEEEZZNS1_27merge_sort_block_merge_implIS3_N6thrust23THRUST_200600_302600_NS6detail15normal_iteratorINS9_10device_ptrIjEEEEPS5_m14custom_greaterIjEEE10hipError_tT0_T1_T2_jT3_P12ihipStream_tbPNSt15iterator_traitsISJ_E10value_typeEPNSP_ISK_E10value_typeEPSL_NS1_7vsmem_tEENKUlT_SJ_SK_SL_E_clIPjSE_SF_SF_EESI_SY_SJ_SK_SL_EUlSY_E1_NS1_11comp_targetILNS1_3genE10ELNS1_11target_archE1201ELNS1_3gpuE5ELNS1_3repE0EEENS1_36merge_oddeven_config_static_selectorELNS0_4arch9wavefront6targetE1EEEvSK_
                                        ; -- End function
	.section	.AMDGPU.csdata,"",@progbits
; Kernel info:
; codeLenInByte = 0
; NumSgprs: 4
; NumVgprs: 0
; NumAgprs: 0
; TotalNumVgprs: 0
; ScratchSize: 0
; MemoryBound: 0
; FloatMode: 240
; IeeeMode: 1
; LDSByteSize: 0 bytes/workgroup (compile time only)
; SGPRBlocks: 0
; VGPRBlocks: 0
; NumSGPRsForWavesPerEU: 4
; NumVGPRsForWavesPerEU: 1
; AccumOffset: 4
; Occupancy: 8
; WaveLimiterHint : 0
; COMPUTE_PGM_RSRC2:SCRATCH_EN: 0
; COMPUTE_PGM_RSRC2:USER_SGPR: 6
; COMPUTE_PGM_RSRC2:TRAP_HANDLER: 0
; COMPUTE_PGM_RSRC2:TGID_X_EN: 1
; COMPUTE_PGM_RSRC2:TGID_Y_EN: 0
; COMPUTE_PGM_RSRC2:TGID_Z_EN: 0
; COMPUTE_PGM_RSRC2:TIDIG_COMP_CNT: 0
; COMPUTE_PGM_RSRC3_GFX90A:ACCUM_OFFSET: 0
; COMPUTE_PGM_RSRC3_GFX90A:TG_SPLIT: 0
	.section	.text._ZN7rocprim17ROCPRIM_400000_NS6detail17trampoline_kernelINS0_14default_configENS1_38merge_sort_block_merge_config_selectorIjNS0_10empty_typeEEEZZNS1_27merge_sort_block_merge_implIS3_N6thrust23THRUST_200600_302600_NS6detail15normal_iteratorINS9_10device_ptrIjEEEEPS5_m14custom_greaterIjEEE10hipError_tT0_T1_T2_jT3_P12ihipStream_tbPNSt15iterator_traitsISJ_E10value_typeEPNSP_ISK_E10value_typeEPSL_NS1_7vsmem_tEENKUlT_SJ_SK_SL_E_clIPjSE_SF_SF_EESI_SY_SJ_SK_SL_EUlSY_E1_NS1_11comp_targetILNS1_3genE5ELNS1_11target_archE942ELNS1_3gpuE9ELNS1_3repE0EEENS1_36merge_oddeven_config_static_selectorELNS0_4arch9wavefront6targetE1EEEvSK_,"axG",@progbits,_ZN7rocprim17ROCPRIM_400000_NS6detail17trampoline_kernelINS0_14default_configENS1_38merge_sort_block_merge_config_selectorIjNS0_10empty_typeEEEZZNS1_27merge_sort_block_merge_implIS3_N6thrust23THRUST_200600_302600_NS6detail15normal_iteratorINS9_10device_ptrIjEEEEPS5_m14custom_greaterIjEEE10hipError_tT0_T1_T2_jT3_P12ihipStream_tbPNSt15iterator_traitsISJ_E10value_typeEPNSP_ISK_E10value_typeEPSL_NS1_7vsmem_tEENKUlT_SJ_SK_SL_E_clIPjSE_SF_SF_EESI_SY_SJ_SK_SL_EUlSY_E1_NS1_11comp_targetILNS1_3genE5ELNS1_11target_archE942ELNS1_3gpuE9ELNS1_3repE0EEENS1_36merge_oddeven_config_static_selectorELNS0_4arch9wavefront6targetE1EEEvSK_,comdat
	.protected	_ZN7rocprim17ROCPRIM_400000_NS6detail17trampoline_kernelINS0_14default_configENS1_38merge_sort_block_merge_config_selectorIjNS0_10empty_typeEEEZZNS1_27merge_sort_block_merge_implIS3_N6thrust23THRUST_200600_302600_NS6detail15normal_iteratorINS9_10device_ptrIjEEEEPS5_m14custom_greaterIjEEE10hipError_tT0_T1_T2_jT3_P12ihipStream_tbPNSt15iterator_traitsISJ_E10value_typeEPNSP_ISK_E10value_typeEPSL_NS1_7vsmem_tEENKUlT_SJ_SK_SL_E_clIPjSE_SF_SF_EESI_SY_SJ_SK_SL_EUlSY_E1_NS1_11comp_targetILNS1_3genE5ELNS1_11target_archE942ELNS1_3gpuE9ELNS1_3repE0EEENS1_36merge_oddeven_config_static_selectorELNS0_4arch9wavefront6targetE1EEEvSK_ ; -- Begin function _ZN7rocprim17ROCPRIM_400000_NS6detail17trampoline_kernelINS0_14default_configENS1_38merge_sort_block_merge_config_selectorIjNS0_10empty_typeEEEZZNS1_27merge_sort_block_merge_implIS3_N6thrust23THRUST_200600_302600_NS6detail15normal_iteratorINS9_10device_ptrIjEEEEPS5_m14custom_greaterIjEEE10hipError_tT0_T1_T2_jT3_P12ihipStream_tbPNSt15iterator_traitsISJ_E10value_typeEPNSP_ISK_E10value_typeEPSL_NS1_7vsmem_tEENKUlT_SJ_SK_SL_E_clIPjSE_SF_SF_EESI_SY_SJ_SK_SL_EUlSY_E1_NS1_11comp_targetILNS1_3genE5ELNS1_11target_archE942ELNS1_3gpuE9ELNS1_3repE0EEENS1_36merge_oddeven_config_static_selectorELNS0_4arch9wavefront6targetE1EEEvSK_
	.globl	_ZN7rocprim17ROCPRIM_400000_NS6detail17trampoline_kernelINS0_14default_configENS1_38merge_sort_block_merge_config_selectorIjNS0_10empty_typeEEEZZNS1_27merge_sort_block_merge_implIS3_N6thrust23THRUST_200600_302600_NS6detail15normal_iteratorINS9_10device_ptrIjEEEEPS5_m14custom_greaterIjEEE10hipError_tT0_T1_T2_jT3_P12ihipStream_tbPNSt15iterator_traitsISJ_E10value_typeEPNSP_ISK_E10value_typeEPSL_NS1_7vsmem_tEENKUlT_SJ_SK_SL_E_clIPjSE_SF_SF_EESI_SY_SJ_SK_SL_EUlSY_E1_NS1_11comp_targetILNS1_3genE5ELNS1_11target_archE942ELNS1_3gpuE9ELNS1_3repE0EEENS1_36merge_oddeven_config_static_selectorELNS0_4arch9wavefront6targetE1EEEvSK_
	.p2align	8
	.type	_ZN7rocprim17ROCPRIM_400000_NS6detail17trampoline_kernelINS0_14default_configENS1_38merge_sort_block_merge_config_selectorIjNS0_10empty_typeEEEZZNS1_27merge_sort_block_merge_implIS3_N6thrust23THRUST_200600_302600_NS6detail15normal_iteratorINS9_10device_ptrIjEEEEPS5_m14custom_greaterIjEEE10hipError_tT0_T1_T2_jT3_P12ihipStream_tbPNSt15iterator_traitsISJ_E10value_typeEPNSP_ISK_E10value_typeEPSL_NS1_7vsmem_tEENKUlT_SJ_SK_SL_E_clIPjSE_SF_SF_EESI_SY_SJ_SK_SL_EUlSY_E1_NS1_11comp_targetILNS1_3genE5ELNS1_11target_archE942ELNS1_3gpuE9ELNS1_3repE0EEENS1_36merge_oddeven_config_static_selectorELNS0_4arch9wavefront6targetE1EEEvSK_,@function
_ZN7rocprim17ROCPRIM_400000_NS6detail17trampoline_kernelINS0_14default_configENS1_38merge_sort_block_merge_config_selectorIjNS0_10empty_typeEEEZZNS1_27merge_sort_block_merge_implIS3_N6thrust23THRUST_200600_302600_NS6detail15normal_iteratorINS9_10device_ptrIjEEEEPS5_m14custom_greaterIjEEE10hipError_tT0_T1_T2_jT3_P12ihipStream_tbPNSt15iterator_traitsISJ_E10value_typeEPNSP_ISK_E10value_typeEPSL_NS1_7vsmem_tEENKUlT_SJ_SK_SL_E_clIPjSE_SF_SF_EESI_SY_SJ_SK_SL_EUlSY_E1_NS1_11comp_targetILNS1_3genE5ELNS1_11target_archE942ELNS1_3gpuE9ELNS1_3repE0EEENS1_36merge_oddeven_config_static_selectorELNS0_4arch9wavefront6targetE1EEEvSK_: ; @_ZN7rocprim17ROCPRIM_400000_NS6detail17trampoline_kernelINS0_14default_configENS1_38merge_sort_block_merge_config_selectorIjNS0_10empty_typeEEEZZNS1_27merge_sort_block_merge_implIS3_N6thrust23THRUST_200600_302600_NS6detail15normal_iteratorINS9_10device_ptrIjEEEEPS5_m14custom_greaterIjEEE10hipError_tT0_T1_T2_jT3_P12ihipStream_tbPNSt15iterator_traitsISJ_E10value_typeEPNSP_ISK_E10value_typeEPSL_NS1_7vsmem_tEENKUlT_SJ_SK_SL_E_clIPjSE_SF_SF_EESI_SY_SJ_SK_SL_EUlSY_E1_NS1_11comp_targetILNS1_3genE5ELNS1_11target_archE942ELNS1_3gpuE9ELNS1_3repE0EEENS1_36merge_oddeven_config_static_selectorELNS0_4arch9wavefront6targetE1EEEvSK_
; %bb.0:
	.section	.rodata,"a",@progbits
	.p2align	6, 0x0
	.amdhsa_kernel _ZN7rocprim17ROCPRIM_400000_NS6detail17trampoline_kernelINS0_14default_configENS1_38merge_sort_block_merge_config_selectorIjNS0_10empty_typeEEEZZNS1_27merge_sort_block_merge_implIS3_N6thrust23THRUST_200600_302600_NS6detail15normal_iteratorINS9_10device_ptrIjEEEEPS5_m14custom_greaterIjEEE10hipError_tT0_T1_T2_jT3_P12ihipStream_tbPNSt15iterator_traitsISJ_E10value_typeEPNSP_ISK_E10value_typeEPSL_NS1_7vsmem_tEENKUlT_SJ_SK_SL_E_clIPjSE_SF_SF_EESI_SY_SJ_SK_SL_EUlSY_E1_NS1_11comp_targetILNS1_3genE5ELNS1_11target_archE942ELNS1_3gpuE9ELNS1_3repE0EEENS1_36merge_oddeven_config_static_selectorELNS0_4arch9wavefront6targetE1EEEvSK_
		.amdhsa_group_segment_fixed_size 0
		.amdhsa_private_segment_fixed_size 0
		.amdhsa_kernarg_size 56
		.amdhsa_user_sgpr_count 6
		.amdhsa_user_sgpr_private_segment_buffer 1
		.amdhsa_user_sgpr_dispatch_ptr 0
		.amdhsa_user_sgpr_queue_ptr 0
		.amdhsa_user_sgpr_kernarg_segment_ptr 1
		.amdhsa_user_sgpr_dispatch_id 0
		.amdhsa_user_sgpr_flat_scratch_init 0
		.amdhsa_user_sgpr_kernarg_preload_length 0
		.amdhsa_user_sgpr_kernarg_preload_offset 0
		.amdhsa_user_sgpr_private_segment_size 0
		.amdhsa_uses_dynamic_stack 0
		.amdhsa_system_sgpr_private_segment_wavefront_offset 0
		.amdhsa_system_sgpr_workgroup_id_x 1
		.amdhsa_system_sgpr_workgroup_id_y 0
		.amdhsa_system_sgpr_workgroup_id_z 0
		.amdhsa_system_sgpr_workgroup_info 0
		.amdhsa_system_vgpr_workitem_id 0
		.amdhsa_next_free_vgpr 1
		.amdhsa_next_free_sgpr 0
		.amdhsa_accum_offset 4
		.amdhsa_reserve_vcc 0
		.amdhsa_reserve_flat_scratch 0
		.amdhsa_float_round_mode_32 0
		.amdhsa_float_round_mode_16_64 0
		.amdhsa_float_denorm_mode_32 3
		.amdhsa_float_denorm_mode_16_64 3
		.amdhsa_dx10_clamp 1
		.amdhsa_ieee_mode 1
		.amdhsa_fp16_overflow 0
		.amdhsa_tg_split 0
		.amdhsa_exception_fp_ieee_invalid_op 0
		.amdhsa_exception_fp_denorm_src 0
		.amdhsa_exception_fp_ieee_div_zero 0
		.amdhsa_exception_fp_ieee_overflow 0
		.amdhsa_exception_fp_ieee_underflow 0
		.amdhsa_exception_fp_ieee_inexact 0
		.amdhsa_exception_int_div_zero 0
	.end_amdhsa_kernel
	.section	.text._ZN7rocprim17ROCPRIM_400000_NS6detail17trampoline_kernelINS0_14default_configENS1_38merge_sort_block_merge_config_selectorIjNS0_10empty_typeEEEZZNS1_27merge_sort_block_merge_implIS3_N6thrust23THRUST_200600_302600_NS6detail15normal_iteratorINS9_10device_ptrIjEEEEPS5_m14custom_greaterIjEEE10hipError_tT0_T1_T2_jT3_P12ihipStream_tbPNSt15iterator_traitsISJ_E10value_typeEPNSP_ISK_E10value_typeEPSL_NS1_7vsmem_tEENKUlT_SJ_SK_SL_E_clIPjSE_SF_SF_EESI_SY_SJ_SK_SL_EUlSY_E1_NS1_11comp_targetILNS1_3genE5ELNS1_11target_archE942ELNS1_3gpuE9ELNS1_3repE0EEENS1_36merge_oddeven_config_static_selectorELNS0_4arch9wavefront6targetE1EEEvSK_,"axG",@progbits,_ZN7rocprim17ROCPRIM_400000_NS6detail17trampoline_kernelINS0_14default_configENS1_38merge_sort_block_merge_config_selectorIjNS0_10empty_typeEEEZZNS1_27merge_sort_block_merge_implIS3_N6thrust23THRUST_200600_302600_NS6detail15normal_iteratorINS9_10device_ptrIjEEEEPS5_m14custom_greaterIjEEE10hipError_tT0_T1_T2_jT3_P12ihipStream_tbPNSt15iterator_traitsISJ_E10value_typeEPNSP_ISK_E10value_typeEPSL_NS1_7vsmem_tEENKUlT_SJ_SK_SL_E_clIPjSE_SF_SF_EESI_SY_SJ_SK_SL_EUlSY_E1_NS1_11comp_targetILNS1_3genE5ELNS1_11target_archE942ELNS1_3gpuE9ELNS1_3repE0EEENS1_36merge_oddeven_config_static_selectorELNS0_4arch9wavefront6targetE1EEEvSK_,comdat
.Lfunc_end3181:
	.size	_ZN7rocprim17ROCPRIM_400000_NS6detail17trampoline_kernelINS0_14default_configENS1_38merge_sort_block_merge_config_selectorIjNS0_10empty_typeEEEZZNS1_27merge_sort_block_merge_implIS3_N6thrust23THRUST_200600_302600_NS6detail15normal_iteratorINS9_10device_ptrIjEEEEPS5_m14custom_greaterIjEEE10hipError_tT0_T1_T2_jT3_P12ihipStream_tbPNSt15iterator_traitsISJ_E10value_typeEPNSP_ISK_E10value_typeEPSL_NS1_7vsmem_tEENKUlT_SJ_SK_SL_E_clIPjSE_SF_SF_EESI_SY_SJ_SK_SL_EUlSY_E1_NS1_11comp_targetILNS1_3genE5ELNS1_11target_archE942ELNS1_3gpuE9ELNS1_3repE0EEENS1_36merge_oddeven_config_static_selectorELNS0_4arch9wavefront6targetE1EEEvSK_, .Lfunc_end3181-_ZN7rocprim17ROCPRIM_400000_NS6detail17trampoline_kernelINS0_14default_configENS1_38merge_sort_block_merge_config_selectorIjNS0_10empty_typeEEEZZNS1_27merge_sort_block_merge_implIS3_N6thrust23THRUST_200600_302600_NS6detail15normal_iteratorINS9_10device_ptrIjEEEEPS5_m14custom_greaterIjEEE10hipError_tT0_T1_T2_jT3_P12ihipStream_tbPNSt15iterator_traitsISJ_E10value_typeEPNSP_ISK_E10value_typeEPSL_NS1_7vsmem_tEENKUlT_SJ_SK_SL_E_clIPjSE_SF_SF_EESI_SY_SJ_SK_SL_EUlSY_E1_NS1_11comp_targetILNS1_3genE5ELNS1_11target_archE942ELNS1_3gpuE9ELNS1_3repE0EEENS1_36merge_oddeven_config_static_selectorELNS0_4arch9wavefront6targetE1EEEvSK_
                                        ; -- End function
	.section	.AMDGPU.csdata,"",@progbits
; Kernel info:
; codeLenInByte = 0
; NumSgprs: 4
; NumVgprs: 0
; NumAgprs: 0
; TotalNumVgprs: 0
; ScratchSize: 0
; MemoryBound: 0
; FloatMode: 240
; IeeeMode: 1
; LDSByteSize: 0 bytes/workgroup (compile time only)
; SGPRBlocks: 0
; VGPRBlocks: 0
; NumSGPRsForWavesPerEU: 4
; NumVGPRsForWavesPerEU: 1
; AccumOffset: 4
; Occupancy: 8
; WaveLimiterHint : 0
; COMPUTE_PGM_RSRC2:SCRATCH_EN: 0
; COMPUTE_PGM_RSRC2:USER_SGPR: 6
; COMPUTE_PGM_RSRC2:TRAP_HANDLER: 0
; COMPUTE_PGM_RSRC2:TGID_X_EN: 1
; COMPUTE_PGM_RSRC2:TGID_Y_EN: 0
; COMPUTE_PGM_RSRC2:TGID_Z_EN: 0
; COMPUTE_PGM_RSRC2:TIDIG_COMP_CNT: 0
; COMPUTE_PGM_RSRC3_GFX90A:ACCUM_OFFSET: 0
; COMPUTE_PGM_RSRC3_GFX90A:TG_SPLIT: 0
	.section	.text._ZN7rocprim17ROCPRIM_400000_NS6detail17trampoline_kernelINS0_14default_configENS1_38merge_sort_block_merge_config_selectorIjNS0_10empty_typeEEEZZNS1_27merge_sort_block_merge_implIS3_N6thrust23THRUST_200600_302600_NS6detail15normal_iteratorINS9_10device_ptrIjEEEEPS5_m14custom_greaterIjEEE10hipError_tT0_T1_T2_jT3_P12ihipStream_tbPNSt15iterator_traitsISJ_E10value_typeEPNSP_ISK_E10value_typeEPSL_NS1_7vsmem_tEENKUlT_SJ_SK_SL_E_clIPjSE_SF_SF_EESI_SY_SJ_SK_SL_EUlSY_E1_NS1_11comp_targetILNS1_3genE4ELNS1_11target_archE910ELNS1_3gpuE8ELNS1_3repE0EEENS1_36merge_oddeven_config_static_selectorELNS0_4arch9wavefront6targetE1EEEvSK_,"axG",@progbits,_ZN7rocprim17ROCPRIM_400000_NS6detail17trampoline_kernelINS0_14default_configENS1_38merge_sort_block_merge_config_selectorIjNS0_10empty_typeEEEZZNS1_27merge_sort_block_merge_implIS3_N6thrust23THRUST_200600_302600_NS6detail15normal_iteratorINS9_10device_ptrIjEEEEPS5_m14custom_greaterIjEEE10hipError_tT0_T1_T2_jT3_P12ihipStream_tbPNSt15iterator_traitsISJ_E10value_typeEPNSP_ISK_E10value_typeEPSL_NS1_7vsmem_tEENKUlT_SJ_SK_SL_E_clIPjSE_SF_SF_EESI_SY_SJ_SK_SL_EUlSY_E1_NS1_11comp_targetILNS1_3genE4ELNS1_11target_archE910ELNS1_3gpuE8ELNS1_3repE0EEENS1_36merge_oddeven_config_static_selectorELNS0_4arch9wavefront6targetE1EEEvSK_,comdat
	.protected	_ZN7rocprim17ROCPRIM_400000_NS6detail17trampoline_kernelINS0_14default_configENS1_38merge_sort_block_merge_config_selectorIjNS0_10empty_typeEEEZZNS1_27merge_sort_block_merge_implIS3_N6thrust23THRUST_200600_302600_NS6detail15normal_iteratorINS9_10device_ptrIjEEEEPS5_m14custom_greaterIjEEE10hipError_tT0_T1_T2_jT3_P12ihipStream_tbPNSt15iterator_traitsISJ_E10value_typeEPNSP_ISK_E10value_typeEPSL_NS1_7vsmem_tEENKUlT_SJ_SK_SL_E_clIPjSE_SF_SF_EESI_SY_SJ_SK_SL_EUlSY_E1_NS1_11comp_targetILNS1_3genE4ELNS1_11target_archE910ELNS1_3gpuE8ELNS1_3repE0EEENS1_36merge_oddeven_config_static_selectorELNS0_4arch9wavefront6targetE1EEEvSK_ ; -- Begin function _ZN7rocprim17ROCPRIM_400000_NS6detail17trampoline_kernelINS0_14default_configENS1_38merge_sort_block_merge_config_selectorIjNS0_10empty_typeEEEZZNS1_27merge_sort_block_merge_implIS3_N6thrust23THRUST_200600_302600_NS6detail15normal_iteratorINS9_10device_ptrIjEEEEPS5_m14custom_greaterIjEEE10hipError_tT0_T1_T2_jT3_P12ihipStream_tbPNSt15iterator_traitsISJ_E10value_typeEPNSP_ISK_E10value_typeEPSL_NS1_7vsmem_tEENKUlT_SJ_SK_SL_E_clIPjSE_SF_SF_EESI_SY_SJ_SK_SL_EUlSY_E1_NS1_11comp_targetILNS1_3genE4ELNS1_11target_archE910ELNS1_3gpuE8ELNS1_3repE0EEENS1_36merge_oddeven_config_static_selectorELNS0_4arch9wavefront6targetE1EEEvSK_
	.globl	_ZN7rocprim17ROCPRIM_400000_NS6detail17trampoline_kernelINS0_14default_configENS1_38merge_sort_block_merge_config_selectorIjNS0_10empty_typeEEEZZNS1_27merge_sort_block_merge_implIS3_N6thrust23THRUST_200600_302600_NS6detail15normal_iteratorINS9_10device_ptrIjEEEEPS5_m14custom_greaterIjEEE10hipError_tT0_T1_T2_jT3_P12ihipStream_tbPNSt15iterator_traitsISJ_E10value_typeEPNSP_ISK_E10value_typeEPSL_NS1_7vsmem_tEENKUlT_SJ_SK_SL_E_clIPjSE_SF_SF_EESI_SY_SJ_SK_SL_EUlSY_E1_NS1_11comp_targetILNS1_3genE4ELNS1_11target_archE910ELNS1_3gpuE8ELNS1_3repE0EEENS1_36merge_oddeven_config_static_selectorELNS0_4arch9wavefront6targetE1EEEvSK_
	.p2align	8
	.type	_ZN7rocprim17ROCPRIM_400000_NS6detail17trampoline_kernelINS0_14default_configENS1_38merge_sort_block_merge_config_selectorIjNS0_10empty_typeEEEZZNS1_27merge_sort_block_merge_implIS3_N6thrust23THRUST_200600_302600_NS6detail15normal_iteratorINS9_10device_ptrIjEEEEPS5_m14custom_greaterIjEEE10hipError_tT0_T1_T2_jT3_P12ihipStream_tbPNSt15iterator_traitsISJ_E10value_typeEPNSP_ISK_E10value_typeEPSL_NS1_7vsmem_tEENKUlT_SJ_SK_SL_E_clIPjSE_SF_SF_EESI_SY_SJ_SK_SL_EUlSY_E1_NS1_11comp_targetILNS1_3genE4ELNS1_11target_archE910ELNS1_3gpuE8ELNS1_3repE0EEENS1_36merge_oddeven_config_static_selectorELNS0_4arch9wavefront6targetE1EEEvSK_,@function
_ZN7rocprim17ROCPRIM_400000_NS6detail17trampoline_kernelINS0_14default_configENS1_38merge_sort_block_merge_config_selectorIjNS0_10empty_typeEEEZZNS1_27merge_sort_block_merge_implIS3_N6thrust23THRUST_200600_302600_NS6detail15normal_iteratorINS9_10device_ptrIjEEEEPS5_m14custom_greaterIjEEE10hipError_tT0_T1_T2_jT3_P12ihipStream_tbPNSt15iterator_traitsISJ_E10value_typeEPNSP_ISK_E10value_typeEPSL_NS1_7vsmem_tEENKUlT_SJ_SK_SL_E_clIPjSE_SF_SF_EESI_SY_SJ_SK_SL_EUlSY_E1_NS1_11comp_targetILNS1_3genE4ELNS1_11target_archE910ELNS1_3gpuE8ELNS1_3repE0EEENS1_36merge_oddeven_config_static_selectorELNS0_4arch9wavefront6targetE1EEEvSK_: ; @_ZN7rocprim17ROCPRIM_400000_NS6detail17trampoline_kernelINS0_14default_configENS1_38merge_sort_block_merge_config_selectorIjNS0_10empty_typeEEEZZNS1_27merge_sort_block_merge_implIS3_N6thrust23THRUST_200600_302600_NS6detail15normal_iteratorINS9_10device_ptrIjEEEEPS5_m14custom_greaterIjEEE10hipError_tT0_T1_T2_jT3_P12ihipStream_tbPNSt15iterator_traitsISJ_E10value_typeEPNSP_ISK_E10value_typeEPSL_NS1_7vsmem_tEENKUlT_SJ_SK_SL_E_clIPjSE_SF_SF_EESI_SY_SJ_SK_SL_EUlSY_E1_NS1_11comp_targetILNS1_3genE4ELNS1_11target_archE910ELNS1_3gpuE8ELNS1_3repE0EEENS1_36merge_oddeven_config_static_selectorELNS0_4arch9wavefront6targetE1EEEvSK_
; %bb.0:
	s_load_dword s18, s[4:5], 0x20
	s_waitcnt lgkmcnt(0)
	s_lshr_b32 s0, s18, 8
	s_cmp_lg_u32 s6, s0
	s_cselect_b64 s[14:15], -1, 0
	s_cmp_eq_u32 s6, s0
	s_cselect_b64 s[12:13], -1, 0
	s_lshl_b32 s16, s6, 8
	s_sub_i32 s0, s18, s16
	v_cmp_gt_u32_e64 s[2:3], s0, v0
	s_or_b64 s[0:1], s[14:15], s[2:3]
	s_and_saveexec_b64 s[8:9], s[0:1]
	s_cbranch_execz .LBB3182_20
; %bb.1:
	s_load_dwordx4 s[8:11], s[4:5], 0x0
	s_load_dword s19, s[4:5], 0x28
	s_mov_b32 s17, 0
	s_lshl_b64 s[0:1], s[16:17], 2
	v_lshlrev_b32_e32 v1, 2, v0
	s_waitcnt lgkmcnt(0)
	s_add_u32 s0, s8, s0
	s_addc_u32 s1, s9, s1
	global_load_dword v2, v1, s[0:1]
	s_lshr_b32 s0, s19, 8
	s_sub_i32 s1, 0, s0
	s_and_b32 s1, s6, s1
	s_and_b32 s0, s1, s0
	s_lshl_b32 s20, s1, 8
	s_sub_i32 s6, 0, s19
	s_cmp_eq_u32 s0, 0
	s_cselect_b64 s[0:1], -1, 0
	s_and_b64 s[4:5], s[0:1], exec
	s_cselect_b32 s17, s19, s6
	s_add_i32 s17, s17, s20
	s_cmp_lt_u32 s17, s18
	v_add_u32_e32 v0, s16, v0
	s_cbranch_scc1 .LBB3182_3
; %bb.2:
	v_cmp_gt_u32_e32 vcc, s18, v0
	s_or_b64 s[4:5], vcc, s[14:15]
	s_and_b64 s[4:5], s[4:5], exec
	s_cbranch_execz .LBB3182_4
	s_branch .LBB3182_18
.LBB3182_3:
	s_mov_b64 s[4:5], 0
.LBB3182_4:
	s_min_u32 s14, s17, s18
	s_add_i32 s6, s14, s19
	s_min_u32 s15, s6, s18
	s_min_u32 s6, s20, s14
	s_add_i32 s20, s20, s14
	v_subrev_u32_e32 v0, s20, v0
	v_add_u32_e32 v3, s6, v0
	s_and_b64 vcc, exec, s[12:13]
	s_cbranch_vccz .LBB3182_12
; %bb.5:
                                        ; implicit-def: $vgpr0
	s_and_saveexec_b64 s[6:7], s[2:3]
	s_cbranch_execz .LBB3182_11
; %bb.6:
	s_cmp_ge_u32 s17, s15
	v_mov_b32_e32 v4, s14
	s_cbranch_scc1 .LBB3182_10
; %bb.7:
	s_mov_b64 s[2:3], 0
	v_mov_b32_e32 v5, s15
	v_mov_b32_e32 v4, s14
	;; [unrolled: 1-line block ×4, first 2 shown]
.LBB3182_8:                             ; =>This Inner Loop Header: Depth=1
	v_add_u32_e32 v0, v4, v5
	v_lshrrev_b32_e32 v0, 1, v0
	v_lshlrev_b64 v[8:9], 2, v[0:1]
	v_add_co_u32_e32 v8, vcc, s8, v8
	v_addc_co_u32_e32 v9, vcc, v6, v9, vcc
	global_load_dword v7, v[8:9], off
	v_add_u32_e32 v8, 1, v0
	s_waitcnt vmcnt(0)
	v_cmp_gt_u32_e32 vcc, v2, v7
	v_cndmask_b32_e64 v9, 0, 1, vcc
	v_cmp_le_u32_e32 vcc, v7, v2
	v_cndmask_b32_e64 v7, 0, 1, vcc
	v_cndmask_b32_e64 v7, v7, v9, s[0:1]
	v_and_b32_e32 v7, 1, v7
	v_cmp_eq_u32_e32 vcc, 1, v7
	v_cndmask_b32_e32 v5, v0, v5, vcc
	v_cndmask_b32_e32 v4, v4, v8, vcc
	v_cmp_ge_u32_e32 vcc, v4, v5
	s_or_b64 s[2:3], vcc, s[2:3]
	s_andn2_b64 exec, exec, s[2:3]
	s_cbranch_execnz .LBB3182_8
; %bb.9:
	s_or_b64 exec, exec, s[2:3]
.LBB3182_10:
	v_add_u32_e32 v0, v4, v3
	s_or_b64 s[4:5], s[4:5], exec
.LBB3182_11:
	s_or_b64 exec, exec, s[6:7]
	s_branch .LBB3182_18
.LBB3182_12:
                                        ; implicit-def: $vgpr0
	s_cbranch_execz .LBB3182_18
; %bb.13:
	s_cmp_ge_u32 s17, s15
	v_mov_b32_e32 v4, s14
	s_cbranch_scc1 .LBB3182_17
; %bb.14:
	s_mov_b64 s[2:3], 0
	v_mov_b32_e32 v5, s15
	v_mov_b32_e32 v4, s14
	;; [unrolled: 1-line block ×4, first 2 shown]
.LBB3182_15:                            ; =>This Inner Loop Header: Depth=1
	v_add_u32_e32 v0, v4, v5
	v_lshrrev_b32_e32 v0, 1, v0
	v_lshlrev_b64 v[8:9], 2, v[0:1]
	v_add_co_u32_e32 v8, vcc, s8, v8
	v_addc_co_u32_e32 v9, vcc, v6, v9, vcc
	global_load_dword v7, v[8:9], off
	v_add_u32_e32 v8, 1, v0
	s_waitcnt vmcnt(0)
	v_cmp_gt_u32_e32 vcc, v2, v7
	v_cndmask_b32_e64 v9, 0, 1, vcc
	v_cmp_le_u32_e32 vcc, v7, v2
	v_cndmask_b32_e64 v7, 0, 1, vcc
	v_cndmask_b32_e64 v7, v7, v9, s[0:1]
	v_and_b32_e32 v7, 1, v7
	v_cmp_eq_u32_e32 vcc, 1, v7
	v_cndmask_b32_e32 v5, v0, v5, vcc
	v_cndmask_b32_e32 v4, v4, v8, vcc
	v_cmp_ge_u32_e32 vcc, v4, v5
	s_or_b64 s[2:3], vcc, s[2:3]
	s_andn2_b64 exec, exec, s[2:3]
	s_cbranch_execnz .LBB3182_15
; %bb.16:
	s_or_b64 exec, exec, s[2:3]
.LBB3182_17:
	v_add_u32_e32 v0, v4, v3
	s_mov_b64 s[4:5], -1
.LBB3182_18:
	s_and_b64 exec, exec, s[4:5]
	s_cbranch_execz .LBB3182_20
; %bb.19:
	v_mov_b32_e32 v1, 0
	v_lshlrev_b64 v[0:1], 2, v[0:1]
	v_mov_b32_e32 v3, s11
	v_add_co_u32_e32 v0, vcc, s10, v0
	v_addc_co_u32_e32 v1, vcc, v3, v1, vcc
	s_waitcnt vmcnt(0)
	global_store_dword v[0:1], v2, off
.LBB3182_20:
	s_endpgm
	.section	.rodata,"a",@progbits
	.p2align	6, 0x0
	.amdhsa_kernel _ZN7rocprim17ROCPRIM_400000_NS6detail17trampoline_kernelINS0_14default_configENS1_38merge_sort_block_merge_config_selectorIjNS0_10empty_typeEEEZZNS1_27merge_sort_block_merge_implIS3_N6thrust23THRUST_200600_302600_NS6detail15normal_iteratorINS9_10device_ptrIjEEEEPS5_m14custom_greaterIjEEE10hipError_tT0_T1_T2_jT3_P12ihipStream_tbPNSt15iterator_traitsISJ_E10value_typeEPNSP_ISK_E10value_typeEPSL_NS1_7vsmem_tEENKUlT_SJ_SK_SL_E_clIPjSE_SF_SF_EESI_SY_SJ_SK_SL_EUlSY_E1_NS1_11comp_targetILNS1_3genE4ELNS1_11target_archE910ELNS1_3gpuE8ELNS1_3repE0EEENS1_36merge_oddeven_config_static_selectorELNS0_4arch9wavefront6targetE1EEEvSK_
		.amdhsa_group_segment_fixed_size 0
		.amdhsa_private_segment_fixed_size 0
		.amdhsa_kernarg_size 56
		.amdhsa_user_sgpr_count 6
		.amdhsa_user_sgpr_private_segment_buffer 1
		.amdhsa_user_sgpr_dispatch_ptr 0
		.amdhsa_user_sgpr_queue_ptr 0
		.amdhsa_user_sgpr_kernarg_segment_ptr 1
		.amdhsa_user_sgpr_dispatch_id 0
		.amdhsa_user_sgpr_flat_scratch_init 0
		.amdhsa_user_sgpr_kernarg_preload_length 0
		.amdhsa_user_sgpr_kernarg_preload_offset 0
		.amdhsa_user_sgpr_private_segment_size 0
		.amdhsa_uses_dynamic_stack 0
		.amdhsa_system_sgpr_private_segment_wavefront_offset 0
		.amdhsa_system_sgpr_workgroup_id_x 1
		.amdhsa_system_sgpr_workgroup_id_y 0
		.amdhsa_system_sgpr_workgroup_id_z 0
		.amdhsa_system_sgpr_workgroup_info 0
		.amdhsa_system_vgpr_workitem_id 0
		.amdhsa_next_free_vgpr 10
		.amdhsa_next_free_sgpr 21
		.amdhsa_accum_offset 12
		.amdhsa_reserve_vcc 1
		.amdhsa_reserve_flat_scratch 0
		.amdhsa_float_round_mode_32 0
		.amdhsa_float_round_mode_16_64 0
		.amdhsa_float_denorm_mode_32 3
		.amdhsa_float_denorm_mode_16_64 3
		.amdhsa_dx10_clamp 1
		.amdhsa_ieee_mode 1
		.amdhsa_fp16_overflow 0
		.amdhsa_tg_split 0
		.amdhsa_exception_fp_ieee_invalid_op 0
		.amdhsa_exception_fp_denorm_src 0
		.amdhsa_exception_fp_ieee_div_zero 0
		.amdhsa_exception_fp_ieee_overflow 0
		.amdhsa_exception_fp_ieee_underflow 0
		.amdhsa_exception_fp_ieee_inexact 0
		.amdhsa_exception_int_div_zero 0
	.end_amdhsa_kernel
	.section	.text._ZN7rocprim17ROCPRIM_400000_NS6detail17trampoline_kernelINS0_14default_configENS1_38merge_sort_block_merge_config_selectorIjNS0_10empty_typeEEEZZNS1_27merge_sort_block_merge_implIS3_N6thrust23THRUST_200600_302600_NS6detail15normal_iteratorINS9_10device_ptrIjEEEEPS5_m14custom_greaterIjEEE10hipError_tT0_T1_T2_jT3_P12ihipStream_tbPNSt15iterator_traitsISJ_E10value_typeEPNSP_ISK_E10value_typeEPSL_NS1_7vsmem_tEENKUlT_SJ_SK_SL_E_clIPjSE_SF_SF_EESI_SY_SJ_SK_SL_EUlSY_E1_NS1_11comp_targetILNS1_3genE4ELNS1_11target_archE910ELNS1_3gpuE8ELNS1_3repE0EEENS1_36merge_oddeven_config_static_selectorELNS0_4arch9wavefront6targetE1EEEvSK_,"axG",@progbits,_ZN7rocprim17ROCPRIM_400000_NS6detail17trampoline_kernelINS0_14default_configENS1_38merge_sort_block_merge_config_selectorIjNS0_10empty_typeEEEZZNS1_27merge_sort_block_merge_implIS3_N6thrust23THRUST_200600_302600_NS6detail15normal_iteratorINS9_10device_ptrIjEEEEPS5_m14custom_greaterIjEEE10hipError_tT0_T1_T2_jT3_P12ihipStream_tbPNSt15iterator_traitsISJ_E10value_typeEPNSP_ISK_E10value_typeEPSL_NS1_7vsmem_tEENKUlT_SJ_SK_SL_E_clIPjSE_SF_SF_EESI_SY_SJ_SK_SL_EUlSY_E1_NS1_11comp_targetILNS1_3genE4ELNS1_11target_archE910ELNS1_3gpuE8ELNS1_3repE0EEENS1_36merge_oddeven_config_static_selectorELNS0_4arch9wavefront6targetE1EEEvSK_,comdat
.Lfunc_end3182:
	.size	_ZN7rocprim17ROCPRIM_400000_NS6detail17trampoline_kernelINS0_14default_configENS1_38merge_sort_block_merge_config_selectorIjNS0_10empty_typeEEEZZNS1_27merge_sort_block_merge_implIS3_N6thrust23THRUST_200600_302600_NS6detail15normal_iteratorINS9_10device_ptrIjEEEEPS5_m14custom_greaterIjEEE10hipError_tT0_T1_T2_jT3_P12ihipStream_tbPNSt15iterator_traitsISJ_E10value_typeEPNSP_ISK_E10value_typeEPSL_NS1_7vsmem_tEENKUlT_SJ_SK_SL_E_clIPjSE_SF_SF_EESI_SY_SJ_SK_SL_EUlSY_E1_NS1_11comp_targetILNS1_3genE4ELNS1_11target_archE910ELNS1_3gpuE8ELNS1_3repE0EEENS1_36merge_oddeven_config_static_selectorELNS0_4arch9wavefront6targetE1EEEvSK_, .Lfunc_end3182-_ZN7rocprim17ROCPRIM_400000_NS6detail17trampoline_kernelINS0_14default_configENS1_38merge_sort_block_merge_config_selectorIjNS0_10empty_typeEEEZZNS1_27merge_sort_block_merge_implIS3_N6thrust23THRUST_200600_302600_NS6detail15normal_iteratorINS9_10device_ptrIjEEEEPS5_m14custom_greaterIjEEE10hipError_tT0_T1_T2_jT3_P12ihipStream_tbPNSt15iterator_traitsISJ_E10value_typeEPNSP_ISK_E10value_typeEPSL_NS1_7vsmem_tEENKUlT_SJ_SK_SL_E_clIPjSE_SF_SF_EESI_SY_SJ_SK_SL_EUlSY_E1_NS1_11comp_targetILNS1_3genE4ELNS1_11target_archE910ELNS1_3gpuE8ELNS1_3repE0EEENS1_36merge_oddeven_config_static_selectorELNS0_4arch9wavefront6targetE1EEEvSK_
                                        ; -- End function
	.section	.AMDGPU.csdata,"",@progbits
; Kernel info:
; codeLenInByte = 588
; NumSgprs: 25
; NumVgprs: 10
; NumAgprs: 0
; TotalNumVgprs: 10
; ScratchSize: 0
; MemoryBound: 0
; FloatMode: 240
; IeeeMode: 1
; LDSByteSize: 0 bytes/workgroup (compile time only)
; SGPRBlocks: 3
; VGPRBlocks: 1
; NumSGPRsForWavesPerEU: 25
; NumVGPRsForWavesPerEU: 10
; AccumOffset: 12
; Occupancy: 8
; WaveLimiterHint : 0
; COMPUTE_PGM_RSRC2:SCRATCH_EN: 0
; COMPUTE_PGM_RSRC2:USER_SGPR: 6
; COMPUTE_PGM_RSRC2:TRAP_HANDLER: 0
; COMPUTE_PGM_RSRC2:TGID_X_EN: 1
; COMPUTE_PGM_RSRC2:TGID_Y_EN: 0
; COMPUTE_PGM_RSRC2:TGID_Z_EN: 0
; COMPUTE_PGM_RSRC2:TIDIG_COMP_CNT: 0
; COMPUTE_PGM_RSRC3_GFX90A:ACCUM_OFFSET: 2
; COMPUTE_PGM_RSRC3_GFX90A:TG_SPLIT: 0
	.section	.text._ZN7rocprim17ROCPRIM_400000_NS6detail17trampoline_kernelINS0_14default_configENS1_38merge_sort_block_merge_config_selectorIjNS0_10empty_typeEEEZZNS1_27merge_sort_block_merge_implIS3_N6thrust23THRUST_200600_302600_NS6detail15normal_iteratorINS9_10device_ptrIjEEEEPS5_m14custom_greaterIjEEE10hipError_tT0_T1_T2_jT3_P12ihipStream_tbPNSt15iterator_traitsISJ_E10value_typeEPNSP_ISK_E10value_typeEPSL_NS1_7vsmem_tEENKUlT_SJ_SK_SL_E_clIPjSE_SF_SF_EESI_SY_SJ_SK_SL_EUlSY_E1_NS1_11comp_targetILNS1_3genE3ELNS1_11target_archE908ELNS1_3gpuE7ELNS1_3repE0EEENS1_36merge_oddeven_config_static_selectorELNS0_4arch9wavefront6targetE1EEEvSK_,"axG",@progbits,_ZN7rocprim17ROCPRIM_400000_NS6detail17trampoline_kernelINS0_14default_configENS1_38merge_sort_block_merge_config_selectorIjNS0_10empty_typeEEEZZNS1_27merge_sort_block_merge_implIS3_N6thrust23THRUST_200600_302600_NS6detail15normal_iteratorINS9_10device_ptrIjEEEEPS5_m14custom_greaterIjEEE10hipError_tT0_T1_T2_jT3_P12ihipStream_tbPNSt15iterator_traitsISJ_E10value_typeEPNSP_ISK_E10value_typeEPSL_NS1_7vsmem_tEENKUlT_SJ_SK_SL_E_clIPjSE_SF_SF_EESI_SY_SJ_SK_SL_EUlSY_E1_NS1_11comp_targetILNS1_3genE3ELNS1_11target_archE908ELNS1_3gpuE7ELNS1_3repE0EEENS1_36merge_oddeven_config_static_selectorELNS0_4arch9wavefront6targetE1EEEvSK_,comdat
	.protected	_ZN7rocprim17ROCPRIM_400000_NS6detail17trampoline_kernelINS0_14default_configENS1_38merge_sort_block_merge_config_selectorIjNS0_10empty_typeEEEZZNS1_27merge_sort_block_merge_implIS3_N6thrust23THRUST_200600_302600_NS6detail15normal_iteratorINS9_10device_ptrIjEEEEPS5_m14custom_greaterIjEEE10hipError_tT0_T1_T2_jT3_P12ihipStream_tbPNSt15iterator_traitsISJ_E10value_typeEPNSP_ISK_E10value_typeEPSL_NS1_7vsmem_tEENKUlT_SJ_SK_SL_E_clIPjSE_SF_SF_EESI_SY_SJ_SK_SL_EUlSY_E1_NS1_11comp_targetILNS1_3genE3ELNS1_11target_archE908ELNS1_3gpuE7ELNS1_3repE0EEENS1_36merge_oddeven_config_static_selectorELNS0_4arch9wavefront6targetE1EEEvSK_ ; -- Begin function _ZN7rocprim17ROCPRIM_400000_NS6detail17trampoline_kernelINS0_14default_configENS1_38merge_sort_block_merge_config_selectorIjNS0_10empty_typeEEEZZNS1_27merge_sort_block_merge_implIS3_N6thrust23THRUST_200600_302600_NS6detail15normal_iteratorINS9_10device_ptrIjEEEEPS5_m14custom_greaterIjEEE10hipError_tT0_T1_T2_jT3_P12ihipStream_tbPNSt15iterator_traitsISJ_E10value_typeEPNSP_ISK_E10value_typeEPSL_NS1_7vsmem_tEENKUlT_SJ_SK_SL_E_clIPjSE_SF_SF_EESI_SY_SJ_SK_SL_EUlSY_E1_NS1_11comp_targetILNS1_3genE3ELNS1_11target_archE908ELNS1_3gpuE7ELNS1_3repE0EEENS1_36merge_oddeven_config_static_selectorELNS0_4arch9wavefront6targetE1EEEvSK_
	.globl	_ZN7rocprim17ROCPRIM_400000_NS6detail17trampoline_kernelINS0_14default_configENS1_38merge_sort_block_merge_config_selectorIjNS0_10empty_typeEEEZZNS1_27merge_sort_block_merge_implIS3_N6thrust23THRUST_200600_302600_NS6detail15normal_iteratorINS9_10device_ptrIjEEEEPS5_m14custom_greaterIjEEE10hipError_tT0_T1_T2_jT3_P12ihipStream_tbPNSt15iterator_traitsISJ_E10value_typeEPNSP_ISK_E10value_typeEPSL_NS1_7vsmem_tEENKUlT_SJ_SK_SL_E_clIPjSE_SF_SF_EESI_SY_SJ_SK_SL_EUlSY_E1_NS1_11comp_targetILNS1_3genE3ELNS1_11target_archE908ELNS1_3gpuE7ELNS1_3repE0EEENS1_36merge_oddeven_config_static_selectorELNS0_4arch9wavefront6targetE1EEEvSK_
	.p2align	8
	.type	_ZN7rocprim17ROCPRIM_400000_NS6detail17trampoline_kernelINS0_14default_configENS1_38merge_sort_block_merge_config_selectorIjNS0_10empty_typeEEEZZNS1_27merge_sort_block_merge_implIS3_N6thrust23THRUST_200600_302600_NS6detail15normal_iteratorINS9_10device_ptrIjEEEEPS5_m14custom_greaterIjEEE10hipError_tT0_T1_T2_jT3_P12ihipStream_tbPNSt15iterator_traitsISJ_E10value_typeEPNSP_ISK_E10value_typeEPSL_NS1_7vsmem_tEENKUlT_SJ_SK_SL_E_clIPjSE_SF_SF_EESI_SY_SJ_SK_SL_EUlSY_E1_NS1_11comp_targetILNS1_3genE3ELNS1_11target_archE908ELNS1_3gpuE7ELNS1_3repE0EEENS1_36merge_oddeven_config_static_selectorELNS0_4arch9wavefront6targetE1EEEvSK_,@function
_ZN7rocprim17ROCPRIM_400000_NS6detail17trampoline_kernelINS0_14default_configENS1_38merge_sort_block_merge_config_selectorIjNS0_10empty_typeEEEZZNS1_27merge_sort_block_merge_implIS3_N6thrust23THRUST_200600_302600_NS6detail15normal_iteratorINS9_10device_ptrIjEEEEPS5_m14custom_greaterIjEEE10hipError_tT0_T1_T2_jT3_P12ihipStream_tbPNSt15iterator_traitsISJ_E10value_typeEPNSP_ISK_E10value_typeEPSL_NS1_7vsmem_tEENKUlT_SJ_SK_SL_E_clIPjSE_SF_SF_EESI_SY_SJ_SK_SL_EUlSY_E1_NS1_11comp_targetILNS1_3genE3ELNS1_11target_archE908ELNS1_3gpuE7ELNS1_3repE0EEENS1_36merge_oddeven_config_static_selectorELNS0_4arch9wavefront6targetE1EEEvSK_: ; @_ZN7rocprim17ROCPRIM_400000_NS6detail17trampoline_kernelINS0_14default_configENS1_38merge_sort_block_merge_config_selectorIjNS0_10empty_typeEEEZZNS1_27merge_sort_block_merge_implIS3_N6thrust23THRUST_200600_302600_NS6detail15normal_iteratorINS9_10device_ptrIjEEEEPS5_m14custom_greaterIjEEE10hipError_tT0_T1_T2_jT3_P12ihipStream_tbPNSt15iterator_traitsISJ_E10value_typeEPNSP_ISK_E10value_typeEPSL_NS1_7vsmem_tEENKUlT_SJ_SK_SL_E_clIPjSE_SF_SF_EESI_SY_SJ_SK_SL_EUlSY_E1_NS1_11comp_targetILNS1_3genE3ELNS1_11target_archE908ELNS1_3gpuE7ELNS1_3repE0EEENS1_36merge_oddeven_config_static_selectorELNS0_4arch9wavefront6targetE1EEEvSK_
; %bb.0:
	.section	.rodata,"a",@progbits
	.p2align	6, 0x0
	.amdhsa_kernel _ZN7rocprim17ROCPRIM_400000_NS6detail17trampoline_kernelINS0_14default_configENS1_38merge_sort_block_merge_config_selectorIjNS0_10empty_typeEEEZZNS1_27merge_sort_block_merge_implIS3_N6thrust23THRUST_200600_302600_NS6detail15normal_iteratorINS9_10device_ptrIjEEEEPS5_m14custom_greaterIjEEE10hipError_tT0_T1_T2_jT3_P12ihipStream_tbPNSt15iterator_traitsISJ_E10value_typeEPNSP_ISK_E10value_typeEPSL_NS1_7vsmem_tEENKUlT_SJ_SK_SL_E_clIPjSE_SF_SF_EESI_SY_SJ_SK_SL_EUlSY_E1_NS1_11comp_targetILNS1_3genE3ELNS1_11target_archE908ELNS1_3gpuE7ELNS1_3repE0EEENS1_36merge_oddeven_config_static_selectorELNS0_4arch9wavefront6targetE1EEEvSK_
		.amdhsa_group_segment_fixed_size 0
		.amdhsa_private_segment_fixed_size 0
		.amdhsa_kernarg_size 56
		.amdhsa_user_sgpr_count 6
		.amdhsa_user_sgpr_private_segment_buffer 1
		.amdhsa_user_sgpr_dispatch_ptr 0
		.amdhsa_user_sgpr_queue_ptr 0
		.amdhsa_user_sgpr_kernarg_segment_ptr 1
		.amdhsa_user_sgpr_dispatch_id 0
		.amdhsa_user_sgpr_flat_scratch_init 0
		.amdhsa_user_sgpr_kernarg_preload_length 0
		.amdhsa_user_sgpr_kernarg_preload_offset 0
		.amdhsa_user_sgpr_private_segment_size 0
		.amdhsa_uses_dynamic_stack 0
		.amdhsa_system_sgpr_private_segment_wavefront_offset 0
		.amdhsa_system_sgpr_workgroup_id_x 1
		.amdhsa_system_sgpr_workgroup_id_y 0
		.amdhsa_system_sgpr_workgroup_id_z 0
		.amdhsa_system_sgpr_workgroup_info 0
		.amdhsa_system_vgpr_workitem_id 0
		.amdhsa_next_free_vgpr 1
		.amdhsa_next_free_sgpr 0
		.amdhsa_accum_offset 4
		.amdhsa_reserve_vcc 0
		.amdhsa_reserve_flat_scratch 0
		.amdhsa_float_round_mode_32 0
		.amdhsa_float_round_mode_16_64 0
		.amdhsa_float_denorm_mode_32 3
		.amdhsa_float_denorm_mode_16_64 3
		.amdhsa_dx10_clamp 1
		.amdhsa_ieee_mode 1
		.amdhsa_fp16_overflow 0
		.amdhsa_tg_split 0
		.amdhsa_exception_fp_ieee_invalid_op 0
		.amdhsa_exception_fp_denorm_src 0
		.amdhsa_exception_fp_ieee_div_zero 0
		.amdhsa_exception_fp_ieee_overflow 0
		.amdhsa_exception_fp_ieee_underflow 0
		.amdhsa_exception_fp_ieee_inexact 0
		.amdhsa_exception_int_div_zero 0
	.end_amdhsa_kernel
	.section	.text._ZN7rocprim17ROCPRIM_400000_NS6detail17trampoline_kernelINS0_14default_configENS1_38merge_sort_block_merge_config_selectorIjNS0_10empty_typeEEEZZNS1_27merge_sort_block_merge_implIS3_N6thrust23THRUST_200600_302600_NS6detail15normal_iteratorINS9_10device_ptrIjEEEEPS5_m14custom_greaterIjEEE10hipError_tT0_T1_T2_jT3_P12ihipStream_tbPNSt15iterator_traitsISJ_E10value_typeEPNSP_ISK_E10value_typeEPSL_NS1_7vsmem_tEENKUlT_SJ_SK_SL_E_clIPjSE_SF_SF_EESI_SY_SJ_SK_SL_EUlSY_E1_NS1_11comp_targetILNS1_3genE3ELNS1_11target_archE908ELNS1_3gpuE7ELNS1_3repE0EEENS1_36merge_oddeven_config_static_selectorELNS0_4arch9wavefront6targetE1EEEvSK_,"axG",@progbits,_ZN7rocprim17ROCPRIM_400000_NS6detail17trampoline_kernelINS0_14default_configENS1_38merge_sort_block_merge_config_selectorIjNS0_10empty_typeEEEZZNS1_27merge_sort_block_merge_implIS3_N6thrust23THRUST_200600_302600_NS6detail15normal_iteratorINS9_10device_ptrIjEEEEPS5_m14custom_greaterIjEEE10hipError_tT0_T1_T2_jT3_P12ihipStream_tbPNSt15iterator_traitsISJ_E10value_typeEPNSP_ISK_E10value_typeEPSL_NS1_7vsmem_tEENKUlT_SJ_SK_SL_E_clIPjSE_SF_SF_EESI_SY_SJ_SK_SL_EUlSY_E1_NS1_11comp_targetILNS1_3genE3ELNS1_11target_archE908ELNS1_3gpuE7ELNS1_3repE0EEENS1_36merge_oddeven_config_static_selectorELNS0_4arch9wavefront6targetE1EEEvSK_,comdat
.Lfunc_end3183:
	.size	_ZN7rocprim17ROCPRIM_400000_NS6detail17trampoline_kernelINS0_14default_configENS1_38merge_sort_block_merge_config_selectorIjNS0_10empty_typeEEEZZNS1_27merge_sort_block_merge_implIS3_N6thrust23THRUST_200600_302600_NS6detail15normal_iteratorINS9_10device_ptrIjEEEEPS5_m14custom_greaterIjEEE10hipError_tT0_T1_T2_jT3_P12ihipStream_tbPNSt15iterator_traitsISJ_E10value_typeEPNSP_ISK_E10value_typeEPSL_NS1_7vsmem_tEENKUlT_SJ_SK_SL_E_clIPjSE_SF_SF_EESI_SY_SJ_SK_SL_EUlSY_E1_NS1_11comp_targetILNS1_3genE3ELNS1_11target_archE908ELNS1_3gpuE7ELNS1_3repE0EEENS1_36merge_oddeven_config_static_selectorELNS0_4arch9wavefront6targetE1EEEvSK_, .Lfunc_end3183-_ZN7rocprim17ROCPRIM_400000_NS6detail17trampoline_kernelINS0_14default_configENS1_38merge_sort_block_merge_config_selectorIjNS0_10empty_typeEEEZZNS1_27merge_sort_block_merge_implIS3_N6thrust23THRUST_200600_302600_NS6detail15normal_iteratorINS9_10device_ptrIjEEEEPS5_m14custom_greaterIjEEE10hipError_tT0_T1_T2_jT3_P12ihipStream_tbPNSt15iterator_traitsISJ_E10value_typeEPNSP_ISK_E10value_typeEPSL_NS1_7vsmem_tEENKUlT_SJ_SK_SL_E_clIPjSE_SF_SF_EESI_SY_SJ_SK_SL_EUlSY_E1_NS1_11comp_targetILNS1_3genE3ELNS1_11target_archE908ELNS1_3gpuE7ELNS1_3repE0EEENS1_36merge_oddeven_config_static_selectorELNS0_4arch9wavefront6targetE1EEEvSK_
                                        ; -- End function
	.section	.AMDGPU.csdata,"",@progbits
; Kernel info:
; codeLenInByte = 0
; NumSgprs: 4
; NumVgprs: 0
; NumAgprs: 0
; TotalNumVgprs: 0
; ScratchSize: 0
; MemoryBound: 0
; FloatMode: 240
; IeeeMode: 1
; LDSByteSize: 0 bytes/workgroup (compile time only)
; SGPRBlocks: 0
; VGPRBlocks: 0
; NumSGPRsForWavesPerEU: 4
; NumVGPRsForWavesPerEU: 1
; AccumOffset: 4
; Occupancy: 8
; WaveLimiterHint : 0
; COMPUTE_PGM_RSRC2:SCRATCH_EN: 0
; COMPUTE_PGM_RSRC2:USER_SGPR: 6
; COMPUTE_PGM_RSRC2:TRAP_HANDLER: 0
; COMPUTE_PGM_RSRC2:TGID_X_EN: 1
; COMPUTE_PGM_RSRC2:TGID_Y_EN: 0
; COMPUTE_PGM_RSRC2:TGID_Z_EN: 0
; COMPUTE_PGM_RSRC2:TIDIG_COMP_CNT: 0
; COMPUTE_PGM_RSRC3_GFX90A:ACCUM_OFFSET: 0
; COMPUTE_PGM_RSRC3_GFX90A:TG_SPLIT: 0
	.section	.text._ZN7rocprim17ROCPRIM_400000_NS6detail17trampoline_kernelINS0_14default_configENS1_38merge_sort_block_merge_config_selectorIjNS0_10empty_typeEEEZZNS1_27merge_sort_block_merge_implIS3_N6thrust23THRUST_200600_302600_NS6detail15normal_iteratorINS9_10device_ptrIjEEEEPS5_m14custom_greaterIjEEE10hipError_tT0_T1_T2_jT3_P12ihipStream_tbPNSt15iterator_traitsISJ_E10value_typeEPNSP_ISK_E10value_typeEPSL_NS1_7vsmem_tEENKUlT_SJ_SK_SL_E_clIPjSE_SF_SF_EESI_SY_SJ_SK_SL_EUlSY_E1_NS1_11comp_targetILNS1_3genE2ELNS1_11target_archE906ELNS1_3gpuE6ELNS1_3repE0EEENS1_36merge_oddeven_config_static_selectorELNS0_4arch9wavefront6targetE1EEEvSK_,"axG",@progbits,_ZN7rocprim17ROCPRIM_400000_NS6detail17trampoline_kernelINS0_14default_configENS1_38merge_sort_block_merge_config_selectorIjNS0_10empty_typeEEEZZNS1_27merge_sort_block_merge_implIS3_N6thrust23THRUST_200600_302600_NS6detail15normal_iteratorINS9_10device_ptrIjEEEEPS5_m14custom_greaterIjEEE10hipError_tT0_T1_T2_jT3_P12ihipStream_tbPNSt15iterator_traitsISJ_E10value_typeEPNSP_ISK_E10value_typeEPSL_NS1_7vsmem_tEENKUlT_SJ_SK_SL_E_clIPjSE_SF_SF_EESI_SY_SJ_SK_SL_EUlSY_E1_NS1_11comp_targetILNS1_3genE2ELNS1_11target_archE906ELNS1_3gpuE6ELNS1_3repE0EEENS1_36merge_oddeven_config_static_selectorELNS0_4arch9wavefront6targetE1EEEvSK_,comdat
	.protected	_ZN7rocprim17ROCPRIM_400000_NS6detail17trampoline_kernelINS0_14default_configENS1_38merge_sort_block_merge_config_selectorIjNS0_10empty_typeEEEZZNS1_27merge_sort_block_merge_implIS3_N6thrust23THRUST_200600_302600_NS6detail15normal_iteratorINS9_10device_ptrIjEEEEPS5_m14custom_greaterIjEEE10hipError_tT0_T1_T2_jT3_P12ihipStream_tbPNSt15iterator_traitsISJ_E10value_typeEPNSP_ISK_E10value_typeEPSL_NS1_7vsmem_tEENKUlT_SJ_SK_SL_E_clIPjSE_SF_SF_EESI_SY_SJ_SK_SL_EUlSY_E1_NS1_11comp_targetILNS1_3genE2ELNS1_11target_archE906ELNS1_3gpuE6ELNS1_3repE0EEENS1_36merge_oddeven_config_static_selectorELNS0_4arch9wavefront6targetE1EEEvSK_ ; -- Begin function _ZN7rocprim17ROCPRIM_400000_NS6detail17trampoline_kernelINS0_14default_configENS1_38merge_sort_block_merge_config_selectorIjNS0_10empty_typeEEEZZNS1_27merge_sort_block_merge_implIS3_N6thrust23THRUST_200600_302600_NS6detail15normal_iteratorINS9_10device_ptrIjEEEEPS5_m14custom_greaterIjEEE10hipError_tT0_T1_T2_jT3_P12ihipStream_tbPNSt15iterator_traitsISJ_E10value_typeEPNSP_ISK_E10value_typeEPSL_NS1_7vsmem_tEENKUlT_SJ_SK_SL_E_clIPjSE_SF_SF_EESI_SY_SJ_SK_SL_EUlSY_E1_NS1_11comp_targetILNS1_3genE2ELNS1_11target_archE906ELNS1_3gpuE6ELNS1_3repE0EEENS1_36merge_oddeven_config_static_selectorELNS0_4arch9wavefront6targetE1EEEvSK_
	.globl	_ZN7rocprim17ROCPRIM_400000_NS6detail17trampoline_kernelINS0_14default_configENS1_38merge_sort_block_merge_config_selectorIjNS0_10empty_typeEEEZZNS1_27merge_sort_block_merge_implIS3_N6thrust23THRUST_200600_302600_NS6detail15normal_iteratorINS9_10device_ptrIjEEEEPS5_m14custom_greaterIjEEE10hipError_tT0_T1_T2_jT3_P12ihipStream_tbPNSt15iterator_traitsISJ_E10value_typeEPNSP_ISK_E10value_typeEPSL_NS1_7vsmem_tEENKUlT_SJ_SK_SL_E_clIPjSE_SF_SF_EESI_SY_SJ_SK_SL_EUlSY_E1_NS1_11comp_targetILNS1_3genE2ELNS1_11target_archE906ELNS1_3gpuE6ELNS1_3repE0EEENS1_36merge_oddeven_config_static_selectorELNS0_4arch9wavefront6targetE1EEEvSK_
	.p2align	8
	.type	_ZN7rocprim17ROCPRIM_400000_NS6detail17trampoline_kernelINS0_14default_configENS1_38merge_sort_block_merge_config_selectorIjNS0_10empty_typeEEEZZNS1_27merge_sort_block_merge_implIS3_N6thrust23THRUST_200600_302600_NS6detail15normal_iteratorINS9_10device_ptrIjEEEEPS5_m14custom_greaterIjEEE10hipError_tT0_T1_T2_jT3_P12ihipStream_tbPNSt15iterator_traitsISJ_E10value_typeEPNSP_ISK_E10value_typeEPSL_NS1_7vsmem_tEENKUlT_SJ_SK_SL_E_clIPjSE_SF_SF_EESI_SY_SJ_SK_SL_EUlSY_E1_NS1_11comp_targetILNS1_3genE2ELNS1_11target_archE906ELNS1_3gpuE6ELNS1_3repE0EEENS1_36merge_oddeven_config_static_selectorELNS0_4arch9wavefront6targetE1EEEvSK_,@function
_ZN7rocprim17ROCPRIM_400000_NS6detail17trampoline_kernelINS0_14default_configENS1_38merge_sort_block_merge_config_selectorIjNS0_10empty_typeEEEZZNS1_27merge_sort_block_merge_implIS3_N6thrust23THRUST_200600_302600_NS6detail15normal_iteratorINS9_10device_ptrIjEEEEPS5_m14custom_greaterIjEEE10hipError_tT0_T1_T2_jT3_P12ihipStream_tbPNSt15iterator_traitsISJ_E10value_typeEPNSP_ISK_E10value_typeEPSL_NS1_7vsmem_tEENKUlT_SJ_SK_SL_E_clIPjSE_SF_SF_EESI_SY_SJ_SK_SL_EUlSY_E1_NS1_11comp_targetILNS1_3genE2ELNS1_11target_archE906ELNS1_3gpuE6ELNS1_3repE0EEENS1_36merge_oddeven_config_static_selectorELNS0_4arch9wavefront6targetE1EEEvSK_: ; @_ZN7rocprim17ROCPRIM_400000_NS6detail17trampoline_kernelINS0_14default_configENS1_38merge_sort_block_merge_config_selectorIjNS0_10empty_typeEEEZZNS1_27merge_sort_block_merge_implIS3_N6thrust23THRUST_200600_302600_NS6detail15normal_iteratorINS9_10device_ptrIjEEEEPS5_m14custom_greaterIjEEE10hipError_tT0_T1_T2_jT3_P12ihipStream_tbPNSt15iterator_traitsISJ_E10value_typeEPNSP_ISK_E10value_typeEPSL_NS1_7vsmem_tEENKUlT_SJ_SK_SL_E_clIPjSE_SF_SF_EESI_SY_SJ_SK_SL_EUlSY_E1_NS1_11comp_targetILNS1_3genE2ELNS1_11target_archE906ELNS1_3gpuE6ELNS1_3repE0EEENS1_36merge_oddeven_config_static_selectorELNS0_4arch9wavefront6targetE1EEEvSK_
; %bb.0:
	.section	.rodata,"a",@progbits
	.p2align	6, 0x0
	.amdhsa_kernel _ZN7rocprim17ROCPRIM_400000_NS6detail17trampoline_kernelINS0_14default_configENS1_38merge_sort_block_merge_config_selectorIjNS0_10empty_typeEEEZZNS1_27merge_sort_block_merge_implIS3_N6thrust23THRUST_200600_302600_NS6detail15normal_iteratorINS9_10device_ptrIjEEEEPS5_m14custom_greaterIjEEE10hipError_tT0_T1_T2_jT3_P12ihipStream_tbPNSt15iterator_traitsISJ_E10value_typeEPNSP_ISK_E10value_typeEPSL_NS1_7vsmem_tEENKUlT_SJ_SK_SL_E_clIPjSE_SF_SF_EESI_SY_SJ_SK_SL_EUlSY_E1_NS1_11comp_targetILNS1_3genE2ELNS1_11target_archE906ELNS1_3gpuE6ELNS1_3repE0EEENS1_36merge_oddeven_config_static_selectorELNS0_4arch9wavefront6targetE1EEEvSK_
		.amdhsa_group_segment_fixed_size 0
		.amdhsa_private_segment_fixed_size 0
		.amdhsa_kernarg_size 56
		.amdhsa_user_sgpr_count 6
		.amdhsa_user_sgpr_private_segment_buffer 1
		.amdhsa_user_sgpr_dispatch_ptr 0
		.amdhsa_user_sgpr_queue_ptr 0
		.amdhsa_user_sgpr_kernarg_segment_ptr 1
		.amdhsa_user_sgpr_dispatch_id 0
		.amdhsa_user_sgpr_flat_scratch_init 0
		.amdhsa_user_sgpr_kernarg_preload_length 0
		.amdhsa_user_sgpr_kernarg_preload_offset 0
		.amdhsa_user_sgpr_private_segment_size 0
		.amdhsa_uses_dynamic_stack 0
		.amdhsa_system_sgpr_private_segment_wavefront_offset 0
		.amdhsa_system_sgpr_workgroup_id_x 1
		.amdhsa_system_sgpr_workgroup_id_y 0
		.amdhsa_system_sgpr_workgroup_id_z 0
		.amdhsa_system_sgpr_workgroup_info 0
		.amdhsa_system_vgpr_workitem_id 0
		.amdhsa_next_free_vgpr 1
		.amdhsa_next_free_sgpr 0
		.amdhsa_accum_offset 4
		.amdhsa_reserve_vcc 0
		.amdhsa_reserve_flat_scratch 0
		.amdhsa_float_round_mode_32 0
		.amdhsa_float_round_mode_16_64 0
		.amdhsa_float_denorm_mode_32 3
		.amdhsa_float_denorm_mode_16_64 3
		.amdhsa_dx10_clamp 1
		.amdhsa_ieee_mode 1
		.amdhsa_fp16_overflow 0
		.amdhsa_tg_split 0
		.amdhsa_exception_fp_ieee_invalid_op 0
		.amdhsa_exception_fp_denorm_src 0
		.amdhsa_exception_fp_ieee_div_zero 0
		.amdhsa_exception_fp_ieee_overflow 0
		.amdhsa_exception_fp_ieee_underflow 0
		.amdhsa_exception_fp_ieee_inexact 0
		.amdhsa_exception_int_div_zero 0
	.end_amdhsa_kernel
	.section	.text._ZN7rocprim17ROCPRIM_400000_NS6detail17trampoline_kernelINS0_14default_configENS1_38merge_sort_block_merge_config_selectorIjNS0_10empty_typeEEEZZNS1_27merge_sort_block_merge_implIS3_N6thrust23THRUST_200600_302600_NS6detail15normal_iteratorINS9_10device_ptrIjEEEEPS5_m14custom_greaterIjEEE10hipError_tT0_T1_T2_jT3_P12ihipStream_tbPNSt15iterator_traitsISJ_E10value_typeEPNSP_ISK_E10value_typeEPSL_NS1_7vsmem_tEENKUlT_SJ_SK_SL_E_clIPjSE_SF_SF_EESI_SY_SJ_SK_SL_EUlSY_E1_NS1_11comp_targetILNS1_3genE2ELNS1_11target_archE906ELNS1_3gpuE6ELNS1_3repE0EEENS1_36merge_oddeven_config_static_selectorELNS0_4arch9wavefront6targetE1EEEvSK_,"axG",@progbits,_ZN7rocprim17ROCPRIM_400000_NS6detail17trampoline_kernelINS0_14default_configENS1_38merge_sort_block_merge_config_selectorIjNS0_10empty_typeEEEZZNS1_27merge_sort_block_merge_implIS3_N6thrust23THRUST_200600_302600_NS6detail15normal_iteratorINS9_10device_ptrIjEEEEPS5_m14custom_greaterIjEEE10hipError_tT0_T1_T2_jT3_P12ihipStream_tbPNSt15iterator_traitsISJ_E10value_typeEPNSP_ISK_E10value_typeEPSL_NS1_7vsmem_tEENKUlT_SJ_SK_SL_E_clIPjSE_SF_SF_EESI_SY_SJ_SK_SL_EUlSY_E1_NS1_11comp_targetILNS1_3genE2ELNS1_11target_archE906ELNS1_3gpuE6ELNS1_3repE0EEENS1_36merge_oddeven_config_static_selectorELNS0_4arch9wavefront6targetE1EEEvSK_,comdat
.Lfunc_end3184:
	.size	_ZN7rocprim17ROCPRIM_400000_NS6detail17trampoline_kernelINS0_14default_configENS1_38merge_sort_block_merge_config_selectorIjNS0_10empty_typeEEEZZNS1_27merge_sort_block_merge_implIS3_N6thrust23THRUST_200600_302600_NS6detail15normal_iteratorINS9_10device_ptrIjEEEEPS5_m14custom_greaterIjEEE10hipError_tT0_T1_T2_jT3_P12ihipStream_tbPNSt15iterator_traitsISJ_E10value_typeEPNSP_ISK_E10value_typeEPSL_NS1_7vsmem_tEENKUlT_SJ_SK_SL_E_clIPjSE_SF_SF_EESI_SY_SJ_SK_SL_EUlSY_E1_NS1_11comp_targetILNS1_3genE2ELNS1_11target_archE906ELNS1_3gpuE6ELNS1_3repE0EEENS1_36merge_oddeven_config_static_selectorELNS0_4arch9wavefront6targetE1EEEvSK_, .Lfunc_end3184-_ZN7rocprim17ROCPRIM_400000_NS6detail17trampoline_kernelINS0_14default_configENS1_38merge_sort_block_merge_config_selectorIjNS0_10empty_typeEEEZZNS1_27merge_sort_block_merge_implIS3_N6thrust23THRUST_200600_302600_NS6detail15normal_iteratorINS9_10device_ptrIjEEEEPS5_m14custom_greaterIjEEE10hipError_tT0_T1_T2_jT3_P12ihipStream_tbPNSt15iterator_traitsISJ_E10value_typeEPNSP_ISK_E10value_typeEPSL_NS1_7vsmem_tEENKUlT_SJ_SK_SL_E_clIPjSE_SF_SF_EESI_SY_SJ_SK_SL_EUlSY_E1_NS1_11comp_targetILNS1_3genE2ELNS1_11target_archE906ELNS1_3gpuE6ELNS1_3repE0EEENS1_36merge_oddeven_config_static_selectorELNS0_4arch9wavefront6targetE1EEEvSK_
                                        ; -- End function
	.section	.AMDGPU.csdata,"",@progbits
; Kernel info:
; codeLenInByte = 0
; NumSgprs: 4
; NumVgprs: 0
; NumAgprs: 0
; TotalNumVgprs: 0
; ScratchSize: 0
; MemoryBound: 0
; FloatMode: 240
; IeeeMode: 1
; LDSByteSize: 0 bytes/workgroup (compile time only)
; SGPRBlocks: 0
; VGPRBlocks: 0
; NumSGPRsForWavesPerEU: 4
; NumVGPRsForWavesPerEU: 1
; AccumOffset: 4
; Occupancy: 8
; WaveLimiterHint : 0
; COMPUTE_PGM_RSRC2:SCRATCH_EN: 0
; COMPUTE_PGM_RSRC2:USER_SGPR: 6
; COMPUTE_PGM_RSRC2:TRAP_HANDLER: 0
; COMPUTE_PGM_RSRC2:TGID_X_EN: 1
; COMPUTE_PGM_RSRC2:TGID_Y_EN: 0
; COMPUTE_PGM_RSRC2:TGID_Z_EN: 0
; COMPUTE_PGM_RSRC2:TIDIG_COMP_CNT: 0
; COMPUTE_PGM_RSRC3_GFX90A:ACCUM_OFFSET: 0
; COMPUTE_PGM_RSRC3_GFX90A:TG_SPLIT: 0
	.section	.text._ZN7rocprim17ROCPRIM_400000_NS6detail17trampoline_kernelINS0_14default_configENS1_38merge_sort_block_merge_config_selectorIjNS0_10empty_typeEEEZZNS1_27merge_sort_block_merge_implIS3_N6thrust23THRUST_200600_302600_NS6detail15normal_iteratorINS9_10device_ptrIjEEEEPS5_m14custom_greaterIjEEE10hipError_tT0_T1_T2_jT3_P12ihipStream_tbPNSt15iterator_traitsISJ_E10value_typeEPNSP_ISK_E10value_typeEPSL_NS1_7vsmem_tEENKUlT_SJ_SK_SL_E_clIPjSE_SF_SF_EESI_SY_SJ_SK_SL_EUlSY_E1_NS1_11comp_targetILNS1_3genE9ELNS1_11target_archE1100ELNS1_3gpuE3ELNS1_3repE0EEENS1_36merge_oddeven_config_static_selectorELNS0_4arch9wavefront6targetE1EEEvSK_,"axG",@progbits,_ZN7rocprim17ROCPRIM_400000_NS6detail17trampoline_kernelINS0_14default_configENS1_38merge_sort_block_merge_config_selectorIjNS0_10empty_typeEEEZZNS1_27merge_sort_block_merge_implIS3_N6thrust23THRUST_200600_302600_NS6detail15normal_iteratorINS9_10device_ptrIjEEEEPS5_m14custom_greaterIjEEE10hipError_tT0_T1_T2_jT3_P12ihipStream_tbPNSt15iterator_traitsISJ_E10value_typeEPNSP_ISK_E10value_typeEPSL_NS1_7vsmem_tEENKUlT_SJ_SK_SL_E_clIPjSE_SF_SF_EESI_SY_SJ_SK_SL_EUlSY_E1_NS1_11comp_targetILNS1_3genE9ELNS1_11target_archE1100ELNS1_3gpuE3ELNS1_3repE0EEENS1_36merge_oddeven_config_static_selectorELNS0_4arch9wavefront6targetE1EEEvSK_,comdat
	.protected	_ZN7rocprim17ROCPRIM_400000_NS6detail17trampoline_kernelINS0_14default_configENS1_38merge_sort_block_merge_config_selectorIjNS0_10empty_typeEEEZZNS1_27merge_sort_block_merge_implIS3_N6thrust23THRUST_200600_302600_NS6detail15normal_iteratorINS9_10device_ptrIjEEEEPS5_m14custom_greaterIjEEE10hipError_tT0_T1_T2_jT3_P12ihipStream_tbPNSt15iterator_traitsISJ_E10value_typeEPNSP_ISK_E10value_typeEPSL_NS1_7vsmem_tEENKUlT_SJ_SK_SL_E_clIPjSE_SF_SF_EESI_SY_SJ_SK_SL_EUlSY_E1_NS1_11comp_targetILNS1_3genE9ELNS1_11target_archE1100ELNS1_3gpuE3ELNS1_3repE0EEENS1_36merge_oddeven_config_static_selectorELNS0_4arch9wavefront6targetE1EEEvSK_ ; -- Begin function _ZN7rocprim17ROCPRIM_400000_NS6detail17trampoline_kernelINS0_14default_configENS1_38merge_sort_block_merge_config_selectorIjNS0_10empty_typeEEEZZNS1_27merge_sort_block_merge_implIS3_N6thrust23THRUST_200600_302600_NS6detail15normal_iteratorINS9_10device_ptrIjEEEEPS5_m14custom_greaterIjEEE10hipError_tT0_T1_T2_jT3_P12ihipStream_tbPNSt15iterator_traitsISJ_E10value_typeEPNSP_ISK_E10value_typeEPSL_NS1_7vsmem_tEENKUlT_SJ_SK_SL_E_clIPjSE_SF_SF_EESI_SY_SJ_SK_SL_EUlSY_E1_NS1_11comp_targetILNS1_3genE9ELNS1_11target_archE1100ELNS1_3gpuE3ELNS1_3repE0EEENS1_36merge_oddeven_config_static_selectorELNS0_4arch9wavefront6targetE1EEEvSK_
	.globl	_ZN7rocprim17ROCPRIM_400000_NS6detail17trampoline_kernelINS0_14default_configENS1_38merge_sort_block_merge_config_selectorIjNS0_10empty_typeEEEZZNS1_27merge_sort_block_merge_implIS3_N6thrust23THRUST_200600_302600_NS6detail15normal_iteratorINS9_10device_ptrIjEEEEPS5_m14custom_greaterIjEEE10hipError_tT0_T1_T2_jT3_P12ihipStream_tbPNSt15iterator_traitsISJ_E10value_typeEPNSP_ISK_E10value_typeEPSL_NS1_7vsmem_tEENKUlT_SJ_SK_SL_E_clIPjSE_SF_SF_EESI_SY_SJ_SK_SL_EUlSY_E1_NS1_11comp_targetILNS1_3genE9ELNS1_11target_archE1100ELNS1_3gpuE3ELNS1_3repE0EEENS1_36merge_oddeven_config_static_selectorELNS0_4arch9wavefront6targetE1EEEvSK_
	.p2align	8
	.type	_ZN7rocprim17ROCPRIM_400000_NS6detail17trampoline_kernelINS0_14default_configENS1_38merge_sort_block_merge_config_selectorIjNS0_10empty_typeEEEZZNS1_27merge_sort_block_merge_implIS3_N6thrust23THRUST_200600_302600_NS6detail15normal_iteratorINS9_10device_ptrIjEEEEPS5_m14custom_greaterIjEEE10hipError_tT0_T1_T2_jT3_P12ihipStream_tbPNSt15iterator_traitsISJ_E10value_typeEPNSP_ISK_E10value_typeEPSL_NS1_7vsmem_tEENKUlT_SJ_SK_SL_E_clIPjSE_SF_SF_EESI_SY_SJ_SK_SL_EUlSY_E1_NS1_11comp_targetILNS1_3genE9ELNS1_11target_archE1100ELNS1_3gpuE3ELNS1_3repE0EEENS1_36merge_oddeven_config_static_selectorELNS0_4arch9wavefront6targetE1EEEvSK_,@function
_ZN7rocprim17ROCPRIM_400000_NS6detail17trampoline_kernelINS0_14default_configENS1_38merge_sort_block_merge_config_selectorIjNS0_10empty_typeEEEZZNS1_27merge_sort_block_merge_implIS3_N6thrust23THRUST_200600_302600_NS6detail15normal_iteratorINS9_10device_ptrIjEEEEPS5_m14custom_greaterIjEEE10hipError_tT0_T1_T2_jT3_P12ihipStream_tbPNSt15iterator_traitsISJ_E10value_typeEPNSP_ISK_E10value_typeEPSL_NS1_7vsmem_tEENKUlT_SJ_SK_SL_E_clIPjSE_SF_SF_EESI_SY_SJ_SK_SL_EUlSY_E1_NS1_11comp_targetILNS1_3genE9ELNS1_11target_archE1100ELNS1_3gpuE3ELNS1_3repE0EEENS1_36merge_oddeven_config_static_selectorELNS0_4arch9wavefront6targetE1EEEvSK_: ; @_ZN7rocprim17ROCPRIM_400000_NS6detail17trampoline_kernelINS0_14default_configENS1_38merge_sort_block_merge_config_selectorIjNS0_10empty_typeEEEZZNS1_27merge_sort_block_merge_implIS3_N6thrust23THRUST_200600_302600_NS6detail15normal_iteratorINS9_10device_ptrIjEEEEPS5_m14custom_greaterIjEEE10hipError_tT0_T1_T2_jT3_P12ihipStream_tbPNSt15iterator_traitsISJ_E10value_typeEPNSP_ISK_E10value_typeEPSL_NS1_7vsmem_tEENKUlT_SJ_SK_SL_E_clIPjSE_SF_SF_EESI_SY_SJ_SK_SL_EUlSY_E1_NS1_11comp_targetILNS1_3genE9ELNS1_11target_archE1100ELNS1_3gpuE3ELNS1_3repE0EEENS1_36merge_oddeven_config_static_selectorELNS0_4arch9wavefront6targetE1EEEvSK_
; %bb.0:
	.section	.rodata,"a",@progbits
	.p2align	6, 0x0
	.amdhsa_kernel _ZN7rocprim17ROCPRIM_400000_NS6detail17trampoline_kernelINS0_14default_configENS1_38merge_sort_block_merge_config_selectorIjNS0_10empty_typeEEEZZNS1_27merge_sort_block_merge_implIS3_N6thrust23THRUST_200600_302600_NS6detail15normal_iteratorINS9_10device_ptrIjEEEEPS5_m14custom_greaterIjEEE10hipError_tT0_T1_T2_jT3_P12ihipStream_tbPNSt15iterator_traitsISJ_E10value_typeEPNSP_ISK_E10value_typeEPSL_NS1_7vsmem_tEENKUlT_SJ_SK_SL_E_clIPjSE_SF_SF_EESI_SY_SJ_SK_SL_EUlSY_E1_NS1_11comp_targetILNS1_3genE9ELNS1_11target_archE1100ELNS1_3gpuE3ELNS1_3repE0EEENS1_36merge_oddeven_config_static_selectorELNS0_4arch9wavefront6targetE1EEEvSK_
		.amdhsa_group_segment_fixed_size 0
		.amdhsa_private_segment_fixed_size 0
		.amdhsa_kernarg_size 56
		.amdhsa_user_sgpr_count 6
		.amdhsa_user_sgpr_private_segment_buffer 1
		.amdhsa_user_sgpr_dispatch_ptr 0
		.amdhsa_user_sgpr_queue_ptr 0
		.amdhsa_user_sgpr_kernarg_segment_ptr 1
		.amdhsa_user_sgpr_dispatch_id 0
		.amdhsa_user_sgpr_flat_scratch_init 0
		.amdhsa_user_sgpr_kernarg_preload_length 0
		.amdhsa_user_sgpr_kernarg_preload_offset 0
		.amdhsa_user_sgpr_private_segment_size 0
		.amdhsa_uses_dynamic_stack 0
		.amdhsa_system_sgpr_private_segment_wavefront_offset 0
		.amdhsa_system_sgpr_workgroup_id_x 1
		.amdhsa_system_sgpr_workgroup_id_y 0
		.amdhsa_system_sgpr_workgroup_id_z 0
		.amdhsa_system_sgpr_workgroup_info 0
		.amdhsa_system_vgpr_workitem_id 0
		.amdhsa_next_free_vgpr 1
		.amdhsa_next_free_sgpr 0
		.amdhsa_accum_offset 4
		.amdhsa_reserve_vcc 0
		.amdhsa_reserve_flat_scratch 0
		.amdhsa_float_round_mode_32 0
		.amdhsa_float_round_mode_16_64 0
		.amdhsa_float_denorm_mode_32 3
		.amdhsa_float_denorm_mode_16_64 3
		.amdhsa_dx10_clamp 1
		.amdhsa_ieee_mode 1
		.amdhsa_fp16_overflow 0
		.amdhsa_tg_split 0
		.amdhsa_exception_fp_ieee_invalid_op 0
		.amdhsa_exception_fp_denorm_src 0
		.amdhsa_exception_fp_ieee_div_zero 0
		.amdhsa_exception_fp_ieee_overflow 0
		.amdhsa_exception_fp_ieee_underflow 0
		.amdhsa_exception_fp_ieee_inexact 0
		.amdhsa_exception_int_div_zero 0
	.end_amdhsa_kernel
	.section	.text._ZN7rocprim17ROCPRIM_400000_NS6detail17trampoline_kernelINS0_14default_configENS1_38merge_sort_block_merge_config_selectorIjNS0_10empty_typeEEEZZNS1_27merge_sort_block_merge_implIS3_N6thrust23THRUST_200600_302600_NS6detail15normal_iteratorINS9_10device_ptrIjEEEEPS5_m14custom_greaterIjEEE10hipError_tT0_T1_T2_jT3_P12ihipStream_tbPNSt15iterator_traitsISJ_E10value_typeEPNSP_ISK_E10value_typeEPSL_NS1_7vsmem_tEENKUlT_SJ_SK_SL_E_clIPjSE_SF_SF_EESI_SY_SJ_SK_SL_EUlSY_E1_NS1_11comp_targetILNS1_3genE9ELNS1_11target_archE1100ELNS1_3gpuE3ELNS1_3repE0EEENS1_36merge_oddeven_config_static_selectorELNS0_4arch9wavefront6targetE1EEEvSK_,"axG",@progbits,_ZN7rocprim17ROCPRIM_400000_NS6detail17trampoline_kernelINS0_14default_configENS1_38merge_sort_block_merge_config_selectorIjNS0_10empty_typeEEEZZNS1_27merge_sort_block_merge_implIS3_N6thrust23THRUST_200600_302600_NS6detail15normal_iteratorINS9_10device_ptrIjEEEEPS5_m14custom_greaterIjEEE10hipError_tT0_T1_T2_jT3_P12ihipStream_tbPNSt15iterator_traitsISJ_E10value_typeEPNSP_ISK_E10value_typeEPSL_NS1_7vsmem_tEENKUlT_SJ_SK_SL_E_clIPjSE_SF_SF_EESI_SY_SJ_SK_SL_EUlSY_E1_NS1_11comp_targetILNS1_3genE9ELNS1_11target_archE1100ELNS1_3gpuE3ELNS1_3repE0EEENS1_36merge_oddeven_config_static_selectorELNS0_4arch9wavefront6targetE1EEEvSK_,comdat
.Lfunc_end3185:
	.size	_ZN7rocprim17ROCPRIM_400000_NS6detail17trampoline_kernelINS0_14default_configENS1_38merge_sort_block_merge_config_selectorIjNS0_10empty_typeEEEZZNS1_27merge_sort_block_merge_implIS3_N6thrust23THRUST_200600_302600_NS6detail15normal_iteratorINS9_10device_ptrIjEEEEPS5_m14custom_greaterIjEEE10hipError_tT0_T1_T2_jT3_P12ihipStream_tbPNSt15iterator_traitsISJ_E10value_typeEPNSP_ISK_E10value_typeEPSL_NS1_7vsmem_tEENKUlT_SJ_SK_SL_E_clIPjSE_SF_SF_EESI_SY_SJ_SK_SL_EUlSY_E1_NS1_11comp_targetILNS1_3genE9ELNS1_11target_archE1100ELNS1_3gpuE3ELNS1_3repE0EEENS1_36merge_oddeven_config_static_selectorELNS0_4arch9wavefront6targetE1EEEvSK_, .Lfunc_end3185-_ZN7rocprim17ROCPRIM_400000_NS6detail17trampoline_kernelINS0_14default_configENS1_38merge_sort_block_merge_config_selectorIjNS0_10empty_typeEEEZZNS1_27merge_sort_block_merge_implIS3_N6thrust23THRUST_200600_302600_NS6detail15normal_iteratorINS9_10device_ptrIjEEEEPS5_m14custom_greaterIjEEE10hipError_tT0_T1_T2_jT3_P12ihipStream_tbPNSt15iterator_traitsISJ_E10value_typeEPNSP_ISK_E10value_typeEPSL_NS1_7vsmem_tEENKUlT_SJ_SK_SL_E_clIPjSE_SF_SF_EESI_SY_SJ_SK_SL_EUlSY_E1_NS1_11comp_targetILNS1_3genE9ELNS1_11target_archE1100ELNS1_3gpuE3ELNS1_3repE0EEENS1_36merge_oddeven_config_static_selectorELNS0_4arch9wavefront6targetE1EEEvSK_
                                        ; -- End function
	.section	.AMDGPU.csdata,"",@progbits
; Kernel info:
; codeLenInByte = 0
; NumSgprs: 4
; NumVgprs: 0
; NumAgprs: 0
; TotalNumVgprs: 0
; ScratchSize: 0
; MemoryBound: 0
; FloatMode: 240
; IeeeMode: 1
; LDSByteSize: 0 bytes/workgroup (compile time only)
; SGPRBlocks: 0
; VGPRBlocks: 0
; NumSGPRsForWavesPerEU: 4
; NumVGPRsForWavesPerEU: 1
; AccumOffset: 4
; Occupancy: 8
; WaveLimiterHint : 0
; COMPUTE_PGM_RSRC2:SCRATCH_EN: 0
; COMPUTE_PGM_RSRC2:USER_SGPR: 6
; COMPUTE_PGM_RSRC2:TRAP_HANDLER: 0
; COMPUTE_PGM_RSRC2:TGID_X_EN: 1
; COMPUTE_PGM_RSRC2:TGID_Y_EN: 0
; COMPUTE_PGM_RSRC2:TGID_Z_EN: 0
; COMPUTE_PGM_RSRC2:TIDIG_COMP_CNT: 0
; COMPUTE_PGM_RSRC3_GFX90A:ACCUM_OFFSET: 0
; COMPUTE_PGM_RSRC3_GFX90A:TG_SPLIT: 0
	.section	.text._ZN7rocprim17ROCPRIM_400000_NS6detail17trampoline_kernelINS0_14default_configENS1_38merge_sort_block_merge_config_selectorIjNS0_10empty_typeEEEZZNS1_27merge_sort_block_merge_implIS3_N6thrust23THRUST_200600_302600_NS6detail15normal_iteratorINS9_10device_ptrIjEEEEPS5_m14custom_greaterIjEEE10hipError_tT0_T1_T2_jT3_P12ihipStream_tbPNSt15iterator_traitsISJ_E10value_typeEPNSP_ISK_E10value_typeEPSL_NS1_7vsmem_tEENKUlT_SJ_SK_SL_E_clIPjSE_SF_SF_EESI_SY_SJ_SK_SL_EUlSY_E1_NS1_11comp_targetILNS1_3genE8ELNS1_11target_archE1030ELNS1_3gpuE2ELNS1_3repE0EEENS1_36merge_oddeven_config_static_selectorELNS0_4arch9wavefront6targetE1EEEvSK_,"axG",@progbits,_ZN7rocprim17ROCPRIM_400000_NS6detail17trampoline_kernelINS0_14default_configENS1_38merge_sort_block_merge_config_selectorIjNS0_10empty_typeEEEZZNS1_27merge_sort_block_merge_implIS3_N6thrust23THRUST_200600_302600_NS6detail15normal_iteratorINS9_10device_ptrIjEEEEPS5_m14custom_greaterIjEEE10hipError_tT0_T1_T2_jT3_P12ihipStream_tbPNSt15iterator_traitsISJ_E10value_typeEPNSP_ISK_E10value_typeEPSL_NS1_7vsmem_tEENKUlT_SJ_SK_SL_E_clIPjSE_SF_SF_EESI_SY_SJ_SK_SL_EUlSY_E1_NS1_11comp_targetILNS1_3genE8ELNS1_11target_archE1030ELNS1_3gpuE2ELNS1_3repE0EEENS1_36merge_oddeven_config_static_selectorELNS0_4arch9wavefront6targetE1EEEvSK_,comdat
	.protected	_ZN7rocprim17ROCPRIM_400000_NS6detail17trampoline_kernelINS0_14default_configENS1_38merge_sort_block_merge_config_selectorIjNS0_10empty_typeEEEZZNS1_27merge_sort_block_merge_implIS3_N6thrust23THRUST_200600_302600_NS6detail15normal_iteratorINS9_10device_ptrIjEEEEPS5_m14custom_greaterIjEEE10hipError_tT0_T1_T2_jT3_P12ihipStream_tbPNSt15iterator_traitsISJ_E10value_typeEPNSP_ISK_E10value_typeEPSL_NS1_7vsmem_tEENKUlT_SJ_SK_SL_E_clIPjSE_SF_SF_EESI_SY_SJ_SK_SL_EUlSY_E1_NS1_11comp_targetILNS1_3genE8ELNS1_11target_archE1030ELNS1_3gpuE2ELNS1_3repE0EEENS1_36merge_oddeven_config_static_selectorELNS0_4arch9wavefront6targetE1EEEvSK_ ; -- Begin function _ZN7rocprim17ROCPRIM_400000_NS6detail17trampoline_kernelINS0_14default_configENS1_38merge_sort_block_merge_config_selectorIjNS0_10empty_typeEEEZZNS1_27merge_sort_block_merge_implIS3_N6thrust23THRUST_200600_302600_NS6detail15normal_iteratorINS9_10device_ptrIjEEEEPS5_m14custom_greaterIjEEE10hipError_tT0_T1_T2_jT3_P12ihipStream_tbPNSt15iterator_traitsISJ_E10value_typeEPNSP_ISK_E10value_typeEPSL_NS1_7vsmem_tEENKUlT_SJ_SK_SL_E_clIPjSE_SF_SF_EESI_SY_SJ_SK_SL_EUlSY_E1_NS1_11comp_targetILNS1_3genE8ELNS1_11target_archE1030ELNS1_3gpuE2ELNS1_3repE0EEENS1_36merge_oddeven_config_static_selectorELNS0_4arch9wavefront6targetE1EEEvSK_
	.globl	_ZN7rocprim17ROCPRIM_400000_NS6detail17trampoline_kernelINS0_14default_configENS1_38merge_sort_block_merge_config_selectorIjNS0_10empty_typeEEEZZNS1_27merge_sort_block_merge_implIS3_N6thrust23THRUST_200600_302600_NS6detail15normal_iteratorINS9_10device_ptrIjEEEEPS5_m14custom_greaterIjEEE10hipError_tT0_T1_T2_jT3_P12ihipStream_tbPNSt15iterator_traitsISJ_E10value_typeEPNSP_ISK_E10value_typeEPSL_NS1_7vsmem_tEENKUlT_SJ_SK_SL_E_clIPjSE_SF_SF_EESI_SY_SJ_SK_SL_EUlSY_E1_NS1_11comp_targetILNS1_3genE8ELNS1_11target_archE1030ELNS1_3gpuE2ELNS1_3repE0EEENS1_36merge_oddeven_config_static_selectorELNS0_4arch9wavefront6targetE1EEEvSK_
	.p2align	8
	.type	_ZN7rocprim17ROCPRIM_400000_NS6detail17trampoline_kernelINS0_14default_configENS1_38merge_sort_block_merge_config_selectorIjNS0_10empty_typeEEEZZNS1_27merge_sort_block_merge_implIS3_N6thrust23THRUST_200600_302600_NS6detail15normal_iteratorINS9_10device_ptrIjEEEEPS5_m14custom_greaterIjEEE10hipError_tT0_T1_T2_jT3_P12ihipStream_tbPNSt15iterator_traitsISJ_E10value_typeEPNSP_ISK_E10value_typeEPSL_NS1_7vsmem_tEENKUlT_SJ_SK_SL_E_clIPjSE_SF_SF_EESI_SY_SJ_SK_SL_EUlSY_E1_NS1_11comp_targetILNS1_3genE8ELNS1_11target_archE1030ELNS1_3gpuE2ELNS1_3repE0EEENS1_36merge_oddeven_config_static_selectorELNS0_4arch9wavefront6targetE1EEEvSK_,@function
_ZN7rocprim17ROCPRIM_400000_NS6detail17trampoline_kernelINS0_14default_configENS1_38merge_sort_block_merge_config_selectorIjNS0_10empty_typeEEEZZNS1_27merge_sort_block_merge_implIS3_N6thrust23THRUST_200600_302600_NS6detail15normal_iteratorINS9_10device_ptrIjEEEEPS5_m14custom_greaterIjEEE10hipError_tT0_T1_T2_jT3_P12ihipStream_tbPNSt15iterator_traitsISJ_E10value_typeEPNSP_ISK_E10value_typeEPSL_NS1_7vsmem_tEENKUlT_SJ_SK_SL_E_clIPjSE_SF_SF_EESI_SY_SJ_SK_SL_EUlSY_E1_NS1_11comp_targetILNS1_3genE8ELNS1_11target_archE1030ELNS1_3gpuE2ELNS1_3repE0EEENS1_36merge_oddeven_config_static_selectorELNS0_4arch9wavefront6targetE1EEEvSK_: ; @_ZN7rocprim17ROCPRIM_400000_NS6detail17trampoline_kernelINS0_14default_configENS1_38merge_sort_block_merge_config_selectorIjNS0_10empty_typeEEEZZNS1_27merge_sort_block_merge_implIS3_N6thrust23THRUST_200600_302600_NS6detail15normal_iteratorINS9_10device_ptrIjEEEEPS5_m14custom_greaterIjEEE10hipError_tT0_T1_T2_jT3_P12ihipStream_tbPNSt15iterator_traitsISJ_E10value_typeEPNSP_ISK_E10value_typeEPSL_NS1_7vsmem_tEENKUlT_SJ_SK_SL_E_clIPjSE_SF_SF_EESI_SY_SJ_SK_SL_EUlSY_E1_NS1_11comp_targetILNS1_3genE8ELNS1_11target_archE1030ELNS1_3gpuE2ELNS1_3repE0EEENS1_36merge_oddeven_config_static_selectorELNS0_4arch9wavefront6targetE1EEEvSK_
; %bb.0:
	.section	.rodata,"a",@progbits
	.p2align	6, 0x0
	.amdhsa_kernel _ZN7rocprim17ROCPRIM_400000_NS6detail17trampoline_kernelINS0_14default_configENS1_38merge_sort_block_merge_config_selectorIjNS0_10empty_typeEEEZZNS1_27merge_sort_block_merge_implIS3_N6thrust23THRUST_200600_302600_NS6detail15normal_iteratorINS9_10device_ptrIjEEEEPS5_m14custom_greaterIjEEE10hipError_tT0_T1_T2_jT3_P12ihipStream_tbPNSt15iterator_traitsISJ_E10value_typeEPNSP_ISK_E10value_typeEPSL_NS1_7vsmem_tEENKUlT_SJ_SK_SL_E_clIPjSE_SF_SF_EESI_SY_SJ_SK_SL_EUlSY_E1_NS1_11comp_targetILNS1_3genE8ELNS1_11target_archE1030ELNS1_3gpuE2ELNS1_3repE0EEENS1_36merge_oddeven_config_static_selectorELNS0_4arch9wavefront6targetE1EEEvSK_
		.amdhsa_group_segment_fixed_size 0
		.amdhsa_private_segment_fixed_size 0
		.amdhsa_kernarg_size 56
		.amdhsa_user_sgpr_count 6
		.amdhsa_user_sgpr_private_segment_buffer 1
		.amdhsa_user_sgpr_dispatch_ptr 0
		.amdhsa_user_sgpr_queue_ptr 0
		.amdhsa_user_sgpr_kernarg_segment_ptr 1
		.amdhsa_user_sgpr_dispatch_id 0
		.amdhsa_user_sgpr_flat_scratch_init 0
		.amdhsa_user_sgpr_kernarg_preload_length 0
		.amdhsa_user_sgpr_kernarg_preload_offset 0
		.amdhsa_user_sgpr_private_segment_size 0
		.amdhsa_uses_dynamic_stack 0
		.amdhsa_system_sgpr_private_segment_wavefront_offset 0
		.amdhsa_system_sgpr_workgroup_id_x 1
		.amdhsa_system_sgpr_workgroup_id_y 0
		.amdhsa_system_sgpr_workgroup_id_z 0
		.amdhsa_system_sgpr_workgroup_info 0
		.amdhsa_system_vgpr_workitem_id 0
		.amdhsa_next_free_vgpr 1
		.amdhsa_next_free_sgpr 0
		.amdhsa_accum_offset 4
		.amdhsa_reserve_vcc 0
		.amdhsa_reserve_flat_scratch 0
		.amdhsa_float_round_mode_32 0
		.amdhsa_float_round_mode_16_64 0
		.amdhsa_float_denorm_mode_32 3
		.amdhsa_float_denorm_mode_16_64 3
		.amdhsa_dx10_clamp 1
		.amdhsa_ieee_mode 1
		.amdhsa_fp16_overflow 0
		.amdhsa_tg_split 0
		.amdhsa_exception_fp_ieee_invalid_op 0
		.amdhsa_exception_fp_denorm_src 0
		.amdhsa_exception_fp_ieee_div_zero 0
		.amdhsa_exception_fp_ieee_overflow 0
		.amdhsa_exception_fp_ieee_underflow 0
		.amdhsa_exception_fp_ieee_inexact 0
		.amdhsa_exception_int_div_zero 0
	.end_amdhsa_kernel
	.section	.text._ZN7rocprim17ROCPRIM_400000_NS6detail17trampoline_kernelINS0_14default_configENS1_38merge_sort_block_merge_config_selectorIjNS0_10empty_typeEEEZZNS1_27merge_sort_block_merge_implIS3_N6thrust23THRUST_200600_302600_NS6detail15normal_iteratorINS9_10device_ptrIjEEEEPS5_m14custom_greaterIjEEE10hipError_tT0_T1_T2_jT3_P12ihipStream_tbPNSt15iterator_traitsISJ_E10value_typeEPNSP_ISK_E10value_typeEPSL_NS1_7vsmem_tEENKUlT_SJ_SK_SL_E_clIPjSE_SF_SF_EESI_SY_SJ_SK_SL_EUlSY_E1_NS1_11comp_targetILNS1_3genE8ELNS1_11target_archE1030ELNS1_3gpuE2ELNS1_3repE0EEENS1_36merge_oddeven_config_static_selectorELNS0_4arch9wavefront6targetE1EEEvSK_,"axG",@progbits,_ZN7rocprim17ROCPRIM_400000_NS6detail17trampoline_kernelINS0_14default_configENS1_38merge_sort_block_merge_config_selectorIjNS0_10empty_typeEEEZZNS1_27merge_sort_block_merge_implIS3_N6thrust23THRUST_200600_302600_NS6detail15normal_iteratorINS9_10device_ptrIjEEEEPS5_m14custom_greaterIjEEE10hipError_tT0_T1_T2_jT3_P12ihipStream_tbPNSt15iterator_traitsISJ_E10value_typeEPNSP_ISK_E10value_typeEPSL_NS1_7vsmem_tEENKUlT_SJ_SK_SL_E_clIPjSE_SF_SF_EESI_SY_SJ_SK_SL_EUlSY_E1_NS1_11comp_targetILNS1_3genE8ELNS1_11target_archE1030ELNS1_3gpuE2ELNS1_3repE0EEENS1_36merge_oddeven_config_static_selectorELNS0_4arch9wavefront6targetE1EEEvSK_,comdat
.Lfunc_end3186:
	.size	_ZN7rocprim17ROCPRIM_400000_NS6detail17trampoline_kernelINS0_14default_configENS1_38merge_sort_block_merge_config_selectorIjNS0_10empty_typeEEEZZNS1_27merge_sort_block_merge_implIS3_N6thrust23THRUST_200600_302600_NS6detail15normal_iteratorINS9_10device_ptrIjEEEEPS5_m14custom_greaterIjEEE10hipError_tT0_T1_T2_jT3_P12ihipStream_tbPNSt15iterator_traitsISJ_E10value_typeEPNSP_ISK_E10value_typeEPSL_NS1_7vsmem_tEENKUlT_SJ_SK_SL_E_clIPjSE_SF_SF_EESI_SY_SJ_SK_SL_EUlSY_E1_NS1_11comp_targetILNS1_3genE8ELNS1_11target_archE1030ELNS1_3gpuE2ELNS1_3repE0EEENS1_36merge_oddeven_config_static_selectorELNS0_4arch9wavefront6targetE1EEEvSK_, .Lfunc_end3186-_ZN7rocprim17ROCPRIM_400000_NS6detail17trampoline_kernelINS0_14default_configENS1_38merge_sort_block_merge_config_selectorIjNS0_10empty_typeEEEZZNS1_27merge_sort_block_merge_implIS3_N6thrust23THRUST_200600_302600_NS6detail15normal_iteratorINS9_10device_ptrIjEEEEPS5_m14custom_greaterIjEEE10hipError_tT0_T1_T2_jT3_P12ihipStream_tbPNSt15iterator_traitsISJ_E10value_typeEPNSP_ISK_E10value_typeEPSL_NS1_7vsmem_tEENKUlT_SJ_SK_SL_E_clIPjSE_SF_SF_EESI_SY_SJ_SK_SL_EUlSY_E1_NS1_11comp_targetILNS1_3genE8ELNS1_11target_archE1030ELNS1_3gpuE2ELNS1_3repE0EEENS1_36merge_oddeven_config_static_selectorELNS0_4arch9wavefront6targetE1EEEvSK_
                                        ; -- End function
	.section	.AMDGPU.csdata,"",@progbits
; Kernel info:
; codeLenInByte = 0
; NumSgprs: 4
; NumVgprs: 0
; NumAgprs: 0
; TotalNumVgprs: 0
; ScratchSize: 0
; MemoryBound: 0
; FloatMode: 240
; IeeeMode: 1
; LDSByteSize: 0 bytes/workgroup (compile time only)
; SGPRBlocks: 0
; VGPRBlocks: 0
; NumSGPRsForWavesPerEU: 4
; NumVGPRsForWavesPerEU: 1
; AccumOffset: 4
; Occupancy: 8
; WaveLimiterHint : 0
; COMPUTE_PGM_RSRC2:SCRATCH_EN: 0
; COMPUTE_PGM_RSRC2:USER_SGPR: 6
; COMPUTE_PGM_RSRC2:TRAP_HANDLER: 0
; COMPUTE_PGM_RSRC2:TGID_X_EN: 1
; COMPUTE_PGM_RSRC2:TGID_Y_EN: 0
; COMPUTE_PGM_RSRC2:TGID_Z_EN: 0
; COMPUTE_PGM_RSRC2:TIDIG_COMP_CNT: 0
; COMPUTE_PGM_RSRC3_GFX90A:ACCUM_OFFSET: 0
; COMPUTE_PGM_RSRC3_GFX90A:TG_SPLIT: 0
	.section	.text._ZN7rocprim17ROCPRIM_400000_NS6detail17trampoline_kernelINS0_14default_configENS1_38merge_sort_block_merge_config_selectorIjNS0_10empty_typeEEEZZNS1_27merge_sort_block_merge_implIS3_N6thrust23THRUST_200600_302600_NS6detail15normal_iteratorINS9_10device_ptrIjEEEEPS5_m14custom_greaterIjEEE10hipError_tT0_T1_T2_jT3_P12ihipStream_tbPNSt15iterator_traitsISJ_E10value_typeEPNSP_ISK_E10value_typeEPSL_NS1_7vsmem_tEENKUlT_SJ_SK_SL_E_clISE_PjSF_SF_EESI_SY_SJ_SK_SL_EUlSY_E_NS1_11comp_targetILNS1_3genE0ELNS1_11target_archE4294967295ELNS1_3gpuE0ELNS1_3repE0EEENS1_48merge_mergepath_partition_config_static_selectorELNS0_4arch9wavefront6targetE1EEEvSK_,"axG",@progbits,_ZN7rocprim17ROCPRIM_400000_NS6detail17trampoline_kernelINS0_14default_configENS1_38merge_sort_block_merge_config_selectorIjNS0_10empty_typeEEEZZNS1_27merge_sort_block_merge_implIS3_N6thrust23THRUST_200600_302600_NS6detail15normal_iteratorINS9_10device_ptrIjEEEEPS5_m14custom_greaterIjEEE10hipError_tT0_T1_T2_jT3_P12ihipStream_tbPNSt15iterator_traitsISJ_E10value_typeEPNSP_ISK_E10value_typeEPSL_NS1_7vsmem_tEENKUlT_SJ_SK_SL_E_clISE_PjSF_SF_EESI_SY_SJ_SK_SL_EUlSY_E_NS1_11comp_targetILNS1_3genE0ELNS1_11target_archE4294967295ELNS1_3gpuE0ELNS1_3repE0EEENS1_48merge_mergepath_partition_config_static_selectorELNS0_4arch9wavefront6targetE1EEEvSK_,comdat
	.protected	_ZN7rocprim17ROCPRIM_400000_NS6detail17trampoline_kernelINS0_14default_configENS1_38merge_sort_block_merge_config_selectorIjNS0_10empty_typeEEEZZNS1_27merge_sort_block_merge_implIS3_N6thrust23THRUST_200600_302600_NS6detail15normal_iteratorINS9_10device_ptrIjEEEEPS5_m14custom_greaterIjEEE10hipError_tT0_T1_T2_jT3_P12ihipStream_tbPNSt15iterator_traitsISJ_E10value_typeEPNSP_ISK_E10value_typeEPSL_NS1_7vsmem_tEENKUlT_SJ_SK_SL_E_clISE_PjSF_SF_EESI_SY_SJ_SK_SL_EUlSY_E_NS1_11comp_targetILNS1_3genE0ELNS1_11target_archE4294967295ELNS1_3gpuE0ELNS1_3repE0EEENS1_48merge_mergepath_partition_config_static_selectorELNS0_4arch9wavefront6targetE1EEEvSK_ ; -- Begin function _ZN7rocprim17ROCPRIM_400000_NS6detail17trampoline_kernelINS0_14default_configENS1_38merge_sort_block_merge_config_selectorIjNS0_10empty_typeEEEZZNS1_27merge_sort_block_merge_implIS3_N6thrust23THRUST_200600_302600_NS6detail15normal_iteratorINS9_10device_ptrIjEEEEPS5_m14custom_greaterIjEEE10hipError_tT0_T1_T2_jT3_P12ihipStream_tbPNSt15iterator_traitsISJ_E10value_typeEPNSP_ISK_E10value_typeEPSL_NS1_7vsmem_tEENKUlT_SJ_SK_SL_E_clISE_PjSF_SF_EESI_SY_SJ_SK_SL_EUlSY_E_NS1_11comp_targetILNS1_3genE0ELNS1_11target_archE4294967295ELNS1_3gpuE0ELNS1_3repE0EEENS1_48merge_mergepath_partition_config_static_selectorELNS0_4arch9wavefront6targetE1EEEvSK_
	.globl	_ZN7rocprim17ROCPRIM_400000_NS6detail17trampoline_kernelINS0_14default_configENS1_38merge_sort_block_merge_config_selectorIjNS0_10empty_typeEEEZZNS1_27merge_sort_block_merge_implIS3_N6thrust23THRUST_200600_302600_NS6detail15normal_iteratorINS9_10device_ptrIjEEEEPS5_m14custom_greaterIjEEE10hipError_tT0_T1_T2_jT3_P12ihipStream_tbPNSt15iterator_traitsISJ_E10value_typeEPNSP_ISK_E10value_typeEPSL_NS1_7vsmem_tEENKUlT_SJ_SK_SL_E_clISE_PjSF_SF_EESI_SY_SJ_SK_SL_EUlSY_E_NS1_11comp_targetILNS1_3genE0ELNS1_11target_archE4294967295ELNS1_3gpuE0ELNS1_3repE0EEENS1_48merge_mergepath_partition_config_static_selectorELNS0_4arch9wavefront6targetE1EEEvSK_
	.p2align	8
	.type	_ZN7rocprim17ROCPRIM_400000_NS6detail17trampoline_kernelINS0_14default_configENS1_38merge_sort_block_merge_config_selectorIjNS0_10empty_typeEEEZZNS1_27merge_sort_block_merge_implIS3_N6thrust23THRUST_200600_302600_NS6detail15normal_iteratorINS9_10device_ptrIjEEEEPS5_m14custom_greaterIjEEE10hipError_tT0_T1_T2_jT3_P12ihipStream_tbPNSt15iterator_traitsISJ_E10value_typeEPNSP_ISK_E10value_typeEPSL_NS1_7vsmem_tEENKUlT_SJ_SK_SL_E_clISE_PjSF_SF_EESI_SY_SJ_SK_SL_EUlSY_E_NS1_11comp_targetILNS1_3genE0ELNS1_11target_archE4294967295ELNS1_3gpuE0ELNS1_3repE0EEENS1_48merge_mergepath_partition_config_static_selectorELNS0_4arch9wavefront6targetE1EEEvSK_,@function
_ZN7rocprim17ROCPRIM_400000_NS6detail17trampoline_kernelINS0_14default_configENS1_38merge_sort_block_merge_config_selectorIjNS0_10empty_typeEEEZZNS1_27merge_sort_block_merge_implIS3_N6thrust23THRUST_200600_302600_NS6detail15normal_iteratorINS9_10device_ptrIjEEEEPS5_m14custom_greaterIjEEE10hipError_tT0_T1_T2_jT3_P12ihipStream_tbPNSt15iterator_traitsISJ_E10value_typeEPNSP_ISK_E10value_typeEPSL_NS1_7vsmem_tEENKUlT_SJ_SK_SL_E_clISE_PjSF_SF_EESI_SY_SJ_SK_SL_EUlSY_E_NS1_11comp_targetILNS1_3genE0ELNS1_11target_archE4294967295ELNS1_3gpuE0ELNS1_3repE0EEENS1_48merge_mergepath_partition_config_static_selectorELNS0_4arch9wavefront6targetE1EEEvSK_: ; @_ZN7rocprim17ROCPRIM_400000_NS6detail17trampoline_kernelINS0_14default_configENS1_38merge_sort_block_merge_config_selectorIjNS0_10empty_typeEEEZZNS1_27merge_sort_block_merge_implIS3_N6thrust23THRUST_200600_302600_NS6detail15normal_iteratorINS9_10device_ptrIjEEEEPS5_m14custom_greaterIjEEE10hipError_tT0_T1_T2_jT3_P12ihipStream_tbPNSt15iterator_traitsISJ_E10value_typeEPNSP_ISK_E10value_typeEPSL_NS1_7vsmem_tEENKUlT_SJ_SK_SL_E_clISE_PjSF_SF_EESI_SY_SJ_SK_SL_EUlSY_E_NS1_11comp_targetILNS1_3genE0ELNS1_11target_archE4294967295ELNS1_3gpuE0ELNS1_3repE0EEENS1_48merge_mergepath_partition_config_static_selectorELNS0_4arch9wavefront6targetE1EEEvSK_
; %bb.0:
	.section	.rodata,"a",@progbits
	.p2align	6, 0x0
	.amdhsa_kernel _ZN7rocprim17ROCPRIM_400000_NS6detail17trampoline_kernelINS0_14default_configENS1_38merge_sort_block_merge_config_selectorIjNS0_10empty_typeEEEZZNS1_27merge_sort_block_merge_implIS3_N6thrust23THRUST_200600_302600_NS6detail15normal_iteratorINS9_10device_ptrIjEEEEPS5_m14custom_greaterIjEEE10hipError_tT0_T1_T2_jT3_P12ihipStream_tbPNSt15iterator_traitsISJ_E10value_typeEPNSP_ISK_E10value_typeEPSL_NS1_7vsmem_tEENKUlT_SJ_SK_SL_E_clISE_PjSF_SF_EESI_SY_SJ_SK_SL_EUlSY_E_NS1_11comp_targetILNS1_3genE0ELNS1_11target_archE4294967295ELNS1_3gpuE0ELNS1_3repE0EEENS1_48merge_mergepath_partition_config_static_selectorELNS0_4arch9wavefront6targetE1EEEvSK_
		.amdhsa_group_segment_fixed_size 0
		.amdhsa_private_segment_fixed_size 0
		.amdhsa_kernarg_size 48
		.amdhsa_user_sgpr_count 6
		.amdhsa_user_sgpr_private_segment_buffer 1
		.amdhsa_user_sgpr_dispatch_ptr 0
		.amdhsa_user_sgpr_queue_ptr 0
		.amdhsa_user_sgpr_kernarg_segment_ptr 1
		.amdhsa_user_sgpr_dispatch_id 0
		.amdhsa_user_sgpr_flat_scratch_init 0
		.amdhsa_user_sgpr_kernarg_preload_length 0
		.amdhsa_user_sgpr_kernarg_preload_offset 0
		.amdhsa_user_sgpr_private_segment_size 0
		.amdhsa_uses_dynamic_stack 0
		.amdhsa_system_sgpr_private_segment_wavefront_offset 0
		.amdhsa_system_sgpr_workgroup_id_x 1
		.amdhsa_system_sgpr_workgroup_id_y 0
		.amdhsa_system_sgpr_workgroup_id_z 0
		.amdhsa_system_sgpr_workgroup_info 0
		.amdhsa_system_vgpr_workitem_id 0
		.amdhsa_next_free_vgpr 1
		.amdhsa_next_free_sgpr 0
		.amdhsa_accum_offset 4
		.amdhsa_reserve_vcc 0
		.amdhsa_reserve_flat_scratch 0
		.amdhsa_float_round_mode_32 0
		.amdhsa_float_round_mode_16_64 0
		.amdhsa_float_denorm_mode_32 3
		.amdhsa_float_denorm_mode_16_64 3
		.amdhsa_dx10_clamp 1
		.amdhsa_ieee_mode 1
		.amdhsa_fp16_overflow 0
		.amdhsa_tg_split 0
		.amdhsa_exception_fp_ieee_invalid_op 0
		.amdhsa_exception_fp_denorm_src 0
		.amdhsa_exception_fp_ieee_div_zero 0
		.amdhsa_exception_fp_ieee_overflow 0
		.amdhsa_exception_fp_ieee_underflow 0
		.amdhsa_exception_fp_ieee_inexact 0
		.amdhsa_exception_int_div_zero 0
	.end_amdhsa_kernel
	.section	.text._ZN7rocprim17ROCPRIM_400000_NS6detail17trampoline_kernelINS0_14default_configENS1_38merge_sort_block_merge_config_selectorIjNS0_10empty_typeEEEZZNS1_27merge_sort_block_merge_implIS3_N6thrust23THRUST_200600_302600_NS6detail15normal_iteratorINS9_10device_ptrIjEEEEPS5_m14custom_greaterIjEEE10hipError_tT0_T1_T2_jT3_P12ihipStream_tbPNSt15iterator_traitsISJ_E10value_typeEPNSP_ISK_E10value_typeEPSL_NS1_7vsmem_tEENKUlT_SJ_SK_SL_E_clISE_PjSF_SF_EESI_SY_SJ_SK_SL_EUlSY_E_NS1_11comp_targetILNS1_3genE0ELNS1_11target_archE4294967295ELNS1_3gpuE0ELNS1_3repE0EEENS1_48merge_mergepath_partition_config_static_selectorELNS0_4arch9wavefront6targetE1EEEvSK_,"axG",@progbits,_ZN7rocprim17ROCPRIM_400000_NS6detail17trampoline_kernelINS0_14default_configENS1_38merge_sort_block_merge_config_selectorIjNS0_10empty_typeEEEZZNS1_27merge_sort_block_merge_implIS3_N6thrust23THRUST_200600_302600_NS6detail15normal_iteratorINS9_10device_ptrIjEEEEPS5_m14custom_greaterIjEEE10hipError_tT0_T1_T2_jT3_P12ihipStream_tbPNSt15iterator_traitsISJ_E10value_typeEPNSP_ISK_E10value_typeEPSL_NS1_7vsmem_tEENKUlT_SJ_SK_SL_E_clISE_PjSF_SF_EESI_SY_SJ_SK_SL_EUlSY_E_NS1_11comp_targetILNS1_3genE0ELNS1_11target_archE4294967295ELNS1_3gpuE0ELNS1_3repE0EEENS1_48merge_mergepath_partition_config_static_selectorELNS0_4arch9wavefront6targetE1EEEvSK_,comdat
.Lfunc_end3187:
	.size	_ZN7rocprim17ROCPRIM_400000_NS6detail17trampoline_kernelINS0_14default_configENS1_38merge_sort_block_merge_config_selectorIjNS0_10empty_typeEEEZZNS1_27merge_sort_block_merge_implIS3_N6thrust23THRUST_200600_302600_NS6detail15normal_iteratorINS9_10device_ptrIjEEEEPS5_m14custom_greaterIjEEE10hipError_tT0_T1_T2_jT3_P12ihipStream_tbPNSt15iterator_traitsISJ_E10value_typeEPNSP_ISK_E10value_typeEPSL_NS1_7vsmem_tEENKUlT_SJ_SK_SL_E_clISE_PjSF_SF_EESI_SY_SJ_SK_SL_EUlSY_E_NS1_11comp_targetILNS1_3genE0ELNS1_11target_archE4294967295ELNS1_3gpuE0ELNS1_3repE0EEENS1_48merge_mergepath_partition_config_static_selectorELNS0_4arch9wavefront6targetE1EEEvSK_, .Lfunc_end3187-_ZN7rocprim17ROCPRIM_400000_NS6detail17trampoline_kernelINS0_14default_configENS1_38merge_sort_block_merge_config_selectorIjNS0_10empty_typeEEEZZNS1_27merge_sort_block_merge_implIS3_N6thrust23THRUST_200600_302600_NS6detail15normal_iteratorINS9_10device_ptrIjEEEEPS5_m14custom_greaterIjEEE10hipError_tT0_T1_T2_jT3_P12ihipStream_tbPNSt15iterator_traitsISJ_E10value_typeEPNSP_ISK_E10value_typeEPSL_NS1_7vsmem_tEENKUlT_SJ_SK_SL_E_clISE_PjSF_SF_EESI_SY_SJ_SK_SL_EUlSY_E_NS1_11comp_targetILNS1_3genE0ELNS1_11target_archE4294967295ELNS1_3gpuE0ELNS1_3repE0EEENS1_48merge_mergepath_partition_config_static_selectorELNS0_4arch9wavefront6targetE1EEEvSK_
                                        ; -- End function
	.section	.AMDGPU.csdata,"",@progbits
; Kernel info:
; codeLenInByte = 0
; NumSgprs: 4
; NumVgprs: 0
; NumAgprs: 0
; TotalNumVgprs: 0
; ScratchSize: 0
; MemoryBound: 0
; FloatMode: 240
; IeeeMode: 1
; LDSByteSize: 0 bytes/workgroup (compile time only)
; SGPRBlocks: 0
; VGPRBlocks: 0
; NumSGPRsForWavesPerEU: 4
; NumVGPRsForWavesPerEU: 1
; AccumOffset: 4
; Occupancy: 8
; WaveLimiterHint : 0
; COMPUTE_PGM_RSRC2:SCRATCH_EN: 0
; COMPUTE_PGM_RSRC2:USER_SGPR: 6
; COMPUTE_PGM_RSRC2:TRAP_HANDLER: 0
; COMPUTE_PGM_RSRC2:TGID_X_EN: 1
; COMPUTE_PGM_RSRC2:TGID_Y_EN: 0
; COMPUTE_PGM_RSRC2:TGID_Z_EN: 0
; COMPUTE_PGM_RSRC2:TIDIG_COMP_CNT: 0
; COMPUTE_PGM_RSRC3_GFX90A:ACCUM_OFFSET: 0
; COMPUTE_PGM_RSRC3_GFX90A:TG_SPLIT: 0
	.section	.text._ZN7rocprim17ROCPRIM_400000_NS6detail17trampoline_kernelINS0_14default_configENS1_38merge_sort_block_merge_config_selectorIjNS0_10empty_typeEEEZZNS1_27merge_sort_block_merge_implIS3_N6thrust23THRUST_200600_302600_NS6detail15normal_iteratorINS9_10device_ptrIjEEEEPS5_m14custom_greaterIjEEE10hipError_tT0_T1_T2_jT3_P12ihipStream_tbPNSt15iterator_traitsISJ_E10value_typeEPNSP_ISK_E10value_typeEPSL_NS1_7vsmem_tEENKUlT_SJ_SK_SL_E_clISE_PjSF_SF_EESI_SY_SJ_SK_SL_EUlSY_E_NS1_11comp_targetILNS1_3genE10ELNS1_11target_archE1201ELNS1_3gpuE5ELNS1_3repE0EEENS1_48merge_mergepath_partition_config_static_selectorELNS0_4arch9wavefront6targetE1EEEvSK_,"axG",@progbits,_ZN7rocprim17ROCPRIM_400000_NS6detail17trampoline_kernelINS0_14default_configENS1_38merge_sort_block_merge_config_selectorIjNS0_10empty_typeEEEZZNS1_27merge_sort_block_merge_implIS3_N6thrust23THRUST_200600_302600_NS6detail15normal_iteratorINS9_10device_ptrIjEEEEPS5_m14custom_greaterIjEEE10hipError_tT0_T1_T2_jT3_P12ihipStream_tbPNSt15iterator_traitsISJ_E10value_typeEPNSP_ISK_E10value_typeEPSL_NS1_7vsmem_tEENKUlT_SJ_SK_SL_E_clISE_PjSF_SF_EESI_SY_SJ_SK_SL_EUlSY_E_NS1_11comp_targetILNS1_3genE10ELNS1_11target_archE1201ELNS1_3gpuE5ELNS1_3repE0EEENS1_48merge_mergepath_partition_config_static_selectorELNS0_4arch9wavefront6targetE1EEEvSK_,comdat
	.protected	_ZN7rocprim17ROCPRIM_400000_NS6detail17trampoline_kernelINS0_14default_configENS1_38merge_sort_block_merge_config_selectorIjNS0_10empty_typeEEEZZNS1_27merge_sort_block_merge_implIS3_N6thrust23THRUST_200600_302600_NS6detail15normal_iteratorINS9_10device_ptrIjEEEEPS5_m14custom_greaterIjEEE10hipError_tT0_T1_T2_jT3_P12ihipStream_tbPNSt15iterator_traitsISJ_E10value_typeEPNSP_ISK_E10value_typeEPSL_NS1_7vsmem_tEENKUlT_SJ_SK_SL_E_clISE_PjSF_SF_EESI_SY_SJ_SK_SL_EUlSY_E_NS1_11comp_targetILNS1_3genE10ELNS1_11target_archE1201ELNS1_3gpuE5ELNS1_3repE0EEENS1_48merge_mergepath_partition_config_static_selectorELNS0_4arch9wavefront6targetE1EEEvSK_ ; -- Begin function _ZN7rocprim17ROCPRIM_400000_NS6detail17trampoline_kernelINS0_14default_configENS1_38merge_sort_block_merge_config_selectorIjNS0_10empty_typeEEEZZNS1_27merge_sort_block_merge_implIS3_N6thrust23THRUST_200600_302600_NS6detail15normal_iteratorINS9_10device_ptrIjEEEEPS5_m14custom_greaterIjEEE10hipError_tT0_T1_T2_jT3_P12ihipStream_tbPNSt15iterator_traitsISJ_E10value_typeEPNSP_ISK_E10value_typeEPSL_NS1_7vsmem_tEENKUlT_SJ_SK_SL_E_clISE_PjSF_SF_EESI_SY_SJ_SK_SL_EUlSY_E_NS1_11comp_targetILNS1_3genE10ELNS1_11target_archE1201ELNS1_3gpuE5ELNS1_3repE0EEENS1_48merge_mergepath_partition_config_static_selectorELNS0_4arch9wavefront6targetE1EEEvSK_
	.globl	_ZN7rocprim17ROCPRIM_400000_NS6detail17trampoline_kernelINS0_14default_configENS1_38merge_sort_block_merge_config_selectorIjNS0_10empty_typeEEEZZNS1_27merge_sort_block_merge_implIS3_N6thrust23THRUST_200600_302600_NS6detail15normal_iteratorINS9_10device_ptrIjEEEEPS5_m14custom_greaterIjEEE10hipError_tT0_T1_T2_jT3_P12ihipStream_tbPNSt15iterator_traitsISJ_E10value_typeEPNSP_ISK_E10value_typeEPSL_NS1_7vsmem_tEENKUlT_SJ_SK_SL_E_clISE_PjSF_SF_EESI_SY_SJ_SK_SL_EUlSY_E_NS1_11comp_targetILNS1_3genE10ELNS1_11target_archE1201ELNS1_3gpuE5ELNS1_3repE0EEENS1_48merge_mergepath_partition_config_static_selectorELNS0_4arch9wavefront6targetE1EEEvSK_
	.p2align	8
	.type	_ZN7rocprim17ROCPRIM_400000_NS6detail17trampoline_kernelINS0_14default_configENS1_38merge_sort_block_merge_config_selectorIjNS0_10empty_typeEEEZZNS1_27merge_sort_block_merge_implIS3_N6thrust23THRUST_200600_302600_NS6detail15normal_iteratorINS9_10device_ptrIjEEEEPS5_m14custom_greaterIjEEE10hipError_tT0_T1_T2_jT3_P12ihipStream_tbPNSt15iterator_traitsISJ_E10value_typeEPNSP_ISK_E10value_typeEPSL_NS1_7vsmem_tEENKUlT_SJ_SK_SL_E_clISE_PjSF_SF_EESI_SY_SJ_SK_SL_EUlSY_E_NS1_11comp_targetILNS1_3genE10ELNS1_11target_archE1201ELNS1_3gpuE5ELNS1_3repE0EEENS1_48merge_mergepath_partition_config_static_selectorELNS0_4arch9wavefront6targetE1EEEvSK_,@function
_ZN7rocprim17ROCPRIM_400000_NS6detail17trampoline_kernelINS0_14default_configENS1_38merge_sort_block_merge_config_selectorIjNS0_10empty_typeEEEZZNS1_27merge_sort_block_merge_implIS3_N6thrust23THRUST_200600_302600_NS6detail15normal_iteratorINS9_10device_ptrIjEEEEPS5_m14custom_greaterIjEEE10hipError_tT0_T1_T2_jT3_P12ihipStream_tbPNSt15iterator_traitsISJ_E10value_typeEPNSP_ISK_E10value_typeEPSL_NS1_7vsmem_tEENKUlT_SJ_SK_SL_E_clISE_PjSF_SF_EESI_SY_SJ_SK_SL_EUlSY_E_NS1_11comp_targetILNS1_3genE10ELNS1_11target_archE1201ELNS1_3gpuE5ELNS1_3repE0EEENS1_48merge_mergepath_partition_config_static_selectorELNS0_4arch9wavefront6targetE1EEEvSK_: ; @_ZN7rocprim17ROCPRIM_400000_NS6detail17trampoline_kernelINS0_14default_configENS1_38merge_sort_block_merge_config_selectorIjNS0_10empty_typeEEEZZNS1_27merge_sort_block_merge_implIS3_N6thrust23THRUST_200600_302600_NS6detail15normal_iteratorINS9_10device_ptrIjEEEEPS5_m14custom_greaterIjEEE10hipError_tT0_T1_T2_jT3_P12ihipStream_tbPNSt15iterator_traitsISJ_E10value_typeEPNSP_ISK_E10value_typeEPSL_NS1_7vsmem_tEENKUlT_SJ_SK_SL_E_clISE_PjSF_SF_EESI_SY_SJ_SK_SL_EUlSY_E_NS1_11comp_targetILNS1_3genE10ELNS1_11target_archE1201ELNS1_3gpuE5ELNS1_3repE0EEENS1_48merge_mergepath_partition_config_static_selectorELNS0_4arch9wavefront6targetE1EEEvSK_
; %bb.0:
	.section	.rodata,"a",@progbits
	.p2align	6, 0x0
	.amdhsa_kernel _ZN7rocprim17ROCPRIM_400000_NS6detail17trampoline_kernelINS0_14default_configENS1_38merge_sort_block_merge_config_selectorIjNS0_10empty_typeEEEZZNS1_27merge_sort_block_merge_implIS3_N6thrust23THRUST_200600_302600_NS6detail15normal_iteratorINS9_10device_ptrIjEEEEPS5_m14custom_greaterIjEEE10hipError_tT0_T1_T2_jT3_P12ihipStream_tbPNSt15iterator_traitsISJ_E10value_typeEPNSP_ISK_E10value_typeEPSL_NS1_7vsmem_tEENKUlT_SJ_SK_SL_E_clISE_PjSF_SF_EESI_SY_SJ_SK_SL_EUlSY_E_NS1_11comp_targetILNS1_3genE10ELNS1_11target_archE1201ELNS1_3gpuE5ELNS1_3repE0EEENS1_48merge_mergepath_partition_config_static_selectorELNS0_4arch9wavefront6targetE1EEEvSK_
		.amdhsa_group_segment_fixed_size 0
		.amdhsa_private_segment_fixed_size 0
		.amdhsa_kernarg_size 48
		.amdhsa_user_sgpr_count 6
		.amdhsa_user_sgpr_private_segment_buffer 1
		.amdhsa_user_sgpr_dispatch_ptr 0
		.amdhsa_user_sgpr_queue_ptr 0
		.amdhsa_user_sgpr_kernarg_segment_ptr 1
		.amdhsa_user_sgpr_dispatch_id 0
		.amdhsa_user_sgpr_flat_scratch_init 0
		.amdhsa_user_sgpr_kernarg_preload_length 0
		.amdhsa_user_sgpr_kernarg_preload_offset 0
		.amdhsa_user_sgpr_private_segment_size 0
		.amdhsa_uses_dynamic_stack 0
		.amdhsa_system_sgpr_private_segment_wavefront_offset 0
		.amdhsa_system_sgpr_workgroup_id_x 1
		.amdhsa_system_sgpr_workgroup_id_y 0
		.amdhsa_system_sgpr_workgroup_id_z 0
		.amdhsa_system_sgpr_workgroup_info 0
		.amdhsa_system_vgpr_workitem_id 0
		.amdhsa_next_free_vgpr 1
		.amdhsa_next_free_sgpr 0
		.amdhsa_accum_offset 4
		.amdhsa_reserve_vcc 0
		.amdhsa_reserve_flat_scratch 0
		.amdhsa_float_round_mode_32 0
		.amdhsa_float_round_mode_16_64 0
		.amdhsa_float_denorm_mode_32 3
		.amdhsa_float_denorm_mode_16_64 3
		.amdhsa_dx10_clamp 1
		.amdhsa_ieee_mode 1
		.amdhsa_fp16_overflow 0
		.amdhsa_tg_split 0
		.amdhsa_exception_fp_ieee_invalid_op 0
		.amdhsa_exception_fp_denorm_src 0
		.amdhsa_exception_fp_ieee_div_zero 0
		.amdhsa_exception_fp_ieee_overflow 0
		.amdhsa_exception_fp_ieee_underflow 0
		.amdhsa_exception_fp_ieee_inexact 0
		.amdhsa_exception_int_div_zero 0
	.end_amdhsa_kernel
	.section	.text._ZN7rocprim17ROCPRIM_400000_NS6detail17trampoline_kernelINS0_14default_configENS1_38merge_sort_block_merge_config_selectorIjNS0_10empty_typeEEEZZNS1_27merge_sort_block_merge_implIS3_N6thrust23THRUST_200600_302600_NS6detail15normal_iteratorINS9_10device_ptrIjEEEEPS5_m14custom_greaterIjEEE10hipError_tT0_T1_T2_jT3_P12ihipStream_tbPNSt15iterator_traitsISJ_E10value_typeEPNSP_ISK_E10value_typeEPSL_NS1_7vsmem_tEENKUlT_SJ_SK_SL_E_clISE_PjSF_SF_EESI_SY_SJ_SK_SL_EUlSY_E_NS1_11comp_targetILNS1_3genE10ELNS1_11target_archE1201ELNS1_3gpuE5ELNS1_3repE0EEENS1_48merge_mergepath_partition_config_static_selectorELNS0_4arch9wavefront6targetE1EEEvSK_,"axG",@progbits,_ZN7rocprim17ROCPRIM_400000_NS6detail17trampoline_kernelINS0_14default_configENS1_38merge_sort_block_merge_config_selectorIjNS0_10empty_typeEEEZZNS1_27merge_sort_block_merge_implIS3_N6thrust23THRUST_200600_302600_NS6detail15normal_iteratorINS9_10device_ptrIjEEEEPS5_m14custom_greaterIjEEE10hipError_tT0_T1_T2_jT3_P12ihipStream_tbPNSt15iterator_traitsISJ_E10value_typeEPNSP_ISK_E10value_typeEPSL_NS1_7vsmem_tEENKUlT_SJ_SK_SL_E_clISE_PjSF_SF_EESI_SY_SJ_SK_SL_EUlSY_E_NS1_11comp_targetILNS1_3genE10ELNS1_11target_archE1201ELNS1_3gpuE5ELNS1_3repE0EEENS1_48merge_mergepath_partition_config_static_selectorELNS0_4arch9wavefront6targetE1EEEvSK_,comdat
.Lfunc_end3188:
	.size	_ZN7rocprim17ROCPRIM_400000_NS6detail17trampoline_kernelINS0_14default_configENS1_38merge_sort_block_merge_config_selectorIjNS0_10empty_typeEEEZZNS1_27merge_sort_block_merge_implIS3_N6thrust23THRUST_200600_302600_NS6detail15normal_iteratorINS9_10device_ptrIjEEEEPS5_m14custom_greaterIjEEE10hipError_tT0_T1_T2_jT3_P12ihipStream_tbPNSt15iterator_traitsISJ_E10value_typeEPNSP_ISK_E10value_typeEPSL_NS1_7vsmem_tEENKUlT_SJ_SK_SL_E_clISE_PjSF_SF_EESI_SY_SJ_SK_SL_EUlSY_E_NS1_11comp_targetILNS1_3genE10ELNS1_11target_archE1201ELNS1_3gpuE5ELNS1_3repE0EEENS1_48merge_mergepath_partition_config_static_selectorELNS0_4arch9wavefront6targetE1EEEvSK_, .Lfunc_end3188-_ZN7rocprim17ROCPRIM_400000_NS6detail17trampoline_kernelINS0_14default_configENS1_38merge_sort_block_merge_config_selectorIjNS0_10empty_typeEEEZZNS1_27merge_sort_block_merge_implIS3_N6thrust23THRUST_200600_302600_NS6detail15normal_iteratorINS9_10device_ptrIjEEEEPS5_m14custom_greaterIjEEE10hipError_tT0_T1_T2_jT3_P12ihipStream_tbPNSt15iterator_traitsISJ_E10value_typeEPNSP_ISK_E10value_typeEPSL_NS1_7vsmem_tEENKUlT_SJ_SK_SL_E_clISE_PjSF_SF_EESI_SY_SJ_SK_SL_EUlSY_E_NS1_11comp_targetILNS1_3genE10ELNS1_11target_archE1201ELNS1_3gpuE5ELNS1_3repE0EEENS1_48merge_mergepath_partition_config_static_selectorELNS0_4arch9wavefront6targetE1EEEvSK_
                                        ; -- End function
	.section	.AMDGPU.csdata,"",@progbits
; Kernel info:
; codeLenInByte = 0
; NumSgprs: 4
; NumVgprs: 0
; NumAgprs: 0
; TotalNumVgprs: 0
; ScratchSize: 0
; MemoryBound: 0
; FloatMode: 240
; IeeeMode: 1
; LDSByteSize: 0 bytes/workgroup (compile time only)
; SGPRBlocks: 0
; VGPRBlocks: 0
; NumSGPRsForWavesPerEU: 4
; NumVGPRsForWavesPerEU: 1
; AccumOffset: 4
; Occupancy: 8
; WaveLimiterHint : 0
; COMPUTE_PGM_RSRC2:SCRATCH_EN: 0
; COMPUTE_PGM_RSRC2:USER_SGPR: 6
; COMPUTE_PGM_RSRC2:TRAP_HANDLER: 0
; COMPUTE_PGM_RSRC2:TGID_X_EN: 1
; COMPUTE_PGM_RSRC2:TGID_Y_EN: 0
; COMPUTE_PGM_RSRC2:TGID_Z_EN: 0
; COMPUTE_PGM_RSRC2:TIDIG_COMP_CNT: 0
; COMPUTE_PGM_RSRC3_GFX90A:ACCUM_OFFSET: 0
; COMPUTE_PGM_RSRC3_GFX90A:TG_SPLIT: 0
	.section	.text._ZN7rocprim17ROCPRIM_400000_NS6detail17trampoline_kernelINS0_14default_configENS1_38merge_sort_block_merge_config_selectorIjNS0_10empty_typeEEEZZNS1_27merge_sort_block_merge_implIS3_N6thrust23THRUST_200600_302600_NS6detail15normal_iteratorINS9_10device_ptrIjEEEEPS5_m14custom_greaterIjEEE10hipError_tT0_T1_T2_jT3_P12ihipStream_tbPNSt15iterator_traitsISJ_E10value_typeEPNSP_ISK_E10value_typeEPSL_NS1_7vsmem_tEENKUlT_SJ_SK_SL_E_clISE_PjSF_SF_EESI_SY_SJ_SK_SL_EUlSY_E_NS1_11comp_targetILNS1_3genE5ELNS1_11target_archE942ELNS1_3gpuE9ELNS1_3repE0EEENS1_48merge_mergepath_partition_config_static_selectorELNS0_4arch9wavefront6targetE1EEEvSK_,"axG",@progbits,_ZN7rocprim17ROCPRIM_400000_NS6detail17trampoline_kernelINS0_14default_configENS1_38merge_sort_block_merge_config_selectorIjNS0_10empty_typeEEEZZNS1_27merge_sort_block_merge_implIS3_N6thrust23THRUST_200600_302600_NS6detail15normal_iteratorINS9_10device_ptrIjEEEEPS5_m14custom_greaterIjEEE10hipError_tT0_T1_T2_jT3_P12ihipStream_tbPNSt15iterator_traitsISJ_E10value_typeEPNSP_ISK_E10value_typeEPSL_NS1_7vsmem_tEENKUlT_SJ_SK_SL_E_clISE_PjSF_SF_EESI_SY_SJ_SK_SL_EUlSY_E_NS1_11comp_targetILNS1_3genE5ELNS1_11target_archE942ELNS1_3gpuE9ELNS1_3repE0EEENS1_48merge_mergepath_partition_config_static_selectorELNS0_4arch9wavefront6targetE1EEEvSK_,comdat
	.protected	_ZN7rocprim17ROCPRIM_400000_NS6detail17trampoline_kernelINS0_14default_configENS1_38merge_sort_block_merge_config_selectorIjNS0_10empty_typeEEEZZNS1_27merge_sort_block_merge_implIS3_N6thrust23THRUST_200600_302600_NS6detail15normal_iteratorINS9_10device_ptrIjEEEEPS5_m14custom_greaterIjEEE10hipError_tT0_T1_T2_jT3_P12ihipStream_tbPNSt15iterator_traitsISJ_E10value_typeEPNSP_ISK_E10value_typeEPSL_NS1_7vsmem_tEENKUlT_SJ_SK_SL_E_clISE_PjSF_SF_EESI_SY_SJ_SK_SL_EUlSY_E_NS1_11comp_targetILNS1_3genE5ELNS1_11target_archE942ELNS1_3gpuE9ELNS1_3repE0EEENS1_48merge_mergepath_partition_config_static_selectorELNS0_4arch9wavefront6targetE1EEEvSK_ ; -- Begin function _ZN7rocprim17ROCPRIM_400000_NS6detail17trampoline_kernelINS0_14default_configENS1_38merge_sort_block_merge_config_selectorIjNS0_10empty_typeEEEZZNS1_27merge_sort_block_merge_implIS3_N6thrust23THRUST_200600_302600_NS6detail15normal_iteratorINS9_10device_ptrIjEEEEPS5_m14custom_greaterIjEEE10hipError_tT0_T1_T2_jT3_P12ihipStream_tbPNSt15iterator_traitsISJ_E10value_typeEPNSP_ISK_E10value_typeEPSL_NS1_7vsmem_tEENKUlT_SJ_SK_SL_E_clISE_PjSF_SF_EESI_SY_SJ_SK_SL_EUlSY_E_NS1_11comp_targetILNS1_3genE5ELNS1_11target_archE942ELNS1_3gpuE9ELNS1_3repE0EEENS1_48merge_mergepath_partition_config_static_selectorELNS0_4arch9wavefront6targetE1EEEvSK_
	.globl	_ZN7rocprim17ROCPRIM_400000_NS6detail17trampoline_kernelINS0_14default_configENS1_38merge_sort_block_merge_config_selectorIjNS0_10empty_typeEEEZZNS1_27merge_sort_block_merge_implIS3_N6thrust23THRUST_200600_302600_NS6detail15normal_iteratorINS9_10device_ptrIjEEEEPS5_m14custom_greaterIjEEE10hipError_tT0_T1_T2_jT3_P12ihipStream_tbPNSt15iterator_traitsISJ_E10value_typeEPNSP_ISK_E10value_typeEPSL_NS1_7vsmem_tEENKUlT_SJ_SK_SL_E_clISE_PjSF_SF_EESI_SY_SJ_SK_SL_EUlSY_E_NS1_11comp_targetILNS1_3genE5ELNS1_11target_archE942ELNS1_3gpuE9ELNS1_3repE0EEENS1_48merge_mergepath_partition_config_static_selectorELNS0_4arch9wavefront6targetE1EEEvSK_
	.p2align	8
	.type	_ZN7rocprim17ROCPRIM_400000_NS6detail17trampoline_kernelINS0_14default_configENS1_38merge_sort_block_merge_config_selectorIjNS0_10empty_typeEEEZZNS1_27merge_sort_block_merge_implIS3_N6thrust23THRUST_200600_302600_NS6detail15normal_iteratorINS9_10device_ptrIjEEEEPS5_m14custom_greaterIjEEE10hipError_tT0_T1_T2_jT3_P12ihipStream_tbPNSt15iterator_traitsISJ_E10value_typeEPNSP_ISK_E10value_typeEPSL_NS1_7vsmem_tEENKUlT_SJ_SK_SL_E_clISE_PjSF_SF_EESI_SY_SJ_SK_SL_EUlSY_E_NS1_11comp_targetILNS1_3genE5ELNS1_11target_archE942ELNS1_3gpuE9ELNS1_3repE0EEENS1_48merge_mergepath_partition_config_static_selectorELNS0_4arch9wavefront6targetE1EEEvSK_,@function
_ZN7rocprim17ROCPRIM_400000_NS6detail17trampoline_kernelINS0_14default_configENS1_38merge_sort_block_merge_config_selectorIjNS0_10empty_typeEEEZZNS1_27merge_sort_block_merge_implIS3_N6thrust23THRUST_200600_302600_NS6detail15normal_iteratorINS9_10device_ptrIjEEEEPS5_m14custom_greaterIjEEE10hipError_tT0_T1_T2_jT3_P12ihipStream_tbPNSt15iterator_traitsISJ_E10value_typeEPNSP_ISK_E10value_typeEPSL_NS1_7vsmem_tEENKUlT_SJ_SK_SL_E_clISE_PjSF_SF_EESI_SY_SJ_SK_SL_EUlSY_E_NS1_11comp_targetILNS1_3genE5ELNS1_11target_archE942ELNS1_3gpuE9ELNS1_3repE0EEENS1_48merge_mergepath_partition_config_static_selectorELNS0_4arch9wavefront6targetE1EEEvSK_: ; @_ZN7rocprim17ROCPRIM_400000_NS6detail17trampoline_kernelINS0_14default_configENS1_38merge_sort_block_merge_config_selectorIjNS0_10empty_typeEEEZZNS1_27merge_sort_block_merge_implIS3_N6thrust23THRUST_200600_302600_NS6detail15normal_iteratorINS9_10device_ptrIjEEEEPS5_m14custom_greaterIjEEE10hipError_tT0_T1_T2_jT3_P12ihipStream_tbPNSt15iterator_traitsISJ_E10value_typeEPNSP_ISK_E10value_typeEPSL_NS1_7vsmem_tEENKUlT_SJ_SK_SL_E_clISE_PjSF_SF_EESI_SY_SJ_SK_SL_EUlSY_E_NS1_11comp_targetILNS1_3genE5ELNS1_11target_archE942ELNS1_3gpuE9ELNS1_3repE0EEENS1_48merge_mergepath_partition_config_static_selectorELNS0_4arch9wavefront6targetE1EEEvSK_
; %bb.0:
	.section	.rodata,"a",@progbits
	.p2align	6, 0x0
	.amdhsa_kernel _ZN7rocprim17ROCPRIM_400000_NS6detail17trampoline_kernelINS0_14default_configENS1_38merge_sort_block_merge_config_selectorIjNS0_10empty_typeEEEZZNS1_27merge_sort_block_merge_implIS3_N6thrust23THRUST_200600_302600_NS6detail15normal_iteratorINS9_10device_ptrIjEEEEPS5_m14custom_greaterIjEEE10hipError_tT0_T1_T2_jT3_P12ihipStream_tbPNSt15iterator_traitsISJ_E10value_typeEPNSP_ISK_E10value_typeEPSL_NS1_7vsmem_tEENKUlT_SJ_SK_SL_E_clISE_PjSF_SF_EESI_SY_SJ_SK_SL_EUlSY_E_NS1_11comp_targetILNS1_3genE5ELNS1_11target_archE942ELNS1_3gpuE9ELNS1_3repE0EEENS1_48merge_mergepath_partition_config_static_selectorELNS0_4arch9wavefront6targetE1EEEvSK_
		.amdhsa_group_segment_fixed_size 0
		.amdhsa_private_segment_fixed_size 0
		.amdhsa_kernarg_size 48
		.amdhsa_user_sgpr_count 6
		.amdhsa_user_sgpr_private_segment_buffer 1
		.amdhsa_user_sgpr_dispatch_ptr 0
		.amdhsa_user_sgpr_queue_ptr 0
		.amdhsa_user_sgpr_kernarg_segment_ptr 1
		.amdhsa_user_sgpr_dispatch_id 0
		.amdhsa_user_sgpr_flat_scratch_init 0
		.amdhsa_user_sgpr_kernarg_preload_length 0
		.amdhsa_user_sgpr_kernarg_preload_offset 0
		.amdhsa_user_sgpr_private_segment_size 0
		.amdhsa_uses_dynamic_stack 0
		.amdhsa_system_sgpr_private_segment_wavefront_offset 0
		.amdhsa_system_sgpr_workgroup_id_x 1
		.amdhsa_system_sgpr_workgroup_id_y 0
		.amdhsa_system_sgpr_workgroup_id_z 0
		.amdhsa_system_sgpr_workgroup_info 0
		.amdhsa_system_vgpr_workitem_id 0
		.amdhsa_next_free_vgpr 1
		.amdhsa_next_free_sgpr 0
		.amdhsa_accum_offset 4
		.amdhsa_reserve_vcc 0
		.amdhsa_reserve_flat_scratch 0
		.amdhsa_float_round_mode_32 0
		.amdhsa_float_round_mode_16_64 0
		.amdhsa_float_denorm_mode_32 3
		.amdhsa_float_denorm_mode_16_64 3
		.amdhsa_dx10_clamp 1
		.amdhsa_ieee_mode 1
		.amdhsa_fp16_overflow 0
		.amdhsa_tg_split 0
		.amdhsa_exception_fp_ieee_invalid_op 0
		.amdhsa_exception_fp_denorm_src 0
		.amdhsa_exception_fp_ieee_div_zero 0
		.amdhsa_exception_fp_ieee_overflow 0
		.amdhsa_exception_fp_ieee_underflow 0
		.amdhsa_exception_fp_ieee_inexact 0
		.amdhsa_exception_int_div_zero 0
	.end_amdhsa_kernel
	.section	.text._ZN7rocprim17ROCPRIM_400000_NS6detail17trampoline_kernelINS0_14default_configENS1_38merge_sort_block_merge_config_selectorIjNS0_10empty_typeEEEZZNS1_27merge_sort_block_merge_implIS3_N6thrust23THRUST_200600_302600_NS6detail15normal_iteratorINS9_10device_ptrIjEEEEPS5_m14custom_greaterIjEEE10hipError_tT0_T1_T2_jT3_P12ihipStream_tbPNSt15iterator_traitsISJ_E10value_typeEPNSP_ISK_E10value_typeEPSL_NS1_7vsmem_tEENKUlT_SJ_SK_SL_E_clISE_PjSF_SF_EESI_SY_SJ_SK_SL_EUlSY_E_NS1_11comp_targetILNS1_3genE5ELNS1_11target_archE942ELNS1_3gpuE9ELNS1_3repE0EEENS1_48merge_mergepath_partition_config_static_selectorELNS0_4arch9wavefront6targetE1EEEvSK_,"axG",@progbits,_ZN7rocprim17ROCPRIM_400000_NS6detail17trampoline_kernelINS0_14default_configENS1_38merge_sort_block_merge_config_selectorIjNS0_10empty_typeEEEZZNS1_27merge_sort_block_merge_implIS3_N6thrust23THRUST_200600_302600_NS6detail15normal_iteratorINS9_10device_ptrIjEEEEPS5_m14custom_greaterIjEEE10hipError_tT0_T1_T2_jT3_P12ihipStream_tbPNSt15iterator_traitsISJ_E10value_typeEPNSP_ISK_E10value_typeEPSL_NS1_7vsmem_tEENKUlT_SJ_SK_SL_E_clISE_PjSF_SF_EESI_SY_SJ_SK_SL_EUlSY_E_NS1_11comp_targetILNS1_3genE5ELNS1_11target_archE942ELNS1_3gpuE9ELNS1_3repE0EEENS1_48merge_mergepath_partition_config_static_selectorELNS0_4arch9wavefront6targetE1EEEvSK_,comdat
.Lfunc_end3189:
	.size	_ZN7rocprim17ROCPRIM_400000_NS6detail17trampoline_kernelINS0_14default_configENS1_38merge_sort_block_merge_config_selectorIjNS0_10empty_typeEEEZZNS1_27merge_sort_block_merge_implIS3_N6thrust23THRUST_200600_302600_NS6detail15normal_iteratorINS9_10device_ptrIjEEEEPS5_m14custom_greaterIjEEE10hipError_tT0_T1_T2_jT3_P12ihipStream_tbPNSt15iterator_traitsISJ_E10value_typeEPNSP_ISK_E10value_typeEPSL_NS1_7vsmem_tEENKUlT_SJ_SK_SL_E_clISE_PjSF_SF_EESI_SY_SJ_SK_SL_EUlSY_E_NS1_11comp_targetILNS1_3genE5ELNS1_11target_archE942ELNS1_3gpuE9ELNS1_3repE0EEENS1_48merge_mergepath_partition_config_static_selectorELNS0_4arch9wavefront6targetE1EEEvSK_, .Lfunc_end3189-_ZN7rocprim17ROCPRIM_400000_NS6detail17trampoline_kernelINS0_14default_configENS1_38merge_sort_block_merge_config_selectorIjNS0_10empty_typeEEEZZNS1_27merge_sort_block_merge_implIS3_N6thrust23THRUST_200600_302600_NS6detail15normal_iteratorINS9_10device_ptrIjEEEEPS5_m14custom_greaterIjEEE10hipError_tT0_T1_T2_jT3_P12ihipStream_tbPNSt15iterator_traitsISJ_E10value_typeEPNSP_ISK_E10value_typeEPSL_NS1_7vsmem_tEENKUlT_SJ_SK_SL_E_clISE_PjSF_SF_EESI_SY_SJ_SK_SL_EUlSY_E_NS1_11comp_targetILNS1_3genE5ELNS1_11target_archE942ELNS1_3gpuE9ELNS1_3repE0EEENS1_48merge_mergepath_partition_config_static_selectorELNS0_4arch9wavefront6targetE1EEEvSK_
                                        ; -- End function
	.section	.AMDGPU.csdata,"",@progbits
; Kernel info:
; codeLenInByte = 0
; NumSgprs: 4
; NumVgprs: 0
; NumAgprs: 0
; TotalNumVgprs: 0
; ScratchSize: 0
; MemoryBound: 0
; FloatMode: 240
; IeeeMode: 1
; LDSByteSize: 0 bytes/workgroup (compile time only)
; SGPRBlocks: 0
; VGPRBlocks: 0
; NumSGPRsForWavesPerEU: 4
; NumVGPRsForWavesPerEU: 1
; AccumOffset: 4
; Occupancy: 8
; WaveLimiterHint : 0
; COMPUTE_PGM_RSRC2:SCRATCH_EN: 0
; COMPUTE_PGM_RSRC2:USER_SGPR: 6
; COMPUTE_PGM_RSRC2:TRAP_HANDLER: 0
; COMPUTE_PGM_RSRC2:TGID_X_EN: 1
; COMPUTE_PGM_RSRC2:TGID_Y_EN: 0
; COMPUTE_PGM_RSRC2:TGID_Z_EN: 0
; COMPUTE_PGM_RSRC2:TIDIG_COMP_CNT: 0
; COMPUTE_PGM_RSRC3_GFX90A:ACCUM_OFFSET: 0
; COMPUTE_PGM_RSRC3_GFX90A:TG_SPLIT: 0
	.section	.text._ZN7rocprim17ROCPRIM_400000_NS6detail17trampoline_kernelINS0_14default_configENS1_38merge_sort_block_merge_config_selectorIjNS0_10empty_typeEEEZZNS1_27merge_sort_block_merge_implIS3_N6thrust23THRUST_200600_302600_NS6detail15normal_iteratorINS9_10device_ptrIjEEEEPS5_m14custom_greaterIjEEE10hipError_tT0_T1_T2_jT3_P12ihipStream_tbPNSt15iterator_traitsISJ_E10value_typeEPNSP_ISK_E10value_typeEPSL_NS1_7vsmem_tEENKUlT_SJ_SK_SL_E_clISE_PjSF_SF_EESI_SY_SJ_SK_SL_EUlSY_E_NS1_11comp_targetILNS1_3genE4ELNS1_11target_archE910ELNS1_3gpuE8ELNS1_3repE0EEENS1_48merge_mergepath_partition_config_static_selectorELNS0_4arch9wavefront6targetE1EEEvSK_,"axG",@progbits,_ZN7rocprim17ROCPRIM_400000_NS6detail17trampoline_kernelINS0_14default_configENS1_38merge_sort_block_merge_config_selectorIjNS0_10empty_typeEEEZZNS1_27merge_sort_block_merge_implIS3_N6thrust23THRUST_200600_302600_NS6detail15normal_iteratorINS9_10device_ptrIjEEEEPS5_m14custom_greaterIjEEE10hipError_tT0_T1_T2_jT3_P12ihipStream_tbPNSt15iterator_traitsISJ_E10value_typeEPNSP_ISK_E10value_typeEPSL_NS1_7vsmem_tEENKUlT_SJ_SK_SL_E_clISE_PjSF_SF_EESI_SY_SJ_SK_SL_EUlSY_E_NS1_11comp_targetILNS1_3genE4ELNS1_11target_archE910ELNS1_3gpuE8ELNS1_3repE0EEENS1_48merge_mergepath_partition_config_static_selectorELNS0_4arch9wavefront6targetE1EEEvSK_,comdat
	.protected	_ZN7rocprim17ROCPRIM_400000_NS6detail17trampoline_kernelINS0_14default_configENS1_38merge_sort_block_merge_config_selectorIjNS0_10empty_typeEEEZZNS1_27merge_sort_block_merge_implIS3_N6thrust23THRUST_200600_302600_NS6detail15normal_iteratorINS9_10device_ptrIjEEEEPS5_m14custom_greaterIjEEE10hipError_tT0_T1_T2_jT3_P12ihipStream_tbPNSt15iterator_traitsISJ_E10value_typeEPNSP_ISK_E10value_typeEPSL_NS1_7vsmem_tEENKUlT_SJ_SK_SL_E_clISE_PjSF_SF_EESI_SY_SJ_SK_SL_EUlSY_E_NS1_11comp_targetILNS1_3genE4ELNS1_11target_archE910ELNS1_3gpuE8ELNS1_3repE0EEENS1_48merge_mergepath_partition_config_static_selectorELNS0_4arch9wavefront6targetE1EEEvSK_ ; -- Begin function _ZN7rocprim17ROCPRIM_400000_NS6detail17trampoline_kernelINS0_14default_configENS1_38merge_sort_block_merge_config_selectorIjNS0_10empty_typeEEEZZNS1_27merge_sort_block_merge_implIS3_N6thrust23THRUST_200600_302600_NS6detail15normal_iteratorINS9_10device_ptrIjEEEEPS5_m14custom_greaterIjEEE10hipError_tT0_T1_T2_jT3_P12ihipStream_tbPNSt15iterator_traitsISJ_E10value_typeEPNSP_ISK_E10value_typeEPSL_NS1_7vsmem_tEENKUlT_SJ_SK_SL_E_clISE_PjSF_SF_EESI_SY_SJ_SK_SL_EUlSY_E_NS1_11comp_targetILNS1_3genE4ELNS1_11target_archE910ELNS1_3gpuE8ELNS1_3repE0EEENS1_48merge_mergepath_partition_config_static_selectorELNS0_4arch9wavefront6targetE1EEEvSK_
	.globl	_ZN7rocprim17ROCPRIM_400000_NS6detail17trampoline_kernelINS0_14default_configENS1_38merge_sort_block_merge_config_selectorIjNS0_10empty_typeEEEZZNS1_27merge_sort_block_merge_implIS3_N6thrust23THRUST_200600_302600_NS6detail15normal_iteratorINS9_10device_ptrIjEEEEPS5_m14custom_greaterIjEEE10hipError_tT0_T1_T2_jT3_P12ihipStream_tbPNSt15iterator_traitsISJ_E10value_typeEPNSP_ISK_E10value_typeEPSL_NS1_7vsmem_tEENKUlT_SJ_SK_SL_E_clISE_PjSF_SF_EESI_SY_SJ_SK_SL_EUlSY_E_NS1_11comp_targetILNS1_3genE4ELNS1_11target_archE910ELNS1_3gpuE8ELNS1_3repE0EEENS1_48merge_mergepath_partition_config_static_selectorELNS0_4arch9wavefront6targetE1EEEvSK_
	.p2align	8
	.type	_ZN7rocprim17ROCPRIM_400000_NS6detail17trampoline_kernelINS0_14default_configENS1_38merge_sort_block_merge_config_selectorIjNS0_10empty_typeEEEZZNS1_27merge_sort_block_merge_implIS3_N6thrust23THRUST_200600_302600_NS6detail15normal_iteratorINS9_10device_ptrIjEEEEPS5_m14custom_greaterIjEEE10hipError_tT0_T1_T2_jT3_P12ihipStream_tbPNSt15iterator_traitsISJ_E10value_typeEPNSP_ISK_E10value_typeEPSL_NS1_7vsmem_tEENKUlT_SJ_SK_SL_E_clISE_PjSF_SF_EESI_SY_SJ_SK_SL_EUlSY_E_NS1_11comp_targetILNS1_3genE4ELNS1_11target_archE910ELNS1_3gpuE8ELNS1_3repE0EEENS1_48merge_mergepath_partition_config_static_selectorELNS0_4arch9wavefront6targetE1EEEvSK_,@function
_ZN7rocprim17ROCPRIM_400000_NS6detail17trampoline_kernelINS0_14default_configENS1_38merge_sort_block_merge_config_selectorIjNS0_10empty_typeEEEZZNS1_27merge_sort_block_merge_implIS3_N6thrust23THRUST_200600_302600_NS6detail15normal_iteratorINS9_10device_ptrIjEEEEPS5_m14custom_greaterIjEEE10hipError_tT0_T1_T2_jT3_P12ihipStream_tbPNSt15iterator_traitsISJ_E10value_typeEPNSP_ISK_E10value_typeEPSL_NS1_7vsmem_tEENKUlT_SJ_SK_SL_E_clISE_PjSF_SF_EESI_SY_SJ_SK_SL_EUlSY_E_NS1_11comp_targetILNS1_3genE4ELNS1_11target_archE910ELNS1_3gpuE8ELNS1_3repE0EEENS1_48merge_mergepath_partition_config_static_selectorELNS0_4arch9wavefront6targetE1EEEvSK_: ; @_ZN7rocprim17ROCPRIM_400000_NS6detail17trampoline_kernelINS0_14default_configENS1_38merge_sort_block_merge_config_selectorIjNS0_10empty_typeEEEZZNS1_27merge_sort_block_merge_implIS3_N6thrust23THRUST_200600_302600_NS6detail15normal_iteratorINS9_10device_ptrIjEEEEPS5_m14custom_greaterIjEEE10hipError_tT0_T1_T2_jT3_P12ihipStream_tbPNSt15iterator_traitsISJ_E10value_typeEPNSP_ISK_E10value_typeEPSL_NS1_7vsmem_tEENKUlT_SJ_SK_SL_E_clISE_PjSF_SF_EESI_SY_SJ_SK_SL_EUlSY_E_NS1_11comp_targetILNS1_3genE4ELNS1_11target_archE910ELNS1_3gpuE8ELNS1_3repE0EEENS1_48merge_mergepath_partition_config_static_selectorELNS0_4arch9wavefront6targetE1EEEvSK_
; %bb.0:
	s_load_dword s0, s[4:5], 0x0
	v_lshl_or_b32 v0, s6, 7, v0
	s_waitcnt lgkmcnt(0)
	v_cmp_gt_u32_e32 vcc, s0, v0
	s_and_saveexec_b64 s[0:1], vcc
	s_cbranch_execz .LBB3190_6
; %bb.1:
	s_load_dwordx4 s[0:3], s[4:5], 0x8
	s_load_dwordx2 s[6:7], s[4:5], 0x28
	v_mov_b32_e32 v5, 0
	s_waitcnt lgkmcnt(0)
	v_mov_b32_e32 v1, s0
	v_alignbit_b32 v1, s1, v1, 9
	v_and_b32_e32 v1, -2, v1
	v_add_u32_e32 v2, -1, v1
	v_sub_u32_e32 v1, 0, v1
	v_and_b32_e32 v4, v0, v1
	v_lshlrev_b64 v[8:9], 10, v[4:5]
	v_mov_b32_e32 v1, s3
	v_cmp_lt_u64_e32 vcc, s[2:3], v[8:9]
	v_mov_b32_e32 v4, s2
	v_and_b32_e32 v6, v2, v0
	v_cndmask_b32_e32 v3, v9, v1, vcc
	v_cndmask_b32_e32 v2, v8, v4, vcc
	v_mov_b32_e32 v7, s1
	v_add_co_u32_e32 v8, vcc, s0, v8
	v_addc_co_u32_e32 v9, vcc, v9, v7, vcc
	v_cmp_lt_u64_e32 vcc, s[2:3], v[8:9]
	v_cndmask_b32_e32 v8, v8, v4, vcc
	v_cndmask_b32_e32 v9, v9, v1, vcc
	v_add_co_u32_e32 v10, vcc, s0, v8
	v_addc_co_u32_e32 v11, vcc, v9, v7, vcc
	v_cmp_lt_u64_e32 vcc, s[2:3], v[10:11]
	v_cndmask_b32_e32 v12, v10, v4, vcc
	v_cndmask_b32_e32 v1, v11, v1, vcc
	v_sub_co_u32_e32 v10, vcc, v12, v2
	v_mov_b32_e32 v7, v5
	v_subb_co_u32_e32 v11, vcc, v1, v3, vcc
	v_lshlrev_b64 v[4:5], 10, v[6:7]
	v_cmp_lt_u64_e32 vcc, v[10:11], v[4:5]
	v_cndmask_b32_e32 v11, v5, v11, vcc
	v_cndmask_b32_e32 v10, v4, v10, vcc
	v_sub_co_u32_e32 v6, vcc, v8, v2
	v_subb_co_u32_e32 v7, vcc, v9, v3, vcc
	v_sub_co_u32_e32 v4, vcc, v8, v12
	v_subb_co_u32_e32 v1, vcc, v9, v1, vcc
	v_add_co_u32_e32 v4, vcc, v10, v4
	v_addc_co_u32_e32 v5, vcc, v11, v1, vcc
	v_cmp_gt_u64_e32 vcc, v[4:5], v[10:11]
	v_cndmask_b32_e64 v5, v5, 0, vcc
	v_cndmask_b32_e64 v4, v4, 0, vcc
	v_cmp_lt_u64_e32 vcc, v[10:11], v[6:7]
	v_cndmask_b32_e32 v7, v7, v11, vcc
	v_cndmask_b32_e32 v6, v6, v10, vcc
	v_cmp_lt_u64_e32 vcc, v[4:5], v[6:7]
	s_and_saveexec_b64 s[0:1], vcc
	s_cbranch_execz .LBB3190_5
; %bb.2:
	s_load_dwordx2 s[2:3], s[4:5], 0x18
	v_lshlrev_b64 v[12:13], 2, v[2:3]
	v_lshlrev_b64 v[8:9], 2, v[8:9]
	s_waitcnt lgkmcnt(0)
	v_mov_b32_e32 v14, s3
	v_add_co_u32_e32 v1, vcc, s2, v12
	v_addc_co_u32_e32 v12, vcc, v14, v13, vcc
	v_add_co_u32_e32 v13, vcc, s2, v8
	v_addc_co_u32_e32 v14, vcc, v14, v9, vcc
	v_lshlrev_b64 v[8:9], 2, v[10:11]
	v_add_co_u32_e32 v8, vcc, v13, v8
	v_addc_co_u32_e32 v9, vcc, v14, v9, vcc
	s_mov_b64 s[2:3], 0
.LBB3190_3:                             ; =>This Inner Loop Header: Depth=1
	v_add_co_u32_e32 v10, vcc, v6, v4
	v_addc_co_u32_e32 v11, vcc, v7, v5, vcc
	v_lshrrev_b64 v[10:11], 1, v[10:11]
	v_lshlrev_b64 v[16:17], 2, v[10:11]
	v_not_b32_e32 v15, v11
	v_not_b32_e32 v14, v10
	v_add_co_u32_e32 v16, vcc, v1, v16
	v_addc_co_u32_e32 v17, vcc, v12, v17, vcc
	v_lshlrev_b64 v[14:15], 2, v[14:15]
	v_add_co_u32_e32 v14, vcc, v8, v14
	v_addc_co_u32_e32 v15, vcc, v9, v15, vcc
	flat_load_dword v13, v[16:17]
	flat_load_dword v18, v[14:15]
	v_add_co_u32_e32 v14, vcc, 1, v10
	v_addc_co_u32_e32 v15, vcc, 0, v11, vcc
	s_waitcnt vmcnt(0) lgkmcnt(0)
	v_cmp_gt_u32_e32 vcc, v13, v18
	v_cndmask_b32_e32 v7, v7, v11, vcc
	v_cndmask_b32_e32 v6, v6, v10, vcc
	;; [unrolled: 1-line block ×4, first 2 shown]
	v_cmp_ge_u64_e32 vcc, v[4:5], v[6:7]
	s_or_b64 s[2:3], vcc, s[2:3]
	s_andn2_b64 exec, exec, s[2:3]
	s_cbranch_execnz .LBB3190_3
; %bb.4:
	s_or_b64 exec, exec, s[2:3]
.LBB3190_5:
	s_or_b64 exec, exec, s[0:1]
	v_add_co_u32_e32 v2, vcc, v4, v2
	v_mov_b32_e32 v1, 0
	v_addc_co_u32_e32 v3, vcc, v5, v3, vcc
	v_lshlrev_b64 v[0:1], 3, v[0:1]
	v_mov_b32_e32 v4, s7
	v_add_co_u32_e32 v0, vcc, s6, v0
	v_addc_co_u32_e32 v1, vcc, v4, v1, vcc
	global_store_dwordx2 v[0:1], v[2:3], off
.LBB3190_6:
	s_endpgm
	.section	.rodata,"a",@progbits
	.p2align	6, 0x0
	.amdhsa_kernel _ZN7rocprim17ROCPRIM_400000_NS6detail17trampoline_kernelINS0_14default_configENS1_38merge_sort_block_merge_config_selectorIjNS0_10empty_typeEEEZZNS1_27merge_sort_block_merge_implIS3_N6thrust23THRUST_200600_302600_NS6detail15normal_iteratorINS9_10device_ptrIjEEEEPS5_m14custom_greaterIjEEE10hipError_tT0_T1_T2_jT3_P12ihipStream_tbPNSt15iterator_traitsISJ_E10value_typeEPNSP_ISK_E10value_typeEPSL_NS1_7vsmem_tEENKUlT_SJ_SK_SL_E_clISE_PjSF_SF_EESI_SY_SJ_SK_SL_EUlSY_E_NS1_11comp_targetILNS1_3genE4ELNS1_11target_archE910ELNS1_3gpuE8ELNS1_3repE0EEENS1_48merge_mergepath_partition_config_static_selectorELNS0_4arch9wavefront6targetE1EEEvSK_
		.amdhsa_group_segment_fixed_size 0
		.amdhsa_private_segment_fixed_size 0
		.amdhsa_kernarg_size 48
		.amdhsa_user_sgpr_count 6
		.amdhsa_user_sgpr_private_segment_buffer 1
		.amdhsa_user_sgpr_dispatch_ptr 0
		.amdhsa_user_sgpr_queue_ptr 0
		.amdhsa_user_sgpr_kernarg_segment_ptr 1
		.amdhsa_user_sgpr_dispatch_id 0
		.amdhsa_user_sgpr_flat_scratch_init 0
		.amdhsa_user_sgpr_kernarg_preload_length 0
		.amdhsa_user_sgpr_kernarg_preload_offset 0
		.amdhsa_user_sgpr_private_segment_size 0
		.amdhsa_uses_dynamic_stack 0
		.amdhsa_system_sgpr_private_segment_wavefront_offset 0
		.amdhsa_system_sgpr_workgroup_id_x 1
		.amdhsa_system_sgpr_workgroup_id_y 0
		.amdhsa_system_sgpr_workgroup_id_z 0
		.amdhsa_system_sgpr_workgroup_info 0
		.amdhsa_system_vgpr_workitem_id 0
		.amdhsa_next_free_vgpr 19
		.amdhsa_next_free_sgpr 8
		.amdhsa_accum_offset 20
		.amdhsa_reserve_vcc 1
		.amdhsa_reserve_flat_scratch 0
		.amdhsa_float_round_mode_32 0
		.amdhsa_float_round_mode_16_64 0
		.amdhsa_float_denorm_mode_32 3
		.amdhsa_float_denorm_mode_16_64 3
		.amdhsa_dx10_clamp 1
		.amdhsa_ieee_mode 1
		.amdhsa_fp16_overflow 0
		.amdhsa_tg_split 0
		.amdhsa_exception_fp_ieee_invalid_op 0
		.amdhsa_exception_fp_denorm_src 0
		.amdhsa_exception_fp_ieee_div_zero 0
		.amdhsa_exception_fp_ieee_overflow 0
		.amdhsa_exception_fp_ieee_underflow 0
		.amdhsa_exception_fp_ieee_inexact 0
		.amdhsa_exception_int_div_zero 0
	.end_amdhsa_kernel
	.section	.text._ZN7rocprim17ROCPRIM_400000_NS6detail17trampoline_kernelINS0_14default_configENS1_38merge_sort_block_merge_config_selectorIjNS0_10empty_typeEEEZZNS1_27merge_sort_block_merge_implIS3_N6thrust23THRUST_200600_302600_NS6detail15normal_iteratorINS9_10device_ptrIjEEEEPS5_m14custom_greaterIjEEE10hipError_tT0_T1_T2_jT3_P12ihipStream_tbPNSt15iterator_traitsISJ_E10value_typeEPNSP_ISK_E10value_typeEPSL_NS1_7vsmem_tEENKUlT_SJ_SK_SL_E_clISE_PjSF_SF_EESI_SY_SJ_SK_SL_EUlSY_E_NS1_11comp_targetILNS1_3genE4ELNS1_11target_archE910ELNS1_3gpuE8ELNS1_3repE0EEENS1_48merge_mergepath_partition_config_static_selectorELNS0_4arch9wavefront6targetE1EEEvSK_,"axG",@progbits,_ZN7rocprim17ROCPRIM_400000_NS6detail17trampoline_kernelINS0_14default_configENS1_38merge_sort_block_merge_config_selectorIjNS0_10empty_typeEEEZZNS1_27merge_sort_block_merge_implIS3_N6thrust23THRUST_200600_302600_NS6detail15normal_iteratorINS9_10device_ptrIjEEEEPS5_m14custom_greaterIjEEE10hipError_tT0_T1_T2_jT3_P12ihipStream_tbPNSt15iterator_traitsISJ_E10value_typeEPNSP_ISK_E10value_typeEPSL_NS1_7vsmem_tEENKUlT_SJ_SK_SL_E_clISE_PjSF_SF_EESI_SY_SJ_SK_SL_EUlSY_E_NS1_11comp_targetILNS1_3genE4ELNS1_11target_archE910ELNS1_3gpuE8ELNS1_3repE0EEENS1_48merge_mergepath_partition_config_static_selectorELNS0_4arch9wavefront6targetE1EEEvSK_,comdat
.Lfunc_end3190:
	.size	_ZN7rocprim17ROCPRIM_400000_NS6detail17trampoline_kernelINS0_14default_configENS1_38merge_sort_block_merge_config_selectorIjNS0_10empty_typeEEEZZNS1_27merge_sort_block_merge_implIS3_N6thrust23THRUST_200600_302600_NS6detail15normal_iteratorINS9_10device_ptrIjEEEEPS5_m14custom_greaterIjEEE10hipError_tT0_T1_T2_jT3_P12ihipStream_tbPNSt15iterator_traitsISJ_E10value_typeEPNSP_ISK_E10value_typeEPSL_NS1_7vsmem_tEENKUlT_SJ_SK_SL_E_clISE_PjSF_SF_EESI_SY_SJ_SK_SL_EUlSY_E_NS1_11comp_targetILNS1_3genE4ELNS1_11target_archE910ELNS1_3gpuE8ELNS1_3repE0EEENS1_48merge_mergepath_partition_config_static_selectorELNS0_4arch9wavefront6targetE1EEEvSK_, .Lfunc_end3190-_ZN7rocprim17ROCPRIM_400000_NS6detail17trampoline_kernelINS0_14default_configENS1_38merge_sort_block_merge_config_selectorIjNS0_10empty_typeEEEZZNS1_27merge_sort_block_merge_implIS3_N6thrust23THRUST_200600_302600_NS6detail15normal_iteratorINS9_10device_ptrIjEEEEPS5_m14custom_greaterIjEEE10hipError_tT0_T1_T2_jT3_P12ihipStream_tbPNSt15iterator_traitsISJ_E10value_typeEPNSP_ISK_E10value_typeEPSL_NS1_7vsmem_tEENKUlT_SJ_SK_SL_E_clISE_PjSF_SF_EESI_SY_SJ_SK_SL_EUlSY_E_NS1_11comp_targetILNS1_3genE4ELNS1_11target_archE910ELNS1_3gpuE8ELNS1_3repE0EEENS1_48merge_mergepath_partition_config_static_selectorELNS0_4arch9wavefront6targetE1EEEvSK_
                                        ; -- End function
	.section	.AMDGPU.csdata,"",@progbits
; Kernel info:
; codeLenInByte = 500
; NumSgprs: 12
; NumVgprs: 19
; NumAgprs: 0
; TotalNumVgprs: 19
; ScratchSize: 0
; MemoryBound: 0
; FloatMode: 240
; IeeeMode: 1
; LDSByteSize: 0 bytes/workgroup (compile time only)
; SGPRBlocks: 1
; VGPRBlocks: 2
; NumSGPRsForWavesPerEU: 12
; NumVGPRsForWavesPerEU: 19
; AccumOffset: 20
; Occupancy: 8
; WaveLimiterHint : 0
; COMPUTE_PGM_RSRC2:SCRATCH_EN: 0
; COMPUTE_PGM_RSRC2:USER_SGPR: 6
; COMPUTE_PGM_RSRC2:TRAP_HANDLER: 0
; COMPUTE_PGM_RSRC2:TGID_X_EN: 1
; COMPUTE_PGM_RSRC2:TGID_Y_EN: 0
; COMPUTE_PGM_RSRC2:TGID_Z_EN: 0
; COMPUTE_PGM_RSRC2:TIDIG_COMP_CNT: 0
; COMPUTE_PGM_RSRC3_GFX90A:ACCUM_OFFSET: 4
; COMPUTE_PGM_RSRC3_GFX90A:TG_SPLIT: 0
	.section	.text._ZN7rocprim17ROCPRIM_400000_NS6detail17trampoline_kernelINS0_14default_configENS1_38merge_sort_block_merge_config_selectorIjNS0_10empty_typeEEEZZNS1_27merge_sort_block_merge_implIS3_N6thrust23THRUST_200600_302600_NS6detail15normal_iteratorINS9_10device_ptrIjEEEEPS5_m14custom_greaterIjEEE10hipError_tT0_T1_T2_jT3_P12ihipStream_tbPNSt15iterator_traitsISJ_E10value_typeEPNSP_ISK_E10value_typeEPSL_NS1_7vsmem_tEENKUlT_SJ_SK_SL_E_clISE_PjSF_SF_EESI_SY_SJ_SK_SL_EUlSY_E_NS1_11comp_targetILNS1_3genE3ELNS1_11target_archE908ELNS1_3gpuE7ELNS1_3repE0EEENS1_48merge_mergepath_partition_config_static_selectorELNS0_4arch9wavefront6targetE1EEEvSK_,"axG",@progbits,_ZN7rocprim17ROCPRIM_400000_NS6detail17trampoline_kernelINS0_14default_configENS1_38merge_sort_block_merge_config_selectorIjNS0_10empty_typeEEEZZNS1_27merge_sort_block_merge_implIS3_N6thrust23THRUST_200600_302600_NS6detail15normal_iteratorINS9_10device_ptrIjEEEEPS5_m14custom_greaterIjEEE10hipError_tT0_T1_T2_jT3_P12ihipStream_tbPNSt15iterator_traitsISJ_E10value_typeEPNSP_ISK_E10value_typeEPSL_NS1_7vsmem_tEENKUlT_SJ_SK_SL_E_clISE_PjSF_SF_EESI_SY_SJ_SK_SL_EUlSY_E_NS1_11comp_targetILNS1_3genE3ELNS1_11target_archE908ELNS1_3gpuE7ELNS1_3repE0EEENS1_48merge_mergepath_partition_config_static_selectorELNS0_4arch9wavefront6targetE1EEEvSK_,comdat
	.protected	_ZN7rocprim17ROCPRIM_400000_NS6detail17trampoline_kernelINS0_14default_configENS1_38merge_sort_block_merge_config_selectorIjNS0_10empty_typeEEEZZNS1_27merge_sort_block_merge_implIS3_N6thrust23THRUST_200600_302600_NS6detail15normal_iteratorINS9_10device_ptrIjEEEEPS5_m14custom_greaterIjEEE10hipError_tT0_T1_T2_jT3_P12ihipStream_tbPNSt15iterator_traitsISJ_E10value_typeEPNSP_ISK_E10value_typeEPSL_NS1_7vsmem_tEENKUlT_SJ_SK_SL_E_clISE_PjSF_SF_EESI_SY_SJ_SK_SL_EUlSY_E_NS1_11comp_targetILNS1_3genE3ELNS1_11target_archE908ELNS1_3gpuE7ELNS1_3repE0EEENS1_48merge_mergepath_partition_config_static_selectorELNS0_4arch9wavefront6targetE1EEEvSK_ ; -- Begin function _ZN7rocprim17ROCPRIM_400000_NS6detail17trampoline_kernelINS0_14default_configENS1_38merge_sort_block_merge_config_selectorIjNS0_10empty_typeEEEZZNS1_27merge_sort_block_merge_implIS3_N6thrust23THRUST_200600_302600_NS6detail15normal_iteratorINS9_10device_ptrIjEEEEPS5_m14custom_greaterIjEEE10hipError_tT0_T1_T2_jT3_P12ihipStream_tbPNSt15iterator_traitsISJ_E10value_typeEPNSP_ISK_E10value_typeEPSL_NS1_7vsmem_tEENKUlT_SJ_SK_SL_E_clISE_PjSF_SF_EESI_SY_SJ_SK_SL_EUlSY_E_NS1_11comp_targetILNS1_3genE3ELNS1_11target_archE908ELNS1_3gpuE7ELNS1_3repE0EEENS1_48merge_mergepath_partition_config_static_selectorELNS0_4arch9wavefront6targetE1EEEvSK_
	.globl	_ZN7rocprim17ROCPRIM_400000_NS6detail17trampoline_kernelINS0_14default_configENS1_38merge_sort_block_merge_config_selectorIjNS0_10empty_typeEEEZZNS1_27merge_sort_block_merge_implIS3_N6thrust23THRUST_200600_302600_NS6detail15normal_iteratorINS9_10device_ptrIjEEEEPS5_m14custom_greaterIjEEE10hipError_tT0_T1_T2_jT3_P12ihipStream_tbPNSt15iterator_traitsISJ_E10value_typeEPNSP_ISK_E10value_typeEPSL_NS1_7vsmem_tEENKUlT_SJ_SK_SL_E_clISE_PjSF_SF_EESI_SY_SJ_SK_SL_EUlSY_E_NS1_11comp_targetILNS1_3genE3ELNS1_11target_archE908ELNS1_3gpuE7ELNS1_3repE0EEENS1_48merge_mergepath_partition_config_static_selectorELNS0_4arch9wavefront6targetE1EEEvSK_
	.p2align	8
	.type	_ZN7rocprim17ROCPRIM_400000_NS6detail17trampoline_kernelINS0_14default_configENS1_38merge_sort_block_merge_config_selectorIjNS0_10empty_typeEEEZZNS1_27merge_sort_block_merge_implIS3_N6thrust23THRUST_200600_302600_NS6detail15normal_iteratorINS9_10device_ptrIjEEEEPS5_m14custom_greaterIjEEE10hipError_tT0_T1_T2_jT3_P12ihipStream_tbPNSt15iterator_traitsISJ_E10value_typeEPNSP_ISK_E10value_typeEPSL_NS1_7vsmem_tEENKUlT_SJ_SK_SL_E_clISE_PjSF_SF_EESI_SY_SJ_SK_SL_EUlSY_E_NS1_11comp_targetILNS1_3genE3ELNS1_11target_archE908ELNS1_3gpuE7ELNS1_3repE0EEENS1_48merge_mergepath_partition_config_static_selectorELNS0_4arch9wavefront6targetE1EEEvSK_,@function
_ZN7rocprim17ROCPRIM_400000_NS6detail17trampoline_kernelINS0_14default_configENS1_38merge_sort_block_merge_config_selectorIjNS0_10empty_typeEEEZZNS1_27merge_sort_block_merge_implIS3_N6thrust23THRUST_200600_302600_NS6detail15normal_iteratorINS9_10device_ptrIjEEEEPS5_m14custom_greaterIjEEE10hipError_tT0_T1_T2_jT3_P12ihipStream_tbPNSt15iterator_traitsISJ_E10value_typeEPNSP_ISK_E10value_typeEPSL_NS1_7vsmem_tEENKUlT_SJ_SK_SL_E_clISE_PjSF_SF_EESI_SY_SJ_SK_SL_EUlSY_E_NS1_11comp_targetILNS1_3genE3ELNS1_11target_archE908ELNS1_3gpuE7ELNS1_3repE0EEENS1_48merge_mergepath_partition_config_static_selectorELNS0_4arch9wavefront6targetE1EEEvSK_: ; @_ZN7rocprim17ROCPRIM_400000_NS6detail17trampoline_kernelINS0_14default_configENS1_38merge_sort_block_merge_config_selectorIjNS0_10empty_typeEEEZZNS1_27merge_sort_block_merge_implIS3_N6thrust23THRUST_200600_302600_NS6detail15normal_iteratorINS9_10device_ptrIjEEEEPS5_m14custom_greaterIjEEE10hipError_tT0_T1_T2_jT3_P12ihipStream_tbPNSt15iterator_traitsISJ_E10value_typeEPNSP_ISK_E10value_typeEPSL_NS1_7vsmem_tEENKUlT_SJ_SK_SL_E_clISE_PjSF_SF_EESI_SY_SJ_SK_SL_EUlSY_E_NS1_11comp_targetILNS1_3genE3ELNS1_11target_archE908ELNS1_3gpuE7ELNS1_3repE0EEENS1_48merge_mergepath_partition_config_static_selectorELNS0_4arch9wavefront6targetE1EEEvSK_
; %bb.0:
	.section	.rodata,"a",@progbits
	.p2align	6, 0x0
	.amdhsa_kernel _ZN7rocprim17ROCPRIM_400000_NS6detail17trampoline_kernelINS0_14default_configENS1_38merge_sort_block_merge_config_selectorIjNS0_10empty_typeEEEZZNS1_27merge_sort_block_merge_implIS3_N6thrust23THRUST_200600_302600_NS6detail15normal_iteratorINS9_10device_ptrIjEEEEPS5_m14custom_greaterIjEEE10hipError_tT0_T1_T2_jT3_P12ihipStream_tbPNSt15iterator_traitsISJ_E10value_typeEPNSP_ISK_E10value_typeEPSL_NS1_7vsmem_tEENKUlT_SJ_SK_SL_E_clISE_PjSF_SF_EESI_SY_SJ_SK_SL_EUlSY_E_NS1_11comp_targetILNS1_3genE3ELNS1_11target_archE908ELNS1_3gpuE7ELNS1_3repE0EEENS1_48merge_mergepath_partition_config_static_selectorELNS0_4arch9wavefront6targetE1EEEvSK_
		.amdhsa_group_segment_fixed_size 0
		.amdhsa_private_segment_fixed_size 0
		.amdhsa_kernarg_size 48
		.amdhsa_user_sgpr_count 6
		.amdhsa_user_sgpr_private_segment_buffer 1
		.amdhsa_user_sgpr_dispatch_ptr 0
		.amdhsa_user_sgpr_queue_ptr 0
		.amdhsa_user_sgpr_kernarg_segment_ptr 1
		.amdhsa_user_sgpr_dispatch_id 0
		.amdhsa_user_sgpr_flat_scratch_init 0
		.amdhsa_user_sgpr_kernarg_preload_length 0
		.amdhsa_user_sgpr_kernarg_preload_offset 0
		.amdhsa_user_sgpr_private_segment_size 0
		.amdhsa_uses_dynamic_stack 0
		.amdhsa_system_sgpr_private_segment_wavefront_offset 0
		.amdhsa_system_sgpr_workgroup_id_x 1
		.amdhsa_system_sgpr_workgroup_id_y 0
		.amdhsa_system_sgpr_workgroup_id_z 0
		.amdhsa_system_sgpr_workgroup_info 0
		.amdhsa_system_vgpr_workitem_id 0
		.amdhsa_next_free_vgpr 1
		.amdhsa_next_free_sgpr 0
		.amdhsa_accum_offset 4
		.amdhsa_reserve_vcc 0
		.amdhsa_reserve_flat_scratch 0
		.amdhsa_float_round_mode_32 0
		.amdhsa_float_round_mode_16_64 0
		.amdhsa_float_denorm_mode_32 3
		.amdhsa_float_denorm_mode_16_64 3
		.amdhsa_dx10_clamp 1
		.amdhsa_ieee_mode 1
		.amdhsa_fp16_overflow 0
		.amdhsa_tg_split 0
		.amdhsa_exception_fp_ieee_invalid_op 0
		.amdhsa_exception_fp_denorm_src 0
		.amdhsa_exception_fp_ieee_div_zero 0
		.amdhsa_exception_fp_ieee_overflow 0
		.amdhsa_exception_fp_ieee_underflow 0
		.amdhsa_exception_fp_ieee_inexact 0
		.amdhsa_exception_int_div_zero 0
	.end_amdhsa_kernel
	.section	.text._ZN7rocprim17ROCPRIM_400000_NS6detail17trampoline_kernelINS0_14default_configENS1_38merge_sort_block_merge_config_selectorIjNS0_10empty_typeEEEZZNS1_27merge_sort_block_merge_implIS3_N6thrust23THRUST_200600_302600_NS6detail15normal_iteratorINS9_10device_ptrIjEEEEPS5_m14custom_greaterIjEEE10hipError_tT0_T1_T2_jT3_P12ihipStream_tbPNSt15iterator_traitsISJ_E10value_typeEPNSP_ISK_E10value_typeEPSL_NS1_7vsmem_tEENKUlT_SJ_SK_SL_E_clISE_PjSF_SF_EESI_SY_SJ_SK_SL_EUlSY_E_NS1_11comp_targetILNS1_3genE3ELNS1_11target_archE908ELNS1_3gpuE7ELNS1_3repE0EEENS1_48merge_mergepath_partition_config_static_selectorELNS0_4arch9wavefront6targetE1EEEvSK_,"axG",@progbits,_ZN7rocprim17ROCPRIM_400000_NS6detail17trampoline_kernelINS0_14default_configENS1_38merge_sort_block_merge_config_selectorIjNS0_10empty_typeEEEZZNS1_27merge_sort_block_merge_implIS3_N6thrust23THRUST_200600_302600_NS6detail15normal_iteratorINS9_10device_ptrIjEEEEPS5_m14custom_greaterIjEEE10hipError_tT0_T1_T2_jT3_P12ihipStream_tbPNSt15iterator_traitsISJ_E10value_typeEPNSP_ISK_E10value_typeEPSL_NS1_7vsmem_tEENKUlT_SJ_SK_SL_E_clISE_PjSF_SF_EESI_SY_SJ_SK_SL_EUlSY_E_NS1_11comp_targetILNS1_3genE3ELNS1_11target_archE908ELNS1_3gpuE7ELNS1_3repE0EEENS1_48merge_mergepath_partition_config_static_selectorELNS0_4arch9wavefront6targetE1EEEvSK_,comdat
.Lfunc_end3191:
	.size	_ZN7rocprim17ROCPRIM_400000_NS6detail17trampoline_kernelINS0_14default_configENS1_38merge_sort_block_merge_config_selectorIjNS0_10empty_typeEEEZZNS1_27merge_sort_block_merge_implIS3_N6thrust23THRUST_200600_302600_NS6detail15normal_iteratorINS9_10device_ptrIjEEEEPS5_m14custom_greaterIjEEE10hipError_tT0_T1_T2_jT3_P12ihipStream_tbPNSt15iterator_traitsISJ_E10value_typeEPNSP_ISK_E10value_typeEPSL_NS1_7vsmem_tEENKUlT_SJ_SK_SL_E_clISE_PjSF_SF_EESI_SY_SJ_SK_SL_EUlSY_E_NS1_11comp_targetILNS1_3genE3ELNS1_11target_archE908ELNS1_3gpuE7ELNS1_3repE0EEENS1_48merge_mergepath_partition_config_static_selectorELNS0_4arch9wavefront6targetE1EEEvSK_, .Lfunc_end3191-_ZN7rocprim17ROCPRIM_400000_NS6detail17trampoline_kernelINS0_14default_configENS1_38merge_sort_block_merge_config_selectorIjNS0_10empty_typeEEEZZNS1_27merge_sort_block_merge_implIS3_N6thrust23THRUST_200600_302600_NS6detail15normal_iteratorINS9_10device_ptrIjEEEEPS5_m14custom_greaterIjEEE10hipError_tT0_T1_T2_jT3_P12ihipStream_tbPNSt15iterator_traitsISJ_E10value_typeEPNSP_ISK_E10value_typeEPSL_NS1_7vsmem_tEENKUlT_SJ_SK_SL_E_clISE_PjSF_SF_EESI_SY_SJ_SK_SL_EUlSY_E_NS1_11comp_targetILNS1_3genE3ELNS1_11target_archE908ELNS1_3gpuE7ELNS1_3repE0EEENS1_48merge_mergepath_partition_config_static_selectorELNS0_4arch9wavefront6targetE1EEEvSK_
                                        ; -- End function
	.section	.AMDGPU.csdata,"",@progbits
; Kernel info:
; codeLenInByte = 0
; NumSgprs: 4
; NumVgprs: 0
; NumAgprs: 0
; TotalNumVgprs: 0
; ScratchSize: 0
; MemoryBound: 0
; FloatMode: 240
; IeeeMode: 1
; LDSByteSize: 0 bytes/workgroup (compile time only)
; SGPRBlocks: 0
; VGPRBlocks: 0
; NumSGPRsForWavesPerEU: 4
; NumVGPRsForWavesPerEU: 1
; AccumOffset: 4
; Occupancy: 8
; WaveLimiterHint : 0
; COMPUTE_PGM_RSRC2:SCRATCH_EN: 0
; COMPUTE_PGM_RSRC2:USER_SGPR: 6
; COMPUTE_PGM_RSRC2:TRAP_HANDLER: 0
; COMPUTE_PGM_RSRC2:TGID_X_EN: 1
; COMPUTE_PGM_RSRC2:TGID_Y_EN: 0
; COMPUTE_PGM_RSRC2:TGID_Z_EN: 0
; COMPUTE_PGM_RSRC2:TIDIG_COMP_CNT: 0
; COMPUTE_PGM_RSRC3_GFX90A:ACCUM_OFFSET: 0
; COMPUTE_PGM_RSRC3_GFX90A:TG_SPLIT: 0
	.section	.text._ZN7rocprim17ROCPRIM_400000_NS6detail17trampoline_kernelINS0_14default_configENS1_38merge_sort_block_merge_config_selectorIjNS0_10empty_typeEEEZZNS1_27merge_sort_block_merge_implIS3_N6thrust23THRUST_200600_302600_NS6detail15normal_iteratorINS9_10device_ptrIjEEEEPS5_m14custom_greaterIjEEE10hipError_tT0_T1_T2_jT3_P12ihipStream_tbPNSt15iterator_traitsISJ_E10value_typeEPNSP_ISK_E10value_typeEPSL_NS1_7vsmem_tEENKUlT_SJ_SK_SL_E_clISE_PjSF_SF_EESI_SY_SJ_SK_SL_EUlSY_E_NS1_11comp_targetILNS1_3genE2ELNS1_11target_archE906ELNS1_3gpuE6ELNS1_3repE0EEENS1_48merge_mergepath_partition_config_static_selectorELNS0_4arch9wavefront6targetE1EEEvSK_,"axG",@progbits,_ZN7rocprim17ROCPRIM_400000_NS6detail17trampoline_kernelINS0_14default_configENS1_38merge_sort_block_merge_config_selectorIjNS0_10empty_typeEEEZZNS1_27merge_sort_block_merge_implIS3_N6thrust23THRUST_200600_302600_NS6detail15normal_iteratorINS9_10device_ptrIjEEEEPS5_m14custom_greaterIjEEE10hipError_tT0_T1_T2_jT3_P12ihipStream_tbPNSt15iterator_traitsISJ_E10value_typeEPNSP_ISK_E10value_typeEPSL_NS1_7vsmem_tEENKUlT_SJ_SK_SL_E_clISE_PjSF_SF_EESI_SY_SJ_SK_SL_EUlSY_E_NS1_11comp_targetILNS1_3genE2ELNS1_11target_archE906ELNS1_3gpuE6ELNS1_3repE0EEENS1_48merge_mergepath_partition_config_static_selectorELNS0_4arch9wavefront6targetE1EEEvSK_,comdat
	.protected	_ZN7rocprim17ROCPRIM_400000_NS6detail17trampoline_kernelINS0_14default_configENS1_38merge_sort_block_merge_config_selectorIjNS0_10empty_typeEEEZZNS1_27merge_sort_block_merge_implIS3_N6thrust23THRUST_200600_302600_NS6detail15normal_iteratorINS9_10device_ptrIjEEEEPS5_m14custom_greaterIjEEE10hipError_tT0_T1_T2_jT3_P12ihipStream_tbPNSt15iterator_traitsISJ_E10value_typeEPNSP_ISK_E10value_typeEPSL_NS1_7vsmem_tEENKUlT_SJ_SK_SL_E_clISE_PjSF_SF_EESI_SY_SJ_SK_SL_EUlSY_E_NS1_11comp_targetILNS1_3genE2ELNS1_11target_archE906ELNS1_3gpuE6ELNS1_3repE0EEENS1_48merge_mergepath_partition_config_static_selectorELNS0_4arch9wavefront6targetE1EEEvSK_ ; -- Begin function _ZN7rocprim17ROCPRIM_400000_NS6detail17trampoline_kernelINS0_14default_configENS1_38merge_sort_block_merge_config_selectorIjNS0_10empty_typeEEEZZNS1_27merge_sort_block_merge_implIS3_N6thrust23THRUST_200600_302600_NS6detail15normal_iteratorINS9_10device_ptrIjEEEEPS5_m14custom_greaterIjEEE10hipError_tT0_T1_T2_jT3_P12ihipStream_tbPNSt15iterator_traitsISJ_E10value_typeEPNSP_ISK_E10value_typeEPSL_NS1_7vsmem_tEENKUlT_SJ_SK_SL_E_clISE_PjSF_SF_EESI_SY_SJ_SK_SL_EUlSY_E_NS1_11comp_targetILNS1_3genE2ELNS1_11target_archE906ELNS1_3gpuE6ELNS1_3repE0EEENS1_48merge_mergepath_partition_config_static_selectorELNS0_4arch9wavefront6targetE1EEEvSK_
	.globl	_ZN7rocprim17ROCPRIM_400000_NS6detail17trampoline_kernelINS0_14default_configENS1_38merge_sort_block_merge_config_selectorIjNS0_10empty_typeEEEZZNS1_27merge_sort_block_merge_implIS3_N6thrust23THRUST_200600_302600_NS6detail15normal_iteratorINS9_10device_ptrIjEEEEPS5_m14custom_greaterIjEEE10hipError_tT0_T1_T2_jT3_P12ihipStream_tbPNSt15iterator_traitsISJ_E10value_typeEPNSP_ISK_E10value_typeEPSL_NS1_7vsmem_tEENKUlT_SJ_SK_SL_E_clISE_PjSF_SF_EESI_SY_SJ_SK_SL_EUlSY_E_NS1_11comp_targetILNS1_3genE2ELNS1_11target_archE906ELNS1_3gpuE6ELNS1_3repE0EEENS1_48merge_mergepath_partition_config_static_selectorELNS0_4arch9wavefront6targetE1EEEvSK_
	.p2align	8
	.type	_ZN7rocprim17ROCPRIM_400000_NS6detail17trampoline_kernelINS0_14default_configENS1_38merge_sort_block_merge_config_selectorIjNS0_10empty_typeEEEZZNS1_27merge_sort_block_merge_implIS3_N6thrust23THRUST_200600_302600_NS6detail15normal_iteratorINS9_10device_ptrIjEEEEPS5_m14custom_greaterIjEEE10hipError_tT0_T1_T2_jT3_P12ihipStream_tbPNSt15iterator_traitsISJ_E10value_typeEPNSP_ISK_E10value_typeEPSL_NS1_7vsmem_tEENKUlT_SJ_SK_SL_E_clISE_PjSF_SF_EESI_SY_SJ_SK_SL_EUlSY_E_NS1_11comp_targetILNS1_3genE2ELNS1_11target_archE906ELNS1_3gpuE6ELNS1_3repE0EEENS1_48merge_mergepath_partition_config_static_selectorELNS0_4arch9wavefront6targetE1EEEvSK_,@function
_ZN7rocprim17ROCPRIM_400000_NS6detail17trampoline_kernelINS0_14default_configENS1_38merge_sort_block_merge_config_selectorIjNS0_10empty_typeEEEZZNS1_27merge_sort_block_merge_implIS3_N6thrust23THRUST_200600_302600_NS6detail15normal_iteratorINS9_10device_ptrIjEEEEPS5_m14custom_greaterIjEEE10hipError_tT0_T1_T2_jT3_P12ihipStream_tbPNSt15iterator_traitsISJ_E10value_typeEPNSP_ISK_E10value_typeEPSL_NS1_7vsmem_tEENKUlT_SJ_SK_SL_E_clISE_PjSF_SF_EESI_SY_SJ_SK_SL_EUlSY_E_NS1_11comp_targetILNS1_3genE2ELNS1_11target_archE906ELNS1_3gpuE6ELNS1_3repE0EEENS1_48merge_mergepath_partition_config_static_selectorELNS0_4arch9wavefront6targetE1EEEvSK_: ; @_ZN7rocprim17ROCPRIM_400000_NS6detail17trampoline_kernelINS0_14default_configENS1_38merge_sort_block_merge_config_selectorIjNS0_10empty_typeEEEZZNS1_27merge_sort_block_merge_implIS3_N6thrust23THRUST_200600_302600_NS6detail15normal_iteratorINS9_10device_ptrIjEEEEPS5_m14custom_greaterIjEEE10hipError_tT0_T1_T2_jT3_P12ihipStream_tbPNSt15iterator_traitsISJ_E10value_typeEPNSP_ISK_E10value_typeEPSL_NS1_7vsmem_tEENKUlT_SJ_SK_SL_E_clISE_PjSF_SF_EESI_SY_SJ_SK_SL_EUlSY_E_NS1_11comp_targetILNS1_3genE2ELNS1_11target_archE906ELNS1_3gpuE6ELNS1_3repE0EEENS1_48merge_mergepath_partition_config_static_selectorELNS0_4arch9wavefront6targetE1EEEvSK_
; %bb.0:
	.section	.rodata,"a",@progbits
	.p2align	6, 0x0
	.amdhsa_kernel _ZN7rocprim17ROCPRIM_400000_NS6detail17trampoline_kernelINS0_14default_configENS1_38merge_sort_block_merge_config_selectorIjNS0_10empty_typeEEEZZNS1_27merge_sort_block_merge_implIS3_N6thrust23THRUST_200600_302600_NS6detail15normal_iteratorINS9_10device_ptrIjEEEEPS5_m14custom_greaterIjEEE10hipError_tT0_T1_T2_jT3_P12ihipStream_tbPNSt15iterator_traitsISJ_E10value_typeEPNSP_ISK_E10value_typeEPSL_NS1_7vsmem_tEENKUlT_SJ_SK_SL_E_clISE_PjSF_SF_EESI_SY_SJ_SK_SL_EUlSY_E_NS1_11comp_targetILNS1_3genE2ELNS1_11target_archE906ELNS1_3gpuE6ELNS1_3repE0EEENS1_48merge_mergepath_partition_config_static_selectorELNS0_4arch9wavefront6targetE1EEEvSK_
		.amdhsa_group_segment_fixed_size 0
		.amdhsa_private_segment_fixed_size 0
		.amdhsa_kernarg_size 48
		.amdhsa_user_sgpr_count 6
		.amdhsa_user_sgpr_private_segment_buffer 1
		.amdhsa_user_sgpr_dispatch_ptr 0
		.amdhsa_user_sgpr_queue_ptr 0
		.amdhsa_user_sgpr_kernarg_segment_ptr 1
		.amdhsa_user_sgpr_dispatch_id 0
		.amdhsa_user_sgpr_flat_scratch_init 0
		.amdhsa_user_sgpr_kernarg_preload_length 0
		.amdhsa_user_sgpr_kernarg_preload_offset 0
		.amdhsa_user_sgpr_private_segment_size 0
		.amdhsa_uses_dynamic_stack 0
		.amdhsa_system_sgpr_private_segment_wavefront_offset 0
		.amdhsa_system_sgpr_workgroup_id_x 1
		.amdhsa_system_sgpr_workgroup_id_y 0
		.amdhsa_system_sgpr_workgroup_id_z 0
		.amdhsa_system_sgpr_workgroup_info 0
		.amdhsa_system_vgpr_workitem_id 0
		.amdhsa_next_free_vgpr 1
		.amdhsa_next_free_sgpr 0
		.amdhsa_accum_offset 4
		.amdhsa_reserve_vcc 0
		.amdhsa_reserve_flat_scratch 0
		.amdhsa_float_round_mode_32 0
		.amdhsa_float_round_mode_16_64 0
		.amdhsa_float_denorm_mode_32 3
		.amdhsa_float_denorm_mode_16_64 3
		.amdhsa_dx10_clamp 1
		.amdhsa_ieee_mode 1
		.amdhsa_fp16_overflow 0
		.amdhsa_tg_split 0
		.amdhsa_exception_fp_ieee_invalid_op 0
		.amdhsa_exception_fp_denorm_src 0
		.amdhsa_exception_fp_ieee_div_zero 0
		.amdhsa_exception_fp_ieee_overflow 0
		.amdhsa_exception_fp_ieee_underflow 0
		.amdhsa_exception_fp_ieee_inexact 0
		.amdhsa_exception_int_div_zero 0
	.end_amdhsa_kernel
	.section	.text._ZN7rocprim17ROCPRIM_400000_NS6detail17trampoline_kernelINS0_14default_configENS1_38merge_sort_block_merge_config_selectorIjNS0_10empty_typeEEEZZNS1_27merge_sort_block_merge_implIS3_N6thrust23THRUST_200600_302600_NS6detail15normal_iteratorINS9_10device_ptrIjEEEEPS5_m14custom_greaterIjEEE10hipError_tT0_T1_T2_jT3_P12ihipStream_tbPNSt15iterator_traitsISJ_E10value_typeEPNSP_ISK_E10value_typeEPSL_NS1_7vsmem_tEENKUlT_SJ_SK_SL_E_clISE_PjSF_SF_EESI_SY_SJ_SK_SL_EUlSY_E_NS1_11comp_targetILNS1_3genE2ELNS1_11target_archE906ELNS1_3gpuE6ELNS1_3repE0EEENS1_48merge_mergepath_partition_config_static_selectorELNS0_4arch9wavefront6targetE1EEEvSK_,"axG",@progbits,_ZN7rocprim17ROCPRIM_400000_NS6detail17trampoline_kernelINS0_14default_configENS1_38merge_sort_block_merge_config_selectorIjNS0_10empty_typeEEEZZNS1_27merge_sort_block_merge_implIS3_N6thrust23THRUST_200600_302600_NS6detail15normal_iteratorINS9_10device_ptrIjEEEEPS5_m14custom_greaterIjEEE10hipError_tT0_T1_T2_jT3_P12ihipStream_tbPNSt15iterator_traitsISJ_E10value_typeEPNSP_ISK_E10value_typeEPSL_NS1_7vsmem_tEENKUlT_SJ_SK_SL_E_clISE_PjSF_SF_EESI_SY_SJ_SK_SL_EUlSY_E_NS1_11comp_targetILNS1_3genE2ELNS1_11target_archE906ELNS1_3gpuE6ELNS1_3repE0EEENS1_48merge_mergepath_partition_config_static_selectorELNS0_4arch9wavefront6targetE1EEEvSK_,comdat
.Lfunc_end3192:
	.size	_ZN7rocprim17ROCPRIM_400000_NS6detail17trampoline_kernelINS0_14default_configENS1_38merge_sort_block_merge_config_selectorIjNS0_10empty_typeEEEZZNS1_27merge_sort_block_merge_implIS3_N6thrust23THRUST_200600_302600_NS6detail15normal_iteratorINS9_10device_ptrIjEEEEPS5_m14custom_greaterIjEEE10hipError_tT0_T1_T2_jT3_P12ihipStream_tbPNSt15iterator_traitsISJ_E10value_typeEPNSP_ISK_E10value_typeEPSL_NS1_7vsmem_tEENKUlT_SJ_SK_SL_E_clISE_PjSF_SF_EESI_SY_SJ_SK_SL_EUlSY_E_NS1_11comp_targetILNS1_3genE2ELNS1_11target_archE906ELNS1_3gpuE6ELNS1_3repE0EEENS1_48merge_mergepath_partition_config_static_selectorELNS0_4arch9wavefront6targetE1EEEvSK_, .Lfunc_end3192-_ZN7rocprim17ROCPRIM_400000_NS6detail17trampoline_kernelINS0_14default_configENS1_38merge_sort_block_merge_config_selectorIjNS0_10empty_typeEEEZZNS1_27merge_sort_block_merge_implIS3_N6thrust23THRUST_200600_302600_NS6detail15normal_iteratorINS9_10device_ptrIjEEEEPS5_m14custom_greaterIjEEE10hipError_tT0_T1_T2_jT3_P12ihipStream_tbPNSt15iterator_traitsISJ_E10value_typeEPNSP_ISK_E10value_typeEPSL_NS1_7vsmem_tEENKUlT_SJ_SK_SL_E_clISE_PjSF_SF_EESI_SY_SJ_SK_SL_EUlSY_E_NS1_11comp_targetILNS1_3genE2ELNS1_11target_archE906ELNS1_3gpuE6ELNS1_3repE0EEENS1_48merge_mergepath_partition_config_static_selectorELNS0_4arch9wavefront6targetE1EEEvSK_
                                        ; -- End function
	.section	.AMDGPU.csdata,"",@progbits
; Kernel info:
; codeLenInByte = 0
; NumSgprs: 4
; NumVgprs: 0
; NumAgprs: 0
; TotalNumVgprs: 0
; ScratchSize: 0
; MemoryBound: 0
; FloatMode: 240
; IeeeMode: 1
; LDSByteSize: 0 bytes/workgroup (compile time only)
; SGPRBlocks: 0
; VGPRBlocks: 0
; NumSGPRsForWavesPerEU: 4
; NumVGPRsForWavesPerEU: 1
; AccumOffset: 4
; Occupancy: 8
; WaveLimiterHint : 0
; COMPUTE_PGM_RSRC2:SCRATCH_EN: 0
; COMPUTE_PGM_RSRC2:USER_SGPR: 6
; COMPUTE_PGM_RSRC2:TRAP_HANDLER: 0
; COMPUTE_PGM_RSRC2:TGID_X_EN: 1
; COMPUTE_PGM_RSRC2:TGID_Y_EN: 0
; COMPUTE_PGM_RSRC2:TGID_Z_EN: 0
; COMPUTE_PGM_RSRC2:TIDIG_COMP_CNT: 0
; COMPUTE_PGM_RSRC3_GFX90A:ACCUM_OFFSET: 0
; COMPUTE_PGM_RSRC3_GFX90A:TG_SPLIT: 0
	.section	.text._ZN7rocprim17ROCPRIM_400000_NS6detail17trampoline_kernelINS0_14default_configENS1_38merge_sort_block_merge_config_selectorIjNS0_10empty_typeEEEZZNS1_27merge_sort_block_merge_implIS3_N6thrust23THRUST_200600_302600_NS6detail15normal_iteratorINS9_10device_ptrIjEEEEPS5_m14custom_greaterIjEEE10hipError_tT0_T1_T2_jT3_P12ihipStream_tbPNSt15iterator_traitsISJ_E10value_typeEPNSP_ISK_E10value_typeEPSL_NS1_7vsmem_tEENKUlT_SJ_SK_SL_E_clISE_PjSF_SF_EESI_SY_SJ_SK_SL_EUlSY_E_NS1_11comp_targetILNS1_3genE9ELNS1_11target_archE1100ELNS1_3gpuE3ELNS1_3repE0EEENS1_48merge_mergepath_partition_config_static_selectorELNS0_4arch9wavefront6targetE1EEEvSK_,"axG",@progbits,_ZN7rocprim17ROCPRIM_400000_NS6detail17trampoline_kernelINS0_14default_configENS1_38merge_sort_block_merge_config_selectorIjNS0_10empty_typeEEEZZNS1_27merge_sort_block_merge_implIS3_N6thrust23THRUST_200600_302600_NS6detail15normal_iteratorINS9_10device_ptrIjEEEEPS5_m14custom_greaterIjEEE10hipError_tT0_T1_T2_jT3_P12ihipStream_tbPNSt15iterator_traitsISJ_E10value_typeEPNSP_ISK_E10value_typeEPSL_NS1_7vsmem_tEENKUlT_SJ_SK_SL_E_clISE_PjSF_SF_EESI_SY_SJ_SK_SL_EUlSY_E_NS1_11comp_targetILNS1_3genE9ELNS1_11target_archE1100ELNS1_3gpuE3ELNS1_3repE0EEENS1_48merge_mergepath_partition_config_static_selectorELNS0_4arch9wavefront6targetE1EEEvSK_,comdat
	.protected	_ZN7rocprim17ROCPRIM_400000_NS6detail17trampoline_kernelINS0_14default_configENS1_38merge_sort_block_merge_config_selectorIjNS0_10empty_typeEEEZZNS1_27merge_sort_block_merge_implIS3_N6thrust23THRUST_200600_302600_NS6detail15normal_iteratorINS9_10device_ptrIjEEEEPS5_m14custom_greaterIjEEE10hipError_tT0_T1_T2_jT3_P12ihipStream_tbPNSt15iterator_traitsISJ_E10value_typeEPNSP_ISK_E10value_typeEPSL_NS1_7vsmem_tEENKUlT_SJ_SK_SL_E_clISE_PjSF_SF_EESI_SY_SJ_SK_SL_EUlSY_E_NS1_11comp_targetILNS1_3genE9ELNS1_11target_archE1100ELNS1_3gpuE3ELNS1_3repE0EEENS1_48merge_mergepath_partition_config_static_selectorELNS0_4arch9wavefront6targetE1EEEvSK_ ; -- Begin function _ZN7rocprim17ROCPRIM_400000_NS6detail17trampoline_kernelINS0_14default_configENS1_38merge_sort_block_merge_config_selectorIjNS0_10empty_typeEEEZZNS1_27merge_sort_block_merge_implIS3_N6thrust23THRUST_200600_302600_NS6detail15normal_iteratorINS9_10device_ptrIjEEEEPS5_m14custom_greaterIjEEE10hipError_tT0_T1_T2_jT3_P12ihipStream_tbPNSt15iterator_traitsISJ_E10value_typeEPNSP_ISK_E10value_typeEPSL_NS1_7vsmem_tEENKUlT_SJ_SK_SL_E_clISE_PjSF_SF_EESI_SY_SJ_SK_SL_EUlSY_E_NS1_11comp_targetILNS1_3genE9ELNS1_11target_archE1100ELNS1_3gpuE3ELNS1_3repE0EEENS1_48merge_mergepath_partition_config_static_selectorELNS0_4arch9wavefront6targetE1EEEvSK_
	.globl	_ZN7rocprim17ROCPRIM_400000_NS6detail17trampoline_kernelINS0_14default_configENS1_38merge_sort_block_merge_config_selectorIjNS0_10empty_typeEEEZZNS1_27merge_sort_block_merge_implIS3_N6thrust23THRUST_200600_302600_NS6detail15normal_iteratorINS9_10device_ptrIjEEEEPS5_m14custom_greaterIjEEE10hipError_tT0_T1_T2_jT3_P12ihipStream_tbPNSt15iterator_traitsISJ_E10value_typeEPNSP_ISK_E10value_typeEPSL_NS1_7vsmem_tEENKUlT_SJ_SK_SL_E_clISE_PjSF_SF_EESI_SY_SJ_SK_SL_EUlSY_E_NS1_11comp_targetILNS1_3genE9ELNS1_11target_archE1100ELNS1_3gpuE3ELNS1_3repE0EEENS1_48merge_mergepath_partition_config_static_selectorELNS0_4arch9wavefront6targetE1EEEvSK_
	.p2align	8
	.type	_ZN7rocprim17ROCPRIM_400000_NS6detail17trampoline_kernelINS0_14default_configENS1_38merge_sort_block_merge_config_selectorIjNS0_10empty_typeEEEZZNS1_27merge_sort_block_merge_implIS3_N6thrust23THRUST_200600_302600_NS6detail15normal_iteratorINS9_10device_ptrIjEEEEPS5_m14custom_greaterIjEEE10hipError_tT0_T1_T2_jT3_P12ihipStream_tbPNSt15iterator_traitsISJ_E10value_typeEPNSP_ISK_E10value_typeEPSL_NS1_7vsmem_tEENKUlT_SJ_SK_SL_E_clISE_PjSF_SF_EESI_SY_SJ_SK_SL_EUlSY_E_NS1_11comp_targetILNS1_3genE9ELNS1_11target_archE1100ELNS1_3gpuE3ELNS1_3repE0EEENS1_48merge_mergepath_partition_config_static_selectorELNS0_4arch9wavefront6targetE1EEEvSK_,@function
_ZN7rocprim17ROCPRIM_400000_NS6detail17trampoline_kernelINS0_14default_configENS1_38merge_sort_block_merge_config_selectorIjNS0_10empty_typeEEEZZNS1_27merge_sort_block_merge_implIS3_N6thrust23THRUST_200600_302600_NS6detail15normal_iteratorINS9_10device_ptrIjEEEEPS5_m14custom_greaterIjEEE10hipError_tT0_T1_T2_jT3_P12ihipStream_tbPNSt15iterator_traitsISJ_E10value_typeEPNSP_ISK_E10value_typeEPSL_NS1_7vsmem_tEENKUlT_SJ_SK_SL_E_clISE_PjSF_SF_EESI_SY_SJ_SK_SL_EUlSY_E_NS1_11comp_targetILNS1_3genE9ELNS1_11target_archE1100ELNS1_3gpuE3ELNS1_3repE0EEENS1_48merge_mergepath_partition_config_static_selectorELNS0_4arch9wavefront6targetE1EEEvSK_: ; @_ZN7rocprim17ROCPRIM_400000_NS6detail17trampoline_kernelINS0_14default_configENS1_38merge_sort_block_merge_config_selectorIjNS0_10empty_typeEEEZZNS1_27merge_sort_block_merge_implIS3_N6thrust23THRUST_200600_302600_NS6detail15normal_iteratorINS9_10device_ptrIjEEEEPS5_m14custom_greaterIjEEE10hipError_tT0_T1_T2_jT3_P12ihipStream_tbPNSt15iterator_traitsISJ_E10value_typeEPNSP_ISK_E10value_typeEPSL_NS1_7vsmem_tEENKUlT_SJ_SK_SL_E_clISE_PjSF_SF_EESI_SY_SJ_SK_SL_EUlSY_E_NS1_11comp_targetILNS1_3genE9ELNS1_11target_archE1100ELNS1_3gpuE3ELNS1_3repE0EEENS1_48merge_mergepath_partition_config_static_selectorELNS0_4arch9wavefront6targetE1EEEvSK_
; %bb.0:
	.section	.rodata,"a",@progbits
	.p2align	6, 0x0
	.amdhsa_kernel _ZN7rocprim17ROCPRIM_400000_NS6detail17trampoline_kernelINS0_14default_configENS1_38merge_sort_block_merge_config_selectorIjNS0_10empty_typeEEEZZNS1_27merge_sort_block_merge_implIS3_N6thrust23THRUST_200600_302600_NS6detail15normal_iteratorINS9_10device_ptrIjEEEEPS5_m14custom_greaterIjEEE10hipError_tT0_T1_T2_jT3_P12ihipStream_tbPNSt15iterator_traitsISJ_E10value_typeEPNSP_ISK_E10value_typeEPSL_NS1_7vsmem_tEENKUlT_SJ_SK_SL_E_clISE_PjSF_SF_EESI_SY_SJ_SK_SL_EUlSY_E_NS1_11comp_targetILNS1_3genE9ELNS1_11target_archE1100ELNS1_3gpuE3ELNS1_3repE0EEENS1_48merge_mergepath_partition_config_static_selectorELNS0_4arch9wavefront6targetE1EEEvSK_
		.amdhsa_group_segment_fixed_size 0
		.amdhsa_private_segment_fixed_size 0
		.amdhsa_kernarg_size 48
		.amdhsa_user_sgpr_count 6
		.amdhsa_user_sgpr_private_segment_buffer 1
		.amdhsa_user_sgpr_dispatch_ptr 0
		.amdhsa_user_sgpr_queue_ptr 0
		.amdhsa_user_sgpr_kernarg_segment_ptr 1
		.amdhsa_user_sgpr_dispatch_id 0
		.amdhsa_user_sgpr_flat_scratch_init 0
		.amdhsa_user_sgpr_kernarg_preload_length 0
		.amdhsa_user_sgpr_kernarg_preload_offset 0
		.amdhsa_user_sgpr_private_segment_size 0
		.amdhsa_uses_dynamic_stack 0
		.amdhsa_system_sgpr_private_segment_wavefront_offset 0
		.amdhsa_system_sgpr_workgroup_id_x 1
		.amdhsa_system_sgpr_workgroup_id_y 0
		.amdhsa_system_sgpr_workgroup_id_z 0
		.amdhsa_system_sgpr_workgroup_info 0
		.amdhsa_system_vgpr_workitem_id 0
		.amdhsa_next_free_vgpr 1
		.amdhsa_next_free_sgpr 0
		.amdhsa_accum_offset 4
		.amdhsa_reserve_vcc 0
		.amdhsa_reserve_flat_scratch 0
		.amdhsa_float_round_mode_32 0
		.amdhsa_float_round_mode_16_64 0
		.amdhsa_float_denorm_mode_32 3
		.amdhsa_float_denorm_mode_16_64 3
		.amdhsa_dx10_clamp 1
		.amdhsa_ieee_mode 1
		.amdhsa_fp16_overflow 0
		.amdhsa_tg_split 0
		.amdhsa_exception_fp_ieee_invalid_op 0
		.amdhsa_exception_fp_denorm_src 0
		.amdhsa_exception_fp_ieee_div_zero 0
		.amdhsa_exception_fp_ieee_overflow 0
		.amdhsa_exception_fp_ieee_underflow 0
		.amdhsa_exception_fp_ieee_inexact 0
		.amdhsa_exception_int_div_zero 0
	.end_amdhsa_kernel
	.section	.text._ZN7rocprim17ROCPRIM_400000_NS6detail17trampoline_kernelINS0_14default_configENS1_38merge_sort_block_merge_config_selectorIjNS0_10empty_typeEEEZZNS1_27merge_sort_block_merge_implIS3_N6thrust23THRUST_200600_302600_NS6detail15normal_iteratorINS9_10device_ptrIjEEEEPS5_m14custom_greaterIjEEE10hipError_tT0_T1_T2_jT3_P12ihipStream_tbPNSt15iterator_traitsISJ_E10value_typeEPNSP_ISK_E10value_typeEPSL_NS1_7vsmem_tEENKUlT_SJ_SK_SL_E_clISE_PjSF_SF_EESI_SY_SJ_SK_SL_EUlSY_E_NS1_11comp_targetILNS1_3genE9ELNS1_11target_archE1100ELNS1_3gpuE3ELNS1_3repE0EEENS1_48merge_mergepath_partition_config_static_selectorELNS0_4arch9wavefront6targetE1EEEvSK_,"axG",@progbits,_ZN7rocprim17ROCPRIM_400000_NS6detail17trampoline_kernelINS0_14default_configENS1_38merge_sort_block_merge_config_selectorIjNS0_10empty_typeEEEZZNS1_27merge_sort_block_merge_implIS3_N6thrust23THRUST_200600_302600_NS6detail15normal_iteratorINS9_10device_ptrIjEEEEPS5_m14custom_greaterIjEEE10hipError_tT0_T1_T2_jT3_P12ihipStream_tbPNSt15iterator_traitsISJ_E10value_typeEPNSP_ISK_E10value_typeEPSL_NS1_7vsmem_tEENKUlT_SJ_SK_SL_E_clISE_PjSF_SF_EESI_SY_SJ_SK_SL_EUlSY_E_NS1_11comp_targetILNS1_3genE9ELNS1_11target_archE1100ELNS1_3gpuE3ELNS1_3repE0EEENS1_48merge_mergepath_partition_config_static_selectorELNS0_4arch9wavefront6targetE1EEEvSK_,comdat
.Lfunc_end3193:
	.size	_ZN7rocprim17ROCPRIM_400000_NS6detail17trampoline_kernelINS0_14default_configENS1_38merge_sort_block_merge_config_selectorIjNS0_10empty_typeEEEZZNS1_27merge_sort_block_merge_implIS3_N6thrust23THRUST_200600_302600_NS6detail15normal_iteratorINS9_10device_ptrIjEEEEPS5_m14custom_greaterIjEEE10hipError_tT0_T1_T2_jT3_P12ihipStream_tbPNSt15iterator_traitsISJ_E10value_typeEPNSP_ISK_E10value_typeEPSL_NS1_7vsmem_tEENKUlT_SJ_SK_SL_E_clISE_PjSF_SF_EESI_SY_SJ_SK_SL_EUlSY_E_NS1_11comp_targetILNS1_3genE9ELNS1_11target_archE1100ELNS1_3gpuE3ELNS1_3repE0EEENS1_48merge_mergepath_partition_config_static_selectorELNS0_4arch9wavefront6targetE1EEEvSK_, .Lfunc_end3193-_ZN7rocprim17ROCPRIM_400000_NS6detail17trampoline_kernelINS0_14default_configENS1_38merge_sort_block_merge_config_selectorIjNS0_10empty_typeEEEZZNS1_27merge_sort_block_merge_implIS3_N6thrust23THRUST_200600_302600_NS6detail15normal_iteratorINS9_10device_ptrIjEEEEPS5_m14custom_greaterIjEEE10hipError_tT0_T1_T2_jT3_P12ihipStream_tbPNSt15iterator_traitsISJ_E10value_typeEPNSP_ISK_E10value_typeEPSL_NS1_7vsmem_tEENKUlT_SJ_SK_SL_E_clISE_PjSF_SF_EESI_SY_SJ_SK_SL_EUlSY_E_NS1_11comp_targetILNS1_3genE9ELNS1_11target_archE1100ELNS1_3gpuE3ELNS1_3repE0EEENS1_48merge_mergepath_partition_config_static_selectorELNS0_4arch9wavefront6targetE1EEEvSK_
                                        ; -- End function
	.section	.AMDGPU.csdata,"",@progbits
; Kernel info:
; codeLenInByte = 0
; NumSgprs: 4
; NumVgprs: 0
; NumAgprs: 0
; TotalNumVgprs: 0
; ScratchSize: 0
; MemoryBound: 0
; FloatMode: 240
; IeeeMode: 1
; LDSByteSize: 0 bytes/workgroup (compile time only)
; SGPRBlocks: 0
; VGPRBlocks: 0
; NumSGPRsForWavesPerEU: 4
; NumVGPRsForWavesPerEU: 1
; AccumOffset: 4
; Occupancy: 8
; WaveLimiterHint : 0
; COMPUTE_PGM_RSRC2:SCRATCH_EN: 0
; COMPUTE_PGM_RSRC2:USER_SGPR: 6
; COMPUTE_PGM_RSRC2:TRAP_HANDLER: 0
; COMPUTE_PGM_RSRC2:TGID_X_EN: 1
; COMPUTE_PGM_RSRC2:TGID_Y_EN: 0
; COMPUTE_PGM_RSRC2:TGID_Z_EN: 0
; COMPUTE_PGM_RSRC2:TIDIG_COMP_CNT: 0
; COMPUTE_PGM_RSRC3_GFX90A:ACCUM_OFFSET: 0
; COMPUTE_PGM_RSRC3_GFX90A:TG_SPLIT: 0
	.section	.text._ZN7rocprim17ROCPRIM_400000_NS6detail17trampoline_kernelINS0_14default_configENS1_38merge_sort_block_merge_config_selectorIjNS0_10empty_typeEEEZZNS1_27merge_sort_block_merge_implIS3_N6thrust23THRUST_200600_302600_NS6detail15normal_iteratorINS9_10device_ptrIjEEEEPS5_m14custom_greaterIjEEE10hipError_tT0_T1_T2_jT3_P12ihipStream_tbPNSt15iterator_traitsISJ_E10value_typeEPNSP_ISK_E10value_typeEPSL_NS1_7vsmem_tEENKUlT_SJ_SK_SL_E_clISE_PjSF_SF_EESI_SY_SJ_SK_SL_EUlSY_E_NS1_11comp_targetILNS1_3genE8ELNS1_11target_archE1030ELNS1_3gpuE2ELNS1_3repE0EEENS1_48merge_mergepath_partition_config_static_selectorELNS0_4arch9wavefront6targetE1EEEvSK_,"axG",@progbits,_ZN7rocprim17ROCPRIM_400000_NS6detail17trampoline_kernelINS0_14default_configENS1_38merge_sort_block_merge_config_selectorIjNS0_10empty_typeEEEZZNS1_27merge_sort_block_merge_implIS3_N6thrust23THRUST_200600_302600_NS6detail15normal_iteratorINS9_10device_ptrIjEEEEPS5_m14custom_greaterIjEEE10hipError_tT0_T1_T2_jT3_P12ihipStream_tbPNSt15iterator_traitsISJ_E10value_typeEPNSP_ISK_E10value_typeEPSL_NS1_7vsmem_tEENKUlT_SJ_SK_SL_E_clISE_PjSF_SF_EESI_SY_SJ_SK_SL_EUlSY_E_NS1_11comp_targetILNS1_3genE8ELNS1_11target_archE1030ELNS1_3gpuE2ELNS1_3repE0EEENS1_48merge_mergepath_partition_config_static_selectorELNS0_4arch9wavefront6targetE1EEEvSK_,comdat
	.protected	_ZN7rocprim17ROCPRIM_400000_NS6detail17trampoline_kernelINS0_14default_configENS1_38merge_sort_block_merge_config_selectorIjNS0_10empty_typeEEEZZNS1_27merge_sort_block_merge_implIS3_N6thrust23THRUST_200600_302600_NS6detail15normal_iteratorINS9_10device_ptrIjEEEEPS5_m14custom_greaterIjEEE10hipError_tT0_T1_T2_jT3_P12ihipStream_tbPNSt15iterator_traitsISJ_E10value_typeEPNSP_ISK_E10value_typeEPSL_NS1_7vsmem_tEENKUlT_SJ_SK_SL_E_clISE_PjSF_SF_EESI_SY_SJ_SK_SL_EUlSY_E_NS1_11comp_targetILNS1_3genE8ELNS1_11target_archE1030ELNS1_3gpuE2ELNS1_3repE0EEENS1_48merge_mergepath_partition_config_static_selectorELNS0_4arch9wavefront6targetE1EEEvSK_ ; -- Begin function _ZN7rocprim17ROCPRIM_400000_NS6detail17trampoline_kernelINS0_14default_configENS1_38merge_sort_block_merge_config_selectorIjNS0_10empty_typeEEEZZNS1_27merge_sort_block_merge_implIS3_N6thrust23THRUST_200600_302600_NS6detail15normal_iteratorINS9_10device_ptrIjEEEEPS5_m14custom_greaterIjEEE10hipError_tT0_T1_T2_jT3_P12ihipStream_tbPNSt15iterator_traitsISJ_E10value_typeEPNSP_ISK_E10value_typeEPSL_NS1_7vsmem_tEENKUlT_SJ_SK_SL_E_clISE_PjSF_SF_EESI_SY_SJ_SK_SL_EUlSY_E_NS1_11comp_targetILNS1_3genE8ELNS1_11target_archE1030ELNS1_3gpuE2ELNS1_3repE0EEENS1_48merge_mergepath_partition_config_static_selectorELNS0_4arch9wavefront6targetE1EEEvSK_
	.globl	_ZN7rocprim17ROCPRIM_400000_NS6detail17trampoline_kernelINS0_14default_configENS1_38merge_sort_block_merge_config_selectorIjNS0_10empty_typeEEEZZNS1_27merge_sort_block_merge_implIS3_N6thrust23THRUST_200600_302600_NS6detail15normal_iteratorINS9_10device_ptrIjEEEEPS5_m14custom_greaterIjEEE10hipError_tT0_T1_T2_jT3_P12ihipStream_tbPNSt15iterator_traitsISJ_E10value_typeEPNSP_ISK_E10value_typeEPSL_NS1_7vsmem_tEENKUlT_SJ_SK_SL_E_clISE_PjSF_SF_EESI_SY_SJ_SK_SL_EUlSY_E_NS1_11comp_targetILNS1_3genE8ELNS1_11target_archE1030ELNS1_3gpuE2ELNS1_3repE0EEENS1_48merge_mergepath_partition_config_static_selectorELNS0_4arch9wavefront6targetE1EEEvSK_
	.p2align	8
	.type	_ZN7rocprim17ROCPRIM_400000_NS6detail17trampoline_kernelINS0_14default_configENS1_38merge_sort_block_merge_config_selectorIjNS0_10empty_typeEEEZZNS1_27merge_sort_block_merge_implIS3_N6thrust23THRUST_200600_302600_NS6detail15normal_iteratorINS9_10device_ptrIjEEEEPS5_m14custom_greaterIjEEE10hipError_tT0_T1_T2_jT3_P12ihipStream_tbPNSt15iterator_traitsISJ_E10value_typeEPNSP_ISK_E10value_typeEPSL_NS1_7vsmem_tEENKUlT_SJ_SK_SL_E_clISE_PjSF_SF_EESI_SY_SJ_SK_SL_EUlSY_E_NS1_11comp_targetILNS1_3genE8ELNS1_11target_archE1030ELNS1_3gpuE2ELNS1_3repE0EEENS1_48merge_mergepath_partition_config_static_selectorELNS0_4arch9wavefront6targetE1EEEvSK_,@function
_ZN7rocprim17ROCPRIM_400000_NS6detail17trampoline_kernelINS0_14default_configENS1_38merge_sort_block_merge_config_selectorIjNS0_10empty_typeEEEZZNS1_27merge_sort_block_merge_implIS3_N6thrust23THRUST_200600_302600_NS6detail15normal_iteratorINS9_10device_ptrIjEEEEPS5_m14custom_greaterIjEEE10hipError_tT0_T1_T2_jT3_P12ihipStream_tbPNSt15iterator_traitsISJ_E10value_typeEPNSP_ISK_E10value_typeEPSL_NS1_7vsmem_tEENKUlT_SJ_SK_SL_E_clISE_PjSF_SF_EESI_SY_SJ_SK_SL_EUlSY_E_NS1_11comp_targetILNS1_3genE8ELNS1_11target_archE1030ELNS1_3gpuE2ELNS1_3repE0EEENS1_48merge_mergepath_partition_config_static_selectorELNS0_4arch9wavefront6targetE1EEEvSK_: ; @_ZN7rocprim17ROCPRIM_400000_NS6detail17trampoline_kernelINS0_14default_configENS1_38merge_sort_block_merge_config_selectorIjNS0_10empty_typeEEEZZNS1_27merge_sort_block_merge_implIS3_N6thrust23THRUST_200600_302600_NS6detail15normal_iteratorINS9_10device_ptrIjEEEEPS5_m14custom_greaterIjEEE10hipError_tT0_T1_T2_jT3_P12ihipStream_tbPNSt15iterator_traitsISJ_E10value_typeEPNSP_ISK_E10value_typeEPSL_NS1_7vsmem_tEENKUlT_SJ_SK_SL_E_clISE_PjSF_SF_EESI_SY_SJ_SK_SL_EUlSY_E_NS1_11comp_targetILNS1_3genE8ELNS1_11target_archE1030ELNS1_3gpuE2ELNS1_3repE0EEENS1_48merge_mergepath_partition_config_static_selectorELNS0_4arch9wavefront6targetE1EEEvSK_
; %bb.0:
	.section	.rodata,"a",@progbits
	.p2align	6, 0x0
	.amdhsa_kernel _ZN7rocprim17ROCPRIM_400000_NS6detail17trampoline_kernelINS0_14default_configENS1_38merge_sort_block_merge_config_selectorIjNS0_10empty_typeEEEZZNS1_27merge_sort_block_merge_implIS3_N6thrust23THRUST_200600_302600_NS6detail15normal_iteratorINS9_10device_ptrIjEEEEPS5_m14custom_greaterIjEEE10hipError_tT0_T1_T2_jT3_P12ihipStream_tbPNSt15iterator_traitsISJ_E10value_typeEPNSP_ISK_E10value_typeEPSL_NS1_7vsmem_tEENKUlT_SJ_SK_SL_E_clISE_PjSF_SF_EESI_SY_SJ_SK_SL_EUlSY_E_NS1_11comp_targetILNS1_3genE8ELNS1_11target_archE1030ELNS1_3gpuE2ELNS1_3repE0EEENS1_48merge_mergepath_partition_config_static_selectorELNS0_4arch9wavefront6targetE1EEEvSK_
		.amdhsa_group_segment_fixed_size 0
		.amdhsa_private_segment_fixed_size 0
		.amdhsa_kernarg_size 48
		.amdhsa_user_sgpr_count 6
		.amdhsa_user_sgpr_private_segment_buffer 1
		.amdhsa_user_sgpr_dispatch_ptr 0
		.amdhsa_user_sgpr_queue_ptr 0
		.amdhsa_user_sgpr_kernarg_segment_ptr 1
		.amdhsa_user_sgpr_dispatch_id 0
		.amdhsa_user_sgpr_flat_scratch_init 0
		.amdhsa_user_sgpr_kernarg_preload_length 0
		.amdhsa_user_sgpr_kernarg_preload_offset 0
		.amdhsa_user_sgpr_private_segment_size 0
		.amdhsa_uses_dynamic_stack 0
		.amdhsa_system_sgpr_private_segment_wavefront_offset 0
		.amdhsa_system_sgpr_workgroup_id_x 1
		.amdhsa_system_sgpr_workgroup_id_y 0
		.amdhsa_system_sgpr_workgroup_id_z 0
		.amdhsa_system_sgpr_workgroup_info 0
		.amdhsa_system_vgpr_workitem_id 0
		.amdhsa_next_free_vgpr 1
		.amdhsa_next_free_sgpr 0
		.amdhsa_accum_offset 4
		.amdhsa_reserve_vcc 0
		.amdhsa_reserve_flat_scratch 0
		.amdhsa_float_round_mode_32 0
		.amdhsa_float_round_mode_16_64 0
		.amdhsa_float_denorm_mode_32 3
		.amdhsa_float_denorm_mode_16_64 3
		.amdhsa_dx10_clamp 1
		.amdhsa_ieee_mode 1
		.amdhsa_fp16_overflow 0
		.amdhsa_tg_split 0
		.amdhsa_exception_fp_ieee_invalid_op 0
		.amdhsa_exception_fp_denorm_src 0
		.amdhsa_exception_fp_ieee_div_zero 0
		.amdhsa_exception_fp_ieee_overflow 0
		.amdhsa_exception_fp_ieee_underflow 0
		.amdhsa_exception_fp_ieee_inexact 0
		.amdhsa_exception_int_div_zero 0
	.end_amdhsa_kernel
	.section	.text._ZN7rocprim17ROCPRIM_400000_NS6detail17trampoline_kernelINS0_14default_configENS1_38merge_sort_block_merge_config_selectorIjNS0_10empty_typeEEEZZNS1_27merge_sort_block_merge_implIS3_N6thrust23THRUST_200600_302600_NS6detail15normal_iteratorINS9_10device_ptrIjEEEEPS5_m14custom_greaterIjEEE10hipError_tT0_T1_T2_jT3_P12ihipStream_tbPNSt15iterator_traitsISJ_E10value_typeEPNSP_ISK_E10value_typeEPSL_NS1_7vsmem_tEENKUlT_SJ_SK_SL_E_clISE_PjSF_SF_EESI_SY_SJ_SK_SL_EUlSY_E_NS1_11comp_targetILNS1_3genE8ELNS1_11target_archE1030ELNS1_3gpuE2ELNS1_3repE0EEENS1_48merge_mergepath_partition_config_static_selectorELNS0_4arch9wavefront6targetE1EEEvSK_,"axG",@progbits,_ZN7rocprim17ROCPRIM_400000_NS6detail17trampoline_kernelINS0_14default_configENS1_38merge_sort_block_merge_config_selectorIjNS0_10empty_typeEEEZZNS1_27merge_sort_block_merge_implIS3_N6thrust23THRUST_200600_302600_NS6detail15normal_iteratorINS9_10device_ptrIjEEEEPS5_m14custom_greaterIjEEE10hipError_tT0_T1_T2_jT3_P12ihipStream_tbPNSt15iterator_traitsISJ_E10value_typeEPNSP_ISK_E10value_typeEPSL_NS1_7vsmem_tEENKUlT_SJ_SK_SL_E_clISE_PjSF_SF_EESI_SY_SJ_SK_SL_EUlSY_E_NS1_11comp_targetILNS1_3genE8ELNS1_11target_archE1030ELNS1_3gpuE2ELNS1_3repE0EEENS1_48merge_mergepath_partition_config_static_selectorELNS0_4arch9wavefront6targetE1EEEvSK_,comdat
.Lfunc_end3194:
	.size	_ZN7rocprim17ROCPRIM_400000_NS6detail17trampoline_kernelINS0_14default_configENS1_38merge_sort_block_merge_config_selectorIjNS0_10empty_typeEEEZZNS1_27merge_sort_block_merge_implIS3_N6thrust23THRUST_200600_302600_NS6detail15normal_iteratorINS9_10device_ptrIjEEEEPS5_m14custom_greaterIjEEE10hipError_tT0_T1_T2_jT3_P12ihipStream_tbPNSt15iterator_traitsISJ_E10value_typeEPNSP_ISK_E10value_typeEPSL_NS1_7vsmem_tEENKUlT_SJ_SK_SL_E_clISE_PjSF_SF_EESI_SY_SJ_SK_SL_EUlSY_E_NS1_11comp_targetILNS1_3genE8ELNS1_11target_archE1030ELNS1_3gpuE2ELNS1_3repE0EEENS1_48merge_mergepath_partition_config_static_selectorELNS0_4arch9wavefront6targetE1EEEvSK_, .Lfunc_end3194-_ZN7rocprim17ROCPRIM_400000_NS6detail17trampoline_kernelINS0_14default_configENS1_38merge_sort_block_merge_config_selectorIjNS0_10empty_typeEEEZZNS1_27merge_sort_block_merge_implIS3_N6thrust23THRUST_200600_302600_NS6detail15normal_iteratorINS9_10device_ptrIjEEEEPS5_m14custom_greaterIjEEE10hipError_tT0_T1_T2_jT3_P12ihipStream_tbPNSt15iterator_traitsISJ_E10value_typeEPNSP_ISK_E10value_typeEPSL_NS1_7vsmem_tEENKUlT_SJ_SK_SL_E_clISE_PjSF_SF_EESI_SY_SJ_SK_SL_EUlSY_E_NS1_11comp_targetILNS1_3genE8ELNS1_11target_archE1030ELNS1_3gpuE2ELNS1_3repE0EEENS1_48merge_mergepath_partition_config_static_selectorELNS0_4arch9wavefront6targetE1EEEvSK_
                                        ; -- End function
	.section	.AMDGPU.csdata,"",@progbits
; Kernel info:
; codeLenInByte = 0
; NumSgprs: 4
; NumVgprs: 0
; NumAgprs: 0
; TotalNumVgprs: 0
; ScratchSize: 0
; MemoryBound: 0
; FloatMode: 240
; IeeeMode: 1
; LDSByteSize: 0 bytes/workgroup (compile time only)
; SGPRBlocks: 0
; VGPRBlocks: 0
; NumSGPRsForWavesPerEU: 4
; NumVGPRsForWavesPerEU: 1
; AccumOffset: 4
; Occupancy: 8
; WaveLimiterHint : 0
; COMPUTE_PGM_RSRC2:SCRATCH_EN: 0
; COMPUTE_PGM_RSRC2:USER_SGPR: 6
; COMPUTE_PGM_RSRC2:TRAP_HANDLER: 0
; COMPUTE_PGM_RSRC2:TGID_X_EN: 1
; COMPUTE_PGM_RSRC2:TGID_Y_EN: 0
; COMPUTE_PGM_RSRC2:TGID_Z_EN: 0
; COMPUTE_PGM_RSRC2:TIDIG_COMP_CNT: 0
; COMPUTE_PGM_RSRC3_GFX90A:ACCUM_OFFSET: 0
; COMPUTE_PGM_RSRC3_GFX90A:TG_SPLIT: 0
	.section	.text._ZN7rocprim17ROCPRIM_400000_NS6detail17trampoline_kernelINS0_14default_configENS1_38merge_sort_block_merge_config_selectorIjNS0_10empty_typeEEEZZNS1_27merge_sort_block_merge_implIS3_N6thrust23THRUST_200600_302600_NS6detail15normal_iteratorINS9_10device_ptrIjEEEEPS5_m14custom_greaterIjEEE10hipError_tT0_T1_T2_jT3_P12ihipStream_tbPNSt15iterator_traitsISJ_E10value_typeEPNSP_ISK_E10value_typeEPSL_NS1_7vsmem_tEENKUlT_SJ_SK_SL_E_clISE_PjSF_SF_EESI_SY_SJ_SK_SL_EUlSY_E0_NS1_11comp_targetILNS1_3genE0ELNS1_11target_archE4294967295ELNS1_3gpuE0ELNS1_3repE0EEENS1_38merge_mergepath_config_static_selectorELNS0_4arch9wavefront6targetE1EEEvSK_,"axG",@progbits,_ZN7rocprim17ROCPRIM_400000_NS6detail17trampoline_kernelINS0_14default_configENS1_38merge_sort_block_merge_config_selectorIjNS0_10empty_typeEEEZZNS1_27merge_sort_block_merge_implIS3_N6thrust23THRUST_200600_302600_NS6detail15normal_iteratorINS9_10device_ptrIjEEEEPS5_m14custom_greaterIjEEE10hipError_tT0_T1_T2_jT3_P12ihipStream_tbPNSt15iterator_traitsISJ_E10value_typeEPNSP_ISK_E10value_typeEPSL_NS1_7vsmem_tEENKUlT_SJ_SK_SL_E_clISE_PjSF_SF_EESI_SY_SJ_SK_SL_EUlSY_E0_NS1_11comp_targetILNS1_3genE0ELNS1_11target_archE4294967295ELNS1_3gpuE0ELNS1_3repE0EEENS1_38merge_mergepath_config_static_selectorELNS0_4arch9wavefront6targetE1EEEvSK_,comdat
	.protected	_ZN7rocprim17ROCPRIM_400000_NS6detail17trampoline_kernelINS0_14default_configENS1_38merge_sort_block_merge_config_selectorIjNS0_10empty_typeEEEZZNS1_27merge_sort_block_merge_implIS3_N6thrust23THRUST_200600_302600_NS6detail15normal_iteratorINS9_10device_ptrIjEEEEPS5_m14custom_greaterIjEEE10hipError_tT0_T1_T2_jT3_P12ihipStream_tbPNSt15iterator_traitsISJ_E10value_typeEPNSP_ISK_E10value_typeEPSL_NS1_7vsmem_tEENKUlT_SJ_SK_SL_E_clISE_PjSF_SF_EESI_SY_SJ_SK_SL_EUlSY_E0_NS1_11comp_targetILNS1_3genE0ELNS1_11target_archE4294967295ELNS1_3gpuE0ELNS1_3repE0EEENS1_38merge_mergepath_config_static_selectorELNS0_4arch9wavefront6targetE1EEEvSK_ ; -- Begin function _ZN7rocprim17ROCPRIM_400000_NS6detail17trampoline_kernelINS0_14default_configENS1_38merge_sort_block_merge_config_selectorIjNS0_10empty_typeEEEZZNS1_27merge_sort_block_merge_implIS3_N6thrust23THRUST_200600_302600_NS6detail15normal_iteratorINS9_10device_ptrIjEEEEPS5_m14custom_greaterIjEEE10hipError_tT0_T1_T2_jT3_P12ihipStream_tbPNSt15iterator_traitsISJ_E10value_typeEPNSP_ISK_E10value_typeEPSL_NS1_7vsmem_tEENKUlT_SJ_SK_SL_E_clISE_PjSF_SF_EESI_SY_SJ_SK_SL_EUlSY_E0_NS1_11comp_targetILNS1_3genE0ELNS1_11target_archE4294967295ELNS1_3gpuE0ELNS1_3repE0EEENS1_38merge_mergepath_config_static_selectorELNS0_4arch9wavefront6targetE1EEEvSK_
	.globl	_ZN7rocprim17ROCPRIM_400000_NS6detail17trampoline_kernelINS0_14default_configENS1_38merge_sort_block_merge_config_selectorIjNS0_10empty_typeEEEZZNS1_27merge_sort_block_merge_implIS3_N6thrust23THRUST_200600_302600_NS6detail15normal_iteratorINS9_10device_ptrIjEEEEPS5_m14custom_greaterIjEEE10hipError_tT0_T1_T2_jT3_P12ihipStream_tbPNSt15iterator_traitsISJ_E10value_typeEPNSP_ISK_E10value_typeEPSL_NS1_7vsmem_tEENKUlT_SJ_SK_SL_E_clISE_PjSF_SF_EESI_SY_SJ_SK_SL_EUlSY_E0_NS1_11comp_targetILNS1_3genE0ELNS1_11target_archE4294967295ELNS1_3gpuE0ELNS1_3repE0EEENS1_38merge_mergepath_config_static_selectorELNS0_4arch9wavefront6targetE1EEEvSK_
	.p2align	8
	.type	_ZN7rocprim17ROCPRIM_400000_NS6detail17trampoline_kernelINS0_14default_configENS1_38merge_sort_block_merge_config_selectorIjNS0_10empty_typeEEEZZNS1_27merge_sort_block_merge_implIS3_N6thrust23THRUST_200600_302600_NS6detail15normal_iteratorINS9_10device_ptrIjEEEEPS5_m14custom_greaterIjEEE10hipError_tT0_T1_T2_jT3_P12ihipStream_tbPNSt15iterator_traitsISJ_E10value_typeEPNSP_ISK_E10value_typeEPSL_NS1_7vsmem_tEENKUlT_SJ_SK_SL_E_clISE_PjSF_SF_EESI_SY_SJ_SK_SL_EUlSY_E0_NS1_11comp_targetILNS1_3genE0ELNS1_11target_archE4294967295ELNS1_3gpuE0ELNS1_3repE0EEENS1_38merge_mergepath_config_static_selectorELNS0_4arch9wavefront6targetE1EEEvSK_,@function
_ZN7rocprim17ROCPRIM_400000_NS6detail17trampoline_kernelINS0_14default_configENS1_38merge_sort_block_merge_config_selectorIjNS0_10empty_typeEEEZZNS1_27merge_sort_block_merge_implIS3_N6thrust23THRUST_200600_302600_NS6detail15normal_iteratorINS9_10device_ptrIjEEEEPS5_m14custom_greaterIjEEE10hipError_tT0_T1_T2_jT3_P12ihipStream_tbPNSt15iterator_traitsISJ_E10value_typeEPNSP_ISK_E10value_typeEPSL_NS1_7vsmem_tEENKUlT_SJ_SK_SL_E_clISE_PjSF_SF_EESI_SY_SJ_SK_SL_EUlSY_E0_NS1_11comp_targetILNS1_3genE0ELNS1_11target_archE4294967295ELNS1_3gpuE0ELNS1_3repE0EEENS1_38merge_mergepath_config_static_selectorELNS0_4arch9wavefront6targetE1EEEvSK_: ; @_ZN7rocprim17ROCPRIM_400000_NS6detail17trampoline_kernelINS0_14default_configENS1_38merge_sort_block_merge_config_selectorIjNS0_10empty_typeEEEZZNS1_27merge_sort_block_merge_implIS3_N6thrust23THRUST_200600_302600_NS6detail15normal_iteratorINS9_10device_ptrIjEEEEPS5_m14custom_greaterIjEEE10hipError_tT0_T1_T2_jT3_P12ihipStream_tbPNSt15iterator_traitsISJ_E10value_typeEPNSP_ISK_E10value_typeEPSL_NS1_7vsmem_tEENKUlT_SJ_SK_SL_E_clISE_PjSF_SF_EESI_SY_SJ_SK_SL_EUlSY_E0_NS1_11comp_targetILNS1_3genE0ELNS1_11target_archE4294967295ELNS1_3gpuE0ELNS1_3repE0EEENS1_38merge_mergepath_config_static_selectorELNS0_4arch9wavefront6targetE1EEEvSK_
; %bb.0:
	.section	.rodata,"a",@progbits
	.p2align	6, 0x0
	.amdhsa_kernel _ZN7rocprim17ROCPRIM_400000_NS6detail17trampoline_kernelINS0_14default_configENS1_38merge_sort_block_merge_config_selectorIjNS0_10empty_typeEEEZZNS1_27merge_sort_block_merge_implIS3_N6thrust23THRUST_200600_302600_NS6detail15normal_iteratorINS9_10device_ptrIjEEEEPS5_m14custom_greaterIjEEE10hipError_tT0_T1_T2_jT3_P12ihipStream_tbPNSt15iterator_traitsISJ_E10value_typeEPNSP_ISK_E10value_typeEPSL_NS1_7vsmem_tEENKUlT_SJ_SK_SL_E_clISE_PjSF_SF_EESI_SY_SJ_SK_SL_EUlSY_E0_NS1_11comp_targetILNS1_3genE0ELNS1_11target_archE4294967295ELNS1_3gpuE0ELNS1_3repE0EEENS1_38merge_mergepath_config_static_selectorELNS0_4arch9wavefront6targetE1EEEvSK_
		.amdhsa_group_segment_fixed_size 0
		.amdhsa_private_segment_fixed_size 0
		.amdhsa_kernarg_size 72
		.amdhsa_user_sgpr_count 6
		.amdhsa_user_sgpr_private_segment_buffer 1
		.amdhsa_user_sgpr_dispatch_ptr 0
		.amdhsa_user_sgpr_queue_ptr 0
		.amdhsa_user_sgpr_kernarg_segment_ptr 1
		.amdhsa_user_sgpr_dispatch_id 0
		.amdhsa_user_sgpr_flat_scratch_init 0
		.amdhsa_user_sgpr_kernarg_preload_length 0
		.amdhsa_user_sgpr_kernarg_preload_offset 0
		.amdhsa_user_sgpr_private_segment_size 0
		.amdhsa_uses_dynamic_stack 0
		.amdhsa_system_sgpr_private_segment_wavefront_offset 0
		.amdhsa_system_sgpr_workgroup_id_x 1
		.amdhsa_system_sgpr_workgroup_id_y 0
		.amdhsa_system_sgpr_workgroup_id_z 0
		.amdhsa_system_sgpr_workgroup_info 0
		.amdhsa_system_vgpr_workitem_id 0
		.amdhsa_next_free_vgpr 1
		.amdhsa_next_free_sgpr 0
		.amdhsa_accum_offset 4
		.amdhsa_reserve_vcc 0
		.amdhsa_reserve_flat_scratch 0
		.amdhsa_float_round_mode_32 0
		.amdhsa_float_round_mode_16_64 0
		.amdhsa_float_denorm_mode_32 3
		.amdhsa_float_denorm_mode_16_64 3
		.amdhsa_dx10_clamp 1
		.amdhsa_ieee_mode 1
		.amdhsa_fp16_overflow 0
		.amdhsa_tg_split 0
		.amdhsa_exception_fp_ieee_invalid_op 0
		.amdhsa_exception_fp_denorm_src 0
		.amdhsa_exception_fp_ieee_div_zero 0
		.amdhsa_exception_fp_ieee_overflow 0
		.amdhsa_exception_fp_ieee_underflow 0
		.amdhsa_exception_fp_ieee_inexact 0
		.amdhsa_exception_int_div_zero 0
	.end_amdhsa_kernel
	.section	.text._ZN7rocprim17ROCPRIM_400000_NS6detail17trampoline_kernelINS0_14default_configENS1_38merge_sort_block_merge_config_selectorIjNS0_10empty_typeEEEZZNS1_27merge_sort_block_merge_implIS3_N6thrust23THRUST_200600_302600_NS6detail15normal_iteratorINS9_10device_ptrIjEEEEPS5_m14custom_greaterIjEEE10hipError_tT0_T1_T2_jT3_P12ihipStream_tbPNSt15iterator_traitsISJ_E10value_typeEPNSP_ISK_E10value_typeEPSL_NS1_7vsmem_tEENKUlT_SJ_SK_SL_E_clISE_PjSF_SF_EESI_SY_SJ_SK_SL_EUlSY_E0_NS1_11comp_targetILNS1_3genE0ELNS1_11target_archE4294967295ELNS1_3gpuE0ELNS1_3repE0EEENS1_38merge_mergepath_config_static_selectorELNS0_4arch9wavefront6targetE1EEEvSK_,"axG",@progbits,_ZN7rocprim17ROCPRIM_400000_NS6detail17trampoline_kernelINS0_14default_configENS1_38merge_sort_block_merge_config_selectorIjNS0_10empty_typeEEEZZNS1_27merge_sort_block_merge_implIS3_N6thrust23THRUST_200600_302600_NS6detail15normal_iteratorINS9_10device_ptrIjEEEEPS5_m14custom_greaterIjEEE10hipError_tT0_T1_T2_jT3_P12ihipStream_tbPNSt15iterator_traitsISJ_E10value_typeEPNSP_ISK_E10value_typeEPSL_NS1_7vsmem_tEENKUlT_SJ_SK_SL_E_clISE_PjSF_SF_EESI_SY_SJ_SK_SL_EUlSY_E0_NS1_11comp_targetILNS1_3genE0ELNS1_11target_archE4294967295ELNS1_3gpuE0ELNS1_3repE0EEENS1_38merge_mergepath_config_static_selectorELNS0_4arch9wavefront6targetE1EEEvSK_,comdat
.Lfunc_end3195:
	.size	_ZN7rocprim17ROCPRIM_400000_NS6detail17trampoline_kernelINS0_14default_configENS1_38merge_sort_block_merge_config_selectorIjNS0_10empty_typeEEEZZNS1_27merge_sort_block_merge_implIS3_N6thrust23THRUST_200600_302600_NS6detail15normal_iteratorINS9_10device_ptrIjEEEEPS5_m14custom_greaterIjEEE10hipError_tT0_T1_T2_jT3_P12ihipStream_tbPNSt15iterator_traitsISJ_E10value_typeEPNSP_ISK_E10value_typeEPSL_NS1_7vsmem_tEENKUlT_SJ_SK_SL_E_clISE_PjSF_SF_EESI_SY_SJ_SK_SL_EUlSY_E0_NS1_11comp_targetILNS1_3genE0ELNS1_11target_archE4294967295ELNS1_3gpuE0ELNS1_3repE0EEENS1_38merge_mergepath_config_static_selectorELNS0_4arch9wavefront6targetE1EEEvSK_, .Lfunc_end3195-_ZN7rocprim17ROCPRIM_400000_NS6detail17trampoline_kernelINS0_14default_configENS1_38merge_sort_block_merge_config_selectorIjNS0_10empty_typeEEEZZNS1_27merge_sort_block_merge_implIS3_N6thrust23THRUST_200600_302600_NS6detail15normal_iteratorINS9_10device_ptrIjEEEEPS5_m14custom_greaterIjEEE10hipError_tT0_T1_T2_jT3_P12ihipStream_tbPNSt15iterator_traitsISJ_E10value_typeEPNSP_ISK_E10value_typeEPSL_NS1_7vsmem_tEENKUlT_SJ_SK_SL_E_clISE_PjSF_SF_EESI_SY_SJ_SK_SL_EUlSY_E0_NS1_11comp_targetILNS1_3genE0ELNS1_11target_archE4294967295ELNS1_3gpuE0ELNS1_3repE0EEENS1_38merge_mergepath_config_static_selectorELNS0_4arch9wavefront6targetE1EEEvSK_
                                        ; -- End function
	.section	.AMDGPU.csdata,"",@progbits
; Kernel info:
; codeLenInByte = 0
; NumSgprs: 4
; NumVgprs: 0
; NumAgprs: 0
; TotalNumVgprs: 0
; ScratchSize: 0
; MemoryBound: 0
; FloatMode: 240
; IeeeMode: 1
; LDSByteSize: 0 bytes/workgroup (compile time only)
; SGPRBlocks: 0
; VGPRBlocks: 0
; NumSGPRsForWavesPerEU: 4
; NumVGPRsForWavesPerEU: 1
; AccumOffset: 4
; Occupancy: 8
; WaveLimiterHint : 0
; COMPUTE_PGM_RSRC2:SCRATCH_EN: 0
; COMPUTE_PGM_RSRC2:USER_SGPR: 6
; COMPUTE_PGM_RSRC2:TRAP_HANDLER: 0
; COMPUTE_PGM_RSRC2:TGID_X_EN: 1
; COMPUTE_PGM_RSRC2:TGID_Y_EN: 0
; COMPUTE_PGM_RSRC2:TGID_Z_EN: 0
; COMPUTE_PGM_RSRC2:TIDIG_COMP_CNT: 0
; COMPUTE_PGM_RSRC3_GFX90A:ACCUM_OFFSET: 0
; COMPUTE_PGM_RSRC3_GFX90A:TG_SPLIT: 0
	.section	.text._ZN7rocprim17ROCPRIM_400000_NS6detail17trampoline_kernelINS0_14default_configENS1_38merge_sort_block_merge_config_selectorIjNS0_10empty_typeEEEZZNS1_27merge_sort_block_merge_implIS3_N6thrust23THRUST_200600_302600_NS6detail15normal_iteratorINS9_10device_ptrIjEEEEPS5_m14custom_greaterIjEEE10hipError_tT0_T1_T2_jT3_P12ihipStream_tbPNSt15iterator_traitsISJ_E10value_typeEPNSP_ISK_E10value_typeEPSL_NS1_7vsmem_tEENKUlT_SJ_SK_SL_E_clISE_PjSF_SF_EESI_SY_SJ_SK_SL_EUlSY_E0_NS1_11comp_targetILNS1_3genE10ELNS1_11target_archE1201ELNS1_3gpuE5ELNS1_3repE0EEENS1_38merge_mergepath_config_static_selectorELNS0_4arch9wavefront6targetE1EEEvSK_,"axG",@progbits,_ZN7rocprim17ROCPRIM_400000_NS6detail17trampoline_kernelINS0_14default_configENS1_38merge_sort_block_merge_config_selectorIjNS0_10empty_typeEEEZZNS1_27merge_sort_block_merge_implIS3_N6thrust23THRUST_200600_302600_NS6detail15normal_iteratorINS9_10device_ptrIjEEEEPS5_m14custom_greaterIjEEE10hipError_tT0_T1_T2_jT3_P12ihipStream_tbPNSt15iterator_traitsISJ_E10value_typeEPNSP_ISK_E10value_typeEPSL_NS1_7vsmem_tEENKUlT_SJ_SK_SL_E_clISE_PjSF_SF_EESI_SY_SJ_SK_SL_EUlSY_E0_NS1_11comp_targetILNS1_3genE10ELNS1_11target_archE1201ELNS1_3gpuE5ELNS1_3repE0EEENS1_38merge_mergepath_config_static_selectorELNS0_4arch9wavefront6targetE1EEEvSK_,comdat
	.protected	_ZN7rocprim17ROCPRIM_400000_NS6detail17trampoline_kernelINS0_14default_configENS1_38merge_sort_block_merge_config_selectorIjNS0_10empty_typeEEEZZNS1_27merge_sort_block_merge_implIS3_N6thrust23THRUST_200600_302600_NS6detail15normal_iteratorINS9_10device_ptrIjEEEEPS5_m14custom_greaterIjEEE10hipError_tT0_T1_T2_jT3_P12ihipStream_tbPNSt15iterator_traitsISJ_E10value_typeEPNSP_ISK_E10value_typeEPSL_NS1_7vsmem_tEENKUlT_SJ_SK_SL_E_clISE_PjSF_SF_EESI_SY_SJ_SK_SL_EUlSY_E0_NS1_11comp_targetILNS1_3genE10ELNS1_11target_archE1201ELNS1_3gpuE5ELNS1_3repE0EEENS1_38merge_mergepath_config_static_selectorELNS0_4arch9wavefront6targetE1EEEvSK_ ; -- Begin function _ZN7rocprim17ROCPRIM_400000_NS6detail17trampoline_kernelINS0_14default_configENS1_38merge_sort_block_merge_config_selectorIjNS0_10empty_typeEEEZZNS1_27merge_sort_block_merge_implIS3_N6thrust23THRUST_200600_302600_NS6detail15normal_iteratorINS9_10device_ptrIjEEEEPS5_m14custom_greaterIjEEE10hipError_tT0_T1_T2_jT3_P12ihipStream_tbPNSt15iterator_traitsISJ_E10value_typeEPNSP_ISK_E10value_typeEPSL_NS1_7vsmem_tEENKUlT_SJ_SK_SL_E_clISE_PjSF_SF_EESI_SY_SJ_SK_SL_EUlSY_E0_NS1_11comp_targetILNS1_3genE10ELNS1_11target_archE1201ELNS1_3gpuE5ELNS1_3repE0EEENS1_38merge_mergepath_config_static_selectorELNS0_4arch9wavefront6targetE1EEEvSK_
	.globl	_ZN7rocprim17ROCPRIM_400000_NS6detail17trampoline_kernelINS0_14default_configENS1_38merge_sort_block_merge_config_selectorIjNS0_10empty_typeEEEZZNS1_27merge_sort_block_merge_implIS3_N6thrust23THRUST_200600_302600_NS6detail15normal_iteratorINS9_10device_ptrIjEEEEPS5_m14custom_greaterIjEEE10hipError_tT0_T1_T2_jT3_P12ihipStream_tbPNSt15iterator_traitsISJ_E10value_typeEPNSP_ISK_E10value_typeEPSL_NS1_7vsmem_tEENKUlT_SJ_SK_SL_E_clISE_PjSF_SF_EESI_SY_SJ_SK_SL_EUlSY_E0_NS1_11comp_targetILNS1_3genE10ELNS1_11target_archE1201ELNS1_3gpuE5ELNS1_3repE0EEENS1_38merge_mergepath_config_static_selectorELNS0_4arch9wavefront6targetE1EEEvSK_
	.p2align	8
	.type	_ZN7rocprim17ROCPRIM_400000_NS6detail17trampoline_kernelINS0_14default_configENS1_38merge_sort_block_merge_config_selectorIjNS0_10empty_typeEEEZZNS1_27merge_sort_block_merge_implIS3_N6thrust23THRUST_200600_302600_NS6detail15normal_iteratorINS9_10device_ptrIjEEEEPS5_m14custom_greaterIjEEE10hipError_tT0_T1_T2_jT3_P12ihipStream_tbPNSt15iterator_traitsISJ_E10value_typeEPNSP_ISK_E10value_typeEPSL_NS1_7vsmem_tEENKUlT_SJ_SK_SL_E_clISE_PjSF_SF_EESI_SY_SJ_SK_SL_EUlSY_E0_NS1_11comp_targetILNS1_3genE10ELNS1_11target_archE1201ELNS1_3gpuE5ELNS1_3repE0EEENS1_38merge_mergepath_config_static_selectorELNS0_4arch9wavefront6targetE1EEEvSK_,@function
_ZN7rocprim17ROCPRIM_400000_NS6detail17trampoline_kernelINS0_14default_configENS1_38merge_sort_block_merge_config_selectorIjNS0_10empty_typeEEEZZNS1_27merge_sort_block_merge_implIS3_N6thrust23THRUST_200600_302600_NS6detail15normal_iteratorINS9_10device_ptrIjEEEEPS5_m14custom_greaterIjEEE10hipError_tT0_T1_T2_jT3_P12ihipStream_tbPNSt15iterator_traitsISJ_E10value_typeEPNSP_ISK_E10value_typeEPSL_NS1_7vsmem_tEENKUlT_SJ_SK_SL_E_clISE_PjSF_SF_EESI_SY_SJ_SK_SL_EUlSY_E0_NS1_11comp_targetILNS1_3genE10ELNS1_11target_archE1201ELNS1_3gpuE5ELNS1_3repE0EEENS1_38merge_mergepath_config_static_selectorELNS0_4arch9wavefront6targetE1EEEvSK_: ; @_ZN7rocprim17ROCPRIM_400000_NS6detail17trampoline_kernelINS0_14default_configENS1_38merge_sort_block_merge_config_selectorIjNS0_10empty_typeEEEZZNS1_27merge_sort_block_merge_implIS3_N6thrust23THRUST_200600_302600_NS6detail15normal_iteratorINS9_10device_ptrIjEEEEPS5_m14custom_greaterIjEEE10hipError_tT0_T1_T2_jT3_P12ihipStream_tbPNSt15iterator_traitsISJ_E10value_typeEPNSP_ISK_E10value_typeEPSL_NS1_7vsmem_tEENKUlT_SJ_SK_SL_E_clISE_PjSF_SF_EESI_SY_SJ_SK_SL_EUlSY_E0_NS1_11comp_targetILNS1_3genE10ELNS1_11target_archE1201ELNS1_3gpuE5ELNS1_3repE0EEENS1_38merge_mergepath_config_static_selectorELNS0_4arch9wavefront6targetE1EEEvSK_
; %bb.0:
	.section	.rodata,"a",@progbits
	.p2align	6, 0x0
	.amdhsa_kernel _ZN7rocprim17ROCPRIM_400000_NS6detail17trampoline_kernelINS0_14default_configENS1_38merge_sort_block_merge_config_selectorIjNS0_10empty_typeEEEZZNS1_27merge_sort_block_merge_implIS3_N6thrust23THRUST_200600_302600_NS6detail15normal_iteratorINS9_10device_ptrIjEEEEPS5_m14custom_greaterIjEEE10hipError_tT0_T1_T2_jT3_P12ihipStream_tbPNSt15iterator_traitsISJ_E10value_typeEPNSP_ISK_E10value_typeEPSL_NS1_7vsmem_tEENKUlT_SJ_SK_SL_E_clISE_PjSF_SF_EESI_SY_SJ_SK_SL_EUlSY_E0_NS1_11comp_targetILNS1_3genE10ELNS1_11target_archE1201ELNS1_3gpuE5ELNS1_3repE0EEENS1_38merge_mergepath_config_static_selectorELNS0_4arch9wavefront6targetE1EEEvSK_
		.amdhsa_group_segment_fixed_size 0
		.amdhsa_private_segment_fixed_size 0
		.amdhsa_kernarg_size 72
		.amdhsa_user_sgpr_count 6
		.amdhsa_user_sgpr_private_segment_buffer 1
		.amdhsa_user_sgpr_dispatch_ptr 0
		.amdhsa_user_sgpr_queue_ptr 0
		.amdhsa_user_sgpr_kernarg_segment_ptr 1
		.amdhsa_user_sgpr_dispatch_id 0
		.amdhsa_user_sgpr_flat_scratch_init 0
		.amdhsa_user_sgpr_kernarg_preload_length 0
		.amdhsa_user_sgpr_kernarg_preload_offset 0
		.amdhsa_user_sgpr_private_segment_size 0
		.amdhsa_uses_dynamic_stack 0
		.amdhsa_system_sgpr_private_segment_wavefront_offset 0
		.amdhsa_system_sgpr_workgroup_id_x 1
		.amdhsa_system_sgpr_workgroup_id_y 0
		.amdhsa_system_sgpr_workgroup_id_z 0
		.amdhsa_system_sgpr_workgroup_info 0
		.amdhsa_system_vgpr_workitem_id 0
		.amdhsa_next_free_vgpr 1
		.amdhsa_next_free_sgpr 0
		.amdhsa_accum_offset 4
		.amdhsa_reserve_vcc 0
		.amdhsa_reserve_flat_scratch 0
		.amdhsa_float_round_mode_32 0
		.amdhsa_float_round_mode_16_64 0
		.amdhsa_float_denorm_mode_32 3
		.amdhsa_float_denorm_mode_16_64 3
		.amdhsa_dx10_clamp 1
		.amdhsa_ieee_mode 1
		.amdhsa_fp16_overflow 0
		.amdhsa_tg_split 0
		.amdhsa_exception_fp_ieee_invalid_op 0
		.amdhsa_exception_fp_denorm_src 0
		.amdhsa_exception_fp_ieee_div_zero 0
		.amdhsa_exception_fp_ieee_overflow 0
		.amdhsa_exception_fp_ieee_underflow 0
		.amdhsa_exception_fp_ieee_inexact 0
		.amdhsa_exception_int_div_zero 0
	.end_amdhsa_kernel
	.section	.text._ZN7rocprim17ROCPRIM_400000_NS6detail17trampoline_kernelINS0_14default_configENS1_38merge_sort_block_merge_config_selectorIjNS0_10empty_typeEEEZZNS1_27merge_sort_block_merge_implIS3_N6thrust23THRUST_200600_302600_NS6detail15normal_iteratorINS9_10device_ptrIjEEEEPS5_m14custom_greaterIjEEE10hipError_tT0_T1_T2_jT3_P12ihipStream_tbPNSt15iterator_traitsISJ_E10value_typeEPNSP_ISK_E10value_typeEPSL_NS1_7vsmem_tEENKUlT_SJ_SK_SL_E_clISE_PjSF_SF_EESI_SY_SJ_SK_SL_EUlSY_E0_NS1_11comp_targetILNS1_3genE10ELNS1_11target_archE1201ELNS1_3gpuE5ELNS1_3repE0EEENS1_38merge_mergepath_config_static_selectorELNS0_4arch9wavefront6targetE1EEEvSK_,"axG",@progbits,_ZN7rocprim17ROCPRIM_400000_NS6detail17trampoline_kernelINS0_14default_configENS1_38merge_sort_block_merge_config_selectorIjNS0_10empty_typeEEEZZNS1_27merge_sort_block_merge_implIS3_N6thrust23THRUST_200600_302600_NS6detail15normal_iteratorINS9_10device_ptrIjEEEEPS5_m14custom_greaterIjEEE10hipError_tT0_T1_T2_jT3_P12ihipStream_tbPNSt15iterator_traitsISJ_E10value_typeEPNSP_ISK_E10value_typeEPSL_NS1_7vsmem_tEENKUlT_SJ_SK_SL_E_clISE_PjSF_SF_EESI_SY_SJ_SK_SL_EUlSY_E0_NS1_11comp_targetILNS1_3genE10ELNS1_11target_archE1201ELNS1_3gpuE5ELNS1_3repE0EEENS1_38merge_mergepath_config_static_selectorELNS0_4arch9wavefront6targetE1EEEvSK_,comdat
.Lfunc_end3196:
	.size	_ZN7rocprim17ROCPRIM_400000_NS6detail17trampoline_kernelINS0_14default_configENS1_38merge_sort_block_merge_config_selectorIjNS0_10empty_typeEEEZZNS1_27merge_sort_block_merge_implIS3_N6thrust23THRUST_200600_302600_NS6detail15normal_iteratorINS9_10device_ptrIjEEEEPS5_m14custom_greaterIjEEE10hipError_tT0_T1_T2_jT3_P12ihipStream_tbPNSt15iterator_traitsISJ_E10value_typeEPNSP_ISK_E10value_typeEPSL_NS1_7vsmem_tEENKUlT_SJ_SK_SL_E_clISE_PjSF_SF_EESI_SY_SJ_SK_SL_EUlSY_E0_NS1_11comp_targetILNS1_3genE10ELNS1_11target_archE1201ELNS1_3gpuE5ELNS1_3repE0EEENS1_38merge_mergepath_config_static_selectorELNS0_4arch9wavefront6targetE1EEEvSK_, .Lfunc_end3196-_ZN7rocprim17ROCPRIM_400000_NS6detail17trampoline_kernelINS0_14default_configENS1_38merge_sort_block_merge_config_selectorIjNS0_10empty_typeEEEZZNS1_27merge_sort_block_merge_implIS3_N6thrust23THRUST_200600_302600_NS6detail15normal_iteratorINS9_10device_ptrIjEEEEPS5_m14custom_greaterIjEEE10hipError_tT0_T1_T2_jT3_P12ihipStream_tbPNSt15iterator_traitsISJ_E10value_typeEPNSP_ISK_E10value_typeEPSL_NS1_7vsmem_tEENKUlT_SJ_SK_SL_E_clISE_PjSF_SF_EESI_SY_SJ_SK_SL_EUlSY_E0_NS1_11comp_targetILNS1_3genE10ELNS1_11target_archE1201ELNS1_3gpuE5ELNS1_3repE0EEENS1_38merge_mergepath_config_static_selectorELNS0_4arch9wavefront6targetE1EEEvSK_
                                        ; -- End function
	.section	.AMDGPU.csdata,"",@progbits
; Kernel info:
; codeLenInByte = 0
; NumSgprs: 4
; NumVgprs: 0
; NumAgprs: 0
; TotalNumVgprs: 0
; ScratchSize: 0
; MemoryBound: 0
; FloatMode: 240
; IeeeMode: 1
; LDSByteSize: 0 bytes/workgroup (compile time only)
; SGPRBlocks: 0
; VGPRBlocks: 0
; NumSGPRsForWavesPerEU: 4
; NumVGPRsForWavesPerEU: 1
; AccumOffset: 4
; Occupancy: 8
; WaveLimiterHint : 0
; COMPUTE_PGM_RSRC2:SCRATCH_EN: 0
; COMPUTE_PGM_RSRC2:USER_SGPR: 6
; COMPUTE_PGM_RSRC2:TRAP_HANDLER: 0
; COMPUTE_PGM_RSRC2:TGID_X_EN: 1
; COMPUTE_PGM_RSRC2:TGID_Y_EN: 0
; COMPUTE_PGM_RSRC2:TGID_Z_EN: 0
; COMPUTE_PGM_RSRC2:TIDIG_COMP_CNT: 0
; COMPUTE_PGM_RSRC3_GFX90A:ACCUM_OFFSET: 0
; COMPUTE_PGM_RSRC3_GFX90A:TG_SPLIT: 0
	.section	.text._ZN7rocprim17ROCPRIM_400000_NS6detail17trampoline_kernelINS0_14default_configENS1_38merge_sort_block_merge_config_selectorIjNS0_10empty_typeEEEZZNS1_27merge_sort_block_merge_implIS3_N6thrust23THRUST_200600_302600_NS6detail15normal_iteratorINS9_10device_ptrIjEEEEPS5_m14custom_greaterIjEEE10hipError_tT0_T1_T2_jT3_P12ihipStream_tbPNSt15iterator_traitsISJ_E10value_typeEPNSP_ISK_E10value_typeEPSL_NS1_7vsmem_tEENKUlT_SJ_SK_SL_E_clISE_PjSF_SF_EESI_SY_SJ_SK_SL_EUlSY_E0_NS1_11comp_targetILNS1_3genE5ELNS1_11target_archE942ELNS1_3gpuE9ELNS1_3repE0EEENS1_38merge_mergepath_config_static_selectorELNS0_4arch9wavefront6targetE1EEEvSK_,"axG",@progbits,_ZN7rocprim17ROCPRIM_400000_NS6detail17trampoline_kernelINS0_14default_configENS1_38merge_sort_block_merge_config_selectorIjNS0_10empty_typeEEEZZNS1_27merge_sort_block_merge_implIS3_N6thrust23THRUST_200600_302600_NS6detail15normal_iteratorINS9_10device_ptrIjEEEEPS5_m14custom_greaterIjEEE10hipError_tT0_T1_T2_jT3_P12ihipStream_tbPNSt15iterator_traitsISJ_E10value_typeEPNSP_ISK_E10value_typeEPSL_NS1_7vsmem_tEENKUlT_SJ_SK_SL_E_clISE_PjSF_SF_EESI_SY_SJ_SK_SL_EUlSY_E0_NS1_11comp_targetILNS1_3genE5ELNS1_11target_archE942ELNS1_3gpuE9ELNS1_3repE0EEENS1_38merge_mergepath_config_static_selectorELNS0_4arch9wavefront6targetE1EEEvSK_,comdat
	.protected	_ZN7rocprim17ROCPRIM_400000_NS6detail17trampoline_kernelINS0_14default_configENS1_38merge_sort_block_merge_config_selectorIjNS0_10empty_typeEEEZZNS1_27merge_sort_block_merge_implIS3_N6thrust23THRUST_200600_302600_NS6detail15normal_iteratorINS9_10device_ptrIjEEEEPS5_m14custom_greaterIjEEE10hipError_tT0_T1_T2_jT3_P12ihipStream_tbPNSt15iterator_traitsISJ_E10value_typeEPNSP_ISK_E10value_typeEPSL_NS1_7vsmem_tEENKUlT_SJ_SK_SL_E_clISE_PjSF_SF_EESI_SY_SJ_SK_SL_EUlSY_E0_NS1_11comp_targetILNS1_3genE5ELNS1_11target_archE942ELNS1_3gpuE9ELNS1_3repE0EEENS1_38merge_mergepath_config_static_selectorELNS0_4arch9wavefront6targetE1EEEvSK_ ; -- Begin function _ZN7rocprim17ROCPRIM_400000_NS6detail17trampoline_kernelINS0_14default_configENS1_38merge_sort_block_merge_config_selectorIjNS0_10empty_typeEEEZZNS1_27merge_sort_block_merge_implIS3_N6thrust23THRUST_200600_302600_NS6detail15normal_iteratorINS9_10device_ptrIjEEEEPS5_m14custom_greaterIjEEE10hipError_tT0_T1_T2_jT3_P12ihipStream_tbPNSt15iterator_traitsISJ_E10value_typeEPNSP_ISK_E10value_typeEPSL_NS1_7vsmem_tEENKUlT_SJ_SK_SL_E_clISE_PjSF_SF_EESI_SY_SJ_SK_SL_EUlSY_E0_NS1_11comp_targetILNS1_3genE5ELNS1_11target_archE942ELNS1_3gpuE9ELNS1_3repE0EEENS1_38merge_mergepath_config_static_selectorELNS0_4arch9wavefront6targetE1EEEvSK_
	.globl	_ZN7rocprim17ROCPRIM_400000_NS6detail17trampoline_kernelINS0_14default_configENS1_38merge_sort_block_merge_config_selectorIjNS0_10empty_typeEEEZZNS1_27merge_sort_block_merge_implIS3_N6thrust23THRUST_200600_302600_NS6detail15normal_iteratorINS9_10device_ptrIjEEEEPS5_m14custom_greaterIjEEE10hipError_tT0_T1_T2_jT3_P12ihipStream_tbPNSt15iterator_traitsISJ_E10value_typeEPNSP_ISK_E10value_typeEPSL_NS1_7vsmem_tEENKUlT_SJ_SK_SL_E_clISE_PjSF_SF_EESI_SY_SJ_SK_SL_EUlSY_E0_NS1_11comp_targetILNS1_3genE5ELNS1_11target_archE942ELNS1_3gpuE9ELNS1_3repE0EEENS1_38merge_mergepath_config_static_selectorELNS0_4arch9wavefront6targetE1EEEvSK_
	.p2align	8
	.type	_ZN7rocprim17ROCPRIM_400000_NS6detail17trampoline_kernelINS0_14default_configENS1_38merge_sort_block_merge_config_selectorIjNS0_10empty_typeEEEZZNS1_27merge_sort_block_merge_implIS3_N6thrust23THRUST_200600_302600_NS6detail15normal_iteratorINS9_10device_ptrIjEEEEPS5_m14custom_greaterIjEEE10hipError_tT0_T1_T2_jT3_P12ihipStream_tbPNSt15iterator_traitsISJ_E10value_typeEPNSP_ISK_E10value_typeEPSL_NS1_7vsmem_tEENKUlT_SJ_SK_SL_E_clISE_PjSF_SF_EESI_SY_SJ_SK_SL_EUlSY_E0_NS1_11comp_targetILNS1_3genE5ELNS1_11target_archE942ELNS1_3gpuE9ELNS1_3repE0EEENS1_38merge_mergepath_config_static_selectorELNS0_4arch9wavefront6targetE1EEEvSK_,@function
_ZN7rocprim17ROCPRIM_400000_NS6detail17trampoline_kernelINS0_14default_configENS1_38merge_sort_block_merge_config_selectorIjNS0_10empty_typeEEEZZNS1_27merge_sort_block_merge_implIS3_N6thrust23THRUST_200600_302600_NS6detail15normal_iteratorINS9_10device_ptrIjEEEEPS5_m14custom_greaterIjEEE10hipError_tT0_T1_T2_jT3_P12ihipStream_tbPNSt15iterator_traitsISJ_E10value_typeEPNSP_ISK_E10value_typeEPSL_NS1_7vsmem_tEENKUlT_SJ_SK_SL_E_clISE_PjSF_SF_EESI_SY_SJ_SK_SL_EUlSY_E0_NS1_11comp_targetILNS1_3genE5ELNS1_11target_archE942ELNS1_3gpuE9ELNS1_3repE0EEENS1_38merge_mergepath_config_static_selectorELNS0_4arch9wavefront6targetE1EEEvSK_: ; @_ZN7rocprim17ROCPRIM_400000_NS6detail17trampoline_kernelINS0_14default_configENS1_38merge_sort_block_merge_config_selectorIjNS0_10empty_typeEEEZZNS1_27merge_sort_block_merge_implIS3_N6thrust23THRUST_200600_302600_NS6detail15normal_iteratorINS9_10device_ptrIjEEEEPS5_m14custom_greaterIjEEE10hipError_tT0_T1_T2_jT3_P12ihipStream_tbPNSt15iterator_traitsISJ_E10value_typeEPNSP_ISK_E10value_typeEPSL_NS1_7vsmem_tEENKUlT_SJ_SK_SL_E_clISE_PjSF_SF_EESI_SY_SJ_SK_SL_EUlSY_E0_NS1_11comp_targetILNS1_3genE5ELNS1_11target_archE942ELNS1_3gpuE9ELNS1_3repE0EEENS1_38merge_mergepath_config_static_selectorELNS0_4arch9wavefront6targetE1EEEvSK_
; %bb.0:
	.section	.rodata,"a",@progbits
	.p2align	6, 0x0
	.amdhsa_kernel _ZN7rocprim17ROCPRIM_400000_NS6detail17trampoline_kernelINS0_14default_configENS1_38merge_sort_block_merge_config_selectorIjNS0_10empty_typeEEEZZNS1_27merge_sort_block_merge_implIS3_N6thrust23THRUST_200600_302600_NS6detail15normal_iteratorINS9_10device_ptrIjEEEEPS5_m14custom_greaterIjEEE10hipError_tT0_T1_T2_jT3_P12ihipStream_tbPNSt15iterator_traitsISJ_E10value_typeEPNSP_ISK_E10value_typeEPSL_NS1_7vsmem_tEENKUlT_SJ_SK_SL_E_clISE_PjSF_SF_EESI_SY_SJ_SK_SL_EUlSY_E0_NS1_11comp_targetILNS1_3genE5ELNS1_11target_archE942ELNS1_3gpuE9ELNS1_3repE0EEENS1_38merge_mergepath_config_static_selectorELNS0_4arch9wavefront6targetE1EEEvSK_
		.amdhsa_group_segment_fixed_size 0
		.amdhsa_private_segment_fixed_size 0
		.amdhsa_kernarg_size 72
		.amdhsa_user_sgpr_count 6
		.amdhsa_user_sgpr_private_segment_buffer 1
		.amdhsa_user_sgpr_dispatch_ptr 0
		.amdhsa_user_sgpr_queue_ptr 0
		.amdhsa_user_sgpr_kernarg_segment_ptr 1
		.amdhsa_user_sgpr_dispatch_id 0
		.amdhsa_user_sgpr_flat_scratch_init 0
		.amdhsa_user_sgpr_kernarg_preload_length 0
		.amdhsa_user_sgpr_kernarg_preload_offset 0
		.amdhsa_user_sgpr_private_segment_size 0
		.amdhsa_uses_dynamic_stack 0
		.amdhsa_system_sgpr_private_segment_wavefront_offset 0
		.amdhsa_system_sgpr_workgroup_id_x 1
		.amdhsa_system_sgpr_workgroup_id_y 0
		.amdhsa_system_sgpr_workgroup_id_z 0
		.amdhsa_system_sgpr_workgroup_info 0
		.amdhsa_system_vgpr_workitem_id 0
		.amdhsa_next_free_vgpr 1
		.amdhsa_next_free_sgpr 0
		.amdhsa_accum_offset 4
		.amdhsa_reserve_vcc 0
		.amdhsa_reserve_flat_scratch 0
		.amdhsa_float_round_mode_32 0
		.amdhsa_float_round_mode_16_64 0
		.amdhsa_float_denorm_mode_32 3
		.amdhsa_float_denorm_mode_16_64 3
		.amdhsa_dx10_clamp 1
		.amdhsa_ieee_mode 1
		.amdhsa_fp16_overflow 0
		.amdhsa_tg_split 0
		.amdhsa_exception_fp_ieee_invalid_op 0
		.amdhsa_exception_fp_denorm_src 0
		.amdhsa_exception_fp_ieee_div_zero 0
		.amdhsa_exception_fp_ieee_overflow 0
		.amdhsa_exception_fp_ieee_underflow 0
		.amdhsa_exception_fp_ieee_inexact 0
		.amdhsa_exception_int_div_zero 0
	.end_amdhsa_kernel
	.section	.text._ZN7rocprim17ROCPRIM_400000_NS6detail17trampoline_kernelINS0_14default_configENS1_38merge_sort_block_merge_config_selectorIjNS0_10empty_typeEEEZZNS1_27merge_sort_block_merge_implIS3_N6thrust23THRUST_200600_302600_NS6detail15normal_iteratorINS9_10device_ptrIjEEEEPS5_m14custom_greaterIjEEE10hipError_tT0_T1_T2_jT3_P12ihipStream_tbPNSt15iterator_traitsISJ_E10value_typeEPNSP_ISK_E10value_typeEPSL_NS1_7vsmem_tEENKUlT_SJ_SK_SL_E_clISE_PjSF_SF_EESI_SY_SJ_SK_SL_EUlSY_E0_NS1_11comp_targetILNS1_3genE5ELNS1_11target_archE942ELNS1_3gpuE9ELNS1_3repE0EEENS1_38merge_mergepath_config_static_selectorELNS0_4arch9wavefront6targetE1EEEvSK_,"axG",@progbits,_ZN7rocprim17ROCPRIM_400000_NS6detail17trampoline_kernelINS0_14default_configENS1_38merge_sort_block_merge_config_selectorIjNS0_10empty_typeEEEZZNS1_27merge_sort_block_merge_implIS3_N6thrust23THRUST_200600_302600_NS6detail15normal_iteratorINS9_10device_ptrIjEEEEPS5_m14custom_greaterIjEEE10hipError_tT0_T1_T2_jT3_P12ihipStream_tbPNSt15iterator_traitsISJ_E10value_typeEPNSP_ISK_E10value_typeEPSL_NS1_7vsmem_tEENKUlT_SJ_SK_SL_E_clISE_PjSF_SF_EESI_SY_SJ_SK_SL_EUlSY_E0_NS1_11comp_targetILNS1_3genE5ELNS1_11target_archE942ELNS1_3gpuE9ELNS1_3repE0EEENS1_38merge_mergepath_config_static_selectorELNS0_4arch9wavefront6targetE1EEEvSK_,comdat
.Lfunc_end3197:
	.size	_ZN7rocprim17ROCPRIM_400000_NS6detail17trampoline_kernelINS0_14default_configENS1_38merge_sort_block_merge_config_selectorIjNS0_10empty_typeEEEZZNS1_27merge_sort_block_merge_implIS3_N6thrust23THRUST_200600_302600_NS6detail15normal_iteratorINS9_10device_ptrIjEEEEPS5_m14custom_greaterIjEEE10hipError_tT0_T1_T2_jT3_P12ihipStream_tbPNSt15iterator_traitsISJ_E10value_typeEPNSP_ISK_E10value_typeEPSL_NS1_7vsmem_tEENKUlT_SJ_SK_SL_E_clISE_PjSF_SF_EESI_SY_SJ_SK_SL_EUlSY_E0_NS1_11comp_targetILNS1_3genE5ELNS1_11target_archE942ELNS1_3gpuE9ELNS1_3repE0EEENS1_38merge_mergepath_config_static_selectorELNS0_4arch9wavefront6targetE1EEEvSK_, .Lfunc_end3197-_ZN7rocprim17ROCPRIM_400000_NS6detail17trampoline_kernelINS0_14default_configENS1_38merge_sort_block_merge_config_selectorIjNS0_10empty_typeEEEZZNS1_27merge_sort_block_merge_implIS3_N6thrust23THRUST_200600_302600_NS6detail15normal_iteratorINS9_10device_ptrIjEEEEPS5_m14custom_greaterIjEEE10hipError_tT0_T1_T2_jT3_P12ihipStream_tbPNSt15iterator_traitsISJ_E10value_typeEPNSP_ISK_E10value_typeEPSL_NS1_7vsmem_tEENKUlT_SJ_SK_SL_E_clISE_PjSF_SF_EESI_SY_SJ_SK_SL_EUlSY_E0_NS1_11comp_targetILNS1_3genE5ELNS1_11target_archE942ELNS1_3gpuE9ELNS1_3repE0EEENS1_38merge_mergepath_config_static_selectorELNS0_4arch9wavefront6targetE1EEEvSK_
                                        ; -- End function
	.section	.AMDGPU.csdata,"",@progbits
; Kernel info:
; codeLenInByte = 0
; NumSgprs: 4
; NumVgprs: 0
; NumAgprs: 0
; TotalNumVgprs: 0
; ScratchSize: 0
; MemoryBound: 0
; FloatMode: 240
; IeeeMode: 1
; LDSByteSize: 0 bytes/workgroup (compile time only)
; SGPRBlocks: 0
; VGPRBlocks: 0
; NumSGPRsForWavesPerEU: 4
; NumVGPRsForWavesPerEU: 1
; AccumOffset: 4
; Occupancy: 8
; WaveLimiterHint : 0
; COMPUTE_PGM_RSRC2:SCRATCH_EN: 0
; COMPUTE_PGM_RSRC2:USER_SGPR: 6
; COMPUTE_PGM_RSRC2:TRAP_HANDLER: 0
; COMPUTE_PGM_RSRC2:TGID_X_EN: 1
; COMPUTE_PGM_RSRC2:TGID_Y_EN: 0
; COMPUTE_PGM_RSRC2:TGID_Z_EN: 0
; COMPUTE_PGM_RSRC2:TIDIG_COMP_CNT: 0
; COMPUTE_PGM_RSRC3_GFX90A:ACCUM_OFFSET: 0
; COMPUTE_PGM_RSRC3_GFX90A:TG_SPLIT: 0
	.section	.text._ZN7rocprim17ROCPRIM_400000_NS6detail17trampoline_kernelINS0_14default_configENS1_38merge_sort_block_merge_config_selectorIjNS0_10empty_typeEEEZZNS1_27merge_sort_block_merge_implIS3_N6thrust23THRUST_200600_302600_NS6detail15normal_iteratorINS9_10device_ptrIjEEEEPS5_m14custom_greaterIjEEE10hipError_tT0_T1_T2_jT3_P12ihipStream_tbPNSt15iterator_traitsISJ_E10value_typeEPNSP_ISK_E10value_typeEPSL_NS1_7vsmem_tEENKUlT_SJ_SK_SL_E_clISE_PjSF_SF_EESI_SY_SJ_SK_SL_EUlSY_E0_NS1_11comp_targetILNS1_3genE4ELNS1_11target_archE910ELNS1_3gpuE8ELNS1_3repE0EEENS1_38merge_mergepath_config_static_selectorELNS0_4arch9wavefront6targetE1EEEvSK_,"axG",@progbits,_ZN7rocprim17ROCPRIM_400000_NS6detail17trampoline_kernelINS0_14default_configENS1_38merge_sort_block_merge_config_selectorIjNS0_10empty_typeEEEZZNS1_27merge_sort_block_merge_implIS3_N6thrust23THRUST_200600_302600_NS6detail15normal_iteratorINS9_10device_ptrIjEEEEPS5_m14custom_greaterIjEEE10hipError_tT0_T1_T2_jT3_P12ihipStream_tbPNSt15iterator_traitsISJ_E10value_typeEPNSP_ISK_E10value_typeEPSL_NS1_7vsmem_tEENKUlT_SJ_SK_SL_E_clISE_PjSF_SF_EESI_SY_SJ_SK_SL_EUlSY_E0_NS1_11comp_targetILNS1_3genE4ELNS1_11target_archE910ELNS1_3gpuE8ELNS1_3repE0EEENS1_38merge_mergepath_config_static_selectorELNS0_4arch9wavefront6targetE1EEEvSK_,comdat
	.protected	_ZN7rocprim17ROCPRIM_400000_NS6detail17trampoline_kernelINS0_14default_configENS1_38merge_sort_block_merge_config_selectorIjNS0_10empty_typeEEEZZNS1_27merge_sort_block_merge_implIS3_N6thrust23THRUST_200600_302600_NS6detail15normal_iteratorINS9_10device_ptrIjEEEEPS5_m14custom_greaterIjEEE10hipError_tT0_T1_T2_jT3_P12ihipStream_tbPNSt15iterator_traitsISJ_E10value_typeEPNSP_ISK_E10value_typeEPSL_NS1_7vsmem_tEENKUlT_SJ_SK_SL_E_clISE_PjSF_SF_EESI_SY_SJ_SK_SL_EUlSY_E0_NS1_11comp_targetILNS1_3genE4ELNS1_11target_archE910ELNS1_3gpuE8ELNS1_3repE0EEENS1_38merge_mergepath_config_static_selectorELNS0_4arch9wavefront6targetE1EEEvSK_ ; -- Begin function _ZN7rocprim17ROCPRIM_400000_NS6detail17trampoline_kernelINS0_14default_configENS1_38merge_sort_block_merge_config_selectorIjNS0_10empty_typeEEEZZNS1_27merge_sort_block_merge_implIS3_N6thrust23THRUST_200600_302600_NS6detail15normal_iteratorINS9_10device_ptrIjEEEEPS5_m14custom_greaterIjEEE10hipError_tT0_T1_T2_jT3_P12ihipStream_tbPNSt15iterator_traitsISJ_E10value_typeEPNSP_ISK_E10value_typeEPSL_NS1_7vsmem_tEENKUlT_SJ_SK_SL_E_clISE_PjSF_SF_EESI_SY_SJ_SK_SL_EUlSY_E0_NS1_11comp_targetILNS1_3genE4ELNS1_11target_archE910ELNS1_3gpuE8ELNS1_3repE0EEENS1_38merge_mergepath_config_static_selectorELNS0_4arch9wavefront6targetE1EEEvSK_
	.globl	_ZN7rocprim17ROCPRIM_400000_NS6detail17trampoline_kernelINS0_14default_configENS1_38merge_sort_block_merge_config_selectorIjNS0_10empty_typeEEEZZNS1_27merge_sort_block_merge_implIS3_N6thrust23THRUST_200600_302600_NS6detail15normal_iteratorINS9_10device_ptrIjEEEEPS5_m14custom_greaterIjEEE10hipError_tT0_T1_T2_jT3_P12ihipStream_tbPNSt15iterator_traitsISJ_E10value_typeEPNSP_ISK_E10value_typeEPSL_NS1_7vsmem_tEENKUlT_SJ_SK_SL_E_clISE_PjSF_SF_EESI_SY_SJ_SK_SL_EUlSY_E0_NS1_11comp_targetILNS1_3genE4ELNS1_11target_archE910ELNS1_3gpuE8ELNS1_3repE0EEENS1_38merge_mergepath_config_static_selectorELNS0_4arch9wavefront6targetE1EEEvSK_
	.p2align	8
	.type	_ZN7rocprim17ROCPRIM_400000_NS6detail17trampoline_kernelINS0_14default_configENS1_38merge_sort_block_merge_config_selectorIjNS0_10empty_typeEEEZZNS1_27merge_sort_block_merge_implIS3_N6thrust23THRUST_200600_302600_NS6detail15normal_iteratorINS9_10device_ptrIjEEEEPS5_m14custom_greaterIjEEE10hipError_tT0_T1_T2_jT3_P12ihipStream_tbPNSt15iterator_traitsISJ_E10value_typeEPNSP_ISK_E10value_typeEPSL_NS1_7vsmem_tEENKUlT_SJ_SK_SL_E_clISE_PjSF_SF_EESI_SY_SJ_SK_SL_EUlSY_E0_NS1_11comp_targetILNS1_3genE4ELNS1_11target_archE910ELNS1_3gpuE8ELNS1_3repE0EEENS1_38merge_mergepath_config_static_selectorELNS0_4arch9wavefront6targetE1EEEvSK_,@function
_ZN7rocprim17ROCPRIM_400000_NS6detail17trampoline_kernelINS0_14default_configENS1_38merge_sort_block_merge_config_selectorIjNS0_10empty_typeEEEZZNS1_27merge_sort_block_merge_implIS3_N6thrust23THRUST_200600_302600_NS6detail15normal_iteratorINS9_10device_ptrIjEEEEPS5_m14custom_greaterIjEEE10hipError_tT0_T1_T2_jT3_P12ihipStream_tbPNSt15iterator_traitsISJ_E10value_typeEPNSP_ISK_E10value_typeEPSL_NS1_7vsmem_tEENKUlT_SJ_SK_SL_E_clISE_PjSF_SF_EESI_SY_SJ_SK_SL_EUlSY_E0_NS1_11comp_targetILNS1_3genE4ELNS1_11target_archE910ELNS1_3gpuE8ELNS1_3repE0EEENS1_38merge_mergepath_config_static_selectorELNS0_4arch9wavefront6targetE1EEEvSK_: ; @_ZN7rocprim17ROCPRIM_400000_NS6detail17trampoline_kernelINS0_14default_configENS1_38merge_sort_block_merge_config_selectorIjNS0_10empty_typeEEEZZNS1_27merge_sort_block_merge_implIS3_N6thrust23THRUST_200600_302600_NS6detail15normal_iteratorINS9_10device_ptrIjEEEEPS5_m14custom_greaterIjEEE10hipError_tT0_T1_T2_jT3_P12ihipStream_tbPNSt15iterator_traitsISJ_E10value_typeEPNSP_ISK_E10value_typeEPSL_NS1_7vsmem_tEENKUlT_SJ_SK_SL_E_clISE_PjSF_SF_EESI_SY_SJ_SK_SL_EUlSY_E0_NS1_11comp_targetILNS1_3genE4ELNS1_11target_archE910ELNS1_3gpuE8ELNS1_3repE0EEENS1_38merge_mergepath_config_static_selectorELNS0_4arch9wavefront6targetE1EEEvSK_
; %bb.0:
	s_load_dwordx2 s[22:23], s[4:5], 0x48
	s_load_dword s0, s[4:5], 0x38
	s_add_u32 s10, s4, 0x48
	s_addc_u32 s11, s5, 0
	s_waitcnt lgkmcnt(0)
	s_mul_i32 s1, s23, s8
	s_add_i32 s1, s1, s7
	s_mul_i32 s1, s1, s22
	s_add_i32 s8, s1, s6
	s_cmp_ge_u32 s8, s0
	s_cbranch_scc1 .LBB3198_45
; %bb.1:
	s_load_dwordx2 s[0:1], s[4:5], 0x40
	s_load_dwordx4 s[12:15], s[4:5], 0x8
	s_load_dwordx4 s[16:19], s[4:5], 0x28
	s_mov_b32 s9, 0
	s_lshl_b64 s[2:3], s[8:9], 3
	s_waitcnt lgkmcnt(0)
	s_add_u32 s0, s0, s2
	s_addc_u32 s1, s1, s3
	v_mov_b32_e32 v1, s18
	v_alignbit_b32 v1, s19, v1, 9
	v_readfirstlane_b32 s4, v1
	s_and_b32 s4, s4, -2
	s_sub_i32 s30, 0, s4
	s_and_b32 s24, s8, s30
	s_mov_b32 s25, s9
	s_lshl_b64 s[4:5], s[24:25], 10
	s_lshl_b64 s[20:21], s[8:9], 10
	s_sub_u32 s7, s20, s4
	s_load_dwordx4 s[0:3], s[0:1], 0x0
	s_subb_u32 s23, s21, s5
	s_lshl_b64 s[24:25], s[24:25], 11
	s_add_u32 s24, s24, s18
	s_addc_u32 s25, s25, s19
	s_add_u32 s7, s24, s7
	s_addc_u32 s23, s25, s23
	s_waitcnt lgkmcnt(0)
	s_sub_u32 s26, s7, s2
	s_subb_u32 s3, s23, s3
	s_add_u32 s26, s26, 0x400
	s_addc_u32 s27, s3, 0
	v_pk_mov_b32 v[2:3], s[26:27], s[26:27] op_sel:[0,1]
	v_cmp_lt_u64_e32 vcc, s[16:17], v[2:3]
	s_and_b64 s[28:29], vcc, exec
	s_cselect_b32 s3, s16, s26
	s_or_b32 s26, s8, s30
	s_cmp_lg_u32 s26, -1
	s_cbranch_scc1 .LBB3198_3
; %bb.2:
	s_sub_u32 s4, s24, s4
	s_subb_u32 s5, s25, s5
	v_pk_mov_b32 v[2:3], s[4:5], s[4:5] op_sel:[0,1]
	v_cmp_lt_u64_e32 vcc, s[16:17], v[2:3]
	s_and_b64 s[2:3], vcc, exec
	s_cselect_b32 s2, s16, s4
	s_add_u32 s4, s4, s18
	s_addc_u32 s5, s5, s19
	v_pk_mov_b32 v[2:3], s[4:5], s[4:5] op_sel:[0,1]
	v_cmp_lt_u64_e32 vcc, s[16:17], v[2:3]
	s_and_b64 s[18:19], vcc, exec
	s_cselect_b32 s3, s16, s4
.LBB3198_3:
	s_lshr_b64 s[24:25], s[16:17], 10
	s_cmp_lg_u64 s[24:25], s[8:9]
	s_cselect_b64 s[18:19], -1, 0
	s_sub_u32 s4, s7, s0
	s_subb_u32 s5, s23, s1
	v_pk_mov_b32 v[2:3], s[4:5], s[4:5] op_sel:[0,1]
	v_cmp_lt_u64_e32 vcc, s[16:17], v[2:3]
	s_and_b64 s[26:27], vcc, exec
	s_cselect_b32 s26, s16, s4
	s_cselect_b32 s27, s17, s5
	s_sub_i32 s17, s2, s0
	s_sub_i32 s4, s3, s26
	s_lshl_b64 s[0:1], s[0:1], 2
	s_add_u32 s5, s12, s0
	s_addc_u32 s7, s13, s1
	s_lshl_b64 s[0:1], s[26:27], 2
	s_add_u32 s12, s12, s0
	s_addc_u32 s13, s13, s1
	s_cmp_lt_u32 s6, s22
	v_mov_b32_e32 v9, 0
	s_cselect_b32 s0, 12, 18
	global_load_dword v1, v9, s[10:11] offset:14
	s_add_u32 s0, s10, s0
	s_addc_u32 s1, s11, 0
	global_load_ushort v2, v9, s[0:1]
	s_cmp_eq_u64 s[24:25], s[8:9]
	s_waitcnt vmcnt(1)
	v_lshrrev_b32_e32 v3, 16, v1
	v_and_b32_e32 v1, 0xffff, v1
	v_mul_lo_u32 v1, v1, v3
	s_waitcnt vmcnt(0)
	v_mul_lo_u32 v15, v1, v2
	v_add_u32_e32 v12, v15, v0
	v_lshlrev_b32_e32 v1, 2, v0
	v_add_u32_e32 v10, v12, v15
	s_cbranch_scc1 .LBB3198_5
; %bb.4:
	v_subrev_u32_e32 v8, s17, v0
	v_lshlrev_b64 v[2:3], 2, v[8:9]
	v_mov_b32_e32 v4, s13
	v_add_co_u32_e32 v2, vcc, s12, v2
	v_addc_co_u32_e32 v3, vcc, v4, v3, vcc
	v_mov_b32_e32 v4, s7
	v_add_co_u32_e32 v5, vcc, s5, v1
	v_addc_co_u32_e32 v4, vcc, 0, v4, vcc
	v_cmp_gt_u32_e32 vcc, s17, v0
	v_subrev_u32_e32 v8, s17, v12
	v_cndmask_b32_e32 v3, v3, v4, vcc
	v_cndmask_b32_e32 v2, v2, v5, vcc
	v_lshlrev_b64 v[4:5], 2, v[8:9]
	global_load_dword v2, v[2:3], off
	v_mov_b32_e32 v3, s13
	v_add_co_u32_e32 v6, vcc, s12, v4
	v_mov_b32_e32 v13, v9
	v_addc_co_u32_e32 v3, vcc, v3, v5, vcc
	v_lshlrev_b64 v[4:5], 2, v[12:13]
	v_mov_b32_e32 v7, s7
	v_add_co_u32_e32 v4, vcc, s5, v4
	v_addc_co_u32_e32 v5, vcc, v7, v5, vcc
	v_cmp_gt_u32_e32 vcc, s17, v12
	v_cndmask_b32_e32 v5, v3, v5, vcc
	v_cndmask_b32_e32 v4, v6, v4, vcc
	v_subrev_u32_e32 v8, s17, v10
	global_load_dword v3, v[4:5], off
	v_lshlrev_b64 v[4:5], 2, v[8:9]
	v_mov_b32_e32 v6, s13
	v_add_co_u32_e32 v7, vcc, s12, v4
	v_mov_b32_e32 v11, v9
	v_addc_co_u32_e32 v6, vcc, v6, v5, vcc
	v_lshlrev_b64 v[4:5], 2, v[10:11]
	v_mov_b32_e32 v8, s7
	v_add_co_u32_e32 v4, vcc, s5, v4
	v_addc_co_u32_e32 v5, vcc, v8, v5, vcc
	v_cmp_gt_u32_e32 vcc, s17, v10
	v_cndmask_b32_e32 v5, v6, v5, vcc
	v_add_u32_e32 v6, v10, v15
	v_subrev_u32_e32 v8, s17, v6
	v_cndmask_b32_e32 v4, v7, v4, vcc
	v_lshlrev_b64 v[16:17], 2, v[8:9]
	global_load_dword v4, v[4:5], off
	v_mov_b32_e32 v5, s13
	v_add_co_u32_e32 v8, vcc, s12, v16
	v_mov_b32_e32 v7, v9
	v_addc_co_u32_e32 v5, vcc, v5, v17, vcc
	v_lshlrev_b64 v[16:17], 2, v[6:7]
	v_mov_b32_e32 v7, s7
	v_add_co_u32_e32 v11, vcc, s5, v16
	v_addc_co_u32_e32 v7, vcc, v7, v17, vcc
	v_cmp_gt_u32_e32 vcc, s17, v6
	v_cndmask_b32_e32 v17, v5, v7, vcc
	v_cndmask_b32_e32 v16, v8, v11, vcc
	global_load_dword v5, v[16:17], off
	v_add_u32_e32 v16, v6, v15
	v_subrev_u32_e32 v8, s17, v16
	v_lshlrev_b64 v[6:7], 2, v[8:9]
	v_mov_b32_e32 v8, s13
	v_add_co_u32_e32 v11, vcc, s12, v6
	v_mov_b32_e32 v17, v9
	v_addc_co_u32_e32 v8, vcc, v8, v7, vcc
	v_lshlrev_b64 v[6:7], 2, v[16:17]
	v_mov_b32_e32 v13, s7
	v_add_co_u32_e32 v6, vcc, s5, v6
	v_addc_co_u32_e32 v7, vcc, v13, v7, vcc
	v_cmp_gt_u32_e32 vcc, s17, v16
	v_add_u32_e32 v16, v16, v15
	v_cndmask_b32_e32 v7, v8, v7, vcc
	v_subrev_u32_e32 v8, s17, v16
	v_cndmask_b32_e32 v6, v11, v6, vcc
	v_lshlrev_b64 v[18:19], 2, v[8:9]
	global_load_dword v6, v[6:7], off
	v_mov_b32_e32 v7, s13
	v_add_co_u32_e32 v8, vcc, s12, v18
	v_addc_co_u32_e32 v7, vcc, v7, v19, vcc
	v_lshlrev_b64 v[18:19], 2, v[16:17]
	v_mov_b32_e32 v11, s7
	v_add_co_u32_e32 v13, vcc, s5, v18
	v_addc_co_u32_e32 v11, vcc, v11, v19, vcc
	v_cmp_gt_u32_e32 vcc, s17, v16
	v_add_u32_e32 v16, v16, v15
	v_cndmask_b32_e32 v19, v7, v11, vcc
	v_cndmask_b32_e32 v18, v8, v13, vcc
	v_subrev_u32_e32 v8, s17, v16
	global_load_dword v7, v[18:19], off
	v_lshlrev_b64 v[18:19], 2, v[8:9]
	v_mov_b32_e32 v8, s13
	v_add_co_u32_e32 v11, vcc, s12, v18
	v_addc_co_u32_e32 v13, vcc, v8, v19, vcc
	v_lshlrev_b64 v[8:9], 2, v[16:17]
	v_mov_b32_e32 v14, s7
	v_add_co_u32_e32 v8, vcc, s5, v8
	v_addc_co_u32_e32 v9, vcc, v14, v9, vcc
	v_cmp_gt_u32_e32 vcc, s17, v16
	v_cndmask_b32_e32 v9, v13, v9, vcc
	v_cndmask_b32_e32 v8, v11, v8, vcc
	global_load_dword v8, v[8:9], off
	v_add_u32_e32 v14, v16, v15
	s_add_i32 s6, s17, s4
	s_mov_b64 s[0:1], -1
	s_cbranch_execz .LBB3198_6
	s_branch .LBB3198_19
.LBB3198_5:
	s_mov_b64 s[0:1], 0
                                        ; implicit-def: $vgpr14
                                        ; implicit-def: $vgpr2_vgpr3_vgpr4_vgpr5_vgpr6_vgpr7_vgpr8_vgpr9
                                        ; implicit-def: $sgpr6
.LBB3198_6:
	s_add_i32 s6, s17, s4
	v_cmp_gt_u32_e32 vcc, s6, v0
                                        ; implicit-def: $vgpr2_vgpr3_vgpr4_vgpr5_vgpr6_vgpr7_vgpr8_vgpr9
	s_and_saveexec_b64 s[0:1], vcc
	s_cbranch_execnz .LBB3198_46
; %bb.7:
	s_or_b64 exec, exec, s[0:1]
	v_cmp_gt_u32_e32 vcc, s6, v12
	s_and_saveexec_b64 s[2:3], vcc
	s_cbranch_execnz .LBB3198_47
.LBB3198_8:
	s_or_b64 exec, exec, s[2:3]
	v_cmp_gt_u32_e32 vcc, s6, v10
	s_and_saveexec_b64 s[0:1], vcc
	s_cbranch_execz .LBB3198_10
.LBB3198_9:
	v_mov_b32_e32 v11, 0
	v_lshlrev_b64 v[12:13], 2, v[10:11]
	s_waitcnt vmcnt(4)
	v_mov_b32_e32 v4, s7
	v_add_co_u32_e32 v14, vcc, s5, v12
	v_addc_co_u32_e32 v4, vcc, v4, v13, vcc
	v_subrev_u32_e32 v12, s17, v10
	v_mov_b32_e32 v13, v11
	v_lshlrev_b64 v[12:13], 2, v[12:13]
	v_mov_b32_e32 v11, s13
	v_add_co_u32_e32 v12, vcc, s12, v12
	v_addc_co_u32_e32 v11, vcc, v11, v13, vcc
	v_cmp_gt_u32_e32 vcc, s17, v10
	v_cndmask_b32_e32 v13, v11, v4, vcc
	v_cndmask_b32_e32 v12, v12, v14, vcc
	global_load_dword v4, v[12:13], off
.LBB3198_10:
	s_or_b64 exec, exec, s[0:1]
	v_add_u32_e32 v10, v10, v15
	v_cmp_gt_u32_e32 vcc, s6, v10
	s_and_saveexec_b64 s[0:1], vcc
	s_cbranch_execz .LBB3198_12
; %bb.11:
	v_mov_b32_e32 v11, 0
	v_lshlrev_b64 v[12:13], 2, v[10:11]
	s_waitcnt vmcnt(3)
	v_mov_b32_e32 v5, s7
	v_add_co_u32_e32 v14, vcc, s5, v12
	v_addc_co_u32_e32 v5, vcc, v5, v13, vcc
	v_subrev_u32_e32 v12, s17, v10
	v_mov_b32_e32 v13, v11
	v_lshlrev_b64 v[12:13], 2, v[12:13]
	v_mov_b32_e32 v11, s13
	v_add_co_u32_e32 v12, vcc, s12, v12
	v_addc_co_u32_e32 v11, vcc, v11, v13, vcc
	v_cmp_gt_u32_e32 vcc, s17, v10
	v_cndmask_b32_e32 v13, v11, v5, vcc
	v_cndmask_b32_e32 v12, v12, v14, vcc
	global_load_dword v5, v[12:13], off
.LBB3198_12:
	s_or_b64 exec, exec, s[0:1]
	v_add_u32_e32 v10, v10, v15
	v_cmp_gt_u32_e32 vcc, s6, v10
	s_and_saveexec_b64 s[0:1], vcc
	s_cbranch_execz .LBB3198_14
; %bb.13:
	v_mov_b32_e32 v11, 0
	v_lshlrev_b64 v[12:13], 2, v[10:11]
	s_waitcnt vmcnt(2)
	v_mov_b32_e32 v6, s7
	v_add_co_u32_e32 v14, vcc, s5, v12
	v_addc_co_u32_e32 v6, vcc, v6, v13, vcc
	v_subrev_u32_e32 v12, s17, v10
	v_mov_b32_e32 v13, v11
	v_lshlrev_b64 v[12:13], 2, v[12:13]
	v_mov_b32_e32 v11, s13
	v_add_co_u32_e32 v12, vcc, s12, v12
	v_addc_co_u32_e32 v11, vcc, v11, v13, vcc
	v_cmp_gt_u32_e32 vcc, s17, v10
	v_cndmask_b32_e32 v13, v11, v6, vcc
	v_cndmask_b32_e32 v12, v12, v14, vcc
	global_load_dword v6, v[12:13], off
.LBB3198_14:
	;; [unrolled: 23-line block ×4, first 2 shown]
	s_or_b64 exec, exec, s[0:1]
	v_add_u32_e32 v14, v10, v15
	v_cmp_gt_u32_e64 s[0:1], s6, v14
.LBB3198_19:
	v_mov_b32_e32 v11, s6
	s_and_saveexec_b64 s[2:3], s[0:1]
	s_cbranch_execz .LBB3198_21
; %bb.20:
	v_subrev_u32_e32 v10, s17, v14
	v_mov_b32_e32 v11, 0
	v_lshlrev_b64 v[12:13], 2, v[10:11]
	v_mov_b32_e32 v9, s13
	v_add_co_u32_e32 v12, vcc, s12, v12
	v_mov_b32_e32 v15, v11
	v_addc_co_u32_e32 v9, vcc, v9, v13, vcc
	v_lshlrev_b64 v[10:11], 2, v[14:15]
	v_mov_b32_e32 v13, s7
	v_add_co_u32_e32 v10, vcc, s5, v10
	v_addc_co_u32_e32 v11, vcc, v13, v11, vcc
	v_cmp_gt_u32_e32 vcc, s17, v14
	v_cndmask_b32_e32 v11, v9, v11, vcc
	v_cndmask_b32_e32 v10, v12, v10, vcc
	global_load_dword v9, v[10:11], off
	v_mov_b32_e32 v11, s6
.LBB3198_21:
	s_or_b64 exec, exec, s[2:3]
	v_lshlrev_b32_e32 v10, 3, v0
	v_min_u32_e32 v13, v11, v10
	v_sub_u32_e64 v12, v13, s4 clamp
	v_min_u32_e32 v14, s17, v13
	v_cmp_lt_u32_e32 vcc, v12, v14
	s_waitcnt vmcnt(0)
	ds_write2st64_b32 v1, v2, v3 offset1:2
	ds_write2st64_b32 v1, v4, v5 offset0:4 offset1:6
	ds_write2st64_b32 v1, v6, v7 offset0:8 offset1:10
	;; [unrolled: 1-line block ×3, first 2 shown]
	s_waitcnt lgkmcnt(0)
	s_barrier
	s_and_saveexec_b64 s[0:1], vcc
	s_cbranch_execz .LBB3198_25
; %bb.22:
	v_lshlrev_b32_e32 v15, 2, v13
	v_lshl_add_u32 v15, s17, 2, v15
	s_mov_b64 s[2:3], 0
.LBB3198_23:                            ; =>This Inner Loop Header: Depth=1
	v_add_u32_e32 v16, v14, v12
	v_lshrrev_b32_e32 v16, 1, v16
	v_not_b32_e32 v17, v16
	v_lshlrev_b32_e32 v18, 2, v16
	v_lshl_add_u32 v17, v17, 2, v15
	ds_read_b32 v18, v18
	ds_read_b32 v17, v17
	v_add_u32_e32 v19, 1, v16
	s_waitcnt lgkmcnt(0)
	v_cmp_gt_u32_e32 vcc, v18, v17
	v_cndmask_b32_e32 v14, v14, v16, vcc
	v_cndmask_b32_e32 v12, v19, v12, vcc
	v_cmp_ge_u32_e32 vcc, v12, v14
	s_or_b64 s[2:3], vcc, s[2:3]
	s_andn2_b64 exec, exec, s[2:3]
	s_cbranch_execnz .LBB3198_23
; %bb.24:
	s_or_b64 exec, exec, s[2:3]
.LBB3198_25:
	s_or_b64 exec, exec, s[0:1]
	v_sub_u32_e32 v13, v13, v12
	v_add_u32_e32 v13, s17, v13
	v_cmp_ge_u32_e32 vcc, s17, v12
	v_cmp_le_u32_e64 s[0:1], v13, v11
	s_or_b64 s[0:1], vcc, s[0:1]
	s_and_saveexec_b64 s[22:23], s[0:1]
	s_cbranch_execz .LBB3198_31
; %bb.26:
	v_cmp_gt_u32_e32 vcc, s17, v12
                                        ; implicit-def: $vgpr2
	s_and_saveexec_b64 s[0:1], vcc
	s_cbranch_execz .LBB3198_28
; %bb.27:
	v_lshlrev_b32_e32 v2, 2, v12
	ds_read_b32 v2, v2
.LBB3198_28:
	s_or_b64 exec, exec, s[0:1]
	v_cmp_ge_u32_e64 s[0:1], v13, v11
	v_cmp_lt_u32_e64 s[2:3], v13, v11
                                        ; implicit-def: $vgpr3
	s_and_saveexec_b64 s[4:5], s[2:3]
	s_cbranch_execz .LBB3198_30
; %bb.29:
	v_lshlrev_b32_e32 v3, 2, v13
	ds_read_b32 v3, v3
.LBB3198_30:
	s_or_b64 exec, exec, s[4:5]
	s_waitcnt lgkmcnt(0)
	v_cmp_le_u32_e64 s[2:3], v2, v3
	s_and_b64 s[2:3], vcc, s[2:3]
	s_or_b64 vcc, s[0:1], s[2:3]
	v_mov_b32_e32 v5, s17
	v_cndmask_b32_e32 v4, v13, v12, vcc
	v_cndmask_b32_e32 v6, v11, v5, vcc
	v_add_u32_e32 v4, 1, v4
	v_add_u32_e32 v6, -1, v6
	v_min_u32_e32 v6, v4, v6
	v_lshlrev_b32_e32 v6, 2, v6
	ds_read_b32 v6, v6
	v_cndmask_b32_e32 v8, v4, v13, vcc
	v_cndmask_b32_e32 v4, v12, v4, vcc
	v_cmp_gt_u32_e64 s[2:3], s17, v4
	v_cmp_ge_u32_e64 s[0:1], v8, v11
	s_waitcnt lgkmcnt(0)
	v_cndmask_b32_e32 v7, v6, v3, vcc
	v_cndmask_b32_e32 v6, v2, v6, vcc
	v_cmp_le_u32_e64 s[4:5], v6, v7
	s_and_b64 s[2:3], s[2:3], s[4:5]
	s_or_b64 s[0:1], s[0:1], s[2:3]
	v_cndmask_b32_e64 v9, v8, v4, s[0:1]
	v_cndmask_b32_e64 v12, v11, v5, s[0:1]
	v_add_u32_e32 v9, 1, v9
	v_add_u32_e32 v12, -1, v12
	v_min_u32_e32 v12, v9, v12
	v_lshlrev_b32_e32 v12, 2, v12
	ds_read_b32 v12, v12
	v_cndmask_b32_e64 v4, v4, v9, s[0:1]
	v_cndmask_b32_e64 v8, v9, v8, s[0:1]
	v_cmp_gt_u32_e64 s[4:5], s17, v4
	v_cmp_ge_u32_e64 s[2:3], v8, v11
	s_waitcnt lgkmcnt(0)
	v_cndmask_b32_e64 v13, v12, v7, s[0:1]
	v_cndmask_b32_e64 v12, v6, v12, s[0:1]
	v_cmp_le_u32_e64 s[6:7], v12, v13
	s_and_b64 s[4:5], s[4:5], s[6:7]
	s_or_b64 s[2:3], s[2:3], s[4:5]
	v_cndmask_b32_e64 v9, v8, v4, s[2:3]
	v_cndmask_b32_e64 v14, v11, v5, s[2:3]
	v_add_u32_e32 v9, 1, v9
	v_add_u32_e32 v14, -1, v14
	v_min_u32_e32 v14, v9, v14
	v_lshlrev_b32_e32 v14, 2, v14
	ds_read_b32 v14, v14
	v_cndmask_b32_e64 v4, v4, v9, s[2:3]
	v_cndmask_b32_e64 v8, v9, v8, s[2:3]
	v_cmp_gt_u32_e64 s[6:7], s17, v4
	v_cmp_ge_u32_e64 s[4:5], v8, v11
	s_waitcnt lgkmcnt(0)
	v_cndmask_b32_e64 v15, v14, v13, s[2:3]
	v_cndmask_b32_e64 v14, v12, v14, s[2:3]
	;; [unrolled: 17-line block ×4, first 2 shown]
	v_cmp_le_u32_e64 s[12:13], v18, v19
	s_and_b64 s[10:11], s[10:11], s[12:13]
	s_or_b64 s[8:9], s[8:9], s[10:11]
	v_cndmask_b32_e64 v4, v8, v9, s[8:9]
	v_cndmask_b32_e64 v20, v11, v5, s[8:9]
	v_add_u32_e32 v21, 1, v4
	v_add_u32_e32 v4, -1, v20
	v_min_u32_e32 v4, v21, v4
	v_lshlrev_b32_e32 v4, 2, v4
	ds_read_b32 v20, v4
	v_cndmask_b32_e64 v4, v13, v12, s[2:3]
	v_cndmask_b32_e64 v9, v9, v21, s[8:9]
	v_cndmask_b32_e32 v2, v3, v2, vcc
	v_cndmask_b32_e64 v3, v7, v6, s[0:1]
	s_waitcnt lgkmcnt(0)
	v_cndmask_b32_e64 v12, v20, v19, s[8:9]
	v_cndmask_b32_e64 v13, v18, v20, s[8:9]
	;; [unrolled: 1-line block ×3, first 2 shown]
	v_cmp_gt_u32_e64 s[0:1], s17, v9
	v_cmp_le_u32_e64 s[2:3], v13, v12
	v_cmp_ge_u32_e32 vcc, v20, v11
	s_and_b64 s[0:1], s[0:1], s[2:3]
	s_or_b64 vcc, vcc, s[0:1]
	v_cndmask_b32_e32 v6, v20, v9, vcc
	v_cndmask_b32_e32 v5, v11, v5, vcc
	v_add_u32_e32 v21, 1, v6
	v_add_u32_e32 v5, -1, v5
	v_min_u32_e32 v5, v21, v5
	v_lshlrev_b32_e32 v5, 2, v5
	ds_read_b32 v22, v5
	v_cndmask_b32_e32 v8, v12, v13, vcc
	v_cndmask_b32_e32 v9, v9, v21, vcc
	v_cndmask_b32_e64 v5, v15, v14, s[4:5]
	v_cndmask_b32_e32 v14, v21, v20, vcc
	s_waitcnt lgkmcnt(0)
	v_cndmask_b32_e32 v12, v22, v12, vcc
	v_cndmask_b32_e32 v13, v13, v22, vcc
	v_cmp_gt_u32_e64 s[0:1], s17, v9
	v_cmp_le_u32_e64 s[2:3], v13, v12
	v_cmp_ge_u32_e32 vcc, v14, v11
	s_and_b64 s[0:1], s[0:1], s[2:3]
	s_or_b64 vcc, vcc, s[0:1]
	v_cndmask_b32_e64 v6, v17, v16, s[6:7]
	v_cndmask_b32_e64 v7, v19, v18, s[8:9]
	v_cndmask_b32_e32 v9, v12, v13, vcc
.LBB3198_31:
	s_or_b64 exec, exec, s[22:23]
	v_and_b32_e32 v11, 0x7c, v0
	v_lshl_add_u32 v10, v10, 2, v11
	s_barrier
	s_barrier
	ds_write2_b32 v10, v2, v3 offset1:1
	ds_write2_b32 v10, v4, v5 offset0:2 offset1:3
	ds_write2_b32 v10, v6, v7 offset0:4 offset1:5
	;; [unrolled: 1-line block ×3, first 2 shown]
	v_lshrrev_b32_e32 v2, 3, v0
	v_and_b32_e32 v2, 12, v2
	v_or_b32_e32 v10, 0x80, v0
	v_add_u32_e32 v11, v1, v2
	v_lshrrev_b32_e32 v2, 3, v10
	v_and_b32_e32 v2, 28, v2
	v_or_b32_e32 v9, 0x100, v0
	v_add_u32_e32 v12, v1, v2
	;; [unrolled: 4-line block ×6, first 2 shown]
	v_lshrrev_b32_e32 v2, 3, v5
	s_lshl_b64 s[0:1], s[20:21], 2
	v_and_b32_e32 v2, 0x6c, v2
	v_or_b32_e32 v4, 0x380, v0
	s_add_u32 s0, s14, s0
	v_add_u32_e32 v17, v1, v2
	v_lshrrev_b32_e32 v2, 3, v4
	s_addc_u32 s1, s15, s1
	v_and_b32_e32 v2, 0x7c, v2
	v_add_u32_e32 v18, v1, v2
	v_mov_b32_e32 v3, s1
	v_add_co_u32_e32 v2, vcc, s0, v1
	v_addc_co_u32_e32 v3, vcc, 0, v3, vcc
	s_and_b64 vcc, exec, s[18:19]
	s_waitcnt lgkmcnt(0)
	s_cbranch_vccz .LBB3198_33
; %bb.32:
	s_barrier
	ds_read_b32 v19, v11
	ds_read_b32 v20, v12 offset:512
	ds_read_b32 v21, v13 offset:1024
	;; [unrolled: 1-line block ×7, first 2 shown]
	s_waitcnt lgkmcnt(7)
	global_store_dword v[2:3], v19, off
	s_waitcnt lgkmcnt(6)
	global_store_dword v[2:3], v20, off offset:512
	s_waitcnt lgkmcnt(5)
	global_store_dword v[2:3], v21, off offset:1024
	;; [unrolled: 2-line block ×6, first 2 shown]
	s_mov_b64 s[0:1], -1
	s_cbranch_execz .LBB3198_34
	s_branch .LBB3198_43
.LBB3198_33:
	s_mov_b64 s[0:1], 0
                                        ; implicit-def: $vgpr1
.LBB3198_34:
	s_barrier
	s_waitcnt lgkmcnt(0)
	ds_read_b32 v21, v12 offset:512
	ds_read_b32 v20, v13 offset:1024
	;; [unrolled: 1-line block ×7, first 2 shown]
	s_sub_i32 s2, s16, s20
	v_cmp_gt_u32_e32 vcc, s2, v0
	s_and_saveexec_b64 s[0:1], vcc
	s_cbranch_execnz .LBB3198_48
; %bb.35:
	s_or_b64 exec, exec, s[0:1]
	v_cmp_gt_u32_e32 vcc, s2, v10
	s_and_saveexec_b64 s[0:1], vcc
	s_cbranch_execnz .LBB3198_49
.LBB3198_36:
	s_or_b64 exec, exec, s[0:1]
	v_cmp_gt_u32_e32 vcc, s2, v9
	s_and_saveexec_b64 s[0:1], vcc
	s_cbranch_execnz .LBB3198_50
.LBB3198_37:
	s_or_b64 exec, exec, s[0:1]
	v_cmp_gt_u32_e32 vcc, s2, v8
	s_and_saveexec_b64 s[0:1], vcc
	s_cbranch_execnz .LBB3198_51
.LBB3198_38:
	s_or_b64 exec, exec, s[0:1]
	v_cmp_gt_u32_e32 vcc, s2, v7
	s_and_saveexec_b64 s[0:1], vcc
	s_cbranch_execnz .LBB3198_52
.LBB3198_39:
	s_or_b64 exec, exec, s[0:1]
	v_cmp_gt_u32_e32 vcc, s2, v6
	s_and_saveexec_b64 s[0:1], vcc
	s_cbranch_execnz .LBB3198_53
.LBB3198_40:
	s_or_b64 exec, exec, s[0:1]
	v_cmp_gt_u32_e32 vcc, s2, v5
	s_and_saveexec_b64 s[0:1], vcc
	s_cbranch_execz .LBB3198_42
.LBB3198_41:
	s_waitcnt lgkmcnt(1)
	global_store_dword v[2:3], v12, off offset:3072
.LBB3198_42:
	s_or_b64 exec, exec, s[0:1]
	v_cmp_gt_u32_e64 s[0:1], s2, v4
.LBB3198_43:
	s_and_saveexec_b64 s[2:3], s[0:1]
	s_cbranch_execz .LBB3198_45
; %bb.44:
	s_waitcnt lgkmcnt(0)
	global_store_dword v[2:3], v1, off offset:3584
.LBB3198_45:
	s_endpgm
.LBB3198_46:
	s_waitcnt vmcnt(6)
	v_mov_b32_e32 v2, s7
	s_waitcnt vmcnt(4)
	v_add_co_u32_e32 v4, vcc, s5, v1
	v_mov_b32_e32 v3, 0
	s_waitcnt vmcnt(3)
	v_addc_co_u32_e32 v5, vcc, 0, v2, vcc
	v_subrev_u32_e32 v2, s17, v0
	v_lshlrev_b64 v[2:3], 2, v[2:3]
	s_waitcnt vmcnt(2)
	v_mov_b32_e32 v6, s13
	v_add_co_u32_e32 v2, vcc, s12, v2
	v_addc_co_u32_e32 v3, vcc, v6, v3, vcc
	v_cmp_gt_u32_e32 vcc, s17, v0
	v_cndmask_b32_e32 v3, v3, v5, vcc
	v_cndmask_b32_e32 v2, v2, v4, vcc
	global_load_dword v2, v[2:3], off
	s_or_b64 exec, exec, s[0:1]
	v_cmp_gt_u32_e32 vcc, s6, v12
	s_and_saveexec_b64 s[2:3], vcc
	s_cbranch_execz .LBB3198_8
.LBB3198_47:
	v_mov_b32_e32 v13, 0
	v_lshlrev_b64 v[16:17], 2, v[12:13]
	s_waitcnt vmcnt(5)
	v_mov_b32_e32 v3, s7
	v_add_co_u32_e32 v11, vcc, s5, v16
	v_addc_co_u32_e32 v3, vcc, v3, v17, vcc
	v_cmp_gt_u32_e32 vcc, s17, v12
	v_subrev_u32_e32 v12, s17, v12
	v_lshlrev_b64 v[12:13], 2, v[12:13]
	v_mov_b32_e32 v14, s13
	v_add_co_u32_e64 v12, s[0:1], s12, v12
	v_addc_co_u32_e64 v13, s[0:1], v14, v13, s[0:1]
	v_cndmask_b32_e32 v13, v13, v3, vcc
	v_cndmask_b32_e32 v12, v12, v11, vcc
	global_load_dword v3, v[12:13], off
	s_or_b64 exec, exec, s[2:3]
	v_cmp_gt_u32_e32 vcc, s6, v10
	s_and_saveexec_b64 s[0:1], vcc
	s_cbranch_execnz .LBB3198_9
	s_branch .LBB3198_10
.LBB3198_48:
	ds_read_b32 v0, v11
	s_waitcnt lgkmcnt(0)
	global_store_dword v[2:3], v0, off
	s_or_b64 exec, exec, s[0:1]
	v_cmp_gt_u32_e32 vcc, s2, v10
	s_and_saveexec_b64 s[0:1], vcc
	s_cbranch_execz .LBB3198_36
.LBB3198_49:
	s_waitcnt lgkmcnt(6)
	global_store_dword v[2:3], v21, off offset:512
	s_or_b64 exec, exec, s[0:1]
	v_cmp_gt_u32_e32 vcc, s2, v9
	s_and_saveexec_b64 s[0:1], vcc
	s_cbranch_execz .LBB3198_37
.LBB3198_50:
	s_waitcnt lgkmcnt(5)
	global_store_dword v[2:3], v20, off offset:1024
	s_or_b64 exec, exec, s[0:1]
	v_cmp_gt_u32_e32 vcc, s2, v8
	s_and_saveexec_b64 s[0:1], vcc
	s_cbranch_execz .LBB3198_38
.LBB3198_51:
	s_waitcnt lgkmcnt(4)
	global_store_dword v[2:3], v19, off offset:1536
	s_or_b64 exec, exec, s[0:1]
	v_cmp_gt_u32_e32 vcc, s2, v7
	s_and_saveexec_b64 s[0:1], vcc
	s_cbranch_execz .LBB3198_39
.LBB3198_52:
	s_waitcnt lgkmcnt(3)
	global_store_dword v[2:3], v14, off offset:2048
	s_or_b64 exec, exec, s[0:1]
	v_cmp_gt_u32_e32 vcc, s2, v6
	s_and_saveexec_b64 s[0:1], vcc
	s_cbranch_execz .LBB3198_40
.LBB3198_53:
	s_waitcnt lgkmcnt(2)
	global_store_dword v[2:3], v13, off offset:2560
	s_or_b64 exec, exec, s[0:1]
	v_cmp_gt_u32_e32 vcc, s2, v5
	s_and_saveexec_b64 s[0:1], vcc
	s_cbranch_execnz .LBB3198_41
	s_branch .LBB3198_42
	.section	.rodata,"a",@progbits
	.p2align	6, 0x0
	.amdhsa_kernel _ZN7rocprim17ROCPRIM_400000_NS6detail17trampoline_kernelINS0_14default_configENS1_38merge_sort_block_merge_config_selectorIjNS0_10empty_typeEEEZZNS1_27merge_sort_block_merge_implIS3_N6thrust23THRUST_200600_302600_NS6detail15normal_iteratorINS9_10device_ptrIjEEEEPS5_m14custom_greaterIjEEE10hipError_tT0_T1_T2_jT3_P12ihipStream_tbPNSt15iterator_traitsISJ_E10value_typeEPNSP_ISK_E10value_typeEPSL_NS1_7vsmem_tEENKUlT_SJ_SK_SL_E_clISE_PjSF_SF_EESI_SY_SJ_SK_SL_EUlSY_E0_NS1_11comp_targetILNS1_3genE4ELNS1_11target_archE910ELNS1_3gpuE8ELNS1_3repE0EEENS1_38merge_mergepath_config_static_selectorELNS0_4arch9wavefront6targetE1EEEvSK_
		.amdhsa_group_segment_fixed_size 4224
		.amdhsa_private_segment_fixed_size 0
		.amdhsa_kernarg_size 328
		.amdhsa_user_sgpr_count 6
		.amdhsa_user_sgpr_private_segment_buffer 1
		.amdhsa_user_sgpr_dispatch_ptr 0
		.amdhsa_user_sgpr_queue_ptr 0
		.amdhsa_user_sgpr_kernarg_segment_ptr 1
		.amdhsa_user_sgpr_dispatch_id 0
		.amdhsa_user_sgpr_flat_scratch_init 0
		.amdhsa_user_sgpr_kernarg_preload_length 0
		.amdhsa_user_sgpr_kernarg_preload_offset 0
		.amdhsa_user_sgpr_private_segment_size 0
		.amdhsa_uses_dynamic_stack 0
		.amdhsa_system_sgpr_private_segment_wavefront_offset 0
		.amdhsa_system_sgpr_workgroup_id_x 1
		.amdhsa_system_sgpr_workgroup_id_y 1
		.amdhsa_system_sgpr_workgroup_id_z 1
		.amdhsa_system_sgpr_workgroup_info 0
		.amdhsa_system_vgpr_workitem_id 0
		.amdhsa_next_free_vgpr 26
		.amdhsa_next_free_sgpr 31
		.amdhsa_accum_offset 28
		.amdhsa_reserve_vcc 1
		.amdhsa_reserve_flat_scratch 0
		.amdhsa_float_round_mode_32 0
		.amdhsa_float_round_mode_16_64 0
		.amdhsa_float_denorm_mode_32 3
		.amdhsa_float_denorm_mode_16_64 3
		.amdhsa_dx10_clamp 1
		.amdhsa_ieee_mode 1
		.amdhsa_fp16_overflow 0
		.amdhsa_tg_split 0
		.amdhsa_exception_fp_ieee_invalid_op 0
		.amdhsa_exception_fp_denorm_src 0
		.amdhsa_exception_fp_ieee_div_zero 0
		.amdhsa_exception_fp_ieee_overflow 0
		.amdhsa_exception_fp_ieee_underflow 0
		.amdhsa_exception_fp_ieee_inexact 0
		.amdhsa_exception_int_div_zero 0
	.end_amdhsa_kernel
	.section	.text._ZN7rocprim17ROCPRIM_400000_NS6detail17trampoline_kernelINS0_14default_configENS1_38merge_sort_block_merge_config_selectorIjNS0_10empty_typeEEEZZNS1_27merge_sort_block_merge_implIS3_N6thrust23THRUST_200600_302600_NS6detail15normal_iteratorINS9_10device_ptrIjEEEEPS5_m14custom_greaterIjEEE10hipError_tT0_T1_T2_jT3_P12ihipStream_tbPNSt15iterator_traitsISJ_E10value_typeEPNSP_ISK_E10value_typeEPSL_NS1_7vsmem_tEENKUlT_SJ_SK_SL_E_clISE_PjSF_SF_EESI_SY_SJ_SK_SL_EUlSY_E0_NS1_11comp_targetILNS1_3genE4ELNS1_11target_archE910ELNS1_3gpuE8ELNS1_3repE0EEENS1_38merge_mergepath_config_static_selectorELNS0_4arch9wavefront6targetE1EEEvSK_,"axG",@progbits,_ZN7rocprim17ROCPRIM_400000_NS6detail17trampoline_kernelINS0_14default_configENS1_38merge_sort_block_merge_config_selectorIjNS0_10empty_typeEEEZZNS1_27merge_sort_block_merge_implIS3_N6thrust23THRUST_200600_302600_NS6detail15normal_iteratorINS9_10device_ptrIjEEEEPS5_m14custom_greaterIjEEE10hipError_tT0_T1_T2_jT3_P12ihipStream_tbPNSt15iterator_traitsISJ_E10value_typeEPNSP_ISK_E10value_typeEPSL_NS1_7vsmem_tEENKUlT_SJ_SK_SL_E_clISE_PjSF_SF_EESI_SY_SJ_SK_SL_EUlSY_E0_NS1_11comp_targetILNS1_3genE4ELNS1_11target_archE910ELNS1_3gpuE8ELNS1_3repE0EEENS1_38merge_mergepath_config_static_selectorELNS0_4arch9wavefront6targetE1EEEvSK_,comdat
.Lfunc_end3198:
	.size	_ZN7rocprim17ROCPRIM_400000_NS6detail17trampoline_kernelINS0_14default_configENS1_38merge_sort_block_merge_config_selectorIjNS0_10empty_typeEEEZZNS1_27merge_sort_block_merge_implIS3_N6thrust23THRUST_200600_302600_NS6detail15normal_iteratorINS9_10device_ptrIjEEEEPS5_m14custom_greaterIjEEE10hipError_tT0_T1_T2_jT3_P12ihipStream_tbPNSt15iterator_traitsISJ_E10value_typeEPNSP_ISK_E10value_typeEPSL_NS1_7vsmem_tEENKUlT_SJ_SK_SL_E_clISE_PjSF_SF_EESI_SY_SJ_SK_SL_EUlSY_E0_NS1_11comp_targetILNS1_3genE4ELNS1_11target_archE910ELNS1_3gpuE8ELNS1_3repE0EEENS1_38merge_mergepath_config_static_selectorELNS0_4arch9wavefront6targetE1EEEvSK_, .Lfunc_end3198-_ZN7rocprim17ROCPRIM_400000_NS6detail17trampoline_kernelINS0_14default_configENS1_38merge_sort_block_merge_config_selectorIjNS0_10empty_typeEEEZZNS1_27merge_sort_block_merge_implIS3_N6thrust23THRUST_200600_302600_NS6detail15normal_iteratorINS9_10device_ptrIjEEEEPS5_m14custom_greaterIjEEE10hipError_tT0_T1_T2_jT3_P12ihipStream_tbPNSt15iterator_traitsISJ_E10value_typeEPNSP_ISK_E10value_typeEPSL_NS1_7vsmem_tEENKUlT_SJ_SK_SL_E_clISE_PjSF_SF_EESI_SY_SJ_SK_SL_EUlSY_E0_NS1_11comp_targetILNS1_3genE4ELNS1_11target_archE910ELNS1_3gpuE8ELNS1_3repE0EEENS1_38merge_mergepath_config_static_selectorELNS0_4arch9wavefront6targetE1EEEvSK_
                                        ; -- End function
	.section	.AMDGPU.csdata,"",@progbits
; Kernel info:
; codeLenInByte = 3648
; NumSgprs: 35
; NumVgprs: 26
; NumAgprs: 0
; TotalNumVgprs: 26
; ScratchSize: 0
; MemoryBound: 0
; FloatMode: 240
; IeeeMode: 1
; LDSByteSize: 4224 bytes/workgroup (compile time only)
; SGPRBlocks: 4
; VGPRBlocks: 3
; NumSGPRsForWavesPerEU: 35
; NumVGPRsForWavesPerEU: 26
; AccumOffset: 28
; Occupancy: 8
; WaveLimiterHint : 1
; COMPUTE_PGM_RSRC2:SCRATCH_EN: 0
; COMPUTE_PGM_RSRC2:USER_SGPR: 6
; COMPUTE_PGM_RSRC2:TRAP_HANDLER: 0
; COMPUTE_PGM_RSRC2:TGID_X_EN: 1
; COMPUTE_PGM_RSRC2:TGID_Y_EN: 1
; COMPUTE_PGM_RSRC2:TGID_Z_EN: 1
; COMPUTE_PGM_RSRC2:TIDIG_COMP_CNT: 0
; COMPUTE_PGM_RSRC3_GFX90A:ACCUM_OFFSET: 6
; COMPUTE_PGM_RSRC3_GFX90A:TG_SPLIT: 0
	.section	.text._ZN7rocprim17ROCPRIM_400000_NS6detail17trampoline_kernelINS0_14default_configENS1_38merge_sort_block_merge_config_selectorIjNS0_10empty_typeEEEZZNS1_27merge_sort_block_merge_implIS3_N6thrust23THRUST_200600_302600_NS6detail15normal_iteratorINS9_10device_ptrIjEEEEPS5_m14custom_greaterIjEEE10hipError_tT0_T1_T2_jT3_P12ihipStream_tbPNSt15iterator_traitsISJ_E10value_typeEPNSP_ISK_E10value_typeEPSL_NS1_7vsmem_tEENKUlT_SJ_SK_SL_E_clISE_PjSF_SF_EESI_SY_SJ_SK_SL_EUlSY_E0_NS1_11comp_targetILNS1_3genE3ELNS1_11target_archE908ELNS1_3gpuE7ELNS1_3repE0EEENS1_38merge_mergepath_config_static_selectorELNS0_4arch9wavefront6targetE1EEEvSK_,"axG",@progbits,_ZN7rocprim17ROCPRIM_400000_NS6detail17trampoline_kernelINS0_14default_configENS1_38merge_sort_block_merge_config_selectorIjNS0_10empty_typeEEEZZNS1_27merge_sort_block_merge_implIS3_N6thrust23THRUST_200600_302600_NS6detail15normal_iteratorINS9_10device_ptrIjEEEEPS5_m14custom_greaterIjEEE10hipError_tT0_T1_T2_jT3_P12ihipStream_tbPNSt15iterator_traitsISJ_E10value_typeEPNSP_ISK_E10value_typeEPSL_NS1_7vsmem_tEENKUlT_SJ_SK_SL_E_clISE_PjSF_SF_EESI_SY_SJ_SK_SL_EUlSY_E0_NS1_11comp_targetILNS1_3genE3ELNS1_11target_archE908ELNS1_3gpuE7ELNS1_3repE0EEENS1_38merge_mergepath_config_static_selectorELNS0_4arch9wavefront6targetE1EEEvSK_,comdat
	.protected	_ZN7rocprim17ROCPRIM_400000_NS6detail17trampoline_kernelINS0_14default_configENS1_38merge_sort_block_merge_config_selectorIjNS0_10empty_typeEEEZZNS1_27merge_sort_block_merge_implIS3_N6thrust23THRUST_200600_302600_NS6detail15normal_iteratorINS9_10device_ptrIjEEEEPS5_m14custom_greaterIjEEE10hipError_tT0_T1_T2_jT3_P12ihipStream_tbPNSt15iterator_traitsISJ_E10value_typeEPNSP_ISK_E10value_typeEPSL_NS1_7vsmem_tEENKUlT_SJ_SK_SL_E_clISE_PjSF_SF_EESI_SY_SJ_SK_SL_EUlSY_E0_NS1_11comp_targetILNS1_3genE3ELNS1_11target_archE908ELNS1_3gpuE7ELNS1_3repE0EEENS1_38merge_mergepath_config_static_selectorELNS0_4arch9wavefront6targetE1EEEvSK_ ; -- Begin function _ZN7rocprim17ROCPRIM_400000_NS6detail17trampoline_kernelINS0_14default_configENS1_38merge_sort_block_merge_config_selectorIjNS0_10empty_typeEEEZZNS1_27merge_sort_block_merge_implIS3_N6thrust23THRUST_200600_302600_NS6detail15normal_iteratorINS9_10device_ptrIjEEEEPS5_m14custom_greaterIjEEE10hipError_tT0_T1_T2_jT3_P12ihipStream_tbPNSt15iterator_traitsISJ_E10value_typeEPNSP_ISK_E10value_typeEPSL_NS1_7vsmem_tEENKUlT_SJ_SK_SL_E_clISE_PjSF_SF_EESI_SY_SJ_SK_SL_EUlSY_E0_NS1_11comp_targetILNS1_3genE3ELNS1_11target_archE908ELNS1_3gpuE7ELNS1_3repE0EEENS1_38merge_mergepath_config_static_selectorELNS0_4arch9wavefront6targetE1EEEvSK_
	.globl	_ZN7rocprim17ROCPRIM_400000_NS6detail17trampoline_kernelINS0_14default_configENS1_38merge_sort_block_merge_config_selectorIjNS0_10empty_typeEEEZZNS1_27merge_sort_block_merge_implIS3_N6thrust23THRUST_200600_302600_NS6detail15normal_iteratorINS9_10device_ptrIjEEEEPS5_m14custom_greaterIjEEE10hipError_tT0_T1_T2_jT3_P12ihipStream_tbPNSt15iterator_traitsISJ_E10value_typeEPNSP_ISK_E10value_typeEPSL_NS1_7vsmem_tEENKUlT_SJ_SK_SL_E_clISE_PjSF_SF_EESI_SY_SJ_SK_SL_EUlSY_E0_NS1_11comp_targetILNS1_3genE3ELNS1_11target_archE908ELNS1_3gpuE7ELNS1_3repE0EEENS1_38merge_mergepath_config_static_selectorELNS0_4arch9wavefront6targetE1EEEvSK_
	.p2align	8
	.type	_ZN7rocprim17ROCPRIM_400000_NS6detail17trampoline_kernelINS0_14default_configENS1_38merge_sort_block_merge_config_selectorIjNS0_10empty_typeEEEZZNS1_27merge_sort_block_merge_implIS3_N6thrust23THRUST_200600_302600_NS6detail15normal_iteratorINS9_10device_ptrIjEEEEPS5_m14custom_greaterIjEEE10hipError_tT0_T1_T2_jT3_P12ihipStream_tbPNSt15iterator_traitsISJ_E10value_typeEPNSP_ISK_E10value_typeEPSL_NS1_7vsmem_tEENKUlT_SJ_SK_SL_E_clISE_PjSF_SF_EESI_SY_SJ_SK_SL_EUlSY_E0_NS1_11comp_targetILNS1_3genE3ELNS1_11target_archE908ELNS1_3gpuE7ELNS1_3repE0EEENS1_38merge_mergepath_config_static_selectorELNS0_4arch9wavefront6targetE1EEEvSK_,@function
_ZN7rocprim17ROCPRIM_400000_NS6detail17trampoline_kernelINS0_14default_configENS1_38merge_sort_block_merge_config_selectorIjNS0_10empty_typeEEEZZNS1_27merge_sort_block_merge_implIS3_N6thrust23THRUST_200600_302600_NS6detail15normal_iteratorINS9_10device_ptrIjEEEEPS5_m14custom_greaterIjEEE10hipError_tT0_T1_T2_jT3_P12ihipStream_tbPNSt15iterator_traitsISJ_E10value_typeEPNSP_ISK_E10value_typeEPSL_NS1_7vsmem_tEENKUlT_SJ_SK_SL_E_clISE_PjSF_SF_EESI_SY_SJ_SK_SL_EUlSY_E0_NS1_11comp_targetILNS1_3genE3ELNS1_11target_archE908ELNS1_3gpuE7ELNS1_3repE0EEENS1_38merge_mergepath_config_static_selectorELNS0_4arch9wavefront6targetE1EEEvSK_: ; @_ZN7rocprim17ROCPRIM_400000_NS6detail17trampoline_kernelINS0_14default_configENS1_38merge_sort_block_merge_config_selectorIjNS0_10empty_typeEEEZZNS1_27merge_sort_block_merge_implIS3_N6thrust23THRUST_200600_302600_NS6detail15normal_iteratorINS9_10device_ptrIjEEEEPS5_m14custom_greaterIjEEE10hipError_tT0_T1_T2_jT3_P12ihipStream_tbPNSt15iterator_traitsISJ_E10value_typeEPNSP_ISK_E10value_typeEPSL_NS1_7vsmem_tEENKUlT_SJ_SK_SL_E_clISE_PjSF_SF_EESI_SY_SJ_SK_SL_EUlSY_E0_NS1_11comp_targetILNS1_3genE3ELNS1_11target_archE908ELNS1_3gpuE7ELNS1_3repE0EEENS1_38merge_mergepath_config_static_selectorELNS0_4arch9wavefront6targetE1EEEvSK_
; %bb.0:
	.section	.rodata,"a",@progbits
	.p2align	6, 0x0
	.amdhsa_kernel _ZN7rocprim17ROCPRIM_400000_NS6detail17trampoline_kernelINS0_14default_configENS1_38merge_sort_block_merge_config_selectorIjNS0_10empty_typeEEEZZNS1_27merge_sort_block_merge_implIS3_N6thrust23THRUST_200600_302600_NS6detail15normal_iteratorINS9_10device_ptrIjEEEEPS5_m14custom_greaterIjEEE10hipError_tT0_T1_T2_jT3_P12ihipStream_tbPNSt15iterator_traitsISJ_E10value_typeEPNSP_ISK_E10value_typeEPSL_NS1_7vsmem_tEENKUlT_SJ_SK_SL_E_clISE_PjSF_SF_EESI_SY_SJ_SK_SL_EUlSY_E0_NS1_11comp_targetILNS1_3genE3ELNS1_11target_archE908ELNS1_3gpuE7ELNS1_3repE0EEENS1_38merge_mergepath_config_static_selectorELNS0_4arch9wavefront6targetE1EEEvSK_
		.amdhsa_group_segment_fixed_size 0
		.amdhsa_private_segment_fixed_size 0
		.amdhsa_kernarg_size 72
		.amdhsa_user_sgpr_count 6
		.amdhsa_user_sgpr_private_segment_buffer 1
		.amdhsa_user_sgpr_dispatch_ptr 0
		.amdhsa_user_sgpr_queue_ptr 0
		.amdhsa_user_sgpr_kernarg_segment_ptr 1
		.amdhsa_user_sgpr_dispatch_id 0
		.amdhsa_user_sgpr_flat_scratch_init 0
		.amdhsa_user_sgpr_kernarg_preload_length 0
		.amdhsa_user_sgpr_kernarg_preload_offset 0
		.amdhsa_user_sgpr_private_segment_size 0
		.amdhsa_uses_dynamic_stack 0
		.amdhsa_system_sgpr_private_segment_wavefront_offset 0
		.amdhsa_system_sgpr_workgroup_id_x 1
		.amdhsa_system_sgpr_workgroup_id_y 0
		.amdhsa_system_sgpr_workgroup_id_z 0
		.amdhsa_system_sgpr_workgroup_info 0
		.amdhsa_system_vgpr_workitem_id 0
		.amdhsa_next_free_vgpr 1
		.amdhsa_next_free_sgpr 0
		.amdhsa_accum_offset 4
		.amdhsa_reserve_vcc 0
		.amdhsa_reserve_flat_scratch 0
		.amdhsa_float_round_mode_32 0
		.amdhsa_float_round_mode_16_64 0
		.amdhsa_float_denorm_mode_32 3
		.amdhsa_float_denorm_mode_16_64 3
		.amdhsa_dx10_clamp 1
		.amdhsa_ieee_mode 1
		.amdhsa_fp16_overflow 0
		.amdhsa_tg_split 0
		.amdhsa_exception_fp_ieee_invalid_op 0
		.amdhsa_exception_fp_denorm_src 0
		.amdhsa_exception_fp_ieee_div_zero 0
		.amdhsa_exception_fp_ieee_overflow 0
		.amdhsa_exception_fp_ieee_underflow 0
		.amdhsa_exception_fp_ieee_inexact 0
		.amdhsa_exception_int_div_zero 0
	.end_amdhsa_kernel
	.section	.text._ZN7rocprim17ROCPRIM_400000_NS6detail17trampoline_kernelINS0_14default_configENS1_38merge_sort_block_merge_config_selectorIjNS0_10empty_typeEEEZZNS1_27merge_sort_block_merge_implIS3_N6thrust23THRUST_200600_302600_NS6detail15normal_iteratorINS9_10device_ptrIjEEEEPS5_m14custom_greaterIjEEE10hipError_tT0_T1_T2_jT3_P12ihipStream_tbPNSt15iterator_traitsISJ_E10value_typeEPNSP_ISK_E10value_typeEPSL_NS1_7vsmem_tEENKUlT_SJ_SK_SL_E_clISE_PjSF_SF_EESI_SY_SJ_SK_SL_EUlSY_E0_NS1_11comp_targetILNS1_3genE3ELNS1_11target_archE908ELNS1_3gpuE7ELNS1_3repE0EEENS1_38merge_mergepath_config_static_selectorELNS0_4arch9wavefront6targetE1EEEvSK_,"axG",@progbits,_ZN7rocprim17ROCPRIM_400000_NS6detail17trampoline_kernelINS0_14default_configENS1_38merge_sort_block_merge_config_selectorIjNS0_10empty_typeEEEZZNS1_27merge_sort_block_merge_implIS3_N6thrust23THRUST_200600_302600_NS6detail15normal_iteratorINS9_10device_ptrIjEEEEPS5_m14custom_greaterIjEEE10hipError_tT0_T1_T2_jT3_P12ihipStream_tbPNSt15iterator_traitsISJ_E10value_typeEPNSP_ISK_E10value_typeEPSL_NS1_7vsmem_tEENKUlT_SJ_SK_SL_E_clISE_PjSF_SF_EESI_SY_SJ_SK_SL_EUlSY_E0_NS1_11comp_targetILNS1_3genE3ELNS1_11target_archE908ELNS1_3gpuE7ELNS1_3repE0EEENS1_38merge_mergepath_config_static_selectorELNS0_4arch9wavefront6targetE1EEEvSK_,comdat
.Lfunc_end3199:
	.size	_ZN7rocprim17ROCPRIM_400000_NS6detail17trampoline_kernelINS0_14default_configENS1_38merge_sort_block_merge_config_selectorIjNS0_10empty_typeEEEZZNS1_27merge_sort_block_merge_implIS3_N6thrust23THRUST_200600_302600_NS6detail15normal_iteratorINS9_10device_ptrIjEEEEPS5_m14custom_greaterIjEEE10hipError_tT0_T1_T2_jT3_P12ihipStream_tbPNSt15iterator_traitsISJ_E10value_typeEPNSP_ISK_E10value_typeEPSL_NS1_7vsmem_tEENKUlT_SJ_SK_SL_E_clISE_PjSF_SF_EESI_SY_SJ_SK_SL_EUlSY_E0_NS1_11comp_targetILNS1_3genE3ELNS1_11target_archE908ELNS1_3gpuE7ELNS1_3repE0EEENS1_38merge_mergepath_config_static_selectorELNS0_4arch9wavefront6targetE1EEEvSK_, .Lfunc_end3199-_ZN7rocprim17ROCPRIM_400000_NS6detail17trampoline_kernelINS0_14default_configENS1_38merge_sort_block_merge_config_selectorIjNS0_10empty_typeEEEZZNS1_27merge_sort_block_merge_implIS3_N6thrust23THRUST_200600_302600_NS6detail15normal_iteratorINS9_10device_ptrIjEEEEPS5_m14custom_greaterIjEEE10hipError_tT0_T1_T2_jT3_P12ihipStream_tbPNSt15iterator_traitsISJ_E10value_typeEPNSP_ISK_E10value_typeEPSL_NS1_7vsmem_tEENKUlT_SJ_SK_SL_E_clISE_PjSF_SF_EESI_SY_SJ_SK_SL_EUlSY_E0_NS1_11comp_targetILNS1_3genE3ELNS1_11target_archE908ELNS1_3gpuE7ELNS1_3repE0EEENS1_38merge_mergepath_config_static_selectorELNS0_4arch9wavefront6targetE1EEEvSK_
                                        ; -- End function
	.section	.AMDGPU.csdata,"",@progbits
; Kernel info:
; codeLenInByte = 0
; NumSgprs: 4
; NumVgprs: 0
; NumAgprs: 0
; TotalNumVgprs: 0
; ScratchSize: 0
; MemoryBound: 0
; FloatMode: 240
; IeeeMode: 1
; LDSByteSize: 0 bytes/workgroup (compile time only)
; SGPRBlocks: 0
; VGPRBlocks: 0
; NumSGPRsForWavesPerEU: 4
; NumVGPRsForWavesPerEU: 1
; AccumOffset: 4
; Occupancy: 8
; WaveLimiterHint : 0
; COMPUTE_PGM_RSRC2:SCRATCH_EN: 0
; COMPUTE_PGM_RSRC2:USER_SGPR: 6
; COMPUTE_PGM_RSRC2:TRAP_HANDLER: 0
; COMPUTE_PGM_RSRC2:TGID_X_EN: 1
; COMPUTE_PGM_RSRC2:TGID_Y_EN: 0
; COMPUTE_PGM_RSRC2:TGID_Z_EN: 0
; COMPUTE_PGM_RSRC2:TIDIG_COMP_CNT: 0
; COMPUTE_PGM_RSRC3_GFX90A:ACCUM_OFFSET: 0
; COMPUTE_PGM_RSRC3_GFX90A:TG_SPLIT: 0
	.section	.text._ZN7rocprim17ROCPRIM_400000_NS6detail17trampoline_kernelINS0_14default_configENS1_38merge_sort_block_merge_config_selectorIjNS0_10empty_typeEEEZZNS1_27merge_sort_block_merge_implIS3_N6thrust23THRUST_200600_302600_NS6detail15normal_iteratorINS9_10device_ptrIjEEEEPS5_m14custom_greaterIjEEE10hipError_tT0_T1_T2_jT3_P12ihipStream_tbPNSt15iterator_traitsISJ_E10value_typeEPNSP_ISK_E10value_typeEPSL_NS1_7vsmem_tEENKUlT_SJ_SK_SL_E_clISE_PjSF_SF_EESI_SY_SJ_SK_SL_EUlSY_E0_NS1_11comp_targetILNS1_3genE2ELNS1_11target_archE906ELNS1_3gpuE6ELNS1_3repE0EEENS1_38merge_mergepath_config_static_selectorELNS0_4arch9wavefront6targetE1EEEvSK_,"axG",@progbits,_ZN7rocprim17ROCPRIM_400000_NS6detail17trampoline_kernelINS0_14default_configENS1_38merge_sort_block_merge_config_selectorIjNS0_10empty_typeEEEZZNS1_27merge_sort_block_merge_implIS3_N6thrust23THRUST_200600_302600_NS6detail15normal_iteratorINS9_10device_ptrIjEEEEPS5_m14custom_greaterIjEEE10hipError_tT0_T1_T2_jT3_P12ihipStream_tbPNSt15iterator_traitsISJ_E10value_typeEPNSP_ISK_E10value_typeEPSL_NS1_7vsmem_tEENKUlT_SJ_SK_SL_E_clISE_PjSF_SF_EESI_SY_SJ_SK_SL_EUlSY_E0_NS1_11comp_targetILNS1_3genE2ELNS1_11target_archE906ELNS1_3gpuE6ELNS1_3repE0EEENS1_38merge_mergepath_config_static_selectorELNS0_4arch9wavefront6targetE1EEEvSK_,comdat
	.protected	_ZN7rocprim17ROCPRIM_400000_NS6detail17trampoline_kernelINS0_14default_configENS1_38merge_sort_block_merge_config_selectorIjNS0_10empty_typeEEEZZNS1_27merge_sort_block_merge_implIS3_N6thrust23THRUST_200600_302600_NS6detail15normal_iteratorINS9_10device_ptrIjEEEEPS5_m14custom_greaterIjEEE10hipError_tT0_T1_T2_jT3_P12ihipStream_tbPNSt15iterator_traitsISJ_E10value_typeEPNSP_ISK_E10value_typeEPSL_NS1_7vsmem_tEENKUlT_SJ_SK_SL_E_clISE_PjSF_SF_EESI_SY_SJ_SK_SL_EUlSY_E0_NS1_11comp_targetILNS1_3genE2ELNS1_11target_archE906ELNS1_3gpuE6ELNS1_3repE0EEENS1_38merge_mergepath_config_static_selectorELNS0_4arch9wavefront6targetE1EEEvSK_ ; -- Begin function _ZN7rocprim17ROCPRIM_400000_NS6detail17trampoline_kernelINS0_14default_configENS1_38merge_sort_block_merge_config_selectorIjNS0_10empty_typeEEEZZNS1_27merge_sort_block_merge_implIS3_N6thrust23THRUST_200600_302600_NS6detail15normal_iteratorINS9_10device_ptrIjEEEEPS5_m14custom_greaterIjEEE10hipError_tT0_T1_T2_jT3_P12ihipStream_tbPNSt15iterator_traitsISJ_E10value_typeEPNSP_ISK_E10value_typeEPSL_NS1_7vsmem_tEENKUlT_SJ_SK_SL_E_clISE_PjSF_SF_EESI_SY_SJ_SK_SL_EUlSY_E0_NS1_11comp_targetILNS1_3genE2ELNS1_11target_archE906ELNS1_3gpuE6ELNS1_3repE0EEENS1_38merge_mergepath_config_static_selectorELNS0_4arch9wavefront6targetE1EEEvSK_
	.globl	_ZN7rocprim17ROCPRIM_400000_NS6detail17trampoline_kernelINS0_14default_configENS1_38merge_sort_block_merge_config_selectorIjNS0_10empty_typeEEEZZNS1_27merge_sort_block_merge_implIS3_N6thrust23THRUST_200600_302600_NS6detail15normal_iteratorINS9_10device_ptrIjEEEEPS5_m14custom_greaterIjEEE10hipError_tT0_T1_T2_jT3_P12ihipStream_tbPNSt15iterator_traitsISJ_E10value_typeEPNSP_ISK_E10value_typeEPSL_NS1_7vsmem_tEENKUlT_SJ_SK_SL_E_clISE_PjSF_SF_EESI_SY_SJ_SK_SL_EUlSY_E0_NS1_11comp_targetILNS1_3genE2ELNS1_11target_archE906ELNS1_3gpuE6ELNS1_3repE0EEENS1_38merge_mergepath_config_static_selectorELNS0_4arch9wavefront6targetE1EEEvSK_
	.p2align	8
	.type	_ZN7rocprim17ROCPRIM_400000_NS6detail17trampoline_kernelINS0_14default_configENS1_38merge_sort_block_merge_config_selectorIjNS0_10empty_typeEEEZZNS1_27merge_sort_block_merge_implIS3_N6thrust23THRUST_200600_302600_NS6detail15normal_iteratorINS9_10device_ptrIjEEEEPS5_m14custom_greaterIjEEE10hipError_tT0_T1_T2_jT3_P12ihipStream_tbPNSt15iterator_traitsISJ_E10value_typeEPNSP_ISK_E10value_typeEPSL_NS1_7vsmem_tEENKUlT_SJ_SK_SL_E_clISE_PjSF_SF_EESI_SY_SJ_SK_SL_EUlSY_E0_NS1_11comp_targetILNS1_3genE2ELNS1_11target_archE906ELNS1_3gpuE6ELNS1_3repE0EEENS1_38merge_mergepath_config_static_selectorELNS0_4arch9wavefront6targetE1EEEvSK_,@function
_ZN7rocprim17ROCPRIM_400000_NS6detail17trampoline_kernelINS0_14default_configENS1_38merge_sort_block_merge_config_selectorIjNS0_10empty_typeEEEZZNS1_27merge_sort_block_merge_implIS3_N6thrust23THRUST_200600_302600_NS6detail15normal_iteratorINS9_10device_ptrIjEEEEPS5_m14custom_greaterIjEEE10hipError_tT0_T1_T2_jT3_P12ihipStream_tbPNSt15iterator_traitsISJ_E10value_typeEPNSP_ISK_E10value_typeEPSL_NS1_7vsmem_tEENKUlT_SJ_SK_SL_E_clISE_PjSF_SF_EESI_SY_SJ_SK_SL_EUlSY_E0_NS1_11comp_targetILNS1_3genE2ELNS1_11target_archE906ELNS1_3gpuE6ELNS1_3repE0EEENS1_38merge_mergepath_config_static_selectorELNS0_4arch9wavefront6targetE1EEEvSK_: ; @_ZN7rocprim17ROCPRIM_400000_NS6detail17trampoline_kernelINS0_14default_configENS1_38merge_sort_block_merge_config_selectorIjNS0_10empty_typeEEEZZNS1_27merge_sort_block_merge_implIS3_N6thrust23THRUST_200600_302600_NS6detail15normal_iteratorINS9_10device_ptrIjEEEEPS5_m14custom_greaterIjEEE10hipError_tT0_T1_T2_jT3_P12ihipStream_tbPNSt15iterator_traitsISJ_E10value_typeEPNSP_ISK_E10value_typeEPSL_NS1_7vsmem_tEENKUlT_SJ_SK_SL_E_clISE_PjSF_SF_EESI_SY_SJ_SK_SL_EUlSY_E0_NS1_11comp_targetILNS1_3genE2ELNS1_11target_archE906ELNS1_3gpuE6ELNS1_3repE0EEENS1_38merge_mergepath_config_static_selectorELNS0_4arch9wavefront6targetE1EEEvSK_
; %bb.0:
	.section	.rodata,"a",@progbits
	.p2align	6, 0x0
	.amdhsa_kernel _ZN7rocprim17ROCPRIM_400000_NS6detail17trampoline_kernelINS0_14default_configENS1_38merge_sort_block_merge_config_selectorIjNS0_10empty_typeEEEZZNS1_27merge_sort_block_merge_implIS3_N6thrust23THRUST_200600_302600_NS6detail15normal_iteratorINS9_10device_ptrIjEEEEPS5_m14custom_greaterIjEEE10hipError_tT0_T1_T2_jT3_P12ihipStream_tbPNSt15iterator_traitsISJ_E10value_typeEPNSP_ISK_E10value_typeEPSL_NS1_7vsmem_tEENKUlT_SJ_SK_SL_E_clISE_PjSF_SF_EESI_SY_SJ_SK_SL_EUlSY_E0_NS1_11comp_targetILNS1_3genE2ELNS1_11target_archE906ELNS1_3gpuE6ELNS1_3repE0EEENS1_38merge_mergepath_config_static_selectorELNS0_4arch9wavefront6targetE1EEEvSK_
		.amdhsa_group_segment_fixed_size 0
		.amdhsa_private_segment_fixed_size 0
		.amdhsa_kernarg_size 72
		.amdhsa_user_sgpr_count 6
		.amdhsa_user_sgpr_private_segment_buffer 1
		.amdhsa_user_sgpr_dispatch_ptr 0
		.amdhsa_user_sgpr_queue_ptr 0
		.amdhsa_user_sgpr_kernarg_segment_ptr 1
		.amdhsa_user_sgpr_dispatch_id 0
		.amdhsa_user_sgpr_flat_scratch_init 0
		.amdhsa_user_sgpr_kernarg_preload_length 0
		.amdhsa_user_sgpr_kernarg_preload_offset 0
		.amdhsa_user_sgpr_private_segment_size 0
		.amdhsa_uses_dynamic_stack 0
		.amdhsa_system_sgpr_private_segment_wavefront_offset 0
		.amdhsa_system_sgpr_workgroup_id_x 1
		.amdhsa_system_sgpr_workgroup_id_y 0
		.amdhsa_system_sgpr_workgroup_id_z 0
		.amdhsa_system_sgpr_workgroup_info 0
		.amdhsa_system_vgpr_workitem_id 0
		.amdhsa_next_free_vgpr 1
		.amdhsa_next_free_sgpr 0
		.amdhsa_accum_offset 4
		.amdhsa_reserve_vcc 0
		.amdhsa_reserve_flat_scratch 0
		.amdhsa_float_round_mode_32 0
		.amdhsa_float_round_mode_16_64 0
		.amdhsa_float_denorm_mode_32 3
		.amdhsa_float_denorm_mode_16_64 3
		.amdhsa_dx10_clamp 1
		.amdhsa_ieee_mode 1
		.amdhsa_fp16_overflow 0
		.amdhsa_tg_split 0
		.amdhsa_exception_fp_ieee_invalid_op 0
		.amdhsa_exception_fp_denorm_src 0
		.amdhsa_exception_fp_ieee_div_zero 0
		.amdhsa_exception_fp_ieee_overflow 0
		.amdhsa_exception_fp_ieee_underflow 0
		.amdhsa_exception_fp_ieee_inexact 0
		.amdhsa_exception_int_div_zero 0
	.end_amdhsa_kernel
	.section	.text._ZN7rocprim17ROCPRIM_400000_NS6detail17trampoline_kernelINS0_14default_configENS1_38merge_sort_block_merge_config_selectorIjNS0_10empty_typeEEEZZNS1_27merge_sort_block_merge_implIS3_N6thrust23THRUST_200600_302600_NS6detail15normal_iteratorINS9_10device_ptrIjEEEEPS5_m14custom_greaterIjEEE10hipError_tT0_T1_T2_jT3_P12ihipStream_tbPNSt15iterator_traitsISJ_E10value_typeEPNSP_ISK_E10value_typeEPSL_NS1_7vsmem_tEENKUlT_SJ_SK_SL_E_clISE_PjSF_SF_EESI_SY_SJ_SK_SL_EUlSY_E0_NS1_11comp_targetILNS1_3genE2ELNS1_11target_archE906ELNS1_3gpuE6ELNS1_3repE0EEENS1_38merge_mergepath_config_static_selectorELNS0_4arch9wavefront6targetE1EEEvSK_,"axG",@progbits,_ZN7rocprim17ROCPRIM_400000_NS6detail17trampoline_kernelINS0_14default_configENS1_38merge_sort_block_merge_config_selectorIjNS0_10empty_typeEEEZZNS1_27merge_sort_block_merge_implIS3_N6thrust23THRUST_200600_302600_NS6detail15normal_iteratorINS9_10device_ptrIjEEEEPS5_m14custom_greaterIjEEE10hipError_tT0_T1_T2_jT3_P12ihipStream_tbPNSt15iterator_traitsISJ_E10value_typeEPNSP_ISK_E10value_typeEPSL_NS1_7vsmem_tEENKUlT_SJ_SK_SL_E_clISE_PjSF_SF_EESI_SY_SJ_SK_SL_EUlSY_E0_NS1_11comp_targetILNS1_3genE2ELNS1_11target_archE906ELNS1_3gpuE6ELNS1_3repE0EEENS1_38merge_mergepath_config_static_selectorELNS0_4arch9wavefront6targetE1EEEvSK_,comdat
.Lfunc_end3200:
	.size	_ZN7rocprim17ROCPRIM_400000_NS6detail17trampoline_kernelINS0_14default_configENS1_38merge_sort_block_merge_config_selectorIjNS0_10empty_typeEEEZZNS1_27merge_sort_block_merge_implIS3_N6thrust23THRUST_200600_302600_NS6detail15normal_iteratorINS9_10device_ptrIjEEEEPS5_m14custom_greaterIjEEE10hipError_tT0_T1_T2_jT3_P12ihipStream_tbPNSt15iterator_traitsISJ_E10value_typeEPNSP_ISK_E10value_typeEPSL_NS1_7vsmem_tEENKUlT_SJ_SK_SL_E_clISE_PjSF_SF_EESI_SY_SJ_SK_SL_EUlSY_E0_NS1_11comp_targetILNS1_3genE2ELNS1_11target_archE906ELNS1_3gpuE6ELNS1_3repE0EEENS1_38merge_mergepath_config_static_selectorELNS0_4arch9wavefront6targetE1EEEvSK_, .Lfunc_end3200-_ZN7rocprim17ROCPRIM_400000_NS6detail17trampoline_kernelINS0_14default_configENS1_38merge_sort_block_merge_config_selectorIjNS0_10empty_typeEEEZZNS1_27merge_sort_block_merge_implIS3_N6thrust23THRUST_200600_302600_NS6detail15normal_iteratorINS9_10device_ptrIjEEEEPS5_m14custom_greaterIjEEE10hipError_tT0_T1_T2_jT3_P12ihipStream_tbPNSt15iterator_traitsISJ_E10value_typeEPNSP_ISK_E10value_typeEPSL_NS1_7vsmem_tEENKUlT_SJ_SK_SL_E_clISE_PjSF_SF_EESI_SY_SJ_SK_SL_EUlSY_E0_NS1_11comp_targetILNS1_3genE2ELNS1_11target_archE906ELNS1_3gpuE6ELNS1_3repE0EEENS1_38merge_mergepath_config_static_selectorELNS0_4arch9wavefront6targetE1EEEvSK_
                                        ; -- End function
	.section	.AMDGPU.csdata,"",@progbits
; Kernel info:
; codeLenInByte = 0
; NumSgprs: 4
; NumVgprs: 0
; NumAgprs: 0
; TotalNumVgprs: 0
; ScratchSize: 0
; MemoryBound: 0
; FloatMode: 240
; IeeeMode: 1
; LDSByteSize: 0 bytes/workgroup (compile time only)
; SGPRBlocks: 0
; VGPRBlocks: 0
; NumSGPRsForWavesPerEU: 4
; NumVGPRsForWavesPerEU: 1
; AccumOffset: 4
; Occupancy: 8
; WaveLimiterHint : 0
; COMPUTE_PGM_RSRC2:SCRATCH_EN: 0
; COMPUTE_PGM_RSRC2:USER_SGPR: 6
; COMPUTE_PGM_RSRC2:TRAP_HANDLER: 0
; COMPUTE_PGM_RSRC2:TGID_X_EN: 1
; COMPUTE_PGM_RSRC2:TGID_Y_EN: 0
; COMPUTE_PGM_RSRC2:TGID_Z_EN: 0
; COMPUTE_PGM_RSRC2:TIDIG_COMP_CNT: 0
; COMPUTE_PGM_RSRC3_GFX90A:ACCUM_OFFSET: 0
; COMPUTE_PGM_RSRC3_GFX90A:TG_SPLIT: 0
	.section	.text._ZN7rocprim17ROCPRIM_400000_NS6detail17trampoline_kernelINS0_14default_configENS1_38merge_sort_block_merge_config_selectorIjNS0_10empty_typeEEEZZNS1_27merge_sort_block_merge_implIS3_N6thrust23THRUST_200600_302600_NS6detail15normal_iteratorINS9_10device_ptrIjEEEEPS5_m14custom_greaterIjEEE10hipError_tT0_T1_T2_jT3_P12ihipStream_tbPNSt15iterator_traitsISJ_E10value_typeEPNSP_ISK_E10value_typeEPSL_NS1_7vsmem_tEENKUlT_SJ_SK_SL_E_clISE_PjSF_SF_EESI_SY_SJ_SK_SL_EUlSY_E0_NS1_11comp_targetILNS1_3genE9ELNS1_11target_archE1100ELNS1_3gpuE3ELNS1_3repE0EEENS1_38merge_mergepath_config_static_selectorELNS0_4arch9wavefront6targetE1EEEvSK_,"axG",@progbits,_ZN7rocprim17ROCPRIM_400000_NS6detail17trampoline_kernelINS0_14default_configENS1_38merge_sort_block_merge_config_selectorIjNS0_10empty_typeEEEZZNS1_27merge_sort_block_merge_implIS3_N6thrust23THRUST_200600_302600_NS6detail15normal_iteratorINS9_10device_ptrIjEEEEPS5_m14custom_greaterIjEEE10hipError_tT0_T1_T2_jT3_P12ihipStream_tbPNSt15iterator_traitsISJ_E10value_typeEPNSP_ISK_E10value_typeEPSL_NS1_7vsmem_tEENKUlT_SJ_SK_SL_E_clISE_PjSF_SF_EESI_SY_SJ_SK_SL_EUlSY_E0_NS1_11comp_targetILNS1_3genE9ELNS1_11target_archE1100ELNS1_3gpuE3ELNS1_3repE0EEENS1_38merge_mergepath_config_static_selectorELNS0_4arch9wavefront6targetE1EEEvSK_,comdat
	.protected	_ZN7rocprim17ROCPRIM_400000_NS6detail17trampoline_kernelINS0_14default_configENS1_38merge_sort_block_merge_config_selectorIjNS0_10empty_typeEEEZZNS1_27merge_sort_block_merge_implIS3_N6thrust23THRUST_200600_302600_NS6detail15normal_iteratorINS9_10device_ptrIjEEEEPS5_m14custom_greaterIjEEE10hipError_tT0_T1_T2_jT3_P12ihipStream_tbPNSt15iterator_traitsISJ_E10value_typeEPNSP_ISK_E10value_typeEPSL_NS1_7vsmem_tEENKUlT_SJ_SK_SL_E_clISE_PjSF_SF_EESI_SY_SJ_SK_SL_EUlSY_E0_NS1_11comp_targetILNS1_3genE9ELNS1_11target_archE1100ELNS1_3gpuE3ELNS1_3repE0EEENS1_38merge_mergepath_config_static_selectorELNS0_4arch9wavefront6targetE1EEEvSK_ ; -- Begin function _ZN7rocprim17ROCPRIM_400000_NS6detail17trampoline_kernelINS0_14default_configENS1_38merge_sort_block_merge_config_selectorIjNS0_10empty_typeEEEZZNS1_27merge_sort_block_merge_implIS3_N6thrust23THRUST_200600_302600_NS6detail15normal_iteratorINS9_10device_ptrIjEEEEPS5_m14custom_greaterIjEEE10hipError_tT0_T1_T2_jT3_P12ihipStream_tbPNSt15iterator_traitsISJ_E10value_typeEPNSP_ISK_E10value_typeEPSL_NS1_7vsmem_tEENKUlT_SJ_SK_SL_E_clISE_PjSF_SF_EESI_SY_SJ_SK_SL_EUlSY_E0_NS1_11comp_targetILNS1_3genE9ELNS1_11target_archE1100ELNS1_3gpuE3ELNS1_3repE0EEENS1_38merge_mergepath_config_static_selectorELNS0_4arch9wavefront6targetE1EEEvSK_
	.globl	_ZN7rocprim17ROCPRIM_400000_NS6detail17trampoline_kernelINS0_14default_configENS1_38merge_sort_block_merge_config_selectorIjNS0_10empty_typeEEEZZNS1_27merge_sort_block_merge_implIS3_N6thrust23THRUST_200600_302600_NS6detail15normal_iteratorINS9_10device_ptrIjEEEEPS5_m14custom_greaterIjEEE10hipError_tT0_T1_T2_jT3_P12ihipStream_tbPNSt15iterator_traitsISJ_E10value_typeEPNSP_ISK_E10value_typeEPSL_NS1_7vsmem_tEENKUlT_SJ_SK_SL_E_clISE_PjSF_SF_EESI_SY_SJ_SK_SL_EUlSY_E0_NS1_11comp_targetILNS1_3genE9ELNS1_11target_archE1100ELNS1_3gpuE3ELNS1_3repE0EEENS1_38merge_mergepath_config_static_selectorELNS0_4arch9wavefront6targetE1EEEvSK_
	.p2align	8
	.type	_ZN7rocprim17ROCPRIM_400000_NS6detail17trampoline_kernelINS0_14default_configENS1_38merge_sort_block_merge_config_selectorIjNS0_10empty_typeEEEZZNS1_27merge_sort_block_merge_implIS3_N6thrust23THRUST_200600_302600_NS6detail15normal_iteratorINS9_10device_ptrIjEEEEPS5_m14custom_greaterIjEEE10hipError_tT0_T1_T2_jT3_P12ihipStream_tbPNSt15iterator_traitsISJ_E10value_typeEPNSP_ISK_E10value_typeEPSL_NS1_7vsmem_tEENKUlT_SJ_SK_SL_E_clISE_PjSF_SF_EESI_SY_SJ_SK_SL_EUlSY_E0_NS1_11comp_targetILNS1_3genE9ELNS1_11target_archE1100ELNS1_3gpuE3ELNS1_3repE0EEENS1_38merge_mergepath_config_static_selectorELNS0_4arch9wavefront6targetE1EEEvSK_,@function
_ZN7rocprim17ROCPRIM_400000_NS6detail17trampoline_kernelINS0_14default_configENS1_38merge_sort_block_merge_config_selectorIjNS0_10empty_typeEEEZZNS1_27merge_sort_block_merge_implIS3_N6thrust23THRUST_200600_302600_NS6detail15normal_iteratorINS9_10device_ptrIjEEEEPS5_m14custom_greaterIjEEE10hipError_tT0_T1_T2_jT3_P12ihipStream_tbPNSt15iterator_traitsISJ_E10value_typeEPNSP_ISK_E10value_typeEPSL_NS1_7vsmem_tEENKUlT_SJ_SK_SL_E_clISE_PjSF_SF_EESI_SY_SJ_SK_SL_EUlSY_E0_NS1_11comp_targetILNS1_3genE9ELNS1_11target_archE1100ELNS1_3gpuE3ELNS1_3repE0EEENS1_38merge_mergepath_config_static_selectorELNS0_4arch9wavefront6targetE1EEEvSK_: ; @_ZN7rocprim17ROCPRIM_400000_NS6detail17trampoline_kernelINS0_14default_configENS1_38merge_sort_block_merge_config_selectorIjNS0_10empty_typeEEEZZNS1_27merge_sort_block_merge_implIS3_N6thrust23THRUST_200600_302600_NS6detail15normal_iteratorINS9_10device_ptrIjEEEEPS5_m14custom_greaterIjEEE10hipError_tT0_T1_T2_jT3_P12ihipStream_tbPNSt15iterator_traitsISJ_E10value_typeEPNSP_ISK_E10value_typeEPSL_NS1_7vsmem_tEENKUlT_SJ_SK_SL_E_clISE_PjSF_SF_EESI_SY_SJ_SK_SL_EUlSY_E0_NS1_11comp_targetILNS1_3genE9ELNS1_11target_archE1100ELNS1_3gpuE3ELNS1_3repE0EEENS1_38merge_mergepath_config_static_selectorELNS0_4arch9wavefront6targetE1EEEvSK_
; %bb.0:
	.section	.rodata,"a",@progbits
	.p2align	6, 0x0
	.amdhsa_kernel _ZN7rocprim17ROCPRIM_400000_NS6detail17trampoline_kernelINS0_14default_configENS1_38merge_sort_block_merge_config_selectorIjNS0_10empty_typeEEEZZNS1_27merge_sort_block_merge_implIS3_N6thrust23THRUST_200600_302600_NS6detail15normal_iteratorINS9_10device_ptrIjEEEEPS5_m14custom_greaterIjEEE10hipError_tT0_T1_T2_jT3_P12ihipStream_tbPNSt15iterator_traitsISJ_E10value_typeEPNSP_ISK_E10value_typeEPSL_NS1_7vsmem_tEENKUlT_SJ_SK_SL_E_clISE_PjSF_SF_EESI_SY_SJ_SK_SL_EUlSY_E0_NS1_11comp_targetILNS1_3genE9ELNS1_11target_archE1100ELNS1_3gpuE3ELNS1_3repE0EEENS1_38merge_mergepath_config_static_selectorELNS0_4arch9wavefront6targetE1EEEvSK_
		.amdhsa_group_segment_fixed_size 0
		.amdhsa_private_segment_fixed_size 0
		.amdhsa_kernarg_size 72
		.amdhsa_user_sgpr_count 6
		.amdhsa_user_sgpr_private_segment_buffer 1
		.amdhsa_user_sgpr_dispatch_ptr 0
		.amdhsa_user_sgpr_queue_ptr 0
		.amdhsa_user_sgpr_kernarg_segment_ptr 1
		.amdhsa_user_sgpr_dispatch_id 0
		.amdhsa_user_sgpr_flat_scratch_init 0
		.amdhsa_user_sgpr_kernarg_preload_length 0
		.amdhsa_user_sgpr_kernarg_preload_offset 0
		.amdhsa_user_sgpr_private_segment_size 0
		.amdhsa_uses_dynamic_stack 0
		.amdhsa_system_sgpr_private_segment_wavefront_offset 0
		.amdhsa_system_sgpr_workgroup_id_x 1
		.amdhsa_system_sgpr_workgroup_id_y 0
		.amdhsa_system_sgpr_workgroup_id_z 0
		.amdhsa_system_sgpr_workgroup_info 0
		.amdhsa_system_vgpr_workitem_id 0
		.amdhsa_next_free_vgpr 1
		.amdhsa_next_free_sgpr 0
		.amdhsa_accum_offset 4
		.amdhsa_reserve_vcc 0
		.amdhsa_reserve_flat_scratch 0
		.amdhsa_float_round_mode_32 0
		.amdhsa_float_round_mode_16_64 0
		.amdhsa_float_denorm_mode_32 3
		.amdhsa_float_denorm_mode_16_64 3
		.amdhsa_dx10_clamp 1
		.amdhsa_ieee_mode 1
		.amdhsa_fp16_overflow 0
		.amdhsa_tg_split 0
		.amdhsa_exception_fp_ieee_invalid_op 0
		.amdhsa_exception_fp_denorm_src 0
		.amdhsa_exception_fp_ieee_div_zero 0
		.amdhsa_exception_fp_ieee_overflow 0
		.amdhsa_exception_fp_ieee_underflow 0
		.amdhsa_exception_fp_ieee_inexact 0
		.amdhsa_exception_int_div_zero 0
	.end_amdhsa_kernel
	.section	.text._ZN7rocprim17ROCPRIM_400000_NS6detail17trampoline_kernelINS0_14default_configENS1_38merge_sort_block_merge_config_selectorIjNS0_10empty_typeEEEZZNS1_27merge_sort_block_merge_implIS3_N6thrust23THRUST_200600_302600_NS6detail15normal_iteratorINS9_10device_ptrIjEEEEPS5_m14custom_greaterIjEEE10hipError_tT0_T1_T2_jT3_P12ihipStream_tbPNSt15iterator_traitsISJ_E10value_typeEPNSP_ISK_E10value_typeEPSL_NS1_7vsmem_tEENKUlT_SJ_SK_SL_E_clISE_PjSF_SF_EESI_SY_SJ_SK_SL_EUlSY_E0_NS1_11comp_targetILNS1_3genE9ELNS1_11target_archE1100ELNS1_3gpuE3ELNS1_3repE0EEENS1_38merge_mergepath_config_static_selectorELNS0_4arch9wavefront6targetE1EEEvSK_,"axG",@progbits,_ZN7rocprim17ROCPRIM_400000_NS6detail17trampoline_kernelINS0_14default_configENS1_38merge_sort_block_merge_config_selectorIjNS0_10empty_typeEEEZZNS1_27merge_sort_block_merge_implIS3_N6thrust23THRUST_200600_302600_NS6detail15normal_iteratorINS9_10device_ptrIjEEEEPS5_m14custom_greaterIjEEE10hipError_tT0_T1_T2_jT3_P12ihipStream_tbPNSt15iterator_traitsISJ_E10value_typeEPNSP_ISK_E10value_typeEPSL_NS1_7vsmem_tEENKUlT_SJ_SK_SL_E_clISE_PjSF_SF_EESI_SY_SJ_SK_SL_EUlSY_E0_NS1_11comp_targetILNS1_3genE9ELNS1_11target_archE1100ELNS1_3gpuE3ELNS1_3repE0EEENS1_38merge_mergepath_config_static_selectorELNS0_4arch9wavefront6targetE1EEEvSK_,comdat
.Lfunc_end3201:
	.size	_ZN7rocprim17ROCPRIM_400000_NS6detail17trampoline_kernelINS0_14default_configENS1_38merge_sort_block_merge_config_selectorIjNS0_10empty_typeEEEZZNS1_27merge_sort_block_merge_implIS3_N6thrust23THRUST_200600_302600_NS6detail15normal_iteratorINS9_10device_ptrIjEEEEPS5_m14custom_greaterIjEEE10hipError_tT0_T1_T2_jT3_P12ihipStream_tbPNSt15iterator_traitsISJ_E10value_typeEPNSP_ISK_E10value_typeEPSL_NS1_7vsmem_tEENKUlT_SJ_SK_SL_E_clISE_PjSF_SF_EESI_SY_SJ_SK_SL_EUlSY_E0_NS1_11comp_targetILNS1_3genE9ELNS1_11target_archE1100ELNS1_3gpuE3ELNS1_3repE0EEENS1_38merge_mergepath_config_static_selectorELNS0_4arch9wavefront6targetE1EEEvSK_, .Lfunc_end3201-_ZN7rocprim17ROCPRIM_400000_NS6detail17trampoline_kernelINS0_14default_configENS1_38merge_sort_block_merge_config_selectorIjNS0_10empty_typeEEEZZNS1_27merge_sort_block_merge_implIS3_N6thrust23THRUST_200600_302600_NS6detail15normal_iteratorINS9_10device_ptrIjEEEEPS5_m14custom_greaterIjEEE10hipError_tT0_T1_T2_jT3_P12ihipStream_tbPNSt15iterator_traitsISJ_E10value_typeEPNSP_ISK_E10value_typeEPSL_NS1_7vsmem_tEENKUlT_SJ_SK_SL_E_clISE_PjSF_SF_EESI_SY_SJ_SK_SL_EUlSY_E0_NS1_11comp_targetILNS1_3genE9ELNS1_11target_archE1100ELNS1_3gpuE3ELNS1_3repE0EEENS1_38merge_mergepath_config_static_selectorELNS0_4arch9wavefront6targetE1EEEvSK_
                                        ; -- End function
	.section	.AMDGPU.csdata,"",@progbits
; Kernel info:
; codeLenInByte = 0
; NumSgprs: 4
; NumVgprs: 0
; NumAgprs: 0
; TotalNumVgprs: 0
; ScratchSize: 0
; MemoryBound: 0
; FloatMode: 240
; IeeeMode: 1
; LDSByteSize: 0 bytes/workgroup (compile time only)
; SGPRBlocks: 0
; VGPRBlocks: 0
; NumSGPRsForWavesPerEU: 4
; NumVGPRsForWavesPerEU: 1
; AccumOffset: 4
; Occupancy: 8
; WaveLimiterHint : 0
; COMPUTE_PGM_RSRC2:SCRATCH_EN: 0
; COMPUTE_PGM_RSRC2:USER_SGPR: 6
; COMPUTE_PGM_RSRC2:TRAP_HANDLER: 0
; COMPUTE_PGM_RSRC2:TGID_X_EN: 1
; COMPUTE_PGM_RSRC2:TGID_Y_EN: 0
; COMPUTE_PGM_RSRC2:TGID_Z_EN: 0
; COMPUTE_PGM_RSRC2:TIDIG_COMP_CNT: 0
; COMPUTE_PGM_RSRC3_GFX90A:ACCUM_OFFSET: 0
; COMPUTE_PGM_RSRC3_GFX90A:TG_SPLIT: 0
	.section	.text._ZN7rocprim17ROCPRIM_400000_NS6detail17trampoline_kernelINS0_14default_configENS1_38merge_sort_block_merge_config_selectorIjNS0_10empty_typeEEEZZNS1_27merge_sort_block_merge_implIS3_N6thrust23THRUST_200600_302600_NS6detail15normal_iteratorINS9_10device_ptrIjEEEEPS5_m14custom_greaterIjEEE10hipError_tT0_T1_T2_jT3_P12ihipStream_tbPNSt15iterator_traitsISJ_E10value_typeEPNSP_ISK_E10value_typeEPSL_NS1_7vsmem_tEENKUlT_SJ_SK_SL_E_clISE_PjSF_SF_EESI_SY_SJ_SK_SL_EUlSY_E0_NS1_11comp_targetILNS1_3genE8ELNS1_11target_archE1030ELNS1_3gpuE2ELNS1_3repE0EEENS1_38merge_mergepath_config_static_selectorELNS0_4arch9wavefront6targetE1EEEvSK_,"axG",@progbits,_ZN7rocprim17ROCPRIM_400000_NS6detail17trampoline_kernelINS0_14default_configENS1_38merge_sort_block_merge_config_selectorIjNS0_10empty_typeEEEZZNS1_27merge_sort_block_merge_implIS3_N6thrust23THRUST_200600_302600_NS6detail15normal_iteratorINS9_10device_ptrIjEEEEPS5_m14custom_greaterIjEEE10hipError_tT0_T1_T2_jT3_P12ihipStream_tbPNSt15iterator_traitsISJ_E10value_typeEPNSP_ISK_E10value_typeEPSL_NS1_7vsmem_tEENKUlT_SJ_SK_SL_E_clISE_PjSF_SF_EESI_SY_SJ_SK_SL_EUlSY_E0_NS1_11comp_targetILNS1_3genE8ELNS1_11target_archE1030ELNS1_3gpuE2ELNS1_3repE0EEENS1_38merge_mergepath_config_static_selectorELNS0_4arch9wavefront6targetE1EEEvSK_,comdat
	.protected	_ZN7rocprim17ROCPRIM_400000_NS6detail17trampoline_kernelINS0_14default_configENS1_38merge_sort_block_merge_config_selectorIjNS0_10empty_typeEEEZZNS1_27merge_sort_block_merge_implIS3_N6thrust23THRUST_200600_302600_NS6detail15normal_iteratorINS9_10device_ptrIjEEEEPS5_m14custom_greaterIjEEE10hipError_tT0_T1_T2_jT3_P12ihipStream_tbPNSt15iterator_traitsISJ_E10value_typeEPNSP_ISK_E10value_typeEPSL_NS1_7vsmem_tEENKUlT_SJ_SK_SL_E_clISE_PjSF_SF_EESI_SY_SJ_SK_SL_EUlSY_E0_NS1_11comp_targetILNS1_3genE8ELNS1_11target_archE1030ELNS1_3gpuE2ELNS1_3repE0EEENS1_38merge_mergepath_config_static_selectorELNS0_4arch9wavefront6targetE1EEEvSK_ ; -- Begin function _ZN7rocprim17ROCPRIM_400000_NS6detail17trampoline_kernelINS0_14default_configENS1_38merge_sort_block_merge_config_selectorIjNS0_10empty_typeEEEZZNS1_27merge_sort_block_merge_implIS3_N6thrust23THRUST_200600_302600_NS6detail15normal_iteratorINS9_10device_ptrIjEEEEPS5_m14custom_greaterIjEEE10hipError_tT0_T1_T2_jT3_P12ihipStream_tbPNSt15iterator_traitsISJ_E10value_typeEPNSP_ISK_E10value_typeEPSL_NS1_7vsmem_tEENKUlT_SJ_SK_SL_E_clISE_PjSF_SF_EESI_SY_SJ_SK_SL_EUlSY_E0_NS1_11comp_targetILNS1_3genE8ELNS1_11target_archE1030ELNS1_3gpuE2ELNS1_3repE0EEENS1_38merge_mergepath_config_static_selectorELNS0_4arch9wavefront6targetE1EEEvSK_
	.globl	_ZN7rocprim17ROCPRIM_400000_NS6detail17trampoline_kernelINS0_14default_configENS1_38merge_sort_block_merge_config_selectorIjNS0_10empty_typeEEEZZNS1_27merge_sort_block_merge_implIS3_N6thrust23THRUST_200600_302600_NS6detail15normal_iteratorINS9_10device_ptrIjEEEEPS5_m14custom_greaterIjEEE10hipError_tT0_T1_T2_jT3_P12ihipStream_tbPNSt15iterator_traitsISJ_E10value_typeEPNSP_ISK_E10value_typeEPSL_NS1_7vsmem_tEENKUlT_SJ_SK_SL_E_clISE_PjSF_SF_EESI_SY_SJ_SK_SL_EUlSY_E0_NS1_11comp_targetILNS1_3genE8ELNS1_11target_archE1030ELNS1_3gpuE2ELNS1_3repE0EEENS1_38merge_mergepath_config_static_selectorELNS0_4arch9wavefront6targetE1EEEvSK_
	.p2align	8
	.type	_ZN7rocprim17ROCPRIM_400000_NS6detail17trampoline_kernelINS0_14default_configENS1_38merge_sort_block_merge_config_selectorIjNS0_10empty_typeEEEZZNS1_27merge_sort_block_merge_implIS3_N6thrust23THRUST_200600_302600_NS6detail15normal_iteratorINS9_10device_ptrIjEEEEPS5_m14custom_greaterIjEEE10hipError_tT0_T1_T2_jT3_P12ihipStream_tbPNSt15iterator_traitsISJ_E10value_typeEPNSP_ISK_E10value_typeEPSL_NS1_7vsmem_tEENKUlT_SJ_SK_SL_E_clISE_PjSF_SF_EESI_SY_SJ_SK_SL_EUlSY_E0_NS1_11comp_targetILNS1_3genE8ELNS1_11target_archE1030ELNS1_3gpuE2ELNS1_3repE0EEENS1_38merge_mergepath_config_static_selectorELNS0_4arch9wavefront6targetE1EEEvSK_,@function
_ZN7rocprim17ROCPRIM_400000_NS6detail17trampoline_kernelINS0_14default_configENS1_38merge_sort_block_merge_config_selectorIjNS0_10empty_typeEEEZZNS1_27merge_sort_block_merge_implIS3_N6thrust23THRUST_200600_302600_NS6detail15normal_iteratorINS9_10device_ptrIjEEEEPS5_m14custom_greaterIjEEE10hipError_tT0_T1_T2_jT3_P12ihipStream_tbPNSt15iterator_traitsISJ_E10value_typeEPNSP_ISK_E10value_typeEPSL_NS1_7vsmem_tEENKUlT_SJ_SK_SL_E_clISE_PjSF_SF_EESI_SY_SJ_SK_SL_EUlSY_E0_NS1_11comp_targetILNS1_3genE8ELNS1_11target_archE1030ELNS1_3gpuE2ELNS1_3repE0EEENS1_38merge_mergepath_config_static_selectorELNS0_4arch9wavefront6targetE1EEEvSK_: ; @_ZN7rocprim17ROCPRIM_400000_NS6detail17trampoline_kernelINS0_14default_configENS1_38merge_sort_block_merge_config_selectorIjNS0_10empty_typeEEEZZNS1_27merge_sort_block_merge_implIS3_N6thrust23THRUST_200600_302600_NS6detail15normal_iteratorINS9_10device_ptrIjEEEEPS5_m14custom_greaterIjEEE10hipError_tT0_T1_T2_jT3_P12ihipStream_tbPNSt15iterator_traitsISJ_E10value_typeEPNSP_ISK_E10value_typeEPSL_NS1_7vsmem_tEENKUlT_SJ_SK_SL_E_clISE_PjSF_SF_EESI_SY_SJ_SK_SL_EUlSY_E0_NS1_11comp_targetILNS1_3genE8ELNS1_11target_archE1030ELNS1_3gpuE2ELNS1_3repE0EEENS1_38merge_mergepath_config_static_selectorELNS0_4arch9wavefront6targetE1EEEvSK_
; %bb.0:
	.section	.rodata,"a",@progbits
	.p2align	6, 0x0
	.amdhsa_kernel _ZN7rocprim17ROCPRIM_400000_NS6detail17trampoline_kernelINS0_14default_configENS1_38merge_sort_block_merge_config_selectorIjNS0_10empty_typeEEEZZNS1_27merge_sort_block_merge_implIS3_N6thrust23THRUST_200600_302600_NS6detail15normal_iteratorINS9_10device_ptrIjEEEEPS5_m14custom_greaterIjEEE10hipError_tT0_T1_T2_jT3_P12ihipStream_tbPNSt15iterator_traitsISJ_E10value_typeEPNSP_ISK_E10value_typeEPSL_NS1_7vsmem_tEENKUlT_SJ_SK_SL_E_clISE_PjSF_SF_EESI_SY_SJ_SK_SL_EUlSY_E0_NS1_11comp_targetILNS1_3genE8ELNS1_11target_archE1030ELNS1_3gpuE2ELNS1_3repE0EEENS1_38merge_mergepath_config_static_selectorELNS0_4arch9wavefront6targetE1EEEvSK_
		.amdhsa_group_segment_fixed_size 0
		.amdhsa_private_segment_fixed_size 0
		.amdhsa_kernarg_size 72
		.amdhsa_user_sgpr_count 6
		.amdhsa_user_sgpr_private_segment_buffer 1
		.amdhsa_user_sgpr_dispatch_ptr 0
		.amdhsa_user_sgpr_queue_ptr 0
		.amdhsa_user_sgpr_kernarg_segment_ptr 1
		.amdhsa_user_sgpr_dispatch_id 0
		.amdhsa_user_sgpr_flat_scratch_init 0
		.amdhsa_user_sgpr_kernarg_preload_length 0
		.amdhsa_user_sgpr_kernarg_preload_offset 0
		.amdhsa_user_sgpr_private_segment_size 0
		.amdhsa_uses_dynamic_stack 0
		.amdhsa_system_sgpr_private_segment_wavefront_offset 0
		.amdhsa_system_sgpr_workgroup_id_x 1
		.amdhsa_system_sgpr_workgroup_id_y 0
		.amdhsa_system_sgpr_workgroup_id_z 0
		.amdhsa_system_sgpr_workgroup_info 0
		.amdhsa_system_vgpr_workitem_id 0
		.amdhsa_next_free_vgpr 1
		.amdhsa_next_free_sgpr 0
		.amdhsa_accum_offset 4
		.amdhsa_reserve_vcc 0
		.amdhsa_reserve_flat_scratch 0
		.amdhsa_float_round_mode_32 0
		.amdhsa_float_round_mode_16_64 0
		.amdhsa_float_denorm_mode_32 3
		.amdhsa_float_denorm_mode_16_64 3
		.amdhsa_dx10_clamp 1
		.amdhsa_ieee_mode 1
		.amdhsa_fp16_overflow 0
		.amdhsa_tg_split 0
		.amdhsa_exception_fp_ieee_invalid_op 0
		.amdhsa_exception_fp_denorm_src 0
		.amdhsa_exception_fp_ieee_div_zero 0
		.amdhsa_exception_fp_ieee_overflow 0
		.amdhsa_exception_fp_ieee_underflow 0
		.amdhsa_exception_fp_ieee_inexact 0
		.amdhsa_exception_int_div_zero 0
	.end_amdhsa_kernel
	.section	.text._ZN7rocprim17ROCPRIM_400000_NS6detail17trampoline_kernelINS0_14default_configENS1_38merge_sort_block_merge_config_selectorIjNS0_10empty_typeEEEZZNS1_27merge_sort_block_merge_implIS3_N6thrust23THRUST_200600_302600_NS6detail15normal_iteratorINS9_10device_ptrIjEEEEPS5_m14custom_greaterIjEEE10hipError_tT0_T1_T2_jT3_P12ihipStream_tbPNSt15iterator_traitsISJ_E10value_typeEPNSP_ISK_E10value_typeEPSL_NS1_7vsmem_tEENKUlT_SJ_SK_SL_E_clISE_PjSF_SF_EESI_SY_SJ_SK_SL_EUlSY_E0_NS1_11comp_targetILNS1_3genE8ELNS1_11target_archE1030ELNS1_3gpuE2ELNS1_3repE0EEENS1_38merge_mergepath_config_static_selectorELNS0_4arch9wavefront6targetE1EEEvSK_,"axG",@progbits,_ZN7rocprim17ROCPRIM_400000_NS6detail17trampoline_kernelINS0_14default_configENS1_38merge_sort_block_merge_config_selectorIjNS0_10empty_typeEEEZZNS1_27merge_sort_block_merge_implIS3_N6thrust23THRUST_200600_302600_NS6detail15normal_iteratorINS9_10device_ptrIjEEEEPS5_m14custom_greaterIjEEE10hipError_tT0_T1_T2_jT3_P12ihipStream_tbPNSt15iterator_traitsISJ_E10value_typeEPNSP_ISK_E10value_typeEPSL_NS1_7vsmem_tEENKUlT_SJ_SK_SL_E_clISE_PjSF_SF_EESI_SY_SJ_SK_SL_EUlSY_E0_NS1_11comp_targetILNS1_3genE8ELNS1_11target_archE1030ELNS1_3gpuE2ELNS1_3repE0EEENS1_38merge_mergepath_config_static_selectorELNS0_4arch9wavefront6targetE1EEEvSK_,comdat
.Lfunc_end3202:
	.size	_ZN7rocprim17ROCPRIM_400000_NS6detail17trampoline_kernelINS0_14default_configENS1_38merge_sort_block_merge_config_selectorIjNS0_10empty_typeEEEZZNS1_27merge_sort_block_merge_implIS3_N6thrust23THRUST_200600_302600_NS6detail15normal_iteratorINS9_10device_ptrIjEEEEPS5_m14custom_greaterIjEEE10hipError_tT0_T1_T2_jT3_P12ihipStream_tbPNSt15iterator_traitsISJ_E10value_typeEPNSP_ISK_E10value_typeEPSL_NS1_7vsmem_tEENKUlT_SJ_SK_SL_E_clISE_PjSF_SF_EESI_SY_SJ_SK_SL_EUlSY_E0_NS1_11comp_targetILNS1_3genE8ELNS1_11target_archE1030ELNS1_3gpuE2ELNS1_3repE0EEENS1_38merge_mergepath_config_static_selectorELNS0_4arch9wavefront6targetE1EEEvSK_, .Lfunc_end3202-_ZN7rocprim17ROCPRIM_400000_NS6detail17trampoline_kernelINS0_14default_configENS1_38merge_sort_block_merge_config_selectorIjNS0_10empty_typeEEEZZNS1_27merge_sort_block_merge_implIS3_N6thrust23THRUST_200600_302600_NS6detail15normal_iteratorINS9_10device_ptrIjEEEEPS5_m14custom_greaterIjEEE10hipError_tT0_T1_T2_jT3_P12ihipStream_tbPNSt15iterator_traitsISJ_E10value_typeEPNSP_ISK_E10value_typeEPSL_NS1_7vsmem_tEENKUlT_SJ_SK_SL_E_clISE_PjSF_SF_EESI_SY_SJ_SK_SL_EUlSY_E0_NS1_11comp_targetILNS1_3genE8ELNS1_11target_archE1030ELNS1_3gpuE2ELNS1_3repE0EEENS1_38merge_mergepath_config_static_selectorELNS0_4arch9wavefront6targetE1EEEvSK_
                                        ; -- End function
	.section	.AMDGPU.csdata,"",@progbits
; Kernel info:
; codeLenInByte = 0
; NumSgprs: 4
; NumVgprs: 0
; NumAgprs: 0
; TotalNumVgprs: 0
; ScratchSize: 0
; MemoryBound: 0
; FloatMode: 240
; IeeeMode: 1
; LDSByteSize: 0 bytes/workgroup (compile time only)
; SGPRBlocks: 0
; VGPRBlocks: 0
; NumSGPRsForWavesPerEU: 4
; NumVGPRsForWavesPerEU: 1
; AccumOffset: 4
; Occupancy: 8
; WaveLimiterHint : 0
; COMPUTE_PGM_RSRC2:SCRATCH_EN: 0
; COMPUTE_PGM_RSRC2:USER_SGPR: 6
; COMPUTE_PGM_RSRC2:TRAP_HANDLER: 0
; COMPUTE_PGM_RSRC2:TGID_X_EN: 1
; COMPUTE_PGM_RSRC2:TGID_Y_EN: 0
; COMPUTE_PGM_RSRC2:TGID_Z_EN: 0
; COMPUTE_PGM_RSRC2:TIDIG_COMP_CNT: 0
; COMPUTE_PGM_RSRC3_GFX90A:ACCUM_OFFSET: 0
; COMPUTE_PGM_RSRC3_GFX90A:TG_SPLIT: 0
	.section	.text._ZN7rocprim17ROCPRIM_400000_NS6detail17trampoline_kernelINS0_14default_configENS1_38merge_sort_block_merge_config_selectorIjNS0_10empty_typeEEEZZNS1_27merge_sort_block_merge_implIS3_N6thrust23THRUST_200600_302600_NS6detail15normal_iteratorINS9_10device_ptrIjEEEEPS5_m14custom_greaterIjEEE10hipError_tT0_T1_T2_jT3_P12ihipStream_tbPNSt15iterator_traitsISJ_E10value_typeEPNSP_ISK_E10value_typeEPSL_NS1_7vsmem_tEENKUlT_SJ_SK_SL_E_clISE_PjSF_SF_EESI_SY_SJ_SK_SL_EUlSY_E1_NS1_11comp_targetILNS1_3genE0ELNS1_11target_archE4294967295ELNS1_3gpuE0ELNS1_3repE0EEENS1_36merge_oddeven_config_static_selectorELNS0_4arch9wavefront6targetE1EEEvSK_,"axG",@progbits,_ZN7rocprim17ROCPRIM_400000_NS6detail17trampoline_kernelINS0_14default_configENS1_38merge_sort_block_merge_config_selectorIjNS0_10empty_typeEEEZZNS1_27merge_sort_block_merge_implIS3_N6thrust23THRUST_200600_302600_NS6detail15normal_iteratorINS9_10device_ptrIjEEEEPS5_m14custom_greaterIjEEE10hipError_tT0_T1_T2_jT3_P12ihipStream_tbPNSt15iterator_traitsISJ_E10value_typeEPNSP_ISK_E10value_typeEPSL_NS1_7vsmem_tEENKUlT_SJ_SK_SL_E_clISE_PjSF_SF_EESI_SY_SJ_SK_SL_EUlSY_E1_NS1_11comp_targetILNS1_3genE0ELNS1_11target_archE4294967295ELNS1_3gpuE0ELNS1_3repE0EEENS1_36merge_oddeven_config_static_selectorELNS0_4arch9wavefront6targetE1EEEvSK_,comdat
	.protected	_ZN7rocprim17ROCPRIM_400000_NS6detail17trampoline_kernelINS0_14default_configENS1_38merge_sort_block_merge_config_selectorIjNS0_10empty_typeEEEZZNS1_27merge_sort_block_merge_implIS3_N6thrust23THRUST_200600_302600_NS6detail15normal_iteratorINS9_10device_ptrIjEEEEPS5_m14custom_greaterIjEEE10hipError_tT0_T1_T2_jT3_P12ihipStream_tbPNSt15iterator_traitsISJ_E10value_typeEPNSP_ISK_E10value_typeEPSL_NS1_7vsmem_tEENKUlT_SJ_SK_SL_E_clISE_PjSF_SF_EESI_SY_SJ_SK_SL_EUlSY_E1_NS1_11comp_targetILNS1_3genE0ELNS1_11target_archE4294967295ELNS1_3gpuE0ELNS1_3repE0EEENS1_36merge_oddeven_config_static_selectorELNS0_4arch9wavefront6targetE1EEEvSK_ ; -- Begin function _ZN7rocprim17ROCPRIM_400000_NS6detail17trampoline_kernelINS0_14default_configENS1_38merge_sort_block_merge_config_selectorIjNS0_10empty_typeEEEZZNS1_27merge_sort_block_merge_implIS3_N6thrust23THRUST_200600_302600_NS6detail15normal_iteratorINS9_10device_ptrIjEEEEPS5_m14custom_greaterIjEEE10hipError_tT0_T1_T2_jT3_P12ihipStream_tbPNSt15iterator_traitsISJ_E10value_typeEPNSP_ISK_E10value_typeEPSL_NS1_7vsmem_tEENKUlT_SJ_SK_SL_E_clISE_PjSF_SF_EESI_SY_SJ_SK_SL_EUlSY_E1_NS1_11comp_targetILNS1_3genE0ELNS1_11target_archE4294967295ELNS1_3gpuE0ELNS1_3repE0EEENS1_36merge_oddeven_config_static_selectorELNS0_4arch9wavefront6targetE1EEEvSK_
	.globl	_ZN7rocprim17ROCPRIM_400000_NS6detail17trampoline_kernelINS0_14default_configENS1_38merge_sort_block_merge_config_selectorIjNS0_10empty_typeEEEZZNS1_27merge_sort_block_merge_implIS3_N6thrust23THRUST_200600_302600_NS6detail15normal_iteratorINS9_10device_ptrIjEEEEPS5_m14custom_greaterIjEEE10hipError_tT0_T1_T2_jT3_P12ihipStream_tbPNSt15iterator_traitsISJ_E10value_typeEPNSP_ISK_E10value_typeEPSL_NS1_7vsmem_tEENKUlT_SJ_SK_SL_E_clISE_PjSF_SF_EESI_SY_SJ_SK_SL_EUlSY_E1_NS1_11comp_targetILNS1_3genE0ELNS1_11target_archE4294967295ELNS1_3gpuE0ELNS1_3repE0EEENS1_36merge_oddeven_config_static_selectorELNS0_4arch9wavefront6targetE1EEEvSK_
	.p2align	8
	.type	_ZN7rocprim17ROCPRIM_400000_NS6detail17trampoline_kernelINS0_14default_configENS1_38merge_sort_block_merge_config_selectorIjNS0_10empty_typeEEEZZNS1_27merge_sort_block_merge_implIS3_N6thrust23THRUST_200600_302600_NS6detail15normal_iteratorINS9_10device_ptrIjEEEEPS5_m14custom_greaterIjEEE10hipError_tT0_T1_T2_jT3_P12ihipStream_tbPNSt15iterator_traitsISJ_E10value_typeEPNSP_ISK_E10value_typeEPSL_NS1_7vsmem_tEENKUlT_SJ_SK_SL_E_clISE_PjSF_SF_EESI_SY_SJ_SK_SL_EUlSY_E1_NS1_11comp_targetILNS1_3genE0ELNS1_11target_archE4294967295ELNS1_3gpuE0ELNS1_3repE0EEENS1_36merge_oddeven_config_static_selectorELNS0_4arch9wavefront6targetE1EEEvSK_,@function
_ZN7rocprim17ROCPRIM_400000_NS6detail17trampoline_kernelINS0_14default_configENS1_38merge_sort_block_merge_config_selectorIjNS0_10empty_typeEEEZZNS1_27merge_sort_block_merge_implIS3_N6thrust23THRUST_200600_302600_NS6detail15normal_iteratorINS9_10device_ptrIjEEEEPS5_m14custom_greaterIjEEE10hipError_tT0_T1_T2_jT3_P12ihipStream_tbPNSt15iterator_traitsISJ_E10value_typeEPNSP_ISK_E10value_typeEPSL_NS1_7vsmem_tEENKUlT_SJ_SK_SL_E_clISE_PjSF_SF_EESI_SY_SJ_SK_SL_EUlSY_E1_NS1_11comp_targetILNS1_3genE0ELNS1_11target_archE4294967295ELNS1_3gpuE0ELNS1_3repE0EEENS1_36merge_oddeven_config_static_selectorELNS0_4arch9wavefront6targetE1EEEvSK_: ; @_ZN7rocprim17ROCPRIM_400000_NS6detail17trampoline_kernelINS0_14default_configENS1_38merge_sort_block_merge_config_selectorIjNS0_10empty_typeEEEZZNS1_27merge_sort_block_merge_implIS3_N6thrust23THRUST_200600_302600_NS6detail15normal_iteratorINS9_10device_ptrIjEEEEPS5_m14custom_greaterIjEEE10hipError_tT0_T1_T2_jT3_P12ihipStream_tbPNSt15iterator_traitsISJ_E10value_typeEPNSP_ISK_E10value_typeEPSL_NS1_7vsmem_tEENKUlT_SJ_SK_SL_E_clISE_PjSF_SF_EESI_SY_SJ_SK_SL_EUlSY_E1_NS1_11comp_targetILNS1_3genE0ELNS1_11target_archE4294967295ELNS1_3gpuE0ELNS1_3repE0EEENS1_36merge_oddeven_config_static_selectorELNS0_4arch9wavefront6targetE1EEEvSK_
; %bb.0:
	.section	.rodata,"a",@progbits
	.p2align	6, 0x0
	.amdhsa_kernel _ZN7rocprim17ROCPRIM_400000_NS6detail17trampoline_kernelINS0_14default_configENS1_38merge_sort_block_merge_config_selectorIjNS0_10empty_typeEEEZZNS1_27merge_sort_block_merge_implIS3_N6thrust23THRUST_200600_302600_NS6detail15normal_iteratorINS9_10device_ptrIjEEEEPS5_m14custom_greaterIjEEE10hipError_tT0_T1_T2_jT3_P12ihipStream_tbPNSt15iterator_traitsISJ_E10value_typeEPNSP_ISK_E10value_typeEPSL_NS1_7vsmem_tEENKUlT_SJ_SK_SL_E_clISE_PjSF_SF_EESI_SY_SJ_SK_SL_EUlSY_E1_NS1_11comp_targetILNS1_3genE0ELNS1_11target_archE4294967295ELNS1_3gpuE0ELNS1_3repE0EEENS1_36merge_oddeven_config_static_selectorELNS0_4arch9wavefront6targetE1EEEvSK_
		.amdhsa_group_segment_fixed_size 0
		.amdhsa_private_segment_fixed_size 0
		.amdhsa_kernarg_size 56
		.amdhsa_user_sgpr_count 6
		.amdhsa_user_sgpr_private_segment_buffer 1
		.amdhsa_user_sgpr_dispatch_ptr 0
		.amdhsa_user_sgpr_queue_ptr 0
		.amdhsa_user_sgpr_kernarg_segment_ptr 1
		.amdhsa_user_sgpr_dispatch_id 0
		.amdhsa_user_sgpr_flat_scratch_init 0
		.amdhsa_user_sgpr_kernarg_preload_length 0
		.amdhsa_user_sgpr_kernarg_preload_offset 0
		.amdhsa_user_sgpr_private_segment_size 0
		.amdhsa_uses_dynamic_stack 0
		.amdhsa_system_sgpr_private_segment_wavefront_offset 0
		.amdhsa_system_sgpr_workgroup_id_x 1
		.amdhsa_system_sgpr_workgroup_id_y 0
		.amdhsa_system_sgpr_workgroup_id_z 0
		.amdhsa_system_sgpr_workgroup_info 0
		.amdhsa_system_vgpr_workitem_id 0
		.amdhsa_next_free_vgpr 1
		.amdhsa_next_free_sgpr 0
		.amdhsa_accum_offset 4
		.amdhsa_reserve_vcc 0
		.amdhsa_reserve_flat_scratch 0
		.amdhsa_float_round_mode_32 0
		.amdhsa_float_round_mode_16_64 0
		.amdhsa_float_denorm_mode_32 3
		.amdhsa_float_denorm_mode_16_64 3
		.amdhsa_dx10_clamp 1
		.amdhsa_ieee_mode 1
		.amdhsa_fp16_overflow 0
		.amdhsa_tg_split 0
		.amdhsa_exception_fp_ieee_invalid_op 0
		.amdhsa_exception_fp_denorm_src 0
		.amdhsa_exception_fp_ieee_div_zero 0
		.amdhsa_exception_fp_ieee_overflow 0
		.amdhsa_exception_fp_ieee_underflow 0
		.amdhsa_exception_fp_ieee_inexact 0
		.amdhsa_exception_int_div_zero 0
	.end_amdhsa_kernel
	.section	.text._ZN7rocprim17ROCPRIM_400000_NS6detail17trampoline_kernelINS0_14default_configENS1_38merge_sort_block_merge_config_selectorIjNS0_10empty_typeEEEZZNS1_27merge_sort_block_merge_implIS3_N6thrust23THRUST_200600_302600_NS6detail15normal_iteratorINS9_10device_ptrIjEEEEPS5_m14custom_greaterIjEEE10hipError_tT0_T1_T2_jT3_P12ihipStream_tbPNSt15iterator_traitsISJ_E10value_typeEPNSP_ISK_E10value_typeEPSL_NS1_7vsmem_tEENKUlT_SJ_SK_SL_E_clISE_PjSF_SF_EESI_SY_SJ_SK_SL_EUlSY_E1_NS1_11comp_targetILNS1_3genE0ELNS1_11target_archE4294967295ELNS1_3gpuE0ELNS1_3repE0EEENS1_36merge_oddeven_config_static_selectorELNS0_4arch9wavefront6targetE1EEEvSK_,"axG",@progbits,_ZN7rocprim17ROCPRIM_400000_NS6detail17trampoline_kernelINS0_14default_configENS1_38merge_sort_block_merge_config_selectorIjNS0_10empty_typeEEEZZNS1_27merge_sort_block_merge_implIS3_N6thrust23THRUST_200600_302600_NS6detail15normal_iteratorINS9_10device_ptrIjEEEEPS5_m14custom_greaterIjEEE10hipError_tT0_T1_T2_jT3_P12ihipStream_tbPNSt15iterator_traitsISJ_E10value_typeEPNSP_ISK_E10value_typeEPSL_NS1_7vsmem_tEENKUlT_SJ_SK_SL_E_clISE_PjSF_SF_EESI_SY_SJ_SK_SL_EUlSY_E1_NS1_11comp_targetILNS1_3genE0ELNS1_11target_archE4294967295ELNS1_3gpuE0ELNS1_3repE0EEENS1_36merge_oddeven_config_static_selectorELNS0_4arch9wavefront6targetE1EEEvSK_,comdat
.Lfunc_end3203:
	.size	_ZN7rocprim17ROCPRIM_400000_NS6detail17trampoline_kernelINS0_14default_configENS1_38merge_sort_block_merge_config_selectorIjNS0_10empty_typeEEEZZNS1_27merge_sort_block_merge_implIS3_N6thrust23THRUST_200600_302600_NS6detail15normal_iteratorINS9_10device_ptrIjEEEEPS5_m14custom_greaterIjEEE10hipError_tT0_T1_T2_jT3_P12ihipStream_tbPNSt15iterator_traitsISJ_E10value_typeEPNSP_ISK_E10value_typeEPSL_NS1_7vsmem_tEENKUlT_SJ_SK_SL_E_clISE_PjSF_SF_EESI_SY_SJ_SK_SL_EUlSY_E1_NS1_11comp_targetILNS1_3genE0ELNS1_11target_archE4294967295ELNS1_3gpuE0ELNS1_3repE0EEENS1_36merge_oddeven_config_static_selectorELNS0_4arch9wavefront6targetE1EEEvSK_, .Lfunc_end3203-_ZN7rocprim17ROCPRIM_400000_NS6detail17trampoline_kernelINS0_14default_configENS1_38merge_sort_block_merge_config_selectorIjNS0_10empty_typeEEEZZNS1_27merge_sort_block_merge_implIS3_N6thrust23THRUST_200600_302600_NS6detail15normal_iteratorINS9_10device_ptrIjEEEEPS5_m14custom_greaterIjEEE10hipError_tT0_T1_T2_jT3_P12ihipStream_tbPNSt15iterator_traitsISJ_E10value_typeEPNSP_ISK_E10value_typeEPSL_NS1_7vsmem_tEENKUlT_SJ_SK_SL_E_clISE_PjSF_SF_EESI_SY_SJ_SK_SL_EUlSY_E1_NS1_11comp_targetILNS1_3genE0ELNS1_11target_archE4294967295ELNS1_3gpuE0ELNS1_3repE0EEENS1_36merge_oddeven_config_static_selectorELNS0_4arch9wavefront6targetE1EEEvSK_
                                        ; -- End function
	.section	.AMDGPU.csdata,"",@progbits
; Kernel info:
; codeLenInByte = 0
; NumSgprs: 4
; NumVgprs: 0
; NumAgprs: 0
; TotalNumVgprs: 0
; ScratchSize: 0
; MemoryBound: 0
; FloatMode: 240
; IeeeMode: 1
; LDSByteSize: 0 bytes/workgroup (compile time only)
; SGPRBlocks: 0
; VGPRBlocks: 0
; NumSGPRsForWavesPerEU: 4
; NumVGPRsForWavesPerEU: 1
; AccumOffset: 4
; Occupancy: 8
; WaveLimiterHint : 0
; COMPUTE_PGM_RSRC2:SCRATCH_EN: 0
; COMPUTE_PGM_RSRC2:USER_SGPR: 6
; COMPUTE_PGM_RSRC2:TRAP_HANDLER: 0
; COMPUTE_PGM_RSRC2:TGID_X_EN: 1
; COMPUTE_PGM_RSRC2:TGID_Y_EN: 0
; COMPUTE_PGM_RSRC2:TGID_Z_EN: 0
; COMPUTE_PGM_RSRC2:TIDIG_COMP_CNT: 0
; COMPUTE_PGM_RSRC3_GFX90A:ACCUM_OFFSET: 0
; COMPUTE_PGM_RSRC3_GFX90A:TG_SPLIT: 0
	.section	.text._ZN7rocprim17ROCPRIM_400000_NS6detail17trampoline_kernelINS0_14default_configENS1_38merge_sort_block_merge_config_selectorIjNS0_10empty_typeEEEZZNS1_27merge_sort_block_merge_implIS3_N6thrust23THRUST_200600_302600_NS6detail15normal_iteratorINS9_10device_ptrIjEEEEPS5_m14custom_greaterIjEEE10hipError_tT0_T1_T2_jT3_P12ihipStream_tbPNSt15iterator_traitsISJ_E10value_typeEPNSP_ISK_E10value_typeEPSL_NS1_7vsmem_tEENKUlT_SJ_SK_SL_E_clISE_PjSF_SF_EESI_SY_SJ_SK_SL_EUlSY_E1_NS1_11comp_targetILNS1_3genE10ELNS1_11target_archE1201ELNS1_3gpuE5ELNS1_3repE0EEENS1_36merge_oddeven_config_static_selectorELNS0_4arch9wavefront6targetE1EEEvSK_,"axG",@progbits,_ZN7rocprim17ROCPRIM_400000_NS6detail17trampoline_kernelINS0_14default_configENS1_38merge_sort_block_merge_config_selectorIjNS0_10empty_typeEEEZZNS1_27merge_sort_block_merge_implIS3_N6thrust23THRUST_200600_302600_NS6detail15normal_iteratorINS9_10device_ptrIjEEEEPS5_m14custom_greaterIjEEE10hipError_tT0_T1_T2_jT3_P12ihipStream_tbPNSt15iterator_traitsISJ_E10value_typeEPNSP_ISK_E10value_typeEPSL_NS1_7vsmem_tEENKUlT_SJ_SK_SL_E_clISE_PjSF_SF_EESI_SY_SJ_SK_SL_EUlSY_E1_NS1_11comp_targetILNS1_3genE10ELNS1_11target_archE1201ELNS1_3gpuE5ELNS1_3repE0EEENS1_36merge_oddeven_config_static_selectorELNS0_4arch9wavefront6targetE1EEEvSK_,comdat
	.protected	_ZN7rocprim17ROCPRIM_400000_NS6detail17trampoline_kernelINS0_14default_configENS1_38merge_sort_block_merge_config_selectorIjNS0_10empty_typeEEEZZNS1_27merge_sort_block_merge_implIS3_N6thrust23THRUST_200600_302600_NS6detail15normal_iteratorINS9_10device_ptrIjEEEEPS5_m14custom_greaterIjEEE10hipError_tT0_T1_T2_jT3_P12ihipStream_tbPNSt15iterator_traitsISJ_E10value_typeEPNSP_ISK_E10value_typeEPSL_NS1_7vsmem_tEENKUlT_SJ_SK_SL_E_clISE_PjSF_SF_EESI_SY_SJ_SK_SL_EUlSY_E1_NS1_11comp_targetILNS1_3genE10ELNS1_11target_archE1201ELNS1_3gpuE5ELNS1_3repE0EEENS1_36merge_oddeven_config_static_selectorELNS0_4arch9wavefront6targetE1EEEvSK_ ; -- Begin function _ZN7rocprim17ROCPRIM_400000_NS6detail17trampoline_kernelINS0_14default_configENS1_38merge_sort_block_merge_config_selectorIjNS0_10empty_typeEEEZZNS1_27merge_sort_block_merge_implIS3_N6thrust23THRUST_200600_302600_NS6detail15normal_iteratorINS9_10device_ptrIjEEEEPS5_m14custom_greaterIjEEE10hipError_tT0_T1_T2_jT3_P12ihipStream_tbPNSt15iterator_traitsISJ_E10value_typeEPNSP_ISK_E10value_typeEPSL_NS1_7vsmem_tEENKUlT_SJ_SK_SL_E_clISE_PjSF_SF_EESI_SY_SJ_SK_SL_EUlSY_E1_NS1_11comp_targetILNS1_3genE10ELNS1_11target_archE1201ELNS1_3gpuE5ELNS1_3repE0EEENS1_36merge_oddeven_config_static_selectorELNS0_4arch9wavefront6targetE1EEEvSK_
	.globl	_ZN7rocprim17ROCPRIM_400000_NS6detail17trampoline_kernelINS0_14default_configENS1_38merge_sort_block_merge_config_selectorIjNS0_10empty_typeEEEZZNS1_27merge_sort_block_merge_implIS3_N6thrust23THRUST_200600_302600_NS6detail15normal_iteratorINS9_10device_ptrIjEEEEPS5_m14custom_greaterIjEEE10hipError_tT0_T1_T2_jT3_P12ihipStream_tbPNSt15iterator_traitsISJ_E10value_typeEPNSP_ISK_E10value_typeEPSL_NS1_7vsmem_tEENKUlT_SJ_SK_SL_E_clISE_PjSF_SF_EESI_SY_SJ_SK_SL_EUlSY_E1_NS1_11comp_targetILNS1_3genE10ELNS1_11target_archE1201ELNS1_3gpuE5ELNS1_3repE0EEENS1_36merge_oddeven_config_static_selectorELNS0_4arch9wavefront6targetE1EEEvSK_
	.p2align	8
	.type	_ZN7rocprim17ROCPRIM_400000_NS6detail17trampoline_kernelINS0_14default_configENS1_38merge_sort_block_merge_config_selectorIjNS0_10empty_typeEEEZZNS1_27merge_sort_block_merge_implIS3_N6thrust23THRUST_200600_302600_NS6detail15normal_iteratorINS9_10device_ptrIjEEEEPS5_m14custom_greaterIjEEE10hipError_tT0_T1_T2_jT3_P12ihipStream_tbPNSt15iterator_traitsISJ_E10value_typeEPNSP_ISK_E10value_typeEPSL_NS1_7vsmem_tEENKUlT_SJ_SK_SL_E_clISE_PjSF_SF_EESI_SY_SJ_SK_SL_EUlSY_E1_NS1_11comp_targetILNS1_3genE10ELNS1_11target_archE1201ELNS1_3gpuE5ELNS1_3repE0EEENS1_36merge_oddeven_config_static_selectorELNS0_4arch9wavefront6targetE1EEEvSK_,@function
_ZN7rocprim17ROCPRIM_400000_NS6detail17trampoline_kernelINS0_14default_configENS1_38merge_sort_block_merge_config_selectorIjNS0_10empty_typeEEEZZNS1_27merge_sort_block_merge_implIS3_N6thrust23THRUST_200600_302600_NS6detail15normal_iteratorINS9_10device_ptrIjEEEEPS5_m14custom_greaterIjEEE10hipError_tT0_T1_T2_jT3_P12ihipStream_tbPNSt15iterator_traitsISJ_E10value_typeEPNSP_ISK_E10value_typeEPSL_NS1_7vsmem_tEENKUlT_SJ_SK_SL_E_clISE_PjSF_SF_EESI_SY_SJ_SK_SL_EUlSY_E1_NS1_11comp_targetILNS1_3genE10ELNS1_11target_archE1201ELNS1_3gpuE5ELNS1_3repE0EEENS1_36merge_oddeven_config_static_selectorELNS0_4arch9wavefront6targetE1EEEvSK_: ; @_ZN7rocprim17ROCPRIM_400000_NS6detail17trampoline_kernelINS0_14default_configENS1_38merge_sort_block_merge_config_selectorIjNS0_10empty_typeEEEZZNS1_27merge_sort_block_merge_implIS3_N6thrust23THRUST_200600_302600_NS6detail15normal_iteratorINS9_10device_ptrIjEEEEPS5_m14custom_greaterIjEEE10hipError_tT0_T1_T2_jT3_P12ihipStream_tbPNSt15iterator_traitsISJ_E10value_typeEPNSP_ISK_E10value_typeEPSL_NS1_7vsmem_tEENKUlT_SJ_SK_SL_E_clISE_PjSF_SF_EESI_SY_SJ_SK_SL_EUlSY_E1_NS1_11comp_targetILNS1_3genE10ELNS1_11target_archE1201ELNS1_3gpuE5ELNS1_3repE0EEENS1_36merge_oddeven_config_static_selectorELNS0_4arch9wavefront6targetE1EEEvSK_
; %bb.0:
	.section	.rodata,"a",@progbits
	.p2align	6, 0x0
	.amdhsa_kernel _ZN7rocprim17ROCPRIM_400000_NS6detail17trampoline_kernelINS0_14default_configENS1_38merge_sort_block_merge_config_selectorIjNS0_10empty_typeEEEZZNS1_27merge_sort_block_merge_implIS3_N6thrust23THRUST_200600_302600_NS6detail15normal_iteratorINS9_10device_ptrIjEEEEPS5_m14custom_greaterIjEEE10hipError_tT0_T1_T2_jT3_P12ihipStream_tbPNSt15iterator_traitsISJ_E10value_typeEPNSP_ISK_E10value_typeEPSL_NS1_7vsmem_tEENKUlT_SJ_SK_SL_E_clISE_PjSF_SF_EESI_SY_SJ_SK_SL_EUlSY_E1_NS1_11comp_targetILNS1_3genE10ELNS1_11target_archE1201ELNS1_3gpuE5ELNS1_3repE0EEENS1_36merge_oddeven_config_static_selectorELNS0_4arch9wavefront6targetE1EEEvSK_
		.amdhsa_group_segment_fixed_size 0
		.amdhsa_private_segment_fixed_size 0
		.amdhsa_kernarg_size 56
		.amdhsa_user_sgpr_count 6
		.amdhsa_user_sgpr_private_segment_buffer 1
		.amdhsa_user_sgpr_dispatch_ptr 0
		.amdhsa_user_sgpr_queue_ptr 0
		.amdhsa_user_sgpr_kernarg_segment_ptr 1
		.amdhsa_user_sgpr_dispatch_id 0
		.amdhsa_user_sgpr_flat_scratch_init 0
		.amdhsa_user_sgpr_kernarg_preload_length 0
		.amdhsa_user_sgpr_kernarg_preload_offset 0
		.amdhsa_user_sgpr_private_segment_size 0
		.amdhsa_uses_dynamic_stack 0
		.amdhsa_system_sgpr_private_segment_wavefront_offset 0
		.amdhsa_system_sgpr_workgroup_id_x 1
		.amdhsa_system_sgpr_workgroup_id_y 0
		.amdhsa_system_sgpr_workgroup_id_z 0
		.amdhsa_system_sgpr_workgroup_info 0
		.amdhsa_system_vgpr_workitem_id 0
		.amdhsa_next_free_vgpr 1
		.amdhsa_next_free_sgpr 0
		.amdhsa_accum_offset 4
		.amdhsa_reserve_vcc 0
		.amdhsa_reserve_flat_scratch 0
		.amdhsa_float_round_mode_32 0
		.amdhsa_float_round_mode_16_64 0
		.amdhsa_float_denorm_mode_32 3
		.amdhsa_float_denorm_mode_16_64 3
		.amdhsa_dx10_clamp 1
		.amdhsa_ieee_mode 1
		.amdhsa_fp16_overflow 0
		.amdhsa_tg_split 0
		.amdhsa_exception_fp_ieee_invalid_op 0
		.amdhsa_exception_fp_denorm_src 0
		.amdhsa_exception_fp_ieee_div_zero 0
		.amdhsa_exception_fp_ieee_overflow 0
		.amdhsa_exception_fp_ieee_underflow 0
		.amdhsa_exception_fp_ieee_inexact 0
		.amdhsa_exception_int_div_zero 0
	.end_amdhsa_kernel
	.section	.text._ZN7rocprim17ROCPRIM_400000_NS6detail17trampoline_kernelINS0_14default_configENS1_38merge_sort_block_merge_config_selectorIjNS0_10empty_typeEEEZZNS1_27merge_sort_block_merge_implIS3_N6thrust23THRUST_200600_302600_NS6detail15normal_iteratorINS9_10device_ptrIjEEEEPS5_m14custom_greaterIjEEE10hipError_tT0_T1_T2_jT3_P12ihipStream_tbPNSt15iterator_traitsISJ_E10value_typeEPNSP_ISK_E10value_typeEPSL_NS1_7vsmem_tEENKUlT_SJ_SK_SL_E_clISE_PjSF_SF_EESI_SY_SJ_SK_SL_EUlSY_E1_NS1_11comp_targetILNS1_3genE10ELNS1_11target_archE1201ELNS1_3gpuE5ELNS1_3repE0EEENS1_36merge_oddeven_config_static_selectorELNS0_4arch9wavefront6targetE1EEEvSK_,"axG",@progbits,_ZN7rocprim17ROCPRIM_400000_NS6detail17trampoline_kernelINS0_14default_configENS1_38merge_sort_block_merge_config_selectorIjNS0_10empty_typeEEEZZNS1_27merge_sort_block_merge_implIS3_N6thrust23THRUST_200600_302600_NS6detail15normal_iteratorINS9_10device_ptrIjEEEEPS5_m14custom_greaterIjEEE10hipError_tT0_T1_T2_jT3_P12ihipStream_tbPNSt15iterator_traitsISJ_E10value_typeEPNSP_ISK_E10value_typeEPSL_NS1_7vsmem_tEENKUlT_SJ_SK_SL_E_clISE_PjSF_SF_EESI_SY_SJ_SK_SL_EUlSY_E1_NS1_11comp_targetILNS1_3genE10ELNS1_11target_archE1201ELNS1_3gpuE5ELNS1_3repE0EEENS1_36merge_oddeven_config_static_selectorELNS0_4arch9wavefront6targetE1EEEvSK_,comdat
.Lfunc_end3204:
	.size	_ZN7rocprim17ROCPRIM_400000_NS6detail17trampoline_kernelINS0_14default_configENS1_38merge_sort_block_merge_config_selectorIjNS0_10empty_typeEEEZZNS1_27merge_sort_block_merge_implIS3_N6thrust23THRUST_200600_302600_NS6detail15normal_iteratorINS9_10device_ptrIjEEEEPS5_m14custom_greaterIjEEE10hipError_tT0_T1_T2_jT3_P12ihipStream_tbPNSt15iterator_traitsISJ_E10value_typeEPNSP_ISK_E10value_typeEPSL_NS1_7vsmem_tEENKUlT_SJ_SK_SL_E_clISE_PjSF_SF_EESI_SY_SJ_SK_SL_EUlSY_E1_NS1_11comp_targetILNS1_3genE10ELNS1_11target_archE1201ELNS1_3gpuE5ELNS1_3repE0EEENS1_36merge_oddeven_config_static_selectorELNS0_4arch9wavefront6targetE1EEEvSK_, .Lfunc_end3204-_ZN7rocprim17ROCPRIM_400000_NS6detail17trampoline_kernelINS0_14default_configENS1_38merge_sort_block_merge_config_selectorIjNS0_10empty_typeEEEZZNS1_27merge_sort_block_merge_implIS3_N6thrust23THRUST_200600_302600_NS6detail15normal_iteratorINS9_10device_ptrIjEEEEPS5_m14custom_greaterIjEEE10hipError_tT0_T1_T2_jT3_P12ihipStream_tbPNSt15iterator_traitsISJ_E10value_typeEPNSP_ISK_E10value_typeEPSL_NS1_7vsmem_tEENKUlT_SJ_SK_SL_E_clISE_PjSF_SF_EESI_SY_SJ_SK_SL_EUlSY_E1_NS1_11comp_targetILNS1_3genE10ELNS1_11target_archE1201ELNS1_3gpuE5ELNS1_3repE0EEENS1_36merge_oddeven_config_static_selectorELNS0_4arch9wavefront6targetE1EEEvSK_
                                        ; -- End function
	.section	.AMDGPU.csdata,"",@progbits
; Kernel info:
; codeLenInByte = 0
; NumSgprs: 4
; NumVgprs: 0
; NumAgprs: 0
; TotalNumVgprs: 0
; ScratchSize: 0
; MemoryBound: 0
; FloatMode: 240
; IeeeMode: 1
; LDSByteSize: 0 bytes/workgroup (compile time only)
; SGPRBlocks: 0
; VGPRBlocks: 0
; NumSGPRsForWavesPerEU: 4
; NumVGPRsForWavesPerEU: 1
; AccumOffset: 4
; Occupancy: 8
; WaveLimiterHint : 0
; COMPUTE_PGM_RSRC2:SCRATCH_EN: 0
; COMPUTE_PGM_RSRC2:USER_SGPR: 6
; COMPUTE_PGM_RSRC2:TRAP_HANDLER: 0
; COMPUTE_PGM_RSRC2:TGID_X_EN: 1
; COMPUTE_PGM_RSRC2:TGID_Y_EN: 0
; COMPUTE_PGM_RSRC2:TGID_Z_EN: 0
; COMPUTE_PGM_RSRC2:TIDIG_COMP_CNT: 0
; COMPUTE_PGM_RSRC3_GFX90A:ACCUM_OFFSET: 0
; COMPUTE_PGM_RSRC3_GFX90A:TG_SPLIT: 0
	.section	.text._ZN7rocprim17ROCPRIM_400000_NS6detail17trampoline_kernelINS0_14default_configENS1_38merge_sort_block_merge_config_selectorIjNS0_10empty_typeEEEZZNS1_27merge_sort_block_merge_implIS3_N6thrust23THRUST_200600_302600_NS6detail15normal_iteratorINS9_10device_ptrIjEEEEPS5_m14custom_greaterIjEEE10hipError_tT0_T1_T2_jT3_P12ihipStream_tbPNSt15iterator_traitsISJ_E10value_typeEPNSP_ISK_E10value_typeEPSL_NS1_7vsmem_tEENKUlT_SJ_SK_SL_E_clISE_PjSF_SF_EESI_SY_SJ_SK_SL_EUlSY_E1_NS1_11comp_targetILNS1_3genE5ELNS1_11target_archE942ELNS1_3gpuE9ELNS1_3repE0EEENS1_36merge_oddeven_config_static_selectorELNS0_4arch9wavefront6targetE1EEEvSK_,"axG",@progbits,_ZN7rocprim17ROCPRIM_400000_NS6detail17trampoline_kernelINS0_14default_configENS1_38merge_sort_block_merge_config_selectorIjNS0_10empty_typeEEEZZNS1_27merge_sort_block_merge_implIS3_N6thrust23THRUST_200600_302600_NS6detail15normal_iteratorINS9_10device_ptrIjEEEEPS5_m14custom_greaterIjEEE10hipError_tT0_T1_T2_jT3_P12ihipStream_tbPNSt15iterator_traitsISJ_E10value_typeEPNSP_ISK_E10value_typeEPSL_NS1_7vsmem_tEENKUlT_SJ_SK_SL_E_clISE_PjSF_SF_EESI_SY_SJ_SK_SL_EUlSY_E1_NS1_11comp_targetILNS1_3genE5ELNS1_11target_archE942ELNS1_3gpuE9ELNS1_3repE0EEENS1_36merge_oddeven_config_static_selectorELNS0_4arch9wavefront6targetE1EEEvSK_,comdat
	.protected	_ZN7rocprim17ROCPRIM_400000_NS6detail17trampoline_kernelINS0_14default_configENS1_38merge_sort_block_merge_config_selectorIjNS0_10empty_typeEEEZZNS1_27merge_sort_block_merge_implIS3_N6thrust23THRUST_200600_302600_NS6detail15normal_iteratorINS9_10device_ptrIjEEEEPS5_m14custom_greaterIjEEE10hipError_tT0_T1_T2_jT3_P12ihipStream_tbPNSt15iterator_traitsISJ_E10value_typeEPNSP_ISK_E10value_typeEPSL_NS1_7vsmem_tEENKUlT_SJ_SK_SL_E_clISE_PjSF_SF_EESI_SY_SJ_SK_SL_EUlSY_E1_NS1_11comp_targetILNS1_3genE5ELNS1_11target_archE942ELNS1_3gpuE9ELNS1_3repE0EEENS1_36merge_oddeven_config_static_selectorELNS0_4arch9wavefront6targetE1EEEvSK_ ; -- Begin function _ZN7rocprim17ROCPRIM_400000_NS6detail17trampoline_kernelINS0_14default_configENS1_38merge_sort_block_merge_config_selectorIjNS0_10empty_typeEEEZZNS1_27merge_sort_block_merge_implIS3_N6thrust23THRUST_200600_302600_NS6detail15normal_iteratorINS9_10device_ptrIjEEEEPS5_m14custom_greaterIjEEE10hipError_tT0_T1_T2_jT3_P12ihipStream_tbPNSt15iterator_traitsISJ_E10value_typeEPNSP_ISK_E10value_typeEPSL_NS1_7vsmem_tEENKUlT_SJ_SK_SL_E_clISE_PjSF_SF_EESI_SY_SJ_SK_SL_EUlSY_E1_NS1_11comp_targetILNS1_3genE5ELNS1_11target_archE942ELNS1_3gpuE9ELNS1_3repE0EEENS1_36merge_oddeven_config_static_selectorELNS0_4arch9wavefront6targetE1EEEvSK_
	.globl	_ZN7rocprim17ROCPRIM_400000_NS6detail17trampoline_kernelINS0_14default_configENS1_38merge_sort_block_merge_config_selectorIjNS0_10empty_typeEEEZZNS1_27merge_sort_block_merge_implIS3_N6thrust23THRUST_200600_302600_NS6detail15normal_iteratorINS9_10device_ptrIjEEEEPS5_m14custom_greaterIjEEE10hipError_tT0_T1_T2_jT3_P12ihipStream_tbPNSt15iterator_traitsISJ_E10value_typeEPNSP_ISK_E10value_typeEPSL_NS1_7vsmem_tEENKUlT_SJ_SK_SL_E_clISE_PjSF_SF_EESI_SY_SJ_SK_SL_EUlSY_E1_NS1_11comp_targetILNS1_3genE5ELNS1_11target_archE942ELNS1_3gpuE9ELNS1_3repE0EEENS1_36merge_oddeven_config_static_selectorELNS0_4arch9wavefront6targetE1EEEvSK_
	.p2align	8
	.type	_ZN7rocprim17ROCPRIM_400000_NS6detail17trampoline_kernelINS0_14default_configENS1_38merge_sort_block_merge_config_selectorIjNS0_10empty_typeEEEZZNS1_27merge_sort_block_merge_implIS3_N6thrust23THRUST_200600_302600_NS6detail15normal_iteratorINS9_10device_ptrIjEEEEPS5_m14custom_greaterIjEEE10hipError_tT0_T1_T2_jT3_P12ihipStream_tbPNSt15iterator_traitsISJ_E10value_typeEPNSP_ISK_E10value_typeEPSL_NS1_7vsmem_tEENKUlT_SJ_SK_SL_E_clISE_PjSF_SF_EESI_SY_SJ_SK_SL_EUlSY_E1_NS1_11comp_targetILNS1_3genE5ELNS1_11target_archE942ELNS1_3gpuE9ELNS1_3repE0EEENS1_36merge_oddeven_config_static_selectorELNS0_4arch9wavefront6targetE1EEEvSK_,@function
_ZN7rocprim17ROCPRIM_400000_NS6detail17trampoline_kernelINS0_14default_configENS1_38merge_sort_block_merge_config_selectorIjNS0_10empty_typeEEEZZNS1_27merge_sort_block_merge_implIS3_N6thrust23THRUST_200600_302600_NS6detail15normal_iteratorINS9_10device_ptrIjEEEEPS5_m14custom_greaterIjEEE10hipError_tT0_T1_T2_jT3_P12ihipStream_tbPNSt15iterator_traitsISJ_E10value_typeEPNSP_ISK_E10value_typeEPSL_NS1_7vsmem_tEENKUlT_SJ_SK_SL_E_clISE_PjSF_SF_EESI_SY_SJ_SK_SL_EUlSY_E1_NS1_11comp_targetILNS1_3genE5ELNS1_11target_archE942ELNS1_3gpuE9ELNS1_3repE0EEENS1_36merge_oddeven_config_static_selectorELNS0_4arch9wavefront6targetE1EEEvSK_: ; @_ZN7rocprim17ROCPRIM_400000_NS6detail17trampoline_kernelINS0_14default_configENS1_38merge_sort_block_merge_config_selectorIjNS0_10empty_typeEEEZZNS1_27merge_sort_block_merge_implIS3_N6thrust23THRUST_200600_302600_NS6detail15normal_iteratorINS9_10device_ptrIjEEEEPS5_m14custom_greaterIjEEE10hipError_tT0_T1_T2_jT3_P12ihipStream_tbPNSt15iterator_traitsISJ_E10value_typeEPNSP_ISK_E10value_typeEPSL_NS1_7vsmem_tEENKUlT_SJ_SK_SL_E_clISE_PjSF_SF_EESI_SY_SJ_SK_SL_EUlSY_E1_NS1_11comp_targetILNS1_3genE5ELNS1_11target_archE942ELNS1_3gpuE9ELNS1_3repE0EEENS1_36merge_oddeven_config_static_selectorELNS0_4arch9wavefront6targetE1EEEvSK_
; %bb.0:
	.section	.rodata,"a",@progbits
	.p2align	6, 0x0
	.amdhsa_kernel _ZN7rocprim17ROCPRIM_400000_NS6detail17trampoline_kernelINS0_14default_configENS1_38merge_sort_block_merge_config_selectorIjNS0_10empty_typeEEEZZNS1_27merge_sort_block_merge_implIS3_N6thrust23THRUST_200600_302600_NS6detail15normal_iteratorINS9_10device_ptrIjEEEEPS5_m14custom_greaterIjEEE10hipError_tT0_T1_T2_jT3_P12ihipStream_tbPNSt15iterator_traitsISJ_E10value_typeEPNSP_ISK_E10value_typeEPSL_NS1_7vsmem_tEENKUlT_SJ_SK_SL_E_clISE_PjSF_SF_EESI_SY_SJ_SK_SL_EUlSY_E1_NS1_11comp_targetILNS1_3genE5ELNS1_11target_archE942ELNS1_3gpuE9ELNS1_3repE0EEENS1_36merge_oddeven_config_static_selectorELNS0_4arch9wavefront6targetE1EEEvSK_
		.amdhsa_group_segment_fixed_size 0
		.amdhsa_private_segment_fixed_size 0
		.amdhsa_kernarg_size 56
		.amdhsa_user_sgpr_count 6
		.amdhsa_user_sgpr_private_segment_buffer 1
		.amdhsa_user_sgpr_dispatch_ptr 0
		.amdhsa_user_sgpr_queue_ptr 0
		.amdhsa_user_sgpr_kernarg_segment_ptr 1
		.amdhsa_user_sgpr_dispatch_id 0
		.amdhsa_user_sgpr_flat_scratch_init 0
		.amdhsa_user_sgpr_kernarg_preload_length 0
		.amdhsa_user_sgpr_kernarg_preload_offset 0
		.amdhsa_user_sgpr_private_segment_size 0
		.amdhsa_uses_dynamic_stack 0
		.amdhsa_system_sgpr_private_segment_wavefront_offset 0
		.amdhsa_system_sgpr_workgroup_id_x 1
		.amdhsa_system_sgpr_workgroup_id_y 0
		.amdhsa_system_sgpr_workgroup_id_z 0
		.amdhsa_system_sgpr_workgroup_info 0
		.amdhsa_system_vgpr_workitem_id 0
		.amdhsa_next_free_vgpr 1
		.amdhsa_next_free_sgpr 0
		.amdhsa_accum_offset 4
		.amdhsa_reserve_vcc 0
		.amdhsa_reserve_flat_scratch 0
		.amdhsa_float_round_mode_32 0
		.amdhsa_float_round_mode_16_64 0
		.amdhsa_float_denorm_mode_32 3
		.amdhsa_float_denorm_mode_16_64 3
		.amdhsa_dx10_clamp 1
		.amdhsa_ieee_mode 1
		.amdhsa_fp16_overflow 0
		.amdhsa_tg_split 0
		.amdhsa_exception_fp_ieee_invalid_op 0
		.amdhsa_exception_fp_denorm_src 0
		.amdhsa_exception_fp_ieee_div_zero 0
		.amdhsa_exception_fp_ieee_overflow 0
		.amdhsa_exception_fp_ieee_underflow 0
		.amdhsa_exception_fp_ieee_inexact 0
		.amdhsa_exception_int_div_zero 0
	.end_amdhsa_kernel
	.section	.text._ZN7rocprim17ROCPRIM_400000_NS6detail17trampoline_kernelINS0_14default_configENS1_38merge_sort_block_merge_config_selectorIjNS0_10empty_typeEEEZZNS1_27merge_sort_block_merge_implIS3_N6thrust23THRUST_200600_302600_NS6detail15normal_iteratorINS9_10device_ptrIjEEEEPS5_m14custom_greaterIjEEE10hipError_tT0_T1_T2_jT3_P12ihipStream_tbPNSt15iterator_traitsISJ_E10value_typeEPNSP_ISK_E10value_typeEPSL_NS1_7vsmem_tEENKUlT_SJ_SK_SL_E_clISE_PjSF_SF_EESI_SY_SJ_SK_SL_EUlSY_E1_NS1_11comp_targetILNS1_3genE5ELNS1_11target_archE942ELNS1_3gpuE9ELNS1_3repE0EEENS1_36merge_oddeven_config_static_selectorELNS0_4arch9wavefront6targetE1EEEvSK_,"axG",@progbits,_ZN7rocprim17ROCPRIM_400000_NS6detail17trampoline_kernelINS0_14default_configENS1_38merge_sort_block_merge_config_selectorIjNS0_10empty_typeEEEZZNS1_27merge_sort_block_merge_implIS3_N6thrust23THRUST_200600_302600_NS6detail15normal_iteratorINS9_10device_ptrIjEEEEPS5_m14custom_greaterIjEEE10hipError_tT0_T1_T2_jT3_P12ihipStream_tbPNSt15iterator_traitsISJ_E10value_typeEPNSP_ISK_E10value_typeEPSL_NS1_7vsmem_tEENKUlT_SJ_SK_SL_E_clISE_PjSF_SF_EESI_SY_SJ_SK_SL_EUlSY_E1_NS1_11comp_targetILNS1_3genE5ELNS1_11target_archE942ELNS1_3gpuE9ELNS1_3repE0EEENS1_36merge_oddeven_config_static_selectorELNS0_4arch9wavefront6targetE1EEEvSK_,comdat
.Lfunc_end3205:
	.size	_ZN7rocprim17ROCPRIM_400000_NS6detail17trampoline_kernelINS0_14default_configENS1_38merge_sort_block_merge_config_selectorIjNS0_10empty_typeEEEZZNS1_27merge_sort_block_merge_implIS3_N6thrust23THRUST_200600_302600_NS6detail15normal_iteratorINS9_10device_ptrIjEEEEPS5_m14custom_greaterIjEEE10hipError_tT0_T1_T2_jT3_P12ihipStream_tbPNSt15iterator_traitsISJ_E10value_typeEPNSP_ISK_E10value_typeEPSL_NS1_7vsmem_tEENKUlT_SJ_SK_SL_E_clISE_PjSF_SF_EESI_SY_SJ_SK_SL_EUlSY_E1_NS1_11comp_targetILNS1_3genE5ELNS1_11target_archE942ELNS1_3gpuE9ELNS1_3repE0EEENS1_36merge_oddeven_config_static_selectorELNS0_4arch9wavefront6targetE1EEEvSK_, .Lfunc_end3205-_ZN7rocprim17ROCPRIM_400000_NS6detail17trampoline_kernelINS0_14default_configENS1_38merge_sort_block_merge_config_selectorIjNS0_10empty_typeEEEZZNS1_27merge_sort_block_merge_implIS3_N6thrust23THRUST_200600_302600_NS6detail15normal_iteratorINS9_10device_ptrIjEEEEPS5_m14custom_greaterIjEEE10hipError_tT0_T1_T2_jT3_P12ihipStream_tbPNSt15iterator_traitsISJ_E10value_typeEPNSP_ISK_E10value_typeEPSL_NS1_7vsmem_tEENKUlT_SJ_SK_SL_E_clISE_PjSF_SF_EESI_SY_SJ_SK_SL_EUlSY_E1_NS1_11comp_targetILNS1_3genE5ELNS1_11target_archE942ELNS1_3gpuE9ELNS1_3repE0EEENS1_36merge_oddeven_config_static_selectorELNS0_4arch9wavefront6targetE1EEEvSK_
                                        ; -- End function
	.section	.AMDGPU.csdata,"",@progbits
; Kernel info:
; codeLenInByte = 0
; NumSgprs: 4
; NumVgprs: 0
; NumAgprs: 0
; TotalNumVgprs: 0
; ScratchSize: 0
; MemoryBound: 0
; FloatMode: 240
; IeeeMode: 1
; LDSByteSize: 0 bytes/workgroup (compile time only)
; SGPRBlocks: 0
; VGPRBlocks: 0
; NumSGPRsForWavesPerEU: 4
; NumVGPRsForWavesPerEU: 1
; AccumOffset: 4
; Occupancy: 8
; WaveLimiterHint : 0
; COMPUTE_PGM_RSRC2:SCRATCH_EN: 0
; COMPUTE_PGM_RSRC2:USER_SGPR: 6
; COMPUTE_PGM_RSRC2:TRAP_HANDLER: 0
; COMPUTE_PGM_RSRC2:TGID_X_EN: 1
; COMPUTE_PGM_RSRC2:TGID_Y_EN: 0
; COMPUTE_PGM_RSRC2:TGID_Z_EN: 0
; COMPUTE_PGM_RSRC2:TIDIG_COMP_CNT: 0
; COMPUTE_PGM_RSRC3_GFX90A:ACCUM_OFFSET: 0
; COMPUTE_PGM_RSRC3_GFX90A:TG_SPLIT: 0
	.section	.text._ZN7rocprim17ROCPRIM_400000_NS6detail17trampoline_kernelINS0_14default_configENS1_38merge_sort_block_merge_config_selectorIjNS0_10empty_typeEEEZZNS1_27merge_sort_block_merge_implIS3_N6thrust23THRUST_200600_302600_NS6detail15normal_iteratorINS9_10device_ptrIjEEEEPS5_m14custom_greaterIjEEE10hipError_tT0_T1_T2_jT3_P12ihipStream_tbPNSt15iterator_traitsISJ_E10value_typeEPNSP_ISK_E10value_typeEPSL_NS1_7vsmem_tEENKUlT_SJ_SK_SL_E_clISE_PjSF_SF_EESI_SY_SJ_SK_SL_EUlSY_E1_NS1_11comp_targetILNS1_3genE4ELNS1_11target_archE910ELNS1_3gpuE8ELNS1_3repE0EEENS1_36merge_oddeven_config_static_selectorELNS0_4arch9wavefront6targetE1EEEvSK_,"axG",@progbits,_ZN7rocprim17ROCPRIM_400000_NS6detail17trampoline_kernelINS0_14default_configENS1_38merge_sort_block_merge_config_selectorIjNS0_10empty_typeEEEZZNS1_27merge_sort_block_merge_implIS3_N6thrust23THRUST_200600_302600_NS6detail15normal_iteratorINS9_10device_ptrIjEEEEPS5_m14custom_greaterIjEEE10hipError_tT0_T1_T2_jT3_P12ihipStream_tbPNSt15iterator_traitsISJ_E10value_typeEPNSP_ISK_E10value_typeEPSL_NS1_7vsmem_tEENKUlT_SJ_SK_SL_E_clISE_PjSF_SF_EESI_SY_SJ_SK_SL_EUlSY_E1_NS1_11comp_targetILNS1_3genE4ELNS1_11target_archE910ELNS1_3gpuE8ELNS1_3repE0EEENS1_36merge_oddeven_config_static_selectorELNS0_4arch9wavefront6targetE1EEEvSK_,comdat
	.protected	_ZN7rocprim17ROCPRIM_400000_NS6detail17trampoline_kernelINS0_14default_configENS1_38merge_sort_block_merge_config_selectorIjNS0_10empty_typeEEEZZNS1_27merge_sort_block_merge_implIS3_N6thrust23THRUST_200600_302600_NS6detail15normal_iteratorINS9_10device_ptrIjEEEEPS5_m14custom_greaterIjEEE10hipError_tT0_T1_T2_jT3_P12ihipStream_tbPNSt15iterator_traitsISJ_E10value_typeEPNSP_ISK_E10value_typeEPSL_NS1_7vsmem_tEENKUlT_SJ_SK_SL_E_clISE_PjSF_SF_EESI_SY_SJ_SK_SL_EUlSY_E1_NS1_11comp_targetILNS1_3genE4ELNS1_11target_archE910ELNS1_3gpuE8ELNS1_3repE0EEENS1_36merge_oddeven_config_static_selectorELNS0_4arch9wavefront6targetE1EEEvSK_ ; -- Begin function _ZN7rocprim17ROCPRIM_400000_NS6detail17trampoline_kernelINS0_14default_configENS1_38merge_sort_block_merge_config_selectorIjNS0_10empty_typeEEEZZNS1_27merge_sort_block_merge_implIS3_N6thrust23THRUST_200600_302600_NS6detail15normal_iteratorINS9_10device_ptrIjEEEEPS5_m14custom_greaterIjEEE10hipError_tT0_T1_T2_jT3_P12ihipStream_tbPNSt15iterator_traitsISJ_E10value_typeEPNSP_ISK_E10value_typeEPSL_NS1_7vsmem_tEENKUlT_SJ_SK_SL_E_clISE_PjSF_SF_EESI_SY_SJ_SK_SL_EUlSY_E1_NS1_11comp_targetILNS1_3genE4ELNS1_11target_archE910ELNS1_3gpuE8ELNS1_3repE0EEENS1_36merge_oddeven_config_static_selectorELNS0_4arch9wavefront6targetE1EEEvSK_
	.globl	_ZN7rocprim17ROCPRIM_400000_NS6detail17trampoline_kernelINS0_14default_configENS1_38merge_sort_block_merge_config_selectorIjNS0_10empty_typeEEEZZNS1_27merge_sort_block_merge_implIS3_N6thrust23THRUST_200600_302600_NS6detail15normal_iteratorINS9_10device_ptrIjEEEEPS5_m14custom_greaterIjEEE10hipError_tT0_T1_T2_jT3_P12ihipStream_tbPNSt15iterator_traitsISJ_E10value_typeEPNSP_ISK_E10value_typeEPSL_NS1_7vsmem_tEENKUlT_SJ_SK_SL_E_clISE_PjSF_SF_EESI_SY_SJ_SK_SL_EUlSY_E1_NS1_11comp_targetILNS1_3genE4ELNS1_11target_archE910ELNS1_3gpuE8ELNS1_3repE0EEENS1_36merge_oddeven_config_static_selectorELNS0_4arch9wavefront6targetE1EEEvSK_
	.p2align	8
	.type	_ZN7rocprim17ROCPRIM_400000_NS6detail17trampoline_kernelINS0_14default_configENS1_38merge_sort_block_merge_config_selectorIjNS0_10empty_typeEEEZZNS1_27merge_sort_block_merge_implIS3_N6thrust23THRUST_200600_302600_NS6detail15normal_iteratorINS9_10device_ptrIjEEEEPS5_m14custom_greaterIjEEE10hipError_tT0_T1_T2_jT3_P12ihipStream_tbPNSt15iterator_traitsISJ_E10value_typeEPNSP_ISK_E10value_typeEPSL_NS1_7vsmem_tEENKUlT_SJ_SK_SL_E_clISE_PjSF_SF_EESI_SY_SJ_SK_SL_EUlSY_E1_NS1_11comp_targetILNS1_3genE4ELNS1_11target_archE910ELNS1_3gpuE8ELNS1_3repE0EEENS1_36merge_oddeven_config_static_selectorELNS0_4arch9wavefront6targetE1EEEvSK_,@function
_ZN7rocprim17ROCPRIM_400000_NS6detail17trampoline_kernelINS0_14default_configENS1_38merge_sort_block_merge_config_selectorIjNS0_10empty_typeEEEZZNS1_27merge_sort_block_merge_implIS3_N6thrust23THRUST_200600_302600_NS6detail15normal_iteratorINS9_10device_ptrIjEEEEPS5_m14custom_greaterIjEEE10hipError_tT0_T1_T2_jT3_P12ihipStream_tbPNSt15iterator_traitsISJ_E10value_typeEPNSP_ISK_E10value_typeEPSL_NS1_7vsmem_tEENKUlT_SJ_SK_SL_E_clISE_PjSF_SF_EESI_SY_SJ_SK_SL_EUlSY_E1_NS1_11comp_targetILNS1_3genE4ELNS1_11target_archE910ELNS1_3gpuE8ELNS1_3repE0EEENS1_36merge_oddeven_config_static_selectorELNS0_4arch9wavefront6targetE1EEEvSK_: ; @_ZN7rocprim17ROCPRIM_400000_NS6detail17trampoline_kernelINS0_14default_configENS1_38merge_sort_block_merge_config_selectorIjNS0_10empty_typeEEEZZNS1_27merge_sort_block_merge_implIS3_N6thrust23THRUST_200600_302600_NS6detail15normal_iteratorINS9_10device_ptrIjEEEEPS5_m14custom_greaterIjEEE10hipError_tT0_T1_T2_jT3_P12ihipStream_tbPNSt15iterator_traitsISJ_E10value_typeEPNSP_ISK_E10value_typeEPSL_NS1_7vsmem_tEENKUlT_SJ_SK_SL_E_clISE_PjSF_SF_EESI_SY_SJ_SK_SL_EUlSY_E1_NS1_11comp_targetILNS1_3genE4ELNS1_11target_archE910ELNS1_3gpuE8ELNS1_3repE0EEENS1_36merge_oddeven_config_static_selectorELNS0_4arch9wavefront6targetE1EEEvSK_
; %bb.0:
	s_load_dword s18, s[4:5], 0x20
	s_waitcnt lgkmcnt(0)
	s_lshr_b32 s0, s18, 8
	s_cmp_lg_u32 s6, s0
	s_cselect_b64 s[14:15], -1, 0
	s_cmp_eq_u32 s6, s0
	s_cselect_b64 s[12:13], -1, 0
	s_lshl_b32 s16, s6, 8
	s_sub_i32 s0, s18, s16
	v_cmp_gt_u32_e64 s[2:3], s0, v0
	s_or_b64 s[0:1], s[14:15], s[2:3]
	s_and_saveexec_b64 s[8:9], s[0:1]
	s_cbranch_execz .LBB3206_20
; %bb.1:
	s_load_dwordx4 s[8:11], s[4:5], 0x0
	s_load_dword s19, s[4:5], 0x28
	s_mov_b32 s17, 0
	s_lshl_b64 s[0:1], s[16:17], 2
	v_lshlrev_b32_e32 v1, 2, v0
	s_waitcnt lgkmcnt(0)
	s_add_u32 s0, s8, s0
	s_addc_u32 s1, s9, s1
	global_load_dword v2, v1, s[0:1]
	s_lshr_b32 s0, s19, 8
	s_sub_i32 s1, 0, s0
	s_and_b32 s1, s6, s1
	s_and_b32 s0, s1, s0
	s_lshl_b32 s20, s1, 8
	s_sub_i32 s6, 0, s19
	s_cmp_eq_u32 s0, 0
	s_cselect_b64 s[0:1], -1, 0
	s_and_b64 s[4:5], s[0:1], exec
	s_cselect_b32 s17, s19, s6
	s_add_i32 s17, s17, s20
	s_cmp_lt_u32 s17, s18
	v_add_u32_e32 v0, s16, v0
	s_cbranch_scc1 .LBB3206_3
; %bb.2:
	v_cmp_gt_u32_e32 vcc, s18, v0
	s_or_b64 s[4:5], vcc, s[14:15]
	s_and_b64 s[4:5], s[4:5], exec
	s_cbranch_execz .LBB3206_4
	s_branch .LBB3206_18
.LBB3206_3:
	s_mov_b64 s[4:5], 0
.LBB3206_4:
	s_min_u32 s14, s17, s18
	s_add_i32 s6, s14, s19
	s_min_u32 s15, s6, s18
	s_min_u32 s6, s20, s14
	s_add_i32 s20, s20, s14
	v_subrev_u32_e32 v0, s20, v0
	v_add_u32_e32 v3, s6, v0
	s_and_b64 vcc, exec, s[12:13]
	s_cbranch_vccz .LBB3206_12
; %bb.5:
                                        ; implicit-def: $vgpr0
	s_and_saveexec_b64 s[6:7], s[2:3]
	s_cbranch_execz .LBB3206_11
; %bb.6:
	s_cmp_ge_u32 s17, s15
	v_mov_b32_e32 v4, s14
	s_cbranch_scc1 .LBB3206_10
; %bb.7:
	s_mov_b64 s[2:3], 0
	v_mov_b32_e32 v5, s15
	v_mov_b32_e32 v4, s14
	;; [unrolled: 1-line block ×4, first 2 shown]
.LBB3206_8:                             ; =>This Inner Loop Header: Depth=1
	v_add_u32_e32 v0, v4, v5
	v_lshrrev_b32_e32 v0, 1, v0
	v_lshlrev_b64 v[8:9], 2, v[0:1]
	v_add_co_u32_e32 v8, vcc, s8, v8
	v_addc_co_u32_e32 v9, vcc, v6, v9, vcc
	global_load_dword v7, v[8:9], off
	v_add_u32_e32 v8, 1, v0
	s_waitcnt vmcnt(0)
	v_cmp_gt_u32_e32 vcc, v2, v7
	v_cndmask_b32_e64 v9, 0, 1, vcc
	v_cmp_le_u32_e32 vcc, v7, v2
	v_cndmask_b32_e64 v7, 0, 1, vcc
	v_cndmask_b32_e64 v7, v7, v9, s[0:1]
	v_and_b32_e32 v7, 1, v7
	v_cmp_eq_u32_e32 vcc, 1, v7
	v_cndmask_b32_e32 v5, v0, v5, vcc
	v_cndmask_b32_e32 v4, v4, v8, vcc
	v_cmp_ge_u32_e32 vcc, v4, v5
	s_or_b64 s[2:3], vcc, s[2:3]
	s_andn2_b64 exec, exec, s[2:3]
	s_cbranch_execnz .LBB3206_8
; %bb.9:
	s_or_b64 exec, exec, s[2:3]
.LBB3206_10:
	v_add_u32_e32 v0, v4, v3
	s_or_b64 s[4:5], s[4:5], exec
.LBB3206_11:
	s_or_b64 exec, exec, s[6:7]
	s_branch .LBB3206_18
.LBB3206_12:
                                        ; implicit-def: $vgpr0
	s_cbranch_execz .LBB3206_18
; %bb.13:
	s_cmp_ge_u32 s17, s15
	v_mov_b32_e32 v4, s14
	s_cbranch_scc1 .LBB3206_17
; %bb.14:
	s_mov_b64 s[2:3], 0
	v_mov_b32_e32 v5, s15
	v_mov_b32_e32 v4, s14
	;; [unrolled: 1-line block ×4, first 2 shown]
.LBB3206_15:                            ; =>This Inner Loop Header: Depth=1
	v_add_u32_e32 v0, v4, v5
	v_lshrrev_b32_e32 v0, 1, v0
	v_lshlrev_b64 v[8:9], 2, v[0:1]
	v_add_co_u32_e32 v8, vcc, s8, v8
	v_addc_co_u32_e32 v9, vcc, v6, v9, vcc
	global_load_dword v7, v[8:9], off
	v_add_u32_e32 v8, 1, v0
	s_waitcnt vmcnt(0)
	v_cmp_gt_u32_e32 vcc, v2, v7
	v_cndmask_b32_e64 v9, 0, 1, vcc
	v_cmp_le_u32_e32 vcc, v7, v2
	v_cndmask_b32_e64 v7, 0, 1, vcc
	v_cndmask_b32_e64 v7, v7, v9, s[0:1]
	v_and_b32_e32 v7, 1, v7
	v_cmp_eq_u32_e32 vcc, 1, v7
	v_cndmask_b32_e32 v5, v0, v5, vcc
	v_cndmask_b32_e32 v4, v4, v8, vcc
	v_cmp_ge_u32_e32 vcc, v4, v5
	s_or_b64 s[2:3], vcc, s[2:3]
	s_andn2_b64 exec, exec, s[2:3]
	s_cbranch_execnz .LBB3206_15
; %bb.16:
	s_or_b64 exec, exec, s[2:3]
.LBB3206_17:
	v_add_u32_e32 v0, v4, v3
	s_mov_b64 s[4:5], -1
.LBB3206_18:
	s_and_b64 exec, exec, s[4:5]
	s_cbranch_execz .LBB3206_20
; %bb.19:
	v_mov_b32_e32 v1, 0
	v_lshlrev_b64 v[0:1], 2, v[0:1]
	v_mov_b32_e32 v3, s11
	v_add_co_u32_e32 v0, vcc, s10, v0
	v_addc_co_u32_e32 v1, vcc, v3, v1, vcc
	s_waitcnt vmcnt(0)
	global_store_dword v[0:1], v2, off
.LBB3206_20:
	s_endpgm
	.section	.rodata,"a",@progbits
	.p2align	6, 0x0
	.amdhsa_kernel _ZN7rocprim17ROCPRIM_400000_NS6detail17trampoline_kernelINS0_14default_configENS1_38merge_sort_block_merge_config_selectorIjNS0_10empty_typeEEEZZNS1_27merge_sort_block_merge_implIS3_N6thrust23THRUST_200600_302600_NS6detail15normal_iteratorINS9_10device_ptrIjEEEEPS5_m14custom_greaterIjEEE10hipError_tT0_T1_T2_jT3_P12ihipStream_tbPNSt15iterator_traitsISJ_E10value_typeEPNSP_ISK_E10value_typeEPSL_NS1_7vsmem_tEENKUlT_SJ_SK_SL_E_clISE_PjSF_SF_EESI_SY_SJ_SK_SL_EUlSY_E1_NS1_11comp_targetILNS1_3genE4ELNS1_11target_archE910ELNS1_3gpuE8ELNS1_3repE0EEENS1_36merge_oddeven_config_static_selectorELNS0_4arch9wavefront6targetE1EEEvSK_
		.amdhsa_group_segment_fixed_size 0
		.amdhsa_private_segment_fixed_size 0
		.amdhsa_kernarg_size 56
		.amdhsa_user_sgpr_count 6
		.amdhsa_user_sgpr_private_segment_buffer 1
		.amdhsa_user_sgpr_dispatch_ptr 0
		.amdhsa_user_sgpr_queue_ptr 0
		.amdhsa_user_sgpr_kernarg_segment_ptr 1
		.amdhsa_user_sgpr_dispatch_id 0
		.amdhsa_user_sgpr_flat_scratch_init 0
		.amdhsa_user_sgpr_kernarg_preload_length 0
		.amdhsa_user_sgpr_kernarg_preload_offset 0
		.amdhsa_user_sgpr_private_segment_size 0
		.amdhsa_uses_dynamic_stack 0
		.amdhsa_system_sgpr_private_segment_wavefront_offset 0
		.amdhsa_system_sgpr_workgroup_id_x 1
		.amdhsa_system_sgpr_workgroup_id_y 0
		.amdhsa_system_sgpr_workgroup_id_z 0
		.amdhsa_system_sgpr_workgroup_info 0
		.amdhsa_system_vgpr_workitem_id 0
		.amdhsa_next_free_vgpr 10
		.amdhsa_next_free_sgpr 21
		.amdhsa_accum_offset 12
		.amdhsa_reserve_vcc 1
		.amdhsa_reserve_flat_scratch 0
		.amdhsa_float_round_mode_32 0
		.amdhsa_float_round_mode_16_64 0
		.amdhsa_float_denorm_mode_32 3
		.amdhsa_float_denorm_mode_16_64 3
		.amdhsa_dx10_clamp 1
		.amdhsa_ieee_mode 1
		.amdhsa_fp16_overflow 0
		.amdhsa_tg_split 0
		.amdhsa_exception_fp_ieee_invalid_op 0
		.amdhsa_exception_fp_denorm_src 0
		.amdhsa_exception_fp_ieee_div_zero 0
		.amdhsa_exception_fp_ieee_overflow 0
		.amdhsa_exception_fp_ieee_underflow 0
		.amdhsa_exception_fp_ieee_inexact 0
		.amdhsa_exception_int_div_zero 0
	.end_amdhsa_kernel
	.section	.text._ZN7rocprim17ROCPRIM_400000_NS6detail17trampoline_kernelINS0_14default_configENS1_38merge_sort_block_merge_config_selectorIjNS0_10empty_typeEEEZZNS1_27merge_sort_block_merge_implIS3_N6thrust23THRUST_200600_302600_NS6detail15normal_iteratorINS9_10device_ptrIjEEEEPS5_m14custom_greaterIjEEE10hipError_tT0_T1_T2_jT3_P12ihipStream_tbPNSt15iterator_traitsISJ_E10value_typeEPNSP_ISK_E10value_typeEPSL_NS1_7vsmem_tEENKUlT_SJ_SK_SL_E_clISE_PjSF_SF_EESI_SY_SJ_SK_SL_EUlSY_E1_NS1_11comp_targetILNS1_3genE4ELNS1_11target_archE910ELNS1_3gpuE8ELNS1_3repE0EEENS1_36merge_oddeven_config_static_selectorELNS0_4arch9wavefront6targetE1EEEvSK_,"axG",@progbits,_ZN7rocprim17ROCPRIM_400000_NS6detail17trampoline_kernelINS0_14default_configENS1_38merge_sort_block_merge_config_selectorIjNS0_10empty_typeEEEZZNS1_27merge_sort_block_merge_implIS3_N6thrust23THRUST_200600_302600_NS6detail15normal_iteratorINS9_10device_ptrIjEEEEPS5_m14custom_greaterIjEEE10hipError_tT0_T1_T2_jT3_P12ihipStream_tbPNSt15iterator_traitsISJ_E10value_typeEPNSP_ISK_E10value_typeEPSL_NS1_7vsmem_tEENKUlT_SJ_SK_SL_E_clISE_PjSF_SF_EESI_SY_SJ_SK_SL_EUlSY_E1_NS1_11comp_targetILNS1_3genE4ELNS1_11target_archE910ELNS1_3gpuE8ELNS1_3repE0EEENS1_36merge_oddeven_config_static_selectorELNS0_4arch9wavefront6targetE1EEEvSK_,comdat
.Lfunc_end3206:
	.size	_ZN7rocprim17ROCPRIM_400000_NS6detail17trampoline_kernelINS0_14default_configENS1_38merge_sort_block_merge_config_selectorIjNS0_10empty_typeEEEZZNS1_27merge_sort_block_merge_implIS3_N6thrust23THRUST_200600_302600_NS6detail15normal_iteratorINS9_10device_ptrIjEEEEPS5_m14custom_greaterIjEEE10hipError_tT0_T1_T2_jT3_P12ihipStream_tbPNSt15iterator_traitsISJ_E10value_typeEPNSP_ISK_E10value_typeEPSL_NS1_7vsmem_tEENKUlT_SJ_SK_SL_E_clISE_PjSF_SF_EESI_SY_SJ_SK_SL_EUlSY_E1_NS1_11comp_targetILNS1_3genE4ELNS1_11target_archE910ELNS1_3gpuE8ELNS1_3repE0EEENS1_36merge_oddeven_config_static_selectorELNS0_4arch9wavefront6targetE1EEEvSK_, .Lfunc_end3206-_ZN7rocprim17ROCPRIM_400000_NS6detail17trampoline_kernelINS0_14default_configENS1_38merge_sort_block_merge_config_selectorIjNS0_10empty_typeEEEZZNS1_27merge_sort_block_merge_implIS3_N6thrust23THRUST_200600_302600_NS6detail15normal_iteratorINS9_10device_ptrIjEEEEPS5_m14custom_greaterIjEEE10hipError_tT0_T1_T2_jT3_P12ihipStream_tbPNSt15iterator_traitsISJ_E10value_typeEPNSP_ISK_E10value_typeEPSL_NS1_7vsmem_tEENKUlT_SJ_SK_SL_E_clISE_PjSF_SF_EESI_SY_SJ_SK_SL_EUlSY_E1_NS1_11comp_targetILNS1_3genE4ELNS1_11target_archE910ELNS1_3gpuE8ELNS1_3repE0EEENS1_36merge_oddeven_config_static_selectorELNS0_4arch9wavefront6targetE1EEEvSK_
                                        ; -- End function
	.section	.AMDGPU.csdata,"",@progbits
; Kernel info:
; codeLenInByte = 588
; NumSgprs: 25
; NumVgprs: 10
; NumAgprs: 0
; TotalNumVgprs: 10
; ScratchSize: 0
; MemoryBound: 0
; FloatMode: 240
; IeeeMode: 1
; LDSByteSize: 0 bytes/workgroup (compile time only)
; SGPRBlocks: 3
; VGPRBlocks: 1
; NumSGPRsForWavesPerEU: 25
; NumVGPRsForWavesPerEU: 10
; AccumOffset: 12
; Occupancy: 8
; WaveLimiterHint : 0
; COMPUTE_PGM_RSRC2:SCRATCH_EN: 0
; COMPUTE_PGM_RSRC2:USER_SGPR: 6
; COMPUTE_PGM_RSRC2:TRAP_HANDLER: 0
; COMPUTE_PGM_RSRC2:TGID_X_EN: 1
; COMPUTE_PGM_RSRC2:TGID_Y_EN: 0
; COMPUTE_PGM_RSRC2:TGID_Z_EN: 0
; COMPUTE_PGM_RSRC2:TIDIG_COMP_CNT: 0
; COMPUTE_PGM_RSRC3_GFX90A:ACCUM_OFFSET: 2
; COMPUTE_PGM_RSRC3_GFX90A:TG_SPLIT: 0
	.section	.text._ZN7rocprim17ROCPRIM_400000_NS6detail17trampoline_kernelINS0_14default_configENS1_38merge_sort_block_merge_config_selectorIjNS0_10empty_typeEEEZZNS1_27merge_sort_block_merge_implIS3_N6thrust23THRUST_200600_302600_NS6detail15normal_iteratorINS9_10device_ptrIjEEEEPS5_m14custom_greaterIjEEE10hipError_tT0_T1_T2_jT3_P12ihipStream_tbPNSt15iterator_traitsISJ_E10value_typeEPNSP_ISK_E10value_typeEPSL_NS1_7vsmem_tEENKUlT_SJ_SK_SL_E_clISE_PjSF_SF_EESI_SY_SJ_SK_SL_EUlSY_E1_NS1_11comp_targetILNS1_3genE3ELNS1_11target_archE908ELNS1_3gpuE7ELNS1_3repE0EEENS1_36merge_oddeven_config_static_selectorELNS0_4arch9wavefront6targetE1EEEvSK_,"axG",@progbits,_ZN7rocprim17ROCPRIM_400000_NS6detail17trampoline_kernelINS0_14default_configENS1_38merge_sort_block_merge_config_selectorIjNS0_10empty_typeEEEZZNS1_27merge_sort_block_merge_implIS3_N6thrust23THRUST_200600_302600_NS6detail15normal_iteratorINS9_10device_ptrIjEEEEPS5_m14custom_greaterIjEEE10hipError_tT0_T1_T2_jT3_P12ihipStream_tbPNSt15iterator_traitsISJ_E10value_typeEPNSP_ISK_E10value_typeEPSL_NS1_7vsmem_tEENKUlT_SJ_SK_SL_E_clISE_PjSF_SF_EESI_SY_SJ_SK_SL_EUlSY_E1_NS1_11comp_targetILNS1_3genE3ELNS1_11target_archE908ELNS1_3gpuE7ELNS1_3repE0EEENS1_36merge_oddeven_config_static_selectorELNS0_4arch9wavefront6targetE1EEEvSK_,comdat
	.protected	_ZN7rocprim17ROCPRIM_400000_NS6detail17trampoline_kernelINS0_14default_configENS1_38merge_sort_block_merge_config_selectorIjNS0_10empty_typeEEEZZNS1_27merge_sort_block_merge_implIS3_N6thrust23THRUST_200600_302600_NS6detail15normal_iteratorINS9_10device_ptrIjEEEEPS5_m14custom_greaterIjEEE10hipError_tT0_T1_T2_jT3_P12ihipStream_tbPNSt15iterator_traitsISJ_E10value_typeEPNSP_ISK_E10value_typeEPSL_NS1_7vsmem_tEENKUlT_SJ_SK_SL_E_clISE_PjSF_SF_EESI_SY_SJ_SK_SL_EUlSY_E1_NS1_11comp_targetILNS1_3genE3ELNS1_11target_archE908ELNS1_3gpuE7ELNS1_3repE0EEENS1_36merge_oddeven_config_static_selectorELNS0_4arch9wavefront6targetE1EEEvSK_ ; -- Begin function _ZN7rocprim17ROCPRIM_400000_NS6detail17trampoline_kernelINS0_14default_configENS1_38merge_sort_block_merge_config_selectorIjNS0_10empty_typeEEEZZNS1_27merge_sort_block_merge_implIS3_N6thrust23THRUST_200600_302600_NS6detail15normal_iteratorINS9_10device_ptrIjEEEEPS5_m14custom_greaterIjEEE10hipError_tT0_T1_T2_jT3_P12ihipStream_tbPNSt15iterator_traitsISJ_E10value_typeEPNSP_ISK_E10value_typeEPSL_NS1_7vsmem_tEENKUlT_SJ_SK_SL_E_clISE_PjSF_SF_EESI_SY_SJ_SK_SL_EUlSY_E1_NS1_11comp_targetILNS1_3genE3ELNS1_11target_archE908ELNS1_3gpuE7ELNS1_3repE0EEENS1_36merge_oddeven_config_static_selectorELNS0_4arch9wavefront6targetE1EEEvSK_
	.globl	_ZN7rocprim17ROCPRIM_400000_NS6detail17trampoline_kernelINS0_14default_configENS1_38merge_sort_block_merge_config_selectorIjNS0_10empty_typeEEEZZNS1_27merge_sort_block_merge_implIS3_N6thrust23THRUST_200600_302600_NS6detail15normal_iteratorINS9_10device_ptrIjEEEEPS5_m14custom_greaterIjEEE10hipError_tT0_T1_T2_jT3_P12ihipStream_tbPNSt15iterator_traitsISJ_E10value_typeEPNSP_ISK_E10value_typeEPSL_NS1_7vsmem_tEENKUlT_SJ_SK_SL_E_clISE_PjSF_SF_EESI_SY_SJ_SK_SL_EUlSY_E1_NS1_11comp_targetILNS1_3genE3ELNS1_11target_archE908ELNS1_3gpuE7ELNS1_3repE0EEENS1_36merge_oddeven_config_static_selectorELNS0_4arch9wavefront6targetE1EEEvSK_
	.p2align	8
	.type	_ZN7rocprim17ROCPRIM_400000_NS6detail17trampoline_kernelINS0_14default_configENS1_38merge_sort_block_merge_config_selectorIjNS0_10empty_typeEEEZZNS1_27merge_sort_block_merge_implIS3_N6thrust23THRUST_200600_302600_NS6detail15normal_iteratorINS9_10device_ptrIjEEEEPS5_m14custom_greaterIjEEE10hipError_tT0_T1_T2_jT3_P12ihipStream_tbPNSt15iterator_traitsISJ_E10value_typeEPNSP_ISK_E10value_typeEPSL_NS1_7vsmem_tEENKUlT_SJ_SK_SL_E_clISE_PjSF_SF_EESI_SY_SJ_SK_SL_EUlSY_E1_NS1_11comp_targetILNS1_3genE3ELNS1_11target_archE908ELNS1_3gpuE7ELNS1_3repE0EEENS1_36merge_oddeven_config_static_selectorELNS0_4arch9wavefront6targetE1EEEvSK_,@function
_ZN7rocprim17ROCPRIM_400000_NS6detail17trampoline_kernelINS0_14default_configENS1_38merge_sort_block_merge_config_selectorIjNS0_10empty_typeEEEZZNS1_27merge_sort_block_merge_implIS3_N6thrust23THRUST_200600_302600_NS6detail15normal_iteratorINS9_10device_ptrIjEEEEPS5_m14custom_greaterIjEEE10hipError_tT0_T1_T2_jT3_P12ihipStream_tbPNSt15iterator_traitsISJ_E10value_typeEPNSP_ISK_E10value_typeEPSL_NS1_7vsmem_tEENKUlT_SJ_SK_SL_E_clISE_PjSF_SF_EESI_SY_SJ_SK_SL_EUlSY_E1_NS1_11comp_targetILNS1_3genE3ELNS1_11target_archE908ELNS1_3gpuE7ELNS1_3repE0EEENS1_36merge_oddeven_config_static_selectorELNS0_4arch9wavefront6targetE1EEEvSK_: ; @_ZN7rocprim17ROCPRIM_400000_NS6detail17trampoline_kernelINS0_14default_configENS1_38merge_sort_block_merge_config_selectorIjNS0_10empty_typeEEEZZNS1_27merge_sort_block_merge_implIS3_N6thrust23THRUST_200600_302600_NS6detail15normal_iteratorINS9_10device_ptrIjEEEEPS5_m14custom_greaterIjEEE10hipError_tT0_T1_T2_jT3_P12ihipStream_tbPNSt15iterator_traitsISJ_E10value_typeEPNSP_ISK_E10value_typeEPSL_NS1_7vsmem_tEENKUlT_SJ_SK_SL_E_clISE_PjSF_SF_EESI_SY_SJ_SK_SL_EUlSY_E1_NS1_11comp_targetILNS1_3genE3ELNS1_11target_archE908ELNS1_3gpuE7ELNS1_3repE0EEENS1_36merge_oddeven_config_static_selectorELNS0_4arch9wavefront6targetE1EEEvSK_
; %bb.0:
	.section	.rodata,"a",@progbits
	.p2align	6, 0x0
	.amdhsa_kernel _ZN7rocprim17ROCPRIM_400000_NS6detail17trampoline_kernelINS0_14default_configENS1_38merge_sort_block_merge_config_selectorIjNS0_10empty_typeEEEZZNS1_27merge_sort_block_merge_implIS3_N6thrust23THRUST_200600_302600_NS6detail15normal_iteratorINS9_10device_ptrIjEEEEPS5_m14custom_greaterIjEEE10hipError_tT0_T1_T2_jT3_P12ihipStream_tbPNSt15iterator_traitsISJ_E10value_typeEPNSP_ISK_E10value_typeEPSL_NS1_7vsmem_tEENKUlT_SJ_SK_SL_E_clISE_PjSF_SF_EESI_SY_SJ_SK_SL_EUlSY_E1_NS1_11comp_targetILNS1_3genE3ELNS1_11target_archE908ELNS1_3gpuE7ELNS1_3repE0EEENS1_36merge_oddeven_config_static_selectorELNS0_4arch9wavefront6targetE1EEEvSK_
		.amdhsa_group_segment_fixed_size 0
		.amdhsa_private_segment_fixed_size 0
		.amdhsa_kernarg_size 56
		.amdhsa_user_sgpr_count 6
		.amdhsa_user_sgpr_private_segment_buffer 1
		.amdhsa_user_sgpr_dispatch_ptr 0
		.amdhsa_user_sgpr_queue_ptr 0
		.amdhsa_user_sgpr_kernarg_segment_ptr 1
		.amdhsa_user_sgpr_dispatch_id 0
		.amdhsa_user_sgpr_flat_scratch_init 0
		.amdhsa_user_sgpr_kernarg_preload_length 0
		.amdhsa_user_sgpr_kernarg_preload_offset 0
		.amdhsa_user_sgpr_private_segment_size 0
		.amdhsa_uses_dynamic_stack 0
		.amdhsa_system_sgpr_private_segment_wavefront_offset 0
		.amdhsa_system_sgpr_workgroup_id_x 1
		.amdhsa_system_sgpr_workgroup_id_y 0
		.amdhsa_system_sgpr_workgroup_id_z 0
		.amdhsa_system_sgpr_workgroup_info 0
		.amdhsa_system_vgpr_workitem_id 0
		.amdhsa_next_free_vgpr 1
		.amdhsa_next_free_sgpr 0
		.amdhsa_accum_offset 4
		.amdhsa_reserve_vcc 0
		.amdhsa_reserve_flat_scratch 0
		.amdhsa_float_round_mode_32 0
		.amdhsa_float_round_mode_16_64 0
		.amdhsa_float_denorm_mode_32 3
		.amdhsa_float_denorm_mode_16_64 3
		.amdhsa_dx10_clamp 1
		.amdhsa_ieee_mode 1
		.amdhsa_fp16_overflow 0
		.amdhsa_tg_split 0
		.amdhsa_exception_fp_ieee_invalid_op 0
		.amdhsa_exception_fp_denorm_src 0
		.amdhsa_exception_fp_ieee_div_zero 0
		.amdhsa_exception_fp_ieee_overflow 0
		.amdhsa_exception_fp_ieee_underflow 0
		.amdhsa_exception_fp_ieee_inexact 0
		.amdhsa_exception_int_div_zero 0
	.end_amdhsa_kernel
	.section	.text._ZN7rocprim17ROCPRIM_400000_NS6detail17trampoline_kernelINS0_14default_configENS1_38merge_sort_block_merge_config_selectorIjNS0_10empty_typeEEEZZNS1_27merge_sort_block_merge_implIS3_N6thrust23THRUST_200600_302600_NS6detail15normal_iteratorINS9_10device_ptrIjEEEEPS5_m14custom_greaterIjEEE10hipError_tT0_T1_T2_jT3_P12ihipStream_tbPNSt15iterator_traitsISJ_E10value_typeEPNSP_ISK_E10value_typeEPSL_NS1_7vsmem_tEENKUlT_SJ_SK_SL_E_clISE_PjSF_SF_EESI_SY_SJ_SK_SL_EUlSY_E1_NS1_11comp_targetILNS1_3genE3ELNS1_11target_archE908ELNS1_3gpuE7ELNS1_3repE0EEENS1_36merge_oddeven_config_static_selectorELNS0_4arch9wavefront6targetE1EEEvSK_,"axG",@progbits,_ZN7rocprim17ROCPRIM_400000_NS6detail17trampoline_kernelINS0_14default_configENS1_38merge_sort_block_merge_config_selectorIjNS0_10empty_typeEEEZZNS1_27merge_sort_block_merge_implIS3_N6thrust23THRUST_200600_302600_NS6detail15normal_iteratorINS9_10device_ptrIjEEEEPS5_m14custom_greaterIjEEE10hipError_tT0_T1_T2_jT3_P12ihipStream_tbPNSt15iterator_traitsISJ_E10value_typeEPNSP_ISK_E10value_typeEPSL_NS1_7vsmem_tEENKUlT_SJ_SK_SL_E_clISE_PjSF_SF_EESI_SY_SJ_SK_SL_EUlSY_E1_NS1_11comp_targetILNS1_3genE3ELNS1_11target_archE908ELNS1_3gpuE7ELNS1_3repE0EEENS1_36merge_oddeven_config_static_selectorELNS0_4arch9wavefront6targetE1EEEvSK_,comdat
.Lfunc_end3207:
	.size	_ZN7rocprim17ROCPRIM_400000_NS6detail17trampoline_kernelINS0_14default_configENS1_38merge_sort_block_merge_config_selectorIjNS0_10empty_typeEEEZZNS1_27merge_sort_block_merge_implIS3_N6thrust23THRUST_200600_302600_NS6detail15normal_iteratorINS9_10device_ptrIjEEEEPS5_m14custom_greaterIjEEE10hipError_tT0_T1_T2_jT3_P12ihipStream_tbPNSt15iterator_traitsISJ_E10value_typeEPNSP_ISK_E10value_typeEPSL_NS1_7vsmem_tEENKUlT_SJ_SK_SL_E_clISE_PjSF_SF_EESI_SY_SJ_SK_SL_EUlSY_E1_NS1_11comp_targetILNS1_3genE3ELNS1_11target_archE908ELNS1_3gpuE7ELNS1_3repE0EEENS1_36merge_oddeven_config_static_selectorELNS0_4arch9wavefront6targetE1EEEvSK_, .Lfunc_end3207-_ZN7rocprim17ROCPRIM_400000_NS6detail17trampoline_kernelINS0_14default_configENS1_38merge_sort_block_merge_config_selectorIjNS0_10empty_typeEEEZZNS1_27merge_sort_block_merge_implIS3_N6thrust23THRUST_200600_302600_NS6detail15normal_iteratorINS9_10device_ptrIjEEEEPS5_m14custom_greaterIjEEE10hipError_tT0_T1_T2_jT3_P12ihipStream_tbPNSt15iterator_traitsISJ_E10value_typeEPNSP_ISK_E10value_typeEPSL_NS1_7vsmem_tEENKUlT_SJ_SK_SL_E_clISE_PjSF_SF_EESI_SY_SJ_SK_SL_EUlSY_E1_NS1_11comp_targetILNS1_3genE3ELNS1_11target_archE908ELNS1_3gpuE7ELNS1_3repE0EEENS1_36merge_oddeven_config_static_selectorELNS0_4arch9wavefront6targetE1EEEvSK_
                                        ; -- End function
	.section	.AMDGPU.csdata,"",@progbits
; Kernel info:
; codeLenInByte = 0
; NumSgprs: 4
; NumVgprs: 0
; NumAgprs: 0
; TotalNumVgprs: 0
; ScratchSize: 0
; MemoryBound: 0
; FloatMode: 240
; IeeeMode: 1
; LDSByteSize: 0 bytes/workgroup (compile time only)
; SGPRBlocks: 0
; VGPRBlocks: 0
; NumSGPRsForWavesPerEU: 4
; NumVGPRsForWavesPerEU: 1
; AccumOffset: 4
; Occupancy: 8
; WaveLimiterHint : 0
; COMPUTE_PGM_RSRC2:SCRATCH_EN: 0
; COMPUTE_PGM_RSRC2:USER_SGPR: 6
; COMPUTE_PGM_RSRC2:TRAP_HANDLER: 0
; COMPUTE_PGM_RSRC2:TGID_X_EN: 1
; COMPUTE_PGM_RSRC2:TGID_Y_EN: 0
; COMPUTE_PGM_RSRC2:TGID_Z_EN: 0
; COMPUTE_PGM_RSRC2:TIDIG_COMP_CNT: 0
; COMPUTE_PGM_RSRC3_GFX90A:ACCUM_OFFSET: 0
; COMPUTE_PGM_RSRC3_GFX90A:TG_SPLIT: 0
	.section	.text._ZN7rocprim17ROCPRIM_400000_NS6detail17trampoline_kernelINS0_14default_configENS1_38merge_sort_block_merge_config_selectorIjNS0_10empty_typeEEEZZNS1_27merge_sort_block_merge_implIS3_N6thrust23THRUST_200600_302600_NS6detail15normal_iteratorINS9_10device_ptrIjEEEEPS5_m14custom_greaterIjEEE10hipError_tT0_T1_T2_jT3_P12ihipStream_tbPNSt15iterator_traitsISJ_E10value_typeEPNSP_ISK_E10value_typeEPSL_NS1_7vsmem_tEENKUlT_SJ_SK_SL_E_clISE_PjSF_SF_EESI_SY_SJ_SK_SL_EUlSY_E1_NS1_11comp_targetILNS1_3genE2ELNS1_11target_archE906ELNS1_3gpuE6ELNS1_3repE0EEENS1_36merge_oddeven_config_static_selectorELNS0_4arch9wavefront6targetE1EEEvSK_,"axG",@progbits,_ZN7rocprim17ROCPRIM_400000_NS6detail17trampoline_kernelINS0_14default_configENS1_38merge_sort_block_merge_config_selectorIjNS0_10empty_typeEEEZZNS1_27merge_sort_block_merge_implIS3_N6thrust23THRUST_200600_302600_NS6detail15normal_iteratorINS9_10device_ptrIjEEEEPS5_m14custom_greaterIjEEE10hipError_tT0_T1_T2_jT3_P12ihipStream_tbPNSt15iterator_traitsISJ_E10value_typeEPNSP_ISK_E10value_typeEPSL_NS1_7vsmem_tEENKUlT_SJ_SK_SL_E_clISE_PjSF_SF_EESI_SY_SJ_SK_SL_EUlSY_E1_NS1_11comp_targetILNS1_3genE2ELNS1_11target_archE906ELNS1_3gpuE6ELNS1_3repE0EEENS1_36merge_oddeven_config_static_selectorELNS0_4arch9wavefront6targetE1EEEvSK_,comdat
	.protected	_ZN7rocprim17ROCPRIM_400000_NS6detail17trampoline_kernelINS0_14default_configENS1_38merge_sort_block_merge_config_selectorIjNS0_10empty_typeEEEZZNS1_27merge_sort_block_merge_implIS3_N6thrust23THRUST_200600_302600_NS6detail15normal_iteratorINS9_10device_ptrIjEEEEPS5_m14custom_greaterIjEEE10hipError_tT0_T1_T2_jT3_P12ihipStream_tbPNSt15iterator_traitsISJ_E10value_typeEPNSP_ISK_E10value_typeEPSL_NS1_7vsmem_tEENKUlT_SJ_SK_SL_E_clISE_PjSF_SF_EESI_SY_SJ_SK_SL_EUlSY_E1_NS1_11comp_targetILNS1_3genE2ELNS1_11target_archE906ELNS1_3gpuE6ELNS1_3repE0EEENS1_36merge_oddeven_config_static_selectorELNS0_4arch9wavefront6targetE1EEEvSK_ ; -- Begin function _ZN7rocprim17ROCPRIM_400000_NS6detail17trampoline_kernelINS0_14default_configENS1_38merge_sort_block_merge_config_selectorIjNS0_10empty_typeEEEZZNS1_27merge_sort_block_merge_implIS3_N6thrust23THRUST_200600_302600_NS6detail15normal_iteratorINS9_10device_ptrIjEEEEPS5_m14custom_greaterIjEEE10hipError_tT0_T1_T2_jT3_P12ihipStream_tbPNSt15iterator_traitsISJ_E10value_typeEPNSP_ISK_E10value_typeEPSL_NS1_7vsmem_tEENKUlT_SJ_SK_SL_E_clISE_PjSF_SF_EESI_SY_SJ_SK_SL_EUlSY_E1_NS1_11comp_targetILNS1_3genE2ELNS1_11target_archE906ELNS1_3gpuE6ELNS1_3repE0EEENS1_36merge_oddeven_config_static_selectorELNS0_4arch9wavefront6targetE1EEEvSK_
	.globl	_ZN7rocprim17ROCPRIM_400000_NS6detail17trampoline_kernelINS0_14default_configENS1_38merge_sort_block_merge_config_selectorIjNS0_10empty_typeEEEZZNS1_27merge_sort_block_merge_implIS3_N6thrust23THRUST_200600_302600_NS6detail15normal_iteratorINS9_10device_ptrIjEEEEPS5_m14custom_greaterIjEEE10hipError_tT0_T1_T2_jT3_P12ihipStream_tbPNSt15iterator_traitsISJ_E10value_typeEPNSP_ISK_E10value_typeEPSL_NS1_7vsmem_tEENKUlT_SJ_SK_SL_E_clISE_PjSF_SF_EESI_SY_SJ_SK_SL_EUlSY_E1_NS1_11comp_targetILNS1_3genE2ELNS1_11target_archE906ELNS1_3gpuE6ELNS1_3repE0EEENS1_36merge_oddeven_config_static_selectorELNS0_4arch9wavefront6targetE1EEEvSK_
	.p2align	8
	.type	_ZN7rocprim17ROCPRIM_400000_NS6detail17trampoline_kernelINS0_14default_configENS1_38merge_sort_block_merge_config_selectorIjNS0_10empty_typeEEEZZNS1_27merge_sort_block_merge_implIS3_N6thrust23THRUST_200600_302600_NS6detail15normal_iteratorINS9_10device_ptrIjEEEEPS5_m14custom_greaterIjEEE10hipError_tT0_T1_T2_jT3_P12ihipStream_tbPNSt15iterator_traitsISJ_E10value_typeEPNSP_ISK_E10value_typeEPSL_NS1_7vsmem_tEENKUlT_SJ_SK_SL_E_clISE_PjSF_SF_EESI_SY_SJ_SK_SL_EUlSY_E1_NS1_11comp_targetILNS1_3genE2ELNS1_11target_archE906ELNS1_3gpuE6ELNS1_3repE0EEENS1_36merge_oddeven_config_static_selectorELNS0_4arch9wavefront6targetE1EEEvSK_,@function
_ZN7rocprim17ROCPRIM_400000_NS6detail17trampoline_kernelINS0_14default_configENS1_38merge_sort_block_merge_config_selectorIjNS0_10empty_typeEEEZZNS1_27merge_sort_block_merge_implIS3_N6thrust23THRUST_200600_302600_NS6detail15normal_iteratorINS9_10device_ptrIjEEEEPS5_m14custom_greaterIjEEE10hipError_tT0_T1_T2_jT3_P12ihipStream_tbPNSt15iterator_traitsISJ_E10value_typeEPNSP_ISK_E10value_typeEPSL_NS1_7vsmem_tEENKUlT_SJ_SK_SL_E_clISE_PjSF_SF_EESI_SY_SJ_SK_SL_EUlSY_E1_NS1_11comp_targetILNS1_3genE2ELNS1_11target_archE906ELNS1_3gpuE6ELNS1_3repE0EEENS1_36merge_oddeven_config_static_selectorELNS0_4arch9wavefront6targetE1EEEvSK_: ; @_ZN7rocprim17ROCPRIM_400000_NS6detail17trampoline_kernelINS0_14default_configENS1_38merge_sort_block_merge_config_selectorIjNS0_10empty_typeEEEZZNS1_27merge_sort_block_merge_implIS3_N6thrust23THRUST_200600_302600_NS6detail15normal_iteratorINS9_10device_ptrIjEEEEPS5_m14custom_greaterIjEEE10hipError_tT0_T1_T2_jT3_P12ihipStream_tbPNSt15iterator_traitsISJ_E10value_typeEPNSP_ISK_E10value_typeEPSL_NS1_7vsmem_tEENKUlT_SJ_SK_SL_E_clISE_PjSF_SF_EESI_SY_SJ_SK_SL_EUlSY_E1_NS1_11comp_targetILNS1_3genE2ELNS1_11target_archE906ELNS1_3gpuE6ELNS1_3repE0EEENS1_36merge_oddeven_config_static_selectorELNS0_4arch9wavefront6targetE1EEEvSK_
; %bb.0:
	.section	.rodata,"a",@progbits
	.p2align	6, 0x0
	.amdhsa_kernel _ZN7rocprim17ROCPRIM_400000_NS6detail17trampoline_kernelINS0_14default_configENS1_38merge_sort_block_merge_config_selectorIjNS0_10empty_typeEEEZZNS1_27merge_sort_block_merge_implIS3_N6thrust23THRUST_200600_302600_NS6detail15normal_iteratorINS9_10device_ptrIjEEEEPS5_m14custom_greaterIjEEE10hipError_tT0_T1_T2_jT3_P12ihipStream_tbPNSt15iterator_traitsISJ_E10value_typeEPNSP_ISK_E10value_typeEPSL_NS1_7vsmem_tEENKUlT_SJ_SK_SL_E_clISE_PjSF_SF_EESI_SY_SJ_SK_SL_EUlSY_E1_NS1_11comp_targetILNS1_3genE2ELNS1_11target_archE906ELNS1_3gpuE6ELNS1_3repE0EEENS1_36merge_oddeven_config_static_selectorELNS0_4arch9wavefront6targetE1EEEvSK_
		.amdhsa_group_segment_fixed_size 0
		.amdhsa_private_segment_fixed_size 0
		.amdhsa_kernarg_size 56
		.amdhsa_user_sgpr_count 6
		.amdhsa_user_sgpr_private_segment_buffer 1
		.amdhsa_user_sgpr_dispatch_ptr 0
		.amdhsa_user_sgpr_queue_ptr 0
		.amdhsa_user_sgpr_kernarg_segment_ptr 1
		.amdhsa_user_sgpr_dispatch_id 0
		.amdhsa_user_sgpr_flat_scratch_init 0
		.amdhsa_user_sgpr_kernarg_preload_length 0
		.amdhsa_user_sgpr_kernarg_preload_offset 0
		.amdhsa_user_sgpr_private_segment_size 0
		.amdhsa_uses_dynamic_stack 0
		.amdhsa_system_sgpr_private_segment_wavefront_offset 0
		.amdhsa_system_sgpr_workgroup_id_x 1
		.amdhsa_system_sgpr_workgroup_id_y 0
		.amdhsa_system_sgpr_workgroup_id_z 0
		.amdhsa_system_sgpr_workgroup_info 0
		.amdhsa_system_vgpr_workitem_id 0
		.amdhsa_next_free_vgpr 1
		.amdhsa_next_free_sgpr 0
		.amdhsa_accum_offset 4
		.amdhsa_reserve_vcc 0
		.amdhsa_reserve_flat_scratch 0
		.amdhsa_float_round_mode_32 0
		.amdhsa_float_round_mode_16_64 0
		.amdhsa_float_denorm_mode_32 3
		.amdhsa_float_denorm_mode_16_64 3
		.amdhsa_dx10_clamp 1
		.amdhsa_ieee_mode 1
		.amdhsa_fp16_overflow 0
		.amdhsa_tg_split 0
		.amdhsa_exception_fp_ieee_invalid_op 0
		.amdhsa_exception_fp_denorm_src 0
		.amdhsa_exception_fp_ieee_div_zero 0
		.amdhsa_exception_fp_ieee_overflow 0
		.amdhsa_exception_fp_ieee_underflow 0
		.amdhsa_exception_fp_ieee_inexact 0
		.amdhsa_exception_int_div_zero 0
	.end_amdhsa_kernel
	.section	.text._ZN7rocprim17ROCPRIM_400000_NS6detail17trampoline_kernelINS0_14default_configENS1_38merge_sort_block_merge_config_selectorIjNS0_10empty_typeEEEZZNS1_27merge_sort_block_merge_implIS3_N6thrust23THRUST_200600_302600_NS6detail15normal_iteratorINS9_10device_ptrIjEEEEPS5_m14custom_greaterIjEEE10hipError_tT0_T1_T2_jT3_P12ihipStream_tbPNSt15iterator_traitsISJ_E10value_typeEPNSP_ISK_E10value_typeEPSL_NS1_7vsmem_tEENKUlT_SJ_SK_SL_E_clISE_PjSF_SF_EESI_SY_SJ_SK_SL_EUlSY_E1_NS1_11comp_targetILNS1_3genE2ELNS1_11target_archE906ELNS1_3gpuE6ELNS1_3repE0EEENS1_36merge_oddeven_config_static_selectorELNS0_4arch9wavefront6targetE1EEEvSK_,"axG",@progbits,_ZN7rocprim17ROCPRIM_400000_NS6detail17trampoline_kernelINS0_14default_configENS1_38merge_sort_block_merge_config_selectorIjNS0_10empty_typeEEEZZNS1_27merge_sort_block_merge_implIS3_N6thrust23THRUST_200600_302600_NS6detail15normal_iteratorINS9_10device_ptrIjEEEEPS5_m14custom_greaterIjEEE10hipError_tT0_T1_T2_jT3_P12ihipStream_tbPNSt15iterator_traitsISJ_E10value_typeEPNSP_ISK_E10value_typeEPSL_NS1_7vsmem_tEENKUlT_SJ_SK_SL_E_clISE_PjSF_SF_EESI_SY_SJ_SK_SL_EUlSY_E1_NS1_11comp_targetILNS1_3genE2ELNS1_11target_archE906ELNS1_3gpuE6ELNS1_3repE0EEENS1_36merge_oddeven_config_static_selectorELNS0_4arch9wavefront6targetE1EEEvSK_,comdat
.Lfunc_end3208:
	.size	_ZN7rocprim17ROCPRIM_400000_NS6detail17trampoline_kernelINS0_14default_configENS1_38merge_sort_block_merge_config_selectorIjNS0_10empty_typeEEEZZNS1_27merge_sort_block_merge_implIS3_N6thrust23THRUST_200600_302600_NS6detail15normal_iteratorINS9_10device_ptrIjEEEEPS5_m14custom_greaterIjEEE10hipError_tT0_T1_T2_jT3_P12ihipStream_tbPNSt15iterator_traitsISJ_E10value_typeEPNSP_ISK_E10value_typeEPSL_NS1_7vsmem_tEENKUlT_SJ_SK_SL_E_clISE_PjSF_SF_EESI_SY_SJ_SK_SL_EUlSY_E1_NS1_11comp_targetILNS1_3genE2ELNS1_11target_archE906ELNS1_3gpuE6ELNS1_3repE0EEENS1_36merge_oddeven_config_static_selectorELNS0_4arch9wavefront6targetE1EEEvSK_, .Lfunc_end3208-_ZN7rocprim17ROCPRIM_400000_NS6detail17trampoline_kernelINS0_14default_configENS1_38merge_sort_block_merge_config_selectorIjNS0_10empty_typeEEEZZNS1_27merge_sort_block_merge_implIS3_N6thrust23THRUST_200600_302600_NS6detail15normal_iteratorINS9_10device_ptrIjEEEEPS5_m14custom_greaterIjEEE10hipError_tT0_T1_T2_jT3_P12ihipStream_tbPNSt15iterator_traitsISJ_E10value_typeEPNSP_ISK_E10value_typeEPSL_NS1_7vsmem_tEENKUlT_SJ_SK_SL_E_clISE_PjSF_SF_EESI_SY_SJ_SK_SL_EUlSY_E1_NS1_11comp_targetILNS1_3genE2ELNS1_11target_archE906ELNS1_3gpuE6ELNS1_3repE0EEENS1_36merge_oddeven_config_static_selectorELNS0_4arch9wavefront6targetE1EEEvSK_
                                        ; -- End function
	.section	.AMDGPU.csdata,"",@progbits
; Kernel info:
; codeLenInByte = 0
; NumSgprs: 4
; NumVgprs: 0
; NumAgprs: 0
; TotalNumVgprs: 0
; ScratchSize: 0
; MemoryBound: 0
; FloatMode: 240
; IeeeMode: 1
; LDSByteSize: 0 bytes/workgroup (compile time only)
; SGPRBlocks: 0
; VGPRBlocks: 0
; NumSGPRsForWavesPerEU: 4
; NumVGPRsForWavesPerEU: 1
; AccumOffset: 4
; Occupancy: 8
; WaveLimiterHint : 0
; COMPUTE_PGM_RSRC2:SCRATCH_EN: 0
; COMPUTE_PGM_RSRC2:USER_SGPR: 6
; COMPUTE_PGM_RSRC2:TRAP_HANDLER: 0
; COMPUTE_PGM_RSRC2:TGID_X_EN: 1
; COMPUTE_PGM_RSRC2:TGID_Y_EN: 0
; COMPUTE_PGM_RSRC2:TGID_Z_EN: 0
; COMPUTE_PGM_RSRC2:TIDIG_COMP_CNT: 0
; COMPUTE_PGM_RSRC3_GFX90A:ACCUM_OFFSET: 0
; COMPUTE_PGM_RSRC3_GFX90A:TG_SPLIT: 0
	.section	.text._ZN7rocprim17ROCPRIM_400000_NS6detail17trampoline_kernelINS0_14default_configENS1_38merge_sort_block_merge_config_selectorIjNS0_10empty_typeEEEZZNS1_27merge_sort_block_merge_implIS3_N6thrust23THRUST_200600_302600_NS6detail15normal_iteratorINS9_10device_ptrIjEEEEPS5_m14custom_greaterIjEEE10hipError_tT0_T1_T2_jT3_P12ihipStream_tbPNSt15iterator_traitsISJ_E10value_typeEPNSP_ISK_E10value_typeEPSL_NS1_7vsmem_tEENKUlT_SJ_SK_SL_E_clISE_PjSF_SF_EESI_SY_SJ_SK_SL_EUlSY_E1_NS1_11comp_targetILNS1_3genE9ELNS1_11target_archE1100ELNS1_3gpuE3ELNS1_3repE0EEENS1_36merge_oddeven_config_static_selectorELNS0_4arch9wavefront6targetE1EEEvSK_,"axG",@progbits,_ZN7rocprim17ROCPRIM_400000_NS6detail17trampoline_kernelINS0_14default_configENS1_38merge_sort_block_merge_config_selectorIjNS0_10empty_typeEEEZZNS1_27merge_sort_block_merge_implIS3_N6thrust23THRUST_200600_302600_NS6detail15normal_iteratorINS9_10device_ptrIjEEEEPS5_m14custom_greaterIjEEE10hipError_tT0_T1_T2_jT3_P12ihipStream_tbPNSt15iterator_traitsISJ_E10value_typeEPNSP_ISK_E10value_typeEPSL_NS1_7vsmem_tEENKUlT_SJ_SK_SL_E_clISE_PjSF_SF_EESI_SY_SJ_SK_SL_EUlSY_E1_NS1_11comp_targetILNS1_3genE9ELNS1_11target_archE1100ELNS1_3gpuE3ELNS1_3repE0EEENS1_36merge_oddeven_config_static_selectorELNS0_4arch9wavefront6targetE1EEEvSK_,comdat
	.protected	_ZN7rocprim17ROCPRIM_400000_NS6detail17trampoline_kernelINS0_14default_configENS1_38merge_sort_block_merge_config_selectorIjNS0_10empty_typeEEEZZNS1_27merge_sort_block_merge_implIS3_N6thrust23THRUST_200600_302600_NS6detail15normal_iteratorINS9_10device_ptrIjEEEEPS5_m14custom_greaterIjEEE10hipError_tT0_T1_T2_jT3_P12ihipStream_tbPNSt15iterator_traitsISJ_E10value_typeEPNSP_ISK_E10value_typeEPSL_NS1_7vsmem_tEENKUlT_SJ_SK_SL_E_clISE_PjSF_SF_EESI_SY_SJ_SK_SL_EUlSY_E1_NS1_11comp_targetILNS1_3genE9ELNS1_11target_archE1100ELNS1_3gpuE3ELNS1_3repE0EEENS1_36merge_oddeven_config_static_selectorELNS0_4arch9wavefront6targetE1EEEvSK_ ; -- Begin function _ZN7rocprim17ROCPRIM_400000_NS6detail17trampoline_kernelINS0_14default_configENS1_38merge_sort_block_merge_config_selectorIjNS0_10empty_typeEEEZZNS1_27merge_sort_block_merge_implIS3_N6thrust23THRUST_200600_302600_NS6detail15normal_iteratorINS9_10device_ptrIjEEEEPS5_m14custom_greaterIjEEE10hipError_tT0_T1_T2_jT3_P12ihipStream_tbPNSt15iterator_traitsISJ_E10value_typeEPNSP_ISK_E10value_typeEPSL_NS1_7vsmem_tEENKUlT_SJ_SK_SL_E_clISE_PjSF_SF_EESI_SY_SJ_SK_SL_EUlSY_E1_NS1_11comp_targetILNS1_3genE9ELNS1_11target_archE1100ELNS1_3gpuE3ELNS1_3repE0EEENS1_36merge_oddeven_config_static_selectorELNS0_4arch9wavefront6targetE1EEEvSK_
	.globl	_ZN7rocprim17ROCPRIM_400000_NS6detail17trampoline_kernelINS0_14default_configENS1_38merge_sort_block_merge_config_selectorIjNS0_10empty_typeEEEZZNS1_27merge_sort_block_merge_implIS3_N6thrust23THRUST_200600_302600_NS6detail15normal_iteratorINS9_10device_ptrIjEEEEPS5_m14custom_greaterIjEEE10hipError_tT0_T1_T2_jT3_P12ihipStream_tbPNSt15iterator_traitsISJ_E10value_typeEPNSP_ISK_E10value_typeEPSL_NS1_7vsmem_tEENKUlT_SJ_SK_SL_E_clISE_PjSF_SF_EESI_SY_SJ_SK_SL_EUlSY_E1_NS1_11comp_targetILNS1_3genE9ELNS1_11target_archE1100ELNS1_3gpuE3ELNS1_3repE0EEENS1_36merge_oddeven_config_static_selectorELNS0_4arch9wavefront6targetE1EEEvSK_
	.p2align	8
	.type	_ZN7rocprim17ROCPRIM_400000_NS6detail17trampoline_kernelINS0_14default_configENS1_38merge_sort_block_merge_config_selectorIjNS0_10empty_typeEEEZZNS1_27merge_sort_block_merge_implIS3_N6thrust23THRUST_200600_302600_NS6detail15normal_iteratorINS9_10device_ptrIjEEEEPS5_m14custom_greaterIjEEE10hipError_tT0_T1_T2_jT3_P12ihipStream_tbPNSt15iterator_traitsISJ_E10value_typeEPNSP_ISK_E10value_typeEPSL_NS1_7vsmem_tEENKUlT_SJ_SK_SL_E_clISE_PjSF_SF_EESI_SY_SJ_SK_SL_EUlSY_E1_NS1_11comp_targetILNS1_3genE9ELNS1_11target_archE1100ELNS1_3gpuE3ELNS1_3repE0EEENS1_36merge_oddeven_config_static_selectorELNS0_4arch9wavefront6targetE1EEEvSK_,@function
_ZN7rocprim17ROCPRIM_400000_NS6detail17trampoline_kernelINS0_14default_configENS1_38merge_sort_block_merge_config_selectorIjNS0_10empty_typeEEEZZNS1_27merge_sort_block_merge_implIS3_N6thrust23THRUST_200600_302600_NS6detail15normal_iteratorINS9_10device_ptrIjEEEEPS5_m14custom_greaterIjEEE10hipError_tT0_T1_T2_jT3_P12ihipStream_tbPNSt15iterator_traitsISJ_E10value_typeEPNSP_ISK_E10value_typeEPSL_NS1_7vsmem_tEENKUlT_SJ_SK_SL_E_clISE_PjSF_SF_EESI_SY_SJ_SK_SL_EUlSY_E1_NS1_11comp_targetILNS1_3genE9ELNS1_11target_archE1100ELNS1_3gpuE3ELNS1_3repE0EEENS1_36merge_oddeven_config_static_selectorELNS0_4arch9wavefront6targetE1EEEvSK_: ; @_ZN7rocprim17ROCPRIM_400000_NS6detail17trampoline_kernelINS0_14default_configENS1_38merge_sort_block_merge_config_selectorIjNS0_10empty_typeEEEZZNS1_27merge_sort_block_merge_implIS3_N6thrust23THRUST_200600_302600_NS6detail15normal_iteratorINS9_10device_ptrIjEEEEPS5_m14custom_greaterIjEEE10hipError_tT0_T1_T2_jT3_P12ihipStream_tbPNSt15iterator_traitsISJ_E10value_typeEPNSP_ISK_E10value_typeEPSL_NS1_7vsmem_tEENKUlT_SJ_SK_SL_E_clISE_PjSF_SF_EESI_SY_SJ_SK_SL_EUlSY_E1_NS1_11comp_targetILNS1_3genE9ELNS1_11target_archE1100ELNS1_3gpuE3ELNS1_3repE0EEENS1_36merge_oddeven_config_static_selectorELNS0_4arch9wavefront6targetE1EEEvSK_
; %bb.0:
	.section	.rodata,"a",@progbits
	.p2align	6, 0x0
	.amdhsa_kernel _ZN7rocprim17ROCPRIM_400000_NS6detail17trampoline_kernelINS0_14default_configENS1_38merge_sort_block_merge_config_selectorIjNS0_10empty_typeEEEZZNS1_27merge_sort_block_merge_implIS3_N6thrust23THRUST_200600_302600_NS6detail15normal_iteratorINS9_10device_ptrIjEEEEPS5_m14custom_greaterIjEEE10hipError_tT0_T1_T2_jT3_P12ihipStream_tbPNSt15iterator_traitsISJ_E10value_typeEPNSP_ISK_E10value_typeEPSL_NS1_7vsmem_tEENKUlT_SJ_SK_SL_E_clISE_PjSF_SF_EESI_SY_SJ_SK_SL_EUlSY_E1_NS1_11comp_targetILNS1_3genE9ELNS1_11target_archE1100ELNS1_3gpuE3ELNS1_3repE0EEENS1_36merge_oddeven_config_static_selectorELNS0_4arch9wavefront6targetE1EEEvSK_
		.amdhsa_group_segment_fixed_size 0
		.amdhsa_private_segment_fixed_size 0
		.amdhsa_kernarg_size 56
		.amdhsa_user_sgpr_count 6
		.amdhsa_user_sgpr_private_segment_buffer 1
		.amdhsa_user_sgpr_dispatch_ptr 0
		.amdhsa_user_sgpr_queue_ptr 0
		.amdhsa_user_sgpr_kernarg_segment_ptr 1
		.amdhsa_user_sgpr_dispatch_id 0
		.amdhsa_user_sgpr_flat_scratch_init 0
		.amdhsa_user_sgpr_kernarg_preload_length 0
		.amdhsa_user_sgpr_kernarg_preload_offset 0
		.amdhsa_user_sgpr_private_segment_size 0
		.amdhsa_uses_dynamic_stack 0
		.amdhsa_system_sgpr_private_segment_wavefront_offset 0
		.amdhsa_system_sgpr_workgroup_id_x 1
		.amdhsa_system_sgpr_workgroup_id_y 0
		.amdhsa_system_sgpr_workgroup_id_z 0
		.amdhsa_system_sgpr_workgroup_info 0
		.amdhsa_system_vgpr_workitem_id 0
		.amdhsa_next_free_vgpr 1
		.amdhsa_next_free_sgpr 0
		.amdhsa_accum_offset 4
		.amdhsa_reserve_vcc 0
		.amdhsa_reserve_flat_scratch 0
		.amdhsa_float_round_mode_32 0
		.amdhsa_float_round_mode_16_64 0
		.amdhsa_float_denorm_mode_32 3
		.amdhsa_float_denorm_mode_16_64 3
		.amdhsa_dx10_clamp 1
		.amdhsa_ieee_mode 1
		.amdhsa_fp16_overflow 0
		.amdhsa_tg_split 0
		.amdhsa_exception_fp_ieee_invalid_op 0
		.amdhsa_exception_fp_denorm_src 0
		.amdhsa_exception_fp_ieee_div_zero 0
		.amdhsa_exception_fp_ieee_overflow 0
		.amdhsa_exception_fp_ieee_underflow 0
		.amdhsa_exception_fp_ieee_inexact 0
		.amdhsa_exception_int_div_zero 0
	.end_amdhsa_kernel
	.section	.text._ZN7rocprim17ROCPRIM_400000_NS6detail17trampoline_kernelINS0_14default_configENS1_38merge_sort_block_merge_config_selectorIjNS0_10empty_typeEEEZZNS1_27merge_sort_block_merge_implIS3_N6thrust23THRUST_200600_302600_NS6detail15normal_iteratorINS9_10device_ptrIjEEEEPS5_m14custom_greaterIjEEE10hipError_tT0_T1_T2_jT3_P12ihipStream_tbPNSt15iterator_traitsISJ_E10value_typeEPNSP_ISK_E10value_typeEPSL_NS1_7vsmem_tEENKUlT_SJ_SK_SL_E_clISE_PjSF_SF_EESI_SY_SJ_SK_SL_EUlSY_E1_NS1_11comp_targetILNS1_3genE9ELNS1_11target_archE1100ELNS1_3gpuE3ELNS1_3repE0EEENS1_36merge_oddeven_config_static_selectorELNS0_4arch9wavefront6targetE1EEEvSK_,"axG",@progbits,_ZN7rocprim17ROCPRIM_400000_NS6detail17trampoline_kernelINS0_14default_configENS1_38merge_sort_block_merge_config_selectorIjNS0_10empty_typeEEEZZNS1_27merge_sort_block_merge_implIS3_N6thrust23THRUST_200600_302600_NS6detail15normal_iteratorINS9_10device_ptrIjEEEEPS5_m14custom_greaterIjEEE10hipError_tT0_T1_T2_jT3_P12ihipStream_tbPNSt15iterator_traitsISJ_E10value_typeEPNSP_ISK_E10value_typeEPSL_NS1_7vsmem_tEENKUlT_SJ_SK_SL_E_clISE_PjSF_SF_EESI_SY_SJ_SK_SL_EUlSY_E1_NS1_11comp_targetILNS1_3genE9ELNS1_11target_archE1100ELNS1_3gpuE3ELNS1_3repE0EEENS1_36merge_oddeven_config_static_selectorELNS0_4arch9wavefront6targetE1EEEvSK_,comdat
.Lfunc_end3209:
	.size	_ZN7rocprim17ROCPRIM_400000_NS6detail17trampoline_kernelINS0_14default_configENS1_38merge_sort_block_merge_config_selectorIjNS0_10empty_typeEEEZZNS1_27merge_sort_block_merge_implIS3_N6thrust23THRUST_200600_302600_NS6detail15normal_iteratorINS9_10device_ptrIjEEEEPS5_m14custom_greaterIjEEE10hipError_tT0_T1_T2_jT3_P12ihipStream_tbPNSt15iterator_traitsISJ_E10value_typeEPNSP_ISK_E10value_typeEPSL_NS1_7vsmem_tEENKUlT_SJ_SK_SL_E_clISE_PjSF_SF_EESI_SY_SJ_SK_SL_EUlSY_E1_NS1_11comp_targetILNS1_3genE9ELNS1_11target_archE1100ELNS1_3gpuE3ELNS1_3repE0EEENS1_36merge_oddeven_config_static_selectorELNS0_4arch9wavefront6targetE1EEEvSK_, .Lfunc_end3209-_ZN7rocprim17ROCPRIM_400000_NS6detail17trampoline_kernelINS0_14default_configENS1_38merge_sort_block_merge_config_selectorIjNS0_10empty_typeEEEZZNS1_27merge_sort_block_merge_implIS3_N6thrust23THRUST_200600_302600_NS6detail15normal_iteratorINS9_10device_ptrIjEEEEPS5_m14custom_greaterIjEEE10hipError_tT0_T1_T2_jT3_P12ihipStream_tbPNSt15iterator_traitsISJ_E10value_typeEPNSP_ISK_E10value_typeEPSL_NS1_7vsmem_tEENKUlT_SJ_SK_SL_E_clISE_PjSF_SF_EESI_SY_SJ_SK_SL_EUlSY_E1_NS1_11comp_targetILNS1_3genE9ELNS1_11target_archE1100ELNS1_3gpuE3ELNS1_3repE0EEENS1_36merge_oddeven_config_static_selectorELNS0_4arch9wavefront6targetE1EEEvSK_
                                        ; -- End function
	.section	.AMDGPU.csdata,"",@progbits
; Kernel info:
; codeLenInByte = 0
; NumSgprs: 4
; NumVgprs: 0
; NumAgprs: 0
; TotalNumVgprs: 0
; ScratchSize: 0
; MemoryBound: 0
; FloatMode: 240
; IeeeMode: 1
; LDSByteSize: 0 bytes/workgroup (compile time only)
; SGPRBlocks: 0
; VGPRBlocks: 0
; NumSGPRsForWavesPerEU: 4
; NumVGPRsForWavesPerEU: 1
; AccumOffset: 4
; Occupancy: 8
; WaveLimiterHint : 0
; COMPUTE_PGM_RSRC2:SCRATCH_EN: 0
; COMPUTE_PGM_RSRC2:USER_SGPR: 6
; COMPUTE_PGM_RSRC2:TRAP_HANDLER: 0
; COMPUTE_PGM_RSRC2:TGID_X_EN: 1
; COMPUTE_PGM_RSRC2:TGID_Y_EN: 0
; COMPUTE_PGM_RSRC2:TGID_Z_EN: 0
; COMPUTE_PGM_RSRC2:TIDIG_COMP_CNT: 0
; COMPUTE_PGM_RSRC3_GFX90A:ACCUM_OFFSET: 0
; COMPUTE_PGM_RSRC3_GFX90A:TG_SPLIT: 0
	.section	.text._ZN7rocprim17ROCPRIM_400000_NS6detail17trampoline_kernelINS0_14default_configENS1_38merge_sort_block_merge_config_selectorIjNS0_10empty_typeEEEZZNS1_27merge_sort_block_merge_implIS3_N6thrust23THRUST_200600_302600_NS6detail15normal_iteratorINS9_10device_ptrIjEEEEPS5_m14custom_greaterIjEEE10hipError_tT0_T1_T2_jT3_P12ihipStream_tbPNSt15iterator_traitsISJ_E10value_typeEPNSP_ISK_E10value_typeEPSL_NS1_7vsmem_tEENKUlT_SJ_SK_SL_E_clISE_PjSF_SF_EESI_SY_SJ_SK_SL_EUlSY_E1_NS1_11comp_targetILNS1_3genE8ELNS1_11target_archE1030ELNS1_3gpuE2ELNS1_3repE0EEENS1_36merge_oddeven_config_static_selectorELNS0_4arch9wavefront6targetE1EEEvSK_,"axG",@progbits,_ZN7rocprim17ROCPRIM_400000_NS6detail17trampoline_kernelINS0_14default_configENS1_38merge_sort_block_merge_config_selectorIjNS0_10empty_typeEEEZZNS1_27merge_sort_block_merge_implIS3_N6thrust23THRUST_200600_302600_NS6detail15normal_iteratorINS9_10device_ptrIjEEEEPS5_m14custom_greaterIjEEE10hipError_tT0_T1_T2_jT3_P12ihipStream_tbPNSt15iterator_traitsISJ_E10value_typeEPNSP_ISK_E10value_typeEPSL_NS1_7vsmem_tEENKUlT_SJ_SK_SL_E_clISE_PjSF_SF_EESI_SY_SJ_SK_SL_EUlSY_E1_NS1_11comp_targetILNS1_3genE8ELNS1_11target_archE1030ELNS1_3gpuE2ELNS1_3repE0EEENS1_36merge_oddeven_config_static_selectorELNS0_4arch9wavefront6targetE1EEEvSK_,comdat
	.protected	_ZN7rocprim17ROCPRIM_400000_NS6detail17trampoline_kernelINS0_14default_configENS1_38merge_sort_block_merge_config_selectorIjNS0_10empty_typeEEEZZNS1_27merge_sort_block_merge_implIS3_N6thrust23THRUST_200600_302600_NS6detail15normal_iteratorINS9_10device_ptrIjEEEEPS5_m14custom_greaterIjEEE10hipError_tT0_T1_T2_jT3_P12ihipStream_tbPNSt15iterator_traitsISJ_E10value_typeEPNSP_ISK_E10value_typeEPSL_NS1_7vsmem_tEENKUlT_SJ_SK_SL_E_clISE_PjSF_SF_EESI_SY_SJ_SK_SL_EUlSY_E1_NS1_11comp_targetILNS1_3genE8ELNS1_11target_archE1030ELNS1_3gpuE2ELNS1_3repE0EEENS1_36merge_oddeven_config_static_selectorELNS0_4arch9wavefront6targetE1EEEvSK_ ; -- Begin function _ZN7rocprim17ROCPRIM_400000_NS6detail17trampoline_kernelINS0_14default_configENS1_38merge_sort_block_merge_config_selectorIjNS0_10empty_typeEEEZZNS1_27merge_sort_block_merge_implIS3_N6thrust23THRUST_200600_302600_NS6detail15normal_iteratorINS9_10device_ptrIjEEEEPS5_m14custom_greaterIjEEE10hipError_tT0_T1_T2_jT3_P12ihipStream_tbPNSt15iterator_traitsISJ_E10value_typeEPNSP_ISK_E10value_typeEPSL_NS1_7vsmem_tEENKUlT_SJ_SK_SL_E_clISE_PjSF_SF_EESI_SY_SJ_SK_SL_EUlSY_E1_NS1_11comp_targetILNS1_3genE8ELNS1_11target_archE1030ELNS1_3gpuE2ELNS1_3repE0EEENS1_36merge_oddeven_config_static_selectorELNS0_4arch9wavefront6targetE1EEEvSK_
	.globl	_ZN7rocprim17ROCPRIM_400000_NS6detail17trampoline_kernelINS0_14default_configENS1_38merge_sort_block_merge_config_selectorIjNS0_10empty_typeEEEZZNS1_27merge_sort_block_merge_implIS3_N6thrust23THRUST_200600_302600_NS6detail15normal_iteratorINS9_10device_ptrIjEEEEPS5_m14custom_greaterIjEEE10hipError_tT0_T1_T2_jT3_P12ihipStream_tbPNSt15iterator_traitsISJ_E10value_typeEPNSP_ISK_E10value_typeEPSL_NS1_7vsmem_tEENKUlT_SJ_SK_SL_E_clISE_PjSF_SF_EESI_SY_SJ_SK_SL_EUlSY_E1_NS1_11comp_targetILNS1_3genE8ELNS1_11target_archE1030ELNS1_3gpuE2ELNS1_3repE0EEENS1_36merge_oddeven_config_static_selectorELNS0_4arch9wavefront6targetE1EEEvSK_
	.p2align	8
	.type	_ZN7rocprim17ROCPRIM_400000_NS6detail17trampoline_kernelINS0_14default_configENS1_38merge_sort_block_merge_config_selectorIjNS0_10empty_typeEEEZZNS1_27merge_sort_block_merge_implIS3_N6thrust23THRUST_200600_302600_NS6detail15normal_iteratorINS9_10device_ptrIjEEEEPS5_m14custom_greaterIjEEE10hipError_tT0_T1_T2_jT3_P12ihipStream_tbPNSt15iterator_traitsISJ_E10value_typeEPNSP_ISK_E10value_typeEPSL_NS1_7vsmem_tEENKUlT_SJ_SK_SL_E_clISE_PjSF_SF_EESI_SY_SJ_SK_SL_EUlSY_E1_NS1_11comp_targetILNS1_3genE8ELNS1_11target_archE1030ELNS1_3gpuE2ELNS1_3repE0EEENS1_36merge_oddeven_config_static_selectorELNS0_4arch9wavefront6targetE1EEEvSK_,@function
_ZN7rocprim17ROCPRIM_400000_NS6detail17trampoline_kernelINS0_14default_configENS1_38merge_sort_block_merge_config_selectorIjNS0_10empty_typeEEEZZNS1_27merge_sort_block_merge_implIS3_N6thrust23THRUST_200600_302600_NS6detail15normal_iteratorINS9_10device_ptrIjEEEEPS5_m14custom_greaterIjEEE10hipError_tT0_T1_T2_jT3_P12ihipStream_tbPNSt15iterator_traitsISJ_E10value_typeEPNSP_ISK_E10value_typeEPSL_NS1_7vsmem_tEENKUlT_SJ_SK_SL_E_clISE_PjSF_SF_EESI_SY_SJ_SK_SL_EUlSY_E1_NS1_11comp_targetILNS1_3genE8ELNS1_11target_archE1030ELNS1_3gpuE2ELNS1_3repE0EEENS1_36merge_oddeven_config_static_selectorELNS0_4arch9wavefront6targetE1EEEvSK_: ; @_ZN7rocprim17ROCPRIM_400000_NS6detail17trampoline_kernelINS0_14default_configENS1_38merge_sort_block_merge_config_selectorIjNS0_10empty_typeEEEZZNS1_27merge_sort_block_merge_implIS3_N6thrust23THRUST_200600_302600_NS6detail15normal_iteratorINS9_10device_ptrIjEEEEPS5_m14custom_greaterIjEEE10hipError_tT0_T1_T2_jT3_P12ihipStream_tbPNSt15iterator_traitsISJ_E10value_typeEPNSP_ISK_E10value_typeEPSL_NS1_7vsmem_tEENKUlT_SJ_SK_SL_E_clISE_PjSF_SF_EESI_SY_SJ_SK_SL_EUlSY_E1_NS1_11comp_targetILNS1_3genE8ELNS1_11target_archE1030ELNS1_3gpuE2ELNS1_3repE0EEENS1_36merge_oddeven_config_static_selectorELNS0_4arch9wavefront6targetE1EEEvSK_
; %bb.0:
	.section	.rodata,"a",@progbits
	.p2align	6, 0x0
	.amdhsa_kernel _ZN7rocprim17ROCPRIM_400000_NS6detail17trampoline_kernelINS0_14default_configENS1_38merge_sort_block_merge_config_selectorIjNS0_10empty_typeEEEZZNS1_27merge_sort_block_merge_implIS3_N6thrust23THRUST_200600_302600_NS6detail15normal_iteratorINS9_10device_ptrIjEEEEPS5_m14custom_greaterIjEEE10hipError_tT0_T1_T2_jT3_P12ihipStream_tbPNSt15iterator_traitsISJ_E10value_typeEPNSP_ISK_E10value_typeEPSL_NS1_7vsmem_tEENKUlT_SJ_SK_SL_E_clISE_PjSF_SF_EESI_SY_SJ_SK_SL_EUlSY_E1_NS1_11comp_targetILNS1_3genE8ELNS1_11target_archE1030ELNS1_3gpuE2ELNS1_3repE0EEENS1_36merge_oddeven_config_static_selectorELNS0_4arch9wavefront6targetE1EEEvSK_
		.amdhsa_group_segment_fixed_size 0
		.amdhsa_private_segment_fixed_size 0
		.amdhsa_kernarg_size 56
		.amdhsa_user_sgpr_count 6
		.amdhsa_user_sgpr_private_segment_buffer 1
		.amdhsa_user_sgpr_dispatch_ptr 0
		.amdhsa_user_sgpr_queue_ptr 0
		.amdhsa_user_sgpr_kernarg_segment_ptr 1
		.amdhsa_user_sgpr_dispatch_id 0
		.amdhsa_user_sgpr_flat_scratch_init 0
		.amdhsa_user_sgpr_kernarg_preload_length 0
		.amdhsa_user_sgpr_kernarg_preload_offset 0
		.amdhsa_user_sgpr_private_segment_size 0
		.amdhsa_uses_dynamic_stack 0
		.amdhsa_system_sgpr_private_segment_wavefront_offset 0
		.amdhsa_system_sgpr_workgroup_id_x 1
		.amdhsa_system_sgpr_workgroup_id_y 0
		.amdhsa_system_sgpr_workgroup_id_z 0
		.amdhsa_system_sgpr_workgroup_info 0
		.amdhsa_system_vgpr_workitem_id 0
		.amdhsa_next_free_vgpr 1
		.amdhsa_next_free_sgpr 0
		.amdhsa_accum_offset 4
		.amdhsa_reserve_vcc 0
		.amdhsa_reserve_flat_scratch 0
		.amdhsa_float_round_mode_32 0
		.amdhsa_float_round_mode_16_64 0
		.amdhsa_float_denorm_mode_32 3
		.amdhsa_float_denorm_mode_16_64 3
		.amdhsa_dx10_clamp 1
		.amdhsa_ieee_mode 1
		.amdhsa_fp16_overflow 0
		.amdhsa_tg_split 0
		.amdhsa_exception_fp_ieee_invalid_op 0
		.amdhsa_exception_fp_denorm_src 0
		.amdhsa_exception_fp_ieee_div_zero 0
		.amdhsa_exception_fp_ieee_overflow 0
		.amdhsa_exception_fp_ieee_underflow 0
		.amdhsa_exception_fp_ieee_inexact 0
		.amdhsa_exception_int_div_zero 0
	.end_amdhsa_kernel
	.section	.text._ZN7rocprim17ROCPRIM_400000_NS6detail17trampoline_kernelINS0_14default_configENS1_38merge_sort_block_merge_config_selectorIjNS0_10empty_typeEEEZZNS1_27merge_sort_block_merge_implIS3_N6thrust23THRUST_200600_302600_NS6detail15normal_iteratorINS9_10device_ptrIjEEEEPS5_m14custom_greaterIjEEE10hipError_tT0_T1_T2_jT3_P12ihipStream_tbPNSt15iterator_traitsISJ_E10value_typeEPNSP_ISK_E10value_typeEPSL_NS1_7vsmem_tEENKUlT_SJ_SK_SL_E_clISE_PjSF_SF_EESI_SY_SJ_SK_SL_EUlSY_E1_NS1_11comp_targetILNS1_3genE8ELNS1_11target_archE1030ELNS1_3gpuE2ELNS1_3repE0EEENS1_36merge_oddeven_config_static_selectorELNS0_4arch9wavefront6targetE1EEEvSK_,"axG",@progbits,_ZN7rocprim17ROCPRIM_400000_NS6detail17trampoline_kernelINS0_14default_configENS1_38merge_sort_block_merge_config_selectorIjNS0_10empty_typeEEEZZNS1_27merge_sort_block_merge_implIS3_N6thrust23THRUST_200600_302600_NS6detail15normal_iteratorINS9_10device_ptrIjEEEEPS5_m14custom_greaterIjEEE10hipError_tT0_T1_T2_jT3_P12ihipStream_tbPNSt15iterator_traitsISJ_E10value_typeEPNSP_ISK_E10value_typeEPSL_NS1_7vsmem_tEENKUlT_SJ_SK_SL_E_clISE_PjSF_SF_EESI_SY_SJ_SK_SL_EUlSY_E1_NS1_11comp_targetILNS1_3genE8ELNS1_11target_archE1030ELNS1_3gpuE2ELNS1_3repE0EEENS1_36merge_oddeven_config_static_selectorELNS0_4arch9wavefront6targetE1EEEvSK_,comdat
.Lfunc_end3210:
	.size	_ZN7rocprim17ROCPRIM_400000_NS6detail17trampoline_kernelINS0_14default_configENS1_38merge_sort_block_merge_config_selectorIjNS0_10empty_typeEEEZZNS1_27merge_sort_block_merge_implIS3_N6thrust23THRUST_200600_302600_NS6detail15normal_iteratorINS9_10device_ptrIjEEEEPS5_m14custom_greaterIjEEE10hipError_tT0_T1_T2_jT3_P12ihipStream_tbPNSt15iterator_traitsISJ_E10value_typeEPNSP_ISK_E10value_typeEPSL_NS1_7vsmem_tEENKUlT_SJ_SK_SL_E_clISE_PjSF_SF_EESI_SY_SJ_SK_SL_EUlSY_E1_NS1_11comp_targetILNS1_3genE8ELNS1_11target_archE1030ELNS1_3gpuE2ELNS1_3repE0EEENS1_36merge_oddeven_config_static_selectorELNS0_4arch9wavefront6targetE1EEEvSK_, .Lfunc_end3210-_ZN7rocprim17ROCPRIM_400000_NS6detail17trampoline_kernelINS0_14default_configENS1_38merge_sort_block_merge_config_selectorIjNS0_10empty_typeEEEZZNS1_27merge_sort_block_merge_implIS3_N6thrust23THRUST_200600_302600_NS6detail15normal_iteratorINS9_10device_ptrIjEEEEPS5_m14custom_greaterIjEEE10hipError_tT0_T1_T2_jT3_P12ihipStream_tbPNSt15iterator_traitsISJ_E10value_typeEPNSP_ISK_E10value_typeEPSL_NS1_7vsmem_tEENKUlT_SJ_SK_SL_E_clISE_PjSF_SF_EESI_SY_SJ_SK_SL_EUlSY_E1_NS1_11comp_targetILNS1_3genE8ELNS1_11target_archE1030ELNS1_3gpuE2ELNS1_3repE0EEENS1_36merge_oddeven_config_static_selectorELNS0_4arch9wavefront6targetE1EEEvSK_
                                        ; -- End function
	.section	.AMDGPU.csdata,"",@progbits
; Kernel info:
; codeLenInByte = 0
; NumSgprs: 4
; NumVgprs: 0
; NumAgprs: 0
; TotalNumVgprs: 0
; ScratchSize: 0
; MemoryBound: 0
; FloatMode: 240
; IeeeMode: 1
; LDSByteSize: 0 bytes/workgroup (compile time only)
; SGPRBlocks: 0
; VGPRBlocks: 0
; NumSGPRsForWavesPerEU: 4
; NumVGPRsForWavesPerEU: 1
; AccumOffset: 4
; Occupancy: 8
; WaveLimiterHint : 0
; COMPUTE_PGM_RSRC2:SCRATCH_EN: 0
; COMPUTE_PGM_RSRC2:USER_SGPR: 6
; COMPUTE_PGM_RSRC2:TRAP_HANDLER: 0
; COMPUTE_PGM_RSRC2:TGID_X_EN: 1
; COMPUTE_PGM_RSRC2:TGID_Y_EN: 0
; COMPUTE_PGM_RSRC2:TGID_Z_EN: 0
; COMPUTE_PGM_RSRC2:TIDIG_COMP_CNT: 0
; COMPUTE_PGM_RSRC3_GFX90A:ACCUM_OFFSET: 0
; COMPUTE_PGM_RSRC3_GFX90A:TG_SPLIT: 0
	.section	.text._ZN7rocprim17ROCPRIM_400000_NS6detail17trampoline_kernelINS0_14default_configENS1_25transform_config_selectorIjLb0EEEZNS1_14transform_implILb0ES3_S5_PjN6thrust23THRUST_200600_302600_NS6detail15normal_iteratorINS9_10device_ptrIjEEEENS0_8identityIjEEEE10hipError_tT2_T3_mT4_P12ihipStream_tbEUlT_E_NS1_11comp_targetILNS1_3genE0ELNS1_11target_archE4294967295ELNS1_3gpuE0ELNS1_3repE0EEENS1_30default_config_static_selectorELNS0_4arch9wavefront6targetE1EEEvT1_,"axG",@progbits,_ZN7rocprim17ROCPRIM_400000_NS6detail17trampoline_kernelINS0_14default_configENS1_25transform_config_selectorIjLb0EEEZNS1_14transform_implILb0ES3_S5_PjN6thrust23THRUST_200600_302600_NS6detail15normal_iteratorINS9_10device_ptrIjEEEENS0_8identityIjEEEE10hipError_tT2_T3_mT4_P12ihipStream_tbEUlT_E_NS1_11comp_targetILNS1_3genE0ELNS1_11target_archE4294967295ELNS1_3gpuE0ELNS1_3repE0EEENS1_30default_config_static_selectorELNS0_4arch9wavefront6targetE1EEEvT1_,comdat
	.protected	_ZN7rocprim17ROCPRIM_400000_NS6detail17trampoline_kernelINS0_14default_configENS1_25transform_config_selectorIjLb0EEEZNS1_14transform_implILb0ES3_S5_PjN6thrust23THRUST_200600_302600_NS6detail15normal_iteratorINS9_10device_ptrIjEEEENS0_8identityIjEEEE10hipError_tT2_T3_mT4_P12ihipStream_tbEUlT_E_NS1_11comp_targetILNS1_3genE0ELNS1_11target_archE4294967295ELNS1_3gpuE0ELNS1_3repE0EEENS1_30default_config_static_selectorELNS0_4arch9wavefront6targetE1EEEvT1_ ; -- Begin function _ZN7rocprim17ROCPRIM_400000_NS6detail17trampoline_kernelINS0_14default_configENS1_25transform_config_selectorIjLb0EEEZNS1_14transform_implILb0ES3_S5_PjN6thrust23THRUST_200600_302600_NS6detail15normal_iteratorINS9_10device_ptrIjEEEENS0_8identityIjEEEE10hipError_tT2_T3_mT4_P12ihipStream_tbEUlT_E_NS1_11comp_targetILNS1_3genE0ELNS1_11target_archE4294967295ELNS1_3gpuE0ELNS1_3repE0EEENS1_30default_config_static_selectorELNS0_4arch9wavefront6targetE1EEEvT1_
	.globl	_ZN7rocprim17ROCPRIM_400000_NS6detail17trampoline_kernelINS0_14default_configENS1_25transform_config_selectorIjLb0EEEZNS1_14transform_implILb0ES3_S5_PjN6thrust23THRUST_200600_302600_NS6detail15normal_iteratorINS9_10device_ptrIjEEEENS0_8identityIjEEEE10hipError_tT2_T3_mT4_P12ihipStream_tbEUlT_E_NS1_11comp_targetILNS1_3genE0ELNS1_11target_archE4294967295ELNS1_3gpuE0ELNS1_3repE0EEENS1_30default_config_static_selectorELNS0_4arch9wavefront6targetE1EEEvT1_
	.p2align	8
	.type	_ZN7rocprim17ROCPRIM_400000_NS6detail17trampoline_kernelINS0_14default_configENS1_25transform_config_selectorIjLb0EEEZNS1_14transform_implILb0ES3_S5_PjN6thrust23THRUST_200600_302600_NS6detail15normal_iteratorINS9_10device_ptrIjEEEENS0_8identityIjEEEE10hipError_tT2_T3_mT4_P12ihipStream_tbEUlT_E_NS1_11comp_targetILNS1_3genE0ELNS1_11target_archE4294967295ELNS1_3gpuE0ELNS1_3repE0EEENS1_30default_config_static_selectorELNS0_4arch9wavefront6targetE1EEEvT1_,@function
_ZN7rocprim17ROCPRIM_400000_NS6detail17trampoline_kernelINS0_14default_configENS1_25transform_config_selectorIjLb0EEEZNS1_14transform_implILb0ES3_S5_PjN6thrust23THRUST_200600_302600_NS6detail15normal_iteratorINS9_10device_ptrIjEEEENS0_8identityIjEEEE10hipError_tT2_T3_mT4_P12ihipStream_tbEUlT_E_NS1_11comp_targetILNS1_3genE0ELNS1_11target_archE4294967295ELNS1_3gpuE0ELNS1_3repE0EEENS1_30default_config_static_selectorELNS0_4arch9wavefront6targetE1EEEvT1_: ; @_ZN7rocprim17ROCPRIM_400000_NS6detail17trampoline_kernelINS0_14default_configENS1_25transform_config_selectorIjLb0EEEZNS1_14transform_implILb0ES3_S5_PjN6thrust23THRUST_200600_302600_NS6detail15normal_iteratorINS9_10device_ptrIjEEEENS0_8identityIjEEEE10hipError_tT2_T3_mT4_P12ihipStream_tbEUlT_E_NS1_11comp_targetILNS1_3genE0ELNS1_11target_archE4294967295ELNS1_3gpuE0ELNS1_3repE0EEENS1_30default_config_static_selectorELNS0_4arch9wavefront6targetE1EEEvT1_
; %bb.0:
	.section	.rodata,"a",@progbits
	.p2align	6, 0x0
	.amdhsa_kernel _ZN7rocprim17ROCPRIM_400000_NS6detail17trampoline_kernelINS0_14default_configENS1_25transform_config_selectorIjLb0EEEZNS1_14transform_implILb0ES3_S5_PjN6thrust23THRUST_200600_302600_NS6detail15normal_iteratorINS9_10device_ptrIjEEEENS0_8identityIjEEEE10hipError_tT2_T3_mT4_P12ihipStream_tbEUlT_E_NS1_11comp_targetILNS1_3genE0ELNS1_11target_archE4294967295ELNS1_3gpuE0ELNS1_3repE0EEENS1_30default_config_static_selectorELNS0_4arch9wavefront6targetE1EEEvT1_
		.amdhsa_group_segment_fixed_size 0
		.amdhsa_private_segment_fixed_size 0
		.amdhsa_kernarg_size 40
		.amdhsa_user_sgpr_count 6
		.amdhsa_user_sgpr_private_segment_buffer 1
		.amdhsa_user_sgpr_dispatch_ptr 0
		.amdhsa_user_sgpr_queue_ptr 0
		.amdhsa_user_sgpr_kernarg_segment_ptr 1
		.amdhsa_user_sgpr_dispatch_id 0
		.amdhsa_user_sgpr_flat_scratch_init 0
		.amdhsa_user_sgpr_kernarg_preload_length 0
		.amdhsa_user_sgpr_kernarg_preload_offset 0
		.amdhsa_user_sgpr_private_segment_size 0
		.amdhsa_uses_dynamic_stack 0
		.amdhsa_system_sgpr_private_segment_wavefront_offset 0
		.amdhsa_system_sgpr_workgroup_id_x 1
		.amdhsa_system_sgpr_workgroup_id_y 0
		.amdhsa_system_sgpr_workgroup_id_z 0
		.amdhsa_system_sgpr_workgroup_info 0
		.amdhsa_system_vgpr_workitem_id 0
		.amdhsa_next_free_vgpr 1
		.amdhsa_next_free_sgpr 0
		.amdhsa_accum_offset 4
		.amdhsa_reserve_vcc 0
		.amdhsa_reserve_flat_scratch 0
		.amdhsa_float_round_mode_32 0
		.amdhsa_float_round_mode_16_64 0
		.amdhsa_float_denorm_mode_32 3
		.amdhsa_float_denorm_mode_16_64 3
		.amdhsa_dx10_clamp 1
		.amdhsa_ieee_mode 1
		.amdhsa_fp16_overflow 0
		.amdhsa_tg_split 0
		.amdhsa_exception_fp_ieee_invalid_op 0
		.amdhsa_exception_fp_denorm_src 0
		.amdhsa_exception_fp_ieee_div_zero 0
		.amdhsa_exception_fp_ieee_overflow 0
		.amdhsa_exception_fp_ieee_underflow 0
		.amdhsa_exception_fp_ieee_inexact 0
		.amdhsa_exception_int_div_zero 0
	.end_amdhsa_kernel
	.section	.text._ZN7rocprim17ROCPRIM_400000_NS6detail17trampoline_kernelINS0_14default_configENS1_25transform_config_selectorIjLb0EEEZNS1_14transform_implILb0ES3_S5_PjN6thrust23THRUST_200600_302600_NS6detail15normal_iteratorINS9_10device_ptrIjEEEENS0_8identityIjEEEE10hipError_tT2_T3_mT4_P12ihipStream_tbEUlT_E_NS1_11comp_targetILNS1_3genE0ELNS1_11target_archE4294967295ELNS1_3gpuE0ELNS1_3repE0EEENS1_30default_config_static_selectorELNS0_4arch9wavefront6targetE1EEEvT1_,"axG",@progbits,_ZN7rocprim17ROCPRIM_400000_NS6detail17trampoline_kernelINS0_14default_configENS1_25transform_config_selectorIjLb0EEEZNS1_14transform_implILb0ES3_S5_PjN6thrust23THRUST_200600_302600_NS6detail15normal_iteratorINS9_10device_ptrIjEEEENS0_8identityIjEEEE10hipError_tT2_T3_mT4_P12ihipStream_tbEUlT_E_NS1_11comp_targetILNS1_3genE0ELNS1_11target_archE4294967295ELNS1_3gpuE0ELNS1_3repE0EEENS1_30default_config_static_selectorELNS0_4arch9wavefront6targetE1EEEvT1_,comdat
.Lfunc_end3211:
	.size	_ZN7rocprim17ROCPRIM_400000_NS6detail17trampoline_kernelINS0_14default_configENS1_25transform_config_selectorIjLb0EEEZNS1_14transform_implILb0ES3_S5_PjN6thrust23THRUST_200600_302600_NS6detail15normal_iteratorINS9_10device_ptrIjEEEENS0_8identityIjEEEE10hipError_tT2_T3_mT4_P12ihipStream_tbEUlT_E_NS1_11comp_targetILNS1_3genE0ELNS1_11target_archE4294967295ELNS1_3gpuE0ELNS1_3repE0EEENS1_30default_config_static_selectorELNS0_4arch9wavefront6targetE1EEEvT1_, .Lfunc_end3211-_ZN7rocprim17ROCPRIM_400000_NS6detail17trampoline_kernelINS0_14default_configENS1_25transform_config_selectorIjLb0EEEZNS1_14transform_implILb0ES3_S5_PjN6thrust23THRUST_200600_302600_NS6detail15normal_iteratorINS9_10device_ptrIjEEEENS0_8identityIjEEEE10hipError_tT2_T3_mT4_P12ihipStream_tbEUlT_E_NS1_11comp_targetILNS1_3genE0ELNS1_11target_archE4294967295ELNS1_3gpuE0ELNS1_3repE0EEENS1_30default_config_static_selectorELNS0_4arch9wavefront6targetE1EEEvT1_
                                        ; -- End function
	.section	.AMDGPU.csdata,"",@progbits
; Kernel info:
; codeLenInByte = 0
; NumSgprs: 4
; NumVgprs: 0
; NumAgprs: 0
; TotalNumVgprs: 0
; ScratchSize: 0
; MemoryBound: 0
; FloatMode: 240
; IeeeMode: 1
; LDSByteSize: 0 bytes/workgroup (compile time only)
; SGPRBlocks: 0
; VGPRBlocks: 0
; NumSGPRsForWavesPerEU: 4
; NumVGPRsForWavesPerEU: 1
; AccumOffset: 4
; Occupancy: 8
; WaveLimiterHint : 0
; COMPUTE_PGM_RSRC2:SCRATCH_EN: 0
; COMPUTE_PGM_RSRC2:USER_SGPR: 6
; COMPUTE_PGM_RSRC2:TRAP_HANDLER: 0
; COMPUTE_PGM_RSRC2:TGID_X_EN: 1
; COMPUTE_PGM_RSRC2:TGID_Y_EN: 0
; COMPUTE_PGM_RSRC2:TGID_Z_EN: 0
; COMPUTE_PGM_RSRC2:TIDIG_COMP_CNT: 0
; COMPUTE_PGM_RSRC3_GFX90A:ACCUM_OFFSET: 0
; COMPUTE_PGM_RSRC3_GFX90A:TG_SPLIT: 0
	.section	.text._ZN7rocprim17ROCPRIM_400000_NS6detail17trampoline_kernelINS0_14default_configENS1_25transform_config_selectorIjLb0EEEZNS1_14transform_implILb0ES3_S5_PjN6thrust23THRUST_200600_302600_NS6detail15normal_iteratorINS9_10device_ptrIjEEEENS0_8identityIjEEEE10hipError_tT2_T3_mT4_P12ihipStream_tbEUlT_E_NS1_11comp_targetILNS1_3genE5ELNS1_11target_archE942ELNS1_3gpuE9ELNS1_3repE0EEENS1_30default_config_static_selectorELNS0_4arch9wavefront6targetE1EEEvT1_,"axG",@progbits,_ZN7rocprim17ROCPRIM_400000_NS6detail17trampoline_kernelINS0_14default_configENS1_25transform_config_selectorIjLb0EEEZNS1_14transform_implILb0ES3_S5_PjN6thrust23THRUST_200600_302600_NS6detail15normal_iteratorINS9_10device_ptrIjEEEENS0_8identityIjEEEE10hipError_tT2_T3_mT4_P12ihipStream_tbEUlT_E_NS1_11comp_targetILNS1_3genE5ELNS1_11target_archE942ELNS1_3gpuE9ELNS1_3repE0EEENS1_30default_config_static_selectorELNS0_4arch9wavefront6targetE1EEEvT1_,comdat
	.protected	_ZN7rocprim17ROCPRIM_400000_NS6detail17trampoline_kernelINS0_14default_configENS1_25transform_config_selectorIjLb0EEEZNS1_14transform_implILb0ES3_S5_PjN6thrust23THRUST_200600_302600_NS6detail15normal_iteratorINS9_10device_ptrIjEEEENS0_8identityIjEEEE10hipError_tT2_T3_mT4_P12ihipStream_tbEUlT_E_NS1_11comp_targetILNS1_3genE5ELNS1_11target_archE942ELNS1_3gpuE9ELNS1_3repE0EEENS1_30default_config_static_selectorELNS0_4arch9wavefront6targetE1EEEvT1_ ; -- Begin function _ZN7rocprim17ROCPRIM_400000_NS6detail17trampoline_kernelINS0_14default_configENS1_25transform_config_selectorIjLb0EEEZNS1_14transform_implILb0ES3_S5_PjN6thrust23THRUST_200600_302600_NS6detail15normal_iteratorINS9_10device_ptrIjEEEENS0_8identityIjEEEE10hipError_tT2_T3_mT4_P12ihipStream_tbEUlT_E_NS1_11comp_targetILNS1_3genE5ELNS1_11target_archE942ELNS1_3gpuE9ELNS1_3repE0EEENS1_30default_config_static_selectorELNS0_4arch9wavefront6targetE1EEEvT1_
	.globl	_ZN7rocprim17ROCPRIM_400000_NS6detail17trampoline_kernelINS0_14default_configENS1_25transform_config_selectorIjLb0EEEZNS1_14transform_implILb0ES3_S5_PjN6thrust23THRUST_200600_302600_NS6detail15normal_iteratorINS9_10device_ptrIjEEEENS0_8identityIjEEEE10hipError_tT2_T3_mT4_P12ihipStream_tbEUlT_E_NS1_11comp_targetILNS1_3genE5ELNS1_11target_archE942ELNS1_3gpuE9ELNS1_3repE0EEENS1_30default_config_static_selectorELNS0_4arch9wavefront6targetE1EEEvT1_
	.p2align	8
	.type	_ZN7rocprim17ROCPRIM_400000_NS6detail17trampoline_kernelINS0_14default_configENS1_25transform_config_selectorIjLb0EEEZNS1_14transform_implILb0ES3_S5_PjN6thrust23THRUST_200600_302600_NS6detail15normal_iteratorINS9_10device_ptrIjEEEENS0_8identityIjEEEE10hipError_tT2_T3_mT4_P12ihipStream_tbEUlT_E_NS1_11comp_targetILNS1_3genE5ELNS1_11target_archE942ELNS1_3gpuE9ELNS1_3repE0EEENS1_30default_config_static_selectorELNS0_4arch9wavefront6targetE1EEEvT1_,@function
_ZN7rocprim17ROCPRIM_400000_NS6detail17trampoline_kernelINS0_14default_configENS1_25transform_config_selectorIjLb0EEEZNS1_14transform_implILb0ES3_S5_PjN6thrust23THRUST_200600_302600_NS6detail15normal_iteratorINS9_10device_ptrIjEEEENS0_8identityIjEEEE10hipError_tT2_T3_mT4_P12ihipStream_tbEUlT_E_NS1_11comp_targetILNS1_3genE5ELNS1_11target_archE942ELNS1_3gpuE9ELNS1_3repE0EEENS1_30default_config_static_selectorELNS0_4arch9wavefront6targetE1EEEvT1_: ; @_ZN7rocprim17ROCPRIM_400000_NS6detail17trampoline_kernelINS0_14default_configENS1_25transform_config_selectorIjLb0EEEZNS1_14transform_implILb0ES3_S5_PjN6thrust23THRUST_200600_302600_NS6detail15normal_iteratorINS9_10device_ptrIjEEEENS0_8identityIjEEEE10hipError_tT2_T3_mT4_P12ihipStream_tbEUlT_E_NS1_11comp_targetILNS1_3genE5ELNS1_11target_archE942ELNS1_3gpuE9ELNS1_3repE0EEENS1_30default_config_static_selectorELNS0_4arch9wavefront6targetE1EEEvT1_
; %bb.0:
	.section	.rodata,"a",@progbits
	.p2align	6, 0x0
	.amdhsa_kernel _ZN7rocprim17ROCPRIM_400000_NS6detail17trampoline_kernelINS0_14default_configENS1_25transform_config_selectorIjLb0EEEZNS1_14transform_implILb0ES3_S5_PjN6thrust23THRUST_200600_302600_NS6detail15normal_iteratorINS9_10device_ptrIjEEEENS0_8identityIjEEEE10hipError_tT2_T3_mT4_P12ihipStream_tbEUlT_E_NS1_11comp_targetILNS1_3genE5ELNS1_11target_archE942ELNS1_3gpuE9ELNS1_3repE0EEENS1_30default_config_static_selectorELNS0_4arch9wavefront6targetE1EEEvT1_
		.amdhsa_group_segment_fixed_size 0
		.amdhsa_private_segment_fixed_size 0
		.amdhsa_kernarg_size 40
		.amdhsa_user_sgpr_count 6
		.amdhsa_user_sgpr_private_segment_buffer 1
		.amdhsa_user_sgpr_dispatch_ptr 0
		.amdhsa_user_sgpr_queue_ptr 0
		.amdhsa_user_sgpr_kernarg_segment_ptr 1
		.amdhsa_user_sgpr_dispatch_id 0
		.amdhsa_user_sgpr_flat_scratch_init 0
		.amdhsa_user_sgpr_kernarg_preload_length 0
		.amdhsa_user_sgpr_kernarg_preload_offset 0
		.amdhsa_user_sgpr_private_segment_size 0
		.amdhsa_uses_dynamic_stack 0
		.amdhsa_system_sgpr_private_segment_wavefront_offset 0
		.amdhsa_system_sgpr_workgroup_id_x 1
		.amdhsa_system_sgpr_workgroup_id_y 0
		.amdhsa_system_sgpr_workgroup_id_z 0
		.amdhsa_system_sgpr_workgroup_info 0
		.amdhsa_system_vgpr_workitem_id 0
		.amdhsa_next_free_vgpr 1
		.amdhsa_next_free_sgpr 0
		.amdhsa_accum_offset 4
		.amdhsa_reserve_vcc 0
		.amdhsa_reserve_flat_scratch 0
		.amdhsa_float_round_mode_32 0
		.amdhsa_float_round_mode_16_64 0
		.amdhsa_float_denorm_mode_32 3
		.amdhsa_float_denorm_mode_16_64 3
		.amdhsa_dx10_clamp 1
		.amdhsa_ieee_mode 1
		.amdhsa_fp16_overflow 0
		.amdhsa_tg_split 0
		.amdhsa_exception_fp_ieee_invalid_op 0
		.amdhsa_exception_fp_denorm_src 0
		.amdhsa_exception_fp_ieee_div_zero 0
		.amdhsa_exception_fp_ieee_overflow 0
		.amdhsa_exception_fp_ieee_underflow 0
		.amdhsa_exception_fp_ieee_inexact 0
		.amdhsa_exception_int_div_zero 0
	.end_amdhsa_kernel
	.section	.text._ZN7rocprim17ROCPRIM_400000_NS6detail17trampoline_kernelINS0_14default_configENS1_25transform_config_selectorIjLb0EEEZNS1_14transform_implILb0ES3_S5_PjN6thrust23THRUST_200600_302600_NS6detail15normal_iteratorINS9_10device_ptrIjEEEENS0_8identityIjEEEE10hipError_tT2_T3_mT4_P12ihipStream_tbEUlT_E_NS1_11comp_targetILNS1_3genE5ELNS1_11target_archE942ELNS1_3gpuE9ELNS1_3repE0EEENS1_30default_config_static_selectorELNS0_4arch9wavefront6targetE1EEEvT1_,"axG",@progbits,_ZN7rocprim17ROCPRIM_400000_NS6detail17trampoline_kernelINS0_14default_configENS1_25transform_config_selectorIjLb0EEEZNS1_14transform_implILb0ES3_S5_PjN6thrust23THRUST_200600_302600_NS6detail15normal_iteratorINS9_10device_ptrIjEEEENS0_8identityIjEEEE10hipError_tT2_T3_mT4_P12ihipStream_tbEUlT_E_NS1_11comp_targetILNS1_3genE5ELNS1_11target_archE942ELNS1_3gpuE9ELNS1_3repE0EEENS1_30default_config_static_selectorELNS0_4arch9wavefront6targetE1EEEvT1_,comdat
.Lfunc_end3212:
	.size	_ZN7rocprim17ROCPRIM_400000_NS6detail17trampoline_kernelINS0_14default_configENS1_25transform_config_selectorIjLb0EEEZNS1_14transform_implILb0ES3_S5_PjN6thrust23THRUST_200600_302600_NS6detail15normal_iteratorINS9_10device_ptrIjEEEENS0_8identityIjEEEE10hipError_tT2_T3_mT4_P12ihipStream_tbEUlT_E_NS1_11comp_targetILNS1_3genE5ELNS1_11target_archE942ELNS1_3gpuE9ELNS1_3repE0EEENS1_30default_config_static_selectorELNS0_4arch9wavefront6targetE1EEEvT1_, .Lfunc_end3212-_ZN7rocprim17ROCPRIM_400000_NS6detail17trampoline_kernelINS0_14default_configENS1_25transform_config_selectorIjLb0EEEZNS1_14transform_implILb0ES3_S5_PjN6thrust23THRUST_200600_302600_NS6detail15normal_iteratorINS9_10device_ptrIjEEEENS0_8identityIjEEEE10hipError_tT2_T3_mT4_P12ihipStream_tbEUlT_E_NS1_11comp_targetILNS1_3genE5ELNS1_11target_archE942ELNS1_3gpuE9ELNS1_3repE0EEENS1_30default_config_static_selectorELNS0_4arch9wavefront6targetE1EEEvT1_
                                        ; -- End function
	.section	.AMDGPU.csdata,"",@progbits
; Kernel info:
; codeLenInByte = 0
; NumSgprs: 4
; NumVgprs: 0
; NumAgprs: 0
; TotalNumVgprs: 0
; ScratchSize: 0
; MemoryBound: 0
; FloatMode: 240
; IeeeMode: 1
; LDSByteSize: 0 bytes/workgroup (compile time only)
; SGPRBlocks: 0
; VGPRBlocks: 0
; NumSGPRsForWavesPerEU: 4
; NumVGPRsForWavesPerEU: 1
; AccumOffset: 4
; Occupancy: 8
; WaveLimiterHint : 0
; COMPUTE_PGM_RSRC2:SCRATCH_EN: 0
; COMPUTE_PGM_RSRC2:USER_SGPR: 6
; COMPUTE_PGM_RSRC2:TRAP_HANDLER: 0
; COMPUTE_PGM_RSRC2:TGID_X_EN: 1
; COMPUTE_PGM_RSRC2:TGID_Y_EN: 0
; COMPUTE_PGM_RSRC2:TGID_Z_EN: 0
; COMPUTE_PGM_RSRC2:TIDIG_COMP_CNT: 0
; COMPUTE_PGM_RSRC3_GFX90A:ACCUM_OFFSET: 0
; COMPUTE_PGM_RSRC3_GFX90A:TG_SPLIT: 0
	.section	.text._ZN7rocprim17ROCPRIM_400000_NS6detail17trampoline_kernelINS0_14default_configENS1_25transform_config_selectorIjLb0EEEZNS1_14transform_implILb0ES3_S5_PjN6thrust23THRUST_200600_302600_NS6detail15normal_iteratorINS9_10device_ptrIjEEEENS0_8identityIjEEEE10hipError_tT2_T3_mT4_P12ihipStream_tbEUlT_E_NS1_11comp_targetILNS1_3genE4ELNS1_11target_archE910ELNS1_3gpuE8ELNS1_3repE0EEENS1_30default_config_static_selectorELNS0_4arch9wavefront6targetE1EEEvT1_,"axG",@progbits,_ZN7rocprim17ROCPRIM_400000_NS6detail17trampoline_kernelINS0_14default_configENS1_25transform_config_selectorIjLb0EEEZNS1_14transform_implILb0ES3_S5_PjN6thrust23THRUST_200600_302600_NS6detail15normal_iteratorINS9_10device_ptrIjEEEENS0_8identityIjEEEE10hipError_tT2_T3_mT4_P12ihipStream_tbEUlT_E_NS1_11comp_targetILNS1_3genE4ELNS1_11target_archE910ELNS1_3gpuE8ELNS1_3repE0EEENS1_30default_config_static_selectorELNS0_4arch9wavefront6targetE1EEEvT1_,comdat
	.protected	_ZN7rocprim17ROCPRIM_400000_NS6detail17trampoline_kernelINS0_14default_configENS1_25transform_config_selectorIjLb0EEEZNS1_14transform_implILb0ES3_S5_PjN6thrust23THRUST_200600_302600_NS6detail15normal_iteratorINS9_10device_ptrIjEEEENS0_8identityIjEEEE10hipError_tT2_T3_mT4_P12ihipStream_tbEUlT_E_NS1_11comp_targetILNS1_3genE4ELNS1_11target_archE910ELNS1_3gpuE8ELNS1_3repE0EEENS1_30default_config_static_selectorELNS0_4arch9wavefront6targetE1EEEvT1_ ; -- Begin function _ZN7rocprim17ROCPRIM_400000_NS6detail17trampoline_kernelINS0_14default_configENS1_25transform_config_selectorIjLb0EEEZNS1_14transform_implILb0ES3_S5_PjN6thrust23THRUST_200600_302600_NS6detail15normal_iteratorINS9_10device_ptrIjEEEENS0_8identityIjEEEE10hipError_tT2_T3_mT4_P12ihipStream_tbEUlT_E_NS1_11comp_targetILNS1_3genE4ELNS1_11target_archE910ELNS1_3gpuE8ELNS1_3repE0EEENS1_30default_config_static_selectorELNS0_4arch9wavefront6targetE1EEEvT1_
	.globl	_ZN7rocprim17ROCPRIM_400000_NS6detail17trampoline_kernelINS0_14default_configENS1_25transform_config_selectorIjLb0EEEZNS1_14transform_implILb0ES3_S5_PjN6thrust23THRUST_200600_302600_NS6detail15normal_iteratorINS9_10device_ptrIjEEEENS0_8identityIjEEEE10hipError_tT2_T3_mT4_P12ihipStream_tbEUlT_E_NS1_11comp_targetILNS1_3genE4ELNS1_11target_archE910ELNS1_3gpuE8ELNS1_3repE0EEENS1_30default_config_static_selectorELNS0_4arch9wavefront6targetE1EEEvT1_
	.p2align	8
	.type	_ZN7rocprim17ROCPRIM_400000_NS6detail17trampoline_kernelINS0_14default_configENS1_25transform_config_selectorIjLb0EEEZNS1_14transform_implILb0ES3_S5_PjN6thrust23THRUST_200600_302600_NS6detail15normal_iteratorINS9_10device_ptrIjEEEENS0_8identityIjEEEE10hipError_tT2_T3_mT4_P12ihipStream_tbEUlT_E_NS1_11comp_targetILNS1_3genE4ELNS1_11target_archE910ELNS1_3gpuE8ELNS1_3repE0EEENS1_30default_config_static_selectorELNS0_4arch9wavefront6targetE1EEEvT1_,@function
_ZN7rocprim17ROCPRIM_400000_NS6detail17trampoline_kernelINS0_14default_configENS1_25transform_config_selectorIjLb0EEEZNS1_14transform_implILb0ES3_S5_PjN6thrust23THRUST_200600_302600_NS6detail15normal_iteratorINS9_10device_ptrIjEEEENS0_8identityIjEEEE10hipError_tT2_T3_mT4_P12ihipStream_tbEUlT_E_NS1_11comp_targetILNS1_3genE4ELNS1_11target_archE910ELNS1_3gpuE8ELNS1_3repE0EEENS1_30default_config_static_selectorELNS0_4arch9wavefront6targetE1EEEvT1_: ; @_ZN7rocprim17ROCPRIM_400000_NS6detail17trampoline_kernelINS0_14default_configENS1_25transform_config_selectorIjLb0EEEZNS1_14transform_implILb0ES3_S5_PjN6thrust23THRUST_200600_302600_NS6detail15normal_iteratorINS9_10device_ptrIjEEEENS0_8identityIjEEEE10hipError_tT2_T3_mT4_P12ihipStream_tbEUlT_E_NS1_11comp_targetILNS1_3genE4ELNS1_11target_archE910ELNS1_3gpuE8ELNS1_3repE0EEENS1_30default_config_static_selectorELNS0_4arch9wavefront6targetE1EEEvT1_
; %bb.0:
	s_load_dwordx8 s[8:15], s[4:5], 0x0
	s_load_dword s2, s[4:5], 0x28
	v_lshlrev_b32_e32 v1, 2, v0
	s_waitcnt lgkmcnt(0)
	s_lshl_b64 s[0:1], s[10:11], 2
	s_add_u32 s4, s8, s0
	s_addc_u32 s5, s9, s1
	s_add_u32 s10, s14, s0
	s_addc_u32 s11, s15, s1
	s_lshl_b32 s0, s6, 11
	s_mov_b32 s1, 0
	s_add_i32 s7, s2, -1
	s_lshl_b64 s[2:3], s[0:1], 2
	s_add_u32 s8, s4, s2
	s_addc_u32 s9, s5, s3
	s_cmp_lg_u32 s6, s7
	s_cbranch_scc0 .LBB3213_2
; %bb.1:
	v_mov_b32_e32 v2, s9
	v_add_co_u32_e32 v3, vcc, s8, v1
	v_addc_co_u32_e32 v4, vcc, 0, v2, vcc
	v_add_co_u32_e32 v2, vcc, 0x1000, v3
	global_load_dword v6, v1, s[8:9]
	v_addc_co_u32_e32 v3, vcc, 0, v4, vcc
	global_load_dword v3, v[2:3], off
	s_add_u32 s1, s10, s2
	s_addc_u32 s4, s11, s3
	v_mov_b32_e32 v2, s4
	v_add_co_u32_e32 v4, vcc, s1, v1
	v_addc_co_u32_e32 v5, vcc, 0, v2, vcc
	s_mov_b64 s[4:5], -1
	s_waitcnt vmcnt(1)
	flat_store_dword v[4:5], v6
	s_cbranch_execz .LBB3213_3
	s_branch .LBB3213_12
.LBB3213_2:
	s_mov_b64 s[4:5], 0
                                        ; implicit-def: $vgpr3
                                        ; implicit-def: $vgpr4_vgpr5
.LBB3213_3:
	s_sub_i32 s6, s12, s0
	v_cmp_gt_u32_e32 vcc, s6, v0
                                        ; implicit-def: $vgpr2_vgpr3
	s_and_saveexec_b64 s[0:1], vcc
	s_cbranch_execz .LBB3213_5
; %bb.4:
	global_load_dword v2, v1, s[8:9]
.LBB3213_5:
	s_or_b64 exec, exec, s[0:1]
	v_or_b32_e32 v0, 0x400, v0
	v_cmp_gt_u32_e64 s[0:1], s6, v0
	s_and_saveexec_b64 s[6:7], s[0:1]
	s_cbranch_execz .LBB3213_7
; %bb.6:
	v_lshlrev_b32_e32 v0, 2, v0
	global_load_dword v3, v0, s[8:9]
.LBB3213_7:
	s_or_b64 exec, exec, s[6:7]
	s_add_u32 s2, s10, s2
	s_addc_u32 s3, s11, s3
	v_mov_b32_e32 v0, s3
	v_add_co_u32_e64 v4, s[2:3], s2, v1
	v_addc_co_u32_e64 v5, s[2:3], 0, v0, s[2:3]
	s_and_saveexec_b64 s[2:3], vcc
	s_cbranch_execz .LBB3213_9
; %bb.8:
	s_waitcnt vmcnt(0)
	flat_store_dword v[4:5], v2
.LBB3213_9:
	s_or_b64 exec, exec, s[2:3]
	s_and_saveexec_b64 s[2:3], s[0:1]
; %bb.10:
	s_or_b64 s[4:5], s[4:5], exec
; %bb.11:
	s_or_b64 exec, exec, s[2:3]
.LBB3213_12:
	s_and_saveexec_b64 s[0:1], s[4:5]
	s_cbranch_execnz .LBB3213_14
; %bb.13:
	s_endpgm
.LBB3213_14:
	v_add_co_u32_e32 v0, vcc, 0x1000, v4
	v_addc_co_u32_e32 v1, vcc, 0, v5, vcc
	s_waitcnt vmcnt(0)
	flat_store_dword v[0:1], v3
	s_endpgm
	.section	.rodata,"a",@progbits
	.p2align	6, 0x0
	.amdhsa_kernel _ZN7rocprim17ROCPRIM_400000_NS6detail17trampoline_kernelINS0_14default_configENS1_25transform_config_selectorIjLb0EEEZNS1_14transform_implILb0ES3_S5_PjN6thrust23THRUST_200600_302600_NS6detail15normal_iteratorINS9_10device_ptrIjEEEENS0_8identityIjEEEE10hipError_tT2_T3_mT4_P12ihipStream_tbEUlT_E_NS1_11comp_targetILNS1_3genE4ELNS1_11target_archE910ELNS1_3gpuE8ELNS1_3repE0EEENS1_30default_config_static_selectorELNS0_4arch9wavefront6targetE1EEEvT1_
		.amdhsa_group_segment_fixed_size 0
		.amdhsa_private_segment_fixed_size 0
		.amdhsa_kernarg_size 296
		.amdhsa_user_sgpr_count 6
		.amdhsa_user_sgpr_private_segment_buffer 1
		.amdhsa_user_sgpr_dispatch_ptr 0
		.amdhsa_user_sgpr_queue_ptr 0
		.amdhsa_user_sgpr_kernarg_segment_ptr 1
		.amdhsa_user_sgpr_dispatch_id 0
		.amdhsa_user_sgpr_flat_scratch_init 0
		.amdhsa_user_sgpr_kernarg_preload_length 0
		.amdhsa_user_sgpr_kernarg_preload_offset 0
		.amdhsa_user_sgpr_private_segment_size 0
		.amdhsa_uses_dynamic_stack 0
		.amdhsa_system_sgpr_private_segment_wavefront_offset 0
		.amdhsa_system_sgpr_workgroup_id_x 1
		.amdhsa_system_sgpr_workgroup_id_y 0
		.amdhsa_system_sgpr_workgroup_id_z 0
		.amdhsa_system_sgpr_workgroup_info 0
		.amdhsa_system_vgpr_workitem_id 0
		.amdhsa_next_free_vgpr 7
		.amdhsa_next_free_sgpr 16
		.amdhsa_accum_offset 8
		.amdhsa_reserve_vcc 1
		.amdhsa_reserve_flat_scratch 0
		.amdhsa_float_round_mode_32 0
		.amdhsa_float_round_mode_16_64 0
		.amdhsa_float_denorm_mode_32 3
		.amdhsa_float_denorm_mode_16_64 3
		.amdhsa_dx10_clamp 1
		.amdhsa_ieee_mode 1
		.amdhsa_fp16_overflow 0
		.amdhsa_tg_split 0
		.amdhsa_exception_fp_ieee_invalid_op 0
		.amdhsa_exception_fp_denorm_src 0
		.amdhsa_exception_fp_ieee_div_zero 0
		.amdhsa_exception_fp_ieee_overflow 0
		.amdhsa_exception_fp_ieee_underflow 0
		.amdhsa_exception_fp_ieee_inexact 0
		.amdhsa_exception_int_div_zero 0
	.end_amdhsa_kernel
	.section	.text._ZN7rocprim17ROCPRIM_400000_NS6detail17trampoline_kernelINS0_14default_configENS1_25transform_config_selectorIjLb0EEEZNS1_14transform_implILb0ES3_S5_PjN6thrust23THRUST_200600_302600_NS6detail15normal_iteratorINS9_10device_ptrIjEEEENS0_8identityIjEEEE10hipError_tT2_T3_mT4_P12ihipStream_tbEUlT_E_NS1_11comp_targetILNS1_3genE4ELNS1_11target_archE910ELNS1_3gpuE8ELNS1_3repE0EEENS1_30default_config_static_selectorELNS0_4arch9wavefront6targetE1EEEvT1_,"axG",@progbits,_ZN7rocprim17ROCPRIM_400000_NS6detail17trampoline_kernelINS0_14default_configENS1_25transform_config_selectorIjLb0EEEZNS1_14transform_implILb0ES3_S5_PjN6thrust23THRUST_200600_302600_NS6detail15normal_iteratorINS9_10device_ptrIjEEEENS0_8identityIjEEEE10hipError_tT2_T3_mT4_P12ihipStream_tbEUlT_E_NS1_11comp_targetILNS1_3genE4ELNS1_11target_archE910ELNS1_3gpuE8ELNS1_3repE0EEENS1_30default_config_static_selectorELNS0_4arch9wavefront6targetE1EEEvT1_,comdat
.Lfunc_end3213:
	.size	_ZN7rocprim17ROCPRIM_400000_NS6detail17trampoline_kernelINS0_14default_configENS1_25transform_config_selectorIjLb0EEEZNS1_14transform_implILb0ES3_S5_PjN6thrust23THRUST_200600_302600_NS6detail15normal_iteratorINS9_10device_ptrIjEEEENS0_8identityIjEEEE10hipError_tT2_T3_mT4_P12ihipStream_tbEUlT_E_NS1_11comp_targetILNS1_3genE4ELNS1_11target_archE910ELNS1_3gpuE8ELNS1_3repE0EEENS1_30default_config_static_selectorELNS0_4arch9wavefront6targetE1EEEvT1_, .Lfunc_end3213-_ZN7rocprim17ROCPRIM_400000_NS6detail17trampoline_kernelINS0_14default_configENS1_25transform_config_selectorIjLb0EEEZNS1_14transform_implILb0ES3_S5_PjN6thrust23THRUST_200600_302600_NS6detail15normal_iteratorINS9_10device_ptrIjEEEENS0_8identityIjEEEE10hipError_tT2_T3_mT4_P12ihipStream_tbEUlT_E_NS1_11comp_targetILNS1_3genE4ELNS1_11target_archE910ELNS1_3gpuE8ELNS1_3repE0EEENS1_30default_config_static_selectorELNS0_4arch9wavefront6targetE1EEEvT1_
                                        ; -- End function
	.section	.AMDGPU.csdata,"",@progbits
; Kernel info:
; codeLenInByte = 336
; NumSgprs: 20
; NumVgprs: 7
; NumAgprs: 0
; TotalNumVgprs: 7
; ScratchSize: 0
; MemoryBound: 0
; FloatMode: 240
; IeeeMode: 1
; LDSByteSize: 0 bytes/workgroup (compile time only)
; SGPRBlocks: 2
; VGPRBlocks: 0
; NumSGPRsForWavesPerEU: 20
; NumVGPRsForWavesPerEU: 7
; AccumOffset: 8
; Occupancy: 8
; WaveLimiterHint : 1
; COMPUTE_PGM_RSRC2:SCRATCH_EN: 0
; COMPUTE_PGM_RSRC2:USER_SGPR: 6
; COMPUTE_PGM_RSRC2:TRAP_HANDLER: 0
; COMPUTE_PGM_RSRC2:TGID_X_EN: 1
; COMPUTE_PGM_RSRC2:TGID_Y_EN: 0
; COMPUTE_PGM_RSRC2:TGID_Z_EN: 0
; COMPUTE_PGM_RSRC2:TIDIG_COMP_CNT: 0
; COMPUTE_PGM_RSRC3_GFX90A:ACCUM_OFFSET: 1
; COMPUTE_PGM_RSRC3_GFX90A:TG_SPLIT: 0
	.section	.text._ZN7rocprim17ROCPRIM_400000_NS6detail17trampoline_kernelINS0_14default_configENS1_25transform_config_selectorIjLb0EEEZNS1_14transform_implILb0ES3_S5_PjN6thrust23THRUST_200600_302600_NS6detail15normal_iteratorINS9_10device_ptrIjEEEENS0_8identityIjEEEE10hipError_tT2_T3_mT4_P12ihipStream_tbEUlT_E_NS1_11comp_targetILNS1_3genE3ELNS1_11target_archE908ELNS1_3gpuE7ELNS1_3repE0EEENS1_30default_config_static_selectorELNS0_4arch9wavefront6targetE1EEEvT1_,"axG",@progbits,_ZN7rocprim17ROCPRIM_400000_NS6detail17trampoline_kernelINS0_14default_configENS1_25transform_config_selectorIjLb0EEEZNS1_14transform_implILb0ES3_S5_PjN6thrust23THRUST_200600_302600_NS6detail15normal_iteratorINS9_10device_ptrIjEEEENS0_8identityIjEEEE10hipError_tT2_T3_mT4_P12ihipStream_tbEUlT_E_NS1_11comp_targetILNS1_3genE3ELNS1_11target_archE908ELNS1_3gpuE7ELNS1_3repE0EEENS1_30default_config_static_selectorELNS0_4arch9wavefront6targetE1EEEvT1_,comdat
	.protected	_ZN7rocprim17ROCPRIM_400000_NS6detail17trampoline_kernelINS0_14default_configENS1_25transform_config_selectorIjLb0EEEZNS1_14transform_implILb0ES3_S5_PjN6thrust23THRUST_200600_302600_NS6detail15normal_iteratorINS9_10device_ptrIjEEEENS0_8identityIjEEEE10hipError_tT2_T3_mT4_P12ihipStream_tbEUlT_E_NS1_11comp_targetILNS1_3genE3ELNS1_11target_archE908ELNS1_3gpuE7ELNS1_3repE0EEENS1_30default_config_static_selectorELNS0_4arch9wavefront6targetE1EEEvT1_ ; -- Begin function _ZN7rocprim17ROCPRIM_400000_NS6detail17trampoline_kernelINS0_14default_configENS1_25transform_config_selectorIjLb0EEEZNS1_14transform_implILb0ES3_S5_PjN6thrust23THRUST_200600_302600_NS6detail15normal_iteratorINS9_10device_ptrIjEEEENS0_8identityIjEEEE10hipError_tT2_T3_mT4_P12ihipStream_tbEUlT_E_NS1_11comp_targetILNS1_3genE3ELNS1_11target_archE908ELNS1_3gpuE7ELNS1_3repE0EEENS1_30default_config_static_selectorELNS0_4arch9wavefront6targetE1EEEvT1_
	.globl	_ZN7rocprim17ROCPRIM_400000_NS6detail17trampoline_kernelINS0_14default_configENS1_25transform_config_selectorIjLb0EEEZNS1_14transform_implILb0ES3_S5_PjN6thrust23THRUST_200600_302600_NS6detail15normal_iteratorINS9_10device_ptrIjEEEENS0_8identityIjEEEE10hipError_tT2_T3_mT4_P12ihipStream_tbEUlT_E_NS1_11comp_targetILNS1_3genE3ELNS1_11target_archE908ELNS1_3gpuE7ELNS1_3repE0EEENS1_30default_config_static_selectorELNS0_4arch9wavefront6targetE1EEEvT1_
	.p2align	8
	.type	_ZN7rocprim17ROCPRIM_400000_NS6detail17trampoline_kernelINS0_14default_configENS1_25transform_config_selectorIjLb0EEEZNS1_14transform_implILb0ES3_S5_PjN6thrust23THRUST_200600_302600_NS6detail15normal_iteratorINS9_10device_ptrIjEEEENS0_8identityIjEEEE10hipError_tT2_T3_mT4_P12ihipStream_tbEUlT_E_NS1_11comp_targetILNS1_3genE3ELNS1_11target_archE908ELNS1_3gpuE7ELNS1_3repE0EEENS1_30default_config_static_selectorELNS0_4arch9wavefront6targetE1EEEvT1_,@function
_ZN7rocprim17ROCPRIM_400000_NS6detail17trampoline_kernelINS0_14default_configENS1_25transform_config_selectorIjLb0EEEZNS1_14transform_implILb0ES3_S5_PjN6thrust23THRUST_200600_302600_NS6detail15normal_iteratorINS9_10device_ptrIjEEEENS0_8identityIjEEEE10hipError_tT2_T3_mT4_P12ihipStream_tbEUlT_E_NS1_11comp_targetILNS1_3genE3ELNS1_11target_archE908ELNS1_3gpuE7ELNS1_3repE0EEENS1_30default_config_static_selectorELNS0_4arch9wavefront6targetE1EEEvT1_: ; @_ZN7rocprim17ROCPRIM_400000_NS6detail17trampoline_kernelINS0_14default_configENS1_25transform_config_selectorIjLb0EEEZNS1_14transform_implILb0ES3_S5_PjN6thrust23THRUST_200600_302600_NS6detail15normal_iteratorINS9_10device_ptrIjEEEENS0_8identityIjEEEE10hipError_tT2_T3_mT4_P12ihipStream_tbEUlT_E_NS1_11comp_targetILNS1_3genE3ELNS1_11target_archE908ELNS1_3gpuE7ELNS1_3repE0EEENS1_30default_config_static_selectorELNS0_4arch9wavefront6targetE1EEEvT1_
; %bb.0:
	.section	.rodata,"a",@progbits
	.p2align	6, 0x0
	.amdhsa_kernel _ZN7rocprim17ROCPRIM_400000_NS6detail17trampoline_kernelINS0_14default_configENS1_25transform_config_selectorIjLb0EEEZNS1_14transform_implILb0ES3_S5_PjN6thrust23THRUST_200600_302600_NS6detail15normal_iteratorINS9_10device_ptrIjEEEENS0_8identityIjEEEE10hipError_tT2_T3_mT4_P12ihipStream_tbEUlT_E_NS1_11comp_targetILNS1_3genE3ELNS1_11target_archE908ELNS1_3gpuE7ELNS1_3repE0EEENS1_30default_config_static_selectorELNS0_4arch9wavefront6targetE1EEEvT1_
		.amdhsa_group_segment_fixed_size 0
		.amdhsa_private_segment_fixed_size 0
		.amdhsa_kernarg_size 40
		.amdhsa_user_sgpr_count 6
		.amdhsa_user_sgpr_private_segment_buffer 1
		.amdhsa_user_sgpr_dispatch_ptr 0
		.amdhsa_user_sgpr_queue_ptr 0
		.amdhsa_user_sgpr_kernarg_segment_ptr 1
		.amdhsa_user_sgpr_dispatch_id 0
		.amdhsa_user_sgpr_flat_scratch_init 0
		.amdhsa_user_sgpr_kernarg_preload_length 0
		.amdhsa_user_sgpr_kernarg_preload_offset 0
		.amdhsa_user_sgpr_private_segment_size 0
		.amdhsa_uses_dynamic_stack 0
		.amdhsa_system_sgpr_private_segment_wavefront_offset 0
		.amdhsa_system_sgpr_workgroup_id_x 1
		.amdhsa_system_sgpr_workgroup_id_y 0
		.amdhsa_system_sgpr_workgroup_id_z 0
		.amdhsa_system_sgpr_workgroup_info 0
		.amdhsa_system_vgpr_workitem_id 0
		.amdhsa_next_free_vgpr 1
		.amdhsa_next_free_sgpr 0
		.amdhsa_accum_offset 4
		.amdhsa_reserve_vcc 0
		.amdhsa_reserve_flat_scratch 0
		.amdhsa_float_round_mode_32 0
		.amdhsa_float_round_mode_16_64 0
		.amdhsa_float_denorm_mode_32 3
		.amdhsa_float_denorm_mode_16_64 3
		.amdhsa_dx10_clamp 1
		.amdhsa_ieee_mode 1
		.amdhsa_fp16_overflow 0
		.amdhsa_tg_split 0
		.amdhsa_exception_fp_ieee_invalid_op 0
		.amdhsa_exception_fp_denorm_src 0
		.amdhsa_exception_fp_ieee_div_zero 0
		.amdhsa_exception_fp_ieee_overflow 0
		.amdhsa_exception_fp_ieee_underflow 0
		.amdhsa_exception_fp_ieee_inexact 0
		.amdhsa_exception_int_div_zero 0
	.end_amdhsa_kernel
	.section	.text._ZN7rocprim17ROCPRIM_400000_NS6detail17trampoline_kernelINS0_14default_configENS1_25transform_config_selectorIjLb0EEEZNS1_14transform_implILb0ES3_S5_PjN6thrust23THRUST_200600_302600_NS6detail15normal_iteratorINS9_10device_ptrIjEEEENS0_8identityIjEEEE10hipError_tT2_T3_mT4_P12ihipStream_tbEUlT_E_NS1_11comp_targetILNS1_3genE3ELNS1_11target_archE908ELNS1_3gpuE7ELNS1_3repE0EEENS1_30default_config_static_selectorELNS0_4arch9wavefront6targetE1EEEvT1_,"axG",@progbits,_ZN7rocprim17ROCPRIM_400000_NS6detail17trampoline_kernelINS0_14default_configENS1_25transform_config_selectorIjLb0EEEZNS1_14transform_implILb0ES3_S5_PjN6thrust23THRUST_200600_302600_NS6detail15normal_iteratorINS9_10device_ptrIjEEEENS0_8identityIjEEEE10hipError_tT2_T3_mT4_P12ihipStream_tbEUlT_E_NS1_11comp_targetILNS1_3genE3ELNS1_11target_archE908ELNS1_3gpuE7ELNS1_3repE0EEENS1_30default_config_static_selectorELNS0_4arch9wavefront6targetE1EEEvT1_,comdat
.Lfunc_end3214:
	.size	_ZN7rocprim17ROCPRIM_400000_NS6detail17trampoline_kernelINS0_14default_configENS1_25transform_config_selectorIjLb0EEEZNS1_14transform_implILb0ES3_S5_PjN6thrust23THRUST_200600_302600_NS6detail15normal_iteratorINS9_10device_ptrIjEEEENS0_8identityIjEEEE10hipError_tT2_T3_mT4_P12ihipStream_tbEUlT_E_NS1_11comp_targetILNS1_3genE3ELNS1_11target_archE908ELNS1_3gpuE7ELNS1_3repE0EEENS1_30default_config_static_selectorELNS0_4arch9wavefront6targetE1EEEvT1_, .Lfunc_end3214-_ZN7rocprim17ROCPRIM_400000_NS6detail17trampoline_kernelINS0_14default_configENS1_25transform_config_selectorIjLb0EEEZNS1_14transform_implILb0ES3_S5_PjN6thrust23THRUST_200600_302600_NS6detail15normal_iteratorINS9_10device_ptrIjEEEENS0_8identityIjEEEE10hipError_tT2_T3_mT4_P12ihipStream_tbEUlT_E_NS1_11comp_targetILNS1_3genE3ELNS1_11target_archE908ELNS1_3gpuE7ELNS1_3repE0EEENS1_30default_config_static_selectorELNS0_4arch9wavefront6targetE1EEEvT1_
                                        ; -- End function
	.section	.AMDGPU.csdata,"",@progbits
; Kernel info:
; codeLenInByte = 0
; NumSgprs: 4
; NumVgprs: 0
; NumAgprs: 0
; TotalNumVgprs: 0
; ScratchSize: 0
; MemoryBound: 0
; FloatMode: 240
; IeeeMode: 1
; LDSByteSize: 0 bytes/workgroup (compile time only)
; SGPRBlocks: 0
; VGPRBlocks: 0
; NumSGPRsForWavesPerEU: 4
; NumVGPRsForWavesPerEU: 1
; AccumOffset: 4
; Occupancy: 8
; WaveLimiterHint : 0
; COMPUTE_PGM_RSRC2:SCRATCH_EN: 0
; COMPUTE_PGM_RSRC2:USER_SGPR: 6
; COMPUTE_PGM_RSRC2:TRAP_HANDLER: 0
; COMPUTE_PGM_RSRC2:TGID_X_EN: 1
; COMPUTE_PGM_RSRC2:TGID_Y_EN: 0
; COMPUTE_PGM_RSRC2:TGID_Z_EN: 0
; COMPUTE_PGM_RSRC2:TIDIG_COMP_CNT: 0
; COMPUTE_PGM_RSRC3_GFX90A:ACCUM_OFFSET: 0
; COMPUTE_PGM_RSRC3_GFX90A:TG_SPLIT: 0
	.section	.text._ZN7rocprim17ROCPRIM_400000_NS6detail17trampoline_kernelINS0_14default_configENS1_25transform_config_selectorIjLb0EEEZNS1_14transform_implILb0ES3_S5_PjN6thrust23THRUST_200600_302600_NS6detail15normal_iteratorINS9_10device_ptrIjEEEENS0_8identityIjEEEE10hipError_tT2_T3_mT4_P12ihipStream_tbEUlT_E_NS1_11comp_targetILNS1_3genE2ELNS1_11target_archE906ELNS1_3gpuE6ELNS1_3repE0EEENS1_30default_config_static_selectorELNS0_4arch9wavefront6targetE1EEEvT1_,"axG",@progbits,_ZN7rocprim17ROCPRIM_400000_NS6detail17trampoline_kernelINS0_14default_configENS1_25transform_config_selectorIjLb0EEEZNS1_14transform_implILb0ES3_S5_PjN6thrust23THRUST_200600_302600_NS6detail15normal_iteratorINS9_10device_ptrIjEEEENS0_8identityIjEEEE10hipError_tT2_T3_mT4_P12ihipStream_tbEUlT_E_NS1_11comp_targetILNS1_3genE2ELNS1_11target_archE906ELNS1_3gpuE6ELNS1_3repE0EEENS1_30default_config_static_selectorELNS0_4arch9wavefront6targetE1EEEvT1_,comdat
	.protected	_ZN7rocprim17ROCPRIM_400000_NS6detail17trampoline_kernelINS0_14default_configENS1_25transform_config_selectorIjLb0EEEZNS1_14transform_implILb0ES3_S5_PjN6thrust23THRUST_200600_302600_NS6detail15normal_iteratorINS9_10device_ptrIjEEEENS0_8identityIjEEEE10hipError_tT2_T3_mT4_P12ihipStream_tbEUlT_E_NS1_11comp_targetILNS1_3genE2ELNS1_11target_archE906ELNS1_3gpuE6ELNS1_3repE0EEENS1_30default_config_static_selectorELNS0_4arch9wavefront6targetE1EEEvT1_ ; -- Begin function _ZN7rocprim17ROCPRIM_400000_NS6detail17trampoline_kernelINS0_14default_configENS1_25transform_config_selectorIjLb0EEEZNS1_14transform_implILb0ES3_S5_PjN6thrust23THRUST_200600_302600_NS6detail15normal_iteratorINS9_10device_ptrIjEEEENS0_8identityIjEEEE10hipError_tT2_T3_mT4_P12ihipStream_tbEUlT_E_NS1_11comp_targetILNS1_3genE2ELNS1_11target_archE906ELNS1_3gpuE6ELNS1_3repE0EEENS1_30default_config_static_selectorELNS0_4arch9wavefront6targetE1EEEvT1_
	.globl	_ZN7rocprim17ROCPRIM_400000_NS6detail17trampoline_kernelINS0_14default_configENS1_25transform_config_selectorIjLb0EEEZNS1_14transform_implILb0ES3_S5_PjN6thrust23THRUST_200600_302600_NS6detail15normal_iteratorINS9_10device_ptrIjEEEENS0_8identityIjEEEE10hipError_tT2_T3_mT4_P12ihipStream_tbEUlT_E_NS1_11comp_targetILNS1_3genE2ELNS1_11target_archE906ELNS1_3gpuE6ELNS1_3repE0EEENS1_30default_config_static_selectorELNS0_4arch9wavefront6targetE1EEEvT1_
	.p2align	8
	.type	_ZN7rocprim17ROCPRIM_400000_NS6detail17trampoline_kernelINS0_14default_configENS1_25transform_config_selectorIjLb0EEEZNS1_14transform_implILb0ES3_S5_PjN6thrust23THRUST_200600_302600_NS6detail15normal_iteratorINS9_10device_ptrIjEEEENS0_8identityIjEEEE10hipError_tT2_T3_mT4_P12ihipStream_tbEUlT_E_NS1_11comp_targetILNS1_3genE2ELNS1_11target_archE906ELNS1_3gpuE6ELNS1_3repE0EEENS1_30default_config_static_selectorELNS0_4arch9wavefront6targetE1EEEvT1_,@function
_ZN7rocprim17ROCPRIM_400000_NS6detail17trampoline_kernelINS0_14default_configENS1_25transform_config_selectorIjLb0EEEZNS1_14transform_implILb0ES3_S5_PjN6thrust23THRUST_200600_302600_NS6detail15normal_iteratorINS9_10device_ptrIjEEEENS0_8identityIjEEEE10hipError_tT2_T3_mT4_P12ihipStream_tbEUlT_E_NS1_11comp_targetILNS1_3genE2ELNS1_11target_archE906ELNS1_3gpuE6ELNS1_3repE0EEENS1_30default_config_static_selectorELNS0_4arch9wavefront6targetE1EEEvT1_: ; @_ZN7rocprim17ROCPRIM_400000_NS6detail17trampoline_kernelINS0_14default_configENS1_25transform_config_selectorIjLb0EEEZNS1_14transform_implILb0ES3_S5_PjN6thrust23THRUST_200600_302600_NS6detail15normal_iteratorINS9_10device_ptrIjEEEENS0_8identityIjEEEE10hipError_tT2_T3_mT4_P12ihipStream_tbEUlT_E_NS1_11comp_targetILNS1_3genE2ELNS1_11target_archE906ELNS1_3gpuE6ELNS1_3repE0EEENS1_30default_config_static_selectorELNS0_4arch9wavefront6targetE1EEEvT1_
; %bb.0:
	.section	.rodata,"a",@progbits
	.p2align	6, 0x0
	.amdhsa_kernel _ZN7rocprim17ROCPRIM_400000_NS6detail17trampoline_kernelINS0_14default_configENS1_25transform_config_selectorIjLb0EEEZNS1_14transform_implILb0ES3_S5_PjN6thrust23THRUST_200600_302600_NS6detail15normal_iteratorINS9_10device_ptrIjEEEENS0_8identityIjEEEE10hipError_tT2_T3_mT4_P12ihipStream_tbEUlT_E_NS1_11comp_targetILNS1_3genE2ELNS1_11target_archE906ELNS1_3gpuE6ELNS1_3repE0EEENS1_30default_config_static_selectorELNS0_4arch9wavefront6targetE1EEEvT1_
		.amdhsa_group_segment_fixed_size 0
		.amdhsa_private_segment_fixed_size 0
		.amdhsa_kernarg_size 40
		.amdhsa_user_sgpr_count 6
		.amdhsa_user_sgpr_private_segment_buffer 1
		.amdhsa_user_sgpr_dispatch_ptr 0
		.amdhsa_user_sgpr_queue_ptr 0
		.amdhsa_user_sgpr_kernarg_segment_ptr 1
		.amdhsa_user_sgpr_dispatch_id 0
		.amdhsa_user_sgpr_flat_scratch_init 0
		.amdhsa_user_sgpr_kernarg_preload_length 0
		.amdhsa_user_sgpr_kernarg_preload_offset 0
		.amdhsa_user_sgpr_private_segment_size 0
		.amdhsa_uses_dynamic_stack 0
		.amdhsa_system_sgpr_private_segment_wavefront_offset 0
		.amdhsa_system_sgpr_workgroup_id_x 1
		.amdhsa_system_sgpr_workgroup_id_y 0
		.amdhsa_system_sgpr_workgroup_id_z 0
		.amdhsa_system_sgpr_workgroup_info 0
		.amdhsa_system_vgpr_workitem_id 0
		.amdhsa_next_free_vgpr 1
		.amdhsa_next_free_sgpr 0
		.amdhsa_accum_offset 4
		.amdhsa_reserve_vcc 0
		.amdhsa_reserve_flat_scratch 0
		.amdhsa_float_round_mode_32 0
		.amdhsa_float_round_mode_16_64 0
		.amdhsa_float_denorm_mode_32 3
		.amdhsa_float_denorm_mode_16_64 3
		.amdhsa_dx10_clamp 1
		.amdhsa_ieee_mode 1
		.amdhsa_fp16_overflow 0
		.amdhsa_tg_split 0
		.amdhsa_exception_fp_ieee_invalid_op 0
		.amdhsa_exception_fp_denorm_src 0
		.amdhsa_exception_fp_ieee_div_zero 0
		.amdhsa_exception_fp_ieee_overflow 0
		.amdhsa_exception_fp_ieee_underflow 0
		.amdhsa_exception_fp_ieee_inexact 0
		.amdhsa_exception_int_div_zero 0
	.end_amdhsa_kernel
	.section	.text._ZN7rocprim17ROCPRIM_400000_NS6detail17trampoline_kernelINS0_14default_configENS1_25transform_config_selectorIjLb0EEEZNS1_14transform_implILb0ES3_S5_PjN6thrust23THRUST_200600_302600_NS6detail15normal_iteratorINS9_10device_ptrIjEEEENS0_8identityIjEEEE10hipError_tT2_T3_mT4_P12ihipStream_tbEUlT_E_NS1_11comp_targetILNS1_3genE2ELNS1_11target_archE906ELNS1_3gpuE6ELNS1_3repE0EEENS1_30default_config_static_selectorELNS0_4arch9wavefront6targetE1EEEvT1_,"axG",@progbits,_ZN7rocprim17ROCPRIM_400000_NS6detail17trampoline_kernelINS0_14default_configENS1_25transform_config_selectorIjLb0EEEZNS1_14transform_implILb0ES3_S5_PjN6thrust23THRUST_200600_302600_NS6detail15normal_iteratorINS9_10device_ptrIjEEEENS0_8identityIjEEEE10hipError_tT2_T3_mT4_P12ihipStream_tbEUlT_E_NS1_11comp_targetILNS1_3genE2ELNS1_11target_archE906ELNS1_3gpuE6ELNS1_3repE0EEENS1_30default_config_static_selectorELNS0_4arch9wavefront6targetE1EEEvT1_,comdat
.Lfunc_end3215:
	.size	_ZN7rocprim17ROCPRIM_400000_NS6detail17trampoline_kernelINS0_14default_configENS1_25transform_config_selectorIjLb0EEEZNS1_14transform_implILb0ES3_S5_PjN6thrust23THRUST_200600_302600_NS6detail15normal_iteratorINS9_10device_ptrIjEEEENS0_8identityIjEEEE10hipError_tT2_T3_mT4_P12ihipStream_tbEUlT_E_NS1_11comp_targetILNS1_3genE2ELNS1_11target_archE906ELNS1_3gpuE6ELNS1_3repE0EEENS1_30default_config_static_selectorELNS0_4arch9wavefront6targetE1EEEvT1_, .Lfunc_end3215-_ZN7rocprim17ROCPRIM_400000_NS6detail17trampoline_kernelINS0_14default_configENS1_25transform_config_selectorIjLb0EEEZNS1_14transform_implILb0ES3_S5_PjN6thrust23THRUST_200600_302600_NS6detail15normal_iteratorINS9_10device_ptrIjEEEENS0_8identityIjEEEE10hipError_tT2_T3_mT4_P12ihipStream_tbEUlT_E_NS1_11comp_targetILNS1_3genE2ELNS1_11target_archE906ELNS1_3gpuE6ELNS1_3repE0EEENS1_30default_config_static_selectorELNS0_4arch9wavefront6targetE1EEEvT1_
                                        ; -- End function
	.section	.AMDGPU.csdata,"",@progbits
; Kernel info:
; codeLenInByte = 0
; NumSgprs: 4
; NumVgprs: 0
; NumAgprs: 0
; TotalNumVgprs: 0
; ScratchSize: 0
; MemoryBound: 0
; FloatMode: 240
; IeeeMode: 1
; LDSByteSize: 0 bytes/workgroup (compile time only)
; SGPRBlocks: 0
; VGPRBlocks: 0
; NumSGPRsForWavesPerEU: 4
; NumVGPRsForWavesPerEU: 1
; AccumOffset: 4
; Occupancy: 8
; WaveLimiterHint : 0
; COMPUTE_PGM_RSRC2:SCRATCH_EN: 0
; COMPUTE_PGM_RSRC2:USER_SGPR: 6
; COMPUTE_PGM_RSRC2:TRAP_HANDLER: 0
; COMPUTE_PGM_RSRC2:TGID_X_EN: 1
; COMPUTE_PGM_RSRC2:TGID_Y_EN: 0
; COMPUTE_PGM_RSRC2:TGID_Z_EN: 0
; COMPUTE_PGM_RSRC2:TIDIG_COMP_CNT: 0
; COMPUTE_PGM_RSRC3_GFX90A:ACCUM_OFFSET: 0
; COMPUTE_PGM_RSRC3_GFX90A:TG_SPLIT: 0
	.section	.text._ZN7rocprim17ROCPRIM_400000_NS6detail17trampoline_kernelINS0_14default_configENS1_25transform_config_selectorIjLb0EEEZNS1_14transform_implILb0ES3_S5_PjN6thrust23THRUST_200600_302600_NS6detail15normal_iteratorINS9_10device_ptrIjEEEENS0_8identityIjEEEE10hipError_tT2_T3_mT4_P12ihipStream_tbEUlT_E_NS1_11comp_targetILNS1_3genE10ELNS1_11target_archE1201ELNS1_3gpuE5ELNS1_3repE0EEENS1_30default_config_static_selectorELNS0_4arch9wavefront6targetE1EEEvT1_,"axG",@progbits,_ZN7rocprim17ROCPRIM_400000_NS6detail17trampoline_kernelINS0_14default_configENS1_25transform_config_selectorIjLb0EEEZNS1_14transform_implILb0ES3_S5_PjN6thrust23THRUST_200600_302600_NS6detail15normal_iteratorINS9_10device_ptrIjEEEENS0_8identityIjEEEE10hipError_tT2_T3_mT4_P12ihipStream_tbEUlT_E_NS1_11comp_targetILNS1_3genE10ELNS1_11target_archE1201ELNS1_3gpuE5ELNS1_3repE0EEENS1_30default_config_static_selectorELNS0_4arch9wavefront6targetE1EEEvT1_,comdat
	.protected	_ZN7rocprim17ROCPRIM_400000_NS6detail17trampoline_kernelINS0_14default_configENS1_25transform_config_selectorIjLb0EEEZNS1_14transform_implILb0ES3_S5_PjN6thrust23THRUST_200600_302600_NS6detail15normal_iteratorINS9_10device_ptrIjEEEENS0_8identityIjEEEE10hipError_tT2_T3_mT4_P12ihipStream_tbEUlT_E_NS1_11comp_targetILNS1_3genE10ELNS1_11target_archE1201ELNS1_3gpuE5ELNS1_3repE0EEENS1_30default_config_static_selectorELNS0_4arch9wavefront6targetE1EEEvT1_ ; -- Begin function _ZN7rocprim17ROCPRIM_400000_NS6detail17trampoline_kernelINS0_14default_configENS1_25transform_config_selectorIjLb0EEEZNS1_14transform_implILb0ES3_S5_PjN6thrust23THRUST_200600_302600_NS6detail15normal_iteratorINS9_10device_ptrIjEEEENS0_8identityIjEEEE10hipError_tT2_T3_mT4_P12ihipStream_tbEUlT_E_NS1_11comp_targetILNS1_3genE10ELNS1_11target_archE1201ELNS1_3gpuE5ELNS1_3repE0EEENS1_30default_config_static_selectorELNS0_4arch9wavefront6targetE1EEEvT1_
	.globl	_ZN7rocprim17ROCPRIM_400000_NS6detail17trampoline_kernelINS0_14default_configENS1_25transform_config_selectorIjLb0EEEZNS1_14transform_implILb0ES3_S5_PjN6thrust23THRUST_200600_302600_NS6detail15normal_iteratorINS9_10device_ptrIjEEEENS0_8identityIjEEEE10hipError_tT2_T3_mT4_P12ihipStream_tbEUlT_E_NS1_11comp_targetILNS1_3genE10ELNS1_11target_archE1201ELNS1_3gpuE5ELNS1_3repE0EEENS1_30default_config_static_selectorELNS0_4arch9wavefront6targetE1EEEvT1_
	.p2align	8
	.type	_ZN7rocprim17ROCPRIM_400000_NS6detail17trampoline_kernelINS0_14default_configENS1_25transform_config_selectorIjLb0EEEZNS1_14transform_implILb0ES3_S5_PjN6thrust23THRUST_200600_302600_NS6detail15normal_iteratorINS9_10device_ptrIjEEEENS0_8identityIjEEEE10hipError_tT2_T3_mT4_P12ihipStream_tbEUlT_E_NS1_11comp_targetILNS1_3genE10ELNS1_11target_archE1201ELNS1_3gpuE5ELNS1_3repE0EEENS1_30default_config_static_selectorELNS0_4arch9wavefront6targetE1EEEvT1_,@function
_ZN7rocprim17ROCPRIM_400000_NS6detail17trampoline_kernelINS0_14default_configENS1_25transform_config_selectorIjLb0EEEZNS1_14transform_implILb0ES3_S5_PjN6thrust23THRUST_200600_302600_NS6detail15normal_iteratorINS9_10device_ptrIjEEEENS0_8identityIjEEEE10hipError_tT2_T3_mT4_P12ihipStream_tbEUlT_E_NS1_11comp_targetILNS1_3genE10ELNS1_11target_archE1201ELNS1_3gpuE5ELNS1_3repE0EEENS1_30default_config_static_selectorELNS0_4arch9wavefront6targetE1EEEvT1_: ; @_ZN7rocprim17ROCPRIM_400000_NS6detail17trampoline_kernelINS0_14default_configENS1_25transform_config_selectorIjLb0EEEZNS1_14transform_implILb0ES3_S5_PjN6thrust23THRUST_200600_302600_NS6detail15normal_iteratorINS9_10device_ptrIjEEEENS0_8identityIjEEEE10hipError_tT2_T3_mT4_P12ihipStream_tbEUlT_E_NS1_11comp_targetILNS1_3genE10ELNS1_11target_archE1201ELNS1_3gpuE5ELNS1_3repE0EEENS1_30default_config_static_selectorELNS0_4arch9wavefront6targetE1EEEvT1_
; %bb.0:
	.section	.rodata,"a",@progbits
	.p2align	6, 0x0
	.amdhsa_kernel _ZN7rocprim17ROCPRIM_400000_NS6detail17trampoline_kernelINS0_14default_configENS1_25transform_config_selectorIjLb0EEEZNS1_14transform_implILb0ES3_S5_PjN6thrust23THRUST_200600_302600_NS6detail15normal_iteratorINS9_10device_ptrIjEEEENS0_8identityIjEEEE10hipError_tT2_T3_mT4_P12ihipStream_tbEUlT_E_NS1_11comp_targetILNS1_3genE10ELNS1_11target_archE1201ELNS1_3gpuE5ELNS1_3repE0EEENS1_30default_config_static_selectorELNS0_4arch9wavefront6targetE1EEEvT1_
		.amdhsa_group_segment_fixed_size 0
		.amdhsa_private_segment_fixed_size 0
		.amdhsa_kernarg_size 40
		.amdhsa_user_sgpr_count 6
		.amdhsa_user_sgpr_private_segment_buffer 1
		.amdhsa_user_sgpr_dispatch_ptr 0
		.amdhsa_user_sgpr_queue_ptr 0
		.amdhsa_user_sgpr_kernarg_segment_ptr 1
		.amdhsa_user_sgpr_dispatch_id 0
		.amdhsa_user_sgpr_flat_scratch_init 0
		.amdhsa_user_sgpr_kernarg_preload_length 0
		.amdhsa_user_sgpr_kernarg_preload_offset 0
		.amdhsa_user_sgpr_private_segment_size 0
		.amdhsa_uses_dynamic_stack 0
		.amdhsa_system_sgpr_private_segment_wavefront_offset 0
		.amdhsa_system_sgpr_workgroup_id_x 1
		.amdhsa_system_sgpr_workgroup_id_y 0
		.amdhsa_system_sgpr_workgroup_id_z 0
		.amdhsa_system_sgpr_workgroup_info 0
		.amdhsa_system_vgpr_workitem_id 0
		.amdhsa_next_free_vgpr 1
		.amdhsa_next_free_sgpr 0
		.amdhsa_accum_offset 4
		.amdhsa_reserve_vcc 0
		.amdhsa_reserve_flat_scratch 0
		.amdhsa_float_round_mode_32 0
		.amdhsa_float_round_mode_16_64 0
		.amdhsa_float_denorm_mode_32 3
		.amdhsa_float_denorm_mode_16_64 3
		.amdhsa_dx10_clamp 1
		.amdhsa_ieee_mode 1
		.amdhsa_fp16_overflow 0
		.amdhsa_tg_split 0
		.amdhsa_exception_fp_ieee_invalid_op 0
		.amdhsa_exception_fp_denorm_src 0
		.amdhsa_exception_fp_ieee_div_zero 0
		.amdhsa_exception_fp_ieee_overflow 0
		.amdhsa_exception_fp_ieee_underflow 0
		.amdhsa_exception_fp_ieee_inexact 0
		.amdhsa_exception_int_div_zero 0
	.end_amdhsa_kernel
	.section	.text._ZN7rocprim17ROCPRIM_400000_NS6detail17trampoline_kernelINS0_14default_configENS1_25transform_config_selectorIjLb0EEEZNS1_14transform_implILb0ES3_S5_PjN6thrust23THRUST_200600_302600_NS6detail15normal_iteratorINS9_10device_ptrIjEEEENS0_8identityIjEEEE10hipError_tT2_T3_mT4_P12ihipStream_tbEUlT_E_NS1_11comp_targetILNS1_3genE10ELNS1_11target_archE1201ELNS1_3gpuE5ELNS1_3repE0EEENS1_30default_config_static_selectorELNS0_4arch9wavefront6targetE1EEEvT1_,"axG",@progbits,_ZN7rocprim17ROCPRIM_400000_NS6detail17trampoline_kernelINS0_14default_configENS1_25transform_config_selectorIjLb0EEEZNS1_14transform_implILb0ES3_S5_PjN6thrust23THRUST_200600_302600_NS6detail15normal_iteratorINS9_10device_ptrIjEEEENS0_8identityIjEEEE10hipError_tT2_T3_mT4_P12ihipStream_tbEUlT_E_NS1_11comp_targetILNS1_3genE10ELNS1_11target_archE1201ELNS1_3gpuE5ELNS1_3repE0EEENS1_30default_config_static_selectorELNS0_4arch9wavefront6targetE1EEEvT1_,comdat
.Lfunc_end3216:
	.size	_ZN7rocprim17ROCPRIM_400000_NS6detail17trampoline_kernelINS0_14default_configENS1_25transform_config_selectorIjLb0EEEZNS1_14transform_implILb0ES3_S5_PjN6thrust23THRUST_200600_302600_NS6detail15normal_iteratorINS9_10device_ptrIjEEEENS0_8identityIjEEEE10hipError_tT2_T3_mT4_P12ihipStream_tbEUlT_E_NS1_11comp_targetILNS1_3genE10ELNS1_11target_archE1201ELNS1_3gpuE5ELNS1_3repE0EEENS1_30default_config_static_selectorELNS0_4arch9wavefront6targetE1EEEvT1_, .Lfunc_end3216-_ZN7rocprim17ROCPRIM_400000_NS6detail17trampoline_kernelINS0_14default_configENS1_25transform_config_selectorIjLb0EEEZNS1_14transform_implILb0ES3_S5_PjN6thrust23THRUST_200600_302600_NS6detail15normal_iteratorINS9_10device_ptrIjEEEENS0_8identityIjEEEE10hipError_tT2_T3_mT4_P12ihipStream_tbEUlT_E_NS1_11comp_targetILNS1_3genE10ELNS1_11target_archE1201ELNS1_3gpuE5ELNS1_3repE0EEENS1_30default_config_static_selectorELNS0_4arch9wavefront6targetE1EEEvT1_
                                        ; -- End function
	.section	.AMDGPU.csdata,"",@progbits
; Kernel info:
; codeLenInByte = 0
; NumSgprs: 4
; NumVgprs: 0
; NumAgprs: 0
; TotalNumVgprs: 0
; ScratchSize: 0
; MemoryBound: 0
; FloatMode: 240
; IeeeMode: 1
; LDSByteSize: 0 bytes/workgroup (compile time only)
; SGPRBlocks: 0
; VGPRBlocks: 0
; NumSGPRsForWavesPerEU: 4
; NumVGPRsForWavesPerEU: 1
; AccumOffset: 4
; Occupancy: 8
; WaveLimiterHint : 0
; COMPUTE_PGM_RSRC2:SCRATCH_EN: 0
; COMPUTE_PGM_RSRC2:USER_SGPR: 6
; COMPUTE_PGM_RSRC2:TRAP_HANDLER: 0
; COMPUTE_PGM_RSRC2:TGID_X_EN: 1
; COMPUTE_PGM_RSRC2:TGID_Y_EN: 0
; COMPUTE_PGM_RSRC2:TGID_Z_EN: 0
; COMPUTE_PGM_RSRC2:TIDIG_COMP_CNT: 0
; COMPUTE_PGM_RSRC3_GFX90A:ACCUM_OFFSET: 0
; COMPUTE_PGM_RSRC3_GFX90A:TG_SPLIT: 0
	.section	.text._ZN7rocprim17ROCPRIM_400000_NS6detail17trampoline_kernelINS0_14default_configENS1_25transform_config_selectorIjLb0EEEZNS1_14transform_implILb0ES3_S5_PjN6thrust23THRUST_200600_302600_NS6detail15normal_iteratorINS9_10device_ptrIjEEEENS0_8identityIjEEEE10hipError_tT2_T3_mT4_P12ihipStream_tbEUlT_E_NS1_11comp_targetILNS1_3genE10ELNS1_11target_archE1200ELNS1_3gpuE4ELNS1_3repE0EEENS1_30default_config_static_selectorELNS0_4arch9wavefront6targetE1EEEvT1_,"axG",@progbits,_ZN7rocprim17ROCPRIM_400000_NS6detail17trampoline_kernelINS0_14default_configENS1_25transform_config_selectorIjLb0EEEZNS1_14transform_implILb0ES3_S5_PjN6thrust23THRUST_200600_302600_NS6detail15normal_iteratorINS9_10device_ptrIjEEEENS0_8identityIjEEEE10hipError_tT2_T3_mT4_P12ihipStream_tbEUlT_E_NS1_11comp_targetILNS1_3genE10ELNS1_11target_archE1200ELNS1_3gpuE4ELNS1_3repE0EEENS1_30default_config_static_selectorELNS0_4arch9wavefront6targetE1EEEvT1_,comdat
	.protected	_ZN7rocprim17ROCPRIM_400000_NS6detail17trampoline_kernelINS0_14default_configENS1_25transform_config_selectorIjLb0EEEZNS1_14transform_implILb0ES3_S5_PjN6thrust23THRUST_200600_302600_NS6detail15normal_iteratorINS9_10device_ptrIjEEEENS0_8identityIjEEEE10hipError_tT2_T3_mT4_P12ihipStream_tbEUlT_E_NS1_11comp_targetILNS1_3genE10ELNS1_11target_archE1200ELNS1_3gpuE4ELNS1_3repE0EEENS1_30default_config_static_selectorELNS0_4arch9wavefront6targetE1EEEvT1_ ; -- Begin function _ZN7rocprim17ROCPRIM_400000_NS6detail17trampoline_kernelINS0_14default_configENS1_25transform_config_selectorIjLb0EEEZNS1_14transform_implILb0ES3_S5_PjN6thrust23THRUST_200600_302600_NS6detail15normal_iteratorINS9_10device_ptrIjEEEENS0_8identityIjEEEE10hipError_tT2_T3_mT4_P12ihipStream_tbEUlT_E_NS1_11comp_targetILNS1_3genE10ELNS1_11target_archE1200ELNS1_3gpuE4ELNS1_3repE0EEENS1_30default_config_static_selectorELNS0_4arch9wavefront6targetE1EEEvT1_
	.globl	_ZN7rocprim17ROCPRIM_400000_NS6detail17trampoline_kernelINS0_14default_configENS1_25transform_config_selectorIjLb0EEEZNS1_14transform_implILb0ES3_S5_PjN6thrust23THRUST_200600_302600_NS6detail15normal_iteratorINS9_10device_ptrIjEEEENS0_8identityIjEEEE10hipError_tT2_T3_mT4_P12ihipStream_tbEUlT_E_NS1_11comp_targetILNS1_3genE10ELNS1_11target_archE1200ELNS1_3gpuE4ELNS1_3repE0EEENS1_30default_config_static_selectorELNS0_4arch9wavefront6targetE1EEEvT1_
	.p2align	8
	.type	_ZN7rocprim17ROCPRIM_400000_NS6detail17trampoline_kernelINS0_14default_configENS1_25transform_config_selectorIjLb0EEEZNS1_14transform_implILb0ES3_S5_PjN6thrust23THRUST_200600_302600_NS6detail15normal_iteratorINS9_10device_ptrIjEEEENS0_8identityIjEEEE10hipError_tT2_T3_mT4_P12ihipStream_tbEUlT_E_NS1_11comp_targetILNS1_3genE10ELNS1_11target_archE1200ELNS1_3gpuE4ELNS1_3repE0EEENS1_30default_config_static_selectorELNS0_4arch9wavefront6targetE1EEEvT1_,@function
_ZN7rocprim17ROCPRIM_400000_NS6detail17trampoline_kernelINS0_14default_configENS1_25transform_config_selectorIjLb0EEEZNS1_14transform_implILb0ES3_S5_PjN6thrust23THRUST_200600_302600_NS6detail15normal_iteratorINS9_10device_ptrIjEEEENS0_8identityIjEEEE10hipError_tT2_T3_mT4_P12ihipStream_tbEUlT_E_NS1_11comp_targetILNS1_3genE10ELNS1_11target_archE1200ELNS1_3gpuE4ELNS1_3repE0EEENS1_30default_config_static_selectorELNS0_4arch9wavefront6targetE1EEEvT1_: ; @_ZN7rocprim17ROCPRIM_400000_NS6detail17trampoline_kernelINS0_14default_configENS1_25transform_config_selectorIjLb0EEEZNS1_14transform_implILb0ES3_S5_PjN6thrust23THRUST_200600_302600_NS6detail15normal_iteratorINS9_10device_ptrIjEEEENS0_8identityIjEEEE10hipError_tT2_T3_mT4_P12ihipStream_tbEUlT_E_NS1_11comp_targetILNS1_3genE10ELNS1_11target_archE1200ELNS1_3gpuE4ELNS1_3repE0EEENS1_30default_config_static_selectorELNS0_4arch9wavefront6targetE1EEEvT1_
; %bb.0:
	.section	.rodata,"a",@progbits
	.p2align	6, 0x0
	.amdhsa_kernel _ZN7rocprim17ROCPRIM_400000_NS6detail17trampoline_kernelINS0_14default_configENS1_25transform_config_selectorIjLb0EEEZNS1_14transform_implILb0ES3_S5_PjN6thrust23THRUST_200600_302600_NS6detail15normal_iteratorINS9_10device_ptrIjEEEENS0_8identityIjEEEE10hipError_tT2_T3_mT4_P12ihipStream_tbEUlT_E_NS1_11comp_targetILNS1_3genE10ELNS1_11target_archE1200ELNS1_3gpuE4ELNS1_3repE0EEENS1_30default_config_static_selectorELNS0_4arch9wavefront6targetE1EEEvT1_
		.amdhsa_group_segment_fixed_size 0
		.amdhsa_private_segment_fixed_size 0
		.amdhsa_kernarg_size 40
		.amdhsa_user_sgpr_count 6
		.amdhsa_user_sgpr_private_segment_buffer 1
		.amdhsa_user_sgpr_dispatch_ptr 0
		.amdhsa_user_sgpr_queue_ptr 0
		.amdhsa_user_sgpr_kernarg_segment_ptr 1
		.amdhsa_user_sgpr_dispatch_id 0
		.amdhsa_user_sgpr_flat_scratch_init 0
		.amdhsa_user_sgpr_kernarg_preload_length 0
		.amdhsa_user_sgpr_kernarg_preload_offset 0
		.amdhsa_user_sgpr_private_segment_size 0
		.amdhsa_uses_dynamic_stack 0
		.amdhsa_system_sgpr_private_segment_wavefront_offset 0
		.amdhsa_system_sgpr_workgroup_id_x 1
		.amdhsa_system_sgpr_workgroup_id_y 0
		.amdhsa_system_sgpr_workgroup_id_z 0
		.amdhsa_system_sgpr_workgroup_info 0
		.amdhsa_system_vgpr_workitem_id 0
		.amdhsa_next_free_vgpr 1
		.amdhsa_next_free_sgpr 0
		.amdhsa_accum_offset 4
		.amdhsa_reserve_vcc 0
		.amdhsa_reserve_flat_scratch 0
		.amdhsa_float_round_mode_32 0
		.amdhsa_float_round_mode_16_64 0
		.amdhsa_float_denorm_mode_32 3
		.amdhsa_float_denorm_mode_16_64 3
		.amdhsa_dx10_clamp 1
		.amdhsa_ieee_mode 1
		.amdhsa_fp16_overflow 0
		.amdhsa_tg_split 0
		.amdhsa_exception_fp_ieee_invalid_op 0
		.amdhsa_exception_fp_denorm_src 0
		.amdhsa_exception_fp_ieee_div_zero 0
		.amdhsa_exception_fp_ieee_overflow 0
		.amdhsa_exception_fp_ieee_underflow 0
		.amdhsa_exception_fp_ieee_inexact 0
		.amdhsa_exception_int_div_zero 0
	.end_amdhsa_kernel
	.section	.text._ZN7rocprim17ROCPRIM_400000_NS6detail17trampoline_kernelINS0_14default_configENS1_25transform_config_selectorIjLb0EEEZNS1_14transform_implILb0ES3_S5_PjN6thrust23THRUST_200600_302600_NS6detail15normal_iteratorINS9_10device_ptrIjEEEENS0_8identityIjEEEE10hipError_tT2_T3_mT4_P12ihipStream_tbEUlT_E_NS1_11comp_targetILNS1_3genE10ELNS1_11target_archE1200ELNS1_3gpuE4ELNS1_3repE0EEENS1_30default_config_static_selectorELNS0_4arch9wavefront6targetE1EEEvT1_,"axG",@progbits,_ZN7rocprim17ROCPRIM_400000_NS6detail17trampoline_kernelINS0_14default_configENS1_25transform_config_selectorIjLb0EEEZNS1_14transform_implILb0ES3_S5_PjN6thrust23THRUST_200600_302600_NS6detail15normal_iteratorINS9_10device_ptrIjEEEENS0_8identityIjEEEE10hipError_tT2_T3_mT4_P12ihipStream_tbEUlT_E_NS1_11comp_targetILNS1_3genE10ELNS1_11target_archE1200ELNS1_3gpuE4ELNS1_3repE0EEENS1_30default_config_static_selectorELNS0_4arch9wavefront6targetE1EEEvT1_,comdat
.Lfunc_end3217:
	.size	_ZN7rocprim17ROCPRIM_400000_NS6detail17trampoline_kernelINS0_14default_configENS1_25transform_config_selectorIjLb0EEEZNS1_14transform_implILb0ES3_S5_PjN6thrust23THRUST_200600_302600_NS6detail15normal_iteratorINS9_10device_ptrIjEEEENS0_8identityIjEEEE10hipError_tT2_T3_mT4_P12ihipStream_tbEUlT_E_NS1_11comp_targetILNS1_3genE10ELNS1_11target_archE1200ELNS1_3gpuE4ELNS1_3repE0EEENS1_30default_config_static_selectorELNS0_4arch9wavefront6targetE1EEEvT1_, .Lfunc_end3217-_ZN7rocprim17ROCPRIM_400000_NS6detail17trampoline_kernelINS0_14default_configENS1_25transform_config_selectorIjLb0EEEZNS1_14transform_implILb0ES3_S5_PjN6thrust23THRUST_200600_302600_NS6detail15normal_iteratorINS9_10device_ptrIjEEEENS0_8identityIjEEEE10hipError_tT2_T3_mT4_P12ihipStream_tbEUlT_E_NS1_11comp_targetILNS1_3genE10ELNS1_11target_archE1200ELNS1_3gpuE4ELNS1_3repE0EEENS1_30default_config_static_selectorELNS0_4arch9wavefront6targetE1EEEvT1_
                                        ; -- End function
	.section	.AMDGPU.csdata,"",@progbits
; Kernel info:
; codeLenInByte = 0
; NumSgprs: 4
; NumVgprs: 0
; NumAgprs: 0
; TotalNumVgprs: 0
; ScratchSize: 0
; MemoryBound: 0
; FloatMode: 240
; IeeeMode: 1
; LDSByteSize: 0 bytes/workgroup (compile time only)
; SGPRBlocks: 0
; VGPRBlocks: 0
; NumSGPRsForWavesPerEU: 4
; NumVGPRsForWavesPerEU: 1
; AccumOffset: 4
; Occupancy: 8
; WaveLimiterHint : 0
; COMPUTE_PGM_RSRC2:SCRATCH_EN: 0
; COMPUTE_PGM_RSRC2:USER_SGPR: 6
; COMPUTE_PGM_RSRC2:TRAP_HANDLER: 0
; COMPUTE_PGM_RSRC2:TGID_X_EN: 1
; COMPUTE_PGM_RSRC2:TGID_Y_EN: 0
; COMPUTE_PGM_RSRC2:TGID_Z_EN: 0
; COMPUTE_PGM_RSRC2:TIDIG_COMP_CNT: 0
; COMPUTE_PGM_RSRC3_GFX90A:ACCUM_OFFSET: 0
; COMPUTE_PGM_RSRC3_GFX90A:TG_SPLIT: 0
	.section	.text._ZN7rocprim17ROCPRIM_400000_NS6detail17trampoline_kernelINS0_14default_configENS1_25transform_config_selectorIjLb0EEEZNS1_14transform_implILb0ES3_S5_PjN6thrust23THRUST_200600_302600_NS6detail15normal_iteratorINS9_10device_ptrIjEEEENS0_8identityIjEEEE10hipError_tT2_T3_mT4_P12ihipStream_tbEUlT_E_NS1_11comp_targetILNS1_3genE9ELNS1_11target_archE1100ELNS1_3gpuE3ELNS1_3repE0EEENS1_30default_config_static_selectorELNS0_4arch9wavefront6targetE1EEEvT1_,"axG",@progbits,_ZN7rocprim17ROCPRIM_400000_NS6detail17trampoline_kernelINS0_14default_configENS1_25transform_config_selectorIjLb0EEEZNS1_14transform_implILb0ES3_S5_PjN6thrust23THRUST_200600_302600_NS6detail15normal_iteratorINS9_10device_ptrIjEEEENS0_8identityIjEEEE10hipError_tT2_T3_mT4_P12ihipStream_tbEUlT_E_NS1_11comp_targetILNS1_3genE9ELNS1_11target_archE1100ELNS1_3gpuE3ELNS1_3repE0EEENS1_30default_config_static_selectorELNS0_4arch9wavefront6targetE1EEEvT1_,comdat
	.protected	_ZN7rocprim17ROCPRIM_400000_NS6detail17trampoline_kernelINS0_14default_configENS1_25transform_config_selectorIjLb0EEEZNS1_14transform_implILb0ES3_S5_PjN6thrust23THRUST_200600_302600_NS6detail15normal_iteratorINS9_10device_ptrIjEEEENS0_8identityIjEEEE10hipError_tT2_T3_mT4_P12ihipStream_tbEUlT_E_NS1_11comp_targetILNS1_3genE9ELNS1_11target_archE1100ELNS1_3gpuE3ELNS1_3repE0EEENS1_30default_config_static_selectorELNS0_4arch9wavefront6targetE1EEEvT1_ ; -- Begin function _ZN7rocprim17ROCPRIM_400000_NS6detail17trampoline_kernelINS0_14default_configENS1_25transform_config_selectorIjLb0EEEZNS1_14transform_implILb0ES3_S5_PjN6thrust23THRUST_200600_302600_NS6detail15normal_iteratorINS9_10device_ptrIjEEEENS0_8identityIjEEEE10hipError_tT2_T3_mT4_P12ihipStream_tbEUlT_E_NS1_11comp_targetILNS1_3genE9ELNS1_11target_archE1100ELNS1_3gpuE3ELNS1_3repE0EEENS1_30default_config_static_selectorELNS0_4arch9wavefront6targetE1EEEvT1_
	.globl	_ZN7rocprim17ROCPRIM_400000_NS6detail17trampoline_kernelINS0_14default_configENS1_25transform_config_selectorIjLb0EEEZNS1_14transform_implILb0ES3_S5_PjN6thrust23THRUST_200600_302600_NS6detail15normal_iteratorINS9_10device_ptrIjEEEENS0_8identityIjEEEE10hipError_tT2_T3_mT4_P12ihipStream_tbEUlT_E_NS1_11comp_targetILNS1_3genE9ELNS1_11target_archE1100ELNS1_3gpuE3ELNS1_3repE0EEENS1_30default_config_static_selectorELNS0_4arch9wavefront6targetE1EEEvT1_
	.p2align	8
	.type	_ZN7rocprim17ROCPRIM_400000_NS6detail17trampoline_kernelINS0_14default_configENS1_25transform_config_selectorIjLb0EEEZNS1_14transform_implILb0ES3_S5_PjN6thrust23THRUST_200600_302600_NS6detail15normal_iteratorINS9_10device_ptrIjEEEENS0_8identityIjEEEE10hipError_tT2_T3_mT4_P12ihipStream_tbEUlT_E_NS1_11comp_targetILNS1_3genE9ELNS1_11target_archE1100ELNS1_3gpuE3ELNS1_3repE0EEENS1_30default_config_static_selectorELNS0_4arch9wavefront6targetE1EEEvT1_,@function
_ZN7rocprim17ROCPRIM_400000_NS6detail17trampoline_kernelINS0_14default_configENS1_25transform_config_selectorIjLb0EEEZNS1_14transform_implILb0ES3_S5_PjN6thrust23THRUST_200600_302600_NS6detail15normal_iteratorINS9_10device_ptrIjEEEENS0_8identityIjEEEE10hipError_tT2_T3_mT4_P12ihipStream_tbEUlT_E_NS1_11comp_targetILNS1_3genE9ELNS1_11target_archE1100ELNS1_3gpuE3ELNS1_3repE0EEENS1_30default_config_static_selectorELNS0_4arch9wavefront6targetE1EEEvT1_: ; @_ZN7rocprim17ROCPRIM_400000_NS6detail17trampoline_kernelINS0_14default_configENS1_25transform_config_selectorIjLb0EEEZNS1_14transform_implILb0ES3_S5_PjN6thrust23THRUST_200600_302600_NS6detail15normal_iteratorINS9_10device_ptrIjEEEENS0_8identityIjEEEE10hipError_tT2_T3_mT4_P12ihipStream_tbEUlT_E_NS1_11comp_targetILNS1_3genE9ELNS1_11target_archE1100ELNS1_3gpuE3ELNS1_3repE0EEENS1_30default_config_static_selectorELNS0_4arch9wavefront6targetE1EEEvT1_
; %bb.0:
	.section	.rodata,"a",@progbits
	.p2align	6, 0x0
	.amdhsa_kernel _ZN7rocprim17ROCPRIM_400000_NS6detail17trampoline_kernelINS0_14default_configENS1_25transform_config_selectorIjLb0EEEZNS1_14transform_implILb0ES3_S5_PjN6thrust23THRUST_200600_302600_NS6detail15normal_iteratorINS9_10device_ptrIjEEEENS0_8identityIjEEEE10hipError_tT2_T3_mT4_P12ihipStream_tbEUlT_E_NS1_11comp_targetILNS1_3genE9ELNS1_11target_archE1100ELNS1_3gpuE3ELNS1_3repE0EEENS1_30default_config_static_selectorELNS0_4arch9wavefront6targetE1EEEvT1_
		.amdhsa_group_segment_fixed_size 0
		.amdhsa_private_segment_fixed_size 0
		.amdhsa_kernarg_size 40
		.amdhsa_user_sgpr_count 6
		.amdhsa_user_sgpr_private_segment_buffer 1
		.amdhsa_user_sgpr_dispatch_ptr 0
		.amdhsa_user_sgpr_queue_ptr 0
		.amdhsa_user_sgpr_kernarg_segment_ptr 1
		.amdhsa_user_sgpr_dispatch_id 0
		.amdhsa_user_sgpr_flat_scratch_init 0
		.amdhsa_user_sgpr_kernarg_preload_length 0
		.amdhsa_user_sgpr_kernarg_preload_offset 0
		.amdhsa_user_sgpr_private_segment_size 0
		.amdhsa_uses_dynamic_stack 0
		.amdhsa_system_sgpr_private_segment_wavefront_offset 0
		.amdhsa_system_sgpr_workgroup_id_x 1
		.amdhsa_system_sgpr_workgroup_id_y 0
		.amdhsa_system_sgpr_workgroup_id_z 0
		.amdhsa_system_sgpr_workgroup_info 0
		.amdhsa_system_vgpr_workitem_id 0
		.amdhsa_next_free_vgpr 1
		.amdhsa_next_free_sgpr 0
		.amdhsa_accum_offset 4
		.amdhsa_reserve_vcc 0
		.amdhsa_reserve_flat_scratch 0
		.amdhsa_float_round_mode_32 0
		.amdhsa_float_round_mode_16_64 0
		.amdhsa_float_denorm_mode_32 3
		.amdhsa_float_denorm_mode_16_64 3
		.amdhsa_dx10_clamp 1
		.amdhsa_ieee_mode 1
		.amdhsa_fp16_overflow 0
		.amdhsa_tg_split 0
		.amdhsa_exception_fp_ieee_invalid_op 0
		.amdhsa_exception_fp_denorm_src 0
		.amdhsa_exception_fp_ieee_div_zero 0
		.amdhsa_exception_fp_ieee_overflow 0
		.amdhsa_exception_fp_ieee_underflow 0
		.amdhsa_exception_fp_ieee_inexact 0
		.amdhsa_exception_int_div_zero 0
	.end_amdhsa_kernel
	.section	.text._ZN7rocprim17ROCPRIM_400000_NS6detail17trampoline_kernelINS0_14default_configENS1_25transform_config_selectorIjLb0EEEZNS1_14transform_implILb0ES3_S5_PjN6thrust23THRUST_200600_302600_NS6detail15normal_iteratorINS9_10device_ptrIjEEEENS0_8identityIjEEEE10hipError_tT2_T3_mT4_P12ihipStream_tbEUlT_E_NS1_11comp_targetILNS1_3genE9ELNS1_11target_archE1100ELNS1_3gpuE3ELNS1_3repE0EEENS1_30default_config_static_selectorELNS0_4arch9wavefront6targetE1EEEvT1_,"axG",@progbits,_ZN7rocprim17ROCPRIM_400000_NS6detail17trampoline_kernelINS0_14default_configENS1_25transform_config_selectorIjLb0EEEZNS1_14transform_implILb0ES3_S5_PjN6thrust23THRUST_200600_302600_NS6detail15normal_iteratorINS9_10device_ptrIjEEEENS0_8identityIjEEEE10hipError_tT2_T3_mT4_P12ihipStream_tbEUlT_E_NS1_11comp_targetILNS1_3genE9ELNS1_11target_archE1100ELNS1_3gpuE3ELNS1_3repE0EEENS1_30default_config_static_selectorELNS0_4arch9wavefront6targetE1EEEvT1_,comdat
.Lfunc_end3218:
	.size	_ZN7rocprim17ROCPRIM_400000_NS6detail17trampoline_kernelINS0_14default_configENS1_25transform_config_selectorIjLb0EEEZNS1_14transform_implILb0ES3_S5_PjN6thrust23THRUST_200600_302600_NS6detail15normal_iteratorINS9_10device_ptrIjEEEENS0_8identityIjEEEE10hipError_tT2_T3_mT4_P12ihipStream_tbEUlT_E_NS1_11comp_targetILNS1_3genE9ELNS1_11target_archE1100ELNS1_3gpuE3ELNS1_3repE0EEENS1_30default_config_static_selectorELNS0_4arch9wavefront6targetE1EEEvT1_, .Lfunc_end3218-_ZN7rocprim17ROCPRIM_400000_NS6detail17trampoline_kernelINS0_14default_configENS1_25transform_config_selectorIjLb0EEEZNS1_14transform_implILb0ES3_S5_PjN6thrust23THRUST_200600_302600_NS6detail15normal_iteratorINS9_10device_ptrIjEEEENS0_8identityIjEEEE10hipError_tT2_T3_mT4_P12ihipStream_tbEUlT_E_NS1_11comp_targetILNS1_3genE9ELNS1_11target_archE1100ELNS1_3gpuE3ELNS1_3repE0EEENS1_30default_config_static_selectorELNS0_4arch9wavefront6targetE1EEEvT1_
                                        ; -- End function
	.section	.AMDGPU.csdata,"",@progbits
; Kernel info:
; codeLenInByte = 0
; NumSgprs: 4
; NumVgprs: 0
; NumAgprs: 0
; TotalNumVgprs: 0
; ScratchSize: 0
; MemoryBound: 0
; FloatMode: 240
; IeeeMode: 1
; LDSByteSize: 0 bytes/workgroup (compile time only)
; SGPRBlocks: 0
; VGPRBlocks: 0
; NumSGPRsForWavesPerEU: 4
; NumVGPRsForWavesPerEU: 1
; AccumOffset: 4
; Occupancy: 8
; WaveLimiterHint : 0
; COMPUTE_PGM_RSRC2:SCRATCH_EN: 0
; COMPUTE_PGM_RSRC2:USER_SGPR: 6
; COMPUTE_PGM_RSRC2:TRAP_HANDLER: 0
; COMPUTE_PGM_RSRC2:TGID_X_EN: 1
; COMPUTE_PGM_RSRC2:TGID_Y_EN: 0
; COMPUTE_PGM_RSRC2:TGID_Z_EN: 0
; COMPUTE_PGM_RSRC2:TIDIG_COMP_CNT: 0
; COMPUTE_PGM_RSRC3_GFX90A:ACCUM_OFFSET: 0
; COMPUTE_PGM_RSRC3_GFX90A:TG_SPLIT: 0
	.section	.text._ZN7rocprim17ROCPRIM_400000_NS6detail17trampoline_kernelINS0_14default_configENS1_25transform_config_selectorIjLb0EEEZNS1_14transform_implILb0ES3_S5_PjN6thrust23THRUST_200600_302600_NS6detail15normal_iteratorINS9_10device_ptrIjEEEENS0_8identityIjEEEE10hipError_tT2_T3_mT4_P12ihipStream_tbEUlT_E_NS1_11comp_targetILNS1_3genE8ELNS1_11target_archE1030ELNS1_3gpuE2ELNS1_3repE0EEENS1_30default_config_static_selectorELNS0_4arch9wavefront6targetE1EEEvT1_,"axG",@progbits,_ZN7rocprim17ROCPRIM_400000_NS6detail17trampoline_kernelINS0_14default_configENS1_25transform_config_selectorIjLb0EEEZNS1_14transform_implILb0ES3_S5_PjN6thrust23THRUST_200600_302600_NS6detail15normal_iteratorINS9_10device_ptrIjEEEENS0_8identityIjEEEE10hipError_tT2_T3_mT4_P12ihipStream_tbEUlT_E_NS1_11comp_targetILNS1_3genE8ELNS1_11target_archE1030ELNS1_3gpuE2ELNS1_3repE0EEENS1_30default_config_static_selectorELNS0_4arch9wavefront6targetE1EEEvT1_,comdat
	.protected	_ZN7rocprim17ROCPRIM_400000_NS6detail17trampoline_kernelINS0_14default_configENS1_25transform_config_selectorIjLb0EEEZNS1_14transform_implILb0ES3_S5_PjN6thrust23THRUST_200600_302600_NS6detail15normal_iteratorINS9_10device_ptrIjEEEENS0_8identityIjEEEE10hipError_tT2_T3_mT4_P12ihipStream_tbEUlT_E_NS1_11comp_targetILNS1_3genE8ELNS1_11target_archE1030ELNS1_3gpuE2ELNS1_3repE0EEENS1_30default_config_static_selectorELNS0_4arch9wavefront6targetE1EEEvT1_ ; -- Begin function _ZN7rocprim17ROCPRIM_400000_NS6detail17trampoline_kernelINS0_14default_configENS1_25transform_config_selectorIjLb0EEEZNS1_14transform_implILb0ES3_S5_PjN6thrust23THRUST_200600_302600_NS6detail15normal_iteratorINS9_10device_ptrIjEEEENS0_8identityIjEEEE10hipError_tT2_T3_mT4_P12ihipStream_tbEUlT_E_NS1_11comp_targetILNS1_3genE8ELNS1_11target_archE1030ELNS1_3gpuE2ELNS1_3repE0EEENS1_30default_config_static_selectorELNS0_4arch9wavefront6targetE1EEEvT1_
	.globl	_ZN7rocprim17ROCPRIM_400000_NS6detail17trampoline_kernelINS0_14default_configENS1_25transform_config_selectorIjLb0EEEZNS1_14transform_implILb0ES3_S5_PjN6thrust23THRUST_200600_302600_NS6detail15normal_iteratorINS9_10device_ptrIjEEEENS0_8identityIjEEEE10hipError_tT2_T3_mT4_P12ihipStream_tbEUlT_E_NS1_11comp_targetILNS1_3genE8ELNS1_11target_archE1030ELNS1_3gpuE2ELNS1_3repE0EEENS1_30default_config_static_selectorELNS0_4arch9wavefront6targetE1EEEvT1_
	.p2align	8
	.type	_ZN7rocprim17ROCPRIM_400000_NS6detail17trampoline_kernelINS0_14default_configENS1_25transform_config_selectorIjLb0EEEZNS1_14transform_implILb0ES3_S5_PjN6thrust23THRUST_200600_302600_NS6detail15normal_iteratorINS9_10device_ptrIjEEEENS0_8identityIjEEEE10hipError_tT2_T3_mT4_P12ihipStream_tbEUlT_E_NS1_11comp_targetILNS1_3genE8ELNS1_11target_archE1030ELNS1_3gpuE2ELNS1_3repE0EEENS1_30default_config_static_selectorELNS0_4arch9wavefront6targetE1EEEvT1_,@function
_ZN7rocprim17ROCPRIM_400000_NS6detail17trampoline_kernelINS0_14default_configENS1_25transform_config_selectorIjLb0EEEZNS1_14transform_implILb0ES3_S5_PjN6thrust23THRUST_200600_302600_NS6detail15normal_iteratorINS9_10device_ptrIjEEEENS0_8identityIjEEEE10hipError_tT2_T3_mT4_P12ihipStream_tbEUlT_E_NS1_11comp_targetILNS1_3genE8ELNS1_11target_archE1030ELNS1_3gpuE2ELNS1_3repE0EEENS1_30default_config_static_selectorELNS0_4arch9wavefront6targetE1EEEvT1_: ; @_ZN7rocprim17ROCPRIM_400000_NS6detail17trampoline_kernelINS0_14default_configENS1_25transform_config_selectorIjLb0EEEZNS1_14transform_implILb0ES3_S5_PjN6thrust23THRUST_200600_302600_NS6detail15normal_iteratorINS9_10device_ptrIjEEEENS0_8identityIjEEEE10hipError_tT2_T3_mT4_P12ihipStream_tbEUlT_E_NS1_11comp_targetILNS1_3genE8ELNS1_11target_archE1030ELNS1_3gpuE2ELNS1_3repE0EEENS1_30default_config_static_selectorELNS0_4arch9wavefront6targetE1EEEvT1_
; %bb.0:
	.section	.rodata,"a",@progbits
	.p2align	6, 0x0
	.amdhsa_kernel _ZN7rocprim17ROCPRIM_400000_NS6detail17trampoline_kernelINS0_14default_configENS1_25transform_config_selectorIjLb0EEEZNS1_14transform_implILb0ES3_S5_PjN6thrust23THRUST_200600_302600_NS6detail15normal_iteratorINS9_10device_ptrIjEEEENS0_8identityIjEEEE10hipError_tT2_T3_mT4_P12ihipStream_tbEUlT_E_NS1_11comp_targetILNS1_3genE8ELNS1_11target_archE1030ELNS1_3gpuE2ELNS1_3repE0EEENS1_30default_config_static_selectorELNS0_4arch9wavefront6targetE1EEEvT1_
		.amdhsa_group_segment_fixed_size 0
		.amdhsa_private_segment_fixed_size 0
		.amdhsa_kernarg_size 40
		.amdhsa_user_sgpr_count 6
		.amdhsa_user_sgpr_private_segment_buffer 1
		.amdhsa_user_sgpr_dispatch_ptr 0
		.amdhsa_user_sgpr_queue_ptr 0
		.amdhsa_user_sgpr_kernarg_segment_ptr 1
		.amdhsa_user_sgpr_dispatch_id 0
		.amdhsa_user_sgpr_flat_scratch_init 0
		.amdhsa_user_sgpr_kernarg_preload_length 0
		.amdhsa_user_sgpr_kernarg_preload_offset 0
		.amdhsa_user_sgpr_private_segment_size 0
		.amdhsa_uses_dynamic_stack 0
		.amdhsa_system_sgpr_private_segment_wavefront_offset 0
		.amdhsa_system_sgpr_workgroup_id_x 1
		.amdhsa_system_sgpr_workgroup_id_y 0
		.amdhsa_system_sgpr_workgroup_id_z 0
		.amdhsa_system_sgpr_workgroup_info 0
		.amdhsa_system_vgpr_workitem_id 0
		.amdhsa_next_free_vgpr 1
		.amdhsa_next_free_sgpr 0
		.amdhsa_accum_offset 4
		.amdhsa_reserve_vcc 0
		.amdhsa_reserve_flat_scratch 0
		.amdhsa_float_round_mode_32 0
		.amdhsa_float_round_mode_16_64 0
		.amdhsa_float_denorm_mode_32 3
		.amdhsa_float_denorm_mode_16_64 3
		.amdhsa_dx10_clamp 1
		.amdhsa_ieee_mode 1
		.amdhsa_fp16_overflow 0
		.amdhsa_tg_split 0
		.amdhsa_exception_fp_ieee_invalid_op 0
		.amdhsa_exception_fp_denorm_src 0
		.amdhsa_exception_fp_ieee_div_zero 0
		.amdhsa_exception_fp_ieee_overflow 0
		.amdhsa_exception_fp_ieee_underflow 0
		.amdhsa_exception_fp_ieee_inexact 0
		.amdhsa_exception_int_div_zero 0
	.end_amdhsa_kernel
	.section	.text._ZN7rocprim17ROCPRIM_400000_NS6detail17trampoline_kernelINS0_14default_configENS1_25transform_config_selectorIjLb0EEEZNS1_14transform_implILb0ES3_S5_PjN6thrust23THRUST_200600_302600_NS6detail15normal_iteratorINS9_10device_ptrIjEEEENS0_8identityIjEEEE10hipError_tT2_T3_mT4_P12ihipStream_tbEUlT_E_NS1_11comp_targetILNS1_3genE8ELNS1_11target_archE1030ELNS1_3gpuE2ELNS1_3repE0EEENS1_30default_config_static_selectorELNS0_4arch9wavefront6targetE1EEEvT1_,"axG",@progbits,_ZN7rocprim17ROCPRIM_400000_NS6detail17trampoline_kernelINS0_14default_configENS1_25transform_config_selectorIjLb0EEEZNS1_14transform_implILb0ES3_S5_PjN6thrust23THRUST_200600_302600_NS6detail15normal_iteratorINS9_10device_ptrIjEEEENS0_8identityIjEEEE10hipError_tT2_T3_mT4_P12ihipStream_tbEUlT_E_NS1_11comp_targetILNS1_3genE8ELNS1_11target_archE1030ELNS1_3gpuE2ELNS1_3repE0EEENS1_30default_config_static_selectorELNS0_4arch9wavefront6targetE1EEEvT1_,comdat
.Lfunc_end3219:
	.size	_ZN7rocprim17ROCPRIM_400000_NS6detail17trampoline_kernelINS0_14default_configENS1_25transform_config_selectorIjLb0EEEZNS1_14transform_implILb0ES3_S5_PjN6thrust23THRUST_200600_302600_NS6detail15normal_iteratorINS9_10device_ptrIjEEEENS0_8identityIjEEEE10hipError_tT2_T3_mT4_P12ihipStream_tbEUlT_E_NS1_11comp_targetILNS1_3genE8ELNS1_11target_archE1030ELNS1_3gpuE2ELNS1_3repE0EEENS1_30default_config_static_selectorELNS0_4arch9wavefront6targetE1EEEvT1_, .Lfunc_end3219-_ZN7rocprim17ROCPRIM_400000_NS6detail17trampoline_kernelINS0_14default_configENS1_25transform_config_selectorIjLb0EEEZNS1_14transform_implILb0ES3_S5_PjN6thrust23THRUST_200600_302600_NS6detail15normal_iteratorINS9_10device_ptrIjEEEENS0_8identityIjEEEE10hipError_tT2_T3_mT4_P12ihipStream_tbEUlT_E_NS1_11comp_targetILNS1_3genE8ELNS1_11target_archE1030ELNS1_3gpuE2ELNS1_3repE0EEENS1_30default_config_static_selectorELNS0_4arch9wavefront6targetE1EEEvT1_
                                        ; -- End function
	.section	.AMDGPU.csdata,"",@progbits
; Kernel info:
; codeLenInByte = 0
; NumSgprs: 4
; NumVgprs: 0
; NumAgprs: 0
; TotalNumVgprs: 0
; ScratchSize: 0
; MemoryBound: 0
; FloatMode: 240
; IeeeMode: 1
; LDSByteSize: 0 bytes/workgroup (compile time only)
; SGPRBlocks: 0
; VGPRBlocks: 0
; NumSGPRsForWavesPerEU: 4
; NumVGPRsForWavesPerEU: 1
; AccumOffset: 4
; Occupancy: 8
; WaveLimiterHint : 0
; COMPUTE_PGM_RSRC2:SCRATCH_EN: 0
; COMPUTE_PGM_RSRC2:USER_SGPR: 6
; COMPUTE_PGM_RSRC2:TRAP_HANDLER: 0
; COMPUTE_PGM_RSRC2:TGID_X_EN: 1
; COMPUTE_PGM_RSRC2:TGID_Y_EN: 0
; COMPUTE_PGM_RSRC2:TGID_Z_EN: 0
; COMPUTE_PGM_RSRC2:TIDIG_COMP_CNT: 0
; COMPUTE_PGM_RSRC3_GFX90A:ACCUM_OFFSET: 0
; COMPUTE_PGM_RSRC3_GFX90A:TG_SPLIT: 0
	.section	.text._ZN7rocprim17ROCPRIM_400000_NS6detail44device_merge_sort_compile_time_verifier_archINS1_11comp_targetILNS1_3genE0ELNS1_11target_archE4294967295ELNS1_3gpuE0ELNS1_3repE0EEES8_NS0_14default_configES9_NS1_37merge_sort_block_sort_config_selectorIlNS0_10empty_typeEEENS1_38merge_sort_block_merge_config_selectorIlSB_EEEEvv,"axG",@progbits,_ZN7rocprim17ROCPRIM_400000_NS6detail44device_merge_sort_compile_time_verifier_archINS1_11comp_targetILNS1_3genE0ELNS1_11target_archE4294967295ELNS1_3gpuE0ELNS1_3repE0EEES8_NS0_14default_configES9_NS1_37merge_sort_block_sort_config_selectorIlNS0_10empty_typeEEENS1_38merge_sort_block_merge_config_selectorIlSB_EEEEvv,comdat
	.protected	_ZN7rocprim17ROCPRIM_400000_NS6detail44device_merge_sort_compile_time_verifier_archINS1_11comp_targetILNS1_3genE0ELNS1_11target_archE4294967295ELNS1_3gpuE0ELNS1_3repE0EEES8_NS0_14default_configES9_NS1_37merge_sort_block_sort_config_selectorIlNS0_10empty_typeEEENS1_38merge_sort_block_merge_config_selectorIlSB_EEEEvv ; -- Begin function _ZN7rocprim17ROCPRIM_400000_NS6detail44device_merge_sort_compile_time_verifier_archINS1_11comp_targetILNS1_3genE0ELNS1_11target_archE4294967295ELNS1_3gpuE0ELNS1_3repE0EEES8_NS0_14default_configES9_NS1_37merge_sort_block_sort_config_selectorIlNS0_10empty_typeEEENS1_38merge_sort_block_merge_config_selectorIlSB_EEEEvv
	.globl	_ZN7rocprim17ROCPRIM_400000_NS6detail44device_merge_sort_compile_time_verifier_archINS1_11comp_targetILNS1_3genE0ELNS1_11target_archE4294967295ELNS1_3gpuE0ELNS1_3repE0EEES8_NS0_14default_configES9_NS1_37merge_sort_block_sort_config_selectorIlNS0_10empty_typeEEENS1_38merge_sort_block_merge_config_selectorIlSB_EEEEvv
	.p2align	8
	.type	_ZN7rocprim17ROCPRIM_400000_NS6detail44device_merge_sort_compile_time_verifier_archINS1_11comp_targetILNS1_3genE0ELNS1_11target_archE4294967295ELNS1_3gpuE0ELNS1_3repE0EEES8_NS0_14default_configES9_NS1_37merge_sort_block_sort_config_selectorIlNS0_10empty_typeEEENS1_38merge_sort_block_merge_config_selectorIlSB_EEEEvv,@function
_ZN7rocprim17ROCPRIM_400000_NS6detail44device_merge_sort_compile_time_verifier_archINS1_11comp_targetILNS1_3genE0ELNS1_11target_archE4294967295ELNS1_3gpuE0ELNS1_3repE0EEES8_NS0_14default_configES9_NS1_37merge_sort_block_sort_config_selectorIlNS0_10empty_typeEEENS1_38merge_sort_block_merge_config_selectorIlSB_EEEEvv: ; @_ZN7rocprim17ROCPRIM_400000_NS6detail44device_merge_sort_compile_time_verifier_archINS1_11comp_targetILNS1_3genE0ELNS1_11target_archE4294967295ELNS1_3gpuE0ELNS1_3repE0EEES8_NS0_14default_configES9_NS1_37merge_sort_block_sort_config_selectorIlNS0_10empty_typeEEENS1_38merge_sort_block_merge_config_selectorIlSB_EEEEvv
; %bb.0:
	s_endpgm
	.section	.rodata,"a",@progbits
	.p2align	6, 0x0
	.amdhsa_kernel _ZN7rocprim17ROCPRIM_400000_NS6detail44device_merge_sort_compile_time_verifier_archINS1_11comp_targetILNS1_3genE0ELNS1_11target_archE4294967295ELNS1_3gpuE0ELNS1_3repE0EEES8_NS0_14default_configES9_NS1_37merge_sort_block_sort_config_selectorIlNS0_10empty_typeEEENS1_38merge_sort_block_merge_config_selectorIlSB_EEEEvv
		.amdhsa_group_segment_fixed_size 0
		.amdhsa_private_segment_fixed_size 0
		.amdhsa_kernarg_size 0
		.amdhsa_user_sgpr_count 4
		.amdhsa_user_sgpr_private_segment_buffer 1
		.amdhsa_user_sgpr_dispatch_ptr 0
		.amdhsa_user_sgpr_queue_ptr 0
		.amdhsa_user_sgpr_kernarg_segment_ptr 0
		.amdhsa_user_sgpr_dispatch_id 0
		.amdhsa_user_sgpr_flat_scratch_init 0
		.amdhsa_user_sgpr_kernarg_preload_length 0
		.amdhsa_user_sgpr_kernarg_preload_offset 0
		.amdhsa_user_sgpr_private_segment_size 0
		.amdhsa_uses_dynamic_stack 0
		.amdhsa_system_sgpr_private_segment_wavefront_offset 0
		.amdhsa_system_sgpr_workgroup_id_x 1
		.amdhsa_system_sgpr_workgroup_id_y 0
		.amdhsa_system_sgpr_workgroup_id_z 0
		.amdhsa_system_sgpr_workgroup_info 0
		.amdhsa_system_vgpr_workitem_id 0
		.amdhsa_next_free_vgpr 1
		.amdhsa_next_free_sgpr 0
		.amdhsa_accum_offset 4
		.amdhsa_reserve_vcc 0
		.amdhsa_reserve_flat_scratch 0
		.amdhsa_float_round_mode_32 0
		.amdhsa_float_round_mode_16_64 0
		.amdhsa_float_denorm_mode_32 3
		.amdhsa_float_denorm_mode_16_64 3
		.amdhsa_dx10_clamp 1
		.amdhsa_ieee_mode 1
		.amdhsa_fp16_overflow 0
		.amdhsa_tg_split 0
		.amdhsa_exception_fp_ieee_invalid_op 0
		.amdhsa_exception_fp_denorm_src 0
		.amdhsa_exception_fp_ieee_div_zero 0
		.amdhsa_exception_fp_ieee_overflow 0
		.amdhsa_exception_fp_ieee_underflow 0
		.amdhsa_exception_fp_ieee_inexact 0
		.amdhsa_exception_int_div_zero 0
	.end_amdhsa_kernel
	.section	.text._ZN7rocprim17ROCPRIM_400000_NS6detail44device_merge_sort_compile_time_verifier_archINS1_11comp_targetILNS1_3genE0ELNS1_11target_archE4294967295ELNS1_3gpuE0ELNS1_3repE0EEES8_NS0_14default_configES9_NS1_37merge_sort_block_sort_config_selectorIlNS0_10empty_typeEEENS1_38merge_sort_block_merge_config_selectorIlSB_EEEEvv,"axG",@progbits,_ZN7rocprim17ROCPRIM_400000_NS6detail44device_merge_sort_compile_time_verifier_archINS1_11comp_targetILNS1_3genE0ELNS1_11target_archE4294967295ELNS1_3gpuE0ELNS1_3repE0EEES8_NS0_14default_configES9_NS1_37merge_sort_block_sort_config_selectorIlNS0_10empty_typeEEENS1_38merge_sort_block_merge_config_selectorIlSB_EEEEvv,comdat
.Lfunc_end3220:
	.size	_ZN7rocprim17ROCPRIM_400000_NS6detail44device_merge_sort_compile_time_verifier_archINS1_11comp_targetILNS1_3genE0ELNS1_11target_archE4294967295ELNS1_3gpuE0ELNS1_3repE0EEES8_NS0_14default_configES9_NS1_37merge_sort_block_sort_config_selectorIlNS0_10empty_typeEEENS1_38merge_sort_block_merge_config_selectorIlSB_EEEEvv, .Lfunc_end3220-_ZN7rocprim17ROCPRIM_400000_NS6detail44device_merge_sort_compile_time_verifier_archINS1_11comp_targetILNS1_3genE0ELNS1_11target_archE4294967295ELNS1_3gpuE0ELNS1_3repE0EEES8_NS0_14default_configES9_NS1_37merge_sort_block_sort_config_selectorIlNS0_10empty_typeEEENS1_38merge_sort_block_merge_config_selectorIlSB_EEEEvv
                                        ; -- End function
	.section	.AMDGPU.csdata,"",@progbits
; Kernel info:
; codeLenInByte = 4
; NumSgprs: 4
; NumVgprs: 0
; NumAgprs: 0
; TotalNumVgprs: 0
; ScratchSize: 0
; MemoryBound: 0
; FloatMode: 240
; IeeeMode: 1
; LDSByteSize: 0 bytes/workgroup (compile time only)
; SGPRBlocks: 0
; VGPRBlocks: 0
; NumSGPRsForWavesPerEU: 4
; NumVGPRsForWavesPerEU: 1
; AccumOffset: 4
; Occupancy: 8
; WaveLimiterHint : 0
; COMPUTE_PGM_RSRC2:SCRATCH_EN: 0
; COMPUTE_PGM_RSRC2:USER_SGPR: 4
; COMPUTE_PGM_RSRC2:TRAP_HANDLER: 0
; COMPUTE_PGM_RSRC2:TGID_X_EN: 1
; COMPUTE_PGM_RSRC2:TGID_Y_EN: 0
; COMPUTE_PGM_RSRC2:TGID_Z_EN: 0
; COMPUTE_PGM_RSRC2:TIDIG_COMP_CNT: 0
; COMPUTE_PGM_RSRC3_GFX90A:ACCUM_OFFSET: 0
; COMPUTE_PGM_RSRC3_GFX90A:TG_SPLIT: 0
	.section	.text._ZN7rocprim17ROCPRIM_400000_NS6detail44device_merge_sort_compile_time_verifier_archINS1_11comp_targetILNS1_3genE5ELNS1_11target_archE942ELNS1_3gpuE9ELNS1_3repE0EEES8_NS0_14default_configES9_NS1_37merge_sort_block_sort_config_selectorIlNS0_10empty_typeEEENS1_38merge_sort_block_merge_config_selectorIlSB_EEEEvv,"axG",@progbits,_ZN7rocprim17ROCPRIM_400000_NS6detail44device_merge_sort_compile_time_verifier_archINS1_11comp_targetILNS1_3genE5ELNS1_11target_archE942ELNS1_3gpuE9ELNS1_3repE0EEES8_NS0_14default_configES9_NS1_37merge_sort_block_sort_config_selectorIlNS0_10empty_typeEEENS1_38merge_sort_block_merge_config_selectorIlSB_EEEEvv,comdat
	.protected	_ZN7rocprim17ROCPRIM_400000_NS6detail44device_merge_sort_compile_time_verifier_archINS1_11comp_targetILNS1_3genE5ELNS1_11target_archE942ELNS1_3gpuE9ELNS1_3repE0EEES8_NS0_14default_configES9_NS1_37merge_sort_block_sort_config_selectorIlNS0_10empty_typeEEENS1_38merge_sort_block_merge_config_selectorIlSB_EEEEvv ; -- Begin function _ZN7rocprim17ROCPRIM_400000_NS6detail44device_merge_sort_compile_time_verifier_archINS1_11comp_targetILNS1_3genE5ELNS1_11target_archE942ELNS1_3gpuE9ELNS1_3repE0EEES8_NS0_14default_configES9_NS1_37merge_sort_block_sort_config_selectorIlNS0_10empty_typeEEENS1_38merge_sort_block_merge_config_selectorIlSB_EEEEvv
	.globl	_ZN7rocprim17ROCPRIM_400000_NS6detail44device_merge_sort_compile_time_verifier_archINS1_11comp_targetILNS1_3genE5ELNS1_11target_archE942ELNS1_3gpuE9ELNS1_3repE0EEES8_NS0_14default_configES9_NS1_37merge_sort_block_sort_config_selectorIlNS0_10empty_typeEEENS1_38merge_sort_block_merge_config_selectorIlSB_EEEEvv
	.p2align	8
	.type	_ZN7rocprim17ROCPRIM_400000_NS6detail44device_merge_sort_compile_time_verifier_archINS1_11comp_targetILNS1_3genE5ELNS1_11target_archE942ELNS1_3gpuE9ELNS1_3repE0EEES8_NS0_14default_configES9_NS1_37merge_sort_block_sort_config_selectorIlNS0_10empty_typeEEENS1_38merge_sort_block_merge_config_selectorIlSB_EEEEvv,@function
_ZN7rocprim17ROCPRIM_400000_NS6detail44device_merge_sort_compile_time_verifier_archINS1_11comp_targetILNS1_3genE5ELNS1_11target_archE942ELNS1_3gpuE9ELNS1_3repE0EEES8_NS0_14default_configES9_NS1_37merge_sort_block_sort_config_selectorIlNS0_10empty_typeEEENS1_38merge_sort_block_merge_config_selectorIlSB_EEEEvv: ; @_ZN7rocprim17ROCPRIM_400000_NS6detail44device_merge_sort_compile_time_verifier_archINS1_11comp_targetILNS1_3genE5ELNS1_11target_archE942ELNS1_3gpuE9ELNS1_3repE0EEES8_NS0_14default_configES9_NS1_37merge_sort_block_sort_config_selectorIlNS0_10empty_typeEEENS1_38merge_sort_block_merge_config_selectorIlSB_EEEEvv
; %bb.0:
	s_endpgm
	.section	.rodata,"a",@progbits
	.p2align	6, 0x0
	.amdhsa_kernel _ZN7rocprim17ROCPRIM_400000_NS6detail44device_merge_sort_compile_time_verifier_archINS1_11comp_targetILNS1_3genE5ELNS1_11target_archE942ELNS1_3gpuE9ELNS1_3repE0EEES8_NS0_14default_configES9_NS1_37merge_sort_block_sort_config_selectorIlNS0_10empty_typeEEENS1_38merge_sort_block_merge_config_selectorIlSB_EEEEvv
		.amdhsa_group_segment_fixed_size 0
		.amdhsa_private_segment_fixed_size 0
		.amdhsa_kernarg_size 0
		.amdhsa_user_sgpr_count 4
		.amdhsa_user_sgpr_private_segment_buffer 1
		.amdhsa_user_sgpr_dispatch_ptr 0
		.amdhsa_user_sgpr_queue_ptr 0
		.amdhsa_user_sgpr_kernarg_segment_ptr 0
		.amdhsa_user_sgpr_dispatch_id 0
		.amdhsa_user_sgpr_flat_scratch_init 0
		.amdhsa_user_sgpr_kernarg_preload_length 0
		.amdhsa_user_sgpr_kernarg_preload_offset 0
		.amdhsa_user_sgpr_private_segment_size 0
		.amdhsa_uses_dynamic_stack 0
		.amdhsa_system_sgpr_private_segment_wavefront_offset 0
		.amdhsa_system_sgpr_workgroup_id_x 1
		.amdhsa_system_sgpr_workgroup_id_y 0
		.amdhsa_system_sgpr_workgroup_id_z 0
		.amdhsa_system_sgpr_workgroup_info 0
		.amdhsa_system_vgpr_workitem_id 0
		.amdhsa_next_free_vgpr 1
		.amdhsa_next_free_sgpr 0
		.amdhsa_accum_offset 4
		.amdhsa_reserve_vcc 0
		.amdhsa_reserve_flat_scratch 0
		.amdhsa_float_round_mode_32 0
		.amdhsa_float_round_mode_16_64 0
		.amdhsa_float_denorm_mode_32 3
		.amdhsa_float_denorm_mode_16_64 3
		.amdhsa_dx10_clamp 1
		.amdhsa_ieee_mode 1
		.amdhsa_fp16_overflow 0
		.amdhsa_tg_split 0
		.amdhsa_exception_fp_ieee_invalid_op 0
		.amdhsa_exception_fp_denorm_src 0
		.amdhsa_exception_fp_ieee_div_zero 0
		.amdhsa_exception_fp_ieee_overflow 0
		.amdhsa_exception_fp_ieee_underflow 0
		.amdhsa_exception_fp_ieee_inexact 0
		.amdhsa_exception_int_div_zero 0
	.end_amdhsa_kernel
	.section	.text._ZN7rocprim17ROCPRIM_400000_NS6detail44device_merge_sort_compile_time_verifier_archINS1_11comp_targetILNS1_3genE5ELNS1_11target_archE942ELNS1_3gpuE9ELNS1_3repE0EEES8_NS0_14default_configES9_NS1_37merge_sort_block_sort_config_selectorIlNS0_10empty_typeEEENS1_38merge_sort_block_merge_config_selectorIlSB_EEEEvv,"axG",@progbits,_ZN7rocprim17ROCPRIM_400000_NS6detail44device_merge_sort_compile_time_verifier_archINS1_11comp_targetILNS1_3genE5ELNS1_11target_archE942ELNS1_3gpuE9ELNS1_3repE0EEES8_NS0_14default_configES9_NS1_37merge_sort_block_sort_config_selectorIlNS0_10empty_typeEEENS1_38merge_sort_block_merge_config_selectorIlSB_EEEEvv,comdat
.Lfunc_end3221:
	.size	_ZN7rocprim17ROCPRIM_400000_NS6detail44device_merge_sort_compile_time_verifier_archINS1_11comp_targetILNS1_3genE5ELNS1_11target_archE942ELNS1_3gpuE9ELNS1_3repE0EEES8_NS0_14default_configES9_NS1_37merge_sort_block_sort_config_selectorIlNS0_10empty_typeEEENS1_38merge_sort_block_merge_config_selectorIlSB_EEEEvv, .Lfunc_end3221-_ZN7rocprim17ROCPRIM_400000_NS6detail44device_merge_sort_compile_time_verifier_archINS1_11comp_targetILNS1_3genE5ELNS1_11target_archE942ELNS1_3gpuE9ELNS1_3repE0EEES8_NS0_14default_configES9_NS1_37merge_sort_block_sort_config_selectorIlNS0_10empty_typeEEENS1_38merge_sort_block_merge_config_selectorIlSB_EEEEvv
                                        ; -- End function
	.section	.AMDGPU.csdata,"",@progbits
; Kernel info:
; codeLenInByte = 4
; NumSgprs: 4
; NumVgprs: 0
; NumAgprs: 0
; TotalNumVgprs: 0
; ScratchSize: 0
; MemoryBound: 0
; FloatMode: 240
; IeeeMode: 1
; LDSByteSize: 0 bytes/workgroup (compile time only)
; SGPRBlocks: 0
; VGPRBlocks: 0
; NumSGPRsForWavesPerEU: 4
; NumVGPRsForWavesPerEU: 1
; AccumOffset: 4
; Occupancy: 8
; WaveLimiterHint : 0
; COMPUTE_PGM_RSRC2:SCRATCH_EN: 0
; COMPUTE_PGM_RSRC2:USER_SGPR: 4
; COMPUTE_PGM_RSRC2:TRAP_HANDLER: 0
; COMPUTE_PGM_RSRC2:TGID_X_EN: 1
; COMPUTE_PGM_RSRC2:TGID_Y_EN: 0
; COMPUTE_PGM_RSRC2:TGID_Z_EN: 0
; COMPUTE_PGM_RSRC2:TIDIG_COMP_CNT: 0
; COMPUTE_PGM_RSRC3_GFX90A:ACCUM_OFFSET: 0
; COMPUTE_PGM_RSRC3_GFX90A:TG_SPLIT: 0
	.section	.text._ZN7rocprim17ROCPRIM_400000_NS6detail44device_merge_sort_compile_time_verifier_archINS1_11comp_targetILNS1_3genE4ELNS1_11target_archE910ELNS1_3gpuE8ELNS1_3repE0EEES8_NS0_14default_configES9_NS1_37merge_sort_block_sort_config_selectorIlNS0_10empty_typeEEENS1_38merge_sort_block_merge_config_selectorIlSB_EEEEvv,"axG",@progbits,_ZN7rocprim17ROCPRIM_400000_NS6detail44device_merge_sort_compile_time_verifier_archINS1_11comp_targetILNS1_3genE4ELNS1_11target_archE910ELNS1_3gpuE8ELNS1_3repE0EEES8_NS0_14default_configES9_NS1_37merge_sort_block_sort_config_selectorIlNS0_10empty_typeEEENS1_38merge_sort_block_merge_config_selectorIlSB_EEEEvv,comdat
	.protected	_ZN7rocprim17ROCPRIM_400000_NS6detail44device_merge_sort_compile_time_verifier_archINS1_11comp_targetILNS1_3genE4ELNS1_11target_archE910ELNS1_3gpuE8ELNS1_3repE0EEES8_NS0_14default_configES9_NS1_37merge_sort_block_sort_config_selectorIlNS0_10empty_typeEEENS1_38merge_sort_block_merge_config_selectorIlSB_EEEEvv ; -- Begin function _ZN7rocprim17ROCPRIM_400000_NS6detail44device_merge_sort_compile_time_verifier_archINS1_11comp_targetILNS1_3genE4ELNS1_11target_archE910ELNS1_3gpuE8ELNS1_3repE0EEES8_NS0_14default_configES9_NS1_37merge_sort_block_sort_config_selectorIlNS0_10empty_typeEEENS1_38merge_sort_block_merge_config_selectorIlSB_EEEEvv
	.globl	_ZN7rocprim17ROCPRIM_400000_NS6detail44device_merge_sort_compile_time_verifier_archINS1_11comp_targetILNS1_3genE4ELNS1_11target_archE910ELNS1_3gpuE8ELNS1_3repE0EEES8_NS0_14default_configES9_NS1_37merge_sort_block_sort_config_selectorIlNS0_10empty_typeEEENS1_38merge_sort_block_merge_config_selectorIlSB_EEEEvv
	.p2align	8
	.type	_ZN7rocprim17ROCPRIM_400000_NS6detail44device_merge_sort_compile_time_verifier_archINS1_11comp_targetILNS1_3genE4ELNS1_11target_archE910ELNS1_3gpuE8ELNS1_3repE0EEES8_NS0_14default_configES9_NS1_37merge_sort_block_sort_config_selectorIlNS0_10empty_typeEEENS1_38merge_sort_block_merge_config_selectorIlSB_EEEEvv,@function
_ZN7rocprim17ROCPRIM_400000_NS6detail44device_merge_sort_compile_time_verifier_archINS1_11comp_targetILNS1_3genE4ELNS1_11target_archE910ELNS1_3gpuE8ELNS1_3repE0EEES8_NS0_14default_configES9_NS1_37merge_sort_block_sort_config_selectorIlNS0_10empty_typeEEENS1_38merge_sort_block_merge_config_selectorIlSB_EEEEvv: ; @_ZN7rocprim17ROCPRIM_400000_NS6detail44device_merge_sort_compile_time_verifier_archINS1_11comp_targetILNS1_3genE4ELNS1_11target_archE910ELNS1_3gpuE8ELNS1_3repE0EEES8_NS0_14default_configES9_NS1_37merge_sort_block_sort_config_selectorIlNS0_10empty_typeEEENS1_38merge_sort_block_merge_config_selectorIlSB_EEEEvv
; %bb.0:
	s_endpgm
	.section	.rodata,"a",@progbits
	.p2align	6, 0x0
	.amdhsa_kernel _ZN7rocprim17ROCPRIM_400000_NS6detail44device_merge_sort_compile_time_verifier_archINS1_11comp_targetILNS1_3genE4ELNS1_11target_archE910ELNS1_3gpuE8ELNS1_3repE0EEES8_NS0_14default_configES9_NS1_37merge_sort_block_sort_config_selectorIlNS0_10empty_typeEEENS1_38merge_sort_block_merge_config_selectorIlSB_EEEEvv
		.amdhsa_group_segment_fixed_size 0
		.amdhsa_private_segment_fixed_size 0
		.amdhsa_kernarg_size 0
		.amdhsa_user_sgpr_count 4
		.amdhsa_user_sgpr_private_segment_buffer 1
		.amdhsa_user_sgpr_dispatch_ptr 0
		.amdhsa_user_sgpr_queue_ptr 0
		.amdhsa_user_sgpr_kernarg_segment_ptr 0
		.amdhsa_user_sgpr_dispatch_id 0
		.amdhsa_user_sgpr_flat_scratch_init 0
		.amdhsa_user_sgpr_kernarg_preload_length 0
		.amdhsa_user_sgpr_kernarg_preload_offset 0
		.amdhsa_user_sgpr_private_segment_size 0
		.amdhsa_uses_dynamic_stack 0
		.amdhsa_system_sgpr_private_segment_wavefront_offset 0
		.amdhsa_system_sgpr_workgroup_id_x 1
		.amdhsa_system_sgpr_workgroup_id_y 0
		.amdhsa_system_sgpr_workgroup_id_z 0
		.amdhsa_system_sgpr_workgroup_info 0
		.amdhsa_system_vgpr_workitem_id 0
		.amdhsa_next_free_vgpr 1
		.amdhsa_next_free_sgpr 0
		.amdhsa_accum_offset 4
		.amdhsa_reserve_vcc 0
		.amdhsa_reserve_flat_scratch 0
		.amdhsa_float_round_mode_32 0
		.amdhsa_float_round_mode_16_64 0
		.amdhsa_float_denorm_mode_32 3
		.amdhsa_float_denorm_mode_16_64 3
		.amdhsa_dx10_clamp 1
		.amdhsa_ieee_mode 1
		.amdhsa_fp16_overflow 0
		.amdhsa_tg_split 0
		.amdhsa_exception_fp_ieee_invalid_op 0
		.amdhsa_exception_fp_denorm_src 0
		.amdhsa_exception_fp_ieee_div_zero 0
		.amdhsa_exception_fp_ieee_overflow 0
		.amdhsa_exception_fp_ieee_underflow 0
		.amdhsa_exception_fp_ieee_inexact 0
		.amdhsa_exception_int_div_zero 0
	.end_amdhsa_kernel
	.section	.text._ZN7rocprim17ROCPRIM_400000_NS6detail44device_merge_sort_compile_time_verifier_archINS1_11comp_targetILNS1_3genE4ELNS1_11target_archE910ELNS1_3gpuE8ELNS1_3repE0EEES8_NS0_14default_configES9_NS1_37merge_sort_block_sort_config_selectorIlNS0_10empty_typeEEENS1_38merge_sort_block_merge_config_selectorIlSB_EEEEvv,"axG",@progbits,_ZN7rocprim17ROCPRIM_400000_NS6detail44device_merge_sort_compile_time_verifier_archINS1_11comp_targetILNS1_3genE4ELNS1_11target_archE910ELNS1_3gpuE8ELNS1_3repE0EEES8_NS0_14default_configES9_NS1_37merge_sort_block_sort_config_selectorIlNS0_10empty_typeEEENS1_38merge_sort_block_merge_config_selectorIlSB_EEEEvv,comdat
.Lfunc_end3222:
	.size	_ZN7rocprim17ROCPRIM_400000_NS6detail44device_merge_sort_compile_time_verifier_archINS1_11comp_targetILNS1_3genE4ELNS1_11target_archE910ELNS1_3gpuE8ELNS1_3repE0EEES8_NS0_14default_configES9_NS1_37merge_sort_block_sort_config_selectorIlNS0_10empty_typeEEENS1_38merge_sort_block_merge_config_selectorIlSB_EEEEvv, .Lfunc_end3222-_ZN7rocprim17ROCPRIM_400000_NS6detail44device_merge_sort_compile_time_verifier_archINS1_11comp_targetILNS1_3genE4ELNS1_11target_archE910ELNS1_3gpuE8ELNS1_3repE0EEES8_NS0_14default_configES9_NS1_37merge_sort_block_sort_config_selectorIlNS0_10empty_typeEEENS1_38merge_sort_block_merge_config_selectorIlSB_EEEEvv
                                        ; -- End function
	.section	.AMDGPU.csdata,"",@progbits
; Kernel info:
; codeLenInByte = 4
; NumSgprs: 4
; NumVgprs: 0
; NumAgprs: 0
; TotalNumVgprs: 0
; ScratchSize: 0
; MemoryBound: 0
; FloatMode: 240
; IeeeMode: 1
; LDSByteSize: 0 bytes/workgroup (compile time only)
; SGPRBlocks: 0
; VGPRBlocks: 0
; NumSGPRsForWavesPerEU: 4
; NumVGPRsForWavesPerEU: 1
; AccumOffset: 4
; Occupancy: 8
; WaveLimiterHint : 0
; COMPUTE_PGM_RSRC2:SCRATCH_EN: 0
; COMPUTE_PGM_RSRC2:USER_SGPR: 4
; COMPUTE_PGM_RSRC2:TRAP_HANDLER: 0
; COMPUTE_PGM_RSRC2:TGID_X_EN: 1
; COMPUTE_PGM_RSRC2:TGID_Y_EN: 0
; COMPUTE_PGM_RSRC2:TGID_Z_EN: 0
; COMPUTE_PGM_RSRC2:TIDIG_COMP_CNT: 0
; COMPUTE_PGM_RSRC3_GFX90A:ACCUM_OFFSET: 0
; COMPUTE_PGM_RSRC3_GFX90A:TG_SPLIT: 0
	.section	.text._ZN7rocprim17ROCPRIM_400000_NS6detail44device_merge_sort_compile_time_verifier_archINS1_11comp_targetILNS1_3genE3ELNS1_11target_archE908ELNS1_3gpuE7ELNS1_3repE0EEES8_NS0_14default_configES9_NS1_37merge_sort_block_sort_config_selectorIlNS0_10empty_typeEEENS1_38merge_sort_block_merge_config_selectorIlSB_EEEEvv,"axG",@progbits,_ZN7rocprim17ROCPRIM_400000_NS6detail44device_merge_sort_compile_time_verifier_archINS1_11comp_targetILNS1_3genE3ELNS1_11target_archE908ELNS1_3gpuE7ELNS1_3repE0EEES8_NS0_14default_configES9_NS1_37merge_sort_block_sort_config_selectorIlNS0_10empty_typeEEENS1_38merge_sort_block_merge_config_selectorIlSB_EEEEvv,comdat
	.protected	_ZN7rocprim17ROCPRIM_400000_NS6detail44device_merge_sort_compile_time_verifier_archINS1_11comp_targetILNS1_3genE3ELNS1_11target_archE908ELNS1_3gpuE7ELNS1_3repE0EEES8_NS0_14default_configES9_NS1_37merge_sort_block_sort_config_selectorIlNS0_10empty_typeEEENS1_38merge_sort_block_merge_config_selectorIlSB_EEEEvv ; -- Begin function _ZN7rocprim17ROCPRIM_400000_NS6detail44device_merge_sort_compile_time_verifier_archINS1_11comp_targetILNS1_3genE3ELNS1_11target_archE908ELNS1_3gpuE7ELNS1_3repE0EEES8_NS0_14default_configES9_NS1_37merge_sort_block_sort_config_selectorIlNS0_10empty_typeEEENS1_38merge_sort_block_merge_config_selectorIlSB_EEEEvv
	.globl	_ZN7rocprim17ROCPRIM_400000_NS6detail44device_merge_sort_compile_time_verifier_archINS1_11comp_targetILNS1_3genE3ELNS1_11target_archE908ELNS1_3gpuE7ELNS1_3repE0EEES8_NS0_14default_configES9_NS1_37merge_sort_block_sort_config_selectorIlNS0_10empty_typeEEENS1_38merge_sort_block_merge_config_selectorIlSB_EEEEvv
	.p2align	8
	.type	_ZN7rocprim17ROCPRIM_400000_NS6detail44device_merge_sort_compile_time_verifier_archINS1_11comp_targetILNS1_3genE3ELNS1_11target_archE908ELNS1_3gpuE7ELNS1_3repE0EEES8_NS0_14default_configES9_NS1_37merge_sort_block_sort_config_selectorIlNS0_10empty_typeEEENS1_38merge_sort_block_merge_config_selectorIlSB_EEEEvv,@function
_ZN7rocprim17ROCPRIM_400000_NS6detail44device_merge_sort_compile_time_verifier_archINS1_11comp_targetILNS1_3genE3ELNS1_11target_archE908ELNS1_3gpuE7ELNS1_3repE0EEES8_NS0_14default_configES9_NS1_37merge_sort_block_sort_config_selectorIlNS0_10empty_typeEEENS1_38merge_sort_block_merge_config_selectorIlSB_EEEEvv: ; @_ZN7rocprim17ROCPRIM_400000_NS6detail44device_merge_sort_compile_time_verifier_archINS1_11comp_targetILNS1_3genE3ELNS1_11target_archE908ELNS1_3gpuE7ELNS1_3repE0EEES8_NS0_14default_configES9_NS1_37merge_sort_block_sort_config_selectorIlNS0_10empty_typeEEENS1_38merge_sort_block_merge_config_selectorIlSB_EEEEvv
; %bb.0:
	s_endpgm
	.section	.rodata,"a",@progbits
	.p2align	6, 0x0
	.amdhsa_kernel _ZN7rocprim17ROCPRIM_400000_NS6detail44device_merge_sort_compile_time_verifier_archINS1_11comp_targetILNS1_3genE3ELNS1_11target_archE908ELNS1_3gpuE7ELNS1_3repE0EEES8_NS0_14default_configES9_NS1_37merge_sort_block_sort_config_selectorIlNS0_10empty_typeEEENS1_38merge_sort_block_merge_config_selectorIlSB_EEEEvv
		.amdhsa_group_segment_fixed_size 0
		.amdhsa_private_segment_fixed_size 0
		.amdhsa_kernarg_size 0
		.amdhsa_user_sgpr_count 4
		.amdhsa_user_sgpr_private_segment_buffer 1
		.amdhsa_user_sgpr_dispatch_ptr 0
		.amdhsa_user_sgpr_queue_ptr 0
		.amdhsa_user_sgpr_kernarg_segment_ptr 0
		.amdhsa_user_sgpr_dispatch_id 0
		.amdhsa_user_sgpr_flat_scratch_init 0
		.amdhsa_user_sgpr_kernarg_preload_length 0
		.amdhsa_user_sgpr_kernarg_preload_offset 0
		.amdhsa_user_sgpr_private_segment_size 0
		.amdhsa_uses_dynamic_stack 0
		.amdhsa_system_sgpr_private_segment_wavefront_offset 0
		.amdhsa_system_sgpr_workgroup_id_x 1
		.amdhsa_system_sgpr_workgroup_id_y 0
		.amdhsa_system_sgpr_workgroup_id_z 0
		.amdhsa_system_sgpr_workgroup_info 0
		.amdhsa_system_vgpr_workitem_id 0
		.amdhsa_next_free_vgpr 1
		.amdhsa_next_free_sgpr 0
		.amdhsa_accum_offset 4
		.amdhsa_reserve_vcc 0
		.amdhsa_reserve_flat_scratch 0
		.amdhsa_float_round_mode_32 0
		.amdhsa_float_round_mode_16_64 0
		.amdhsa_float_denorm_mode_32 3
		.amdhsa_float_denorm_mode_16_64 3
		.amdhsa_dx10_clamp 1
		.amdhsa_ieee_mode 1
		.amdhsa_fp16_overflow 0
		.amdhsa_tg_split 0
		.amdhsa_exception_fp_ieee_invalid_op 0
		.amdhsa_exception_fp_denorm_src 0
		.amdhsa_exception_fp_ieee_div_zero 0
		.amdhsa_exception_fp_ieee_overflow 0
		.amdhsa_exception_fp_ieee_underflow 0
		.amdhsa_exception_fp_ieee_inexact 0
		.amdhsa_exception_int_div_zero 0
	.end_amdhsa_kernel
	.section	.text._ZN7rocprim17ROCPRIM_400000_NS6detail44device_merge_sort_compile_time_verifier_archINS1_11comp_targetILNS1_3genE3ELNS1_11target_archE908ELNS1_3gpuE7ELNS1_3repE0EEES8_NS0_14default_configES9_NS1_37merge_sort_block_sort_config_selectorIlNS0_10empty_typeEEENS1_38merge_sort_block_merge_config_selectorIlSB_EEEEvv,"axG",@progbits,_ZN7rocprim17ROCPRIM_400000_NS6detail44device_merge_sort_compile_time_verifier_archINS1_11comp_targetILNS1_3genE3ELNS1_11target_archE908ELNS1_3gpuE7ELNS1_3repE0EEES8_NS0_14default_configES9_NS1_37merge_sort_block_sort_config_selectorIlNS0_10empty_typeEEENS1_38merge_sort_block_merge_config_selectorIlSB_EEEEvv,comdat
.Lfunc_end3223:
	.size	_ZN7rocprim17ROCPRIM_400000_NS6detail44device_merge_sort_compile_time_verifier_archINS1_11comp_targetILNS1_3genE3ELNS1_11target_archE908ELNS1_3gpuE7ELNS1_3repE0EEES8_NS0_14default_configES9_NS1_37merge_sort_block_sort_config_selectorIlNS0_10empty_typeEEENS1_38merge_sort_block_merge_config_selectorIlSB_EEEEvv, .Lfunc_end3223-_ZN7rocprim17ROCPRIM_400000_NS6detail44device_merge_sort_compile_time_verifier_archINS1_11comp_targetILNS1_3genE3ELNS1_11target_archE908ELNS1_3gpuE7ELNS1_3repE0EEES8_NS0_14default_configES9_NS1_37merge_sort_block_sort_config_selectorIlNS0_10empty_typeEEENS1_38merge_sort_block_merge_config_selectorIlSB_EEEEvv
                                        ; -- End function
	.section	.AMDGPU.csdata,"",@progbits
; Kernel info:
; codeLenInByte = 4
; NumSgprs: 4
; NumVgprs: 0
; NumAgprs: 0
; TotalNumVgprs: 0
; ScratchSize: 0
; MemoryBound: 0
; FloatMode: 240
; IeeeMode: 1
; LDSByteSize: 0 bytes/workgroup (compile time only)
; SGPRBlocks: 0
; VGPRBlocks: 0
; NumSGPRsForWavesPerEU: 4
; NumVGPRsForWavesPerEU: 1
; AccumOffset: 4
; Occupancy: 8
; WaveLimiterHint : 0
; COMPUTE_PGM_RSRC2:SCRATCH_EN: 0
; COMPUTE_PGM_RSRC2:USER_SGPR: 4
; COMPUTE_PGM_RSRC2:TRAP_HANDLER: 0
; COMPUTE_PGM_RSRC2:TGID_X_EN: 1
; COMPUTE_PGM_RSRC2:TGID_Y_EN: 0
; COMPUTE_PGM_RSRC2:TGID_Z_EN: 0
; COMPUTE_PGM_RSRC2:TIDIG_COMP_CNT: 0
; COMPUTE_PGM_RSRC3_GFX90A:ACCUM_OFFSET: 0
; COMPUTE_PGM_RSRC3_GFX90A:TG_SPLIT: 0
	.section	.text._ZN7rocprim17ROCPRIM_400000_NS6detail44device_merge_sort_compile_time_verifier_archINS1_11comp_targetILNS1_3genE2ELNS1_11target_archE906ELNS1_3gpuE6ELNS1_3repE0EEES8_NS0_14default_configES9_NS1_37merge_sort_block_sort_config_selectorIlNS0_10empty_typeEEENS1_38merge_sort_block_merge_config_selectorIlSB_EEEEvv,"axG",@progbits,_ZN7rocprim17ROCPRIM_400000_NS6detail44device_merge_sort_compile_time_verifier_archINS1_11comp_targetILNS1_3genE2ELNS1_11target_archE906ELNS1_3gpuE6ELNS1_3repE0EEES8_NS0_14default_configES9_NS1_37merge_sort_block_sort_config_selectorIlNS0_10empty_typeEEENS1_38merge_sort_block_merge_config_selectorIlSB_EEEEvv,comdat
	.protected	_ZN7rocprim17ROCPRIM_400000_NS6detail44device_merge_sort_compile_time_verifier_archINS1_11comp_targetILNS1_3genE2ELNS1_11target_archE906ELNS1_3gpuE6ELNS1_3repE0EEES8_NS0_14default_configES9_NS1_37merge_sort_block_sort_config_selectorIlNS0_10empty_typeEEENS1_38merge_sort_block_merge_config_selectorIlSB_EEEEvv ; -- Begin function _ZN7rocprim17ROCPRIM_400000_NS6detail44device_merge_sort_compile_time_verifier_archINS1_11comp_targetILNS1_3genE2ELNS1_11target_archE906ELNS1_3gpuE6ELNS1_3repE0EEES8_NS0_14default_configES9_NS1_37merge_sort_block_sort_config_selectorIlNS0_10empty_typeEEENS1_38merge_sort_block_merge_config_selectorIlSB_EEEEvv
	.globl	_ZN7rocprim17ROCPRIM_400000_NS6detail44device_merge_sort_compile_time_verifier_archINS1_11comp_targetILNS1_3genE2ELNS1_11target_archE906ELNS1_3gpuE6ELNS1_3repE0EEES8_NS0_14default_configES9_NS1_37merge_sort_block_sort_config_selectorIlNS0_10empty_typeEEENS1_38merge_sort_block_merge_config_selectorIlSB_EEEEvv
	.p2align	8
	.type	_ZN7rocprim17ROCPRIM_400000_NS6detail44device_merge_sort_compile_time_verifier_archINS1_11comp_targetILNS1_3genE2ELNS1_11target_archE906ELNS1_3gpuE6ELNS1_3repE0EEES8_NS0_14default_configES9_NS1_37merge_sort_block_sort_config_selectorIlNS0_10empty_typeEEENS1_38merge_sort_block_merge_config_selectorIlSB_EEEEvv,@function
_ZN7rocprim17ROCPRIM_400000_NS6detail44device_merge_sort_compile_time_verifier_archINS1_11comp_targetILNS1_3genE2ELNS1_11target_archE906ELNS1_3gpuE6ELNS1_3repE0EEES8_NS0_14default_configES9_NS1_37merge_sort_block_sort_config_selectorIlNS0_10empty_typeEEENS1_38merge_sort_block_merge_config_selectorIlSB_EEEEvv: ; @_ZN7rocprim17ROCPRIM_400000_NS6detail44device_merge_sort_compile_time_verifier_archINS1_11comp_targetILNS1_3genE2ELNS1_11target_archE906ELNS1_3gpuE6ELNS1_3repE0EEES8_NS0_14default_configES9_NS1_37merge_sort_block_sort_config_selectorIlNS0_10empty_typeEEENS1_38merge_sort_block_merge_config_selectorIlSB_EEEEvv
; %bb.0:
	s_endpgm
	.section	.rodata,"a",@progbits
	.p2align	6, 0x0
	.amdhsa_kernel _ZN7rocprim17ROCPRIM_400000_NS6detail44device_merge_sort_compile_time_verifier_archINS1_11comp_targetILNS1_3genE2ELNS1_11target_archE906ELNS1_3gpuE6ELNS1_3repE0EEES8_NS0_14default_configES9_NS1_37merge_sort_block_sort_config_selectorIlNS0_10empty_typeEEENS1_38merge_sort_block_merge_config_selectorIlSB_EEEEvv
		.amdhsa_group_segment_fixed_size 0
		.amdhsa_private_segment_fixed_size 0
		.amdhsa_kernarg_size 0
		.amdhsa_user_sgpr_count 4
		.amdhsa_user_sgpr_private_segment_buffer 1
		.amdhsa_user_sgpr_dispatch_ptr 0
		.amdhsa_user_sgpr_queue_ptr 0
		.amdhsa_user_sgpr_kernarg_segment_ptr 0
		.amdhsa_user_sgpr_dispatch_id 0
		.amdhsa_user_sgpr_flat_scratch_init 0
		.amdhsa_user_sgpr_kernarg_preload_length 0
		.amdhsa_user_sgpr_kernarg_preload_offset 0
		.amdhsa_user_sgpr_private_segment_size 0
		.amdhsa_uses_dynamic_stack 0
		.amdhsa_system_sgpr_private_segment_wavefront_offset 0
		.amdhsa_system_sgpr_workgroup_id_x 1
		.amdhsa_system_sgpr_workgroup_id_y 0
		.amdhsa_system_sgpr_workgroup_id_z 0
		.amdhsa_system_sgpr_workgroup_info 0
		.amdhsa_system_vgpr_workitem_id 0
		.amdhsa_next_free_vgpr 1
		.amdhsa_next_free_sgpr 0
		.amdhsa_accum_offset 4
		.amdhsa_reserve_vcc 0
		.amdhsa_reserve_flat_scratch 0
		.amdhsa_float_round_mode_32 0
		.amdhsa_float_round_mode_16_64 0
		.amdhsa_float_denorm_mode_32 3
		.amdhsa_float_denorm_mode_16_64 3
		.amdhsa_dx10_clamp 1
		.amdhsa_ieee_mode 1
		.amdhsa_fp16_overflow 0
		.amdhsa_tg_split 0
		.amdhsa_exception_fp_ieee_invalid_op 0
		.amdhsa_exception_fp_denorm_src 0
		.amdhsa_exception_fp_ieee_div_zero 0
		.amdhsa_exception_fp_ieee_overflow 0
		.amdhsa_exception_fp_ieee_underflow 0
		.amdhsa_exception_fp_ieee_inexact 0
		.amdhsa_exception_int_div_zero 0
	.end_amdhsa_kernel
	.section	.text._ZN7rocprim17ROCPRIM_400000_NS6detail44device_merge_sort_compile_time_verifier_archINS1_11comp_targetILNS1_3genE2ELNS1_11target_archE906ELNS1_3gpuE6ELNS1_3repE0EEES8_NS0_14default_configES9_NS1_37merge_sort_block_sort_config_selectorIlNS0_10empty_typeEEENS1_38merge_sort_block_merge_config_selectorIlSB_EEEEvv,"axG",@progbits,_ZN7rocprim17ROCPRIM_400000_NS6detail44device_merge_sort_compile_time_verifier_archINS1_11comp_targetILNS1_3genE2ELNS1_11target_archE906ELNS1_3gpuE6ELNS1_3repE0EEES8_NS0_14default_configES9_NS1_37merge_sort_block_sort_config_selectorIlNS0_10empty_typeEEENS1_38merge_sort_block_merge_config_selectorIlSB_EEEEvv,comdat
.Lfunc_end3224:
	.size	_ZN7rocprim17ROCPRIM_400000_NS6detail44device_merge_sort_compile_time_verifier_archINS1_11comp_targetILNS1_3genE2ELNS1_11target_archE906ELNS1_3gpuE6ELNS1_3repE0EEES8_NS0_14default_configES9_NS1_37merge_sort_block_sort_config_selectorIlNS0_10empty_typeEEENS1_38merge_sort_block_merge_config_selectorIlSB_EEEEvv, .Lfunc_end3224-_ZN7rocprim17ROCPRIM_400000_NS6detail44device_merge_sort_compile_time_verifier_archINS1_11comp_targetILNS1_3genE2ELNS1_11target_archE906ELNS1_3gpuE6ELNS1_3repE0EEES8_NS0_14default_configES9_NS1_37merge_sort_block_sort_config_selectorIlNS0_10empty_typeEEENS1_38merge_sort_block_merge_config_selectorIlSB_EEEEvv
                                        ; -- End function
	.section	.AMDGPU.csdata,"",@progbits
; Kernel info:
; codeLenInByte = 4
; NumSgprs: 4
; NumVgprs: 0
; NumAgprs: 0
; TotalNumVgprs: 0
; ScratchSize: 0
; MemoryBound: 0
; FloatMode: 240
; IeeeMode: 1
; LDSByteSize: 0 bytes/workgroup (compile time only)
; SGPRBlocks: 0
; VGPRBlocks: 0
; NumSGPRsForWavesPerEU: 4
; NumVGPRsForWavesPerEU: 1
; AccumOffset: 4
; Occupancy: 8
; WaveLimiterHint : 0
; COMPUTE_PGM_RSRC2:SCRATCH_EN: 0
; COMPUTE_PGM_RSRC2:USER_SGPR: 4
; COMPUTE_PGM_RSRC2:TRAP_HANDLER: 0
; COMPUTE_PGM_RSRC2:TGID_X_EN: 1
; COMPUTE_PGM_RSRC2:TGID_Y_EN: 0
; COMPUTE_PGM_RSRC2:TGID_Z_EN: 0
; COMPUTE_PGM_RSRC2:TIDIG_COMP_CNT: 0
; COMPUTE_PGM_RSRC3_GFX90A:ACCUM_OFFSET: 0
; COMPUTE_PGM_RSRC3_GFX90A:TG_SPLIT: 0
	.section	.text._ZN7rocprim17ROCPRIM_400000_NS6detail44device_merge_sort_compile_time_verifier_archINS1_11comp_targetILNS1_3genE10ELNS1_11target_archE1201ELNS1_3gpuE5ELNS1_3repE0EEES8_NS0_14default_configES9_NS1_37merge_sort_block_sort_config_selectorIlNS0_10empty_typeEEENS1_38merge_sort_block_merge_config_selectorIlSB_EEEEvv,"axG",@progbits,_ZN7rocprim17ROCPRIM_400000_NS6detail44device_merge_sort_compile_time_verifier_archINS1_11comp_targetILNS1_3genE10ELNS1_11target_archE1201ELNS1_3gpuE5ELNS1_3repE0EEES8_NS0_14default_configES9_NS1_37merge_sort_block_sort_config_selectorIlNS0_10empty_typeEEENS1_38merge_sort_block_merge_config_selectorIlSB_EEEEvv,comdat
	.protected	_ZN7rocprim17ROCPRIM_400000_NS6detail44device_merge_sort_compile_time_verifier_archINS1_11comp_targetILNS1_3genE10ELNS1_11target_archE1201ELNS1_3gpuE5ELNS1_3repE0EEES8_NS0_14default_configES9_NS1_37merge_sort_block_sort_config_selectorIlNS0_10empty_typeEEENS1_38merge_sort_block_merge_config_selectorIlSB_EEEEvv ; -- Begin function _ZN7rocprim17ROCPRIM_400000_NS6detail44device_merge_sort_compile_time_verifier_archINS1_11comp_targetILNS1_3genE10ELNS1_11target_archE1201ELNS1_3gpuE5ELNS1_3repE0EEES8_NS0_14default_configES9_NS1_37merge_sort_block_sort_config_selectorIlNS0_10empty_typeEEENS1_38merge_sort_block_merge_config_selectorIlSB_EEEEvv
	.globl	_ZN7rocprim17ROCPRIM_400000_NS6detail44device_merge_sort_compile_time_verifier_archINS1_11comp_targetILNS1_3genE10ELNS1_11target_archE1201ELNS1_3gpuE5ELNS1_3repE0EEES8_NS0_14default_configES9_NS1_37merge_sort_block_sort_config_selectorIlNS0_10empty_typeEEENS1_38merge_sort_block_merge_config_selectorIlSB_EEEEvv
	.p2align	8
	.type	_ZN7rocprim17ROCPRIM_400000_NS6detail44device_merge_sort_compile_time_verifier_archINS1_11comp_targetILNS1_3genE10ELNS1_11target_archE1201ELNS1_3gpuE5ELNS1_3repE0EEES8_NS0_14default_configES9_NS1_37merge_sort_block_sort_config_selectorIlNS0_10empty_typeEEENS1_38merge_sort_block_merge_config_selectorIlSB_EEEEvv,@function
_ZN7rocprim17ROCPRIM_400000_NS6detail44device_merge_sort_compile_time_verifier_archINS1_11comp_targetILNS1_3genE10ELNS1_11target_archE1201ELNS1_3gpuE5ELNS1_3repE0EEES8_NS0_14default_configES9_NS1_37merge_sort_block_sort_config_selectorIlNS0_10empty_typeEEENS1_38merge_sort_block_merge_config_selectorIlSB_EEEEvv: ; @_ZN7rocprim17ROCPRIM_400000_NS6detail44device_merge_sort_compile_time_verifier_archINS1_11comp_targetILNS1_3genE10ELNS1_11target_archE1201ELNS1_3gpuE5ELNS1_3repE0EEES8_NS0_14default_configES9_NS1_37merge_sort_block_sort_config_selectorIlNS0_10empty_typeEEENS1_38merge_sort_block_merge_config_selectorIlSB_EEEEvv
; %bb.0:
	s_endpgm
	.section	.rodata,"a",@progbits
	.p2align	6, 0x0
	.amdhsa_kernel _ZN7rocprim17ROCPRIM_400000_NS6detail44device_merge_sort_compile_time_verifier_archINS1_11comp_targetILNS1_3genE10ELNS1_11target_archE1201ELNS1_3gpuE5ELNS1_3repE0EEES8_NS0_14default_configES9_NS1_37merge_sort_block_sort_config_selectorIlNS0_10empty_typeEEENS1_38merge_sort_block_merge_config_selectorIlSB_EEEEvv
		.amdhsa_group_segment_fixed_size 0
		.amdhsa_private_segment_fixed_size 0
		.amdhsa_kernarg_size 0
		.amdhsa_user_sgpr_count 4
		.amdhsa_user_sgpr_private_segment_buffer 1
		.amdhsa_user_sgpr_dispatch_ptr 0
		.amdhsa_user_sgpr_queue_ptr 0
		.amdhsa_user_sgpr_kernarg_segment_ptr 0
		.amdhsa_user_sgpr_dispatch_id 0
		.amdhsa_user_sgpr_flat_scratch_init 0
		.amdhsa_user_sgpr_kernarg_preload_length 0
		.amdhsa_user_sgpr_kernarg_preload_offset 0
		.amdhsa_user_sgpr_private_segment_size 0
		.amdhsa_uses_dynamic_stack 0
		.amdhsa_system_sgpr_private_segment_wavefront_offset 0
		.amdhsa_system_sgpr_workgroup_id_x 1
		.amdhsa_system_sgpr_workgroup_id_y 0
		.amdhsa_system_sgpr_workgroup_id_z 0
		.amdhsa_system_sgpr_workgroup_info 0
		.amdhsa_system_vgpr_workitem_id 0
		.amdhsa_next_free_vgpr 1
		.amdhsa_next_free_sgpr 0
		.amdhsa_accum_offset 4
		.amdhsa_reserve_vcc 0
		.amdhsa_reserve_flat_scratch 0
		.amdhsa_float_round_mode_32 0
		.amdhsa_float_round_mode_16_64 0
		.amdhsa_float_denorm_mode_32 3
		.amdhsa_float_denorm_mode_16_64 3
		.amdhsa_dx10_clamp 1
		.amdhsa_ieee_mode 1
		.amdhsa_fp16_overflow 0
		.amdhsa_tg_split 0
		.amdhsa_exception_fp_ieee_invalid_op 0
		.amdhsa_exception_fp_denorm_src 0
		.amdhsa_exception_fp_ieee_div_zero 0
		.amdhsa_exception_fp_ieee_overflow 0
		.amdhsa_exception_fp_ieee_underflow 0
		.amdhsa_exception_fp_ieee_inexact 0
		.amdhsa_exception_int_div_zero 0
	.end_amdhsa_kernel
	.section	.text._ZN7rocprim17ROCPRIM_400000_NS6detail44device_merge_sort_compile_time_verifier_archINS1_11comp_targetILNS1_3genE10ELNS1_11target_archE1201ELNS1_3gpuE5ELNS1_3repE0EEES8_NS0_14default_configES9_NS1_37merge_sort_block_sort_config_selectorIlNS0_10empty_typeEEENS1_38merge_sort_block_merge_config_selectorIlSB_EEEEvv,"axG",@progbits,_ZN7rocprim17ROCPRIM_400000_NS6detail44device_merge_sort_compile_time_verifier_archINS1_11comp_targetILNS1_3genE10ELNS1_11target_archE1201ELNS1_3gpuE5ELNS1_3repE0EEES8_NS0_14default_configES9_NS1_37merge_sort_block_sort_config_selectorIlNS0_10empty_typeEEENS1_38merge_sort_block_merge_config_selectorIlSB_EEEEvv,comdat
.Lfunc_end3225:
	.size	_ZN7rocprim17ROCPRIM_400000_NS6detail44device_merge_sort_compile_time_verifier_archINS1_11comp_targetILNS1_3genE10ELNS1_11target_archE1201ELNS1_3gpuE5ELNS1_3repE0EEES8_NS0_14default_configES9_NS1_37merge_sort_block_sort_config_selectorIlNS0_10empty_typeEEENS1_38merge_sort_block_merge_config_selectorIlSB_EEEEvv, .Lfunc_end3225-_ZN7rocprim17ROCPRIM_400000_NS6detail44device_merge_sort_compile_time_verifier_archINS1_11comp_targetILNS1_3genE10ELNS1_11target_archE1201ELNS1_3gpuE5ELNS1_3repE0EEES8_NS0_14default_configES9_NS1_37merge_sort_block_sort_config_selectorIlNS0_10empty_typeEEENS1_38merge_sort_block_merge_config_selectorIlSB_EEEEvv
                                        ; -- End function
	.section	.AMDGPU.csdata,"",@progbits
; Kernel info:
; codeLenInByte = 4
; NumSgprs: 4
; NumVgprs: 0
; NumAgprs: 0
; TotalNumVgprs: 0
; ScratchSize: 0
; MemoryBound: 0
; FloatMode: 240
; IeeeMode: 1
; LDSByteSize: 0 bytes/workgroup (compile time only)
; SGPRBlocks: 0
; VGPRBlocks: 0
; NumSGPRsForWavesPerEU: 4
; NumVGPRsForWavesPerEU: 1
; AccumOffset: 4
; Occupancy: 8
; WaveLimiterHint : 0
; COMPUTE_PGM_RSRC2:SCRATCH_EN: 0
; COMPUTE_PGM_RSRC2:USER_SGPR: 4
; COMPUTE_PGM_RSRC2:TRAP_HANDLER: 0
; COMPUTE_PGM_RSRC2:TGID_X_EN: 1
; COMPUTE_PGM_RSRC2:TGID_Y_EN: 0
; COMPUTE_PGM_RSRC2:TGID_Z_EN: 0
; COMPUTE_PGM_RSRC2:TIDIG_COMP_CNT: 0
; COMPUTE_PGM_RSRC3_GFX90A:ACCUM_OFFSET: 0
; COMPUTE_PGM_RSRC3_GFX90A:TG_SPLIT: 0
	.section	.text._ZN7rocprim17ROCPRIM_400000_NS6detail44device_merge_sort_compile_time_verifier_archINS1_11comp_targetILNS1_3genE10ELNS1_11target_archE1200ELNS1_3gpuE4ELNS1_3repE0EEENS3_ILS4_10ELS5_1201ELS6_5ELS7_0EEENS0_14default_configESA_NS1_37merge_sort_block_sort_config_selectorIlNS0_10empty_typeEEENS1_38merge_sort_block_merge_config_selectorIlSC_EEEEvv,"axG",@progbits,_ZN7rocprim17ROCPRIM_400000_NS6detail44device_merge_sort_compile_time_verifier_archINS1_11comp_targetILNS1_3genE10ELNS1_11target_archE1200ELNS1_3gpuE4ELNS1_3repE0EEENS3_ILS4_10ELS5_1201ELS6_5ELS7_0EEENS0_14default_configESA_NS1_37merge_sort_block_sort_config_selectorIlNS0_10empty_typeEEENS1_38merge_sort_block_merge_config_selectorIlSC_EEEEvv,comdat
	.protected	_ZN7rocprim17ROCPRIM_400000_NS6detail44device_merge_sort_compile_time_verifier_archINS1_11comp_targetILNS1_3genE10ELNS1_11target_archE1200ELNS1_3gpuE4ELNS1_3repE0EEENS3_ILS4_10ELS5_1201ELS6_5ELS7_0EEENS0_14default_configESA_NS1_37merge_sort_block_sort_config_selectorIlNS0_10empty_typeEEENS1_38merge_sort_block_merge_config_selectorIlSC_EEEEvv ; -- Begin function _ZN7rocprim17ROCPRIM_400000_NS6detail44device_merge_sort_compile_time_verifier_archINS1_11comp_targetILNS1_3genE10ELNS1_11target_archE1200ELNS1_3gpuE4ELNS1_3repE0EEENS3_ILS4_10ELS5_1201ELS6_5ELS7_0EEENS0_14default_configESA_NS1_37merge_sort_block_sort_config_selectorIlNS0_10empty_typeEEENS1_38merge_sort_block_merge_config_selectorIlSC_EEEEvv
	.globl	_ZN7rocprim17ROCPRIM_400000_NS6detail44device_merge_sort_compile_time_verifier_archINS1_11comp_targetILNS1_3genE10ELNS1_11target_archE1200ELNS1_3gpuE4ELNS1_3repE0EEENS3_ILS4_10ELS5_1201ELS6_5ELS7_0EEENS0_14default_configESA_NS1_37merge_sort_block_sort_config_selectorIlNS0_10empty_typeEEENS1_38merge_sort_block_merge_config_selectorIlSC_EEEEvv
	.p2align	8
	.type	_ZN7rocprim17ROCPRIM_400000_NS6detail44device_merge_sort_compile_time_verifier_archINS1_11comp_targetILNS1_3genE10ELNS1_11target_archE1200ELNS1_3gpuE4ELNS1_3repE0EEENS3_ILS4_10ELS5_1201ELS6_5ELS7_0EEENS0_14default_configESA_NS1_37merge_sort_block_sort_config_selectorIlNS0_10empty_typeEEENS1_38merge_sort_block_merge_config_selectorIlSC_EEEEvv,@function
_ZN7rocprim17ROCPRIM_400000_NS6detail44device_merge_sort_compile_time_verifier_archINS1_11comp_targetILNS1_3genE10ELNS1_11target_archE1200ELNS1_3gpuE4ELNS1_3repE0EEENS3_ILS4_10ELS5_1201ELS6_5ELS7_0EEENS0_14default_configESA_NS1_37merge_sort_block_sort_config_selectorIlNS0_10empty_typeEEENS1_38merge_sort_block_merge_config_selectorIlSC_EEEEvv: ; @_ZN7rocprim17ROCPRIM_400000_NS6detail44device_merge_sort_compile_time_verifier_archINS1_11comp_targetILNS1_3genE10ELNS1_11target_archE1200ELNS1_3gpuE4ELNS1_3repE0EEENS3_ILS4_10ELS5_1201ELS6_5ELS7_0EEENS0_14default_configESA_NS1_37merge_sort_block_sort_config_selectorIlNS0_10empty_typeEEENS1_38merge_sort_block_merge_config_selectorIlSC_EEEEvv
; %bb.0:
	s_endpgm
	.section	.rodata,"a",@progbits
	.p2align	6, 0x0
	.amdhsa_kernel _ZN7rocprim17ROCPRIM_400000_NS6detail44device_merge_sort_compile_time_verifier_archINS1_11comp_targetILNS1_3genE10ELNS1_11target_archE1200ELNS1_3gpuE4ELNS1_3repE0EEENS3_ILS4_10ELS5_1201ELS6_5ELS7_0EEENS0_14default_configESA_NS1_37merge_sort_block_sort_config_selectorIlNS0_10empty_typeEEENS1_38merge_sort_block_merge_config_selectorIlSC_EEEEvv
		.amdhsa_group_segment_fixed_size 0
		.amdhsa_private_segment_fixed_size 0
		.amdhsa_kernarg_size 0
		.amdhsa_user_sgpr_count 4
		.amdhsa_user_sgpr_private_segment_buffer 1
		.amdhsa_user_sgpr_dispatch_ptr 0
		.amdhsa_user_sgpr_queue_ptr 0
		.amdhsa_user_sgpr_kernarg_segment_ptr 0
		.amdhsa_user_sgpr_dispatch_id 0
		.amdhsa_user_sgpr_flat_scratch_init 0
		.amdhsa_user_sgpr_kernarg_preload_length 0
		.amdhsa_user_sgpr_kernarg_preload_offset 0
		.amdhsa_user_sgpr_private_segment_size 0
		.amdhsa_uses_dynamic_stack 0
		.amdhsa_system_sgpr_private_segment_wavefront_offset 0
		.amdhsa_system_sgpr_workgroup_id_x 1
		.amdhsa_system_sgpr_workgroup_id_y 0
		.amdhsa_system_sgpr_workgroup_id_z 0
		.amdhsa_system_sgpr_workgroup_info 0
		.amdhsa_system_vgpr_workitem_id 0
		.amdhsa_next_free_vgpr 1
		.amdhsa_next_free_sgpr 0
		.amdhsa_accum_offset 4
		.amdhsa_reserve_vcc 0
		.amdhsa_reserve_flat_scratch 0
		.amdhsa_float_round_mode_32 0
		.amdhsa_float_round_mode_16_64 0
		.amdhsa_float_denorm_mode_32 3
		.amdhsa_float_denorm_mode_16_64 3
		.amdhsa_dx10_clamp 1
		.amdhsa_ieee_mode 1
		.amdhsa_fp16_overflow 0
		.amdhsa_tg_split 0
		.amdhsa_exception_fp_ieee_invalid_op 0
		.amdhsa_exception_fp_denorm_src 0
		.amdhsa_exception_fp_ieee_div_zero 0
		.amdhsa_exception_fp_ieee_overflow 0
		.amdhsa_exception_fp_ieee_underflow 0
		.amdhsa_exception_fp_ieee_inexact 0
		.amdhsa_exception_int_div_zero 0
	.end_amdhsa_kernel
	.section	.text._ZN7rocprim17ROCPRIM_400000_NS6detail44device_merge_sort_compile_time_verifier_archINS1_11comp_targetILNS1_3genE10ELNS1_11target_archE1200ELNS1_3gpuE4ELNS1_3repE0EEENS3_ILS4_10ELS5_1201ELS6_5ELS7_0EEENS0_14default_configESA_NS1_37merge_sort_block_sort_config_selectorIlNS0_10empty_typeEEENS1_38merge_sort_block_merge_config_selectorIlSC_EEEEvv,"axG",@progbits,_ZN7rocprim17ROCPRIM_400000_NS6detail44device_merge_sort_compile_time_verifier_archINS1_11comp_targetILNS1_3genE10ELNS1_11target_archE1200ELNS1_3gpuE4ELNS1_3repE0EEENS3_ILS4_10ELS5_1201ELS6_5ELS7_0EEENS0_14default_configESA_NS1_37merge_sort_block_sort_config_selectorIlNS0_10empty_typeEEENS1_38merge_sort_block_merge_config_selectorIlSC_EEEEvv,comdat
.Lfunc_end3226:
	.size	_ZN7rocprim17ROCPRIM_400000_NS6detail44device_merge_sort_compile_time_verifier_archINS1_11comp_targetILNS1_3genE10ELNS1_11target_archE1200ELNS1_3gpuE4ELNS1_3repE0EEENS3_ILS4_10ELS5_1201ELS6_5ELS7_0EEENS0_14default_configESA_NS1_37merge_sort_block_sort_config_selectorIlNS0_10empty_typeEEENS1_38merge_sort_block_merge_config_selectorIlSC_EEEEvv, .Lfunc_end3226-_ZN7rocprim17ROCPRIM_400000_NS6detail44device_merge_sort_compile_time_verifier_archINS1_11comp_targetILNS1_3genE10ELNS1_11target_archE1200ELNS1_3gpuE4ELNS1_3repE0EEENS3_ILS4_10ELS5_1201ELS6_5ELS7_0EEENS0_14default_configESA_NS1_37merge_sort_block_sort_config_selectorIlNS0_10empty_typeEEENS1_38merge_sort_block_merge_config_selectorIlSC_EEEEvv
                                        ; -- End function
	.section	.AMDGPU.csdata,"",@progbits
; Kernel info:
; codeLenInByte = 4
; NumSgprs: 4
; NumVgprs: 0
; NumAgprs: 0
; TotalNumVgprs: 0
; ScratchSize: 0
; MemoryBound: 0
; FloatMode: 240
; IeeeMode: 1
; LDSByteSize: 0 bytes/workgroup (compile time only)
; SGPRBlocks: 0
; VGPRBlocks: 0
; NumSGPRsForWavesPerEU: 4
; NumVGPRsForWavesPerEU: 1
; AccumOffset: 4
; Occupancy: 8
; WaveLimiterHint : 0
; COMPUTE_PGM_RSRC2:SCRATCH_EN: 0
; COMPUTE_PGM_RSRC2:USER_SGPR: 4
; COMPUTE_PGM_RSRC2:TRAP_HANDLER: 0
; COMPUTE_PGM_RSRC2:TGID_X_EN: 1
; COMPUTE_PGM_RSRC2:TGID_Y_EN: 0
; COMPUTE_PGM_RSRC2:TGID_Z_EN: 0
; COMPUTE_PGM_RSRC2:TIDIG_COMP_CNT: 0
; COMPUTE_PGM_RSRC3_GFX90A:ACCUM_OFFSET: 0
; COMPUTE_PGM_RSRC3_GFX90A:TG_SPLIT: 0
	.section	.text._ZN7rocprim17ROCPRIM_400000_NS6detail44device_merge_sort_compile_time_verifier_archINS1_11comp_targetILNS1_3genE9ELNS1_11target_archE1100ELNS1_3gpuE3ELNS1_3repE0EEES8_NS0_14default_configES9_NS1_37merge_sort_block_sort_config_selectorIlNS0_10empty_typeEEENS1_38merge_sort_block_merge_config_selectorIlSB_EEEEvv,"axG",@progbits,_ZN7rocprim17ROCPRIM_400000_NS6detail44device_merge_sort_compile_time_verifier_archINS1_11comp_targetILNS1_3genE9ELNS1_11target_archE1100ELNS1_3gpuE3ELNS1_3repE0EEES8_NS0_14default_configES9_NS1_37merge_sort_block_sort_config_selectorIlNS0_10empty_typeEEENS1_38merge_sort_block_merge_config_selectorIlSB_EEEEvv,comdat
	.protected	_ZN7rocprim17ROCPRIM_400000_NS6detail44device_merge_sort_compile_time_verifier_archINS1_11comp_targetILNS1_3genE9ELNS1_11target_archE1100ELNS1_3gpuE3ELNS1_3repE0EEES8_NS0_14default_configES9_NS1_37merge_sort_block_sort_config_selectorIlNS0_10empty_typeEEENS1_38merge_sort_block_merge_config_selectorIlSB_EEEEvv ; -- Begin function _ZN7rocprim17ROCPRIM_400000_NS6detail44device_merge_sort_compile_time_verifier_archINS1_11comp_targetILNS1_3genE9ELNS1_11target_archE1100ELNS1_3gpuE3ELNS1_3repE0EEES8_NS0_14default_configES9_NS1_37merge_sort_block_sort_config_selectorIlNS0_10empty_typeEEENS1_38merge_sort_block_merge_config_selectorIlSB_EEEEvv
	.globl	_ZN7rocprim17ROCPRIM_400000_NS6detail44device_merge_sort_compile_time_verifier_archINS1_11comp_targetILNS1_3genE9ELNS1_11target_archE1100ELNS1_3gpuE3ELNS1_3repE0EEES8_NS0_14default_configES9_NS1_37merge_sort_block_sort_config_selectorIlNS0_10empty_typeEEENS1_38merge_sort_block_merge_config_selectorIlSB_EEEEvv
	.p2align	8
	.type	_ZN7rocprim17ROCPRIM_400000_NS6detail44device_merge_sort_compile_time_verifier_archINS1_11comp_targetILNS1_3genE9ELNS1_11target_archE1100ELNS1_3gpuE3ELNS1_3repE0EEES8_NS0_14default_configES9_NS1_37merge_sort_block_sort_config_selectorIlNS0_10empty_typeEEENS1_38merge_sort_block_merge_config_selectorIlSB_EEEEvv,@function
_ZN7rocprim17ROCPRIM_400000_NS6detail44device_merge_sort_compile_time_verifier_archINS1_11comp_targetILNS1_3genE9ELNS1_11target_archE1100ELNS1_3gpuE3ELNS1_3repE0EEES8_NS0_14default_configES9_NS1_37merge_sort_block_sort_config_selectorIlNS0_10empty_typeEEENS1_38merge_sort_block_merge_config_selectorIlSB_EEEEvv: ; @_ZN7rocprim17ROCPRIM_400000_NS6detail44device_merge_sort_compile_time_verifier_archINS1_11comp_targetILNS1_3genE9ELNS1_11target_archE1100ELNS1_3gpuE3ELNS1_3repE0EEES8_NS0_14default_configES9_NS1_37merge_sort_block_sort_config_selectorIlNS0_10empty_typeEEENS1_38merge_sort_block_merge_config_selectorIlSB_EEEEvv
; %bb.0:
	s_endpgm
	.section	.rodata,"a",@progbits
	.p2align	6, 0x0
	.amdhsa_kernel _ZN7rocprim17ROCPRIM_400000_NS6detail44device_merge_sort_compile_time_verifier_archINS1_11comp_targetILNS1_3genE9ELNS1_11target_archE1100ELNS1_3gpuE3ELNS1_3repE0EEES8_NS0_14default_configES9_NS1_37merge_sort_block_sort_config_selectorIlNS0_10empty_typeEEENS1_38merge_sort_block_merge_config_selectorIlSB_EEEEvv
		.amdhsa_group_segment_fixed_size 0
		.amdhsa_private_segment_fixed_size 0
		.amdhsa_kernarg_size 0
		.amdhsa_user_sgpr_count 4
		.amdhsa_user_sgpr_private_segment_buffer 1
		.amdhsa_user_sgpr_dispatch_ptr 0
		.amdhsa_user_sgpr_queue_ptr 0
		.amdhsa_user_sgpr_kernarg_segment_ptr 0
		.amdhsa_user_sgpr_dispatch_id 0
		.amdhsa_user_sgpr_flat_scratch_init 0
		.amdhsa_user_sgpr_kernarg_preload_length 0
		.amdhsa_user_sgpr_kernarg_preload_offset 0
		.amdhsa_user_sgpr_private_segment_size 0
		.amdhsa_uses_dynamic_stack 0
		.amdhsa_system_sgpr_private_segment_wavefront_offset 0
		.amdhsa_system_sgpr_workgroup_id_x 1
		.amdhsa_system_sgpr_workgroup_id_y 0
		.amdhsa_system_sgpr_workgroup_id_z 0
		.amdhsa_system_sgpr_workgroup_info 0
		.amdhsa_system_vgpr_workitem_id 0
		.amdhsa_next_free_vgpr 1
		.amdhsa_next_free_sgpr 0
		.amdhsa_accum_offset 4
		.amdhsa_reserve_vcc 0
		.amdhsa_reserve_flat_scratch 0
		.amdhsa_float_round_mode_32 0
		.amdhsa_float_round_mode_16_64 0
		.amdhsa_float_denorm_mode_32 3
		.amdhsa_float_denorm_mode_16_64 3
		.amdhsa_dx10_clamp 1
		.amdhsa_ieee_mode 1
		.amdhsa_fp16_overflow 0
		.amdhsa_tg_split 0
		.amdhsa_exception_fp_ieee_invalid_op 0
		.amdhsa_exception_fp_denorm_src 0
		.amdhsa_exception_fp_ieee_div_zero 0
		.amdhsa_exception_fp_ieee_overflow 0
		.amdhsa_exception_fp_ieee_underflow 0
		.amdhsa_exception_fp_ieee_inexact 0
		.amdhsa_exception_int_div_zero 0
	.end_amdhsa_kernel
	.section	.text._ZN7rocprim17ROCPRIM_400000_NS6detail44device_merge_sort_compile_time_verifier_archINS1_11comp_targetILNS1_3genE9ELNS1_11target_archE1100ELNS1_3gpuE3ELNS1_3repE0EEES8_NS0_14default_configES9_NS1_37merge_sort_block_sort_config_selectorIlNS0_10empty_typeEEENS1_38merge_sort_block_merge_config_selectorIlSB_EEEEvv,"axG",@progbits,_ZN7rocprim17ROCPRIM_400000_NS6detail44device_merge_sort_compile_time_verifier_archINS1_11comp_targetILNS1_3genE9ELNS1_11target_archE1100ELNS1_3gpuE3ELNS1_3repE0EEES8_NS0_14default_configES9_NS1_37merge_sort_block_sort_config_selectorIlNS0_10empty_typeEEENS1_38merge_sort_block_merge_config_selectorIlSB_EEEEvv,comdat
.Lfunc_end3227:
	.size	_ZN7rocprim17ROCPRIM_400000_NS6detail44device_merge_sort_compile_time_verifier_archINS1_11comp_targetILNS1_3genE9ELNS1_11target_archE1100ELNS1_3gpuE3ELNS1_3repE0EEES8_NS0_14default_configES9_NS1_37merge_sort_block_sort_config_selectorIlNS0_10empty_typeEEENS1_38merge_sort_block_merge_config_selectorIlSB_EEEEvv, .Lfunc_end3227-_ZN7rocprim17ROCPRIM_400000_NS6detail44device_merge_sort_compile_time_verifier_archINS1_11comp_targetILNS1_3genE9ELNS1_11target_archE1100ELNS1_3gpuE3ELNS1_3repE0EEES8_NS0_14default_configES9_NS1_37merge_sort_block_sort_config_selectorIlNS0_10empty_typeEEENS1_38merge_sort_block_merge_config_selectorIlSB_EEEEvv
                                        ; -- End function
	.section	.AMDGPU.csdata,"",@progbits
; Kernel info:
; codeLenInByte = 4
; NumSgprs: 4
; NumVgprs: 0
; NumAgprs: 0
; TotalNumVgprs: 0
; ScratchSize: 0
; MemoryBound: 0
; FloatMode: 240
; IeeeMode: 1
; LDSByteSize: 0 bytes/workgroup (compile time only)
; SGPRBlocks: 0
; VGPRBlocks: 0
; NumSGPRsForWavesPerEU: 4
; NumVGPRsForWavesPerEU: 1
; AccumOffset: 4
; Occupancy: 8
; WaveLimiterHint : 0
; COMPUTE_PGM_RSRC2:SCRATCH_EN: 0
; COMPUTE_PGM_RSRC2:USER_SGPR: 4
; COMPUTE_PGM_RSRC2:TRAP_HANDLER: 0
; COMPUTE_PGM_RSRC2:TGID_X_EN: 1
; COMPUTE_PGM_RSRC2:TGID_Y_EN: 0
; COMPUTE_PGM_RSRC2:TGID_Z_EN: 0
; COMPUTE_PGM_RSRC2:TIDIG_COMP_CNT: 0
; COMPUTE_PGM_RSRC3_GFX90A:ACCUM_OFFSET: 0
; COMPUTE_PGM_RSRC3_GFX90A:TG_SPLIT: 0
	.section	.text._ZN7rocprim17ROCPRIM_400000_NS6detail44device_merge_sort_compile_time_verifier_archINS1_11comp_targetILNS1_3genE8ELNS1_11target_archE1030ELNS1_3gpuE2ELNS1_3repE0EEES8_NS0_14default_configES9_NS1_37merge_sort_block_sort_config_selectorIlNS0_10empty_typeEEENS1_38merge_sort_block_merge_config_selectorIlSB_EEEEvv,"axG",@progbits,_ZN7rocprim17ROCPRIM_400000_NS6detail44device_merge_sort_compile_time_verifier_archINS1_11comp_targetILNS1_3genE8ELNS1_11target_archE1030ELNS1_3gpuE2ELNS1_3repE0EEES8_NS0_14default_configES9_NS1_37merge_sort_block_sort_config_selectorIlNS0_10empty_typeEEENS1_38merge_sort_block_merge_config_selectorIlSB_EEEEvv,comdat
	.protected	_ZN7rocprim17ROCPRIM_400000_NS6detail44device_merge_sort_compile_time_verifier_archINS1_11comp_targetILNS1_3genE8ELNS1_11target_archE1030ELNS1_3gpuE2ELNS1_3repE0EEES8_NS0_14default_configES9_NS1_37merge_sort_block_sort_config_selectorIlNS0_10empty_typeEEENS1_38merge_sort_block_merge_config_selectorIlSB_EEEEvv ; -- Begin function _ZN7rocprim17ROCPRIM_400000_NS6detail44device_merge_sort_compile_time_verifier_archINS1_11comp_targetILNS1_3genE8ELNS1_11target_archE1030ELNS1_3gpuE2ELNS1_3repE0EEES8_NS0_14default_configES9_NS1_37merge_sort_block_sort_config_selectorIlNS0_10empty_typeEEENS1_38merge_sort_block_merge_config_selectorIlSB_EEEEvv
	.globl	_ZN7rocprim17ROCPRIM_400000_NS6detail44device_merge_sort_compile_time_verifier_archINS1_11comp_targetILNS1_3genE8ELNS1_11target_archE1030ELNS1_3gpuE2ELNS1_3repE0EEES8_NS0_14default_configES9_NS1_37merge_sort_block_sort_config_selectorIlNS0_10empty_typeEEENS1_38merge_sort_block_merge_config_selectorIlSB_EEEEvv
	.p2align	8
	.type	_ZN7rocprim17ROCPRIM_400000_NS6detail44device_merge_sort_compile_time_verifier_archINS1_11comp_targetILNS1_3genE8ELNS1_11target_archE1030ELNS1_3gpuE2ELNS1_3repE0EEES8_NS0_14default_configES9_NS1_37merge_sort_block_sort_config_selectorIlNS0_10empty_typeEEENS1_38merge_sort_block_merge_config_selectorIlSB_EEEEvv,@function
_ZN7rocprim17ROCPRIM_400000_NS6detail44device_merge_sort_compile_time_verifier_archINS1_11comp_targetILNS1_3genE8ELNS1_11target_archE1030ELNS1_3gpuE2ELNS1_3repE0EEES8_NS0_14default_configES9_NS1_37merge_sort_block_sort_config_selectorIlNS0_10empty_typeEEENS1_38merge_sort_block_merge_config_selectorIlSB_EEEEvv: ; @_ZN7rocprim17ROCPRIM_400000_NS6detail44device_merge_sort_compile_time_verifier_archINS1_11comp_targetILNS1_3genE8ELNS1_11target_archE1030ELNS1_3gpuE2ELNS1_3repE0EEES8_NS0_14default_configES9_NS1_37merge_sort_block_sort_config_selectorIlNS0_10empty_typeEEENS1_38merge_sort_block_merge_config_selectorIlSB_EEEEvv
; %bb.0:
	s_endpgm
	.section	.rodata,"a",@progbits
	.p2align	6, 0x0
	.amdhsa_kernel _ZN7rocprim17ROCPRIM_400000_NS6detail44device_merge_sort_compile_time_verifier_archINS1_11comp_targetILNS1_3genE8ELNS1_11target_archE1030ELNS1_3gpuE2ELNS1_3repE0EEES8_NS0_14default_configES9_NS1_37merge_sort_block_sort_config_selectorIlNS0_10empty_typeEEENS1_38merge_sort_block_merge_config_selectorIlSB_EEEEvv
		.amdhsa_group_segment_fixed_size 0
		.amdhsa_private_segment_fixed_size 0
		.amdhsa_kernarg_size 0
		.amdhsa_user_sgpr_count 4
		.amdhsa_user_sgpr_private_segment_buffer 1
		.amdhsa_user_sgpr_dispatch_ptr 0
		.amdhsa_user_sgpr_queue_ptr 0
		.amdhsa_user_sgpr_kernarg_segment_ptr 0
		.amdhsa_user_sgpr_dispatch_id 0
		.amdhsa_user_sgpr_flat_scratch_init 0
		.amdhsa_user_sgpr_kernarg_preload_length 0
		.amdhsa_user_sgpr_kernarg_preload_offset 0
		.amdhsa_user_sgpr_private_segment_size 0
		.amdhsa_uses_dynamic_stack 0
		.amdhsa_system_sgpr_private_segment_wavefront_offset 0
		.amdhsa_system_sgpr_workgroup_id_x 1
		.amdhsa_system_sgpr_workgroup_id_y 0
		.amdhsa_system_sgpr_workgroup_id_z 0
		.amdhsa_system_sgpr_workgroup_info 0
		.amdhsa_system_vgpr_workitem_id 0
		.amdhsa_next_free_vgpr 1
		.amdhsa_next_free_sgpr 0
		.amdhsa_accum_offset 4
		.amdhsa_reserve_vcc 0
		.amdhsa_reserve_flat_scratch 0
		.amdhsa_float_round_mode_32 0
		.amdhsa_float_round_mode_16_64 0
		.amdhsa_float_denorm_mode_32 3
		.amdhsa_float_denorm_mode_16_64 3
		.amdhsa_dx10_clamp 1
		.amdhsa_ieee_mode 1
		.amdhsa_fp16_overflow 0
		.amdhsa_tg_split 0
		.amdhsa_exception_fp_ieee_invalid_op 0
		.amdhsa_exception_fp_denorm_src 0
		.amdhsa_exception_fp_ieee_div_zero 0
		.amdhsa_exception_fp_ieee_overflow 0
		.amdhsa_exception_fp_ieee_underflow 0
		.amdhsa_exception_fp_ieee_inexact 0
		.amdhsa_exception_int_div_zero 0
	.end_amdhsa_kernel
	.section	.text._ZN7rocprim17ROCPRIM_400000_NS6detail44device_merge_sort_compile_time_verifier_archINS1_11comp_targetILNS1_3genE8ELNS1_11target_archE1030ELNS1_3gpuE2ELNS1_3repE0EEES8_NS0_14default_configES9_NS1_37merge_sort_block_sort_config_selectorIlNS0_10empty_typeEEENS1_38merge_sort_block_merge_config_selectorIlSB_EEEEvv,"axG",@progbits,_ZN7rocprim17ROCPRIM_400000_NS6detail44device_merge_sort_compile_time_verifier_archINS1_11comp_targetILNS1_3genE8ELNS1_11target_archE1030ELNS1_3gpuE2ELNS1_3repE0EEES8_NS0_14default_configES9_NS1_37merge_sort_block_sort_config_selectorIlNS0_10empty_typeEEENS1_38merge_sort_block_merge_config_selectorIlSB_EEEEvv,comdat
.Lfunc_end3228:
	.size	_ZN7rocprim17ROCPRIM_400000_NS6detail44device_merge_sort_compile_time_verifier_archINS1_11comp_targetILNS1_3genE8ELNS1_11target_archE1030ELNS1_3gpuE2ELNS1_3repE0EEES8_NS0_14default_configES9_NS1_37merge_sort_block_sort_config_selectorIlNS0_10empty_typeEEENS1_38merge_sort_block_merge_config_selectorIlSB_EEEEvv, .Lfunc_end3228-_ZN7rocprim17ROCPRIM_400000_NS6detail44device_merge_sort_compile_time_verifier_archINS1_11comp_targetILNS1_3genE8ELNS1_11target_archE1030ELNS1_3gpuE2ELNS1_3repE0EEES8_NS0_14default_configES9_NS1_37merge_sort_block_sort_config_selectorIlNS0_10empty_typeEEENS1_38merge_sort_block_merge_config_selectorIlSB_EEEEvv
                                        ; -- End function
	.section	.AMDGPU.csdata,"",@progbits
; Kernel info:
; codeLenInByte = 4
; NumSgprs: 4
; NumVgprs: 0
; NumAgprs: 0
; TotalNumVgprs: 0
; ScratchSize: 0
; MemoryBound: 0
; FloatMode: 240
; IeeeMode: 1
; LDSByteSize: 0 bytes/workgroup (compile time only)
; SGPRBlocks: 0
; VGPRBlocks: 0
; NumSGPRsForWavesPerEU: 4
; NumVGPRsForWavesPerEU: 1
; AccumOffset: 4
; Occupancy: 8
; WaveLimiterHint : 0
; COMPUTE_PGM_RSRC2:SCRATCH_EN: 0
; COMPUTE_PGM_RSRC2:USER_SGPR: 4
; COMPUTE_PGM_RSRC2:TRAP_HANDLER: 0
; COMPUTE_PGM_RSRC2:TGID_X_EN: 1
; COMPUTE_PGM_RSRC2:TGID_Y_EN: 0
; COMPUTE_PGM_RSRC2:TGID_Z_EN: 0
; COMPUTE_PGM_RSRC2:TIDIG_COMP_CNT: 0
; COMPUTE_PGM_RSRC3_GFX90A:ACCUM_OFFSET: 0
; COMPUTE_PGM_RSRC3_GFX90A:TG_SPLIT: 0
	.section	.text._ZN7rocprim17ROCPRIM_400000_NS6detail17trampoline_kernelINS0_14default_configENS1_37merge_sort_block_sort_config_selectorIlNS0_10empty_typeEEEZNS1_21merge_sort_block_sortIS3_N6thrust23THRUST_200600_302600_NS6detail15normal_iteratorINS9_10device_ptrIlEEEESE_PS5_SF_14custom_greaterIlEEE10hipError_tT0_T1_T2_T3_mRjT4_P12ihipStream_tbNS1_7vsmem_tEEUlT_E_NS1_11comp_targetILNS1_3genE0ELNS1_11target_archE4294967295ELNS1_3gpuE0ELNS1_3repE0EEENS1_30default_config_static_selectorELNS0_4arch9wavefront6targetE1EEEvSK_,"axG",@progbits,_ZN7rocprim17ROCPRIM_400000_NS6detail17trampoline_kernelINS0_14default_configENS1_37merge_sort_block_sort_config_selectorIlNS0_10empty_typeEEEZNS1_21merge_sort_block_sortIS3_N6thrust23THRUST_200600_302600_NS6detail15normal_iteratorINS9_10device_ptrIlEEEESE_PS5_SF_14custom_greaterIlEEE10hipError_tT0_T1_T2_T3_mRjT4_P12ihipStream_tbNS1_7vsmem_tEEUlT_E_NS1_11comp_targetILNS1_3genE0ELNS1_11target_archE4294967295ELNS1_3gpuE0ELNS1_3repE0EEENS1_30default_config_static_selectorELNS0_4arch9wavefront6targetE1EEEvSK_,comdat
	.protected	_ZN7rocprim17ROCPRIM_400000_NS6detail17trampoline_kernelINS0_14default_configENS1_37merge_sort_block_sort_config_selectorIlNS0_10empty_typeEEEZNS1_21merge_sort_block_sortIS3_N6thrust23THRUST_200600_302600_NS6detail15normal_iteratorINS9_10device_ptrIlEEEESE_PS5_SF_14custom_greaterIlEEE10hipError_tT0_T1_T2_T3_mRjT4_P12ihipStream_tbNS1_7vsmem_tEEUlT_E_NS1_11comp_targetILNS1_3genE0ELNS1_11target_archE4294967295ELNS1_3gpuE0ELNS1_3repE0EEENS1_30default_config_static_selectorELNS0_4arch9wavefront6targetE1EEEvSK_ ; -- Begin function _ZN7rocprim17ROCPRIM_400000_NS6detail17trampoline_kernelINS0_14default_configENS1_37merge_sort_block_sort_config_selectorIlNS0_10empty_typeEEEZNS1_21merge_sort_block_sortIS3_N6thrust23THRUST_200600_302600_NS6detail15normal_iteratorINS9_10device_ptrIlEEEESE_PS5_SF_14custom_greaterIlEEE10hipError_tT0_T1_T2_T3_mRjT4_P12ihipStream_tbNS1_7vsmem_tEEUlT_E_NS1_11comp_targetILNS1_3genE0ELNS1_11target_archE4294967295ELNS1_3gpuE0ELNS1_3repE0EEENS1_30default_config_static_selectorELNS0_4arch9wavefront6targetE1EEEvSK_
	.globl	_ZN7rocprim17ROCPRIM_400000_NS6detail17trampoline_kernelINS0_14default_configENS1_37merge_sort_block_sort_config_selectorIlNS0_10empty_typeEEEZNS1_21merge_sort_block_sortIS3_N6thrust23THRUST_200600_302600_NS6detail15normal_iteratorINS9_10device_ptrIlEEEESE_PS5_SF_14custom_greaterIlEEE10hipError_tT0_T1_T2_T3_mRjT4_P12ihipStream_tbNS1_7vsmem_tEEUlT_E_NS1_11comp_targetILNS1_3genE0ELNS1_11target_archE4294967295ELNS1_3gpuE0ELNS1_3repE0EEENS1_30default_config_static_selectorELNS0_4arch9wavefront6targetE1EEEvSK_
	.p2align	8
	.type	_ZN7rocprim17ROCPRIM_400000_NS6detail17trampoline_kernelINS0_14default_configENS1_37merge_sort_block_sort_config_selectorIlNS0_10empty_typeEEEZNS1_21merge_sort_block_sortIS3_N6thrust23THRUST_200600_302600_NS6detail15normal_iteratorINS9_10device_ptrIlEEEESE_PS5_SF_14custom_greaterIlEEE10hipError_tT0_T1_T2_T3_mRjT4_P12ihipStream_tbNS1_7vsmem_tEEUlT_E_NS1_11comp_targetILNS1_3genE0ELNS1_11target_archE4294967295ELNS1_3gpuE0ELNS1_3repE0EEENS1_30default_config_static_selectorELNS0_4arch9wavefront6targetE1EEEvSK_,@function
_ZN7rocprim17ROCPRIM_400000_NS6detail17trampoline_kernelINS0_14default_configENS1_37merge_sort_block_sort_config_selectorIlNS0_10empty_typeEEEZNS1_21merge_sort_block_sortIS3_N6thrust23THRUST_200600_302600_NS6detail15normal_iteratorINS9_10device_ptrIlEEEESE_PS5_SF_14custom_greaterIlEEE10hipError_tT0_T1_T2_T3_mRjT4_P12ihipStream_tbNS1_7vsmem_tEEUlT_E_NS1_11comp_targetILNS1_3genE0ELNS1_11target_archE4294967295ELNS1_3gpuE0ELNS1_3repE0EEENS1_30default_config_static_selectorELNS0_4arch9wavefront6targetE1EEEvSK_: ; @_ZN7rocprim17ROCPRIM_400000_NS6detail17trampoline_kernelINS0_14default_configENS1_37merge_sort_block_sort_config_selectorIlNS0_10empty_typeEEEZNS1_21merge_sort_block_sortIS3_N6thrust23THRUST_200600_302600_NS6detail15normal_iteratorINS9_10device_ptrIlEEEESE_PS5_SF_14custom_greaterIlEEE10hipError_tT0_T1_T2_T3_mRjT4_P12ihipStream_tbNS1_7vsmem_tEEUlT_E_NS1_11comp_targetILNS1_3genE0ELNS1_11target_archE4294967295ELNS1_3gpuE0ELNS1_3repE0EEENS1_30default_config_static_selectorELNS0_4arch9wavefront6targetE1EEEvSK_
; %bb.0:
	.section	.rodata,"a",@progbits
	.p2align	6, 0x0
	.amdhsa_kernel _ZN7rocprim17ROCPRIM_400000_NS6detail17trampoline_kernelINS0_14default_configENS1_37merge_sort_block_sort_config_selectorIlNS0_10empty_typeEEEZNS1_21merge_sort_block_sortIS3_N6thrust23THRUST_200600_302600_NS6detail15normal_iteratorINS9_10device_ptrIlEEEESE_PS5_SF_14custom_greaterIlEEE10hipError_tT0_T1_T2_T3_mRjT4_P12ihipStream_tbNS1_7vsmem_tEEUlT_E_NS1_11comp_targetILNS1_3genE0ELNS1_11target_archE4294967295ELNS1_3gpuE0ELNS1_3repE0EEENS1_30default_config_static_selectorELNS0_4arch9wavefront6targetE1EEEvSK_
		.amdhsa_group_segment_fixed_size 0
		.amdhsa_private_segment_fixed_size 0
		.amdhsa_kernarg_size 64
		.amdhsa_user_sgpr_count 6
		.amdhsa_user_sgpr_private_segment_buffer 1
		.amdhsa_user_sgpr_dispatch_ptr 0
		.amdhsa_user_sgpr_queue_ptr 0
		.amdhsa_user_sgpr_kernarg_segment_ptr 1
		.amdhsa_user_sgpr_dispatch_id 0
		.amdhsa_user_sgpr_flat_scratch_init 0
		.amdhsa_user_sgpr_kernarg_preload_length 0
		.amdhsa_user_sgpr_kernarg_preload_offset 0
		.amdhsa_user_sgpr_private_segment_size 0
		.amdhsa_uses_dynamic_stack 0
		.amdhsa_system_sgpr_private_segment_wavefront_offset 0
		.amdhsa_system_sgpr_workgroup_id_x 1
		.amdhsa_system_sgpr_workgroup_id_y 0
		.amdhsa_system_sgpr_workgroup_id_z 0
		.amdhsa_system_sgpr_workgroup_info 0
		.amdhsa_system_vgpr_workitem_id 0
		.amdhsa_next_free_vgpr 1
		.amdhsa_next_free_sgpr 0
		.amdhsa_accum_offset 4
		.amdhsa_reserve_vcc 0
		.amdhsa_reserve_flat_scratch 0
		.amdhsa_float_round_mode_32 0
		.amdhsa_float_round_mode_16_64 0
		.amdhsa_float_denorm_mode_32 3
		.amdhsa_float_denorm_mode_16_64 3
		.amdhsa_dx10_clamp 1
		.amdhsa_ieee_mode 1
		.amdhsa_fp16_overflow 0
		.amdhsa_tg_split 0
		.amdhsa_exception_fp_ieee_invalid_op 0
		.amdhsa_exception_fp_denorm_src 0
		.amdhsa_exception_fp_ieee_div_zero 0
		.amdhsa_exception_fp_ieee_overflow 0
		.amdhsa_exception_fp_ieee_underflow 0
		.amdhsa_exception_fp_ieee_inexact 0
		.amdhsa_exception_int_div_zero 0
	.end_amdhsa_kernel
	.section	.text._ZN7rocprim17ROCPRIM_400000_NS6detail17trampoline_kernelINS0_14default_configENS1_37merge_sort_block_sort_config_selectorIlNS0_10empty_typeEEEZNS1_21merge_sort_block_sortIS3_N6thrust23THRUST_200600_302600_NS6detail15normal_iteratorINS9_10device_ptrIlEEEESE_PS5_SF_14custom_greaterIlEEE10hipError_tT0_T1_T2_T3_mRjT4_P12ihipStream_tbNS1_7vsmem_tEEUlT_E_NS1_11comp_targetILNS1_3genE0ELNS1_11target_archE4294967295ELNS1_3gpuE0ELNS1_3repE0EEENS1_30default_config_static_selectorELNS0_4arch9wavefront6targetE1EEEvSK_,"axG",@progbits,_ZN7rocprim17ROCPRIM_400000_NS6detail17trampoline_kernelINS0_14default_configENS1_37merge_sort_block_sort_config_selectorIlNS0_10empty_typeEEEZNS1_21merge_sort_block_sortIS3_N6thrust23THRUST_200600_302600_NS6detail15normal_iteratorINS9_10device_ptrIlEEEESE_PS5_SF_14custom_greaterIlEEE10hipError_tT0_T1_T2_T3_mRjT4_P12ihipStream_tbNS1_7vsmem_tEEUlT_E_NS1_11comp_targetILNS1_3genE0ELNS1_11target_archE4294967295ELNS1_3gpuE0ELNS1_3repE0EEENS1_30default_config_static_selectorELNS0_4arch9wavefront6targetE1EEEvSK_,comdat
.Lfunc_end3229:
	.size	_ZN7rocprim17ROCPRIM_400000_NS6detail17trampoline_kernelINS0_14default_configENS1_37merge_sort_block_sort_config_selectorIlNS0_10empty_typeEEEZNS1_21merge_sort_block_sortIS3_N6thrust23THRUST_200600_302600_NS6detail15normal_iteratorINS9_10device_ptrIlEEEESE_PS5_SF_14custom_greaterIlEEE10hipError_tT0_T1_T2_T3_mRjT4_P12ihipStream_tbNS1_7vsmem_tEEUlT_E_NS1_11comp_targetILNS1_3genE0ELNS1_11target_archE4294967295ELNS1_3gpuE0ELNS1_3repE0EEENS1_30default_config_static_selectorELNS0_4arch9wavefront6targetE1EEEvSK_, .Lfunc_end3229-_ZN7rocprim17ROCPRIM_400000_NS6detail17trampoline_kernelINS0_14default_configENS1_37merge_sort_block_sort_config_selectorIlNS0_10empty_typeEEEZNS1_21merge_sort_block_sortIS3_N6thrust23THRUST_200600_302600_NS6detail15normal_iteratorINS9_10device_ptrIlEEEESE_PS5_SF_14custom_greaterIlEEE10hipError_tT0_T1_T2_T3_mRjT4_P12ihipStream_tbNS1_7vsmem_tEEUlT_E_NS1_11comp_targetILNS1_3genE0ELNS1_11target_archE4294967295ELNS1_3gpuE0ELNS1_3repE0EEENS1_30default_config_static_selectorELNS0_4arch9wavefront6targetE1EEEvSK_
                                        ; -- End function
	.section	.AMDGPU.csdata,"",@progbits
; Kernel info:
; codeLenInByte = 0
; NumSgprs: 4
; NumVgprs: 0
; NumAgprs: 0
; TotalNumVgprs: 0
; ScratchSize: 0
; MemoryBound: 0
; FloatMode: 240
; IeeeMode: 1
; LDSByteSize: 0 bytes/workgroup (compile time only)
; SGPRBlocks: 0
; VGPRBlocks: 0
; NumSGPRsForWavesPerEU: 4
; NumVGPRsForWavesPerEU: 1
; AccumOffset: 4
; Occupancy: 8
; WaveLimiterHint : 0
; COMPUTE_PGM_RSRC2:SCRATCH_EN: 0
; COMPUTE_PGM_RSRC2:USER_SGPR: 6
; COMPUTE_PGM_RSRC2:TRAP_HANDLER: 0
; COMPUTE_PGM_RSRC2:TGID_X_EN: 1
; COMPUTE_PGM_RSRC2:TGID_Y_EN: 0
; COMPUTE_PGM_RSRC2:TGID_Z_EN: 0
; COMPUTE_PGM_RSRC2:TIDIG_COMP_CNT: 0
; COMPUTE_PGM_RSRC3_GFX90A:ACCUM_OFFSET: 0
; COMPUTE_PGM_RSRC3_GFX90A:TG_SPLIT: 0
	.section	.text._ZN7rocprim17ROCPRIM_400000_NS6detail17trampoline_kernelINS0_14default_configENS1_37merge_sort_block_sort_config_selectorIlNS0_10empty_typeEEEZNS1_21merge_sort_block_sortIS3_N6thrust23THRUST_200600_302600_NS6detail15normal_iteratorINS9_10device_ptrIlEEEESE_PS5_SF_14custom_greaterIlEEE10hipError_tT0_T1_T2_T3_mRjT4_P12ihipStream_tbNS1_7vsmem_tEEUlT_E_NS1_11comp_targetILNS1_3genE5ELNS1_11target_archE942ELNS1_3gpuE9ELNS1_3repE0EEENS1_30default_config_static_selectorELNS0_4arch9wavefront6targetE1EEEvSK_,"axG",@progbits,_ZN7rocprim17ROCPRIM_400000_NS6detail17trampoline_kernelINS0_14default_configENS1_37merge_sort_block_sort_config_selectorIlNS0_10empty_typeEEEZNS1_21merge_sort_block_sortIS3_N6thrust23THRUST_200600_302600_NS6detail15normal_iteratorINS9_10device_ptrIlEEEESE_PS5_SF_14custom_greaterIlEEE10hipError_tT0_T1_T2_T3_mRjT4_P12ihipStream_tbNS1_7vsmem_tEEUlT_E_NS1_11comp_targetILNS1_3genE5ELNS1_11target_archE942ELNS1_3gpuE9ELNS1_3repE0EEENS1_30default_config_static_selectorELNS0_4arch9wavefront6targetE1EEEvSK_,comdat
	.protected	_ZN7rocprim17ROCPRIM_400000_NS6detail17trampoline_kernelINS0_14default_configENS1_37merge_sort_block_sort_config_selectorIlNS0_10empty_typeEEEZNS1_21merge_sort_block_sortIS3_N6thrust23THRUST_200600_302600_NS6detail15normal_iteratorINS9_10device_ptrIlEEEESE_PS5_SF_14custom_greaterIlEEE10hipError_tT0_T1_T2_T3_mRjT4_P12ihipStream_tbNS1_7vsmem_tEEUlT_E_NS1_11comp_targetILNS1_3genE5ELNS1_11target_archE942ELNS1_3gpuE9ELNS1_3repE0EEENS1_30default_config_static_selectorELNS0_4arch9wavefront6targetE1EEEvSK_ ; -- Begin function _ZN7rocprim17ROCPRIM_400000_NS6detail17trampoline_kernelINS0_14default_configENS1_37merge_sort_block_sort_config_selectorIlNS0_10empty_typeEEEZNS1_21merge_sort_block_sortIS3_N6thrust23THRUST_200600_302600_NS6detail15normal_iteratorINS9_10device_ptrIlEEEESE_PS5_SF_14custom_greaterIlEEE10hipError_tT0_T1_T2_T3_mRjT4_P12ihipStream_tbNS1_7vsmem_tEEUlT_E_NS1_11comp_targetILNS1_3genE5ELNS1_11target_archE942ELNS1_3gpuE9ELNS1_3repE0EEENS1_30default_config_static_selectorELNS0_4arch9wavefront6targetE1EEEvSK_
	.globl	_ZN7rocprim17ROCPRIM_400000_NS6detail17trampoline_kernelINS0_14default_configENS1_37merge_sort_block_sort_config_selectorIlNS0_10empty_typeEEEZNS1_21merge_sort_block_sortIS3_N6thrust23THRUST_200600_302600_NS6detail15normal_iteratorINS9_10device_ptrIlEEEESE_PS5_SF_14custom_greaterIlEEE10hipError_tT0_T1_T2_T3_mRjT4_P12ihipStream_tbNS1_7vsmem_tEEUlT_E_NS1_11comp_targetILNS1_3genE5ELNS1_11target_archE942ELNS1_3gpuE9ELNS1_3repE0EEENS1_30default_config_static_selectorELNS0_4arch9wavefront6targetE1EEEvSK_
	.p2align	8
	.type	_ZN7rocprim17ROCPRIM_400000_NS6detail17trampoline_kernelINS0_14default_configENS1_37merge_sort_block_sort_config_selectorIlNS0_10empty_typeEEEZNS1_21merge_sort_block_sortIS3_N6thrust23THRUST_200600_302600_NS6detail15normal_iteratorINS9_10device_ptrIlEEEESE_PS5_SF_14custom_greaterIlEEE10hipError_tT0_T1_T2_T3_mRjT4_P12ihipStream_tbNS1_7vsmem_tEEUlT_E_NS1_11comp_targetILNS1_3genE5ELNS1_11target_archE942ELNS1_3gpuE9ELNS1_3repE0EEENS1_30default_config_static_selectorELNS0_4arch9wavefront6targetE1EEEvSK_,@function
_ZN7rocprim17ROCPRIM_400000_NS6detail17trampoline_kernelINS0_14default_configENS1_37merge_sort_block_sort_config_selectorIlNS0_10empty_typeEEEZNS1_21merge_sort_block_sortIS3_N6thrust23THRUST_200600_302600_NS6detail15normal_iteratorINS9_10device_ptrIlEEEESE_PS5_SF_14custom_greaterIlEEE10hipError_tT0_T1_T2_T3_mRjT4_P12ihipStream_tbNS1_7vsmem_tEEUlT_E_NS1_11comp_targetILNS1_3genE5ELNS1_11target_archE942ELNS1_3gpuE9ELNS1_3repE0EEENS1_30default_config_static_selectorELNS0_4arch9wavefront6targetE1EEEvSK_: ; @_ZN7rocprim17ROCPRIM_400000_NS6detail17trampoline_kernelINS0_14default_configENS1_37merge_sort_block_sort_config_selectorIlNS0_10empty_typeEEEZNS1_21merge_sort_block_sortIS3_N6thrust23THRUST_200600_302600_NS6detail15normal_iteratorINS9_10device_ptrIlEEEESE_PS5_SF_14custom_greaterIlEEE10hipError_tT0_T1_T2_T3_mRjT4_P12ihipStream_tbNS1_7vsmem_tEEUlT_E_NS1_11comp_targetILNS1_3genE5ELNS1_11target_archE942ELNS1_3gpuE9ELNS1_3repE0EEENS1_30default_config_static_selectorELNS0_4arch9wavefront6targetE1EEEvSK_
; %bb.0:
	.section	.rodata,"a",@progbits
	.p2align	6, 0x0
	.amdhsa_kernel _ZN7rocprim17ROCPRIM_400000_NS6detail17trampoline_kernelINS0_14default_configENS1_37merge_sort_block_sort_config_selectorIlNS0_10empty_typeEEEZNS1_21merge_sort_block_sortIS3_N6thrust23THRUST_200600_302600_NS6detail15normal_iteratorINS9_10device_ptrIlEEEESE_PS5_SF_14custom_greaterIlEEE10hipError_tT0_T1_T2_T3_mRjT4_P12ihipStream_tbNS1_7vsmem_tEEUlT_E_NS1_11comp_targetILNS1_3genE5ELNS1_11target_archE942ELNS1_3gpuE9ELNS1_3repE0EEENS1_30default_config_static_selectorELNS0_4arch9wavefront6targetE1EEEvSK_
		.amdhsa_group_segment_fixed_size 0
		.amdhsa_private_segment_fixed_size 0
		.amdhsa_kernarg_size 64
		.amdhsa_user_sgpr_count 6
		.amdhsa_user_sgpr_private_segment_buffer 1
		.amdhsa_user_sgpr_dispatch_ptr 0
		.amdhsa_user_sgpr_queue_ptr 0
		.amdhsa_user_sgpr_kernarg_segment_ptr 1
		.amdhsa_user_sgpr_dispatch_id 0
		.amdhsa_user_sgpr_flat_scratch_init 0
		.amdhsa_user_sgpr_kernarg_preload_length 0
		.amdhsa_user_sgpr_kernarg_preload_offset 0
		.amdhsa_user_sgpr_private_segment_size 0
		.amdhsa_uses_dynamic_stack 0
		.amdhsa_system_sgpr_private_segment_wavefront_offset 0
		.amdhsa_system_sgpr_workgroup_id_x 1
		.amdhsa_system_sgpr_workgroup_id_y 0
		.amdhsa_system_sgpr_workgroup_id_z 0
		.amdhsa_system_sgpr_workgroup_info 0
		.amdhsa_system_vgpr_workitem_id 0
		.amdhsa_next_free_vgpr 1
		.amdhsa_next_free_sgpr 0
		.amdhsa_accum_offset 4
		.amdhsa_reserve_vcc 0
		.amdhsa_reserve_flat_scratch 0
		.amdhsa_float_round_mode_32 0
		.amdhsa_float_round_mode_16_64 0
		.amdhsa_float_denorm_mode_32 3
		.amdhsa_float_denorm_mode_16_64 3
		.amdhsa_dx10_clamp 1
		.amdhsa_ieee_mode 1
		.amdhsa_fp16_overflow 0
		.amdhsa_tg_split 0
		.amdhsa_exception_fp_ieee_invalid_op 0
		.amdhsa_exception_fp_denorm_src 0
		.amdhsa_exception_fp_ieee_div_zero 0
		.amdhsa_exception_fp_ieee_overflow 0
		.amdhsa_exception_fp_ieee_underflow 0
		.amdhsa_exception_fp_ieee_inexact 0
		.amdhsa_exception_int_div_zero 0
	.end_amdhsa_kernel
	.section	.text._ZN7rocprim17ROCPRIM_400000_NS6detail17trampoline_kernelINS0_14default_configENS1_37merge_sort_block_sort_config_selectorIlNS0_10empty_typeEEEZNS1_21merge_sort_block_sortIS3_N6thrust23THRUST_200600_302600_NS6detail15normal_iteratorINS9_10device_ptrIlEEEESE_PS5_SF_14custom_greaterIlEEE10hipError_tT0_T1_T2_T3_mRjT4_P12ihipStream_tbNS1_7vsmem_tEEUlT_E_NS1_11comp_targetILNS1_3genE5ELNS1_11target_archE942ELNS1_3gpuE9ELNS1_3repE0EEENS1_30default_config_static_selectorELNS0_4arch9wavefront6targetE1EEEvSK_,"axG",@progbits,_ZN7rocprim17ROCPRIM_400000_NS6detail17trampoline_kernelINS0_14default_configENS1_37merge_sort_block_sort_config_selectorIlNS0_10empty_typeEEEZNS1_21merge_sort_block_sortIS3_N6thrust23THRUST_200600_302600_NS6detail15normal_iteratorINS9_10device_ptrIlEEEESE_PS5_SF_14custom_greaterIlEEE10hipError_tT0_T1_T2_T3_mRjT4_P12ihipStream_tbNS1_7vsmem_tEEUlT_E_NS1_11comp_targetILNS1_3genE5ELNS1_11target_archE942ELNS1_3gpuE9ELNS1_3repE0EEENS1_30default_config_static_selectorELNS0_4arch9wavefront6targetE1EEEvSK_,comdat
.Lfunc_end3230:
	.size	_ZN7rocprim17ROCPRIM_400000_NS6detail17trampoline_kernelINS0_14default_configENS1_37merge_sort_block_sort_config_selectorIlNS0_10empty_typeEEEZNS1_21merge_sort_block_sortIS3_N6thrust23THRUST_200600_302600_NS6detail15normal_iteratorINS9_10device_ptrIlEEEESE_PS5_SF_14custom_greaterIlEEE10hipError_tT0_T1_T2_T3_mRjT4_P12ihipStream_tbNS1_7vsmem_tEEUlT_E_NS1_11comp_targetILNS1_3genE5ELNS1_11target_archE942ELNS1_3gpuE9ELNS1_3repE0EEENS1_30default_config_static_selectorELNS0_4arch9wavefront6targetE1EEEvSK_, .Lfunc_end3230-_ZN7rocprim17ROCPRIM_400000_NS6detail17trampoline_kernelINS0_14default_configENS1_37merge_sort_block_sort_config_selectorIlNS0_10empty_typeEEEZNS1_21merge_sort_block_sortIS3_N6thrust23THRUST_200600_302600_NS6detail15normal_iteratorINS9_10device_ptrIlEEEESE_PS5_SF_14custom_greaterIlEEE10hipError_tT0_T1_T2_T3_mRjT4_P12ihipStream_tbNS1_7vsmem_tEEUlT_E_NS1_11comp_targetILNS1_3genE5ELNS1_11target_archE942ELNS1_3gpuE9ELNS1_3repE0EEENS1_30default_config_static_selectorELNS0_4arch9wavefront6targetE1EEEvSK_
                                        ; -- End function
	.section	.AMDGPU.csdata,"",@progbits
; Kernel info:
; codeLenInByte = 0
; NumSgprs: 4
; NumVgprs: 0
; NumAgprs: 0
; TotalNumVgprs: 0
; ScratchSize: 0
; MemoryBound: 0
; FloatMode: 240
; IeeeMode: 1
; LDSByteSize: 0 bytes/workgroup (compile time only)
; SGPRBlocks: 0
; VGPRBlocks: 0
; NumSGPRsForWavesPerEU: 4
; NumVGPRsForWavesPerEU: 1
; AccumOffset: 4
; Occupancy: 8
; WaveLimiterHint : 0
; COMPUTE_PGM_RSRC2:SCRATCH_EN: 0
; COMPUTE_PGM_RSRC2:USER_SGPR: 6
; COMPUTE_PGM_RSRC2:TRAP_HANDLER: 0
; COMPUTE_PGM_RSRC2:TGID_X_EN: 1
; COMPUTE_PGM_RSRC2:TGID_Y_EN: 0
; COMPUTE_PGM_RSRC2:TGID_Z_EN: 0
; COMPUTE_PGM_RSRC2:TIDIG_COMP_CNT: 0
; COMPUTE_PGM_RSRC3_GFX90A:ACCUM_OFFSET: 0
; COMPUTE_PGM_RSRC3_GFX90A:TG_SPLIT: 0
	.section	.text._ZN7rocprim17ROCPRIM_400000_NS6detail17trampoline_kernelINS0_14default_configENS1_37merge_sort_block_sort_config_selectorIlNS0_10empty_typeEEEZNS1_21merge_sort_block_sortIS3_N6thrust23THRUST_200600_302600_NS6detail15normal_iteratorINS9_10device_ptrIlEEEESE_PS5_SF_14custom_greaterIlEEE10hipError_tT0_T1_T2_T3_mRjT4_P12ihipStream_tbNS1_7vsmem_tEEUlT_E_NS1_11comp_targetILNS1_3genE4ELNS1_11target_archE910ELNS1_3gpuE8ELNS1_3repE0EEENS1_30default_config_static_selectorELNS0_4arch9wavefront6targetE1EEEvSK_,"axG",@progbits,_ZN7rocprim17ROCPRIM_400000_NS6detail17trampoline_kernelINS0_14default_configENS1_37merge_sort_block_sort_config_selectorIlNS0_10empty_typeEEEZNS1_21merge_sort_block_sortIS3_N6thrust23THRUST_200600_302600_NS6detail15normal_iteratorINS9_10device_ptrIlEEEESE_PS5_SF_14custom_greaterIlEEE10hipError_tT0_T1_T2_T3_mRjT4_P12ihipStream_tbNS1_7vsmem_tEEUlT_E_NS1_11comp_targetILNS1_3genE4ELNS1_11target_archE910ELNS1_3gpuE8ELNS1_3repE0EEENS1_30default_config_static_selectorELNS0_4arch9wavefront6targetE1EEEvSK_,comdat
	.protected	_ZN7rocprim17ROCPRIM_400000_NS6detail17trampoline_kernelINS0_14default_configENS1_37merge_sort_block_sort_config_selectorIlNS0_10empty_typeEEEZNS1_21merge_sort_block_sortIS3_N6thrust23THRUST_200600_302600_NS6detail15normal_iteratorINS9_10device_ptrIlEEEESE_PS5_SF_14custom_greaterIlEEE10hipError_tT0_T1_T2_T3_mRjT4_P12ihipStream_tbNS1_7vsmem_tEEUlT_E_NS1_11comp_targetILNS1_3genE4ELNS1_11target_archE910ELNS1_3gpuE8ELNS1_3repE0EEENS1_30default_config_static_selectorELNS0_4arch9wavefront6targetE1EEEvSK_ ; -- Begin function _ZN7rocprim17ROCPRIM_400000_NS6detail17trampoline_kernelINS0_14default_configENS1_37merge_sort_block_sort_config_selectorIlNS0_10empty_typeEEEZNS1_21merge_sort_block_sortIS3_N6thrust23THRUST_200600_302600_NS6detail15normal_iteratorINS9_10device_ptrIlEEEESE_PS5_SF_14custom_greaterIlEEE10hipError_tT0_T1_T2_T3_mRjT4_P12ihipStream_tbNS1_7vsmem_tEEUlT_E_NS1_11comp_targetILNS1_3genE4ELNS1_11target_archE910ELNS1_3gpuE8ELNS1_3repE0EEENS1_30default_config_static_selectorELNS0_4arch9wavefront6targetE1EEEvSK_
	.globl	_ZN7rocprim17ROCPRIM_400000_NS6detail17trampoline_kernelINS0_14default_configENS1_37merge_sort_block_sort_config_selectorIlNS0_10empty_typeEEEZNS1_21merge_sort_block_sortIS3_N6thrust23THRUST_200600_302600_NS6detail15normal_iteratorINS9_10device_ptrIlEEEESE_PS5_SF_14custom_greaterIlEEE10hipError_tT0_T1_T2_T3_mRjT4_P12ihipStream_tbNS1_7vsmem_tEEUlT_E_NS1_11comp_targetILNS1_3genE4ELNS1_11target_archE910ELNS1_3gpuE8ELNS1_3repE0EEENS1_30default_config_static_selectorELNS0_4arch9wavefront6targetE1EEEvSK_
	.p2align	8
	.type	_ZN7rocprim17ROCPRIM_400000_NS6detail17trampoline_kernelINS0_14default_configENS1_37merge_sort_block_sort_config_selectorIlNS0_10empty_typeEEEZNS1_21merge_sort_block_sortIS3_N6thrust23THRUST_200600_302600_NS6detail15normal_iteratorINS9_10device_ptrIlEEEESE_PS5_SF_14custom_greaterIlEEE10hipError_tT0_T1_T2_T3_mRjT4_P12ihipStream_tbNS1_7vsmem_tEEUlT_E_NS1_11comp_targetILNS1_3genE4ELNS1_11target_archE910ELNS1_3gpuE8ELNS1_3repE0EEENS1_30default_config_static_selectorELNS0_4arch9wavefront6targetE1EEEvSK_,@function
_ZN7rocprim17ROCPRIM_400000_NS6detail17trampoline_kernelINS0_14default_configENS1_37merge_sort_block_sort_config_selectorIlNS0_10empty_typeEEEZNS1_21merge_sort_block_sortIS3_N6thrust23THRUST_200600_302600_NS6detail15normal_iteratorINS9_10device_ptrIlEEEESE_PS5_SF_14custom_greaterIlEEE10hipError_tT0_T1_T2_T3_mRjT4_P12ihipStream_tbNS1_7vsmem_tEEUlT_E_NS1_11comp_targetILNS1_3genE4ELNS1_11target_archE910ELNS1_3gpuE8ELNS1_3repE0EEENS1_30default_config_static_selectorELNS0_4arch9wavefront6targetE1EEEvSK_: ; @_ZN7rocprim17ROCPRIM_400000_NS6detail17trampoline_kernelINS0_14default_configENS1_37merge_sort_block_sort_config_selectorIlNS0_10empty_typeEEEZNS1_21merge_sort_block_sortIS3_N6thrust23THRUST_200600_302600_NS6detail15normal_iteratorINS9_10device_ptrIlEEEESE_PS5_SF_14custom_greaterIlEEE10hipError_tT0_T1_T2_T3_mRjT4_P12ihipStream_tbNS1_7vsmem_tEEUlT_E_NS1_11comp_targetILNS1_3genE4ELNS1_11target_archE910ELNS1_3gpuE8ELNS1_3repE0EEENS1_30default_config_static_selectorELNS0_4arch9wavefront6targetE1EEEvSK_
; %bb.0:
	s_load_dwordx2 s[12:13], s[4:5], 0x40
	s_load_dword s0, s[4:5], 0x0
	s_add_u32 s10, s4, 64
	s_addc_u32 s11, s5, 0
	s_waitcnt lgkmcnt(0)
	s_mul_i32 s1, s13, s8
	s_add_i32 s1, s1, s7
	s_mul_i32 s1, s1, s12
	s_add_i32 s8, s1, s6
	s_cmp_ge_u32 s8, s0
	s_cbranch_scc1 .LBB3231_154
; %bb.1:
	s_load_dwordx2 s[14:15], s[4:5], 0x8
	s_load_dwordx4 s[0:3], s[4:5], 0x18
	s_mov_b32 s9, 0
	s_lshl_b64 s[4:5], s[8:9], 13
	v_and_b32_e32 v10, 0x3ff, v0
	s_waitcnt lgkmcnt(0)
	s_lshr_b64 s[16:17], s[14:15], 10
	s_add_u32 s7, s0, s4
	s_addc_u32 s13, s1, s5
	s_add_u32 s15, s2, s4
	s_addc_u32 s18, s3, s5
	s_cmp_lg_u64 s[16:17], s[8:9]
	v_bfe_u32 v14, v0, 10, 10
	v_bfe_u32 v15, v0, 20, 10
	v_lshlrev_b32_e32 v12, 3, v10
	v_lshrrev_b32_e32 v17, 2, v10
	v_lshlrev_b32_e32 v13, 2, v10
	v_lshrrev_b32_e32 v16, 3, v10
	s_cbranch_scc0 .LBB3231_85
; %bb.2:
	v_mov_b32_e32 v1, s13
	v_add_co_u32_e32 v0, vcc, s7, v12
	v_addc_co_u32_e32 v1, vcc, 0, v1, vcc
	v_add_co_u32_e32 v2, vcc, 0x1000, v0
	v_addc_co_u32_e32 v3, vcc, 0, v1, vcc
	flat_load_dwordx2 v[4:5], v[0:1]
	flat_load_dwordx2 v[6:7], v[0:1] offset:2048
	flat_load_dwordx2 v[8:9], v[2:3]
	flat_load_dwordx2 v[24:25], v[2:3] offset:2048
	v_and_b32_e32 v0, 0xf8, v17
	v_add_u32_e32 v1, 0x100, v10
	v_add_u32_e32 v2, 0x200, v10
	;; [unrolled: 1-line block ×4, first 2 shown]
	v_lshrrev_b32_e32 v0, 2, v1
	v_lshrrev_b32_e32 v1, 2, v2
	;; [unrolled: 1-line block ×3, first 2 shown]
	v_add_lshl_u32 v19, v16, v13, 3
	v_and_b32_e32 v0, 0x1f8, v0
	v_and_b32_e32 v1, 0x1f8, v1
	;; [unrolled: 1-line block ×3, first 2 shown]
	v_add_u32_e32 v20, v0, v12
	v_add_u32_e32 v21, v1, v12
	;; [unrolled: 1-line block ×3, first 2 shown]
	v_mov_b32_e32 v11, 0
	s_movk_i32 s2, 0x400
	s_waitcnt vmcnt(0) lgkmcnt(0)
	ds_write_b64 v18, v[4:5]
	ds_write_b64 v20, v[6:7] offset:2048
	ds_write_b64 v21, v[8:9] offset:4096
	;; [unrolled: 1-line block ×3, first 2 shown]
	s_waitcnt lgkmcnt(0)
	s_barrier
	ds_read2_b64 v[2:5], v19 offset1:1
	ds_read2_b64 v[6:9], v19 offset0:2 offset1:3
	s_waitcnt lgkmcnt(0)
	s_barrier
	s_load_dword s0, s[10:11], 0xc
	s_waitcnt lgkmcnt(0)
	s_lshr_b32 s3, s0, 16
	s_cmp_lt_u32 s6, s12
	s_cselect_b32 s0, 12, 18
	s_add_u32 s0, s10, s0
	s_addc_u32 s1, s11, 0
	global_load_ushort v0, v11, s[0:1]
	v_mad_u32_u24 v1, v15, s3, v14
	s_waitcnt vmcnt(0)
	v_mul_lo_u32 v0, v1, v0
	v_add_lshl_u32 v23, v0, v10, 2
	v_cmp_gt_u32_e32 vcc, s2, v23
	v_pk_mov_b32 v[0:1], v[2:3], v[2:3] op_sel:[0,1]
	s_and_saveexec_b64 s[0:1], vcc
	s_cbranch_execz .LBB3231_4
; %bb.3:
	v_cmp_gt_i64_e32 vcc, v[2:3], v[4:5]
	v_cndmask_b32_e32 v25, v5, v3, vcc
	v_cndmask_b32_e32 v24, v4, v2, vcc
	;; [unrolled: 1-line block ×4, first 2 shown]
	v_cmp_lt_i64_e32 vcc, v[2:3], v[4:5]
	v_cndmask_b32_e32 v5, v5, v3, vcc
	v_cndmask_b32_e32 v4, v4, v2, vcc
	v_cmp_gt_i64_e32 vcc, v[6:7], v[8:9]
	v_cndmask_b32_e32 v27, v9, v7, vcc
	v_cndmask_b32_e32 v26, v8, v6, vcc
	v_cndmask_b32_e32 v2, v6, v8, vcc
	v_cndmask_b32_e32 v3, v7, v9, vcc
	v_cmp_lt_i64_e32 vcc, v[6:7], v[8:9]
	v_cndmask_b32_e32 v1, v9, v7, vcc
	v_cndmask_b32_e32 v0, v8, v6, vcc
	v_cmp_gt_i64_e32 vcc, v[24:25], v[0:1]
	v_cndmask_b32_e32 v30, v3, v25, vcc
	v_cndmask_b32_e32 v31, v2, v24, vcc
	;; [unrolled: 1-line block ×6, first 2 shown]
	v_cmp_lt_i64_e32 vcc, v[24:25], v[0:1]
	v_cndmask_b32_e32 v6, v0, v24, vcc
	v_cndmask_b32_e32 v7, v1, v25, vcc
	v_cmp_lt_i64_e32 vcc, v[0:1], v[4:5]
	v_cndmask_b32_e32 v1, v29, v7, vcc
	v_cndmask_b32_e32 v0, v28, v6, vcc
	;; [unrolled: 1-line block ×8, first 2 shown]
	v_cmp_gt_i64_e32 vcc, v[24:25], v[26:27]
	v_cndmask_b32_e32 v5, v33, v27, vcc
	v_cndmask_b32_e32 v4, v32, v26, vcc
	;; [unrolled: 1-line block ×6, first 2 shown]
	v_cmp_gt_i64_e32 vcc, v[6:7], v[4:5]
	v_cndmask_b32_e32 v5, v29, v5, vcc
	v_cndmask_b32_e32 v4, v28, v4, vcc
	;; [unrolled: 1-line block ×4, first 2 shown]
.LBB3231_4:
	s_or_b64 exec, exec, s[0:1]
	v_mbcnt_lo_u32_b32 v24, -1, 0
	v_mbcnt_hi_u32_b32 v26, -1, v24
	v_and_b32_e32 v23, 0xffffff00, v23
	v_sub_u32_e64 v24, s2, v23 clamp
	v_lshlrev_b32_e32 v23, 3, v23
	v_lshlrev_b32_e32 v25, 5, v26
	v_add_u32_e32 v25, v23, v25
	v_lshlrev_b32_e32 v26, 2, v26
	ds_write_b128 v25, v[2:5]
	ds_write_b128 v25, v[6:9] offset:16
	v_or_b32_e32 v2, 4, v26
	v_min_u32_e32 v28, v24, v2
	v_add_u32_e32 v2, 4, v28
	v_and_b32_e32 v29, 0x1f8, v26
	v_min_u32_e32 v27, v24, v2
	v_and_b32_e32 v2, 4, v26
	v_min_u32_e32 v30, v24, v2
	v_sub_u32_e32 v31, v28, v29
	v_sub_u32_e32 v3, v27, v28
	v_sub_u32_e64 v3, v30, v3 clamp
	v_min_u32_e32 v31, v30, v31
	v_lshl_add_u32 v2, v29, 3, v23
	v_cmp_lt_u32_e32 vcc, v3, v31
	; wave barrier
	s_and_saveexec_b64 s[0:1], vcc
	s_cbranch_execz .LBB3231_8
; %bb.5:
	v_lshlrev_b32_e32 v32, 3, v28
	v_lshlrev_b32_e32 v33, 3, v30
	v_add3_u32 v32, v23, v32, v33
	s_mov_b64 s[2:3], 0
.LBB3231_6:                             ; =>This Inner Loop Header: Depth=1
	v_add_u32_e32 v33, v31, v3
	v_lshrrev_b32_e32 v33, 1, v33
	v_not_b32_e32 v34, v33
	v_lshl_add_u32 v35, v33, 3, v2
	v_lshl_add_u32 v36, v34, 3, v32
	ds_read_b64 v[34:35], v35
	ds_read_b64 v[36:37], v36
	v_add_u32_e32 v38, 1, v33
	s_waitcnt lgkmcnt(0)
	v_cmp_gt_i64_e32 vcc, v[34:35], v[36:37]
	v_cndmask_b32_e32 v31, v31, v33, vcc
	v_cndmask_b32_e32 v3, v38, v3, vcc
	v_cmp_ge_u32_e32 vcc, v3, v31
	s_or_b64 s[2:3], vcc, s[2:3]
	s_andn2_b64 exec, exec, s[2:3]
	s_cbranch_execnz .LBB3231_6
; %bb.7:
	s_or_b64 exec, exec, s[2:3]
.LBB3231_8:
	s_or_b64 exec, exec, s[0:1]
	v_add_u32_e32 v30, v28, v30
	v_add_u32_e32 v29, v3, v29
	v_sub_u32_e32 v30, v30, v3
	v_cmp_le_u32_e32 vcc, v29, v28
	v_cmp_le_u32_e64 s[0:1], v30, v27
	s_or_b64 s[0:1], vcc, s[0:1]
	s_and_saveexec_b64 s[16:17], s[0:1]
	s_cbranch_execz .LBB3231_14
; %bb.9:
	v_cmp_lt_u32_e32 vcc, v29, v28
                                        ; implicit-def: $vgpr0_vgpr1
	s_and_saveexec_b64 s[0:1], vcc
	s_cbranch_execz .LBB3231_11
; %bb.10:
	v_lshl_add_u32 v0, v3, 3, v2
	ds_read_b64 v[0:1], v0
.LBB3231_11:
	s_or_b64 exec, exec, s[0:1]
	v_cmp_ge_u32_e64 s[0:1], v30, v27
	v_cmp_lt_u32_e64 s[2:3], v30, v27
                                        ; implicit-def: $vgpr2_vgpr3
	s_and_saveexec_b64 s[4:5], s[2:3]
	s_cbranch_execz .LBB3231_13
; %bb.12:
	v_lshl_add_u32 v2, v30, 3, v23
	ds_read_b64 v[2:3], v2
.LBB3231_13:
	s_or_b64 exec, exec, s[4:5]
	s_waitcnt lgkmcnt(0)
	v_cmp_le_i64_e64 s[2:3], v[0:1], v[2:3]
	s_and_b64 s[2:3], vcc, s[2:3]
	s_or_b64 vcc, s[0:1], s[2:3]
	v_cndmask_b32_e32 v4, v30, v29, vcc
	v_cndmask_b32_e32 v5, v27, v28, vcc
	v_add_u32_e32 v8, 1, v4
	v_add_u32_e32 v4, -1, v5
	v_min_u32_e32 v4, v8, v4
	v_lshl_add_u32 v4, v4, 3, v23
	ds_read_b64 v[4:5], v4
	v_cndmask_b32_e32 v29, v29, v8, vcc
	v_cndmask_b32_e32 v30, v8, v30, vcc
	v_cmp_lt_u32_e64 s[2:3], v29, v28
	v_cmp_ge_u32_e64 s[0:1], v30, v27
	s_waitcnt lgkmcnt(0)
	v_cndmask_b32_e32 v7, v5, v3, vcc
	v_cndmask_b32_e32 v6, v4, v2, vcc
	;; [unrolled: 1-line block ×4, first 2 shown]
	v_cmp_le_i64_e64 s[4:5], v[4:5], v[6:7]
	s_and_b64 s[2:3], s[2:3], s[4:5]
	s_or_b64 s[0:1], s[0:1], s[2:3]
	v_cndmask_b32_e64 v8, v30, v29, s[0:1]
	v_cndmask_b32_e64 v9, v27, v28, s[0:1]
	v_add_u32_e32 v31, 1, v8
	v_add_u32_e32 v8, -1, v9
	v_min_u32_e32 v8, v31, v8
	v_lshl_add_u32 v8, v8, 3, v23
	ds_read_b64 v[8:9], v8
	v_cndmask_b32_e32 v1, v3, v1, vcc
	v_cndmask_b32_e32 v0, v2, v0, vcc
	v_cndmask_b32_e64 v29, v29, v31, s[0:1]
	v_cndmask_b32_e64 v32, v31, v30, s[0:1]
	s_waitcnt lgkmcnt(0)
	v_cndmask_b32_e64 v3, v9, v7, s[0:1]
	v_cndmask_b32_e64 v2, v8, v6, s[0:1]
	;; [unrolled: 1-line block ×4, first 2 shown]
	v_cmp_lt_u32_e64 s[2:3], v29, v28
	v_cmp_le_i64_e64 s[4:5], v[8:9], v[2:3]
	v_cmp_ge_u32_e32 vcc, v32, v27
	s_and_b64 s[2:3], s[2:3], s[4:5]
	s_or_b64 vcc, vcc, s[2:3]
	v_cndmask_b32_e32 v30, v32, v29, vcc
	v_cndmask_b32_e32 v31, v27, v28, vcc
	v_add_u32_e32 v33, 1, v30
	v_add_u32_e32 v30, -1, v31
	v_min_u32_e32 v30, v33, v30
	v_lshl_add_u32 v30, v30, 3, v23
	ds_read_b64 v[30:31], v30
	v_cndmask_b32_e64 v5, v7, v5, s[0:1]
	v_cndmask_b32_e64 v4, v6, v4, s[0:1]
	v_cndmask_b32_e32 v7, v3, v9, vcc
	v_cndmask_b32_e32 v6, v2, v8, vcc
	s_waitcnt lgkmcnt(0)
	v_cndmask_b32_e32 v9, v9, v31, vcc
	v_cndmask_b32_e32 v8, v8, v30, vcc
	;; [unrolled: 1-line block ×6, first 2 shown]
	v_cmp_lt_u32_e32 vcc, v29, v28
	v_cmp_lt_i64_e64 s[0:1], v[8:9], v[2:3]
	s_and_b64 vcc, vcc, s[0:1]
	v_cndmask_b32_e32 v2, v2, v8, vcc
	v_cndmask_b32_e32 v3, v3, v9, vcc
	v_cmp_lt_u32_e32 vcc, v32, v27
	v_cndmask_b32_e32 v9, v9, v3, vcc
	v_cndmask_b32_e32 v8, v8, v2, vcc
.LBB3231_14:
	s_or_b64 exec, exec, s[16:17]
	v_mov_b32_e32 v2, v4
	v_mov_b32_e32 v3, v5
	v_and_b32_e32 v29, 0x1f0, v26
	; wave barrier
	ds_write_b128 v25, v[0:3]
	ds_write_b128 v25, v[6:9] offset:16
	v_or_b32_e32 v2, 8, v29
	v_min_u32_e32 v28, v24, v2
	v_add_u32_e32 v2, 8, v28
	v_min_u32_e32 v27, v24, v2
	v_and_b32_e32 v2, 12, v26
	v_min_u32_e32 v30, v24, v2
	v_sub_u32_e32 v31, v28, v29
	v_sub_u32_e32 v3, v27, v28
	v_sub_u32_e64 v3, v30, v3 clamp
	v_min_u32_e32 v31, v30, v31
	v_lshl_add_u32 v2, v29, 3, v23
	v_cmp_lt_u32_e32 vcc, v3, v31
	; wave barrier
	s_and_saveexec_b64 s[0:1], vcc
	s_cbranch_execz .LBB3231_18
; %bb.15:
	v_lshlrev_b32_e32 v32, 3, v28
	v_lshlrev_b32_e32 v33, 3, v30
	v_add3_u32 v32, v23, v32, v33
	s_mov_b64 s[2:3], 0
.LBB3231_16:                            ; =>This Inner Loop Header: Depth=1
	v_add_u32_e32 v33, v31, v3
	v_lshrrev_b32_e32 v33, 1, v33
	v_not_b32_e32 v34, v33
	v_lshl_add_u32 v35, v33, 3, v2
	v_lshl_add_u32 v36, v34, 3, v32
	ds_read_b64 v[34:35], v35
	ds_read_b64 v[36:37], v36
	v_add_u32_e32 v38, 1, v33
	s_waitcnt lgkmcnt(0)
	v_cmp_gt_i64_e32 vcc, v[34:35], v[36:37]
	v_cndmask_b32_e32 v31, v31, v33, vcc
	v_cndmask_b32_e32 v3, v38, v3, vcc
	v_cmp_ge_u32_e32 vcc, v3, v31
	s_or_b64 s[2:3], vcc, s[2:3]
	s_andn2_b64 exec, exec, s[2:3]
	s_cbranch_execnz .LBB3231_16
; %bb.17:
	s_or_b64 exec, exec, s[2:3]
.LBB3231_18:
	s_or_b64 exec, exec, s[0:1]
	v_add_u32_e32 v30, v28, v30
	v_add_u32_e32 v29, v3, v29
	v_sub_u32_e32 v30, v30, v3
	v_cmp_le_u32_e32 vcc, v29, v28
	v_cmp_le_u32_e64 s[0:1], v30, v27
	s_or_b64 s[0:1], vcc, s[0:1]
	s_and_saveexec_b64 s[16:17], s[0:1]
	s_cbranch_execz .LBB3231_24
; %bb.19:
	v_cmp_lt_u32_e32 vcc, v29, v28
                                        ; implicit-def: $vgpr0_vgpr1
	s_and_saveexec_b64 s[0:1], vcc
	s_cbranch_execz .LBB3231_21
; %bb.20:
	v_lshl_add_u32 v0, v3, 3, v2
	ds_read_b64 v[0:1], v0
.LBB3231_21:
	s_or_b64 exec, exec, s[0:1]
	v_cmp_ge_u32_e64 s[0:1], v30, v27
	v_cmp_lt_u32_e64 s[2:3], v30, v27
                                        ; implicit-def: $vgpr2_vgpr3
	s_and_saveexec_b64 s[4:5], s[2:3]
	s_cbranch_execz .LBB3231_23
; %bb.22:
	v_lshl_add_u32 v2, v30, 3, v23
	ds_read_b64 v[2:3], v2
.LBB3231_23:
	s_or_b64 exec, exec, s[4:5]
	s_waitcnt lgkmcnt(0)
	v_cmp_le_i64_e64 s[2:3], v[0:1], v[2:3]
	s_and_b64 s[2:3], vcc, s[2:3]
	s_or_b64 vcc, s[0:1], s[2:3]
	v_cndmask_b32_e32 v4, v30, v29, vcc
	v_cndmask_b32_e32 v5, v27, v28, vcc
	v_add_u32_e32 v8, 1, v4
	v_add_u32_e32 v4, -1, v5
	v_min_u32_e32 v4, v8, v4
	v_lshl_add_u32 v4, v4, 3, v23
	ds_read_b64 v[4:5], v4
	v_cndmask_b32_e32 v29, v29, v8, vcc
	v_cndmask_b32_e32 v30, v8, v30, vcc
	v_cmp_lt_u32_e64 s[2:3], v29, v28
	v_cmp_ge_u32_e64 s[0:1], v30, v27
	s_waitcnt lgkmcnt(0)
	v_cndmask_b32_e32 v7, v5, v3, vcc
	v_cndmask_b32_e32 v6, v4, v2, vcc
	;; [unrolled: 1-line block ×4, first 2 shown]
	v_cmp_le_i64_e64 s[4:5], v[4:5], v[6:7]
	s_and_b64 s[2:3], s[2:3], s[4:5]
	s_or_b64 s[0:1], s[0:1], s[2:3]
	v_cndmask_b32_e64 v8, v30, v29, s[0:1]
	v_cndmask_b32_e64 v9, v27, v28, s[0:1]
	v_add_u32_e32 v31, 1, v8
	v_add_u32_e32 v8, -1, v9
	v_min_u32_e32 v8, v31, v8
	v_lshl_add_u32 v8, v8, 3, v23
	ds_read_b64 v[8:9], v8
	v_cndmask_b32_e32 v1, v3, v1, vcc
	v_cndmask_b32_e32 v0, v2, v0, vcc
	v_cndmask_b32_e64 v29, v29, v31, s[0:1]
	v_cndmask_b32_e64 v32, v31, v30, s[0:1]
	s_waitcnt lgkmcnt(0)
	v_cndmask_b32_e64 v3, v9, v7, s[0:1]
	v_cndmask_b32_e64 v2, v8, v6, s[0:1]
	;; [unrolled: 1-line block ×4, first 2 shown]
	v_cmp_lt_u32_e64 s[2:3], v29, v28
	v_cmp_le_i64_e64 s[4:5], v[8:9], v[2:3]
	v_cmp_ge_u32_e32 vcc, v32, v27
	s_and_b64 s[2:3], s[2:3], s[4:5]
	s_or_b64 vcc, vcc, s[2:3]
	v_cndmask_b32_e32 v30, v32, v29, vcc
	v_cndmask_b32_e32 v31, v27, v28, vcc
	v_add_u32_e32 v33, 1, v30
	v_add_u32_e32 v30, -1, v31
	v_min_u32_e32 v30, v33, v30
	v_lshl_add_u32 v30, v30, 3, v23
	ds_read_b64 v[30:31], v30
	v_cndmask_b32_e64 v5, v7, v5, s[0:1]
	v_cndmask_b32_e64 v4, v6, v4, s[0:1]
	v_cndmask_b32_e32 v7, v3, v9, vcc
	v_cndmask_b32_e32 v6, v2, v8, vcc
	s_waitcnt lgkmcnt(0)
	v_cndmask_b32_e32 v9, v9, v31, vcc
	v_cndmask_b32_e32 v8, v8, v30, vcc
	;; [unrolled: 1-line block ×6, first 2 shown]
	v_cmp_lt_u32_e32 vcc, v29, v28
	v_cmp_lt_i64_e64 s[0:1], v[8:9], v[2:3]
	s_and_b64 vcc, vcc, s[0:1]
	v_cndmask_b32_e32 v2, v2, v8, vcc
	v_cndmask_b32_e32 v3, v3, v9, vcc
	v_cmp_lt_u32_e32 vcc, v32, v27
	v_cndmask_b32_e32 v9, v9, v3, vcc
	v_cndmask_b32_e32 v8, v8, v2, vcc
.LBB3231_24:
	s_or_b64 exec, exec, s[16:17]
	v_mov_b32_e32 v2, v4
	v_mov_b32_e32 v3, v5
	v_and_b32_e32 v29, 0x1e0, v26
	; wave barrier
	ds_write_b128 v25, v[0:3]
	ds_write_b128 v25, v[6:9] offset:16
	v_or_b32_e32 v2, 16, v29
	v_min_u32_e32 v28, v24, v2
	v_add_u32_e32 v2, 16, v28
	v_min_u32_e32 v27, v24, v2
	v_and_b32_e32 v2, 28, v26
	v_min_u32_e32 v30, v24, v2
	v_sub_u32_e32 v31, v28, v29
	v_sub_u32_e32 v3, v27, v28
	v_sub_u32_e64 v3, v30, v3 clamp
	v_min_u32_e32 v31, v30, v31
	v_lshl_add_u32 v2, v29, 3, v23
	v_cmp_lt_u32_e32 vcc, v3, v31
	; wave barrier
	s_and_saveexec_b64 s[0:1], vcc
	s_cbranch_execz .LBB3231_28
; %bb.25:
	v_lshlrev_b32_e32 v32, 3, v28
	v_lshlrev_b32_e32 v33, 3, v30
	v_add3_u32 v32, v23, v32, v33
	s_mov_b64 s[2:3], 0
.LBB3231_26:                            ; =>This Inner Loop Header: Depth=1
	v_add_u32_e32 v33, v31, v3
	v_lshrrev_b32_e32 v33, 1, v33
	v_not_b32_e32 v34, v33
	v_lshl_add_u32 v35, v33, 3, v2
	v_lshl_add_u32 v36, v34, 3, v32
	ds_read_b64 v[34:35], v35
	ds_read_b64 v[36:37], v36
	v_add_u32_e32 v38, 1, v33
	s_waitcnt lgkmcnt(0)
	v_cmp_gt_i64_e32 vcc, v[34:35], v[36:37]
	v_cndmask_b32_e32 v31, v31, v33, vcc
	v_cndmask_b32_e32 v3, v38, v3, vcc
	v_cmp_ge_u32_e32 vcc, v3, v31
	s_or_b64 s[2:3], vcc, s[2:3]
	s_andn2_b64 exec, exec, s[2:3]
	s_cbranch_execnz .LBB3231_26
; %bb.27:
	s_or_b64 exec, exec, s[2:3]
.LBB3231_28:
	s_or_b64 exec, exec, s[0:1]
	v_add_u32_e32 v30, v28, v30
	v_add_u32_e32 v29, v3, v29
	v_sub_u32_e32 v30, v30, v3
	v_cmp_le_u32_e32 vcc, v29, v28
	v_cmp_le_u32_e64 s[0:1], v30, v27
	s_or_b64 s[0:1], vcc, s[0:1]
	s_and_saveexec_b64 s[16:17], s[0:1]
	s_cbranch_execz .LBB3231_34
; %bb.29:
	v_cmp_lt_u32_e32 vcc, v29, v28
                                        ; implicit-def: $vgpr0_vgpr1
	s_and_saveexec_b64 s[0:1], vcc
	s_cbranch_execz .LBB3231_31
; %bb.30:
	v_lshl_add_u32 v0, v3, 3, v2
	ds_read_b64 v[0:1], v0
.LBB3231_31:
	s_or_b64 exec, exec, s[0:1]
	v_cmp_ge_u32_e64 s[0:1], v30, v27
	v_cmp_lt_u32_e64 s[2:3], v30, v27
                                        ; implicit-def: $vgpr2_vgpr3
	s_and_saveexec_b64 s[4:5], s[2:3]
	s_cbranch_execz .LBB3231_33
; %bb.32:
	v_lshl_add_u32 v2, v30, 3, v23
	ds_read_b64 v[2:3], v2
.LBB3231_33:
	s_or_b64 exec, exec, s[4:5]
	s_waitcnt lgkmcnt(0)
	v_cmp_le_i64_e64 s[2:3], v[0:1], v[2:3]
	s_and_b64 s[2:3], vcc, s[2:3]
	s_or_b64 vcc, s[0:1], s[2:3]
	v_cndmask_b32_e32 v4, v30, v29, vcc
	v_cndmask_b32_e32 v5, v27, v28, vcc
	v_add_u32_e32 v8, 1, v4
	v_add_u32_e32 v4, -1, v5
	v_min_u32_e32 v4, v8, v4
	v_lshl_add_u32 v4, v4, 3, v23
	ds_read_b64 v[4:5], v4
	v_cndmask_b32_e32 v29, v29, v8, vcc
	v_cndmask_b32_e32 v30, v8, v30, vcc
	v_cmp_lt_u32_e64 s[2:3], v29, v28
	v_cmp_ge_u32_e64 s[0:1], v30, v27
	s_waitcnt lgkmcnt(0)
	v_cndmask_b32_e32 v7, v5, v3, vcc
	v_cndmask_b32_e32 v6, v4, v2, vcc
	;; [unrolled: 1-line block ×4, first 2 shown]
	v_cmp_le_i64_e64 s[4:5], v[4:5], v[6:7]
	s_and_b64 s[2:3], s[2:3], s[4:5]
	s_or_b64 s[0:1], s[0:1], s[2:3]
	v_cndmask_b32_e64 v8, v30, v29, s[0:1]
	v_cndmask_b32_e64 v9, v27, v28, s[0:1]
	v_add_u32_e32 v31, 1, v8
	v_add_u32_e32 v8, -1, v9
	v_min_u32_e32 v8, v31, v8
	v_lshl_add_u32 v8, v8, 3, v23
	ds_read_b64 v[8:9], v8
	v_cndmask_b32_e32 v1, v3, v1, vcc
	v_cndmask_b32_e32 v0, v2, v0, vcc
	v_cndmask_b32_e64 v29, v29, v31, s[0:1]
	v_cndmask_b32_e64 v32, v31, v30, s[0:1]
	s_waitcnt lgkmcnt(0)
	v_cndmask_b32_e64 v3, v9, v7, s[0:1]
	v_cndmask_b32_e64 v2, v8, v6, s[0:1]
	;; [unrolled: 1-line block ×4, first 2 shown]
	v_cmp_lt_u32_e64 s[2:3], v29, v28
	v_cmp_le_i64_e64 s[4:5], v[8:9], v[2:3]
	v_cmp_ge_u32_e32 vcc, v32, v27
	s_and_b64 s[2:3], s[2:3], s[4:5]
	s_or_b64 vcc, vcc, s[2:3]
	v_cndmask_b32_e32 v30, v32, v29, vcc
	v_cndmask_b32_e32 v31, v27, v28, vcc
	v_add_u32_e32 v33, 1, v30
	v_add_u32_e32 v30, -1, v31
	v_min_u32_e32 v30, v33, v30
	v_lshl_add_u32 v30, v30, 3, v23
	ds_read_b64 v[30:31], v30
	v_cndmask_b32_e64 v5, v7, v5, s[0:1]
	v_cndmask_b32_e64 v4, v6, v4, s[0:1]
	v_cndmask_b32_e32 v7, v3, v9, vcc
	v_cndmask_b32_e32 v6, v2, v8, vcc
	s_waitcnt lgkmcnt(0)
	v_cndmask_b32_e32 v9, v9, v31, vcc
	v_cndmask_b32_e32 v8, v8, v30, vcc
	;; [unrolled: 1-line block ×6, first 2 shown]
	v_cmp_lt_u32_e32 vcc, v29, v28
	v_cmp_lt_i64_e64 s[0:1], v[8:9], v[2:3]
	s_and_b64 vcc, vcc, s[0:1]
	v_cndmask_b32_e32 v2, v2, v8, vcc
	v_cndmask_b32_e32 v3, v3, v9, vcc
	v_cmp_lt_u32_e32 vcc, v32, v27
	v_cndmask_b32_e32 v9, v9, v3, vcc
	v_cndmask_b32_e32 v8, v8, v2, vcc
.LBB3231_34:
	s_or_b64 exec, exec, s[16:17]
	v_mov_b32_e32 v2, v4
	v_mov_b32_e32 v3, v5
	v_and_b32_e32 v28, 0x1c0, v26
	; wave barrier
	ds_write_b128 v25, v[0:3]
	ds_write_b128 v25, v[6:9] offset:16
	v_or_b32_e32 v2, 32, v28
	v_min_u32_e32 v27, v24, v2
	v_add_u32_e32 v2, 32, v27
	v_min_u32_e32 v25, v24, v2
	v_and_b32_e32 v2, 60, v26
	v_min_u32_e32 v26, v24, v2
	v_sub_u32_e32 v24, v27, v28
	v_sub_u32_e32 v3, v25, v27
	v_sub_u32_e64 v3, v26, v3 clamp
	v_min_u32_e32 v24, v26, v24
	v_lshl_add_u32 v2, v28, 3, v23
	v_cmp_lt_u32_e32 vcc, v3, v24
	; wave barrier
	s_and_saveexec_b64 s[0:1], vcc
	s_cbranch_execz .LBB3231_38
; %bb.35:
	v_lshlrev_b32_e32 v29, 3, v27
	v_lshlrev_b32_e32 v30, 3, v26
	v_add3_u32 v29, v23, v29, v30
	s_mov_b64 s[2:3], 0
.LBB3231_36:                            ; =>This Inner Loop Header: Depth=1
	v_add_u32_e32 v30, v24, v3
	v_lshrrev_b32_e32 v34, 1, v30
	v_not_b32_e32 v30, v34
	v_lshl_add_u32 v31, v34, 3, v2
	v_lshl_add_u32 v32, v30, 3, v29
	ds_read_b64 v[30:31], v31
	ds_read_b64 v[32:33], v32
	v_add_u32_e32 v35, 1, v34
	s_waitcnt lgkmcnt(0)
	v_cmp_gt_i64_e32 vcc, v[30:31], v[32:33]
	v_cndmask_b32_e32 v24, v24, v34, vcc
	v_cndmask_b32_e32 v3, v35, v3, vcc
	v_cmp_ge_u32_e32 vcc, v3, v24
	s_or_b64 s[2:3], vcc, s[2:3]
	s_andn2_b64 exec, exec, s[2:3]
	s_cbranch_execnz .LBB3231_36
; %bb.37:
	s_or_b64 exec, exec, s[2:3]
.LBB3231_38:
	s_or_b64 exec, exec, s[0:1]
	v_add_u32_e32 v26, v27, v26
	v_add_u32_e32 v24, v3, v28
	v_sub_u32_e32 v26, v26, v3
	v_cmp_le_u32_e32 vcc, v24, v27
	v_cmp_le_u32_e64 s[0:1], v26, v25
	s_or_b64 s[0:1], vcc, s[0:1]
	s_and_saveexec_b64 s[16:17], s[0:1]
	s_cbranch_execz .LBB3231_44
; %bb.39:
	v_cmp_lt_u32_e32 vcc, v24, v27
                                        ; implicit-def: $vgpr0_vgpr1
	s_and_saveexec_b64 s[0:1], vcc
	s_cbranch_execz .LBB3231_41
; %bb.40:
	v_lshl_add_u32 v0, v3, 3, v2
	ds_read_b64 v[0:1], v0
.LBB3231_41:
	s_or_b64 exec, exec, s[0:1]
	v_cmp_ge_u32_e64 s[0:1], v26, v25
	v_cmp_lt_u32_e64 s[2:3], v26, v25
                                        ; implicit-def: $vgpr2_vgpr3
	s_and_saveexec_b64 s[4:5], s[2:3]
	s_cbranch_execz .LBB3231_43
; %bb.42:
	v_lshl_add_u32 v2, v26, 3, v23
	ds_read_b64 v[2:3], v2
.LBB3231_43:
	s_or_b64 exec, exec, s[4:5]
	s_waitcnt lgkmcnt(0)
	v_cmp_le_i64_e64 s[2:3], v[0:1], v[2:3]
	s_and_b64 s[2:3], vcc, s[2:3]
	s_or_b64 vcc, s[0:1], s[2:3]
	v_cndmask_b32_e32 v4, v26, v24, vcc
	v_cndmask_b32_e32 v5, v25, v27, vcc
	v_add_u32_e32 v8, 1, v4
	v_add_u32_e32 v4, -1, v5
	v_min_u32_e32 v4, v8, v4
	v_lshl_add_u32 v4, v4, 3, v23
	ds_read_b64 v[4:5], v4
	v_cndmask_b32_e32 v24, v24, v8, vcc
	v_cndmask_b32_e32 v26, v8, v26, vcc
	v_cmp_lt_u32_e64 s[2:3], v24, v27
	v_cmp_ge_u32_e64 s[0:1], v26, v25
	s_waitcnt lgkmcnt(0)
	v_cndmask_b32_e32 v7, v5, v3, vcc
	v_cndmask_b32_e32 v6, v4, v2, vcc
	;; [unrolled: 1-line block ×4, first 2 shown]
	v_cmp_le_i64_e64 s[4:5], v[4:5], v[6:7]
	s_and_b64 s[2:3], s[2:3], s[4:5]
	s_or_b64 s[0:1], s[0:1], s[2:3]
	v_cndmask_b32_e64 v8, v26, v24, s[0:1]
	v_cndmask_b32_e64 v9, v25, v27, s[0:1]
	v_add_u32_e32 v28, 1, v8
	v_add_u32_e32 v8, -1, v9
	v_min_u32_e32 v8, v28, v8
	v_lshl_add_u32 v8, v8, 3, v23
	ds_read_b64 v[8:9], v8
	v_cndmask_b32_e32 v1, v3, v1, vcc
	v_cndmask_b32_e32 v0, v2, v0, vcc
	v_cndmask_b32_e64 v24, v24, v28, s[0:1]
	v_cndmask_b32_e64 v26, v28, v26, s[0:1]
	s_waitcnt lgkmcnt(0)
	v_cndmask_b32_e64 v3, v9, v7, s[0:1]
	v_cndmask_b32_e64 v2, v8, v6, s[0:1]
	;; [unrolled: 1-line block ×4, first 2 shown]
	v_cmp_lt_u32_e64 s[2:3], v24, v27
	v_cmp_le_i64_e64 s[4:5], v[8:9], v[2:3]
	v_cmp_ge_u32_e32 vcc, v26, v25
	s_and_b64 s[2:3], s[2:3], s[4:5]
	s_or_b64 vcc, vcc, s[2:3]
	v_cndmask_b32_e32 v28, v26, v24, vcc
	v_cndmask_b32_e32 v29, v25, v27, vcc
	v_add_u32_e32 v30, 1, v28
	v_add_u32_e32 v28, -1, v29
	v_min_u32_e32 v28, v30, v28
	v_lshl_add_u32 v23, v28, 3, v23
	ds_read_b64 v[28:29], v23
	v_cndmask_b32_e64 v5, v7, v5, s[0:1]
	v_cndmask_b32_e64 v4, v6, v4, s[0:1]
	v_cndmask_b32_e32 v7, v3, v9, vcc
	v_cndmask_b32_e32 v6, v2, v8, vcc
	s_waitcnt lgkmcnt(0)
	v_cndmask_b32_e32 v9, v9, v29, vcc
	v_cndmask_b32_e32 v8, v8, v28, vcc
	;; [unrolled: 1-line block ×6, first 2 shown]
	v_cmp_lt_u32_e32 vcc, v24, v27
	v_cmp_lt_i64_e64 s[0:1], v[8:9], v[2:3]
	s_and_b64 vcc, vcc, s[0:1]
	v_cndmask_b32_e32 v2, v2, v8, vcc
	v_cndmask_b32_e32 v3, v3, v9, vcc
	v_cmp_lt_u32_e32 vcc, v23, v25
	v_cndmask_b32_e32 v9, v9, v3, vcc
	v_cndmask_b32_e32 v8, v8, v2, vcc
.LBB3231_44:
	s_or_b64 exec, exec, s[16:17]
	v_lshlrev_b32_e32 v23, 5, v10
	v_mov_b32_e32 v2, v4
	v_mov_b32_e32 v3, v5
	v_and_b32_e32 v26, 0xf80, v13
	; wave barrier
	s_waitcnt lgkmcnt(0)
	s_barrier
	ds_write_b128 v23, v[0:3]
	ds_write_b128 v23, v[6:9] offset:16
	v_or_b32_e32 v2, 64, v26
	v_min_u32_e32 v25, 0x400, v2
	v_min_u32_e32 v2, 0x3c0, v2
	v_add_u32_e32 v24, 64, v2
	v_and_b32_e32 v27, 0x7c, v13
	v_sub_u32_e32 v28, v25, v26
	v_sub_u32_e32 v3, v24, v25
	v_sub_u32_e64 v3, v27, v3 clamp
	v_min_u32_e32 v28, v27, v28
	v_lshlrev_b32_e32 v2, 3, v26
	v_cmp_lt_u32_e32 vcc, v3, v28
	s_waitcnt lgkmcnt(0)
	s_barrier
	s_and_saveexec_b64 s[0:1], vcc
	s_cbranch_execz .LBB3231_48
; %bb.45:
	v_lshlrev_b32_e32 v29, 3, v27
	v_lshl_add_u32 v29, v25, 3, v29
	s_mov_b64 s[2:3], 0
.LBB3231_46:                            ; =>This Inner Loop Header: Depth=1
	v_add_u32_e32 v30, v28, v3
	v_lshrrev_b32_e32 v34, 1, v30
	v_not_b32_e32 v30, v34
	v_lshl_add_u32 v31, v34, 3, v2
	v_lshl_add_u32 v32, v30, 3, v29
	ds_read_b64 v[30:31], v31
	ds_read_b64 v[32:33], v32
	v_add_u32_e32 v35, 1, v34
	s_waitcnt lgkmcnt(0)
	v_cmp_gt_i64_e32 vcc, v[30:31], v[32:33]
	v_cndmask_b32_e32 v28, v28, v34, vcc
	v_cndmask_b32_e32 v3, v35, v3, vcc
	v_cmp_ge_u32_e32 vcc, v3, v28
	s_or_b64 s[2:3], vcc, s[2:3]
	s_andn2_b64 exec, exec, s[2:3]
	s_cbranch_execnz .LBB3231_46
; %bb.47:
	s_or_b64 exec, exec, s[2:3]
.LBB3231_48:
	s_or_b64 exec, exec, s[0:1]
	v_sub_u32_e32 v27, v27, v3
	v_add_u32_e32 v26, v3, v26
	v_add_u32_e32 v27, v27, v25
	v_cmp_le_u32_e32 vcc, v26, v25
	v_cmp_le_u32_e64 s[0:1], v27, v24
	s_or_b64 s[0:1], vcc, s[0:1]
	s_and_saveexec_b64 s[16:17], s[0:1]
	s_cbranch_execz .LBB3231_54
; %bb.49:
	v_cmp_lt_u32_e32 vcc, v26, v25
                                        ; implicit-def: $vgpr0_vgpr1
	s_and_saveexec_b64 s[0:1], vcc
	s_cbranch_execz .LBB3231_51
; %bb.50:
	v_lshl_add_u32 v0, v3, 3, v2
	ds_read_b64 v[0:1], v0
.LBB3231_51:
	s_or_b64 exec, exec, s[0:1]
	v_cmp_ge_u32_e64 s[0:1], v27, v24
	v_cmp_lt_u32_e64 s[2:3], v27, v24
                                        ; implicit-def: $vgpr2_vgpr3
	s_and_saveexec_b64 s[4:5], s[2:3]
	s_cbranch_execz .LBB3231_53
; %bb.52:
	v_lshlrev_b32_e32 v2, 3, v27
	ds_read_b64 v[2:3], v2
.LBB3231_53:
	s_or_b64 exec, exec, s[4:5]
	s_waitcnt lgkmcnt(0)
	v_cmp_le_i64_e64 s[2:3], v[0:1], v[2:3]
	s_and_b64 s[2:3], vcc, s[2:3]
	s_or_b64 vcc, s[0:1], s[2:3]
	v_cndmask_b32_e32 v4, v27, v26, vcc
	v_cndmask_b32_e32 v5, v24, v25, vcc
	v_add_u32_e32 v8, 1, v4
	v_add_u32_e32 v4, -1, v5
	v_min_u32_e32 v4, v8, v4
	v_lshlrev_b32_e32 v4, 3, v4
	ds_read_b64 v[4:5], v4
	v_cndmask_b32_e32 v26, v26, v8, vcc
	v_cndmask_b32_e32 v27, v8, v27, vcc
	v_cmp_lt_u32_e64 s[2:3], v26, v25
	v_cmp_ge_u32_e64 s[0:1], v27, v24
	s_waitcnt lgkmcnt(0)
	v_cndmask_b32_e32 v7, v5, v3, vcc
	v_cndmask_b32_e32 v6, v4, v2, vcc
	;; [unrolled: 1-line block ×4, first 2 shown]
	v_cmp_le_i64_e64 s[4:5], v[4:5], v[6:7]
	s_and_b64 s[2:3], s[2:3], s[4:5]
	s_or_b64 s[0:1], s[0:1], s[2:3]
	v_cndmask_b32_e64 v8, v27, v26, s[0:1]
	v_cndmask_b32_e64 v9, v24, v25, s[0:1]
	v_add_u32_e32 v28, 1, v8
	v_add_u32_e32 v8, -1, v9
	v_min_u32_e32 v8, v28, v8
	v_lshlrev_b32_e32 v8, 3, v8
	ds_read_b64 v[8:9], v8
	v_cndmask_b32_e32 v1, v3, v1, vcc
	v_cndmask_b32_e32 v0, v2, v0, vcc
	v_cndmask_b32_e64 v29, v28, v27, s[0:1]
	v_cndmask_b32_e64 v28, v26, v28, s[0:1]
	s_waitcnt lgkmcnt(0)
	v_cndmask_b32_e64 v3, v9, v7, s[0:1]
	v_cndmask_b32_e64 v2, v8, v6, s[0:1]
	;; [unrolled: 1-line block ×4, first 2 shown]
	v_cmp_lt_u32_e64 s[2:3], v28, v25
	v_cmp_le_i64_e64 s[4:5], v[8:9], v[2:3]
	v_cmp_ge_u32_e32 vcc, v29, v24
	s_and_b64 s[2:3], s[2:3], s[4:5]
	s_or_b64 vcc, vcc, s[2:3]
	v_cndmask_b32_e32 v26, v29, v28, vcc
	v_cndmask_b32_e32 v27, v24, v25, vcc
	v_add_u32_e32 v30, 1, v26
	v_add_u32_e32 v26, -1, v27
	v_min_u32_e32 v26, v30, v26
	v_lshlrev_b32_e32 v26, 3, v26
	ds_read_b64 v[26:27], v26
	v_cndmask_b32_e64 v5, v7, v5, s[0:1]
	v_cndmask_b32_e64 v4, v6, v4, s[0:1]
	v_cndmask_b32_e32 v7, v3, v9, vcc
	v_cndmask_b32_e32 v6, v2, v8, vcc
	s_waitcnt lgkmcnt(0)
	v_cndmask_b32_e32 v9, v9, v27, vcc
	v_cndmask_b32_e32 v8, v8, v26, vcc
	;; [unrolled: 1-line block ×6, first 2 shown]
	v_cmp_lt_u32_e32 vcc, v26, v25
	v_cmp_lt_i64_e64 s[0:1], v[8:9], v[2:3]
	s_and_b64 vcc, vcc, s[0:1]
	v_cndmask_b32_e32 v2, v2, v8, vcc
	v_cndmask_b32_e32 v3, v3, v9, vcc
	v_cmp_lt_u32_e32 vcc, v29, v24
	v_cndmask_b32_e32 v9, v9, v3, vcc
	v_cndmask_b32_e32 v8, v8, v2, vcc
.LBB3231_54:
	s_or_b64 exec, exec, s[16:17]
	v_mov_b32_e32 v2, v4
	v_mov_b32_e32 v3, v5
	v_and_b32_e32 v26, 0xf00, v13
	s_barrier
	ds_write_b128 v23, v[0:3]
	ds_write_b128 v23, v[6:9] offset:16
	v_or_b32_e32 v2, 0x80, v26
	v_min_u32_e32 v25, 0x400, v2
	v_min_u32_e32 v2, 0x380, v2
	v_add_u32_e32 v24, 0x80, v2
	v_and_b32_e32 v27, 0xfc, v13
	v_sub_u32_e32 v28, v25, v26
	v_sub_u32_e32 v3, v24, v25
	v_sub_u32_e64 v3, v27, v3 clamp
	v_min_u32_e32 v28, v27, v28
	v_lshlrev_b32_e32 v2, 3, v26
	v_cmp_lt_u32_e32 vcc, v3, v28
	s_waitcnt lgkmcnt(0)
	s_barrier
	s_and_saveexec_b64 s[0:1], vcc
	s_cbranch_execz .LBB3231_58
; %bb.55:
	v_lshlrev_b32_e32 v29, 3, v27
	v_lshl_add_u32 v29, v25, 3, v29
	s_mov_b64 s[2:3], 0
.LBB3231_56:                            ; =>This Inner Loop Header: Depth=1
	v_add_u32_e32 v30, v28, v3
	v_lshrrev_b32_e32 v34, 1, v30
	v_not_b32_e32 v30, v34
	v_lshl_add_u32 v31, v34, 3, v2
	v_lshl_add_u32 v32, v30, 3, v29
	ds_read_b64 v[30:31], v31
	ds_read_b64 v[32:33], v32
	v_add_u32_e32 v35, 1, v34
	s_waitcnt lgkmcnt(0)
	v_cmp_gt_i64_e32 vcc, v[30:31], v[32:33]
	v_cndmask_b32_e32 v28, v28, v34, vcc
	v_cndmask_b32_e32 v3, v35, v3, vcc
	v_cmp_ge_u32_e32 vcc, v3, v28
	s_or_b64 s[2:3], vcc, s[2:3]
	s_andn2_b64 exec, exec, s[2:3]
	s_cbranch_execnz .LBB3231_56
; %bb.57:
	s_or_b64 exec, exec, s[2:3]
.LBB3231_58:
	s_or_b64 exec, exec, s[0:1]
	v_sub_u32_e32 v27, v27, v3
	v_add_u32_e32 v26, v3, v26
	v_add_u32_e32 v27, v27, v25
	v_cmp_le_u32_e32 vcc, v26, v25
	v_cmp_le_u32_e64 s[0:1], v27, v24
	s_or_b64 s[0:1], vcc, s[0:1]
	s_and_saveexec_b64 s[16:17], s[0:1]
	s_cbranch_execz .LBB3231_64
; %bb.59:
	v_cmp_lt_u32_e32 vcc, v26, v25
                                        ; implicit-def: $vgpr0_vgpr1
	s_and_saveexec_b64 s[0:1], vcc
	s_cbranch_execz .LBB3231_61
; %bb.60:
	v_lshl_add_u32 v0, v3, 3, v2
	ds_read_b64 v[0:1], v0
.LBB3231_61:
	s_or_b64 exec, exec, s[0:1]
	v_cmp_ge_u32_e64 s[0:1], v27, v24
	v_cmp_lt_u32_e64 s[2:3], v27, v24
                                        ; implicit-def: $vgpr2_vgpr3
	s_and_saveexec_b64 s[4:5], s[2:3]
	s_cbranch_execz .LBB3231_63
; %bb.62:
	v_lshlrev_b32_e32 v2, 3, v27
	ds_read_b64 v[2:3], v2
.LBB3231_63:
	s_or_b64 exec, exec, s[4:5]
	s_waitcnt lgkmcnt(0)
	v_cmp_le_i64_e64 s[2:3], v[0:1], v[2:3]
	s_and_b64 s[2:3], vcc, s[2:3]
	s_or_b64 vcc, s[0:1], s[2:3]
	v_cndmask_b32_e32 v4, v27, v26, vcc
	v_cndmask_b32_e32 v5, v24, v25, vcc
	v_add_u32_e32 v8, 1, v4
	v_add_u32_e32 v4, -1, v5
	v_min_u32_e32 v4, v8, v4
	v_lshlrev_b32_e32 v4, 3, v4
	ds_read_b64 v[4:5], v4
	v_cndmask_b32_e32 v26, v26, v8, vcc
	v_cndmask_b32_e32 v27, v8, v27, vcc
	v_cmp_lt_u32_e64 s[2:3], v26, v25
	v_cmp_ge_u32_e64 s[0:1], v27, v24
	s_waitcnt lgkmcnt(0)
	v_cndmask_b32_e32 v7, v5, v3, vcc
	v_cndmask_b32_e32 v6, v4, v2, vcc
	;; [unrolled: 1-line block ×4, first 2 shown]
	v_cmp_le_i64_e64 s[4:5], v[4:5], v[6:7]
	s_and_b64 s[2:3], s[2:3], s[4:5]
	s_or_b64 s[0:1], s[0:1], s[2:3]
	v_cndmask_b32_e64 v8, v27, v26, s[0:1]
	v_cndmask_b32_e64 v9, v24, v25, s[0:1]
	v_add_u32_e32 v28, 1, v8
	v_add_u32_e32 v8, -1, v9
	v_min_u32_e32 v8, v28, v8
	v_lshlrev_b32_e32 v8, 3, v8
	ds_read_b64 v[8:9], v8
	v_cndmask_b32_e32 v1, v3, v1, vcc
	v_cndmask_b32_e32 v0, v2, v0, vcc
	v_cndmask_b32_e64 v29, v28, v27, s[0:1]
	v_cndmask_b32_e64 v28, v26, v28, s[0:1]
	s_waitcnt lgkmcnt(0)
	v_cndmask_b32_e64 v3, v9, v7, s[0:1]
	v_cndmask_b32_e64 v2, v8, v6, s[0:1]
	;; [unrolled: 1-line block ×4, first 2 shown]
	v_cmp_lt_u32_e64 s[2:3], v28, v25
	v_cmp_le_i64_e64 s[4:5], v[8:9], v[2:3]
	v_cmp_ge_u32_e32 vcc, v29, v24
	s_and_b64 s[2:3], s[2:3], s[4:5]
	s_or_b64 vcc, vcc, s[2:3]
	v_cndmask_b32_e32 v26, v29, v28, vcc
	v_cndmask_b32_e32 v27, v24, v25, vcc
	v_add_u32_e32 v30, 1, v26
	v_add_u32_e32 v26, -1, v27
	v_min_u32_e32 v26, v30, v26
	v_lshlrev_b32_e32 v26, 3, v26
	ds_read_b64 v[26:27], v26
	v_cndmask_b32_e64 v5, v7, v5, s[0:1]
	v_cndmask_b32_e64 v4, v6, v4, s[0:1]
	v_cndmask_b32_e32 v7, v3, v9, vcc
	v_cndmask_b32_e32 v6, v2, v8, vcc
	s_waitcnt lgkmcnt(0)
	v_cndmask_b32_e32 v9, v9, v27, vcc
	v_cndmask_b32_e32 v8, v8, v26, vcc
	;; [unrolled: 1-line block ×6, first 2 shown]
	v_cmp_lt_u32_e32 vcc, v26, v25
	v_cmp_lt_i64_e64 s[0:1], v[8:9], v[2:3]
	s_and_b64 vcc, vcc, s[0:1]
	v_cndmask_b32_e32 v2, v2, v8, vcc
	v_cndmask_b32_e32 v3, v3, v9, vcc
	v_cmp_lt_u32_e32 vcc, v29, v24
	v_cndmask_b32_e32 v9, v9, v3, vcc
	v_cndmask_b32_e32 v8, v8, v2, vcc
.LBB3231_64:
	s_or_b64 exec, exec, s[16:17]
	v_mov_b32_e32 v2, v4
	v_mov_b32_e32 v3, v5
	v_and_b32_e32 v26, 0xe00, v13
	s_barrier
	ds_write_b128 v23, v[0:3]
	ds_write_b128 v23, v[6:9] offset:16
	v_or_b32_e32 v2, 0x100, v26
	v_min_u32_e32 v25, 0x400, v2
	v_min_u32_e32 v2, 0x300, v2
	v_add_u32_e32 v24, 0x100, v2
	v_and_b32_e32 v27, 0x1fc, v13
	v_sub_u32_e32 v28, v25, v26
	v_sub_u32_e32 v3, v24, v25
	v_sub_u32_e64 v3, v27, v3 clamp
	v_min_u32_e32 v28, v27, v28
	v_lshlrev_b32_e32 v2, 3, v26
	v_cmp_lt_u32_e32 vcc, v3, v28
	s_waitcnt lgkmcnt(0)
	s_barrier
	s_and_saveexec_b64 s[0:1], vcc
	s_cbranch_execz .LBB3231_68
; %bb.65:
	v_lshlrev_b32_e32 v29, 3, v27
	v_lshl_add_u32 v29, v25, 3, v29
	s_mov_b64 s[2:3], 0
.LBB3231_66:                            ; =>This Inner Loop Header: Depth=1
	v_add_u32_e32 v30, v28, v3
	v_lshrrev_b32_e32 v34, 1, v30
	v_not_b32_e32 v30, v34
	v_lshl_add_u32 v31, v34, 3, v2
	v_lshl_add_u32 v32, v30, 3, v29
	ds_read_b64 v[30:31], v31
	ds_read_b64 v[32:33], v32
	v_add_u32_e32 v35, 1, v34
	s_waitcnt lgkmcnt(0)
	v_cmp_gt_i64_e32 vcc, v[30:31], v[32:33]
	v_cndmask_b32_e32 v28, v28, v34, vcc
	v_cndmask_b32_e32 v3, v35, v3, vcc
	v_cmp_ge_u32_e32 vcc, v3, v28
	s_or_b64 s[2:3], vcc, s[2:3]
	s_andn2_b64 exec, exec, s[2:3]
	s_cbranch_execnz .LBB3231_66
; %bb.67:
	s_or_b64 exec, exec, s[2:3]
.LBB3231_68:
	s_or_b64 exec, exec, s[0:1]
	v_sub_u32_e32 v27, v27, v3
	v_add_u32_e32 v26, v3, v26
	v_add_u32_e32 v27, v27, v25
	v_cmp_le_u32_e32 vcc, v26, v25
	v_cmp_le_u32_e64 s[0:1], v27, v24
	s_or_b64 s[0:1], vcc, s[0:1]
	s_and_saveexec_b64 s[16:17], s[0:1]
	s_cbranch_execz .LBB3231_74
; %bb.69:
	v_cmp_lt_u32_e32 vcc, v26, v25
                                        ; implicit-def: $vgpr0_vgpr1
	s_and_saveexec_b64 s[0:1], vcc
	s_cbranch_execz .LBB3231_71
; %bb.70:
	v_lshl_add_u32 v0, v3, 3, v2
	ds_read_b64 v[0:1], v0
.LBB3231_71:
	s_or_b64 exec, exec, s[0:1]
	v_cmp_ge_u32_e64 s[0:1], v27, v24
	v_cmp_lt_u32_e64 s[2:3], v27, v24
                                        ; implicit-def: $vgpr2_vgpr3
	s_and_saveexec_b64 s[4:5], s[2:3]
	s_cbranch_execz .LBB3231_73
; %bb.72:
	v_lshlrev_b32_e32 v2, 3, v27
	ds_read_b64 v[2:3], v2
.LBB3231_73:
	s_or_b64 exec, exec, s[4:5]
	s_waitcnt lgkmcnt(0)
	v_cmp_le_i64_e64 s[2:3], v[0:1], v[2:3]
	s_and_b64 s[2:3], vcc, s[2:3]
	s_or_b64 vcc, s[0:1], s[2:3]
	v_cndmask_b32_e32 v4, v27, v26, vcc
	v_cndmask_b32_e32 v5, v24, v25, vcc
	v_add_u32_e32 v8, 1, v4
	v_add_u32_e32 v4, -1, v5
	v_min_u32_e32 v4, v8, v4
	v_lshlrev_b32_e32 v4, 3, v4
	ds_read_b64 v[4:5], v4
	v_cndmask_b32_e32 v26, v26, v8, vcc
	v_cndmask_b32_e32 v27, v8, v27, vcc
	v_cmp_lt_u32_e64 s[2:3], v26, v25
	v_cmp_ge_u32_e64 s[0:1], v27, v24
	s_waitcnt lgkmcnt(0)
	v_cndmask_b32_e32 v7, v5, v3, vcc
	v_cndmask_b32_e32 v6, v4, v2, vcc
	;; [unrolled: 1-line block ×4, first 2 shown]
	v_cmp_le_i64_e64 s[4:5], v[4:5], v[6:7]
	s_and_b64 s[2:3], s[2:3], s[4:5]
	s_or_b64 s[0:1], s[0:1], s[2:3]
	v_cndmask_b32_e64 v8, v27, v26, s[0:1]
	v_cndmask_b32_e64 v9, v24, v25, s[0:1]
	v_add_u32_e32 v28, 1, v8
	v_add_u32_e32 v8, -1, v9
	v_min_u32_e32 v8, v28, v8
	v_lshlrev_b32_e32 v8, 3, v8
	ds_read_b64 v[8:9], v8
	v_cndmask_b32_e32 v1, v3, v1, vcc
	v_cndmask_b32_e32 v0, v2, v0, vcc
	v_cndmask_b32_e64 v29, v28, v27, s[0:1]
	v_cndmask_b32_e64 v28, v26, v28, s[0:1]
	s_waitcnt lgkmcnt(0)
	v_cndmask_b32_e64 v3, v9, v7, s[0:1]
	v_cndmask_b32_e64 v2, v8, v6, s[0:1]
	;; [unrolled: 1-line block ×4, first 2 shown]
	v_cmp_lt_u32_e64 s[2:3], v28, v25
	v_cmp_le_i64_e64 s[4:5], v[8:9], v[2:3]
	v_cmp_ge_u32_e32 vcc, v29, v24
	s_and_b64 s[2:3], s[2:3], s[4:5]
	s_or_b64 vcc, vcc, s[2:3]
	v_cndmask_b32_e32 v26, v29, v28, vcc
	v_cndmask_b32_e32 v27, v24, v25, vcc
	v_add_u32_e32 v30, 1, v26
	v_add_u32_e32 v26, -1, v27
	v_min_u32_e32 v26, v30, v26
	v_lshlrev_b32_e32 v26, 3, v26
	ds_read_b64 v[26:27], v26
	v_cndmask_b32_e64 v5, v7, v5, s[0:1]
	v_cndmask_b32_e64 v4, v6, v4, s[0:1]
	v_cndmask_b32_e32 v7, v3, v9, vcc
	v_cndmask_b32_e32 v6, v2, v8, vcc
	s_waitcnt lgkmcnt(0)
	v_cndmask_b32_e32 v9, v9, v27, vcc
	v_cndmask_b32_e32 v8, v8, v26, vcc
	;; [unrolled: 1-line block ×6, first 2 shown]
	v_cmp_lt_u32_e32 vcc, v26, v25
	v_cmp_lt_i64_e64 s[0:1], v[8:9], v[2:3]
	s_and_b64 vcc, vcc, s[0:1]
	v_cndmask_b32_e32 v2, v2, v8, vcc
	v_cndmask_b32_e32 v3, v3, v9, vcc
	v_cmp_lt_u32_e32 vcc, v29, v24
	v_cndmask_b32_e32 v9, v9, v3, vcc
	v_cndmask_b32_e32 v8, v8, v2, vcc
.LBB3231_74:
	s_or_b64 exec, exec, s[16:17]
	v_mov_b32_e32 v2, v4
	v_mov_b32_e32 v3, v5
	v_and_b32_e32 v24, 0xc00, v13
	s_barrier
	ds_write_b128 v23, v[0:3]
	ds_write_b128 v23, v[6:9] offset:16
	v_or_b32_e32 v2, 0x200, v24
	v_min_u32_e32 v23, 0x400, v2
	v_and_b32_e32 v25, 0x3fc, v13
	v_sub_u32_e32 v26, v23, v24
	v_sub_u32_e32 v3, 0x400, v23
	v_sub_u32_e64 v3, v25, v3 clamp
	v_min_u32_e32 v26, v25, v26
	v_lshlrev_b32_e32 v2, 3, v24
	v_cmp_lt_u32_e32 vcc, v3, v26
	s_waitcnt lgkmcnt(0)
	s_barrier
	s_and_saveexec_b64 s[0:1], vcc
	s_cbranch_execz .LBB3231_78
; %bb.75:
	v_lshlrev_b32_e32 v27, 3, v25
	v_lshl_add_u32 v27, v23, 3, v27
	s_mov_b64 s[2:3], 0
.LBB3231_76:                            ; =>This Inner Loop Header: Depth=1
	v_add_u32_e32 v28, v26, v3
	v_lshrrev_b32_e32 v32, 1, v28
	v_not_b32_e32 v28, v32
	v_lshl_add_u32 v29, v32, 3, v2
	v_lshl_add_u32 v30, v28, 3, v27
	ds_read_b64 v[28:29], v29
	ds_read_b64 v[30:31], v30
	v_add_u32_e32 v33, 1, v32
	s_waitcnt lgkmcnt(0)
	v_cmp_gt_i64_e32 vcc, v[28:29], v[30:31]
	v_cndmask_b32_e32 v26, v26, v32, vcc
	v_cndmask_b32_e32 v3, v33, v3, vcc
	v_cmp_ge_u32_e32 vcc, v3, v26
	s_or_b64 s[2:3], vcc, s[2:3]
	s_andn2_b64 exec, exec, s[2:3]
	s_cbranch_execnz .LBB3231_76
; %bb.77:
	s_or_b64 exec, exec, s[2:3]
.LBB3231_78:
	s_or_b64 exec, exec, s[0:1]
	v_sub_u32_e32 v25, v25, v3
	v_add_u32_e32 v24, v3, v24
	v_add_u32_e32 v25, v25, v23
	s_movk_i32 s0, 0x401
	v_cmp_le_u32_e32 vcc, v24, v23
	v_cmp_gt_u32_e64 s[0:1], s0, v25
	s_or_b64 s[0:1], vcc, s[0:1]
	s_and_saveexec_b64 s[16:17], s[0:1]
	s_cbranch_execz .LBB3231_84
; %bb.79:
	v_cmp_lt_u32_e32 vcc, v24, v23
                                        ; implicit-def: $vgpr0_vgpr1
	s_and_saveexec_b64 s[0:1], vcc
	s_cbranch_execz .LBB3231_81
; %bb.80:
	v_lshl_add_u32 v0, v3, 3, v2
	ds_read_b64 v[0:1], v0
.LBB3231_81:
	s_or_b64 exec, exec, s[0:1]
	s_movk_i32 s20, 0x3ff
	s_movk_i32 s19, 0x400
	v_cmp_lt_u32_e64 s[0:1], s20, v25
	v_cmp_gt_u32_e64 s[2:3], s19, v25
                                        ; implicit-def: $vgpr2_vgpr3
	s_and_saveexec_b64 s[4:5], s[2:3]
	s_cbranch_execz .LBB3231_83
; %bb.82:
	v_lshlrev_b32_e32 v2, 3, v25
	ds_read_b64 v[2:3], v2
.LBB3231_83:
	s_or_b64 exec, exec, s[4:5]
	s_waitcnt lgkmcnt(0)
	v_cmp_le_i64_e64 s[2:3], v[0:1], v[2:3]
	s_and_b64 s[2:3], vcc, s[2:3]
	s_or_b64 vcc, s[0:1], s[2:3]
	v_cndmask_b32_e32 v4, v25, v24, vcc
	v_add_u32_e32 v26, -1, v23
	v_mov_b32_e32 v27, 0x3ff
	v_add_u32_e32 v8, 1, v4
	v_cndmask_b32_e32 v4, v27, v26, vcc
	v_min_u32_e32 v4, v8, v4
	v_lshlrev_b32_e32 v4, 3, v4
	ds_read_b64 v[4:5], v4
	v_cndmask_b32_e32 v24, v24, v8, vcc
	v_cndmask_b32_e32 v25, v8, v25, vcc
	v_cmp_lt_u32_e64 s[2:3], v24, v23
	v_cmp_lt_u32_e64 s[0:1], s20, v25
	s_waitcnt lgkmcnt(0)
	v_cndmask_b32_e32 v7, v5, v3, vcc
	v_cndmask_b32_e32 v6, v4, v2, vcc
	;; [unrolled: 1-line block ×4, first 2 shown]
	v_cmp_le_i64_e64 s[4:5], v[4:5], v[6:7]
	s_and_b64 s[2:3], s[2:3], s[4:5]
	s_or_b64 s[0:1], s[0:1], s[2:3]
	v_cndmask_b32_e64 v8, v25, v24, s[0:1]
	v_add_u32_e32 v28, 1, v8
	v_cndmask_b32_e64 v8, v27, v26, s[0:1]
	v_min_u32_e32 v8, v28, v8
	v_lshlrev_b32_e32 v8, 3, v8
	ds_read_b64 v[8:9], v8
	v_cndmask_b32_e32 v1, v3, v1, vcc
	v_cndmask_b32_e32 v0, v2, v0, vcc
	v_cndmask_b32_e64 v29, v28, v25, s[0:1]
	v_cndmask_b32_e64 v28, v24, v28, s[0:1]
	s_waitcnt lgkmcnt(0)
	v_cndmask_b32_e64 v3, v9, v7, s[0:1]
	v_cndmask_b32_e64 v2, v8, v6, s[0:1]
	;; [unrolled: 1-line block ×4, first 2 shown]
	v_cmp_lt_u32_e64 s[2:3], v28, v23
	v_cmp_le_i64_e64 s[4:5], v[8:9], v[2:3]
	v_cmp_lt_u32_e32 vcc, s20, v29
	s_and_b64 s[2:3], s[2:3], s[4:5]
	s_or_b64 vcc, vcc, s[2:3]
	v_cndmask_b32_e32 v24, v29, v28, vcc
	v_add_u32_e32 v30, 1, v24
	v_cndmask_b32_e32 v24, v27, v26, vcc
	v_min_u32_e32 v24, v30, v24
	v_lshlrev_b32_e32 v24, 3, v24
	ds_read_b64 v[24:25], v24
	v_cndmask_b32_e64 v5, v7, v5, s[0:1]
	v_cndmask_b32_e64 v4, v6, v4, s[0:1]
	v_cndmask_b32_e32 v7, v3, v9, vcc
	v_cndmask_b32_e32 v6, v2, v8, vcc
	s_waitcnt lgkmcnt(0)
	v_cndmask_b32_e32 v9, v9, v25, vcc
	v_cndmask_b32_e32 v8, v8, v24, vcc
	;; [unrolled: 1-line block ×6, first 2 shown]
	v_cmp_lt_u32_e32 vcc, v24, v23
	v_cmp_lt_i64_e64 s[0:1], v[8:9], v[2:3]
	s_and_b64 vcc, vcc, s[0:1]
	v_cndmask_b32_e32 v2, v2, v8, vcc
	v_cndmask_b32_e32 v3, v3, v9, vcc
	v_cmp_gt_u32_e32 vcc, s19, v26
	v_cndmask_b32_e32 v9, v9, v3, vcc
	v_cndmask_b32_e32 v8, v8, v2, vcc
.LBB3231_84:
	s_or_b64 exec, exec, s[16:17]
	v_mov_b32_e32 v2, v4
	v_mov_b32_e32 v3, v5
	s_barrier
	s_barrier
	ds_write2_b64 v19, v[0:1], v[2:3] offset1:1
	ds_write2_b64 v19, v[6:7], v[8:9] offset0:2 offset1:3
	s_waitcnt lgkmcnt(0)
	s_barrier
	ds_read_b64 v[2:3], v18
	ds_read_b64 v[4:5], v20 offset:2048
	ds_read_b64 v[6:7], v21 offset:4096
	;; [unrolled: 1-line block ×3, first 2 shown]
	v_mov_b32_e32 v9, s18
	v_add_co_u32_e32 v8, vcc, s15, v12
	v_addc_co_u32_e32 v9, vcc, 0, v9, vcc
	s_waitcnt lgkmcnt(3)
	flat_store_dwordx2 v[8:9], v[2:3]
	s_waitcnt lgkmcnt(0)
	flat_store_dwordx2 v[8:9], v[4:5] offset:2048
	v_add_co_u32_e32 v2, vcc, 0x1000, v8
	v_addc_co_u32_e32 v3, vcc, 0, v9, vcc
	flat_store_dwordx2 v[2:3], v[6:7]
	s_mov_b64 s[16:17], -1
	s_branch .LBB3231_152
.LBB3231_85:
	s_mov_b64 s[16:17], 0
                                        ; implicit-def: $vgpr0_vgpr1
	s_cbranch_execz .LBB3231_152
; %bb.86:
	s_lshl_b64 s[0:1], s[8:9], 10
	s_sub_i32 s14, s14, s0
	v_cmp_gt_u32_e32 vcc, s14, v10
                                        ; implicit-def: $vgpr0_vgpr1_vgpr2_vgpr3_vgpr4_vgpr5_vgpr6_vgpr7
	s_and_saveexec_b64 s[2:3], vcc
	s_cbranch_execz .LBB3231_88
; %bb.87:
	v_mov_b32_e32 v1, s13
	v_add_co_u32_e64 v0, s[0:1], s7, v12
	v_addc_co_u32_e64 v1, s[0:1], 0, v1, s[0:1]
	flat_load_dwordx2 v[0:1], v[0:1]
.LBB3231_88:
	s_or_b64 exec, exec, s[2:3]
	v_add_u32_e32 v9, 0x100, v10
	v_cmp_gt_u32_e64 s[0:1], s14, v9
	s_and_saveexec_b64 s[4:5], s[0:1]
	s_cbranch_execz .LBB3231_90
; %bb.89:
	v_mov_b32_e32 v3, s13
	v_add_co_u32_e64 v2, s[2:3], s7, v12
	v_addc_co_u32_e64 v3, s[2:3], 0, v3, s[2:3]
	flat_load_dwordx2 v[2:3], v[2:3] offset:2048
.LBB3231_90:
	s_or_b64 exec, exec, s[4:5]
	v_add_u32_e32 v11, 0x200, v10
	v_cmp_gt_u32_e64 s[2:3], s14, v11
	s_and_saveexec_b64 s[8:9], s[2:3]
	s_cbranch_execz .LBB3231_92
; %bb.91:
	v_lshlrev_b32_e32 v4, 3, v11
	v_mov_b32_e32 v5, s13
	v_add_co_u32_e64 v4, s[4:5], s7, v4
	v_addc_co_u32_e64 v5, s[4:5], 0, v5, s[4:5]
	flat_load_dwordx2 v[4:5], v[4:5]
.LBB3231_92:
	s_or_b64 exec, exec, s[8:9]
	v_add_u32_e32 v18, 0x300, v10
	v_cmp_gt_u32_e64 s[16:17], s14, v18
	s_and_saveexec_b64 s[8:9], s[16:17]
	s_cbranch_execz .LBB3231_94
; %bb.93:
	v_lshlrev_b32_e32 v6, 3, v18
	v_mov_b32_e32 v7, s13
	v_add_co_u32_e64 v6, s[4:5], s7, v6
	v_addc_co_u32_e64 v7, s[4:5], 0, v7, s[4:5]
	flat_load_dwordx2 v[6:7], v[6:7]
.LBB3231_94:
	s_or_b64 exec, exec, s[8:9]
	v_and_b32_e32 v8, 0xf8, v17
	v_add_u32_e32 v8, v8, v12
	s_waitcnt vmcnt(0) lgkmcnt(0)
	ds_write_b64 v8, v[0:1]
	v_lshrrev_b32_e32 v0, 2, v9
	v_and_b32_e32 v0, 0x1f8, v0
	v_add_u32_e32 v9, v0, v12
	v_lshrrev_b32_e32 v0, 2, v11
	v_and_b32_e32 v0, 0x1f8, v0
	v_add_u32_e32 v11, v0, v12
	;; [unrolled: 3-line block ×3, first 2 shown]
	v_add_lshl_u32 v16, v16, v13, 3
	ds_write_b64 v9, v[2:3] offset:2048
	ds_write_b64 v11, v[4:5] offset:4096
	;; [unrolled: 1-line block ×3, first 2 shown]
	s_waitcnt lgkmcnt(0)
	s_barrier
	ds_read2_b64 v[0:3], v16 offset1:1
	ds_read2_b64 v[4:7], v16 offset0:2 offset1:3
	s_waitcnt lgkmcnt(0)
	s_barrier
	s_load_dword s4, s[10:11], 0xc
	v_mov_b32_e32 v18, 0
	s_waitcnt lgkmcnt(0)
	s_lshr_b32 s8, s4, 16
	s_cmp_lt_u32 s6, s12
	s_cselect_b32 s4, 12, 18
	s_add_u32 s4, s10, s4
	s_addc_u32 s5, s11, 0
	global_load_ushort v19, v18, s[4:5]
	v_mad_u32_u24 v14, v15, s8, v14
	v_mbcnt_lo_u32_b32 v18, -1, 0
	v_mbcnt_hi_u32_b32 v18, -1, v18
	v_cmp_gt_i64_e64 s[4:5], v[0:1], v[2:3]
	v_cmp_gt_i64_e64 s[6:7], v[4:5], v[6:7]
	v_lshlrev_b32_e32 v20, 5, v18
	v_lshlrev_b32_e32 v18, 2, v18
	v_or_b32_e32 v21, 4, v18
	v_and_b32_e32 v22, 0x1f8, v18
	v_and_b32_e32 v23, 4, v18
	s_waitcnt vmcnt(0)
	v_mul_lo_u32 v14, v14, v19
	v_add_lshl_u32 v14, v14, v10, 2
	v_sub_u32_e64 v15, s14, v14 clamp
	v_cmp_lt_u32_e64 s[8:9], 1, v15
	v_cmp_lt_u32_e64 s[10:11], 3, v15
	v_and_b32_e32 v14, 0xffffff00, v14
	s_and_b64 s[4:5], s[8:9], s[4:5]
	s_and_b64 s[6:7], s[10:11], s[6:7]
	v_cmp_lt_u32_e64 s[12:13], 2, v15
	v_sub_u32_e64 v15, s14, v14 clamp
	v_lshlrev_b32_e32 v14, 3, v14
	v_cndmask_b32_e64 v29, v1, v3, s[4:5]
	v_cndmask_b32_e64 v28, v0, v2, s[4:5]
	;; [unrolled: 1-line block ×6, first 2 shown]
	v_add_u32_e32 v19, v14, v20
	v_min_u32_e32 v20, v15, v21
	v_cmp_gt_i64_e64 s[4:5], v[0:1], v[2:3]
	v_cndmask_b32_e64 v31, v7, v5, s[6:7]
	v_min_u32_e32 v25, v15, v23
	v_cndmask_b32_e64 v30, v6, v4, s[6:7]
	v_add_u32_e32 v4, 4, v20
	v_sub_u32_e32 v5, v20, v22
	s_and_b64 s[4:5], s[12:13], s[4:5]
	v_min_u32_e32 v21, v15, v4
	v_min_u32_e32 v26, v25, v5
	v_cndmask_b32_e64 v5, v3, v1, s[4:5]
	v_cndmask_b32_e64 v4, v2, v0, s[4:5]
	;; [unrolled: 1-line block ×4, first 2 shown]
	v_cmp_gt_i64_e64 s[4:5], v[28:29], v[2:3]
	v_cmp_gt_i64_e64 s[6:7], v[4:5], v[30:31]
	v_sub_u32_e32 v6, v21, v20
	s_and_b64 s[4:5], s[8:9], s[4:5]
	s_and_b64 s[6:7], s[10:11], s[6:7]
	v_sub_u32_e64 v24, v25, v6 clamp
	v_cndmask_b32_e64 v1, v29, v3, s[4:5]
	v_cndmask_b32_e64 v7, v31, v5, s[6:7]
	;; [unrolled: 1-line block ×8, first 2 shown]
	v_cmp_gt_i64_e64 s[4:5], v[28:29], v[4:5]
	s_and_b64 s[4:5], s[12:13], s[4:5]
	v_lshl_add_u32 v23, v22, 3, v14
	v_cndmask_b32_e64 v3, v29, v5, s[4:5]
	v_cndmask_b32_e64 v2, v28, v4, s[4:5]
	;; [unrolled: 1-line block ×4, first 2 shown]
	v_cmp_lt_u32_e64 s[4:5], v24, v26
	ds_write_b128 v19, v[0:3]
	ds_write_b128 v19, v[4:7] offset:16
	; wave barrier
	s_and_saveexec_b64 s[6:7], s[4:5]
	s_cbranch_execz .LBB3231_98
; %bb.95:
	v_lshlrev_b32_e32 v27, 3, v20
	v_lshlrev_b32_e32 v28, 3, v25
	v_add3_u32 v27, v14, v27, v28
	s_mov_b64 s[8:9], 0
.LBB3231_96:                            ; =>This Inner Loop Header: Depth=1
	v_add_u32_e32 v28, v26, v24
	v_lshrrev_b32_e32 v32, 1, v28
	v_not_b32_e32 v28, v32
	v_lshl_add_u32 v29, v32, 3, v23
	v_lshl_add_u32 v30, v28, 3, v27
	ds_read_b64 v[28:29], v29
	ds_read_b64 v[30:31], v30
	v_add_u32_e32 v33, 1, v32
	s_waitcnt lgkmcnt(0)
	v_cmp_gt_i64_e64 s[4:5], v[28:29], v[30:31]
	v_cndmask_b32_e64 v26, v26, v32, s[4:5]
	v_cndmask_b32_e64 v24, v33, v24, s[4:5]
	v_cmp_ge_u32_e64 s[4:5], v24, v26
	s_or_b64 s[8:9], s[4:5], s[8:9]
	s_andn2_b64 exec, exec, s[8:9]
	s_cbranch_execnz .LBB3231_96
; %bb.97:
	s_or_b64 exec, exec, s[8:9]
.LBB3231_98:
	s_or_b64 exec, exec, s[6:7]
	v_add_u32_e32 v25, v20, v25
	v_add_u32_e32 v22, v24, v22
	v_sub_u32_e32 v25, v25, v24
	v_cmp_le_u32_e64 s[4:5], v22, v20
	v_cmp_le_u32_e64 s[6:7], v25, v21
	s_or_b64 s[4:5], s[4:5], s[6:7]
	s_and_saveexec_b64 s[12:13], s[4:5]
	s_cbranch_execz .LBB3231_104
; %bb.99:
	v_cmp_lt_u32_e64 s[4:5], v22, v20
                                        ; implicit-def: $vgpr0_vgpr1
	s_and_saveexec_b64 s[6:7], s[4:5]
	s_cbranch_execz .LBB3231_101
; %bb.100:
	v_lshl_add_u32 v0, v24, 3, v23
	ds_read_b64 v[0:1], v0
.LBB3231_101:
	s_or_b64 exec, exec, s[6:7]
	v_cmp_ge_u32_e64 s[6:7], v25, v21
	v_cmp_lt_u32_e64 s[8:9], v25, v21
                                        ; implicit-def: $vgpr2_vgpr3
	s_and_saveexec_b64 s[10:11], s[8:9]
	s_cbranch_execz .LBB3231_103
; %bb.102:
	v_lshl_add_u32 v2, v25, 3, v14
	ds_read_b64 v[2:3], v2
.LBB3231_103:
	s_or_b64 exec, exec, s[10:11]
	s_waitcnt lgkmcnt(0)
	v_cmp_le_i64_e64 s[8:9], v[0:1], v[2:3]
	s_and_b64 s[4:5], s[4:5], s[8:9]
	s_or_b64 s[4:5], s[6:7], s[4:5]
	v_cndmask_b32_e64 v4, v25, v22, s[4:5]
	v_cndmask_b32_e64 v5, v21, v20, s[4:5]
	v_add_u32_e32 v23, 1, v4
	v_add_u32_e32 v4, -1, v5
	v_min_u32_e32 v4, v23, v4
	v_lshl_add_u32 v4, v4, 3, v14
	ds_read_b64 v[4:5], v4
	v_cndmask_b32_e64 v27, v22, v23, s[4:5]
	v_cndmask_b32_e64 v26, v23, v25, s[4:5]
	v_cmp_lt_u32_e64 s[8:9], v27, v20
	v_cmp_ge_u32_e64 s[6:7], v26, v21
	s_waitcnt lgkmcnt(0)
	v_cndmask_b32_e64 v7, v5, v3, s[4:5]
	v_cndmask_b32_e64 v6, v4, v2, s[4:5]
	;; [unrolled: 1-line block ×4, first 2 shown]
	v_cmp_le_i64_e64 s[10:11], v[4:5], v[6:7]
	s_and_b64 s[8:9], s[8:9], s[10:11]
	s_or_b64 s[6:7], s[6:7], s[8:9]
	v_cndmask_b32_e64 v22, v26, v27, s[6:7]
	v_cndmask_b32_e64 v23, v21, v20, s[6:7]
	v_add_u32_e32 v28, 1, v22
	v_add_u32_e32 v22, -1, v23
	v_min_u32_e32 v22, v28, v22
	v_lshl_add_u32 v22, v22, 3, v14
	ds_read_b64 v[22:23], v22
	v_cndmask_b32_e64 v29, v28, v26, s[6:7]
	v_cndmask_b32_e64 v28, v27, v28, s[6:7]
	v_cmp_lt_u32_e64 s[8:9], v28, v20
	v_cndmask_b32_e64 v1, v3, v1, s[4:5]
	s_waitcnt lgkmcnt(0)
	v_cndmask_b32_e64 v25, v23, v7, s[6:7]
	v_cndmask_b32_e64 v24, v22, v6, s[6:7]
	;; [unrolled: 1-line block ×4, first 2 shown]
	v_cmp_le_i64_e64 s[10:11], v[22:23], v[24:25]
	v_cndmask_b32_e64 v0, v2, v0, s[4:5]
	v_cmp_ge_u32_e64 s[4:5], v29, v21
	s_and_b64 s[8:9], s[8:9], s[10:11]
	s_or_b64 s[4:5], s[4:5], s[8:9]
	v_cndmask_b32_e64 v2, v29, v28, s[4:5]
	v_cndmask_b32_e64 v3, v21, v20, s[4:5]
	v_add_u32_e32 v30, 1, v2
	v_add_u32_e32 v2, -1, v3
	v_min_u32_e32 v2, v30, v2
	v_lshl_add_u32 v2, v2, 3, v14
	ds_read_b64 v[26:27], v2
	v_cndmask_b32_e64 v3, v7, v5, s[6:7]
	v_cndmask_b32_e64 v2, v6, v4, s[6:7]
	v_cndmask_b32_e64 v5, v25, v23, s[4:5]
	v_cndmask_b32_e64 v4, v24, v22, s[4:5]
	s_waitcnt lgkmcnt(0)
	v_cndmask_b32_e64 v7, v23, v27, s[4:5]
	v_cndmask_b32_e64 v6, v22, v26, s[4:5]
	;; [unrolled: 1-line block ×6, first 2 shown]
	v_cmp_lt_u32_e64 s[4:5], v24, v20
	v_cmp_lt_i64_e64 s[6:7], v[6:7], v[22:23]
	s_and_b64 s[4:5], s[4:5], s[6:7]
	v_cndmask_b32_e64 v20, v22, v6, s[4:5]
	v_cndmask_b32_e64 v22, v23, v7, s[4:5]
	v_cmp_lt_u32_e64 s[4:5], v29, v21
	v_cndmask_b32_e64 v7, v7, v22, s[4:5]
	v_cndmask_b32_e64 v6, v6, v20, s[4:5]
.LBB3231_104:
	s_or_b64 exec, exec, s[12:13]
	v_and_b32_e32 v24, 0x1f0, v18
	v_or_b32_e32 v20, 8, v24
	v_min_u32_e32 v21, v15, v20
	v_add_u32_e32 v20, 8, v21
	v_min_u32_e32 v20, v15, v20
	v_and_b32_e32 v22, 12, v18
	v_min_u32_e32 v25, v15, v22
	v_sub_u32_e32 v26, v21, v24
	v_sub_u32_e32 v23, v20, v21
	v_sub_u32_e64 v23, v25, v23 clamp
	v_min_u32_e32 v26, v25, v26
	v_lshl_add_u32 v22, v24, 3, v14
	v_cmp_lt_u32_e64 s[4:5], v23, v26
	; wave barrier
	ds_write_b128 v19, v[0:3]
	ds_write_b128 v19, v[4:7] offset:16
	; wave barrier
	s_and_saveexec_b64 s[6:7], s[4:5]
	s_cbranch_execz .LBB3231_108
; %bb.105:
	v_lshlrev_b32_e32 v27, 3, v21
	v_lshlrev_b32_e32 v28, 3, v25
	v_add3_u32 v27, v14, v27, v28
	s_mov_b64 s[8:9], 0
.LBB3231_106:                           ; =>This Inner Loop Header: Depth=1
	v_add_u32_e32 v28, v26, v23
	v_lshrrev_b32_e32 v32, 1, v28
	v_not_b32_e32 v28, v32
	v_lshl_add_u32 v29, v32, 3, v22
	v_lshl_add_u32 v30, v28, 3, v27
	ds_read_b64 v[28:29], v29
	ds_read_b64 v[30:31], v30
	v_add_u32_e32 v33, 1, v32
	s_waitcnt lgkmcnt(0)
	v_cmp_gt_i64_e64 s[4:5], v[28:29], v[30:31]
	v_cndmask_b32_e64 v26, v26, v32, s[4:5]
	v_cndmask_b32_e64 v23, v33, v23, s[4:5]
	v_cmp_ge_u32_e64 s[4:5], v23, v26
	s_or_b64 s[8:9], s[4:5], s[8:9]
	s_andn2_b64 exec, exec, s[8:9]
	s_cbranch_execnz .LBB3231_106
; %bb.107:
	s_or_b64 exec, exec, s[8:9]
.LBB3231_108:
	s_or_b64 exec, exec, s[6:7]
	v_add_u32_e32 v25, v21, v25
	v_add_u32_e32 v24, v23, v24
	v_sub_u32_e32 v25, v25, v23
	v_cmp_le_u32_e64 s[4:5], v24, v21
	v_cmp_le_u32_e64 s[6:7], v25, v20
	s_or_b64 s[4:5], s[4:5], s[6:7]
	s_and_saveexec_b64 s[12:13], s[4:5]
	s_cbranch_execz .LBB3231_114
; %bb.109:
	v_cmp_lt_u32_e64 s[4:5], v24, v21
                                        ; implicit-def: $vgpr0_vgpr1
	s_and_saveexec_b64 s[6:7], s[4:5]
	s_cbranch_execz .LBB3231_111
; %bb.110:
	v_lshl_add_u32 v0, v23, 3, v22
	ds_read_b64 v[0:1], v0
.LBB3231_111:
	s_or_b64 exec, exec, s[6:7]
	v_cmp_ge_u32_e64 s[6:7], v25, v20
	v_cmp_lt_u32_e64 s[8:9], v25, v20
                                        ; implicit-def: $vgpr2_vgpr3
	s_and_saveexec_b64 s[10:11], s[8:9]
	s_cbranch_execz .LBB3231_113
; %bb.112:
	v_lshl_add_u32 v2, v25, 3, v14
	ds_read_b64 v[2:3], v2
.LBB3231_113:
	s_or_b64 exec, exec, s[10:11]
	s_waitcnt lgkmcnt(0)
	v_cmp_le_i64_e64 s[8:9], v[0:1], v[2:3]
	s_and_b64 s[4:5], s[4:5], s[8:9]
	s_or_b64 s[4:5], s[6:7], s[4:5]
	v_cndmask_b32_e64 v4, v25, v24, s[4:5]
	v_cndmask_b32_e64 v5, v20, v21, s[4:5]
	v_add_u32_e32 v22, 1, v4
	v_add_u32_e32 v4, -1, v5
	v_min_u32_e32 v4, v22, v4
	v_lshl_add_u32 v4, v4, 3, v14
	ds_read_b64 v[4:5], v4
	v_cndmask_b32_e64 v27, v24, v22, s[4:5]
	v_cndmask_b32_e64 v26, v22, v25, s[4:5]
	v_cmp_lt_u32_e64 s[8:9], v27, v21
	v_cmp_ge_u32_e64 s[6:7], v26, v20
	s_waitcnt lgkmcnt(0)
	v_cndmask_b32_e64 v7, v5, v3, s[4:5]
	v_cndmask_b32_e64 v6, v4, v2, s[4:5]
	;; [unrolled: 1-line block ×4, first 2 shown]
	v_cmp_le_i64_e64 s[10:11], v[4:5], v[6:7]
	s_and_b64 s[8:9], s[8:9], s[10:11]
	s_or_b64 s[6:7], s[6:7], s[8:9]
	v_cndmask_b32_e64 v22, v26, v27, s[6:7]
	v_cndmask_b32_e64 v23, v20, v21, s[6:7]
	v_add_u32_e32 v28, 1, v22
	v_add_u32_e32 v22, -1, v23
	v_min_u32_e32 v22, v28, v22
	v_lshl_add_u32 v22, v22, 3, v14
	ds_read_b64 v[22:23], v22
	v_cndmask_b32_e64 v29, v28, v26, s[6:7]
	v_cndmask_b32_e64 v28, v27, v28, s[6:7]
	v_cmp_lt_u32_e64 s[8:9], v28, v21
	v_cndmask_b32_e64 v1, v3, v1, s[4:5]
	s_waitcnt lgkmcnt(0)
	v_cndmask_b32_e64 v25, v23, v7, s[6:7]
	v_cndmask_b32_e64 v24, v22, v6, s[6:7]
	;; [unrolled: 1-line block ×4, first 2 shown]
	v_cmp_le_i64_e64 s[10:11], v[22:23], v[24:25]
	v_cndmask_b32_e64 v0, v2, v0, s[4:5]
	v_cmp_ge_u32_e64 s[4:5], v29, v20
	s_and_b64 s[8:9], s[8:9], s[10:11]
	s_or_b64 s[4:5], s[4:5], s[8:9]
	v_cndmask_b32_e64 v2, v29, v28, s[4:5]
	v_cndmask_b32_e64 v3, v20, v21, s[4:5]
	v_add_u32_e32 v30, 1, v2
	v_add_u32_e32 v2, -1, v3
	v_min_u32_e32 v2, v30, v2
	v_lshl_add_u32 v2, v2, 3, v14
	ds_read_b64 v[26:27], v2
	v_cndmask_b32_e64 v3, v7, v5, s[6:7]
	v_cndmask_b32_e64 v2, v6, v4, s[6:7]
	;; [unrolled: 1-line block ×4, first 2 shown]
	s_waitcnt lgkmcnt(0)
	v_cndmask_b32_e64 v7, v23, v27, s[4:5]
	v_cndmask_b32_e64 v6, v22, v26, s[4:5]
	;; [unrolled: 1-line block ×6, first 2 shown]
	v_cmp_lt_u32_e64 s[4:5], v24, v21
	v_cmp_lt_i64_e64 s[6:7], v[6:7], v[22:23]
	s_and_b64 s[4:5], s[4:5], s[6:7]
	v_cndmask_b32_e64 v21, v22, v6, s[4:5]
	v_cndmask_b32_e64 v22, v23, v7, s[4:5]
	v_cmp_lt_u32_e64 s[4:5], v29, v20
	v_cndmask_b32_e64 v7, v7, v22, s[4:5]
	v_cndmask_b32_e64 v6, v6, v21, s[4:5]
.LBB3231_114:
	s_or_b64 exec, exec, s[12:13]
	v_and_b32_e32 v24, 0x1e0, v18
	v_or_b32_e32 v20, 16, v24
	v_min_u32_e32 v21, v15, v20
	v_add_u32_e32 v20, 16, v21
	v_min_u32_e32 v20, v15, v20
	v_and_b32_e32 v22, 28, v18
	v_min_u32_e32 v25, v15, v22
	v_sub_u32_e32 v26, v21, v24
	v_sub_u32_e32 v23, v20, v21
	v_sub_u32_e64 v23, v25, v23 clamp
	v_min_u32_e32 v26, v25, v26
	v_lshl_add_u32 v22, v24, 3, v14
	v_cmp_lt_u32_e64 s[4:5], v23, v26
	; wave barrier
	ds_write_b128 v19, v[0:3]
	ds_write_b128 v19, v[4:7] offset:16
	; wave barrier
	s_and_saveexec_b64 s[6:7], s[4:5]
	s_cbranch_execz .LBB3231_118
; %bb.115:
	v_lshlrev_b32_e32 v27, 3, v21
	v_lshlrev_b32_e32 v28, 3, v25
	v_add3_u32 v27, v14, v27, v28
	s_mov_b64 s[8:9], 0
.LBB3231_116:                           ; =>This Inner Loop Header: Depth=1
	v_add_u32_e32 v28, v26, v23
	v_lshrrev_b32_e32 v32, 1, v28
	v_not_b32_e32 v28, v32
	v_lshl_add_u32 v29, v32, 3, v22
	v_lshl_add_u32 v30, v28, 3, v27
	ds_read_b64 v[28:29], v29
	ds_read_b64 v[30:31], v30
	v_add_u32_e32 v33, 1, v32
	s_waitcnt lgkmcnt(0)
	v_cmp_gt_i64_e64 s[4:5], v[28:29], v[30:31]
	v_cndmask_b32_e64 v26, v26, v32, s[4:5]
	v_cndmask_b32_e64 v23, v33, v23, s[4:5]
	v_cmp_ge_u32_e64 s[4:5], v23, v26
	s_or_b64 s[8:9], s[4:5], s[8:9]
	s_andn2_b64 exec, exec, s[8:9]
	s_cbranch_execnz .LBB3231_116
; %bb.117:
	s_or_b64 exec, exec, s[8:9]
.LBB3231_118:
	s_or_b64 exec, exec, s[6:7]
	v_add_u32_e32 v25, v21, v25
	v_add_u32_e32 v24, v23, v24
	v_sub_u32_e32 v25, v25, v23
	v_cmp_le_u32_e64 s[4:5], v24, v21
	v_cmp_le_u32_e64 s[6:7], v25, v20
	s_or_b64 s[4:5], s[4:5], s[6:7]
	s_and_saveexec_b64 s[12:13], s[4:5]
	s_cbranch_execz .LBB3231_124
; %bb.119:
	v_cmp_lt_u32_e64 s[4:5], v24, v21
                                        ; implicit-def: $vgpr0_vgpr1
	s_and_saveexec_b64 s[6:7], s[4:5]
	s_cbranch_execz .LBB3231_121
; %bb.120:
	v_lshl_add_u32 v0, v23, 3, v22
	ds_read_b64 v[0:1], v0
.LBB3231_121:
	s_or_b64 exec, exec, s[6:7]
	v_cmp_ge_u32_e64 s[6:7], v25, v20
	v_cmp_lt_u32_e64 s[8:9], v25, v20
                                        ; implicit-def: $vgpr2_vgpr3
	s_and_saveexec_b64 s[10:11], s[8:9]
	s_cbranch_execz .LBB3231_123
; %bb.122:
	v_lshl_add_u32 v2, v25, 3, v14
	ds_read_b64 v[2:3], v2
.LBB3231_123:
	s_or_b64 exec, exec, s[10:11]
	s_waitcnt lgkmcnt(0)
	v_cmp_le_i64_e64 s[8:9], v[0:1], v[2:3]
	s_and_b64 s[4:5], s[4:5], s[8:9]
	s_or_b64 s[4:5], s[6:7], s[4:5]
	v_cndmask_b32_e64 v4, v25, v24, s[4:5]
	v_cndmask_b32_e64 v5, v20, v21, s[4:5]
	v_add_u32_e32 v22, 1, v4
	v_add_u32_e32 v4, -1, v5
	v_min_u32_e32 v4, v22, v4
	v_lshl_add_u32 v4, v4, 3, v14
	ds_read_b64 v[4:5], v4
	v_cndmask_b32_e64 v27, v24, v22, s[4:5]
	v_cndmask_b32_e64 v26, v22, v25, s[4:5]
	v_cmp_lt_u32_e64 s[8:9], v27, v21
	v_cmp_ge_u32_e64 s[6:7], v26, v20
	s_waitcnt lgkmcnt(0)
	v_cndmask_b32_e64 v7, v5, v3, s[4:5]
	v_cndmask_b32_e64 v6, v4, v2, s[4:5]
	;; [unrolled: 1-line block ×4, first 2 shown]
	v_cmp_le_i64_e64 s[10:11], v[4:5], v[6:7]
	s_and_b64 s[8:9], s[8:9], s[10:11]
	s_or_b64 s[6:7], s[6:7], s[8:9]
	v_cndmask_b32_e64 v22, v26, v27, s[6:7]
	v_cndmask_b32_e64 v23, v20, v21, s[6:7]
	v_add_u32_e32 v28, 1, v22
	v_add_u32_e32 v22, -1, v23
	v_min_u32_e32 v22, v28, v22
	v_lshl_add_u32 v22, v22, 3, v14
	ds_read_b64 v[22:23], v22
	v_cndmask_b32_e64 v29, v28, v26, s[6:7]
	v_cndmask_b32_e64 v28, v27, v28, s[6:7]
	v_cmp_lt_u32_e64 s[8:9], v28, v21
	v_cndmask_b32_e64 v1, v3, v1, s[4:5]
	s_waitcnt lgkmcnt(0)
	v_cndmask_b32_e64 v25, v23, v7, s[6:7]
	v_cndmask_b32_e64 v24, v22, v6, s[6:7]
	v_cndmask_b32_e64 v23, v5, v23, s[6:7]
	v_cndmask_b32_e64 v22, v4, v22, s[6:7]
	v_cmp_le_i64_e64 s[10:11], v[22:23], v[24:25]
	v_cndmask_b32_e64 v0, v2, v0, s[4:5]
	v_cmp_ge_u32_e64 s[4:5], v29, v20
	s_and_b64 s[8:9], s[8:9], s[10:11]
	s_or_b64 s[4:5], s[4:5], s[8:9]
	v_cndmask_b32_e64 v2, v29, v28, s[4:5]
	v_cndmask_b32_e64 v3, v20, v21, s[4:5]
	v_add_u32_e32 v30, 1, v2
	v_add_u32_e32 v2, -1, v3
	v_min_u32_e32 v2, v30, v2
	v_lshl_add_u32 v2, v2, 3, v14
	ds_read_b64 v[26:27], v2
	v_cndmask_b32_e64 v3, v7, v5, s[6:7]
	v_cndmask_b32_e64 v2, v6, v4, s[6:7]
	;; [unrolled: 1-line block ×4, first 2 shown]
	s_waitcnt lgkmcnt(0)
	v_cndmask_b32_e64 v7, v23, v27, s[4:5]
	v_cndmask_b32_e64 v6, v22, v26, s[4:5]
	;; [unrolled: 1-line block ×6, first 2 shown]
	v_cmp_lt_u32_e64 s[4:5], v24, v21
	v_cmp_lt_i64_e64 s[6:7], v[6:7], v[22:23]
	s_and_b64 s[4:5], s[4:5], s[6:7]
	v_cndmask_b32_e64 v21, v22, v6, s[4:5]
	v_cndmask_b32_e64 v22, v23, v7, s[4:5]
	v_cmp_lt_u32_e64 s[4:5], v29, v20
	v_cndmask_b32_e64 v7, v7, v22, s[4:5]
	v_cndmask_b32_e64 v6, v6, v21, s[4:5]
.LBB3231_124:
	s_or_b64 exec, exec, s[12:13]
	v_and_b32_e32 v21, 0x1c0, v18
	; wave barrier
	ds_write_b128 v19, v[0:3]
	ds_write_b128 v19, v[4:7] offset:16
	v_or_b32_e32 v19, 32, v21
	v_min_u32_e32 v20, v15, v19
	v_add_u32_e32 v19, 32, v20
	v_min_u32_e32 v19, v15, v19
	v_and_b32_e32 v18, 60, v18
	v_min_u32_e32 v22, v15, v18
	v_sub_u32_e32 v23, v20, v21
	v_sub_u32_e32 v18, v19, v20
	v_sub_u32_e64 v18, v22, v18 clamp
	v_min_u32_e32 v23, v22, v23
	v_lshl_add_u32 v15, v21, 3, v14
	v_cmp_lt_u32_e64 s[4:5], v18, v23
	; wave barrier
	s_and_saveexec_b64 s[6:7], s[4:5]
	s_cbranch_execz .LBB3231_128
; %bb.125:
	v_lshlrev_b32_e32 v24, 3, v20
	v_lshlrev_b32_e32 v25, 3, v22
	v_add3_u32 v24, v14, v24, v25
	s_mov_b64 s[8:9], 0
.LBB3231_126:                           ; =>This Inner Loop Header: Depth=1
	v_add_u32_e32 v25, v23, v18
	v_lshrrev_b32_e32 v25, 1, v25
	v_not_b32_e32 v26, v25
	v_lshl_add_u32 v27, v25, 3, v15
	v_lshl_add_u32 v28, v26, 3, v24
	ds_read_b64 v[26:27], v27
	ds_read_b64 v[28:29], v28
	v_add_u32_e32 v30, 1, v25
	s_waitcnt lgkmcnt(0)
	v_cmp_gt_i64_e64 s[4:5], v[26:27], v[28:29]
	v_cndmask_b32_e64 v23, v23, v25, s[4:5]
	v_cndmask_b32_e64 v18, v30, v18, s[4:5]
	v_cmp_ge_u32_e64 s[4:5], v18, v23
	s_or_b64 s[8:9], s[4:5], s[8:9]
	s_andn2_b64 exec, exec, s[8:9]
	s_cbranch_execnz .LBB3231_126
; %bb.127:
	s_or_b64 exec, exec, s[8:9]
.LBB3231_128:
	s_or_b64 exec, exec, s[6:7]
	v_add_u32_e32 v22, v20, v22
	v_add_u32_e32 v21, v18, v21
	v_sub_u32_e32 v22, v22, v18
	v_cmp_le_u32_e64 s[4:5], v21, v20
	v_cmp_le_u32_e64 s[6:7], v22, v19
	s_or_b64 s[4:5], s[4:5], s[6:7]
	s_and_saveexec_b64 s[12:13], s[4:5]
	s_cbranch_execz .LBB3231_134
; %bb.129:
	v_cmp_lt_u32_e64 s[4:5], v21, v20
                                        ; implicit-def: $vgpr0_vgpr1
	s_and_saveexec_b64 s[6:7], s[4:5]
	s_cbranch_execz .LBB3231_131
; %bb.130:
	v_lshl_add_u32 v0, v18, 3, v15
	ds_read_b64 v[0:1], v0
.LBB3231_131:
	s_or_b64 exec, exec, s[6:7]
	v_cmp_ge_u32_e64 s[6:7], v22, v19
	v_cmp_lt_u32_e64 s[8:9], v22, v19
                                        ; implicit-def: $vgpr2_vgpr3
	s_and_saveexec_b64 s[10:11], s[8:9]
	s_cbranch_execz .LBB3231_133
; %bb.132:
	v_lshl_add_u32 v2, v22, 3, v14
	ds_read_b64 v[2:3], v2
.LBB3231_133:
	s_or_b64 exec, exec, s[10:11]
	s_waitcnt lgkmcnt(0)
	v_cmp_le_i64_e64 s[8:9], v[0:1], v[2:3]
	s_and_b64 s[4:5], s[4:5], s[8:9]
	s_or_b64 s[4:5], s[6:7], s[4:5]
	v_cndmask_b32_e64 v4, v22, v21, s[4:5]
	v_cndmask_b32_e64 v5, v19, v20, s[4:5]
	v_add_u32_e32 v15, 1, v4
	v_add_u32_e32 v4, -1, v5
	v_min_u32_e32 v4, v15, v4
	v_lshl_add_u32 v4, v4, 3, v14
	ds_read_b64 v[4:5], v4
	v_cndmask_b32_e64 v18, v15, v22, s[4:5]
	v_cndmask_b32_e64 v15, v21, v15, s[4:5]
	v_cmp_lt_u32_e64 s[8:9], v15, v20
	v_cmp_ge_u32_e64 s[6:7], v18, v19
	s_waitcnt lgkmcnt(0)
	v_cndmask_b32_e64 v7, v5, v3, s[4:5]
	v_cndmask_b32_e64 v6, v4, v2, s[4:5]
	;; [unrolled: 1-line block ×4, first 2 shown]
	v_cmp_le_i64_e64 s[10:11], v[4:5], v[6:7]
	s_and_b64 s[8:9], s[8:9], s[10:11]
	s_or_b64 s[6:7], s[6:7], s[8:9]
	v_cndmask_b32_e64 v21, v18, v15, s[6:7]
	v_cndmask_b32_e64 v22, v19, v20, s[6:7]
	v_add_u32_e32 v21, 1, v21
	v_add_u32_e32 v22, -1, v22
	v_min_u32_e32 v22, v21, v22
	v_lshl_add_u32 v22, v22, 3, v14
	ds_read_b64 v[22:23], v22
	v_cndmask_b32_e64 v18, v21, v18, s[6:7]
	v_cndmask_b32_e64 v21, v15, v21, s[6:7]
	v_cmp_lt_u32_e64 s[8:9], v21, v20
	v_cndmask_b32_e64 v1, v3, v1, s[4:5]
	s_waitcnt lgkmcnt(0)
	v_cndmask_b32_e64 v25, v23, v7, s[6:7]
	v_cndmask_b32_e64 v24, v22, v6, s[6:7]
	v_cndmask_b32_e64 v23, v5, v23, s[6:7]
	v_cndmask_b32_e64 v22, v4, v22, s[6:7]
	v_cmp_le_i64_e64 s[10:11], v[22:23], v[24:25]
	v_cndmask_b32_e64 v0, v2, v0, s[4:5]
	v_cmp_ge_u32_e64 s[4:5], v18, v19
	s_and_b64 s[8:9], s[8:9], s[10:11]
	s_or_b64 s[4:5], s[4:5], s[8:9]
	v_cndmask_b32_e64 v2, v18, v21, s[4:5]
	v_cndmask_b32_e64 v3, v19, v20, s[4:5]
	v_add_u32_e32 v26, 1, v2
	v_add_u32_e32 v2, -1, v3
	v_min_u32_e32 v2, v26, v2
	v_lshl_add_u32 v2, v2, 3, v14
	ds_read_b64 v[14:15], v2
	v_cndmask_b32_e64 v3, v7, v5, s[6:7]
	v_cndmask_b32_e64 v2, v6, v4, s[6:7]
	;; [unrolled: 1-line block ×4, first 2 shown]
	s_waitcnt lgkmcnt(0)
	v_cndmask_b32_e64 v7, v23, v15, s[4:5]
	v_cndmask_b32_e64 v6, v22, v14, s[4:5]
	;; [unrolled: 1-line block ×6, first 2 shown]
	v_cmp_lt_u32_e64 s[4:5], v21, v20
	v_cmp_lt_i64_e64 s[6:7], v[6:7], v[14:15]
	s_and_b64 s[4:5], s[4:5], s[6:7]
	v_cndmask_b32_e64 v14, v14, v6, s[4:5]
	v_cndmask_b32_e64 v15, v15, v7, s[4:5]
	v_cmp_lt_u32_e64 s[4:5], v18, v19
	v_cndmask_b32_e64 v7, v7, v15, s[4:5]
	v_cndmask_b32_e64 v6, v6, v14, s[4:5]
.LBB3231_134:
	s_or_b64 exec, exec, s[12:13]
	s_cmpk_lt_u32 s14, 0x41
	; wave barrier
	s_waitcnt lgkmcnt(0)
	s_barrier
	s_cbranch_scc1 .LBB3231_147
; %bb.135:
	v_lshlrev_b32_e32 v14, 5, v10
	s_mov_b32 s19, 64
	s_branch .LBB3231_138
.LBB3231_136:                           ;   in Loop: Header=BB3231_138 Depth=1
	s_or_b64 exec, exec, s[10:11]
	s_waitcnt lgkmcnt(0)
	v_cmp_le_i64_e64 s[8:9], v[0:1], v[2:3]
	s_and_b64 s[4:5], s[4:5], s[8:9]
	s_or_b64 s[4:5], s[6:7], s[4:5]
	v_cndmask_b32_e64 v4, v22, v21, s[4:5]
	v_cndmask_b32_e64 v5, v15, v18, s[4:5]
	v_add_u32_e32 v19, 1, v4
	v_add_u32_e32 v4, -1, v5
	v_min_u32_e32 v4, v19, v4
	v_lshlrev_b32_e32 v4, 3, v4
	ds_read_b64 v[4:5], v4
	v_cndmask_b32_e64 v24, v19, v22, s[4:5]
	v_cndmask_b32_e64 v19, v21, v19, s[4:5]
	v_cmp_lt_u32_e64 s[8:9], v19, v18
	v_cmp_ge_u32_e64 s[6:7], v24, v15
	s_waitcnt lgkmcnt(0)
	v_cndmask_b32_e64 v7, v5, v3, s[4:5]
	v_cndmask_b32_e64 v6, v4, v2, s[4:5]
	;; [unrolled: 1-line block ×4, first 2 shown]
	v_cmp_le_i64_e64 s[10:11], v[4:5], v[6:7]
	s_and_b64 s[8:9], s[8:9], s[10:11]
	s_or_b64 s[6:7], s[6:7], s[8:9]
	v_cndmask_b32_e64 v20, v24, v19, s[6:7]
	v_cndmask_b32_e64 v21, v15, v18, s[6:7]
	v_add_u32_e32 v25, 1, v20
	v_add_u32_e32 v20, -1, v21
	v_min_u32_e32 v20, v25, v20
	v_lshlrev_b32_e32 v20, 3, v20
	ds_read_b64 v[20:21], v20
	v_cndmask_b32_e64 v19, v19, v25, s[6:7]
	v_cndmask_b32_e64 v26, v25, v24, s[6:7]
	v_cmp_lt_u32_e64 s[8:9], v19, v18
	v_cndmask_b32_e64 v1, v3, v1, s[4:5]
	s_waitcnt lgkmcnt(0)
	v_cndmask_b32_e64 v23, v21, v7, s[6:7]
	v_cndmask_b32_e64 v22, v20, v6, s[6:7]
	v_cndmask_b32_e64 v21, v5, v21, s[6:7]
	v_cndmask_b32_e64 v20, v4, v20, s[6:7]
	v_cmp_le_i64_e64 s[10:11], v[20:21], v[22:23]
	v_cndmask_b32_e64 v0, v2, v0, s[4:5]
	v_cmp_ge_u32_e64 s[4:5], v26, v15
	s_and_b64 s[8:9], s[8:9], s[10:11]
	s_or_b64 s[4:5], s[4:5], s[8:9]
	v_cndmask_b32_e64 v2, v26, v19, s[4:5]
	v_cndmask_b32_e64 v3, v15, v18, s[4:5]
	v_add_u32_e32 v27, 1, v2
	v_add_u32_e32 v2, -1, v3
	v_min_u32_e32 v2, v27, v2
	v_lshlrev_b32_e32 v2, 3, v2
	ds_read_b64 v[24:25], v2
	v_cndmask_b32_e64 v3, v7, v5, s[6:7]
	v_cndmask_b32_e64 v2, v6, v4, s[6:7]
	;; [unrolled: 1-line block ×4, first 2 shown]
	s_waitcnt lgkmcnt(0)
	v_cndmask_b32_e64 v7, v21, v25, s[4:5]
	v_cndmask_b32_e64 v6, v20, v24, s[4:5]
	;; [unrolled: 1-line block ×6, first 2 shown]
	v_cmp_lt_u32_e64 s[4:5], v19, v18
	v_cmp_lt_i64_e64 s[6:7], v[6:7], v[20:21]
	s_and_b64 s[4:5], s[4:5], s[6:7]
	v_cndmask_b32_e64 v18, v20, v6, s[4:5]
	v_cndmask_b32_e64 v19, v21, v7, s[4:5]
	v_cmp_lt_u32_e64 s[4:5], v26, v15
	v_cndmask_b32_e64 v7, v7, v19, s[4:5]
	v_cndmask_b32_e64 v6, v6, v18, s[4:5]
.LBB3231_137:                           ;   in Loop: Header=BB3231_138 Depth=1
	s_or_b64 exec, exec, s[12:13]
	s_cmp_lt_u32 s19, s14
	s_barrier
	s_cbranch_scc0 .LBB3231_147
.LBB3231_138:                           ; =>This Loop Header: Depth=1
                                        ;     Child Loop BB3231_140 Depth 2
	s_mov_b32 s4, s19
	s_lshl_b32 s19, s19, 1
	s_sub_i32 s6, 0, s19
	v_and_b32_e32 v21, s6, v13
	v_add_u32_e32 v15, s4, v21
	v_min_u32_e32 v18, s14, v15
	s_add_i32 s5, s19, -1
	v_add_u32_e32 v15, s4, v18
	v_min_u32_e32 v15, s14, v15
	v_and_b32_e32 v19, s5, v13
	v_min_u32_e32 v22, s14, v19
	v_sub_u32_e32 v23, v18, v21
	v_sub_u32_e32 v20, v15, v18
	v_sub_u32_e64 v20, v22, v20 clamp
	v_min_u32_e32 v23, v22, v23
	v_lshlrev_b32_e32 v19, 3, v21
	v_cmp_lt_u32_e64 s[4:5], v20, v23
	ds_write_b128 v14, v[0:3]
	ds_write_b128 v14, v[4:7] offset:16
	s_waitcnt lgkmcnt(0)
	s_barrier
	s_and_saveexec_b64 s[6:7], s[4:5]
	s_cbranch_execz .LBB3231_142
; %bb.139:                              ;   in Loop: Header=BB3231_138 Depth=1
	v_lshlrev_b32_e32 v24, 3, v22
	v_lshl_add_u32 v24, v18, 3, v24
	s_mov_b64 s[8:9], 0
.LBB3231_140:                           ;   Parent Loop BB3231_138 Depth=1
                                        ; =>  This Inner Loop Header: Depth=2
	v_add_u32_e32 v25, v23, v20
	v_lshrrev_b32_e32 v25, 1, v25
	v_not_b32_e32 v26, v25
	v_lshl_add_u32 v27, v25, 3, v19
	v_lshl_add_u32 v28, v26, 3, v24
	ds_read_b64 v[26:27], v27
	ds_read_b64 v[28:29], v28
	v_add_u32_e32 v30, 1, v25
	s_waitcnt lgkmcnt(0)
	v_cmp_gt_i64_e64 s[4:5], v[26:27], v[28:29]
	v_cndmask_b32_e64 v23, v23, v25, s[4:5]
	v_cndmask_b32_e64 v20, v30, v20, s[4:5]
	v_cmp_ge_u32_e64 s[4:5], v20, v23
	s_or_b64 s[8:9], s[4:5], s[8:9]
	s_andn2_b64 exec, exec, s[8:9]
	s_cbranch_execnz .LBB3231_140
; %bb.141:                              ;   in Loop: Header=BB3231_138 Depth=1
	s_or_b64 exec, exec, s[8:9]
.LBB3231_142:                           ;   in Loop: Header=BB3231_138 Depth=1
	s_or_b64 exec, exec, s[6:7]
	v_sub_u32_e32 v22, v22, v20
	v_add_u32_e32 v21, v20, v21
	v_add_u32_e32 v22, v22, v18
	v_cmp_le_u32_e64 s[4:5], v21, v18
	v_cmp_le_u32_e64 s[6:7], v22, v15
	s_or_b64 s[4:5], s[4:5], s[6:7]
	s_and_saveexec_b64 s[12:13], s[4:5]
	s_cbranch_execz .LBB3231_137
; %bb.143:                              ;   in Loop: Header=BB3231_138 Depth=1
	v_cmp_lt_u32_e64 s[4:5], v21, v18
                                        ; implicit-def: $vgpr0_vgpr1
	s_and_saveexec_b64 s[6:7], s[4:5]
	s_cbranch_execz .LBB3231_145
; %bb.144:                              ;   in Loop: Header=BB3231_138 Depth=1
	v_lshl_add_u32 v0, v20, 3, v19
	ds_read_b64 v[0:1], v0
.LBB3231_145:                           ;   in Loop: Header=BB3231_138 Depth=1
	s_or_b64 exec, exec, s[6:7]
	v_cmp_ge_u32_e64 s[6:7], v22, v15
	v_cmp_lt_u32_e64 s[8:9], v22, v15
                                        ; implicit-def: $vgpr2_vgpr3
	s_and_saveexec_b64 s[10:11], s[8:9]
	s_cbranch_execz .LBB3231_136
; %bb.146:                              ;   in Loop: Header=BB3231_138 Depth=1
	v_lshlrev_b32_e32 v2, 3, v22
	ds_read_b64 v[2:3], v2
	s_branch .LBB3231_136
.LBB3231_147:
	s_barrier
	ds_write2_b64 v16, v[0:1], v[2:3] offset1:1
	ds_write2_b64 v16, v[4:5], v[6:7] offset0:2 offset1:3
	s_waitcnt lgkmcnt(0)
	s_barrier
	ds_read_b64 v[6:7], v9 offset:2048
	ds_read_b64 v[2:3], v11 offset:4096
	;; [unrolled: 1-line block ×3, first 2 shown]
	v_mov_b32_e32 v5, s18
	v_add_co_u32_e64 v4, s[4:5], s15, v12
	v_mov_b32_e32 v11, 0
	v_addc_co_u32_e64 v5, s[4:5], 0, v5, s[4:5]
	s_and_saveexec_b64 s[4:5], vcc
	s_cbranch_execnz .LBB3231_155
; %bb.148:
	s_or_b64 exec, exec, s[4:5]
	s_and_saveexec_b64 s[4:5], s[0:1]
	s_cbranch_execnz .LBB3231_156
.LBB3231_149:
	s_or_b64 exec, exec, s[4:5]
	s_and_saveexec_b64 s[0:1], s[2:3]
	s_cbranch_execz .LBB3231_151
.LBB3231_150:
	v_add_co_u32_e32 v4, vcc, 0x1000, v4
	v_addc_co_u32_e32 v5, vcc, 0, v5, vcc
	s_waitcnt lgkmcnt(0)
	flat_store_dwordx2 v[4:5], v[2:3]
.LBB3231_151:
	s_or_b64 exec, exec, s[0:1]
.LBB3231_152:
	s_and_saveexec_b64 s[0:1], s[16:17]
	s_cbranch_execz .LBB3231_154
; %bb.153:
	s_waitcnt lgkmcnt(0)
	v_lshlrev_b64 v[2:3], 3, v[10:11]
	v_mov_b32_e32 v4, s18
	v_add_co_u32_e32 v2, vcc, s15, v2
	v_addc_co_u32_e32 v3, vcc, v4, v3, vcc
	v_add_co_u32_e32 v2, vcc, 0x1000, v2
	v_addc_co_u32_e32 v3, vcc, 0, v3, vcc
	flat_store_dwordx2 v[2:3], v[0:1] offset:2048
.LBB3231_154:
	s_endpgm
.LBB3231_155:
	ds_read_b64 v[8:9], v8
	s_waitcnt lgkmcnt(0)
	flat_store_dwordx2 v[4:5], v[8:9]
	s_or_b64 exec, exec, s[4:5]
	s_and_saveexec_b64 s[4:5], s[0:1]
	s_cbranch_execz .LBB3231_149
.LBB3231_156:
	s_waitcnt lgkmcnt(0)
	flat_store_dwordx2 v[4:5], v[6:7] offset:2048
	s_or_b64 exec, exec, s[4:5]
	s_and_saveexec_b64 s[0:1], s[2:3]
	s_cbranch_execnz .LBB3231_150
	s_branch .LBB3231_151
	.section	.rodata,"a",@progbits
	.p2align	6, 0x0
	.amdhsa_kernel _ZN7rocprim17ROCPRIM_400000_NS6detail17trampoline_kernelINS0_14default_configENS1_37merge_sort_block_sort_config_selectorIlNS0_10empty_typeEEEZNS1_21merge_sort_block_sortIS3_N6thrust23THRUST_200600_302600_NS6detail15normal_iteratorINS9_10device_ptrIlEEEESE_PS5_SF_14custom_greaterIlEEE10hipError_tT0_T1_T2_T3_mRjT4_P12ihipStream_tbNS1_7vsmem_tEEUlT_E_NS1_11comp_targetILNS1_3genE4ELNS1_11target_archE910ELNS1_3gpuE8ELNS1_3repE0EEENS1_30default_config_static_selectorELNS0_4arch9wavefront6targetE1EEEvSK_
		.amdhsa_group_segment_fixed_size 8448
		.amdhsa_private_segment_fixed_size 0
		.amdhsa_kernarg_size 320
		.amdhsa_user_sgpr_count 6
		.amdhsa_user_sgpr_private_segment_buffer 1
		.amdhsa_user_sgpr_dispatch_ptr 0
		.amdhsa_user_sgpr_queue_ptr 0
		.amdhsa_user_sgpr_kernarg_segment_ptr 1
		.amdhsa_user_sgpr_dispatch_id 0
		.amdhsa_user_sgpr_flat_scratch_init 0
		.amdhsa_user_sgpr_kernarg_preload_length 0
		.amdhsa_user_sgpr_kernarg_preload_offset 0
		.amdhsa_user_sgpr_private_segment_size 0
		.amdhsa_uses_dynamic_stack 0
		.amdhsa_system_sgpr_private_segment_wavefront_offset 0
		.amdhsa_system_sgpr_workgroup_id_x 1
		.amdhsa_system_sgpr_workgroup_id_y 1
		.amdhsa_system_sgpr_workgroup_id_z 1
		.amdhsa_system_sgpr_workgroup_info 0
		.amdhsa_system_vgpr_workitem_id 2
		.amdhsa_next_free_vgpr 39
		.amdhsa_next_free_sgpr 21
		.amdhsa_accum_offset 40
		.amdhsa_reserve_vcc 1
		.amdhsa_reserve_flat_scratch 0
		.amdhsa_float_round_mode_32 0
		.amdhsa_float_round_mode_16_64 0
		.amdhsa_float_denorm_mode_32 3
		.amdhsa_float_denorm_mode_16_64 3
		.amdhsa_dx10_clamp 1
		.amdhsa_ieee_mode 1
		.amdhsa_fp16_overflow 0
		.amdhsa_tg_split 0
		.amdhsa_exception_fp_ieee_invalid_op 0
		.amdhsa_exception_fp_denorm_src 0
		.amdhsa_exception_fp_ieee_div_zero 0
		.amdhsa_exception_fp_ieee_overflow 0
		.amdhsa_exception_fp_ieee_underflow 0
		.amdhsa_exception_fp_ieee_inexact 0
		.amdhsa_exception_int_div_zero 0
	.end_amdhsa_kernel
	.section	.text._ZN7rocprim17ROCPRIM_400000_NS6detail17trampoline_kernelINS0_14default_configENS1_37merge_sort_block_sort_config_selectorIlNS0_10empty_typeEEEZNS1_21merge_sort_block_sortIS3_N6thrust23THRUST_200600_302600_NS6detail15normal_iteratorINS9_10device_ptrIlEEEESE_PS5_SF_14custom_greaterIlEEE10hipError_tT0_T1_T2_T3_mRjT4_P12ihipStream_tbNS1_7vsmem_tEEUlT_E_NS1_11comp_targetILNS1_3genE4ELNS1_11target_archE910ELNS1_3gpuE8ELNS1_3repE0EEENS1_30default_config_static_selectorELNS0_4arch9wavefront6targetE1EEEvSK_,"axG",@progbits,_ZN7rocprim17ROCPRIM_400000_NS6detail17trampoline_kernelINS0_14default_configENS1_37merge_sort_block_sort_config_selectorIlNS0_10empty_typeEEEZNS1_21merge_sort_block_sortIS3_N6thrust23THRUST_200600_302600_NS6detail15normal_iteratorINS9_10device_ptrIlEEEESE_PS5_SF_14custom_greaterIlEEE10hipError_tT0_T1_T2_T3_mRjT4_P12ihipStream_tbNS1_7vsmem_tEEUlT_E_NS1_11comp_targetILNS1_3genE4ELNS1_11target_archE910ELNS1_3gpuE8ELNS1_3repE0EEENS1_30default_config_static_selectorELNS0_4arch9wavefront6targetE1EEEvSK_,comdat
.Lfunc_end3231:
	.size	_ZN7rocprim17ROCPRIM_400000_NS6detail17trampoline_kernelINS0_14default_configENS1_37merge_sort_block_sort_config_selectorIlNS0_10empty_typeEEEZNS1_21merge_sort_block_sortIS3_N6thrust23THRUST_200600_302600_NS6detail15normal_iteratorINS9_10device_ptrIlEEEESE_PS5_SF_14custom_greaterIlEEE10hipError_tT0_T1_T2_T3_mRjT4_P12ihipStream_tbNS1_7vsmem_tEEUlT_E_NS1_11comp_targetILNS1_3genE4ELNS1_11target_archE910ELNS1_3gpuE8ELNS1_3repE0EEENS1_30default_config_static_selectorELNS0_4arch9wavefront6targetE1EEEvSK_, .Lfunc_end3231-_ZN7rocprim17ROCPRIM_400000_NS6detail17trampoline_kernelINS0_14default_configENS1_37merge_sort_block_sort_config_selectorIlNS0_10empty_typeEEEZNS1_21merge_sort_block_sortIS3_N6thrust23THRUST_200600_302600_NS6detail15normal_iteratorINS9_10device_ptrIlEEEESE_PS5_SF_14custom_greaterIlEEE10hipError_tT0_T1_T2_T3_mRjT4_P12ihipStream_tbNS1_7vsmem_tEEUlT_E_NS1_11comp_targetILNS1_3genE4ELNS1_11target_archE910ELNS1_3gpuE8ELNS1_3repE0EEENS1_30default_config_static_selectorELNS0_4arch9wavefront6targetE1EEEvSK_
                                        ; -- End function
	.section	.AMDGPU.csdata,"",@progbits
; Kernel info:
; codeLenInByte = 11560
; NumSgprs: 25
; NumVgprs: 39
; NumAgprs: 0
; TotalNumVgprs: 39
; ScratchSize: 0
; MemoryBound: 0
; FloatMode: 240
; IeeeMode: 1
; LDSByteSize: 8448 bytes/workgroup (compile time only)
; SGPRBlocks: 3
; VGPRBlocks: 4
; NumSGPRsForWavesPerEU: 25
; NumVGPRsForWavesPerEU: 39
; AccumOffset: 40
; Occupancy: 7
; WaveLimiterHint : 1
; COMPUTE_PGM_RSRC2:SCRATCH_EN: 0
; COMPUTE_PGM_RSRC2:USER_SGPR: 6
; COMPUTE_PGM_RSRC2:TRAP_HANDLER: 0
; COMPUTE_PGM_RSRC2:TGID_X_EN: 1
; COMPUTE_PGM_RSRC2:TGID_Y_EN: 1
; COMPUTE_PGM_RSRC2:TGID_Z_EN: 1
; COMPUTE_PGM_RSRC2:TIDIG_COMP_CNT: 2
; COMPUTE_PGM_RSRC3_GFX90A:ACCUM_OFFSET: 9
; COMPUTE_PGM_RSRC3_GFX90A:TG_SPLIT: 0
	.section	.text._ZN7rocprim17ROCPRIM_400000_NS6detail17trampoline_kernelINS0_14default_configENS1_37merge_sort_block_sort_config_selectorIlNS0_10empty_typeEEEZNS1_21merge_sort_block_sortIS3_N6thrust23THRUST_200600_302600_NS6detail15normal_iteratorINS9_10device_ptrIlEEEESE_PS5_SF_14custom_greaterIlEEE10hipError_tT0_T1_T2_T3_mRjT4_P12ihipStream_tbNS1_7vsmem_tEEUlT_E_NS1_11comp_targetILNS1_3genE3ELNS1_11target_archE908ELNS1_3gpuE7ELNS1_3repE0EEENS1_30default_config_static_selectorELNS0_4arch9wavefront6targetE1EEEvSK_,"axG",@progbits,_ZN7rocprim17ROCPRIM_400000_NS6detail17trampoline_kernelINS0_14default_configENS1_37merge_sort_block_sort_config_selectorIlNS0_10empty_typeEEEZNS1_21merge_sort_block_sortIS3_N6thrust23THRUST_200600_302600_NS6detail15normal_iteratorINS9_10device_ptrIlEEEESE_PS5_SF_14custom_greaterIlEEE10hipError_tT0_T1_T2_T3_mRjT4_P12ihipStream_tbNS1_7vsmem_tEEUlT_E_NS1_11comp_targetILNS1_3genE3ELNS1_11target_archE908ELNS1_3gpuE7ELNS1_3repE0EEENS1_30default_config_static_selectorELNS0_4arch9wavefront6targetE1EEEvSK_,comdat
	.protected	_ZN7rocprim17ROCPRIM_400000_NS6detail17trampoline_kernelINS0_14default_configENS1_37merge_sort_block_sort_config_selectorIlNS0_10empty_typeEEEZNS1_21merge_sort_block_sortIS3_N6thrust23THRUST_200600_302600_NS6detail15normal_iteratorINS9_10device_ptrIlEEEESE_PS5_SF_14custom_greaterIlEEE10hipError_tT0_T1_T2_T3_mRjT4_P12ihipStream_tbNS1_7vsmem_tEEUlT_E_NS1_11comp_targetILNS1_3genE3ELNS1_11target_archE908ELNS1_3gpuE7ELNS1_3repE0EEENS1_30default_config_static_selectorELNS0_4arch9wavefront6targetE1EEEvSK_ ; -- Begin function _ZN7rocprim17ROCPRIM_400000_NS6detail17trampoline_kernelINS0_14default_configENS1_37merge_sort_block_sort_config_selectorIlNS0_10empty_typeEEEZNS1_21merge_sort_block_sortIS3_N6thrust23THRUST_200600_302600_NS6detail15normal_iteratorINS9_10device_ptrIlEEEESE_PS5_SF_14custom_greaterIlEEE10hipError_tT0_T1_T2_T3_mRjT4_P12ihipStream_tbNS1_7vsmem_tEEUlT_E_NS1_11comp_targetILNS1_3genE3ELNS1_11target_archE908ELNS1_3gpuE7ELNS1_3repE0EEENS1_30default_config_static_selectorELNS0_4arch9wavefront6targetE1EEEvSK_
	.globl	_ZN7rocprim17ROCPRIM_400000_NS6detail17trampoline_kernelINS0_14default_configENS1_37merge_sort_block_sort_config_selectorIlNS0_10empty_typeEEEZNS1_21merge_sort_block_sortIS3_N6thrust23THRUST_200600_302600_NS6detail15normal_iteratorINS9_10device_ptrIlEEEESE_PS5_SF_14custom_greaterIlEEE10hipError_tT0_T1_T2_T3_mRjT4_P12ihipStream_tbNS1_7vsmem_tEEUlT_E_NS1_11comp_targetILNS1_3genE3ELNS1_11target_archE908ELNS1_3gpuE7ELNS1_3repE0EEENS1_30default_config_static_selectorELNS0_4arch9wavefront6targetE1EEEvSK_
	.p2align	8
	.type	_ZN7rocprim17ROCPRIM_400000_NS6detail17trampoline_kernelINS0_14default_configENS1_37merge_sort_block_sort_config_selectorIlNS0_10empty_typeEEEZNS1_21merge_sort_block_sortIS3_N6thrust23THRUST_200600_302600_NS6detail15normal_iteratorINS9_10device_ptrIlEEEESE_PS5_SF_14custom_greaterIlEEE10hipError_tT0_T1_T2_T3_mRjT4_P12ihipStream_tbNS1_7vsmem_tEEUlT_E_NS1_11comp_targetILNS1_3genE3ELNS1_11target_archE908ELNS1_3gpuE7ELNS1_3repE0EEENS1_30default_config_static_selectorELNS0_4arch9wavefront6targetE1EEEvSK_,@function
_ZN7rocprim17ROCPRIM_400000_NS6detail17trampoline_kernelINS0_14default_configENS1_37merge_sort_block_sort_config_selectorIlNS0_10empty_typeEEEZNS1_21merge_sort_block_sortIS3_N6thrust23THRUST_200600_302600_NS6detail15normal_iteratorINS9_10device_ptrIlEEEESE_PS5_SF_14custom_greaterIlEEE10hipError_tT0_T1_T2_T3_mRjT4_P12ihipStream_tbNS1_7vsmem_tEEUlT_E_NS1_11comp_targetILNS1_3genE3ELNS1_11target_archE908ELNS1_3gpuE7ELNS1_3repE0EEENS1_30default_config_static_selectorELNS0_4arch9wavefront6targetE1EEEvSK_: ; @_ZN7rocprim17ROCPRIM_400000_NS6detail17trampoline_kernelINS0_14default_configENS1_37merge_sort_block_sort_config_selectorIlNS0_10empty_typeEEEZNS1_21merge_sort_block_sortIS3_N6thrust23THRUST_200600_302600_NS6detail15normal_iteratorINS9_10device_ptrIlEEEESE_PS5_SF_14custom_greaterIlEEE10hipError_tT0_T1_T2_T3_mRjT4_P12ihipStream_tbNS1_7vsmem_tEEUlT_E_NS1_11comp_targetILNS1_3genE3ELNS1_11target_archE908ELNS1_3gpuE7ELNS1_3repE0EEENS1_30default_config_static_selectorELNS0_4arch9wavefront6targetE1EEEvSK_
; %bb.0:
	.section	.rodata,"a",@progbits
	.p2align	6, 0x0
	.amdhsa_kernel _ZN7rocprim17ROCPRIM_400000_NS6detail17trampoline_kernelINS0_14default_configENS1_37merge_sort_block_sort_config_selectorIlNS0_10empty_typeEEEZNS1_21merge_sort_block_sortIS3_N6thrust23THRUST_200600_302600_NS6detail15normal_iteratorINS9_10device_ptrIlEEEESE_PS5_SF_14custom_greaterIlEEE10hipError_tT0_T1_T2_T3_mRjT4_P12ihipStream_tbNS1_7vsmem_tEEUlT_E_NS1_11comp_targetILNS1_3genE3ELNS1_11target_archE908ELNS1_3gpuE7ELNS1_3repE0EEENS1_30default_config_static_selectorELNS0_4arch9wavefront6targetE1EEEvSK_
		.amdhsa_group_segment_fixed_size 0
		.amdhsa_private_segment_fixed_size 0
		.amdhsa_kernarg_size 64
		.amdhsa_user_sgpr_count 6
		.amdhsa_user_sgpr_private_segment_buffer 1
		.amdhsa_user_sgpr_dispatch_ptr 0
		.amdhsa_user_sgpr_queue_ptr 0
		.amdhsa_user_sgpr_kernarg_segment_ptr 1
		.amdhsa_user_sgpr_dispatch_id 0
		.amdhsa_user_sgpr_flat_scratch_init 0
		.amdhsa_user_sgpr_kernarg_preload_length 0
		.amdhsa_user_sgpr_kernarg_preload_offset 0
		.amdhsa_user_sgpr_private_segment_size 0
		.amdhsa_uses_dynamic_stack 0
		.amdhsa_system_sgpr_private_segment_wavefront_offset 0
		.amdhsa_system_sgpr_workgroup_id_x 1
		.amdhsa_system_sgpr_workgroup_id_y 0
		.amdhsa_system_sgpr_workgroup_id_z 0
		.amdhsa_system_sgpr_workgroup_info 0
		.amdhsa_system_vgpr_workitem_id 0
		.amdhsa_next_free_vgpr 1
		.amdhsa_next_free_sgpr 0
		.amdhsa_accum_offset 4
		.amdhsa_reserve_vcc 0
		.amdhsa_reserve_flat_scratch 0
		.amdhsa_float_round_mode_32 0
		.amdhsa_float_round_mode_16_64 0
		.amdhsa_float_denorm_mode_32 3
		.amdhsa_float_denorm_mode_16_64 3
		.amdhsa_dx10_clamp 1
		.amdhsa_ieee_mode 1
		.amdhsa_fp16_overflow 0
		.amdhsa_tg_split 0
		.amdhsa_exception_fp_ieee_invalid_op 0
		.amdhsa_exception_fp_denorm_src 0
		.amdhsa_exception_fp_ieee_div_zero 0
		.amdhsa_exception_fp_ieee_overflow 0
		.amdhsa_exception_fp_ieee_underflow 0
		.amdhsa_exception_fp_ieee_inexact 0
		.amdhsa_exception_int_div_zero 0
	.end_amdhsa_kernel
	.section	.text._ZN7rocprim17ROCPRIM_400000_NS6detail17trampoline_kernelINS0_14default_configENS1_37merge_sort_block_sort_config_selectorIlNS0_10empty_typeEEEZNS1_21merge_sort_block_sortIS3_N6thrust23THRUST_200600_302600_NS6detail15normal_iteratorINS9_10device_ptrIlEEEESE_PS5_SF_14custom_greaterIlEEE10hipError_tT0_T1_T2_T3_mRjT4_P12ihipStream_tbNS1_7vsmem_tEEUlT_E_NS1_11comp_targetILNS1_3genE3ELNS1_11target_archE908ELNS1_3gpuE7ELNS1_3repE0EEENS1_30default_config_static_selectorELNS0_4arch9wavefront6targetE1EEEvSK_,"axG",@progbits,_ZN7rocprim17ROCPRIM_400000_NS6detail17trampoline_kernelINS0_14default_configENS1_37merge_sort_block_sort_config_selectorIlNS0_10empty_typeEEEZNS1_21merge_sort_block_sortIS3_N6thrust23THRUST_200600_302600_NS6detail15normal_iteratorINS9_10device_ptrIlEEEESE_PS5_SF_14custom_greaterIlEEE10hipError_tT0_T1_T2_T3_mRjT4_P12ihipStream_tbNS1_7vsmem_tEEUlT_E_NS1_11comp_targetILNS1_3genE3ELNS1_11target_archE908ELNS1_3gpuE7ELNS1_3repE0EEENS1_30default_config_static_selectorELNS0_4arch9wavefront6targetE1EEEvSK_,comdat
.Lfunc_end3232:
	.size	_ZN7rocprim17ROCPRIM_400000_NS6detail17trampoline_kernelINS0_14default_configENS1_37merge_sort_block_sort_config_selectorIlNS0_10empty_typeEEEZNS1_21merge_sort_block_sortIS3_N6thrust23THRUST_200600_302600_NS6detail15normal_iteratorINS9_10device_ptrIlEEEESE_PS5_SF_14custom_greaterIlEEE10hipError_tT0_T1_T2_T3_mRjT4_P12ihipStream_tbNS1_7vsmem_tEEUlT_E_NS1_11comp_targetILNS1_3genE3ELNS1_11target_archE908ELNS1_3gpuE7ELNS1_3repE0EEENS1_30default_config_static_selectorELNS0_4arch9wavefront6targetE1EEEvSK_, .Lfunc_end3232-_ZN7rocprim17ROCPRIM_400000_NS6detail17trampoline_kernelINS0_14default_configENS1_37merge_sort_block_sort_config_selectorIlNS0_10empty_typeEEEZNS1_21merge_sort_block_sortIS3_N6thrust23THRUST_200600_302600_NS6detail15normal_iteratorINS9_10device_ptrIlEEEESE_PS5_SF_14custom_greaterIlEEE10hipError_tT0_T1_T2_T3_mRjT4_P12ihipStream_tbNS1_7vsmem_tEEUlT_E_NS1_11comp_targetILNS1_3genE3ELNS1_11target_archE908ELNS1_3gpuE7ELNS1_3repE0EEENS1_30default_config_static_selectorELNS0_4arch9wavefront6targetE1EEEvSK_
                                        ; -- End function
	.section	.AMDGPU.csdata,"",@progbits
; Kernel info:
; codeLenInByte = 0
; NumSgprs: 4
; NumVgprs: 0
; NumAgprs: 0
; TotalNumVgprs: 0
; ScratchSize: 0
; MemoryBound: 0
; FloatMode: 240
; IeeeMode: 1
; LDSByteSize: 0 bytes/workgroup (compile time only)
; SGPRBlocks: 0
; VGPRBlocks: 0
; NumSGPRsForWavesPerEU: 4
; NumVGPRsForWavesPerEU: 1
; AccumOffset: 4
; Occupancy: 8
; WaveLimiterHint : 0
; COMPUTE_PGM_RSRC2:SCRATCH_EN: 0
; COMPUTE_PGM_RSRC2:USER_SGPR: 6
; COMPUTE_PGM_RSRC2:TRAP_HANDLER: 0
; COMPUTE_PGM_RSRC2:TGID_X_EN: 1
; COMPUTE_PGM_RSRC2:TGID_Y_EN: 0
; COMPUTE_PGM_RSRC2:TGID_Z_EN: 0
; COMPUTE_PGM_RSRC2:TIDIG_COMP_CNT: 0
; COMPUTE_PGM_RSRC3_GFX90A:ACCUM_OFFSET: 0
; COMPUTE_PGM_RSRC3_GFX90A:TG_SPLIT: 0
	.section	.text._ZN7rocprim17ROCPRIM_400000_NS6detail17trampoline_kernelINS0_14default_configENS1_37merge_sort_block_sort_config_selectorIlNS0_10empty_typeEEEZNS1_21merge_sort_block_sortIS3_N6thrust23THRUST_200600_302600_NS6detail15normal_iteratorINS9_10device_ptrIlEEEESE_PS5_SF_14custom_greaterIlEEE10hipError_tT0_T1_T2_T3_mRjT4_P12ihipStream_tbNS1_7vsmem_tEEUlT_E_NS1_11comp_targetILNS1_3genE2ELNS1_11target_archE906ELNS1_3gpuE6ELNS1_3repE0EEENS1_30default_config_static_selectorELNS0_4arch9wavefront6targetE1EEEvSK_,"axG",@progbits,_ZN7rocprim17ROCPRIM_400000_NS6detail17trampoline_kernelINS0_14default_configENS1_37merge_sort_block_sort_config_selectorIlNS0_10empty_typeEEEZNS1_21merge_sort_block_sortIS3_N6thrust23THRUST_200600_302600_NS6detail15normal_iteratorINS9_10device_ptrIlEEEESE_PS5_SF_14custom_greaterIlEEE10hipError_tT0_T1_T2_T3_mRjT4_P12ihipStream_tbNS1_7vsmem_tEEUlT_E_NS1_11comp_targetILNS1_3genE2ELNS1_11target_archE906ELNS1_3gpuE6ELNS1_3repE0EEENS1_30default_config_static_selectorELNS0_4arch9wavefront6targetE1EEEvSK_,comdat
	.protected	_ZN7rocprim17ROCPRIM_400000_NS6detail17trampoline_kernelINS0_14default_configENS1_37merge_sort_block_sort_config_selectorIlNS0_10empty_typeEEEZNS1_21merge_sort_block_sortIS3_N6thrust23THRUST_200600_302600_NS6detail15normal_iteratorINS9_10device_ptrIlEEEESE_PS5_SF_14custom_greaterIlEEE10hipError_tT0_T1_T2_T3_mRjT4_P12ihipStream_tbNS1_7vsmem_tEEUlT_E_NS1_11comp_targetILNS1_3genE2ELNS1_11target_archE906ELNS1_3gpuE6ELNS1_3repE0EEENS1_30default_config_static_selectorELNS0_4arch9wavefront6targetE1EEEvSK_ ; -- Begin function _ZN7rocprim17ROCPRIM_400000_NS6detail17trampoline_kernelINS0_14default_configENS1_37merge_sort_block_sort_config_selectorIlNS0_10empty_typeEEEZNS1_21merge_sort_block_sortIS3_N6thrust23THRUST_200600_302600_NS6detail15normal_iteratorINS9_10device_ptrIlEEEESE_PS5_SF_14custom_greaterIlEEE10hipError_tT0_T1_T2_T3_mRjT4_P12ihipStream_tbNS1_7vsmem_tEEUlT_E_NS1_11comp_targetILNS1_3genE2ELNS1_11target_archE906ELNS1_3gpuE6ELNS1_3repE0EEENS1_30default_config_static_selectorELNS0_4arch9wavefront6targetE1EEEvSK_
	.globl	_ZN7rocprim17ROCPRIM_400000_NS6detail17trampoline_kernelINS0_14default_configENS1_37merge_sort_block_sort_config_selectorIlNS0_10empty_typeEEEZNS1_21merge_sort_block_sortIS3_N6thrust23THRUST_200600_302600_NS6detail15normal_iteratorINS9_10device_ptrIlEEEESE_PS5_SF_14custom_greaterIlEEE10hipError_tT0_T1_T2_T3_mRjT4_P12ihipStream_tbNS1_7vsmem_tEEUlT_E_NS1_11comp_targetILNS1_3genE2ELNS1_11target_archE906ELNS1_3gpuE6ELNS1_3repE0EEENS1_30default_config_static_selectorELNS0_4arch9wavefront6targetE1EEEvSK_
	.p2align	8
	.type	_ZN7rocprim17ROCPRIM_400000_NS6detail17trampoline_kernelINS0_14default_configENS1_37merge_sort_block_sort_config_selectorIlNS0_10empty_typeEEEZNS1_21merge_sort_block_sortIS3_N6thrust23THRUST_200600_302600_NS6detail15normal_iteratorINS9_10device_ptrIlEEEESE_PS5_SF_14custom_greaterIlEEE10hipError_tT0_T1_T2_T3_mRjT4_P12ihipStream_tbNS1_7vsmem_tEEUlT_E_NS1_11comp_targetILNS1_3genE2ELNS1_11target_archE906ELNS1_3gpuE6ELNS1_3repE0EEENS1_30default_config_static_selectorELNS0_4arch9wavefront6targetE1EEEvSK_,@function
_ZN7rocprim17ROCPRIM_400000_NS6detail17trampoline_kernelINS0_14default_configENS1_37merge_sort_block_sort_config_selectorIlNS0_10empty_typeEEEZNS1_21merge_sort_block_sortIS3_N6thrust23THRUST_200600_302600_NS6detail15normal_iteratorINS9_10device_ptrIlEEEESE_PS5_SF_14custom_greaterIlEEE10hipError_tT0_T1_T2_T3_mRjT4_P12ihipStream_tbNS1_7vsmem_tEEUlT_E_NS1_11comp_targetILNS1_3genE2ELNS1_11target_archE906ELNS1_3gpuE6ELNS1_3repE0EEENS1_30default_config_static_selectorELNS0_4arch9wavefront6targetE1EEEvSK_: ; @_ZN7rocprim17ROCPRIM_400000_NS6detail17trampoline_kernelINS0_14default_configENS1_37merge_sort_block_sort_config_selectorIlNS0_10empty_typeEEEZNS1_21merge_sort_block_sortIS3_N6thrust23THRUST_200600_302600_NS6detail15normal_iteratorINS9_10device_ptrIlEEEESE_PS5_SF_14custom_greaterIlEEE10hipError_tT0_T1_T2_T3_mRjT4_P12ihipStream_tbNS1_7vsmem_tEEUlT_E_NS1_11comp_targetILNS1_3genE2ELNS1_11target_archE906ELNS1_3gpuE6ELNS1_3repE0EEENS1_30default_config_static_selectorELNS0_4arch9wavefront6targetE1EEEvSK_
; %bb.0:
	.section	.rodata,"a",@progbits
	.p2align	6, 0x0
	.amdhsa_kernel _ZN7rocprim17ROCPRIM_400000_NS6detail17trampoline_kernelINS0_14default_configENS1_37merge_sort_block_sort_config_selectorIlNS0_10empty_typeEEEZNS1_21merge_sort_block_sortIS3_N6thrust23THRUST_200600_302600_NS6detail15normal_iteratorINS9_10device_ptrIlEEEESE_PS5_SF_14custom_greaterIlEEE10hipError_tT0_T1_T2_T3_mRjT4_P12ihipStream_tbNS1_7vsmem_tEEUlT_E_NS1_11comp_targetILNS1_3genE2ELNS1_11target_archE906ELNS1_3gpuE6ELNS1_3repE0EEENS1_30default_config_static_selectorELNS0_4arch9wavefront6targetE1EEEvSK_
		.amdhsa_group_segment_fixed_size 0
		.amdhsa_private_segment_fixed_size 0
		.amdhsa_kernarg_size 64
		.amdhsa_user_sgpr_count 6
		.amdhsa_user_sgpr_private_segment_buffer 1
		.amdhsa_user_sgpr_dispatch_ptr 0
		.amdhsa_user_sgpr_queue_ptr 0
		.amdhsa_user_sgpr_kernarg_segment_ptr 1
		.amdhsa_user_sgpr_dispatch_id 0
		.amdhsa_user_sgpr_flat_scratch_init 0
		.amdhsa_user_sgpr_kernarg_preload_length 0
		.amdhsa_user_sgpr_kernarg_preload_offset 0
		.amdhsa_user_sgpr_private_segment_size 0
		.amdhsa_uses_dynamic_stack 0
		.amdhsa_system_sgpr_private_segment_wavefront_offset 0
		.amdhsa_system_sgpr_workgroup_id_x 1
		.amdhsa_system_sgpr_workgroup_id_y 0
		.amdhsa_system_sgpr_workgroup_id_z 0
		.amdhsa_system_sgpr_workgroup_info 0
		.amdhsa_system_vgpr_workitem_id 0
		.amdhsa_next_free_vgpr 1
		.amdhsa_next_free_sgpr 0
		.amdhsa_accum_offset 4
		.amdhsa_reserve_vcc 0
		.amdhsa_reserve_flat_scratch 0
		.amdhsa_float_round_mode_32 0
		.amdhsa_float_round_mode_16_64 0
		.amdhsa_float_denorm_mode_32 3
		.amdhsa_float_denorm_mode_16_64 3
		.amdhsa_dx10_clamp 1
		.amdhsa_ieee_mode 1
		.amdhsa_fp16_overflow 0
		.amdhsa_tg_split 0
		.amdhsa_exception_fp_ieee_invalid_op 0
		.amdhsa_exception_fp_denorm_src 0
		.amdhsa_exception_fp_ieee_div_zero 0
		.amdhsa_exception_fp_ieee_overflow 0
		.amdhsa_exception_fp_ieee_underflow 0
		.amdhsa_exception_fp_ieee_inexact 0
		.amdhsa_exception_int_div_zero 0
	.end_amdhsa_kernel
	.section	.text._ZN7rocprim17ROCPRIM_400000_NS6detail17trampoline_kernelINS0_14default_configENS1_37merge_sort_block_sort_config_selectorIlNS0_10empty_typeEEEZNS1_21merge_sort_block_sortIS3_N6thrust23THRUST_200600_302600_NS6detail15normal_iteratorINS9_10device_ptrIlEEEESE_PS5_SF_14custom_greaterIlEEE10hipError_tT0_T1_T2_T3_mRjT4_P12ihipStream_tbNS1_7vsmem_tEEUlT_E_NS1_11comp_targetILNS1_3genE2ELNS1_11target_archE906ELNS1_3gpuE6ELNS1_3repE0EEENS1_30default_config_static_selectorELNS0_4arch9wavefront6targetE1EEEvSK_,"axG",@progbits,_ZN7rocprim17ROCPRIM_400000_NS6detail17trampoline_kernelINS0_14default_configENS1_37merge_sort_block_sort_config_selectorIlNS0_10empty_typeEEEZNS1_21merge_sort_block_sortIS3_N6thrust23THRUST_200600_302600_NS6detail15normal_iteratorINS9_10device_ptrIlEEEESE_PS5_SF_14custom_greaterIlEEE10hipError_tT0_T1_T2_T3_mRjT4_P12ihipStream_tbNS1_7vsmem_tEEUlT_E_NS1_11comp_targetILNS1_3genE2ELNS1_11target_archE906ELNS1_3gpuE6ELNS1_3repE0EEENS1_30default_config_static_selectorELNS0_4arch9wavefront6targetE1EEEvSK_,comdat
.Lfunc_end3233:
	.size	_ZN7rocprim17ROCPRIM_400000_NS6detail17trampoline_kernelINS0_14default_configENS1_37merge_sort_block_sort_config_selectorIlNS0_10empty_typeEEEZNS1_21merge_sort_block_sortIS3_N6thrust23THRUST_200600_302600_NS6detail15normal_iteratorINS9_10device_ptrIlEEEESE_PS5_SF_14custom_greaterIlEEE10hipError_tT0_T1_T2_T3_mRjT4_P12ihipStream_tbNS1_7vsmem_tEEUlT_E_NS1_11comp_targetILNS1_3genE2ELNS1_11target_archE906ELNS1_3gpuE6ELNS1_3repE0EEENS1_30default_config_static_selectorELNS0_4arch9wavefront6targetE1EEEvSK_, .Lfunc_end3233-_ZN7rocprim17ROCPRIM_400000_NS6detail17trampoline_kernelINS0_14default_configENS1_37merge_sort_block_sort_config_selectorIlNS0_10empty_typeEEEZNS1_21merge_sort_block_sortIS3_N6thrust23THRUST_200600_302600_NS6detail15normal_iteratorINS9_10device_ptrIlEEEESE_PS5_SF_14custom_greaterIlEEE10hipError_tT0_T1_T2_T3_mRjT4_P12ihipStream_tbNS1_7vsmem_tEEUlT_E_NS1_11comp_targetILNS1_3genE2ELNS1_11target_archE906ELNS1_3gpuE6ELNS1_3repE0EEENS1_30default_config_static_selectorELNS0_4arch9wavefront6targetE1EEEvSK_
                                        ; -- End function
	.section	.AMDGPU.csdata,"",@progbits
; Kernel info:
; codeLenInByte = 0
; NumSgprs: 4
; NumVgprs: 0
; NumAgprs: 0
; TotalNumVgprs: 0
; ScratchSize: 0
; MemoryBound: 0
; FloatMode: 240
; IeeeMode: 1
; LDSByteSize: 0 bytes/workgroup (compile time only)
; SGPRBlocks: 0
; VGPRBlocks: 0
; NumSGPRsForWavesPerEU: 4
; NumVGPRsForWavesPerEU: 1
; AccumOffset: 4
; Occupancy: 8
; WaveLimiterHint : 0
; COMPUTE_PGM_RSRC2:SCRATCH_EN: 0
; COMPUTE_PGM_RSRC2:USER_SGPR: 6
; COMPUTE_PGM_RSRC2:TRAP_HANDLER: 0
; COMPUTE_PGM_RSRC2:TGID_X_EN: 1
; COMPUTE_PGM_RSRC2:TGID_Y_EN: 0
; COMPUTE_PGM_RSRC2:TGID_Z_EN: 0
; COMPUTE_PGM_RSRC2:TIDIG_COMP_CNT: 0
; COMPUTE_PGM_RSRC3_GFX90A:ACCUM_OFFSET: 0
; COMPUTE_PGM_RSRC3_GFX90A:TG_SPLIT: 0
	.section	.text._ZN7rocprim17ROCPRIM_400000_NS6detail17trampoline_kernelINS0_14default_configENS1_37merge_sort_block_sort_config_selectorIlNS0_10empty_typeEEEZNS1_21merge_sort_block_sortIS3_N6thrust23THRUST_200600_302600_NS6detail15normal_iteratorINS9_10device_ptrIlEEEESE_PS5_SF_14custom_greaterIlEEE10hipError_tT0_T1_T2_T3_mRjT4_P12ihipStream_tbNS1_7vsmem_tEEUlT_E_NS1_11comp_targetILNS1_3genE10ELNS1_11target_archE1201ELNS1_3gpuE5ELNS1_3repE0EEENS1_30default_config_static_selectorELNS0_4arch9wavefront6targetE1EEEvSK_,"axG",@progbits,_ZN7rocprim17ROCPRIM_400000_NS6detail17trampoline_kernelINS0_14default_configENS1_37merge_sort_block_sort_config_selectorIlNS0_10empty_typeEEEZNS1_21merge_sort_block_sortIS3_N6thrust23THRUST_200600_302600_NS6detail15normal_iteratorINS9_10device_ptrIlEEEESE_PS5_SF_14custom_greaterIlEEE10hipError_tT0_T1_T2_T3_mRjT4_P12ihipStream_tbNS1_7vsmem_tEEUlT_E_NS1_11comp_targetILNS1_3genE10ELNS1_11target_archE1201ELNS1_3gpuE5ELNS1_3repE0EEENS1_30default_config_static_selectorELNS0_4arch9wavefront6targetE1EEEvSK_,comdat
	.protected	_ZN7rocprim17ROCPRIM_400000_NS6detail17trampoline_kernelINS0_14default_configENS1_37merge_sort_block_sort_config_selectorIlNS0_10empty_typeEEEZNS1_21merge_sort_block_sortIS3_N6thrust23THRUST_200600_302600_NS6detail15normal_iteratorINS9_10device_ptrIlEEEESE_PS5_SF_14custom_greaterIlEEE10hipError_tT0_T1_T2_T3_mRjT4_P12ihipStream_tbNS1_7vsmem_tEEUlT_E_NS1_11comp_targetILNS1_3genE10ELNS1_11target_archE1201ELNS1_3gpuE5ELNS1_3repE0EEENS1_30default_config_static_selectorELNS0_4arch9wavefront6targetE1EEEvSK_ ; -- Begin function _ZN7rocprim17ROCPRIM_400000_NS6detail17trampoline_kernelINS0_14default_configENS1_37merge_sort_block_sort_config_selectorIlNS0_10empty_typeEEEZNS1_21merge_sort_block_sortIS3_N6thrust23THRUST_200600_302600_NS6detail15normal_iteratorINS9_10device_ptrIlEEEESE_PS5_SF_14custom_greaterIlEEE10hipError_tT0_T1_T2_T3_mRjT4_P12ihipStream_tbNS1_7vsmem_tEEUlT_E_NS1_11comp_targetILNS1_3genE10ELNS1_11target_archE1201ELNS1_3gpuE5ELNS1_3repE0EEENS1_30default_config_static_selectorELNS0_4arch9wavefront6targetE1EEEvSK_
	.globl	_ZN7rocprim17ROCPRIM_400000_NS6detail17trampoline_kernelINS0_14default_configENS1_37merge_sort_block_sort_config_selectorIlNS0_10empty_typeEEEZNS1_21merge_sort_block_sortIS3_N6thrust23THRUST_200600_302600_NS6detail15normal_iteratorINS9_10device_ptrIlEEEESE_PS5_SF_14custom_greaterIlEEE10hipError_tT0_T1_T2_T3_mRjT4_P12ihipStream_tbNS1_7vsmem_tEEUlT_E_NS1_11comp_targetILNS1_3genE10ELNS1_11target_archE1201ELNS1_3gpuE5ELNS1_3repE0EEENS1_30default_config_static_selectorELNS0_4arch9wavefront6targetE1EEEvSK_
	.p2align	8
	.type	_ZN7rocprim17ROCPRIM_400000_NS6detail17trampoline_kernelINS0_14default_configENS1_37merge_sort_block_sort_config_selectorIlNS0_10empty_typeEEEZNS1_21merge_sort_block_sortIS3_N6thrust23THRUST_200600_302600_NS6detail15normal_iteratorINS9_10device_ptrIlEEEESE_PS5_SF_14custom_greaterIlEEE10hipError_tT0_T1_T2_T3_mRjT4_P12ihipStream_tbNS1_7vsmem_tEEUlT_E_NS1_11comp_targetILNS1_3genE10ELNS1_11target_archE1201ELNS1_3gpuE5ELNS1_3repE0EEENS1_30default_config_static_selectorELNS0_4arch9wavefront6targetE1EEEvSK_,@function
_ZN7rocprim17ROCPRIM_400000_NS6detail17trampoline_kernelINS0_14default_configENS1_37merge_sort_block_sort_config_selectorIlNS0_10empty_typeEEEZNS1_21merge_sort_block_sortIS3_N6thrust23THRUST_200600_302600_NS6detail15normal_iteratorINS9_10device_ptrIlEEEESE_PS5_SF_14custom_greaterIlEEE10hipError_tT0_T1_T2_T3_mRjT4_P12ihipStream_tbNS1_7vsmem_tEEUlT_E_NS1_11comp_targetILNS1_3genE10ELNS1_11target_archE1201ELNS1_3gpuE5ELNS1_3repE0EEENS1_30default_config_static_selectorELNS0_4arch9wavefront6targetE1EEEvSK_: ; @_ZN7rocprim17ROCPRIM_400000_NS6detail17trampoline_kernelINS0_14default_configENS1_37merge_sort_block_sort_config_selectorIlNS0_10empty_typeEEEZNS1_21merge_sort_block_sortIS3_N6thrust23THRUST_200600_302600_NS6detail15normal_iteratorINS9_10device_ptrIlEEEESE_PS5_SF_14custom_greaterIlEEE10hipError_tT0_T1_T2_T3_mRjT4_P12ihipStream_tbNS1_7vsmem_tEEUlT_E_NS1_11comp_targetILNS1_3genE10ELNS1_11target_archE1201ELNS1_3gpuE5ELNS1_3repE0EEENS1_30default_config_static_selectorELNS0_4arch9wavefront6targetE1EEEvSK_
; %bb.0:
	.section	.rodata,"a",@progbits
	.p2align	6, 0x0
	.amdhsa_kernel _ZN7rocprim17ROCPRIM_400000_NS6detail17trampoline_kernelINS0_14default_configENS1_37merge_sort_block_sort_config_selectorIlNS0_10empty_typeEEEZNS1_21merge_sort_block_sortIS3_N6thrust23THRUST_200600_302600_NS6detail15normal_iteratorINS9_10device_ptrIlEEEESE_PS5_SF_14custom_greaterIlEEE10hipError_tT0_T1_T2_T3_mRjT4_P12ihipStream_tbNS1_7vsmem_tEEUlT_E_NS1_11comp_targetILNS1_3genE10ELNS1_11target_archE1201ELNS1_3gpuE5ELNS1_3repE0EEENS1_30default_config_static_selectorELNS0_4arch9wavefront6targetE1EEEvSK_
		.amdhsa_group_segment_fixed_size 0
		.amdhsa_private_segment_fixed_size 0
		.amdhsa_kernarg_size 64
		.amdhsa_user_sgpr_count 6
		.amdhsa_user_sgpr_private_segment_buffer 1
		.amdhsa_user_sgpr_dispatch_ptr 0
		.amdhsa_user_sgpr_queue_ptr 0
		.amdhsa_user_sgpr_kernarg_segment_ptr 1
		.amdhsa_user_sgpr_dispatch_id 0
		.amdhsa_user_sgpr_flat_scratch_init 0
		.amdhsa_user_sgpr_kernarg_preload_length 0
		.amdhsa_user_sgpr_kernarg_preload_offset 0
		.amdhsa_user_sgpr_private_segment_size 0
		.amdhsa_uses_dynamic_stack 0
		.amdhsa_system_sgpr_private_segment_wavefront_offset 0
		.amdhsa_system_sgpr_workgroup_id_x 1
		.amdhsa_system_sgpr_workgroup_id_y 0
		.amdhsa_system_sgpr_workgroup_id_z 0
		.amdhsa_system_sgpr_workgroup_info 0
		.amdhsa_system_vgpr_workitem_id 0
		.amdhsa_next_free_vgpr 1
		.amdhsa_next_free_sgpr 0
		.amdhsa_accum_offset 4
		.amdhsa_reserve_vcc 0
		.amdhsa_reserve_flat_scratch 0
		.amdhsa_float_round_mode_32 0
		.amdhsa_float_round_mode_16_64 0
		.amdhsa_float_denorm_mode_32 3
		.amdhsa_float_denorm_mode_16_64 3
		.amdhsa_dx10_clamp 1
		.amdhsa_ieee_mode 1
		.amdhsa_fp16_overflow 0
		.amdhsa_tg_split 0
		.amdhsa_exception_fp_ieee_invalid_op 0
		.amdhsa_exception_fp_denorm_src 0
		.amdhsa_exception_fp_ieee_div_zero 0
		.amdhsa_exception_fp_ieee_overflow 0
		.amdhsa_exception_fp_ieee_underflow 0
		.amdhsa_exception_fp_ieee_inexact 0
		.amdhsa_exception_int_div_zero 0
	.end_amdhsa_kernel
	.section	.text._ZN7rocprim17ROCPRIM_400000_NS6detail17trampoline_kernelINS0_14default_configENS1_37merge_sort_block_sort_config_selectorIlNS0_10empty_typeEEEZNS1_21merge_sort_block_sortIS3_N6thrust23THRUST_200600_302600_NS6detail15normal_iteratorINS9_10device_ptrIlEEEESE_PS5_SF_14custom_greaterIlEEE10hipError_tT0_T1_T2_T3_mRjT4_P12ihipStream_tbNS1_7vsmem_tEEUlT_E_NS1_11comp_targetILNS1_3genE10ELNS1_11target_archE1201ELNS1_3gpuE5ELNS1_3repE0EEENS1_30default_config_static_selectorELNS0_4arch9wavefront6targetE1EEEvSK_,"axG",@progbits,_ZN7rocprim17ROCPRIM_400000_NS6detail17trampoline_kernelINS0_14default_configENS1_37merge_sort_block_sort_config_selectorIlNS0_10empty_typeEEEZNS1_21merge_sort_block_sortIS3_N6thrust23THRUST_200600_302600_NS6detail15normal_iteratorINS9_10device_ptrIlEEEESE_PS5_SF_14custom_greaterIlEEE10hipError_tT0_T1_T2_T3_mRjT4_P12ihipStream_tbNS1_7vsmem_tEEUlT_E_NS1_11comp_targetILNS1_3genE10ELNS1_11target_archE1201ELNS1_3gpuE5ELNS1_3repE0EEENS1_30default_config_static_selectorELNS0_4arch9wavefront6targetE1EEEvSK_,comdat
.Lfunc_end3234:
	.size	_ZN7rocprim17ROCPRIM_400000_NS6detail17trampoline_kernelINS0_14default_configENS1_37merge_sort_block_sort_config_selectorIlNS0_10empty_typeEEEZNS1_21merge_sort_block_sortIS3_N6thrust23THRUST_200600_302600_NS6detail15normal_iteratorINS9_10device_ptrIlEEEESE_PS5_SF_14custom_greaterIlEEE10hipError_tT0_T1_T2_T3_mRjT4_P12ihipStream_tbNS1_7vsmem_tEEUlT_E_NS1_11comp_targetILNS1_3genE10ELNS1_11target_archE1201ELNS1_3gpuE5ELNS1_3repE0EEENS1_30default_config_static_selectorELNS0_4arch9wavefront6targetE1EEEvSK_, .Lfunc_end3234-_ZN7rocprim17ROCPRIM_400000_NS6detail17trampoline_kernelINS0_14default_configENS1_37merge_sort_block_sort_config_selectorIlNS0_10empty_typeEEEZNS1_21merge_sort_block_sortIS3_N6thrust23THRUST_200600_302600_NS6detail15normal_iteratorINS9_10device_ptrIlEEEESE_PS5_SF_14custom_greaterIlEEE10hipError_tT0_T1_T2_T3_mRjT4_P12ihipStream_tbNS1_7vsmem_tEEUlT_E_NS1_11comp_targetILNS1_3genE10ELNS1_11target_archE1201ELNS1_3gpuE5ELNS1_3repE0EEENS1_30default_config_static_selectorELNS0_4arch9wavefront6targetE1EEEvSK_
                                        ; -- End function
	.section	.AMDGPU.csdata,"",@progbits
; Kernel info:
; codeLenInByte = 0
; NumSgprs: 4
; NumVgprs: 0
; NumAgprs: 0
; TotalNumVgprs: 0
; ScratchSize: 0
; MemoryBound: 0
; FloatMode: 240
; IeeeMode: 1
; LDSByteSize: 0 bytes/workgroup (compile time only)
; SGPRBlocks: 0
; VGPRBlocks: 0
; NumSGPRsForWavesPerEU: 4
; NumVGPRsForWavesPerEU: 1
; AccumOffset: 4
; Occupancy: 8
; WaveLimiterHint : 0
; COMPUTE_PGM_RSRC2:SCRATCH_EN: 0
; COMPUTE_PGM_RSRC2:USER_SGPR: 6
; COMPUTE_PGM_RSRC2:TRAP_HANDLER: 0
; COMPUTE_PGM_RSRC2:TGID_X_EN: 1
; COMPUTE_PGM_RSRC2:TGID_Y_EN: 0
; COMPUTE_PGM_RSRC2:TGID_Z_EN: 0
; COMPUTE_PGM_RSRC2:TIDIG_COMP_CNT: 0
; COMPUTE_PGM_RSRC3_GFX90A:ACCUM_OFFSET: 0
; COMPUTE_PGM_RSRC3_GFX90A:TG_SPLIT: 0
	.section	.text._ZN7rocprim17ROCPRIM_400000_NS6detail17trampoline_kernelINS0_14default_configENS1_37merge_sort_block_sort_config_selectorIlNS0_10empty_typeEEEZNS1_21merge_sort_block_sortIS3_N6thrust23THRUST_200600_302600_NS6detail15normal_iteratorINS9_10device_ptrIlEEEESE_PS5_SF_14custom_greaterIlEEE10hipError_tT0_T1_T2_T3_mRjT4_P12ihipStream_tbNS1_7vsmem_tEEUlT_E_NS1_11comp_targetILNS1_3genE10ELNS1_11target_archE1200ELNS1_3gpuE4ELNS1_3repE0EEENS1_30default_config_static_selectorELNS0_4arch9wavefront6targetE1EEEvSK_,"axG",@progbits,_ZN7rocprim17ROCPRIM_400000_NS6detail17trampoline_kernelINS0_14default_configENS1_37merge_sort_block_sort_config_selectorIlNS0_10empty_typeEEEZNS1_21merge_sort_block_sortIS3_N6thrust23THRUST_200600_302600_NS6detail15normal_iteratorINS9_10device_ptrIlEEEESE_PS5_SF_14custom_greaterIlEEE10hipError_tT0_T1_T2_T3_mRjT4_P12ihipStream_tbNS1_7vsmem_tEEUlT_E_NS1_11comp_targetILNS1_3genE10ELNS1_11target_archE1200ELNS1_3gpuE4ELNS1_3repE0EEENS1_30default_config_static_selectorELNS0_4arch9wavefront6targetE1EEEvSK_,comdat
	.protected	_ZN7rocprim17ROCPRIM_400000_NS6detail17trampoline_kernelINS0_14default_configENS1_37merge_sort_block_sort_config_selectorIlNS0_10empty_typeEEEZNS1_21merge_sort_block_sortIS3_N6thrust23THRUST_200600_302600_NS6detail15normal_iteratorINS9_10device_ptrIlEEEESE_PS5_SF_14custom_greaterIlEEE10hipError_tT0_T1_T2_T3_mRjT4_P12ihipStream_tbNS1_7vsmem_tEEUlT_E_NS1_11comp_targetILNS1_3genE10ELNS1_11target_archE1200ELNS1_3gpuE4ELNS1_3repE0EEENS1_30default_config_static_selectorELNS0_4arch9wavefront6targetE1EEEvSK_ ; -- Begin function _ZN7rocprim17ROCPRIM_400000_NS6detail17trampoline_kernelINS0_14default_configENS1_37merge_sort_block_sort_config_selectorIlNS0_10empty_typeEEEZNS1_21merge_sort_block_sortIS3_N6thrust23THRUST_200600_302600_NS6detail15normal_iteratorINS9_10device_ptrIlEEEESE_PS5_SF_14custom_greaterIlEEE10hipError_tT0_T1_T2_T3_mRjT4_P12ihipStream_tbNS1_7vsmem_tEEUlT_E_NS1_11comp_targetILNS1_3genE10ELNS1_11target_archE1200ELNS1_3gpuE4ELNS1_3repE0EEENS1_30default_config_static_selectorELNS0_4arch9wavefront6targetE1EEEvSK_
	.globl	_ZN7rocprim17ROCPRIM_400000_NS6detail17trampoline_kernelINS0_14default_configENS1_37merge_sort_block_sort_config_selectorIlNS0_10empty_typeEEEZNS1_21merge_sort_block_sortIS3_N6thrust23THRUST_200600_302600_NS6detail15normal_iteratorINS9_10device_ptrIlEEEESE_PS5_SF_14custom_greaterIlEEE10hipError_tT0_T1_T2_T3_mRjT4_P12ihipStream_tbNS1_7vsmem_tEEUlT_E_NS1_11comp_targetILNS1_3genE10ELNS1_11target_archE1200ELNS1_3gpuE4ELNS1_3repE0EEENS1_30default_config_static_selectorELNS0_4arch9wavefront6targetE1EEEvSK_
	.p2align	8
	.type	_ZN7rocprim17ROCPRIM_400000_NS6detail17trampoline_kernelINS0_14default_configENS1_37merge_sort_block_sort_config_selectorIlNS0_10empty_typeEEEZNS1_21merge_sort_block_sortIS3_N6thrust23THRUST_200600_302600_NS6detail15normal_iteratorINS9_10device_ptrIlEEEESE_PS5_SF_14custom_greaterIlEEE10hipError_tT0_T1_T2_T3_mRjT4_P12ihipStream_tbNS1_7vsmem_tEEUlT_E_NS1_11comp_targetILNS1_3genE10ELNS1_11target_archE1200ELNS1_3gpuE4ELNS1_3repE0EEENS1_30default_config_static_selectorELNS0_4arch9wavefront6targetE1EEEvSK_,@function
_ZN7rocprim17ROCPRIM_400000_NS6detail17trampoline_kernelINS0_14default_configENS1_37merge_sort_block_sort_config_selectorIlNS0_10empty_typeEEEZNS1_21merge_sort_block_sortIS3_N6thrust23THRUST_200600_302600_NS6detail15normal_iteratorINS9_10device_ptrIlEEEESE_PS5_SF_14custom_greaterIlEEE10hipError_tT0_T1_T2_T3_mRjT4_P12ihipStream_tbNS1_7vsmem_tEEUlT_E_NS1_11comp_targetILNS1_3genE10ELNS1_11target_archE1200ELNS1_3gpuE4ELNS1_3repE0EEENS1_30default_config_static_selectorELNS0_4arch9wavefront6targetE1EEEvSK_: ; @_ZN7rocprim17ROCPRIM_400000_NS6detail17trampoline_kernelINS0_14default_configENS1_37merge_sort_block_sort_config_selectorIlNS0_10empty_typeEEEZNS1_21merge_sort_block_sortIS3_N6thrust23THRUST_200600_302600_NS6detail15normal_iteratorINS9_10device_ptrIlEEEESE_PS5_SF_14custom_greaterIlEEE10hipError_tT0_T1_T2_T3_mRjT4_P12ihipStream_tbNS1_7vsmem_tEEUlT_E_NS1_11comp_targetILNS1_3genE10ELNS1_11target_archE1200ELNS1_3gpuE4ELNS1_3repE0EEENS1_30default_config_static_selectorELNS0_4arch9wavefront6targetE1EEEvSK_
; %bb.0:
	.section	.rodata,"a",@progbits
	.p2align	6, 0x0
	.amdhsa_kernel _ZN7rocprim17ROCPRIM_400000_NS6detail17trampoline_kernelINS0_14default_configENS1_37merge_sort_block_sort_config_selectorIlNS0_10empty_typeEEEZNS1_21merge_sort_block_sortIS3_N6thrust23THRUST_200600_302600_NS6detail15normal_iteratorINS9_10device_ptrIlEEEESE_PS5_SF_14custom_greaterIlEEE10hipError_tT0_T1_T2_T3_mRjT4_P12ihipStream_tbNS1_7vsmem_tEEUlT_E_NS1_11comp_targetILNS1_3genE10ELNS1_11target_archE1200ELNS1_3gpuE4ELNS1_3repE0EEENS1_30default_config_static_selectorELNS0_4arch9wavefront6targetE1EEEvSK_
		.amdhsa_group_segment_fixed_size 0
		.amdhsa_private_segment_fixed_size 0
		.amdhsa_kernarg_size 64
		.amdhsa_user_sgpr_count 6
		.amdhsa_user_sgpr_private_segment_buffer 1
		.amdhsa_user_sgpr_dispatch_ptr 0
		.amdhsa_user_sgpr_queue_ptr 0
		.amdhsa_user_sgpr_kernarg_segment_ptr 1
		.amdhsa_user_sgpr_dispatch_id 0
		.amdhsa_user_sgpr_flat_scratch_init 0
		.amdhsa_user_sgpr_kernarg_preload_length 0
		.amdhsa_user_sgpr_kernarg_preload_offset 0
		.amdhsa_user_sgpr_private_segment_size 0
		.amdhsa_uses_dynamic_stack 0
		.amdhsa_system_sgpr_private_segment_wavefront_offset 0
		.amdhsa_system_sgpr_workgroup_id_x 1
		.amdhsa_system_sgpr_workgroup_id_y 0
		.amdhsa_system_sgpr_workgroup_id_z 0
		.amdhsa_system_sgpr_workgroup_info 0
		.amdhsa_system_vgpr_workitem_id 0
		.amdhsa_next_free_vgpr 1
		.amdhsa_next_free_sgpr 0
		.amdhsa_accum_offset 4
		.amdhsa_reserve_vcc 0
		.amdhsa_reserve_flat_scratch 0
		.amdhsa_float_round_mode_32 0
		.amdhsa_float_round_mode_16_64 0
		.amdhsa_float_denorm_mode_32 3
		.amdhsa_float_denorm_mode_16_64 3
		.amdhsa_dx10_clamp 1
		.amdhsa_ieee_mode 1
		.amdhsa_fp16_overflow 0
		.amdhsa_tg_split 0
		.amdhsa_exception_fp_ieee_invalid_op 0
		.amdhsa_exception_fp_denorm_src 0
		.amdhsa_exception_fp_ieee_div_zero 0
		.amdhsa_exception_fp_ieee_overflow 0
		.amdhsa_exception_fp_ieee_underflow 0
		.amdhsa_exception_fp_ieee_inexact 0
		.amdhsa_exception_int_div_zero 0
	.end_amdhsa_kernel
	.section	.text._ZN7rocprim17ROCPRIM_400000_NS6detail17trampoline_kernelINS0_14default_configENS1_37merge_sort_block_sort_config_selectorIlNS0_10empty_typeEEEZNS1_21merge_sort_block_sortIS3_N6thrust23THRUST_200600_302600_NS6detail15normal_iteratorINS9_10device_ptrIlEEEESE_PS5_SF_14custom_greaterIlEEE10hipError_tT0_T1_T2_T3_mRjT4_P12ihipStream_tbNS1_7vsmem_tEEUlT_E_NS1_11comp_targetILNS1_3genE10ELNS1_11target_archE1200ELNS1_3gpuE4ELNS1_3repE0EEENS1_30default_config_static_selectorELNS0_4arch9wavefront6targetE1EEEvSK_,"axG",@progbits,_ZN7rocprim17ROCPRIM_400000_NS6detail17trampoline_kernelINS0_14default_configENS1_37merge_sort_block_sort_config_selectorIlNS0_10empty_typeEEEZNS1_21merge_sort_block_sortIS3_N6thrust23THRUST_200600_302600_NS6detail15normal_iteratorINS9_10device_ptrIlEEEESE_PS5_SF_14custom_greaterIlEEE10hipError_tT0_T1_T2_T3_mRjT4_P12ihipStream_tbNS1_7vsmem_tEEUlT_E_NS1_11comp_targetILNS1_3genE10ELNS1_11target_archE1200ELNS1_3gpuE4ELNS1_3repE0EEENS1_30default_config_static_selectorELNS0_4arch9wavefront6targetE1EEEvSK_,comdat
.Lfunc_end3235:
	.size	_ZN7rocprim17ROCPRIM_400000_NS6detail17trampoline_kernelINS0_14default_configENS1_37merge_sort_block_sort_config_selectorIlNS0_10empty_typeEEEZNS1_21merge_sort_block_sortIS3_N6thrust23THRUST_200600_302600_NS6detail15normal_iteratorINS9_10device_ptrIlEEEESE_PS5_SF_14custom_greaterIlEEE10hipError_tT0_T1_T2_T3_mRjT4_P12ihipStream_tbNS1_7vsmem_tEEUlT_E_NS1_11comp_targetILNS1_3genE10ELNS1_11target_archE1200ELNS1_3gpuE4ELNS1_3repE0EEENS1_30default_config_static_selectorELNS0_4arch9wavefront6targetE1EEEvSK_, .Lfunc_end3235-_ZN7rocprim17ROCPRIM_400000_NS6detail17trampoline_kernelINS0_14default_configENS1_37merge_sort_block_sort_config_selectorIlNS0_10empty_typeEEEZNS1_21merge_sort_block_sortIS3_N6thrust23THRUST_200600_302600_NS6detail15normal_iteratorINS9_10device_ptrIlEEEESE_PS5_SF_14custom_greaterIlEEE10hipError_tT0_T1_T2_T3_mRjT4_P12ihipStream_tbNS1_7vsmem_tEEUlT_E_NS1_11comp_targetILNS1_3genE10ELNS1_11target_archE1200ELNS1_3gpuE4ELNS1_3repE0EEENS1_30default_config_static_selectorELNS0_4arch9wavefront6targetE1EEEvSK_
                                        ; -- End function
	.section	.AMDGPU.csdata,"",@progbits
; Kernel info:
; codeLenInByte = 0
; NumSgprs: 4
; NumVgprs: 0
; NumAgprs: 0
; TotalNumVgprs: 0
; ScratchSize: 0
; MemoryBound: 0
; FloatMode: 240
; IeeeMode: 1
; LDSByteSize: 0 bytes/workgroup (compile time only)
; SGPRBlocks: 0
; VGPRBlocks: 0
; NumSGPRsForWavesPerEU: 4
; NumVGPRsForWavesPerEU: 1
; AccumOffset: 4
; Occupancy: 8
; WaveLimiterHint : 0
; COMPUTE_PGM_RSRC2:SCRATCH_EN: 0
; COMPUTE_PGM_RSRC2:USER_SGPR: 6
; COMPUTE_PGM_RSRC2:TRAP_HANDLER: 0
; COMPUTE_PGM_RSRC2:TGID_X_EN: 1
; COMPUTE_PGM_RSRC2:TGID_Y_EN: 0
; COMPUTE_PGM_RSRC2:TGID_Z_EN: 0
; COMPUTE_PGM_RSRC2:TIDIG_COMP_CNT: 0
; COMPUTE_PGM_RSRC3_GFX90A:ACCUM_OFFSET: 0
; COMPUTE_PGM_RSRC3_GFX90A:TG_SPLIT: 0
	.section	.text._ZN7rocprim17ROCPRIM_400000_NS6detail17trampoline_kernelINS0_14default_configENS1_37merge_sort_block_sort_config_selectorIlNS0_10empty_typeEEEZNS1_21merge_sort_block_sortIS3_N6thrust23THRUST_200600_302600_NS6detail15normal_iteratorINS9_10device_ptrIlEEEESE_PS5_SF_14custom_greaterIlEEE10hipError_tT0_T1_T2_T3_mRjT4_P12ihipStream_tbNS1_7vsmem_tEEUlT_E_NS1_11comp_targetILNS1_3genE9ELNS1_11target_archE1100ELNS1_3gpuE3ELNS1_3repE0EEENS1_30default_config_static_selectorELNS0_4arch9wavefront6targetE1EEEvSK_,"axG",@progbits,_ZN7rocprim17ROCPRIM_400000_NS6detail17trampoline_kernelINS0_14default_configENS1_37merge_sort_block_sort_config_selectorIlNS0_10empty_typeEEEZNS1_21merge_sort_block_sortIS3_N6thrust23THRUST_200600_302600_NS6detail15normal_iteratorINS9_10device_ptrIlEEEESE_PS5_SF_14custom_greaterIlEEE10hipError_tT0_T1_T2_T3_mRjT4_P12ihipStream_tbNS1_7vsmem_tEEUlT_E_NS1_11comp_targetILNS1_3genE9ELNS1_11target_archE1100ELNS1_3gpuE3ELNS1_3repE0EEENS1_30default_config_static_selectorELNS0_4arch9wavefront6targetE1EEEvSK_,comdat
	.protected	_ZN7rocprim17ROCPRIM_400000_NS6detail17trampoline_kernelINS0_14default_configENS1_37merge_sort_block_sort_config_selectorIlNS0_10empty_typeEEEZNS1_21merge_sort_block_sortIS3_N6thrust23THRUST_200600_302600_NS6detail15normal_iteratorINS9_10device_ptrIlEEEESE_PS5_SF_14custom_greaterIlEEE10hipError_tT0_T1_T2_T3_mRjT4_P12ihipStream_tbNS1_7vsmem_tEEUlT_E_NS1_11comp_targetILNS1_3genE9ELNS1_11target_archE1100ELNS1_3gpuE3ELNS1_3repE0EEENS1_30default_config_static_selectorELNS0_4arch9wavefront6targetE1EEEvSK_ ; -- Begin function _ZN7rocprim17ROCPRIM_400000_NS6detail17trampoline_kernelINS0_14default_configENS1_37merge_sort_block_sort_config_selectorIlNS0_10empty_typeEEEZNS1_21merge_sort_block_sortIS3_N6thrust23THRUST_200600_302600_NS6detail15normal_iteratorINS9_10device_ptrIlEEEESE_PS5_SF_14custom_greaterIlEEE10hipError_tT0_T1_T2_T3_mRjT4_P12ihipStream_tbNS1_7vsmem_tEEUlT_E_NS1_11comp_targetILNS1_3genE9ELNS1_11target_archE1100ELNS1_3gpuE3ELNS1_3repE0EEENS1_30default_config_static_selectorELNS0_4arch9wavefront6targetE1EEEvSK_
	.globl	_ZN7rocprim17ROCPRIM_400000_NS6detail17trampoline_kernelINS0_14default_configENS1_37merge_sort_block_sort_config_selectorIlNS0_10empty_typeEEEZNS1_21merge_sort_block_sortIS3_N6thrust23THRUST_200600_302600_NS6detail15normal_iteratorINS9_10device_ptrIlEEEESE_PS5_SF_14custom_greaterIlEEE10hipError_tT0_T1_T2_T3_mRjT4_P12ihipStream_tbNS1_7vsmem_tEEUlT_E_NS1_11comp_targetILNS1_3genE9ELNS1_11target_archE1100ELNS1_3gpuE3ELNS1_3repE0EEENS1_30default_config_static_selectorELNS0_4arch9wavefront6targetE1EEEvSK_
	.p2align	8
	.type	_ZN7rocprim17ROCPRIM_400000_NS6detail17trampoline_kernelINS0_14default_configENS1_37merge_sort_block_sort_config_selectorIlNS0_10empty_typeEEEZNS1_21merge_sort_block_sortIS3_N6thrust23THRUST_200600_302600_NS6detail15normal_iteratorINS9_10device_ptrIlEEEESE_PS5_SF_14custom_greaterIlEEE10hipError_tT0_T1_T2_T3_mRjT4_P12ihipStream_tbNS1_7vsmem_tEEUlT_E_NS1_11comp_targetILNS1_3genE9ELNS1_11target_archE1100ELNS1_3gpuE3ELNS1_3repE0EEENS1_30default_config_static_selectorELNS0_4arch9wavefront6targetE1EEEvSK_,@function
_ZN7rocprim17ROCPRIM_400000_NS6detail17trampoline_kernelINS0_14default_configENS1_37merge_sort_block_sort_config_selectorIlNS0_10empty_typeEEEZNS1_21merge_sort_block_sortIS3_N6thrust23THRUST_200600_302600_NS6detail15normal_iteratorINS9_10device_ptrIlEEEESE_PS5_SF_14custom_greaterIlEEE10hipError_tT0_T1_T2_T3_mRjT4_P12ihipStream_tbNS1_7vsmem_tEEUlT_E_NS1_11comp_targetILNS1_3genE9ELNS1_11target_archE1100ELNS1_3gpuE3ELNS1_3repE0EEENS1_30default_config_static_selectorELNS0_4arch9wavefront6targetE1EEEvSK_: ; @_ZN7rocprim17ROCPRIM_400000_NS6detail17trampoline_kernelINS0_14default_configENS1_37merge_sort_block_sort_config_selectorIlNS0_10empty_typeEEEZNS1_21merge_sort_block_sortIS3_N6thrust23THRUST_200600_302600_NS6detail15normal_iteratorINS9_10device_ptrIlEEEESE_PS5_SF_14custom_greaterIlEEE10hipError_tT0_T1_T2_T3_mRjT4_P12ihipStream_tbNS1_7vsmem_tEEUlT_E_NS1_11comp_targetILNS1_3genE9ELNS1_11target_archE1100ELNS1_3gpuE3ELNS1_3repE0EEENS1_30default_config_static_selectorELNS0_4arch9wavefront6targetE1EEEvSK_
; %bb.0:
	.section	.rodata,"a",@progbits
	.p2align	6, 0x0
	.amdhsa_kernel _ZN7rocprim17ROCPRIM_400000_NS6detail17trampoline_kernelINS0_14default_configENS1_37merge_sort_block_sort_config_selectorIlNS0_10empty_typeEEEZNS1_21merge_sort_block_sortIS3_N6thrust23THRUST_200600_302600_NS6detail15normal_iteratorINS9_10device_ptrIlEEEESE_PS5_SF_14custom_greaterIlEEE10hipError_tT0_T1_T2_T3_mRjT4_P12ihipStream_tbNS1_7vsmem_tEEUlT_E_NS1_11comp_targetILNS1_3genE9ELNS1_11target_archE1100ELNS1_3gpuE3ELNS1_3repE0EEENS1_30default_config_static_selectorELNS0_4arch9wavefront6targetE1EEEvSK_
		.amdhsa_group_segment_fixed_size 0
		.amdhsa_private_segment_fixed_size 0
		.amdhsa_kernarg_size 64
		.amdhsa_user_sgpr_count 6
		.amdhsa_user_sgpr_private_segment_buffer 1
		.amdhsa_user_sgpr_dispatch_ptr 0
		.amdhsa_user_sgpr_queue_ptr 0
		.amdhsa_user_sgpr_kernarg_segment_ptr 1
		.amdhsa_user_sgpr_dispatch_id 0
		.amdhsa_user_sgpr_flat_scratch_init 0
		.amdhsa_user_sgpr_kernarg_preload_length 0
		.amdhsa_user_sgpr_kernarg_preload_offset 0
		.amdhsa_user_sgpr_private_segment_size 0
		.amdhsa_uses_dynamic_stack 0
		.amdhsa_system_sgpr_private_segment_wavefront_offset 0
		.amdhsa_system_sgpr_workgroup_id_x 1
		.amdhsa_system_sgpr_workgroup_id_y 0
		.amdhsa_system_sgpr_workgroup_id_z 0
		.amdhsa_system_sgpr_workgroup_info 0
		.amdhsa_system_vgpr_workitem_id 0
		.amdhsa_next_free_vgpr 1
		.amdhsa_next_free_sgpr 0
		.amdhsa_accum_offset 4
		.amdhsa_reserve_vcc 0
		.amdhsa_reserve_flat_scratch 0
		.amdhsa_float_round_mode_32 0
		.amdhsa_float_round_mode_16_64 0
		.amdhsa_float_denorm_mode_32 3
		.amdhsa_float_denorm_mode_16_64 3
		.amdhsa_dx10_clamp 1
		.amdhsa_ieee_mode 1
		.amdhsa_fp16_overflow 0
		.amdhsa_tg_split 0
		.amdhsa_exception_fp_ieee_invalid_op 0
		.amdhsa_exception_fp_denorm_src 0
		.amdhsa_exception_fp_ieee_div_zero 0
		.amdhsa_exception_fp_ieee_overflow 0
		.amdhsa_exception_fp_ieee_underflow 0
		.amdhsa_exception_fp_ieee_inexact 0
		.amdhsa_exception_int_div_zero 0
	.end_amdhsa_kernel
	.section	.text._ZN7rocprim17ROCPRIM_400000_NS6detail17trampoline_kernelINS0_14default_configENS1_37merge_sort_block_sort_config_selectorIlNS0_10empty_typeEEEZNS1_21merge_sort_block_sortIS3_N6thrust23THRUST_200600_302600_NS6detail15normal_iteratorINS9_10device_ptrIlEEEESE_PS5_SF_14custom_greaterIlEEE10hipError_tT0_T1_T2_T3_mRjT4_P12ihipStream_tbNS1_7vsmem_tEEUlT_E_NS1_11comp_targetILNS1_3genE9ELNS1_11target_archE1100ELNS1_3gpuE3ELNS1_3repE0EEENS1_30default_config_static_selectorELNS0_4arch9wavefront6targetE1EEEvSK_,"axG",@progbits,_ZN7rocprim17ROCPRIM_400000_NS6detail17trampoline_kernelINS0_14default_configENS1_37merge_sort_block_sort_config_selectorIlNS0_10empty_typeEEEZNS1_21merge_sort_block_sortIS3_N6thrust23THRUST_200600_302600_NS6detail15normal_iteratorINS9_10device_ptrIlEEEESE_PS5_SF_14custom_greaterIlEEE10hipError_tT0_T1_T2_T3_mRjT4_P12ihipStream_tbNS1_7vsmem_tEEUlT_E_NS1_11comp_targetILNS1_3genE9ELNS1_11target_archE1100ELNS1_3gpuE3ELNS1_3repE0EEENS1_30default_config_static_selectorELNS0_4arch9wavefront6targetE1EEEvSK_,comdat
.Lfunc_end3236:
	.size	_ZN7rocprim17ROCPRIM_400000_NS6detail17trampoline_kernelINS0_14default_configENS1_37merge_sort_block_sort_config_selectorIlNS0_10empty_typeEEEZNS1_21merge_sort_block_sortIS3_N6thrust23THRUST_200600_302600_NS6detail15normal_iteratorINS9_10device_ptrIlEEEESE_PS5_SF_14custom_greaterIlEEE10hipError_tT0_T1_T2_T3_mRjT4_P12ihipStream_tbNS1_7vsmem_tEEUlT_E_NS1_11comp_targetILNS1_3genE9ELNS1_11target_archE1100ELNS1_3gpuE3ELNS1_3repE0EEENS1_30default_config_static_selectorELNS0_4arch9wavefront6targetE1EEEvSK_, .Lfunc_end3236-_ZN7rocprim17ROCPRIM_400000_NS6detail17trampoline_kernelINS0_14default_configENS1_37merge_sort_block_sort_config_selectorIlNS0_10empty_typeEEEZNS1_21merge_sort_block_sortIS3_N6thrust23THRUST_200600_302600_NS6detail15normal_iteratorINS9_10device_ptrIlEEEESE_PS5_SF_14custom_greaterIlEEE10hipError_tT0_T1_T2_T3_mRjT4_P12ihipStream_tbNS1_7vsmem_tEEUlT_E_NS1_11comp_targetILNS1_3genE9ELNS1_11target_archE1100ELNS1_3gpuE3ELNS1_3repE0EEENS1_30default_config_static_selectorELNS0_4arch9wavefront6targetE1EEEvSK_
                                        ; -- End function
	.section	.AMDGPU.csdata,"",@progbits
; Kernel info:
; codeLenInByte = 0
; NumSgprs: 4
; NumVgprs: 0
; NumAgprs: 0
; TotalNumVgprs: 0
; ScratchSize: 0
; MemoryBound: 0
; FloatMode: 240
; IeeeMode: 1
; LDSByteSize: 0 bytes/workgroup (compile time only)
; SGPRBlocks: 0
; VGPRBlocks: 0
; NumSGPRsForWavesPerEU: 4
; NumVGPRsForWavesPerEU: 1
; AccumOffset: 4
; Occupancy: 8
; WaveLimiterHint : 0
; COMPUTE_PGM_RSRC2:SCRATCH_EN: 0
; COMPUTE_PGM_RSRC2:USER_SGPR: 6
; COMPUTE_PGM_RSRC2:TRAP_HANDLER: 0
; COMPUTE_PGM_RSRC2:TGID_X_EN: 1
; COMPUTE_PGM_RSRC2:TGID_Y_EN: 0
; COMPUTE_PGM_RSRC2:TGID_Z_EN: 0
; COMPUTE_PGM_RSRC2:TIDIG_COMP_CNT: 0
; COMPUTE_PGM_RSRC3_GFX90A:ACCUM_OFFSET: 0
; COMPUTE_PGM_RSRC3_GFX90A:TG_SPLIT: 0
	.section	.text._ZN7rocprim17ROCPRIM_400000_NS6detail17trampoline_kernelINS0_14default_configENS1_37merge_sort_block_sort_config_selectorIlNS0_10empty_typeEEEZNS1_21merge_sort_block_sortIS3_N6thrust23THRUST_200600_302600_NS6detail15normal_iteratorINS9_10device_ptrIlEEEESE_PS5_SF_14custom_greaterIlEEE10hipError_tT0_T1_T2_T3_mRjT4_P12ihipStream_tbNS1_7vsmem_tEEUlT_E_NS1_11comp_targetILNS1_3genE8ELNS1_11target_archE1030ELNS1_3gpuE2ELNS1_3repE0EEENS1_30default_config_static_selectorELNS0_4arch9wavefront6targetE1EEEvSK_,"axG",@progbits,_ZN7rocprim17ROCPRIM_400000_NS6detail17trampoline_kernelINS0_14default_configENS1_37merge_sort_block_sort_config_selectorIlNS0_10empty_typeEEEZNS1_21merge_sort_block_sortIS3_N6thrust23THRUST_200600_302600_NS6detail15normal_iteratorINS9_10device_ptrIlEEEESE_PS5_SF_14custom_greaterIlEEE10hipError_tT0_T1_T2_T3_mRjT4_P12ihipStream_tbNS1_7vsmem_tEEUlT_E_NS1_11comp_targetILNS1_3genE8ELNS1_11target_archE1030ELNS1_3gpuE2ELNS1_3repE0EEENS1_30default_config_static_selectorELNS0_4arch9wavefront6targetE1EEEvSK_,comdat
	.protected	_ZN7rocprim17ROCPRIM_400000_NS6detail17trampoline_kernelINS0_14default_configENS1_37merge_sort_block_sort_config_selectorIlNS0_10empty_typeEEEZNS1_21merge_sort_block_sortIS3_N6thrust23THRUST_200600_302600_NS6detail15normal_iteratorINS9_10device_ptrIlEEEESE_PS5_SF_14custom_greaterIlEEE10hipError_tT0_T1_T2_T3_mRjT4_P12ihipStream_tbNS1_7vsmem_tEEUlT_E_NS1_11comp_targetILNS1_3genE8ELNS1_11target_archE1030ELNS1_3gpuE2ELNS1_3repE0EEENS1_30default_config_static_selectorELNS0_4arch9wavefront6targetE1EEEvSK_ ; -- Begin function _ZN7rocprim17ROCPRIM_400000_NS6detail17trampoline_kernelINS0_14default_configENS1_37merge_sort_block_sort_config_selectorIlNS0_10empty_typeEEEZNS1_21merge_sort_block_sortIS3_N6thrust23THRUST_200600_302600_NS6detail15normal_iteratorINS9_10device_ptrIlEEEESE_PS5_SF_14custom_greaterIlEEE10hipError_tT0_T1_T2_T3_mRjT4_P12ihipStream_tbNS1_7vsmem_tEEUlT_E_NS1_11comp_targetILNS1_3genE8ELNS1_11target_archE1030ELNS1_3gpuE2ELNS1_3repE0EEENS1_30default_config_static_selectorELNS0_4arch9wavefront6targetE1EEEvSK_
	.globl	_ZN7rocprim17ROCPRIM_400000_NS6detail17trampoline_kernelINS0_14default_configENS1_37merge_sort_block_sort_config_selectorIlNS0_10empty_typeEEEZNS1_21merge_sort_block_sortIS3_N6thrust23THRUST_200600_302600_NS6detail15normal_iteratorINS9_10device_ptrIlEEEESE_PS5_SF_14custom_greaterIlEEE10hipError_tT0_T1_T2_T3_mRjT4_P12ihipStream_tbNS1_7vsmem_tEEUlT_E_NS1_11comp_targetILNS1_3genE8ELNS1_11target_archE1030ELNS1_3gpuE2ELNS1_3repE0EEENS1_30default_config_static_selectorELNS0_4arch9wavefront6targetE1EEEvSK_
	.p2align	8
	.type	_ZN7rocprim17ROCPRIM_400000_NS6detail17trampoline_kernelINS0_14default_configENS1_37merge_sort_block_sort_config_selectorIlNS0_10empty_typeEEEZNS1_21merge_sort_block_sortIS3_N6thrust23THRUST_200600_302600_NS6detail15normal_iteratorINS9_10device_ptrIlEEEESE_PS5_SF_14custom_greaterIlEEE10hipError_tT0_T1_T2_T3_mRjT4_P12ihipStream_tbNS1_7vsmem_tEEUlT_E_NS1_11comp_targetILNS1_3genE8ELNS1_11target_archE1030ELNS1_3gpuE2ELNS1_3repE0EEENS1_30default_config_static_selectorELNS0_4arch9wavefront6targetE1EEEvSK_,@function
_ZN7rocprim17ROCPRIM_400000_NS6detail17trampoline_kernelINS0_14default_configENS1_37merge_sort_block_sort_config_selectorIlNS0_10empty_typeEEEZNS1_21merge_sort_block_sortIS3_N6thrust23THRUST_200600_302600_NS6detail15normal_iteratorINS9_10device_ptrIlEEEESE_PS5_SF_14custom_greaterIlEEE10hipError_tT0_T1_T2_T3_mRjT4_P12ihipStream_tbNS1_7vsmem_tEEUlT_E_NS1_11comp_targetILNS1_3genE8ELNS1_11target_archE1030ELNS1_3gpuE2ELNS1_3repE0EEENS1_30default_config_static_selectorELNS0_4arch9wavefront6targetE1EEEvSK_: ; @_ZN7rocprim17ROCPRIM_400000_NS6detail17trampoline_kernelINS0_14default_configENS1_37merge_sort_block_sort_config_selectorIlNS0_10empty_typeEEEZNS1_21merge_sort_block_sortIS3_N6thrust23THRUST_200600_302600_NS6detail15normal_iteratorINS9_10device_ptrIlEEEESE_PS5_SF_14custom_greaterIlEEE10hipError_tT0_T1_T2_T3_mRjT4_P12ihipStream_tbNS1_7vsmem_tEEUlT_E_NS1_11comp_targetILNS1_3genE8ELNS1_11target_archE1030ELNS1_3gpuE2ELNS1_3repE0EEENS1_30default_config_static_selectorELNS0_4arch9wavefront6targetE1EEEvSK_
; %bb.0:
	.section	.rodata,"a",@progbits
	.p2align	6, 0x0
	.amdhsa_kernel _ZN7rocprim17ROCPRIM_400000_NS6detail17trampoline_kernelINS0_14default_configENS1_37merge_sort_block_sort_config_selectorIlNS0_10empty_typeEEEZNS1_21merge_sort_block_sortIS3_N6thrust23THRUST_200600_302600_NS6detail15normal_iteratorINS9_10device_ptrIlEEEESE_PS5_SF_14custom_greaterIlEEE10hipError_tT0_T1_T2_T3_mRjT4_P12ihipStream_tbNS1_7vsmem_tEEUlT_E_NS1_11comp_targetILNS1_3genE8ELNS1_11target_archE1030ELNS1_3gpuE2ELNS1_3repE0EEENS1_30default_config_static_selectorELNS0_4arch9wavefront6targetE1EEEvSK_
		.amdhsa_group_segment_fixed_size 0
		.amdhsa_private_segment_fixed_size 0
		.amdhsa_kernarg_size 64
		.amdhsa_user_sgpr_count 6
		.amdhsa_user_sgpr_private_segment_buffer 1
		.amdhsa_user_sgpr_dispatch_ptr 0
		.amdhsa_user_sgpr_queue_ptr 0
		.amdhsa_user_sgpr_kernarg_segment_ptr 1
		.amdhsa_user_sgpr_dispatch_id 0
		.amdhsa_user_sgpr_flat_scratch_init 0
		.amdhsa_user_sgpr_kernarg_preload_length 0
		.amdhsa_user_sgpr_kernarg_preload_offset 0
		.amdhsa_user_sgpr_private_segment_size 0
		.amdhsa_uses_dynamic_stack 0
		.amdhsa_system_sgpr_private_segment_wavefront_offset 0
		.amdhsa_system_sgpr_workgroup_id_x 1
		.amdhsa_system_sgpr_workgroup_id_y 0
		.amdhsa_system_sgpr_workgroup_id_z 0
		.amdhsa_system_sgpr_workgroup_info 0
		.amdhsa_system_vgpr_workitem_id 0
		.amdhsa_next_free_vgpr 1
		.amdhsa_next_free_sgpr 0
		.amdhsa_accum_offset 4
		.amdhsa_reserve_vcc 0
		.amdhsa_reserve_flat_scratch 0
		.amdhsa_float_round_mode_32 0
		.amdhsa_float_round_mode_16_64 0
		.amdhsa_float_denorm_mode_32 3
		.amdhsa_float_denorm_mode_16_64 3
		.amdhsa_dx10_clamp 1
		.amdhsa_ieee_mode 1
		.amdhsa_fp16_overflow 0
		.amdhsa_tg_split 0
		.amdhsa_exception_fp_ieee_invalid_op 0
		.amdhsa_exception_fp_denorm_src 0
		.amdhsa_exception_fp_ieee_div_zero 0
		.amdhsa_exception_fp_ieee_overflow 0
		.amdhsa_exception_fp_ieee_underflow 0
		.amdhsa_exception_fp_ieee_inexact 0
		.amdhsa_exception_int_div_zero 0
	.end_amdhsa_kernel
	.section	.text._ZN7rocprim17ROCPRIM_400000_NS6detail17trampoline_kernelINS0_14default_configENS1_37merge_sort_block_sort_config_selectorIlNS0_10empty_typeEEEZNS1_21merge_sort_block_sortIS3_N6thrust23THRUST_200600_302600_NS6detail15normal_iteratorINS9_10device_ptrIlEEEESE_PS5_SF_14custom_greaterIlEEE10hipError_tT0_T1_T2_T3_mRjT4_P12ihipStream_tbNS1_7vsmem_tEEUlT_E_NS1_11comp_targetILNS1_3genE8ELNS1_11target_archE1030ELNS1_3gpuE2ELNS1_3repE0EEENS1_30default_config_static_selectorELNS0_4arch9wavefront6targetE1EEEvSK_,"axG",@progbits,_ZN7rocprim17ROCPRIM_400000_NS6detail17trampoline_kernelINS0_14default_configENS1_37merge_sort_block_sort_config_selectorIlNS0_10empty_typeEEEZNS1_21merge_sort_block_sortIS3_N6thrust23THRUST_200600_302600_NS6detail15normal_iteratorINS9_10device_ptrIlEEEESE_PS5_SF_14custom_greaterIlEEE10hipError_tT0_T1_T2_T3_mRjT4_P12ihipStream_tbNS1_7vsmem_tEEUlT_E_NS1_11comp_targetILNS1_3genE8ELNS1_11target_archE1030ELNS1_3gpuE2ELNS1_3repE0EEENS1_30default_config_static_selectorELNS0_4arch9wavefront6targetE1EEEvSK_,comdat
.Lfunc_end3237:
	.size	_ZN7rocprim17ROCPRIM_400000_NS6detail17trampoline_kernelINS0_14default_configENS1_37merge_sort_block_sort_config_selectorIlNS0_10empty_typeEEEZNS1_21merge_sort_block_sortIS3_N6thrust23THRUST_200600_302600_NS6detail15normal_iteratorINS9_10device_ptrIlEEEESE_PS5_SF_14custom_greaterIlEEE10hipError_tT0_T1_T2_T3_mRjT4_P12ihipStream_tbNS1_7vsmem_tEEUlT_E_NS1_11comp_targetILNS1_3genE8ELNS1_11target_archE1030ELNS1_3gpuE2ELNS1_3repE0EEENS1_30default_config_static_selectorELNS0_4arch9wavefront6targetE1EEEvSK_, .Lfunc_end3237-_ZN7rocprim17ROCPRIM_400000_NS6detail17trampoline_kernelINS0_14default_configENS1_37merge_sort_block_sort_config_selectorIlNS0_10empty_typeEEEZNS1_21merge_sort_block_sortIS3_N6thrust23THRUST_200600_302600_NS6detail15normal_iteratorINS9_10device_ptrIlEEEESE_PS5_SF_14custom_greaterIlEEE10hipError_tT0_T1_T2_T3_mRjT4_P12ihipStream_tbNS1_7vsmem_tEEUlT_E_NS1_11comp_targetILNS1_3genE8ELNS1_11target_archE1030ELNS1_3gpuE2ELNS1_3repE0EEENS1_30default_config_static_selectorELNS0_4arch9wavefront6targetE1EEEvSK_
                                        ; -- End function
	.section	.AMDGPU.csdata,"",@progbits
; Kernel info:
; codeLenInByte = 0
; NumSgprs: 4
; NumVgprs: 0
; NumAgprs: 0
; TotalNumVgprs: 0
; ScratchSize: 0
; MemoryBound: 0
; FloatMode: 240
; IeeeMode: 1
; LDSByteSize: 0 bytes/workgroup (compile time only)
; SGPRBlocks: 0
; VGPRBlocks: 0
; NumSGPRsForWavesPerEU: 4
; NumVGPRsForWavesPerEU: 1
; AccumOffset: 4
; Occupancy: 8
; WaveLimiterHint : 0
; COMPUTE_PGM_RSRC2:SCRATCH_EN: 0
; COMPUTE_PGM_RSRC2:USER_SGPR: 6
; COMPUTE_PGM_RSRC2:TRAP_HANDLER: 0
; COMPUTE_PGM_RSRC2:TGID_X_EN: 1
; COMPUTE_PGM_RSRC2:TGID_Y_EN: 0
; COMPUTE_PGM_RSRC2:TGID_Z_EN: 0
; COMPUTE_PGM_RSRC2:TIDIG_COMP_CNT: 0
; COMPUTE_PGM_RSRC3_GFX90A:ACCUM_OFFSET: 0
; COMPUTE_PGM_RSRC3_GFX90A:TG_SPLIT: 0
	.section	.text._ZN7rocprim17ROCPRIM_400000_NS6detail17trampoline_kernelINS0_14default_configENS1_38merge_sort_block_merge_config_selectorIlNS0_10empty_typeEEEZZNS1_27merge_sort_block_merge_implIS3_N6thrust23THRUST_200600_302600_NS6detail15normal_iteratorINS9_10device_ptrIlEEEEPS5_m14custom_greaterIlEEE10hipError_tT0_T1_T2_jT3_P12ihipStream_tbPNSt15iterator_traitsISJ_E10value_typeEPNSP_ISK_E10value_typeEPSL_NS1_7vsmem_tEENKUlT_SJ_SK_SL_E_clIPlSE_SF_SF_EESI_SY_SJ_SK_SL_EUlSY_E_NS1_11comp_targetILNS1_3genE0ELNS1_11target_archE4294967295ELNS1_3gpuE0ELNS1_3repE0EEENS1_48merge_mergepath_partition_config_static_selectorELNS0_4arch9wavefront6targetE1EEEvSK_,"axG",@progbits,_ZN7rocprim17ROCPRIM_400000_NS6detail17trampoline_kernelINS0_14default_configENS1_38merge_sort_block_merge_config_selectorIlNS0_10empty_typeEEEZZNS1_27merge_sort_block_merge_implIS3_N6thrust23THRUST_200600_302600_NS6detail15normal_iteratorINS9_10device_ptrIlEEEEPS5_m14custom_greaterIlEEE10hipError_tT0_T1_T2_jT3_P12ihipStream_tbPNSt15iterator_traitsISJ_E10value_typeEPNSP_ISK_E10value_typeEPSL_NS1_7vsmem_tEENKUlT_SJ_SK_SL_E_clIPlSE_SF_SF_EESI_SY_SJ_SK_SL_EUlSY_E_NS1_11comp_targetILNS1_3genE0ELNS1_11target_archE4294967295ELNS1_3gpuE0ELNS1_3repE0EEENS1_48merge_mergepath_partition_config_static_selectorELNS0_4arch9wavefront6targetE1EEEvSK_,comdat
	.protected	_ZN7rocprim17ROCPRIM_400000_NS6detail17trampoline_kernelINS0_14default_configENS1_38merge_sort_block_merge_config_selectorIlNS0_10empty_typeEEEZZNS1_27merge_sort_block_merge_implIS3_N6thrust23THRUST_200600_302600_NS6detail15normal_iteratorINS9_10device_ptrIlEEEEPS5_m14custom_greaterIlEEE10hipError_tT0_T1_T2_jT3_P12ihipStream_tbPNSt15iterator_traitsISJ_E10value_typeEPNSP_ISK_E10value_typeEPSL_NS1_7vsmem_tEENKUlT_SJ_SK_SL_E_clIPlSE_SF_SF_EESI_SY_SJ_SK_SL_EUlSY_E_NS1_11comp_targetILNS1_3genE0ELNS1_11target_archE4294967295ELNS1_3gpuE0ELNS1_3repE0EEENS1_48merge_mergepath_partition_config_static_selectorELNS0_4arch9wavefront6targetE1EEEvSK_ ; -- Begin function _ZN7rocprim17ROCPRIM_400000_NS6detail17trampoline_kernelINS0_14default_configENS1_38merge_sort_block_merge_config_selectorIlNS0_10empty_typeEEEZZNS1_27merge_sort_block_merge_implIS3_N6thrust23THRUST_200600_302600_NS6detail15normal_iteratorINS9_10device_ptrIlEEEEPS5_m14custom_greaterIlEEE10hipError_tT0_T1_T2_jT3_P12ihipStream_tbPNSt15iterator_traitsISJ_E10value_typeEPNSP_ISK_E10value_typeEPSL_NS1_7vsmem_tEENKUlT_SJ_SK_SL_E_clIPlSE_SF_SF_EESI_SY_SJ_SK_SL_EUlSY_E_NS1_11comp_targetILNS1_3genE0ELNS1_11target_archE4294967295ELNS1_3gpuE0ELNS1_3repE0EEENS1_48merge_mergepath_partition_config_static_selectorELNS0_4arch9wavefront6targetE1EEEvSK_
	.globl	_ZN7rocprim17ROCPRIM_400000_NS6detail17trampoline_kernelINS0_14default_configENS1_38merge_sort_block_merge_config_selectorIlNS0_10empty_typeEEEZZNS1_27merge_sort_block_merge_implIS3_N6thrust23THRUST_200600_302600_NS6detail15normal_iteratorINS9_10device_ptrIlEEEEPS5_m14custom_greaterIlEEE10hipError_tT0_T1_T2_jT3_P12ihipStream_tbPNSt15iterator_traitsISJ_E10value_typeEPNSP_ISK_E10value_typeEPSL_NS1_7vsmem_tEENKUlT_SJ_SK_SL_E_clIPlSE_SF_SF_EESI_SY_SJ_SK_SL_EUlSY_E_NS1_11comp_targetILNS1_3genE0ELNS1_11target_archE4294967295ELNS1_3gpuE0ELNS1_3repE0EEENS1_48merge_mergepath_partition_config_static_selectorELNS0_4arch9wavefront6targetE1EEEvSK_
	.p2align	8
	.type	_ZN7rocprim17ROCPRIM_400000_NS6detail17trampoline_kernelINS0_14default_configENS1_38merge_sort_block_merge_config_selectorIlNS0_10empty_typeEEEZZNS1_27merge_sort_block_merge_implIS3_N6thrust23THRUST_200600_302600_NS6detail15normal_iteratorINS9_10device_ptrIlEEEEPS5_m14custom_greaterIlEEE10hipError_tT0_T1_T2_jT3_P12ihipStream_tbPNSt15iterator_traitsISJ_E10value_typeEPNSP_ISK_E10value_typeEPSL_NS1_7vsmem_tEENKUlT_SJ_SK_SL_E_clIPlSE_SF_SF_EESI_SY_SJ_SK_SL_EUlSY_E_NS1_11comp_targetILNS1_3genE0ELNS1_11target_archE4294967295ELNS1_3gpuE0ELNS1_3repE0EEENS1_48merge_mergepath_partition_config_static_selectorELNS0_4arch9wavefront6targetE1EEEvSK_,@function
_ZN7rocprim17ROCPRIM_400000_NS6detail17trampoline_kernelINS0_14default_configENS1_38merge_sort_block_merge_config_selectorIlNS0_10empty_typeEEEZZNS1_27merge_sort_block_merge_implIS3_N6thrust23THRUST_200600_302600_NS6detail15normal_iteratorINS9_10device_ptrIlEEEEPS5_m14custom_greaterIlEEE10hipError_tT0_T1_T2_jT3_P12ihipStream_tbPNSt15iterator_traitsISJ_E10value_typeEPNSP_ISK_E10value_typeEPSL_NS1_7vsmem_tEENKUlT_SJ_SK_SL_E_clIPlSE_SF_SF_EESI_SY_SJ_SK_SL_EUlSY_E_NS1_11comp_targetILNS1_3genE0ELNS1_11target_archE4294967295ELNS1_3gpuE0ELNS1_3repE0EEENS1_48merge_mergepath_partition_config_static_selectorELNS0_4arch9wavefront6targetE1EEEvSK_: ; @_ZN7rocprim17ROCPRIM_400000_NS6detail17trampoline_kernelINS0_14default_configENS1_38merge_sort_block_merge_config_selectorIlNS0_10empty_typeEEEZZNS1_27merge_sort_block_merge_implIS3_N6thrust23THRUST_200600_302600_NS6detail15normal_iteratorINS9_10device_ptrIlEEEEPS5_m14custom_greaterIlEEE10hipError_tT0_T1_T2_jT3_P12ihipStream_tbPNSt15iterator_traitsISJ_E10value_typeEPNSP_ISK_E10value_typeEPSL_NS1_7vsmem_tEENKUlT_SJ_SK_SL_E_clIPlSE_SF_SF_EESI_SY_SJ_SK_SL_EUlSY_E_NS1_11comp_targetILNS1_3genE0ELNS1_11target_archE4294967295ELNS1_3gpuE0ELNS1_3repE0EEENS1_48merge_mergepath_partition_config_static_selectorELNS0_4arch9wavefront6targetE1EEEvSK_
; %bb.0:
	.section	.rodata,"a",@progbits
	.p2align	6, 0x0
	.amdhsa_kernel _ZN7rocprim17ROCPRIM_400000_NS6detail17trampoline_kernelINS0_14default_configENS1_38merge_sort_block_merge_config_selectorIlNS0_10empty_typeEEEZZNS1_27merge_sort_block_merge_implIS3_N6thrust23THRUST_200600_302600_NS6detail15normal_iteratorINS9_10device_ptrIlEEEEPS5_m14custom_greaterIlEEE10hipError_tT0_T1_T2_jT3_P12ihipStream_tbPNSt15iterator_traitsISJ_E10value_typeEPNSP_ISK_E10value_typeEPSL_NS1_7vsmem_tEENKUlT_SJ_SK_SL_E_clIPlSE_SF_SF_EESI_SY_SJ_SK_SL_EUlSY_E_NS1_11comp_targetILNS1_3genE0ELNS1_11target_archE4294967295ELNS1_3gpuE0ELNS1_3repE0EEENS1_48merge_mergepath_partition_config_static_selectorELNS0_4arch9wavefront6targetE1EEEvSK_
		.amdhsa_group_segment_fixed_size 0
		.amdhsa_private_segment_fixed_size 0
		.amdhsa_kernarg_size 48
		.amdhsa_user_sgpr_count 6
		.amdhsa_user_sgpr_private_segment_buffer 1
		.amdhsa_user_sgpr_dispatch_ptr 0
		.amdhsa_user_sgpr_queue_ptr 0
		.amdhsa_user_sgpr_kernarg_segment_ptr 1
		.amdhsa_user_sgpr_dispatch_id 0
		.amdhsa_user_sgpr_flat_scratch_init 0
		.amdhsa_user_sgpr_kernarg_preload_length 0
		.amdhsa_user_sgpr_kernarg_preload_offset 0
		.amdhsa_user_sgpr_private_segment_size 0
		.amdhsa_uses_dynamic_stack 0
		.amdhsa_system_sgpr_private_segment_wavefront_offset 0
		.amdhsa_system_sgpr_workgroup_id_x 1
		.amdhsa_system_sgpr_workgroup_id_y 0
		.amdhsa_system_sgpr_workgroup_id_z 0
		.amdhsa_system_sgpr_workgroup_info 0
		.amdhsa_system_vgpr_workitem_id 0
		.amdhsa_next_free_vgpr 1
		.amdhsa_next_free_sgpr 0
		.amdhsa_accum_offset 4
		.amdhsa_reserve_vcc 0
		.amdhsa_reserve_flat_scratch 0
		.amdhsa_float_round_mode_32 0
		.amdhsa_float_round_mode_16_64 0
		.amdhsa_float_denorm_mode_32 3
		.amdhsa_float_denorm_mode_16_64 3
		.amdhsa_dx10_clamp 1
		.amdhsa_ieee_mode 1
		.amdhsa_fp16_overflow 0
		.amdhsa_tg_split 0
		.amdhsa_exception_fp_ieee_invalid_op 0
		.amdhsa_exception_fp_denorm_src 0
		.amdhsa_exception_fp_ieee_div_zero 0
		.amdhsa_exception_fp_ieee_overflow 0
		.amdhsa_exception_fp_ieee_underflow 0
		.amdhsa_exception_fp_ieee_inexact 0
		.amdhsa_exception_int_div_zero 0
	.end_amdhsa_kernel
	.section	.text._ZN7rocprim17ROCPRIM_400000_NS6detail17trampoline_kernelINS0_14default_configENS1_38merge_sort_block_merge_config_selectorIlNS0_10empty_typeEEEZZNS1_27merge_sort_block_merge_implIS3_N6thrust23THRUST_200600_302600_NS6detail15normal_iteratorINS9_10device_ptrIlEEEEPS5_m14custom_greaterIlEEE10hipError_tT0_T1_T2_jT3_P12ihipStream_tbPNSt15iterator_traitsISJ_E10value_typeEPNSP_ISK_E10value_typeEPSL_NS1_7vsmem_tEENKUlT_SJ_SK_SL_E_clIPlSE_SF_SF_EESI_SY_SJ_SK_SL_EUlSY_E_NS1_11comp_targetILNS1_3genE0ELNS1_11target_archE4294967295ELNS1_3gpuE0ELNS1_3repE0EEENS1_48merge_mergepath_partition_config_static_selectorELNS0_4arch9wavefront6targetE1EEEvSK_,"axG",@progbits,_ZN7rocprim17ROCPRIM_400000_NS6detail17trampoline_kernelINS0_14default_configENS1_38merge_sort_block_merge_config_selectorIlNS0_10empty_typeEEEZZNS1_27merge_sort_block_merge_implIS3_N6thrust23THRUST_200600_302600_NS6detail15normal_iteratorINS9_10device_ptrIlEEEEPS5_m14custom_greaterIlEEE10hipError_tT0_T1_T2_jT3_P12ihipStream_tbPNSt15iterator_traitsISJ_E10value_typeEPNSP_ISK_E10value_typeEPSL_NS1_7vsmem_tEENKUlT_SJ_SK_SL_E_clIPlSE_SF_SF_EESI_SY_SJ_SK_SL_EUlSY_E_NS1_11comp_targetILNS1_3genE0ELNS1_11target_archE4294967295ELNS1_3gpuE0ELNS1_3repE0EEENS1_48merge_mergepath_partition_config_static_selectorELNS0_4arch9wavefront6targetE1EEEvSK_,comdat
.Lfunc_end3238:
	.size	_ZN7rocprim17ROCPRIM_400000_NS6detail17trampoline_kernelINS0_14default_configENS1_38merge_sort_block_merge_config_selectorIlNS0_10empty_typeEEEZZNS1_27merge_sort_block_merge_implIS3_N6thrust23THRUST_200600_302600_NS6detail15normal_iteratorINS9_10device_ptrIlEEEEPS5_m14custom_greaterIlEEE10hipError_tT0_T1_T2_jT3_P12ihipStream_tbPNSt15iterator_traitsISJ_E10value_typeEPNSP_ISK_E10value_typeEPSL_NS1_7vsmem_tEENKUlT_SJ_SK_SL_E_clIPlSE_SF_SF_EESI_SY_SJ_SK_SL_EUlSY_E_NS1_11comp_targetILNS1_3genE0ELNS1_11target_archE4294967295ELNS1_3gpuE0ELNS1_3repE0EEENS1_48merge_mergepath_partition_config_static_selectorELNS0_4arch9wavefront6targetE1EEEvSK_, .Lfunc_end3238-_ZN7rocprim17ROCPRIM_400000_NS6detail17trampoline_kernelINS0_14default_configENS1_38merge_sort_block_merge_config_selectorIlNS0_10empty_typeEEEZZNS1_27merge_sort_block_merge_implIS3_N6thrust23THRUST_200600_302600_NS6detail15normal_iteratorINS9_10device_ptrIlEEEEPS5_m14custom_greaterIlEEE10hipError_tT0_T1_T2_jT3_P12ihipStream_tbPNSt15iterator_traitsISJ_E10value_typeEPNSP_ISK_E10value_typeEPSL_NS1_7vsmem_tEENKUlT_SJ_SK_SL_E_clIPlSE_SF_SF_EESI_SY_SJ_SK_SL_EUlSY_E_NS1_11comp_targetILNS1_3genE0ELNS1_11target_archE4294967295ELNS1_3gpuE0ELNS1_3repE0EEENS1_48merge_mergepath_partition_config_static_selectorELNS0_4arch9wavefront6targetE1EEEvSK_
                                        ; -- End function
	.section	.AMDGPU.csdata,"",@progbits
; Kernel info:
; codeLenInByte = 0
; NumSgprs: 4
; NumVgprs: 0
; NumAgprs: 0
; TotalNumVgprs: 0
; ScratchSize: 0
; MemoryBound: 0
; FloatMode: 240
; IeeeMode: 1
; LDSByteSize: 0 bytes/workgroup (compile time only)
; SGPRBlocks: 0
; VGPRBlocks: 0
; NumSGPRsForWavesPerEU: 4
; NumVGPRsForWavesPerEU: 1
; AccumOffset: 4
; Occupancy: 8
; WaveLimiterHint : 0
; COMPUTE_PGM_RSRC2:SCRATCH_EN: 0
; COMPUTE_PGM_RSRC2:USER_SGPR: 6
; COMPUTE_PGM_RSRC2:TRAP_HANDLER: 0
; COMPUTE_PGM_RSRC2:TGID_X_EN: 1
; COMPUTE_PGM_RSRC2:TGID_Y_EN: 0
; COMPUTE_PGM_RSRC2:TGID_Z_EN: 0
; COMPUTE_PGM_RSRC2:TIDIG_COMP_CNT: 0
; COMPUTE_PGM_RSRC3_GFX90A:ACCUM_OFFSET: 0
; COMPUTE_PGM_RSRC3_GFX90A:TG_SPLIT: 0
	.section	.text._ZN7rocprim17ROCPRIM_400000_NS6detail17trampoline_kernelINS0_14default_configENS1_38merge_sort_block_merge_config_selectorIlNS0_10empty_typeEEEZZNS1_27merge_sort_block_merge_implIS3_N6thrust23THRUST_200600_302600_NS6detail15normal_iteratorINS9_10device_ptrIlEEEEPS5_m14custom_greaterIlEEE10hipError_tT0_T1_T2_jT3_P12ihipStream_tbPNSt15iterator_traitsISJ_E10value_typeEPNSP_ISK_E10value_typeEPSL_NS1_7vsmem_tEENKUlT_SJ_SK_SL_E_clIPlSE_SF_SF_EESI_SY_SJ_SK_SL_EUlSY_E_NS1_11comp_targetILNS1_3genE10ELNS1_11target_archE1201ELNS1_3gpuE5ELNS1_3repE0EEENS1_48merge_mergepath_partition_config_static_selectorELNS0_4arch9wavefront6targetE1EEEvSK_,"axG",@progbits,_ZN7rocprim17ROCPRIM_400000_NS6detail17trampoline_kernelINS0_14default_configENS1_38merge_sort_block_merge_config_selectorIlNS0_10empty_typeEEEZZNS1_27merge_sort_block_merge_implIS3_N6thrust23THRUST_200600_302600_NS6detail15normal_iteratorINS9_10device_ptrIlEEEEPS5_m14custom_greaterIlEEE10hipError_tT0_T1_T2_jT3_P12ihipStream_tbPNSt15iterator_traitsISJ_E10value_typeEPNSP_ISK_E10value_typeEPSL_NS1_7vsmem_tEENKUlT_SJ_SK_SL_E_clIPlSE_SF_SF_EESI_SY_SJ_SK_SL_EUlSY_E_NS1_11comp_targetILNS1_3genE10ELNS1_11target_archE1201ELNS1_3gpuE5ELNS1_3repE0EEENS1_48merge_mergepath_partition_config_static_selectorELNS0_4arch9wavefront6targetE1EEEvSK_,comdat
	.protected	_ZN7rocprim17ROCPRIM_400000_NS6detail17trampoline_kernelINS0_14default_configENS1_38merge_sort_block_merge_config_selectorIlNS0_10empty_typeEEEZZNS1_27merge_sort_block_merge_implIS3_N6thrust23THRUST_200600_302600_NS6detail15normal_iteratorINS9_10device_ptrIlEEEEPS5_m14custom_greaterIlEEE10hipError_tT0_T1_T2_jT3_P12ihipStream_tbPNSt15iterator_traitsISJ_E10value_typeEPNSP_ISK_E10value_typeEPSL_NS1_7vsmem_tEENKUlT_SJ_SK_SL_E_clIPlSE_SF_SF_EESI_SY_SJ_SK_SL_EUlSY_E_NS1_11comp_targetILNS1_3genE10ELNS1_11target_archE1201ELNS1_3gpuE5ELNS1_3repE0EEENS1_48merge_mergepath_partition_config_static_selectorELNS0_4arch9wavefront6targetE1EEEvSK_ ; -- Begin function _ZN7rocprim17ROCPRIM_400000_NS6detail17trampoline_kernelINS0_14default_configENS1_38merge_sort_block_merge_config_selectorIlNS0_10empty_typeEEEZZNS1_27merge_sort_block_merge_implIS3_N6thrust23THRUST_200600_302600_NS6detail15normal_iteratorINS9_10device_ptrIlEEEEPS5_m14custom_greaterIlEEE10hipError_tT0_T1_T2_jT3_P12ihipStream_tbPNSt15iterator_traitsISJ_E10value_typeEPNSP_ISK_E10value_typeEPSL_NS1_7vsmem_tEENKUlT_SJ_SK_SL_E_clIPlSE_SF_SF_EESI_SY_SJ_SK_SL_EUlSY_E_NS1_11comp_targetILNS1_3genE10ELNS1_11target_archE1201ELNS1_3gpuE5ELNS1_3repE0EEENS1_48merge_mergepath_partition_config_static_selectorELNS0_4arch9wavefront6targetE1EEEvSK_
	.globl	_ZN7rocprim17ROCPRIM_400000_NS6detail17trampoline_kernelINS0_14default_configENS1_38merge_sort_block_merge_config_selectorIlNS0_10empty_typeEEEZZNS1_27merge_sort_block_merge_implIS3_N6thrust23THRUST_200600_302600_NS6detail15normal_iteratorINS9_10device_ptrIlEEEEPS5_m14custom_greaterIlEEE10hipError_tT0_T1_T2_jT3_P12ihipStream_tbPNSt15iterator_traitsISJ_E10value_typeEPNSP_ISK_E10value_typeEPSL_NS1_7vsmem_tEENKUlT_SJ_SK_SL_E_clIPlSE_SF_SF_EESI_SY_SJ_SK_SL_EUlSY_E_NS1_11comp_targetILNS1_3genE10ELNS1_11target_archE1201ELNS1_3gpuE5ELNS1_3repE0EEENS1_48merge_mergepath_partition_config_static_selectorELNS0_4arch9wavefront6targetE1EEEvSK_
	.p2align	8
	.type	_ZN7rocprim17ROCPRIM_400000_NS6detail17trampoline_kernelINS0_14default_configENS1_38merge_sort_block_merge_config_selectorIlNS0_10empty_typeEEEZZNS1_27merge_sort_block_merge_implIS3_N6thrust23THRUST_200600_302600_NS6detail15normal_iteratorINS9_10device_ptrIlEEEEPS5_m14custom_greaterIlEEE10hipError_tT0_T1_T2_jT3_P12ihipStream_tbPNSt15iterator_traitsISJ_E10value_typeEPNSP_ISK_E10value_typeEPSL_NS1_7vsmem_tEENKUlT_SJ_SK_SL_E_clIPlSE_SF_SF_EESI_SY_SJ_SK_SL_EUlSY_E_NS1_11comp_targetILNS1_3genE10ELNS1_11target_archE1201ELNS1_3gpuE5ELNS1_3repE0EEENS1_48merge_mergepath_partition_config_static_selectorELNS0_4arch9wavefront6targetE1EEEvSK_,@function
_ZN7rocprim17ROCPRIM_400000_NS6detail17trampoline_kernelINS0_14default_configENS1_38merge_sort_block_merge_config_selectorIlNS0_10empty_typeEEEZZNS1_27merge_sort_block_merge_implIS3_N6thrust23THRUST_200600_302600_NS6detail15normal_iteratorINS9_10device_ptrIlEEEEPS5_m14custom_greaterIlEEE10hipError_tT0_T1_T2_jT3_P12ihipStream_tbPNSt15iterator_traitsISJ_E10value_typeEPNSP_ISK_E10value_typeEPSL_NS1_7vsmem_tEENKUlT_SJ_SK_SL_E_clIPlSE_SF_SF_EESI_SY_SJ_SK_SL_EUlSY_E_NS1_11comp_targetILNS1_3genE10ELNS1_11target_archE1201ELNS1_3gpuE5ELNS1_3repE0EEENS1_48merge_mergepath_partition_config_static_selectorELNS0_4arch9wavefront6targetE1EEEvSK_: ; @_ZN7rocprim17ROCPRIM_400000_NS6detail17trampoline_kernelINS0_14default_configENS1_38merge_sort_block_merge_config_selectorIlNS0_10empty_typeEEEZZNS1_27merge_sort_block_merge_implIS3_N6thrust23THRUST_200600_302600_NS6detail15normal_iteratorINS9_10device_ptrIlEEEEPS5_m14custom_greaterIlEEE10hipError_tT0_T1_T2_jT3_P12ihipStream_tbPNSt15iterator_traitsISJ_E10value_typeEPNSP_ISK_E10value_typeEPSL_NS1_7vsmem_tEENKUlT_SJ_SK_SL_E_clIPlSE_SF_SF_EESI_SY_SJ_SK_SL_EUlSY_E_NS1_11comp_targetILNS1_3genE10ELNS1_11target_archE1201ELNS1_3gpuE5ELNS1_3repE0EEENS1_48merge_mergepath_partition_config_static_selectorELNS0_4arch9wavefront6targetE1EEEvSK_
; %bb.0:
	.section	.rodata,"a",@progbits
	.p2align	6, 0x0
	.amdhsa_kernel _ZN7rocprim17ROCPRIM_400000_NS6detail17trampoline_kernelINS0_14default_configENS1_38merge_sort_block_merge_config_selectorIlNS0_10empty_typeEEEZZNS1_27merge_sort_block_merge_implIS3_N6thrust23THRUST_200600_302600_NS6detail15normal_iteratorINS9_10device_ptrIlEEEEPS5_m14custom_greaterIlEEE10hipError_tT0_T1_T2_jT3_P12ihipStream_tbPNSt15iterator_traitsISJ_E10value_typeEPNSP_ISK_E10value_typeEPSL_NS1_7vsmem_tEENKUlT_SJ_SK_SL_E_clIPlSE_SF_SF_EESI_SY_SJ_SK_SL_EUlSY_E_NS1_11comp_targetILNS1_3genE10ELNS1_11target_archE1201ELNS1_3gpuE5ELNS1_3repE0EEENS1_48merge_mergepath_partition_config_static_selectorELNS0_4arch9wavefront6targetE1EEEvSK_
		.amdhsa_group_segment_fixed_size 0
		.amdhsa_private_segment_fixed_size 0
		.amdhsa_kernarg_size 48
		.amdhsa_user_sgpr_count 6
		.amdhsa_user_sgpr_private_segment_buffer 1
		.amdhsa_user_sgpr_dispatch_ptr 0
		.amdhsa_user_sgpr_queue_ptr 0
		.amdhsa_user_sgpr_kernarg_segment_ptr 1
		.amdhsa_user_sgpr_dispatch_id 0
		.amdhsa_user_sgpr_flat_scratch_init 0
		.amdhsa_user_sgpr_kernarg_preload_length 0
		.amdhsa_user_sgpr_kernarg_preload_offset 0
		.amdhsa_user_sgpr_private_segment_size 0
		.amdhsa_uses_dynamic_stack 0
		.amdhsa_system_sgpr_private_segment_wavefront_offset 0
		.amdhsa_system_sgpr_workgroup_id_x 1
		.amdhsa_system_sgpr_workgroup_id_y 0
		.amdhsa_system_sgpr_workgroup_id_z 0
		.amdhsa_system_sgpr_workgroup_info 0
		.amdhsa_system_vgpr_workitem_id 0
		.amdhsa_next_free_vgpr 1
		.amdhsa_next_free_sgpr 0
		.amdhsa_accum_offset 4
		.amdhsa_reserve_vcc 0
		.amdhsa_reserve_flat_scratch 0
		.amdhsa_float_round_mode_32 0
		.amdhsa_float_round_mode_16_64 0
		.amdhsa_float_denorm_mode_32 3
		.amdhsa_float_denorm_mode_16_64 3
		.amdhsa_dx10_clamp 1
		.amdhsa_ieee_mode 1
		.amdhsa_fp16_overflow 0
		.amdhsa_tg_split 0
		.amdhsa_exception_fp_ieee_invalid_op 0
		.amdhsa_exception_fp_denorm_src 0
		.amdhsa_exception_fp_ieee_div_zero 0
		.amdhsa_exception_fp_ieee_overflow 0
		.amdhsa_exception_fp_ieee_underflow 0
		.amdhsa_exception_fp_ieee_inexact 0
		.amdhsa_exception_int_div_zero 0
	.end_amdhsa_kernel
	.section	.text._ZN7rocprim17ROCPRIM_400000_NS6detail17trampoline_kernelINS0_14default_configENS1_38merge_sort_block_merge_config_selectorIlNS0_10empty_typeEEEZZNS1_27merge_sort_block_merge_implIS3_N6thrust23THRUST_200600_302600_NS6detail15normal_iteratorINS9_10device_ptrIlEEEEPS5_m14custom_greaterIlEEE10hipError_tT0_T1_T2_jT3_P12ihipStream_tbPNSt15iterator_traitsISJ_E10value_typeEPNSP_ISK_E10value_typeEPSL_NS1_7vsmem_tEENKUlT_SJ_SK_SL_E_clIPlSE_SF_SF_EESI_SY_SJ_SK_SL_EUlSY_E_NS1_11comp_targetILNS1_3genE10ELNS1_11target_archE1201ELNS1_3gpuE5ELNS1_3repE0EEENS1_48merge_mergepath_partition_config_static_selectorELNS0_4arch9wavefront6targetE1EEEvSK_,"axG",@progbits,_ZN7rocprim17ROCPRIM_400000_NS6detail17trampoline_kernelINS0_14default_configENS1_38merge_sort_block_merge_config_selectorIlNS0_10empty_typeEEEZZNS1_27merge_sort_block_merge_implIS3_N6thrust23THRUST_200600_302600_NS6detail15normal_iteratorINS9_10device_ptrIlEEEEPS5_m14custom_greaterIlEEE10hipError_tT0_T1_T2_jT3_P12ihipStream_tbPNSt15iterator_traitsISJ_E10value_typeEPNSP_ISK_E10value_typeEPSL_NS1_7vsmem_tEENKUlT_SJ_SK_SL_E_clIPlSE_SF_SF_EESI_SY_SJ_SK_SL_EUlSY_E_NS1_11comp_targetILNS1_3genE10ELNS1_11target_archE1201ELNS1_3gpuE5ELNS1_3repE0EEENS1_48merge_mergepath_partition_config_static_selectorELNS0_4arch9wavefront6targetE1EEEvSK_,comdat
.Lfunc_end3239:
	.size	_ZN7rocprim17ROCPRIM_400000_NS6detail17trampoline_kernelINS0_14default_configENS1_38merge_sort_block_merge_config_selectorIlNS0_10empty_typeEEEZZNS1_27merge_sort_block_merge_implIS3_N6thrust23THRUST_200600_302600_NS6detail15normal_iteratorINS9_10device_ptrIlEEEEPS5_m14custom_greaterIlEEE10hipError_tT0_T1_T2_jT3_P12ihipStream_tbPNSt15iterator_traitsISJ_E10value_typeEPNSP_ISK_E10value_typeEPSL_NS1_7vsmem_tEENKUlT_SJ_SK_SL_E_clIPlSE_SF_SF_EESI_SY_SJ_SK_SL_EUlSY_E_NS1_11comp_targetILNS1_3genE10ELNS1_11target_archE1201ELNS1_3gpuE5ELNS1_3repE0EEENS1_48merge_mergepath_partition_config_static_selectorELNS0_4arch9wavefront6targetE1EEEvSK_, .Lfunc_end3239-_ZN7rocprim17ROCPRIM_400000_NS6detail17trampoline_kernelINS0_14default_configENS1_38merge_sort_block_merge_config_selectorIlNS0_10empty_typeEEEZZNS1_27merge_sort_block_merge_implIS3_N6thrust23THRUST_200600_302600_NS6detail15normal_iteratorINS9_10device_ptrIlEEEEPS5_m14custom_greaterIlEEE10hipError_tT0_T1_T2_jT3_P12ihipStream_tbPNSt15iterator_traitsISJ_E10value_typeEPNSP_ISK_E10value_typeEPSL_NS1_7vsmem_tEENKUlT_SJ_SK_SL_E_clIPlSE_SF_SF_EESI_SY_SJ_SK_SL_EUlSY_E_NS1_11comp_targetILNS1_3genE10ELNS1_11target_archE1201ELNS1_3gpuE5ELNS1_3repE0EEENS1_48merge_mergepath_partition_config_static_selectorELNS0_4arch9wavefront6targetE1EEEvSK_
                                        ; -- End function
	.section	.AMDGPU.csdata,"",@progbits
; Kernel info:
; codeLenInByte = 0
; NumSgprs: 4
; NumVgprs: 0
; NumAgprs: 0
; TotalNumVgprs: 0
; ScratchSize: 0
; MemoryBound: 0
; FloatMode: 240
; IeeeMode: 1
; LDSByteSize: 0 bytes/workgroup (compile time only)
; SGPRBlocks: 0
; VGPRBlocks: 0
; NumSGPRsForWavesPerEU: 4
; NumVGPRsForWavesPerEU: 1
; AccumOffset: 4
; Occupancy: 8
; WaveLimiterHint : 0
; COMPUTE_PGM_RSRC2:SCRATCH_EN: 0
; COMPUTE_PGM_RSRC2:USER_SGPR: 6
; COMPUTE_PGM_RSRC2:TRAP_HANDLER: 0
; COMPUTE_PGM_RSRC2:TGID_X_EN: 1
; COMPUTE_PGM_RSRC2:TGID_Y_EN: 0
; COMPUTE_PGM_RSRC2:TGID_Z_EN: 0
; COMPUTE_PGM_RSRC2:TIDIG_COMP_CNT: 0
; COMPUTE_PGM_RSRC3_GFX90A:ACCUM_OFFSET: 0
; COMPUTE_PGM_RSRC3_GFX90A:TG_SPLIT: 0
	.section	.text._ZN7rocprim17ROCPRIM_400000_NS6detail17trampoline_kernelINS0_14default_configENS1_38merge_sort_block_merge_config_selectorIlNS0_10empty_typeEEEZZNS1_27merge_sort_block_merge_implIS3_N6thrust23THRUST_200600_302600_NS6detail15normal_iteratorINS9_10device_ptrIlEEEEPS5_m14custom_greaterIlEEE10hipError_tT0_T1_T2_jT3_P12ihipStream_tbPNSt15iterator_traitsISJ_E10value_typeEPNSP_ISK_E10value_typeEPSL_NS1_7vsmem_tEENKUlT_SJ_SK_SL_E_clIPlSE_SF_SF_EESI_SY_SJ_SK_SL_EUlSY_E_NS1_11comp_targetILNS1_3genE5ELNS1_11target_archE942ELNS1_3gpuE9ELNS1_3repE0EEENS1_48merge_mergepath_partition_config_static_selectorELNS0_4arch9wavefront6targetE1EEEvSK_,"axG",@progbits,_ZN7rocprim17ROCPRIM_400000_NS6detail17trampoline_kernelINS0_14default_configENS1_38merge_sort_block_merge_config_selectorIlNS0_10empty_typeEEEZZNS1_27merge_sort_block_merge_implIS3_N6thrust23THRUST_200600_302600_NS6detail15normal_iteratorINS9_10device_ptrIlEEEEPS5_m14custom_greaterIlEEE10hipError_tT0_T1_T2_jT3_P12ihipStream_tbPNSt15iterator_traitsISJ_E10value_typeEPNSP_ISK_E10value_typeEPSL_NS1_7vsmem_tEENKUlT_SJ_SK_SL_E_clIPlSE_SF_SF_EESI_SY_SJ_SK_SL_EUlSY_E_NS1_11comp_targetILNS1_3genE5ELNS1_11target_archE942ELNS1_3gpuE9ELNS1_3repE0EEENS1_48merge_mergepath_partition_config_static_selectorELNS0_4arch9wavefront6targetE1EEEvSK_,comdat
	.protected	_ZN7rocprim17ROCPRIM_400000_NS6detail17trampoline_kernelINS0_14default_configENS1_38merge_sort_block_merge_config_selectorIlNS0_10empty_typeEEEZZNS1_27merge_sort_block_merge_implIS3_N6thrust23THRUST_200600_302600_NS6detail15normal_iteratorINS9_10device_ptrIlEEEEPS5_m14custom_greaterIlEEE10hipError_tT0_T1_T2_jT3_P12ihipStream_tbPNSt15iterator_traitsISJ_E10value_typeEPNSP_ISK_E10value_typeEPSL_NS1_7vsmem_tEENKUlT_SJ_SK_SL_E_clIPlSE_SF_SF_EESI_SY_SJ_SK_SL_EUlSY_E_NS1_11comp_targetILNS1_3genE5ELNS1_11target_archE942ELNS1_3gpuE9ELNS1_3repE0EEENS1_48merge_mergepath_partition_config_static_selectorELNS0_4arch9wavefront6targetE1EEEvSK_ ; -- Begin function _ZN7rocprim17ROCPRIM_400000_NS6detail17trampoline_kernelINS0_14default_configENS1_38merge_sort_block_merge_config_selectorIlNS0_10empty_typeEEEZZNS1_27merge_sort_block_merge_implIS3_N6thrust23THRUST_200600_302600_NS6detail15normal_iteratorINS9_10device_ptrIlEEEEPS5_m14custom_greaterIlEEE10hipError_tT0_T1_T2_jT3_P12ihipStream_tbPNSt15iterator_traitsISJ_E10value_typeEPNSP_ISK_E10value_typeEPSL_NS1_7vsmem_tEENKUlT_SJ_SK_SL_E_clIPlSE_SF_SF_EESI_SY_SJ_SK_SL_EUlSY_E_NS1_11comp_targetILNS1_3genE5ELNS1_11target_archE942ELNS1_3gpuE9ELNS1_3repE0EEENS1_48merge_mergepath_partition_config_static_selectorELNS0_4arch9wavefront6targetE1EEEvSK_
	.globl	_ZN7rocprim17ROCPRIM_400000_NS6detail17trampoline_kernelINS0_14default_configENS1_38merge_sort_block_merge_config_selectorIlNS0_10empty_typeEEEZZNS1_27merge_sort_block_merge_implIS3_N6thrust23THRUST_200600_302600_NS6detail15normal_iteratorINS9_10device_ptrIlEEEEPS5_m14custom_greaterIlEEE10hipError_tT0_T1_T2_jT3_P12ihipStream_tbPNSt15iterator_traitsISJ_E10value_typeEPNSP_ISK_E10value_typeEPSL_NS1_7vsmem_tEENKUlT_SJ_SK_SL_E_clIPlSE_SF_SF_EESI_SY_SJ_SK_SL_EUlSY_E_NS1_11comp_targetILNS1_3genE5ELNS1_11target_archE942ELNS1_3gpuE9ELNS1_3repE0EEENS1_48merge_mergepath_partition_config_static_selectorELNS0_4arch9wavefront6targetE1EEEvSK_
	.p2align	8
	.type	_ZN7rocprim17ROCPRIM_400000_NS6detail17trampoline_kernelINS0_14default_configENS1_38merge_sort_block_merge_config_selectorIlNS0_10empty_typeEEEZZNS1_27merge_sort_block_merge_implIS3_N6thrust23THRUST_200600_302600_NS6detail15normal_iteratorINS9_10device_ptrIlEEEEPS5_m14custom_greaterIlEEE10hipError_tT0_T1_T2_jT3_P12ihipStream_tbPNSt15iterator_traitsISJ_E10value_typeEPNSP_ISK_E10value_typeEPSL_NS1_7vsmem_tEENKUlT_SJ_SK_SL_E_clIPlSE_SF_SF_EESI_SY_SJ_SK_SL_EUlSY_E_NS1_11comp_targetILNS1_3genE5ELNS1_11target_archE942ELNS1_3gpuE9ELNS1_3repE0EEENS1_48merge_mergepath_partition_config_static_selectorELNS0_4arch9wavefront6targetE1EEEvSK_,@function
_ZN7rocprim17ROCPRIM_400000_NS6detail17trampoline_kernelINS0_14default_configENS1_38merge_sort_block_merge_config_selectorIlNS0_10empty_typeEEEZZNS1_27merge_sort_block_merge_implIS3_N6thrust23THRUST_200600_302600_NS6detail15normal_iteratorINS9_10device_ptrIlEEEEPS5_m14custom_greaterIlEEE10hipError_tT0_T1_T2_jT3_P12ihipStream_tbPNSt15iterator_traitsISJ_E10value_typeEPNSP_ISK_E10value_typeEPSL_NS1_7vsmem_tEENKUlT_SJ_SK_SL_E_clIPlSE_SF_SF_EESI_SY_SJ_SK_SL_EUlSY_E_NS1_11comp_targetILNS1_3genE5ELNS1_11target_archE942ELNS1_3gpuE9ELNS1_3repE0EEENS1_48merge_mergepath_partition_config_static_selectorELNS0_4arch9wavefront6targetE1EEEvSK_: ; @_ZN7rocprim17ROCPRIM_400000_NS6detail17trampoline_kernelINS0_14default_configENS1_38merge_sort_block_merge_config_selectorIlNS0_10empty_typeEEEZZNS1_27merge_sort_block_merge_implIS3_N6thrust23THRUST_200600_302600_NS6detail15normal_iteratorINS9_10device_ptrIlEEEEPS5_m14custom_greaterIlEEE10hipError_tT0_T1_T2_jT3_P12ihipStream_tbPNSt15iterator_traitsISJ_E10value_typeEPNSP_ISK_E10value_typeEPSL_NS1_7vsmem_tEENKUlT_SJ_SK_SL_E_clIPlSE_SF_SF_EESI_SY_SJ_SK_SL_EUlSY_E_NS1_11comp_targetILNS1_3genE5ELNS1_11target_archE942ELNS1_3gpuE9ELNS1_3repE0EEENS1_48merge_mergepath_partition_config_static_selectorELNS0_4arch9wavefront6targetE1EEEvSK_
; %bb.0:
	.section	.rodata,"a",@progbits
	.p2align	6, 0x0
	.amdhsa_kernel _ZN7rocprim17ROCPRIM_400000_NS6detail17trampoline_kernelINS0_14default_configENS1_38merge_sort_block_merge_config_selectorIlNS0_10empty_typeEEEZZNS1_27merge_sort_block_merge_implIS3_N6thrust23THRUST_200600_302600_NS6detail15normal_iteratorINS9_10device_ptrIlEEEEPS5_m14custom_greaterIlEEE10hipError_tT0_T1_T2_jT3_P12ihipStream_tbPNSt15iterator_traitsISJ_E10value_typeEPNSP_ISK_E10value_typeEPSL_NS1_7vsmem_tEENKUlT_SJ_SK_SL_E_clIPlSE_SF_SF_EESI_SY_SJ_SK_SL_EUlSY_E_NS1_11comp_targetILNS1_3genE5ELNS1_11target_archE942ELNS1_3gpuE9ELNS1_3repE0EEENS1_48merge_mergepath_partition_config_static_selectorELNS0_4arch9wavefront6targetE1EEEvSK_
		.amdhsa_group_segment_fixed_size 0
		.amdhsa_private_segment_fixed_size 0
		.amdhsa_kernarg_size 48
		.amdhsa_user_sgpr_count 6
		.amdhsa_user_sgpr_private_segment_buffer 1
		.amdhsa_user_sgpr_dispatch_ptr 0
		.amdhsa_user_sgpr_queue_ptr 0
		.amdhsa_user_sgpr_kernarg_segment_ptr 1
		.amdhsa_user_sgpr_dispatch_id 0
		.amdhsa_user_sgpr_flat_scratch_init 0
		.amdhsa_user_sgpr_kernarg_preload_length 0
		.amdhsa_user_sgpr_kernarg_preload_offset 0
		.amdhsa_user_sgpr_private_segment_size 0
		.amdhsa_uses_dynamic_stack 0
		.amdhsa_system_sgpr_private_segment_wavefront_offset 0
		.amdhsa_system_sgpr_workgroup_id_x 1
		.amdhsa_system_sgpr_workgroup_id_y 0
		.amdhsa_system_sgpr_workgroup_id_z 0
		.amdhsa_system_sgpr_workgroup_info 0
		.amdhsa_system_vgpr_workitem_id 0
		.amdhsa_next_free_vgpr 1
		.amdhsa_next_free_sgpr 0
		.amdhsa_accum_offset 4
		.amdhsa_reserve_vcc 0
		.amdhsa_reserve_flat_scratch 0
		.amdhsa_float_round_mode_32 0
		.amdhsa_float_round_mode_16_64 0
		.amdhsa_float_denorm_mode_32 3
		.amdhsa_float_denorm_mode_16_64 3
		.amdhsa_dx10_clamp 1
		.amdhsa_ieee_mode 1
		.amdhsa_fp16_overflow 0
		.amdhsa_tg_split 0
		.amdhsa_exception_fp_ieee_invalid_op 0
		.amdhsa_exception_fp_denorm_src 0
		.amdhsa_exception_fp_ieee_div_zero 0
		.amdhsa_exception_fp_ieee_overflow 0
		.amdhsa_exception_fp_ieee_underflow 0
		.amdhsa_exception_fp_ieee_inexact 0
		.amdhsa_exception_int_div_zero 0
	.end_amdhsa_kernel
	.section	.text._ZN7rocprim17ROCPRIM_400000_NS6detail17trampoline_kernelINS0_14default_configENS1_38merge_sort_block_merge_config_selectorIlNS0_10empty_typeEEEZZNS1_27merge_sort_block_merge_implIS3_N6thrust23THRUST_200600_302600_NS6detail15normal_iteratorINS9_10device_ptrIlEEEEPS5_m14custom_greaterIlEEE10hipError_tT0_T1_T2_jT3_P12ihipStream_tbPNSt15iterator_traitsISJ_E10value_typeEPNSP_ISK_E10value_typeEPSL_NS1_7vsmem_tEENKUlT_SJ_SK_SL_E_clIPlSE_SF_SF_EESI_SY_SJ_SK_SL_EUlSY_E_NS1_11comp_targetILNS1_3genE5ELNS1_11target_archE942ELNS1_3gpuE9ELNS1_3repE0EEENS1_48merge_mergepath_partition_config_static_selectorELNS0_4arch9wavefront6targetE1EEEvSK_,"axG",@progbits,_ZN7rocprim17ROCPRIM_400000_NS6detail17trampoline_kernelINS0_14default_configENS1_38merge_sort_block_merge_config_selectorIlNS0_10empty_typeEEEZZNS1_27merge_sort_block_merge_implIS3_N6thrust23THRUST_200600_302600_NS6detail15normal_iteratorINS9_10device_ptrIlEEEEPS5_m14custom_greaterIlEEE10hipError_tT0_T1_T2_jT3_P12ihipStream_tbPNSt15iterator_traitsISJ_E10value_typeEPNSP_ISK_E10value_typeEPSL_NS1_7vsmem_tEENKUlT_SJ_SK_SL_E_clIPlSE_SF_SF_EESI_SY_SJ_SK_SL_EUlSY_E_NS1_11comp_targetILNS1_3genE5ELNS1_11target_archE942ELNS1_3gpuE9ELNS1_3repE0EEENS1_48merge_mergepath_partition_config_static_selectorELNS0_4arch9wavefront6targetE1EEEvSK_,comdat
.Lfunc_end3240:
	.size	_ZN7rocprim17ROCPRIM_400000_NS6detail17trampoline_kernelINS0_14default_configENS1_38merge_sort_block_merge_config_selectorIlNS0_10empty_typeEEEZZNS1_27merge_sort_block_merge_implIS3_N6thrust23THRUST_200600_302600_NS6detail15normal_iteratorINS9_10device_ptrIlEEEEPS5_m14custom_greaterIlEEE10hipError_tT0_T1_T2_jT3_P12ihipStream_tbPNSt15iterator_traitsISJ_E10value_typeEPNSP_ISK_E10value_typeEPSL_NS1_7vsmem_tEENKUlT_SJ_SK_SL_E_clIPlSE_SF_SF_EESI_SY_SJ_SK_SL_EUlSY_E_NS1_11comp_targetILNS1_3genE5ELNS1_11target_archE942ELNS1_3gpuE9ELNS1_3repE0EEENS1_48merge_mergepath_partition_config_static_selectorELNS0_4arch9wavefront6targetE1EEEvSK_, .Lfunc_end3240-_ZN7rocprim17ROCPRIM_400000_NS6detail17trampoline_kernelINS0_14default_configENS1_38merge_sort_block_merge_config_selectorIlNS0_10empty_typeEEEZZNS1_27merge_sort_block_merge_implIS3_N6thrust23THRUST_200600_302600_NS6detail15normal_iteratorINS9_10device_ptrIlEEEEPS5_m14custom_greaterIlEEE10hipError_tT0_T1_T2_jT3_P12ihipStream_tbPNSt15iterator_traitsISJ_E10value_typeEPNSP_ISK_E10value_typeEPSL_NS1_7vsmem_tEENKUlT_SJ_SK_SL_E_clIPlSE_SF_SF_EESI_SY_SJ_SK_SL_EUlSY_E_NS1_11comp_targetILNS1_3genE5ELNS1_11target_archE942ELNS1_3gpuE9ELNS1_3repE0EEENS1_48merge_mergepath_partition_config_static_selectorELNS0_4arch9wavefront6targetE1EEEvSK_
                                        ; -- End function
	.section	.AMDGPU.csdata,"",@progbits
; Kernel info:
; codeLenInByte = 0
; NumSgprs: 4
; NumVgprs: 0
; NumAgprs: 0
; TotalNumVgprs: 0
; ScratchSize: 0
; MemoryBound: 0
; FloatMode: 240
; IeeeMode: 1
; LDSByteSize: 0 bytes/workgroup (compile time only)
; SGPRBlocks: 0
; VGPRBlocks: 0
; NumSGPRsForWavesPerEU: 4
; NumVGPRsForWavesPerEU: 1
; AccumOffset: 4
; Occupancy: 8
; WaveLimiterHint : 0
; COMPUTE_PGM_RSRC2:SCRATCH_EN: 0
; COMPUTE_PGM_RSRC2:USER_SGPR: 6
; COMPUTE_PGM_RSRC2:TRAP_HANDLER: 0
; COMPUTE_PGM_RSRC2:TGID_X_EN: 1
; COMPUTE_PGM_RSRC2:TGID_Y_EN: 0
; COMPUTE_PGM_RSRC2:TGID_Z_EN: 0
; COMPUTE_PGM_RSRC2:TIDIG_COMP_CNT: 0
; COMPUTE_PGM_RSRC3_GFX90A:ACCUM_OFFSET: 0
; COMPUTE_PGM_RSRC3_GFX90A:TG_SPLIT: 0
	.section	.text._ZN7rocprim17ROCPRIM_400000_NS6detail17trampoline_kernelINS0_14default_configENS1_38merge_sort_block_merge_config_selectorIlNS0_10empty_typeEEEZZNS1_27merge_sort_block_merge_implIS3_N6thrust23THRUST_200600_302600_NS6detail15normal_iteratorINS9_10device_ptrIlEEEEPS5_m14custom_greaterIlEEE10hipError_tT0_T1_T2_jT3_P12ihipStream_tbPNSt15iterator_traitsISJ_E10value_typeEPNSP_ISK_E10value_typeEPSL_NS1_7vsmem_tEENKUlT_SJ_SK_SL_E_clIPlSE_SF_SF_EESI_SY_SJ_SK_SL_EUlSY_E_NS1_11comp_targetILNS1_3genE4ELNS1_11target_archE910ELNS1_3gpuE8ELNS1_3repE0EEENS1_48merge_mergepath_partition_config_static_selectorELNS0_4arch9wavefront6targetE1EEEvSK_,"axG",@progbits,_ZN7rocprim17ROCPRIM_400000_NS6detail17trampoline_kernelINS0_14default_configENS1_38merge_sort_block_merge_config_selectorIlNS0_10empty_typeEEEZZNS1_27merge_sort_block_merge_implIS3_N6thrust23THRUST_200600_302600_NS6detail15normal_iteratorINS9_10device_ptrIlEEEEPS5_m14custom_greaterIlEEE10hipError_tT0_T1_T2_jT3_P12ihipStream_tbPNSt15iterator_traitsISJ_E10value_typeEPNSP_ISK_E10value_typeEPSL_NS1_7vsmem_tEENKUlT_SJ_SK_SL_E_clIPlSE_SF_SF_EESI_SY_SJ_SK_SL_EUlSY_E_NS1_11comp_targetILNS1_3genE4ELNS1_11target_archE910ELNS1_3gpuE8ELNS1_3repE0EEENS1_48merge_mergepath_partition_config_static_selectorELNS0_4arch9wavefront6targetE1EEEvSK_,comdat
	.protected	_ZN7rocprim17ROCPRIM_400000_NS6detail17trampoline_kernelINS0_14default_configENS1_38merge_sort_block_merge_config_selectorIlNS0_10empty_typeEEEZZNS1_27merge_sort_block_merge_implIS3_N6thrust23THRUST_200600_302600_NS6detail15normal_iteratorINS9_10device_ptrIlEEEEPS5_m14custom_greaterIlEEE10hipError_tT0_T1_T2_jT3_P12ihipStream_tbPNSt15iterator_traitsISJ_E10value_typeEPNSP_ISK_E10value_typeEPSL_NS1_7vsmem_tEENKUlT_SJ_SK_SL_E_clIPlSE_SF_SF_EESI_SY_SJ_SK_SL_EUlSY_E_NS1_11comp_targetILNS1_3genE4ELNS1_11target_archE910ELNS1_3gpuE8ELNS1_3repE0EEENS1_48merge_mergepath_partition_config_static_selectorELNS0_4arch9wavefront6targetE1EEEvSK_ ; -- Begin function _ZN7rocprim17ROCPRIM_400000_NS6detail17trampoline_kernelINS0_14default_configENS1_38merge_sort_block_merge_config_selectorIlNS0_10empty_typeEEEZZNS1_27merge_sort_block_merge_implIS3_N6thrust23THRUST_200600_302600_NS6detail15normal_iteratorINS9_10device_ptrIlEEEEPS5_m14custom_greaterIlEEE10hipError_tT0_T1_T2_jT3_P12ihipStream_tbPNSt15iterator_traitsISJ_E10value_typeEPNSP_ISK_E10value_typeEPSL_NS1_7vsmem_tEENKUlT_SJ_SK_SL_E_clIPlSE_SF_SF_EESI_SY_SJ_SK_SL_EUlSY_E_NS1_11comp_targetILNS1_3genE4ELNS1_11target_archE910ELNS1_3gpuE8ELNS1_3repE0EEENS1_48merge_mergepath_partition_config_static_selectorELNS0_4arch9wavefront6targetE1EEEvSK_
	.globl	_ZN7rocprim17ROCPRIM_400000_NS6detail17trampoline_kernelINS0_14default_configENS1_38merge_sort_block_merge_config_selectorIlNS0_10empty_typeEEEZZNS1_27merge_sort_block_merge_implIS3_N6thrust23THRUST_200600_302600_NS6detail15normal_iteratorINS9_10device_ptrIlEEEEPS5_m14custom_greaterIlEEE10hipError_tT0_T1_T2_jT3_P12ihipStream_tbPNSt15iterator_traitsISJ_E10value_typeEPNSP_ISK_E10value_typeEPSL_NS1_7vsmem_tEENKUlT_SJ_SK_SL_E_clIPlSE_SF_SF_EESI_SY_SJ_SK_SL_EUlSY_E_NS1_11comp_targetILNS1_3genE4ELNS1_11target_archE910ELNS1_3gpuE8ELNS1_3repE0EEENS1_48merge_mergepath_partition_config_static_selectorELNS0_4arch9wavefront6targetE1EEEvSK_
	.p2align	8
	.type	_ZN7rocprim17ROCPRIM_400000_NS6detail17trampoline_kernelINS0_14default_configENS1_38merge_sort_block_merge_config_selectorIlNS0_10empty_typeEEEZZNS1_27merge_sort_block_merge_implIS3_N6thrust23THRUST_200600_302600_NS6detail15normal_iteratorINS9_10device_ptrIlEEEEPS5_m14custom_greaterIlEEE10hipError_tT0_T1_T2_jT3_P12ihipStream_tbPNSt15iterator_traitsISJ_E10value_typeEPNSP_ISK_E10value_typeEPSL_NS1_7vsmem_tEENKUlT_SJ_SK_SL_E_clIPlSE_SF_SF_EESI_SY_SJ_SK_SL_EUlSY_E_NS1_11comp_targetILNS1_3genE4ELNS1_11target_archE910ELNS1_3gpuE8ELNS1_3repE0EEENS1_48merge_mergepath_partition_config_static_selectorELNS0_4arch9wavefront6targetE1EEEvSK_,@function
_ZN7rocprim17ROCPRIM_400000_NS6detail17trampoline_kernelINS0_14default_configENS1_38merge_sort_block_merge_config_selectorIlNS0_10empty_typeEEEZZNS1_27merge_sort_block_merge_implIS3_N6thrust23THRUST_200600_302600_NS6detail15normal_iteratorINS9_10device_ptrIlEEEEPS5_m14custom_greaterIlEEE10hipError_tT0_T1_T2_jT3_P12ihipStream_tbPNSt15iterator_traitsISJ_E10value_typeEPNSP_ISK_E10value_typeEPSL_NS1_7vsmem_tEENKUlT_SJ_SK_SL_E_clIPlSE_SF_SF_EESI_SY_SJ_SK_SL_EUlSY_E_NS1_11comp_targetILNS1_3genE4ELNS1_11target_archE910ELNS1_3gpuE8ELNS1_3repE0EEENS1_48merge_mergepath_partition_config_static_selectorELNS0_4arch9wavefront6targetE1EEEvSK_: ; @_ZN7rocprim17ROCPRIM_400000_NS6detail17trampoline_kernelINS0_14default_configENS1_38merge_sort_block_merge_config_selectorIlNS0_10empty_typeEEEZZNS1_27merge_sort_block_merge_implIS3_N6thrust23THRUST_200600_302600_NS6detail15normal_iteratorINS9_10device_ptrIlEEEEPS5_m14custom_greaterIlEEE10hipError_tT0_T1_T2_jT3_P12ihipStream_tbPNSt15iterator_traitsISJ_E10value_typeEPNSP_ISK_E10value_typeEPSL_NS1_7vsmem_tEENKUlT_SJ_SK_SL_E_clIPlSE_SF_SF_EESI_SY_SJ_SK_SL_EUlSY_E_NS1_11comp_targetILNS1_3genE4ELNS1_11target_archE910ELNS1_3gpuE8ELNS1_3repE0EEENS1_48merge_mergepath_partition_config_static_selectorELNS0_4arch9wavefront6targetE1EEEvSK_
; %bb.0:
	s_load_dword s0, s[4:5], 0x0
	v_lshl_or_b32 v0, s6, 7, v0
	s_waitcnt lgkmcnt(0)
	v_cmp_gt_u32_e32 vcc, s0, v0
	s_and_saveexec_b64 s[0:1], vcc
	s_cbranch_execz .LBB3241_6
; %bb.1:
	s_load_dwordx4 s[0:3], s[4:5], 0x8
	s_load_dwordx2 s[6:7], s[4:5], 0x28
	v_mov_b32_e32 v5, 0
	s_waitcnt lgkmcnt(0)
	v_mov_b32_e32 v1, s0
	v_alignbit_b32 v1, s1, v1, 9
	v_and_b32_e32 v1, -2, v1
	v_add_u32_e32 v2, -1, v1
	v_sub_u32_e32 v1, 0, v1
	v_and_b32_e32 v4, v0, v1
	v_lshlrev_b64 v[8:9], 10, v[4:5]
	v_mov_b32_e32 v1, s3
	v_cmp_lt_u64_e32 vcc, s[2:3], v[8:9]
	v_mov_b32_e32 v4, s2
	v_and_b32_e32 v6, v2, v0
	v_cndmask_b32_e32 v3, v9, v1, vcc
	v_cndmask_b32_e32 v2, v8, v4, vcc
	v_mov_b32_e32 v7, s1
	v_add_co_u32_e32 v8, vcc, s0, v8
	v_addc_co_u32_e32 v9, vcc, v9, v7, vcc
	v_cmp_lt_u64_e32 vcc, s[2:3], v[8:9]
	v_cndmask_b32_e32 v8, v8, v4, vcc
	v_cndmask_b32_e32 v9, v9, v1, vcc
	v_add_co_u32_e32 v10, vcc, s0, v8
	v_addc_co_u32_e32 v11, vcc, v9, v7, vcc
	v_cmp_lt_u64_e32 vcc, s[2:3], v[10:11]
	v_cndmask_b32_e32 v12, v10, v4, vcc
	v_cndmask_b32_e32 v1, v11, v1, vcc
	v_sub_co_u32_e32 v10, vcc, v12, v2
	v_mov_b32_e32 v7, v5
	v_subb_co_u32_e32 v11, vcc, v1, v3, vcc
	v_lshlrev_b64 v[4:5], 10, v[6:7]
	v_cmp_lt_u64_e32 vcc, v[10:11], v[4:5]
	v_cndmask_b32_e32 v11, v5, v11, vcc
	v_cndmask_b32_e32 v10, v4, v10, vcc
	v_sub_co_u32_e32 v6, vcc, v8, v2
	v_subb_co_u32_e32 v7, vcc, v9, v3, vcc
	v_sub_co_u32_e32 v4, vcc, v8, v12
	v_subb_co_u32_e32 v1, vcc, v9, v1, vcc
	v_add_co_u32_e32 v4, vcc, v10, v4
	v_addc_co_u32_e32 v5, vcc, v11, v1, vcc
	v_cmp_gt_u64_e32 vcc, v[4:5], v[10:11]
	v_cndmask_b32_e64 v5, v5, 0, vcc
	v_cndmask_b32_e64 v4, v4, 0, vcc
	v_cmp_lt_u64_e32 vcc, v[10:11], v[6:7]
	v_cndmask_b32_e32 v7, v7, v11, vcc
	v_cndmask_b32_e32 v6, v6, v10, vcc
	v_cmp_lt_u64_e32 vcc, v[4:5], v[6:7]
	s_and_saveexec_b64 s[0:1], vcc
	s_cbranch_execz .LBB3241_5
; %bb.2:
	s_load_dwordx2 s[2:3], s[4:5], 0x18
	v_lshlrev_b64 v[12:13], 3, v[2:3]
	v_lshlrev_b64 v[8:9], 3, v[8:9]
	s_waitcnt lgkmcnt(0)
	v_mov_b32_e32 v14, s3
	v_add_co_u32_e32 v1, vcc, s2, v12
	v_addc_co_u32_e32 v12, vcc, v14, v13, vcc
	v_add_co_u32_e32 v13, vcc, s2, v8
	v_addc_co_u32_e32 v14, vcc, v14, v9, vcc
	v_lshlrev_b64 v[8:9], 3, v[10:11]
	v_add_co_u32_e32 v8, vcc, v13, v8
	v_addc_co_u32_e32 v9, vcc, v14, v9, vcc
	s_mov_b64 s[2:3], 0
.LBB3241_3:                             ; =>This Inner Loop Header: Depth=1
	v_add_co_u32_e32 v10, vcc, v6, v4
	v_addc_co_u32_e32 v11, vcc, v7, v5, vcc
	v_lshrrev_b64 v[10:11], 1, v[10:11]
	v_lshlrev_b64 v[16:17], 3, v[10:11]
	v_not_b32_e32 v15, v11
	v_not_b32_e32 v14, v10
	v_add_co_u32_e32 v16, vcc, v1, v16
	v_addc_co_u32_e32 v17, vcc, v12, v17, vcc
	v_lshlrev_b64 v[14:15], 3, v[14:15]
	v_add_co_u32_e32 v14, vcc, v8, v14
	v_addc_co_u32_e32 v15, vcc, v9, v15, vcc
	global_load_dwordx2 v[18:19], v[16:17], off
	global_load_dwordx2 v[20:21], v[14:15], off
	v_add_co_u32_e32 v13, vcc, 1, v10
	v_addc_co_u32_e32 v14, vcc, 0, v11, vcc
	s_waitcnt vmcnt(0)
	v_cmp_gt_i64_e32 vcc, v[18:19], v[20:21]
	v_cndmask_b32_e32 v7, v7, v11, vcc
	v_cndmask_b32_e32 v6, v6, v10, vcc
	;; [unrolled: 1-line block ×4, first 2 shown]
	v_cmp_ge_u64_e32 vcc, v[4:5], v[6:7]
	s_or_b64 s[2:3], vcc, s[2:3]
	s_andn2_b64 exec, exec, s[2:3]
	s_cbranch_execnz .LBB3241_3
; %bb.4:
	s_or_b64 exec, exec, s[2:3]
.LBB3241_5:
	s_or_b64 exec, exec, s[0:1]
	v_add_co_u32_e32 v2, vcc, v4, v2
	v_mov_b32_e32 v1, 0
	v_addc_co_u32_e32 v3, vcc, v5, v3, vcc
	v_lshlrev_b64 v[0:1], 3, v[0:1]
	v_mov_b32_e32 v4, s7
	v_add_co_u32_e32 v0, vcc, s6, v0
	v_addc_co_u32_e32 v1, vcc, v4, v1, vcc
	global_store_dwordx2 v[0:1], v[2:3], off
.LBB3241_6:
	s_endpgm
	.section	.rodata,"a",@progbits
	.p2align	6, 0x0
	.amdhsa_kernel _ZN7rocprim17ROCPRIM_400000_NS6detail17trampoline_kernelINS0_14default_configENS1_38merge_sort_block_merge_config_selectorIlNS0_10empty_typeEEEZZNS1_27merge_sort_block_merge_implIS3_N6thrust23THRUST_200600_302600_NS6detail15normal_iteratorINS9_10device_ptrIlEEEEPS5_m14custom_greaterIlEEE10hipError_tT0_T1_T2_jT3_P12ihipStream_tbPNSt15iterator_traitsISJ_E10value_typeEPNSP_ISK_E10value_typeEPSL_NS1_7vsmem_tEENKUlT_SJ_SK_SL_E_clIPlSE_SF_SF_EESI_SY_SJ_SK_SL_EUlSY_E_NS1_11comp_targetILNS1_3genE4ELNS1_11target_archE910ELNS1_3gpuE8ELNS1_3repE0EEENS1_48merge_mergepath_partition_config_static_selectorELNS0_4arch9wavefront6targetE1EEEvSK_
		.amdhsa_group_segment_fixed_size 0
		.amdhsa_private_segment_fixed_size 0
		.amdhsa_kernarg_size 48
		.amdhsa_user_sgpr_count 6
		.amdhsa_user_sgpr_private_segment_buffer 1
		.amdhsa_user_sgpr_dispatch_ptr 0
		.amdhsa_user_sgpr_queue_ptr 0
		.amdhsa_user_sgpr_kernarg_segment_ptr 1
		.amdhsa_user_sgpr_dispatch_id 0
		.amdhsa_user_sgpr_flat_scratch_init 0
		.amdhsa_user_sgpr_kernarg_preload_length 0
		.amdhsa_user_sgpr_kernarg_preload_offset 0
		.amdhsa_user_sgpr_private_segment_size 0
		.amdhsa_uses_dynamic_stack 0
		.amdhsa_system_sgpr_private_segment_wavefront_offset 0
		.amdhsa_system_sgpr_workgroup_id_x 1
		.amdhsa_system_sgpr_workgroup_id_y 0
		.amdhsa_system_sgpr_workgroup_id_z 0
		.amdhsa_system_sgpr_workgroup_info 0
		.amdhsa_system_vgpr_workitem_id 0
		.amdhsa_next_free_vgpr 22
		.amdhsa_next_free_sgpr 8
		.amdhsa_accum_offset 24
		.amdhsa_reserve_vcc 1
		.amdhsa_reserve_flat_scratch 0
		.amdhsa_float_round_mode_32 0
		.amdhsa_float_round_mode_16_64 0
		.amdhsa_float_denorm_mode_32 3
		.amdhsa_float_denorm_mode_16_64 3
		.amdhsa_dx10_clamp 1
		.amdhsa_ieee_mode 1
		.amdhsa_fp16_overflow 0
		.amdhsa_tg_split 0
		.amdhsa_exception_fp_ieee_invalid_op 0
		.amdhsa_exception_fp_denorm_src 0
		.amdhsa_exception_fp_ieee_div_zero 0
		.amdhsa_exception_fp_ieee_overflow 0
		.amdhsa_exception_fp_ieee_underflow 0
		.amdhsa_exception_fp_ieee_inexact 0
		.amdhsa_exception_int_div_zero 0
	.end_amdhsa_kernel
	.section	.text._ZN7rocprim17ROCPRIM_400000_NS6detail17trampoline_kernelINS0_14default_configENS1_38merge_sort_block_merge_config_selectorIlNS0_10empty_typeEEEZZNS1_27merge_sort_block_merge_implIS3_N6thrust23THRUST_200600_302600_NS6detail15normal_iteratorINS9_10device_ptrIlEEEEPS5_m14custom_greaterIlEEE10hipError_tT0_T1_T2_jT3_P12ihipStream_tbPNSt15iterator_traitsISJ_E10value_typeEPNSP_ISK_E10value_typeEPSL_NS1_7vsmem_tEENKUlT_SJ_SK_SL_E_clIPlSE_SF_SF_EESI_SY_SJ_SK_SL_EUlSY_E_NS1_11comp_targetILNS1_3genE4ELNS1_11target_archE910ELNS1_3gpuE8ELNS1_3repE0EEENS1_48merge_mergepath_partition_config_static_selectorELNS0_4arch9wavefront6targetE1EEEvSK_,"axG",@progbits,_ZN7rocprim17ROCPRIM_400000_NS6detail17trampoline_kernelINS0_14default_configENS1_38merge_sort_block_merge_config_selectorIlNS0_10empty_typeEEEZZNS1_27merge_sort_block_merge_implIS3_N6thrust23THRUST_200600_302600_NS6detail15normal_iteratorINS9_10device_ptrIlEEEEPS5_m14custom_greaterIlEEE10hipError_tT0_T1_T2_jT3_P12ihipStream_tbPNSt15iterator_traitsISJ_E10value_typeEPNSP_ISK_E10value_typeEPSL_NS1_7vsmem_tEENKUlT_SJ_SK_SL_E_clIPlSE_SF_SF_EESI_SY_SJ_SK_SL_EUlSY_E_NS1_11comp_targetILNS1_3genE4ELNS1_11target_archE910ELNS1_3gpuE8ELNS1_3repE0EEENS1_48merge_mergepath_partition_config_static_selectorELNS0_4arch9wavefront6targetE1EEEvSK_,comdat
.Lfunc_end3241:
	.size	_ZN7rocprim17ROCPRIM_400000_NS6detail17trampoline_kernelINS0_14default_configENS1_38merge_sort_block_merge_config_selectorIlNS0_10empty_typeEEEZZNS1_27merge_sort_block_merge_implIS3_N6thrust23THRUST_200600_302600_NS6detail15normal_iteratorINS9_10device_ptrIlEEEEPS5_m14custom_greaterIlEEE10hipError_tT0_T1_T2_jT3_P12ihipStream_tbPNSt15iterator_traitsISJ_E10value_typeEPNSP_ISK_E10value_typeEPSL_NS1_7vsmem_tEENKUlT_SJ_SK_SL_E_clIPlSE_SF_SF_EESI_SY_SJ_SK_SL_EUlSY_E_NS1_11comp_targetILNS1_3genE4ELNS1_11target_archE910ELNS1_3gpuE8ELNS1_3repE0EEENS1_48merge_mergepath_partition_config_static_selectorELNS0_4arch9wavefront6targetE1EEEvSK_, .Lfunc_end3241-_ZN7rocprim17ROCPRIM_400000_NS6detail17trampoline_kernelINS0_14default_configENS1_38merge_sort_block_merge_config_selectorIlNS0_10empty_typeEEEZZNS1_27merge_sort_block_merge_implIS3_N6thrust23THRUST_200600_302600_NS6detail15normal_iteratorINS9_10device_ptrIlEEEEPS5_m14custom_greaterIlEEE10hipError_tT0_T1_T2_jT3_P12ihipStream_tbPNSt15iterator_traitsISJ_E10value_typeEPNSP_ISK_E10value_typeEPSL_NS1_7vsmem_tEENKUlT_SJ_SK_SL_E_clIPlSE_SF_SF_EESI_SY_SJ_SK_SL_EUlSY_E_NS1_11comp_targetILNS1_3genE4ELNS1_11target_archE910ELNS1_3gpuE8ELNS1_3repE0EEENS1_48merge_mergepath_partition_config_static_selectorELNS0_4arch9wavefront6targetE1EEEvSK_
                                        ; -- End function
	.section	.AMDGPU.csdata,"",@progbits
; Kernel info:
; codeLenInByte = 500
; NumSgprs: 12
; NumVgprs: 22
; NumAgprs: 0
; TotalNumVgprs: 22
; ScratchSize: 0
; MemoryBound: 0
; FloatMode: 240
; IeeeMode: 1
; LDSByteSize: 0 bytes/workgroup (compile time only)
; SGPRBlocks: 1
; VGPRBlocks: 2
; NumSGPRsForWavesPerEU: 12
; NumVGPRsForWavesPerEU: 22
; AccumOffset: 24
; Occupancy: 8
; WaveLimiterHint : 0
; COMPUTE_PGM_RSRC2:SCRATCH_EN: 0
; COMPUTE_PGM_RSRC2:USER_SGPR: 6
; COMPUTE_PGM_RSRC2:TRAP_HANDLER: 0
; COMPUTE_PGM_RSRC2:TGID_X_EN: 1
; COMPUTE_PGM_RSRC2:TGID_Y_EN: 0
; COMPUTE_PGM_RSRC2:TGID_Z_EN: 0
; COMPUTE_PGM_RSRC2:TIDIG_COMP_CNT: 0
; COMPUTE_PGM_RSRC3_GFX90A:ACCUM_OFFSET: 5
; COMPUTE_PGM_RSRC3_GFX90A:TG_SPLIT: 0
	.section	.text._ZN7rocprim17ROCPRIM_400000_NS6detail17trampoline_kernelINS0_14default_configENS1_38merge_sort_block_merge_config_selectorIlNS0_10empty_typeEEEZZNS1_27merge_sort_block_merge_implIS3_N6thrust23THRUST_200600_302600_NS6detail15normal_iteratorINS9_10device_ptrIlEEEEPS5_m14custom_greaterIlEEE10hipError_tT0_T1_T2_jT3_P12ihipStream_tbPNSt15iterator_traitsISJ_E10value_typeEPNSP_ISK_E10value_typeEPSL_NS1_7vsmem_tEENKUlT_SJ_SK_SL_E_clIPlSE_SF_SF_EESI_SY_SJ_SK_SL_EUlSY_E_NS1_11comp_targetILNS1_3genE3ELNS1_11target_archE908ELNS1_3gpuE7ELNS1_3repE0EEENS1_48merge_mergepath_partition_config_static_selectorELNS0_4arch9wavefront6targetE1EEEvSK_,"axG",@progbits,_ZN7rocprim17ROCPRIM_400000_NS6detail17trampoline_kernelINS0_14default_configENS1_38merge_sort_block_merge_config_selectorIlNS0_10empty_typeEEEZZNS1_27merge_sort_block_merge_implIS3_N6thrust23THRUST_200600_302600_NS6detail15normal_iteratorINS9_10device_ptrIlEEEEPS5_m14custom_greaterIlEEE10hipError_tT0_T1_T2_jT3_P12ihipStream_tbPNSt15iterator_traitsISJ_E10value_typeEPNSP_ISK_E10value_typeEPSL_NS1_7vsmem_tEENKUlT_SJ_SK_SL_E_clIPlSE_SF_SF_EESI_SY_SJ_SK_SL_EUlSY_E_NS1_11comp_targetILNS1_3genE3ELNS1_11target_archE908ELNS1_3gpuE7ELNS1_3repE0EEENS1_48merge_mergepath_partition_config_static_selectorELNS0_4arch9wavefront6targetE1EEEvSK_,comdat
	.protected	_ZN7rocprim17ROCPRIM_400000_NS6detail17trampoline_kernelINS0_14default_configENS1_38merge_sort_block_merge_config_selectorIlNS0_10empty_typeEEEZZNS1_27merge_sort_block_merge_implIS3_N6thrust23THRUST_200600_302600_NS6detail15normal_iteratorINS9_10device_ptrIlEEEEPS5_m14custom_greaterIlEEE10hipError_tT0_T1_T2_jT3_P12ihipStream_tbPNSt15iterator_traitsISJ_E10value_typeEPNSP_ISK_E10value_typeEPSL_NS1_7vsmem_tEENKUlT_SJ_SK_SL_E_clIPlSE_SF_SF_EESI_SY_SJ_SK_SL_EUlSY_E_NS1_11comp_targetILNS1_3genE3ELNS1_11target_archE908ELNS1_3gpuE7ELNS1_3repE0EEENS1_48merge_mergepath_partition_config_static_selectorELNS0_4arch9wavefront6targetE1EEEvSK_ ; -- Begin function _ZN7rocprim17ROCPRIM_400000_NS6detail17trampoline_kernelINS0_14default_configENS1_38merge_sort_block_merge_config_selectorIlNS0_10empty_typeEEEZZNS1_27merge_sort_block_merge_implIS3_N6thrust23THRUST_200600_302600_NS6detail15normal_iteratorINS9_10device_ptrIlEEEEPS5_m14custom_greaterIlEEE10hipError_tT0_T1_T2_jT3_P12ihipStream_tbPNSt15iterator_traitsISJ_E10value_typeEPNSP_ISK_E10value_typeEPSL_NS1_7vsmem_tEENKUlT_SJ_SK_SL_E_clIPlSE_SF_SF_EESI_SY_SJ_SK_SL_EUlSY_E_NS1_11comp_targetILNS1_3genE3ELNS1_11target_archE908ELNS1_3gpuE7ELNS1_3repE0EEENS1_48merge_mergepath_partition_config_static_selectorELNS0_4arch9wavefront6targetE1EEEvSK_
	.globl	_ZN7rocprim17ROCPRIM_400000_NS6detail17trampoline_kernelINS0_14default_configENS1_38merge_sort_block_merge_config_selectorIlNS0_10empty_typeEEEZZNS1_27merge_sort_block_merge_implIS3_N6thrust23THRUST_200600_302600_NS6detail15normal_iteratorINS9_10device_ptrIlEEEEPS5_m14custom_greaterIlEEE10hipError_tT0_T1_T2_jT3_P12ihipStream_tbPNSt15iterator_traitsISJ_E10value_typeEPNSP_ISK_E10value_typeEPSL_NS1_7vsmem_tEENKUlT_SJ_SK_SL_E_clIPlSE_SF_SF_EESI_SY_SJ_SK_SL_EUlSY_E_NS1_11comp_targetILNS1_3genE3ELNS1_11target_archE908ELNS1_3gpuE7ELNS1_3repE0EEENS1_48merge_mergepath_partition_config_static_selectorELNS0_4arch9wavefront6targetE1EEEvSK_
	.p2align	8
	.type	_ZN7rocprim17ROCPRIM_400000_NS6detail17trampoline_kernelINS0_14default_configENS1_38merge_sort_block_merge_config_selectorIlNS0_10empty_typeEEEZZNS1_27merge_sort_block_merge_implIS3_N6thrust23THRUST_200600_302600_NS6detail15normal_iteratorINS9_10device_ptrIlEEEEPS5_m14custom_greaterIlEEE10hipError_tT0_T1_T2_jT3_P12ihipStream_tbPNSt15iterator_traitsISJ_E10value_typeEPNSP_ISK_E10value_typeEPSL_NS1_7vsmem_tEENKUlT_SJ_SK_SL_E_clIPlSE_SF_SF_EESI_SY_SJ_SK_SL_EUlSY_E_NS1_11comp_targetILNS1_3genE3ELNS1_11target_archE908ELNS1_3gpuE7ELNS1_3repE0EEENS1_48merge_mergepath_partition_config_static_selectorELNS0_4arch9wavefront6targetE1EEEvSK_,@function
_ZN7rocprim17ROCPRIM_400000_NS6detail17trampoline_kernelINS0_14default_configENS1_38merge_sort_block_merge_config_selectorIlNS0_10empty_typeEEEZZNS1_27merge_sort_block_merge_implIS3_N6thrust23THRUST_200600_302600_NS6detail15normal_iteratorINS9_10device_ptrIlEEEEPS5_m14custom_greaterIlEEE10hipError_tT0_T1_T2_jT3_P12ihipStream_tbPNSt15iterator_traitsISJ_E10value_typeEPNSP_ISK_E10value_typeEPSL_NS1_7vsmem_tEENKUlT_SJ_SK_SL_E_clIPlSE_SF_SF_EESI_SY_SJ_SK_SL_EUlSY_E_NS1_11comp_targetILNS1_3genE3ELNS1_11target_archE908ELNS1_3gpuE7ELNS1_3repE0EEENS1_48merge_mergepath_partition_config_static_selectorELNS0_4arch9wavefront6targetE1EEEvSK_: ; @_ZN7rocprim17ROCPRIM_400000_NS6detail17trampoline_kernelINS0_14default_configENS1_38merge_sort_block_merge_config_selectorIlNS0_10empty_typeEEEZZNS1_27merge_sort_block_merge_implIS3_N6thrust23THRUST_200600_302600_NS6detail15normal_iteratorINS9_10device_ptrIlEEEEPS5_m14custom_greaterIlEEE10hipError_tT0_T1_T2_jT3_P12ihipStream_tbPNSt15iterator_traitsISJ_E10value_typeEPNSP_ISK_E10value_typeEPSL_NS1_7vsmem_tEENKUlT_SJ_SK_SL_E_clIPlSE_SF_SF_EESI_SY_SJ_SK_SL_EUlSY_E_NS1_11comp_targetILNS1_3genE3ELNS1_11target_archE908ELNS1_3gpuE7ELNS1_3repE0EEENS1_48merge_mergepath_partition_config_static_selectorELNS0_4arch9wavefront6targetE1EEEvSK_
; %bb.0:
	.section	.rodata,"a",@progbits
	.p2align	6, 0x0
	.amdhsa_kernel _ZN7rocprim17ROCPRIM_400000_NS6detail17trampoline_kernelINS0_14default_configENS1_38merge_sort_block_merge_config_selectorIlNS0_10empty_typeEEEZZNS1_27merge_sort_block_merge_implIS3_N6thrust23THRUST_200600_302600_NS6detail15normal_iteratorINS9_10device_ptrIlEEEEPS5_m14custom_greaterIlEEE10hipError_tT0_T1_T2_jT3_P12ihipStream_tbPNSt15iterator_traitsISJ_E10value_typeEPNSP_ISK_E10value_typeEPSL_NS1_7vsmem_tEENKUlT_SJ_SK_SL_E_clIPlSE_SF_SF_EESI_SY_SJ_SK_SL_EUlSY_E_NS1_11comp_targetILNS1_3genE3ELNS1_11target_archE908ELNS1_3gpuE7ELNS1_3repE0EEENS1_48merge_mergepath_partition_config_static_selectorELNS0_4arch9wavefront6targetE1EEEvSK_
		.amdhsa_group_segment_fixed_size 0
		.amdhsa_private_segment_fixed_size 0
		.amdhsa_kernarg_size 48
		.amdhsa_user_sgpr_count 6
		.amdhsa_user_sgpr_private_segment_buffer 1
		.amdhsa_user_sgpr_dispatch_ptr 0
		.amdhsa_user_sgpr_queue_ptr 0
		.amdhsa_user_sgpr_kernarg_segment_ptr 1
		.amdhsa_user_sgpr_dispatch_id 0
		.amdhsa_user_sgpr_flat_scratch_init 0
		.amdhsa_user_sgpr_kernarg_preload_length 0
		.amdhsa_user_sgpr_kernarg_preload_offset 0
		.amdhsa_user_sgpr_private_segment_size 0
		.amdhsa_uses_dynamic_stack 0
		.amdhsa_system_sgpr_private_segment_wavefront_offset 0
		.amdhsa_system_sgpr_workgroup_id_x 1
		.amdhsa_system_sgpr_workgroup_id_y 0
		.amdhsa_system_sgpr_workgroup_id_z 0
		.amdhsa_system_sgpr_workgroup_info 0
		.amdhsa_system_vgpr_workitem_id 0
		.amdhsa_next_free_vgpr 1
		.amdhsa_next_free_sgpr 0
		.amdhsa_accum_offset 4
		.amdhsa_reserve_vcc 0
		.amdhsa_reserve_flat_scratch 0
		.amdhsa_float_round_mode_32 0
		.amdhsa_float_round_mode_16_64 0
		.amdhsa_float_denorm_mode_32 3
		.amdhsa_float_denorm_mode_16_64 3
		.amdhsa_dx10_clamp 1
		.amdhsa_ieee_mode 1
		.amdhsa_fp16_overflow 0
		.amdhsa_tg_split 0
		.amdhsa_exception_fp_ieee_invalid_op 0
		.amdhsa_exception_fp_denorm_src 0
		.amdhsa_exception_fp_ieee_div_zero 0
		.amdhsa_exception_fp_ieee_overflow 0
		.amdhsa_exception_fp_ieee_underflow 0
		.amdhsa_exception_fp_ieee_inexact 0
		.amdhsa_exception_int_div_zero 0
	.end_amdhsa_kernel
	.section	.text._ZN7rocprim17ROCPRIM_400000_NS6detail17trampoline_kernelINS0_14default_configENS1_38merge_sort_block_merge_config_selectorIlNS0_10empty_typeEEEZZNS1_27merge_sort_block_merge_implIS3_N6thrust23THRUST_200600_302600_NS6detail15normal_iteratorINS9_10device_ptrIlEEEEPS5_m14custom_greaterIlEEE10hipError_tT0_T1_T2_jT3_P12ihipStream_tbPNSt15iterator_traitsISJ_E10value_typeEPNSP_ISK_E10value_typeEPSL_NS1_7vsmem_tEENKUlT_SJ_SK_SL_E_clIPlSE_SF_SF_EESI_SY_SJ_SK_SL_EUlSY_E_NS1_11comp_targetILNS1_3genE3ELNS1_11target_archE908ELNS1_3gpuE7ELNS1_3repE0EEENS1_48merge_mergepath_partition_config_static_selectorELNS0_4arch9wavefront6targetE1EEEvSK_,"axG",@progbits,_ZN7rocprim17ROCPRIM_400000_NS6detail17trampoline_kernelINS0_14default_configENS1_38merge_sort_block_merge_config_selectorIlNS0_10empty_typeEEEZZNS1_27merge_sort_block_merge_implIS3_N6thrust23THRUST_200600_302600_NS6detail15normal_iteratorINS9_10device_ptrIlEEEEPS5_m14custom_greaterIlEEE10hipError_tT0_T1_T2_jT3_P12ihipStream_tbPNSt15iterator_traitsISJ_E10value_typeEPNSP_ISK_E10value_typeEPSL_NS1_7vsmem_tEENKUlT_SJ_SK_SL_E_clIPlSE_SF_SF_EESI_SY_SJ_SK_SL_EUlSY_E_NS1_11comp_targetILNS1_3genE3ELNS1_11target_archE908ELNS1_3gpuE7ELNS1_3repE0EEENS1_48merge_mergepath_partition_config_static_selectorELNS0_4arch9wavefront6targetE1EEEvSK_,comdat
.Lfunc_end3242:
	.size	_ZN7rocprim17ROCPRIM_400000_NS6detail17trampoline_kernelINS0_14default_configENS1_38merge_sort_block_merge_config_selectorIlNS0_10empty_typeEEEZZNS1_27merge_sort_block_merge_implIS3_N6thrust23THRUST_200600_302600_NS6detail15normal_iteratorINS9_10device_ptrIlEEEEPS5_m14custom_greaterIlEEE10hipError_tT0_T1_T2_jT3_P12ihipStream_tbPNSt15iterator_traitsISJ_E10value_typeEPNSP_ISK_E10value_typeEPSL_NS1_7vsmem_tEENKUlT_SJ_SK_SL_E_clIPlSE_SF_SF_EESI_SY_SJ_SK_SL_EUlSY_E_NS1_11comp_targetILNS1_3genE3ELNS1_11target_archE908ELNS1_3gpuE7ELNS1_3repE0EEENS1_48merge_mergepath_partition_config_static_selectorELNS0_4arch9wavefront6targetE1EEEvSK_, .Lfunc_end3242-_ZN7rocprim17ROCPRIM_400000_NS6detail17trampoline_kernelINS0_14default_configENS1_38merge_sort_block_merge_config_selectorIlNS0_10empty_typeEEEZZNS1_27merge_sort_block_merge_implIS3_N6thrust23THRUST_200600_302600_NS6detail15normal_iteratorINS9_10device_ptrIlEEEEPS5_m14custom_greaterIlEEE10hipError_tT0_T1_T2_jT3_P12ihipStream_tbPNSt15iterator_traitsISJ_E10value_typeEPNSP_ISK_E10value_typeEPSL_NS1_7vsmem_tEENKUlT_SJ_SK_SL_E_clIPlSE_SF_SF_EESI_SY_SJ_SK_SL_EUlSY_E_NS1_11comp_targetILNS1_3genE3ELNS1_11target_archE908ELNS1_3gpuE7ELNS1_3repE0EEENS1_48merge_mergepath_partition_config_static_selectorELNS0_4arch9wavefront6targetE1EEEvSK_
                                        ; -- End function
	.section	.AMDGPU.csdata,"",@progbits
; Kernel info:
; codeLenInByte = 0
; NumSgprs: 4
; NumVgprs: 0
; NumAgprs: 0
; TotalNumVgprs: 0
; ScratchSize: 0
; MemoryBound: 0
; FloatMode: 240
; IeeeMode: 1
; LDSByteSize: 0 bytes/workgroup (compile time only)
; SGPRBlocks: 0
; VGPRBlocks: 0
; NumSGPRsForWavesPerEU: 4
; NumVGPRsForWavesPerEU: 1
; AccumOffset: 4
; Occupancy: 8
; WaveLimiterHint : 0
; COMPUTE_PGM_RSRC2:SCRATCH_EN: 0
; COMPUTE_PGM_RSRC2:USER_SGPR: 6
; COMPUTE_PGM_RSRC2:TRAP_HANDLER: 0
; COMPUTE_PGM_RSRC2:TGID_X_EN: 1
; COMPUTE_PGM_RSRC2:TGID_Y_EN: 0
; COMPUTE_PGM_RSRC2:TGID_Z_EN: 0
; COMPUTE_PGM_RSRC2:TIDIG_COMP_CNT: 0
; COMPUTE_PGM_RSRC3_GFX90A:ACCUM_OFFSET: 0
; COMPUTE_PGM_RSRC3_GFX90A:TG_SPLIT: 0
	.section	.text._ZN7rocprim17ROCPRIM_400000_NS6detail17trampoline_kernelINS0_14default_configENS1_38merge_sort_block_merge_config_selectorIlNS0_10empty_typeEEEZZNS1_27merge_sort_block_merge_implIS3_N6thrust23THRUST_200600_302600_NS6detail15normal_iteratorINS9_10device_ptrIlEEEEPS5_m14custom_greaterIlEEE10hipError_tT0_T1_T2_jT3_P12ihipStream_tbPNSt15iterator_traitsISJ_E10value_typeEPNSP_ISK_E10value_typeEPSL_NS1_7vsmem_tEENKUlT_SJ_SK_SL_E_clIPlSE_SF_SF_EESI_SY_SJ_SK_SL_EUlSY_E_NS1_11comp_targetILNS1_3genE2ELNS1_11target_archE906ELNS1_3gpuE6ELNS1_3repE0EEENS1_48merge_mergepath_partition_config_static_selectorELNS0_4arch9wavefront6targetE1EEEvSK_,"axG",@progbits,_ZN7rocprim17ROCPRIM_400000_NS6detail17trampoline_kernelINS0_14default_configENS1_38merge_sort_block_merge_config_selectorIlNS0_10empty_typeEEEZZNS1_27merge_sort_block_merge_implIS3_N6thrust23THRUST_200600_302600_NS6detail15normal_iteratorINS9_10device_ptrIlEEEEPS5_m14custom_greaterIlEEE10hipError_tT0_T1_T2_jT3_P12ihipStream_tbPNSt15iterator_traitsISJ_E10value_typeEPNSP_ISK_E10value_typeEPSL_NS1_7vsmem_tEENKUlT_SJ_SK_SL_E_clIPlSE_SF_SF_EESI_SY_SJ_SK_SL_EUlSY_E_NS1_11comp_targetILNS1_3genE2ELNS1_11target_archE906ELNS1_3gpuE6ELNS1_3repE0EEENS1_48merge_mergepath_partition_config_static_selectorELNS0_4arch9wavefront6targetE1EEEvSK_,comdat
	.protected	_ZN7rocprim17ROCPRIM_400000_NS6detail17trampoline_kernelINS0_14default_configENS1_38merge_sort_block_merge_config_selectorIlNS0_10empty_typeEEEZZNS1_27merge_sort_block_merge_implIS3_N6thrust23THRUST_200600_302600_NS6detail15normal_iteratorINS9_10device_ptrIlEEEEPS5_m14custom_greaterIlEEE10hipError_tT0_T1_T2_jT3_P12ihipStream_tbPNSt15iterator_traitsISJ_E10value_typeEPNSP_ISK_E10value_typeEPSL_NS1_7vsmem_tEENKUlT_SJ_SK_SL_E_clIPlSE_SF_SF_EESI_SY_SJ_SK_SL_EUlSY_E_NS1_11comp_targetILNS1_3genE2ELNS1_11target_archE906ELNS1_3gpuE6ELNS1_3repE0EEENS1_48merge_mergepath_partition_config_static_selectorELNS0_4arch9wavefront6targetE1EEEvSK_ ; -- Begin function _ZN7rocprim17ROCPRIM_400000_NS6detail17trampoline_kernelINS0_14default_configENS1_38merge_sort_block_merge_config_selectorIlNS0_10empty_typeEEEZZNS1_27merge_sort_block_merge_implIS3_N6thrust23THRUST_200600_302600_NS6detail15normal_iteratorINS9_10device_ptrIlEEEEPS5_m14custom_greaterIlEEE10hipError_tT0_T1_T2_jT3_P12ihipStream_tbPNSt15iterator_traitsISJ_E10value_typeEPNSP_ISK_E10value_typeEPSL_NS1_7vsmem_tEENKUlT_SJ_SK_SL_E_clIPlSE_SF_SF_EESI_SY_SJ_SK_SL_EUlSY_E_NS1_11comp_targetILNS1_3genE2ELNS1_11target_archE906ELNS1_3gpuE6ELNS1_3repE0EEENS1_48merge_mergepath_partition_config_static_selectorELNS0_4arch9wavefront6targetE1EEEvSK_
	.globl	_ZN7rocprim17ROCPRIM_400000_NS6detail17trampoline_kernelINS0_14default_configENS1_38merge_sort_block_merge_config_selectorIlNS0_10empty_typeEEEZZNS1_27merge_sort_block_merge_implIS3_N6thrust23THRUST_200600_302600_NS6detail15normal_iteratorINS9_10device_ptrIlEEEEPS5_m14custom_greaterIlEEE10hipError_tT0_T1_T2_jT3_P12ihipStream_tbPNSt15iterator_traitsISJ_E10value_typeEPNSP_ISK_E10value_typeEPSL_NS1_7vsmem_tEENKUlT_SJ_SK_SL_E_clIPlSE_SF_SF_EESI_SY_SJ_SK_SL_EUlSY_E_NS1_11comp_targetILNS1_3genE2ELNS1_11target_archE906ELNS1_3gpuE6ELNS1_3repE0EEENS1_48merge_mergepath_partition_config_static_selectorELNS0_4arch9wavefront6targetE1EEEvSK_
	.p2align	8
	.type	_ZN7rocprim17ROCPRIM_400000_NS6detail17trampoline_kernelINS0_14default_configENS1_38merge_sort_block_merge_config_selectorIlNS0_10empty_typeEEEZZNS1_27merge_sort_block_merge_implIS3_N6thrust23THRUST_200600_302600_NS6detail15normal_iteratorINS9_10device_ptrIlEEEEPS5_m14custom_greaterIlEEE10hipError_tT0_T1_T2_jT3_P12ihipStream_tbPNSt15iterator_traitsISJ_E10value_typeEPNSP_ISK_E10value_typeEPSL_NS1_7vsmem_tEENKUlT_SJ_SK_SL_E_clIPlSE_SF_SF_EESI_SY_SJ_SK_SL_EUlSY_E_NS1_11comp_targetILNS1_3genE2ELNS1_11target_archE906ELNS1_3gpuE6ELNS1_3repE0EEENS1_48merge_mergepath_partition_config_static_selectorELNS0_4arch9wavefront6targetE1EEEvSK_,@function
_ZN7rocprim17ROCPRIM_400000_NS6detail17trampoline_kernelINS0_14default_configENS1_38merge_sort_block_merge_config_selectorIlNS0_10empty_typeEEEZZNS1_27merge_sort_block_merge_implIS3_N6thrust23THRUST_200600_302600_NS6detail15normal_iteratorINS9_10device_ptrIlEEEEPS5_m14custom_greaterIlEEE10hipError_tT0_T1_T2_jT3_P12ihipStream_tbPNSt15iterator_traitsISJ_E10value_typeEPNSP_ISK_E10value_typeEPSL_NS1_7vsmem_tEENKUlT_SJ_SK_SL_E_clIPlSE_SF_SF_EESI_SY_SJ_SK_SL_EUlSY_E_NS1_11comp_targetILNS1_3genE2ELNS1_11target_archE906ELNS1_3gpuE6ELNS1_3repE0EEENS1_48merge_mergepath_partition_config_static_selectorELNS0_4arch9wavefront6targetE1EEEvSK_: ; @_ZN7rocprim17ROCPRIM_400000_NS6detail17trampoline_kernelINS0_14default_configENS1_38merge_sort_block_merge_config_selectorIlNS0_10empty_typeEEEZZNS1_27merge_sort_block_merge_implIS3_N6thrust23THRUST_200600_302600_NS6detail15normal_iteratorINS9_10device_ptrIlEEEEPS5_m14custom_greaterIlEEE10hipError_tT0_T1_T2_jT3_P12ihipStream_tbPNSt15iterator_traitsISJ_E10value_typeEPNSP_ISK_E10value_typeEPSL_NS1_7vsmem_tEENKUlT_SJ_SK_SL_E_clIPlSE_SF_SF_EESI_SY_SJ_SK_SL_EUlSY_E_NS1_11comp_targetILNS1_3genE2ELNS1_11target_archE906ELNS1_3gpuE6ELNS1_3repE0EEENS1_48merge_mergepath_partition_config_static_selectorELNS0_4arch9wavefront6targetE1EEEvSK_
; %bb.0:
	.section	.rodata,"a",@progbits
	.p2align	6, 0x0
	.amdhsa_kernel _ZN7rocprim17ROCPRIM_400000_NS6detail17trampoline_kernelINS0_14default_configENS1_38merge_sort_block_merge_config_selectorIlNS0_10empty_typeEEEZZNS1_27merge_sort_block_merge_implIS3_N6thrust23THRUST_200600_302600_NS6detail15normal_iteratorINS9_10device_ptrIlEEEEPS5_m14custom_greaterIlEEE10hipError_tT0_T1_T2_jT3_P12ihipStream_tbPNSt15iterator_traitsISJ_E10value_typeEPNSP_ISK_E10value_typeEPSL_NS1_7vsmem_tEENKUlT_SJ_SK_SL_E_clIPlSE_SF_SF_EESI_SY_SJ_SK_SL_EUlSY_E_NS1_11comp_targetILNS1_3genE2ELNS1_11target_archE906ELNS1_3gpuE6ELNS1_3repE0EEENS1_48merge_mergepath_partition_config_static_selectorELNS0_4arch9wavefront6targetE1EEEvSK_
		.amdhsa_group_segment_fixed_size 0
		.amdhsa_private_segment_fixed_size 0
		.amdhsa_kernarg_size 48
		.amdhsa_user_sgpr_count 6
		.amdhsa_user_sgpr_private_segment_buffer 1
		.amdhsa_user_sgpr_dispatch_ptr 0
		.amdhsa_user_sgpr_queue_ptr 0
		.amdhsa_user_sgpr_kernarg_segment_ptr 1
		.amdhsa_user_sgpr_dispatch_id 0
		.amdhsa_user_sgpr_flat_scratch_init 0
		.amdhsa_user_sgpr_kernarg_preload_length 0
		.amdhsa_user_sgpr_kernarg_preload_offset 0
		.amdhsa_user_sgpr_private_segment_size 0
		.amdhsa_uses_dynamic_stack 0
		.amdhsa_system_sgpr_private_segment_wavefront_offset 0
		.amdhsa_system_sgpr_workgroup_id_x 1
		.amdhsa_system_sgpr_workgroup_id_y 0
		.amdhsa_system_sgpr_workgroup_id_z 0
		.amdhsa_system_sgpr_workgroup_info 0
		.amdhsa_system_vgpr_workitem_id 0
		.amdhsa_next_free_vgpr 1
		.amdhsa_next_free_sgpr 0
		.amdhsa_accum_offset 4
		.amdhsa_reserve_vcc 0
		.amdhsa_reserve_flat_scratch 0
		.amdhsa_float_round_mode_32 0
		.amdhsa_float_round_mode_16_64 0
		.amdhsa_float_denorm_mode_32 3
		.amdhsa_float_denorm_mode_16_64 3
		.amdhsa_dx10_clamp 1
		.amdhsa_ieee_mode 1
		.amdhsa_fp16_overflow 0
		.amdhsa_tg_split 0
		.amdhsa_exception_fp_ieee_invalid_op 0
		.amdhsa_exception_fp_denorm_src 0
		.amdhsa_exception_fp_ieee_div_zero 0
		.amdhsa_exception_fp_ieee_overflow 0
		.amdhsa_exception_fp_ieee_underflow 0
		.amdhsa_exception_fp_ieee_inexact 0
		.amdhsa_exception_int_div_zero 0
	.end_amdhsa_kernel
	.section	.text._ZN7rocprim17ROCPRIM_400000_NS6detail17trampoline_kernelINS0_14default_configENS1_38merge_sort_block_merge_config_selectorIlNS0_10empty_typeEEEZZNS1_27merge_sort_block_merge_implIS3_N6thrust23THRUST_200600_302600_NS6detail15normal_iteratorINS9_10device_ptrIlEEEEPS5_m14custom_greaterIlEEE10hipError_tT0_T1_T2_jT3_P12ihipStream_tbPNSt15iterator_traitsISJ_E10value_typeEPNSP_ISK_E10value_typeEPSL_NS1_7vsmem_tEENKUlT_SJ_SK_SL_E_clIPlSE_SF_SF_EESI_SY_SJ_SK_SL_EUlSY_E_NS1_11comp_targetILNS1_3genE2ELNS1_11target_archE906ELNS1_3gpuE6ELNS1_3repE0EEENS1_48merge_mergepath_partition_config_static_selectorELNS0_4arch9wavefront6targetE1EEEvSK_,"axG",@progbits,_ZN7rocprim17ROCPRIM_400000_NS6detail17trampoline_kernelINS0_14default_configENS1_38merge_sort_block_merge_config_selectorIlNS0_10empty_typeEEEZZNS1_27merge_sort_block_merge_implIS3_N6thrust23THRUST_200600_302600_NS6detail15normal_iteratorINS9_10device_ptrIlEEEEPS5_m14custom_greaterIlEEE10hipError_tT0_T1_T2_jT3_P12ihipStream_tbPNSt15iterator_traitsISJ_E10value_typeEPNSP_ISK_E10value_typeEPSL_NS1_7vsmem_tEENKUlT_SJ_SK_SL_E_clIPlSE_SF_SF_EESI_SY_SJ_SK_SL_EUlSY_E_NS1_11comp_targetILNS1_3genE2ELNS1_11target_archE906ELNS1_3gpuE6ELNS1_3repE0EEENS1_48merge_mergepath_partition_config_static_selectorELNS0_4arch9wavefront6targetE1EEEvSK_,comdat
.Lfunc_end3243:
	.size	_ZN7rocprim17ROCPRIM_400000_NS6detail17trampoline_kernelINS0_14default_configENS1_38merge_sort_block_merge_config_selectorIlNS0_10empty_typeEEEZZNS1_27merge_sort_block_merge_implIS3_N6thrust23THRUST_200600_302600_NS6detail15normal_iteratorINS9_10device_ptrIlEEEEPS5_m14custom_greaterIlEEE10hipError_tT0_T1_T2_jT3_P12ihipStream_tbPNSt15iterator_traitsISJ_E10value_typeEPNSP_ISK_E10value_typeEPSL_NS1_7vsmem_tEENKUlT_SJ_SK_SL_E_clIPlSE_SF_SF_EESI_SY_SJ_SK_SL_EUlSY_E_NS1_11comp_targetILNS1_3genE2ELNS1_11target_archE906ELNS1_3gpuE6ELNS1_3repE0EEENS1_48merge_mergepath_partition_config_static_selectorELNS0_4arch9wavefront6targetE1EEEvSK_, .Lfunc_end3243-_ZN7rocprim17ROCPRIM_400000_NS6detail17trampoline_kernelINS0_14default_configENS1_38merge_sort_block_merge_config_selectorIlNS0_10empty_typeEEEZZNS1_27merge_sort_block_merge_implIS3_N6thrust23THRUST_200600_302600_NS6detail15normal_iteratorINS9_10device_ptrIlEEEEPS5_m14custom_greaterIlEEE10hipError_tT0_T1_T2_jT3_P12ihipStream_tbPNSt15iterator_traitsISJ_E10value_typeEPNSP_ISK_E10value_typeEPSL_NS1_7vsmem_tEENKUlT_SJ_SK_SL_E_clIPlSE_SF_SF_EESI_SY_SJ_SK_SL_EUlSY_E_NS1_11comp_targetILNS1_3genE2ELNS1_11target_archE906ELNS1_3gpuE6ELNS1_3repE0EEENS1_48merge_mergepath_partition_config_static_selectorELNS0_4arch9wavefront6targetE1EEEvSK_
                                        ; -- End function
	.section	.AMDGPU.csdata,"",@progbits
; Kernel info:
; codeLenInByte = 0
; NumSgprs: 4
; NumVgprs: 0
; NumAgprs: 0
; TotalNumVgprs: 0
; ScratchSize: 0
; MemoryBound: 0
; FloatMode: 240
; IeeeMode: 1
; LDSByteSize: 0 bytes/workgroup (compile time only)
; SGPRBlocks: 0
; VGPRBlocks: 0
; NumSGPRsForWavesPerEU: 4
; NumVGPRsForWavesPerEU: 1
; AccumOffset: 4
; Occupancy: 8
; WaveLimiterHint : 0
; COMPUTE_PGM_RSRC2:SCRATCH_EN: 0
; COMPUTE_PGM_RSRC2:USER_SGPR: 6
; COMPUTE_PGM_RSRC2:TRAP_HANDLER: 0
; COMPUTE_PGM_RSRC2:TGID_X_EN: 1
; COMPUTE_PGM_RSRC2:TGID_Y_EN: 0
; COMPUTE_PGM_RSRC2:TGID_Z_EN: 0
; COMPUTE_PGM_RSRC2:TIDIG_COMP_CNT: 0
; COMPUTE_PGM_RSRC3_GFX90A:ACCUM_OFFSET: 0
; COMPUTE_PGM_RSRC3_GFX90A:TG_SPLIT: 0
	.section	.text._ZN7rocprim17ROCPRIM_400000_NS6detail17trampoline_kernelINS0_14default_configENS1_38merge_sort_block_merge_config_selectorIlNS0_10empty_typeEEEZZNS1_27merge_sort_block_merge_implIS3_N6thrust23THRUST_200600_302600_NS6detail15normal_iteratorINS9_10device_ptrIlEEEEPS5_m14custom_greaterIlEEE10hipError_tT0_T1_T2_jT3_P12ihipStream_tbPNSt15iterator_traitsISJ_E10value_typeEPNSP_ISK_E10value_typeEPSL_NS1_7vsmem_tEENKUlT_SJ_SK_SL_E_clIPlSE_SF_SF_EESI_SY_SJ_SK_SL_EUlSY_E_NS1_11comp_targetILNS1_3genE9ELNS1_11target_archE1100ELNS1_3gpuE3ELNS1_3repE0EEENS1_48merge_mergepath_partition_config_static_selectorELNS0_4arch9wavefront6targetE1EEEvSK_,"axG",@progbits,_ZN7rocprim17ROCPRIM_400000_NS6detail17trampoline_kernelINS0_14default_configENS1_38merge_sort_block_merge_config_selectorIlNS0_10empty_typeEEEZZNS1_27merge_sort_block_merge_implIS3_N6thrust23THRUST_200600_302600_NS6detail15normal_iteratorINS9_10device_ptrIlEEEEPS5_m14custom_greaterIlEEE10hipError_tT0_T1_T2_jT3_P12ihipStream_tbPNSt15iterator_traitsISJ_E10value_typeEPNSP_ISK_E10value_typeEPSL_NS1_7vsmem_tEENKUlT_SJ_SK_SL_E_clIPlSE_SF_SF_EESI_SY_SJ_SK_SL_EUlSY_E_NS1_11comp_targetILNS1_3genE9ELNS1_11target_archE1100ELNS1_3gpuE3ELNS1_3repE0EEENS1_48merge_mergepath_partition_config_static_selectorELNS0_4arch9wavefront6targetE1EEEvSK_,comdat
	.protected	_ZN7rocprim17ROCPRIM_400000_NS6detail17trampoline_kernelINS0_14default_configENS1_38merge_sort_block_merge_config_selectorIlNS0_10empty_typeEEEZZNS1_27merge_sort_block_merge_implIS3_N6thrust23THRUST_200600_302600_NS6detail15normal_iteratorINS9_10device_ptrIlEEEEPS5_m14custom_greaterIlEEE10hipError_tT0_T1_T2_jT3_P12ihipStream_tbPNSt15iterator_traitsISJ_E10value_typeEPNSP_ISK_E10value_typeEPSL_NS1_7vsmem_tEENKUlT_SJ_SK_SL_E_clIPlSE_SF_SF_EESI_SY_SJ_SK_SL_EUlSY_E_NS1_11comp_targetILNS1_3genE9ELNS1_11target_archE1100ELNS1_3gpuE3ELNS1_3repE0EEENS1_48merge_mergepath_partition_config_static_selectorELNS0_4arch9wavefront6targetE1EEEvSK_ ; -- Begin function _ZN7rocprim17ROCPRIM_400000_NS6detail17trampoline_kernelINS0_14default_configENS1_38merge_sort_block_merge_config_selectorIlNS0_10empty_typeEEEZZNS1_27merge_sort_block_merge_implIS3_N6thrust23THRUST_200600_302600_NS6detail15normal_iteratorINS9_10device_ptrIlEEEEPS5_m14custom_greaterIlEEE10hipError_tT0_T1_T2_jT3_P12ihipStream_tbPNSt15iterator_traitsISJ_E10value_typeEPNSP_ISK_E10value_typeEPSL_NS1_7vsmem_tEENKUlT_SJ_SK_SL_E_clIPlSE_SF_SF_EESI_SY_SJ_SK_SL_EUlSY_E_NS1_11comp_targetILNS1_3genE9ELNS1_11target_archE1100ELNS1_3gpuE3ELNS1_3repE0EEENS1_48merge_mergepath_partition_config_static_selectorELNS0_4arch9wavefront6targetE1EEEvSK_
	.globl	_ZN7rocprim17ROCPRIM_400000_NS6detail17trampoline_kernelINS0_14default_configENS1_38merge_sort_block_merge_config_selectorIlNS0_10empty_typeEEEZZNS1_27merge_sort_block_merge_implIS3_N6thrust23THRUST_200600_302600_NS6detail15normal_iteratorINS9_10device_ptrIlEEEEPS5_m14custom_greaterIlEEE10hipError_tT0_T1_T2_jT3_P12ihipStream_tbPNSt15iterator_traitsISJ_E10value_typeEPNSP_ISK_E10value_typeEPSL_NS1_7vsmem_tEENKUlT_SJ_SK_SL_E_clIPlSE_SF_SF_EESI_SY_SJ_SK_SL_EUlSY_E_NS1_11comp_targetILNS1_3genE9ELNS1_11target_archE1100ELNS1_3gpuE3ELNS1_3repE0EEENS1_48merge_mergepath_partition_config_static_selectorELNS0_4arch9wavefront6targetE1EEEvSK_
	.p2align	8
	.type	_ZN7rocprim17ROCPRIM_400000_NS6detail17trampoline_kernelINS0_14default_configENS1_38merge_sort_block_merge_config_selectorIlNS0_10empty_typeEEEZZNS1_27merge_sort_block_merge_implIS3_N6thrust23THRUST_200600_302600_NS6detail15normal_iteratorINS9_10device_ptrIlEEEEPS5_m14custom_greaterIlEEE10hipError_tT0_T1_T2_jT3_P12ihipStream_tbPNSt15iterator_traitsISJ_E10value_typeEPNSP_ISK_E10value_typeEPSL_NS1_7vsmem_tEENKUlT_SJ_SK_SL_E_clIPlSE_SF_SF_EESI_SY_SJ_SK_SL_EUlSY_E_NS1_11comp_targetILNS1_3genE9ELNS1_11target_archE1100ELNS1_3gpuE3ELNS1_3repE0EEENS1_48merge_mergepath_partition_config_static_selectorELNS0_4arch9wavefront6targetE1EEEvSK_,@function
_ZN7rocprim17ROCPRIM_400000_NS6detail17trampoline_kernelINS0_14default_configENS1_38merge_sort_block_merge_config_selectorIlNS0_10empty_typeEEEZZNS1_27merge_sort_block_merge_implIS3_N6thrust23THRUST_200600_302600_NS6detail15normal_iteratorINS9_10device_ptrIlEEEEPS5_m14custom_greaterIlEEE10hipError_tT0_T1_T2_jT3_P12ihipStream_tbPNSt15iterator_traitsISJ_E10value_typeEPNSP_ISK_E10value_typeEPSL_NS1_7vsmem_tEENKUlT_SJ_SK_SL_E_clIPlSE_SF_SF_EESI_SY_SJ_SK_SL_EUlSY_E_NS1_11comp_targetILNS1_3genE9ELNS1_11target_archE1100ELNS1_3gpuE3ELNS1_3repE0EEENS1_48merge_mergepath_partition_config_static_selectorELNS0_4arch9wavefront6targetE1EEEvSK_: ; @_ZN7rocprim17ROCPRIM_400000_NS6detail17trampoline_kernelINS0_14default_configENS1_38merge_sort_block_merge_config_selectorIlNS0_10empty_typeEEEZZNS1_27merge_sort_block_merge_implIS3_N6thrust23THRUST_200600_302600_NS6detail15normal_iteratorINS9_10device_ptrIlEEEEPS5_m14custom_greaterIlEEE10hipError_tT0_T1_T2_jT3_P12ihipStream_tbPNSt15iterator_traitsISJ_E10value_typeEPNSP_ISK_E10value_typeEPSL_NS1_7vsmem_tEENKUlT_SJ_SK_SL_E_clIPlSE_SF_SF_EESI_SY_SJ_SK_SL_EUlSY_E_NS1_11comp_targetILNS1_3genE9ELNS1_11target_archE1100ELNS1_3gpuE3ELNS1_3repE0EEENS1_48merge_mergepath_partition_config_static_selectorELNS0_4arch9wavefront6targetE1EEEvSK_
; %bb.0:
	.section	.rodata,"a",@progbits
	.p2align	6, 0x0
	.amdhsa_kernel _ZN7rocprim17ROCPRIM_400000_NS6detail17trampoline_kernelINS0_14default_configENS1_38merge_sort_block_merge_config_selectorIlNS0_10empty_typeEEEZZNS1_27merge_sort_block_merge_implIS3_N6thrust23THRUST_200600_302600_NS6detail15normal_iteratorINS9_10device_ptrIlEEEEPS5_m14custom_greaterIlEEE10hipError_tT0_T1_T2_jT3_P12ihipStream_tbPNSt15iterator_traitsISJ_E10value_typeEPNSP_ISK_E10value_typeEPSL_NS1_7vsmem_tEENKUlT_SJ_SK_SL_E_clIPlSE_SF_SF_EESI_SY_SJ_SK_SL_EUlSY_E_NS1_11comp_targetILNS1_3genE9ELNS1_11target_archE1100ELNS1_3gpuE3ELNS1_3repE0EEENS1_48merge_mergepath_partition_config_static_selectorELNS0_4arch9wavefront6targetE1EEEvSK_
		.amdhsa_group_segment_fixed_size 0
		.amdhsa_private_segment_fixed_size 0
		.amdhsa_kernarg_size 48
		.amdhsa_user_sgpr_count 6
		.amdhsa_user_sgpr_private_segment_buffer 1
		.amdhsa_user_sgpr_dispatch_ptr 0
		.amdhsa_user_sgpr_queue_ptr 0
		.amdhsa_user_sgpr_kernarg_segment_ptr 1
		.amdhsa_user_sgpr_dispatch_id 0
		.amdhsa_user_sgpr_flat_scratch_init 0
		.amdhsa_user_sgpr_kernarg_preload_length 0
		.amdhsa_user_sgpr_kernarg_preload_offset 0
		.amdhsa_user_sgpr_private_segment_size 0
		.amdhsa_uses_dynamic_stack 0
		.amdhsa_system_sgpr_private_segment_wavefront_offset 0
		.amdhsa_system_sgpr_workgroup_id_x 1
		.amdhsa_system_sgpr_workgroup_id_y 0
		.amdhsa_system_sgpr_workgroup_id_z 0
		.amdhsa_system_sgpr_workgroup_info 0
		.amdhsa_system_vgpr_workitem_id 0
		.amdhsa_next_free_vgpr 1
		.amdhsa_next_free_sgpr 0
		.amdhsa_accum_offset 4
		.amdhsa_reserve_vcc 0
		.amdhsa_reserve_flat_scratch 0
		.amdhsa_float_round_mode_32 0
		.amdhsa_float_round_mode_16_64 0
		.amdhsa_float_denorm_mode_32 3
		.amdhsa_float_denorm_mode_16_64 3
		.amdhsa_dx10_clamp 1
		.amdhsa_ieee_mode 1
		.amdhsa_fp16_overflow 0
		.amdhsa_tg_split 0
		.amdhsa_exception_fp_ieee_invalid_op 0
		.amdhsa_exception_fp_denorm_src 0
		.amdhsa_exception_fp_ieee_div_zero 0
		.amdhsa_exception_fp_ieee_overflow 0
		.amdhsa_exception_fp_ieee_underflow 0
		.amdhsa_exception_fp_ieee_inexact 0
		.amdhsa_exception_int_div_zero 0
	.end_amdhsa_kernel
	.section	.text._ZN7rocprim17ROCPRIM_400000_NS6detail17trampoline_kernelINS0_14default_configENS1_38merge_sort_block_merge_config_selectorIlNS0_10empty_typeEEEZZNS1_27merge_sort_block_merge_implIS3_N6thrust23THRUST_200600_302600_NS6detail15normal_iteratorINS9_10device_ptrIlEEEEPS5_m14custom_greaterIlEEE10hipError_tT0_T1_T2_jT3_P12ihipStream_tbPNSt15iterator_traitsISJ_E10value_typeEPNSP_ISK_E10value_typeEPSL_NS1_7vsmem_tEENKUlT_SJ_SK_SL_E_clIPlSE_SF_SF_EESI_SY_SJ_SK_SL_EUlSY_E_NS1_11comp_targetILNS1_3genE9ELNS1_11target_archE1100ELNS1_3gpuE3ELNS1_3repE0EEENS1_48merge_mergepath_partition_config_static_selectorELNS0_4arch9wavefront6targetE1EEEvSK_,"axG",@progbits,_ZN7rocprim17ROCPRIM_400000_NS6detail17trampoline_kernelINS0_14default_configENS1_38merge_sort_block_merge_config_selectorIlNS0_10empty_typeEEEZZNS1_27merge_sort_block_merge_implIS3_N6thrust23THRUST_200600_302600_NS6detail15normal_iteratorINS9_10device_ptrIlEEEEPS5_m14custom_greaterIlEEE10hipError_tT0_T1_T2_jT3_P12ihipStream_tbPNSt15iterator_traitsISJ_E10value_typeEPNSP_ISK_E10value_typeEPSL_NS1_7vsmem_tEENKUlT_SJ_SK_SL_E_clIPlSE_SF_SF_EESI_SY_SJ_SK_SL_EUlSY_E_NS1_11comp_targetILNS1_3genE9ELNS1_11target_archE1100ELNS1_3gpuE3ELNS1_3repE0EEENS1_48merge_mergepath_partition_config_static_selectorELNS0_4arch9wavefront6targetE1EEEvSK_,comdat
.Lfunc_end3244:
	.size	_ZN7rocprim17ROCPRIM_400000_NS6detail17trampoline_kernelINS0_14default_configENS1_38merge_sort_block_merge_config_selectorIlNS0_10empty_typeEEEZZNS1_27merge_sort_block_merge_implIS3_N6thrust23THRUST_200600_302600_NS6detail15normal_iteratorINS9_10device_ptrIlEEEEPS5_m14custom_greaterIlEEE10hipError_tT0_T1_T2_jT3_P12ihipStream_tbPNSt15iterator_traitsISJ_E10value_typeEPNSP_ISK_E10value_typeEPSL_NS1_7vsmem_tEENKUlT_SJ_SK_SL_E_clIPlSE_SF_SF_EESI_SY_SJ_SK_SL_EUlSY_E_NS1_11comp_targetILNS1_3genE9ELNS1_11target_archE1100ELNS1_3gpuE3ELNS1_3repE0EEENS1_48merge_mergepath_partition_config_static_selectorELNS0_4arch9wavefront6targetE1EEEvSK_, .Lfunc_end3244-_ZN7rocprim17ROCPRIM_400000_NS6detail17trampoline_kernelINS0_14default_configENS1_38merge_sort_block_merge_config_selectorIlNS0_10empty_typeEEEZZNS1_27merge_sort_block_merge_implIS3_N6thrust23THRUST_200600_302600_NS6detail15normal_iteratorINS9_10device_ptrIlEEEEPS5_m14custom_greaterIlEEE10hipError_tT0_T1_T2_jT3_P12ihipStream_tbPNSt15iterator_traitsISJ_E10value_typeEPNSP_ISK_E10value_typeEPSL_NS1_7vsmem_tEENKUlT_SJ_SK_SL_E_clIPlSE_SF_SF_EESI_SY_SJ_SK_SL_EUlSY_E_NS1_11comp_targetILNS1_3genE9ELNS1_11target_archE1100ELNS1_3gpuE3ELNS1_3repE0EEENS1_48merge_mergepath_partition_config_static_selectorELNS0_4arch9wavefront6targetE1EEEvSK_
                                        ; -- End function
	.section	.AMDGPU.csdata,"",@progbits
; Kernel info:
; codeLenInByte = 0
; NumSgprs: 4
; NumVgprs: 0
; NumAgprs: 0
; TotalNumVgprs: 0
; ScratchSize: 0
; MemoryBound: 0
; FloatMode: 240
; IeeeMode: 1
; LDSByteSize: 0 bytes/workgroup (compile time only)
; SGPRBlocks: 0
; VGPRBlocks: 0
; NumSGPRsForWavesPerEU: 4
; NumVGPRsForWavesPerEU: 1
; AccumOffset: 4
; Occupancy: 8
; WaveLimiterHint : 0
; COMPUTE_PGM_RSRC2:SCRATCH_EN: 0
; COMPUTE_PGM_RSRC2:USER_SGPR: 6
; COMPUTE_PGM_RSRC2:TRAP_HANDLER: 0
; COMPUTE_PGM_RSRC2:TGID_X_EN: 1
; COMPUTE_PGM_RSRC2:TGID_Y_EN: 0
; COMPUTE_PGM_RSRC2:TGID_Z_EN: 0
; COMPUTE_PGM_RSRC2:TIDIG_COMP_CNT: 0
; COMPUTE_PGM_RSRC3_GFX90A:ACCUM_OFFSET: 0
; COMPUTE_PGM_RSRC3_GFX90A:TG_SPLIT: 0
	.section	.text._ZN7rocprim17ROCPRIM_400000_NS6detail17trampoline_kernelINS0_14default_configENS1_38merge_sort_block_merge_config_selectorIlNS0_10empty_typeEEEZZNS1_27merge_sort_block_merge_implIS3_N6thrust23THRUST_200600_302600_NS6detail15normal_iteratorINS9_10device_ptrIlEEEEPS5_m14custom_greaterIlEEE10hipError_tT0_T1_T2_jT3_P12ihipStream_tbPNSt15iterator_traitsISJ_E10value_typeEPNSP_ISK_E10value_typeEPSL_NS1_7vsmem_tEENKUlT_SJ_SK_SL_E_clIPlSE_SF_SF_EESI_SY_SJ_SK_SL_EUlSY_E_NS1_11comp_targetILNS1_3genE8ELNS1_11target_archE1030ELNS1_3gpuE2ELNS1_3repE0EEENS1_48merge_mergepath_partition_config_static_selectorELNS0_4arch9wavefront6targetE1EEEvSK_,"axG",@progbits,_ZN7rocprim17ROCPRIM_400000_NS6detail17trampoline_kernelINS0_14default_configENS1_38merge_sort_block_merge_config_selectorIlNS0_10empty_typeEEEZZNS1_27merge_sort_block_merge_implIS3_N6thrust23THRUST_200600_302600_NS6detail15normal_iteratorINS9_10device_ptrIlEEEEPS5_m14custom_greaterIlEEE10hipError_tT0_T1_T2_jT3_P12ihipStream_tbPNSt15iterator_traitsISJ_E10value_typeEPNSP_ISK_E10value_typeEPSL_NS1_7vsmem_tEENKUlT_SJ_SK_SL_E_clIPlSE_SF_SF_EESI_SY_SJ_SK_SL_EUlSY_E_NS1_11comp_targetILNS1_3genE8ELNS1_11target_archE1030ELNS1_3gpuE2ELNS1_3repE0EEENS1_48merge_mergepath_partition_config_static_selectorELNS0_4arch9wavefront6targetE1EEEvSK_,comdat
	.protected	_ZN7rocprim17ROCPRIM_400000_NS6detail17trampoline_kernelINS0_14default_configENS1_38merge_sort_block_merge_config_selectorIlNS0_10empty_typeEEEZZNS1_27merge_sort_block_merge_implIS3_N6thrust23THRUST_200600_302600_NS6detail15normal_iteratorINS9_10device_ptrIlEEEEPS5_m14custom_greaterIlEEE10hipError_tT0_T1_T2_jT3_P12ihipStream_tbPNSt15iterator_traitsISJ_E10value_typeEPNSP_ISK_E10value_typeEPSL_NS1_7vsmem_tEENKUlT_SJ_SK_SL_E_clIPlSE_SF_SF_EESI_SY_SJ_SK_SL_EUlSY_E_NS1_11comp_targetILNS1_3genE8ELNS1_11target_archE1030ELNS1_3gpuE2ELNS1_3repE0EEENS1_48merge_mergepath_partition_config_static_selectorELNS0_4arch9wavefront6targetE1EEEvSK_ ; -- Begin function _ZN7rocprim17ROCPRIM_400000_NS6detail17trampoline_kernelINS0_14default_configENS1_38merge_sort_block_merge_config_selectorIlNS0_10empty_typeEEEZZNS1_27merge_sort_block_merge_implIS3_N6thrust23THRUST_200600_302600_NS6detail15normal_iteratorINS9_10device_ptrIlEEEEPS5_m14custom_greaterIlEEE10hipError_tT0_T1_T2_jT3_P12ihipStream_tbPNSt15iterator_traitsISJ_E10value_typeEPNSP_ISK_E10value_typeEPSL_NS1_7vsmem_tEENKUlT_SJ_SK_SL_E_clIPlSE_SF_SF_EESI_SY_SJ_SK_SL_EUlSY_E_NS1_11comp_targetILNS1_3genE8ELNS1_11target_archE1030ELNS1_3gpuE2ELNS1_3repE0EEENS1_48merge_mergepath_partition_config_static_selectorELNS0_4arch9wavefront6targetE1EEEvSK_
	.globl	_ZN7rocprim17ROCPRIM_400000_NS6detail17trampoline_kernelINS0_14default_configENS1_38merge_sort_block_merge_config_selectorIlNS0_10empty_typeEEEZZNS1_27merge_sort_block_merge_implIS3_N6thrust23THRUST_200600_302600_NS6detail15normal_iteratorINS9_10device_ptrIlEEEEPS5_m14custom_greaterIlEEE10hipError_tT0_T1_T2_jT3_P12ihipStream_tbPNSt15iterator_traitsISJ_E10value_typeEPNSP_ISK_E10value_typeEPSL_NS1_7vsmem_tEENKUlT_SJ_SK_SL_E_clIPlSE_SF_SF_EESI_SY_SJ_SK_SL_EUlSY_E_NS1_11comp_targetILNS1_3genE8ELNS1_11target_archE1030ELNS1_3gpuE2ELNS1_3repE0EEENS1_48merge_mergepath_partition_config_static_selectorELNS0_4arch9wavefront6targetE1EEEvSK_
	.p2align	8
	.type	_ZN7rocprim17ROCPRIM_400000_NS6detail17trampoline_kernelINS0_14default_configENS1_38merge_sort_block_merge_config_selectorIlNS0_10empty_typeEEEZZNS1_27merge_sort_block_merge_implIS3_N6thrust23THRUST_200600_302600_NS6detail15normal_iteratorINS9_10device_ptrIlEEEEPS5_m14custom_greaterIlEEE10hipError_tT0_T1_T2_jT3_P12ihipStream_tbPNSt15iterator_traitsISJ_E10value_typeEPNSP_ISK_E10value_typeEPSL_NS1_7vsmem_tEENKUlT_SJ_SK_SL_E_clIPlSE_SF_SF_EESI_SY_SJ_SK_SL_EUlSY_E_NS1_11comp_targetILNS1_3genE8ELNS1_11target_archE1030ELNS1_3gpuE2ELNS1_3repE0EEENS1_48merge_mergepath_partition_config_static_selectorELNS0_4arch9wavefront6targetE1EEEvSK_,@function
_ZN7rocprim17ROCPRIM_400000_NS6detail17trampoline_kernelINS0_14default_configENS1_38merge_sort_block_merge_config_selectorIlNS0_10empty_typeEEEZZNS1_27merge_sort_block_merge_implIS3_N6thrust23THRUST_200600_302600_NS6detail15normal_iteratorINS9_10device_ptrIlEEEEPS5_m14custom_greaterIlEEE10hipError_tT0_T1_T2_jT3_P12ihipStream_tbPNSt15iterator_traitsISJ_E10value_typeEPNSP_ISK_E10value_typeEPSL_NS1_7vsmem_tEENKUlT_SJ_SK_SL_E_clIPlSE_SF_SF_EESI_SY_SJ_SK_SL_EUlSY_E_NS1_11comp_targetILNS1_3genE8ELNS1_11target_archE1030ELNS1_3gpuE2ELNS1_3repE0EEENS1_48merge_mergepath_partition_config_static_selectorELNS0_4arch9wavefront6targetE1EEEvSK_: ; @_ZN7rocprim17ROCPRIM_400000_NS6detail17trampoline_kernelINS0_14default_configENS1_38merge_sort_block_merge_config_selectorIlNS0_10empty_typeEEEZZNS1_27merge_sort_block_merge_implIS3_N6thrust23THRUST_200600_302600_NS6detail15normal_iteratorINS9_10device_ptrIlEEEEPS5_m14custom_greaterIlEEE10hipError_tT0_T1_T2_jT3_P12ihipStream_tbPNSt15iterator_traitsISJ_E10value_typeEPNSP_ISK_E10value_typeEPSL_NS1_7vsmem_tEENKUlT_SJ_SK_SL_E_clIPlSE_SF_SF_EESI_SY_SJ_SK_SL_EUlSY_E_NS1_11comp_targetILNS1_3genE8ELNS1_11target_archE1030ELNS1_3gpuE2ELNS1_3repE0EEENS1_48merge_mergepath_partition_config_static_selectorELNS0_4arch9wavefront6targetE1EEEvSK_
; %bb.0:
	.section	.rodata,"a",@progbits
	.p2align	6, 0x0
	.amdhsa_kernel _ZN7rocprim17ROCPRIM_400000_NS6detail17trampoline_kernelINS0_14default_configENS1_38merge_sort_block_merge_config_selectorIlNS0_10empty_typeEEEZZNS1_27merge_sort_block_merge_implIS3_N6thrust23THRUST_200600_302600_NS6detail15normal_iteratorINS9_10device_ptrIlEEEEPS5_m14custom_greaterIlEEE10hipError_tT0_T1_T2_jT3_P12ihipStream_tbPNSt15iterator_traitsISJ_E10value_typeEPNSP_ISK_E10value_typeEPSL_NS1_7vsmem_tEENKUlT_SJ_SK_SL_E_clIPlSE_SF_SF_EESI_SY_SJ_SK_SL_EUlSY_E_NS1_11comp_targetILNS1_3genE8ELNS1_11target_archE1030ELNS1_3gpuE2ELNS1_3repE0EEENS1_48merge_mergepath_partition_config_static_selectorELNS0_4arch9wavefront6targetE1EEEvSK_
		.amdhsa_group_segment_fixed_size 0
		.amdhsa_private_segment_fixed_size 0
		.amdhsa_kernarg_size 48
		.amdhsa_user_sgpr_count 6
		.amdhsa_user_sgpr_private_segment_buffer 1
		.amdhsa_user_sgpr_dispatch_ptr 0
		.amdhsa_user_sgpr_queue_ptr 0
		.amdhsa_user_sgpr_kernarg_segment_ptr 1
		.amdhsa_user_sgpr_dispatch_id 0
		.amdhsa_user_sgpr_flat_scratch_init 0
		.amdhsa_user_sgpr_kernarg_preload_length 0
		.amdhsa_user_sgpr_kernarg_preload_offset 0
		.amdhsa_user_sgpr_private_segment_size 0
		.amdhsa_uses_dynamic_stack 0
		.amdhsa_system_sgpr_private_segment_wavefront_offset 0
		.amdhsa_system_sgpr_workgroup_id_x 1
		.amdhsa_system_sgpr_workgroup_id_y 0
		.amdhsa_system_sgpr_workgroup_id_z 0
		.amdhsa_system_sgpr_workgroup_info 0
		.amdhsa_system_vgpr_workitem_id 0
		.amdhsa_next_free_vgpr 1
		.amdhsa_next_free_sgpr 0
		.amdhsa_accum_offset 4
		.amdhsa_reserve_vcc 0
		.amdhsa_reserve_flat_scratch 0
		.amdhsa_float_round_mode_32 0
		.amdhsa_float_round_mode_16_64 0
		.amdhsa_float_denorm_mode_32 3
		.amdhsa_float_denorm_mode_16_64 3
		.amdhsa_dx10_clamp 1
		.amdhsa_ieee_mode 1
		.amdhsa_fp16_overflow 0
		.amdhsa_tg_split 0
		.amdhsa_exception_fp_ieee_invalid_op 0
		.amdhsa_exception_fp_denorm_src 0
		.amdhsa_exception_fp_ieee_div_zero 0
		.amdhsa_exception_fp_ieee_overflow 0
		.amdhsa_exception_fp_ieee_underflow 0
		.amdhsa_exception_fp_ieee_inexact 0
		.amdhsa_exception_int_div_zero 0
	.end_amdhsa_kernel
	.section	.text._ZN7rocprim17ROCPRIM_400000_NS6detail17trampoline_kernelINS0_14default_configENS1_38merge_sort_block_merge_config_selectorIlNS0_10empty_typeEEEZZNS1_27merge_sort_block_merge_implIS3_N6thrust23THRUST_200600_302600_NS6detail15normal_iteratorINS9_10device_ptrIlEEEEPS5_m14custom_greaterIlEEE10hipError_tT0_T1_T2_jT3_P12ihipStream_tbPNSt15iterator_traitsISJ_E10value_typeEPNSP_ISK_E10value_typeEPSL_NS1_7vsmem_tEENKUlT_SJ_SK_SL_E_clIPlSE_SF_SF_EESI_SY_SJ_SK_SL_EUlSY_E_NS1_11comp_targetILNS1_3genE8ELNS1_11target_archE1030ELNS1_3gpuE2ELNS1_3repE0EEENS1_48merge_mergepath_partition_config_static_selectorELNS0_4arch9wavefront6targetE1EEEvSK_,"axG",@progbits,_ZN7rocprim17ROCPRIM_400000_NS6detail17trampoline_kernelINS0_14default_configENS1_38merge_sort_block_merge_config_selectorIlNS0_10empty_typeEEEZZNS1_27merge_sort_block_merge_implIS3_N6thrust23THRUST_200600_302600_NS6detail15normal_iteratorINS9_10device_ptrIlEEEEPS5_m14custom_greaterIlEEE10hipError_tT0_T1_T2_jT3_P12ihipStream_tbPNSt15iterator_traitsISJ_E10value_typeEPNSP_ISK_E10value_typeEPSL_NS1_7vsmem_tEENKUlT_SJ_SK_SL_E_clIPlSE_SF_SF_EESI_SY_SJ_SK_SL_EUlSY_E_NS1_11comp_targetILNS1_3genE8ELNS1_11target_archE1030ELNS1_3gpuE2ELNS1_3repE0EEENS1_48merge_mergepath_partition_config_static_selectorELNS0_4arch9wavefront6targetE1EEEvSK_,comdat
.Lfunc_end3245:
	.size	_ZN7rocprim17ROCPRIM_400000_NS6detail17trampoline_kernelINS0_14default_configENS1_38merge_sort_block_merge_config_selectorIlNS0_10empty_typeEEEZZNS1_27merge_sort_block_merge_implIS3_N6thrust23THRUST_200600_302600_NS6detail15normal_iteratorINS9_10device_ptrIlEEEEPS5_m14custom_greaterIlEEE10hipError_tT0_T1_T2_jT3_P12ihipStream_tbPNSt15iterator_traitsISJ_E10value_typeEPNSP_ISK_E10value_typeEPSL_NS1_7vsmem_tEENKUlT_SJ_SK_SL_E_clIPlSE_SF_SF_EESI_SY_SJ_SK_SL_EUlSY_E_NS1_11comp_targetILNS1_3genE8ELNS1_11target_archE1030ELNS1_3gpuE2ELNS1_3repE0EEENS1_48merge_mergepath_partition_config_static_selectorELNS0_4arch9wavefront6targetE1EEEvSK_, .Lfunc_end3245-_ZN7rocprim17ROCPRIM_400000_NS6detail17trampoline_kernelINS0_14default_configENS1_38merge_sort_block_merge_config_selectorIlNS0_10empty_typeEEEZZNS1_27merge_sort_block_merge_implIS3_N6thrust23THRUST_200600_302600_NS6detail15normal_iteratorINS9_10device_ptrIlEEEEPS5_m14custom_greaterIlEEE10hipError_tT0_T1_T2_jT3_P12ihipStream_tbPNSt15iterator_traitsISJ_E10value_typeEPNSP_ISK_E10value_typeEPSL_NS1_7vsmem_tEENKUlT_SJ_SK_SL_E_clIPlSE_SF_SF_EESI_SY_SJ_SK_SL_EUlSY_E_NS1_11comp_targetILNS1_3genE8ELNS1_11target_archE1030ELNS1_3gpuE2ELNS1_3repE0EEENS1_48merge_mergepath_partition_config_static_selectorELNS0_4arch9wavefront6targetE1EEEvSK_
                                        ; -- End function
	.section	.AMDGPU.csdata,"",@progbits
; Kernel info:
; codeLenInByte = 0
; NumSgprs: 4
; NumVgprs: 0
; NumAgprs: 0
; TotalNumVgprs: 0
; ScratchSize: 0
; MemoryBound: 0
; FloatMode: 240
; IeeeMode: 1
; LDSByteSize: 0 bytes/workgroup (compile time only)
; SGPRBlocks: 0
; VGPRBlocks: 0
; NumSGPRsForWavesPerEU: 4
; NumVGPRsForWavesPerEU: 1
; AccumOffset: 4
; Occupancy: 8
; WaveLimiterHint : 0
; COMPUTE_PGM_RSRC2:SCRATCH_EN: 0
; COMPUTE_PGM_RSRC2:USER_SGPR: 6
; COMPUTE_PGM_RSRC2:TRAP_HANDLER: 0
; COMPUTE_PGM_RSRC2:TGID_X_EN: 1
; COMPUTE_PGM_RSRC2:TGID_Y_EN: 0
; COMPUTE_PGM_RSRC2:TGID_Z_EN: 0
; COMPUTE_PGM_RSRC2:TIDIG_COMP_CNT: 0
; COMPUTE_PGM_RSRC3_GFX90A:ACCUM_OFFSET: 0
; COMPUTE_PGM_RSRC3_GFX90A:TG_SPLIT: 0
	.section	.text._ZN7rocprim17ROCPRIM_400000_NS6detail17trampoline_kernelINS0_14default_configENS1_38merge_sort_block_merge_config_selectorIlNS0_10empty_typeEEEZZNS1_27merge_sort_block_merge_implIS3_N6thrust23THRUST_200600_302600_NS6detail15normal_iteratorINS9_10device_ptrIlEEEEPS5_m14custom_greaterIlEEE10hipError_tT0_T1_T2_jT3_P12ihipStream_tbPNSt15iterator_traitsISJ_E10value_typeEPNSP_ISK_E10value_typeEPSL_NS1_7vsmem_tEENKUlT_SJ_SK_SL_E_clIPlSE_SF_SF_EESI_SY_SJ_SK_SL_EUlSY_E0_NS1_11comp_targetILNS1_3genE0ELNS1_11target_archE4294967295ELNS1_3gpuE0ELNS1_3repE0EEENS1_38merge_mergepath_config_static_selectorELNS0_4arch9wavefront6targetE1EEEvSK_,"axG",@progbits,_ZN7rocprim17ROCPRIM_400000_NS6detail17trampoline_kernelINS0_14default_configENS1_38merge_sort_block_merge_config_selectorIlNS0_10empty_typeEEEZZNS1_27merge_sort_block_merge_implIS3_N6thrust23THRUST_200600_302600_NS6detail15normal_iteratorINS9_10device_ptrIlEEEEPS5_m14custom_greaterIlEEE10hipError_tT0_T1_T2_jT3_P12ihipStream_tbPNSt15iterator_traitsISJ_E10value_typeEPNSP_ISK_E10value_typeEPSL_NS1_7vsmem_tEENKUlT_SJ_SK_SL_E_clIPlSE_SF_SF_EESI_SY_SJ_SK_SL_EUlSY_E0_NS1_11comp_targetILNS1_3genE0ELNS1_11target_archE4294967295ELNS1_3gpuE0ELNS1_3repE0EEENS1_38merge_mergepath_config_static_selectorELNS0_4arch9wavefront6targetE1EEEvSK_,comdat
	.protected	_ZN7rocprim17ROCPRIM_400000_NS6detail17trampoline_kernelINS0_14default_configENS1_38merge_sort_block_merge_config_selectorIlNS0_10empty_typeEEEZZNS1_27merge_sort_block_merge_implIS3_N6thrust23THRUST_200600_302600_NS6detail15normal_iteratorINS9_10device_ptrIlEEEEPS5_m14custom_greaterIlEEE10hipError_tT0_T1_T2_jT3_P12ihipStream_tbPNSt15iterator_traitsISJ_E10value_typeEPNSP_ISK_E10value_typeEPSL_NS1_7vsmem_tEENKUlT_SJ_SK_SL_E_clIPlSE_SF_SF_EESI_SY_SJ_SK_SL_EUlSY_E0_NS1_11comp_targetILNS1_3genE0ELNS1_11target_archE4294967295ELNS1_3gpuE0ELNS1_3repE0EEENS1_38merge_mergepath_config_static_selectorELNS0_4arch9wavefront6targetE1EEEvSK_ ; -- Begin function _ZN7rocprim17ROCPRIM_400000_NS6detail17trampoline_kernelINS0_14default_configENS1_38merge_sort_block_merge_config_selectorIlNS0_10empty_typeEEEZZNS1_27merge_sort_block_merge_implIS3_N6thrust23THRUST_200600_302600_NS6detail15normal_iteratorINS9_10device_ptrIlEEEEPS5_m14custom_greaterIlEEE10hipError_tT0_T1_T2_jT3_P12ihipStream_tbPNSt15iterator_traitsISJ_E10value_typeEPNSP_ISK_E10value_typeEPSL_NS1_7vsmem_tEENKUlT_SJ_SK_SL_E_clIPlSE_SF_SF_EESI_SY_SJ_SK_SL_EUlSY_E0_NS1_11comp_targetILNS1_3genE0ELNS1_11target_archE4294967295ELNS1_3gpuE0ELNS1_3repE0EEENS1_38merge_mergepath_config_static_selectorELNS0_4arch9wavefront6targetE1EEEvSK_
	.globl	_ZN7rocprim17ROCPRIM_400000_NS6detail17trampoline_kernelINS0_14default_configENS1_38merge_sort_block_merge_config_selectorIlNS0_10empty_typeEEEZZNS1_27merge_sort_block_merge_implIS3_N6thrust23THRUST_200600_302600_NS6detail15normal_iteratorINS9_10device_ptrIlEEEEPS5_m14custom_greaterIlEEE10hipError_tT0_T1_T2_jT3_P12ihipStream_tbPNSt15iterator_traitsISJ_E10value_typeEPNSP_ISK_E10value_typeEPSL_NS1_7vsmem_tEENKUlT_SJ_SK_SL_E_clIPlSE_SF_SF_EESI_SY_SJ_SK_SL_EUlSY_E0_NS1_11comp_targetILNS1_3genE0ELNS1_11target_archE4294967295ELNS1_3gpuE0ELNS1_3repE0EEENS1_38merge_mergepath_config_static_selectorELNS0_4arch9wavefront6targetE1EEEvSK_
	.p2align	8
	.type	_ZN7rocprim17ROCPRIM_400000_NS6detail17trampoline_kernelINS0_14default_configENS1_38merge_sort_block_merge_config_selectorIlNS0_10empty_typeEEEZZNS1_27merge_sort_block_merge_implIS3_N6thrust23THRUST_200600_302600_NS6detail15normal_iteratorINS9_10device_ptrIlEEEEPS5_m14custom_greaterIlEEE10hipError_tT0_T1_T2_jT3_P12ihipStream_tbPNSt15iterator_traitsISJ_E10value_typeEPNSP_ISK_E10value_typeEPSL_NS1_7vsmem_tEENKUlT_SJ_SK_SL_E_clIPlSE_SF_SF_EESI_SY_SJ_SK_SL_EUlSY_E0_NS1_11comp_targetILNS1_3genE0ELNS1_11target_archE4294967295ELNS1_3gpuE0ELNS1_3repE0EEENS1_38merge_mergepath_config_static_selectorELNS0_4arch9wavefront6targetE1EEEvSK_,@function
_ZN7rocprim17ROCPRIM_400000_NS6detail17trampoline_kernelINS0_14default_configENS1_38merge_sort_block_merge_config_selectorIlNS0_10empty_typeEEEZZNS1_27merge_sort_block_merge_implIS3_N6thrust23THRUST_200600_302600_NS6detail15normal_iteratorINS9_10device_ptrIlEEEEPS5_m14custom_greaterIlEEE10hipError_tT0_T1_T2_jT3_P12ihipStream_tbPNSt15iterator_traitsISJ_E10value_typeEPNSP_ISK_E10value_typeEPSL_NS1_7vsmem_tEENKUlT_SJ_SK_SL_E_clIPlSE_SF_SF_EESI_SY_SJ_SK_SL_EUlSY_E0_NS1_11comp_targetILNS1_3genE0ELNS1_11target_archE4294967295ELNS1_3gpuE0ELNS1_3repE0EEENS1_38merge_mergepath_config_static_selectorELNS0_4arch9wavefront6targetE1EEEvSK_: ; @_ZN7rocprim17ROCPRIM_400000_NS6detail17trampoline_kernelINS0_14default_configENS1_38merge_sort_block_merge_config_selectorIlNS0_10empty_typeEEEZZNS1_27merge_sort_block_merge_implIS3_N6thrust23THRUST_200600_302600_NS6detail15normal_iteratorINS9_10device_ptrIlEEEEPS5_m14custom_greaterIlEEE10hipError_tT0_T1_T2_jT3_P12ihipStream_tbPNSt15iterator_traitsISJ_E10value_typeEPNSP_ISK_E10value_typeEPSL_NS1_7vsmem_tEENKUlT_SJ_SK_SL_E_clIPlSE_SF_SF_EESI_SY_SJ_SK_SL_EUlSY_E0_NS1_11comp_targetILNS1_3genE0ELNS1_11target_archE4294967295ELNS1_3gpuE0ELNS1_3repE0EEENS1_38merge_mergepath_config_static_selectorELNS0_4arch9wavefront6targetE1EEEvSK_
; %bb.0:
	.section	.rodata,"a",@progbits
	.p2align	6, 0x0
	.amdhsa_kernel _ZN7rocprim17ROCPRIM_400000_NS6detail17trampoline_kernelINS0_14default_configENS1_38merge_sort_block_merge_config_selectorIlNS0_10empty_typeEEEZZNS1_27merge_sort_block_merge_implIS3_N6thrust23THRUST_200600_302600_NS6detail15normal_iteratorINS9_10device_ptrIlEEEEPS5_m14custom_greaterIlEEE10hipError_tT0_T1_T2_jT3_P12ihipStream_tbPNSt15iterator_traitsISJ_E10value_typeEPNSP_ISK_E10value_typeEPSL_NS1_7vsmem_tEENKUlT_SJ_SK_SL_E_clIPlSE_SF_SF_EESI_SY_SJ_SK_SL_EUlSY_E0_NS1_11comp_targetILNS1_3genE0ELNS1_11target_archE4294967295ELNS1_3gpuE0ELNS1_3repE0EEENS1_38merge_mergepath_config_static_selectorELNS0_4arch9wavefront6targetE1EEEvSK_
		.amdhsa_group_segment_fixed_size 0
		.amdhsa_private_segment_fixed_size 0
		.amdhsa_kernarg_size 72
		.amdhsa_user_sgpr_count 6
		.amdhsa_user_sgpr_private_segment_buffer 1
		.amdhsa_user_sgpr_dispatch_ptr 0
		.amdhsa_user_sgpr_queue_ptr 0
		.amdhsa_user_sgpr_kernarg_segment_ptr 1
		.amdhsa_user_sgpr_dispatch_id 0
		.amdhsa_user_sgpr_flat_scratch_init 0
		.amdhsa_user_sgpr_kernarg_preload_length 0
		.amdhsa_user_sgpr_kernarg_preload_offset 0
		.amdhsa_user_sgpr_private_segment_size 0
		.amdhsa_uses_dynamic_stack 0
		.amdhsa_system_sgpr_private_segment_wavefront_offset 0
		.amdhsa_system_sgpr_workgroup_id_x 1
		.amdhsa_system_sgpr_workgroup_id_y 0
		.amdhsa_system_sgpr_workgroup_id_z 0
		.amdhsa_system_sgpr_workgroup_info 0
		.amdhsa_system_vgpr_workitem_id 0
		.amdhsa_next_free_vgpr 1
		.amdhsa_next_free_sgpr 0
		.amdhsa_accum_offset 4
		.amdhsa_reserve_vcc 0
		.amdhsa_reserve_flat_scratch 0
		.amdhsa_float_round_mode_32 0
		.amdhsa_float_round_mode_16_64 0
		.amdhsa_float_denorm_mode_32 3
		.amdhsa_float_denorm_mode_16_64 3
		.amdhsa_dx10_clamp 1
		.amdhsa_ieee_mode 1
		.amdhsa_fp16_overflow 0
		.amdhsa_tg_split 0
		.amdhsa_exception_fp_ieee_invalid_op 0
		.amdhsa_exception_fp_denorm_src 0
		.amdhsa_exception_fp_ieee_div_zero 0
		.amdhsa_exception_fp_ieee_overflow 0
		.amdhsa_exception_fp_ieee_underflow 0
		.amdhsa_exception_fp_ieee_inexact 0
		.amdhsa_exception_int_div_zero 0
	.end_amdhsa_kernel
	.section	.text._ZN7rocprim17ROCPRIM_400000_NS6detail17trampoline_kernelINS0_14default_configENS1_38merge_sort_block_merge_config_selectorIlNS0_10empty_typeEEEZZNS1_27merge_sort_block_merge_implIS3_N6thrust23THRUST_200600_302600_NS6detail15normal_iteratorINS9_10device_ptrIlEEEEPS5_m14custom_greaterIlEEE10hipError_tT0_T1_T2_jT3_P12ihipStream_tbPNSt15iterator_traitsISJ_E10value_typeEPNSP_ISK_E10value_typeEPSL_NS1_7vsmem_tEENKUlT_SJ_SK_SL_E_clIPlSE_SF_SF_EESI_SY_SJ_SK_SL_EUlSY_E0_NS1_11comp_targetILNS1_3genE0ELNS1_11target_archE4294967295ELNS1_3gpuE0ELNS1_3repE0EEENS1_38merge_mergepath_config_static_selectorELNS0_4arch9wavefront6targetE1EEEvSK_,"axG",@progbits,_ZN7rocprim17ROCPRIM_400000_NS6detail17trampoline_kernelINS0_14default_configENS1_38merge_sort_block_merge_config_selectorIlNS0_10empty_typeEEEZZNS1_27merge_sort_block_merge_implIS3_N6thrust23THRUST_200600_302600_NS6detail15normal_iteratorINS9_10device_ptrIlEEEEPS5_m14custom_greaterIlEEE10hipError_tT0_T1_T2_jT3_P12ihipStream_tbPNSt15iterator_traitsISJ_E10value_typeEPNSP_ISK_E10value_typeEPSL_NS1_7vsmem_tEENKUlT_SJ_SK_SL_E_clIPlSE_SF_SF_EESI_SY_SJ_SK_SL_EUlSY_E0_NS1_11comp_targetILNS1_3genE0ELNS1_11target_archE4294967295ELNS1_3gpuE0ELNS1_3repE0EEENS1_38merge_mergepath_config_static_selectorELNS0_4arch9wavefront6targetE1EEEvSK_,comdat
.Lfunc_end3246:
	.size	_ZN7rocprim17ROCPRIM_400000_NS6detail17trampoline_kernelINS0_14default_configENS1_38merge_sort_block_merge_config_selectorIlNS0_10empty_typeEEEZZNS1_27merge_sort_block_merge_implIS3_N6thrust23THRUST_200600_302600_NS6detail15normal_iteratorINS9_10device_ptrIlEEEEPS5_m14custom_greaterIlEEE10hipError_tT0_T1_T2_jT3_P12ihipStream_tbPNSt15iterator_traitsISJ_E10value_typeEPNSP_ISK_E10value_typeEPSL_NS1_7vsmem_tEENKUlT_SJ_SK_SL_E_clIPlSE_SF_SF_EESI_SY_SJ_SK_SL_EUlSY_E0_NS1_11comp_targetILNS1_3genE0ELNS1_11target_archE4294967295ELNS1_3gpuE0ELNS1_3repE0EEENS1_38merge_mergepath_config_static_selectorELNS0_4arch9wavefront6targetE1EEEvSK_, .Lfunc_end3246-_ZN7rocprim17ROCPRIM_400000_NS6detail17trampoline_kernelINS0_14default_configENS1_38merge_sort_block_merge_config_selectorIlNS0_10empty_typeEEEZZNS1_27merge_sort_block_merge_implIS3_N6thrust23THRUST_200600_302600_NS6detail15normal_iteratorINS9_10device_ptrIlEEEEPS5_m14custom_greaterIlEEE10hipError_tT0_T1_T2_jT3_P12ihipStream_tbPNSt15iterator_traitsISJ_E10value_typeEPNSP_ISK_E10value_typeEPSL_NS1_7vsmem_tEENKUlT_SJ_SK_SL_E_clIPlSE_SF_SF_EESI_SY_SJ_SK_SL_EUlSY_E0_NS1_11comp_targetILNS1_3genE0ELNS1_11target_archE4294967295ELNS1_3gpuE0ELNS1_3repE0EEENS1_38merge_mergepath_config_static_selectorELNS0_4arch9wavefront6targetE1EEEvSK_
                                        ; -- End function
	.section	.AMDGPU.csdata,"",@progbits
; Kernel info:
; codeLenInByte = 0
; NumSgprs: 4
; NumVgprs: 0
; NumAgprs: 0
; TotalNumVgprs: 0
; ScratchSize: 0
; MemoryBound: 0
; FloatMode: 240
; IeeeMode: 1
; LDSByteSize: 0 bytes/workgroup (compile time only)
; SGPRBlocks: 0
; VGPRBlocks: 0
; NumSGPRsForWavesPerEU: 4
; NumVGPRsForWavesPerEU: 1
; AccumOffset: 4
; Occupancy: 8
; WaveLimiterHint : 0
; COMPUTE_PGM_RSRC2:SCRATCH_EN: 0
; COMPUTE_PGM_RSRC2:USER_SGPR: 6
; COMPUTE_PGM_RSRC2:TRAP_HANDLER: 0
; COMPUTE_PGM_RSRC2:TGID_X_EN: 1
; COMPUTE_PGM_RSRC2:TGID_Y_EN: 0
; COMPUTE_PGM_RSRC2:TGID_Z_EN: 0
; COMPUTE_PGM_RSRC2:TIDIG_COMP_CNT: 0
; COMPUTE_PGM_RSRC3_GFX90A:ACCUM_OFFSET: 0
; COMPUTE_PGM_RSRC3_GFX90A:TG_SPLIT: 0
	.section	.text._ZN7rocprim17ROCPRIM_400000_NS6detail17trampoline_kernelINS0_14default_configENS1_38merge_sort_block_merge_config_selectorIlNS0_10empty_typeEEEZZNS1_27merge_sort_block_merge_implIS3_N6thrust23THRUST_200600_302600_NS6detail15normal_iteratorINS9_10device_ptrIlEEEEPS5_m14custom_greaterIlEEE10hipError_tT0_T1_T2_jT3_P12ihipStream_tbPNSt15iterator_traitsISJ_E10value_typeEPNSP_ISK_E10value_typeEPSL_NS1_7vsmem_tEENKUlT_SJ_SK_SL_E_clIPlSE_SF_SF_EESI_SY_SJ_SK_SL_EUlSY_E0_NS1_11comp_targetILNS1_3genE10ELNS1_11target_archE1201ELNS1_3gpuE5ELNS1_3repE0EEENS1_38merge_mergepath_config_static_selectorELNS0_4arch9wavefront6targetE1EEEvSK_,"axG",@progbits,_ZN7rocprim17ROCPRIM_400000_NS6detail17trampoline_kernelINS0_14default_configENS1_38merge_sort_block_merge_config_selectorIlNS0_10empty_typeEEEZZNS1_27merge_sort_block_merge_implIS3_N6thrust23THRUST_200600_302600_NS6detail15normal_iteratorINS9_10device_ptrIlEEEEPS5_m14custom_greaterIlEEE10hipError_tT0_T1_T2_jT3_P12ihipStream_tbPNSt15iterator_traitsISJ_E10value_typeEPNSP_ISK_E10value_typeEPSL_NS1_7vsmem_tEENKUlT_SJ_SK_SL_E_clIPlSE_SF_SF_EESI_SY_SJ_SK_SL_EUlSY_E0_NS1_11comp_targetILNS1_3genE10ELNS1_11target_archE1201ELNS1_3gpuE5ELNS1_3repE0EEENS1_38merge_mergepath_config_static_selectorELNS0_4arch9wavefront6targetE1EEEvSK_,comdat
	.protected	_ZN7rocprim17ROCPRIM_400000_NS6detail17trampoline_kernelINS0_14default_configENS1_38merge_sort_block_merge_config_selectorIlNS0_10empty_typeEEEZZNS1_27merge_sort_block_merge_implIS3_N6thrust23THRUST_200600_302600_NS6detail15normal_iteratorINS9_10device_ptrIlEEEEPS5_m14custom_greaterIlEEE10hipError_tT0_T1_T2_jT3_P12ihipStream_tbPNSt15iterator_traitsISJ_E10value_typeEPNSP_ISK_E10value_typeEPSL_NS1_7vsmem_tEENKUlT_SJ_SK_SL_E_clIPlSE_SF_SF_EESI_SY_SJ_SK_SL_EUlSY_E0_NS1_11comp_targetILNS1_3genE10ELNS1_11target_archE1201ELNS1_3gpuE5ELNS1_3repE0EEENS1_38merge_mergepath_config_static_selectorELNS0_4arch9wavefront6targetE1EEEvSK_ ; -- Begin function _ZN7rocprim17ROCPRIM_400000_NS6detail17trampoline_kernelINS0_14default_configENS1_38merge_sort_block_merge_config_selectorIlNS0_10empty_typeEEEZZNS1_27merge_sort_block_merge_implIS3_N6thrust23THRUST_200600_302600_NS6detail15normal_iteratorINS9_10device_ptrIlEEEEPS5_m14custom_greaterIlEEE10hipError_tT0_T1_T2_jT3_P12ihipStream_tbPNSt15iterator_traitsISJ_E10value_typeEPNSP_ISK_E10value_typeEPSL_NS1_7vsmem_tEENKUlT_SJ_SK_SL_E_clIPlSE_SF_SF_EESI_SY_SJ_SK_SL_EUlSY_E0_NS1_11comp_targetILNS1_3genE10ELNS1_11target_archE1201ELNS1_3gpuE5ELNS1_3repE0EEENS1_38merge_mergepath_config_static_selectorELNS0_4arch9wavefront6targetE1EEEvSK_
	.globl	_ZN7rocprim17ROCPRIM_400000_NS6detail17trampoline_kernelINS0_14default_configENS1_38merge_sort_block_merge_config_selectorIlNS0_10empty_typeEEEZZNS1_27merge_sort_block_merge_implIS3_N6thrust23THRUST_200600_302600_NS6detail15normal_iteratorINS9_10device_ptrIlEEEEPS5_m14custom_greaterIlEEE10hipError_tT0_T1_T2_jT3_P12ihipStream_tbPNSt15iterator_traitsISJ_E10value_typeEPNSP_ISK_E10value_typeEPSL_NS1_7vsmem_tEENKUlT_SJ_SK_SL_E_clIPlSE_SF_SF_EESI_SY_SJ_SK_SL_EUlSY_E0_NS1_11comp_targetILNS1_3genE10ELNS1_11target_archE1201ELNS1_3gpuE5ELNS1_3repE0EEENS1_38merge_mergepath_config_static_selectorELNS0_4arch9wavefront6targetE1EEEvSK_
	.p2align	8
	.type	_ZN7rocprim17ROCPRIM_400000_NS6detail17trampoline_kernelINS0_14default_configENS1_38merge_sort_block_merge_config_selectorIlNS0_10empty_typeEEEZZNS1_27merge_sort_block_merge_implIS3_N6thrust23THRUST_200600_302600_NS6detail15normal_iteratorINS9_10device_ptrIlEEEEPS5_m14custom_greaterIlEEE10hipError_tT0_T1_T2_jT3_P12ihipStream_tbPNSt15iterator_traitsISJ_E10value_typeEPNSP_ISK_E10value_typeEPSL_NS1_7vsmem_tEENKUlT_SJ_SK_SL_E_clIPlSE_SF_SF_EESI_SY_SJ_SK_SL_EUlSY_E0_NS1_11comp_targetILNS1_3genE10ELNS1_11target_archE1201ELNS1_3gpuE5ELNS1_3repE0EEENS1_38merge_mergepath_config_static_selectorELNS0_4arch9wavefront6targetE1EEEvSK_,@function
_ZN7rocprim17ROCPRIM_400000_NS6detail17trampoline_kernelINS0_14default_configENS1_38merge_sort_block_merge_config_selectorIlNS0_10empty_typeEEEZZNS1_27merge_sort_block_merge_implIS3_N6thrust23THRUST_200600_302600_NS6detail15normal_iteratorINS9_10device_ptrIlEEEEPS5_m14custom_greaterIlEEE10hipError_tT0_T1_T2_jT3_P12ihipStream_tbPNSt15iterator_traitsISJ_E10value_typeEPNSP_ISK_E10value_typeEPSL_NS1_7vsmem_tEENKUlT_SJ_SK_SL_E_clIPlSE_SF_SF_EESI_SY_SJ_SK_SL_EUlSY_E0_NS1_11comp_targetILNS1_3genE10ELNS1_11target_archE1201ELNS1_3gpuE5ELNS1_3repE0EEENS1_38merge_mergepath_config_static_selectorELNS0_4arch9wavefront6targetE1EEEvSK_: ; @_ZN7rocprim17ROCPRIM_400000_NS6detail17trampoline_kernelINS0_14default_configENS1_38merge_sort_block_merge_config_selectorIlNS0_10empty_typeEEEZZNS1_27merge_sort_block_merge_implIS3_N6thrust23THRUST_200600_302600_NS6detail15normal_iteratorINS9_10device_ptrIlEEEEPS5_m14custom_greaterIlEEE10hipError_tT0_T1_T2_jT3_P12ihipStream_tbPNSt15iterator_traitsISJ_E10value_typeEPNSP_ISK_E10value_typeEPSL_NS1_7vsmem_tEENKUlT_SJ_SK_SL_E_clIPlSE_SF_SF_EESI_SY_SJ_SK_SL_EUlSY_E0_NS1_11comp_targetILNS1_3genE10ELNS1_11target_archE1201ELNS1_3gpuE5ELNS1_3repE0EEENS1_38merge_mergepath_config_static_selectorELNS0_4arch9wavefront6targetE1EEEvSK_
; %bb.0:
	.section	.rodata,"a",@progbits
	.p2align	6, 0x0
	.amdhsa_kernel _ZN7rocprim17ROCPRIM_400000_NS6detail17trampoline_kernelINS0_14default_configENS1_38merge_sort_block_merge_config_selectorIlNS0_10empty_typeEEEZZNS1_27merge_sort_block_merge_implIS3_N6thrust23THRUST_200600_302600_NS6detail15normal_iteratorINS9_10device_ptrIlEEEEPS5_m14custom_greaterIlEEE10hipError_tT0_T1_T2_jT3_P12ihipStream_tbPNSt15iterator_traitsISJ_E10value_typeEPNSP_ISK_E10value_typeEPSL_NS1_7vsmem_tEENKUlT_SJ_SK_SL_E_clIPlSE_SF_SF_EESI_SY_SJ_SK_SL_EUlSY_E0_NS1_11comp_targetILNS1_3genE10ELNS1_11target_archE1201ELNS1_3gpuE5ELNS1_3repE0EEENS1_38merge_mergepath_config_static_selectorELNS0_4arch9wavefront6targetE1EEEvSK_
		.amdhsa_group_segment_fixed_size 0
		.amdhsa_private_segment_fixed_size 0
		.amdhsa_kernarg_size 72
		.amdhsa_user_sgpr_count 6
		.amdhsa_user_sgpr_private_segment_buffer 1
		.amdhsa_user_sgpr_dispatch_ptr 0
		.amdhsa_user_sgpr_queue_ptr 0
		.amdhsa_user_sgpr_kernarg_segment_ptr 1
		.amdhsa_user_sgpr_dispatch_id 0
		.amdhsa_user_sgpr_flat_scratch_init 0
		.amdhsa_user_sgpr_kernarg_preload_length 0
		.amdhsa_user_sgpr_kernarg_preload_offset 0
		.amdhsa_user_sgpr_private_segment_size 0
		.amdhsa_uses_dynamic_stack 0
		.amdhsa_system_sgpr_private_segment_wavefront_offset 0
		.amdhsa_system_sgpr_workgroup_id_x 1
		.amdhsa_system_sgpr_workgroup_id_y 0
		.amdhsa_system_sgpr_workgroup_id_z 0
		.amdhsa_system_sgpr_workgroup_info 0
		.amdhsa_system_vgpr_workitem_id 0
		.amdhsa_next_free_vgpr 1
		.amdhsa_next_free_sgpr 0
		.amdhsa_accum_offset 4
		.amdhsa_reserve_vcc 0
		.amdhsa_reserve_flat_scratch 0
		.amdhsa_float_round_mode_32 0
		.amdhsa_float_round_mode_16_64 0
		.amdhsa_float_denorm_mode_32 3
		.amdhsa_float_denorm_mode_16_64 3
		.amdhsa_dx10_clamp 1
		.amdhsa_ieee_mode 1
		.amdhsa_fp16_overflow 0
		.amdhsa_tg_split 0
		.amdhsa_exception_fp_ieee_invalid_op 0
		.amdhsa_exception_fp_denorm_src 0
		.amdhsa_exception_fp_ieee_div_zero 0
		.amdhsa_exception_fp_ieee_overflow 0
		.amdhsa_exception_fp_ieee_underflow 0
		.amdhsa_exception_fp_ieee_inexact 0
		.amdhsa_exception_int_div_zero 0
	.end_amdhsa_kernel
	.section	.text._ZN7rocprim17ROCPRIM_400000_NS6detail17trampoline_kernelINS0_14default_configENS1_38merge_sort_block_merge_config_selectorIlNS0_10empty_typeEEEZZNS1_27merge_sort_block_merge_implIS3_N6thrust23THRUST_200600_302600_NS6detail15normal_iteratorINS9_10device_ptrIlEEEEPS5_m14custom_greaterIlEEE10hipError_tT0_T1_T2_jT3_P12ihipStream_tbPNSt15iterator_traitsISJ_E10value_typeEPNSP_ISK_E10value_typeEPSL_NS1_7vsmem_tEENKUlT_SJ_SK_SL_E_clIPlSE_SF_SF_EESI_SY_SJ_SK_SL_EUlSY_E0_NS1_11comp_targetILNS1_3genE10ELNS1_11target_archE1201ELNS1_3gpuE5ELNS1_3repE0EEENS1_38merge_mergepath_config_static_selectorELNS0_4arch9wavefront6targetE1EEEvSK_,"axG",@progbits,_ZN7rocprim17ROCPRIM_400000_NS6detail17trampoline_kernelINS0_14default_configENS1_38merge_sort_block_merge_config_selectorIlNS0_10empty_typeEEEZZNS1_27merge_sort_block_merge_implIS3_N6thrust23THRUST_200600_302600_NS6detail15normal_iteratorINS9_10device_ptrIlEEEEPS5_m14custom_greaterIlEEE10hipError_tT0_T1_T2_jT3_P12ihipStream_tbPNSt15iterator_traitsISJ_E10value_typeEPNSP_ISK_E10value_typeEPSL_NS1_7vsmem_tEENKUlT_SJ_SK_SL_E_clIPlSE_SF_SF_EESI_SY_SJ_SK_SL_EUlSY_E0_NS1_11comp_targetILNS1_3genE10ELNS1_11target_archE1201ELNS1_3gpuE5ELNS1_3repE0EEENS1_38merge_mergepath_config_static_selectorELNS0_4arch9wavefront6targetE1EEEvSK_,comdat
.Lfunc_end3247:
	.size	_ZN7rocprim17ROCPRIM_400000_NS6detail17trampoline_kernelINS0_14default_configENS1_38merge_sort_block_merge_config_selectorIlNS0_10empty_typeEEEZZNS1_27merge_sort_block_merge_implIS3_N6thrust23THRUST_200600_302600_NS6detail15normal_iteratorINS9_10device_ptrIlEEEEPS5_m14custom_greaterIlEEE10hipError_tT0_T1_T2_jT3_P12ihipStream_tbPNSt15iterator_traitsISJ_E10value_typeEPNSP_ISK_E10value_typeEPSL_NS1_7vsmem_tEENKUlT_SJ_SK_SL_E_clIPlSE_SF_SF_EESI_SY_SJ_SK_SL_EUlSY_E0_NS1_11comp_targetILNS1_3genE10ELNS1_11target_archE1201ELNS1_3gpuE5ELNS1_3repE0EEENS1_38merge_mergepath_config_static_selectorELNS0_4arch9wavefront6targetE1EEEvSK_, .Lfunc_end3247-_ZN7rocprim17ROCPRIM_400000_NS6detail17trampoline_kernelINS0_14default_configENS1_38merge_sort_block_merge_config_selectorIlNS0_10empty_typeEEEZZNS1_27merge_sort_block_merge_implIS3_N6thrust23THRUST_200600_302600_NS6detail15normal_iteratorINS9_10device_ptrIlEEEEPS5_m14custom_greaterIlEEE10hipError_tT0_T1_T2_jT3_P12ihipStream_tbPNSt15iterator_traitsISJ_E10value_typeEPNSP_ISK_E10value_typeEPSL_NS1_7vsmem_tEENKUlT_SJ_SK_SL_E_clIPlSE_SF_SF_EESI_SY_SJ_SK_SL_EUlSY_E0_NS1_11comp_targetILNS1_3genE10ELNS1_11target_archE1201ELNS1_3gpuE5ELNS1_3repE0EEENS1_38merge_mergepath_config_static_selectorELNS0_4arch9wavefront6targetE1EEEvSK_
                                        ; -- End function
	.section	.AMDGPU.csdata,"",@progbits
; Kernel info:
; codeLenInByte = 0
; NumSgprs: 4
; NumVgprs: 0
; NumAgprs: 0
; TotalNumVgprs: 0
; ScratchSize: 0
; MemoryBound: 0
; FloatMode: 240
; IeeeMode: 1
; LDSByteSize: 0 bytes/workgroup (compile time only)
; SGPRBlocks: 0
; VGPRBlocks: 0
; NumSGPRsForWavesPerEU: 4
; NumVGPRsForWavesPerEU: 1
; AccumOffset: 4
; Occupancy: 8
; WaveLimiterHint : 0
; COMPUTE_PGM_RSRC2:SCRATCH_EN: 0
; COMPUTE_PGM_RSRC2:USER_SGPR: 6
; COMPUTE_PGM_RSRC2:TRAP_HANDLER: 0
; COMPUTE_PGM_RSRC2:TGID_X_EN: 1
; COMPUTE_PGM_RSRC2:TGID_Y_EN: 0
; COMPUTE_PGM_RSRC2:TGID_Z_EN: 0
; COMPUTE_PGM_RSRC2:TIDIG_COMP_CNT: 0
; COMPUTE_PGM_RSRC3_GFX90A:ACCUM_OFFSET: 0
; COMPUTE_PGM_RSRC3_GFX90A:TG_SPLIT: 0
	.section	.text._ZN7rocprim17ROCPRIM_400000_NS6detail17trampoline_kernelINS0_14default_configENS1_38merge_sort_block_merge_config_selectorIlNS0_10empty_typeEEEZZNS1_27merge_sort_block_merge_implIS3_N6thrust23THRUST_200600_302600_NS6detail15normal_iteratorINS9_10device_ptrIlEEEEPS5_m14custom_greaterIlEEE10hipError_tT0_T1_T2_jT3_P12ihipStream_tbPNSt15iterator_traitsISJ_E10value_typeEPNSP_ISK_E10value_typeEPSL_NS1_7vsmem_tEENKUlT_SJ_SK_SL_E_clIPlSE_SF_SF_EESI_SY_SJ_SK_SL_EUlSY_E0_NS1_11comp_targetILNS1_3genE5ELNS1_11target_archE942ELNS1_3gpuE9ELNS1_3repE0EEENS1_38merge_mergepath_config_static_selectorELNS0_4arch9wavefront6targetE1EEEvSK_,"axG",@progbits,_ZN7rocprim17ROCPRIM_400000_NS6detail17trampoline_kernelINS0_14default_configENS1_38merge_sort_block_merge_config_selectorIlNS0_10empty_typeEEEZZNS1_27merge_sort_block_merge_implIS3_N6thrust23THRUST_200600_302600_NS6detail15normal_iteratorINS9_10device_ptrIlEEEEPS5_m14custom_greaterIlEEE10hipError_tT0_T1_T2_jT3_P12ihipStream_tbPNSt15iterator_traitsISJ_E10value_typeEPNSP_ISK_E10value_typeEPSL_NS1_7vsmem_tEENKUlT_SJ_SK_SL_E_clIPlSE_SF_SF_EESI_SY_SJ_SK_SL_EUlSY_E0_NS1_11comp_targetILNS1_3genE5ELNS1_11target_archE942ELNS1_3gpuE9ELNS1_3repE0EEENS1_38merge_mergepath_config_static_selectorELNS0_4arch9wavefront6targetE1EEEvSK_,comdat
	.protected	_ZN7rocprim17ROCPRIM_400000_NS6detail17trampoline_kernelINS0_14default_configENS1_38merge_sort_block_merge_config_selectorIlNS0_10empty_typeEEEZZNS1_27merge_sort_block_merge_implIS3_N6thrust23THRUST_200600_302600_NS6detail15normal_iteratorINS9_10device_ptrIlEEEEPS5_m14custom_greaterIlEEE10hipError_tT0_T1_T2_jT3_P12ihipStream_tbPNSt15iterator_traitsISJ_E10value_typeEPNSP_ISK_E10value_typeEPSL_NS1_7vsmem_tEENKUlT_SJ_SK_SL_E_clIPlSE_SF_SF_EESI_SY_SJ_SK_SL_EUlSY_E0_NS1_11comp_targetILNS1_3genE5ELNS1_11target_archE942ELNS1_3gpuE9ELNS1_3repE0EEENS1_38merge_mergepath_config_static_selectorELNS0_4arch9wavefront6targetE1EEEvSK_ ; -- Begin function _ZN7rocprim17ROCPRIM_400000_NS6detail17trampoline_kernelINS0_14default_configENS1_38merge_sort_block_merge_config_selectorIlNS0_10empty_typeEEEZZNS1_27merge_sort_block_merge_implIS3_N6thrust23THRUST_200600_302600_NS6detail15normal_iteratorINS9_10device_ptrIlEEEEPS5_m14custom_greaterIlEEE10hipError_tT0_T1_T2_jT3_P12ihipStream_tbPNSt15iterator_traitsISJ_E10value_typeEPNSP_ISK_E10value_typeEPSL_NS1_7vsmem_tEENKUlT_SJ_SK_SL_E_clIPlSE_SF_SF_EESI_SY_SJ_SK_SL_EUlSY_E0_NS1_11comp_targetILNS1_3genE5ELNS1_11target_archE942ELNS1_3gpuE9ELNS1_3repE0EEENS1_38merge_mergepath_config_static_selectorELNS0_4arch9wavefront6targetE1EEEvSK_
	.globl	_ZN7rocprim17ROCPRIM_400000_NS6detail17trampoline_kernelINS0_14default_configENS1_38merge_sort_block_merge_config_selectorIlNS0_10empty_typeEEEZZNS1_27merge_sort_block_merge_implIS3_N6thrust23THRUST_200600_302600_NS6detail15normal_iteratorINS9_10device_ptrIlEEEEPS5_m14custom_greaterIlEEE10hipError_tT0_T1_T2_jT3_P12ihipStream_tbPNSt15iterator_traitsISJ_E10value_typeEPNSP_ISK_E10value_typeEPSL_NS1_7vsmem_tEENKUlT_SJ_SK_SL_E_clIPlSE_SF_SF_EESI_SY_SJ_SK_SL_EUlSY_E0_NS1_11comp_targetILNS1_3genE5ELNS1_11target_archE942ELNS1_3gpuE9ELNS1_3repE0EEENS1_38merge_mergepath_config_static_selectorELNS0_4arch9wavefront6targetE1EEEvSK_
	.p2align	8
	.type	_ZN7rocprim17ROCPRIM_400000_NS6detail17trampoline_kernelINS0_14default_configENS1_38merge_sort_block_merge_config_selectorIlNS0_10empty_typeEEEZZNS1_27merge_sort_block_merge_implIS3_N6thrust23THRUST_200600_302600_NS6detail15normal_iteratorINS9_10device_ptrIlEEEEPS5_m14custom_greaterIlEEE10hipError_tT0_T1_T2_jT3_P12ihipStream_tbPNSt15iterator_traitsISJ_E10value_typeEPNSP_ISK_E10value_typeEPSL_NS1_7vsmem_tEENKUlT_SJ_SK_SL_E_clIPlSE_SF_SF_EESI_SY_SJ_SK_SL_EUlSY_E0_NS1_11comp_targetILNS1_3genE5ELNS1_11target_archE942ELNS1_3gpuE9ELNS1_3repE0EEENS1_38merge_mergepath_config_static_selectorELNS0_4arch9wavefront6targetE1EEEvSK_,@function
_ZN7rocprim17ROCPRIM_400000_NS6detail17trampoline_kernelINS0_14default_configENS1_38merge_sort_block_merge_config_selectorIlNS0_10empty_typeEEEZZNS1_27merge_sort_block_merge_implIS3_N6thrust23THRUST_200600_302600_NS6detail15normal_iteratorINS9_10device_ptrIlEEEEPS5_m14custom_greaterIlEEE10hipError_tT0_T1_T2_jT3_P12ihipStream_tbPNSt15iterator_traitsISJ_E10value_typeEPNSP_ISK_E10value_typeEPSL_NS1_7vsmem_tEENKUlT_SJ_SK_SL_E_clIPlSE_SF_SF_EESI_SY_SJ_SK_SL_EUlSY_E0_NS1_11comp_targetILNS1_3genE5ELNS1_11target_archE942ELNS1_3gpuE9ELNS1_3repE0EEENS1_38merge_mergepath_config_static_selectorELNS0_4arch9wavefront6targetE1EEEvSK_: ; @_ZN7rocprim17ROCPRIM_400000_NS6detail17trampoline_kernelINS0_14default_configENS1_38merge_sort_block_merge_config_selectorIlNS0_10empty_typeEEEZZNS1_27merge_sort_block_merge_implIS3_N6thrust23THRUST_200600_302600_NS6detail15normal_iteratorINS9_10device_ptrIlEEEEPS5_m14custom_greaterIlEEE10hipError_tT0_T1_T2_jT3_P12ihipStream_tbPNSt15iterator_traitsISJ_E10value_typeEPNSP_ISK_E10value_typeEPSL_NS1_7vsmem_tEENKUlT_SJ_SK_SL_E_clIPlSE_SF_SF_EESI_SY_SJ_SK_SL_EUlSY_E0_NS1_11comp_targetILNS1_3genE5ELNS1_11target_archE942ELNS1_3gpuE9ELNS1_3repE0EEENS1_38merge_mergepath_config_static_selectorELNS0_4arch9wavefront6targetE1EEEvSK_
; %bb.0:
	.section	.rodata,"a",@progbits
	.p2align	6, 0x0
	.amdhsa_kernel _ZN7rocprim17ROCPRIM_400000_NS6detail17trampoline_kernelINS0_14default_configENS1_38merge_sort_block_merge_config_selectorIlNS0_10empty_typeEEEZZNS1_27merge_sort_block_merge_implIS3_N6thrust23THRUST_200600_302600_NS6detail15normal_iteratorINS9_10device_ptrIlEEEEPS5_m14custom_greaterIlEEE10hipError_tT0_T1_T2_jT3_P12ihipStream_tbPNSt15iterator_traitsISJ_E10value_typeEPNSP_ISK_E10value_typeEPSL_NS1_7vsmem_tEENKUlT_SJ_SK_SL_E_clIPlSE_SF_SF_EESI_SY_SJ_SK_SL_EUlSY_E0_NS1_11comp_targetILNS1_3genE5ELNS1_11target_archE942ELNS1_3gpuE9ELNS1_3repE0EEENS1_38merge_mergepath_config_static_selectorELNS0_4arch9wavefront6targetE1EEEvSK_
		.amdhsa_group_segment_fixed_size 0
		.amdhsa_private_segment_fixed_size 0
		.amdhsa_kernarg_size 72
		.amdhsa_user_sgpr_count 6
		.amdhsa_user_sgpr_private_segment_buffer 1
		.amdhsa_user_sgpr_dispatch_ptr 0
		.amdhsa_user_sgpr_queue_ptr 0
		.amdhsa_user_sgpr_kernarg_segment_ptr 1
		.amdhsa_user_sgpr_dispatch_id 0
		.amdhsa_user_sgpr_flat_scratch_init 0
		.amdhsa_user_sgpr_kernarg_preload_length 0
		.amdhsa_user_sgpr_kernarg_preload_offset 0
		.amdhsa_user_sgpr_private_segment_size 0
		.amdhsa_uses_dynamic_stack 0
		.amdhsa_system_sgpr_private_segment_wavefront_offset 0
		.amdhsa_system_sgpr_workgroup_id_x 1
		.amdhsa_system_sgpr_workgroup_id_y 0
		.amdhsa_system_sgpr_workgroup_id_z 0
		.amdhsa_system_sgpr_workgroup_info 0
		.amdhsa_system_vgpr_workitem_id 0
		.amdhsa_next_free_vgpr 1
		.amdhsa_next_free_sgpr 0
		.amdhsa_accum_offset 4
		.amdhsa_reserve_vcc 0
		.amdhsa_reserve_flat_scratch 0
		.amdhsa_float_round_mode_32 0
		.amdhsa_float_round_mode_16_64 0
		.amdhsa_float_denorm_mode_32 3
		.amdhsa_float_denorm_mode_16_64 3
		.amdhsa_dx10_clamp 1
		.amdhsa_ieee_mode 1
		.amdhsa_fp16_overflow 0
		.amdhsa_tg_split 0
		.amdhsa_exception_fp_ieee_invalid_op 0
		.amdhsa_exception_fp_denorm_src 0
		.amdhsa_exception_fp_ieee_div_zero 0
		.amdhsa_exception_fp_ieee_overflow 0
		.amdhsa_exception_fp_ieee_underflow 0
		.amdhsa_exception_fp_ieee_inexact 0
		.amdhsa_exception_int_div_zero 0
	.end_amdhsa_kernel
	.section	.text._ZN7rocprim17ROCPRIM_400000_NS6detail17trampoline_kernelINS0_14default_configENS1_38merge_sort_block_merge_config_selectorIlNS0_10empty_typeEEEZZNS1_27merge_sort_block_merge_implIS3_N6thrust23THRUST_200600_302600_NS6detail15normal_iteratorINS9_10device_ptrIlEEEEPS5_m14custom_greaterIlEEE10hipError_tT0_T1_T2_jT3_P12ihipStream_tbPNSt15iterator_traitsISJ_E10value_typeEPNSP_ISK_E10value_typeEPSL_NS1_7vsmem_tEENKUlT_SJ_SK_SL_E_clIPlSE_SF_SF_EESI_SY_SJ_SK_SL_EUlSY_E0_NS1_11comp_targetILNS1_3genE5ELNS1_11target_archE942ELNS1_3gpuE9ELNS1_3repE0EEENS1_38merge_mergepath_config_static_selectorELNS0_4arch9wavefront6targetE1EEEvSK_,"axG",@progbits,_ZN7rocprim17ROCPRIM_400000_NS6detail17trampoline_kernelINS0_14default_configENS1_38merge_sort_block_merge_config_selectorIlNS0_10empty_typeEEEZZNS1_27merge_sort_block_merge_implIS3_N6thrust23THRUST_200600_302600_NS6detail15normal_iteratorINS9_10device_ptrIlEEEEPS5_m14custom_greaterIlEEE10hipError_tT0_T1_T2_jT3_P12ihipStream_tbPNSt15iterator_traitsISJ_E10value_typeEPNSP_ISK_E10value_typeEPSL_NS1_7vsmem_tEENKUlT_SJ_SK_SL_E_clIPlSE_SF_SF_EESI_SY_SJ_SK_SL_EUlSY_E0_NS1_11comp_targetILNS1_3genE5ELNS1_11target_archE942ELNS1_3gpuE9ELNS1_3repE0EEENS1_38merge_mergepath_config_static_selectorELNS0_4arch9wavefront6targetE1EEEvSK_,comdat
.Lfunc_end3248:
	.size	_ZN7rocprim17ROCPRIM_400000_NS6detail17trampoline_kernelINS0_14default_configENS1_38merge_sort_block_merge_config_selectorIlNS0_10empty_typeEEEZZNS1_27merge_sort_block_merge_implIS3_N6thrust23THRUST_200600_302600_NS6detail15normal_iteratorINS9_10device_ptrIlEEEEPS5_m14custom_greaterIlEEE10hipError_tT0_T1_T2_jT3_P12ihipStream_tbPNSt15iterator_traitsISJ_E10value_typeEPNSP_ISK_E10value_typeEPSL_NS1_7vsmem_tEENKUlT_SJ_SK_SL_E_clIPlSE_SF_SF_EESI_SY_SJ_SK_SL_EUlSY_E0_NS1_11comp_targetILNS1_3genE5ELNS1_11target_archE942ELNS1_3gpuE9ELNS1_3repE0EEENS1_38merge_mergepath_config_static_selectorELNS0_4arch9wavefront6targetE1EEEvSK_, .Lfunc_end3248-_ZN7rocprim17ROCPRIM_400000_NS6detail17trampoline_kernelINS0_14default_configENS1_38merge_sort_block_merge_config_selectorIlNS0_10empty_typeEEEZZNS1_27merge_sort_block_merge_implIS3_N6thrust23THRUST_200600_302600_NS6detail15normal_iteratorINS9_10device_ptrIlEEEEPS5_m14custom_greaterIlEEE10hipError_tT0_T1_T2_jT3_P12ihipStream_tbPNSt15iterator_traitsISJ_E10value_typeEPNSP_ISK_E10value_typeEPSL_NS1_7vsmem_tEENKUlT_SJ_SK_SL_E_clIPlSE_SF_SF_EESI_SY_SJ_SK_SL_EUlSY_E0_NS1_11comp_targetILNS1_3genE5ELNS1_11target_archE942ELNS1_3gpuE9ELNS1_3repE0EEENS1_38merge_mergepath_config_static_selectorELNS0_4arch9wavefront6targetE1EEEvSK_
                                        ; -- End function
	.section	.AMDGPU.csdata,"",@progbits
; Kernel info:
; codeLenInByte = 0
; NumSgprs: 4
; NumVgprs: 0
; NumAgprs: 0
; TotalNumVgprs: 0
; ScratchSize: 0
; MemoryBound: 0
; FloatMode: 240
; IeeeMode: 1
; LDSByteSize: 0 bytes/workgroup (compile time only)
; SGPRBlocks: 0
; VGPRBlocks: 0
; NumSGPRsForWavesPerEU: 4
; NumVGPRsForWavesPerEU: 1
; AccumOffset: 4
; Occupancy: 8
; WaveLimiterHint : 0
; COMPUTE_PGM_RSRC2:SCRATCH_EN: 0
; COMPUTE_PGM_RSRC2:USER_SGPR: 6
; COMPUTE_PGM_RSRC2:TRAP_HANDLER: 0
; COMPUTE_PGM_RSRC2:TGID_X_EN: 1
; COMPUTE_PGM_RSRC2:TGID_Y_EN: 0
; COMPUTE_PGM_RSRC2:TGID_Z_EN: 0
; COMPUTE_PGM_RSRC2:TIDIG_COMP_CNT: 0
; COMPUTE_PGM_RSRC3_GFX90A:ACCUM_OFFSET: 0
; COMPUTE_PGM_RSRC3_GFX90A:TG_SPLIT: 0
	.section	.text._ZN7rocprim17ROCPRIM_400000_NS6detail17trampoline_kernelINS0_14default_configENS1_38merge_sort_block_merge_config_selectorIlNS0_10empty_typeEEEZZNS1_27merge_sort_block_merge_implIS3_N6thrust23THRUST_200600_302600_NS6detail15normal_iteratorINS9_10device_ptrIlEEEEPS5_m14custom_greaterIlEEE10hipError_tT0_T1_T2_jT3_P12ihipStream_tbPNSt15iterator_traitsISJ_E10value_typeEPNSP_ISK_E10value_typeEPSL_NS1_7vsmem_tEENKUlT_SJ_SK_SL_E_clIPlSE_SF_SF_EESI_SY_SJ_SK_SL_EUlSY_E0_NS1_11comp_targetILNS1_3genE4ELNS1_11target_archE910ELNS1_3gpuE8ELNS1_3repE0EEENS1_38merge_mergepath_config_static_selectorELNS0_4arch9wavefront6targetE1EEEvSK_,"axG",@progbits,_ZN7rocprim17ROCPRIM_400000_NS6detail17trampoline_kernelINS0_14default_configENS1_38merge_sort_block_merge_config_selectorIlNS0_10empty_typeEEEZZNS1_27merge_sort_block_merge_implIS3_N6thrust23THRUST_200600_302600_NS6detail15normal_iteratorINS9_10device_ptrIlEEEEPS5_m14custom_greaterIlEEE10hipError_tT0_T1_T2_jT3_P12ihipStream_tbPNSt15iterator_traitsISJ_E10value_typeEPNSP_ISK_E10value_typeEPSL_NS1_7vsmem_tEENKUlT_SJ_SK_SL_E_clIPlSE_SF_SF_EESI_SY_SJ_SK_SL_EUlSY_E0_NS1_11comp_targetILNS1_3genE4ELNS1_11target_archE910ELNS1_3gpuE8ELNS1_3repE0EEENS1_38merge_mergepath_config_static_selectorELNS0_4arch9wavefront6targetE1EEEvSK_,comdat
	.protected	_ZN7rocprim17ROCPRIM_400000_NS6detail17trampoline_kernelINS0_14default_configENS1_38merge_sort_block_merge_config_selectorIlNS0_10empty_typeEEEZZNS1_27merge_sort_block_merge_implIS3_N6thrust23THRUST_200600_302600_NS6detail15normal_iteratorINS9_10device_ptrIlEEEEPS5_m14custom_greaterIlEEE10hipError_tT0_T1_T2_jT3_P12ihipStream_tbPNSt15iterator_traitsISJ_E10value_typeEPNSP_ISK_E10value_typeEPSL_NS1_7vsmem_tEENKUlT_SJ_SK_SL_E_clIPlSE_SF_SF_EESI_SY_SJ_SK_SL_EUlSY_E0_NS1_11comp_targetILNS1_3genE4ELNS1_11target_archE910ELNS1_3gpuE8ELNS1_3repE0EEENS1_38merge_mergepath_config_static_selectorELNS0_4arch9wavefront6targetE1EEEvSK_ ; -- Begin function _ZN7rocprim17ROCPRIM_400000_NS6detail17trampoline_kernelINS0_14default_configENS1_38merge_sort_block_merge_config_selectorIlNS0_10empty_typeEEEZZNS1_27merge_sort_block_merge_implIS3_N6thrust23THRUST_200600_302600_NS6detail15normal_iteratorINS9_10device_ptrIlEEEEPS5_m14custom_greaterIlEEE10hipError_tT0_T1_T2_jT3_P12ihipStream_tbPNSt15iterator_traitsISJ_E10value_typeEPNSP_ISK_E10value_typeEPSL_NS1_7vsmem_tEENKUlT_SJ_SK_SL_E_clIPlSE_SF_SF_EESI_SY_SJ_SK_SL_EUlSY_E0_NS1_11comp_targetILNS1_3genE4ELNS1_11target_archE910ELNS1_3gpuE8ELNS1_3repE0EEENS1_38merge_mergepath_config_static_selectorELNS0_4arch9wavefront6targetE1EEEvSK_
	.globl	_ZN7rocprim17ROCPRIM_400000_NS6detail17trampoline_kernelINS0_14default_configENS1_38merge_sort_block_merge_config_selectorIlNS0_10empty_typeEEEZZNS1_27merge_sort_block_merge_implIS3_N6thrust23THRUST_200600_302600_NS6detail15normal_iteratorINS9_10device_ptrIlEEEEPS5_m14custom_greaterIlEEE10hipError_tT0_T1_T2_jT3_P12ihipStream_tbPNSt15iterator_traitsISJ_E10value_typeEPNSP_ISK_E10value_typeEPSL_NS1_7vsmem_tEENKUlT_SJ_SK_SL_E_clIPlSE_SF_SF_EESI_SY_SJ_SK_SL_EUlSY_E0_NS1_11comp_targetILNS1_3genE4ELNS1_11target_archE910ELNS1_3gpuE8ELNS1_3repE0EEENS1_38merge_mergepath_config_static_selectorELNS0_4arch9wavefront6targetE1EEEvSK_
	.p2align	8
	.type	_ZN7rocprim17ROCPRIM_400000_NS6detail17trampoline_kernelINS0_14default_configENS1_38merge_sort_block_merge_config_selectorIlNS0_10empty_typeEEEZZNS1_27merge_sort_block_merge_implIS3_N6thrust23THRUST_200600_302600_NS6detail15normal_iteratorINS9_10device_ptrIlEEEEPS5_m14custom_greaterIlEEE10hipError_tT0_T1_T2_jT3_P12ihipStream_tbPNSt15iterator_traitsISJ_E10value_typeEPNSP_ISK_E10value_typeEPSL_NS1_7vsmem_tEENKUlT_SJ_SK_SL_E_clIPlSE_SF_SF_EESI_SY_SJ_SK_SL_EUlSY_E0_NS1_11comp_targetILNS1_3genE4ELNS1_11target_archE910ELNS1_3gpuE8ELNS1_3repE0EEENS1_38merge_mergepath_config_static_selectorELNS0_4arch9wavefront6targetE1EEEvSK_,@function
_ZN7rocprim17ROCPRIM_400000_NS6detail17trampoline_kernelINS0_14default_configENS1_38merge_sort_block_merge_config_selectorIlNS0_10empty_typeEEEZZNS1_27merge_sort_block_merge_implIS3_N6thrust23THRUST_200600_302600_NS6detail15normal_iteratorINS9_10device_ptrIlEEEEPS5_m14custom_greaterIlEEE10hipError_tT0_T1_T2_jT3_P12ihipStream_tbPNSt15iterator_traitsISJ_E10value_typeEPNSP_ISK_E10value_typeEPSL_NS1_7vsmem_tEENKUlT_SJ_SK_SL_E_clIPlSE_SF_SF_EESI_SY_SJ_SK_SL_EUlSY_E0_NS1_11comp_targetILNS1_3genE4ELNS1_11target_archE910ELNS1_3gpuE8ELNS1_3repE0EEENS1_38merge_mergepath_config_static_selectorELNS0_4arch9wavefront6targetE1EEEvSK_: ; @_ZN7rocprim17ROCPRIM_400000_NS6detail17trampoline_kernelINS0_14default_configENS1_38merge_sort_block_merge_config_selectorIlNS0_10empty_typeEEEZZNS1_27merge_sort_block_merge_implIS3_N6thrust23THRUST_200600_302600_NS6detail15normal_iteratorINS9_10device_ptrIlEEEEPS5_m14custom_greaterIlEEE10hipError_tT0_T1_T2_jT3_P12ihipStream_tbPNSt15iterator_traitsISJ_E10value_typeEPNSP_ISK_E10value_typeEPSL_NS1_7vsmem_tEENKUlT_SJ_SK_SL_E_clIPlSE_SF_SF_EESI_SY_SJ_SK_SL_EUlSY_E0_NS1_11comp_targetILNS1_3genE4ELNS1_11target_archE910ELNS1_3gpuE8ELNS1_3repE0EEENS1_38merge_mergepath_config_static_selectorELNS0_4arch9wavefront6targetE1EEEvSK_
; %bb.0:
	s_load_dwordx2 s[22:23], s[4:5], 0x48
	s_load_dword s0, s[4:5], 0x38
	s_add_u32 s18, s4, 0x48
	s_addc_u32 s19, s5, 0
	s_waitcnt lgkmcnt(0)
	s_mul_i32 s1, s23, s8
	s_add_i32 s1, s1, s7
	s_mul_i32 s1, s1, s22
	s_add_i32 s20, s1, s6
	s_cmp_ge_u32 s20, s0
	s_cbranch_scc1 .LBB3249_33
; %bb.1:
	s_load_dwordx2 s[0:1], s[4:5], 0x40
	s_load_dwordx4 s[12:15], s[4:5], 0x8
	s_load_dwordx4 s[8:11], s[4:5], 0x28
	s_mov_b32 s21, 0
	s_lshl_b64 s[2:3], s[20:21], 3
	s_waitcnt lgkmcnt(0)
	s_add_u32 s0, s0, s2
	s_addc_u32 s1, s1, s3
	v_mov_b32_e32 v1, s10
	v_alignbit_b32 v1, s11, v1, 9
	v_readfirstlane_b32 s4, v1
	s_and_b32 s4, s4, -2
	s_sub_i32 s30, 0, s4
	s_and_b32 s24, s20, s30
	s_mov_b32 s25, s21
	s_lshl_b64 s[4:5], s[24:25], 10
	s_lshl_b64 s[16:17], s[20:21], 10
	s_sub_u32 s7, s16, s4
	s_load_dwordx4 s[0:3], s[0:1], 0x0
	s_subb_u32 s23, s17, s5
	s_lshl_b64 s[24:25], s[24:25], 11
	s_add_u32 s24, s24, s10
	s_addc_u32 s25, s25, s11
	s_add_u32 s7, s24, s7
	s_addc_u32 s23, s25, s23
	s_waitcnt lgkmcnt(0)
	s_sub_u32 s26, s7, s2
	s_subb_u32 s3, s23, s3
	s_add_u32 s26, s26, 0x400
	s_addc_u32 s27, s3, 0
	v_pk_mov_b32 v[2:3], s[26:27], s[26:27] op_sel:[0,1]
	v_cmp_lt_u64_e32 vcc, s[8:9], v[2:3]
	s_and_b64 s[28:29], vcc, exec
	s_cselect_b32 s3, s8, s26
	s_or_b32 s26, s20, s30
	s_cmp_lg_u32 s26, -1
	s_cbranch_scc1 .LBB3249_3
; %bb.2:
	s_sub_u32 s4, s24, s4
	s_subb_u32 s5, s25, s5
	v_pk_mov_b32 v[2:3], s[4:5], s[4:5] op_sel:[0,1]
	v_cmp_lt_u64_e32 vcc, s[8:9], v[2:3]
	s_and_b64 s[2:3], vcc, exec
	s_cselect_b32 s2, s8, s4
	s_add_u32 s4, s4, s10
	s_addc_u32 s5, s5, s11
	v_pk_mov_b32 v[2:3], s[4:5], s[4:5] op_sel:[0,1]
	v_cmp_lt_u64_e32 vcc, s[8:9], v[2:3]
	s_and_b64 s[10:11], vcc, exec
	s_cselect_b32 s3, s8, s4
.LBB3249_3:
	s_lshr_b64 s[26:27], s[8:9], 10
	s_cmp_lg_u64 s[26:27], s[20:21]
	s_cselect_b64 s[10:11], -1, 0
	s_sub_u32 s4, s7, s0
	s_subb_u32 s5, s23, s1
	v_pk_mov_b32 v[2:3], s[4:5], s[4:5] op_sel:[0,1]
	v_cmp_lt_u64_e32 vcc, s[8:9], v[2:3]
	s_and_b64 s[24:25], vcc, exec
	s_cselect_b32 s28, s8, s4
	s_cselect_b32 s29, s9, s5
	s_sub_i32 s9, s2, s0
	s_sub_i32 s4, s3, s28
	s_lshl_b64 s[0:1], s[0:1], 3
	s_add_u32 s23, s12, s0
	s_addc_u32 s24, s13, s1
	s_lshl_b64 s[0:1], s[28:29], 3
	s_add_u32 s5, s12, s0
	s_addc_u32 s7, s13, s1
	s_cmp_lt_u32 s6, s22
	v_mov_b32_e32 v9, 0
	s_cselect_b32 s0, 12, 18
	global_load_dword v1, v9, s[18:19] offset:14
	s_add_u32 s0, s18, s0
	s_addc_u32 s1, s19, 0
	global_load_ushort v2, v9, s[0:1]
	s_cmp_eq_u64 s[26:27], s[20:21]
	s_waitcnt vmcnt(1)
	v_lshrrev_b32_e32 v3, 16, v1
	v_and_b32_e32 v1, 0xffff, v1
	v_mul_lo_u32 v1, v1, v3
	s_waitcnt vmcnt(0)
	v_mul_lo_u32 v14, v1, v2
	v_add_u32_e32 v12, v14, v0
	v_lshlrev_b32_e32 v1, 3, v0
	v_add_u32_e32 v10, v12, v14
	s_cbranch_scc1 .LBB3249_5
; %bb.4:
	v_mov_b32_e32 v2, s24
	v_add_co_u32_e32 v4, vcc, s23, v1
	v_subrev_u32_e32 v8, s9, v0
	v_addc_co_u32_e32 v5, vcc, 0, v2, vcc
	v_lshlrev_b64 v[2:3], 3, v[8:9]
	v_mov_b32_e32 v6, s7
	v_add_co_u32_e32 v2, vcc, s5, v2
	v_addc_co_u32_e32 v3, vcc, v6, v3, vcc
	v_cmp_gt_u32_e32 vcc, s9, v0
	v_mov_b32_e32 v13, v9
	v_cndmask_b32_e32 v3, v3, v5, vcc
	v_cndmask_b32_e32 v2, v2, v4, vcc
	v_lshlrev_b64 v[4:5], 3, v[12:13]
	v_mov_b32_e32 v6, s24
	v_add_co_u32_e32 v7, vcc, s23, v4
	v_subrev_u32_e32 v8, s9, v12
	v_addc_co_u32_e32 v6, vcc, v6, v5, vcc
	v_lshlrev_b64 v[4:5], 3, v[8:9]
	v_mov_b32_e32 v8, s7
	v_add_co_u32_e32 v4, vcc, s5, v4
	v_addc_co_u32_e32 v5, vcc, v8, v5, vcc
	v_cmp_gt_u32_e32 vcc, s9, v12
	v_mov_b32_e32 v11, v9
	v_cndmask_b32_e32 v5, v5, v6, vcc
	v_cndmask_b32_e32 v4, v4, v7, vcc
	v_lshlrev_b64 v[6:7], 3, v[10:11]
	v_mov_b32_e32 v8, s24
	v_add_co_u32_e32 v11, vcc, s23, v6
	v_addc_co_u32_e32 v13, vcc, v8, v7, vcc
	v_subrev_u32_e32 v8, s9, v10
	v_lshlrev_b64 v[6:7], 3, v[8:9]
	v_mov_b32_e32 v8, s7
	v_add_co_u32_e32 v6, vcc, s5, v6
	v_addc_co_u32_e32 v7, vcc, v8, v7, vcc
	v_add_u32_e32 v8, v10, v14
	v_cmp_gt_u32_e32 vcc, s9, v10
	v_lshlrev_b64 v[16:17], 3, v[8:9]
	v_cndmask_b32_e32 v7, v7, v13, vcc
	v_cndmask_b32_e32 v6, v6, v11, vcc
	v_mov_b32_e32 v11, s24
	v_add_co_u32_e32 v13, vcc, s23, v16
	v_addc_co_u32_e32 v11, vcc, v11, v17, vcc
	v_cmp_gt_u32_e32 vcc, s9, v8
	v_subrev_u32_e32 v8, s9, v8
	v_lshlrev_b64 v[8:9], 3, v[8:9]
	v_mov_b32_e32 v15, s7
	v_add_co_u32_e64 v8, s[0:1], s5, v8
	v_addc_co_u32_e64 v9, s[0:1], v15, v9, s[0:1]
	v_cndmask_b32_e32 v9, v9, v11, vcc
	v_cndmask_b32_e32 v8, v8, v13, vcc
	global_load_dwordx2 v[2:3], v[2:3], off
	s_add_i32 s12, s9, s4
	global_load_dwordx2 v[4:5], v[4:5], off
	s_nop 0
	global_load_dwordx2 v[6:7], v[6:7], off
	s_nop 0
	global_load_dwordx2 v[8:9], v[8:9], off
	s_cbranch_execz .LBB3249_6
	s_branch .LBB3249_13
.LBB3249_5:
                                        ; implicit-def: $vgpr2_vgpr3_vgpr4_vgpr5_vgpr6_vgpr7_vgpr8_vgpr9
                                        ; implicit-def: $sgpr12
.LBB3249_6:
	s_add_i32 s12, s9, s4
	v_cmp_gt_u32_e32 vcc, s12, v0
                                        ; implicit-def: $vgpr2_vgpr3_vgpr4_vgpr5_vgpr6_vgpr7_vgpr8_vgpr9
	s_and_saveexec_b64 s[0:1], vcc
	s_cbranch_execnz .LBB3249_34
; %bb.7:
	s_or_b64 exec, exec, s[0:1]
	v_cmp_gt_u32_e32 vcc, s12, v12
	s_and_saveexec_b64 s[2:3], vcc
	s_cbranch_execnz .LBB3249_35
.LBB3249_8:
	s_or_b64 exec, exec, s[2:3]
	v_cmp_gt_u32_e32 vcc, s12, v10
	s_and_saveexec_b64 s[0:1], vcc
	s_cbranch_execz .LBB3249_10
.LBB3249_9:
	v_mov_b32_e32 v11, 0
	s_waitcnt vmcnt(1)
	v_lshlrev_b64 v[6:7], 3, v[10:11]
	v_mov_b32_e32 v12, s24
	v_add_co_u32_e32 v13, vcc, s23, v6
	v_addc_co_u32_e32 v12, vcc, v12, v7, vcc
	v_subrev_u32_e32 v6, s9, v10
	v_mov_b32_e32 v7, v11
	v_lshlrev_b64 v[6:7], 3, v[6:7]
	v_mov_b32_e32 v11, s7
	v_add_co_u32_e32 v6, vcc, s5, v6
	v_addc_co_u32_e32 v7, vcc, v11, v7, vcc
	v_cmp_gt_u32_e32 vcc, s9, v10
	v_cndmask_b32_e32 v7, v7, v12, vcc
	v_cndmask_b32_e32 v6, v6, v13, vcc
	global_load_dwordx2 v[6:7], v[6:7], off
.LBB3249_10:
	s_or_b64 exec, exec, s[0:1]
	v_add_u32_e32 v10, v10, v14
	v_cmp_gt_u32_e32 vcc, s12, v10
	s_and_saveexec_b64 s[2:3], vcc
	s_cbranch_execz .LBB3249_12
; %bb.11:
	v_mov_b32_e32 v11, 0
	s_waitcnt vmcnt(0)
	v_lshlrev_b64 v[8:9], 3, v[10:11]
	v_mov_b32_e32 v12, s24
	v_add_co_u32_e32 v13, vcc, s23, v8
	v_addc_co_u32_e32 v12, vcc, v12, v9, vcc
	v_cmp_gt_u32_e32 vcc, s9, v10
	v_subrev_u32_e32 v10, s9, v10
	v_lshlrev_b64 v[8:9], 3, v[10:11]
	v_mov_b32_e32 v10, s7
	v_add_co_u32_e64 v8, s[0:1], s5, v8
	v_addc_co_u32_e64 v9, s[0:1], v10, v9, s[0:1]
	v_cndmask_b32_e32 v9, v9, v12, vcc
	v_cndmask_b32_e32 v8, v8, v13, vcc
	global_load_dwordx2 v[8:9], v[8:9], off
.LBB3249_12:
	s_or_b64 exec, exec, s[2:3]
.LBB3249_13:
	v_lshlrev_b32_e32 v10, 2, v0
	v_min_u32_e32 v12, s12, v10
	v_sub_u32_e64 v11, v12, s4 clamp
	v_min_u32_e32 v13, s9, v12
	v_cmp_lt_u32_e32 vcc, v11, v13
	s_waitcnt vmcnt(0)
	ds_write2st64_b64 v1, v[2:3], v[4:5] offset1:4
	ds_write2st64_b64 v1, v[6:7], v[8:9] offset0:8 offset1:12
	s_waitcnt lgkmcnt(0)
	s_barrier
	s_and_saveexec_b64 s[0:1], vcc
	s_cbranch_execz .LBB3249_17
; %bb.14:
	v_lshlrev_b32_e32 v14, 3, v12
	v_lshl_add_u32 v14, s9, 3, v14
	s_mov_b64 s[2:3], 0
.LBB3249_15:                            ; =>This Inner Loop Header: Depth=1
	v_add_u32_e32 v15, v13, v11
	v_lshrrev_b32_e32 v15, 1, v15
	v_not_b32_e32 v16, v15
	v_lshlrev_b32_e32 v17, 3, v15
	v_lshl_add_u32 v18, v16, 3, v14
	ds_read_b64 v[16:17], v17
	ds_read_b64 v[18:19], v18
	v_add_u32_e32 v20, 1, v15
	s_waitcnt lgkmcnt(0)
	v_cmp_gt_i64_e32 vcc, v[16:17], v[18:19]
	v_cndmask_b32_e32 v13, v13, v15, vcc
	v_cndmask_b32_e32 v11, v20, v11, vcc
	v_cmp_ge_u32_e32 vcc, v11, v13
	s_or_b64 s[2:3], vcc, s[2:3]
	s_andn2_b64 exec, exec, s[2:3]
	s_cbranch_execnz .LBB3249_15
; %bb.16:
	s_or_b64 exec, exec, s[2:3]
.LBB3249_17:
	s_or_b64 exec, exec, s[0:1]
	v_sub_u32_e32 v12, v12, v11
	v_add_u32_e32 v12, s9, v12
	v_cmp_ge_u32_e32 vcc, s9, v11
	v_cmp_ge_u32_e64 s[0:1], s12, v12
	s_or_b64 s[0:1], vcc, s[0:1]
	s_and_saveexec_b64 s[6:7], s[0:1]
	s_cbranch_execz .LBB3249_23
; %bb.18:
	v_cmp_gt_u32_e32 vcc, s9, v11
                                        ; implicit-def: $vgpr2_vgpr3
	s_and_saveexec_b64 s[0:1], vcc
	s_cbranch_execz .LBB3249_20
; %bb.19:
	v_lshlrev_b32_e32 v2, 3, v11
	ds_read_b64 v[2:3], v2
.LBB3249_20:
	s_or_b64 exec, exec, s[0:1]
	v_cmp_le_u32_e64 s[0:1], s12, v12
	v_cmp_gt_u32_e64 s[2:3], s12, v12
                                        ; implicit-def: $vgpr4_vgpr5
	s_and_saveexec_b64 s[4:5], s[2:3]
	s_cbranch_execz .LBB3249_22
; %bb.21:
	v_lshlrev_b32_e32 v4, 3, v12
	ds_read_b64 v[4:5], v4
.LBB3249_22:
	s_or_b64 exec, exec, s[4:5]
	s_waitcnt lgkmcnt(0)
	v_cmp_le_i64_e64 s[2:3], v[2:3], v[4:5]
	s_and_b64 s[2:3], vcc, s[2:3]
	s_or_b64 vcc, s[0:1], s[2:3]
	v_mov_b32_e32 v16, s12
	v_mov_b32_e32 v17, s9
	v_cndmask_b32_e32 v6, v12, v11, vcc
	v_cndmask_b32_e32 v7, v16, v17, vcc
	v_add_u32_e32 v13, 1, v6
	v_add_u32_e32 v6, -1, v7
	v_min_u32_e32 v6, v13, v6
	v_lshlrev_b32_e32 v6, 3, v6
	ds_read_b64 v[6:7], v6
	v_cndmask_b32_e32 v11, v11, v13, vcc
	v_cndmask_b32_e32 v18, v13, v12, vcc
	v_cmp_gt_u32_e64 s[2:3], s9, v11
	v_cmp_le_u32_e64 s[0:1], s12, v18
	s_waitcnt lgkmcnt(0)
	v_cndmask_b32_e32 v9, v7, v5, vcc
	v_cndmask_b32_e32 v8, v6, v4, vcc
	;; [unrolled: 1-line block ×4, first 2 shown]
	v_cmp_le_i64_e64 s[4:5], v[6:7], v[8:9]
	s_and_b64 s[2:3], s[2:3], s[4:5]
	s_or_b64 s[0:1], s[0:1], s[2:3]
	v_cndmask_b32_e64 v12, v18, v11, s[0:1]
	v_cndmask_b32_e64 v13, v16, v17, s[0:1]
	v_add_u32_e32 v19, 1, v12
	v_add_u32_e32 v12, -1, v13
	v_min_u32_e32 v12, v19, v12
	v_lshlrev_b32_e32 v12, 3, v12
	ds_read_b64 v[12:13], v12
	v_cndmask_b32_e64 v11, v11, v19, s[0:1]
	v_cndmask_b32_e64 v18, v19, v18, s[0:1]
	v_cmp_gt_u32_e64 s[2:3], s9, v11
	v_cndmask_b32_e32 v3, v5, v3, vcc
	s_waitcnt lgkmcnt(0)
	v_cndmask_b32_e64 v15, v13, v9, s[0:1]
	v_cndmask_b32_e64 v14, v12, v8, s[0:1]
	;; [unrolled: 1-line block ×4, first 2 shown]
	v_cmp_le_i64_e64 s[4:5], v[12:13], v[14:15]
	v_cndmask_b32_e32 v2, v4, v2, vcc
	v_cmp_le_u32_e32 vcc, s12, v18
	s_and_b64 s[2:3], s[2:3], s[4:5]
	s_or_b64 vcc, vcc, s[2:3]
	v_cndmask_b32_e32 v4, v18, v11, vcc
	v_cndmask_b32_e32 v5, v16, v17, vcc
	v_add_u32_e32 v19, 1, v4
	v_add_u32_e32 v4, -1, v5
	v_min_u32_e32 v4, v19, v4
	v_lshlrev_b32_e32 v4, 3, v4
	ds_read_b64 v[16:17], v4
	v_cndmask_b32_e64 v5, v9, v7, s[0:1]
	v_cndmask_b32_e64 v4, v8, v6, s[0:1]
	v_cndmask_b32_e32 v7, v15, v13, vcc
	v_cndmask_b32_e32 v6, v14, v12, vcc
	s_waitcnt lgkmcnt(0)
	v_cndmask_b32_e32 v9, v17, v15, vcc
	v_cndmask_b32_e32 v8, v16, v14, vcc
	;; [unrolled: 1-line block ×6, first 2 shown]
	v_cmp_gt_u32_e64 s[0:1], s9, v11
	v_cmp_le_i64_e64 s[2:3], v[12:13], v[8:9]
	v_cmp_le_u32_e32 vcc, s12, v14
	s_and_b64 s[0:1], s[0:1], s[2:3]
	s_or_b64 vcc, vcc, s[0:1]
	v_cndmask_b32_e32 v9, v9, v13, vcc
	v_cndmask_b32_e32 v8, v8, v12, vcc
.LBB3249_23:
	s_or_b64 exec, exec, s[6:7]
	v_and_b32_e32 v11, 0xf8, v0
	v_lshl_add_u32 v10, v10, 3, v11
	s_barrier
	s_barrier
	ds_write2_b64 v10, v[2:3], v[4:5] offset1:1
	ds_write2_b64 v10, v[6:7], v[8:9] offset0:2 offset1:3
	v_lshrrev_b32_e32 v2, 2, v0
	v_and_b32_e32 v2, 56, v2
	v_or_b32_e32 v12, 0x100, v0
	v_add_u32_e32 v13, v1, v2
	v_lshrrev_b32_e32 v2, 2, v12
	v_and_b32_e32 v2, 0x78, v2
	v_or_b32_e32 v11, 0x200, v0
	v_add_u32_e32 v6, v1, v2
	v_lshrrev_b32_e32 v2, 2, v11
	s_lshl_b64 s[0:1], s[16:17], 3
	v_and_b32_e32 v2, 0xb8, v2
	v_or_b32_e32 v10, 0x300, v0
	s_add_u32 s0, s14, s0
	v_add_u32_e32 v7, v1, v2
	v_lshrrev_b32_e32 v2, 2, v10
	s_addc_u32 s1, s15, s1
	v_and_b32_e32 v2, 0xf8, v2
	v_add_u32_e32 v14, v1, v2
	v_mov_b32_e32 v3, s1
	v_add_co_u32_e32 v2, vcc, s0, v1
	v_addc_co_u32_e32 v3, vcc, 0, v3, vcc
	s_and_b64 vcc, exec, s[10:11]
	s_waitcnt lgkmcnt(0)
	s_cbranch_vccz .LBB3249_25
; %bb.24:
	s_barrier
	ds_read_b64 v[8:9], v13
	ds_read_b64 v[16:17], v6 offset:2048
	ds_read_b64 v[18:19], v7 offset:4096
	;; [unrolled: 1-line block ×3, first 2 shown]
	s_waitcnt lgkmcnt(3)
	global_store_dwordx2 v[2:3], v[8:9], off
	s_waitcnt lgkmcnt(2)
	global_store_dwordx2 v[2:3], v[16:17], off offset:2048
	v_add_co_u32_e32 v8, vcc, 0x1000, v2
	v_addc_co_u32_e32 v9, vcc, 0, v3, vcc
	s_waitcnt lgkmcnt(1)
	global_store_dwordx2 v[8:9], v[18:19], off
	s_mov_b64 s[0:1], -1
	s_cbranch_execz .LBB3249_26
	s_branch .LBB3249_31
.LBB3249_25:
	s_mov_b64 s[0:1], 0
                                        ; implicit-def: $vgpr4_vgpr5
.LBB3249_26:
	s_barrier
	s_waitcnt lgkmcnt(0)
	ds_read_b64 v[8:9], v6 offset:2048
	ds_read_b64 v[6:7], v7 offset:4096
	;; [unrolled: 1-line block ×3, first 2 shown]
	s_sub_i32 s2, s8, s16
	v_cmp_gt_u32_e32 vcc, s2, v0
	s_and_saveexec_b64 s[0:1], vcc
	s_cbranch_execnz .LBB3249_36
; %bb.27:
	s_or_b64 exec, exec, s[0:1]
	v_cmp_gt_u32_e32 vcc, s2, v12
	s_and_saveexec_b64 s[0:1], vcc
	s_cbranch_execnz .LBB3249_37
.LBB3249_28:
	s_or_b64 exec, exec, s[0:1]
	v_cmp_gt_u32_e32 vcc, s2, v11
	s_and_saveexec_b64 s[0:1], vcc
	s_cbranch_execz .LBB3249_30
.LBB3249_29:
	v_add_co_u32_e32 v0, vcc, 0x1000, v2
	v_addc_co_u32_e32 v1, vcc, 0, v3, vcc
	s_waitcnt lgkmcnt(1)
	global_store_dwordx2 v[0:1], v[6:7], off
.LBB3249_30:
	s_or_b64 exec, exec, s[0:1]
	v_cmp_gt_u32_e64 s[0:1], s2, v10
.LBB3249_31:
	s_and_saveexec_b64 s[2:3], s[0:1]
	s_cbranch_execz .LBB3249_33
; %bb.32:
	v_add_co_u32_e32 v0, vcc, 0x1000, v2
	v_addc_co_u32_e32 v1, vcc, 0, v3, vcc
	s_waitcnt lgkmcnt(0)
	global_store_dwordx2 v[0:1], v[4:5], off offset:2048
.LBB3249_33:
	s_endpgm
.LBB3249_34:
	s_waitcnt vmcnt(3)
	v_mov_b32_e32 v2, s24
	s_waitcnt vmcnt(2)
	v_add_co_u32_e32 v4, vcc, s23, v1
	v_mov_b32_e32 v3, 0
	v_addc_co_u32_e32 v5, vcc, 0, v2, vcc
	v_subrev_u32_e32 v2, s9, v0
	v_lshlrev_b64 v[2:3], 3, v[2:3]
	s_waitcnt vmcnt(1)
	v_mov_b32_e32 v6, s7
	v_add_co_u32_e32 v2, vcc, s5, v2
	v_addc_co_u32_e32 v3, vcc, v6, v3, vcc
	v_cmp_gt_u32_e32 vcc, s9, v0
	v_cndmask_b32_e32 v3, v3, v5, vcc
	v_cndmask_b32_e32 v2, v2, v4, vcc
	global_load_dwordx2 v[2:3], v[2:3], off
	s_or_b64 exec, exec, s[0:1]
	v_cmp_gt_u32_e32 vcc, s12, v12
	s_and_saveexec_b64 s[2:3], vcc
	s_cbranch_execz .LBB3249_8
.LBB3249_35:
	v_mov_b32_e32 v13, 0
	s_waitcnt vmcnt(2)
	v_lshlrev_b64 v[4:5], 3, v[12:13]
	v_mov_b32_e32 v11, s24
	v_add_co_u32_e32 v15, vcc, s23, v4
	v_addc_co_u32_e32 v11, vcc, v11, v5, vcc
	v_cmp_gt_u32_e32 vcc, s9, v12
	v_subrev_u32_e32 v12, s9, v12
	v_lshlrev_b64 v[4:5], 3, v[12:13]
	v_mov_b32_e32 v12, s7
	v_add_co_u32_e64 v4, s[0:1], s5, v4
	v_addc_co_u32_e64 v5, s[0:1], v12, v5, s[0:1]
	v_cndmask_b32_e32 v5, v5, v11, vcc
	v_cndmask_b32_e32 v4, v4, v15, vcc
	global_load_dwordx2 v[4:5], v[4:5], off
	s_or_b64 exec, exec, s[2:3]
	v_cmp_gt_u32_e32 vcc, s12, v10
	s_and_saveexec_b64 s[0:1], vcc
	s_cbranch_execnz .LBB3249_9
	s_branch .LBB3249_10
.LBB3249_36:
	ds_read_b64 v[0:1], v13
	s_waitcnt lgkmcnt(0)
	global_store_dwordx2 v[2:3], v[0:1], off
	s_or_b64 exec, exec, s[0:1]
	v_cmp_gt_u32_e32 vcc, s2, v12
	s_and_saveexec_b64 s[0:1], vcc
	s_cbranch_execz .LBB3249_28
.LBB3249_37:
	s_waitcnt lgkmcnt(2)
	global_store_dwordx2 v[2:3], v[8:9], off offset:2048
	s_or_b64 exec, exec, s[0:1]
	v_cmp_gt_u32_e32 vcc, s2, v11
	s_and_saveexec_b64 s[0:1], vcc
	s_cbranch_execnz .LBB3249_29
	s_branch .LBB3249_30
	.section	.rodata,"a",@progbits
	.p2align	6, 0x0
	.amdhsa_kernel _ZN7rocprim17ROCPRIM_400000_NS6detail17trampoline_kernelINS0_14default_configENS1_38merge_sort_block_merge_config_selectorIlNS0_10empty_typeEEEZZNS1_27merge_sort_block_merge_implIS3_N6thrust23THRUST_200600_302600_NS6detail15normal_iteratorINS9_10device_ptrIlEEEEPS5_m14custom_greaterIlEEE10hipError_tT0_T1_T2_jT3_P12ihipStream_tbPNSt15iterator_traitsISJ_E10value_typeEPNSP_ISK_E10value_typeEPSL_NS1_7vsmem_tEENKUlT_SJ_SK_SL_E_clIPlSE_SF_SF_EESI_SY_SJ_SK_SL_EUlSY_E0_NS1_11comp_targetILNS1_3genE4ELNS1_11target_archE910ELNS1_3gpuE8ELNS1_3repE0EEENS1_38merge_mergepath_config_static_selectorELNS0_4arch9wavefront6targetE1EEEvSK_
		.amdhsa_group_segment_fixed_size 8448
		.amdhsa_private_segment_fixed_size 0
		.amdhsa_kernarg_size 328
		.amdhsa_user_sgpr_count 6
		.amdhsa_user_sgpr_private_segment_buffer 1
		.amdhsa_user_sgpr_dispatch_ptr 0
		.amdhsa_user_sgpr_queue_ptr 0
		.amdhsa_user_sgpr_kernarg_segment_ptr 1
		.amdhsa_user_sgpr_dispatch_id 0
		.amdhsa_user_sgpr_flat_scratch_init 0
		.amdhsa_user_sgpr_kernarg_preload_length 0
		.amdhsa_user_sgpr_kernarg_preload_offset 0
		.amdhsa_user_sgpr_private_segment_size 0
		.amdhsa_uses_dynamic_stack 0
		.amdhsa_system_sgpr_private_segment_wavefront_offset 0
		.amdhsa_system_sgpr_workgroup_id_x 1
		.amdhsa_system_sgpr_workgroup_id_y 1
		.amdhsa_system_sgpr_workgroup_id_z 1
		.amdhsa_system_sgpr_workgroup_info 0
		.amdhsa_system_vgpr_workitem_id 0
		.amdhsa_next_free_vgpr 21
		.amdhsa_next_free_sgpr 31
		.amdhsa_accum_offset 24
		.amdhsa_reserve_vcc 1
		.amdhsa_reserve_flat_scratch 0
		.amdhsa_float_round_mode_32 0
		.amdhsa_float_round_mode_16_64 0
		.amdhsa_float_denorm_mode_32 3
		.amdhsa_float_denorm_mode_16_64 3
		.amdhsa_dx10_clamp 1
		.amdhsa_ieee_mode 1
		.amdhsa_fp16_overflow 0
		.amdhsa_tg_split 0
		.amdhsa_exception_fp_ieee_invalid_op 0
		.amdhsa_exception_fp_denorm_src 0
		.amdhsa_exception_fp_ieee_div_zero 0
		.amdhsa_exception_fp_ieee_overflow 0
		.amdhsa_exception_fp_ieee_underflow 0
		.amdhsa_exception_fp_ieee_inexact 0
		.amdhsa_exception_int_div_zero 0
	.end_amdhsa_kernel
	.section	.text._ZN7rocprim17ROCPRIM_400000_NS6detail17trampoline_kernelINS0_14default_configENS1_38merge_sort_block_merge_config_selectorIlNS0_10empty_typeEEEZZNS1_27merge_sort_block_merge_implIS3_N6thrust23THRUST_200600_302600_NS6detail15normal_iteratorINS9_10device_ptrIlEEEEPS5_m14custom_greaterIlEEE10hipError_tT0_T1_T2_jT3_P12ihipStream_tbPNSt15iterator_traitsISJ_E10value_typeEPNSP_ISK_E10value_typeEPSL_NS1_7vsmem_tEENKUlT_SJ_SK_SL_E_clIPlSE_SF_SF_EESI_SY_SJ_SK_SL_EUlSY_E0_NS1_11comp_targetILNS1_3genE4ELNS1_11target_archE910ELNS1_3gpuE8ELNS1_3repE0EEENS1_38merge_mergepath_config_static_selectorELNS0_4arch9wavefront6targetE1EEEvSK_,"axG",@progbits,_ZN7rocprim17ROCPRIM_400000_NS6detail17trampoline_kernelINS0_14default_configENS1_38merge_sort_block_merge_config_selectorIlNS0_10empty_typeEEEZZNS1_27merge_sort_block_merge_implIS3_N6thrust23THRUST_200600_302600_NS6detail15normal_iteratorINS9_10device_ptrIlEEEEPS5_m14custom_greaterIlEEE10hipError_tT0_T1_T2_jT3_P12ihipStream_tbPNSt15iterator_traitsISJ_E10value_typeEPNSP_ISK_E10value_typeEPSL_NS1_7vsmem_tEENKUlT_SJ_SK_SL_E_clIPlSE_SF_SF_EESI_SY_SJ_SK_SL_EUlSY_E0_NS1_11comp_targetILNS1_3genE4ELNS1_11target_archE910ELNS1_3gpuE8ELNS1_3repE0EEENS1_38merge_mergepath_config_static_selectorELNS0_4arch9wavefront6targetE1EEEvSK_,comdat
.Lfunc_end3249:
	.size	_ZN7rocprim17ROCPRIM_400000_NS6detail17trampoline_kernelINS0_14default_configENS1_38merge_sort_block_merge_config_selectorIlNS0_10empty_typeEEEZZNS1_27merge_sort_block_merge_implIS3_N6thrust23THRUST_200600_302600_NS6detail15normal_iteratorINS9_10device_ptrIlEEEEPS5_m14custom_greaterIlEEE10hipError_tT0_T1_T2_jT3_P12ihipStream_tbPNSt15iterator_traitsISJ_E10value_typeEPNSP_ISK_E10value_typeEPSL_NS1_7vsmem_tEENKUlT_SJ_SK_SL_E_clIPlSE_SF_SF_EESI_SY_SJ_SK_SL_EUlSY_E0_NS1_11comp_targetILNS1_3genE4ELNS1_11target_archE910ELNS1_3gpuE8ELNS1_3repE0EEENS1_38merge_mergepath_config_static_selectorELNS0_4arch9wavefront6targetE1EEEvSK_, .Lfunc_end3249-_ZN7rocprim17ROCPRIM_400000_NS6detail17trampoline_kernelINS0_14default_configENS1_38merge_sort_block_merge_config_selectorIlNS0_10empty_typeEEEZZNS1_27merge_sort_block_merge_implIS3_N6thrust23THRUST_200600_302600_NS6detail15normal_iteratorINS9_10device_ptrIlEEEEPS5_m14custom_greaterIlEEE10hipError_tT0_T1_T2_jT3_P12ihipStream_tbPNSt15iterator_traitsISJ_E10value_typeEPNSP_ISK_E10value_typeEPSL_NS1_7vsmem_tEENKUlT_SJ_SK_SL_E_clIPlSE_SF_SF_EESI_SY_SJ_SK_SL_EUlSY_E0_NS1_11comp_targetILNS1_3genE4ELNS1_11target_archE910ELNS1_3gpuE8ELNS1_3repE0EEENS1_38merge_mergepath_config_static_selectorELNS0_4arch9wavefront6targetE1EEEvSK_
                                        ; -- End function
	.section	.AMDGPU.csdata,"",@progbits
; Kernel info:
; codeLenInByte = 2272
; NumSgprs: 35
; NumVgprs: 21
; NumAgprs: 0
; TotalNumVgprs: 21
; ScratchSize: 0
; MemoryBound: 0
; FloatMode: 240
; IeeeMode: 1
; LDSByteSize: 8448 bytes/workgroup (compile time only)
; SGPRBlocks: 4
; VGPRBlocks: 2
; NumSGPRsForWavesPerEU: 35
; NumVGPRsForWavesPerEU: 21
; AccumOffset: 24
; Occupancy: 7
; WaveLimiterHint : 1
; COMPUTE_PGM_RSRC2:SCRATCH_EN: 0
; COMPUTE_PGM_RSRC2:USER_SGPR: 6
; COMPUTE_PGM_RSRC2:TRAP_HANDLER: 0
; COMPUTE_PGM_RSRC2:TGID_X_EN: 1
; COMPUTE_PGM_RSRC2:TGID_Y_EN: 1
; COMPUTE_PGM_RSRC2:TGID_Z_EN: 1
; COMPUTE_PGM_RSRC2:TIDIG_COMP_CNT: 0
; COMPUTE_PGM_RSRC3_GFX90A:ACCUM_OFFSET: 5
; COMPUTE_PGM_RSRC3_GFX90A:TG_SPLIT: 0
	.section	.text._ZN7rocprim17ROCPRIM_400000_NS6detail17trampoline_kernelINS0_14default_configENS1_38merge_sort_block_merge_config_selectorIlNS0_10empty_typeEEEZZNS1_27merge_sort_block_merge_implIS3_N6thrust23THRUST_200600_302600_NS6detail15normal_iteratorINS9_10device_ptrIlEEEEPS5_m14custom_greaterIlEEE10hipError_tT0_T1_T2_jT3_P12ihipStream_tbPNSt15iterator_traitsISJ_E10value_typeEPNSP_ISK_E10value_typeEPSL_NS1_7vsmem_tEENKUlT_SJ_SK_SL_E_clIPlSE_SF_SF_EESI_SY_SJ_SK_SL_EUlSY_E0_NS1_11comp_targetILNS1_3genE3ELNS1_11target_archE908ELNS1_3gpuE7ELNS1_3repE0EEENS1_38merge_mergepath_config_static_selectorELNS0_4arch9wavefront6targetE1EEEvSK_,"axG",@progbits,_ZN7rocprim17ROCPRIM_400000_NS6detail17trampoline_kernelINS0_14default_configENS1_38merge_sort_block_merge_config_selectorIlNS0_10empty_typeEEEZZNS1_27merge_sort_block_merge_implIS3_N6thrust23THRUST_200600_302600_NS6detail15normal_iteratorINS9_10device_ptrIlEEEEPS5_m14custom_greaterIlEEE10hipError_tT0_T1_T2_jT3_P12ihipStream_tbPNSt15iterator_traitsISJ_E10value_typeEPNSP_ISK_E10value_typeEPSL_NS1_7vsmem_tEENKUlT_SJ_SK_SL_E_clIPlSE_SF_SF_EESI_SY_SJ_SK_SL_EUlSY_E0_NS1_11comp_targetILNS1_3genE3ELNS1_11target_archE908ELNS1_3gpuE7ELNS1_3repE0EEENS1_38merge_mergepath_config_static_selectorELNS0_4arch9wavefront6targetE1EEEvSK_,comdat
	.protected	_ZN7rocprim17ROCPRIM_400000_NS6detail17trampoline_kernelINS0_14default_configENS1_38merge_sort_block_merge_config_selectorIlNS0_10empty_typeEEEZZNS1_27merge_sort_block_merge_implIS3_N6thrust23THRUST_200600_302600_NS6detail15normal_iteratorINS9_10device_ptrIlEEEEPS5_m14custom_greaterIlEEE10hipError_tT0_T1_T2_jT3_P12ihipStream_tbPNSt15iterator_traitsISJ_E10value_typeEPNSP_ISK_E10value_typeEPSL_NS1_7vsmem_tEENKUlT_SJ_SK_SL_E_clIPlSE_SF_SF_EESI_SY_SJ_SK_SL_EUlSY_E0_NS1_11comp_targetILNS1_3genE3ELNS1_11target_archE908ELNS1_3gpuE7ELNS1_3repE0EEENS1_38merge_mergepath_config_static_selectorELNS0_4arch9wavefront6targetE1EEEvSK_ ; -- Begin function _ZN7rocprim17ROCPRIM_400000_NS6detail17trampoline_kernelINS0_14default_configENS1_38merge_sort_block_merge_config_selectorIlNS0_10empty_typeEEEZZNS1_27merge_sort_block_merge_implIS3_N6thrust23THRUST_200600_302600_NS6detail15normal_iteratorINS9_10device_ptrIlEEEEPS5_m14custom_greaterIlEEE10hipError_tT0_T1_T2_jT3_P12ihipStream_tbPNSt15iterator_traitsISJ_E10value_typeEPNSP_ISK_E10value_typeEPSL_NS1_7vsmem_tEENKUlT_SJ_SK_SL_E_clIPlSE_SF_SF_EESI_SY_SJ_SK_SL_EUlSY_E0_NS1_11comp_targetILNS1_3genE3ELNS1_11target_archE908ELNS1_3gpuE7ELNS1_3repE0EEENS1_38merge_mergepath_config_static_selectorELNS0_4arch9wavefront6targetE1EEEvSK_
	.globl	_ZN7rocprim17ROCPRIM_400000_NS6detail17trampoline_kernelINS0_14default_configENS1_38merge_sort_block_merge_config_selectorIlNS0_10empty_typeEEEZZNS1_27merge_sort_block_merge_implIS3_N6thrust23THRUST_200600_302600_NS6detail15normal_iteratorINS9_10device_ptrIlEEEEPS5_m14custom_greaterIlEEE10hipError_tT0_T1_T2_jT3_P12ihipStream_tbPNSt15iterator_traitsISJ_E10value_typeEPNSP_ISK_E10value_typeEPSL_NS1_7vsmem_tEENKUlT_SJ_SK_SL_E_clIPlSE_SF_SF_EESI_SY_SJ_SK_SL_EUlSY_E0_NS1_11comp_targetILNS1_3genE3ELNS1_11target_archE908ELNS1_3gpuE7ELNS1_3repE0EEENS1_38merge_mergepath_config_static_selectorELNS0_4arch9wavefront6targetE1EEEvSK_
	.p2align	8
	.type	_ZN7rocprim17ROCPRIM_400000_NS6detail17trampoline_kernelINS0_14default_configENS1_38merge_sort_block_merge_config_selectorIlNS0_10empty_typeEEEZZNS1_27merge_sort_block_merge_implIS3_N6thrust23THRUST_200600_302600_NS6detail15normal_iteratorINS9_10device_ptrIlEEEEPS5_m14custom_greaterIlEEE10hipError_tT0_T1_T2_jT3_P12ihipStream_tbPNSt15iterator_traitsISJ_E10value_typeEPNSP_ISK_E10value_typeEPSL_NS1_7vsmem_tEENKUlT_SJ_SK_SL_E_clIPlSE_SF_SF_EESI_SY_SJ_SK_SL_EUlSY_E0_NS1_11comp_targetILNS1_3genE3ELNS1_11target_archE908ELNS1_3gpuE7ELNS1_3repE0EEENS1_38merge_mergepath_config_static_selectorELNS0_4arch9wavefront6targetE1EEEvSK_,@function
_ZN7rocprim17ROCPRIM_400000_NS6detail17trampoline_kernelINS0_14default_configENS1_38merge_sort_block_merge_config_selectorIlNS0_10empty_typeEEEZZNS1_27merge_sort_block_merge_implIS3_N6thrust23THRUST_200600_302600_NS6detail15normal_iteratorINS9_10device_ptrIlEEEEPS5_m14custom_greaterIlEEE10hipError_tT0_T1_T2_jT3_P12ihipStream_tbPNSt15iterator_traitsISJ_E10value_typeEPNSP_ISK_E10value_typeEPSL_NS1_7vsmem_tEENKUlT_SJ_SK_SL_E_clIPlSE_SF_SF_EESI_SY_SJ_SK_SL_EUlSY_E0_NS1_11comp_targetILNS1_3genE3ELNS1_11target_archE908ELNS1_3gpuE7ELNS1_3repE0EEENS1_38merge_mergepath_config_static_selectorELNS0_4arch9wavefront6targetE1EEEvSK_: ; @_ZN7rocprim17ROCPRIM_400000_NS6detail17trampoline_kernelINS0_14default_configENS1_38merge_sort_block_merge_config_selectorIlNS0_10empty_typeEEEZZNS1_27merge_sort_block_merge_implIS3_N6thrust23THRUST_200600_302600_NS6detail15normal_iteratorINS9_10device_ptrIlEEEEPS5_m14custom_greaterIlEEE10hipError_tT0_T1_T2_jT3_P12ihipStream_tbPNSt15iterator_traitsISJ_E10value_typeEPNSP_ISK_E10value_typeEPSL_NS1_7vsmem_tEENKUlT_SJ_SK_SL_E_clIPlSE_SF_SF_EESI_SY_SJ_SK_SL_EUlSY_E0_NS1_11comp_targetILNS1_3genE3ELNS1_11target_archE908ELNS1_3gpuE7ELNS1_3repE0EEENS1_38merge_mergepath_config_static_selectorELNS0_4arch9wavefront6targetE1EEEvSK_
; %bb.0:
	.section	.rodata,"a",@progbits
	.p2align	6, 0x0
	.amdhsa_kernel _ZN7rocprim17ROCPRIM_400000_NS6detail17trampoline_kernelINS0_14default_configENS1_38merge_sort_block_merge_config_selectorIlNS0_10empty_typeEEEZZNS1_27merge_sort_block_merge_implIS3_N6thrust23THRUST_200600_302600_NS6detail15normal_iteratorINS9_10device_ptrIlEEEEPS5_m14custom_greaterIlEEE10hipError_tT0_T1_T2_jT3_P12ihipStream_tbPNSt15iterator_traitsISJ_E10value_typeEPNSP_ISK_E10value_typeEPSL_NS1_7vsmem_tEENKUlT_SJ_SK_SL_E_clIPlSE_SF_SF_EESI_SY_SJ_SK_SL_EUlSY_E0_NS1_11comp_targetILNS1_3genE3ELNS1_11target_archE908ELNS1_3gpuE7ELNS1_3repE0EEENS1_38merge_mergepath_config_static_selectorELNS0_4arch9wavefront6targetE1EEEvSK_
		.amdhsa_group_segment_fixed_size 0
		.amdhsa_private_segment_fixed_size 0
		.amdhsa_kernarg_size 72
		.amdhsa_user_sgpr_count 6
		.amdhsa_user_sgpr_private_segment_buffer 1
		.amdhsa_user_sgpr_dispatch_ptr 0
		.amdhsa_user_sgpr_queue_ptr 0
		.amdhsa_user_sgpr_kernarg_segment_ptr 1
		.amdhsa_user_sgpr_dispatch_id 0
		.amdhsa_user_sgpr_flat_scratch_init 0
		.amdhsa_user_sgpr_kernarg_preload_length 0
		.amdhsa_user_sgpr_kernarg_preload_offset 0
		.amdhsa_user_sgpr_private_segment_size 0
		.amdhsa_uses_dynamic_stack 0
		.amdhsa_system_sgpr_private_segment_wavefront_offset 0
		.amdhsa_system_sgpr_workgroup_id_x 1
		.amdhsa_system_sgpr_workgroup_id_y 0
		.amdhsa_system_sgpr_workgroup_id_z 0
		.amdhsa_system_sgpr_workgroup_info 0
		.amdhsa_system_vgpr_workitem_id 0
		.amdhsa_next_free_vgpr 1
		.amdhsa_next_free_sgpr 0
		.amdhsa_accum_offset 4
		.amdhsa_reserve_vcc 0
		.amdhsa_reserve_flat_scratch 0
		.amdhsa_float_round_mode_32 0
		.amdhsa_float_round_mode_16_64 0
		.amdhsa_float_denorm_mode_32 3
		.amdhsa_float_denorm_mode_16_64 3
		.amdhsa_dx10_clamp 1
		.amdhsa_ieee_mode 1
		.amdhsa_fp16_overflow 0
		.amdhsa_tg_split 0
		.amdhsa_exception_fp_ieee_invalid_op 0
		.amdhsa_exception_fp_denorm_src 0
		.amdhsa_exception_fp_ieee_div_zero 0
		.amdhsa_exception_fp_ieee_overflow 0
		.amdhsa_exception_fp_ieee_underflow 0
		.amdhsa_exception_fp_ieee_inexact 0
		.amdhsa_exception_int_div_zero 0
	.end_amdhsa_kernel
	.section	.text._ZN7rocprim17ROCPRIM_400000_NS6detail17trampoline_kernelINS0_14default_configENS1_38merge_sort_block_merge_config_selectorIlNS0_10empty_typeEEEZZNS1_27merge_sort_block_merge_implIS3_N6thrust23THRUST_200600_302600_NS6detail15normal_iteratorINS9_10device_ptrIlEEEEPS5_m14custom_greaterIlEEE10hipError_tT0_T1_T2_jT3_P12ihipStream_tbPNSt15iterator_traitsISJ_E10value_typeEPNSP_ISK_E10value_typeEPSL_NS1_7vsmem_tEENKUlT_SJ_SK_SL_E_clIPlSE_SF_SF_EESI_SY_SJ_SK_SL_EUlSY_E0_NS1_11comp_targetILNS1_3genE3ELNS1_11target_archE908ELNS1_3gpuE7ELNS1_3repE0EEENS1_38merge_mergepath_config_static_selectorELNS0_4arch9wavefront6targetE1EEEvSK_,"axG",@progbits,_ZN7rocprim17ROCPRIM_400000_NS6detail17trampoline_kernelINS0_14default_configENS1_38merge_sort_block_merge_config_selectorIlNS0_10empty_typeEEEZZNS1_27merge_sort_block_merge_implIS3_N6thrust23THRUST_200600_302600_NS6detail15normal_iteratorINS9_10device_ptrIlEEEEPS5_m14custom_greaterIlEEE10hipError_tT0_T1_T2_jT3_P12ihipStream_tbPNSt15iterator_traitsISJ_E10value_typeEPNSP_ISK_E10value_typeEPSL_NS1_7vsmem_tEENKUlT_SJ_SK_SL_E_clIPlSE_SF_SF_EESI_SY_SJ_SK_SL_EUlSY_E0_NS1_11comp_targetILNS1_3genE3ELNS1_11target_archE908ELNS1_3gpuE7ELNS1_3repE0EEENS1_38merge_mergepath_config_static_selectorELNS0_4arch9wavefront6targetE1EEEvSK_,comdat
.Lfunc_end3250:
	.size	_ZN7rocprim17ROCPRIM_400000_NS6detail17trampoline_kernelINS0_14default_configENS1_38merge_sort_block_merge_config_selectorIlNS0_10empty_typeEEEZZNS1_27merge_sort_block_merge_implIS3_N6thrust23THRUST_200600_302600_NS6detail15normal_iteratorINS9_10device_ptrIlEEEEPS5_m14custom_greaterIlEEE10hipError_tT0_T1_T2_jT3_P12ihipStream_tbPNSt15iterator_traitsISJ_E10value_typeEPNSP_ISK_E10value_typeEPSL_NS1_7vsmem_tEENKUlT_SJ_SK_SL_E_clIPlSE_SF_SF_EESI_SY_SJ_SK_SL_EUlSY_E0_NS1_11comp_targetILNS1_3genE3ELNS1_11target_archE908ELNS1_3gpuE7ELNS1_3repE0EEENS1_38merge_mergepath_config_static_selectorELNS0_4arch9wavefront6targetE1EEEvSK_, .Lfunc_end3250-_ZN7rocprim17ROCPRIM_400000_NS6detail17trampoline_kernelINS0_14default_configENS1_38merge_sort_block_merge_config_selectorIlNS0_10empty_typeEEEZZNS1_27merge_sort_block_merge_implIS3_N6thrust23THRUST_200600_302600_NS6detail15normal_iteratorINS9_10device_ptrIlEEEEPS5_m14custom_greaterIlEEE10hipError_tT0_T1_T2_jT3_P12ihipStream_tbPNSt15iterator_traitsISJ_E10value_typeEPNSP_ISK_E10value_typeEPSL_NS1_7vsmem_tEENKUlT_SJ_SK_SL_E_clIPlSE_SF_SF_EESI_SY_SJ_SK_SL_EUlSY_E0_NS1_11comp_targetILNS1_3genE3ELNS1_11target_archE908ELNS1_3gpuE7ELNS1_3repE0EEENS1_38merge_mergepath_config_static_selectorELNS0_4arch9wavefront6targetE1EEEvSK_
                                        ; -- End function
	.section	.AMDGPU.csdata,"",@progbits
; Kernel info:
; codeLenInByte = 0
; NumSgprs: 4
; NumVgprs: 0
; NumAgprs: 0
; TotalNumVgprs: 0
; ScratchSize: 0
; MemoryBound: 0
; FloatMode: 240
; IeeeMode: 1
; LDSByteSize: 0 bytes/workgroup (compile time only)
; SGPRBlocks: 0
; VGPRBlocks: 0
; NumSGPRsForWavesPerEU: 4
; NumVGPRsForWavesPerEU: 1
; AccumOffset: 4
; Occupancy: 8
; WaveLimiterHint : 0
; COMPUTE_PGM_RSRC2:SCRATCH_EN: 0
; COMPUTE_PGM_RSRC2:USER_SGPR: 6
; COMPUTE_PGM_RSRC2:TRAP_HANDLER: 0
; COMPUTE_PGM_RSRC2:TGID_X_EN: 1
; COMPUTE_PGM_RSRC2:TGID_Y_EN: 0
; COMPUTE_PGM_RSRC2:TGID_Z_EN: 0
; COMPUTE_PGM_RSRC2:TIDIG_COMP_CNT: 0
; COMPUTE_PGM_RSRC3_GFX90A:ACCUM_OFFSET: 0
; COMPUTE_PGM_RSRC3_GFX90A:TG_SPLIT: 0
	.section	.text._ZN7rocprim17ROCPRIM_400000_NS6detail17trampoline_kernelINS0_14default_configENS1_38merge_sort_block_merge_config_selectorIlNS0_10empty_typeEEEZZNS1_27merge_sort_block_merge_implIS3_N6thrust23THRUST_200600_302600_NS6detail15normal_iteratorINS9_10device_ptrIlEEEEPS5_m14custom_greaterIlEEE10hipError_tT0_T1_T2_jT3_P12ihipStream_tbPNSt15iterator_traitsISJ_E10value_typeEPNSP_ISK_E10value_typeEPSL_NS1_7vsmem_tEENKUlT_SJ_SK_SL_E_clIPlSE_SF_SF_EESI_SY_SJ_SK_SL_EUlSY_E0_NS1_11comp_targetILNS1_3genE2ELNS1_11target_archE906ELNS1_3gpuE6ELNS1_3repE0EEENS1_38merge_mergepath_config_static_selectorELNS0_4arch9wavefront6targetE1EEEvSK_,"axG",@progbits,_ZN7rocprim17ROCPRIM_400000_NS6detail17trampoline_kernelINS0_14default_configENS1_38merge_sort_block_merge_config_selectorIlNS0_10empty_typeEEEZZNS1_27merge_sort_block_merge_implIS3_N6thrust23THRUST_200600_302600_NS6detail15normal_iteratorINS9_10device_ptrIlEEEEPS5_m14custom_greaterIlEEE10hipError_tT0_T1_T2_jT3_P12ihipStream_tbPNSt15iterator_traitsISJ_E10value_typeEPNSP_ISK_E10value_typeEPSL_NS1_7vsmem_tEENKUlT_SJ_SK_SL_E_clIPlSE_SF_SF_EESI_SY_SJ_SK_SL_EUlSY_E0_NS1_11comp_targetILNS1_3genE2ELNS1_11target_archE906ELNS1_3gpuE6ELNS1_3repE0EEENS1_38merge_mergepath_config_static_selectorELNS0_4arch9wavefront6targetE1EEEvSK_,comdat
	.protected	_ZN7rocprim17ROCPRIM_400000_NS6detail17trampoline_kernelINS0_14default_configENS1_38merge_sort_block_merge_config_selectorIlNS0_10empty_typeEEEZZNS1_27merge_sort_block_merge_implIS3_N6thrust23THRUST_200600_302600_NS6detail15normal_iteratorINS9_10device_ptrIlEEEEPS5_m14custom_greaterIlEEE10hipError_tT0_T1_T2_jT3_P12ihipStream_tbPNSt15iterator_traitsISJ_E10value_typeEPNSP_ISK_E10value_typeEPSL_NS1_7vsmem_tEENKUlT_SJ_SK_SL_E_clIPlSE_SF_SF_EESI_SY_SJ_SK_SL_EUlSY_E0_NS1_11comp_targetILNS1_3genE2ELNS1_11target_archE906ELNS1_3gpuE6ELNS1_3repE0EEENS1_38merge_mergepath_config_static_selectorELNS0_4arch9wavefront6targetE1EEEvSK_ ; -- Begin function _ZN7rocprim17ROCPRIM_400000_NS6detail17trampoline_kernelINS0_14default_configENS1_38merge_sort_block_merge_config_selectorIlNS0_10empty_typeEEEZZNS1_27merge_sort_block_merge_implIS3_N6thrust23THRUST_200600_302600_NS6detail15normal_iteratorINS9_10device_ptrIlEEEEPS5_m14custom_greaterIlEEE10hipError_tT0_T1_T2_jT3_P12ihipStream_tbPNSt15iterator_traitsISJ_E10value_typeEPNSP_ISK_E10value_typeEPSL_NS1_7vsmem_tEENKUlT_SJ_SK_SL_E_clIPlSE_SF_SF_EESI_SY_SJ_SK_SL_EUlSY_E0_NS1_11comp_targetILNS1_3genE2ELNS1_11target_archE906ELNS1_3gpuE6ELNS1_3repE0EEENS1_38merge_mergepath_config_static_selectorELNS0_4arch9wavefront6targetE1EEEvSK_
	.globl	_ZN7rocprim17ROCPRIM_400000_NS6detail17trampoline_kernelINS0_14default_configENS1_38merge_sort_block_merge_config_selectorIlNS0_10empty_typeEEEZZNS1_27merge_sort_block_merge_implIS3_N6thrust23THRUST_200600_302600_NS6detail15normal_iteratorINS9_10device_ptrIlEEEEPS5_m14custom_greaterIlEEE10hipError_tT0_T1_T2_jT3_P12ihipStream_tbPNSt15iterator_traitsISJ_E10value_typeEPNSP_ISK_E10value_typeEPSL_NS1_7vsmem_tEENKUlT_SJ_SK_SL_E_clIPlSE_SF_SF_EESI_SY_SJ_SK_SL_EUlSY_E0_NS1_11comp_targetILNS1_3genE2ELNS1_11target_archE906ELNS1_3gpuE6ELNS1_3repE0EEENS1_38merge_mergepath_config_static_selectorELNS0_4arch9wavefront6targetE1EEEvSK_
	.p2align	8
	.type	_ZN7rocprim17ROCPRIM_400000_NS6detail17trampoline_kernelINS0_14default_configENS1_38merge_sort_block_merge_config_selectorIlNS0_10empty_typeEEEZZNS1_27merge_sort_block_merge_implIS3_N6thrust23THRUST_200600_302600_NS6detail15normal_iteratorINS9_10device_ptrIlEEEEPS5_m14custom_greaterIlEEE10hipError_tT0_T1_T2_jT3_P12ihipStream_tbPNSt15iterator_traitsISJ_E10value_typeEPNSP_ISK_E10value_typeEPSL_NS1_7vsmem_tEENKUlT_SJ_SK_SL_E_clIPlSE_SF_SF_EESI_SY_SJ_SK_SL_EUlSY_E0_NS1_11comp_targetILNS1_3genE2ELNS1_11target_archE906ELNS1_3gpuE6ELNS1_3repE0EEENS1_38merge_mergepath_config_static_selectorELNS0_4arch9wavefront6targetE1EEEvSK_,@function
_ZN7rocprim17ROCPRIM_400000_NS6detail17trampoline_kernelINS0_14default_configENS1_38merge_sort_block_merge_config_selectorIlNS0_10empty_typeEEEZZNS1_27merge_sort_block_merge_implIS3_N6thrust23THRUST_200600_302600_NS6detail15normal_iteratorINS9_10device_ptrIlEEEEPS5_m14custom_greaterIlEEE10hipError_tT0_T1_T2_jT3_P12ihipStream_tbPNSt15iterator_traitsISJ_E10value_typeEPNSP_ISK_E10value_typeEPSL_NS1_7vsmem_tEENKUlT_SJ_SK_SL_E_clIPlSE_SF_SF_EESI_SY_SJ_SK_SL_EUlSY_E0_NS1_11comp_targetILNS1_3genE2ELNS1_11target_archE906ELNS1_3gpuE6ELNS1_3repE0EEENS1_38merge_mergepath_config_static_selectorELNS0_4arch9wavefront6targetE1EEEvSK_: ; @_ZN7rocprim17ROCPRIM_400000_NS6detail17trampoline_kernelINS0_14default_configENS1_38merge_sort_block_merge_config_selectorIlNS0_10empty_typeEEEZZNS1_27merge_sort_block_merge_implIS3_N6thrust23THRUST_200600_302600_NS6detail15normal_iteratorINS9_10device_ptrIlEEEEPS5_m14custom_greaterIlEEE10hipError_tT0_T1_T2_jT3_P12ihipStream_tbPNSt15iterator_traitsISJ_E10value_typeEPNSP_ISK_E10value_typeEPSL_NS1_7vsmem_tEENKUlT_SJ_SK_SL_E_clIPlSE_SF_SF_EESI_SY_SJ_SK_SL_EUlSY_E0_NS1_11comp_targetILNS1_3genE2ELNS1_11target_archE906ELNS1_3gpuE6ELNS1_3repE0EEENS1_38merge_mergepath_config_static_selectorELNS0_4arch9wavefront6targetE1EEEvSK_
; %bb.0:
	.section	.rodata,"a",@progbits
	.p2align	6, 0x0
	.amdhsa_kernel _ZN7rocprim17ROCPRIM_400000_NS6detail17trampoline_kernelINS0_14default_configENS1_38merge_sort_block_merge_config_selectorIlNS0_10empty_typeEEEZZNS1_27merge_sort_block_merge_implIS3_N6thrust23THRUST_200600_302600_NS6detail15normal_iteratorINS9_10device_ptrIlEEEEPS5_m14custom_greaterIlEEE10hipError_tT0_T1_T2_jT3_P12ihipStream_tbPNSt15iterator_traitsISJ_E10value_typeEPNSP_ISK_E10value_typeEPSL_NS1_7vsmem_tEENKUlT_SJ_SK_SL_E_clIPlSE_SF_SF_EESI_SY_SJ_SK_SL_EUlSY_E0_NS1_11comp_targetILNS1_3genE2ELNS1_11target_archE906ELNS1_3gpuE6ELNS1_3repE0EEENS1_38merge_mergepath_config_static_selectorELNS0_4arch9wavefront6targetE1EEEvSK_
		.amdhsa_group_segment_fixed_size 0
		.amdhsa_private_segment_fixed_size 0
		.amdhsa_kernarg_size 72
		.amdhsa_user_sgpr_count 6
		.amdhsa_user_sgpr_private_segment_buffer 1
		.amdhsa_user_sgpr_dispatch_ptr 0
		.amdhsa_user_sgpr_queue_ptr 0
		.amdhsa_user_sgpr_kernarg_segment_ptr 1
		.amdhsa_user_sgpr_dispatch_id 0
		.amdhsa_user_sgpr_flat_scratch_init 0
		.amdhsa_user_sgpr_kernarg_preload_length 0
		.amdhsa_user_sgpr_kernarg_preload_offset 0
		.amdhsa_user_sgpr_private_segment_size 0
		.amdhsa_uses_dynamic_stack 0
		.amdhsa_system_sgpr_private_segment_wavefront_offset 0
		.amdhsa_system_sgpr_workgroup_id_x 1
		.amdhsa_system_sgpr_workgroup_id_y 0
		.amdhsa_system_sgpr_workgroup_id_z 0
		.amdhsa_system_sgpr_workgroup_info 0
		.amdhsa_system_vgpr_workitem_id 0
		.amdhsa_next_free_vgpr 1
		.amdhsa_next_free_sgpr 0
		.amdhsa_accum_offset 4
		.amdhsa_reserve_vcc 0
		.amdhsa_reserve_flat_scratch 0
		.amdhsa_float_round_mode_32 0
		.amdhsa_float_round_mode_16_64 0
		.amdhsa_float_denorm_mode_32 3
		.amdhsa_float_denorm_mode_16_64 3
		.amdhsa_dx10_clamp 1
		.amdhsa_ieee_mode 1
		.amdhsa_fp16_overflow 0
		.amdhsa_tg_split 0
		.amdhsa_exception_fp_ieee_invalid_op 0
		.amdhsa_exception_fp_denorm_src 0
		.amdhsa_exception_fp_ieee_div_zero 0
		.amdhsa_exception_fp_ieee_overflow 0
		.amdhsa_exception_fp_ieee_underflow 0
		.amdhsa_exception_fp_ieee_inexact 0
		.amdhsa_exception_int_div_zero 0
	.end_amdhsa_kernel
	.section	.text._ZN7rocprim17ROCPRIM_400000_NS6detail17trampoline_kernelINS0_14default_configENS1_38merge_sort_block_merge_config_selectorIlNS0_10empty_typeEEEZZNS1_27merge_sort_block_merge_implIS3_N6thrust23THRUST_200600_302600_NS6detail15normal_iteratorINS9_10device_ptrIlEEEEPS5_m14custom_greaterIlEEE10hipError_tT0_T1_T2_jT3_P12ihipStream_tbPNSt15iterator_traitsISJ_E10value_typeEPNSP_ISK_E10value_typeEPSL_NS1_7vsmem_tEENKUlT_SJ_SK_SL_E_clIPlSE_SF_SF_EESI_SY_SJ_SK_SL_EUlSY_E0_NS1_11comp_targetILNS1_3genE2ELNS1_11target_archE906ELNS1_3gpuE6ELNS1_3repE0EEENS1_38merge_mergepath_config_static_selectorELNS0_4arch9wavefront6targetE1EEEvSK_,"axG",@progbits,_ZN7rocprim17ROCPRIM_400000_NS6detail17trampoline_kernelINS0_14default_configENS1_38merge_sort_block_merge_config_selectorIlNS0_10empty_typeEEEZZNS1_27merge_sort_block_merge_implIS3_N6thrust23THRUST_200600_302600_NS6detail15normal_iteratorINS9_10device_ptrIlEEEEPS5_m14custom_greaterIlEEE10hipError_tT0_T1_T2_jT3_P12ihipStream_tbPNSt15iterator_traitsISJ_E10value_typeEPNSP_ISK_E10value_typeEPSL_NS1_7vsmem_tEENKUlT_SJ_SK_SL_E_clIPlSE_SF_SF_EESI_SY_SJ_SK_SL_EUlSY_E0_NS1_11comp_targetILNS1_3genE2ELNS1_11target_archE906ELNS1_3gpuE6ELNS1_3repE0EEENS1_38merge_mergepath_config_static_selectorELNS0_4arch9wavefront6targetE1EEEvSK_,comdat
.Lfunc_end3251:
	.size	_ZN7rocprim17ROCPRIM_400000_NS6detail17trampoline_kernelINS0_14default_configENS1_38merge_sort_block_merge_config_selectorIlNS0_10empty_typeEEEZZNS1_27merge_sort_block_merge_implIS3_N6thrust23THRUST_200600_302600_NS6detail15normal_iteratorINS9_10device_ptrIlEEEEPS5_m14custom_greaterIlEEE10hipError_tT0_T1_T2_jT3_P12ihipStream_tbPNSt15iterator_traitsISJ_E10value_typeEPNSP_ISK_E10value_typeEPSL_NS1_7vsmem_tEENKUlT_SJ_SK_SL_E_clIPlSE_SF_SF_EESI_SY_SJ_SK_SL_EUlSY_E0_NS1_11comp_targetILNS1_3genE2ELNS1_11target_archE906ELNS1_3gpuE6ELNS1_3repE0EEENS1_38merge_mergepath_config_static_selectorELNS0_4arch9wavefront6targetE1EEEvSK_, .Lfunc_end3251-_ZN7rocprim17ROCPRIM_400000_NS6detail17trampoline_kernelINS0_14default_configENS1_38merge_sort_block_merge_config_selectorIlNS0_10empty_typeEEEZZNS1_27merge_sort_block_merge_implIS3_N6thrust23THRUST_200600_302600_NS6detail15normal_iteratorINS9_10device_ptrIlEEEEPS5_m14custom_greaterIlEEE10hipError_tT0_T1_T2_jT3_P12ihipStream_tbPNSt15iterator_traitsISJ_E10value_typeEPNSP_ISK_E10value_typeEPSL_NS1_7vsmem_tEENKUlT_SJ_SK_SL_E_clIPlSE_SF_SF_EESI_SY_SJ_SK_SL_EUlSY_E0_NS1_11comp_targetILNS1_3genE2ELNS1_11target_archE906ELNS1_3gpuE6ELNS1_3repE0EEENS1_38merge_mergepath_config_static_selectorELNS0_4arch9wavefront6targetE1EEEvSK_
                                        ; -- End function
	.section	.AMDGPU.csdata,"",@progbits
; Kernel info:
; codeLenInByte = 0
; NumSgprs: 4
; NumVgprs: 0
; NumAgprs: 0
; TotalNumVgprs: 0
; ScratchSize: 0
; MemoryBound: 0
; FloatMode: 240
; IeeeMode: 1
; LDSByteSize: 0 bytes/workgroup (compile time only)
; SGPRBlocks: 0
; VGPRBlocks: 0
; NumSGPRsForWavesPerEU: 4
; NumVGPRsForWavesPerEU: 1
; AccumOffset: 4
; Occupancy: 8
; WaveLimiterHint : 0
; COMPUTE_PGM_RSRC2:SCRATCH_EN: 0
; COMPUTE_PGM_RSRC2:USER_SGPR: 6
; COMPUTE_PGM_RSRC2:TRAP_HANDLER: 0
; COMPUTE_PGM_RSRC2:TGID_X_EN: 1
; COMPUTE_PGM_RSRC2:TGID_Y_EN: 0
; COMPUTE_PGM_RSRC2:TGID_Z_EN: 0
; COMPUTE_PGM_RSRC2:TIDIG_COMP_CNT: 0
; COMPUTE_PGM_RSRC3_GFX90A:ACCUM_OFFSET: 0
; COMPUTE_PGM_RSRC3_GFX90A:TG_SPLIT: 0
	.section	.text._ZN7rocprim17ROCPRIM_400000_NS6detail17trampoline_kernelINS0_14default_configENS1_38merge_sort_block_merge_config_selectorIlNS0_10empty_typeEEEZZNS1_27merge_sort_block_merge_implIS3_N6thrust23THRUST_200600_302600_NS6detail15normal_iteratorINS9_10device_ptrIlEEEEPS5_m14custom_greaterIlEEE10hipError_tT0_T1_T2_jT3_P12ihipStream_tbPNSt15iterator_traitsISJ_E10value_typeEPNSP_ISK_E10value_typeEPSL_NS1_7vsmem_tEENKUlT_SJ_SK_SL_E_clIPlSE_SF_SF_EESI_SY_SJ_SK_SL_EUlSY_E0_NS1_11comp_targetILNS1_3genE9ELNS1_11target_archE1100ELNS1_3gpuE3ELNS1_3repE0EEENS1_38merge_mergepath_config_static_selectorELNS0_4arch9wavefront6targetE1EEEvSK_,"axG",@progbits,_ZN7rocprim17ROCPRIM_400000_NS6detail17trampoline_kernelINS0_14default_configENS1_38merge_sort_block_merge_config_selectorIlNS0_10empty_typeEEEZZNS1_27merge_sort_block_merge_implIS3_N6thrust23THRUST_200600_302600_NS6detail15normal_iteratorINS9_10device_ptrIlEEEEPS5_m14custom_greaterIlEEE10hipError_tT0_T1_T2_jT3_P12ihipStream_tbPNSt15iterator_traitsISJ_E10value_typeEPNSP_ISK_E10value_typeEPSL_NS1_7vsmem_tEENKUlT_SJ_SK_SL_E_clIPlSE_SF_SF_EESI_SY_SJ_SK_SL_EUlSY_E0_NS1_11comp_targetILNS1_3genE9ELNS1_11target_archE1100ELNS1_3gpuE3ELNS1_3repE0EEENS1_38merge_mergepath_config_static_selectorELNS0_4arch9wavefront6targetE1EEEvSK_,comdat
	.protected	_ZN7rocprim17ROCPRIM_400000_NS6detail17trampoline_kernelINS0_14default_configENS1_38merge_sort_block_merge_config_selectorIlNS0_10empty_typeEEEZZNS1_27merge_sort_block_merge_implIS3_N6thrust23THRUST_200600_302600_NS6detail15normal_iteratorINS9_10device_ptrIlEEEEPS5_m14custom_greaterIlEEE10hipError_tT0_T1_T2_jT3_P12ihipStream_tbPNSt15iterator_traitsISJ_E10value_typeEPNSP_ISK_E10value_typeEPSL_NS1_7vsmem_tEENKUlT_SJ_SK_SL_E_clIPlSE_SF_SF_EESI_SY_SJ_SK_SL_EUlSY_E0_NS1_11comp_targetILNS1_3genE9ELNS1_11target_archE1100ELNS1_3gpuE3ELNS1_3repE0EEENS1_38merge_mergepath_config_static_selectorELNS0_4arch9wavefront6targetE1EEEvSK_ ; -- Begin function _ZN7rocprim17ROCPRIM_400000_NS6detail17trampoline_kernelINS0_14default_configENS1_38merge_sort_block_merge_config_selectorIlNS0_10empty_typeEEEZZNS1_27merge_sort_block_merge_implIS3_N6thrust23THRUST_200600_302600_NS6detail15normal_iteratorINS9_10device_ptrIlEEEEPS5_m14custom_greaterIlEEE10hipError_tT0_T1_T2_jT3_P12ihipStream_tbPNSt15iterator_traitsISJ_E10value_typeEPNSP_ISK_E10value_typeEPSL_NS1_7vsmem_tEENKUlT_SJ_SK_SL_E_clIPlSE_SF_SF_EESI_SY_SJ_SK_SL_EUlSY_E0_NS1_11comp_targetILNS1_3genE9ELNS1_11target_archE1100ELNS1_3gpuE3ELNS1_3repE0EEENS1_38merge_mergepath_config_static_selectorELNS0_4arch9wavefront6targetE1EEEvSK_
	.globl	_ZN7rocprim17ROCPRIM_400000_NS6detail17trampoline_kernelINS0_14default_configENS1_38merge_sort_block_merge_config_selectorIlNS0_10empty_typeEEEZZNS1_27merge_sort_block_merge_implIS3_N6thrust23THRUST_200600_302600_NS6detail15normal_iteratorINS9_10device_ptrIlEEEEPS5_m14custom_greaterIlEEE10hipError_tT0_T1_T2_jT3_P12ihipStream_tbPNSt15iterator_traitsISJ_E10value_typeEPNSP_ISK_E10value_typeEPSL_NS1_7vsmem_tEENKUlT_SJ_SK_SL_E_clIPlSE_SF_SF_EESI_SY_SJ_SK_SL_EUlSY_E0_NS1_11comp_targetILNS1_3genE9ELNS1_11target_archE1100ELNS1_3gpuE3ELNS1_3repE0EEENS1_38merge_mergepath_config_static_selectorELNS0_4arch9wavefront6targetE1EEEvSK_
	.p2align	8
	.type	_ZN7rocprim17ROCPRIM_400000_NS6detail17trampoline_kernelINS0_14default_configENS1_38merge_sort_block_merge_config_selectorIlNS0_10empty_typeEEEZZNS1_27merge_sort_block_merge_implIS3_N6thrust23THRUST_200600_302600_NS6detail15normal_iteratorINS9_10device_ptrIlEEEEPS5_m14custom_greaterIlEEE10hipError_tT0_T1_T2_jT3_P12ihipStream_tbPNSt15iterator_traitsISJ_E10value_typeEPNSP_ISK_E10value_typeEPSL_NS1_7vsmem_tEENKUlT_SJ_SK_SL_E_clIPlSE_SF_SF_EESI_SY_SJ_SK_SL_EUlSY_E0_NS1_11comp_targetILNS1_3genE9ELNS1_11target_archE1100ELNS1_3gpuE3ELNS1_3repE0EEENS1_38merge_mergepath_config_static_selectorELNS0_4arch9wavefront6targetE1EEEvSK_,@function
_ZN7rocprim17ROCPRIM_400000_NS6detail17trampoline_kernelINS0_14default_configENS1_38merge_sort_block_merge_config_selectorIlNS0_10empty_typeEEEZZNS1_27merge_sort_block_merge_implIS3_N6thrust23THRUST_200600_302600_NS6detail15normal_iteratorINS9_10device_ptrIlEEEEPS5_m14custom_greaterIlEEE10hipError_tT0_T1_T2_jT3_P12ihipStream_tbPNSt15iterator_traitsISJ_E10value_typeEPNSP_ISK_E10value_typeEPSL_NS1_7vsmem_tEENKUlT_SJ_SK_SL_E_clIPlSE_SF_SF_EESI_SY_SJ_SK_SL_EUlSY_E0_NS1_11comp_targetILNS1_3genE9ELNS1_11target_archE1100ELNS1_3gpuE3ELNS1_3repE0EEENS1_38merge_mergepath_config_static_selectorELNS0_4arch9wavefront6targetE1EEEvSK_: ; @_ZN7rocprim17ROCPRIM_400000_NS6detail17trampoline_kernelINS0_14default_configENS1_38merge_sort_block_merge_config_selectorIlNS0_10empty_typeEEEZZNS1_27merge_sort_block_merge_implIS3_N6thrust23THRUST_200600_302600_NS6detail15normal_iteratorINS9_10device_ptrIlEEEEPS5_m14custom_greaterIlEEE10hipError_tT0_T1_T2_jT3_P12ihipStream_tbPNSt15iterator_traitsISJ_E10value_typeEPNSP_ISK_E10value_typeEPSL_NS1_7vsmem_tEENKUlT_SJ_SK_SL_E_clIPlSE_SF_SF_EESI_SY_SJ_SK_SL_EUlSY_E0_NS1_11comp_targetILNS1_3genE9ELNS1_11target_archE1100ELNS1_3gpuE3ELNS1_3repE0EEENS1_38merge_mergepath_config_static_selectorELNS0_4arch9wavefront6targetE1EEEvSK_
; %bb.0:
	.section	.rodata,"a",@progbits
	.p2align	6, 0x0
	.amdhsa_kernel _ZN7rocprim17ROCPRIM_400000_NS6detail17trampoline_kernelINS0_14default_configENS1_38merge_sort_block_merge_config_selectorIlNS0_10empty_typeEEEZZNS1_27merge_sort_block_merge_implIS3_N6thrust23THRUST_200600_302600_NS6detail15normal_iteratorINS9_10device_ptrIlEEEEPS5_m14custom_greaterIlEEE10hipError_tT0_T1_T2_jT3_P12ihipStream_tbPNSt15iterator_traitsISJ_E10value_typeEPNSP_ISK_E10value_typeEPSL_NS1_7vsmem_tEENKUlT_SJ_SK_SL_E_clIPlSE_SF_SF_EESI_SY_SJ_SK_SL_EUlSY_E0_NS1_11comp_targetILNS1_3genE9ELNS1_11target_archE1100ELNS1_3gpuE3ELNS1_3repE0EEENS1_38merge_mergepath_config_static_selectorELNS0_4arch9wavefront6targetE1EEEvSK_
		.amdhsa_group_segment_fixed_size 0
		.amdhsa_private_segment_fixed_size 0
		.amdhsa_kernarg_size 72
		.amdhsa_user_sgpr_count 6
		.amdhsa_user_sgpr_private_segment_buffer 1
		.amdhsa_user_sgpr_dispatch_ptr 0
		.amdhsa_user_sgpr_queue_ptr 0
		.amdhsa_user_sgpr_kernarg_segment_ptr 1
		.amdhsa_user_sgpr_dispatch_id 0
		.amdhsa_user_sgpr_flat_scratch_init 0
		.amdhsa_user_sgpr_kernarg_preload_length 0
		.amdhsa_user_sgpr_kernarg_preload_offset 0
		.amdhsa_user_sgpr_private_segment_size 0
		.amdhsa_uses_dynamic_stack 0
		.amdhsa_system_sgpr_private_segment_wavefront_offset 0
		.amdhsa_system_sgpr_workgroup_id_x 1
		.amdhsa_system_sgpr_workgroup_id_y 0
		.amdhsa_system_sgpr_workgroup_id_z 0
		.amdhsa_system_sgpr_workgroup_info 0
		.amdhsa_system_vgpr_workitem_id 0
		.amdhsa_next_free_vgpr 1
		.amdhsa_next_free_sgpr 0
		.amdhsa_accum_offset 4
		.amdhsa_reserve_vcc 0
		.amdhsa_reserve_flat_scratch 0
		.amdhsa_float_round_mode_32 0
		.amdhsa_float_round_mode_16_64 0
		.amdhsa_float_denorm_mode_32 3
		.amdhsa_float_denorm_mode_16_64 3
		.amdhsa_dx10_clamp 1
		.amdhsa_ieee_mode 1
		.amdhsa_fp16_overflow 0
		.amdhsa_tg_split 0
		.amdhsa_exception_fp_ieee_invalid_op 0
		.amdhsa_exception_fp_denorm_src 0
		.amdhsa_exception_fp_ieee_div_zero 0
		.amdhsa_exception_fp_ieee_overflow 0
		.amdhsa_exception_fp_ieee_underflow 0
		.amdhsa_exception_fp_ieee_inexact 0
		.amdhsa_exception_int_div_zero 0
	.end_amdhsa_kernel
	.section	.text._ZN7rocprim17ROCPRIM_400000_NS6detail17trampoline_kernelINS0_14default_configENS1_38merge_sort_block_merge_config_selectorIlNS0_10empty_typeEEEZZNS1_27merge_sort_block_merge_implIS3_N6thrust23THRUST_200600_302600_NS6detail15normal_iteratorINS9_10device_ptrIlEEEEPS5_m14custom_greaterIlEEE10hipError_tT0_T1_T2_jT3_P12ihipStream_tbPNSt15iterator_traitsISJ_E10value_typeEPNSP_ISK_E10value_typeEPSL_NS1_7vsmem_tEENKUlT_SJ_SK_SL_E_clIPlSE_SF_SF_EESI_SY_SJ_SK_SL_EUlSY_E0_NS1_11comp_targetILNS1_3genE9ELNS1_11target_archE1100ELNS1_3gpuE3ELNS1_3repE0EEENS1_38merge_mergepath_config_static_selectorELNS0_4arch9wavefront6targetE1EEEvSK_,"axG",@progbits,_ZN7rocprim17ROCPRIM_400000_NS6detail17trampoline_kernelINS0_14default_configENS1_38merge_sort_block_merge_config_selectorIlNS0_10empty_typeEEEZZNS1_27merge_sort_block_merge_implIS3_N6thrust23THRUST_200600_302600_NS6detail15normal_iteratorINS9_10device_ptrIlEEEEPS5_m14custom_greaterIlEEE10hipError_tT0_T1_T2_jT3_P12ihipStream_tbPNSt15iterator_traitsISJ_E10value_typeEPNSP_ISK_E10value_typeEPSL_NS1_7vsmem_tEENKUlT_SJ_SK_SL_E_clIPlSE_SF_SF_EESI_SY_SJ_SK_SL_EUlSY_E0_NS1_11comp_targetILNS1_3genE9ELNS1_11target_archE1100ELNS1_3gpuE3ELNS1_3repE0EEENS1_38merge_mergepath_config_static_selectorELNS0_4arch9wavefront6targetE1EEEvSK_,comdat
.Lfunc_end3252:
	.size	_ZN7rocprim17ROCPRIM_400000_NS6detail17trampoline_kernelINS0_14default_configENS1_38merge_sort_block_merge_config_selectorIlNS0_10empty_typeEEEZZNS1_27merge_sort_block_merge_implIS3_N6thrust23THRUST_200600_302600_NS6detail15normal_iteratorINS9_10device_ptrIlEEEEPS5_m14custom_greaterIlEEE10hipError_tT0_T1_T2_jT3_P12ihipStream_tbPNSt15iterator_traitsISJ_E10value_typeEPNSP_ISK_E10value_typeEPSL_NS1_7vsmem_tEENKUlT_SJ_SK_SL_E_clIPlSE_SF_SF_EESI_SY_SJ_SK_SL_EUlSY_E0_NS1_11comp_targetILNS1_3genE9ELNS1_11target_archE1100ELNS1_3gpuE3ELNS1_3repE0EEENS1_38merge_mergepath_config_static_selectorELNS0_4arch9wavefront6targetE1EEEvSK_, .Lfunc_end3252-_ZN7rocprim17ROCPRIM_400000_NS6detail17trampoline_kernelINS0_14default_configENS1_38merge_sort_block_merge_config_selectorIlNS0_10empty_typeEEEZZNS1_27merge_sort_block_merge_implIS3_N6thrust23THRUST_200600_302600_NS6detail15normal_iteratorINS9_10device_ptrIlEEEEPS5_m14custom_greaterIlEEE10hipError_tT0_T1_T2_jT3_P12ihipStream_tbPNSt15iterator_traitsISJ_E10value_typeEPNSP_ISK_E10value_typeEPSL_NS1_7vsmem_tEENKUlT_SJ_SK_SL_E_clIPlSE_SF_SF_EESI_SY_SJ_SK_SL_EUlSY_E0_NS1_11comp_targetILNS1_3genE9ELNS1_11target_archE1100ELNS1_3gpuE3ELNS1_3repE0EEENS1_38merge_mergepath_config_static_selectorELNS0_4arch9wavefront6targetE1EEEvSK_
                                        ; -- End function
	.section	.AMDGPU.csdata,"",@progbits
; Kernel info:
; codeLenInByte = 0
; NumSgprs: 4
; NumVgprs: 0
; NumAgprs: 0
; TotalNumVgprs: 0
; ScratchSize: 0
; MemoryBound: 0
; FloatMode: 240
; IeeeMode: 1
; LDSByteSize: 0 bytes/workgroup (compile time only)
; SGPRBlocks: 0
; VGPRBlocks: 0
; NumSGPRsForWavesPerEU: 4
; NumVGPRsForWavesPerEU: 1
; AccumOffset: 4
; Occupancy: 8
; WaveLimiterHint : 0
; COMPUTE_PGM_RSRC2:SCRATCH_EN: 0
; COMPUTE_PGM_RSRC2:USER_SGPR: 6
; COMPUTE_PGM_RSRC2:TRAP_HANDLER: 0
; COMPUTE_PGM_RSRC2:TGID_X_EN: 1
; COMPUTE_PGM_RSRC2:TGID_Y_EN: 0
; COMPUTE_PGM_RSRC2:TGID_Z_EN: 0
; COMPUTE_PGM_RSRC2:TIDIG_COMP_CNT: 0
; COMPUTE_PGM_RSRC3_GFX90A:ACCUM_OFFSET: 0
; COMPUTE_PGM_RSRC3_GFX90A:TG_SPLIT: 0
	.section	.text._ZN7rocprim17ROCPRIM_400000_NS6detail17trampoline_kernelINS0_14default_configENS1_38merge_sort_block_merge_config_selectorIlNS0_10empty_typeEEEZZNS1_27merge_sort_block_merge_implIS3_N6thrust23THRUST_200600_302600_NS6detail15normal_iteratorINS9_10device_ptrIlEEEEPS5_m14custom_greaterIlEEE10hipError_tT0_T1_T2_jT3_P12ihipStream_tbPNSt15iterator_traitsISJ_E10value_typeEPNSP_ISK_E10value_typeEPSL_NS1_7vsmem_tEENKUlT_SJ_SK_SL_E_clIPlSE_SF_SF_EESI_SY_SJ_SK_SL_EUlSY_E0_NS1_11comp_targetILNS1_3genE8ELNS1_11target_archE1030ELNS1_3gpuE2ELNS1_3repE0EEENS1_38merge_mergepath_config_static_selectorELNS0_4arch9wavefront6targetE1EEEvSK_,"axG",@progbits,_ZN7rocprim17ROCPRIM_400000_NS6detail17trampoline_kernelINS0_14default_configENS1_38merge_sort_block_merge_config_selectorIlNS0_10empty_typeEEEZZNS1_27merge_sort_block_merge_implIS3_N6thrust23THRUST_200600_302600_NS6detail15normal_iteratorINS9_10device_ptrIlEEEEPS5_m14custom_greaterIlEEE10hipError_tT0_T1_T2_jT3_P12ihipStream_tbPNSt15iterator_traitsISJ_E10value_typeEPNSP_ISK_E10value_typeEPSL_NS1_7vsmem_tEENKUlT_SJ_SK_SL_E_clIPlSE_SF_SF_EESI_SY_SJ_SK_SL_EUlSY_E0_NS1_11comp_targetILNS1_3genE8ELNS1_11target_archE1030ELNS1_3gpuE2ELNS1_3repE0EEENS1_38merge_mergepath_config_static_selectorELNS0_4arch9wavefront6targetE1EEEvSK_,comdat
	.protected	_ZN7rocprim17ROCPRIM_400000_NS6detail17trampoline_kernelINS0_14default_configENS1_38merge_sort_block_merge_config_selectorIlNS0_10empty_typeEEEZZNS1_27merge_sort_block_merge_implIS3_N6thrust23THRUST_200600_302600_NS6detail15normal_iteratorINS9_10device_ptrIlEEEEPS5_m14custom_greaterIlEEE10hipError_tT0_T1_T2_jT3_P12ihipStream_tbPNSt15iterator_traitsISJ_E10value_typeEPNSP_ISK_E10value_typeEPSL_NS1_7vsmem_tEENKUlT_SJ_SK_SL_E_clIPlSE_SF_SF_EESI_SY_SJ_SK_SL_EUlSY_E0_NS1_11comp_targetILNS1_3genE8ELNS1_11target_archE1030ELNS1_3gpuE2ELNS1_3repE0EEENS1_38merge_mergepath_config_static_selectorELNS0_4arch9wavefront6targetE1EEEvSK_ ; -- Begin function _ZN7rocprim17ROCPRIM_400000_NS6detail17trampoline_kernelINS0_14default_configENS1_38merge_sort_block_merge_config_selectorIlNS0_10empty_typeEEEZZNS1_27merge_sort_block_merge_implIS3_N6thrust23THRUST_200600_302600_NS6detail15normal_iteratorINS9_10device_ptrIlEEEEPS5_m14custom_greaterIlEEE10hipError_tT0_T1_T2_jT3_P12ihipStream_tbPNSt15iterator_traitsISJ_E10value_typeEPNSP_ISK_E10value_typeEPSL_NS1_7vsmem_tEENKUlT_SJ_SK_SL_E_clIPlSE_SF_SF_EESI_SY_SJ_SK_SL_EUlSY_E0_NS1_11comp_targetILNS1_3genE8ELNS1_11target_archE1030ELNS1_3gpuE2ELNS1_3repE0EEENS1_38merge_mergepath_config_static_selectorELNS0_4arch9wavefront6targetE1EEEvSK_
	.globl	_ZN7rocprim17ROCPRIM_400000_NS6detail17trampoline_kernelINS0_14default_configENS1_38merge_sort_block_merge_config_selectorIlNS0_10empty_typeEEEZZNS1_27merge_sort_block_merge_implIS3_N6thrust23THRUST_200600_302600_NS6detail15normal_iteratorINS9_10device_ptrIlEEEEPS5_m14custom_greaterIlEEE10hipError_tT0_T1_T2_jT3_P12ihipStream_tbPNSt15iterator_traitsISJ_E10value_typeEPNSP_ISK_E10value_typeEPSL_NS1_7vsmem_tEENKUlT_SJ_SK_SL_E_clIPlSE_SF_SF_EESI_SY_SJ_SK_SL_EUlSY_E0_NS1_11comp_targetILNS1_3genE8ELNS1_11target_archE1030ELNS1_3gpuE2ELNS1_3repE0EEENS1_38merge_mergepath_config_static_selectorELNS0_4arch9wavefront6targetE1EEEvSK_
	.p2align	8
	.type	_ZN7rocprim17ROCPRIM_400000_NS6detail17trampoline_kernelINS0_14default_configENS1_38merge_sort_block_merge_config_selectorIlNS0_10empty_typeEEEZZNS1_27merge_sort_block_merge_implIS3_N6thrust23THRUST_200600_302600_NS6detail15normal_iteratorINS9_10device_ptrIlEEEEPS5_m14custom_greaterIlEEE10hipError_tT0_T1_T2_jT3_P12ihipStream_tbPNSt15iterator_traitsISJ_E10value_typeEPNSP_ISK_E10value_typeEPSL_NS1_7vsmem_tEENKUlT_SJ_SK_SL_E_clIPlSE_SF_SF_EESI_SY_SJ_SK_SL_EUlSY_E0_NS1_11comp_targetILNS1_3genE8ELNS1_11target_archE1030ELNS1_3gpuE2ELNS1_3repE0EEENS1_38merge_mergepath_config_static_selectorELNS0_4arch9wavefront6targetE1EEEvSK_,@function
_ZN7rocprim17ROCPRIM_400000_NS6detail17trampoline_kernelINS0_14default_configENS1_38merge_sort_block_merge_config_selectorIlNS0_10empty_typeEEEZZNS1_27merge_sort_block_merge_implIS3_N6thrust23THRUST_200600_302600_NS6detail15normal_iteratorINS9_10device_ptrIlEEEEPS5_m14custom_greaterIlEEE10hipError_tT0_T1_T2_jT3_P12ihipStream_tbPNSt15iterator_traitsISJ_E10value_typeEPNSP_ISK_E10value_typeEPSL_NS1_7vsmem_tEENKUlT_SJ_SK_SL_E_clIPlSE_SF_SF_EESI_SY_SJ_SK_SL_EUlSY_E0_NS1_11comp_targetILNS1_3genE8ELNS1_11target_archE1030ELNS1_3gpuE2ELNS1_3repE0EEENS1_38merge_mergepath_config_static_selectorELNS0_4arch9wavefront6targetE1EEEvSK_: ; @_ZN7rocprim17ROCPRIM_400000_NS6detail17trampoline_kernelINS0_14default_configENS1_38merge_sort_block_merge_config_selectorIlNS0_10empty_typeEEEZZNS1_27merge_sort_block_merge_implIS3_N6thrust23THRUST_200600_302600_NS6detail15normal_iteratorINS9_10device_ptrIlEEEEPS5_m14custom_greaterIlEEE10hipError_tT0_T1_T2_jT3_P12ihipStream_tbPNSt15iterator_traitsISJ_E10value_typeEPNSP_ISK_E10value_typeEPSL_NS1_7vsmem_tEENKUlT_SJ_SK_SL_E_clIPlSE_SF_SF_EESI_SY_SJ_SK_SL_EUlSY_E0_NS1_11comp_targetILNS1_3genE8ELNS1_11target_archE1030ELNS1_3gpuE2ELNS1_3repE0EEENS1_38merge_mergepath_config_static_selectorELNS0_4arch9wavefront6targetE1EEEvSK_
; %bb.0:
	.section	.rodata,"a",@progbits
	.p2align	6, 0x0
	.amdhsa_kernel _ZN7rocprim17ROCPRIM_400000_NS6detail17trampoline_kernelINS0_14default_configENS1_38merge_sort_block_merge_config_selectorIlNS0_10empty_typeEEEZZNS1_27merge_sort_block_merge_implIS3_N6thrust23THRUST_200600_302600_NS6detail15normal_iteratorINS9_10device_ptrIlEEEEPS5_m14custom_greaterIlEEE10hipError_tT0_T1_T2_jT3_P12ihipStream_tbPNSt15iterator_traitsISJ_E10value_typeEPNSP_ISK_E10value_typeEPSL_NS1_7vsmem_tEENKUlT_SJ_SK_SL_E_clIPlSE_SF_SF_EESI_SY_SJ_SK_SL_EUlSY_E0_NS1_11comp_targetILNS1_3genE8ELNS1_11target_archE1030ELNS1_3gpuE2ELNS1_3repE0EEENS1_38merge_mergepath_config_static_selectorELNS0_4arch9wavefront6targetE1EEEvSK_
		.amdhsa_group_segment_fixed_size 0
		.amdhsa_private_segment_fixed_size 0
		.amdhsa_kernarg_size 72
		.amdhsa_user_sgpr_count 6
		.amdhsa_user_sgpr_private_segment_buffer 1
		.amdhsa_user_sgpr_dispatch_ptr 0
		.amdhsa_user_sgpr_queue_ptr 0
		.amdhsa_user_sgpr_kernarg_segment_ptr 1
		.amdhsa_user_sgpr_dispatch_id 0
		.amdhsa_user_sgpr_flat_scratch_init 0
		.amdhsa_user_sgpr_kernarg_preload_length 0
		.amdhsa_user_sgpr_kernarg_preload_offset 0
		.amdhsa_user_sgpr_private_segment_size 0
		.amdhsa_uses_dynamic_stack 0
		.amdhsa_system_sgpr_private_segment_wavefront_offset 0
		.amdhsa_system_sgpr_workgroup_id_x 1
		.amdhsa_system_sgpr_workgroup_id_y 0
		.amdhsa_system_sgpr_workgroup_id_z 0
		.amdhsa_system_sgpr_workgroup_info 0
		.amdhsa_system_vgpr_workitem_id 0
		.amdhsa_next_free_vgpr 1
		.amdhsa_next_free_sgpr 0
		.amdhsa_accum_offset 4
		.amdhsa_reserve_vcc 0
		.amdhsa_reserve_flat_scratch 0
		.amdhsa_float_round_mode_32 0
		.amdhsa_float_round_mode_16_64 0
		.amdhsa_float_denorm_mode_32 3
		.amdhsa_float_denorm_mode_16_64 3
		.amdhsa_dx10_clamp 1
		.amdhsa_ieee_mode 1
		.amdhsa_fp16_overflow 0
		.amdhsa_tg_split 0
		.amdhsa_exception_fp_ieee_invalid_op 0
		.amdhsa_exception_fp_denorm_src 0
		.amdhsa_exception_fp_ieee_div_zero 0
		.amdhsa_exception_fp_ieee_overflow 0
		.amdhsa_exception_fp_ieee_underflow 0
		.amdhsa_exception_fp_ieee_inexact 0
		.amdhsa_exception_int_div_zero 0
	.end_amdhsa_kernel
	.section	.text._ZN7rocprim17ROCPRIM_400000_NS6detail17trampoline_kernelINS0_14default_configENS1_38merge_sort_block_merge_config_selectorIlNS0_10empty_typeEEEZZNS1_27merge_sort_block_merge_implIS3_N6thrust23THRUST_200600_302600_NS6detail15normal_iteratorINS9_10device_ptrIlEEEEPS5_m14custom_greaterIlEEE10hipError_tT0_T1_T2_jT3_P12ihipStream_tbPNSt15iterator_traitsISJ_E10value_typeEPNSP_ISK_E10value_typeEPSL_NS1_7vsmem_tEENKUlT_SJ_SK_SL_E_clIPlSE_SF_SF_EESI_SY_SJ_SK_SL_EUlSY_E0_NS1_11comp_targetILNS1_3genE8ELNS1_11target_archE1030ELNS1_3gpuE2ELNS1_3repE0EEENS1_38merge_mergepath_config_static_selectorELNS0_4arch9wavefront6targetE1EEEvSK_,"axG",@progbits,_ZN7rocprim17ROCPRIM_400000_NS6detail17trampoline_kernelINS0_14default_configENS1_38merge_sort_block_merge_config_selectorIlNS0_10empty_typeEEEZZNS1_27merge_sort_block_merge_implIS3_N6thrust23THRUST_200600_302600_NS6detail15normal_iteratorINS9_10device_ptrIlEEEEPS5_m14custom_greaterIlEEE10hipError_tT0_T1_T2_jT3_P12ihipStream_tbPNSt15iterator_traitsISJ_E10value_typeEPNSP_ISK_E10value_typeEPSL_NS1_7vsmem_tEENKUlT_SJ_SK_SL_E_clIPlSE_SF_SF_EESI_SY_SJ_SK_SL_EUlSY_E0_NS1_11comp_targetILNS1_3genE8ELNS1_11target_archE1030ELNS1_3gpuE2ELNS1_3repE0EEENS1_38merge_mergepath_config_static_selectorELNS0_4arch9wavefront6targetE1EEEvSK_,comdat
.Lfunc_end3253:
	.size	_ZN7rocprim17ROCPRIM_400000_NS6detail17trampoline_kernelINS0_14default_configENS1_38merge_sort_block_merge_config_selectorIlNS0_10empty_typeEEEZZNS1_27merge_sort_block_merge_implIS3_N6thrust23THRUST_200600_302600_NS6detail15normal_iteratorINS9_10device_ptrIlEEEEPS5_m14custom_greaterIlEEE10hipError_tT0_T1_T2_jT3_P12ihipStream_tbPNSt15iterator_traitsISJ_E10value_typeEPNSP_ISK_E10value_typeEPSL_NS1_7vsmem_tEENKUlT_SJ_SK_SL_E_clIPlSE_SF_SF_EESI_SY_SJ_SK_SL_EUlSY_E0_NS1_11comp_targetILNS1_3genE8ELNS1_11target_archE1030ELNS1_3gpuE2ELNS1_3repE0EEENS1_38merge_mergepath_config_static_selectorELNS0_4arch9wavefront6targetE1EEEvSK_, .Lfunc_end3253-_ZN7rocprim17ROCPRIM_400000_NS6detail17trampoline_kernelINS0_14default_configENS1_38merge_sort_block_merge_config_selectorIlNS0_10empty_typeEEEZZNS1_27merge_sort_block_merge_implIS3_N6thrust23THRUST_200600_302600_NS6detail15normal_iteratorINS9_10device_ptrIlEEEEPS5_m14custom_greaterIlEEE10hipError_tT0_T1_T2_jT3_P12ihipStream_tbPNSt15iterator_traitsISJ_E10value_typeEPNSP_ISK_E10value_typeEPSL_NS1_7vsmem_tEENKUlT_SJ_SK_SL_E_clIPlSE_SF_SF_EESI_SY_SJ_SK_SL_EUlSY_E0_NS1_11comp_targetILNS1_3genE8ELNS1_11target_archE1030ELNS1_3gpuE2ELNS1_3repE0EEENS1_38merge_mergepath_config_static_selectorELNS0_4arch9wavefront6targetE1EEEvSK_
                                        ; -- End function
	.section	.AMDGPU.csdata,"",@progbits
; Kernel info:
; codeLenInByte = 0
; NumSgprs: 4
; NumVgprs: 0
; NumAgprs: 0
; TotalNumVgprs: 0
; ScratchSize: 0
; MemoryBound: 0
; FloatMode: 240
; IeeeMode: 1
; LDSByteSize: 0 bytes/workgroup (compile time only)
; SGPRBlocks: 0
; VGPRBlocks: 0
; NumSGPRsForWavesPerEU: 4
; NumVGPRsForWavesPerEU: 1
; AccumOffset: 4
; Occupancy: 8
; WaveLimiterHint : 0
; COMPUTE_PGM_RSRC2:SCRATCH_EN: 0
; COMPUTE_PGM_RSRC2:USER_SGPR: 6
; COMPUTE_PGM_RSRC2:TRAP_HANDLER: 0
; COMPUTE_PGM_RSRC2:TGID_X_EN: 1
; COMPUTE_PGM_RSRC2:TGID_Y_EN: 0
; COMPUTE_PGM_RSRC2:TGID_Z_EN: 0
; COMPUTE_PGM_RSRC2:TIDIG_COMP_CNT: 0
; COMPUTE_PGM_RSRC3_GFX90A:ACCUM_OFFSET: 0
; COMPUTE_PGM_RSRC3_GFX90A:TG_SPLIT: 0
	.section	.text._ZN7rocprim17ROCPRIM_400000_NS6detail17trampoline_kernelINS0_14default_configENS1_38merge_sort_block_merge_config_selectorIlNS0_10empty_typeEEEZZNS1_27merge_sort_block_merge_implIS3_N6thrust23THRUST_200600_302600_NS6detail15normal_iteratorINS9_10device_ptrIlEEEEPS5_m14custom_greaterIlEEE10hipError_tT0_T1_T2_jT3_P12ihipStream_tbPNSt15iterator_traitsISJ_E10value_typeEPNSP_ISK_E10value_typeEPSL_NS1_7vsmem_tEENKUlT_SJ_SK_SL_E_clIPlSE_SF_SF_EESI_SY_SJ_SK_SL_EUlSY_E1_NS1_11comp_targetILNS1_3genE0ELNS1_11target_archE4294967295ELNS1_3gpuE0ELNS1_3repE0EEENS1_36merge_oddeven_config_static_selectorELNS0_4arch9wavefront6targetE1EEEvSK_,"axG",@progbits,_ZN7rocprim17ROCPRIM_400000_NS6detail17trampoline_kernelINS0_14default_configENS1_38merge_sort_block_merge_config_selectorIlNS0_10empty_typeEEEZZNS1_27merge_sort_block_merge_implIS3_N6thrust23THRUST_200600_302600_NS6detail15normal_iteratorINS9_10device_ptrIlEEEEPS5_m14custom_greaterIlEEE10hipError_tT0_T1_T2_jT3_P12ihipStream_tbPNSt15iterator_traitsISJ_E10value_typeEPNSP_ISK_E10value_typeEPSL_NS1_7vsmem_tEENKUlT_SJ_SK_SL_E_clIPlSE_SF_SF_EESI_SY_SJ_SK_SL_EUlSY_E1_NS1_11comp_targetILNS1_3genE0ELNS1_11target_archE4294967295ELNS1_3gpuE0ELNS1_3repE0EEENS1_36merge_oddeven_config_static_selectorELNS0_4arch9wavefront6targetE1EEEvSK_,comdat
	.protected	_ZN7rocprim17ROCPRIM_400000_NS6detail17trampoline_kernelINS0_14default_configENS1_38merge_sort_block_merge_config_selectorIlNS0_10empty_typeEEEZZNS1_27merge_sort_block_merge_implIS3_N6thrust23THRUST_200600_302600_NS6detail15normal_iteratorINS9_10device_ptrIlEEEEPS5_m14custom_greaterIlEEE10hipError_tT0_T1_T2_jT3_P12ihipStream_tbPNSt15iterator_traitsISJ_E10value_typeEPNSP_ISK_E10value_typeEPSL_NS1_7vsmem_tEENKUlT_SJ_SK_SL_E_clIPlSE_SF_SF_EESI_SY_SJ_SK_SL_EUlSY_E1_NS1_11comp_targetILNS1_3genE0ELNS1_11target_archE4294967295ELNS1_3gpuE0ELNS1_3repE0EEENS1_36merge_oddeven_config_static_selectorELNS0_4arch9wavefront6targetE1EEEvSK_ ; -- Begin function _ZN7rocprim17ROCPRIM_400000_NS6detail17trampoline_kernelINS0_14default_configENS1_38merge_sort_block_merge_config_selectorIlNS0_10empty_typeEEEZZNS1_27merge_sort_block_merge_implIS3_N6thrust23THRUST_200600_302600_NS6detail15normal_iteratorINS9_10device_ptrIlEEEEPS5_m14custom_greaterIlEEE10hipError_tT0_T1_T2_jT3_P12ihipStream_tbPNSt15iterator_traitsISJ_E10value_typeEPNSP_ISK_E10value_typeEPSL_NS1_7vsmem_tEENKUlT_SJ_SK_SL_E_clIPlSE_SF_SF_EESI_SY_SJ_SK_SL_EUlSY_E1_NS1_11comp_targetILNS1_3genE0ELNS1_11target_archE4294967295ELNS1_3gpuE0ELNS1_3repE0EEENS1_36merge_oddeven_config_static_selectorELNS0_4arch9wavefront6targetE1EEEvSK_
	.globl	_ZN7rocprim17ROCPRIM_400000_NS6detail17trampoline_kernelINS0_14default_configENS1_38merge_sort_block_merge_config_selectorIlNS0_10empty_typeEEEZZNS1_27merge_sort_block_merge_implIS3_N6thrust23THRUST_200600_302600_NS6detail15normal_iteratorINS9_10device_ptrIlEEEEPS5_m14custom_greaterIlEEE10hipError_tT0_T1_T2_jT3_P12ihipStream_tbPNSt15iterator_traitsISJ_E10value_typeEPNSP_ISK_E10value_typeEPSL_NS1_7vsmem_tEENKUlT_SJ_SK_SL_E_clIPlSE_SF_SF_EESI_SY_SJ_SK_SL_EUlSY_E1_NS1_11comp_targetILNS1_3genE0ELNS1_11target_archE4294967295ELNS1_3gpuE0ELNS1_3repE0EEENS1_36merge_oddeven_config_static_selectorELNS0_4arch9wavefront6targetE1EEEvSK_
	.p2align	8
	.type	_ZN7rocprim17ROCPRIM_400000_NS6detail17trampoline_kernelINS0_14default_configENS1_38merge_sort_block_merge_config_selectorIlNS0_10empty_typeEEEZZNS1_27merge_sort_block_merge_implIS3_N6thrust23THRUST_200600_302600_NS6detail15normal_iteratorINS9_10device_ptrIlEEEEPS5_m14custom_greaterIlEEE10hipError_tT0_T1_T2_jT3_P12ihipStream_tbPNSt15iterator_traitsISJ_E10value_typeEPNSP_ISK_E10value_typeEPSL_NS1_7vsmem_tEENKUlT_SJ_SK_SL_E_clIPlSE_SF_SF_EESI_SY_SJ_SK_SL_EUlSY_E1_NS1_11comp_targetILNS1_3genE0ELNS1_11target_archE4294967295ELNS1_3gpuE0ELNS1_3repE0EEENS1_36merge_oddeven_config_static_selectorELNS0_4arch9wavefront6targetE1EEEvSK_,@function
_ZN7rocprim17ROCPRIM_400000_NS6detail17trampoline_kernelINS0_14default_configENS1_38merge_sort_block_merge_config_selectorIlNS0_10empty_typeEEEZZNS1_27merge_sort_block_merge_implIS3_N6thrust23THRUST_200600_302600_NS6detail15normal_iteratorINS9_10device_ptrIlEEEEPS5_m14custom_greaterIlEEE10hipError_tT0_T1_T2_jT3_P12ihipStream_tbPNSt15iterator_traitsISJ_E10value_typeEPNSP_ISK_E10value_typeEPSL_NS1_7vsmem_tEENKUlT_SJ_SK_SL_E_clIPlSE_SF_SF_EESI_SY_SJ_SK_SL_EUlSY_E1_NS1_11comp_targetILNS1_3genE0ELNS1_11target_archE4294967295ELNS1_3gpuE0ELNS1_3repE0EEENS1_36merge_oddeven_config_static_selectorELNS0_4arch9wavefront6targetE1EEEvSK_: ; @_ZN7rocprim17ROCPRIM_400000_NS6detail17trampoline_kernelINS0_14default_configENS1_38merge_sort_block_merge_config_selectorIlNS0_10empty_typeEEEZZNS1_27merge_sort_block_merge_implIS3_N6thrust23THRUST_200600_302600_NS6detail15normal_iteratorINS9_10device_ptrIlEEEEPS5_m14custom_greaterIlEEE10hipError_tT0_T1_T2_jT3_P12ihipStream_tbPNSt15iterator_traitsISJ_E10value_typeEPNSP_ISK_E10value_typeEPSL_NS1_7vsmem_tEENKUlT_SJ_SK_SL_E_clIPlSE_SF_SF_EESI_SY_SJ_SK_SL_EUlSY_E1_NS1_11comp_targetILNS1_3genE0ELNS1_11target_archE4294967295ELNS1_3gpuE0ELNS1_3repE0EEENS1_36merge_oddeven_config_static_selectorELNS0_4arch9wavefront6targetE1EEEvSK_
; %bb.0:
	.section	.rodata,"a",@progbits
	.p2align	6, 0x0
	.amdhsa_kernel _ZN7rocprim17ROCPRIM_400000_NS6detail17trampoline_kernelINS0_14default_configENS1_38merge_sort_block_merge_config_selectorIlNS0_10empty_typeEEEZZNS1_27merge_sort_block_merge_implIS3_N6thrust23THRUST_200600_302600_NS6detail15normal_iteratorINS9_10device_ptrIlEEEEPS5_m14custom_greaterIlEEE10hipError_tT0_T1_T2_jT3_P12ihipStream_tbPNSt15iterator_traitsISJ_E10value_typeEPNSP_ISK_E10value_typeEPSL_NS1_7vsmem_tEENKUlT_SJ_SK_SL_E_clIPlSE_SF_SF_EESI_SY_SJ_SK_SL_EUlSY_E1_NS1_11comp_targetILNS1_3genE0ELNS1_11target_archE4294967295ELNS1_3gpuE0ELNS1_3repE0EEENS1_36merge_oddeven_config_static_selectorELNS0_4arch9wavefront6targetE1EEEvSK_
		.amdhsa_group_segment_fixed_size 0
		.amdhsa_private_segment_fixed_size 0
		.amdhsa_kernarg_size 56
		.amdhsa_user_sgpr_count 6
		.amdhsa_user_sgpr_private_segment_buffer 1
		.amdhsa_user_sgpr_dispatch_ptr 0
		.amdhsa_user_sgpr_queue_ptr 0
		.amdhsa_user_sgpr_kernarg_segment_ptr 1
		.amdhsa_user_sgpr_dispatch_id 0
		.amdhsa_user_sgpr_flat_scratch_init 0
		.amdhsa_user_sgpr_kernarg_preload_length 0
		.amdhsa_user_sgpr_kernarg_preload_offset 0
		.amdhsa_user_sgpr_private_segment_size 0
		.amdhsa_uses_dynamic_stack 0
		.amdhsa_system_sgpr_private_segment_wavefront_offset 0
		.amdhsa_system_sgpr_workgroup_id_x 1
		.amdhsa_system_sgpr_workgroup_id_y 0
		.amdhsa_system_sgpr_workgroup_id_z 0
		.amdhsa_system_sgpr_workgroup_info 0
		.amdhsa_system_vgpr_workitem_id 0
		.amdhsa_next_free_vgpr 1
		.amdhsa_next_free_sgpr 0
		.amdhsa_accum_offset 4
		.amdhsa_reserve_vcc 0
		.amdhsa_reserve_flat_scratch 0
		.amdhsa_float_round_mode_32 0
		.amdhsa_float_round_mode_16_64 0
		.amdhsa_float_denorm_mode_32 3
		.amdhsa_float_denorm_mode_16_64 3
		.amdhsa_dx10_clamp 1
		.amdhsa_ieee_mode 1
		.amdhsa_fp16_overflow 0
		.amdhsa_tg_split 0
		.amdhsa_exception_fp_ieee_invalid_op 0
		.amdhsa_exception_fp_denorm_src 0
		.amdhsa_exception_fp_ieee_div_zero 0
		.amdhsa_exception_fp_ieee_overflow 0
		.amdhsa_exception_fp_ieee_underflow 0
		.amdhsa_exception_fp_ieee_inexact 0
		.amdhsa_exception_int_div_zero 0
	.end_amdhsa_kernel
	.section	.text._ZN7rocprim17ROCPRIM_400000_NS6detail17trampoline_kernelINS0_14default_configENS1_38merge_sort_block_merge_config_selectorIlNS0_10empty_typeEEEZZNS1_27merge_sort_block_merge_implIS3_N6thrust23THRUST_200600_302600_NS6detail15normal_iteratorINS9_10device_ptrIlEEEEPS5_m14custom_greaterIlEEE10hipError_tT0_T1_T2_jT3_P12ihipStream_tbPNSt15iterator_traitsISJ_E10value_typeEPNSP_ISK_E10value_typeEPSL_NS1_7vsmem_tEENKUlT_SJ_SK_SL_E_clIPlSE_SF_SF_EESI_SY_SJ_SK_SL_EUlSY_E1_NS1_11comp_targetILNS1_3genE0ELNS1_11target_archE4294967295ELNS1_3gpuE0ELNS1_3repE0EEENS1_36merge_oddeven_config_static_selectorELNS0_4arch9wavefront6targetE1EEEvSK_,"axG",@progbits,_ZN7rocprim17ROCPRIM_400000_NS6detail17trampoline_kernelINS0_14default_configENS1_38merge_sort_block_merge_config_selectorIlNS0_10empty_typeEEEZZNS1_27merge_sort_block_merge_implIS3_N6thrust23THRUST_200600_302600_NS6detail15normal_iteratorINS9_10device_ptrIlEEEEPS5_m14custom_greaterIlEEE10hipError_tT0_T1_T2_jT3_P12ihipStream_tbPNSt15iterator_traitsISJ_E10value_typeEPNSP_ISK_E10value_typeEPSL_NS1_7vsmem_tEENKUlT_SJ_SK_SL_E_clIPlSE_SF_SF_EESI_SY_SJ_SK_SL_EUlSY_E1_NS1_11comp_targetILNS1_3genE0ELNS1_11target_archE4294967295ELNS1_3gpuE0ELNS1_3repE0EEENS1_36merge_oddeven_config_static_selectorELNS0_4arch9wavefront6targetE1EEEvSK_,comdat
.Lfunc_end3254:
	.size	_ZN7rocprim17ROCPRIM_400000_NS6detail17trampoline_kernelINS0_14default_configENS1_38merge_sort_block_merge_config_selectorIlNS0_10empty_typeEEEZZNS1_27merge_sort_block_merge_implIS3_N6thrust23THRUST_200600_302600_NS6detail15normal_iteratorINS9_10device_ptrIlEEEEPS5_m14custom_greaterIlEEE10hipError_tT0_T1_T2_jT3_P12ihipStream_tbPNSt15iterator_traitsISJ_E10value_typeEPNSP_ISK_E10value_typeEPSL_NS1_7vsmem_tEENKUlT_SJ_SK_SL_E_clIPlSE_SF_SF_EESI_SY_SJ_SK_SL_EUlSY_E1_NS1_11comp_targetILNS1_3genE0ELNS1_11target_archE4294967295ELNS1_3gpuE0ELNS1_3repE0EEENS1_36merge_oddeven_config_static_selectorELNS0_4arch9wavefront6targetE1EEEvSK_, .Lfunc_end3254-_ZN7rocprim17ROCPRIM_400000_NS6detail17trampoline_kernelINS0_14default_configENS1_38merge_sort_block_merge_config_selectorIlNS0_10empty_typeEEEZZNS1_27merge_sort_block_merge_implIS3_N6thrust23THRUST_200600_302600_NS6detail15normal_iteratorINS9_10device_ptrIlEEEEPS5_m14custom_greaterIlEEE10hipError_tT0_T1_T2_jT3_P12ihipStream_tbPNSt15iterator_traitsISJ_E10value_typeEPNSP_ISK_E10value_typeEPSL_NS1_7vsmem_tEENKUlT_SJ_SK_SL_E_clIPlSE_SF_SF_EESI_SY_SJ_SK_SL_EUlSY_E1_NS1_11comp_targetILNS1_3genE0ELNS1_11target_archE4294967295ELNS1_3gpuE0ELNS1_3repE0EEENS1_36merge_oddeven_config_static_selectorELNS0_4arch9wavefront6targetE1EEEvSK_
                                        ; -- End function
	.section	.AMDGPU.csdata,"",@progbits
; Kernel info:
; codeLenInByte = 0
; NumSgprs: 4
; NumVgprs: 0
; NumAgprs: 0
; TotalNumVgprs: 0
; ScratchSize: 0
; MemoryBound: 0
; FloatMode: 240
; IeeeMode: 1
; LDSByteSize: 0 bytes/workgroup (compile time only)
; SGPRBlocks: 0
; VGPRBlocks: 0
; NumSGPRsForWavesPerEU: 4
; NumVGPRsForWavesPerEU: 1
; AccumOffset: 4
; Occupancy: 8
; WaveLimiterHint : 0
; COMPUTE_PGM_RSRC2:SCRATCH_EN: 0
; COMPUTE_PGM_RSRC2:USER_SGPR: 6
; COMPUTE_PGM_RSRC2:TRAP_HANDLER: 0
; COMPUTE_PGM_RSRC2:TGID_X_EN: 1
; COMPUTE_PGM_RSRC2:TGID_Y_EN: 0
; COMPUTE_PGM_RSRC2:TGID_Z_EN: 0
; COMPUTE_PGM_RSRC2:TIDIG_COMP_CNT: 0
; COMPUTE_PGM_RSRC3_GFX90A:ACCUM_OFFSET: 0
; COMPUTE_PGM_RSRC3_GFX90A:TG_SPLIT: 0
	.section	.text._ZN7rocprim17ROCPRIM_400000_NS6detail17trampoline_kernelINS0_14default_configENS1_38merge_sort_block_merge_config_selectorIlNS0_10empty_typeEEEZZNS1_27merge_sort_block_merge_implIS3_N6thrust23THRUST_200600_302600_NS6detail15normal_iteratorINS9_10device_ptrIlEEEEPS5_m14custom_greaterIlEEE10hipError_tT0_T1_T2_jT3_P12ihipStream_tbPNSt15iterator_traitsISJ_E10value_typeEPNSP_ISK_E10value_typeEPSL_NS1_7vsmem_tEENKUlT_SJ_SK_SL_E_clIPlSE_SF_SF_EESI_SY_SJ_SK_SL_EUlSY_E1_NS1_11comp_targetILNS1_3genE10ELNS1_11target_archE1201ELNS1_3gpuE5ELNS1_3repE0EEENS1_36merge_oddeven_config_static_selectorELNS0_4arch9wavefront6targetE1EEEvSK_,"axG",@progbits,_ZN7rocprim17ROCPRIM_400000_NS6detail17trampoline_kernelINS0_14default_configENS1_38merge_sort_block_merge_config_selectorIlNS0_10empty_typeEEEZZNS1_27merge_sort_block_merge_implIS3_N6thrust23THRUST_200600_302600_NS6detail15normal_iteratorINS9_10device_ptrIlEEEEPS5_m14custom_greaterIlEEE10hipError_tT0_T1_T2_jT3_P12ihipStream_tbPNSt15iterator_traitsISJ_E10value_typeEPNSP_ISK_E10value_typeEPSL_NS1_7vsmem_tEENKUlT_SJ_SK_SL_E_clIPlSE_SF_SF_EESI_SY_SJ_SK_SL_EUlSY_E1_NS1_11comp_targetILNS1_3genE10ELNS1_11target_archE1201ELNS1_3gpuE5ELNS1_3repE0EEENS1_36merge_oddeven_config_static_selectorELNS0_4arch9wavefront6targetE1EEEvSK_,comdat
	.protected	_ZN7rocprim17ROCPRIM_400000_NS6detail17trampoline_kernelINS0_14default_configENS1_38merge_sort_block_merge_config_selectorIlNS0_10empty_typeEEEZZNS1_27merge_sort_block_merge_implIS3_N6thrust23THRUST_200600_302600_NS6detail15normal_iteratorINS9_10device_ptrIlEEEEPS5_m14custom_greaterIlEEE10hipError_tT0_T1_T2_jT3_P12ihipStream_tbPNSt15iterator_traitsISJ_E10value_typeEPNSP_ISK_E10value_typeEPSL_NS1_7vsmem_tEENKUlT_SJ_SK_SL_E_clIPlSE_SF_SF_EESI_SY_SJ_SK_SL_EUlSY_E1_NS1_11comp_targetILNS1_3genE10ELNS1_11target_archE1201ELNS1_3gpuE5ELNS1_3repE0EEENS1_36merge_oddeven_config_static_selectorELNS0_4arch9wavefront6targetE1EEEvSK_ ; -- Begin function _ZN7rocprim17ROCPRIM_400000_NS6detail17trampoline_kernelINS0_14default_configENS1_38merge_sort_block_merge_config_selectorIlNS0_10empty_typeEEEZZNS1_27merge_sort_block_merge_implIS3_N6thrust23THRUST_200600_302600_NS6detail15normal_iteratorINS9_10device_ptrIlEEEEPS5_m14custom_greaterIlEEE10hipError_tT0_T1_T2_jT3_P12ihipStream_tbPNSt15iterator_traitsISJ_E10value_typeEPNSP_ISK_E10value_typeEPSL_NS1_7vsmem_tEENKUlT_SJ_SK_SL_E_clIPlSE_SF_SF_EESI_SY_SJ_SK_SL_EUlSY_E1_NS1_11comp_targetILNS1_3genE10ELNS1_11target_archE1201ELNS1_3gpuE5ELNS1_3repE0EEENS1_36merge_oddeven_config_static_selectorELNS0_4arch9wavefront6targetE1EEEvSK_
	.globl	_ZN7rocprim17ROCPRIM_400000_NS6detail17trampoline_kernelINS0_14default_configENS1_38merge_sort_block_merge_config_selectorIlNS0_10empty_typeEEEZZNS1_27merge_sort_block_merge_implIS3_N6thrust23THRUST_200600_302600_NS6detail15normal_iteratorINS9_10device_ptrIlEEEEPS5_m14custom_greaterIlEEE10hipError_tT0_T1_T2_jT3_P12ihipStream_tbPNSt15iterator_traitsISJ_E10value_typeEPNSP_ISK_E10value_typeEPSL_NS1_7vsmem_tEENKUlT_SJ_SK_SL_E_clIPlSE_SF_SF_EESI_SY_SJ_SK_SL_EUlSY_E1_NS1_11comp_targetILNS1_3genE10ELNS1_11target_archE1201ELNS1_3gpuE5ELNS1_3repE0EEENS1_36merge_oddeven_config_static_selectorELNS0_4arch9wavefront6targetE1EEEvSK_
	.p2align	8
	.type	_ZN7rocprim17ROCPRIM_400000_NS6detail17trampoline_kernelINS0_14default_configENS1_38merge_sort_block_merge_config_selectorIlNS0_10empty_typeEEEZZNS1_27merge_sort_block_merge_implIS3_N6thrust23THRUST_200600_302600_NS6detail15normal_iteratorINS9_10device_ptrIlEEEEPS5_m14custom_greaterIlEEE10hipError_tT0_T1_T2_jT3_P12ihipStream_tbPNSt15iterator_traitsISJ_E10value_typeEPNSP_ISK_E10value_typeEPSL_NS1_7vsmem_tEENKUlT_SJ_SK_SL_E_clIPlSE_SF_SF_EESI_SY_SJ_SK_SL_EUlSY_E1_NS1_11comp_targetILNS1_3genE10ELNS1_11target_archE1201ELNS1_3gpuE5ELNS1_3repE0EEENS1_36merge_oddeven_config_static_selectorELNS0_4arch9wavefront6targetE1EEEvSK_,@function
_ZN7rocprim17ROCPRIM_400000_NS6detail17trampoline_kernelINS0_14default_configENS1_38merge_sort_block_merge_config_selectorIlNS0_10empty_typeEEEZZNS1_27merge_sort_block_merge_implIS3_N6thrust23THRUST_200600_302600_NS6detail15normal_iteratorINS9_10device_ptrIlEEEEPS5_m14custom_greaterIlEEE10hipError_tT0_T1_T2_jT3_P12ihipStream_tbPNSt15iterator_traitsISJ_E10value_typeEPNSP_ISK_E10value_typeEPSL_NS1_7vsmem_tEENKUlT_SJ_SK_SL_E_clIPlSE_SF_SF_EESI_SY_SJ_SK_SL_EUlSY_E1_NS1_11comp_targetILNS1_3genE10ELNS1_11target_archE1201ELNS1_3gpuE5ELNS1_3repE0EEENS1_36merge_oddeven_config_static_selectorELNS0_4arch9wavefront6targetE1EEEvSK_: ; @_ZN7rocprim17ROCPRIM_400000_NS6detail17trampoline_kernelINS0_14default_configENS1_38merge_sort_block_merge_config_selectorIlNS0_10empty_typeEEEZZNS1_27merge_sort_block_merge_implIS3_N6thrust23THRUST_200600_302600_NS6detail15normal_iteratorINS9_10device_ptrIlEEEEPS5_m14custom_greaterIlEEE10hipError_tT0_T1_T2_jT3_P12ihipStream_tbPNSt15iterator_traitsISJ_E10value_typeEPNSP_ISK_E10value_typeEPSL_NS1_7vsmem_tEENKUlT_SJ_SK_SL_E_clIPlSE_SF_SF_EESI_SY_SJ_SK_SL_EUlSY_E1_NS1_11comp_targetILNS1_3genE10ELNS1_11target_archE1201ELNS1_3gpuE5ELNS1_3repE0EEENS1_36merge_oddeven_config_static_selectorELNS0_4arch9wavefront6targetE1EEEvSK_
; %bb.0:
	.section	.rodata,"a",@progbits
	.p2align	6, 0x0
	.amdhsa_kernel _ZN7rocprim17ROCPRIM_400000_NS6detail17trampoline_kernelINS0_14default_configENS1_38merge_sort_block_merge_config_selectorIlNS0_10empty_typeEEEZZNS1_27merge_sort_block_merge_implIS3_N6thrust23THRUST_200600_302600_NS6detail15normal_iteratorINS9_10device_ptrIlEEEEPS5_m14custom_greaterIlEEE10hipError_tT0_T1_T2_jT3_P12ihipStream_tbPNSt15iterator_traitsISJ_E10value_typeEPNSP_ISK_E10value_typeEPSL_NS1_7vsmem_tEENKUlT_SJ_SK_SL_E_clIPlSE_SF_SF_EESI_SY_SJ_SK_SL_EUlSY_E1_NS1_11comp_targetILNS1_3genE10ELNS1_11target_archE1201ELNS1_3gpuE5ELNS1_3repE0EEENS1_36merge_oddeven_config_static_selectorELNS0_4arch9wavefront6targetE1EEEvSK_
		.amdhsa_group_segment_fixed_size 0
		.amdhsa_private_segment_fixed_size 0
		.amdhsa_kernarg_size 56
		.amdhsa_user_sgpr_count 6
		.amdhsa_user_sgpr_private_segment_buffer 1
		.amdhsa_user_sgpr_dispatch_ptr 0
		.amdhsa_user_sgpr_queue_ptr 0
		.amdhsa_user_sgpr_kernarg_segment_ptr 1
		.amdhsa_user_sgpr_dispatch_id 0
		.amdhsa_user_sgpr_flat_scratch_init 0
		.amdhsa_user_sgpr_kernarg_preload_length 0
		.amdhsa_user_sgpr_kernarg_preload_offset 0
		.amdhsa_user_sgpr_private_segment_size 0
		.amdhsa_uses_dynamic_stack 0
		.amdhsa_system_sgpr_private_segment_wavefront_offset 0
		.amdhsa_system_sgpr_workgroup_id_x 1
		.amdhsa_system_sgpr_workgroup_id_y 0
		.amdhsa_system_sgpr_workgroup_id_z 0
		.amdhsa_system_sgpr_workgroup_info 0
		.amdhsa_system_vgpr_workitem_id 0
		.amdhsa_next_free_vgpr 1
		.amdhsa_next_free_sgpr 0
		.amdhsa_accum_offset 4
		.amdhsa_reserve_vcc 0
		.amdhsa_reserve_flat_scratch 0
		.amdhsa_float_round_mode_32 0
		.amdhsa_float_round_mode_16_64 0
		.amdhsa_float_denorm_mode_32 3
		.amdhsa_float_denorm_mode_16_64 3
		.amdhsa_dx10_clamp 1
		.amdhsa_ieee_mode 1
		.amdhsa_fp16_overflow 0
		.amdhsa_tg_split 0
		.amdhsa_exception_fp_ieee_invalid_op 0
		.amdhsa_exception_fp_denorm_src 0
		.amdhsa_exception_fp_ieee_div_zero 0
		.amdhsa_exception_fp_ieee_overflow 0
		.amdhsa_exception_fp_ieee_underflow 0
		.amdhsa_exception_fp_ieee_inexact 0
		.amdhsa_exception_int_div_zero 0
	.end_amdhsa_kernel
	.section	.text._ZN7rocprim17ROCPRIM_400000_NS6detail17trampoline_kernelINS0_14default_configENS1_38merge_sort_block_merge_config_selectorIlNS0_10empty_typeEEEZZNS1_27merge_sort_block_merge_implIS3_N6thrust23THRUST_200600_302600_NS6detail15normal_iteratorINS9_10device_ptrIlEEEEPS5_m14custom_greaterIlEEE10hipError_tT0_T1_T2_jT3_P12ihipStream_tbPNSt15iterator_traitsISJ_E10value_typeEPNSP_ISK_E10value_typeEPSL_NS1_7vsmem_tEENKUlT_SJ_SK_SL_E_clIPlSE_SF_SF_EESI_SY_SJ_SK_SL_EUlSY_E1_NS1_11comp_targetILNS1_3genE10ELNS1_11target_archE1201ELNS1_3gpuE5ELNS1_3repE0EEENS1_36merge_oddeven_config_static_selectorELNS0_4arch9wavefront6targetE1EEEvSK_,"axG",@progbits,_ZN7rocprim17ROCPRIM_400000_NS6detail17trampoline_kernelINS0_14default_configENS1_38merge_sort_block_merge_config_selectorIlNS0_10empty_typeEEEZZNS1_27merge_sort_block_merge_implIS3_N6thrust23THRUST_200600_302600_NS6detail15normal_iteratorINS9_10device_ptrIlEEEEPS5_m14custom_greaterIlEEE10hipError_tT0_T1_T2_jT3_P12ihipStream_tbPNSt15iterator_traitsISJ_E10value_typeEPNSP_ISK_E10value_typeEPSL_NS1_7vsmem_tEENKUlT_SJ_SK_SL_E_clIPlSE_SF_SF_EESI_SY_SJ_SK_SL_EUlSY_E1_NS1_11comp_targetILNS1_3genE10ELNS1_11target_archE1201ELNS1_3gpuE5ELNS1_3repE0EEENS1_36merge_oddeven_config_static_selectorELNS0_4arch9wavefront6targetE1EEEvSK_,comdat
.Lfunc_end3255:
	.size	_ZN7rocprim17ROCPRIM_400000_NS6detail17trampoline_kernelINS0_14default_configENS1_38merge_sort_block_merge_config_selectorIlNS0_10empty_typeEEEZZNS1_27merge_sort_block_merge_implIS3_N6thrust23THRUST_200600_302600_NS6detail15normal_iteratorINS9_10device_ptrIlEEEEPS5_m14custom_greaterIlEEE10hipError_tT0_T1_T2_jT3_P12ihipStream_tbPNSt15iterator_traitsISJ_E10value_typeEPNSP_ISK_E10value_typeEPSL_NS1_7vsmem_tEENKUlT_SJ_SK_SL_E_clIPlSE_SF_SF_EESI_SY_SJ_SK_SL_EUlSY_E1_NS1_11comp_targetILNS1_3genE10ELNS1_11target_archE1201ELNS1_3gpuE5ELNS1_3repE0EEENS1_36merge_oddeven_config_static_selectorELNS0_4arch9wavefront6targetE1EEEvSK_, .Lfunc_end3255-_ZN7rocprim17ROCPRIM_400000_NS6detail17trampoline_kernelINS0_14default_configENS1_38merge_sort_block_merge_config_selectorIlNS0_10empty_typeEEEZZNS1_27merge_sort_block_merge_implIS3_N6thrust23THRUST_200600_302600_NS6detail15normal_iteratorINS9_10device_ptrIlEEEEPS5_m14custom_greaterIlEEE10hipError_tT0_T1_T2_jT3_P12ihipStream_tbPNSt15iterator_traitsISJ_E10value_typeEPNSP_ISK_E10value_typeEPSL_NS1_7vsmem_tEENKUlT_SJ_SK_SL_E_clIPlSE_SF_SF_EESI_SY_SJ_SK_SL_EUlSY_E1_NS1_11comp_targetILNS1_3genE10ELNS1_11target_archE1201ELNS1_3gpuE5ELNS1_3repE0EEENS1_36merge_oddeven_config_static_selectorELNS0_4arch9wavefront6targetE1EEEvSK_
                                        ; -- End function
	.section	.AMDGPU.csdata,"",@progbits
; Kernel info:
; codeLenInByte = 0
; NumSgprs: 4
; NumVgprs: 0
; NumAgprs: 0
; TotalNumVgprs: 0
; ScratchSize: 0
; MemoryBound: 0
; FloatMode: 240
; IeeeMode: 1
; LDSByteSize: 0 bytes/workgroup (compile time only)
; SGPRBlocks: 0
; VGPRBlocks: 0
; NumSGPRsForWavesPerEU: 4
; NumVGPRsForWavesPerEU: 1
; AccumOffset: 4
; Occupancy: 8
; WaveLimiterHint : 0
; COMPUTE_PGM_RSRC2:SCRATCH_EN: 0
; COMPUTE_PGM_RSRC2:USER_SGPR: 6
; COMPUTE_PGM_RSRC2:TRAP_HANDLER: 0
; COMPUTE_PGM_RSRC2:TGID_X_EN: 1
; COMPUTE_PGM_RSRC2:TGID_Y_EN: 0
; COMPUTE_PGM_RSRC2:TGID_Z_EN: 0
; COMPUTE_PGM_RSRC2:TIDIG_COMP_CNT: 0
; COMPUTE_PGM_RSRC3_GFX90A:ACCUM_OFFSET: 0
; COMPUTE_PGM_RSRC3_GFX90A:TG_SPLIT: 0
	.section	.text._ZN7rocprim17ROCPRIM_400000_NS6detail17trampoline_kernelINS0_14default_configENS1_38merge_sort_block_merge_config_selectorIlNS0_10empty_typeEEEZZNS1_27merge_sort_block_merge_implIS3_N6thrust23THRUST_200600_302600_NS6detail15normal_iteratorINS9_10device_ptrIlEEEEPS5_m14custom_greaterIlEEE10hipError_tT0_T1_T2_jT3_P12ihipStream_tbPNSt15iterator_traitsISJ_E10value_typeEPNSP_ISK_E10value_typeEPSL_NS1_7vsmem_tEENKUlT_SJ_SK_SL_E_clIPlSE_SF_SF_EESI_SY_SJ_SK_SL_EUlSY_E1_NS1_11comp_targetILNS1_3genE5ELNS1_11target_archE942ELNS1_3gpuE9ELNS1_3repE0EEENS1_36merge_oddeven_config_static_selectorELNS0_4arch9wavefront6targetE1EEEvSK_,"axG",@progbits,_ZN7rocprim17ROCPRIM_400000_NS6detail17trampoline_kernelINS0_14default_configENS1_38merge_sort_block_merge_config_selectorIlNS0_10empty_typeEEEZZNS1_27merge_sort_block_merge_implIS3_N6thrust23THRUST_200600_302600_NS6detail15normal_iteratorINS9_10device_ptrIlEEEEPS5_m14custom_greaterIlEEE10hipError_tT0_T1_T2_jT3_P12ihipStream_tbPNSt15iterator_traitsISJ_E10value_typeEPNSP_ISK_E10value_typeEPSL_NS1_7vsmem_tEENKUlT_SJ_SK_SL_E_clIPlSE_SF_SF_EESI_SY_SJ_SK_SL_EUlSY_E1_NS1_11comp_targetILNS1_3genE5ELNS1_11target_archE942ELNS1_3gpuE9ELNS1_3repE0EEENS1_36merge_oddeven_config_static_selectorELNS0_4arch9wavefront6targetE1EEEvSK_,comdat
	.protected	_ZN7rocprim17ROCPRIM_400000_NS6detail17trampoline_kernelINS0_14default_configENS1_38merge_sort_block_merge_config_selectorIlNS0_10empty_typeEEEZZNS1_27merge_sort_block_merge_implIS3_N6thrust23THRUST_200600_302600_NS6detail15normal_iteratorINS9_10device_ptrIlEEEEPS5_m14custom_greaterIlEEE10hipError_tT0_T1_T2_jT3_P12ihipStream_tbPNSt15iterator_traitsISJ_E10value_typeEPNSP_ISK_E10value_typeEPSL_NS1_7vsmem_tEENKUlT_SJ_SK_SL_E_clIPlSE_SF_SF_EESI_SY_SJ_SK_SL_EUlSY_E1_NS1_11comp_targetILNS1_3genE5ELNS1_11target_archE942ELNS1_3gpuE9ELNS1_3repE0EEENS1_36merge_oddeven_config_static_selectorELNS0_4arch9wavefront6targetE1EEEvSK_ ; -- Begin function _ZN7rocprim17ROCPRIM_400000_NS6detail17trampoline_kernelINS0_14default_configENS1_38merge_sort_block_merge_config_selectorIlNS0_10empty_typeEEEZZNS1_27merge_sort_block_merge_implIS3_N6thrust23THRUST_200600_302600_NS6detail15normal_iteratorINS9_10device_ptrIlEEEEPS5_m14custom_greaterIlEEE10hipError_tT0_T1_T2_jT3_P12ihipStream_tbPNSt15iterator_traitsISJ_E10value_typeEPNSP_ISK_E10value_typeEPSL_NS1_7vsmem_tEENKUlT_SJ_SK_SL_E_clIPlSE_SF_SF_EESI_SY_SJ_SK_SL_EUlSY_E1_NS1_11comp_targetILNS1_3genE5ELNS1_11target_archE942ELNS1_3gpuE9ELNS1_3repE0EEENS1_36merge_oddeven_config_static_selectorELNS0_4arch9wavefront6targetE1EEEvSK_
	.globl	_ZN7rocprim17ROCPRIM_400000_NS6detail17trampoline_kernelINS0_14default_configENS1_38merge_sort_block_merge_config_selectorIlNS0_10empty_typeEEEZZNS1_27merge_sort_block_merge_implIS3_N6thrust23THRUST_200600_302600_NS6detail15normal_iteratorINS9_10device_ptrIlEEEEPS5_m14custom_greaterIlEEE10hipError_tT0_T1_T2_jT3_P12ihipStream_tbPNSt15iterator_traitsISJ_E10value_typeEPNSP_ISK_E10value_typeEPSL_NS1_7vsmem_tEENKUlT_SJ_SK_SL_E_clIPlSE_SF_SF_EESI_SY_SJ_SK_SL_EUlSY_E1_NS1_11comp_targetILNS1_3genE5ELNS1_11target_archE942ELNS1_3gpuE9ELNS1_3repE0EEENS1_36merge_oddeven_config_static_selectorELNS0_4arch9wavefront6targetE1EEEvSK_
	.p2align	8
	.type	_ZN7rocprim17ROCPRIM_400000_NS6detail17trampoline_kernelINS0_14default_configENS1_38merge_sort_block_merge_config_selectorIlNS0_10empty_typeEEEZZNS1_27merge_sort_block_merge_implIS3_N6thrust23THRUST_200600_302600_NS6detail15normal_iteratorINS9_10device_ptrIlEEEEPS5_m14custom_greaterIlEEE10hipError_tT0_T1_T2_jT3_P12ihipStream_tbPNSt15iterator_traitsISJ_E10value_typeEPNSP_ISK_E10value_typeEPSL_NS1_7vsmem_tEENKUlT_SJ_SK_SL_E_clIPlSE_SF_SF_EESI_SY_SJ_SK_SL_EUlSY_E1_NS1_11comp_targetILNS1_3genE5ELNS1_11target_archE942ELNS1_3gpuE9ELNS1_3repE0EEENS1_36merge_oddeven_config_static_selectorELNS0_4arch9wavefront6targetE1EEEvSK_,@function
_ZN7rocprim17ROCPRIM_400000_NS6detail17trampoline_kernelINS0_14default_configENS1_38merge_sort_block_merge_config_selectorIlNS0_10empty_typeEEEZZNS1_27merge_sort_block_merge_implIS3_N6thrust23THRUST_200600_302600_NS6detail15normal_iteratorINS9_10device_ptrIlEEEEPS5_m14custom_greaterIlEEE10hipError_tT0_T1_T2_jT3_P12ihipStream_tbPNSt15iterator_traitsISJ_E10value_typeEPNSP_ISK_E10value_typeEPSL_NS1_7vsmem_tEENKUlT_SJ_SK_SL_E_clIPlSE_SF_SF_EESI_SY_SJ_SK_SL_EUlSY_E1_NS1_11comp_targetILNS1_3genE5ELNS1_11target_archE942ELNS1_3gpuE9ELNS1_3repE0EEENS1_36merge_oddeven_config_static_selectorELNS0_4arch9wavefront6targetE1EEEvSK_: ; @_ZN7rocprim17ROCPRIM_400000_NS6detail17trampoline_kernelINS0_14default_configENS1_38merge_sort_block_merge_config_selectorIlNS0_10empty_typeEEEZZNS1_27merge_sort_block_merge_implIS3_N6thrust23THRUST_200600_302600_NS6detail15normal_iteratorINS9_10device_ptrIlEEEEPS5_m14custom_greaterIlEEE10hipError_tT0_T1_T2_jT3_P12ihipStream_tbPNSt15iterator_traitsISJ_E10value_typeEPNSP_ISK_E10value_typeEPSL_NS1_7vsmem_tEENKUlT_SJ_SK_SL_E_clIPlSE_SF_SF_EESI_SY_SJ_SK_SL_EUlSY_E1_NS1_11comp_targetILNS1_3genE5ELNS1_11target_archE942ELNS1_3gpuE9ELNS1_3repE0EEENS1_36merge_oddeven_config_static_selectorELNS0_4arch9wavefront6targetE1EEEvSK_
; %bb.0:
	.section	.rodata,"a",@progbits
	.p2align	6, 0x0
	.amdhsa_kernel _ZN7rocprim17ROCPRIM_400000_NS6detail17trampoline_kernelINS0_14default_configENS1_38merge_sort_block_merge_config_selectorIlNS0_10empty_typeEEEZZNS1_27merge_sort_block_merge_implIS3_N6thrust23THRUST_200600_302600_NS6detail15normal_iteratorINS9_10device_ptrIlEEEEPS5_m14custom_greaterIlEEE10hipError_tT0_T1_T2_jT3_P12ihipStream_tbPNSt15iterator_traitsISJ_E10value_typeEPNSP_ISK_E10value_typeEPSL_NS1_7vsmem_tEENKUlT_SJ_SK_SL_E_clIPlSE_SF_SF_EESI_SY_SJ_SK_SL_EUlSY_E1_NS1_11comp_targetILNS1_3genE5ELNS1_11target_archE942ELNS1_3gpuE9ELNS1_3repE0EEENS1_36merge_oddeven_config_static_selectorELNS0_4arch9wavefront6targetE1EEEvSK_
		.amdhsa_group_segment_fixed_size 0
		.amdhsa_private_segment_fixed_size 0
		.amdhsa_kernarg_size 56
		.amdhsa_user_sgpr_count 6
		.amdhsa_user_sgpr_private_segment_buffer 1
		.amdhsa_user_sgpr_dispatch_ptr 0
		.amdhsa_user_sgpr_queue_ptr 0
		.amdhsa_user_sgpr_kernarg_segment_ptr 1
		.amdhsa_user_sgpr_dispatch_id 0
		.amdhsa_user_sgpr_flat_scratch_init 0
		.amdhsa_user_sgpr_kernarg_preload_length 0
		.amdhsa_user_sgpr_kernarg_preload_offset 0
		.amdhsa_user_sgpr_private_segment_size 0
		.amdhsa_uses_dynamic_stack 0
		.amdhsa_system_sgpr_private_segment_wavefront_offset 0
		.amdhsa_system_sgpr_workgroup_id_x 1
		.amdhsa_system_sgpr_workgroup_id_y 0
		.amdhsa_system_sgpr_workgroup_id_z 0
		.amdhsa_system_sgpr_workgroup_info 0
		.amdhsa_system_vgpr_workitem_id 0
		.amdhsa_next_free_vgpr 1
		.amdhsa_next_free_sgpr 0
		.amdhsa_accum_offset 4
		.amdhsa_reserve_vcc 0
		.amdhsa_reserve_flat_scratch 0
		.amdhsa_float_round_mode_32 0
		.amdhsa_float_round_mode_16_64 0
		.amdhsa_float_denorm_mode_32 3
		.amdhsa_float_denorm_mode_16_64 3
		.amdhsa_dx10_clamp 1
		.amdhsa_ieee_mode 1
		.amdhsa_fp16_overflow 0
		.amdhsa_tg_split 0
		.amdhsa_exception_fp_ieee_invalid_op 0
		.amdhsa_exception_fp_denorm_src 0
		.amdhsa_exception_fp_ieee_div_zero 0
		.amdhsa_exception_fp_ieee_overflow 0
		.amdhsa_exception_fp_ieee_underflow 0
		.amdhsa_exception_fp_ieee_inexact 0
		.amdhsa_exception_int_div_zero 0
	.end_amdhsa_kernel
	.section	.text._ZN7rocprim17ROCPRIM_400000_NS6detail17trampoline_kernelINS0_14default_configENS1_38merge_sort_block_merge_config_selectorIlNS0_10empty_typeEEEZZNS1_27merge_sort_block_merge_implIS3_N6thrust23THRUST_200600_302600_NS6detail15normal_iteratorINS9_10device_ptrIlEEEEPS5_m14custom_greaterIlEEE10hipError_tT0_T1_T2_jT3_P12ihipStream_tbPNSt15iterator_traitsISJ_E10value_typeEPNSP_ISK_E10value_typeEPSL_NS1_7vsmem_tEENKUlT_SJ_SK_SL_E_clIPlSE_SF_SF_EESI_SY_SJ_SK_SL_EUlSY_E1_NS1_11comp_targetILNS1_3genE5ELNS1_11target_archE942ELNS1_3gpuE9ELNS1_3repE0EEENS1_36merge_oddeven_config_static_selectorELNS0_4arch9wavefront6targetE1EEEvSK_,"axG",@progbits,_ZN7rocprim17ROCPRIM_400000_NS6detail17trampoline_kernelINS0_14default_configENS1_38merge_sort_block_merge_config_selectorIlNS0_10empty_typeEEEZZNS1_27merge_sort_block_merge_implIS3_N6thrust23THRUST_200600_302600_NS6detail15normal_iteratorINS9_10device_ptrIlEEEEPS5_m14custom_greaterIlEEE10hipError_tT0_T1_T2_jT3_P12ihipStream_tbPNSt15iterator_traitsISJ_E10value_typeEPNSP_ISK_E10value_typeEPSL_NS1_7vsmem_tEENKUlT_SJ_SK_SL_E_clIPlSE_SF_SF_EESI_SY_SJ_SK_SL_EUlSY_E1_NS1_11comp_targetILNS1_3genE5ELNS1_11target_archE942ELNS1_3gpuE9ELNS1_3repE0EEENS1_36merge_oddeven_config_static_selectorELNS0_4arch9wavefront6targetE1EEEvSK_,comdat
.Lfunc_end3256:
	.size	_ZN7rocprim17ROCPRIM_400000_NS6detail17trampoline_kernelINS0_14default_configENS1_38merge_sort_block_merge_config_selectorIlNS0_10empty_typeEEEZZNS1_27merge_sort_block_merge_implIS3_N6thrust23THRUST_200600_302600_NS6detail15normal_iteratorINS9_10device_ptrIlEEEEPS5_m14custom_greaterIlEEE10hipError_tT0_T1_T2_jT3_P12ihipStream_tbPNSt15iterator_traitsISJ_E10value_typeEPNSP_ISK_E10value_typeEPSL_NS1_7vsmem_tEENKUlT_SJ_SK_SL_E_clIPlSE_SF_SF_EESI_SY_SJ_SK_SL_EUlSY_E1_NS1_11comp_targetILNS1_3genE5ELNS1_11target_archE942ELNS1_3gpuE9ELNS1_3repE0EEENS1_36merge_oddeven_config_static_selectorELNS0_4arch9wavefront6targetE1EEEvSK_, .Lfunc_end3256-_ZN7rocprim17ROCPRIM_400000_NS6detail17trampoline_kernelINS0_14default_configENS1_38merge_sort_block_merge_config_selectorIlNS0_10empty_typeEEEZZNS1_27merge_sort_block_merge_implIS3_N6thrust23THRUST_200600_302600_NS6detail15normal_iteratorINS9_10device_ptrIlEEEEPS5_m14custom_greaterIlEEE10hipError_tT0_T1_T2_jT3_P12ihipStream_tbPNSt15iterator_traitsISJ_E10value_typeEPNSP_ISK_E10value_typeEPSL_NS1_7vsmem_tEENKUlT_SJ_SK_SL_E_clIPlSE_SF_SF_EESI_SY_SJ_SK_SL_EUlSY_E1_NS1_11comp_targetILNS1_3genE5ELNS1_11target_archE942ELNS1_3gpuE9ELNS1_3repE0EEENS1_36merge_oddeven_config_static_selectorELNS0_4arch9wavefront6targetE1EEEvSK_
                                        ; -- End function
	.section	.AMDGPU.csdata,"",@progbits
; Kernel info:
; codeLenInByte = 0
; NumSgprs: 4
; NumVgprs: 0
; NumAgprs: 0
; TotalNumVgprs: 0
; ScratchSize: 0
; MemoryBound: 0
; FloatMode: 240
; IeeeMode: 1
; LDSByteSize: 0 bytes/workgroup (compile time only)
; SGPRBlocks: 0
; VGPRBlocks: 0
; NumSGPRsForWavesPerEU: 4
; NumVGPRsForWavesPerEU: 1
; AccumOffset: 4
; Occupancy: 8
; WaveLimiterHint : 0
; COMPUTE_PGM_RSRC2:SCRATCH_EN: 0
; COMPUTE_PGM_RSRC2:USER_SGPR: 6
; COMPUTE_PGM_RSRC2:TRAP_HANDLER: 0
; COMPUTE_PGM_RSRC2:TGID_X_EN: 1
; COMPUTE_PGM_RSRC2:TGID_Y_EN: 0
; COMPUTE_PGM_RSRC2:TGID_Z_EN: 0
; COMPUTE_PGM_RSRC2:TIDIG_COMP_CNT: 0
; COMPUTE_PGM_RSRC3_GFX90A:ACCUM_OFFSET: 0
; COMPUTE_PGM_RSRC3_GFX90A:TG_SPLIT: 0
	.section	.text._ZN7rocprim17ROCPRIM_400000_NS6detail17trampoline_kernelINS0_14default_configENS1_38merge_sort_block_merge_config_selectorIlNS0_10empty_typeEEEZZNS1_27merge_sort_block_merge_implIS3_N6thrust23THRUST_200600_302600_NS6detail15normal_iteratorINS9_10device_ptrIlEEEEPS5_m14custom_greaterIlEEE10hipError_tT0_T1_T2_jT3_P12ihipStream_tbPNSt15iterator_traitsISJ_E10value_typeEPNSP_ISK_E10value_typeEPSL_NS1_7vsmem_tEENKUlT_SJ_SK_SL_E_clIPlSE_SF_SF_EESI_SY_SJ_SK_SL_EUlSY_E1_NS1_11comp_targetILNS1_3genE4ELNS1_11target_archE910ELNS1_3gpuE8ELNS1_3repE0EEENS1_36merge_oddeven_config_static_selectorELNS0_4arch9wavefront6targetE1EEEvSK_,"axG",@progbits,_ZN7rocprim17ROCPRIM_400000_NS6detail17trampoline_kernelINS0_14default_configENS1_38merge_sort_block_merge_config_selectorIlNS0_10empty_typeEEEZZNS1_27merge_sort_block_merge_implIS3_N6thrust23THRUST_200600_302600_NS6detail15normal_iteratorINS9_10device_ptrIlEEEEPS5_m14custom_greaterIlEEE10hipError_tT0_T1_T2_jT3_P12ihipStream_tbPNSt15iterator_traitsISJ_E10value_typeEPNSP_ISK_E10value_typeEPSL_NS1_7vsmem_tEENKUlT_SJ_SK_SL_E_clIPlSE_SF_SF_EESI_SY_SJ_SK_SL_EUlSY_E1_NS1_11comp_targetILNS1_3genE4ELNS1_11target_archE910ELNS1_3gpuE8ELNS1_3repE0EEENS1_36merge_oddeven_config_static_selectorELNS0_4arch9wavefront6targetE1EEEvSK_,comdat
	.protected	_ZN7rocprim17ROCPRIM_400000_NS6detail17trampoline_kernelINS0_14default_configENS1_38merge_sort_block_merge_config_selectorIlNS0_10empty_typeEEEZZNS1_27merge_sort_block_merge_implIS3_N6thrust23THRUST_200600_302600_NS6detail15normal_iteratorINS9_10device_ptrIlEEEEPS5_m14custom_greaterIlEEE10hipError_tT0_T1_T2_jT3_P12ihipStream_tbPNSt15iterator_traitsISJ_E10value_typeEPNSP_ISK_E10value_typeEPSL_NS1_7vsmem_tEENKUlT_SJ_SK_SL_E_clIPlSE_SF_SF_EESI_SY_SJ_SK_SL_EUlSY_E1_NS1_11comp_targetILNS1_3genE4ELNS1_11target_archE910ELNS1_3gpuE8ELNS1_3repE0EEENS1_36merge_oddeven_config_static_selectorELNS0_4arch9wavefront6targetE1EEEvSK_ ; -- Begin function _ZN7rocprim17ROCPRIM_400000_NS6detail17trampoline_kernelINS0_14default_configENS1_38merge_sort_block_merge_config_selectorIlNS0_10empty_typeEEEZZNS1_27merge_sort_block_merge_implIS3_N6thrust23THRUST_200600_302600_NS6detail15normal_iteratorINS9_10device_ptrIlEEEEPS5_m14custom_greaterIlEEE10hipError_tT0_T1_T2_jT3_P12ihipStream_tbPNSt15iterator_traitsISJ_E10value_typeEPNSP_ISK_E10value_typeEPSL_NS1_7vsmem_tEENKUlT_SJ_SK_SL_E_clIPlSE_SF_SF_EESI_SY_SJ_SK_SL_EUlSY_E1_NS1_11comp_targetILNS1_3genE4ELNS1_11target_archE910ELNS1_3gpuE8ELNS1_3repE0EEENS1_36merge_oddeven_config_static_selectorELNS0_4arch9wavefront6targetE1EEEvSK_
	.globl	_ZN7rocprim17ROCPRIM_400000_NS6detail17trampoline_kernelINS0_14default_configENS1_38merge_sort_block_merge_config_selectorIlNS0_10empty_typeEEEZZNS1_27merge_sort_block_merge_implIS3_N6thrust23THRUST_200600_302600_NS6detail15normal_iteratorINS9_10device_ptrIlEEEEPS5_m14custom_greaterIlEEE10hipError_tT0_T1_T2_jT3_P12ihipStream_tbPNSt15iterator_traitsISJ_E10value_typeEPNSP_ISK_E10value_typeEPSL_NS1_7vsmem_tEENKUlT_SJ_SK_SL_E_clIPlSE_SF_SF_EESI_SY_SJ_SK_SL_EUlSY_E1_NS1_11comp_targetILNS1_3genE4ELNS1_11target_archE910ELNS1_3gpuE8ELNS1_3repE0EEENS1_36merge_oddeven_config_static_selectorELNS0_4arch9wavefront6targetE1EEEvSK_
	.p2align	8
	.type	_ZN7rocprim17ROCPRIM_400000_NS6detail17trampoline_kernelINS0_14default_configENS1_38merge_sort_block_merge_config_selectorIlNS0_10empty_typeEEEZZNS1_27merge_sort_block_merge_implIS3_N6thrust23THRUST_200600_302600_NS6detail15normal_iteratorINS9_10device_ptrIlEEEEPS5_m14custom_greaterIlEEE10hipError_tT0_T1_T2_jT3_P12ihipStream_tbPNSt15iterator_traitsISJ_E10value_typeEPNSP_ISK_E10value_typeEPSL_NS1_7vsmem_tEENKUlT_SJ_SK_SL_E_clIPlSE_SF_SF_EESI_SY_SJ_SK_SL_EUlSY_E1_NS1_11comp_targetILNS1_3genE4ELNS1_11target_archE910ELNS1_3gpuE8ELNS1_3repE0EEENS1_36merge_oddeven_config_static_selectorELNS0_4arch9wavefront6targetE1EEEvSK_,@function
_ZN7rocprim17ROCPRIM_400000_NS6detail17trampoline_kernelINS0_14default_configENS1_38merge_sort_block_merge_config_selectorIlNS0_10empty_typeEEEZZNS1_27merge_sort_block_merge_implIS3_N6thrust23THRUST_200600_302600_NS6detail15normal_iteratorINS9_10device_ptrIlEEEEPS5_m14custom_greaterIlEEE10hipError_tT0_T1_T2_jT3_P12ihipStream_tbPNSt15iterator_traitsISJ_E10value_typeEPNSP_ISK_E10value_typeEPSL_NS1_7vsmem_tEENKUlT_SJ_SK_SL_E_clIPlSE_SF_SF_EESI_SY_SJ_SK_SL_EUlSY_E1_NS1_11comp_targetILNS1_3genE4ELNS1_11target_archE910ELNS1_3gpuE8ELNS1_3repE0EEENS1_36merge_oddeven_config_static_selectorELNS0_4arch9wavefront6targetE1EEEvSK_: ; @_ZN7rocprim17ROCPRIM_400000_NS6detail17trampoline_kernelINS0_14default_configENS1_38merge_sort_block_merge_config_selectorIlNS0_10empty_typeEEEZZNS1_27merge_sort_block_merge_implIS3_N6thrust23THRUST_200600_302600_NS6detail15normal_iteratorINS9_10device_ptrIlEEEEPS5_m14custom_greaterIlEEE10hipError_tT0_T1_T2_jT3_P12ihipStream_tbPNSt15iterator_traitsISJ_E10value_typeEPNSP_ISK_E10value_typeEPSL_NS1_7vsmem_tEENKUlT_SJ_SK_SL_E_clIPlSE_SF_SF_EESI_SY_SJ_SK_SL_EUlSY_E1_NS1_11comp_targetILNS1_3genE4ELNS1_11target_archE910ELNS1_3gpuE8ELNS1_3repE0EEENS1_36merge_oddeven_config_static_selectorELNS0_4arch9wavefront6targetE1EEEvSK_
; %bb.0:
	s_load_dword s18, s[4:5], 0x20
	s_waitcnt lgkmcnt(0)
	s_lshr_b32 s0, s18, 8
	s_cmp_lg_u32 s6, s0
	s_cselect_b64 s[14:15], -1, 0
	s_cmp_eq_u32 s6, s0
	s_cselect_b64 s[12:13], -1, 0
	s_lshl_b32 s16, s6, 8
	s_sub_i32 s0, s18, s16
	v_cmp_gt_u32_e64 s[2:3], s0, v0
	s_or_b64 s[0:1], s[14:15], s[2:3]
	s_and_saveexec_b64 s[8:9], s[0:1]
	s_cbranch_execz .LBB3257_20
; %bb.1:
	s_load_dwordx4 s[8:11], s[4:5], 0x0
	s_load_dword s19, s[4:5], 0x28
	s_mov_b32 s17, 0
	s_lshl_b64 s[0:1], s[16:17], 3
	v_lshlrev_b32_e32 v1, 3, v0
	s_waitcnt lgkmcnt(0)
	s_add_u32 s0, s8, s0
	s_addc_u32 s1, s9, s1
	global_load_dwordx2 v[2:3], v1, s[0:1]
	s_lshr_b32 s0, s19, 8
	s_sub_i32 s1, 0, s0
	s_and_b32 s1, s6, s1
	s_and_b32 s0, s1, s0
	s_lshl_b32 s20, s1, 8
	s_sub_i32 s6, 0, s19
	s_cmp_eq_u32 s0, 0
	s_cselect_b64 s[0:1], -1, 0
	s_and_b64 s[4:5], s[0:1], exec
	s_cselect_b32 s17, s19, s6
	s_add_i32 s17, s17, s20
	s_cmp_lt_u32 s17, s18
	v_add_u32_e32 v0, s16, v0
	s_cbranch_scc1 .LBB3257_3
; %bb.2:
	v_cmp_gt_u32_e32 vcc, s18, v0
	s_or_b64 s[4:5], vcc, s[14:15]
	s_and_b64 s[4:5], s[4:5], exec
	s_cbranch_execz .LBB3257_4
	s_branch .LBB3257_18
.LBB3257_3:
	s_mov_b64 s[4:5], 0
.LBB3257_4:
	s_min_u32 s14, s17, s18
	s_add_i32 s6, s14, s19
	s_min_u32 s15, s6, s18
	s_min_u32 s6, s20, s14
	s_add_i32 s20, s20, s14
	v_subrev_u32_e32 v0, s20, v0
	v_add_u32_e32 v4, s6, v0
	s_and_b64 vcc, exec, s[12:13]
	s_cbranch_vccz .LBB3257_12
; %bb.5:
                                        ; implicit-def: $vgpr0
	s_and_saveexec_b64 s[6:7], s[2:3]
	s_cbranch_execz .LBB3257_11
; %bb.6:
	s_cmp_ge_u32 s17, s15
	v_mov_b32_e32 v5, s14
	s_cbranch_scc1 .LBB3257_10
; %bb.7:
	s_mov_b64 s[2:3], 0
	v_mov_b32_e32 v6, s15
	v_mov_b32_e32 v5, s14
	v_mov_b32_e32 v1, 0
	v_mov_b32_e32 v7, s9
.LBB3257_8:                             ; =>This Inner Loop Header: Depth=1
	v_add_u32_e32 v0, v5, v6
	v_lshrrev_b32_e32 v0, 1, v0
	v_lshlrev_b64 v[8:9], 3, v[0:1]
	v_add_co_u32_e32 v8, vcc, s8, v8
	v_addc_co_u32_e32 v9, vcc, v7, v9, vcc
	global_load_dwordx2 v[8:9], v[8:9], off
	v_add_u32_e32 v10, 1, v0
	s_waitcnt vmcnt(0)
	v_cmp_gt_i64_e32 vcc, v[2:3], v[8:9]
	v_cndmask_b32_e64 v11, 0, 1, vcc
	v_cmp_le_i64_e32 vcc, v[8:9], v[2:3]
	v_cndmask_b32_e64 v8, 0, 1, vcc
	v_cndmask_b32_e64 v8, v8, v11, s[0:1]
	v_and_b32_e32 v8, 1, v8
	v_cmp_eq_u32_e32 vcc, 1, v8
	v_cndmask_b32_e32 v6, v0, v6, vcc
	v_cndmask_b32_e32 v5, v5, v10, vcc
	v_cmp_ge_u32_e32 vcc, v5, v6
	s_or_b64 s[2:3], vcc, s[2:3]
	s_andn2_b64 exec, exec, s[2:3]
	s_cbranch_execnz .LBB3257_8
; %bb.9:
	s_or_b64 exec, exec, s[2:3]
.LBB3257_10:
	v_add_u32_e32 v0, v5, v4
	s_or_b64 s[4:5], s[4:5], exec
.LBB3257_11:
	s_or_b64 exec, exec, s[6:7]
	s_branch .LBB3257_18
.LBB3257_12:
                                        ; implicit-def: $vgpr0
	s_cbranch_execz .LBB3257_18
; %bb.13:
	s_cmp_ge_u32 s17, s15
	v_mov_b32_e32 v5, s14
	s_cbranch_scc1 .LBB3257_17
; %bb.14:
	s_mov_b64 s[2:3], 0
	v_mov_b32_e32 v6, s15
	v_mov_b32_e32 v5, s14
	;; [unrolled: 1-line block ×4, first 2 shown]
.LBB3257_15:                            ; =>This Inner Loop Header: Depth=1
	v_add_u32_e32 v0, v5, v6
	v_lshrrev_b32_e32 v0, 1, v0
	v_lshlrev_b64 v[8:9], 3, v[0:1]
	v_add_co_u32_e32 v8, vcc, s8, v8
	v_addc_co_u32_e32 v9, vcc, v7, v9, vcc
	global_load_dwordx2 v[8:9], v[8:9], off
	v_add_u32_e32 v10, 1, v0
	s_waitcnt vmcnt(0)
	v_cmp_gt_i64_e32 vcc, v[2:3], v[8:9]
	v_cndmask_b32_e64 v11, 0, 1, vcc
	v_cmp_le_i64_e32 vcc, v[8:9], v[2:3]
	v_cndmask_b32_e64 v8, 0, 1, vcc
	v_cndmask_b32_e64 v8, v8, v11, s[0:1]
	v_and_b32_e32 v8, 1, v8
	v_cmp_eq_u32_e32 vcc, 1, v8
	v_cndmask_b32_e32 v6, v0, v6, vcc
	v_cndmask_b32_e32 v5, v5, v10, vcc
	v_cmp_ge_u32_e32 vcc, v5, v6
	s_or_b64 s[2:3], vcc, s[2:3]
	s_andn2_b64 exec, exec, s[2:3]
	s_cbranch_execnz .LBB3257_15
; %bb.16:
	s_or_b64 exec, exec, s[2:3]
.LBB3257_17:
	v_add_u32_e32 v0, v5, v4
	s_mov_b64 s[4:5], -1
.LBB3257_18:
	s_and_b64 exec, exec, s[4:5]
	s_cbranch_execz .LBB3257_20
; %bb.19:
	v_mov_b32_e32 v1, 0
	v_lshlrev_b64 v[0:1], 3, v[0:1]
	v_mov_b32_e32 v4, s11
	v_add_co_u32_e32 v0, vcc, s10, v0
	v_addc_co_u32_e32 v1, vcc, v4, v1, vcc
	s_waitcnt vmcnt(0)
	global_store_dwordx2 v[0:1], v[2:3], off
.LBB3257_20:
	s_endpgm
	.section	.rodata,"a",@progbits
	.p2align	6, 0x0
	.amdhsa_kernel _ZN7rocprim17ROCPRIM_400000_NS6detail17trampoline_kernelINS0_14default_configENS1_38merge_sort_block_merge_config_selectorIlNS0_10empty_typeEEEZZNS1_27merge_sort_block_merge_implIS3_N6thrust23THRUST_200600_302600_NS6detail15normal_iteratorINS9_10device_ptrIlEEEEPS5_m14custom_greaterIlEEE10hipError_tT0_T1_T2_jT3_P12ihipStream_tbPNSt15iterator_traitsISJ_E10value_typeEPNSP_ISK_E10value_typeEPSL_NS1_7vsmem_tEENKUlT_SJ_SK_SL_E_clIPlSE_SF_SF_EESI_SY_SJ_SK_SL_EUlSY_E1_NS1_11comp_targetILNS1_3genE4ELNS1_11target_archE910ELNS1_3gpuE8ELNS1_3repE0EEENS1_36merge_oddeven_config_static_selectorELNS0_4arch9wavefront6targetE1EEEvSK_
		.amdhsa_group_segment_fixed_size 0
		.amdhsa_private_segment_fixed_size 0
		.amdhsa_kernarg_size 56
		.amdhsa_user_sgpr_count 6
		.amdhsa_user_sgpr_private_segment_buffer 1
		.amdhsa_user_sgpr_dispatch_ptr 0
		.amdhsa_user_sgpr_queue_ptr 0
		.amdhsa_user_sgpr_kernarg_segment_ptr 1
		.amdhsa_user_sgpr_dispatch_id 0
		.amdhsa_user_sgpr_flat_scratch_init 0
		.amdhsa_user_sgpr_kernarg_preload_length 0
		.amdhsa_user_sgpr_kernarg_preload_offset 0
		.amdhsa_user_sgpr_private_segment_size 0
		.amdhsa_uses_dynamic_stack 0
		.amdhsa_system_sgpr_private_segment_wavefront_offset 0
		.amdhsa_system_sgpr_workgroup_id_x 1
		.amdhsa_system_sgpr_workgroup_id_y 0
		.amdhsa_system_sgpr_workgroup_id_z 0
		.amdhsa_system_sgpr_workgroup_info 0
		.amdhsa_system_vgpr_workitem_id 0
		.amdhsa_next_free_vgpr 12
		.amdhsa_next_free_sgpr 21
		.amdhsa_accum_offset 12
		.amdhsa_reserve_vcc 1
		.amdhsa_reserve_flat_scratch 0
		.amdhsa_float_round_mode_32 0
		.amdhsa_float_round_mode_16_64 0
		.amdhsa_float_denorm_mode_32 3
		.amdhsa_float_denorm_mode_16_64 3
		.amdhsa_dx10_clamp 1
		.amdhsa_ieee_mode 1
		.amdhsa_fp16_overflow 0
		.amdhsa_tg_split 0
		.amdhsa_exception_fp_ieee_invalid_op 0
		.amdhsa_exception_fp_denorm_src 0
		.amdhsa_exception_fp_ieee_div_zero 0
		.amdhsa_exception_fp_ieee_overflow 0
		.amdhsa_exception_fp_ieee_underflow 0
		.amdhsa_exception_fp_ieee_inexact 0
		.amdhsa_exception_int_div_zero 0
	.end_amdhsa_kernel
	.section	.text._ZN7rocprim17ROCPRIM_400000_NS6detail17trampoline_kernelINS0_14default_configENS1_38merge_sort_block_merge_config_selectorIlNS0_10empty_typeEEEZZNS1_27merge_sort_block_merge_implIS3_N6thrust23THRUST_200600_302600_NS6detail15normal_iteratorINS9_10device_ptrIlEEEEPS5_m14custom_greaterIlEEE10hipError_tT0_T1_T2_jT3_P12ihipStream_tbPNSt15iterator_traitsISJ_E10value_typeEPNSP_ISK_E10value_typeEPSL_NS1_7vsmem_tEENKUlT_SJ_SK_SL_E_clIPlSE_SF_SF_EESI_SY_SJ_SK_SL_EUlSY_E1_NS1_11comp_targetILNS1_3genE4ELNS1_11target_archE910ELNS1_3gpuE8ELNS1_3repE0EEENS1_36merge_oddeven_config_static_selectorELNS0_4arch9wavefront6targetE1EEEvSK_,"axG",@progbits,_ZN7rocprim17ROCPRIM_400000_NS6detail17trampoline_kernelINS0_14default_configENS1_38merge_sort_block_merge_config_selectorIlNS0_10empty_typeEEEZZNS1_27merge_sort_block_merge_implIS3_N6thrust23THRUST_200600_302600_NS6detail15normal_iteratorINS9_10device_ptrIlEEEEPS5_m14custom_greaterIlEEE10hipError_tT0_T1_T2_jT3_P12ihipStream_tbPNSt15iterator_traitsISJ_E10value_typeEPNSP_ISK_E10value_typeEPSL_NS1_7vsmem_tEENKUlT_SJ_SK_SL_E_clIPlSE_SF_SF_EESI_SY_SJ_SK_SL_EUlSY_E1_NS1_11comp_targetILNS1_3genE4ELNS1_11target_archE910ELNS1_3gpuE8ELNS1_3repE0EEENS1_36merge_oddeven_config_static_selectorELNS0_4arch9wavefront6targetE1EEEvSK_,comdat
.Lfunc_end3257:
	.size	_ZN7rocprim17ROCPRIM_400000_NS6detail17trampoline_kernelINS0_14default_configENS1_38merge_sort_block_merge_config_selectorIlNS0_10empty_typeEEEZZNS1_27merge_sort_block_merge_implIS3_N6thrust23THRUST_200600_302600_NS6detail15normal_iteratorINS9_10device_ptrIlEEEEPS5_m14custom_greaterIlEEE10hipError_tT0_T1_T2_jT3_P12ihipStream_tbPNSt15iterator_traitsISJ_E10value_typeEPNSP_ISK_E10value_typeEPSL_NS1_7vsmem_tEENKUlT_SJ_SK_SL_E_clIPlSE_SF_SF_EESI_SY_SJ_SK_SL_EUlSY_E1_NS1_11comp_targetILNS1_3genE4ELNS1_11target_archE910ELNS1_3gpuE8ELNS1_3repE0EEENS1_36merge_oddeven_config_static_selectorELNS0_4arch9wavefront6targetE1EEEvSK_, .Lfunc_end3257-_ZN7rocprim17ROCPRIM_400000_NS6detail17trampoline_kernelINS0_14default_configENS1_38merge_sort_block_merge_config_selectorIlNS0_10empty_typeEEEZZNS1_27merge_sort_block_merge_implIS3_N6thrust23THRUST_200600_302600_NS6detail15normal_iteratorINS9_10device_ptrIlEEEEPS5_m14custom_greaterIlEEE10hipError_tT0_T1_T2_jT3_P12ihipStream_tbPNSt15iterator_traitsISJ_E10value_typeEPNSP_ISK_E10value_typeEPSL_NS1_7vsmem_tEENKUlT_SJ_SK_SL_E_clIPlSE_SF_SF_EESI_SY_SJ_SK_SL_EUlSY_E1_NS1_11comp_targetILNS1_3genE4ELNS1_11target_archE910ELNS1_3gpuE8ELNS1_3repE0EEENS1_36merge_oddeven_config_static_selectorELNS0_4arch9wavefront6targetE1EEEvSK_
                                        ; -- End function
	.section	.AMDGPU.csdata,"",@progbits
; Kernel info:
; codeLenInByte = 588
; NumSgprs: 25
; NumVgprs: 12
; NumAgprs: 0
; TotalNumVgprs: 12
; ScratchSize: 0
; MemoryBound: 0
; FloatMode: 240
; IeeeMode: 1
; LDSByteSize: 0 bytes/workgroup (compile time only)
; SGPRBlocks: 3
; VGPRBlocks: 1
; NumSGPRsForWavesPerEU: 25
; NumVGPRsForWavesPerEU: 12
; AccumOffset: 12
; Occupancy: 8
; WaveLimiterHint : 0
; COMPUTE_PGM_RSRC2:SCRATCH_EN: 0
; COMPUTE_PGM_RSRC2:USER_SGPR: 6
; COMPUTE_PGM_RSRC2:TRAP_HANDLER: 0
; COMPUTE_PGM_RSRC2:TGID_X_EN: 1
; COMPUTE_PGM_RSRC2:TGID_Y_EN: 0
; COMPUTE_PGM_RSRC2:TGID_Z_EN: 0
; COMPUTE_PGM_RSRC2:TIDIG_COMP_CNT: 0
; COMPUTE_PGM_RSRC3_GFX90A:ACCUM_OFFSET: 2
; COMPUTE_PGM_RSRC3_GFX90A:TG_SPLIT: 0
	.section	.text._ZN7rocprim17ROCPRIM_400000_NS6detail17trampoline_kernelINS0_14default_configENS1_38merge_sort_block_merge_config_selectorIlNS0_10empty_typeEEEZZNS1_27merge_sort_block_merge_implIS3_N6thrust23THRUST_200600_302600_NS6detail15normal_iteratorINS9_10device_ptrIlEEEEPS5_m14custom_greaterIlEEE10hipError_tT0_T1_T2_jT3_P12ihipStream_tbPNSt15iterator_traitsISJ_E10value_typeEPNSP_ISK_E10value_typeEPSL_NS1_7vsmem_tEENKUlT_SJ_SK_SL_E_clIPlSE_SF_SF_EESI_SY_SJ_SK_SL_EUlSY_E1_NS1_11comp_targetILNS1_3genE3ELNS1_11target_archE908ELNS1_3gpuE7ELNS1_3repE0EEENS1_36merge_oddeven_config_static_selectorELNS0_4arch9wavefront6targetE1EEEvSK_,"axG",@progbits,_ZN7rocprim17ROCPRIM_400000_NS6detail17trampoline_kernelINS0_14default_configENS1_38merge_sort_block_merge_config_selectorIlNS0_10empty_typeEEEZZNS1_27merge_sort_block_merge_implIS3_N6thrust23THRUST_200600_302600_NS6detail15normal_iteratorINS9_10device_ptrIlEEEEPS5_m14custom_greaterIlEEE10hipError_tT0_T1_T2_jT3_P12ihipStream_tbPNSt15iterator_traitsISJ_E10value_typeEPNSP_ISK_E10value_typeEPSL_NS1_7vsmem_tEENKUlT_SJ_SK_SL_E_clIPlSE_SF_SF_EESI_SY_SJ_SK_SL_EUlSY_E1_NS1_11comp_targetILNS1_3genE3ELNS1_11target_archE908ELNS1_3gpuE7ELNS1_3repE0EEENS1_36merge_oddeven_config_static_selectorELNS0_4arch9wavefront6targetE1EEEvSK_,comdat
	.protected	_ZN7rocprim17ROCPRIM_400000_NS6detail17trampoline_kernelINS0_14default_configENS1_38merge_sort_block_merge_config_selectorIlNS0_10empty_typeEEEZZNS1_27merge_sort_block_merge_implIS3_N6thrust23THRUST_200600_302600_NS6detail15normal_iteratorINS9_10device_ptrIlEEEEPS5_m14custom_greaterIlEEE10hipError_tT0_T1_T2_jT3_P12ihipStream_tbPNSt15iterator_traitsISJ_E10value_typeEPNSP_ISK_E10value_typeEPSL_NS1_7vsmem_tEENKUlT_SJ_SK_SL_E_clIPlSE_SF_SF_EESI_SY_SJ_SK_SL_EUlSY_E1_NS1_11comp_targetILNS1_3genE3ELNS1_11target_archE908ELNS1_3gpuE7ELNS1_3repE0EEENS1_36merge_oddeven_config_static_selectorELNS0_4arch9wavefront6targetE1EEEvSK_ ; -- Begin function _ZN7rocprim17ROCPRIM_400000_NS6detail17trampoline_kernelINS0_14default_configENS1_38merge_sort_block_merge_config_selectorIlNS0_10empty_typeEEEZZNS1_27merge_sort_block_merge_implIS3_N6thrust23THRUST_200600_302600_NS6detail15normal_iteratorINS9_10device_ptrIlEEEEPS5_m14custom_greaterIlEEE10hipError_tT0_T1_T2_jT3_P12ihipStream_tbPNSt15iterator_traitsISJ_E10value_typeEPNSP_ISK_E10value_typeEPSL_NS1_7vsmem_tEENKUlT_SJ_SK_SL_E_clIPlSE_SF_SF_EESI_SY_SJ_SK_SL_EUlSY_E1_NS1_11comp_targetILNS1_3genE3ELNS1_11target_archE908ELNS1_3gpuE7ELNS1_3repE0EEENS1_36merge_oddeven_config_static_selectorELNS0_4arch9wavefront6targetE1EEEvSK_
	.globl	_ZN7rocprim17ROCPRIM_400000_NS6detail17trampoline_kernelINS0_14default_configENS1_38merge_sort_block_merge_config_selectorIlNS0_10empty_typeEEEZZNS1_27merge_sort_block_merge_implIS3_N6thrust23THRUST_200600_302600_NS6detail15normal_iteratorINS9_10device_ptrIlEEEEPS5_m14custom_greaterIlEEE10hipError_tT0_T1_T2_jT3_P12ihipStream_tbPNSt15iterator_traitsISJ_E10value_typeEPNSP_ISK_E10value_typeEPSL_NS1_7vsmem_tEENKUlT_SJ_SK_SL_E_clIPlSE_SF_SF_EESI_SY_SJ_SK_SL_EUlSY_E1_NS1_11comp_targetILNS1_3genE3ELNS1_11target_archE908ELNS1_3gpuE7ELNS1_3repE0EEENS1_36merge_oddeven_config_static_selectorELNS0_4arch9wavefront6targetE1EEEvSK_
	.p2align	8
	.type	_ZN7rocprim17ROCPRIM_400000_NS6detail17trampoline_kernelINS0_14default_configENS1_38merge_sort_block_merge_config_selectorIlNS0_10empty_typeEEEZZNS1_27merge_sort_block_merge_implIS3_N6thrust23THRUST_200600_302600_NS6detail15normal_iteratorINS9_10device_ptrIlEEEEPS5_m14custom_greaterIlEEE10hipError_tT0_T1_T2_jT3_P12ihipStream_tbPNSt15iterator_traitsISJ_E10value_typeEPNSP_ISK_E10value_typeEPSL_NS1_7vsmem_tEENKUlT_SJ_SK_SL_E_clIPlSE_SF_SF_EESI_SY_SJ_SK_SL_EUlSY_E1_NS1_11comp_targetILNS1_3genE3ELNS1_11target_archE908ELNS1_3gpuE7ELNS1_3repE0EEENS1_36merge_oddeven_config_static_selectorELNS0_4arch9wavefront6targetE1EEEvSK_,@function
_ZN7rocprim17ROCPRIM_400000_NS6detail17trampoline_kernelINS0_14default_configENS1_38merge_sort_block_merge_config_selectorIlNS0_10empty_typeEEEZZNS1_27merge_sort_block_merge_implIS3_N6thrust23THRUST_200600_302600_NS6detail15normal_iteratorINS9_10device_ptrIlEEEEPS5_m14custom_greaterIlEEE10hipError_tT0_T1_T2_jT3_P12ihipStream_tbPNSt15iterator_traitsISJ_E10value_typeEPNSP_ISK_E10value_typeEPSL_NS1_7vsmem_tEENKUlT_SJ_SK_SL_E_clIPlSE_SF_SF_EESI_SY_SJ_SK_SL_EUlSY_E1_NS1_11comp_targetILNS1_3genE3ELNS1_11target_archE908ELNS1_3gpuE7ELNS1_3repE0EEENS1_36merge_oddeven_config_static_selectorELNS0_4arch9wavefront6targetE1EEEvSK_: ; @_ZN7rocprim17ROCPRIM_400000_NS6detail17trampoline_kernelINS0_14default_configENS1_38merge_sort_block_merge_config_selectorIlNS0_10empty_typeEEEZZNS1_27merge_sort_block_merge_implIS3_N6thrust23THRUST_200600_302600_NS6detail15normal_iteratorINS9_10device_ptrIlEEEEPS5_m14custom_greaterIlEEE10hipError_tT0_T1_T2_jT3_P12ihipStream_tbPNSt15iterator_traitsISJ_E10value_typeEPNSP_ISK_E10value_typeEPSL_NS1_7vsmem_tEENKUlT_SJ_SK_SL_E_clIPlSE_SF_SF_EESI_SY_SJ_SK_SL_EUlSY_E1_NS1_11comp_targetILNS1_3genE3ELNS1_11target_archE908ELNS1_3gpuE7ELNS1_3repE0EEENS1_36merge_oddeven_config_static_selectorELNS0_4arch9wavefront6targetE1EEEvSK_
; %bb.0:
	.section	.rodata,"a",@progbits
	.p2align	6, 0x0
	.amdhsa_kernel _ZN7rocprim17ROCPRIM_400000_NS6detail17trampoline_kernelINS0_14default_configENS1_38merge_sort_block_merge_config_selectorIlNS0_10empty_typeEEEZZNS1_27merge_sort_block_merge_implIS3_N6thrust23THRUST_200600_302600_NS6detail15normal_iteratorINS9_10device_ptrIlEEEEPS5_m14custom_greaterIlEEE10hipError_tT0_T1_T2_jT3_P12ihipStream_tbPNSt15iterator_traitsISJ_E10value_typeEPNSP_ISK_E10value_typeEPSL_NS1_7vsmem_tEENKUlT_SJ_SK_SL_E_clIPlSE_SF_SF_EESI_SY_SJ_SK_SL_EUlSY_E1_NS1_11comp_targetILNS1_3genE3ELNS1_11target_archE908ELNS1_3gpuE7ELNS1_3repE0EEENS1_36merge_oddeven_config_static_selectorELNS0_4arch9wavefront6targetE1EEEvSK_
		.amdhsa_group_segment_fixed_size 0
		.amdhsa_private_segment_fixed_size 0
		.amdhsa_kernarg_size 56
		.amdhsa_user_sgpr_count 6
		.amdhsa_user_sgpr_private_segment_buffer 1
		.amdhsa_user_sgpr_dispatch_ptr 0
		.amdhsa_user_sgpr_queue_ptr 0
		.amdhsa_user_sgpr_kernarg_segment_ptr 1
		.amdhsa_user_sgpr_dispatch_id 0
		.amdhsa_user_sgpr_flat_scratch_init 0
		.amdhsa_user_sgpr_kernarg_preload_length 0
		.amdhsa_user_sgpr_kernarg_preload_offset 0
		.amdhsa_user_sgpr_private_segment_size 0
		.amdhsa_uses_dynamic_stack 0
		.amdhsa_system_sgpr_private_segment_wavefront_offset 0
		.amdhsa_system_sgpr_workgroup_id_x 1
		.amdhsa_system_sgpr_workgroup_id_y 0
		.amdhsa_system_sgpr_workgroup_id_z 0
		.amdhsa_system_sgpr_workgroup_info 0
		.amdhsa_system_vgpr_workitem_id 0
		.amdhsa_next_free_vgpr 1
		.amdhsa_next_free_sgpr 0
		.amdhsa_accum_offset 4
		.amdhsa_reserve_vcc 0
		.amdhsa_reserve_flat_scratch 0
		.amdhsa_float_round_mode_32 0
		.amdhsa_float_round_mode_16_64 0
		.amdhsa_float_denorm_mode_32 3
		.amdhsa_float_denorm_mode_16_64 3
		.amdhsa_dx10_clamp 1
		.amdhsa_ieee_mode 1
		.amdhsa_fp16_overflow 0
		.amdhsa_tg_split 0
		.amdhsa_exception_fp_ieee_invalid_op 0
		.amdhsa_exception_fp_denorm_src 0
		.amdhsa_exception_fp_ieee_div_zero 0
		.amdhsa_exception_fp_ieee_overflow 0
		.amdhsa_exception_fp_ieee_underflow 0
		.amdhsa_exception_fp_ieee_inexact 0
		.amdhsa_exception_int_div_zero 0
	.end_amdhsa_kernel
	.section	.text._ZN7rocprim17ROCPRIM_400000_NS6detail17trampoline_kernelINS0_14default_configENS1_38merge_sort_block_merge_config_selectorIlNS0_10empty_typeEEEZZNS1_27merge_sort_block_merge_implIS3_N6thrust23THRUST_200600_302600_NS6detail15normal_iteratorINS9_10device_ptrIlEEEEPS5_m14custom_greaterIlEEE10hipError_tT0_T1_T2_jT3_P12ihipStream_tbPNSt15iterator_traitsISJ_E10value_typeEPNSP_ISK_E10value_typeEPSL_NS1_7vsmem_tEENKUlT_SJ_SK_SL_E_clIPlSE_SF_SF_EESI_SY_SJ_SK_SL_EUlSY_E1_NS1_11comp_targetILNS1_3genE3ELNS1_11target_archE908ELNS1_3gpuE7ELNS1_3repE0EEENS1_36merge_oddeven_config_static_selectorELNS0_4arch9wavefront6targetE1EEEvSK_,"axG",@progbits,_ZN7rocprim17ROCPRIM_400000_NS6detail17trampoline_kernelINS0_14default_configENS1_38merge_sort_block_merge_config_selectorIlNS0_10empty_typeEEEZZNS1_27merge_sort_block_merge_implIS3_N6thrust23THRUST_200600_302600_NS6detail15normal_iteratorINS9_10device_ptrIlEEEEPS5_m14custom_greaterIlEEE10hipError_tT0_T1_T2_jT3_P12ihipStream_tbPNSt15iterator_traitsISJ_E10value_typeEPNSP_ISK_E10value_typeEPSL_NS1_7vsmem_tEENKUlT_SJ_SK_SL_E_clIPlSE_SF_SF_EESI_SY_SJ_SK_SL_EUlSY_E1_NS1_11comp_targetILNS1_3genE3ELNS1_11target_archE908ELNS1_3gpuE7ELNS1_3repE0EEENS1_36merge_oddeven_config_static_selectorELNS0_4arch9wavefront6targetE1EEEvSK_,comdat
.Lfunc_end3258:
	.size	_ZN7rocprim17ROCPRIM_400000_NS6detail17trampoline_kernelINS0_14default_configENS1_38merge_sort_block_merge_config_selectorIlNS0_10empty_typeEEEZZNS1_27merge_sort_block_merge_implIS3_N6thrust23THRUST_200600_302600_NS6detail15normal_iteratorINS9_10device_ptrIlEEEEPS5_m14custom_greaterIlEEE10hipError_tT0_T1_T2_jT3_P12ihipStream_tbPNSt15iterator_traitsISJ_E10value_typeEPNSP_ISK_E10value_typeEPSL_NS1_7vsmem_tEENKUlT_SJ_SK_SL_E_clIPlSE_SF_SF_EESI_SY_SJ_SK_SL_EUlSY_E1_NS1_11comp_targetILNS1_3genE3ELNS1_11target_archE908ELNS1_3gpuE7ELNS1_3repE0EEENS1_36merge_oddeven_config_static_selectorELNS0_4arch9wavefront6targetE1EEEvSK_, .Lfunc_end3258-_ZN7rocprim17ROCPRIM_400000_NS6detail17trampoline_kernelINS0_14default_configENS1_38merge_sort_block_merge_config_selectorIlNS0_10empty_typeEEEZZNS1_27merge_sort_block_merge_implIS3_N6thrust23THRUST_200600_302600_NS6detail15normal_iteratorINS9_10device_ptrIlEEEEPS5_m14custom_greaterIlEEE10hipError_tT0_T1_T2_jT3_P12ihipStream_tbPNSt15iterator_traitsISJ_E10value_typeEPNSP_ISK_E10value_typeEPSL_NS1_7vsmem_tEENKUlT_SJ_SK_SL_E_clIPlSE_SF_SF_EESI_SY_SJ_SK_SL_EUlSY_E1_NS1_11comp_targetILNS1_3genE3ELNS1_11target_archE908ELNS1_3gpuE7ELNS1_3repE0EEENS1_36merge_oddeven_config_static_selectorELNS0_4arch9wavefront6targetE1EEEvSK_
                                        ; -- End function
	.section	.AMDGPU.csdata,"",@progbits
; Kernel info:
; codeLenInByte = 0
; NumSgprs: 4
; NumVgprs: 0
; NumAgprs: 0
; TotalNumVgprs: 0
; ScratchSize: 0
; MemoryBound: 0
; FloatMode: 240
; IeeeMode: 1
; LDSByteSize: 0 bytes/workgroup (compile time only)
; SGPRBlocks: 0
; VGPRBlocks: 0
; NumSGPRsForWavesPerEU: 4
; NumVGPRsForWavesPerEU: 1
; AccumOffset: 4
; Occupancy: 8
; WaveLimiterHint : 0
; COMPUTE_PGM_RSRC2:SCRATCH_EN: 0
; COMPUTE_PGM_RSRC2:USER_SGPR: 6
; COMPUTE_PGM_RSRC2:TRAP_HANDLER: 0
; COMPUTE_PGM_RSRC2:TGID_X_EN: 1
; COMPUTE_PGM_RSRC2:TGID_Y_EN: 0
; COMPUTE_PGM_RSRC2:TGID_Z_EN: 0
; COMPUTE_PGM_RSRC2:TIDIG_COMP_CNT: 0
; COMPUTE_PGM_RSRC3_GFX90A:ACCUM_OFFSET: 0
; COMPUTE_PGM_RSRC3_GFX90A:TG_SPLIT: 0
	.section	.text._ZN7rocprim17ROCPRIM_400000_NS6detail17trampoline_kernelINS0_14default_configENS1_38merge_sort_block_merge_config_selectorIlNS0_10empty_typeEEEZZNS1_27merge_sort_block_merge_implIS3_N6thrust23THRUST_200600_302600_NS6detail15normal_iteratorINS9_10device_ptrIlEEEEPS5_m14custom_greaterIlEEE10hipError_tT0_T1_T2_jT3_P12ihipStream_tbPNSt15iterator_traitsISJ_E10value_typeEPNSP_ISK_E10value_typeEPSL_NS1_7vsmem_tEENKUlT_SJ_SK_SL_E_clIPlSE_SF_SF_EESI_SY_SJ_SK_SL_EUlSY_E1_NS1_11comp_targetILNS1_3genE2ELNS1_11target_archE906ELNS1_3gpuE6ELNS1_3repE0EEENS1_36merge_oddeven_config_static_selectorELNS0_4arch9wavefront6targetE1EEEvSK_,"axG",@progbits,_ZN7rocprim17ROCPRIM_400000_NS6detail17trampoline_kernelINS0_14default_configENS1_38merge_sort_block_merge_config_selectorIlNS0_10empty_typeEEEZZNS1_27merge_sort_block_merge_implIS3_N6thrust23THRUST_200600_302600_NS6detail15normal_iteratorINS9_10device_ptrIlEEEEPS5_m14custom_greaterIlEEE10hipError_tT0_T1_T2_jT3_P12ihipStream_tbPNSt15iterator_traitsISJ_E10value_typeEPNSP_ISK_E10value_typeEPSL_NS1_7vsmem_tEENKUlT_SJ_SK_SL_E_clIPlSE_SF_SF_EESI_SY_SJ_SK_SL_EUlSY_E1_NS1_11comp_targetILNS1_3genE2ELNS1_11target_archE906ELNS1_3gpuE6ELNS1_3repE0EEENS1_36merge_oddeven_config_static_selectorELNS0_4arch9wavefront6targetE1EEEvSK_,comdat
	.protected	_ZN7rocprim17ROCPRIM_400000_NS6detail17trampoline_kernelINS0_14default_configENS1_38merge_sort_block_merge_config_selectorIlNS0_10empty_typeEEEZZNS1_27merge_sort_block_merge_implIS3_N6thrust23THRUST_200600_302600_NS6detail15normal_iteratorINS9_10device_ptrIlEEEEPS5_m14custom_greaterIlEEE10hipError_tT0_T1_T2_jT3_P12ihipStream_tbPNSt15iterator_traitsISJ_E10value_typeEPNSP_ISK_E10value_typeEPSL_NS1_7vsmem_tEENKUlT_SJ_SK_SL_E_clIPlSE_SF_SF_EESI_SY_SJ_SK_SL_EUlSY_E1_NS1_11comp_targetILNS1_3genE2ELNS1_11target_archE906ELNS1_3gpuE6ELNS1_3repE0EEENS1_36merge_oddeven_config_static_selectorELNS0_4arch9wavefront6targetE1EEEvSK_ ; -- Begin function _ZN7rocprim17ROCPRIM_400000_NS6detail17trampoline_kernelINS0_14default_configENS1_38merge_sort_block_merge_config_selectorIlNS0_10empty_typeEEEZZNS1_27merge_sort_block_merge_implIS3_N6thrust23THRUST_200600_302600_NS6detail15normal_iteratorINS9_10device_ptrIlEEEEPS5_m14custom_greaterIlEEE10hipError_tT0_T1_T2_jT3_P12ihipStream_tbPNSt15iterator_traitsISJ_E10value_typeEPNSP_ISK_E10value_typeEPSL_NS1_7vsmem_tEENKUlT_SJ_SK_SL_E_clIPlSE_SF_SF_EESI_SY_SJ_SK_SL_EUlSY_E1_NS1_11comp_targetILNS1_3genE2ELNS1_11target_archE906ELNS1_3gpuE6ELNS1_3repE0EEENS1_36merge_oddeven_config_static_selectorELNS0_4arch9wavefront6targetE1EEEvSK_
	.globl	_ZN7rocprim17ROCPRIM_400000_NS6detail17trampoline_kernelINS0_14default_configENS1_38merge_sort_block_merge_config_selectorIlNS0_10empty_typeEEEZZNS1_27merge_sort_block_merge_implIS3_N6thrust23THRUST_200600_302600_NS6detail15normal_iteratorINS9_10device_ptrIlEEEEPS5_m14custom_greaterIlEEE10hipError_tT0_T1_T2_jT3_P12ihipStream_tbPNSt15iterator_traitsISJ_E10value_typeEPNSP_ISK_E10value_typeEPSL_NS1_7vsmem_tEENKUlT_SJ_SK_SL_E_clIPlSE_SF_SF_EESI_SY_SJ_SK_SL_EUlSY_E1_NS1_11comp_targetILNS1_3genE2ELNS1_11target_archE906ELNS1_3gpuE6ELNS1_3repE0EEENS1_36merge_oddeven_config_static_selectorELNS0_4arch9wavefront6targetE1EEEvSK_
	.p2align	8
	.type	_ZN7rocprim17ROCPRIM_400000_NS6detail17trampoline_kernelINS0_14default_configENS1_38merge_sort_block_merge_config_selectorIlNS0_10empty_typeEEEZZNS1_27merge_sort_block_merge_implIS3_N6thrust23THRUST_200600_302600_NS6detail15normal_iteratorINS9_10device_ptrIlEEEEPS5_m14custom_greaterIlEEE10hipError_tT0_T1_T2_jT3_P12ihipStream_tbPNSt15iterator_traitsISJ_E10value_typeEPNSP_ISK_E10value_typeEPSL_NS1_7vsmem_tEENKUlT_SJ_SK_SL_E_clIPlSE_SF_SF_EESI_SY_SJ_SK_SL_EUlSY_E1_NS1_11comp_targetILNS1_3genE2ELNS1_11target_archE906ELNS1_3gpuE6ELNS1_3repE0EEENS1_36merge_oddeven_config_static_selectorELNS0_4arch9wavefront6targetE1EEEvSK_,@function
_ZN7rocprim17ROCPRIM_400000_NS6detail17trampoline_kernelINS0_14default_configENS1_38merge_sort_block_merge_config_selectorIlNS0_10empty_typeEEEZZNS1_27merge_sort_block_merge_implIS3_N6thrust23THRUST_200600_302600_NS6detail15normal_iteratorINS9_10device_ptrIlEEEEPS5_m14custom_greaterIlEEE10hipError_tT0_T1_T2_jT3_P12ihipStream_tbPNSt15iterator_traitsISJ_E10value_typeEPNSP_ISK_E10value_typeEPSL_NS1_7vsmem_tEENKUlT_SJ_SK_SL_E_clIPlSE_SF_SF_EESI_SY_SJ_SK_SL_EUlSY_E1_NS1_11comp_targetILNS1_3genE2ELNS1_11target_archE906ELNS1_3gpuE6ELNS1_3repE0EEENS1_36merge_oddeven_config_static_selectorELNS0_4arch9wavefront6targetE1EEEvSK_: ; @_ZN7rocprim17ROCPRIM_400000_NS6detail17trampoline_kernelINS0_14default_configENS1_38merge_sort_block_merge_config_selectorIlNS0_10empty_typeEEEZZNS1_27merge_sort_block_merge_implIS3_N6thrust23THRUST_200600_302600_NS6detail15normal_iteratorINS9_10device_ptrIlEEEEPS5_m14custom_greaterIlEEE10hipError_tT0_T1_T2_jT3_P12ihipStream_tbPNSt15iterator_traitsISJ_E10value_typeEPNSP_ISK_E10value_typeEPSL_NS1_7vsmem_tEENKUlT_SJ_SK_SL_E_clIPlSE_SF_SF_EESI_SY_SJ_SK_SL_EUlSY_E1_NS1_11comp_targetILNS1_3genE2ELNS1_11target_archE906ELNS1_3gpuE6ELNS1_3repE0EEENS1_36merge_oddeven_config_static_selectorELNS0_4arch9wavefront6targetE1EEEvSK_
; %bb.0:
	.section	.rodata,"a",@progbits
	.p2align	6, 0x0
	.amdhsa_kernel _ZN7rocprim17ROCPRIM_400000_NS6detail17trampoline_kernelINS0_14default_configENS1_38merge_sort_block_merge_config_selectorIlNS0_10empty_typeEEEZZNS1_27merge_sort_block_merge_implIS3_N6thrust23THRUST_200600_302600_NS6detail15normal_iteratorINS9_10device_ptrIlEEEEPS5_m14custom_greaterIlEEE10hipError_tT0_T1_T2_jT3_P12ihipStream_tbPNSt15iterator_traitsISJ_E10value_typeEPNSP_ISK_E10value_typeEPSL_NS1_7vsmem_tEENKUlT_SJ_SK_SL_E_clIPlSE_SF_SF_EESI_SY_SJ_SK_SL_EUlSY_E1_NS1_11comp_targetILNS1_3genE2ELNS1_11target_archE906ELNS1_3gpuE6ELNS1_3repE0EEENS1_36merge_oddeven_config_static_selectorELNS0_4arch9wavefront6targetE1EEEvSK_
		.amdhsa_group_segment_fixed_size 0
		.amdhsa_private_segment_fixed_size 0
		.amdhsa_kernarg_size 56
		.amdhsa_user_sgpr_count 6
		.amdhsa_user_sgpr_private_segment_buffer 1
		.amdhsa_user_sgpr_dispatch_ptr 0
		.amdhsa_user_sgpr_queue_ptr 0
		.amdhsa_user_sgpr_kernarg_segment_ptr 1
		.amdhsa_user_sgpr_dispatch_id 0
		.amdhsa_user_sgpr_flat_scratch_init 0
		.amdhsa_user_sgpr_kernarg_preload_length 0
		.amdhsa_user_sgpr_kernarg_preload_offset 0
		.amdhsa_user_sgpr_private_segment_size 0
		.amdhsa_uses_dynamic_stack 0
		.amdhsa_system_sgpr_private_segment_wavefront_offset 0
		.amdhsa_system_sgpr_workgroup_id_x 1
		.amdhsa_system_sgpr_workgroup_id_y 0
		.amdhsa_system_sgpr_workgroup_id_z 0
		.amdhsa_system_sgpr_workgroup_info 0
		.amdhsa_system_vgpr_workitem_id 0
		.amdhsa_next_free_vgpr 1
		.amdhsa_next_free_sgpr 0
		.amdhsa_accum_offset 4
		.amdhsa_reserve_vcc 0
		.amdhsa_reserve_flat_scratch 0
		.amdhsa_float_round_mode_32 0
		.amdhsa_float_round_mode_16_64 0
		.amdhsa_float_denorm_mode_32 3
		.amdhsa_float_denorm_mode_16_64 3
		.amdhsa_dx10_clamp 1
		.amdhsa_ieee_mode 1
		.amdhsa_fp16_overflow 0
		.amdhsa_tg_split 0
		.amdhsa_exception_fp_ieee_invalid_op 0
		.amdhsa_exception_fp_denorm_src 0
		.amdhsa_exception_fp_ieee_div_zero 0
		.amdhsa_exception_fp_ieee_overflow 0
		.amdhsa_exception_fp_ieee_underflow 0
		.amdhsa_exception_fp_ieee_inexact 0
		.amdhsa_exception_int_div_zero 0
	.end_amdhsa_kernel
	.section	.text._ZN7rocprim17ROCPRIM_400000_NS6detail17trampoline_kernelINS0_14default_configENS1_38merge_sort_block_merge_config_selectorIlNS0_10empty_typeEEEZZNS1_27merge_sort_block_merge_implIS3_N6thrust23THRUST_200600_302600_NS6detail15normal_iteratorINS9_10device_ptrIlEEEEPS5_m14custom_greaterIlEEE10hipError_tT0_T1_T2_jT3_P12ihipStream_tbPNSt15iterator_traitsISJ_E10value_typeEPNSP_ISK_E10value_typeEPSL_NS1_7vsmem_tEENKUlT_SJ_SK_SL_E_clIPlSE_SF_SF_EESI_SY_SJ_SK_SL_EUlSY_E1_NS1_11comp_targetILNS1_3genE2ELNS1_11target_archE906ELNS1_3gpuE6ELNS1_3repE0EEENS1_36merge_oddeven_config_static_selectorELNS0_4arch9wavefront6targetE1EEEvSK_,"axG",@progbits,_ZN7rocprim17ROCPRIM_400000_NS6detail17trampoline_kernelINS0_14default_configENS1_38merge_sort_block_merge_config_selectorIlNS0_10empty_typeEEEZZNS1_27merge_sort_block_merge_implIS3_N6thrust23THRUST_200600_302600_NS6detail15normal_iteratorINS9_10device_ptrIlEEEEPS5_m14custom_greaterIlEEE10hipError_tT0_T1_T2_jT3_P12ihipStream_tbPNSt15iterator_traitsISJ_E10value_typeEPNSP_ISK_E10value_typeEPSL_NS1_7vsmem_tEENKUlT_SJ_SK_SL_E_clIPlSE_SF_SF_EESI_SY_SJ_SK_SL_EUlSY_E1_NS1_11comp_targetILNS1_3genE2ELNS1_11target_archE906ELNS1_3gpuE6ELNS1_3repE0EEENS1_36merge_oddeven_config_static_selectorELNS0_4arch9wavefront6targetE1EEEvSK_,comdat
.Lfunc_end3259:
	.size	_ZN7rocprim17ROCPRIM_400000_NS6detail17trampoline_kernelINS0_14default_configENS1_38merge_sort_block_merge_config_selectorIlNS0_10empty_typeEEEZZNS1_27merge_sort_block_merge_implIS3_N6thrust23THRUST_200600_302600_NS6detail15normal_iteratorINS9_10device_ptrIlEEEEPS5_m14custom_greaterIlEEE10hipError_tT0_T1_T2_jT3_P12ihipStream_tbPNSt15iterator_traitsISJ_E10value_typeEPNSP_ISK_E10value_typeEPSL_NS1_7vsmem_tEENKUlT_SJ_SK_SL_E_clIPlSE_SF_SF_EESI_SY_SJ_SK_SL_EUlSY_E1_NS1_11comp_targetILNS1_3genE2ELNS1_11target_archE906ELNS1_3gpuE6ELNS1_3repE0EEENS1_36merge_oddeven_config_static_selectorELNS0_4arch9wavefront6targetE1EEEvSK_, .Lfunc_end3259-_ZN7rocprim17ROCPRIM_400000_NS6detail17trampoline_kernelINS0_14default_configENS1_38merge_sort_block_merge_config_selectorIlNS0_10empty_typeEEEZZNS1_27merge_sort_block_merge_implIS3_N6thrust23THRUST_200600_302600_NS6detail15normal_iteratorINS9_10device_ptrIlEEEEPS5_m14custom_greaterIlEEE10hipError_tT0_T1_T2_jT3_P12ihipStream_tbPNSt15iterator_traitsISJ_E10value_typeEPNSP_ISK_E10value_typeEPSL_NS1_7vsmem_tEENKUlT_SJ_SK_SL_E_clIPlSE_SF_SF_EESI_SY_SJ_SK_SL_EUlSY_E1_NS1_11comp_targetILNS1_3genE2ELNS1_11target_archE906ELNS1_3gpuE6ELNS1_3repE0EEENS1_36merge_oddeven_config_static_selectorELNS0_4arch9wavefront6targetE1EEEvSK_
                                        ; -- End function
	.section	.AMDGPU.csdata,"",@progbits
; Kernel info:
; codeLenInByte = 0
; NumSgprs: 4
; NumVgprs: 0
; NumAgprs: 0
; TotalNumVgprs: 0
; ScratchSize: 0
; MemoryBound: 0
; FloatMode: 240
; IeeeMode: 1
; LDSByteSize: 0 bytes/workgroup (compile time only)
; SGPRBlocks: 0
; VGPRBlocks: 0
; NumSGPRsForWavesPerEU: 4
; NumVGPRsForWavesPerEU: 1
; AccumOffset: 4
; Occupancy: 8
; WaveLimiterHint : 0
; COMPUTE_PGM_RSRC2:SCRATCH_EN: 0
; COMPUTE_PGM_RSRC2:USER_SGPR: 6
; COMPUTE_PGM_RSRC2:TRAP_HANDLER: 0
; COMPUTE_PGM_RSRC2:TGID_X_EN: 1
; COMPUTE_PGM_RSRC2:TGID_Y_EN: 0
; COMPUTE_PGM_RSRC2:TGID_Z_EN: 0
; COMPUTE_PGM_RSRC2:TIDIG_COMP_CNT: 0
; COMPUTE_PGM_RSRC3_GFX90A:ACCUM_OFFSET: 0
; COMPUTE_PGM_RSRC3_GFX90A:TG_SPLIT: 0
	.section	.text._ZN7rocprim17ROCPRIM_400000_NS6detail17trampoline_kernelINS0_14default_configENS1_38merge_sort_block_merge_config_selectorIlNS0_10empty_typeEEEZZNS1_27merge_sort_block_merge_implIS3_N6thrust23THRUST_200600_302600_NS6detail15normal_iteratorINS9_10device_ptrIlEEEEPS5_m14custom_greaterIlEEE10hipError_tT0_T1_T2_jT3_P12ihipStream_tbPNSt15iterator_traitsISJ_E10value_typeEPNSP_ISK_E10value_typeEPSL_NS1_7vsmem_tEENKUlT_SJ_SK_SL_E_clIPlSE_SF_SF_EESI_SY_SJ_SK_SL_EUlSY_E1_NS1_11comp_targetILNS1_3genE9ELNS1_11target_archE1100ELNS1_3gpuE3ELNS1_3repE0EEENS1_36merge_oddeven_config_static_selectorELNS0_4arch9wavefront6targetE1EEEvSK_,"axG",@progbits,_ZN7rocprim17ROCPRIM_400000_NS6detail17trampoline_kernelINS0_14default_configENS1_38merge_sort_block_merge_config_selectorIlNS0_10empty_typeEEEZZNS1_27merge_sort_block_merge_implIS3_N6thrust23THRUST_200600_302600_NS6detail15normal_iteratorINS9_10device_ptrIlEEEEPS5_m14custom_greaterIlEEE10hipError_tT0_T1_T2_jT3_P12ihipStream_tbPNSt15iterator_traitsISJ_E10value_typeEPNSP_ISK_E10value_typeEPSL_NS1_7vsmem_tEENKUlT_SJ_SK_SL_E_clIPlSE_SF_SF_EESI_SY_SJ_SK_SL_EUlSY_E1_NS1_11comp_targetILNS1_3genE9ELNS1_11target_archE1100ELNS1_3gpuE3ELNS1_3repE0EEENS1_36merge_oddeven_config_static_selectorELNS0_4arch9wavefront6targetE1EEEvSK_,comdat
	.protected	_ZN7rocprim17ROCPRIM_400000_NS6detail17trampoline_kernelINS0_14default_configENS1_38merge_sort_block_merge_config_selectorIlNS0_10empty_typeEEEZZNS1_27merge_sort_block_merge_implIS3_N6thrust23THRUST_200600_302600_NS6detail15normal_iteratorINS9_10device_ptrIlEEEEPS5_m14custom_greaterIlEEE10hipError_tT0_T1_T2_jT3_P12ihipStream_tbPNSt15iterator_traitsISJ_E10value_typeEPNSP_ISK_E10value_typeEPSL_NS1_7vsmem_tEENKUlT_SJ_SK_SL_E_clIPlSE_SF_SF_EESI_SY_SJ_SK_SL_EUlSY_E1_NS1_11comp_targetILNS1_3genE9ELNS1_11target_archE1100ELNS1_3gpuE3ELNS1_3repE0EEENS1_36merge_oddeven_config_static_selectorELNS0_4arch9wavefront6targetE1EEEvSK_ ; -- Begin function _ZN7rocprim17ROCPRIM_400000_NS6detail17trampoline_kernelINS0_14default_configENS1_38merge_sort_block_merge_config_selectorIlNS0_10empty_typeEEEZZNS1_27merge_sort_block_merge_implIS3_N6thrust23THRUST_200600_302600_NS6detail15normal_iteratorINS9_10device_ptrIlEEEEPS5_m14custom_greaterIlEEE10hipError_tT0_T1_T2_jT3_P12ihipStream_tbPNSt15iterator_traitsISJ_E10value_typeEPNSP_ISK_E10value_typeEPSL_NS1_7vsmem_tEENKUlT_SJ_SK_SL_E_clIPlSE_SF_SF_EESI_SY_SJ_SK_SL_EUlSY_E1_NS1_11comp_targetILNS1_3genE9ELNS1_11target_archE1100ELNS1_3gpuE3ELNS1_3repE0EEENS1_36merge_oddeven_config_static_selectorELNS0_4arch9wavefront6targetE1EEEvSK_
	.globl	_ZN7rocprim17ROCPRIM_400000_NS6detail17trampoline_kernelINS0_14default_configENS1_38merge_sort_block_merge_config_selectorIlNS0_10empty_typeEEEZZNS1_27merge_sort_block_merge_implIS3_N6thrust23THRUST_200600_302600_NS6detail15normal_iteratorINS9_10device_ptrIlEEEEPS5_m14custom_greaterIlEEE10hipError_tT0_T1_T2_jT3_P12ihipStream_tbPNSt15iterator_traitsISJ_E10value_typeEPNSP_ISK_E10value_typeEPSL_NS1_7vsmem_tEENKUlT_SJ_SK_SL_E_clIPlSE_SF_SF_EESI_SY_SJ_SK_SL_EUlSY_E1_NS1_11comp_targetILNS1_3genE9ELNS1_11target_archE1100ELNS1_3gpuE3ELNS1_3repE0EEENS1_36merge_oddeven_config_static_selectorELNS0_4arch9wavefront6targetE1EEEvSK_
	.p2align	8
	.type	_ZN7rocprim17ROCPRIM_400000_NS6detail17trampoline_kernelINS0_14default_configENS1_38merge_sort_block_merge_config_selectorIlNS0_10empty_typeEEEZZNS1_27merge_sort_block_merge_implIS3_N6thrust23THRUST_200600_302600_NS6detail15normal_iteratorINS9_10device_ptrIlEEEEPS5_m14custom_greaterIlEEE10hipError_tT0_T1_T2_jT3_P12ihipStream_tbPNSt15iterator_traitsISJ_E10value_typeEPNSP_ISK_E10value_typeEPSL_NS1_7vsmem_tEENKUlT_SJ_SK_SL_E_clIPlSE_SF_SF_EESI_SY_SJ_SK_SL_EUlSY_E1_NS1_11comp_targetILNS1_3genE9ELNS1_11target_archE1100ELNS1_3gpuE3ELNS1_3repE0EEENS1_36merge_oddeven_config_static_selectorELNS0_4arch9wavefront6targetE1EEEvSK_,@function
_ZN7rocprim17ROCPRIM_400000_NS6detail17trampoline_kernelINS0_14default_configENS1_38merge_sort_block_merge_config_selectorIlNS0_10empty_typeEEEZZNS1_27merge_sort_block_merge_implIS3_N6thrust23THRUST_200600_302600_NS6detail15normal_iteratorINS9_10device_ptrIlEEEEPS5_m14custom_greaterIlEEE10hipError_tT0_T1_T2_jT3_P12ihipStream_tbPNSt15iterator_traitsISJ_E10value_typeEPNSP_ISK_E10value_typeEPSL_NS1_7vsmem_tEENKUlT_SJ_SK_SL_E_clIPlSE_SF_SF_EESI_SY_SJ_SK_SL_EUlSY_E1_NS1_11comp_targetILNS1_3genE9ELNS1_11target_archE1100ELNS1_3gpuE3ELNS1_3repE0EEENS1_36merge_oddeven_config_static_selectorELNS0_4arch9wavefront6targetE1EEEvSK_: ; @_ZN7rocprim17ROCPRIM_400000_NS6detail17trampoline_kernelINS0_14default_configENS1_38merge_sort_block_merge_config_selectorIlNS0_10empty_typeEEEZZNS1_27merge_sort_block_merge_implIS3_N6thrust23THRUST_200600_302600_NS6detail15normal_iteratorINS9_10device_ptrIlEEEEPS5_m14custom_greaterIlEEE10hipError_tT0_T1_T2_jT3_P12ihipStream_tbPNSt15iterator_traitsISJ_E10value_typeEPNSP_ISK_E10value_typeEPSL_NS1_7vsmem_tEENKUlT_SJ_SK_SL_E_clIPlSE_SF_SF_EESI_SY_SJ_SK_SL_EUlSY_E1_NS1_11comp_targetILNS1_3genE9ELNS1_11target_archE1100ELNS1_3gpuE3ELNS1_3repE0EEENS1_36merge_oddeven_config_static_selectorELNS0_4arch9wavefront6targetE1EEEvSK_
; %bb.0:
	.section	.rodata,"a",@progbits
	.p2align	6, 0x0
	.amdhsa_kernel _ZN7rocprim17ROCPRIM_400000_NS6detail17trampoline_kernelINS0_14default_configENS1_38merge_sort_block_merge_config_selectorIlNS0_10empty_typeEEEZZNS1_27merge_sort_block_merge_implIS3_N6thrust23THRUST_200600_302600_NS6detail15normal_iteratorINS9_10device_ptrIlEEEEPS5_m14custom_greaterIlEEE10hipError_tT0_T1_T2_jT3_P12ihipStream_tbPNSt15iterator_traitsISJ_E10value_typeEPNSP_ISK_E10value_typeEPSL_NS1_7vsmem_tEENKUlT_SJ_SK_SL_E_clIPlSE_SF_SF_EESI_SY_SJ_SK_SL_EUlSY_E1_NS1_11comp_targetILNS1_3genE9ELNS1_11target_archE1100ELNS1_3gpuE3ELNS1_3repE0EEENS1_36merge_oddeven_config_static_selectorELNS0_4arch9wavefront6targetE1EEEvSK_
		.amdhsa_group_segment_fixed_size 0
		.amdhsa_private_segment_fixed_size 0
		.amdhsa_kernarg_size 56
		.amdhsa_user_sgpr_count 6
		.amdhsa_user_sgpr_private_segment_buffer 1
		.amdhsa_user_sgpr_dispatch_ptr 0
		.amdhsa_user_sgpr_queue_ptr 0
		.amdhsa_user_sgpr_kernarg_segment_ptr 1
		.amdhsa_user_sgpr_dispatch_id 0
		.amdhsa_user_sgpr_flat_scratch_init 0
		.amdhsa_user_sgpr_kernarg_preload_length 0
		.amdhsa_user_sgpr_kernarg_preload_offset 0
		.amdhsa_user_sgpr_private_segment_size 0
		.amdhsa_uses_dynamic_stack 0
		.amdhsa_system_sgpr_private_segment_wavefront_offset 0
		.amdhsa_system_sgpr_workgroup_id_x 1
		.amdhsa_system_sgpr_workgroup_id_y 0
		.amdhsa_system_sgpr_workgroup_id_z 0
		.amdhsa_system_sgpr_workgroup_info 0
		.amdhsa_system_vgpr_workitem_id 0
		.amdhsa_next_free_vgpr 1
		.amdhsa_next_free_sgpr 0
		.amdhsa_accum_offset 4
		.amdhsa_reserve_vcc 0
		.amdhsa_reserve_flat_scratch 0
		.amdhsa_float_round_mode_32 0
		.amdhsa_float_round_mode_16_64 0
		.amdhsa_float_denorm_mode_32 3
		.amdhsa_float_denorm_mode_16_64 3
		.amdhsa_dx10_clamp 1
		.amdhsa_ieee_mode 1
		.amdhsa_fp16_overflow 0
		.amdhsa_tg_split 0
		.amdhsa_exception_fp_ieee_invalid_op 0
		.amdhsa_exception_fp_denorm_src 0
		.amdhsa_exception_fp_ieee_div_zero 0
		.amdhsa_exception_fp_ieee_overflow 0
		.amdhsa_exception_fp_ieee_underflow 0
		.amdhsa_exception_fp_ieee_inexact 0
		.amdhsa_exception_int_div_zero 0
	.end_amdhsa_kernel
	.section	.text._ZN7rocprim17ROCPRIM_400000_NS6detail17trampoline_kernelINS0_14default_configENS1_38merge_sort_block_merge_config_selectorIlNS0_10empty_typeEEEZZNS1_27merge_sort_block_merge_implIS3_N6thrust23THRUST_200600_302600_NS6detail15normal_iteratorINS9_10device_ptrIlEEEEPS5_m14custom_greaterIlEEE10hipError_tT0_T1_T2_jT3_P12ihipStream_tbPNSt15iterator_traitsISJ_E10value_typeEPNSP_ISK_E10value_typeEPSL_NS1_7vsmem_tEENKUlT_SJ_SK_SL_E_clIPlSE_SF_SF_EESI_SY_SJ_SK_SL_EUlSY_E1_NS1_11comp_targetILNS1_3genE9ELNS1_11target_archE1100ELNS1_3gpuE3ELNS1_3repE0EEENS1_36merge_oddeven_config_static_selectorELNS0_4arch9wavefront6targetE1EEEvSK_,"axG",@progbits,_ZN7rocprim17ROCPRIM_400000_NS6detail17trampoline_kernelINS0_14default_configENS1_38merge_sort_block_merge_config_selectorIlNS0_10empty_typeEEEZZNS1_27merge_sort_block_merge_implIS3_N6thrust23THRUST_200600_302600_NS6detail15normal_iteratorINS9_10device_ptrIlEEEEPS5_m14custom_greaterIlEEE10hipError_tT0_T1_T2_jT3_P12ihipStream_tbPNSt15iterator_traitsISJ_E10value_typeEPNSP_ISK_E10value_typeEPSL_NS1_7vsmem_tEENKUlT_SJ_SK_SL_E_clIPlSE_SF_SF_EESI_SY_SJ_SK_SL_EUlSY_E1_NS1_11comp_targetILNS1_3genE9ELNS1_11target_archE1100ELNS1_3gpuE3ELNS1_3repE0EEENS1_36merge_oddeven_config_static_selectorELNS0_4arch9wavefront6targetE1EEEvSK_,comdat
.Lfunc_end3260:
	.size	_ZN7rocprim17ROCPRIM_400000_NS6detail17trampoline_kernelINS0_14default_configENS1_38merge_sort_block_merge_config_selectorIlNS0_10empty_typeEEEZZNS1_27merge_sort_block_merge_implIS3_N6thrust23THRUST_200600_302600_NS6detail15normal_iteratorINS9_10device_ptrIlEEEEPS5_m14custom_greaterIlEEE10hipError_tT0_T1_T2_jT3_P12ihipStream_tbPNSt15iterator_traitsISJ_E10value_typeEPNSP_ISK_E10value_typeEPSL_NS1_7vsmem_tEENKUlT_SJ_SK_SL_E_clIPlSE_SF_SF_EESI_SY_SJ_SK_SL_EUlSY_E1_NS1_11comp_targetILNS1_3genE9ELNS1_11target_archE1100ELNS1_3gpuE3ELNS1_3repE0EEENS1_36merge_oddeven_config_static_selectorELNS0_4arch9wavefront6targetE1EEEvSK_, .Lfunc_end3260-_ZN7rocprim17ROCPRIM_400000_NS6detail17trampoline_kernelINS0_14default_configENS1_38merge_sort_block_merge_config_selectorIlNS0_10empty_typeEEEZZNS1_27merge_sort_block_merge_implIS3_N6thrust23THRUST_200600_302600_NS6detail15normal_iteratorINS9_10device_ptrIlEEEEPS5_m14custom_greaterIlEEE10hipError_tT0_T1_T2_jT3_P12ihipStream_tbPNSt15iterator_traitsISJ_E10value_typeEPNSP_ISK_E10value_typeEPSL_NS1_7vsmem_tEENKUlT_SJ_SK_SL_E_clIPlSE_SF_SF_EESI_SY_SJ_SK_SL_EUlSY_E1_NS1_11comp_targetILNS1_3genE9ELNS1_11target_archE1100ELNS1_3gpuE3ELNS1_3repE0EEENS1_36merge_oddeven_config_static_selectorELNS0_4arch9wavefront6targetE1EEEvSK_
                                        ; -- End function
	.section	.AMDGPU.csdata,"",@progbits
; Kernel info:
; codeLenInByte = 0
; NumSgprs: 4
; NumVgprs: 0
; NumAgprs: 0
; TotalNumVgprs: 0
; ScratchSize: 0
; MemoryBound: 0
; FloatMode: 240
; IeeeMode: 1
; LDSByteSize: 0 bytes/workgroup (compile time only)
; SGPRBlocks: 0
; VGPRBlocks: 0
; NumSGPRsForWavesPerEU: 4
; NumVGPRsForWavesPerEU: 1
; AccumOffset: 4
; Occupancy: 8
; WaveLimiterHint : 0
; COMPUTE_PGM_RSRC2:SCRATCH_EN: 0
; COMPUTE_PGM_RSRC2:USER_SGPR: 6
; COMPUTE_PGM_RSRC2:TRAP_HANDLER: 0
; COMPUTE_PGM_RSRC2:TGID_X_EN: 1
; COMPUTE_PGM_RSRC2:TGID_Y_EN: 0
; COMPUTE_PGM_RSRC2:TGID_Z_EN: 0
; COMPUTE_PGM_RSRC2:TIDIG_COMP_CNT: 0
; COMPUTE_PGM_RSRC3_GFX90A:ACCUM_OFFSET: 0
; COMPUTE_PGM_RSRC3_GFX90A:TG_SPLIT: 0
	.section	.text._ZN7rocprim17ROCPRIM_400000_NS6detail17trampoline_kernelINS0_14default_configENS1_38merge_sort_block_merge_config_selectorIlNS0_10empty_typeEEEZZNS1_27merge_sort_block_merge_implIS3_N6thrust23THRUST_200600_302600_NS6detail15normal_iteratorINS9_10device_ptrIlEEEEPS5_m14custom_greaterIlEEE10hipError_tT0_T1_T2_jT3_P12ihipStream_tbPNSt15iterator_traitsISJ_E10value_typeEPNSP_ISK_E10value_typeEPSL_NS1_7vsmem_tEENKUlT_SJ_SK_SL_E_clIPlSE_SF_SF_EESI_SY_SJ_SK_SL_EUlSY_E1_NS1_11comp_targetILNS1_3genE8ELNS1_11target_archE1030ELNS1_3gpuE2ELNS1_3repE0EEENS1_36merge_oddeven_config_static_selectorELNS0_4arch9wavefront6targetE1EEEvSK_,"axG",@progbits,_ZN7rocprim17ROCPRIM_400000_NS6detail17trampoline_kernelINS0_14default_configENS1_38merge_sort_block_merge_config_selectorIlNS0_10empty_typeEEEZZNS1_27merge_sort_block_merge_implIS3_N6thrust23THRUST_200600_302600_NS6detail15normal_iteratorINS9_10device_ptrIlEEEEPS5_m14custom_greaterIlEEE10hipError_tT0_T1_T2_jT3_P12ihipStream_tbPNSt15iterator_traitsISJ_E10value_typeEPNSP_ISK_E10value_typeEPSL_NS1_7vsmem_tEENKUlT_SJ_SK_SL_E_clIPlSE_SF_SF_EESI_SY_SJ_SK_SL_EUlSY_E1_NS1_11comp_targetILNS1_3genE8ELNS1_11target_archE1030ELNS1_3gpuE2ELNS1_3repE0EEENS1_36merge_oddeven_config_static_selectorELNS0_4arch9wavefront6targetE1EEEvSK_,comdat
	.protected	_ZN7rocprim17ROCPRIM_400000_NS6detail17trampoline_kernelINS0_14default_configENS1_38merge_sort_block_merge_config_selectorIlNS0_10empty_typeEEEZZNS1_27merge_sort_block_merge_implIS3_N6thrust23THRUST_200600_302600_NS6detail15normal_iteratorINS9_10device_ptrIlEEEEPS5_m14custom_greaterIlEEE10hipError_tT0_T1_T2_jT3_P12ihipStream_tbPNSt15iterator_traitsISJ_E10value_typeEPNSP_ISK_E10value_typeEPSL_NS1_7vsmem_tEENKUlT_SJ_SK_SL_E_clIPlSE_SF_SF_EESI_SY_SJ_SK_SL_EUlSY_E1_NS1_11comp_targetILNS1_3genE8ELNS1_11target_archE1030ELNS1_3gpuE2ELNS1_3repE0EEENS1_36merge_oddeven_config_static_selectorELNS0_4arch9wavefront6targetE1EEEvSK_ ; -- Begin function _ZN7rocprim17ROCPRIM_400000_NS6detail17trampoline_kernelINS0_14default_configENS1_38merge_sort_block_merge_config_selectorIlNS0_10empty_typeEEEZZNS1_27merge_sort_block_merge_implIS3_N6thrust23THRUST_200600_302600_NS6detail15normal_iteratorINS9_10device_ptrIlEEEEPS5_m14custom_greaterIlEEE10hipError_tT0_T1_T2_jT3_P12ihipStream_tbPNSt15iterator_traitsISJ_E10value_typeEPNSP_ISK_E10value_typeEPSL_NS1_7vsmem_tEENKUlT_SJ_SK_SL_E_clIPlSE_SF_SF_EESI_SY_SJ_SK_SL_EUlSY_E1_NS1_11comp_targetILNS1_3genE8ELNS1_11target_archE1030ELNS1_3gpuE2ELNS1_3repE0EEENS1_36merge_oddeven_config_static_selectorELNS0_4arch9wavefront6targetE1EEEvSK_
	.globl	_ZN7rocprim17ROCPRIM_400000_NS6detail17trampoline_kernelINS0_14default_configENS1_38merge_sort_block_merge_config_selectorIlNS0_10empty_typeEEEZZNS1_27merge_sort_block_merge_implIS3_N6thrust23THRUST_200600_302600_NS6detail15normal_iteratorINS9_10device_ptrIlEEEEPS5_m14custom_greaterIlEEE10hipError_tT0_T1_T2_jT3_P12ihipStream_tbPNSt15iterator_traitsISJ_E10value_typeEPNSP_ISK_E10value_typeEPSL_NS1_7vsmem_tEENKUlT_SJ_SK_SL_E_clIPlSE_SF_SF_EESI_SY_SJ_SK_SL_EUlSY_E1_NS1_11comp_targetILNS1_3genE8ELNS1_11target_archE1030ELNS1_3gpuE2ELNS1_3repE0EEENS1_36merge_oddeven_config_static_selectorELNS0_4arch9wavefront6targetE1EEEvSK_
	.p2align	8
	.type	_ZN7rocprim17ROCPRIM_400000_NS6detail17trampoline_kernelINS0_14default_configENS1_38merge_sort_block_merge_config_selectorIlNS0_10empty_typeEEEZZNS1_27merge_sort_block_merge_implIS3_N6thrust23THRUST_200600_302600_NS6detail15normal_iteratorINS9_10device_ptrIlEEEEPS5_m14custom_greaterIlEEE10hipError_tT0_T1_T2_jT3_P12ihipStream_tbPNSt15iterator_traitsISJ_E10value_typeEPNSP_ISK_E10value_typeEPSL_NS1_7vsmem_tEENKUlT_SJ_SK_SL_E_clIPlSE_SF_SF_EESI_SY_SJ_SK_SL_EUlSY_E1_NS1_11comp_targetILNS1_3genE8ELNS1_11target_archE1030ELNS1_3gpuE2ELNS1_3repE0EEENS1_36merge_oddeven_config_static_selectorELNS0_4arch9wavefront6targetE1EEEvSK_,@function
_ZN7rocprim17ROCPRIM_400000_NS6detail17trampoline_kernelINS0_14default_configENS1_38merge_sort_block_merge_config_selectorIlNS0_10empty_typeEEEZZNS1_27merge_sort_block_merge_implIS3_N6thrust23THRUST_200600_302600_NS6detail15normal_iteratorINS9_10device_ptrIlEEEEPS5_m14custom_greaterIlEEE10hipError_tT0_T1_T2_jT3_P12ihipStream_tbPNSt15iterator_traitsISJ_E10value_typeEPNSP_ISK_E10value_typeEPSL_NS1_7vsmem_tEENKUlT_SJ_SK_SL_E_clIPlSE_SF_SF_EESI_SY_SJ_SK_SL_EUlSY_E1_NS1_11comp_targetILNS1_3genE8ELNS1_11target_archE1030ELNS1_3gpuE2ELNS1_3repE0EEENS1_36merge_oddeven_config_static_selectorELNS0_4arch9wavefront6targetE1EEEvSK_: ; @_ZN7rocprim17ROCPRIM_400000_NS6detail17trampoline_kernelINS0_14default_configENS1_38merge_sort_block_merge_config_selectorIlNS0_10empty_typeEEEZZNS1_27merge_sort_block_merge_implIS3_N6thrust23THRUST_200600_302600_NS6detail15normal_iteratorINS9_10device_ptrIlEEEEPS5_m14custom_greaterIlEEE10hipError_tT0_T1_T2_jT3_P12ihipStream_tbPNSt15iterator_traitsISJ_E10value_typeEPNSP_ISK_E10value_typeEPSL_NS1_7vsmem_tEENKUlT_SJ_SK_SL_E_clIPlSE_SF_SF_EESI_SY_SJ_SK_SL_EUlSY_E1_NS1_11comp_targetILNS1_3genE8ELNS1_11target_archE1030ELNS1_3gpuE2ELNS1_3repE0EEENS1_36merge_oddeven_config_static_selectorELNS0_4arch9wavefront6targetE1EEEvSK_
; %bb.0:
	.section	.rodata,"a",@progbits
	.p2align	6, 0x0
	.amdhsa_kernel _ZN7rocprim17ROCPRIM_400000_NS6detail17trampoline_kernelINS0_14default_configENS1_38merge_sort_block_merge_config_selectorIlNS0_10empty_typeEEEZZNS1_27merge_sort_block_merge_implIS3_N6thrust23THRUST_200600_302600_NS6detail15normal_iteratorINS9_10device_ptrIlEEEEPS5_m14custom_greaterIlEEE10hipError_tT0_T1_T2_jT3_P12ihipStream_tbPNSt15iterator_traitsISJ_E10value_typeEPNSP_ISK_E10value_typeEPSL_NS1_7vsmem_tEENKUlT_SJ_SK_SL_E_clIPlSE_SF_SF_EESI_SY_SJ_SK_SL_EUlSY_E1_NS1_11comp_targetILNS1_3genE8ELNS1_11target_archE1030ELNS1_3gpuE2ELNS1_3repE0EEENS1_36merge_oddeven_config_static_selectorELNS0_4arch9wavefront6targetE1EEEvSK_
		.amdhsa_group_segment_fixed_size 0
		.amdhsa_private_segment_fixed_size 0
		.amdhsa_kernarg_size 56
		.amdhsa_user_sgpr_count 6
		.amdhsa_user_sgpr_private_segment_buffer 1
		.amdhsa_user_sgpr_dispatch_ptr 0
		.amdhsa_user_sgpr_queue_ptr 0
		.amdhsa_user_sgpr_kernarg_segment_ptr 1
		.amdhsa_user_sgpr_dispatch_id 0
		.amdhsa_user_sgpr_flat_scratch_init 0
		.amdhsa_user_sgpr_kernarg_preload_length 0
		.amdhsa_user_sgpr_kernarg_preload_offset 0
		.amdhsa_user_sgpr_private_segment_size 0
		.amdhsa_uses_dynamic_stack 0
		.amdhsa_system_sgpr_private_segment_wavefront_offset 0
		.amdhsa_system_sgpr_workgroup_id_x 1
		.amdhsa_system_sgpr_workgroup_id_y 0
		.amdhsa_system_sgpr_workgroup_id_z 0
		.amdhsa_system_sgpr_workgroup_info 0
		.amdhsa_system_vgpr_workitem_id 0
		.amdhsa_next_free_vgpr 1
		.amdhsa_next_free_sgpr 0
		.amdhsa_accum_offset 4
		.amdhsa_reserve_vcc 0
		.amdhsa_reserve_flat_scratch 0
		.amdhsa_float_round_mode_32 0
		.amdhsa_float_round_mode_16_64 0
		.amdhsa_float_denorm_mode_32 3
		.amdhsa_float_denorm_mode_16_64 3
		.amdhsa_dx10_clamp 1
		.amdhsa_ieee_mode 1
		.amdhsa_fp16_overflow 0
		.amdhsa_tg_split 0
		.amdhsa_exception_fp_ieee_invalid_op 0
		.amdhsa_exception_fp_denorm_src 0
		.amdhsa_exception_fp_ieee_div_zero 0
		.amdhsa_exception_fp_ieee_overflow 0
		.amdhsa_exception_fp_ieee_underflow 0
		.amdhsa_exception_fp_ieee_inexact 0
		.amdhsa_exception_int_div_zero 0
	.end_amdhsa_kernel
	.section	.text._ZN7rocprim17ROCPRIM_400000_NS6detail17trampoline_kernelINS0_14default_configENS1_38merge_sort_block_merge_config_selectorIlNS0_10empty_typeEEEZZNS1_27merge_sort_block_merge_implIS3_N6thrust23THRUST_200600_302600_NS6detail15normal_iteratorINS9_10device_ptrIlEEEEPS5_m14custom_greaterIlEEE10hipError_tT0_T1_T2_jT3_P12ihipStream_tbPNSt15iterator_traitsISJ_E10value_typeEPNSP_ISK_E10value_typeEPSL_NS1_7vsmem_tEENKUlT_SJ_SK_SL_E_clIPlSE_SF_SF_EESI_SY_SJ_SK_SL_EUlSY_E1_NS1_11comp_targetILNS1_3genE8ELNS1_11target_archE1030ELNS1_3gpuE2ELNS1_3repE0EEENS1_36merge_oddeven_config_static_selectorELNS0_4arch9wavefront6targetE1EEEvSK_,"axG",@progbits,_ZN7rocprim17ROCPRIM_400000_NS6detail17trampoline_kernelINS0_14default_configENS1_38merge_sort_block_merge_config_selectorIlNS0_10empty_typeEEEZZNS1_27merge_sort_block_merge_implIS3_N6thrust23THRUST_200600_302600_NS6detail15normal_iteratorINS9_10device_ptrIlEEEEPS5_m14custom_greaterIlEEE10hipError_tT0_T1_T2_jT3_P12ihipStream_tbPNSt15iterator_traitsISJ_E10value_typeEPNSP_ISK_E10value_typeEPSL_NS1_7vsmem_tEENKUlT_SJ_SK_SL_E_clIPlSE_SF_SF_EESI_SY_SJ_SK_SL_EUlSY_E1_NS1_11comp_targetILNS1_3genE8ELNS1_11target_archE1030ELNS1_3gpuE2ELNS1_3repE0EEENS1_36merge_oddeven_config_static_selectorELNS0_4arch9wavefront6targetE1EEEvSK_,comdat
.Lfunc_end3261:
	.size	_ZN7rocprim17ROCPRIM_400000_NS6detail17trampoline_kernelINS0_14default_configENS1_38merge_sort_block_merge_config_selectorIlNS0_10empty_typeEEEZZNS1_27merge_sort_block_merge_implIS3_N6thrust23THRUST_200600_302600_NS6detail15normal_iteratorINS9_10device_ptrIlEEEEPS5_m14custom_greaterIlEEE10hipError_tT0_T1_T2_jT3_P12ihipStream_tbPNSt15iterator_traitsISJ_E10value_typeEPNSP_ISK_E10value_typeEPSL_NS1_7vsmem_tEENKUlT_SJ_SK_SL_E_clIPlSE_SF_SF_EESI_SY_SJ_SK_SL_EUlSY_E1_NS1_11comp_targetILNS1_3genE8ELNS1_11target_archE1030ELNS1_3gpuE2ELNS1_3repE0EEENS1_36merge_oddeven_config_static_selectorELNS0_4arch9wavefront6targetE1EEEvSK_, .Lfunc_end3261-_ZN7rocprim17ROCPRIM_400000_NS6detail17trampoline_kernelINS0_14default_configENS1_38merge_sort_block_merge_config_selectorIlNS0_10empty_typeEEEZZNS1_27merge_sort_block_merge_implIS3_N6thrust23THRUST_200600_302600_NS6detail15normal_iteratorINS9_10device_ptrIlEEEEPS5_m14custom_greaterIlEEE10hipError_tT0_T1_T2_jT3_P12ihipStream_tbPNSt15iterator_traitsISJ_E10value_typeEPNSP_ISK_E10value_typeEPSL_NS1_7vsmem_tEENKUlT_SJ_SK_SL_E_clIPlSE_SF_SF_EESI_SY_SJ_SK_SL_EUlSY_E1_NS1_11comp_targetILNS1_3genE8ELNS1_11target_archE1030ELNS1_3gpuE2ELNS1_3repE0EEENS1_36merge_oddeven_config_static_selectorELNS0_4arch9wavefront6targetE1EEEvSK_
                                        ; -- End function
	.section	.AMDGPU.csdata,"",@progbits
; Kernel info:
; codeLenInByte = 0
; NumSgprs: 4
; NumVgprs: 0
; NumAgprs: 0
; TotalNumVgprs: 0
; ScratchSize: 0
; MemoryBound: 0
; FloatMode: 240
; IeeeMode: 1
; LDSByteSize: 0 bytes/workgroup (compile time only)
; SGPRBlocks: 0
; VGPRBlocks: 0
; NumSGPRsForWavesPerEU: 4
; NumVGPRsForWavesPerEU: 1
; AccumOffset: 4
; Occupancy: 8
; WaveLimiterHint : 0
; COMPUTE_PGM_RSRC2:SCRATCH_EN: 0
; COMPUTE_PGM_RSRC2:USER_SGPR: 6
; COMPUTE_PGM_RSRC2:TRAP_HANDLER: 0
; COMPUTE_PGM_RSRC2:TGID_X_EN: 1
; COMPUTE_PGM_RSRC2:TGID_Y_EN: 0
; COMPUTE_PGM_RSRC2:TGID_Z_EN: 0
; COMPUTE_PGM_RSRC2:TIDIG_COMP_CNT: 0
; COMPUTE_PGM_RSRC3_GFX90A:ACCUM_OFFSET: 0
; COMPUTE_PGM_RSRC3_GFX90A:TG_SPLIT: 0
	.section	.text._ZN7rocprim17ROCPRIM_400000_NS6detail17trampoline_kernelINS0_14default_configENS1_38merge_sort_block_merge_config_selectorIlNS0_10empty_typeEEEZZNS1_27merge_sort_block_merge_implIS3_N6thrust23THRUST_200600_302600_NS6detail15normal_iteratorINS9_10device_ptrIlEEEEPS5_m14custom_greaterIlEEE10hipError_tT0_T1_T2_jT3_P12ihipStream_tbPNSt15iterator_traitsISJ_E10value_typeEPNSP_ISK_E10value_typeEPSL_NS1_7vsmem_tEENKUlT_SJ_SK_SL_E_clISE_PlSF_SF_EESI_SY_SJ_SK_SL_EUlSY_E_NS1_11comp_targetILNS1_3genE0ELNS1_11target_archE4294967295ELNS1_3gpuE0ELNS1_3repE0EEENS1_48merge_mergepath_partition_config_static_selectorELNS0_4arch9wavefront6targetE1EEEvSK_,"axG",@progbits,_ZN7rocprim17ROCPRIM_400000_NS6detail17trampoline_kernelINS0_14default_configENS1_38merge_sort_block_merge_config_selectorIlNS0_10empty_typeEEEZZNS1_27merge_sort_block_merge_implIS3_N6thrust23THRUST_200600_302600_NS6detail15normal_iteratorINS9_10device_ptrIlEEEEPS5_m14custom_greaterIlEEE10hipError_tT0_T1_T2_jT3_P12ihipStream_tbPNSt15iterator_traitsISJ_E10value_typeEPNSP_ISK_E10value_typeEPSL_NS1_7vsmem_tEENKUlT_SJ_SK_SL_E_clISE_PlSF_SF_EESI_SY_SJ_SK_SL_EUlSY_E_NS1_11comp_targetILNS1_3genE0ELNS1_11target_archE4294967295ELNS1_3gpuE0ELNS1_3repE0EEENS1_48merge_mergepath_partition_config_static_selectorELNS0_4arch9wavefront6targetE1EEEvSK_,comdat
	.protected	_ZN7rocprim17ROCPRIM_400000_NS6detail17trampoline_kernelINS0_14default_configENS1_38merge_sort_block_merge_config_selectorIlNS0_10empty_typeEEEZZNS1_27merge_sort_block_merge_implIS3_N6thrust23THRUST_200600_302600_NS6detail15normal_iteratorINS9_10device_ptrIlEEEEPS5_m14custom_greaterIlEEE10hipError_tT0_T1_T2_jT3_P12ihipStream_tbPNSt15iterator_traitsISJ_E10value_typeEPNSP_ISK_E10value_typeEPSL_NS1_7vsmem_tEENKUlT_SJ_SK_SL_E_clISE_PlSF_SF_EESI_SY_SJ_SK_SL_EUlSY_E_NS1_11comp_targetILNS1_3genE0ELNS1_11target_archE4294967295ELNS1_3gpuE0ELNS1_3repE0EEENS1_48merge_mergepath_partition_config_static_selectorELNS0_4arch9wavefront6targetE1EEEvSK_ ; -- Begin function _ZN7rocprim17ROCPRIM_400000_NS6detail17trampoline_kernelINS0_14default_configENS1_38merge_sort_block_merge_config_selectorIlNS0_10empty_typeEEEZZNS1_27merge_sort_block_merge_implIS3_N6thrust23THRUST_200600_302600_NS6detail15normal_iteratorINS9_10device_ptrIlEEEEPS5_m14custom_greaterIlEEE10hipError_tT0_T1_T2_jT3_P12ihipStream_tbPNSt15iterator_traitsISJ_E10value_typeEPNSP_ISK_E10value_typeEPSL_NS1_7vsmem_tEENKUlT_SJ_SK_SL_E_clISE_PlSF_SF_EESI_SY_SJ_SK_SL_EUlSY_E_NS1_11comp_targetILNS1_3genE0ELNS1_11target_archE4294967295ELNS1_3gpuE0ELNS1_3repE0EEENS1_48merge_mergepath_partition_config_static_selectorELNS0_4arch9wavefront6targetE1EEEvSK_
	.globl	_ZN7rocprim17ROCPRIM_400000_NS6detail17trampoline_kernelINS0_14default_configENS1_38merge_sort_block_merge_config_selectorIlNS0_10empty_typeEEEZZNS1_27merge_sort_block_merge_implIS3_N6thrust23THRUST_200600_302600_NS6detail15normal_iteratorINS9_10device_ptrIlEEEEPS5_m14custom_greaterIlEEE10hipError_tT0_T1_T2_jT3_P12ihipStream_tbPNSt15iterator_traitsISJ_E10value_typeEPNSP_ISK_E10value_typeEPSL_NS1_7vsmem_tEENKUlT_SJ_SK_SL_E_clISE_PlSF_SF_EESI_SY_SJ_SK_SL_EUlSY_E_NS1_11comp_targetILNS1_3genE0ELNS1_11target_archE4294967295ELNS1_3gpuE0ELNS1_3repE0EEENS1_48merge_mergepath_partition_config_static_selectorELNS0_4arch9wavefront6targetE1EEEvSK_
	.p2align	8
	.type	_ZN7rocprim17ROCPRIM_400000_NS6detail17trampoline_kernelINS0_14default_configENS1_38merge_sort_block_merge_config_selectorIlNS0_10empty_typeEEEZZNS1_27merge_sort_block_merge_implIS3_N6thrust23THRUST_200600_302600_NS6detail15normal_iteratorINS9_10device_ptrIlEEEEPS5_m14custom_greaterIlEEE10hipError_tT0_T1_T2_jT3_P12ihipStream_tbPNSt15iterator_traitsISJ_E10value_typeEPNSP_ISK_E10value_typeEPSL_NS1_7vsmem_tEENKUlT_SJ_SK_SL_E_clISE_PlSF_SF_EESI_SY_SJ_SK_SL_EUlSY_E_NS1_11comp_targetILNS1_3genE0ELNS1_11target_archE4294967295ELNS1_3gpuE0ELNS1_3repE0EEENS1_48merge_mergepath_partition_config_static_selectorELNS0_4arch9wavefront6targetE1EEEvSK_,@function
_ZN7rocprim17ROCPRIM_400000_NS6detail17trampoline_kernelINS0_14default_configENS1_38merge_sort_block_merge_config_selectorIlNS0_10empty_typeEEEZZNS1_27merge_sort_block_merge_implIS3_N6thrust23THRUST_200600_302600_NS6detail15normal_iteratorINS9_10device_ptrIlEEEEPS5_m14custom_greaterIlEEE10hipError_tT0_T1_T2_jT3_P12ihipStream_tbPNSt15iterator_traitsISJ_E10value_typeEPNSP_ISK_E10value_typeEPSL_NS1_7vsmem_tEENKUlT_SJ_SK_SL_E_clISE_PlSF_SF_EESI_SY_SJ_SK_SL_EUlSY_E_NS1_11comp_targetILNS1_3genE0ELNS1_11target_archE4294967295ELNS1_3gpuE0ELNS1_3repE0EEENS1_48merge_mergepath_partition_config_static_selectorELNS0_4arch9wavefront6targetE1EEEvSK_: ; @_ZN7rocprim17ROCPRIM_400000_NS6detail17trampoline_kernelINS0_14default_configENS1_38merge_sort_block_merge_config_selectorIlNS0_10empty_typeEEEZZNS1_27merge_sort_block_merge_implIS3_N6thrust23THRUST_200600_302600_NS6detail15normal_iteratorINS9_10device_ptrIlEEEEPS5_m14custom_greaterIlEEE10hipError_tT0_T1_T2_jT3_P12ihipStream_tbPNSt15iterator_traitsISJ_E10value_typeEPNSP_ISK_E10value_typeEPSL_NS1_7vsmem_tEENKUlT_SJ_SK_SL_E_clISE_PlSF_SF_EESI_SY_SJ_SK_SL_EUlSY_E_NS1_11comp_targetILNS1_3genE0ELNS1_11target_archE4294967295ELNS1_3gpuE0ELNS1_3repE0EEENS1_48merge_mergepath_partition_config_static_selectorELNS0_4arch9wavefront6targetE1EEEvSK_
; %bb.0:
	.section	.rodata,"a",@progbits
	.p2align	6, 0x0
	.amdhsa_kernel _ZN7rocprim17ROCPRIM_400000_NS6detail17trampoline_kernelINS0_14default_configENS1_38merge_sort_block_merge_config_selectorIlNS0_10empty_typeEEEZZNS1_27merge_sort_block_merge_implIS3_N6thrust23THRUST_200600_302600_NS6detail15normal_iteratorINS9_10device_ptrIlEEEEPS5_m14custom_greaterIlEEE10hipError_tT0_T1_T2_jT3_P12ihipStream_tbPNSt15iterator_traitsISJ_E10value_typeEPNSP_ISK_E10value_typeEPSL_NS1_7vsmem_tEENKUlT_SJ_SK_SL_E_clISE_PlSF_SF_EESI_SY_SJ_SK_SL_EUlSY_E_NS1_11comp_targetILNS1_3genE0ELNS1_11target_archE4294967295ELNS1_3gpuE0ELNS1_3repE0EEENS1_48merge_mergepath_partition_config_static_selectorELNS0_4arch9wavefront6targetE1EEEvSK_
		.amdhsa_group_segment_fixed_size 0
		.amdhsa_private_segment_fixed_size 0
		.amdhsa_kernarg_size 48
		.amdhsa_user_sgpr_count 6
		.amdhsa_user_sgpr_private_segment_buffer 1
		.amdhsa_user_sgpr_dispatch_ptr 0
		.amdhsa_user_sgpr_queue_ptr 0
		.amdhsa_user_sgpr_kernarg_segment_ptr 1
		.amdhsa_user_sgpr_dispatch_id 0
		.amdhsa_user_sgpr_flat_scratch_init 0
		.amdhsa_user_sgpr_kernarg_preload_length 0
		.amdhsa_user_sgpr_kernarg_preload_offset 0
		.amdhsa_user_sgpr_private_segment_size 0
		.amdhsa_uses_dynamic_stack 0
		.amdhsa_system_sgpr_private_segment_wavefront_offset 0
		.amdhsa_system_sgpr_workgroup_id_x 1
		.amdhsa_system_sgpr_workgroup_id_y 0
		.amdhsa_system_sgpr_workgroup_id_z 0
		.amdhsa_system_sgpr_workgroup_info 0
		.amdhsa_system_vgpr_workitem_id 0
		.amdhsa_next_free_vgpr 1
		.amdhsa_next_free_sgpr 0
		.amdhsa_accum_offset 4
		.amdhsa_reserve_vcc 0
		.amdhsa_reserve_flat_scratch 0
		.amdhsa_float_round_mode_32 0
		.amdhsa_float_round_mode_16_64 0
		.amdhsa_float_denorm_mode_32 3
		.amdhsa_float_denorm_mode_16_64 3
		.amdhsa_dx10_clamp 1
		.amdhsa_ieee_mode 1
		.amdhsa_fp16_overflow 0
		.amdhsa_tg_split 0
		.amdhsa_exception_fp_ieee_invalid_op 0
		.amdhsa_exception_fp_denorm_src 0
		.amdhsa_exception_fp_ieee_div_zero 0
		.amdhsa_exception_fp_ieee_overflow 0
		.amdhsa_exception_fp_ieee_underflow 0
		.amdhsa_exception_fp_ieee_inexact 0
		.amdhsa_exception_int_div_zero 0
	.end_amdhsa_kernel
	.section	.text._ZN7rocprim17ROCPRIM_400000_NS6detail17trampoline_kernelINS0_14default_configENS1_38merge_sort_block_merge_config_selectorIlNS0_10empty_typeEEEZZNS1_27merge_sort_block_merge_implIS3_N6thrust23THRUST_200600_302600_NS6detail15normal_iteratorINS9_10device_ptrIlEEEEPS5_m14custom_greaterIlEEE10hipError_tT0_T1_T2_jT3_P12ihipStream_tbPNSt15iterator_traitsISJ_E10value_typeEPNSP_ISK_E10value_typeEPSL_NS1_7vsmem_tEENKUlT_SJ_SK_SL_E_clISE_PlSF_SF_EESI_SY_SJ_SK_SL_EUlSY_E_NS1_11comp_targetILNS1_3genE0ELNS1_11target_archE4294967295ELNS1_3gpuE0ELNS1_3repE0EEENS1_48merge_mergepath_partition_config_static_selectorELNS0_4arch9wavefront6targetE1EEEvSK_,"axG",@progbits,_ZN7rocprim17ROCPRIM_400000_NS6detail17trampoline_kernelINS0_14default_configENS1_38merge_sort_block_merge_config_selectorIlNS0_10empty_typeEEEZZNS1_27merge_sort_block_merge_implIS3_N6thrust23THRUST_200600_302600_NS6detail15normal_iteratorINS9_10device_ptrIlEEEEPS5_m14custom_greaterIlEEE10hipError_tT0_T1_T2_jT3_P12ihipStream_tbPNSt15iterator_traitsISJ_E10value_typeEPNSP_ISK_E10value_typeEPSL_NS1_7vsmem_tEENKUlT_SJ_SK_SL_E_clISE_PlSF_SF_EESI_SY_SJ_SK_SL_EUlSY_E_NS1_11comp_targetILNS1_3genE0ELNS1_11target_archE4294967295ELNS1_3gpuE0ELNS1_3repE0EEENS1_48merge_mergepath_partition_config_static_selectorELNS0_4arch9wavefront6targetE1EEEvSK_,comdat
.Lfunc_end3262:
	.size	_ZN7rocprim17ROCPRIM_400000_NS6detail17trampoline_kernelINS0_14default_configENS1_38merge_sort_block_merge_config_selectorIlNS0_10empty_typeEEEZZNS1_27merge_sort_block_merge_implIS3_N6thrust23THRUST_200600_302600_NS6detail15normal_iteratorINS9_10device_ptrIlEEEEPS5_m14custom_greaterIlEEE10hipError_tT0_T1_T2_jT3_P12ihipStream_tbPNSt15iterator_traitsISJ_E10value_typeEPNSP_ISK_E10value_typeEPSL_NS1_7vsmem_tEENKUlT_SJ_SK_SL_E_clISE_PlSF_SF_EESI_SY_SJ_SK_SL_EUlSY_E_NS1_11comp_targetILNS1_3genE0ELNS1_11target_archE4294967295ELNS1_3gpuE0ELNS1_3repE0EEENS1_48merge_mergepath_partition_config_static_selectorELNS0_4arch9wavefront6targetE1EEEvSK_, .Lfunc_end3262-_ZN7rocprim17ROCPRIM_400000_NS6detail17trampoline_kernelINS0_14default_configENS1_38merge_sort_block_merge_config_selectorIlNS0_10empty_typeEEEZZNS1_27merge_sort_block_merge_implIS3_N6thrust23THRUST_200600_302600_NS6detail15normal_iteratorINS9_10device_ptrIlEEEEPS5_m14custom_greaterIlEEE10hipError_tT0_T1_T2_jT3_P12ihipStream_tbPNSt15iterator_traitsISJ_E10value_typeEPNSP_ISK_E10value_typeEPSL_NS1_7vsmem_tEENKUlT_SJ_SK_SL_E_clISE_PlSF_SF_EESI_SY_SJ_SK_SL_EUlSY_E_NS1_11comp_targetILNS1_3genE0ELNS1_11target_archE4294967295ELNS1_3gpuE0ELNS1_3repE0EEENS1_48merge_mergepath_partition_config_static_selectorELNS0_4arch9wavefront6targetE1EEEvSK_
                                        ; -- End function
	.section	.AMDGPU.csdata,"",@progbits
; Kernel info:
; codeLenInByte = 0
; NumSgprs: 4
; NumVgprs: 0
; NumAgprs: 0
; TotalNumVgprs: 0
; ScratchSize: 0
; MemoryBound: 0
; FloatMode: 240
; IeeeMode: 1
; LDSByteSize: 0 bytes/workgroup (compile time only)
; SGPRBlocks: 0
; VGPRBlocks: 0
; NumSGPRsForWavesPerEU: 4
; NumVGPRsForWavesPerEU: 1
; AccumOffset: 4
; Occupancy: 8
; WaveLimiterHint : 0
; COMPUTE_PGM_RSRC2:SCRATCH_EN: 0
; COMPUTE_PGM_RSRC2:USER_SGPR: 6
; COMPUTE_PGM_RSRC2:TRAP_HANDLER: 0
; COMPUTE_PGM_RSRC2:TGID_X_EN: 1
; COMPUTE_PGM_RSRC2:TGID_Y_EN: 0
; COMPUTE_PGM_RSRC2:TGID_Z_EN: 0
; COMPUTE_PGM_RSRC2:TIDIG_COMP_CNT: 0
; COMPUTE_PGM_RSRC3_GFX90A:ACCUM_OFFSET: 0
; COMPUTE_PGM_RSRC3_GFX90A:TG_SPLIT: 0
	.section	.text._ZN7rocprim17ROCPRIM_400000_NS6detail17trampoline_kernelINS0_14default_configENS1_38merge_sort_block_merge_config_selectorIlNS0_10empty_typeEEEZZNS1_27merge_sort_block_merge_implIS3_N6thrust23THRUST_200600_302600_NS6detail15normal_iteratorINS9_10device_ptrIlEEEEPS5_m14custom_greaterIlEEE10hipError_tT0_T1_T2_jT3_P12ihipStream_tbPNSt15iterator_traitsISJ_E10value_typeEPNSP_ISK_E10value_typeEPSL_NS1_7vsmem_tEENKUlT_SJ_SK_SL_E_clISE_PlSF_SF_EESI_SY_SJ_SK_SL_EUlSY_E_NS1_11comp_targetILNS1_3genE10ELNS1_11target_archE1201ELNS1_3gpuE5ELNS1_3repE0EEENS1_48merge_mergepath_partition_config_static_selectorELNS0_4arch9wavefront6targetE1EEEvSK_,"axG",@progbits,_ZN7rocprim17ROCPRIM_400000_NS6detail17trampoline_kernelINS0_14default_configENS1_38merge_sort_block_merge_config_selectorIlNS0_10empty_typeEEEZZNS1_27merge_sort_block_merge_implIS3_N6thrust23THRUST_200600_302600_NS6detail15normal_iteratorINS9_10device_ptrIlEEEEPS5_m14custom_greaterIlEEE10hipError_tT0_T1_T2_jT3_P12ihipStream_tbPNSt15iterator_traitsISJ_E10value_typeEPNSP_ISK_E10value_typeEPSL_NS1_7vsmem_tEENKUlT_SJ_SK_SL_E_clISE_PlSF_SF_EESI_SY_SJ_SK_SL_EUlSY_E_NS1_11comp_targetILNS1_3genE10ELNS1_11target_archE1201ELNS1_3gpuE5ELNS1_3repE0EEENS1_48merge_mergepath_partition_config_static_selectorELNS0_4arch9wavefront6targetE1EEEvSK_,comdat
	.protected	_ZN7rocprim17ROCPRIM_400000_NS6detail17trampoline_kernelINS0_14default_configENS1_38merge_sort_block_merge_config_selectorIlNS0_10empty_typeEEEZZNS1_27merge_sort_block_merge_implIS3_N6thrust23THRUST_200600_302600_NS6detail15normal_iteratorINS9_10device_ptrIlEEEEPS5_m14custom_greaterIlEEE10hipError_tT0_T1_T2_jT3_P12ihipStream_tbPNSt15iterator_traitsISJ_E10value_typeEPNSP_ISK_E10value_typeEPSL_NS1_7vsmem_tEENKUlT_SJ_SK_SL_E_clISE_PlSF_SF_EESI_SY_SJ_SK_SL_EUlSY_E_NS1_11comp_targetILNS1_3genE10ELNS1_11target_archE1201ELNS1_3gpuE5ELNS1_3repE0EEENS1_48merge_mergepath_partition_config_static_selectorELNS0_4arch9wavefront6targetE1EEEvSK_ ; -- Begin function _ZN7rocprim17ROCPRIM_400000_NS6detail17trampoline_kernelINS0_14default_configENS1_38merge_sort_block_merge_config_selectorIlNS0_10empty_typeEEEZZNS1_27merge_sort_block_merge_implIS3_N6thrust23THRUST_200600_302600_NS6detail15normal_iteratorINS9_10device_ptrIlEEEEPS5_m14custom_greaterIlEEE10hipError_tT0_T1_T2_jT3_P12ihipStream_tbPNSt15iterator_traitsISJ_E10value_typeEPNSP_ISK_E10value_typeEPSL_NS1_7vsmem_tEENKUlT_SJ_SK_SL_E_clISE_PlSF_SF_EESI_SY_SJ_SK_SL_EUlSY_E_NS1_11comp_targetILNS1_3genE10ELNS1_11target_archE1201ELNS1_3gpuE5ELNS1_3repE0EEENS1_48merge_mergepath_partition_config_static_selectorELNS0_4arch9wavefront6targetE1EEEvSK_
	.globl	_ZN7rocprim17ROCPRIM_400000_NS6detail17trampoline_kernelINS0_14default_configENS1_38merge_sort_block_merge_config_selectorIlNS0_10empty_typeEEEZZNS1_27merge_sort_block_merge_implIS3_N6thrust23THRUST_200600_302600_NS6detail15normal_iteratorINS9_10device_ptrIlEEEEPS5_m14custom_greaterIlEEE10hipError_tT0_T1_T2_jT3_P12ihipStream_tbPNSt15iterator_traitsISJ_E10value_typeEPNSP_ISK_E10value_typeEPSL_NS1_7vsmem_tEENKUlT_SJ_SK_SL_E_clISE_PlSF_SF_EESI_SY_SJ_SK_SL_EUlSY_E_NS1_11comp_targetILNS1_3genE10ELNS1_11target_archE1201ELNS1_3gpuE5ELNS1_3repE0EEENS1_48merge_mergepath_partition_config_static_selectorELNS0_4arch9wavefront6targetE1EEEvSK_
	.p2align	8
	.type	_ZN7rocprim17ROCPRIM_400000_NS6detail17trampoline_kernelINS0_14default_configENS1_38merge_sort_block_merge_config_selectorIlNS0_10empty_typeEEEZZNS1_27merge_sort_block_merge_implIS3_N6thrust23THRUST_200600_302600_NS6detail15normal_iteratorINS9_10device_ptrIlEEEEPS5_m14custom_greaterIlEEE10hipError_tT0_T1_T2_jT3_P12ihipStream_tbPNSt15iterator_traitsISJ_E10value_typeEPNSP_ISK_E10value_typeEPSL_NS1_7vsmem_tEENKUlT_SJ_SK_SL_E_clISE_PlSF_SF_EESI_SY_SJ_SK_SL_EUlSY_E_NS1_11comp_targetILNS1_3genE10ELNS1_11target_archE1201ELNS1_3gpuE5ELNS1_3repE0EEENS1_48merge_mergepath_partition_config_static_selectorELNS0_4arch9wavefront6targetE1EEEvSK_,@function
_ZN7rocprim17ROCPRIM_400000_NS6detail17trampoline_kernelINS0_14default_configENS1_38merge_sort_block_merge_config_selectorIlNS0_10empty_typeEEEZZNS1_27merge_sort_block_merge_implIS3_N6thrust23THRUST_200600_302600_NS6detail15normal_iteratorINS9_10device_ptrIlEEEEPS5_m14custom_greaterIlEEE10hipError_tT0_T1_T2_jT3_P12ihipStream_tbPNSt15iterator_traitsISJ_E10value_typeEPNSP_ISK_E10value_typeEPSL_NS1_7vsmem_tEENKUlT_SJ_SK_SL_E_clISE_PlSF_SF_EESI_SY_SJ_SK_SL_EUlSY_E_NS1_11comp_targetILNS1_3genE10ELNS1_11target_archE1201ELNS1_3gpuE5ELNS1_3repE0EEENS1_48merge_mergepath_partition_config_static_selectorELNS0_4arch9wavefront6targetE1EEEvSK_: ; @_ZN7rocprim17ROCPRIM_400000_NS6detail17trampoline_kernelINS0_14default_configENS1_38merge_sort_block_merge_config_selectorIlNS0_10empty_typeEEEZZNS1_27merge_sort_block_merge_implIS3_N6thrust23THRUST_200600_302600_NS6detail15normal_iteratorINS9_10device_ptrIlEEEEPS5_m14custom_greaterIlEEE10hipError_tT0_T1_T2_jT3_P12ihipStream_tbPNSt15iterator_traitsISJ_E10value_typeEPNSP_ISK_E10value_typeEPSL_NS1_7vsmem_tEENKUlT_SJ_SK_SL_E_clISE_PlSF_SF_EESI_SY_SJ_SK_SL_EUlSY_E_NS1_11comp_targetILNS1_3genE10ELNS1_11target_archE1201ELNS1_3gpuE5ELNS1_3repE0EEENS1_48merge_mergepath_partition_config_static_selectorELNS0_4arch9wavefront6targetE1EEEvSK_
; %bb.0:
	.section	.rodata,"a",@progbits
	.p2align	6, 0x0
	.amdhsa_kernel _ZN7rocprim17ROCPRIM_400000_NS6detail17trampoline_kernelINS0_14default_configENS1_38merge_sort_block_merge_config_selectorIlNS0_10empty_typeEEEZZNS1_27merge_sort_block_merge_implIS3_N6thrust23THRUST_200600_302600_NS6detail15normal_iteratorINS9_10device_ptrIlEEEEPS5_m14custom_greaterIlEEE10hipError_tT0_T1_T2_jT3_P12ihipStream_tbPNSt15iterator_traitsISJ_E10value_typeEPNSP_ISK_E10value_typeEPSL_NS1_7vsmem_tEENKUlT_SJ_SK_SL_E_clISE_PlSF_SF_EESI_SY_SJ_SK_SL_EUlSY_E_NS1_11comp_targetILNS1_3genE10ELNS1_11target_archE1201ELNS1_3gpuE5ELNS1_3repE0EEENS1_48merge_mergepath_partition_config_static_selectorELNS0_4arch9wavefront6targetE1EEEvSK_
		.amdhsa_group_segment_fixed_size 0
		.amdhsa_private_segment_fixed_size 0
		.amdhsa_kernarg_size 48
		.amdhsa_user_sgpr_count 6
		.amdhsa_user_sgpr_private_segment_buffer 1
		.amdhsa_user_sgpr_dispatch_ptr 0
		.amdhsa_user_sgpr_queue_ptr 0
		.amdhsa_user_sgpr_kernarg_segment_ptr 1
		.amdhsa_user_sgpr_dispatch_id 0
		.amdhsa_user_sgpr_flat_scratch_init 0
		.amdhsa_user_sgpr_kernarg_preload_length 0
		.amdhsa_user_sgpr_kernarg_preload_offset 0
		.amdhsa_user_sgpr_private_segment_size 0
		.amdhsa_uses_dynamic_stack 0
		.amdhsa_system_sgpr_private_segment_wavefront_offset 0
		.amdhsa_system_sgpr_workgroup_id_x 1
		.amdhsa_system_sgpr_workgroup_id_y 0
		.amdhsa_system_sgpr_workgroup_id_z 0
		.amdhsa_system_sgpr_workgroup_info 0
		.amdhsa_system_vgpr_workitem_id 0
		.amdhsa_next_free_vgpr 1
		.amdhsa_next_free_sgpr 0
		.amdhsa_accum_offset 4
		.amdhsa_reserve_vcc 0
		.amdhsa_reserve_flat_scratch 0
		.amdhsa_float_round_mode_32 0
		.amdhsa_float_round_mode_16_64 0
		.amdhsa_float_denorm_mode_32 3
		.amdhsa_float_denorm_mode_16_64 3
		.amdhsa_dx10_clamp 1
		.amdhsa_ieee_mode 1
		.amdhsa_fp16_overflow 0
		.amdhsa_tg_split 0
		.amdhsa_exception_fp_ieee_invalid_op 0
		.amdhsa_exception_fp_denorm_src 0
		.amdhsa_exception_fp_ieee_div_zero 0
		.amdhsa_exception_fp_ieee_overflow 0
		.amdhsa_exception_fp_ieee_underflow 0
		.amdhsa_exception_fp_ieee_inexact 0
		.amdhsa_exception_int_div_zero 0
	.end_amdhsa_kernel
	.section	.text._ZN7rocprim17ROCPRIM_400000_NS6detail17trampoline_kernelINS0_14default_configENS1_38merge_sort_block_merge_config_selectorIlNS0_10empty_typeEEEZZNS1_27merge_sort_block_merge_implIS3_N6thrust23THRUST_200600_302600_NS6detail15normal_iteratorINS9_10device_ptrIlEEEEPS5_m14custom_greaterIlEEE10hipError_tT0_T1_T2_jT3_P12ihipStream_tbPNSt15iterator_traitsISJ_E10value_typeEPNSP_ISK_E10value_typeEPSL_NS1_7vsmem_tEENKUlT_SJ_SK_SL_E_clISE_PlSF_SF_EESI_SY_SJ_SK_SL_EUlSY_E_NS1_11comp_targetILNS1_3genE10ELNS1_11target_archE1201ELNS1_3gpuE5ELNS1_3repE0EEENS1_48merge_mergepath_partition_config_static_selectorELNS0_4arch9wavefront6targetE1EEEvSK_,"axG",@progbits,_ZN7rocprim17ROCPRIM_400000_NS6detail17trampoline_kernelINS0_14default_configENS1_38merge_sort_block_merge_config_selectorIlNS0_10empty_typeEEEZZNS1_27merge_sort_block_merge_implIS3_N6thrust23THRUST_200600_302600_NS6detail15normal_iteratorINS9_10device_ptrIlEEEEPS5_m14custom_greaterIlEEE10hipError_tT0_T1_T2_jT3_P12ihipStream_tbPNSt15iterator_traitsISJ_E10value_typeEPNSP_ISK_E10value_typeEPSL_NS1_7vsmem_tEENKUlT_SJ_SK_SL_E_clISE_PlSF_SF_EESI_SY_SJ_SK_SL_EUlSY_E_NS1_11comp_targetILNS1_3genE10ELNS1_11target_archE1201ELNS1_3gpuE5ELNS1_3repE0EEENS1_48merge_mergepath_partition_config_static_selectorELNS0_4arch9wavefront6targetE1EEEvSK_,comdat
.Lfunc_end3263:
	.size	_ZN7rocprim17ROCPRIM_400000_NS6detail17trampoline_kernelINS0_14default_configENS1_38merge_sort_block_merge_config_selectorIlNS0_10empty_typeEEEZZNS1_27merge_sort_block_merge_implIS3_N6thrust23THRUST_200600_302600_NS6detail15normal_iteratorINS9_10device_ptrIlEEEEPS5_m14custom_greaterIlEEE10hipError_tT0_T1_T2_jT3_P12ihipStream_tbPNSt15iterator_traitsISJ_E10value_typeEPNSP_ISK_E10value_typeEPSL_NS1_7vsmem_tEENKUlT_SJ_SK_SL_E_clISE_PlSF_SF_EESI_SY_SJ_SK_SL_EUlSY_E_NS1_11comp_targetILNS1_3genE10ELNS1_11target_archE1201ELNS1_3gpuE5ELNS1_3repE0EEENS1_48merge_mergepath_partition_config_static_selectorELNS0_4arch9wavefront6targetE1EEEvSK_, .Lfunc_end3263-_ZN7rocprim17ROCPRIM_400000_NS6detail17trampoline_kernelINS0_14default_configENS1_38merge_sort_block_merge_config_selectorIlNS0_10empty_typeEEEZZNS1_27merge_sort_block_merge_implIS3_N6thrust23THRUST_200600_302600_NS6detail15normal_iteratorINS9_10device_ptrIlEEEEPS5_m14custom_greaterIlEEE10hipError_tT0_T1_T2_jT3_P12ihipStream_tbPNSt15iterator_traitsISJ_E10value_typeEPNSP_ISK_E10value_typeEPSL_NS1_7vsmem_tEENKUlT_SJ_SK_SL_E_clISE_PlSF_SF_EESI_SY_SJ_SK_SL_EUlSY_E_NS1_11comp_targetILNS1_3genE10ELNS1_11target_archE1201ELNS1_3gpuE5ELNS1_3repE0EEENS1_48merge_mergepath_partition_config_static_selectorELNS0_4arch9wavefront6targetE1EEEvSK_
                                        ; -- End function
	.section	.AMDGPU.csdata,"",@progbits
; Kernel info:
; codeLenInByte = 0
; NumSgprs: 4
; NumVgprs: 0
; NumAgprs: 0
; TotalNumVgprs: 0
; ScratchSize: 0
; MemoryBound: 0
; FloatMode: 240
; IeeeMode: 1
; LDSByteSize: 0 bytes/workgroup (compile time only)
; SGPRBlocks: 0
; VGPRBlocks: 0
; NumSGPRsForWavesPerEU: 4
; NumVGPRsForWavesPerEU: 1
; AccumOffset: 4
; Occupancy: 8
; WaveLimiterHint : 0
; COMPUTE_PGM_RSRC2:SCRATCH_EN: 0
; COMPUTE_PGM_RSRC2:USER_SGPR: 6
; COMPUTE_PGM_RSRC2:TRAP_HANDLER: 0
; COMPUTE_PGM_RSRC2:TGID_X_EN: 1
; COMPUTE_PGM_RSRC2:TGID_Y_EN: 0
; COMPUTE_PGM_RSRC2:TGID_Z_EN: 0
; COMPUTE_PGM_RSRC2:TIDIG_COMP_CNT: 0
; COMPUTE_PGM_RSRC3_GFX90A:ACCUM_OFFSET: 0
; COMPUTE_PGM_RSRC3_GFX90A:TG_SPLIT: 0
	.section	.text._ZN7rocprim17ROCPRIM_400000_NS6detail17trampoline_kernelINS0_14default_configENS1_38merge_sort_block_merge_config_selectorIlNS0_10empty_typeEEEZZNS1_27merge_sort_block_merge_implIS3_N6thrust23THRUST_200600_302600_NS6detail15normal_iteratorINS9_10device_ptrIlEEEEPS5_m14custom_greaterIlEEE10hipError_tT0_T1_T2_jT3_P12ihipStream_tbPNSt15iterator_traitsISJ_E10value_typeEPNSP_ISK_E10value_typeEPSL_NS1_7vsmem_tEENKUlT_SJ_SK_SL_E_clISE_PlSF_SF_EESI_SY_SJ_SK_SL_EUlSY_E_NS1_11comp_targetILNS1_3genE5ELNS1_11target_archE942ELNS1_3gpuE9ELNS1_3repE0EEENS1_48merge_mergepath_partition_config_static_selectorELNS0_4arch9wavefront6targetE1EEEvSK_,"axG",@progbits,_ZN7rocprim17ROCPRIM_400000_NS6detail17trampoline_kernelINS0_14default_configENS1_38merge_sort_block_merge_config_selectorIlNS0_10empty_typeEEEZZNS1_27merge_sort_block_merge_implIS3_N6thrust23THRUST_200600_302600_NS6detail15normal_iteratorINS9_10device_ptrIlEEEEPS5_m14custom_greaterIlEEE10hipError_tT0_T1_T2_jT3_P12ihipStream_tbPNSt15iterator_traitsISJ_E10value_typeEPNSP_ISK_E10value_typeEPSL_NS1_7vsmem_tEENKUlT_SJ_SK_SL_E_clISE_PlSF_SF_EESI_SY_SJ_SK_SL_EUlSY_E_NS1_11comp_targetILNS1_3genE5ELNS1_11target_archE942ELNS1_3gpuE9ELNS1_3repE0EEENS1_48merge_mergepath_partition_config_static_selectorELNS0_4arch9wavefront6targetE1EEEvSK_,comdat
	.protected	_ZN7rocprim17ROCPRIM_400000_NS6detail17trampoline_kernelINS0_14default_configENS1_38merge_sort_block_merge_config_selectorIlNS0_10empty_typeEEEZZNS1_27merge_sort_block_merge_implIS3_N6thrust23THRUST_200600_302600_NS6detail15normal_iteratorINS9_10device_ptrIlEEEEPS5_m14custom_greaterIlEEE10hipError_tT0_T1_T2_jT3_P12ihipStream_tbPNSt15iterator_traitsISJ_E10value_typeEPNSP_ISK_E10value_typeEPSL_NS1_7vsmem_tEENKUlT_SJ_SK_SL_E_clISE_PlSF_SF_EESI_SY_SJ_SK_SL_EUlSY_E_NS1_11comp_targetILNS1_3genE5ELNS1_11target_archE942ELNS1_3gpuE9ELNS1_3repE0EEENS1_48merge_mergepath_partition_config_static_selectorELNS0_4arch9wavefront6targetE1EEEvSK_ ; -- Begin function _ZN7rocprim17ROCPRIM_400000_NS6detail17trampoline_kernelINS0_14default_configENS1_38merge_sort_block_merge_config_selectorIlNS0_10empty_typeEEEZZNS1_27merge_sort_block_merge_implIS3_N6thrust23THRUST_200600_302600_NS6detail15normal_iteratorINS9_10device_ptrIlEEEEPS5_m14custom_greaterIlEEE10hipError_tT0_T1_T2_jT3_P12ihipStream_tbPNSt15iterator_traitsISJ_E10value_typeEPNSP_ISK_E10value_typeEPSL_NS1_7vsmem_tEENKUlT_SJ_SK_SL_E_clISE_PlSF_SF_EESI_SY_SJ_SK_SL_EUlSY_E_NS1_11comp_targetILNS1_3genE5ELNS1_11target_archE942ELNS1_3gpuE9ELNS1_3repE0EEENS1_48merge_mergepath_partition_config_static_selectorELNS0_4arch9wavefront6targetE1EEEvSK_
	.globl	_ZN7rocprim17ROCPRIM_400000_NS6detail17trampoline_kernelINS0_14default_configENS1_38merge_sort_block_merge_config_selectorIlNS0_10empty_typeEEEZZNS1_27merge_sort_block_merge_implIS3_N6thrust23THRUST_200600_302600_NS6detail15normal_iteratorINS9_10device_ptrIlEEEEPS5_m14custom_greaterIlEEE10hipError_tT0_T1_T2_jT3_P12ihipStream_tbPNSt15iterator_traitsISJ_E10value_typeEPNSP_ISK_E10value_typeEPSL_NS1_7vsmem_tEENKUlT_SJ_SK_SL_E_clISE_PlSF_SF_EESI_SY_SJ_SK_SL_EUlSY_E_NS1_11comp_targetILNS1_3genE5ELNS1_11target_archE942ELNS1_3gpuE9ELNS1_3repE0EEENS1_48merge_mergepath_partition_config_static_selectorELNS0_4arch9wavefront6targetE1EEEvSK_
	.p2align	8
	.type	_ZN7rocprim17ROCPRIM_400000_NS6detail17trampoline_kernelINS0_14default_configENS1_38merge_sort_block_merge_config_selectorIlNS0_10empty_typeEEEZZNS1_27merge_sort_block_merge_implIS3_N6thrust23THRUST_200600_302600_NS6detail15normal_iteratorINS9_10device_ptrIlEEEEPS5_m14custom_greaterIlEEE10hipError_tT0_T1_T2_jT3_P12ihipStream_tbPNSt15iterator_traitsISJ_E10value_typeEPNSP_ISK_E10value_typeEPSL_NS1_7vsmem_tEENKUlT_SJ_SK_SL_E_clISE_PlSF_SF_EESI_SY_SJ_SK_SL_EUlSY_E_NS1_11comp_targetILNS1_3genE5ELNS1_11target_archE942ELNS1_3gpuE9ELNS1_3repE0EEENS1_48merge_mergepath_partition_config_static_selectorELNS0_4arch9wavefront6targetE1EEEvSK_,@function
_ZN7rocprim17ROCPRIM_400000_NS6detail17trampoline_kernelINS0_14default_configENS1_38merge_sort_block_merge_config_selectorIlNS0_10empty_typeEEEZZNS1_27merge_sort_block_merge_implIS3_N6thrust23THRUST_200600_302600_NS6detail15normal_iteratorINS9_10device_ptrIlEEEEPS5_m14custom_greaterIlEEE10hipError_tT0_T1_T2_jT3_P12ihipStream_tbPNSt15iterator_traitsISJ_E10value_typeEPNSP_ISK_E10value_typeEPSL_NS1_7vsmem_tEENKUlT_SJ_SK_SL_E_clISE_PlSF_SF_EESI_SY_SJ_SK_SL_EUlSY_E_NS1_11comp_targetILNS1_3genE5ELNS1_11target_archE942ELNS1_3gpuE9ELNS1_3repE0EEENS1_48merge_mergepath_partition_config_static_selectorELNS0_4arch9wavefront6targetE1EEEvSK_: ; @_ZN7rocprim17ROCPRIM_400000_NS6detail17trampoline_kernelINS0_14default_configENS1_38merge_sort_block_merge_config_selectorIlNS0_10empty_typeEEEZZNS1_27merge_sort_block_merge_implIS3_N6thrust23THRUST_200600_302600_NS6detail15normal_iteratorINS9_10device_ptrIlEEEEPS5_m14custom_greaterIlEEE10hipError_tT0_T1_T2_jT3_P12ihipStream_tbPNSt15iterator_traitsISJ_E10value_typeEPNSP_ISK_E10value_typeEPSL_NS1_7vsmem_tEENKUlT_SJ_SK_SL_E_clISE_PlSF_SF_EESI_SY_SJ_SK_SL_EUlSY_E_NS1_11comp_targetILNS1_3genE5ELNS1_11target_archE942ELNS1_3gpuE9ELNS1_3repE0EEENS1_48merge_mergepath_partition_config_static_selectorELNS0_4arch9wavefront6targetE1EEEvSK_
; %bb.0:
	.section	.rodata,"a",@progbits
	.p2align	6, 0x0
	.amdhsa_kernel _ZN7rocprim17ROCPRIM_400000_NS6detail17trampoline_kernelINS0_14default_configENS1_38merge_sort_block_merge_config_selectorIlNS0_10empty_typeEEEZZNS1_27merge_sort_block_merge_implIS3_N6thrust23THRUST_200600_302600_NS6detail15normal_iteratorINS9_10device_ptrIlEEEEPS5_m14custom_greaterIlEEE10hipError_tT0_T1_T2_jT3_P12ihipStream_tbPNSt15iterator_traitsISJ_E10value_typeEPNSP_ISK_E10value_typeEPSL_NS1_7vsmem_tEENKUlT_SJ_SK_SL_E_clISE_PlSF_SF_EESI_SY_SJ_SK_SL_EUlSY_E_NS1_11comp_targetILNS1_3genE5ELNS1_11target_archE942ELNS1_3gpuE9ELNS1_3repE0EEENS1_48merge_mergepath_partition_config_static_selectorELNS0_4arch9wavefront6targetE1EEEvSK_
		.amdhsa_group_segment_fixed_size 0
		.amdhsa_private_segment_fixed_size 0
		.amdhsa_kernarg_size 48
		.amdhsa_user_sgpr_count 6
		.amdhsa_user_sgpr_private_segment_buffer 1
		.amdhsa_user_sgpr_dispatch_ptr 0
		.amdhsa_user_sgpr_queue_ptr 0
		.amdhsa_user_sgpr_kernarg_segment_ptr 1
		.amdhsa_user_sgpr_dispatch_id 0
		.amdhsa_user_sgpr_flat_scratch_init 0
		.amdhsa_user_sgpr_kernarg_preload_length 0
		.amdhsa_user_sgpr_kernarg_preload_offset 0
		.amdhsa_user_sgpr_private_segment_size 0
		.amdhsa_uses_dynamic_stack 0
		.amdhsa_system_sgpr_private_segment_wavefront_offset 0
		.amdhsa_system_sgpr_workgroup_id_x 1
		.amdhsa_system_sgpr_workgroup_id_y 0
		.amdhsa_system_sgpr_workgroup_id_z 0
		.amdhsa_system_sgpr_workgroup_info 0
		.amdhsa_system_vgpr_workitem_id 0
		.amdhsa_next_free_vgpr 1
		.amdhsa_next_free_sgpr 0
		.amdhsa_accum_offset 4
		.amdhsa_reserve_vcc 0
		.amdhsa_reserve_flat_scratch 0
		.amdhsa_float_round_mode_32 0
		.amdhsa_float_round_mode_16_64 0
		.amdhsa_float_denorm_mode_32 3
		.amdhsa_float_denorm_mode_16_64 3
		.amdhsa_dx10_clamp 1
		.amdhsa_ieee_mode 1
		.amdhsa_fp16_overflow 0
		.amdhsa_tg_split 0
		.amdhsa_exception_fp_ieee_invalid_op 0
		.amdhsa_exception_fp_denorm_src 0
		.amdhsa_exception_fp_ieee_div_zero 0
		.amdhsa_exception_fp_ieee_overflow 0
		.amdhsa_exception_fp_ieee_underflow 0
		.amdhsa_exception_fp_ieee_inexact 0
		.amdhsa_exception_int_div_zero 0
	.end_amdhsa_kernel
	.section	.text._ZN7rocprim17ROCPRIM_400000_NS6detail17trampoline_kernelINS0_14default_configENS1_38merge_sort_block_merge_config_selectorIlNS0_10empty_typeEEEZZNS1_27merge_sort_block_merge_implIS3_N6thrust23THRUST_200600_302600_NS6detail15normal_iteratorINS9_10device_ptrIlEEEEPS5_m14custom_greaterIlEEE10hipError_tT0_T1_T2_jT3_P12ihipStream_tbPNSt15iterator_traitsISJ_E10value_typeEPNSP_ISK_E10value_typeEPSL_NS1_7vsmem_tEENKUlT_SJ_SK_SL_E_clISE_PlSF_SF_EESI_SY_SJ_SK_SL_EUlSY_E_NS1_11comp_targetILNS1_3genE5ELNS1_11target_archE942ELNS1_3gpuE9ELNS1_3repE0EEENS1_48merge_mergepath_partition_config_static_selectorELNS0_4arch9wavefront6targetE1EEEvSK_,"axG",@progbits,_ZN7rocprim17ROCPRIM_400000_NS6detail17trampoline_kernelINS0_14default_configENS1_38merge_sort_block_merge_config_selectorIlNS0_10empty_typeEEEZZNS1_27merge_sort_block_merge_implIS3_N6thrust23THRUST_200600_302600_NS6detail15normal_iteratorINS9_10device_ptrIlEEEEPS5_m14custom_greaterIlEEE10hipError_tT0_T1_T2_jT3_P12ihipStream_tbPNSt15iterator_traitsISJ_E10value_typeEPNSP_ISK_E10value_typeEPSL_NS1_7vsmem_tEENKUlT_SJ_SK_SL_E_clISE_PlSF_SF_EESI_SY_SJ_SK_SL_EUlSY_E_NS1_11comp_targetILNS1_3genE5ELNS1_11target_archE942ELNS1_3gpuE9ELNS1_3repE0EEENS1_48merge_mergepath_partition_config_static_selectorELNS0_4arch9wavefront6targetE1EEEvSK_,comdat
.Lfunc_end3264:
	.size	_ZN7rocprim17ROCPRIM_400000_NS6detail17trampoline_kernelINS0_14default_configENS1_38merge_sort_block_merge_config_selectorIlNS0_10empty_typeEEEZZNS1_27merge_sort_block_merge_implIS3_N6thrust23THRUST_200600_302600_NS6detail15normal_iteratorINS9_10device_ptrIlEEEEPS5_m14custom_greaterIlEEE10hipError_tT0_T1_T2_jT3_P12ihipStream_tbPNSt15iterator_traitsISJ_E10value_typeEPNSP_ISK_E10value_typeEPSL_NS1_7vsmem_tEENKUlT_SJ_SK_SL_E_clISE_PlSF_SF_EESI_SY_SJ_SK_SL_EUlSY_E_NS1_11comp_targetILNS1_3genE5ELNS1_11target_archE942ELNS1_3gpuE9ELNS1_3repE0EEENS1_48merge_mergepath_partition_config_static_selectorELNS0_4arch9wavefront6targetE1EEEvSK_, .Lfunc_end3264-_ZN7rocprim17ROCPRIM_400000_NS6detail17trampoline_kernelINS0_14default_configENS1_38merge_sort_block_merge_config_selectorIlNS0_10empty_typeEEEZZNS1_27merge_sort_block_merge_implIS3_N6thrust23THRUST_200600_302600_NS6detail15normal_iteratorINS9_10device_ptrIlEEEEPS5_m14custom_greaterIlEEE10hipError_tT0_T1_T2_jT3_P12ihipStream_tbPNSt15iterator_traitsISJ_E10value_typeEPNSP_ISK_E10value_typeEPSL_NS1_7vsmem_tEENKUlT_SJ_SK_SL_E_clISE_PlSF_SF_EESI_SY_SJ_SK_SL_EUlSY_E_NS1_11comp_targetILNS1_3genE5ELNS1_11target_archE942ELNS1_3gpuE9ELNS1_3repE0EEENS1_48merge_mergepath_partition_config_static_selectorELNS0_4arch9wavefront6targetE1EEEvSK_
                                        ; -- End function
	.section	.AMDGPU.csdata,"",@progbits
; Kernel info:
; codeLenInByte = 0
; NumSgprs: 4
; NumVgprs: 0
; NumAgprs: 0
; TotalNumVgprs: 0
; ScratchSize: 0
; MemoryBound: 0
; FloatMode: 240
; IeeeMode: 1
; LDSByteSize: 0 bytes/workgroup (compile time only)
; SGPRBlocks: 0
; VGPRBlocks: 0
; NumSGPRsForWavesPerEU: 4
; NumVGPRsForWavesPerEU: 1
; AccumOffset: 4
; Occupancy: 8
; WaveLimiterHint : 0
; COMPUTE_PGM_RSRC2:SCRATCH_EN: 0
; COMPUTE_PGM_RSRC2:USER_SGPR: 6
; COMPUTE_PGM_RSRC2:TRAP_HANDLER: 0
; COMPUTE_PGM_RSRC2:TGID_X_EN: 1
; COMPUTE_PGM_RSRC2:TGID_Y_EN: 0
; COMPUTE_PGM_RSRC2:TGID_Z_EN: 0
; COMPUTE_PGM_RSRC2:TIDIG_COMP_CNT: 0
; COMPUTE_PGM_RSRC3_GFX90A:ACCUM_OFFSET: 0
; COMPUTE_PGM_RSRC3_GFX90A:TG_SPLIT: 0
	.section	.text._ZN7rocprim17ROCPRIM_400000_NS6detail17trampoline_kernelINS0_14default_configENS1_38merge_sort_block_merge_config_selectorIlNS0_10empty_typeEEEZZNS1_27merge_sort_block_merge_implIS3_N6thrust23THRUST_200600_302600_NS6detail15normal_iteratorINS9_10device_ptrIlEEEEPS5_m14custom_greaterIlEEE10hipError_tT0_T1_T2_jT3_P12ihipStream_tbPNSt15iterator_traitsISJ_E10value_typeEPNSP_ISK_E10value_typeEPSL_NS1_7vsmem_tEENKUlT_SJ_SK_SL_E_clISE_PlSF_SF_EESI_SY_SJ_SK_SL_EUlSY_E_NS1_11comp_targetILNS1_3genE4ELNS1_11target_archE910ELNS1_3gpuE8ELNS1_3repE0EEENS1_48merge_mergepath_partition_config_static_selectorELNS0_4arch9wavefront6targetE1EEEvSK_,"axG",@progbits,_ZN7rocprim17ROCPRIM_400000_NS6detail17trampoline_kernelINS0_14default_configENS1_38merge_sort_block_merge_config_selectorIlNS0_10empty_typeEEEZZNS1_27merge_sort_block_merge_implIS3_N6thrust23THRUST_200600_302600_NS6detail15normal_iteratorINS9_10device_ptrIlEEEEPS5_m14custom_greaterIlEEE10hipError_tT0_T1_T2_jT3_P12ihipStream_tbPNSt15iterator_traitsISJ_E10value_typeEPNSP_ISK_E10value_typeEPSL_NS1_7vsmem_tEENKUlT_SJ_SK_SL_E_clISE_PlSF_SF_EESI_SY_SJ_SK_SL_EUlSY_E_NS1_11comp_targetILNS1_3genE4ELNS1_11target_archE910ELNS1_3gpuE8ELNS1_3repE0EEENS1_48merge_mergepath_partition_config_static_selectorELNS0_4arch9wavefront6targetE1EEEvSK_,comdat
	.protected	_ZN7rocprim17ROCPRIM_400000_NS6detail17trampoline_kernelINS0_14default_configENS1_38merge_sort_block_merge_config_selectorIlNS0_10empty_typeEEEZZNS1_27merge_sort_block_merge_implIS3_N6thrust23THRUST_200600_302600_NS6detail15normal_iteratorINS9_10device_ptrIlEEEEPS5_m14custom_greaterIlEEE10hipError_tT0_T1_T2_jT3_P12ihipStream_tbPNSt15iterator_traitsISJ_E10value_typeEPNSP_ISK_E10value_typeEPSL_NS1_7vsmem_tEENKUlT_SJ_SK_SL_E_clISE_PlSF_SF_EESI_SY_SJ_SK_SL_EUlSY_E_NS1_11comp_targetILNS1_3genE4ELNS1_11target_archE910ELNS1_3gpuE8ELNS1_3repE0EEENS1_48merge_mergepath_partition_config_static_selectorELNS0_4arch9wavefront6targetE1EEEvSK_ ; -- Begin function _ZN7rocprim17ROCPRIM_400000_NS6detail17trampoline_kernelINS0_14default_configENS1_38merge_sort_block_merge_config_selectorIlNS0_10empty_typeEEEZZNS1_27merge_sort_block_merge_implIS3_N6thrust23THRUST_200600_302600_NS6detail15normal_iteratorINS9_10device_ptrIlEEEEPS5_m14custom_greaterIlEEE10hipError_tT0_T1_T2_jT3_P12ihipStream_tbPNSt15iterator_traitsISJ_E10value_typeEPNSP_ISK_E10value_typeEPSL_NS1_7vsmem_tEENKUlT_SJ_SK_SL_E_clISE_PlSF_SF_EESI_SY_SJ_SK_SL_EUlSY_E_NS1_11comp_targetILNS1_3genE4ELNS1_11target_archE910ELNS1_3gpuE8ELNS1_3repE0EEENS1_48merge_mergepath_partition_config_static_selectorELNS0_4arch9wavefront6targetE1EEEvSK_
	.globl	_ZN7rocprim17ROCPRIM_400000_NS6detail17trampoline_kernelINS0_14default_configENS1_38merge_sort_block_merge_config_selectorIlNS0_10empty_typeEEEZZNS1_27merge_sort_block_merge_implIS3_N6thrust23THRUST_200600_302600_NS6detail15normal_iteratorINS9_10device_ptrIlEEEEPS5_m14custom_greaterIlEEE10hipError_tT0_T1_T2_jT3_P12ihipStream_tbPNSt15iterator_traitsISJ_E10value_typeEPNSP_ISK_E10value_typeEPSL_NS1_7vsmem_tEENKUlT_SJ_SK_SL_E_clISE_PlSF_SF_EESI_SY_SJ_SK_SL_EUlSY_E_NS1_11comp_targetILNS1_3genE4ELNS1_11target_archE910ELNS1_3gpuE8ELNS1_3repE0EEENS1_48merge_mergepath_partition_config_static_selectorELNS0_4arch9wavefront6targetE1EEEvSK_
	.p2align	8
	.type	_ZN7rocprim17ROCPRIM_400000_NS6detail17trampoline_kernelINS0_14default_configENS1_38merge_sort_block_merge_config_selectorIlNS0_10empty_typeEEEZZNS1_27merge_sort_block_merge_implIS3_N6thrust23THRUST_200600_302600_NS6detail15normal_iteratorINS9_10device_ptrIlEEEEPS5_m14custom_greaterIlEEE10hipError_tT0_T1_T2_jT3_P12ihipStream_tbPNSt15iterator_traitsISJ_E10value_typeEPNSP_ISK_E10value_typeEPSL_NS1_7vsmem_tEENKUlT_SJ_SK_SL_E_clISE_PlSF_SF_EESI_SY_SJ_SK_SL_EUlSY_E_NS1_11comp_targetILNS1_3genE4ELNS1_11target_archE910ELNS1_3gpuE8ELNS1_3repE0EEENS1_48merge_mergepath_partition_config_static_selectorELNS0_4arch9wavefront6targetE1EEEvSK_,@function
_ZN7rocprim17ROCPRIM_400000_NS6detail17trampoline_kernelINS0_14default_configENS1_38merge_sort_block_merge_config_selectorIlNS0_10empty_typeEEEZZNS1_27merge_sort_block_merge_implIS3_N6thrust23THRUST_200600_302600_NS6detail15normal_iteratorINS9_10device_ptrIlEEEEPS5_m14custom_greaterIlEEE10hipError_tT0_T1_T2_jT3_P12ihipStream_tbPNSt15iterator_traitsISJ_E10value_typeEPNSP_ISK_E10value_typeEPSL_NS1_7vsmem_tEENKUlT_SJ_SK_SL_E_clISE_PlSF_SF_EESI_SY_SJ_SK_SL_EUlSY_E_NS1_11comp_targetILNS1_3genE4ELNS1_11target_archE910ELNS1_3gpuE8ELNS1_3repE0EEENS1_48merge_mergepath_partition_config_static_selectorELNS0_4arch9wavefront6targetE1EEEvSK_: ; @_ZN7rocprim17ROCPRIM_400000_NS6detail17trampoline_kernelINS0_14default_configENS1_38merge_sort_block_merge_config_selectorIlNS0_10empty_typeEEEZZNS1_27merge_sort_block_merge_implIS3_N6thrust23THRUST_200600_302600_NS6detail15normal_iteratorINS9_10device_ptrIlEEEEPS5_m14custom_greaterIlEEE10hipError_tT0_T1_T2_jT3_P12ihipStream_tbPNSt15iterator_traitsISJ_E10value_typeEPNSP_ISK_E10value_typeEPSL_NS1_7vsmem_tEENKUlT_SJ_SK_SL_E_clISE_PlSF_SF_EESI_SY_SJ_SK_SL_EUlSY_E_NS1_11comp_targetILNS1_3genE4ELNS1_11target_archE910ELNS1_3gpuE8ELNS1_3repE0EEENS1_48merge_mergepath_partition_config_static_selectorELNS0_4arch9wavefront6targetE1EEEvSK_
; %bb.0:
	s_load_dword s0, s[4:5], 0x0
	v_lshl_or_b32 v0, s6, 7, v0
	s_waitcnt lgkmcnt(0)
	v_cmp_gt_u32_e32 vcc, s0, v0
	s_and_saveexec_b64 s[0:1], vcc
	s_cbranch_execz .LBB3265_6
; %bb.1:
	s_load_dwordx4 s[0:3], s[4:5], 0x8
	s_load_dwordx2 s[6:7], s[4:5], 0x28
	v_mov_b32_e32 v5, 0
	s_waitcnt lgkmcnt(0)
	v_mov_b32_e32 v1, s0
	v_alignbit_b32 v1, s1, v1, 9
	v_and_b32_e32 v1, -2, v1
	v_add_u32_e32 v2, -1, v1
	v_sub_u32_e32 v1, 0, v1
	v_and_b32_e32 v4, v0, v1
	v_lshlrev_b64 v[8:9], 10, v[4:5]
	v_mov_b32_e32 v1, s3
	v_cmp_lt_u64_e32 vcc, s[2:3], v[8:9]
	v_mov_b32_e32 v4, s2
	v_and_b32_e32 v6, v2, v0
	v_cndmask_b32_e32 v3, v9, v1, vcc
	v_cndmask_b32_e32 v2, v8, v4, vcc
	v_mov_b32_e32 v7, s1
	v_add_co_u32_e32 v8, vcc, s0, v8
	v_addc_co_u32_e32 v9, vcc, v9, v7, vcc
	v_cmp_lt_u64_e32 vcc, s[2:3], v[8:9]
	v_cndmask_b32_e32 v8, v8, v4, vcc
	v_cndmask_b32_e32 v9, v9, v1, vcc
	v_add_co_u32_e32 v10, vcc, s0, v8
	v_addc_co_u32_e32 v11, vcc, v9, v7, vcc
	v_cmp_lt_u64_e32 vcc, s[2:3], v[10:11]
	v_cndmask_b32_e32 v12, v10, v4, vcc
	v_cndmask_b32_e32 v1, v11, v1, vcc
	v_sub_co_u32_e32 v10, vcc, v12, v2
	v_mov_b32_e32 v7, v5
	v_subb_co_u32_e32 v11, vcc, v1, v3, vcc
	v_lshlrev_b64 v[4:5], 10, v[6:7]
	v_cmp_lt_u64_e32 vcc, v[10:11], v[4:5]
	v_cndmask_b32_e32 v11, v5, v11, vcc
	v_cndmask_b32_e32 v10, v4, v10, vcc
	v_sub_co_u32_e32 v6, vcc, v8, v2
	v_subb_co_u32_e32 v7, vcc, v9, v3, vcc
	v_sub_co_u32_e32 v4, vcc, v8, v12
	v_subb_co_u32_e32 v1, vcc, v9, v1, vcc
	v_add_co_u32_e32 v4, vcc, v10, v4
	v_addc_co_u32_e32 v5, vcc, v11, v1, vcc
	v_cmp_gt_u64_e32 vcc, v[4:5], v[10:11]
	v_cndmask_b32_e64 v5, v5, 0, vcc
	v_cndmask_b32_e64 v4, v4, 0, vcc
	v_cmp_lt_u64_e32 vcc, v[10:11], v[6:7]
	v_cndmask_b32_e32 v7, v7, v11, vcc
	v_cndmask_b32_e32 v6, v6, v10, vcc
	v_cmp_lt_u64_e32 vcc, v[4:5], v[6:7]
	s_and_saveexec_b64 s[0:1], vcc
	s_cbranch_execz .LBB3265_5
; %bb.2:
	s_load_dwordx2 s[2:3], s[4:5], 0x18
	v_lshlrev_b64 v[12:13], 3, v[2:3]
	v_lshlrev_b64 v[8:9], 3, v[8:9]
	s_waitcnt lgkmcnt(0)
	v_mov_b32_e32 v14, s3
	v_add_co_u32_e32 v1, vcc, s2, v12
	v_addc_co_u32_e32 v12, vcc, v14, v13, vcc
	v_add_co_u32_e32 v13, vcc, s2, v8
	v_addc_co_u32_e32 v14, vcc, v14, v9, vcc
	v_lshlrev_b64 v[8:9], 3, v[10:11]
	v_add_co_u32_e32 v8, vcc, v13, v8
	v_addc_co_u32_e32 v9, vcc, v14, v9, vcc
	s_mov_b64 s[2:3], 0
.LBB3265_3:                             ; =>This Inner Loop Header: Depth=1
	v_add_co_u32_e32 v10, vcc, v6, v4
	v_addc_co_u32_e32 v11, vcc, v7, v5, vcc
	v_lshrrev_b64 v[10:11], 1, v[10:11]
	v_lshlrev_b64 v[16:17], 3, v[10:11]
	v_not_b32_e32 v15, v11
	v_not_b32_e32 v14, v10
	v_add_co_u32_e32 v16, vcc, v1, v16
	v_addc_co_u32_e32 v17, vcc, v12, v17, vcc
	v_lshlrev_b64 v[14:15], 3, v[14:15]
	v_add_co_u32_e32 v14, vcc, v8, v14
	v_addc_co_u32_e32 v15, vcc, v9, v15, vcc
	flat_load_dwordx2 v[18:19], v[16:17]
	flat_load_dwordx2 v[20:21], v[14:15]
	v_add_co_u32_e32 v13, vcc, 1, v10
	v_addc_co_u32_e32 v14, vcc, 0, v11, vcc
	s_waitcnt vmcnt(0) lgkmcnt(0)
	v_cmp_gt_i64_e32 vcc, v[18:19], v[20:21]
	v_cndmask_b32_e32 v7, v7, v11, vcc
	v_cndmask_b32_e32 v6, v6, v10, vcc
	;; [unrolled: 1-line block ×4, first 2 shown]
	v_cmp_ge_u64_e32 vcc, v[4:5], v[6:7]
	s_or_b64 s[2:3], vcc, s[2:3]
	s_andn2_b64 exec, exec, s[2:3]
	s_cbranch_execnz .LBB3265_3
; %bb.4:
	s_or_b64 exec, exec, s[2:3]
.LBB3265_5:
	s_or_b64 exec, exec, s[0:1]
	v_add_co_u32_e32 v2, vcc, v4, v2
	v_mov_b32_e32 v1, 0
	v_addc_co_u32_e32 v3, vcc, v5, v3, vcc
	v_lshlrev_b64 v[0:1], 3, v[0:1]
	v_mov_b32_e32 v4, s7
	v_add_co_u32_e32 v0, vcc, s6, v0
	v_addc_co_u32_e32 v1, vcc, v4, v1, vcc
	global_store_dwordx2 v[0:1], v[2:3], off
.LBB3265_6:
	s_endpgm
	.section	.rodata,"a",@progbits
	.p2align	6, 0x0
	.amdhsa_kernel _ZN7rocprim17ROCPRIM_400000_NS6detail17trampoline_kernelINS0_14default_configENS1_38merge_sort_block_merge_config_selectorIlNS0_10empty_typeEEEZZNS1_27merge_sort_block_merge_implIS3_N6thrust23THRUST_200600_302600_NS6detail15normal_iteratorINS9_10device_ptrIlEEEEPS5_m14custom_greaterIlEEE10hipError_tT0_T1_T2_jT3_P12ihipStream_tbPNSt15iterator_traitsISJ_E10value_typeEPNSP_ISK_E10value_typeEPSL_NS1_7vsmem_tEENKUlT_SJ_SK_SL_E_clISE_PlSF_SF_EESI_SY_SJ_SK_SL_EUlSY_E_NS1_11comp_targetILNS1_3genE4ELNS1_11target_archE910ELNS1_3gpuE8ELNS1_3repE0EEENS1_48merge_mergepath_partition_config_static_selectorELNS0_4arch9wavefront6targetE1EEEvSK_
		.amdhsa_group_segment_fixed_size 0
		.amdhsa_private_segment_fixed_size 0
		.amdhsa_kernarg_size 48
		.amdhsa_user_sgpr_count 6
		.amdhsa_user_sgpr_private_segment_buffer 1
		.amdhsa_user_sgpr_dispatch_ptr 0
		.amdhsa_user_sgpr_queue_ptr 0
		.amdhsa_user_sgpr_kernarg_segment_ptr 1
		.amdhsa_user_sgpr_dispatch_id 0
		.amdhsa_user_sgpr_flat_scratch_init 0
		.amdhsa_user_sgpr_kernarg_preload_length 0
		.amdhsa_user_sgpr_kernarg_preload_offset 0
		.amdhsa_user_sgpr_private_segment_size 0
		.amdhsa_uses_dynamic_stack 0
		.amdhsa_system_sgpr_private_segment_wavefront_offset 0
		.amdhsa_system_sgpr_workgroup_id_x 1
		.amdhsa_system_sgpr_workgroup_id_y 0
		.amdhsa_system_sgpr_workgroup_id_z 0
		.amdhsa_system_sgpr_workgroup_info 0
		.amdhsa_system_vgpr_workitem_id 0
		.amdhsa_next_free_vgpr 22
		.amdhsa_next_free_sgpr 8
		.amdhsa_accum_offset 24
		.amdhsa_reserve_vcc 1
		.amdhsa_reserve_flat_scratch 0
		.amdhsa_float_round_mode_32 0
		.amdhsa_float_round_mode_16_64 0
		.amdhsa_float_denorm_mode_32 3
		.amdhsa_float_denorm_mode_16_64 3
		.amdhsa_dx10_clamp 1
		.amdhsa_ieee_mode 1
		.amdhsa_fp16_overflow 0
		.amdhsa_tg_split 0
		.amdhsa_exception_fp_ieee_invalid_op 0
		.amdhsa_exception_fp_denorm_src 0
		.amdhsa_exception_fp_ieee_div_zero 0
		.amdhsa_exception_fp_ieee_overflow 0
		.amdhsa_exception_fp_ieee_underflow 0
		.amdhsa_exception_fp_ieee_inexact 0
		.amdhsa_exception_int_div_zero 0
	.end_amdhsa_kernel
	.section	.text._ZN7rocprim17ROCPRIM_400000_NS6detail17trampoline_kernelINS0_14default_configENS1_38merge_sort_block_merge_config_selectorIlNS0_10empty_typeEEEZZNS1_27merge_sort_block_merge_implIS3_N6thrust23THRUST_200600_302600_NS6detail15normal_iteratorINS9_10device_ptrIlEEEEPS5_m14custom_greaterIlEEE10hipError_tT0_T1_T2_jT3_P12ihipStream_tbPNSt15iterator_traitsISJ_E10value_typeEPNSP_ISK_E10value_typeEPSL_NS1_7vsmem_tEENKUlT_SJ_SK_SL_E_clISE_PlSF_SF_EESI_SY_SJ_SK_SL_EUlSY_E_NS1_11comp_targetILNS1_3genE4ELNS1_11target_archE910ELNS1_3gpuE8ELNS1_3repE0EEENS1_48merge_mergepath_partition_config_static_selectorELNS0_4arch9wavefront6targetE1EEEvSK_,"axG",@progbits,_ZN7rocprim17ROCPRIM_400000_NS6detail17trampoline_kernelINS0_14default_configENS1_38merge_sort_block_merge_config_selectorIlNS0_10empty_typeEEEZZNS1_27merge_sort_block_merge_implIS3_N6thrust23THRUST_200600_302600_NS6detail15normal_iteratorINS9_10device_ptrIlEEEEPS5_m14custom_greaterIlEEE10hipError_tT0_T1_T2_jT3_P12ihipStream_tbPNSt15iterator_traitsISJ_E10value_typeEPNSP_ISK_E10value_typeEPSL_NS1_7vsmem_tEENKUlT_SJ_SK_SL_E_clISE_PlSF_SF_EESI_SY_SJ_SK_SL_EUlSY_E_NS1_11comp_targetILNS1_3genE4ELNS1_11target_archE910ELNS1_3gpuE8ELNS1_3repE0EEENS1_48merge_mergepath_partition_config_static_selectorELNS0_4arch9wavefront6targetE1EEEvSK_,comdat
.Lfunc_end3265:
	.size	_ZN7rocprim17ROCPRIM_400000_NS6detail17trampoline_kernelINS0_14default_configENS1_38merge_sort_block_merge_config_selectorIlNS0_10empty_typeEEEZZNS1_27merge_sort_block_merge_implIS3_N6thrust23THRUST_200600_302600_NS6detail15normal_iteratorINS9_10device_ptrIlEEEEPS5_m14custom_greaterIlEEE10hipError_tT0_T1_T2_jT3_P12ihipStream_tbPNSt15iterator_traitsISJ_E10value_typeEPNSP_ISK_E10value_typeEPSL_NS1_7vsmem_tEENKUlT_SJ_SK_SL_E_clISE_PlSF_SF_EESI_SY_SJ_SK_SL_EUlSY_E_NS1_11comp_targetILNS1_3genE4ELNS1_11target_archE910ELNS1_3gpuE8ELNS1_3repE0EEENS1_48merge_mergepath_partition_config_static_selectorELNS0_4arch9wavefront6targetE1EEEvSK_, .Lfunc_end3265-_ZN7rocprim17ROCPRIM_400000_NS6detail17trampoline_kernelINS0_14default_configENS1_38merge_sort_block_merge_config_selectorIlNS0_10empty_typeEEEZZNS1_27merge_sort_block_merge_implIS3_N6thrust23THRUST_200600_302600_NS6detail15normal_iteratorINS9_10device_ptrIlEEEEPS5_m14custom_greaterIlEEE10hipError_tT0_T1_T2_jT3_P12ihipStream_tbPNSt15iterator_traitsISJ_E10value_typeEPNSP_ISK_E10value_typeEPSL_NS1_7vsmem_tEENKUlT_SJ_SK_SL_E_clISE_PlSF_SF_EESI_SY_SJ_SK_SL_EUlSY_E_NS1_11comp_targetILNS1_3genE4ELNS1_11target_archE910ELNS1_3gpuE8ELNS1_3repE0EEENS1_48merge_mergepath_partition_config_static_selectorELNS0_4arch9wavefront6targetE1EEEvSK_
                                        ; -- End function
	.section	.AMDGPU.csdata,"",@progbits
; Kernel info:
; codeLenInByte = 500
; NumSgprs: 12
; NumVgprs: 22
; NumAgprs: 0
; TotalNumVgprs: 22
; ScratchSize: 0
; MemoryBound: 0
; FloatMode: 240
; IeeeMode: 1
; LDSByteSize: 0 bytes/workgroup (compile time only)
; SGPRBlocks: 1
; VGPRBlocks: 2
; NumSGPRsForWavesPerEU: 12
; NumVGPRsForWavesPerEU: 22
; AccumOffset: 24
; Occupancy: 8
; WaveLimiterHint : 0
; COMPUTE_PGM_RSRC2:SCRATCH_EN: 0
; COMPUTE_PGM_RSRC2:USER_SGPR: 6
; COMPUTE_PGM_RSRC2:TRAP_HANDLER: 0
; COMPUTE_PGM_RSRC2:TGID_X_EN: 1
; COMPUTE_PGM_RSRC2:TGID_Y_EN: 0
; COMPUTE_PGM_RSRC2:TGID_Z_EN: 0
; COMPUTE_PGM_RSRC2:TIDIG_COMP_CNT: 0
; COMPUTE_PGM_RSRC3_GFX90A:ACCUM_OFFSET: 5
; COMPUTE_PGM_RSRC3_GFX90A:TG_SPLIT: 0
	.section	.text._ZN7rocprim17ROCPRIM_400000_NS6detail17trampoline_kernelINS0_14default_configENS1_38merge_sort_block_merge_config_selectorIlNS0_10empty_typeEEEZZNS1_27merge_sort_block_merge_implIS3_N6thrust23THRUST_200600_302600_NS6detail15normal_iteratorINS9_10device_ptrIlEEEEPS5_m14custom_greaterIlEEE10hipError_tT0_T1_T2_jT3_P12ihipStream_tbPNSt15iterator_traitsISJ_E10value_typeEPNSP_ISK_E10value_typeEPSL_NS1_7vsmem_tEENKUlT_SJ_SK_SL_E_clISE_PlSF_SF_EESI_SY_SJ_SK_SL_EUlSY_E_NS1_11comp_targetILNS1_3genE3ELNS1_11target_archE908ELNS1_3gpuE7ELNS1_3repE0EEENS1_48merge_mergepath_partition_config_static_selectorELNS0_4arch9wavefront6targetE1EEEvSK_,"axG",@progbits,_ZN7rocprim17ROCPRIM_400000_NS6detail17trampoline_kernelINS0_14default_configENS1_38merge_sort_block_merge_config_selectorIlNS0_10empty_typeEEEZZNS1_27merge_sort_block_merge_implIS3_N6thrust23THRUST_200600_302600_NS6detail15normal_iteratorINS9_10device_ptrIlEEEEPS5_m14custom_greaterIlEEE10hipError_tT0_T1_T2_jT3_P12ihipStream_tbPNSt15iterator_traitsISJ_E10value_typeEPNSP_ISK_E10value_typeEPSL_NS1_7vsmem_tEENKUlT_SJ_SK_SL_E_clISE_PlSF_SF_EESI_SY_SJ_SK_SL_EUlSY_E_NS1_11comp_targetILNS1_3genE3ELNS1_11target_archE908ELNS1_3gpuE7ELNS1_3repE0EEENS1_48merge_mergepath_partition_config_static_selectorELNS0_4arch9wavefront6targetE1EEEvSK_,comdat
	.protected	_ZN7rocprim17ROCPRIM_400000_NS6detail17trampoline_kernelINS0_14default_configENS1_38merge_sort_block_merge_config_selectorIlNS0_10empty_typeEEEZZNS1_27merge_sort_block_merge_implIS3_N6thrust23THRUST_200600_302600_NS6detail15normal_iteratorINS9_10device_ptrIlEEEEPS5_m14custom_greaterIlEEE10hipError_tT0_T1_T2_jT3_P12ihipStream_tbPNSt15iterator_traitsISJ_E10value_typeEPNSP_ISK_E10value_typeEPSL_NS1_7vsmem_tEENKUlT_SJ_SK_SL_E_clISE_PlSF_SF_EESI_SY_SJ_SK_SL_EUlSY_E_NS1_11comp_targetILNS1_3genE3ELNS1_11target_archE908ELNS1_3gpuE7ELNS1_3repE0EEENS1_48merge_mergepath_partition_config_static_selectorELNS0_4arch9wavefront6targetE1EEEvSK_ ; -- Begin function _ZN7rocprim17ROCPRIM_400000_NS6detail17trampoline_kernelINS0_14default_configENS1_38merge_sort_block_merge_config_selectorIlNS0_10empty_typeEEEZZNS1_27merge_sort_block_merge_implIS3_N6thrust23THRUST_200600_302600_NS6detail15normal_iteratorINS9_10device_ptrIlEEEEPS5_m14custom_greaterIlEEE10hipError_tT0_T1_T2_jT3_P12ihipStream_tbPNSt15iterator_traitsISJ_E10value_typeEPNSP_ISK_E10value_typeEPSL_NS1_7vsmem_tEENKUlT_SJ_SK_SL_E_clISE_PlSF_SF_EESI_SY_SJ_SK_SL_EUlSY_E_NS1_11comp_targetILNS1_3genE3ELNS1_11target_archE908ELNS1_3gpuE7ELNS1_3repE0EEENS1_48merge_mergepath_partition_config_static_selectorELNS0_4arch9wavefront6targetE1EEEvSK_
	.globl	_ZN7rocprim17ROCPRIM_400000_NS6detail17trampoline_kernelINS0_14default_configENS1_38merge_sort_block_merge_config_selectorIlNS0_10empty_typeEEEZZNS1_27merge_sort_block_merge_implIS3_N6thrust23THRUST_200600_302600_NS6detail15normal_iteratorINS9_10device_ptrIlEEEEPS5_m14custom_greaterIlEEE10hipError_tT0_T1_T2_jT3_P12ihipStream_tbPNSt15iterator_traitsISJ_E10value_typeEPNSP_ISK_E10value_typeEPSL_NS1_7vsmem_tEENKUlT_SJ_SK_SL_E_clISE_PlSF_SF_EESI_SY_SJ_SK_SL_EUlSY_E_NS1_11comp_targetILNS1_3genE3ELNS1_11target_archE908ELNS1_3gpuE7ELNS1_3repE0EEENS1_48merge_mergepath_partition_config_static_selectorELNS0_4arch9wavefront6targetE1EEEvSK_
	.p2align	8
	.type	_ZN7rocprim17ROCPRIM_400000_NS6detail17trampoline_kernelINS0_14default_configENS1_38merge_sort_block_merge_config_selectorIlNS0_10empty_typeEEEZZNS1_27merge_sort_block_merge_implIS3_N6thrust23THRUST_200600_302600_NS6detail15normal_iteratorINS9_10device_ptrIlEEEEPS5_m14custom_greaterIlEEE10hipError_tT0_T1_T2_jT3_P12ihipStream_tbPNSt15iterator_traitsISJ_E10value_typeEPNSP_ISK_E10value_typeEPSL_NS1_7vsmem_tEENKUlT_SJ_SK_SL_E_clISE_PlSF_SF_EESI_SY_SJ_SK_SL_EUlSY_E_NS1_11comp_targetILNS1_3genE3ELNS1_11target_archE908ELNS1_3gpuE7ELNS1_3repE0EEENS1_48merge_mergepath_partition_config_static_selectorELNS0_4arch9wavefront6targetE1EEEvSK_,@function
_ZN7rocprim17ROCPRIM_400000_NS6detail17trampoline_kernelINS0_14default_configENS1_38merge_sort_block_merge_config_selectorIlNS0_10empty_typeEEEZZNS1_27merge_sort_block_merge_implIS3_N6thrust23THRUST_200600_302600_NS6detail15normal_iteratorINS9_10device_ptrIlEEEEPS5_m14custom_greaterIlEEE10hipError_tT0_T1_T2_jT3_P12ihipStream_tbPNSt15iterator_traitsISJ_E10value_typeEPNSP_ISK_E10value_typeEPSL_NS1_7vsmem_tEENKUlT_SJ_SK_SL_E_clISE_PlSF_SF_EESI_SY_SJ_SK_SL_EUlSY_E_NS1_11comp_targetILNS1_3genE3ELNS1_11target_archE908ELNS1_3gpuE7ELNS1_3repE0EEENS1_48merge_mergepath_partition_config_static_selectorELNS0_4arch9wavefront6targetE1EEEvSK_: ; @_ZN7rocprim17ROCPRIM_400000_NS6detail17trampoline_kernelINS0_14default_configENS1_38merge_sort_block_merge_config_selectorIlNS0_10empty_typeEEEZZNS1_27merge_sort_block_merge_implIS3_N6thrust23THRUST_200600_302600_NS6detail15normal_iteratorINS9_10device_ptrIlEEEEPS5_m14custom_greaterIlEEE10hipError_tT0_T1_T2_jT3_P12ihipStream_tbPNSt15iterator_traitsISJ_E10value_typeEPNSP_ISK_E10value_typeEPSL_NS1_7vsmem_tEENKUlT_SJ_SK_SL_E_clISE_PlSF_SF_EESI_SY_SJ_SK_SL_EUlSY_E_NS1_11comp_targetILNS1_3genE3ELNS1_11target_archE908ELNS1_3gpuE7ELNS1_3repE0EEENS1_48merge_mergepath_partition_config_static_selectorELNS0_4arch9wavefront6targetE1EEEvSK_
; %bb.0:
	.section	.rodata,"a",@progbits
	.p2align	6, 0x0
	.amdhsa_kernel _ZN7rocprim17ROCPRIM_400000_NS6detail17trampoline_kernelINS0_14default_configENS1_38merge_sort_block_merge_config_selectorIlNS0_10empty_typeEEEZZNS1_27merge_sort_block_merge_implIS3_N6thrust23THRUST_200600_302600_NS6detail15normal_iteratorINS9_10device_ptrIlEEEEPS5_m14custom_greaterIlEEE10hipError_tT0_T1_T2_jT3_P12ihipStream_tbPNSt15iterator_traitsISJ_E10value_typeEPNSP_ISK_E10value_typeEPSL_NS1_7vsmem_tEENKUlT_SJ_SK_SL_E_clISE_PlSF_SF_EESI_SY_SJ_SK_SL_EUlSY_E_NS1_11comp_targetILNS1_3genE3ELNS1_11target_archE908ELNS1_3gpuE7ELNS1_3repE0EEENS1_48merge_mergepath_partition_config_static_selectorELNS0_4arch9wavefront6targetE1EEEvSK_
		.amdhsa_group_segment_fixed_size 0
		.amdhsa_private_segment_fixed_size 0
		.amdhsa_kernarg_size 48
		.amdhsa_user_sgpr_count 6
		.amdhsa_user_sgpr_private_segment_buffer 1
		.amdhsa_user_sgpr_dispatch_ptr 0
		.amdhsa_user_sgpr_queue_ptr 0
		.amdhsa_user_sgpr_kernarg_segment_ptr 1
		.amdhsa_user_sgpr_dispatch_id 0
		.amdhsa_user_sgpr_flat_scratch_init 0
		.amdhsa_user_sgpr_kernarg_preload_length 0
		.amdhsa_user_sgpr_kernarg_preload_offset 0
		.amdhsa_user_sgpr_private_segment_size 0
		.amdhsa_uses_dynamic_stack 0
		.amdhsa_system_sgpr_private_segment_wavefront_offset 0
		.amdhsa_system_sgpr_workgroup_id_x 1
		.amdhsa_system_sgpr_workgroup_id_y 0
		.amdhsa_system_sgpr_workgroup_id_z 0
		.amdhsa_system_sgpr_workgroup_info 0
		.amdhsa_system_vgpr_workitem_id 0
		.amdhsa_next_free_vgpr 1
		.amdhsa_next_free_sgpr 0
		.amdhsa_accum_offset 4
		.amdhsa_reserve_vcc 0
		.amdhsa_reserve_flat_scratch 0
		.amdhsa_float_round_mode_32 0
		.amdhsa_float_round_mode_16_64 0
		.amdhsa_float_denorm_mode_32 3
		.amdhsa_float_denorm_mode_16_64 3
		.amdhsa_dx10_clamp 1
		.amdhsa_ieee_mode 1
		.amdhsa_fp16_overflow 0
		.amdhsa_tg_split 0
		.amdhsa_exception_fp_ieee_invalid_op 0
		.amdhsa_exception_fp_denorm_src 0
		.amdhsa_exception_fp_ieee_div_zero 0
		.amdhsa_exception_fp_ieee_overflow 0
		.amdhsa_exception_fp_ieee_underflow 0
		.amdhsa_exception_fp_ieee_inexact 0
		.amdhsa_exception_int_div_zero 0
	.end_amdhsa_kernel
	.section	.text._ZN7rocprim17ROCPRIM_400000_NS6detail17trampoline_kernelINS0_14default_configENS1_38merge_sort_block_merge_config_selectorIlNS0_10empty_typeEEEZZNS1_27merge_sort_block_merge_implIS3_N6thrust23THRUST_200600_302600_NS6detail15normal_iteratorINS9_10device_ptrIlEEEEPS5_m14custom_greaterIlEEE10hipError_tT0_T1_T2_jT3_P12ihipStream_tbPNSt15iterator_traitsISJ_E10value_typeEPNSP_ISK_E10value_typeEPSL_NS1_7vsmem_tEENKUlT_SJ_SK_SL_E_clISE_PlSF_SF_EESI_SY_SJ_SK_SL_EUlSY_E_NS1_11comp_targetILNS1_3genE3ELNS1_11target_archE908ELNS1_3gpuE7ELNS1_3repE0EEENS1_48merge_mergepath_partition_config_static_selectorELNS0_4arch9wavefront6targetE1EEEvSK_,"axG",@progbits,_ZN7rocprim17ROCPRIM_400000_NS6detail17trampoline_kernelINS0_14default_configENS1_38merge_sort_block_merge_config_selectorIlNS0_10empty_typeEEEZZNS1_27merge_sort_block_merge_implIS3_N6thrust23THRUST_200600_302600_NS6detail15normal_iteratorINS9_10device_ptrIlEEEEPS5_m14custom_greaterIlEEE10hipError_tT0_T1_T2_jT3_P12ihipStream_tbPNSt15iterator_traitsISJ_E10value_typeEPNSP_ISK_E10value_typeEPSL_NS1_7vsmem_tEENKUlT_SJ_SK_SL_E_clISE_PlSF_SF_EESI_SY_SJ_SK_SL_EUlSY_E_NS1_11comp_targetILNS1_3genE3ELNS1_11target_archE908ELNS1_3gpuE7ELNS1_3repE0EEENS1_48merge_mergepath_partition_config_static_selectorELNS0_4arch9wavefront6targetE1EEEvSK_,comdat
.Lfunc_end3266:
	.size	_ZN7rocprim17ROCPRIM_400000_NS6detail17trampoline_kernelINS0_14default_configENS1_38merge_sort_block_merge_config_selectorIlNS0_10empty_typeEEEZZNS1_27merge_sort_block_merge_implIS3_N6thrust23THRUST_200600_302600_NS6detail15normal_iteratorINS9_10device_ptrIlEEEEPS5_m14custom_greaterIlEEE10hipError_tT0_T1_T2_jT3_P12ihipStream_tbPNSt15iterator_traitsISJ_E10value_typeEPNSP_ISK_E10value_typeEPSL_NS1_7vsmem_tEENKUlT_SJ_SK_SL_E_clISE_PlSF_SF_EESI_SY_SJ_SK_SL_EUlSY_E_NS1_11comp_targetILNS1_3genE3ELNS1_11target_archE908ELNS1_3gpuE7ELNS1_3repE0EEENS1_48merge_mergepath_partition_config_static_selectorELNS0_4arch9wavefront6targetE1EEEvSK_, .Lfunc_end3266-_ZN7rocprim17ROCPRIM_400000_NS6detail17trampoline_kernelINS0_14default_configENS1_38merge_sort_block_merge_config_selectorIlNS0_10empty_typeEEEZZNS1_27merge_sort_block_merge_implIS3_N6thrust23THRUST_200600_302600_NS6detail15normal_iteratorINS9_10device_ptrIlEEEEPS5_m14custom_greaterIlEEE10hipError_tT0_T1_T2_jT3_P12ihipStream_tbPNSt15iterator_traitsISJ_E10value_typeEPNSP_ISK_E10value_typeEPSL_NS1_7vsmem_tEENKUlT_SJ_SK_SL_E_clISE_PlSF_SF_EESI_SY_SJ_SK_SL_EUlSY_E_NS1_11comp_targetILNS1_3genE3ELNS1_11target_archE908ELNS1_3gpuE7ELNS1_3repE0EEENS1_48merge_mergepath_partition_config_static_selectorELNS0_4arch9wavefront6targetE1EEEvSK_
                                        ; -- End function
	.section	.AMDGPU.csdata,"",@progbits
; Kernel info:
; codeLenInByte = 0
; NumSgprs: 4
; NumVgprs: 0
; NumAgprs: 0
; TotalNumVgprs: 0
; ScratchSize: 0
; MemoryBound: 0
; FloatMode: 240
; IeeeMode: 1
; LDSByteSize: 0 bytes/workgroup (compile time only)
; SGPRBlocks: 0
; VGPRBlocks: 0
; NumSGPRsForWavesPerEU: 4
; NumVGPRsForWavesPerEU: 1
; AccumOffset: 4
; Occupancy: 8
; WaveLimiterHint : 0
; COMPUTE_PGM_RSRC2:SCRATCH_EN: 0
; COMPUTE_PGM_RSRC2:USER_SGPR: 6
; COMPUTE_PGM_RSRC2:TRAP_HANDLER: 0
; COMPUTE_PGM_RSRC2:TGID_X_EN: 1
; COMPUTE_PGM_RSRC2:TGID_Y_EN: 0
; COMPUTE_PGM_RSRC2:TGID_Z_EN: 0
; COMPUTE_PGM_RSRC2:TIDIG_COMP_CNT: 0
; COMPUTE_PGM_RSRC3_GFX90A:ACCUM_OFFSET: 0
; COMPUTE_PGM_RSRC3_GFX90A:TG_SPLIT: 0
	.section	.text._ZN7rocprim17ROCPRIM_400000_NS6detail17trampoline_kernelINS0_14default_configENS1_38merge_sort_block_merge_config_selectorIlNS0_10empty_typeEEEZZNS1_27merge_sort_block_merge_implIS3_N6thrust23THRUST_200600_302600_NS6detail15normal_iteratorINS9_10device_ptrIlEEEEPS5_m14custom_greaterIlEEE10hipError_tT0_T1_T2_jT3_P12ihipStream_tbPNSt15iterator_traitsISJ_E10value_typeEPNSP_ISK_E10value_typeEPSL_NS1_7vsmem_tEENKUlT_SJ_SK_SL_E_clISE_PlSF_SF_EESI_SY_SJ_SK_SL_EUlSY_E_NS1_11comp_targetILNS1_3genE2ELNS1_11target_archE906ELNS1_3gpuE6ELNS1_3repE0EEENS1_48merge_mergepath_partition_config_static_selectorELNS0_4arch9wavefront6targetE1EEEvSK_,"axG",@progbits,_ZN7rocprim17ROCPRIM_400000_NS6detail17trampoline_kernelINS0_14default_configENS1_38merge_sort_block_merge_config_selectorIlNS0_10empty_typeEEEZZNS1_27merge_sort_block_merge_implIS3_N6thrust23THRUST_200600_302600_NS6detail15normal_iteratorINS9_10device_ptrIlEEEEPS5_m14custom_greaterIlEEE10hipError_tT0_T1_T2_jT3_P12ihipStream_tbPNSt15iterator_traitsISJ_E10value_typeEPNSP_ISK_E10value_typeEPSL_NS1_7vsmem_tEENKUlT_SJ_SK_SL_E_clISE_PlSF_SF_EESI_SY_SJ_SK_SL_EUlSY_E_NS1_11comp_targetILNS1_3genE2ELNS1_11target_archE906ELNS1_3gpuE6ELNS1_3repE0EEENS1_48merge_mergepath_partition_config_static_selectorELNS0_4arch9wavefront6targetE1EEEvSK_,comdat
	.protected	_ZN7rocprim17ROCPRIM_400000_NS6detail17trampoline_kernelINS0_14default_configENS1_38merge_sort_block_merge_config_selectorIlNS0_10empty_typeEEEZZNS1_27merge_sort_block_merge_implIS3_N6thrust23THRUST_200600_302600_NS6detail15normal_iteratorINS9_10device_ptrIlEEEEPS5_m14custom_greaterIlEEE10hipError_tT0_T1_T2_jT3_P12ihipStream_tbPNSt15iterator_traitsISJ_E10value_typeEPNSP_ISK_E10value_typeEPSL_NS1_7vsmem_tEENKUlT_SJ_SK_SL_E_clISE_PlSF_SF_EESI_SY_SJ_SK_SL_EUlSY_E_NS1_11comp_targetILNS1_3genE2ELNS1_11target_archE906ELNS1_3gpuE6ELNS1_3repE0EEENS1_48merge_mergepath_partition_config_static_selectorELNS0_4arch9wavefront6targetE1EEEvSK_ ; -- Begin function _ZN7rocprim17ROCPRIM_400000_NS6detail17trampoline_kernelINS0_14default_configENS1_38merge_sort_block_merge_config_selectorIlNS0_10empty_typeEEEZZNS1_27merge_sort_block_merge_implIS3_N6thrust23THRUST_200600_302600_NS6detail15normal_iteratorINS9_10device_ptrIlEEEEPS5_m14custom_greaterIlEEE10hipError_tT0_T1_T2_jT3_P12ihipStream_tbPNSt15iterator_traitsISJ_E10value_typeEPNSP_ISK_E10value_typeEPSL_NS1_7vsmem_tEENKUlT_SJ_SK_SL_E_clISE_PlSF_SF_EESI_SY_SJ_SK_SL_EUlSY_E_NS1_11comp_targetILNS1_3genE2ELNS1_11target_archE906ELNS1_3gpuE6ELNS1_3repE0EEENS1_48merge_mergepath_partition_config_static_selectorELNS0_4arch9wavefront6targetE1EEEvSK_
	.globl	_ZN7rocprim17ROCPRIM_400000_NS6detail17trampoline_kernelINS0_14default_configENS1_38merge_sort_block_merge_config_selectorIlNS0_10empty_typeEEEZZNS1_27merge_sort_block_merge_implIS3_N6thrust23THRUST_200600_302600_NS6detail15normal_iteratorINS9_10device_ptrIlEEEEPS5_m14custom_greaterIlEEE10hipError_tT0_T1_T2_jT3_P12ihipStream_tbPNSt15iterator_traitsISJ_E10value_typeEPNSP_ISK_E10value_typeEPSL_NS1_7vsmem_tEENKUlT_SJ_SK_SL_E_clISE_PlSF_SF_EESI_SY_SJ_SK_SL_EUlSY_E_NS1_11comp_targetILNS1_3genE2ELNS1_11target_archE906ELNS1_3gpuE6ELNS1_3repE0EEENS1_48merge_mergepath_partition_config_static_selectorELNS0_4arch9wavefront6targetE1EEEvSK_
	.p2align	8
	.type	_ZN7rocprim17ROCPRIM_400000_NS6detail17trampoline_kernelINS0_14default_configENS1_38merge_sort_block_merge_config_selectorIlNS0_10empty_typeEEEZZNS1_27merge_sort_block_merge_implIS3_N6thrust23THRUST_200600_302600_NS6detail15normal_iteratorINS9_10device_ptrIlEEEEPS5_m14custom_greaterIlEEE10hipError_tT0_T1_T2_jT3_P12ihipStream_tbPNSt15iterator_traitsISJ_E10value_typeEPNSP_ISK_E10value_typeEPSL_NS1_7vsmem_tEENKUlT_SJ_SK_SL_E_clISE_PlSF_SF_EESI_SY_SJ_SK_SL_EUlSY_E_NS1_11comp_targetILNS1_3genE2ELNS1_11target_archE906ELNS1_3gpuE6ELNS1_3repE0EEENS1_48merge_mergepath_partition_config_static_selectorELNS0_4arch9wavefront6targetE1EEEvSK_,@function
_ZN7rocprim17ROCPRIM_400000_NS6detail17trampoline_kernelINS0_14default_configENS1_38merge_sort_block_merge_config_selectorIlNS0_10empty_typeEEEZZNS1_27merge_sort_block_merge_implIS3_N6thrust23THRUST_200600_302600_NS6detail15normal_iteratorINS9_10device_ptrIlEEEEPS5_m14custom_greaterIlEEE10hipError_tT0_T1_T2_jT3_P12ihipStream_tbPNSt15iterator_traitsISJ_E10value_typeEPNSP_ISK_E10value_typeEPSL_NS1_7vsmem_tEENKUlT_SJ_SK_SL_E_clISE_PlSF_SF_EESI_SY_SJ_SK_SL_EUlSY_E_NS1_11comp_targetILNS1_3genE2ELNS1_11target_archE906ELNS1_3gpuE6ELNS1_3repE0EEENS1_48merge_mergepath_partition_config_static_selectorELNS0_4arch9wavefront6targetE1EEEvSK_: ; @_ZN7rocprim17ROCPRIM_400000_NS6detail17trampoline_kernelINS0_14default_configENS1_38merge_sort_block_merge_config_selectorIlNS0_10empty_typeEEEZZNS1_27merge_sort_block_merge_implIS3_N6thrust23THRUST_200600_302600_NS6detail15normal_iteratorINS9_10device_ptrIlEEEEPS5_m14custom_greaterIlEEE10hipError_tT0_T1_T2_jT3_P12ihipStream_tbPNSt15iterator_traitsISJ_E10value_typeEPNSP_ISK_E10value_typeEPSL_NS1_7vsmem_tEENKUlT_SJ_SK_SL_E_clISE_PlSF_SF_EESI_SY_SJ_SK_SL_EUlSY_E_NS1_11comp_targetILNS1_3genE2ELNS1_11target_archE906ELNS1_3gpuE6ELNS1_3repE0EEENS1_48merge_mergepath_partition_config_static_selectorELNS0_4arch9wavefront6targetE1EEEvSK_
; %bb.0:
	.section	.rodata,"a",@progbits
	.p2align	6, 0x0
	.amdhsa_kernel _ZN7rocprim17ROCPRIM_400000_NS6detail17trampoline_kernelINS0_14default_configENS1_38merge_sort_block_merge_config_selectorIlNS0_10empty_typeEEEZZNS1_27merge_sort_block_merge_implIS3_N6thrust23THRUST_200600_302600_NS6detail15normal_iteratorINS9_10device_ptrIlEEEEPS5_m14custom_greaterIlEEE10hipError_tT0_T1_T2_jT3_P12ihipStream_tbPNSt15iterator_traitsISJ_E10value_typeEPNSP_ISK_E10value_typeEPSL_NS1_7vsmem_tEENKUlT_SJ_SK_SL_E_clISE_PlSF_SF_EESI_SY_SJ_SK_SL_EUlSY_E_NS1_11comp_targetILNS1_3genE2ELNS1_11target_archE906ELNS1_3gpuE6ELNS1_3repE0EEENS1_48merge_mergepath_partition_config_static_selectorELNS0_4arch9wavefront6targetE1EEEvSK_
		.amdhsa_group_segment_fixed_size 0
		.amdhsa_private_segment_fixed_size 0
		.amdhsa_kernarg_size 48
		.amdhsa_user_sgpr_count 6
		.amdhsa_user_sgpr_private_segment_buffer 1
		.amdhsa_user_sgpr_dispatch_ptr 0
		.amdhsa_user_sgpr_queue_ptr 0
		.amdhsa_user_sgpr_kernarg_segment_ptr 1
		.amdhsa_user_sgpr_dispatch_id 0
		.amdhsa_user_sgpr_flat_scratch_init 0
		.amdhsa_user_sgpr_kernarg_preload_length 0
		.amdhsa_user_sgpr_kernarg_preload_offset 0
		.amdhsa_user_sgpr_private_segment_size 0
		.amdhsa_uses_dynamic_stack 0
		.amdhsa_system_sgpr_private_segment_wavefront_offset 0
		.amdhsa_system_sgpr_workgroup_id_x 1
		.amdhsa_system_sgpr_workgroup_id_y 0
		.amdhsa_system_sgpr_workgroup_id_z 0
		.amdhsa_system_sgpr_workgroup_info 0
		.amdhsa_system_vgpr_workitem_id 0
		.amdhsa_next_free_vgpr 1
		.amdhsa_next_free_sgpr 0
		.amdhsa_accum_offset 4
		.amdhsa_reserve_vcc 0
		.amdhsa_reserve_flat_scratch 0
		.amdhsa_float_round_mode_32 0
		.amdhsa_float_round_mode_16_64 0
		.amdhsa_float_denorm_mode_32 3
		.amdhsa_float_denorm_mode_16_64 3
		.amdhsa_dx10_clamp 1
		.amdhsa_ieee_mode 1
		.amdhsa_fp16_overflow 0
		.amdhsa_tg_split 0
		.amdhsa_exception_fp_ieee_invalid_op 0
		.amdhsa_exception_fp_denorm_src 0
		.amdhsa_exception_fp_ieee_div_zero 0
		.amdhsa_exception_fp_ieee_overflow 0
		.amdhsa_exception_fp_ieee_underflow 0
		.amdhsa_exception_fp_ieee_inexact 0
		.amdhsa_exception_int_div_zero 0
	.end_amdhsa_kernel
	.section	.text._ZN7rocprim17ROCPRIM_400000_NS6detail17trampoline_kernelINS0_14default_configENS1_38merge_sort_block_merge_config_selectorIlNS0_10empty_typeEEEZZNS1_27merge_sort_block_merge_implIS3_N6thrust23THRUST_200600_302600_NS6detail15normal_iteratorINS9_10device_ptrIlEEEEPS5_m14custom_greaterIlEEE10hipError_tT0_T1_T2_jT3_P12ihipStream_tbPNSt15iterator_traitsISJ_E10value_typeEPNSP_ISK_E10value_typeEPSL_NS1_7vsmem_tEENKUlT_SJ_SK_SL_E_clISE_PlSF_SF_EESI_SY_SJ_SK_SL_EUlSY_E_NS1_11comp_targetILNS1_3genE2ELNS1_11target_archE906ELNS1_3gpuE6ELNS1_3repE0EEENS1_48merge_mergepath_partition_config_static_selectorELNS0_4arch9wavefront6targetE1EEEvSK_,"axG",@progbits,_ZN7rocprim17ROCPRIM_400000_NS6detail17trampoline_kernelINS0_14default_configENS1_38merge_sort_block_merge_config_selectorIlNS0_10empty_typeEEEZZNS1_27merge_sort_block_merge_implIS3_N6thrust23THRUST_200600_302600_NS6detail15normal_iteratorINS9_10device_ptrIlEEEEPS5_m14custom_greaterIlEEE10hipError_tT0_T1_T2_jT3_P12ihipStream_tbPNSt15iterator_traitsISJ_E10value_typeEPNSP_ISK_E10value_typeEPSL_NS1_7vsmem_tEENKUlT_SJ_SK_SL_E_clISE_PlSF_SF_EESI_SY_SJ_SK_SL_EUlSY_E_NS1_11comp_targetILNS1_3genE2ELNS1_11target_archE906ELNS1_3gpuE6ELNS1_3repE0EEENS1_48merge_mergepath_partition_config_static_selectorELNS0_4arch9wavefront6targetE1EEEvSK_,comdat
.Lfunc_end3267:
	.size	_ZN7rocprim17ROCPRIM_400000_NS6detail17trampoline_kernelINS0_14default_configENS1_38merge_sort_block_merge_config_selectorIlNS0_10empty_typeEEEZZNS1_27merge_sort_block_merge_implIS3_N6thrust23THRUST_200600_302600_NS6detail15normal_iteratorINS9_10device_ptrIlEEEEPS5_m14custom_greaterIlEEE10hipError_tT0_T1_T2_jT3_P12ihipStream_tbPNSt15iterator_traitsISJ_E10value_typeEPNSP_ISK_E10value_typeEPSL_NS1_7vsmem_tEENKUlT_SJ_SK_SL_E_clISE_PlSF_SF_EESI_SY_SJ_SK_SL_EUlSY_E_NS1_11comp_targetILNS1_3genE2ELNS1_11target_archE906ELNS1_3gpuE6ELNS1_3repE0EEENS1_48merge_mergepath_partition_config_static_selectorELNS0_4arch9wavefront6targetE1EEEvSK_, .Lfunc_end3267-_ZN7rocprim17ROCPRIM_400000_NS6detail17trampoline_kernelINS0_14default_configENS1_38merge_sort_block_merge_config_selectorIlNS0_10empty_typeEEEZZNS1_27merge_sort_block_merge_implIS3_N6thrust23THRUST_200600_302600_NS6detail15normal_iteratorINS9_10device_ptrIlEEEEPS5_m14custom_greaterIlEEE10hipError_tT0_T1_T2_jT3_P12ihipStream_tbPNSt15iterator_traitsISJ_E10value_typeEPNSP_ISK_E10value_typeEPSL_NS1_7vsmem_tEENKUlT_SJ_SK_SL_E_clISE_PlSF_SF_EESI_SY_SJ_SK_SL_EUlSY_E_NS1_11comp_targetILNS1_3genE2ELNS1_11target_archE906ELNS1_3gpuE6ELNS1_3repE0EEENS1_48merge_mergepath_partition_config_static_selectorELNS0_4arch9wavefront6targetE1EEEvSK_
                                        ; -- End function
	.section	.AMDGPU.csdata,"",@progbits
; Kernel info:
; codeLenInByte = 0
; NumSgprs: 4
; NumVgprs: 0
; NumAgprs: 0
; TotalNumVgprs: 0
; ScratchSize: 0
; MemoryBound: 0
; FloatMode: 240
; IeeeMode: 1
; LDSByteSize: 0 bytes/workgroup (compile time only)
; SGPRBlocks: 0
; VGPRBlocks: 0
; NumSGPRsForWavesPerEU: 4
; NumVGPRsForWavesPerEU: 1
; AccumOffset: 4
; Occupancy: 8
; WaveLimiterHint : 0
; COMPUTE_PGM_RSRC2:SCRATCH_EN: 0
; COMPUTE_PGM_RSRC2:USER_SGPR: 6
; COMPUTE_PGM_RSRC2:TRAP_HANDLER: 0
; COMPUTE_PGM_RSRC2:TGID_X_EN: 1
; COMPUTE_PGM_RSRC2:TGID_Y_EN: 0
; COMPUTE_PGM_RSRC2:TGID_Z_EN: 0
; COMPUTE_PGM_RSRC2:TIDIG_COMP_CNT: 0
; COMPUTE_PGM_RSRC3_GFX90A:ACCUM_OFFSET: 0
; COMPUTE_PGM_RSRC3_GFX90A:TG_SPLIT: 0
	.section	.text._ZN7rocprim17ROCPRIM_400000_NS6detail17trampoline_kernelINS0_14default_configENS1_38merge_sort_block_merge_config_selectorIlNS0_10empty_typeEEEZZNS1_27merge_sort_block_merge_implIS3_N6thrust23THRUST_200600_302600_NS6detail15normal_iteratorINS9_10device_ptrIlEEEEPS5_m14custom_greaterIlEEE10hipError_tT0_T1_T2_jT3_P12ihipStream_tbPNSt15iterator_traitsISJ_E10value_typeEPNSP_ISK_E10value_typeEPSL_NS1_7vsmem_tEENKUlT_SJ_SK_SL_E_clISE_PlSF_SF_EESI_SY_SJ_SK_SL_EUlSY_E_NS1_11comp_targetILNS1_3genE9ELNS1_11target_archE1100ELNS1_3gpuE3ELNS1_3repE0EEENS1_48merge_mergepath_partition_config_static_selectorELNS0_4arch9wavefront6targetE1EEEvSK_,"axG",@progbits,_ZN7rocprim17ROCPRIM_400000_NS6detail17trampoline_kernelINS0_14default_configENS1_38merge_sort_block_merge_config_selectorIlNS0_10empty_typeEEEZZNS1_27merge_sort_block_merge_implIS3_N6thrust23THRUST_200600_302600_NS6detail15normal_iteratorINS9_10device_ptrIlEEEEPS5_m14custom_greaterIlEEE10hipError_tT0_T1_T2_jT3_P12ihipStream_tbPNSt15iterator_traitsISJ_E10value_typeEPNSP_ISK_E10value_typeEPSL_NS1_7vsmem_tEENKUlT_SJ_SK_SL_E_clISE_PlSF_SF_EESI_SY_SJ_SK_SL_EUlSY_E_NS1_11comp_targetILNS1_3genE9ELNS1_11target_archE1100ELNS1_3gpuE3ELNS1_3repE0EEENS1_48merge_mergepath_partition_config_static_selectorELNS0_4arch9wavefront6targetE1EEEvSK_,comdat
	.protected	_ZN7rocprim17ROCPRIM_400000_NS6detail17trampoline_kernelINS0_14default_configENS1_38merge_sort_block_merge_config_selectorIlNS0_10empty_typeEEEZZNS1_27merge_sort_block_merge_implIS3_N6thrust23THRUST_200600_302600_NS6detail15normal_iteratorINS9_10device_ptrIlEEEEPS5_m14custom_greaterIlEEE10hipError_tT0_T1_T2_jT3_P12ihipStream_tbPNSt15iterator_traitsISJ_E10value_typeEPNSP_ISK_E10value_typeEPSL_NS1_7vsmem_tEENKUlT_SJ_SK_SL_E_clISE_PlSF_SF_EESI_SY_SJ_SK_SL_EUlSY_E_NS1_11comp_targetILNS1_3genE9ELNS1_11target_archE1100ELNS1_3gpuE3ELNS1_3repE0EEENS1_48merge_mergepath_partition_config_static_selectorELNS0_4arch9wavefront6targetE1EEEvSK_ ; -- Begin function _ZN7rocprim17ROCPRIM_400000_NS6detail17trampoline_kernelINS0_14default_configENS1_38merge_sort_block_merge_config_selectorIlNS0_10empty_typeEEEZZNS1_27merge_sort_block_merge_implIS3_N6thrust23THRUST_200600_302600_NS6detail15normal_iteratorINS9_10device_ptrIlEEEEPS5_m14custom_greaterIlEEE10hipError_tT0_T1_T2_jT3_P12ihipStream_tbPNSt15iterator_traitsISJ_E10value_typeEPNSP_ISK_E10value_typeEPSL_NS1_7vsmem_tEENKUlT_SJ_SK_SL_E_clISE_PlSF_SF_EESI_SY_SJ_SK_SL_EUlSY_E_NS1_11comp_targetILNS1_3genE9ELNS1_11target_archE1100ELNS1_3gpuE3ELNS1_3repE0EEENS1_48merge_mergepath_partition_config_static_selectorELNS0_4arch9wavefront6targetE1EEEvSK_
	.globl	_ZN7rocprim17ROCPRIM_400000_NS6detail17trampoline_kernelINS0_14default_configENS1_38merge_sort_block_merge_config_selectorIlNS0_10empty_typeEEEZZNS1_27merge_sort_block_merge_implIS3_N6thrust23THRUST_200600_302600_NS6detail15normal_iteratorINS9_10device_ptrIlEEEEPS5_m14custom_greaterIlEEE10hipError_tT0_T1_T2_jT3_P12ihipStream_tbPNSt15iterator_traitsISJ_E10value_typeEPNSP_ISK_E10value_typeEPSL_NS1_7vsmem_tEENKUlT_SJ_SK_SL_E_clISE_PlSF_SF_EESI_SY_SJ_SK_SL_EUlSY_E_NS1_11comp_targetILNS1_3genE9ELNS1_11target_archE1100ELNS1_3gpuE3ELNS1_3repE0EEENS1_48merge_mergepath_partition_config_static_selectorELNS0_4arch9wavefront6targetE1EEEvSK_
	.p2align	8
	.type	_ZN7rocprim17ROCPRIM_400000_NS6detail17trampoline_kernelINS0_14default_configENS1_38merge_sort_block_merge_config_selectorIlNS0_10empty_typeEEEZZNS1_27merge_sort_block_merge_implIS3_N6thrust23THRUST_200600_302600_NS6detail15normal_iteratorINS9_10device_ptrIlEEEEPS5_m14custom_greaterIlEEE10hipError_tT0_T1_T2_jT3_P12ihipStream_tbPNSt15iterator_traitsISJ_E10value_typeEPNSP_ISK_E10value_typeEPSL_NS1_7vsmem_tEENKUlT_SJ_SK_SL_E_clISE_PlSF_SF_EESI_SY_SJ_SK_SL_EUlSY_E_NS1_11comp_targetILNS1_3genE9ELNS1_11target_archE1100ELNS1_3gpuE3ELNS1_3repE0EEENS1_48merge_mergepath_partition_config_static_selectorELNS0_4arch9wavefront6targetE1EEEvSK_,@function
_ZN7rocprim17ROCPRIM_400000_NS6detail17trampoline_kernelINS0_14default_configENS1_38merge_sort_block_merge_config_selectorIlNS0_10empty_typeEEEZZNS1_27merge_sort_block_merge_implIS3_N6thrust23THRUST_200600_302600_NS6detail15normal_iteratorINS9_10device_ptrIlEEEEPS5_m14custom_greaterIlEEE10hipError_tT0_T1_T2_jT3_P12ihipStream_tbPNSt15iterator_traitsISJ_E10value_typeEPNSP_ISK_E10value_typeEPSL_NS1_7vsmem_tEENKUlT_SJ_SK_SL_E_clISE_PlSF_SF_EESI_SY_SJ_SK_SL_EUlSY_E_NS1_11comp_targetILNS1_3genE9ELNS1_11target_archE1100ELNS1_3gpuE3ELNS1_3repE0EEENS1_48merge_mergepath_partition_config_static_selectorELNS0_4arch9wavefront6targetE1EEEvSK_: ; @_ZN7rocprim17ROCPRIM_400000_NS6detail17trampoline_kernelINS0_14default_configENS1_38merge_sort_block_merge_config_selectorIlNS0_10empty_typeEEEZZNS1_27merge_sort_block_merge_implIS3_N6thrust23THRUST_200600_302600_NS6detail15normal_iteratorINS9_10device_ptrIlEEEEPS5_m14custom_greaterIlEEE10hipError_tT0_T1_T2_jT3_P12ihipStream_tbPNSt15iterator_traitsISJ_E10value_typeEPNSP_ISK_E10value_typeEPSL_NS1_7vsmem_tEENKUlT_SJ_SK_SL_E_clISE_PlSF_SF_EESI_SY_SJ_SK_SL_EUlSY_E_NS1_11comp_targetILNS1_3genE9ELNS1_11target_archE1100ELNS1_3gpuE3ELNS1_3repE0EEENS1_48merge_mergepath_partition_config_static_selectorELNS0_4arch9wavefront6targetE1EEEvSK_
; %bb.0:
	.section	.rodata,"a",@progbits
	.p2align	6, 0x0
	.amdhsa_kernel _ZN7rocprim17ROCPRIM_400000_NS6detail17trampoline_kernelINS0_14default_configENS1_38merge_sort_block_merge_config_selectorIlNS0_10empty_typeEEEZZNS1_27merge_sort_block_merge_implIS3_N6thrust23THRUST_200600_302600_NS6detail15normal_iteratorINS9_10device_ptrIlEEEEPS5_m14custom_greaterIlEEE10hipError_tT0_T1_T2_jT3_P12ihipStream_tbPNSt15iterator_traitsISJ_E10value_typeEPNSP_ISK_E10value_typeEPSL_NS1_7vsmem_tEENKUlT_SJ_SK_SL_E_clISE_PlSF_SF_EESI_SY_SJ_SK_SL_EUlSY_E_NS1_11comp_targetILNS1_3genE9ELNS1_11target_archE1100ELNS1_3gpuE3ELNS1_3repE0EEENS1_48merge_mergepath_partition_config_static_selectorELNS0_4arch9wavefront6targetE1EEEvSK_
		.amdhsa_group_segment_fixed_size 0
		.amdhsa_private_segment_fixed_size 0
		.amdhsa_kernarg_size 48
		.amdhsa_user_sgpr_count 6
		.amdhsa_user_sgpr_private_segment_buffer 1
		.amdhsa_user_sgpr_dispatch_ptr 0
		.amdhsa_user_sgpr_queue_ptr 0
		.amdhsa_user_sgpr_kernarg_segment_ptr 1
		.amdhsa_user_sgpr_dispatch_id 0
		.amdhsa_user_sgpr_flat_scratch_init 0
		.amdhsa_user_sgpr_kernarg_preload_length 0
		.amdhsa_user_sgpr_kernarg_preload_offset 0
		.amdhsa_user_sgpr_private_segment_size 0
		.amdhsa_uses_dynamic_stack 0
		.amdhsa_system_sgpr_private_segment_wavefront_offset 0
		.amdhsa_system_sgpr_workgroup_id_x 1
		.amdhsa_system_sgpr_workgroup_id_y 0
		.amdhsa_system_sgpr_workgroup_id_z 0
		.amdhsa_system_sgpr_workgroup_info 0
		.amdhsa_system_vgpr_workitem_id 0
		.amdhsa_next_free_vgpr 1
		.amdhsa_next_free_sgpr 0
		.amdhsa_accum_offset 4
		.amdhsa_reserve_vcc 0
		.amdhsa_reserve_flat_scratch 0
		.amdhsa_float_round_mode_32 0
		.amdhsa_float_round_mode_16_64 0
		.amdhsa_float_denorm_mode_32 3
		.amdhsa_float_denorm_mode_16_64 3
		.amdhsa_dx10_clamp 1
		.amdhsa_ieee_mode 1
		.amdhsa_fp16_overflow 0
		.amdhsa_tg_split 0
		.amdhsa_exception_fp_ieee_invalid_op 0
		.amdhsa_exception_fp_denorm_src 0
		.amdhsa_exception_fp_ieee_div_zero 0
		.amdhsa_exception_fp_ieee_overflow 0
		.amdhsa_exception_fp_ieee_underflow 0
		.amdhsa_exception_fp_ieee_inexact 0
		.amdhsa_exception_int_div_zero 0
	.end_amdhsa_kernel
	.section	.text._ZN7rocprim17ROCPRIM_400000_NS6detail17trampoline_kernelINS0_14default_configENS1_38merge_sort_block_merge_config_selectorIlNS0_10empty_typeEEEZZNS1_27merge_sort_block_merge_implIS3_N6thrust23THRUST_200600_302600_NS6detail15normal_iteratorINS9_10device_ptrIlEEEEPS5_m14custom_greaterIlEEE10hipError_tT0_T1_T2_jT3_P12ihipStream_tbPNSt15iterator_traitsISJ_E10value_typeEPNSP_ISK_E10value_typeEPSL_NS1_7vsmem_tEENKUlT_SJ_SK_SL_E_clISE_PlSF_SF_EESI_SY_SJ_SK_SL_EUlSY_E_NS1_11comp_targetILNS1_3genE9ELNS1_11target_archE1100ELNS1_3gpuE3ELNS1_3repE0EEENS1_48merge_mergepath_partition_config_static_selectorELNS0_4arch9wavefront6targetE1EEEvSK_,"axG",@progbits,_ZN7rocprim17ROCPRIM_400000_NS6detail17trampoline_kernelINS0_14default_configENS1_38merge_sort_block_merge_config_selectorIlNS0_10empty_typeEEEZZNS1_27merge_sort_block_merge_implIS3_N6thrust23THRUST_200600_302600_NS6detail15normal_iteratorINS9_10device_ptrIlEEEEPS5_m14custom_greaterIlEEE10hipError_tT0_T1_T2_jT3_P12ihipStream_tbPNSt15iterator_traitsISJ_E10value_typeEPNSP_ISK_E10value_typeEPSL_NS1_7vsmem_tEENKUlT_SJ_SK_SL_E_clISE_PlSF_SF_EESI_SY_SJ_SK_SL_EUlSY_E_NS1_11comp_targetILNS1_3genE9ELNS1_11target_archE1100ELNS1_3gpuE3ELNS1_3repE0EEENS1_48merge_mergepath_partition_config_static_selectorELNS0_4arch9wavefront6targetE1EEEvSK_,comdat
.Lfunc_end3268:
	.size	_ZN7rocprim17ROCPRIM_400000_NS6detail17trampoline_kernelINS0_14default_configENS1_38merge_sort_block_merge_config_selectorIlNS0_10empty_typeEEEZZNS1_27merge_sort_block_merge_implIS3_N6thrust23THRUST_200600_302600_NS6detail15normal_iteratorINS9_10device_ptrIlEEEEPS5_m14custom_greaterIlEEE10hipError_tT0_T1_T2_jT3_P12ihipStream_tbPNSt15iterator_traitsISJ_E10value_typeEPNSP_ISK_E10value_typeEPSL_NS1_7vsmem_tEENKUlT_SJ_SK_SL_E_clISE_PlSF_SF_EESI_SY_SJ_SK_SL_EUlSY_E_NS1_11comp_targetILNS1_3genE9ELNS1_11target_archE1100ELNS1_3gpuE3ELNS1_3repE0EEENS1_48merge_mergepath_partition_config_static_selectorELNS0_4arch9wavefront6targetE1EEEvSK_, .Lfunc_end3268-_ZN7rocprim17ROCPRIM_400000_NS6detail17trampoline_kernelINS0_14default_configENS1_38merge_sort_block_merge_config_selectorIlNS0_10empty_typeEEEZZNS1_27merge_sort_block_merge_implIS3_N6thrust23THRUST_200600_302600_NS6detail15normal_iteratorINS9_10device_ptrIlEEEEPS5_m14custom_greaterIlEEE10hipError_tT0_T1_T2_jT3_P12ihipStream_tbPNSt15iterator_traitsISJ_E10value_typeEPNSP_ISK_E10value_typeEPSL_NS1_7vsmem_tEENKUlT_SJ_SK_SL_E_clISE_PlSF_SF_EESI_SY_SJ_SK_SL_EUlSY_E_NS1_11comp_targetILNS1_3genE9ELNS1_11target_archE1100ELNS1_3gpuE3ELNS1_3repE0EEENS1_48merge_mergepath_partition_config_static_selectorELNS0_4arch9wavefront6targetE1EEEvSK_
                                        ; -- End function
	.section	.AMDGPU.csdata,"",@progbits
; Kernel info:
; codeLenInByte = 0
; NumSgprs: 4
; NumVgprs: 0
; NumAgprs: 0
; TotalNumVgprs: 0
; ScratchSize: 0
; MemoryBound: 0
; FloatMode: 240
; IeeeMode: 1
; LDSByteSize: 0 bytes/workgroup (compile time only)
; SGPRBlocks: 0
; VGPRBlocks: 0
; NumSGPRsForWavesPerEU: 4
; NumVGPRsForWavesPerEU: 1
; AccumOffset: 4
; Occupancy: 8
; WaveLimiterHint : 0
; COMPUTE_PGM_RSRC2:SCRATCH_EN: 0
; COMPUTE_PGM_RSRC2:USER_SGPR: 6
; COMPUTE_PGM_RSRC2:TRAP_HANDLER: 0
; COMPUTE_PGM_RSRC2:TGID_X_EN: 1
; COMPUTE_PGM_RSRC2:TGID_Y_EN: 0
; COMPUTE_PGM_RSRC2:TGID_Z_EN: 0
; COMPUTE_PGM_RSRC2:TIDIG_COMP_CNT: 0
; COMPUTE_PGM_RSRC3_GFX90A:ACCUM_OFFSET: 0
; COMPUTE_PGM_RSRC3_GFX90A:TG_SPLIT: 0
	.section	.text._ZN7rocprim17ROCPRIM_400000_NS6detail17trampoline_kernelINS0_14default_configENS1_38merge_sort_block_merge_config_selectorIlNS0_10empty_typeEEEZZNS1_27merge_sort_block_merge_implIS3_N6thrust23THRUST_200600_302600_NS6detail15normal_iteratorINS9_10device_ptrIlEEEEPS5_m14custom_greaterIlEEE10hipError_tT0_T1_T2_jT3_P12ihipStream_tbPNSt15iterator_traitsISJ_E10value_typeEPNSP_ISK_E10value_typeEPSL_NS1_7vsmem_tEENKUlT_SJ_SK_SL_E_clISE_PlSF_SF_EESI_SY_SJ_SK_SL_EUlSY_E_NS1_11comp_targetILNS1_3genE8ELNS1_11target_archE1030ELNS1_3gpuE2ELNS1_3repE0EEENS1_48merge_mergepath_partition_config_static_selectorELNS0_4arch9wavefront6targetE1EEEvSK_,"axG",@progbits,_ZN7rocprim17ROCPRIM_400000_NS6detail17trampoline_kernelINS0_14default_configENS1_38merge_sort_block_merge_config_selectorIlNS0_10empty_typeEEEZZNS1_27merge_sort_block_merge_implIS3_N6thrust23THRUST_200600_302600_NS6detail15normal_iteratorINS9_10device_ptrIlEEEEPS5_m14custom_greaterIlEEE10hipError_tT0_T1_T2_jT3_P12ihipStream_tbPNSt15iterator_traitsISJ_E10value_typeEPNSP_ISK_E10value_typeEPSL_NS1_7vsmem_tEENKUlT_SJ_SK_SL_E_clISE_PlSF_SF_EESI_SY_SJ_SK_SL_EUlSY_E_NS1_11comp_targetILNS1_3genE8ELNS1_11target_archE1030ELNS1_3gpuE2ELNS1_3repE0EEENS1_48merge_mergepath_partition_config_static_selectorELNS0_4arch9wavefront6targetE1EEEvSK_,comdat
	.protected	_ZN7rocprim17ROCPRIM_400000_NS6detail17trampoline_kernelINS0_14default_configENS1_38merge_sort_block_merge_config_selectorIlNS0_10empty_typeEEEZZNS1_27merge_sort_block_merge_implIS3_N6thrust23THRUST_200600_302600_NS6detail15normal_iteratorINS9_10device_ptrIlEEEEPS5_m14custom_greaterIlEEE10hipError_tT0_T1_T2_jT3_P12ihipStream_tbPNSt15iterator_traitsISJ_E10value_typeEPNSP_ISK_E10value_typeEPSL_NS1_7vsmem_tEENKUlT_SJ_SK_SL_E_clISE_PlSF_SF_EESI_SY_SJ_SK_SL_EUlSY_E_NS1_11comp_targetILNS1_3genE8ELNS1_11target_archE1030ELNS1_3gpuE2ELNS1_3repE0EEENS1_48merge_mergepath_partition_config_static_selectorELNS0_4arch9wavefront6targetE1EEEvSK_ ; -- Begin function _ZN7rocprim17ROCPRIM_400000_NS6detail17trampoline_kernelINS0_14default_configENS1_38merge_sort_block_merge_config_selectorIlNS0_10empty_typeEEEZZNS1_27merge_sort_block_merge_implIS3_N6thrust23THRUST_200600_302600_NS6detail15normal_iteratorINS9_10device_ptrIlEEEEPS5_m14custom_greaterIlEEE10hipError_tT0_T1_T2_jT3_P12ihipStream_tbPNSt15iterator_traitsISJ_E10value_typeEPNSP_ISK_E10value_typeEPSL_NS1_7vsmem_tEENKUlT_SJ_SK_SL_E_clISE_PlSF_SF_EESI_SY_SJ_SK_SL_EUlSY_E_NS1_11comp_targetILNS1_3genE8ELNS1_11target_archE1030ELNS1_3gpuE2ELNS1_3repE0EEENS1_48merge_mergepath_partition_config_static_selectorELNS0_4arch9wavefront6targetE1EEEvSK_
	.globl	_ZN7rocprim17ROCPRIM_400000_NS6detail17trampoline_kernelINS0_14default_configENS1_38merge_sort_block_merge_config_selectorIlNS0_10empty_typeEEEZZNS1_27merge_sort_block_merge_implIS3_N6thrust23THRUST_200600_302600_NS6detail15normal_iteratorINS9_10device_ptrIlEEEEPS5_m14custom_greaterIlEEE10hipError_tT0_T1_T2_jT3_P12ihipStream_tbPNSt15iterator_traitsISJ_E10value_typeEPNSP_ISK_E10value_typeEPSL_NS1_7vsmem_tEENKUlT_SJ_SK_SL_E_clISE_PlSF_SF_EESI_SY_SJ_SK_SL_EUlSY_E_NS1_11comp_targetILNS1_3genE8ELNS1_11target_archE1030ELNS1_3gpuE2ELNS1_3repE0EEENS1_48merge_mergepath_partition_config_static_selectorELNS0_4arch9wavefront6targetE1EEEvSK_
	.p2align	8
	.type	_ZN7rocprim17ROCPRIM_400000_NS6detail17trampoline_kernelINS0_14default_configENS1_38merge_sort_block_merge_config_selectorIlNS0_10empty_typeEEEZZNS1_27merge_sort_block_merge_implIS3_N6thrust23THRUST_200600_302600_NS6detail15normal_iteratorINS9_10device_ptrIlEEEEPS5_m14custom_greaterIlEEE10hipError_tT0_T1_T2_jT3_P12ihipStream_tbPNSt15iterator_traitsISJ_E10value_typeEPNSP_ISK_E10value_typeEPSL_NS1_7vsmem_tEENKUlT_SJ_SK_SL_E_clISE_PlSF_SF_EESI_SY_SJ_SK_SL_EUlSY_E_NS1_11comp_targetILNS1_3genE8ELNS1_11target_archE1030ELNS1_3gpuE2ELNS1_3repE0EEENS1_48merge_mergepath_partition_config_static_selectorELNS0_4arch9wavefront6targetE1EEEvSK_,@function
_ZN7rocprim17ROCPRIM_400000_NS6detail17trampoline_kernelINS0_14default_configENS1_38merge_sort_block_merge_config_selectorIlNS0_10empty_typeEEEZZNS1_27merge_sort_block_merge_implIS3_N6thrust23THRUST_200600_302600_NS6detail15normal_iteratorINS9_10device_ptrIlEEEEPS5_m14custom_greaterIlEEE10hipError_tT0_T1_T2_jT3_P12ihipStream_tbPNSt15iterator_traitsISJ_E10value_typeEPNSP_ISK_E10value_typeEPSL_NS1_7vsmem_tEENKUlT_SJ_SK_SL_E_clISE_PlSF_SF_EESI_SY_SJ_SK_SL_EUlSY_E_NS1_11comp_targetILNS1_3genE8ELNS1_11target_archE1030ELNS1_3gpuE2ELNS1_3repE0EEENS1_48merge_mergepath_partition_config_static_selectorELNS0_4arch9wavefront6targetE1EEEvSK_: ; @_ZN7rocprim17ROCPRIM_400000_NS6detail17trampoline_kernelINS0_14default_configENS1_38merge_sort_block_merge_config_selectorIlNS0_10empty_typeEEEZZNS1_27merge_sort_block_merge_implIS3_N6thrust23THRUST_200600_302600_NS6detail15normal_iteratorINS9_10device_ptrIlEEEEPS5_m14custom_greaterIlEEE10hipError_tT0_T1_T2_jT3_P12ihipStream_tbPNSt15iterator_traitsISJ_E10value_typeEPNSP_ISK_E10value_typeEPSL_NS1_7vsmem_tEENKUlT_SJ_SK_SL_E_clISE_PlSF_SF_EESI_SY_SJ_SK_SL_EUlSY_E_NS1_11comp_targetILNS1_3genE8ELNS1_11target_archE1030ELNS1_3gpuE2ELNS1_3repE0EEENS1_48merge_mergepath_partition_config_static_selectorELNS0_4arch9wavefront6targetE1EEEvSK_
; %bb.0:
	.section	.rodata,"a",@progbits
	.p2align	6, 0x0
	.amdhsa_kernel _ZN7rocprim17ROCPRIM_400000_NS6detail17trampoline_kernelINS0_14default_configENS1_38merge_sort_block_merge_config_selectorIlNS0_10empty_typeEEEZZNS1_27merge_sort_block_merge_implIS3_N6thrust23THRUST_200600_302600_NS6detail15normal_iteratorINS9_10device_ptrIlEEEEPS5_m14custom_greaterIlEEE10hipError_tT0_T1_T2_jT3_P12ihipStream_tbPNSt15iterator_traitsISJ_E10value_typeEPNSP_ISK_E10value_typeEPSL_NS1_7vsmem_tEENKUlT_SJ_SK_SL_E_clISE_PlSF_SF_EESI_SY_SJ_SK_SL_EUlSY_E_NS1_11comp_targetILNS1_3genE8ELNS1_11target_archE1030ELNS1_3gpuE2ELNS1_3repE0EEENS1_48merge_mergepath_partition_config_static_selectorELNS0_4arch9wavefront6targetE1EEEvSK_
		.amdhsa_group_segment_fixed_size 0
		.amdhsa_private_segment_fixed_size 0
		.amdhsa_kernarg_size 48
		.amdhsa_user_sgpr_count 6
		.amdhsa_user_sgpr_private_segment_buffer 1
		.amdhsa_user_sgpr_dispatch_ptr 0
		.amdhsa_user_sgpr_queue_ptr 0
		.amdhsa_user_sgpr_kernarg_segment_ptr 1
		.amdhsa_user_sgpr_dispatch_id 0
		.amdhsa_user_sgpr_flat_scratch_init 0
		.amdhsa_user_sgpr_kernarg_preload_length 0
		.amdhsa_user_sgpr_kernarg_preload_offset 0
		.amdhsa_user_sgpr_private_segment_size 0
		.amdhsa_uses_dynamic_stack 0
		.amdhsa_system_sgpr_private_segment_wavefront_offset 0
		.amdhsa_system_sgpr_workgroup_id_x 1
		.amdhsa_system_sgpr_workgroup_id_y 0
		.amdhsa_system_sgpr_workgroup_id_z 0
		.amdhsa_system_sgpr_workgroup_info 0
		.amdhsa_system_vgpr_workitem_id 0
		.amdhsa_next_free_vgpr 1
		.amdhsa_next_free_sgpr 0
		.amdhsa_accum_offset 4
		.amdhsa_reserve_vcc 0
		.amdhsa_reserve_flat_scratch 0
		.amdhsa_float_round_mode_32 0
		.amdhsa_float_round_mode_16_64 0
		.amdhsa_float_denorm_mode_32 3
		.amdhsa_float_denorm_mode_16_64 3
		.amdhsa_dx10_clamp 1
		.amdhsa_ieee_mode 1
		.amdhsa_fp16_overflow 0
		.amdhsa_tg_split 0
		.amdhsa_exception_fp_ieee_invalid_op 0
		.amdhsa_exception_fp_denorm_src 0
		.amdhsa_exception_fp_ieee_div_zero 0
		.amdhsa_exception_fp_ieee_overflow 0
		.amdhsa_exception_fp_ieee_underflow 0
		.amdhsa_exception_fp_ieee_inexact 0
		.amdhsa_exception_int_div_zero 0
	.end_amdhsa_kernel
	.section	.text._ZN7rocprim17ROCPRIM_400000_NS6detail17trampoline_kernelINS0_14default_configENS1_38merge_sort_block_merge_config_selectorIlNS0_10empty_typeEEEZZNS1_27merge_sort_block_merge_implIS3_N6thrust23THRUST_200600_302600_NS6detail15normal_iteratorINS9_10device_ptrIlEEEEPS5_m14custom_greaterIlEEE10hipError_tT0_T1_T2_jT3_P12ihipStream_tbPNSt15iterator_traitsISJ_E10value_typeEPNSP_ISK_E10value_typeEPSL_NS1_7vsmem_tEENKUlT_SJ_SK_SL_E_clISE_PlSF_SF_EESI_SY_SJ_SK_SL_EUlSY_E_NS1_11comp_targetILNS1_3genE8ELNS1_11target_archE1030ELNS1_3gpuE2ELNS1_3repE0EEENS1_48merge_mergepath_partition_config_static_selectorELNS0_4arch9wavefront6targetE1EEEvSK_,"axG",@progbits,_ZN7rocprim17ROCPRIM_400000_NS6detail17trampoline_kernelINS0_14default_configENS1_38merge_sort_block_merge_config_selectorIlNS0_10empty_typeEEEZZNS1_27merge_sort_block_merge_implIS3_N6thrust23THRUST_200600_302600_NS6detail15normal_iteratorINS9_10device_ptrIlEEEEPS5_m14custom_greaterIlEEE10hipError_tT0_T1_T2_jT3_P12ihipStream_tbPNSt15iterator_traitsISJ_E10value_typeEPNSP_ISK_E10value_typeEPSL_NS1_7vsmem_tEENKUlT_SJ_SK_SL_E_clISE_PlSF_SF_EESI_SY_SJ_SK_SL_EUlSY_E_NS1_11comp_targetILNS1_3genE8ELNS1_11target_archE1030ELNS1_3gpuE2ELNS1_3repE0EEENS1_48merge_mergepath_partition_config_static_selectorELNS0_4arch9wavefront6targetE1EEEvSK_,comdat
.Lfunc_end3269:
	.size	_ZN7rocprim17ROCPRIM_400000_NS6detail17trampoline_kernelINS0_14default_configENS1_38merge_sort_block_merge_config_selectorIlNS0_10empty_typeEEEZZNS1_27merge_sort_block_merge_implIS3_N6thrust23THRUST_200600_302600_NS6detail15normal_iteratorINS9_10device_ptrIlEEEEPS5_m14custom_greaterIlEEE10hipError_tT0_T1_T2_jT3_P12ihipStream_tbPNSt15iterator_traitsISJ_E10value_typeEPNSP_ISK_E10value_typeEPSL_NS1_7vsmem_tEENKUlT_SJ_SK_SL_E_clISE_PlSF_SF_EESI_SY_SJ_SK_SL_EUlSY_E_NS1_11comp_targetILNS1_3genE8ELNS1_11target_archE1030ELNS1_3gpuE2ELNS1_3repE0EEENS1_48merge_mergepath_partition_config_static_selectorELNS0_4arch9wavefront6targetE1EEEvSK_, .Lfunc_end3269-_ZN7rocprim17ROCPRIM_400000_NS6detail17trampoline_kernelINS0_14default_configENS1_38merge_sort_block_merge_config_selectorIlNS0_10empty_typeEEEZZNS1_27merge_sort_block_merge_implIS3_N6thrust23THRUST_200600_302600_NS6detail15normal_iteratorINS9_10device_ptrIlEEEEPS5_m14custom_greaterIlEEE10hipError_tT0_T1_T2_jT3_P12ihipStream_tbPNSt15iterator_traitsISJ_E10value_typeEPNSP_ISK_E10value_typeEPSL_NS1_7vsmem_tEENKUlT_SJ_SK_SL_E_clISE_PlSF_SF_EESI_SY_SJ_SK_SL_EUlSY_E_NS1_11comp_targetILNS1_3genE8ELNS1_11target_archE1030ELNS1_3gpuE2ELNS1_3repE0EEENS1_48merge_mergepath_partition_config_static_selectorELNS0_4arch9wavefront6targetE1EEEvSK_
                                        ; -- End function
	.section	.AMDGPU.csdata,"",@progbits
; Kernel info:
; codeLenInByte = 0
; NumSgprs: 4
; NumVgprs: 0
; NumAgprs: 0
; TotalNumVgprs: 0
; ScratchSize: 0
; MemoryBound: 0
; FloatMode: 240
; IeeeMode: 1
; LDSByteSize: 0 bytes/workgroup (compile time only)
; SGPRBlocks: 0
; VGPRBlocks: 0
; NumSGPRsForWavesPerEU: 4
; NumVGPRsForWavesPerEU: 1
; AccumOffset: 4
; Occupancy: 8
; WaveLimiterHint : 0
; COMPUTE_PGM_RSRC2:SCRATCH_EN: 0
; COMPUTE_PGM_RSRC2:USER_SGPR: 6
; COMPUTE_PGM_RSRC2:TRAP_HANDLER: 0
; COMPUTE_PGM_RSRC2:TGID_X_EN: 1
; COMPUTE_PGM_RSRC2:TGID_Y_EN: 0
; COMPUTE_PGM_RSRC2:TGID_Z_EN: 0
; COMPUTE_PGM_RSRC2:TIDIG_COMP_CNT: 0
; COMPUTE_PGM_RSRC3_GFX90A:ACCUM_OFFSET: 0
; COMPUTE_PGM_RSRC3_GFX90A:TG_SPLIT: 0
	.section	.text._ZN7rocprim17ROCPRIM_400000_NS6detail17trampoline_kernelINS0_14default_configENS1_38merge_sort_block_merge_config_selectorIlNS0_10empty_typeEEEZZNS1_27merge_sort_block_merge_implIS3_N6thrust23THRUST_200600_302600_NS6detail15normal_iteratorINS9_10device_ptrIlEEEEPS5_m14custom_greaterIlEEE10hipError_tT0_T1_T2_jT3_P12ihipStream_tbPNSt15iterator_traitsISJ_E10value_typeEPNSP_ISK_E10value_typeEPSL_NS1_7vsmem_tEENKUlT_SJ_SK_SL_E_clISE_PlSF_SF_EESI_SY_SJ_SK_SL_EUlSY_E0_NS1_11comp_targetILNS1_3genE0ELNS1_11target_archE4294967295ELNS1_3gpuE0ELNS1_3repE0EEENS1_38merge_mergepath_config_static_selectorELNS0_4arch9wavefront6targetE1EEEvSK_,"axG",@progbits,_ZN7rocprim17ROCPRIM_400000_NS6detail17trampoline_kernelINS0_14default_configENS1_38merge_sort_block_merge_config_selectorIlNS0_10empty_typeEEEZZNS1_27merge_sort_block_merge_implIS3_N6thrust23THRUST_200600_302600_NS6detail15normal_iteratorINS9_10device_ptrIlEEEEPS5_m14custom_greaterIlEEE10hipError_tT0_T1_T2_jT3_P12ihipStream_tbPNSt15iterator_traitsISJ_E10value_typeEPNSP_ISK_E10value_typeEPSL_NS1_7vsmem_tEENKUlT_SJ_SK_SL_E_clISE_PlSF_SF_EESI_SY_SJ_SK_SL_EUlSY_E0_NS1_11comp_targetILNS1_3genE0ELNS1_11target_archE4294967295ELNS1_3gpuE0ELNS1_3repE0EEENS1_38merge_mergepath_config_static_selectorELNS0_4arch9wavefront6targetE1EEEvSK_,comdat
	.protected	_ZN7rocprim17ROCPRIM_400000_NS6detail17trampoline_kernelINS0_14default_configENS1_38merge_sort_block_merge_config_selectorIlNS0_10empty_typeEEEZZNS1_27merge_sort_block_merge_implIS3_N6thrust23THRUST_200600_302600_NS6detail15normal_iteratorINS9_10device_ptrIlEEEEPS5_m14custom_greaterIlEEE10hipError_tT0_T1_T2_jT3_P12ihipStream_tbPNSt15iterator_traitsISJ_E10value_typeEPNSP_ISK_E10value_typeEPSL_NS1_7vsmem_tEENKUlT_SJ_SK_SL_E_clISE_PlSF_SF_EESI_SY_SJ_SK_SL_EUlSY_E0_NS1_11comp_targetILNS1_3genE0ELNS1_11target_archE4294967295ELNS1_3gpuE0ELNS1_3repE0EEENS1_38merge_mergepath_config_static_selectorELNS0_4arch9wavefront6targetE1EEEvSK_ ; -- Begin function _ZN7rocprim17ROCPRIM_400000_NS6detail17trampoline_kernelINS0_14default_configENS1_38merge_sort_block_merge_config_selectorIlNS0_10empty_typeEEEZZNS1_27merge_sort_block_merge_implIS3_N6thrust23THRUST_200600_302600_NS6detail15normal_iteratorINS9_10device_ptrIlEEEEPS5_m14custom_greaterIlEEE10hipError_tT0_T1_T2_jT3_P12ihipStream_tbPNSt15iterator_traitsISJ_E10value_typeEPNSP_ISK_E10value_typeEPSL_NS1_7vsmem_tEENKUlT_SJ_SK_SL_E_clISE_PlSF_SF_EESI_SY_SJ_SK_SL_EUlSY_E0_NS1_11comp_targetILNS1_3genE0ELNS1_11target_archE4294967295ELNS1_3gpuE0ELNS1_3repE0EEENS1_38merge_mergepath_config_static_selectorELNS0_4arch9wavefront6targetE1EEEvSK_
	.globl	_ZN7rocprim17ROCPRIM_400000_NS6detail17trampoline_kernelINS0_14default_configENS1_38merge_sort_block_merge_config_selectorIlNS0_10empty_typeEEEZZNS1_27merge_sort_block_merge_implIS3_N6thrust23THRUST_200600_302600_NS6detail15normal_iteratorINS9_10device_ptrIlEEEEPS5_m14custom_greaterIlEEE10hipError_tT0_T1_T2_jT3_P12ihipStream_tbPNSt15iterator_traitsISJ_E10value_typeEPNSP_ISK_E10value_typeEPSL_NS1_7vsmem_tEENKUlT_SJ_SK_SL_E_clISE_PlSF_SF_EESI_SY_SJ_SK_SL_EUlSY_E0_NS1_11comp_targetILNS1_3genE0ELNS1_11target_archE4294967295ELNS1_3gpuE0ELNS1_3repE0EEENS1_38merge_mergepath_config_static_selectorELNS0_4arch9wavefront6targetE1EEEvSK_
	.p2align	8
	.type	_ZN7rocprim17ROCPRIM_400000_NS6detail17trampoline_kernelINS0_14default_configENS1_38merge_sort_block_merge_config_selectorIlNS0_10empty_typeEEEZZNS1_27merge_sort_block_merge_implIS3_N6thrust23THRUST_200600_302600_NS6detail15normal_iteratorINS9_10device_ptrIlEEEEPS5_m14custom_greaterIlEEE10hipError_tT0_T1_T2_jT3_P12ihipStream_tbPNSt15iterator_traitsISJ_E10value_typeEPNSP_ISK_E10value_typeEPSL_NS1_7vsmem_tEENKUlT_SJ_SK_SL_E_clISE_PlSF_SF_EESI_SY_SJ_SK_SL_EUlSY_E0_NS1_11comp_targetILNS1_3genE0ELNS1_11target_archE4294967295ELNS1_3gpuE0ELNS1_3repE0EEENS1_38merge_mergepath_config_static_selectorELNS0_4arch9wavefront6targetE1EEEvSK_,@function
_ZN7rocprim17ROCPRIM_400000_NS6detail17trampoline_kernelINS0_14default_configENS1_38merge_sort_block_merge_config_selectorIlNS0_10empty_typeEEEZZNS1_27merge_sort_block_merge_implIS3_N6thrust23THRUST_200600_302600_NS6detail15normal_iteratorINS9_10device_ptrIlEEEEPS5_m14custom_greaterIlEEE10hipError_tT0_T1_T2_jT3_P12ihipStream_tbPNSt15iterator_traitsISJ_E10value_typeEPNSP_ISK_E10value_typeEPSL_NS1_7vsmem_tEENKUlT_SJ_SK_SL_E_clISE_PlSF_SF_EESI_SY_SJ_SK_SL_EUlSY_E0_NS1_11comp_targetILNS1_3genE0ELNS1_11target_archE4294967295ELNS1_3gpuE0ELNS1_3repE0EEENS1_38merge_mergepath_config_static_selectorELNS0_4arch9wavefront6targetE1EEEvSK_: ; @_ZN7rocprim17ROCPRIM_400000_NS6detail17trampoline_kernelINS0_14default_configENS1_38merge_sort_block_merge_config_selectorIlNS0_10empty_typeEEEZZNS1_27merge_sort_block_merge_implIS3_N6thrust23THRUST_200600_302600_NS6detail15normal_iteratorINS9_10device_ptrIlEEEEPS5_m14custom_greaterIlEEE10hipError_tT0_T1_T2_jT3_P12ihipStream_tbPNSt15iterator_traitsISJ_E10value_typeEPNSP_ISK_E10value_typeEPSL_NS1_7vsmem_tEENKUlT_SJ_SK_SL_E_clISE_PlSF_SF_EESI_SY_SJ_SK_SL_EUlSY_E0_NS1_11comp_targetILNS1_3genE0ELNS1_11target_archE4294967295ELNS1_3gpuE0ELNS1_3repE0EEENS1_38merge_mergepath_config_static_selectorELNS0_4arch9wavefront6targetE1EEEvSK_
; %bb.0:
	.section	.rodata,"a",@progbits
	.p2align	6, 0x0
	.amdhsa_kernel _ZN7rocprim17ROCPRIM_400000_NS6detail17trampoline_kernelINS0_14default_configENS1_38merge_sort_block_merge_config_selectorIlNS0_10empty_typeEEEZZNS1_27merge_sort_block_merge_implIS3_N6thrust23THRUST_200600_302600_NS6detail15normal_iteratorINS9_10device_ptrIlEEEEPS5_m14custom_greaterIlEEE10hipError_tT0_T1_T2_jT3_P12ihipStream_tbPNSt15iterator_traitsISJ_E10value_typeEPNSP_ISK_E10value_typeEPSL_NS1_7vsmem_tEENKUlT_SJ_SK_SL_E_clISE_PlSF_SF_EESI_SY_SJ_SK_SL_EUlSY_E0_NS1_11comp_targetILNS1_3genE0ELNS1_11target_archE4294967295ELNS1_3gpuE0ELNS1_3repE0EEENS1_38merge_mergepath_config_static_selectorELNS0_4arch9wavefront6targetE1EEEvSK_
		.amdhsa_group_segment_fixed_size 0
		.amdhsa_private_segment_fixed_size 0
		.amdhsa_kernarg_size 72
		.amdhsa_user_sgpr_count 6
		.amdhsa_user_sgpr_private_segment_buffer 1
		.amdhsa_user_sgpr_dispatch_ptr 0
		.amdhsa_user_sgpr_queue_ptr 0
		.amdhsa_user_sgpr_kernarg_segment_ptr 1
		.amdhsa_user_sgpr_dispatch_id 0
		.amdhsa_user_sgpr_flat_scratch_init 0
		.amdhsa_user_sgpr_kernarg_preload_length 0
		.amdhsa_user_sgpr_kernarg_preload_offset 0
		.amdhsa_user_sgpr_private_segment_size 0
		.amdhsa_uses_dynamic_stack 0
		.amdhsa_system_sgpr_private_segment_wavefront_offset 0
		.amdhsa_system_sgpr_workgroup_id_x 1
		.amdhsa_system_sgpr_workgroup_id_y 0
		.amdhsa_system_sgpr_workgroup_id_z 0
		.amdhsa_system_sgpr_workgroup_info 0
		.amdhsa_system_vgpr_workitem_id 0
		.amdhsa_next_free_vgpr 1
		.amdhsa_next_free_sgpr 0
		.amdhsa_accum_offset 4
		.amdhsa_reserve_vcc 0
		.amdhsa_reserve_flat_scratch 0
		.amdhsa_float_round_mode_32 0
		.amdhsa_float_round_mode_16_64 0
		.amdhsa_float_denorm_mode_32 3
		.amdhsa_float_denorm_mode_16_64 3
		.amdhsa_dx10_clamp 1
		.amdhsa_ieee_mode 1
		.amdhsa_fp16_overflow 0
		.amdhsa_tg_split 0
		.amdhsa_exception_fp_ieee_invalid_op 0
		.amdhsa_exception_fp_denorm_src 0
		.amdhsa_exception_fp_ieee_div_zero 0
		.amdhsa_exception_fp_ieee_overflow 0
		.amdhsa_exception_fp_ieee_underflow 0
		.amdhsa_exception_fp_ieee_inexact 0
		.amdhsa_exception_int_div_zero 0
	.end_amdhsa_kernel
	.section	.text._ZN7rocprim17ROCPRIM_400000_NS6detail17trampoline_kernelINS0_14default_configENS1_38merge_sort_block_merge_config_selectorIlNS0_10empty_typeEEEZZNS1_27merge_sort_block_merge_implIS3_N6thrust23THRUST_200600_302600_NS6detail15normal_iteratorINS9_10device_ptrIlEEEEPS5_m14custom_greaterIlEEE10hipError_tT0_T1_T2_jT3_P12ihipStream_tbPNSt15iterator_traitsISJ_E10value_typeEPNSP_ISK_E10value_typeEPSL_NS1_7vsmem_tEENKUlT_SJ_SK_SL_E_clISE_PlSF_SF_EESI_SY_SJ_SK_SL_EUlSY_E0_NS1_11comp_targetILNS1_3genE0ELNS1_11target_archE4294967295ELNS1_3gpuE0ELNS1_3repE0EEENS1_38merge_mergepath_config_static_selectorELNS0_4arch9wavefront6targetE1EEEvSK_,"axG",@progbits,_ZN7rocprim17ROCPRIM_400000_NS6detail17trampoline_kernelINS0_14default_configENS1_38merge_sort_block_merge_config_selectorIlNS0_10empty_typeEEEZZNS1_27merge_sort_block_merge_implIS3_N6thrust23THRUST_200600_302600_NS6detail15normal_iteratorINS9_10device_ptrIlEEEEPS5_m14custom_greaterIlEEE10hipError_tT0_T1_T2_jT3_P12ihipStream_tbPNSt15iterator_traitsISJ_E10value_typeEPNSP_ISK_E10value_typeEPSL_NS1_7vsmem_tEENKUlT_SJ_SK_SL_E_clISE_PlSF_SF_EESI_SY_SJ_SK_SL_EUlSY_E0_NS1_11comp_targetILNS1_3genE0ELNS1_11target_archE4294967295ELNS1_3gpuE0ELNS1_3repE0EEENS1_38merge_mergepath_config_static_selectorELNS0_4arch9wavefront6targetE1EEEvSK_,comdat
.Lfunc_end3270:
	.size	_ZN7rocprim17ROCPRIM_400000_NS6detail17trampoline_kernelINS0_14default_configENS1_38merge_sort_block_merge_config_selectorIlNS0_10empty_typeEEEZZNS1_27merge_sort_block_merge_implIS3_N6thrust23THRUST_200600_302600_NS6detail15normal_iteratorINS9_10device_ptrIlEEEEPS5_m14custom_greaterIlEEE10hipError_tT0_T1_T2_jT3_P12ihipStream_tbPNSt15iterator_traitsISJ_E10value_typeEPNSP_ISK_E10value_typeEPSL_NS1_7vsmem_tEENKUlT_SJ_SK_SL_E_clISE_PlSF_SF_EESI_SY_SJ_SK_SL_EUlSY_E0_NS1_11comp_targetILNS1_3genE0ELNS1_11target_archE4294967295ELNS1_3gpuE0ELNS1_3repE0EEENS1_38merge_mergepath_config_static_selectorELNS0_4arch9wavefront6targetE1EEEvSK_, .Lfunc_end3270-_ZN7rocprim17ROCPRIM_400000_NS6detail17trampoline_kernelINS0_14default_configENS1_38merge_sort_block_merge_config_selectorIlNS0_10empty_typeEEEZZNS1_27merge_sort_block_merge_implIS3_N6thrust23THRUST_200600_302600_NS6detail15normal_iteratorINS9_10device_ptrIlEEEEPS5_m14custom_greaterIlEEE10hipError_tT0_T1_T2_jT3_P12ihipStream_tbPNSt15iterator_traitsISJ_E10value_typeEPNSP_ISK_E10value_typeEPSL_NS1_7vsmem_tEENKUlT_SJ_SK_SL_E_clISE_PlSF_SF_EESI_SY_SJ_SK_SL_EUlSY_E0_NS1_11comp_targetILNS1_3genE0ELNS1_11target_archE4294967295ELNS1_3gpuE0ELNS1_3repE0EEENS1_38merge_mergepath_config_static_selectorELNS0_4arch9wavefront6targetE1EEEvSK_
                                        ; -- End function
	.section	.AMDGPU.csdata,"",@progbits
; Kernel info:
; codeLenInByte = 0
; NumSgprs: 4
; NumVgprs: 0
; NumAgprs: 0
; TotalNumVgprs: 0
; ScratchSize: 0
; MemoryBound: 0
; FloatMode: 240
; IeeeMode: 1
; LDSByteSize: 0 bytes/workgroup (compile time only)
; SGPRBlocks: 0
; VGPRBlocks: 0
; NumSGPRsForWavesPerEU: 4
; NumVGPRsForWavesPerEU: 1
; AccumOffset: 4
; Occupancy: 8
; WaveLimiterHint : 0
; COMPUTE_PGM_RSRC2:SCRATCH_EN: 0
; COMPUTE_PGM_RSRC2:USER_SGPR: 6
; COMPUTE_PGM_RSRC2:TRAP_HANDLER: 0
; COMPUTE_PGM_RSRC2:TGID_X_EN: 1
; COMPUTE_PGM_RSRC2:TGID_Y_EN: 0
; COMPUTE_PGM_RSRC2:TGID_Z_EN: 0
; COMPUTE_PGM_RSRC2:TIDIG_COMP_CNT: 0
; COMPUTE_PGM_RSRC3_GFX90A:ACCUM_OFFSET: 0
; COMPUTE_PGM_RSRC3_GFX90A:TG_SPLIT: 0
	.section	.text._ZN7rocprim17ROCPRIM_400000_NS6detail17trampoline_kernelINS0_14default_configENS1_38merge_sort_block_merge_config_selectorIlNS0_10empty_typeEEEZZNS1_27merge_sort_block_merge_implIS3_N6thrust23THRUST_200600_302600_NS6detail15normal_iteratorINS9_10device_ptrIlEEEEPS5_m14custom_greaterIlEEE10hipError_tT0_T1_T2_jT3_P12ihipStream_tbPNSt15iterator_traitsISJ_E10value_typeEPNSP_ISK_E10value_typeEPSL_NS1_7vsmem_tEENKUlT_SJ_SK_SL_E_clISE_PlSF_SF_EESI_SY_SJ_SK_SL_EUlSY_E0_NS1_11comp_targetILNS1_3genE10ELNS1_11target_archE1201ELNS1_3gpuE5ELNS1_3repE0EEENS1_38merge_mergepath_config_static_selectorELNS0_4arch9wavefront6targetE1EEEvSK_,"axG",@progbits,_ZN7rocprim17ROCPRIM_400000_NS6detail17trampoline_kernelINS0_14default_configENS1_38merge_sort_block_merge_config_selectorIlNS0_10empty_typeEEEZZNS1_27merge_sort_block_merge_implIS3_N6thrust23THRUST_200600_302600_NS6detail15normal_iteratorINS9_10device_ptrIlEEEEPS5_m14custom_greaterIlEEE10hipError_tT0_T1_T2_jT3_P12ihipStream_tbPNSt15iterator_traitsISJ_E10value_typeEPNSP_ISK_E10value_typeEPSL_NS1_7vsmem_tEENKUlT_SJ_SK_SL_E_clISE_PlSF_SF_EESI_SY_SJ_SK_SL_EUlSY_E0_NS1_11comp_targetILNS1_3genE10ELNS1_11target_archE1201ELNS1_3gpuE5ELNS1_3repE0EEENS1_38merge_mergepath_config_static_selectorELNS0_4arch9wavefront6targetE1EEEvSK_,comdat
	.protected	_ZN7rocprim17ROCPRIM_400000_NS6detail17trampoline_kernelINS0_14default_configENS1_38merge_sort_block_merge_config_selectorIlNS0_10empty_typeEEEZZNS1_27merge_sort_block_merge_implIS3_N6thrust23THRUST_200600_302600_NS6detail15normal_iteratorINS9_10device_ptrIlEEEEPS5_m14custom_greaterIlEEE10hipError_tT0_T1_T2_jT3_P12ihipStream_tbPNSt15iterator_traitsISJ_E10value_typeEPNSP_ISK_E10value_typeEPSL_NS1_7vsmem_tEENKUlT_SJ_SK_SL_E_clISE_PlSF_SF_EESI_SY_SJ_SK_SL_EUlSY_E0_NS1_11comp_targetILNS1_3genE10ELNS1_11target_archE1201ELNS1_3gpuE5ELNS1_3repE0EEENS1_38merge_mergepath_config_static_selectorELNS0_4arch9wavefront6targetE1EEEvSK_ ; -- Begin function _ZN7rocprim17ROCPRIM_400000_NS6detail17trampoline_kernelINS0_14default_configENS1_38merge_sort_block_merge_config_selectorIlNS0_10empty_typeEEEZZNS1_27merge_sort_block_merge_implIS3_N6thrust23THRUST_200600_302600_NS6detail15normal_iteratorINS9_10device_ptrIlEEEEPS5_m14custom_greaterIlEEE10hipError_tT0_T1_T2_jT3_P12ihipStream_tbPNSt15iterator_traitsISJ_E10value_typeEPNSP_ISK_E10value_typeEPSL_NS1_7vsmem_tEENKUlT_SJ_SK_SL_E_clISE_PlSF_SF_EESI_SY_SJ_SK_SL_EUlSY_E0_NS1_11comp_targetILNS1_3genE10ELNS1_11target_archE1201ELNS1_3gpuE5ELNS1_3repE0EEENS1_38merge_mergepath_config_static_selectorELNS0_4arch9wavefront6targetE1EEEvSK_
	.globl	_ZN7rocprim17ROCPRIM_400000_NS6detail17trampoline_kernelINS0_14default_configENS1_38merge_sort_block_merge_config_selectorIlNS0_10empty_typeEEEZZNS1_27merge_sort_block_merge_implIS3_N6thrust23THRUST_200600_302600_NS6detail15normal_iteratorINS9_10device_ptrIlEEEEPS5_m14custom_greaterIlEEE10hipError_tT0_T1_T2_jT3_P12ihipStream_tbPNSt15iterator_traitsISJ_E10value_typeEPNSP_ISK_E10value_typeEPSL_NS1_7vsmem_tEENKUlT_SJ_SK_SL_E_clISE_PlSF_SF_EESI_SY_SJ_SK_SL_EUlSY_E0_NS1_11comp_targetILNS1_3genE10ELNS1_11target_archE1201ELNS1_3gpuE5ELNS1_3repE0EEENS1_38merge_mergepath_config_static_selectorELNS0_4arch9wavefront6targetE1EEEvSK_
	.p2align	8
	.type	_ZN7rocprim17ROCPRIM_400000_NS6detail17trampoline_kernelINS0_14default_configENS1_38merge_sort_block_merge_config_selectorIlNS0_10empty_typeEEEZZNS1_27merge_sort_block_merge_implIS3_N6thrust23THRUST_200600_302600_NS6detail15normal_iteratorINS9_10device_ptrIlEEEEPS5_m14custom_greaterIlEEE10hipError_tT0_T1_T2_jT3_P12ihipStream_tbPNSt15iterator_traitsISJ_E10value_typeEPNSP_ISK_E10value_typeEPSL_NS1_7vsmem_tEENKUlT_SJ_SK_SL_E_clISE_PlSF_SF_EESI_SY_SJ_SK_SL_EUlSY_E0_NS1_11comp_targetILNS1_3genE10ELNS1_11target_archE1201ELNS1_3gpuE5ELNS1_3repE0EEENS1_38merge_mergepath_config_static_selectorELNS0_4arch9wavefront6targetE1EEEvSK_,@function
_ZN7rocprim17ROCPRIM_400000_NS6detail17trampoline_kernelINS0_14default_configENS1_38merge_sort_block_merge_config_selectorIlNS0_10empty_typeEEEZZNS1_27merge_sort_block_merge_implIS3_N6thrust23THRUST_200600_302600_NS6detail15normal_iteratorINS9_10device_ptrIlEEEEPS5_m14custom_greaterIlEEE10hipError_tT0_T1_T2_jT3_P12ihipStream_tbPNSt15iterator_traitsISJ_E10value_typeEPNSP_ISK_E10value_typeEPSL_NS1_7vsmem_tEENKUlT_SJ_SK_SL_E_clISE_PlSF_SF_EESI_SY_SJ_SK_SL_EUlSY_E0_NS1_11comp_targetILNS1_3genE10ELNS1_11target_archE1201ELNS1_3gpuE5ELNS1_3repE0EEENS1_38merge_mergepath_config_static_selectorELNS0_4arch9wavefront6targetE1EEEvSK_: ; @_ZN7rocprim17ROCPRIM_400000_NS6detail17trampoline_kernelINS0_14default_configENS1_38merge_sort_block_merge_config_selectorIlNS0_10empty_typeEEEZZNS1_27merge_sort_block_merge_implIS3_N6thrust23THRUST_200600_302600_NS6detail15normal_iteratorINS9_10device_ptrIlEEEEPS5_m14custom_greaterIlEEE10hipError_tT0_T1_T2_jT3_P12ihipStream_tbPNSt15iterator_traitsISJ_E10value_typeEPNSP_ISK_E10value_typeEPSL_NS1_7vsmem_tEENKUlT_SJ_SK_SL_E_clISE_PlSF_SF_EESI_SY_SJ_SK_SL_EUlSY_E0_NS1_11comp_targetILNS1_3genE10ELNS1_11target_archE1201ELNS1_3gpuE5ELNS1_3repE0EEENS1_38merge_mergepath_config_static_selectorELNS0_4arch9wavefront6targetE1EEEvSK_
; %bb.0:
	.section	.rodata,"a",@progbits
	.p2align	6, 0x0
	.amdhsa_kernel _ZN7rocprim17ROCPRIM_400000_NS6detail17trampoline_kernelINS0_14default_configENS1_38merge_sort_block_merge_config_selectorIlNS0_10empty_typeEEEZZNS1_27merge_sort_block_merge_implIS3_N6thrust23THRUST_200600_302600_NS6detail15normal_iteratorINS9_10device_ptrIlEEEEPS5_m14custom_greaterIlEEE10hipError_tT0_T1_T2_jT3_P12ihipStream_tbPNSt15iterator_traitsISJ_E10value_typeEPNSP_ISK_E10value_typeEPSL_NS1_7vsmem_tEENKUlT_SJ_SK_SL_E_clISE_PlSF_SF_EESI_SY_SJ_SK_SL_EUlSY_E0_NS1_11comp_targetILNS1_3genE10ELNS1_11target_archE1201ELNS1_3gpuE5ELNS1_3repE0EEENS1_38merge_mergepath_config_static_selectorELNS0_4arch9wavefront6targetE1EEEvSK_
		.amdhsa_group_segment_fixed_size 0
		.amdhsa_private_segment_fixed_size 0
		.amdhsa_kernarg_size 72
		.amdhsa_user_sgpr_count 6
		.amdhsa_user_sgpr_private_segment_buffer 1
		.amdhsa_user_sgpr_dispatch_ptr 0
		.amdhsa_user_sgpr_queue_ptr 0
		.amdhsa_user_sgpr_kernarg_segment_ptr 1
		.amdhsa_user_sgpr_dispatch_id 0
		.amdhsa_user_sgpr_flat_scratch_init 0
		.amdhsa_user_sgpr_kernarg_preload_length 0
		.amdhsa_user_sgpr_kernarg_preload_offset 0
		.amdhsa_user_sgpr_private_segment_size 0
		.amdhsa_uses_dynamic_stack 0
		.amdhsa_system_sgpr_private_segment_wavefront_offset 0
		.amdhsa_system_sgpr_workgroup_id_x 1
		.amdhsa_system_sgpr_workgroup_id_y 0
		.amdhsa_system_sgpr_workgroup_id_z 0
		.amdhsa_system_sgpr_workgroup_info 0
		.amdhsa_system_vgpr_workitem_id 0
		.amdhsa_next_free_vgpr 1
		.amdhsa_next_free_sgpr 0
		.amdhsa_accum_offset 4
		.amdhsa_reserve_vcc 0
		.amdhsa_reserve_flat_scratch 0
		.amdhsa_float_round_mode_32 0
		.amdhsa_float_round_mode_16_64 0
		.amdhsa_float_denorm_mode_32 3
		.amdhsa_float_denorm_mode_16_64 3
		.amdhsa_dx10_clamp 1
		.amdhsa_ieee_mode 1
		.amdhsa_fp16_overflow 0
		.amdhsa_tg_split 0
		.amdhsa_exception_fp_ieee_invalid_op 0
		.amdhsa_exception_fp_denorm_src 0
		.amdhsa_exception_fp_ieee_div_zero 0
		.amdhsa_exception_fp_ieee_overflow 0
		.amdhsa_exception_fp_ieee_underflow 0
		.amdhsa_exception_fp_ieee_inexact 0
		.amdhsa_exception_int_div_zero 0
	.end_amdhsa_kernel
	.section	.text._ZN7rocprim17ROCPRIM_400000_NS6detail17trampoline_kernelINS0_14default_configENS1_38merge_sort_block_merge_config_selectorIlNS0_10empty_typeEEEZZNS1_27merge_sort_block_merge_implIS3_N6thrust23THRUST_200600_302600_NS6detail15normal_iteratorINS9_10device_ptrIlEEEEPS5_m14custom_greaterIlEEE10hipError_tT0_T1_T2_jT3_P12ihipStream_tbPNSt15iterator_traitsISJ_E10value_typeEPNSP_ISK_E10value_typeEPSL_NS1_7vsmem_tEENKUlT_SJ_SK_SL_E_clISE_PlSF_SF_EESI_SY_SJ_SK_SL_EUlSY_E0_NS1_11comp_targetILNS1_3genE10ELNS1_11target_archE1201ELNS1_3gpuE5ELNS1_3repE0EEENS1_38merge_mergepath_config_static_selectorELNS0_4arch9wavefront6targetE1EEEvSK_,"axG",@progbits,_ZN7rocprim17ROCPRIM_400000_NS6detail17trampoline_kernelINS0_14default_configENS1_38merge_sort_block_merge_config_selectorIlNS0_10empty_typeEEEZZNS1_27merge_sort_block_merge_implIS3_N6thrust23THRUST_200600_302600_NS6detail15normal_iteratorINS9_10device_ptrIlEEEEPS5_m14custom_greaterIlEEE10hipError_tT0_T1_T2_jT3_P12ihipStream_tbPNSt15iterator_traitsISJ_E10value_typeEPNSP_ISK_E10value_typeEPSL_NS1_7vsmem_tEENKUlT_SJ_SK_SL_E_clISE_PlSF_SF_EESI_SY_SJ_SK_SL_EUlSY_E0_NS1_11comp_targetILNS1_3genE10ELNS1_11target_archE1201ELNS1_3gpuE5ELNS1_3repE0EEENS1_38merge_mergepath_config_static_selectorELNS0_4arch9wavefront6targetE1EEEvSK_,comdat
.Lfunc_end3271:
	.size	_ZN7rocprim17ROCPRIM_400000_NS6detail17trampoline_kernelINS0_14default_configENS1_38merge_sort_block_merge_config_selectorIlNS0_10empty_typeEEEZZNS1_27merge_sort_block_merge_implIS3_N6thrust23THRUST_200600_302600_NS6detail15normal_iteratorINS9_10device_ptrIlEEEEPS5_m14custom_greaterIlEEE10hipError_tT0_T1_T2_jT3_P12ihipStream_tbPNSt15iterator_traitsISJ_E10value_typeEPNSP_ISK_E10value_typeEPSL_NS1_7vsmem_tEENKUlT_SJ_SK_SL_E_clISE_PlSF_SF_EESI_SY_SJ_SK_SL_EUlSY_E0_NS1_11comp_targetILNS1_3genE10ELNS1_11target_archE1201ELNS1_3gpuE5ELNS1_3repE0EEENS1_38merge_mergepath_config_static_selectorELNS0_4arch9wavefront6targetE1EEEvSK_, .Lfunc_end3271-_ZN7rocprim17ROCPRIM_400000_NS6detail17trampoline_kernelINS0_14default_configENS1_38merge_sort_block_merge_config_selectorIlNS0_10empty_typeEEEZZNS1_27merge_sort_block_merge_implIS3_N6thrust23THRUST_200600_302600_NS6detail15normal_iteratorINS9_10device_ptrIlEEEEPS5_m14custom_greaterIlEEE10hipError_tT0_T1_T2_jT3_P12ihipStream_tbPNSt15iterator_traitsISJ_E10value_typeEPNSP_ISK_E10value_typeEPSL_NS1_7vsmem_tEENKUlT_SJ_SK_SL_E_clISE_PlSF_SF_EESI_SY_SJ_SK_SL_EUlSY_E0_NS1_11comp_targetILNS1_3genE10ELNS1_11target_archE1201ELNS1_3gpuE5ELNS1_3repE0EEENS1_38merge_mergepath_config_static_selectorELNS0_4arch9wavefront6targetE1EEEvSK_
                                        ; -- End function
	.section	.AMDGPU.csdata,"",@progbits
; Kernel info:
; codeLenInByte = 0
; NumSgprs: 4
; NumVgprs: 0
; NumAgprs: 0
; TotalNumVgprs: 0
; ScratchSize: 0
; MemoryBound: 0
; FloatMode: 240
; IeeeMode: 1
; LDSByteSize: 0 bytes/workgroup (compile time only)
; SGPRBlocks: 0
; VGPRBlocks: 0
; NumSGPRsForWavesPerEU: 4
; NumVGPRsForWavesPerEU: 1
; AccumOffset: 4
; Occupancy: 8
; WaveLimiterHint : 0
; COMPUTE_PGM_RSRC2:SCRATCH_EN: 0
; COMPUTE_PGM_RSRC2:USER_SGPR: 6
; COMPUTE_PGM_RSRC2:TRAP_HANDLER: 0
; COMPUTE_PGM_RSRC2:TGID_X_EN: 1
; COMPUTE_PGM_RSRC2:TGID_Y_EN: 0
; COMPUTE_PGM_RSRC2:TGID_Z_EN: 0
; COMPUTE_PGM_RSRC2:TIDIG_COMP_CNT: 0
; COMPUTE_PGM_RSRC3_GFX90A:ACCUM_OFFSET: 0
; COMPUTE_PGM_RSRC3_GFX90A:TG_SPLIT: 0
	.section	.text._ZN7rocprim17ROCPRIM_400000_NS6detail17trampoline_kernelINS0_14default_configENS1_38merge_sort_block_merge_config_selectorIlNS0_10empty_typeEEEZZNS1_27merge_sort_block_merge_implIS3_N6thrust23THRUST_200600_302600_NS6detail15normal_iteratorINS9_10device_ptrIlEEEEPS5_m14custom_greaterIlEEE10hipError_tT0_T1_T2_jT3_P12ihipStream_tbPNSt15iterator_traitsISJ_E10value_typeEPNSP_ISK_E10value_typeEPSL_NS1_7vsmem_tEENKUlT_SJ_SK_SL_E_clISE_PlSF_SF_EESI_SY_SJ_SK_SL_EUlSY_E0_NS1_11comp_targetILNS1_3genE5ELNS1_11target_archE942ELNS1_3gpuE9ELNS1_3repE0EEENS1_38merge_mergepath_config_static_selectorELNS0_4arch9wavefront6targetE1EEEvSK_,"axG",@progbits,_ZN7rocprim17ROCPRIM_400000_NS6detail17trampoline_kernelINS0_14default_configENS1_38merge_sort_block_merge_config_selectorIlNS0_10empty_typeEEEZZNS1_27merge_sort_block_merge_implIS3_N6thrust23THRUST_200600_302600_NS6detail15normal_iteratorINS9_10device_ptrIlEEEEPS5_m14custom_greaterIlEEE10hipError_tT0_T1_T2_jT3_P12ihipStream_tbPNSt15iterator_traitsISJ_E10value_typeEPNSP_ISK_E10value_typeEPSL_NS1_7vsmem_tEENKUlT_SJ_SK_SL_E_clISE_PlSF_SF_EESI_SY_SJ_SK_SL_EUlSY_E0_NS1_11comp_targetILNS1_3genE5ELNS1_11target_archE942ELNS1_3gpuE9ELNS1_3repE0EEENS1_38merge_mergepath_config_static_selectorELNS0_4arch9wavefront6targetE1EEEvSK_,comdat
	.protected	_ZN7rocprim17ROCPRIM_400000_NS6detail17trampoline_kernelINS0_14default_configENS1_38merge_sort_block_merge_config_selectorIlNS0_10empty_typeEEEZZNS1_27merge_sort_block_merge_implIS3_N6thrust23THRUST_200600_302600_NS6detail15normal_iteratorINS9_10device_ptrIlEEEEPS5_m14custom_greaterIlEEE10hipError_tT0_T1_T2_jT3_P12ihipStream_tbPNSt15iterator_traitsISJ_E10value_typeEPNSP_ISK_E10value_typeEPSL_NS1_7vsmem_tEENKUlT_SJ_SK_SL_E_clISE_PlSF_SF_EESI_SY_SJ_SK_SL_EUlSY_E0_NS1_11comp_targetILNS1_3genE5ELNS1_11target_archE942ELNS1_3gpuE9ELNS1_3repE0EEENS1_38merge_mergepath_config_static_selectorELNS0_4arch9wavefront6targetE1EEEvSK_ ; -- Begin function _ZN7rocprim17ROCPRIM_400000_NS6detail17trampoline_kernelINS0_14default_configENS1_38merge_sort_block_merge_config_selectorIlNS0_10empty_typeEEEZZNS1_27merge_sort_block_merge_implIS3_N6thrust23THRUST_200600_302600_NS6detail15normal_iteratorINS9_10device_ptrIlEEEEPS5_m14custom_greaterIlEEE10hipError_tT0_T1_T2_jT3_P12ihipStream_tbPNSt15iterator_traitsISJ_E10value_typeEPNSP_ISK_E10value_typeEPSL_NS1_7vsmem_tEENKUlT_SJ_SK_SL_E_clISE_PlSF_SF_EESI_SY_SJ_SK_SL_EUlSY_E0_NS1_11comp_targetILNS1_3genE5ELNS1_11target_archE942ELNS1_3gpuE9ELNS1_3repE0EEENS1_38merge_mergepath_config_static_selectorELNS0_4arch9wavefront6targetE1EEEvSK_
	.globl	_ZN7rocprim17ROCPRIM_400000_NS6detail17trampoline_kernelINS0_14default_configENS1_38merge_sort_block_merge_config_selectorIlNS0_10empty_typeEEEZZNS1_27merge_sort_block_merge_implIS3_N6thrust23THRUST_200600_302600_NS6detail15normal_iteratorINS9_10device_ptrIlEEEEPS5_m14custom_greaterIlEEE10hipError_tT0_T1_T2_jT3_P12ihipStream_tbPNSt15iterator_traitsISJ_E10value_typeEPNSP_ISK_E10value_typeEPSL_NS1_7vsmem_tEENKUlT_SJ_SK_SL_E_clISE_PlSF_SF_EESI_SY_SJ_SK_SL_EUlSY_E0_NS1_11comp_targetILNS1_3genE5ELNS1_11target_archE942ELNS1_3gpuE9ELNS1_3repE0EEENS1_38merge_mergepath_config_static_selectorELNS0_4arch9wavefront6targetE1EEEvSK_
	.p2align	8
	.type	_ZN7rocprim17ROCPRIM_400000_NS6detail17trampoline_kernelINS0_14default_configENS1_38merge_sort_block_merge_config_selectorIlNS0_10empty_typeEEEZZNS1_27merge_sort_block_merge_implIS3_N6thrust23THRUST_200600_302600_NS6detail15normal_iteratorINS9_10device_ptrIlEEEEPS5_m14custom_greaterIlEEE10hipError_tT0_T1_T2_jT3_P12ihipStream_tbPNSt15iterator_traitsISJ_E10value_typeEPNSP_ISK_E10value_typeEPSL_NS1_7vsmem_tEENKUlT_SJ_SK_SL_E_clISE_PlSF_SF_EESI_SY_SJ_SK_SL_EUlSY_E0_NS1_11comp_targetILNS1_3genE5ELNS1_11target_archE942ELNS1_3gpuE9ELNS1_3repE0EEENS1_38merge_mergepath_config_static_selectorELNS0_4arch9wavefront6targetE1EEEvSK_,@function
_ZN7rocprim17ROCPRIM_400000_NS6detail17trampoline_kernelINS0_14default_configENS1_38merge_sort_block_merge_config_selectorIlNS0_10empty_typeEEEZZNS1_27merge_sort_block_merge_implIS3_N6thrust23THRUST_200600_302600_NS6detail15normal_iteratorINS9_10device_ptrIlEEEEPS5_m14custom_greaterIlEEE10hipError_tT0_T1_T2_jT3_P12ihipStream_tbPNSt15iterator_traitsISJ_E10value_typeEPNSP_ISK_E10value_typeEPSL_NS1_7vsmem_tEENKUlT_SJ_SK_SL_E_clISE_PlSF_SF_EESI_SY_SJ_SK_SL_EUlSY_E0_NS1_11comp_targetILNS1_3genE5ELNS1_11target_archE942ELNS1_3gpuE9ELNS1_3repE0EEENS1_38merge_mergepath_config_static_selectorELNS0_4arch9wavefront6targetE1EEEvSK_: ; @_ZN7rocprim17ROCPRIM_400000_NS6detail17trampoline_kernelINS0_14default_configENS1_38merge_sort_block_merge_config_selectorIlNS0_10empty_typeEEEZZNS1_27merge_sort_block_merge_implIS3_N6thrust23THRUST_200600_302600_NS6detail15normal_iteratorINS9_10device_ptrIlEEEEPS5_m14custom_greaterIlEEE10hipError_tT0_T1_T2_jT3_P12ihipStream_tbPNSt15iterator_traitsISJ_E10value_typeEPNSP_ISK_E10value_typeEPSL_NS1_7vsmem_tEENKUlT_SJ_SK_SL_E_clISE_PlSF_SF_EESI_SY_SJ_SK_SL_EUlSY_E0_NS1_11comp_targetILNS1_3genE5ELNS1_11target_archE942ELNS1_3gpuE9ELNS1_3repE0EEENS1_38merge_mergepath_config_static_selectorELNS0_4arch9wavefront6targetE1EEEvSK_
; %bb.0:
	.section	.rodata,"a",@progbits
	.p2align	6, 0x0
	.amdhsa_kernel _ZN7rocprim17ROCPRIM_400000_NS6detail17trampoline_kernelINS0_14default_configENS1_38merge_sort_block_merge_config_selectorIlNS0_10empty_typeEEEZZNS1_27merge_sort_block_merge_implIS3_N6thrust23THRUST_200600_302600_NS6detail15normal_iteratorINS9_10device_ptrIlEEEEPS5_m14custom_greaterIlEEE10hipError_tT0_T1_T2_jT3_P12ihipStream_tbPNSt15iterator_traitsISJ_E10value_typeEPNSP_ISK_E10value_typeEPSL_NS1_7vsmem_tEENKUlT_SJ_SK_SL_E_clISE_PlSF_SF_EESI_SY_SJ_SK_SL_EUlSY_E0_NS1_11comp_targetILNS1_3genE5ELNS1_11target_archE942ELNS1_3gpuE9ELNS1_3repE0EEENS1_38merge_mergepath_config_static_selectorELNS0_4arch9wavefront6targetE1EEEvSK_
		.amdhsa_group_segment_fixed_size 0
		.amdhsa_private_segment_fixed_size 0
		.amdhsa_kernarg_size 72
		.amdhsa_user_sgpr_count 6
		.amdhsa_user_sgpr_private_segment_buffer 1
		.amdhsa_user_sgpr_dispatch_ptr 0
		.amdhsa_user_sgpr_queue_ptr 0
		.amdhsa_user_sgpr_kernarg_segment_ptr 1
		.amdhsa_user_sgpr_dispatch_id 0
		.amdhsa_user_sgpr_flat_scratch_init 0
		.amdhsa_user_sgpr_kernarg_preload_length 0
		.amdhsa_user_sgpr_kernarg_preload_offset 0
		.amdhsa_user_sgpr_private_segment_size 0
		.amdhsa_uses_dynamic_stack 0
		.amdhsa_system_sgpr_private_segment_wavefront_offset 0
		.amdhsa_system_sgpr_workgroup_id_x 1
		.amdhsa_system_sgpr_workgroup_id_y 0
		.amdhsa_system_sgpr_workgroup_id_z 0
		.amdhsa_system_sgpr_workgroup_info 0
		.amdhsa_system_vgpr_workitem_id 0
		.amdhsa_next_free_vgpr 1
		.amdhsa_next_free_sgpr 0
		.amdhsa_accum_offset 4
		.amdhsa_reserve_vcc 0
		.amdhsa_reserve_flat_scratch 0
		.amdhsa_float_round_mode_32 0
		.amdhsa_float_round_mode_16_64 0
		.amdhsa_float_denorm_mode_32 3
		.amdhsa_float_denorm_mode_16_64 3
		.amdhsa_dx10_clamp 1
		.amdhsa_ieee_mode 1
		.amdhsa_fp16_overflow 0
		.amdhsa_tg_split 0
		.amdhsa_exception_fp_ieee_invalid_op 0
		.amdhsa_exception_fp_denorm_src 0
		.amdhsa_exception_fp_ieee_div_zero 0
		.amdhsa_exception_fp_ieee_overflow 0
		.amdhsa_exception_fp_ieee_underflow 0
		.amdhsa_exception_fp_ieee_inexact 0
		.amdhsa_exception_int_div_zero 0
	.end_amdhsa_kernel
	.section	.text._ZN7rocprim17ROCPRIM_400000_NS6detail17trampoline_kernelINS0_14default_configENS1_38merge_sort_block_merge_config_selectorIlNS0_10empty_typeEEEZZNS1_27merge_sort_block_merge_implIS3_N6thrust23THRUST_200600_302600_NS6detail15normal_iteratorINS9_10device_ptrIlEEEEPS5_m14custom_greaterIlEEE10hipError_tT0_T1_T2_jT3_P12ihipStream_tbPNSt15iterator_traitsISJ_E10value_typeEPNSP_ISK_E10value_typeEPSL_NS1_7vsmem_tEENKUlT_SJ_SK_SL_E_clISE_PlSF_SF_EESI_SY_SJ_SK_SL_EUlSY_E0_NS1_11comp_targetILNS1_3genE5ELNS1_11target_archE942ELNS1_3gpuE9ELNS1_3repE0EEENS1_38merge_mergepath_config_static_selectorELNS0_4arch9wavefront6targetE1EEEvSK_,"axG",@progbits,_ZN7rocprim17ROCPRIM_400000_NS6detail17trampoline_kernelINS0_14default_configENS1_38merge_sort_block_merge_config_selectorIlNS0_10empty_typeEEEZZNS1_27merge_sort_block_merge_implIS3_N6thrust23THRUST_200600_302600_NS6detail15normal_iteratorINS9_10device_ptrIlEEEEPS5_m14custom_greaterIlEEE10hipError_tT0_T1_T2_jT3_P12ihipStream_tbPNSt15iterator_traitsISJ_E10value_typeEPNSP_ISK_E10value_typeEPSL_NS1_7vsmem_tEENKUlT_SJ_SK_SL_E_clISE_PlSF_SF_EESI_SY_SJ_SK_SL_EUlSY_E0_NS1_11comp_targetILNS1_3genE5ELNS1_11target_archE942ELNS1_3gpuE9ELNS1_3repE0EEENS1_38merge_mergepath_config_static_selectorELNS0_4arch9wavefront6targetE1EEEvSK_,comdat
.Lfunc_end3272:
	.size	_ZN7rocprim17ROCPRIM_400000_NS6detail17trampoline_kernelINS0_14default_configENS1_38merge_sort_block_merge_config_selectorIlNS0_10empty_typeEEEZZNS1_27merge_sort_block_merge_implIS3_N6thrust23THRUST_200600_302600_NS6detail15normal_iteratorINS9_10device_ptrIlEEEEPS5_m14custom_greaterIlEEE10hipError_tT0_T1_T2_jT3_P12ihipStream_tbPNSt15iterator_traitsISJ_E10value_typeEPNSP_ISK_E10value_typeEPSL_NS1_7vsmem_tEENKUlT_SJ_SK_SL_E_clISE_PlSF_SF_EESI_SY_SJ_SK_SL_EUlSY_E0_NS1_11comp_targetILNS1_3genE5ELNS1_11target_archE942ELNS1_3gpuE9ELNS1_3repE0EEENS1_38merge_mergepath_config_static_selectorELNS0_4arch9wavefront6targetE1EEEvSK_, .Lfunc_end3272-_ZN7rocprim17ROCPRIM_400000_NS6detail17trampoline_kernelINS0_14default_configENS1_38merge_sort_block_merge_config_selectorIlNS0_10empty_typeEEEZZNS1_27merge_sort_block_merge_implIS3_N6thrust23THRUST_200600_302600_NS6detail15normal_iteratorINS9_10device_ptrIlEEEEPS5_m14custom_greaterIlEEE10hipError_tT0_T1_T2_jT3_P12ihipStream_tbPNSt15iterator_traitsISJ_E10value_typeEPNSP_ISK_E10value_typeEPSL_NS1_7vsmem_tEENKUlT_SJ_SK_SL_E_clISE_PlSF_SF_EESI_SY_SJ_SK_SL_EUlSY_E0_NS1_11comp_targetILNS1_3genE5ELNS1_11target_archE942ELNS1_3gpuE9ELNS1_3repE0EEENS1_38merge_mergepath_config_static_selectorELNS0_4arch9wavefront6targetE1EEEvSK_
                                        ; -- End function
	.section	.AMDGPU.csdata,"",@progbits
; Kernel info:
; codeLenInByte = 0
; NumSgprs: 4
; NumVgprs: 0
; NumAgprs: 0
; TotalNumVgprs: 0
; ScratchSize: 0
; MemoryBound: 0
; FloatMode: 240
; IeeeMode: 1
; LDSByteSize: 0 bytes/workgroup (compile time only)
; SGPRBlocks: 0
; VGPRBlocks: 0
; NumSGPRsForWavesPerEU: 4
; NumVGPRsForWavesPerEU: 1
; AccumOffset: 4
; Occupancy: 8
; WaveLimiterHint : 0
; COMPUTE_PGM_RSRC2:SCRATCH_EN: 0
; COMPUTE_PGM_RSRC2:USER_SGPR: 6
; COMPUTE_PGM_RSRC2:TRAP_HANDLER: 0
; COMPUTE_PGM_RSRC2:TGID_X_EN: 1
; COMPUTE_PGM_RSRC2:TGID_Y_EN: 0
; COMPUTE_PGM_RSRC2:TGID_Z_EN: 0
; COMPUTE_PGM_RSRC2:TIDIG_COMP_CNT: 0
; COMPUTE_PGM_RSRC3_GFX90A:ACCUM_OFFSET: 0
; COMPUTE_PGM_RSRC3_GFX90A:TG_SPLIT: 0
	.section	.text._ZN7rocprim17ROCPRIM_400000_NS6detail17trampoline_kernelINS0_14default_configENS1_38merge_sort_block_merge_config_selectorIlNS0_10empty_typeEEEZZNS1_27merge_sort_block_merge_implIS3_N6thrust23THRUST_200600_302600_NS6detail15normal_iteratorINS9_10device_ptrIlEEEEPS5_m14custom_greaterIlEEE10hipError_tT0_T1_T2_jT3_P12ihipStream_tbPNSt15iterator_traitsISJ_E10value_typeEPNSP_ISK_E10value_typeEPSL_NS1_7vsmem_tEENKUlT_SJ_SK_SL_E_clISE_PlSF_SF_EESI_SY_SJ_SK_SL_EUlSY_E0_NS1_11comp_targetILNS1_3genE4ELNS1_11target_archE910ELNS1_3gpuE8ELNS1_3repE0EEENS1_38merge_mergepath_config_static_selectorELNS0_4arch9wavefront6targetE1EEEvSK_,"axG",@progbits,_ZN7rocprim17ROCPRIM_400000_NS6detail17trampoline_kernelINS0_14default_configENS1_38merge_sort_block_merge_config_selectorIlNS0_10empty_typeEEEZZNS1_27merge_sort_block_merge_implIS3_N6thrust23THRUST_200600_302600_NS6detail15normal_iteratorINS9_10device_ptrIlEEEEPS5_m14custom_greaterIlEEE10hipError_tT0_T1_T2_jT3_P12ihipStream_tbPNSt15iterator_traitsISJ_E10value_typeEPNSP_ISK_E10value_typeEPSL_NS1_7vsmem_tEENKUlT_SJ_SK_SL_E_clISE_PlSF_SF_EESI_SY_SJ_SK_SL_EUlSY_E0_NS1_11comp_targetILNS1_3genE4ELNS1_11target_archE910ELNS1_3gpuE8ELNS1_3repE0EEENS1_38merge_mergepath_config_static_selectorELNS0_4arch9wavefront6targetE1EEEvSK_,comdat
	.protected	_ZN7rocprim17ROCPRIM_400000_NS6detail17trampoline_kernelINS0_14default_configENS1_38merge_sort_block_merge_config_selectorIlNS0_10empty_typeEEEZZNS1_27merge_sort_block_merge_implIS3_N6thrust23THRUST_200600_302600_NS6detail15normal_iteratorINS9_10device_ptrIlEEEEPS5_m14custom_greaterIlEEE10hipError_tT0_T1_T2_jT3_P12ihipStream_tbPNSt15iterator_traitsISJ_E10value_typeEPNSP_ISK_E10value_typeEPSL_NS1_7vsmem_tEENKUlT_SJ_SK_SL_E_clISE_PlSF_SF_EESI_SY_SJ_SK_SL_EUlSY_E0_NS1_11comp_targetILNS1_3genE4ELNS1_11target_archE910ELNS1_3gpuE8ELNS1_3repE0EEENS1_38merge_mergepath_config_static_selectorELNS0_4arch9wavefront6targetE1EEEvSK_ ; -- Begin function _ZN7rocprim17ROCPRIM_400000_NS6detail17trampoline_kernelINS0_14default_configENS1_38merge_sort_block_merge_config_selectorIlNS0_10empty_typeEEEZZNS1_27merge_sort_block_merge_implIS3_N6thrust23THRUST_200600_302600_NS6detail15normal_iteratorINS9_10device_ptrIlEEEEPS5_m14custom_greaterIlEEE10hipError_tT0_T1_T2_jT3_P12ihipStream_tbPNSt15iterator_traitsISJ_E10value_typeEPNSP_ISK_E10value_typeEPSL_NS1_7vsmem_tEENKUlT_SJ_SK_SL_E_clISE_PlSF_SF_EESI_SY_SJ_SK_SL_EUlSY_E0_NS1_11comp_targetILNS1_3genE4ELNS1_11target_archE910ELNS1_3gpuE8ELNS1_3repE0EEENS1_38merge_mergepath_config_static_selectorELNS0_4arch9wavefront6targetE1EEEvSK_
	.globl	_ZN7rocprim17ROCPRIM_400000_NS6detail17trampoline_kernelINS0_14default_configENS1_38merge_sort_block_merge_config_selectorIlNS0_10empty_typeEEEZZNS1_27merge_sort_block_merge_implIS3_N6thrust23THRUST_200600_302600_NS6detail15normal_iteratorINS9_10device_ptrIlEEEEPS5_m14custom_greaterIlEEE10hipError_tT0_T1_T2_jT3_P12ihipStream_tbPNSt15iterator_traitsISJ_E10value_typeEPNSP_ISK_E10value_typeEPSL_NS1_7vsmem_tEENKUlT_SJ_SK_SL_E_clISE_PlSF_SF_EESI_SY_SJ_SK_SL_EUlSY_E0_NS1_11comp_targetILNS1_3genE4ELNS1_11target_archE910ELNS1_3gpuE8ELNS1_3repE0EEENS1_38merge_mergepath_config_static_selectorELNS0_4arch9wavefront6targetE1EEEvSK_
	.p2align	8
	.type	_ZN7rocprim17ROCPRIM_400000_NS6detail17trampoline_kernelINS0_14default_configENS1_38merge_sort_block_merge_config_selectorIlNS0_10empty_typeEEEZZNS1_27merge_sort_block_merge_implIS3_N6thrust23THRUST_200600_302600_NS6detail15normal_iteratorINS9_10device_ptrIlEEEEPS5_m14custom_greaterIlEEE10hipError_tT0_T1_T2_jT3_P12ihipStream_tbPNSt15iterator_traitsISJ_E10value_typeEPNSP_ISK_E10value_typeEPSL_NS1_7vsmem_tEENKUlT_SJ_SK_SL_E_clISE_PlSF_SF_EESI_SY_SJ_SK_SL_EUlSY_E0_NS1_11comp_targetILNS1_3genE4ELNS1_11target_archE910ELNS1_3gpuE8ELNS1_3repE0EEENS1_38merge_mergepath_config_static_selectorELNS0_4arch9wavefront6targetE1EEEvSK_,@function
_ZN7rocprim17ROCPRIM_400000_NS6detail17trampoline_kernelINS0_14default_configENS1_38merge_sort_block_merge_config_selectorIlNS0_10empty_typeEEEZZNS1_27merge_sort_block_merge_implIS3_N6thrust23THRUST_200600_302600_NS6detail15normal_iteratorINS9_10device_ptrIlEEEEPS5_m14custom_greaterIlEEE10hipError_tT0_T1_T2_jT3_P12ihipStream_tbPNSt15iterator_traitsISJ_E10value_typeEPNSP_ISK_E10value_typeEPSL_NS1_7vsmem_tEENKUlT_SJ_SK_SL_E_clISE_PlSF_SF_EESI_SY_SJ_SK_SL_EUlSY_E0_NS1_11comp_targetILNS1_3genE4ELNS1_11target_archE910ELNS1_3gpuE8ELNS1_3repE0EEENS1_38merge_mergepath_config_static_selectorELNS0_4arch9wavefront6targetE1EEEvSK_: ; @_ZN7rocprim17ROCPRIM_400000_NS6detail17trampoline_kernelINS0_14default_configENS1_38merge_sort_block_merge_config_selectorIlNS0_10empty_typeEEEZZNS1_27merge_sort_block_merge_implIS3_N6thrust23THRUST_200600_302600_NS6detail15normal_iteratorINS9_10device_ptrIlEEEEPS5_m14custom_greaterIlEEE10hipError_tT0_T1_T2_jT3_P12ihipStream_tbPNSt15iterator_traitsISJ_E10value_typeEPNSP_ISK_E10value_typeEPSL_NS1_7vsmem_tEENKUlT_SJ_SK_SL_E_clISE_PlSF_SF_EESI_SY_SJ_SK_SL_EUlSY_E0_NS1_11comp_targetILNS1_3genE4ELNS1_11target_archE910ELNS1_3gpuE8ELNS1_3repE0EEENS1_38merge_mergepath_config_static_selectorELNS0_4arch9wavefront6targetE1EEEvSK_
; %bb.0:
	s_load_dwordx2 s[22:23], s[4:5], 0x48
	s_load_dword s0, s[4:5], 0x38
	s_add_u32 s18, s4, 0x48
	s_addc_u32 s19, s5, 0
	s_waitcnt lgkmcnt(0)
	s_mul_i32 s1, s23, s8
	s_add_i32 s1, s1, s7
	s_mul_i32 s1, s1, s22
	s_add_i32 s20, s1, s6
	s_cmp_ge_u32 s20, s0
	s_cbranch_scc1 .LBB3273_33
; %bb.1:
	s_load_dwordx2 s[0:1], s[4:5], 0x40
	s_load_dwordx4 s[12:15], s[4:5], 0x8
	s_load_dwordx4 s[8:11], s[4:5], 0x28
	s_mov_b32 s21, 0
	s_lshl_b64 s[2:3], s[20:21], 3
	s_waitcnt lgkmcnt(0)
	s_add_u32 s0, s0, s2
	s_addc_u32 s1, s1, s3
	v_mov_b32_e32 v1, s10
	v_alignbit_b32 v1, s11, v1, 9
	v_readfirstlane_b32 s4, v1
	s_and_b32 s4, s4, -2
	s_sub_i32 s30, 0, s4
	s_and_b32 s24, s20, s30
	s_mov_b32 s25, s21
	s_lshl_b64 s[4:5], s[24:25], 10
	s_lshl_b64 s[16:17], s[20:21], 10
	s_sub_u32 s7, s16, s4
	s_load_dwordx4 s[0:3], s[0:1], 0x0
	s_subb_u32 s23, s17, s5
	s_lshl_b64 s[24:25], s[24:25], 11
	s_add_u32 s24, s24, s10
	s_addc_u32 s25, s25, s11
	s_add_u32 s7, s24, s7
	s_addc_u32 s23, s25, s23
	s_waitcnt lgkmcnt(0)
	s_sub_u32 s26, s7, s2
	s_subb_u32 s3, s23, s3
	s_add_u32 s26, s26, 0x400
	s_addc_u32 s27, s3, 0
	v_pk_mov_b32 v[2:3], s[26:27], s[26:27] op_sel:[0,1]
	v_cmp_lt_u64_e32 vcc, s[8:9], v[2:3]
	s_and_b64 s[28:29], vcc, exec
	s_cselect_b32 s3, s8, s26
	s_or_b32 s26, s20, s30
	s_cmp_lg_u32 s26, -1
	s_cbranch_scc1 .LBB3273_3
; %bb.2:
	s_sub_u32 s4, s24, s4
	s_subb_u32 s5, s25, s5
	v_pk_mov_b32 v[2:3], s[4:5], s[4:5] op_sel:[0,1]
	v_cmp_lt_u64_e32 vcc, s[8:9], v[2:3]
	s_and_b64 s[2:3], vcc, exec
	s_cselect_b32 s2, s8, s4
	s_add_u32 s4, s4, s10
	s_addc_u32 s5, s5, s11
	v_pk_mov_b32 v[2:3], s[4:5], s[4:5] op_sel:[0,1]
	v_cmp_lt_u64_e32 vcc, s[8:9], v[2:3]
	s_and_b64 s[10:11], vcc, exec
	s_cselect_b32 s3, s8, s4
.LBB3273_3:
	s_lshr_b64 s[24:25], s[8:9], 10
	s_cmp_lg_u64 s[24:25], s[20:21]
	s_cselect_b64 s[10:11], -1, 0
	s_sub_u32 s4, s7, s0
	s_subb_u32 s5, s23, s1
	v_pk_mov_b32 v[2:3], s[4:5], s[4:5] op_sel:[0,1]
	v_cmp_lt_u64_e32 vcc, s[8:9], v[2:3]
	s_and_b64 s[26:27], vcc, exec
	s_cselect_b32 s26, s8, s4
	s_cselect_b32 s27, s9, s5
	s_sub_i32 s9, s2, s0
	s_sub_i32 s4, s3, s26
	s_lshl_b64 s[0:1], s[0:1], 3
	s_add_u32 s5, s12, s0
	s_addc_u32 s7, s13, s1
	s_lshl_b64 s[0:1], s[26:27], 3
	s_add_u32 s12, s12, s0
	s_addc_u32 s13, s13, s1
	s_cmp_lt_u32 s6, s22
	v_mov_b32_e32 v7, 0
	s_cselect_b32 s0, 12, 18
	global_load_dword v1, v7, s[18:19] offset:14
	s_add_u32 s0, s18, s0
	s_addc_u32 s1, s19, 0
	global_load_ushort v2, v7, s[0:1]
	s_cmp_eq_u64 s[24:25], s[20:21]
	s_waitcnt vmcnt(1)
	v_lshrrev_b32_e32 v3, 16, v1
	v_and_b32_e32 v1, 0xffff, v1
	v_mul_lo_u32 v1, v1, v3
	s_waitcnt vmcnt(0)
	v_mul_lo_u32 v15, v1, v2
	v_add_u32_e32 v12, v15, v0
	v_lshlrev_b32_e32 v1, 3, v0
	v_add_u32_e32 v10, v12, v15
	s_cbranch_scc1 .LBB3273_5
; %bb.4:
	v_subrev_u32_e32 v6, s9, v0
	v_lshlrev_b64 v[2:3], 3, v[6:7]
	v_mov_b32_e32 v4, s13
	v_add_co_u32_e32 v2, vcc, s12, v2
	v_addc_co_u32_e32 v3, vcc, v4, v3, vcc
	v_mov_b32_e32 v4, s7
	v_add_co_u32_e32 v5, vcc, s5, v1
	v_addc_co_u32_e32 v4, vcc, 0, v4, vcc
	v_cmp_gt_u32_e32 vcc, s9, v0
	v_subrev_u32_e32 v6, s9, v12
	v_cndmask_b32_e32 v3, v3, v4, vcc
	v_cndmask_b32_e32 v2, v2, v5, vcc
	v_lshlrev_b64 v[4:5], 3, v[6:7]
	v_mov_b32_e32 v6, s13
	v_add_co_u32_e32 v8, vcc, s12, v4
	v_mov_b32_e32 v13, v7
	v_addc_co_u32_e32 v6, vcc, v6, v5, vcc
	v_lshlrev_b64 v[4:5], 3, v[12:13]
	v_mov_b32_e32 v9, s7
	v_add_co_u32_e32 v4, vcc, s5, v4
	v_addc_co_u32_e32 v5, vcc, v9, v5, vcc
	v_cmp_gt_u32_e32 vcc, s9, v12
	v_cndmask_b32_e32 v5, v6, v5, vcc
	v_subrev_u32_e32 v6, s9, v10
	v_cndmask_b32_e32 v4, v8, v4, vcc
	v_lshlrev_b64 v[8:9], 3, v[6:7]
	v_mov_b32_e32 v6, s13
	v_add_co_u32_e32 v8, vcc, s12, v8
	v_mov_b32_e32 v11, v7
	v_addc_co_u32_e32 v9, vcc, v6, v9, vcc
	v_lshlrev_b64 v[6:7], 3, v[10:11]
	v_mov_b32_e32 v11, s7
	v_add_co_u32_e32 v6, vcc, s5, v6
	v_addc_co_u32_e32 v7, vcc, v11, v7, vcc
	v_cmp_gt_u32_e32 vcc, s9, v10
	v_cndmask_b32_e32 v7, v9, v7, vcc
	v_cndmask_b32_e32 v6, v8, v6, vcc
	global_load_dwordx2 v[2:3], v[2:3], off
	v_add_u32_e32 v14, v10, v15
	global_load_dwordx2 v[4:5], v[4:5], off
	s_add_i32 s6, s9, s4
	global_load_dwordx2 v[6:7], v[6:7], off
	s_mov_b64 s[0:1], -1
	s_cbranch_execz .LBB3273_6
	s_branch .LBB3273_11
.LBB3273_5:
	s_mov_b64 s[0:1], 0
                                        ; implicit-def: $vgpr14
                                        ; implicit-def: $vgpr2_vgpr3_vgpr4_vgpr5_vgpr6_vgpr7_vgpr8_vgpr9
                                        ; implicit-def: $sgpr6
.LBB3273_6:
	s_add_i32 s6, s9, s4
	v_cmp_gt_u32_e32 vcc, s6, v0
                                        ; implicit-def: $vgpr2_vgpr3_vgpr4_vgpr5_vgpr6_vgpr7_vgpr8_vgpr9
	s_and_saveexec_b64 s[0:1], vcc
	s_cbranch_execnz .LBB3273_34
; %bb.7:
	s_or_b64 exec, exec, s[0:1]
	v_cmp_gt_u32_e32 vcc, s6, v12
	s_and_saveexec_b64 s[2:3], vcc
	s_cbranch_execnz .LBB3273_35
.LBB3273_8:
	s_or_b64 exec, exec, s[2:3]
	v_cmp_gt_u32_e32 vcc, s6, v10
	s_and_saveexec_b64 s[0:1], vcc
	s_cbranch_execz .LBB3273_10
.LBB3273_9:
	v_mov_b32_e32 v11, 0
	s_waitcnt vmcnt(0)
	v_lshlrev_b64 v[6:7], 3, v[10:11]
	v_mov_b32_e32 v12, s7
	v_add_co_u32_e32 v13, vcc, s5, v6
	v_addc_co_u32_e32 v12, vcc, v12, v7, vcc
	v_subrev_u32_e32 v6, s9, v10
	v_mov_b32_e32 v7, v11
	v_lshlrev_b64 v[6:7], 3, v[6:7]
	v_mov_b32_e32 v11, s13
	v_add_co_u32_e32 v6, vcc, s12, v6
	v_addc_co_u32_e32 v7, vcc, v11, v7, vcc
	v_cmp_gt_u32_e32 vcc, s9, v10
	v_cndmask_b32_e32 v7, v7, v12, vcc
	v_cndmask_b32_e32 v6, v6, v13, vcc
	global_load_dwordx2 v[6:7], v[6:7], off
.LBB3273_10:
	s_or_b64 exec, exec, s[0:1]
	v_add_u32_e32 v14, v10, v15
	v_cmp_gt_u32_e64 s[0:1], s6, v14
.LBB3273_11:
	v_mov_b32_e32 v10, s6
	s_and_saveexec_b64 s[2:3], s[0:1]
	s_cbranch_execz .LBB3273_13
; %bb.12:
	v_subrev_u32_e32 v8, s9, v14
	v_mov_b32_e32 v9, 0
	v_lshlrev_b64 v[10:11], 3, v[8:9]
	v_mov_b32_e32 v8, s13
	v_add_co_u32_e32 v10, vcc, s12, v10
	v_mov_b32_e32 v15, v9
	v_addc_co_u32_e32 v11, vcc, v8, v11, vcc
	v_lshlrev_b64 v[8:9], 3, v[14:15]
	v_mov_b32_e32 v12, s7
	v_add_co_u32_e32 v8, vcc, s5, v8
	v_addc_co_u32_e32 v9, vcc, v12, v9, vcc
	v_cmp_gt_u32_e32 vcc, s9, v14
	v_cndmask_b32_e32 v9, v11, v9, vcc
	v_cndmask_b32_e32 v8, v10, v8, vcc
	global_load_dwordx2 v[8:9], v[8:9], off
	v_mov_b32_e32 v10, s6
.LBB3273_13:
	s_or_b64 exec, exec, s[2:3]
	v_lshlrev_b32_e32 v11, 2, v0
	v_min_u32_e32 v13, v10, v11
	v_sub_u32_e64 v12, v13, s4 clamp
	v_min_u32_e32 v14, s9, v13
	v_cmp_lt_u32_e32 vcc, v12, v14
	s_waitcnt vmcnt(0)
	ds_write2st64_b64 v1, v[2:3], v[4:5] offset1:4
	ds_write2st64_b64 v1, v[6:7], v[8:9] offset0:8 offset1:12
	s_waitcnt lgkmcnt(0)
	s_barrier
	s_and_saveexec_b64 s[0:1], vcc
	s_cbranch_execz .LBB3273_17
; %bb.14:
	v_lshlrev_b32_e32 v15, 3, v13
	v_lshl_add_u32 v15, s9, 3, v15
	s_mov_b64 s[2:3], 0
.LBB3273_15:                            ; =>This Inner Loop Header: Depth=1
	v_add_u32_e32 v16, v14, v12
	v_lshrrev_b32_e32 v20, 1, v16
	v_not_b32_e32 v16, v20
	v_lshlrev_b32_e32 v17, 3, v20
	v_lshl_add_u32 v18, v16, 3, v15
	ds_read_b64 v[16:17], v17
	ds_read_b64 v[18:19], v18
	v_add_u32_e32 v21, 1, v20
	s_waitcnt lgkmcnt(0)
	v_cmp_gt_i64_e32 vcc, v[16:17], v[18:19]
	v_cndmask_b32_e32 v14, v14, v20, vcc
	v_cndmask_b32_e32 v12, v21, v12, vcc
	v_cmp_ge_u32_e32 vcc, v12, v14
	s_or_b64 s[2:3], vcc, s[2:3]
	s_andn2_b64 exec, exec, s[2:3]
	s_cbranch_execnz .LBB3273_15
; %bb.16:
	s_or_b64 exec, exec, s[2:3]
.LBB3273_17:
	s_or_b64 exec, exec, s[0:1]
	v_sub_u32_e32 v13, v13, v12
	v_add_u32_e32 v13, s9, v13
	v_cmp_ge_u32_e32 vcc, s9, v12
	v_cmp_le_u32_e64 s[0:1], v13, v10
	s_or_b64 s[0:1], vcc, s[0:1]
	s_and_saveexec_b64 s[6:7], s[0:1]
	s_cbranch_execz .LBB3273_23
; %bb.18:
	v_cmp_gt_u32_e32 vcc, s9, v12
                                        ; implicit-def: $vgpr2_vgpr3
	s_and_saveexec_b64 s[0:1], vcc
	s_cbranch_execz .LBB3273_20
; %bb.19:
	v_lshlrev_b32_e32 v2, 3, v12
	ds_read_b64 v[2:3], v2
.LBB3273_20:
	s_or_b64 exec, exec, s[0:1]
	v_cmp_ge_u32_e64 s[0:1], v13, v10
	v_cmp_lt_u32_e64 s[2:3], v13, v10
                                        ; implicit-def: $vgpr4_vgpr5
	s_and_saveexec_b64 s[4:5], s[2:3]
	s_cbranch_execz .LBB3273_22
; %bb.21:
	v_lshlrev_b32_e32 v4, 3, v13
	ds_read_b64 v[4:5], v4
.LBB3273_22:
	s_or_b64 exec, exec, s[4:5]
	s_waitcnt lgkmcnt(0)
	v_cmp_le_i64_e64 s[2:3], v[2:3], v[4:5]
	s_and_b64 s[2:3], vcc, s[2:3]
	s_or_b64 vcc, s[0:1], s[2:3]
	v_mov_b32_e32 v16, s9
	v_cndmask_b32_e32 v6, v13, v12, vcc
	v_cndmask_b32_e32 v7, v10, v16, vcc
	v_add_u32_e32 v14, 1, v6
	v_add_u32_e32 v6, -1, v7
	v_min_u32_e32 v6, v14, v6
	v_lshlrev_b32_e32 v6, 3, v6
	ds_read_b64 v[6:7], v6
	v_cndmask_b32_e32 v18, v12, v14, vcc
	v_cndmask_b32_e32 v17, v14, v13, vcc
	v_cmp_gt_u32_e64 s[2:3], s9, v18
	v_cmp_ge_u32_e64 s[0:1], v17, v10
	s_waitcnt lgkmcnt(0)
	v_cndmask_b32_e32 v9, v7, v5, vcc
	v_cndmask_b32_e32 v8, v6, v4, vcc
	v_cndmask_b32_e32 v7, v3, v7, vcc
	v_cndmask_b32_e32 v6, v2, v6, vcc
	v_cmp_le_i64_e64 s[4:5], v[6:7], v[8:9]
	s_and_b64 s[2:3], s[2:3], s[4:5]
	s_or_b64 s[0:1], s[0:1], s[2:3]
	v_cndmask_b32_e64 v12, v17, v18, s[0:1]
	v_cndmask_b32_e64 v13, v10, v16, s[0:1]
	v_add_u32_e32 v19, 1, v12
	v_add_u32_e32 v12, -1, v13
	v_min_u32_e32 v12, v19, v12
	v_lshlrev_b32_e32 v12, 3, v12
	ds_read_b64 v[12:13], v12
	v_cndmask_b32_e64 v18, v18, v19, s[0:1]
	v_cndmask_b32_e64 v20, v19, v17, s[0:1]
	v_cmp_gt_u32_e64 s[2:3], s9, v18
	v_cndmask_b32_e32 v3, v5, v3, vcc
	s_waitcnt lgkmcnt(0)
	v_cndmask_b32_e64 v15, v13, v9, s[0:1]
	v_cndmask_b32_e64 v14, v12, v8, s[0:1]
	;; [unrolled: 1-line block ×4, first 2 shown]
	v_cmp_le_i64_e64 s[4:5], v[12:13], v[14:15]
	v_cndmask_b32_e32 v2, v4, v2, vcc
	v_cmp_ge_u32_e32 vcc, v20, v10
	s_and_b64 s[2:3], s[2:3], s[4:5]
	s_or_b64 vcc, vcc, s[2:3]
	v_cndmask_b32_e32 v4, v20, v18, vcc
	v_cndmask_b32_e32 v5, v10, v16, vcc
	v_add_u32_e32 v19, 1, v4
	v_add_u32_e32 v4, -1, v5
	v_min_u32_e32 v4, v19, v4
	v_lshlrev_b32_e32 v4, 3, v4
	ds_read_b64 v[16:17], v4
	v_cndmask_b32_e64 v5, v9, v7, s[0:1]
	v_cndmask_b32_e64 v4, v8, v6, s[0:1]
	v_cndmask_b32_e32 v7, v15, v13, vcc
	v_cndmask_b32_e32 v6, v14, v12, vcc
	s_waitcnt lgkmcnt(0)
	v_cndmask_b32_e32 v9, v17, v15, vcc
	v_cndmask_b32_e32 v8, v16, v14, vcc
	v_cndmask_b32_e32 v13, v13, v17, vcc
	v_cndmask_b32_e32 v12, v12, v16, vcc
	v_cndmask_b32_e32 v15, v18, v19, vcc
	v_cndmask_b32_e32 v14, v19, v20, vcc
	v_cmp_gt_u32_e64 s[0:1], s9, v15
	v_cmp_le_i64_e64 s[2:3], v[12:13], v[8:9]
	v_cmp_ge_u32_e32 vcc, v14, v10
	s_and_b64 s[0:1], s[0:1], s[2:3]
	s_or_b64 vcc, vcc, s[0:1]
	v_cndmask_b32_e32 v9, v9, v13, vcc
	v_cndmask_b32_e32 v8, v8, v12, vcc
.LBB3273_23:
	s_or_b64 exec, exec, s[6:7]
	v_and_b32_e32 v10, 0xf8, v0
	v_lshl_add_u32 v10, v11, 3, v10
	s_barrier
	s_barrier
	ds_write2_b64 v10, v[2:3], v[4:5] offset1:1
	ds_write2_b64 v10, v[6:7], v[8:9] offset0:2 offset1:3
	v_lshrrev_b32_e32 v2, 2, v0
	v_and_b32_e32 v2, 56, v2
	v_or_b32_e32 v12, 0x100, v0
	v_add_u32_e32 v13, v1, v2
	v_lshrrev_b32_e32 v2, 2, v12
	v_and_b32_e32 v2, 0x78, v2
	v_or_b32_e32 v11, 0x200, v0
	v_add_u32_e32 v6, v1, v2
	v_lshrrev_b32_e32 v2, 2, v11
	s_lshl_b64 s[0:1], s[16:17], 3
	v_and_b32_e32 v2, 0xb8, v2
	v_or_b32_e32 v10, 0x300, v0
	s_add_u32 s0, s14, s0
	v_add_u32_e32 v7, v1, v2
	v_lshrrev_b32_e32 v2, 2, v10
	s_addc_u32 s1, s15, s1
	v_and_b32_e32 v2, 0xf8, v2
	v_add_u32_e32 v14, v1, v2
	v_mov_b32_e32 v3, s1
	v_add_co_u32_e32 v2, vcc, s0, v1
	v_addc_co_u32_e32 v3, vcc, 0, v3, vcc
	s_and_b64 vcc, exec, s[10:11]
	s_waitcnt lgkmcnt(0)
	s_cbranch_vccz .LBB3273_25
; %bb.24:
	s_barrier
	ds_read_b64 v[8:9], v13
	ds_read_b64 v[16:17], v6 offset:2048
	ds_read_b64 v[18:19], v7 offset:4096
	;; [unrolled: 1-line block ×3, first 2 shown]
	s_waitcnt lgkmcnt(3)
	global_store_dwordx2 v[2:3], v[8:9], off
	s_waitcnt lgkmcnt(2)
	global_store_dwordx2 v[2:3], v[16:17], off offset:2048
	v_add_co_u32_e32 v8, vcc, 0x1000, v2
	v_addc_co_u32_e32 v9, vcc, 0, v3, vcc
	s_waitcnt lgkmcnt(1)
	global_store_dwordx2 v[8:9], v[18:19], off
	s_mov_b64 s[0:1], -1
	s_cbranch_execz .LBB3273_26
	s_branch .LBB3273_31
.LBB3273_25:
	s_mov_b64 s[0:1], 0
                                        ; implicit-def: $vgpr4_vgpr5
.LBB3273_26:
	s_barrier
	s_waitcnt lgkmcnt(0)
	ds_read_b64 v[8:9], v6 offset:2048
	ds_read_b64 v[6:7], v7 offset:4096
	;; [unrolled: 1-line block ×3, first 2 shown]
	s_sub_i32 s2, s8, s16
	v_cmp_gt_u32_e32 vcc, s2, v0
	s_and_saveexec_b64 s[0:1], vcc
	s_cbranch_execnz .LBB3273_36
; %bb.27:
	s_or_b64 exec, exec, s[0:1]
	v_cmp_gt_u32_e32 vcc, s2, v12
	s_and_saveexec_b64 s[0:1], vcc
	s_cbranch_execnz .LBB3273_37
.LBB3273_28:
	s_or_b64 exec, exec, s[0:1]
	v_cmp_gt_u32_e32 vcc, s2, v11
	s_and_saveexec_b64 s[0:1], vcc
	s_cbranch_execz .LBB3273_30
.LBB3273_29:
	v_add_co_u32_e32 v0, vcc, 0x1000, v2
	v_addc_co_u32_e32 v1, vcc, 0, v3, vcc
	s_waitcnt lgkmcnt(1)
	global_store_dwordx2 v[0:1], v[6:7], off
.LBB3273_30:
	s_or_b64 exec, exec, s[0:1]
	v_cmp_gt_u32_e64 s[0:1], s2, v10
.LBB3273_31:
	s_and_saveexec_b64 s[2:3], s[0:1]
	s_cbranch_execz .LBB3273_33
; %bb.32:
	v_add_co_u32_e32 v0, vcc, 0x1000, v2
	v_addc_co_u32_e32 v1, vcc, 0, v3, vcc
	s_waitcnt lgkmcnt(0)
	global_store_dwordx2 v[0:1], v[4:5], off offset:2048
.LBB3273_33:
	s_endpgm
.LBB3273_34:
	s_waitcnt vmcnt(2)
	v_mov_b32_e32 v2, s7
	s_waitcnt vmcnt(1)
	v_add_co_u32_e32 v4, vcc, s5, v1
	v_mov_b32_e32 v3, 0
	v_addc_co_u32_e32 v5, vcc, 0, v2, vcc
	v_subrev_u32_e32 v2, s9, v0
	v_lshlrev_b64 v[2:3], 3, v[2:3]
	s_waitcnt vmcnt(0)
	v_mov_b32_e32 v6, s13
	v_add_co_u32_e32 v2, vcc, s12, v2
	v_addc_co_u32_e32 v3, vcc, v6, v3, vcc
	v_cmp_gt_u32_e32 vcc, s9, v0
	v_cndmask_b32_e32 v3, v3, v5, vcc
	v_cndmask_b32_e32 v2, v2, v4, vcc
	global_load_dwordx2 v[2:3], v[2:3], off
	s_or_b64 exec, exec, s[0:1]
	v_cmp_gt_u32_e32 vcc, s6, v12
	s_and_saveexec_b64 s[2:3], vcc
	s_cbranch_execz .LBB3273_8
.LBB3273_35:
	v_mov_b32_e32 v13, 0
	s_waitcnt vmcnt(1)
	v_lshlrev_b64 v[4:5], 3, v[12:13]
	v_mov_b32_e32 v11, s7
	v_add_co_u32_e32 v14, vcc, s5, v4
	v_addc_co_u32_e32 v11, vcc, v11, v5, vcc
	v_cmp_gt_u32_e32 vcc, s9, v12
	v_subrev_u32_e32 v12, s9, v12
	v_lshlrev_b64 v[4:5], 3, v[12:13]
	v_mov_b32_e32 v12, s13
	v_add_co_u32_e64 v4, s[0:1], s12, v4
	v_addc_co_u32_e64 v5, s[0:1], v12, v5, s[0:1]
	v_cndmask_b32_e32 v5, v5, v11, vcc
	v_cndmask_b32_e32 v4, v4, v14, vcc
	global_load_dwordx2 v[4:5], v[4:5], off
	s_or_b64 exec, exec, s[2:3]
	v_cmp_gt_u32_e32 vcc, s6, v10
	s_and_saveexec_b64 s[0:1], vcc
	s_cbranch_execnz .LBB3273_9
	s_branch .LBB3273_10
.LBB3273_36:
	ds_read_b64 v[0:1], v13
	s_waitcnt lgkmcnt(0)
	global_store_dwordx2 v[2:3], v[0:1], off
	s_or_b64 exec, exec, s[0:1]
	v_cmp_gt_u32_e32 vcc, s2, v12
	s_and_saveexec_b64 s[0:1], vcc
	s_cbranch_execz .LBB3273_28
.LBB3273_37:
	s_waitcnt lgkmcnt(2)
	global_store_dwordx2 v[2:3], v[8:9], off offset:2048
	s_or_b64 exec, exec, s[0:1]
	v_cmp_gt_u32_e32 vcc, s2, v11
	s_and_saveexec_b64 s[0:1], vcc
	s_cbranch_execnz .LBB3273_29
	s_branch .LBB3273_30
	.section	.rodata,"a",@progbits
	.p2align	6, 0x0
	.amdhsa_kernel _ZN7rocprim17ROCPRIM_400000_NS6detail17trampoline_kernelINS0_14default_configENS1_38merge_sort_block_merge_config_selectorIlNS0_10empty_typeEEEZZNS1_27merge_sort_block_merge_implIS3_N6thrust23THRUST_200600_302600_NS6detail15normal_iteratorINS9_10device_ptrIlEEEEPS5_m14custom_greaterIlEEE10hipError_tT0_T1_T2_jT3_P12ihipStream_tbPNSt15iterator_traitsISJ_E10value_typeEPNSP_ISK_E10value_typeEPSL_NS1_7vsmem_tEENKUlT_SJ_SK_SL_E_clISE_PlSF_SF_EESI_SY_SJ_SK_SL_EUlSY_E0_NS1_11comp_targetILNS1_3genE4ELNS1_11target_archE910ELNS1_3gpuE8ELNS1_3repE0EEENS1_38merge_mergepath_config_static_selectorELNS0_4arch9wavefront6targetE1EEEvSK_
		.amdhsa_group_segment_fixed_size 8448
		.amdhsa_private_segment_fixed_size 0
		.amdhsa_kernarg_size 328
		.amdhsa_user_sgpr_count 6
		.amdhsa_user_sgpr_private_segment_buffer 1
		.amdhsa_user_sgpr_dispatch_ptr 0
		.amdhsa_user_sgpr_queue_ptr 0
		.amdhsa_user_sgpr_kernarg_segment_ptr 1
		.amdhsa_user_sgpr_dispatch_id 0
		.amdhsa_user_sgpr_flat_scratch_init 0
		.amdhsa_user_sgpr_kernarg_preload_length 0
		.amdhsa_user_sgpr_kernarg_preload_offset 0
		.amdhsa_user_sgpr_private_segment_size 0
		.amdhsa_uses_dynamic_stack 0
		.amdhsa_system_sgpr_private_segment_wavefront_offset 0
		.amdhsa_system_sgpr_workgroup_id_x 1
		.amdhsa_system_sgpr_workgroup_id_y 1
		.amdhsa_system_sgpr_workgroup_id_z 1
		.amdhsa_system_sgpr_workgroup_info 0
		.amdhsa_system_vgpr_workitem_id 0
		.amdhsa_next_free_vgpr 22
		.amdhsa_next_free_sgpr 31
		.amdhsa_accum_offset 24
		.amdhsa_reserve_vcc 1
		.amdhsa_reserve_flat_scratch 0
		.amdhsa_float_round_mode_32 0
		.amdhsa_float_round_mode_16_64 0
		.amdhsa_float_denorm_mode_32 3
		.amdhsa_float_denorm_mode_16_64 3
		.amdhsa_dx10_clamp 1
		.amdhsa_ieee_mode 1
		.amdhsa_fp16_overflow 0
		.amdhsa_tg_split 0
		.amdhsa_exception_fp_ieee_invalid_op 0
		.amdhsa_exception_fp_denorm_src 0
		.amdhsa_exception_fp_ieee_div_zero 0
		.amdhsa_exception_fp_ieee_overflow 0
		.amdhsa_exception_fp_ieee_underflow 0
		.amdhsa_exception_fp_ieee_inexact 0
		.amdhsa_exception_int_div_zero 0
	.end_amdhsa_kernel
	.section	.text._ZN7rocprim17ROCPRIM_400000_NS6detail17trampoline_kernelINS0_14default_configENS1_38merge_sort_block_merge_config_selectorIlNS0_10empty_typeEEEZZNS1_27merge_sort_block_merge_implIS3_N6thrust23THRUST_200600_302600_NS6detail15normal_iteratorINS9_10device_ptrIlEEEEPS5_m14custom_greaterIlEEE10hipError_tT0_T1_T2_jT3_P12ihipStream_tbPNSt15iterator_traitsISJ_E10value_typeEPNSP_ISK_E10value_typeEPSL_NS1_7vsmem_tEENKUlT_SJ_SK_SL_E_clISE_PlSF_SF_EESI_SY_SJ_SK_SL_EUlSY_E0_NS1_11comp_targetILNS1_3genE4ELNS1_11target_archE910ELNS1_3gpuE8ELNS1_3repE0EEENS1_38merge_mergepath_config_static_selectorELNS0_4arch9wavefront6targetE1EEEvSK_,"axG",@progbits,_ZN7rocprim17ROCPRIM_400000_NS6detail17trampoline_kernelINS0_14default_configENS1_38merge_sort_block_merge_config_selectorIlNS0_10empty_typeEEEZZNS1_27merge_sort_block_merge_implIS3_N6thrust23THRUST_200600_302600_NS6detail15normal_iteratorINS9_10device_ptrIlEEEEPS5_m14custom_greaterIlEEE10hipError_tT0_T1_T2_jT3_P12ihipStream_tbPNSt15iterator_traitsISJ_E10value_typeEPNSP_ISK_E10value_typeEPSL_NS1_7vsmem_tEENKUlT_SJ_SK_SL_E_clISE_PlSF_SF_EESI_SY_SJ_SK_SL_EUlSY_E0_NS1_11comp_targetILNS1_3genE4ELNS1_11target_archE910ELNS1_3gpuE8ELNS1_3repE0EEENS1_38merge_mergepath_config_static_selectorELNS0_4arch9wavefront6targetE1EEEvSK_,comdat
.Lfunc_end3273:
	.size	_ZN7rocprim17ROCPRIM_400000_NS6detail17trampoline_kernelINS0_14default_configENS1_38merge_sort_block_merge_config_selectorIlNS0_10empty_typeEEEZZNS1_27merge_sort_block_merge_implIS3_N6thrust23THRUST_200600_302600_NS6detail15normal_iteratorINS9_10device_ptrIlEEEEPS5_m14custom_greaterIlEEE10hipError_tT0_T1_T2_jT3_P12ihipStream_tbPNSt15iterator_traitsISJ_E10value_typeEPNSP_ISK_E10value_typeEPSL_NS1_7vsmem_tEENKUlT_SJ_SK_SL_E_clISE_PlSF_SF_EESI_SY_SJ_SK_SL_EUlSY_E0_NS1_11comp_targetILNS1_3genE4ELNS1_11target_archE910ELNS1_3gpuE8ELNS1_3repE0EEENS1_38merge_mergepath_config_static_selectorELNS0_4arch9wavefront6targetE1EEEvSK_, .Lfunc_end3273-_ZN7rocprim17ROCPRIM_400000_NS6detail17trampoline_kernelINS0_14default_configENS1_38merge_sort_block_merge_config_selectorIlNS0_10empty_typeEEEZZNS1_27merge_sort_block_merge_implIS3_N6thrust23THRUST_200600_302600_NS6detail15normal_iteratorINS9_10device_ptrIlEEEEPS5_m14custom_greaterIlEEE10hipError_tT0_T1_T2_jT3_P12ihipStream_tbPNSt15iterator_traitsISJ_E10value_typeEPNSP_ISK_E10value_typeEPSL_NS1_7vsmem_tEENKUlT_SJ_SK_SL_E_clISE_PlSF_SF_EESI_SY_SJ_SK_SL_EUlSY_E0_NS1_11comp_targetILNS1_3genE4ELNS1_11target_archE910ELNS1_3gpuE8ELNS1_3repE0EEENS1_38merge_mergepath_config_static_selectorELNS0_4arch9wavefront6targetE1EEEvSK_
                                        ; -- End function
	.section	.AMDGPU.csdata,"",@progbits
; Kernel info:
; codeLenInByte = 2200
; NumSgprs: 35
; NumVgprs: 22
; NumAgprs: 0
; TotalNumVgprs: 22
; ScratchSize: 0
; MemoryBound: 0
; FloatMode: 240
; IeeeMode: 1
; LDSByteSize: 8448 bytes/workgroup (compile time only)
; SGPRBlocks: 4
; VGPRBlocks: 2
; NumSGPRsForWavesPerEU: 35
; NumVGPRsForWavesPerEU: 22
; AccumOffset: 24
; Occupancy: 7
; WaveLimiterHint : 1
; COMPUTE_PGM_RSRC2:SCRATCH_EN: 0
; COMPUTE_PGM_RSRC2:USER_SGPR: 6
; COMPUTE_PGM_RSRC2:TRAP_HANDLER: 0
; COMPUTE_PGM_RSRC2:TGID_X_EN: 1
; COMPUTE_PGM_RSRC2:TGID_Y_EN: 1
; COMPUTE_PGM_RSRC2:TGID_Z_EN: 1
; COMPUTE_PGM_RSRC2:TIDIG_COMP_CNT: 0
; COMPUTE_PGM_RSRC3_GFX90A:ACCUM_OFFSET: 5
; COMPUTE_PGM_RSRC3_GFX90A:TG_SPLIT: 0
	.section	.text._ZN7rocprim17ROCPRIM_400000_NS6detail17trampoline_kernelINS0_14default_configENS1_38merge_sort_block_merge_config_selectorIlNS0_10empty_typeEEEZZNS1_27merge_sort_block_merge_implIS3_N6thrust23THRUST_200600_302600_NS6detail15normal_iteratorINS9_10device_ptrIlEEEEPS5_m14custom_greaterIlEEE10hipError_tT0_T1_T2_jT3_P12ihipStream_tbPNSt15iterator_traitsISJ_E10value_typeEPNSP_ISK_E10value_typeEPSL_NS1_7vsmem_tEENKUlT_SJ_SK_SL_E_clISE_PlSF_SF_EESI_SY_SJ_SK_SL_EUlSY_E0_NS1_11comp_targetILNS1_3genE3ELNS1_11target_archE908ELNS1_3gpuE7ELNS1_3repE0EEENS1_38merge_mergepath_config_static_selectorELNS0_4arch9wavefront6targetE1EEEvSK_,"axG",@progbits,_ZN7rocprim17ROCPRIM_400000_NS6detail17trampoline_kernelINS0_14default_configENS1_38merge_sort_block_merge_config_selectorIlNS0_10empty_typeEEEZZNS1_27merge_sort_block_merge_implIS3_N6thrust23THRUST_200600_302600_NS6detail15normal_iteratorINS9_10device_ptrIlEEEEPS5_m14custom_greaterIlEEE10hipError_tT0_T1_T2_jT3_P12ihipStream_tbPNSt15iterator_traitsISJ_E10value_typeEPNSP_ISK_E10value_typeEPSL_NS1_7vsmem_tEENKUlT_SJ_SK_SL_E_clISE_PlSF_SF_EESI_SY_SJ_SK_SL_EUlSY_E0_NS1_11comp_targetILNS1_3genE3ELNS1_11target_archE908ELNS1_3gpuE7ELNS1_3repE0EEENS1_38merge_mergepath_config_static_selectorELNS0_4arch9wavefront6targetE1EEEvSK_,comdat
	.protected	_ZN7rocprim17ROCPRIM_400000_NS6detail17trampoline_kernelINS0_14default_configENS1_38merge_sort_block_merge_config_selectorIlNS0_10empty_typeEEEZZNS1_27merge_sort_block_merge_implIS3_N6thrust23THRUST_200600_302600_NS6detail15normal_iteratorINS9_10device_ptrIlEEEEPS5_m14custom_greaterIlEEE10hipError_tT0_T1_T2_jT3_P12ihipStream_tbPNSt15iterator_traitsISJ_E10value_typeEPNSP_ISK_E10value_typeEPSL_NS1_7vsmem_tEENKUlT_SJ_SK_SL_E_clISE_PlSF_SF_EESI_SY_SJ_SK_SL_EUlSY_E0_NS1_11comp_targetILNS1_3genE3ELNS1_11target_archE908ELNS1_3gpuE7ELNS1_3repE0EEENS1_38merge_mergepath_config_static_selectorELNS0_4arch9wavefront6targetE1EEEvSK_ ; -- Begin function _ZN7rocprim17ROCPRIM_400000_NS6detail17trampoline_kernelINS0_14default_configENS1_38merge_sort_block_merge_config_selectorIlNS0_10empty_typeEEEZZNS1_27merge_sort_block_merge_implIS3_N6thrust23THRUST_200600_302600_NS6detail15normal_iteratorINS9_10device_ptrIlEEEEPS5_m14custom_greaterIlEEE10hipError_tT0_T1_T2_jT3_P12ihipStream_tbPNSt15iterator_traitsISJ_E10value_typeEPNSP_ISK_E10value_typeEPSL_NS1_7vsmem_tEENKUlT_SJ_SK_SL_E_clISE_PlSF_SF_EESI_SY_SJ_SK_SL_EUlSY_E0_NS1_11comp_targetILNS1_3genE3ELNS1_11target_archE908ELNS1_3gpuE7ELNS1_3repE0EEENS1_38merge_mergepath_config_static_selectorELNS0_4arch9wavefront6targetE1EEEvSK_
	.globl	_ZN7rocprim17ROCPRIM_400000_NS6detail17trampoline_kernelINS0_14default_configENS1_38merge_sort_block_merge_config_selectorIlNS0_10empty_typeEEEZZNS1_27merge_sort_block_merge_implIS3_N6thrust23THRUST_200600_302600_NS6detail15normal_iteratorINS9_10device_ptrIlEEEEPS5_m14custom_greaterIlEEE10hipError_tT0_T1_T2_jT3_P12ihipStream_tbPNSt15iterator_traitsISJ_E10value_typeEPNSP_ISK_E10value_typeEPSL_NS1_7vsmem_tEENKUlT_SJ_SK_SL_E_clISE_PlSF_SF_EESI_SY_SJ_SK_SL_EUlSY_E0_NS1_11comp_targetILNS1_3genE3ELNS1_11target_archE908ELNS1_3gpuE7ELNS1_3repE0EEENS1_38merge_mergepath_config_static_selectorELNS0_4arch9wavefront6targetE1EEEvSK_
	.p2align	8
	.type	_ZN7rocprim17ROCPRIM_400000_NS6detail17trampoline_kernelINS0_14default_configENS1_38merge_sort_block_merge_config_selectorIlNS0_10empty_typeEEEZZNS1_27merge_sort_block_merge_implIS3_N6thrust23THRUST_200600_302600_NS6detail15normal_iteratorINS9_10device_ptrIlEEEEPS5_m14custom_greaterIlEEE10hipError_tT0_T1_T2_jT3_P12ihipStream_tbPNSt15iterator_traitsISJ_E10value_typeEPNSP_ISK_E10value_typeEPSL_NS1_7vsmem_tEENKUlT_SJ_SK_SL_E_clISE_PlSF_SF_EESI_SY_SJ_SK_SL_EUlSY_E0_NS1_11comp_targetILNS1_3genE3ELNS1_11target_archE908ELNS1_3gpuE7ELNS1_3repE0EEENS1_38merge_mergepath_config_static_selectorELNS0_4arch9wavefront6targetE1EEEvSK_,@function
_ZN7rocprim17ROCPRIM_400000_NS6detail17trampoline_kernelINS0_14default_configENS1_38merge_sort_block_merge_config_selectorIlNS0_10empty_typeEEEZZNS1_27merge_sort_block_merge_implIS3_N6thrust23THRUST_200600_302600_NS6detail15normal_iteratorINS9_10device_ptrIlEEEEPS5_m14custom_greaterIlEEE10hipError_tT0_T1_T2_jT3_P12ihipStream_tbPNSt15iterator_traitsISJ_E10value_typeEPNSP_ISK_E10value_typeEPSL_NS1_7vsmem_tEENKUlT_SJ_SK_SL_E_clISE_PlSF_SF_EESI_SY_SJ_SK_SL_EUlSY_E0_NS1_11comp_targetILNS1_3genE3ELNS1_11target_archE908ELNS1_3gpuE7ELNS1_3repE0EEENS1_38merge_mergepath_config_static_selectorELNS0_4arch9wavefront6targetE1EEEvSK_: ; @_ZN7rocprim17ROCPRIM_400000_NS6detail17trampoline_kernelINS0_14default_configENS1_38merge_sort_block_merge_config_selectorIlNS0_10empty_typeEEEZZNS1_27merge_sort_block_merge_implIS3_N6thrust23THRUST_200600_302600_NS6detail15normal_iteratorINS9_10device_ptrIlEEEEPS5_m14custom_greaterIlEEE10hipError_tT0_T1_T2_jT3_P12ihipStream_tbPNSt15iterator_traitsISJ_E10value_typeEPNSP_ISK_E10value_typeEPSL_NS1_7vsmem_tEENKUlT_SJ_SK_SL_E_clISE_PlSF_SF_EESI_SY_SJ_SK_SL_EUlSY_E0_NS1_11comp_targetILNS1_3genE3ELNS1_11target_archE908ELNS1_3gpuE7ELNS1_3repE0EEENS1_38merge_mergepath_config_static_selectorELNS0_4arch9wavefront6targetE1EEEvSK_
; %bb.0:
	.section	.rodata,"a",@progbits
	.p2align	6, 0x0
	.amdhsa_kernel _ZN7rocprim17ROCPRIM_400000_NS6detail17trampoline_kernelINS0_14default_configENS1_38merge_sort_block_merge_config_selectorIlNS0_10empty_typeEEEZZNS1_27merge_sort_block_merge_implIS3_N6thrust23THRUST_200600_302600_NS6detail15normal_iteratorINS9_10device_ptrIlEEEEPS5_m14custom_greaterIlEEE10hipError_tT0_T1_T2_jT3_P12ihipStream_tbPNSt15iterator_traitsISJ_E10value_typeEPNSP_ISK_E10value_typeEPSL_NS1_7vsmem_tEENKUlT_SJ_SK_SL_E_clISE_PlSF_SF_EESI_SY_SJ_SK_SL_EUlSY_E0_NS1_11comp_targetILNS1_3genE3ELNS1_11target_archE908ELNS1_3gpuE7ELNS1_3repE0EEENS1_38merge_mergepath_config_static_selectorELNS0_4arch9wavefront6targetE1EEEvSK_
		.amdhsa_group_segment_fixed_size 0
		.amdhsa_private_segment_fixed_size 0
		.amdhsa_kernarg_size 72
		.amdhsa_user_sgpr_count 6
		.amdhsa_user_sgpr_private_segment_buffer 1
		.amdhsa_user_sgpr_dispatch_ptr 0
		.amdhsa_user_sgpr_queue_ptr 0
		.amdhsa_user_sgpr_kernarg_segment_ptr 1
		.amdhsa_user_sgpr_dispatch_id 0
		.amdhsa_user_sgpr_flat_scratch_init 0
		.amdhsa_user_sgpr_kernarg_preload_length 0
		.amdhsa_user_sgpr_kernarg_preload_offset 0
		.amdhsa_user_sgpr_private_segment_size 0
		.amdhsa_uses_dynamic_stack 0
		.amdhsa_system_sgpr_private_segment_wavefront_offset 0
		.amdhsa_system_sgpr_workgroup_id_x 1
		.amdhsa_system_sgpr_workgroup_id_y 0
		.amdhsa_system_sgpr_workgroup_id_z 0
		.amdhsa_system_sgpr_workgroup_info 0
		.amdhsa_system_vgpr_workitem_id 0
		.amdhsa_next_free_vgpr 1
		.amdhsa_next_free_sgpr 0
		.amdhsa_accum_offset 4
		.amdhsa_reserve_vcc 0
		.amdhsa_reserve_flat_scratch 0
		.amdhsa_float_round_mode_32 0
		.amdhsa_float_round_mode_16_64 0
		.amdhsa_float_denorm_mode_32 3
		.amdhsa_float_denorm_mode_16_64 3
		.amdhsa_dx10_clamp 1
		.amdhsa_ieee_mode 1
		.amdhsa_fp16_overflow 0
		.amdhsa_tg_split 0
		.amdhsa_exception_fp_ieee_invalid_op 0
		.amdhsa_exception_fp_denorm_src 0
		.amdhsa_exception_fp_ieee_div_zero 0
		.amdhsa_exception_fp_ieee_overflow 0
		.amdhsa_exception_fp_ieee_underflow 0
		.amdhsa_exception_fp_ieee_inexact 0
		.amdhsa_exception_int_div_zero 0
	.end_amdhsa_kernel
	.section	.text._ZN7rocprim17ROCPRIM_400000_NS6detail17trampoline_kernelINS0_14default_configENS1_38merge_sort_block_merge_config_selectorIlNS0_10empty_typeEEEZZNS1_27merge_sort_block_merge_implIS3_N6thrust23THRUST_200600_302600_NS6detail15normal_iteratorINS9_10device_ptrIlEEEEPS5_m14custom_greaterIlEEE10hipError_tT0_T1_T2_jT3_P12ihipStream_tbPNSt15iterator_traitsISJ_E10value_typeEPNSP_ISK_E10value_typeEPSL_NS1_7vsmem_tEENKUlT_SJ_SK_SL_E_clISE_PlSF_SF_EESI_SY_SJ_SK_SL_EUlSY_E0_NS1_11comp_targetILNS1_3genE3ELNS1_11target_archE908ELNS1_3gpuE7ELNS1_3repE0EEENS1_38merge_mergepath_config_static_selectorELNS0_4arch9wavefront6targetE1EEEvSK_,"axG",@progbits,_ZN7rocprim17ROCPRIM_400000_NS6detail17trampoline_kernelINS0_14default_configENS1_38merge_sort_block_merge_config_selectorIlNS0_10empty_typeEEEZZNS1_27merge_sort_block_merge_implIS3_N6thrust23THRUST_200600_302600_NS6detail15normal_iteratorINS9_10device_ptrIlEEEEPS5_m14custom_greaterIlEEE10hipError_tT0_T1_T2_jT3_P12ihipStream_tbPNSt15iterator_traitsISJ_E10value_typeEPNSP_ISK_E10value_typeEPSL_NS1_7vsmem_tEENKUlT_SJ_SK_SL_E_clISE_PlSF_SF_EESI_SY_SJ_SK_SL_EUlSY_E0_NS1_11comp_targetILNS1_3genE3ELNS1_11target_archE908ELNS1_3gpuE7ELNS1_3repE0EEENS1_38merge_mergepath_config_static_selectorELNS0_4arch9wavefront6targetE1EEEvSK_,comdat
.Lfunc_end3274:
	.size	_ZN7rocprim17ROCPRIM_400000_NS6detail17trampoline_kernelINS0_14default_configENS1_38merge_sort_block_merge_config_selectorIlNS0_10empty_typeEEEZZNS1_27merge_sort_block_merge_implIS3_N6thrust23THRUST_200600_302600_NS6detail15normal_iteratorINS9_10device_ptrIlEEEEPS5_m14custom_greaterIlEEE10hipError_tT0_T1_T2_jT3_P12ihipStream_tbPNSt15iterator_traitsISJ_E10value_typeEPNSP_ISK_E10value_typeEPSL_NS1_7vsmem_tEENKUlT_SJ_SK_SL_E_clISE_PlSF_SF_EESI_SY_SJ_SK_SL_EUlSY_E0_NS1_11comp_targetILNS1_3genE3ELNS1_11target_archE908ELNS1_3gpuE7ELNS1_3repE0EEENS1_38merge_mergepath_config_static_selectorELNS0_4arch9wavefront6targetE1EEEvSK_, .Lfunc_end3274-_ZN7rocprim17ROCPRIM_400000_NS6detail17trampoline_kernelINS0_14default_configENS1_38merge_sort_block_merge_config_selectorIlNS0_10empty_typeEEEZZNS1_27merge_sort_block_merge_implIS3_N6thrust23THRUST_200600_302600_NS6detail15normal_iteratorINS9_10device_ptrIlEEEEPS5_m14custom_greaterIlEEE10hipError_tT0_T1_T2_jT3_P12ihipStream_tbPNSt15iterator_traitsISJ_E10value_typeEPNSP_ISK_E10value_typeEPSL_NS1_7vsmem_tEENKUlT_SJ_SK_SL_E_clISE_PlSF_SF_EESI_SY_SJ_SK_SL_EUlSY_E0_NS1_11comp_targetILNS1_3genE3ELNS1_11target_archE908ELNS1_3gpuE7ELNS1_3repE0EEENS1_38merge_mergepath_config_static_selectorELNS0_4arch9wavefront6targetE1EEEvSK_
                                        ; -- End function
	.section	.AMDGPU.csdata,"",@progbits
; Kernel info:
; codeLenInByte = 0
; NumSgprs: 4
; NumVgprs: 0
; NumAgprs: 0
; TotalNumVgprs: 0
; ScratchSize: 0
; MemoryBound: 0
; FloatMode: 240
; IeeeMode: 1
; LDSByteSize: 0 bytes/workgroup (compile time only)
; SGPRBlocks: 0
; VGPRBlocks: 0
; NumSGPRsForWavesPerEU: 4
; NumVGPRsForWavesPerEU: 1
; AccumOffset: 4
; Occupancy: 8
; WaveLimiterHint : 0
; COMPUTE_PGM_RSRC2:SCRATCH_EN: 0
; COMPUTE_PGM_RSRC2:USER_SGPR: 6
; COMPUTE_PGM_RSRC2:TRAP_HANDLER: 0
; COMPUTE_PGM_RSRC2:TGID_X_EN: 1
; COMPUTE_PGM_RSRC2:TGID_Y_EN: 0
; COMPUTE_PGM_RSRC2:TGID_Z_EN: 0
; COMPUTE_PGM_RSRC2:TIDIG_COMP_CNT: 0
; COMPUTE_PGM_RSRC3_GFX90A:ACCUM_OFFSET: 0
; COMPUTE_PGM_RSRC3_GFX90A:TG_SPLIT: 0
	.section	.text._ZN7rocprim17ROCPRIM_400000_NS6detail17trampoline_kernelINS0_14default_configENS1_38merge_sort_block_merge_config_selectorIlNS0_10empty_typeEEEZZNS1_27merge_sort_block_merge_implIS3_N6thrust23THRUST_200600_302600_NS6detail15normal_iteratorINS9_10device_ptrIlEEEEPS5_m14custom_greaterIlEEE10hipError_tT0_T1_T2_jT3_P12ihipStream_tbPNSt15iterator_traitsISJ_E10value_typeEPNSP_ISK_E10value_typeEPSL_NS1_7vsmem_tEENKUlT_SJ_SK_SL_E_clISE_PlSF_SF_EESI_SY_SJ_SK_SL_EUlSY_E0_NS1_11comp_targetILNS1_3genE2ELNS1_11target_archE906ELNS1_3gpuE6ELNS1_3repE0EEENS1_38merge_mergepath_config_static_selectorELNS0_4arch9wavefront6targetE1EEEvSK_,"axG",@progbits,_ZN7rocprim17ROCPRIM_400000_NS6detail17trampoline_kernelINS0_14default_configENS1_38merge_sort_block_merge_config_selectorIlNS0_10empty_typeEEEZZNS1_27merge_sort_block_merge_implIS3_N6thrust23THRUST_200600_302600_NS6detail15normal_iteratorINS9_10device_ptrIlEEEEPS5_m14custom_greaterIlEEE10hipError_tT0_T1_T2_jT3_P12ihipStream_tbPNSt15iterator_traitsISJ_E10value_typeEPNSP_ISK_E10value_typeEPSL_NS1_7vsmem_tEENKUlT_SJ_SK_SL_E_clISE_PlSF_SF_EESI_SY_SJ_SK_SL_EUlSY_E0_NS1_11comp_targetILNS1_3genE2ELNS1_11target_archE906ELNS1_3gpuE6ELNS1_3repE0EEENS1_38merge_mergepath_config_static_selectorELNS0_4arch9wavefront6targetE1EEEvSK_,comdat
	.protected	_ZN7rocprim17ROCPRIM_400000_NS6detail17trampoline_kernelINS0_14default_configENS1_38merge_sort_block_merge_config_selectorIlNS0_10empty_typeEEEZZNS1_27merge_sort_block_merge_implIS3_N6thrust23THRUST_200600_302600_NS6detail15normal_iteratorINS9_10device_ptrIlEEEEPS5_m14custom_greaterIlEEE10hipError_tT0_T1_T2_jT3_P12ihipStream_tbPNSt15iterator_traitsISJ_E10value_typeEPNSP_ISK_E10value_typeEPSL_NS1_7vsmem_tEENKUlT_SJ_SK_SL_E_clISE_PlSF_SF_EESI_SY_SJ_SK_SL_EUlSY_E0_NS1_11comp_targetILNS1_3genE2ELNS1_11target_archE906ELNS1_3gpuE6ELNS1_3repE0EEENS1_38merge_mergepath_config_static_selectorELNS0_4arch9wavefront6targetE1EEEvSK_ ; -- Begin function _ZN7rocprim17ROCPRIM_400000_NS6detail17trampoline_kernelINS0_14default_configENS1_38merge_sort_block_merge_config_selectorIlNS0_10empty_typeEEEZZNS1_27merge_sort_block_merge_implIS3_N6thrust23THRUST_200600_302600_NS6detail15normal_iteratorINS9_10device_ptrIlEEEEPS5_m14custom_greaterIlEEE10hipError_tT0_T1_T2_jT3_P12ihipStream_tbPNSt15iterator_traitsISJ_E10value_typeEPNSP_ISK_E10value_typeEPSL_NS1_7vsmem_tEENKUlT_SJ_SK_SL_E_clISE_PlSF_SF_EESI_SY_SJ_SK_SL_EUlSY_E0_NS1_11comp_targetILNS1_3genE2ELNS1_11target_archE906ELNS1_3gpuE6ELNS1_3repE0EEENS1_38merge_mergepath_config_static_selectorELNS0_4arch9wavefront6targetE1EEEvSK_
	.globl	_ZN7rocprim17ROCPRIM_400000_NS6detail17trampoline_kernelINS0_14default_configENS1_38merge_sort_block_merge_config_selectorIlNS0_10empty_typeEEEZZNS1_27merge_sort_block_merge_implIS3_N6thrust23THRUST_200600_302600_NS6detail15normal_iteratorINS9_10device_ptrIlEEEEPS5_m14custom_greaterIlEEE10hipError_tT0_T1_T2_jT3_P12ihipStream_tbPNSt15iterator_traitsISJ_E10value_typeEPNSP_ISK_E10value_typeEPSL_NS1_7vsmem_tEENKUlT_SJ_SK_SL_E_clISE_PlSF_SF_EESI_SY_SJ_SK_SL_EUlSY_E0_NS1_11comp_targetILNS1_3genE2ELNS1_11target_archE906ELNS1_3gpuE6ELNS1_3repE0EEENS1_38merge_mergepath_config_static_selectorELNS0_4arch9wavefront6targetE1EEEvSK_
	.p2align	8
	.type	_ZN7rocprim17ROCPRIM_400000_NS6detail17trampoline_kernelINS0_14default_configENS1_38merge_sort_block_merge_config_selectorIlNS0_10empty_typeEEEZZNS1_27merge_sort_block_merge_implIS3_N6thrust23THRUST_200600_302600_NS6detail15normal_iteratorINS9_10device_ptrIlEEEEPS5_m14custom_greaterIlEEE10hipError_tT0_T1_T2_jT3_P12ihipStream_tbPNSt15iterator_traitsISJ_E10value_typeEPNSP_ISK_E10value_typeEPSL_NS1_7vsmem_tEENKUlT_SJ_SK_SL_E_clISE_PlSF_SF_EESI_SY_SJ_SK_SL_EUlSY_E0_NS1_11comp_targetILNS1_3genE2ELNS1_11target_archE906ELNS1_3gpuE6ELNS1_3repE0EEENS1_38merge_mergepath_config_static_selectorELNS0_4arch9wavefront6targetE1EEEvSK_,@function
_ZN7rocprim17ROCPRIM_400000_NS6detail17trampoline_kernelINS0_14default_configENS1_38merge_sort_block_merge_config_selectorIlNS0_10empty_typeEEEZZNS1_27merge_sort_block_merge_implIS3_N6thrust23THRUST_200600_302600_NS6detail15normal_iteratorINS9_10device_ptrIlEEEEPS5_m14custom_greaterIlEEE10hipError_tT0_T1_T2_jT3_P12ihipStream_tbPNSt15iterator_traitsISJ_E10value_typeEPNSP_ISK_E10value_typeEPSL_NS1_7vsmem_tEENKUlT_SJ_SK_SL_E_clISE_PlSF_SF_EESI_SY_SJ_SK_SL_EUlSY_E0_NS1_11comp_targetILNS1_3genE2ELNS1_11target_archE906ELNS1_3gpuE6ELNS1_3repE0EEENS1_38merge_mergepath_config_static_selectorELNS0_4arch9wavefront6targetE1EEEvSK_: ; @_ZN7rocprim17ROCPRIM_400000_NS6detail17trampoline_kernelINS0_14default_configENS1_38merge_sort_block_merge_config_selectorIlNS0_10empty_typeEEEZZNS1_27merge_sort_block_merge_implIS3_N6thrust23THRUST_200600_302600_NS6detail15normal_iteratorINS9_10device_ptrIlEEEEPS5_m14custom_greaterIlEEE10hipError_tT0_T1_T2_jT3_P12ihipStream_tbPNSt15iterator_traitsISJ_E10value_typeEPNSP_ISK_E10value_typeEPSL_NS1_7vsmem_tEENKUlT_SJ_SK_SL_E_clISE_PlSF_SF_EESI_SY_SJ_SK_SL_EUlSY_E0_NS1_11comp_targetILNS1_3genE2ELNS1_11target_archE906ELNS1_3gpuE6ELNS1_3repE0EEENS1_38merge_mergepath_config_static_selectorELNS0_4arch9wavefront6targetE1EEEvSK_
; %bb.0:
	.section	.rodata,"a",@progbits
	.p2align	6, 0x0
	.amdhsa_kernel _ZN7rocprim17ROCPRIM_400000_NS6detail17trampoline_kernelINS0_14default_configENS1_38merge_sort_block_merge_config_selectorIlNS0_10empty_typeEEEZZNS1_27merge_sort_block_merge_implIS3_N6thrust23THRUST_200600_302600_NS6detail15normal_iteratorINS9_10device_ptrIlEEEEPS5_m14custom_greaterIlEEE10hipError_tT0_T1_T2_jT3_P12ihipStream_tbPNSt15iterator_traitsISJ_E10value_typeEPNSP_ISK_E10value_typeEPSL_NS1_7vsmem_tEENKUlT_SJ_SK_SL_E_clISE_PlSF_SF_EESI_SY_SJ_SK_SL_EUlSY_E0_NS1_11comp_targetILNS1_3genE2ELNS1_11target_archE906ELNS1_3gpuE6ELNS1_3repE0EEENS1_38merge_mergepath_config_static_selectorELNS0_4arch9wavefront6targetE1EEEvSK_
		.amdhsa_group_segment_fixed_size 0
		.amdhsa_private_segment_fixed_size 0
		.amdhsa_kernarg_size 72
		.amdhsa_user_sgpr_count 6
		.amdhsa_user_sgpr_private_segment_buffer 1
		.amdhsa_user_sgpr_dispatch_ptr 0
		.amdhsa_user_sgpr_queue_ptr 0
		.amdhsa_user_sgpr_kernarg_segment_ptr 1
		.amdhsa_user_sgpr_dispatch_id 0
		.amdhsa_user_sgpr_flat_scratch_init 0
		.amdhsa_user_sgpr_kernarg_preload_length 0
		.amdhsa_user_sgpr_kernarg_preload_offset 0
		.amdhsa_user_sgpr_private_segment_size 0
		.amdhsa_uses_dynamic_stack 0
		.amdhsa_system_sgpr_private_segment_wavefront_offset 0
		.amdhsa_system_sgpr_workgroup_id_x 1
		.amdhsa_system_sgpr_workgroup_id_y 0
		.amdhsa_system_sgpr_workgroup_id_z 0
		.amdhsa_system_sgpr_workgroup_info 0
		.amdhsa_system_vgpr_workitem_id 0
		.amdhsa_next_free_vgpr 1
		.amdhsa_next_free_sgpr 0
		.amdhsa_accum_offset 4
		.amdhsa_reserve_vcc 0
		.amdhsa_reserve_flat_scratch 0
		.amdhsa_float_round_mode_32 0
		.amdhsa_float_round_mode_16_64 0
		.amdhsa_float_denorm_mode_32 3
		.amdhsa_float_denorm_mode_16_64 3
		.amdhsa_dx10_clamp 1
		.amdhsa_ieee_mode 1
		.amdhsa_fp16_overflow 0
		.amdhsa_tg_split 0
		.amdhsa_exception_fp_ieee_invalid_op 0
		.amdhsa_exception_fp_denorm_src 0
		.amdhsa_exception_fp_ieee_div_zero 0
		.amdhsa_exception_fp_ieee_overflow 0
		.amdhsa_exception_fp_ieee_underflow 0
		.amdhsa_exception_fp_ieee_inexact 0
		.amdhsa_exception_int_div_zero 0
	.end_amdhsa_kernel
	.section	.text._ZN7rocprim17ROCPRIM_400000_NS6detail17trampoline_kernelINS0_14default_configENS1_38merge_sort_block_merge_config_selectorIlNS0_10empty_typeEEEZZNS1_27merge_sort_block_merge_implIS3_N6thrust23THRUST_200600_302600_NS6detail15normal_iteratorINS9_10device_ptrIlEEEEPS5_m14custom_greaterIlEEE10hipError_tT0_T1_T2_jT3_P12ihipStream_tbPNSt15iterator_traitsISJ_E10value_typeEPNSP_ISK_E10value_typeEPSL_NS1_7vsmem_tEENKUlT_SJ_SK_SL_E_clISE_PlSF_SF_EESI_SY_SJ_SK_SL_EUlSY_E0_NS1_11comp_targetILNS1_3genE2ELNS1_11target_archE906ELNS1_3gpuE6ELNS1_3repE0EEENS1_38merge_mergepath_config_static_selectorELNS0_4arch9wavefront6targetE1EEEvSK_,"axG",@progbits,_ZN7rocprim17ROCPRIM_400000_NS6detail17trampoline_kernelINS0_14default_configENS1_38merge_sort_block_merge_config_selectorIlNS0_10empty_typeEEEZZNS1_27merge_sort_block_merge_implIS3_N6thrust23THRUST_200600_302600_NS6detail15normal_iteratorINS9_10device_ptrIlEEEEPS5_m14custom_greaterIlEEE10hipError_tT0_T1_T2_jT3_P12ihipStream_tbPNSt15iterator_traitsISJ_E10value_typeEPNSP_ISK_E10value_typeEPSL_NS1_7vsmem_tEENKUlT_SJ_SK_SL_E_clISE_PlSF_SF_EESI_SY_SJ_SK_SL_EUlSY_E0_NS1_11comp_targetILNS1_3genE2ELNS1_11target_archE906ELNS1_3gpuE6ELNS1_3repE0EEENS1_38merge_mergepath_config_static_selectorELNS0_4arch9wavefront6targetE1EEEvSK_,comdat
.Lfunc_end3275:
	.size	_ZN7rocprim17ROCPRIM_400000_NS6detail17trampoline_kernelINS0_14default_configENS1_38merge_sort_block_merge_config_selectorIlNS0_10empty_typeEEEZZNS1_27merge_sort_block_merge_implIS3_N6thrust23THRUST_200600_302600_NS6detail15normal_iteratorINS9_10device_ptrIlEEEEPS5_m14custom_greaterIlEEE10hipError_tT0_T1_T2_jT3_P12ihipStream_tbPNSt15iterator_traitsISJ_E10value_typeEPNSP_ISK_E10value_typeEPSL_NS1_7vsmem_tEENKUlT_SJ_SK_SL_E_clISE_PlSF_SF_EESI_SY_SJ_SK_SL_EUlSY_E0_NS1_11comp_targetILNS1_3genE2ELNS1_11target_archE906ELNS1_3gpuE6ELNS1_3repE0EEENS1_38merge_mergepath_config_static_selectorELNS0_4arch9wavefront6targetE1EEEvSK_, .Lfunc_end3275-_ZN7rocprim17ROCPRIM_400000_NS6detail17trampoline_kernelINS0_14default_configENS1_38merge_sort_block_merge_config_selectorIlNS0_10empty_typeEEEZZNS1_27merge_sort_block_merge_implIS3_N6thrust23THRUST_200600_302600_NS6detail15normal_iteratorINS9_10device_ptrIlEEEEPS5_m14custom_greaterIlEEE10hipError_tT0_T1_T2_jT3_P12ihipStream_tbPNSt15iterator_traitsISJ_E10value_typeEPNSP_ISK_E10value_typeEPSL_NS1_7vsmem_tEENKUlT_SJ_SK_SL_E_clISE_PlSF_SF_EESI_SY_SJ_SK_SL_EUlSY_E0_NS1_11comp_targetILNS1_3genE2ELNS1_11target_archE906ELNS1_3gpuE6ELNS1_3repE0EEENS1_38merge_mergepath_config_static_selectorELNS0_4arch9wavefront6targetE1EEEvSK_
                                        ; -- End function
	.section	.AMDGPU.csdata,"",@progbits
; Kernel info:
; codeLenInByte = 0
; NumSgprs: 4
; NumVgprs: 0
; NumAgprs: 0
; TotalNumVgprs: 0
; ScratchSize: 0
; MemoryBound: 0
; FloatMode: 240
; IeeeMode: 1
; LDSByteSize: 0 bytes/workgroup (compile time only)
; SGPRBlocks: 0
; VGPRBlocks: 0
; NumSGPRsForWavesPerEU: 4
; NumVGPRsForWavesPerEU: 1
; AccumOffset: 4
; Occupancy: 8
; WaveLimiterHint : 0
; COMPUTE_PGM_RSRC2:SCRATCH_EN: 0
; COMPUTE_PGM_RSRC2:USER_SGPR: 6
; COMPUTE_PGM_RSRC2:TRAP_HANDLER: 0
; COMPUTE_PGM_RSRC2:TGID_X_EN: 1
; COMPUTE_PGM_RSRC2:TGID_Y_EN: 0
; COMPUTE_PGM_RSRC2:TGID_Z_EN: 0
; COMPUTE_PGM_RSRC2:TIDIG_COMP_CNT: 0
; COMPUTE_PGM_RSRC3_GFX90A:ACCUM_OFFSET: 0
; COMPUTE_PGM_RSRC3_GFX90A:TG_SPLIT: 0
	.section	.text._ZN7rocprim17ROCPRIM_400000_NS6detail17trampoline_kernelINS0_14default_configENS1_38merge_sort_block_merge_config_selectorIlNS0_10empty_typeEEEZZNS1_27merge_sort_block_merge_implIS3_N6thrust23THRUST_200600_302600_NS6detail15normal_iteratorINS9_10device_ptrIlEEEEPS5_m14custom_greaterIlEEE10hipError_tT0_T1_T2_jT3_P12ihipStream_tbPNSt15iterator_traitsISJ_E10value_typeEPNSP_ISK_E10value_typeEPSL_NS1_7vsmem_tEENKUlT_SJ_SK_SL_E_clISE_PlSF_SF_EESI_SY_SJ_SK_SL_EUlSY_E0_NS1_11comp_targetILNS1_3genE9ELNS1_11target_archE1100ELNS1_3gpuE3ELNS1_3repE0EEENS1_38merge_mergepath_config_static_selectorELNS0_4arch9wavefront6targetE1EEEvSK_,"axG",@progbits,_ZN7rocprim17ROCPRIM_400000_NS6detail17trampoline_kernelINS0_14default_configENS1_38merge_sort_block_merge_config_selectorIlNS0_10empty_typeEEEZZNS1_27merge_sort_block_merge_implIS3_N6thrust23THRUST_200600_302600_NS6detail15normal_iteratorINS9_10device_ptrIlEEEEPS5_m14custom_greaterIlEEE10hipError_tT0_T1_T2_jT3_P12ihipStream_tbPNSt15iterator_traitsISJ_E10value_typeEPNSP_ISK_E10value_typeEPSL_NS1_7vsmem_tEENKUlT_SJ_SK_SL_E_clISE_PlSF_SF_EESI_SY_SJ_SK_SL_EUlSY_E0_NS1_11comp_targetILNS1_3genE9ELNS1_11target_archE1100ELNS1_3gpuE3ELNS1_3repE0EEENS1_38merge_mergepath_config_static_selectorELNS0_4arch9wavefront6targetE1EEEvSK_,comdat
	.protected	_ZN7rocprim17ROCPRIM_400000_NS6detail17trampoline_kernelINS0_14default_configENS1_38merge_sort_block_merge_config_selectorIlNS0_10empty_typeEEEZZNS1_27merge_sort_block_merge_implIS3_N6thrust23THRUST_200600_302600_NS6detail15normal_iteratorINS9_10device_ptrIlEEEEPS5_m14custom_greaterIlEEE10hipError_tT0_T1_T2_jT3_P12ihipStream_tbPNSt15iterator_traitsISJ_E10value_typeEPNSP_ISK_E10value_typeEPSL_NS1_7vsmem_tEENKUlT_SJ_SK_SL_E_clISE_PlSF_SF_EESI_SY_SJ_SK_SL_EUlSY_E0_NS1_11comp_targetILNS1_3genE9ELNS1_11target_archE1100ELNS1_3gpuE3ELNS1_3repE0EEENS1_38merge_mergepath_config_static_selectorELNS0_4arch9wavefront6targetE1EEEvSK_ ; -- Begin function _ZN7rocprim17ROCPRIM_400000_NS6detail17trampoline_kernelINS0_14default_configENS1_38merge_sort_block_merge_config_selectorIlNS0_10empty_typeEEEZZNS1_27merge_sort_block_merge_implIS3_N6thrust23THRUST_200600_302600_NS6detail15normal_iteratorINS9_10device_ptrIlEEEEPS5_m14custom_greaterIlEEE10hipError_tT0_T1_T2_jT3_P12ihipStream_tbPNSt15iterator_traitsISJ_E10value_typeEPNSP_ISK_E10value_typeEPSL_NS1_7vsmem_tEENKUlT_SJ_SK_SL_E_clISE_PlSF_SF_EESI_SY_SJ_SK_SL_EUlSY_E0_NS1_11comp_targetILNS1_3genE9ELNS1_11target_archE1100ELNS1_3gpuE3ELNS1_3repE0EEENS1_38merge_mergepath_config_static_selectorELNS0_4arch9wavefront6targetE1EEEvSK_
	.globl	_ZN7rocprim17ROCPRIM_400000_NS6detail17trampoline_kernelINS0_14default_configENS1_38merge_sort_block_merge_config_selectorIlNS0_10empty_typeEEEZZNS1_27merge_sort_block_merge_implIS3_N6thrust23THRUST_200600_302600_NS6detail15normal_iteratorINS9_10device_ptrIlEEEEPS5_m14custom_greaterIlEEE10hipError_tT0_T1_T2_jT3_P12ihipStream_tbPNSt15iterator_traitsISJ_E10value_typeEPNSP_ISK_E10value_typeEPSL_NS1_7vsmem_tEENKUlT_SJ_SK_SL_E_clISE_PlSF_SF_EESI_SY_SJ_SK_SL_EUlSY_E0_NS1_11comp_targetILNS1_3genE9ELNS1_11target_archE1100ELNS1_3gpuE3ELNS1_3repE0EEENS1_38merge_mergepath_config_static_selectorELNS0_4arch9wavefront6targetE1EEEvSK_
	.p2align	8
	.type	_ZN7rocprim17ROCPRIM_400000_NS6detail17trampoline_kernelINS0_14default_configENS1_38merge_sort_block_merge_config_selectorIlNS0_10empty_typeEEEZZNS1_27merge_sort_block_merge_implIS3_N6thrust23THRUST_200600_302600_NS6detail15normal_iteratorINS9_10device_ptrIlEEEEPS5_m14custom_greaterIlEEE10hipError_tT0_T1_T2_jT3_P12ihipStream_tbPNSt15iterator_traitsISJ_E10value_typeEPNSP_ISK_E10value_typeEPSL_NS1_7vsmem_tEENKUlT_SJ_SK_SL_E_clISE_PlSF_SF_EESI_SY_SJ_SK_SL_EUlSY_E0_NS1_11comp_targetILNS1_3genE9ELNS1_11target_archE1100ELNS1_3gpuE3ELNS1_3repE0EEENS1_38merge_mergepath_config_static_selectorELNS0_4arch9wavefront6targetE1EEEvSK_,@function
_ZN7rocprim17ROCPRIM_400000_NS6detail17trampoline_kernelINS0_14default_configENS1_38merge_sort_block_merge_config_selectorIlNS0_10empty_typeEEEZZNS1_27merge_sort_block_merge_implIS3_N6thrust23THRUST_200600_302600_NS6detail15normal_iteratorINS9_10device_ptrIlEEEEPS5_m14custom_greaterIlEEE10hipError_tT0_T1_T2_jT3_P12ihipStream_tbPNSt15iterator_traitsISJ_E10value_typeEPNSP_ISK_E10value_typeEPSL_NS1_7vsmem_tEENKUlT_SJ_SK_SL_E_clISE_PlSF_SF_EESI_SY_SJ_SK_SL_EUlSY_E0_NS1_11comp_targetILNS1_3genE9ELNS1_11target_archE1100ELNS1_3gpuE3ELNS1_3repE0EEENS1_38merge_mergepath_config_static_selectorELNS0_4arch9wavefront6targetE1EEEvSK_: ; @_ZN7rocprim17ROCPRIM_400000_NS6detail17trampoline_kernelINS0_14default_configENS1_38merge_sort_block_merge_config_selectorIlNS0_10empty_typeEEEZZNS1_27merge_sort_block_merge_implIS3_N6thrust23THRUST_200600_302600_NS6detail15normal_iteratorINS9_10device_ptrIlEEEEPS5_m14custom_greaterIlEEE10hipError_tT0_T1_T2_jT3_P12ihipStream_tbPNSt15iterator_traitsISJ_E10value_typeEPNSP_ISK_E10value_typeEPSL_NS1_7vsmem_tEENKUlT_SJ_SK_SL_E_clISE_PlSF_SF_EESI_SY_SJ_SK_SL_EUlSY_E0_NS1_11comp_targetILNS1_3genE9ELNS1_11target_archE1100ELNS1_3gpuE3ELNS1_3repE0EEENS1_38merge_mergepath_config_static_selectorELNS0_4arch9wavefront6targetE1EEEvSK_
; %bb.0:
	.section	.rodata,"a",@progbits
	.p2align	6, 0x0
	.amdhsa_kernel _ZN7rocprim17ROCPRIM_400000_NS6detail17trampoline_kernelINS0_14default_configENS1_38merge_sort_block_merge_config_selectorIlNS0_10empty_typeEEEZZNS1_27merge_sort_block_merge_implIS3_N6thrust23THRUST_200600_302600_NS6detail15normal_iteratorINS9_10device_ptrIlEEEEPS5_m14custom_greaterIlEEE10hipError_tT0_T1_T2_jT3_P12ihipStream_tbPNSt15iterator_traitsISJ_E10value_typeEPNSP_ISK_E10value_typeEPSL_NS1_7vsmem_tEENKUlT_SJ_SK_SL_E_clISE_PlSF_SF_EESI_SY_SJ_SK_SL_EUlSY_E0_NS1_11comp_targetILNS1_3genE9ELNS1_11target_archE1100ELNS1_3gpuE3ELNS1_3repE0EEENS1_38merge_mergepath_config_static_selectorELNS0_4arch9wavefront6targetE1EEEvSK_
		.amdhsa_group_segment_fixed_size 0
		.amdhsa_private_segment_fixed_size 0
		.amdhsa_kernarg_size 72
		.amdhsa_user_sgpr_count 6
		.amdhsa_user_sgpr_private_segment_buffer 1
		.amdhsa_user_sgpr_dispatch_ptr 0
		.amdhsa_user_sgpr_queue_ptr 0
		.amdhsa_user_sgpr_kernarg_segment_ptr 1
		.amdhsa_user_sgpr_dispatch_id 0
		.amdhsa_user_sgpr_flat_scratch_init 0
		.amdhsa_user_sgpr_kernarg_preload_length 0
		.amdhsa_user_sgpr_kernarg_preload_offset 0
		.amdhsa_user_sgpr_private_segment_size 0
		.amdhsa_uses_dynamic_stack 0
		.amdhsa_system_sgpr_private_segment_wavefront_offset 0
		.amdhsa_system_sgpr_workgroup_id_x 1
		.amdhsa_system_sgpr_workgroup_id_y 0
		.amdhsa_system_sgpr_workgroup_id_z 0
		.amdhsa_system_sgpr_workgroup_info 0
		.amdhsa_system_vgpr_workitem_id 0
		.amdhsa_next_free_vgpr 1
		.amdhsa_next_free_sgpr 0
		.amdhsa_accum_offset 4
		.amdhsa_reserve_vcc 0
		.amdhsa_reserve_flat_scratch 0
		.amdhsa_float_round_mode_32 0
		.amdhsa_float_round_mode_16_64 0
		.amdhsa_float_denorm_mode_32 3
		.amdhsa_float_denorm_mode_16_64 3
		.amdhsa_dx10_clamp 1
		.amdhsa_ieee_mode 1
		.amdhsa_fp16_overflow 0
		.amdhsa_tg_split 0
		.amdhsa_exception_fp_ieee_invalid_op 0
		.amdhsa_exception_fp_denorm_src 0
		.amdhsa_exception_fp_ieee_div_zero 0
		.amdhsa_exception_fp_ieee_overflow 0
		.amdhsa_exception_fp_ieee_underflow 0
		.amdhsa_exception_fp_ieee_inexact 0
		.amdhsa_exception_int_div_zero 0
	.end_amdhsa_kernel
	.section	.text._ZN7rocprim17ROCPRIM_400000_NS6detail17trampoline_kernelINS0_14default_configENS1_38merge_sort_block_merge_config_selectorIlNS0_10empty_typeEEEZZNS1_27merge_sort_block_merge_implIS3_N6thrust23THRUST_200600_302600_NS6detail15normal_iteratorINS9_10device_ptrIlEEEEPS5_m14custom_greaterIlEEE10hipError_tT0_T1_T2_jT3_P12ihipStream_tbPNSt15iterator_traitsISJ_E10value_typeEPNSP_ISK_E10value_typeEPSL_NS1_7vsmem_tEENKUlT_SJ_SK_SL_E_clISE_PlSF_SF_EESI_SY_SJ_SK_SL_EUlSY_E0_NS1_11comp_targetILNS1_3genE9ELNS1_11target_archE1100ELNS1_3gpuE3ELNS1_3repE0EEENS1_38merge_mergepath_config_static_selectorELNS0_4arch9wavefront6targetE1EEEvSK_,"axG",@progbits,_ZN7rocprim17ROCPRIM_400000_NS6detail17trampoline_kernelINS0_14default_configENS1_38merge_sort_block_merge_config_selectorIlNS0_10empty_typeEEEZZNS1_27merge_sort_block_merge_implIS3_N6thrust23THRUST_200600_302600_NS6detail15normal_iteratorINS9_10device_ptrIlEEEEPS5_m14custom_greaterIlEEE10hipError_tT0_T1_T2_jT3_P12ihipStream_tbPNSt15iterator_traitsISJ_E10value_typeEPNSP_ISK_E10value_typeEPSL_NS1_7vsmem_tEENKUlT_SJ_SK_SL_E_clISE_PlSF_SF_EESI_SY_SJ_SK_SL_EUlSY_E0_NS1_11comp_targetILNS1_3genE9ELNS1_11target_archE1100ELNS1_3gpuE3ELNS1_3repE0EEENS1_38merge_mergepath_config_static_selectorELNS0_4arch9wavefront6targetE1EEEvSK_,comdat
.Lfunc_end3276:
	.size	_ZN7rocprim17ROCPRIM_400000_NS6detail17trampoline_kernelINS0_14default_configENS1_38merge_sort_block_merge_config_selectorIlNS0_10empty_typeEEEZZNS1_27merge_sort_block_merge_implIS3_N6thrust23THRUST_200600_302600_NS6detail15normal_iteratorINS9_10device_ptrIlEEEEPS5_m14custom_greaterIlEEE10hipError_tT0_T1_T2_jT3_P12ihipStream_tbPNSt15iterator_traitsISJ_E10value_typeEPNSP_ISK_E10value_typeEPSL_NS1_7vsmem_tEENKUlT_SJ_SK_SL_E_clISE_PlSF_SF_EESI_SY_SJ_SK_SL_EUlSY_E0_NS1_11comp_targetILNS1_3genE9ELNS1_11target_archE1100ELNS1_3gpuE3ELNS1_3repE0EEENS1_38merge_mergepath_config_static_selectorELNS0_4arch9wavefront6targetE1EEEvSK_, .Lfunc_end3276-_ZN7rocprim17ROCPRIM_400000_NS6detail17trampoline_kernelINS0_14default_configENS1_38merge_sort_block_merge_config_selectorIlNS0_10empty_typeEEEZZNS1_27merge_sort_block_merge_implIS3_N6thrust23THRUST_200600_302600_NS6detail15normal_iteratorINS9_10device_ptrIlEEEEPS5_m14custom_greaterIlEEE10hipError_tT0_T1_T2_jT3_P12ihipStream_tbPNSt15iterator_traitsISJ_E10value_typeEPNSP_ISK_E10value_typeEPSL_NS1_7vsmem_tEENKUlT_SJ_SK_SL_E_clISE_PlSF_SF_EESI_SY_SJ_SK_SL_EUlSY_E0_NS1_11comp_targetILNS1_3genE9ELNS1_11target_archE1100ELNS1_3gpuE3ELNS1_3repE0EEENS1_38merge_mergepath_config_static_selectorELNS0_4arch9wavefront6targetE1EEEvSK_
                                        ; -- End function
	.section	.AMDGPU.csdata,"",@progbits
; Kernel info:
; codeLenInByte = 0
; NumSgprs: 4
; NumVgprs: 0
; NumAgprs: 0
; TotalNumVgprs: 0
; ScratchSize: 0
; MemoryBound: 0
; FloatMode: 240
; IeeeMode: 1
; LDSByteSize: 0 bytes/workgroup (compile time only)
; SGPRBlocks: 0
; VGPRBlocks: 0
; NumSGPRsForWavesPerEU: 4
; NumVGPRsForWavesPerEU: 1
; AccumOffset: 4
; Occupancy: 8
; WaveLimiterHint : 0
; COMPUTE_PGM_RSRC2:SCRATCH_EN: 0
; COMPUTE_PGM_RSRC2:USER_SGPR: 6
; COMPUTE_PGM_RSRC2:TRAP_HANDLER: 0
; COMPUTE_PGM_RSRC2:TGID_X_EN: 1
; COMPUTE_PGM_RSRC2:TGID_Y_EN: 0
; COMPUTE_PGM_RSRC2:TGID_Z_EN: 0
; COMPUTE_PGM_RSRC2:TIDIG_COMP_CNT: 0
; COMPUTE_PGM_RSRC3_GFX90A:ACCUM_OFFSET: 0
; COMPUTE_PGM_RSRC3_GFX90A:TG_SPLIT: 0
	.section	.text._ZN7rocprim17ROCPRIM_400000_NS6detail17trampoline_kernelINS0_14default_configENS1_38merge_sort_block_merge_config_selectorIlNS0_10empty_typeEEEZZNS1_27merge_sort_block_merge_implIS3_N6thrust23THRUST_200600_302600_NS6detail15normal_iteratorINS9_10device_ptrIlEEEEPS5_m14custom_greaterIlEEE10hipError_tT0_T1_T2_jT3_P12ihipStream_tbPNSt15iterator_traitsISJ_E10value_typeEPNSP_ISK_E10value_typeEPSL_NS1_7vsmem_tEENKUlT_SJ_SK_SL_E_clISE_PlSF_SF_EESI_SY_SJ_SK_SL_EUlSY_E0_NS1_11comp_targetILNS1_3genE8ELNS1_11target_archE1030ELNS1_3gpuE2ELNS1_3repE0EEENS1_38merge_mergepath_config_static_selectorELNS0_4arch9wavefront6targetE1EEEvSK_,"axG",@progbits,_ZN7rocprim17ROCPRIM_400000_NS6detail17trampoline_kernelINS0_14default_configENS1_38merge_sort_block_merge_config_selectorIlNS0_10empty_typeEEEZZNS1_27merge_sort_block_merge_implIS3_N6thrust23THRUST_200600_302600_NS6detail15normal_iteratorINS9_10device_ptrIlEEEEPS5_m14custom_greaterIlEEE10hipError_tT0_T1_T2_jT3_P12ihipStream_tbPNSt15iterator_traitsISJ_E10value_typeEPNSP_ISK_E10value_typeEPSL_NS1_7vsmem_tEENKUlT_SJ_SK_SL_E_clISE_PlSF_SF_EESI_SY_SJ_SK_SL_EUlSY_E0_NS1_11comp_targetILNS1_3genE8ELNS1_11target_archE1030ELNS1_3gpuE2ELNS1_3repE0EEENS1_38merge_mergepath_config_static_selectorELNS0_4arch9wavefront6targetE1EEEvSK_,comdat
	.protected	_ZN7rocprim17ROCPRIM_400000_NS6detail17trampoline_kernelINS0_14default_configENS1_38merge_sort_block_merge_config_selectorIlNS0_10empty_typeEEEZZNS1_27merge_sort_block_merge_implIS3_N6thrust23THRUST_200600_302600_NS6detail15normal_iteratorINS9_10device_ptrIlEEEEPS5_m14custom_greaterIlEEE10hipError_tT0_T1_T2_jT3_P12ihipStream_tbPNSt15iterator_traitsISJ_E10value_typeEPNSP_ISK_E10value_typeEPSL_NS1_7vsmem_tEENKUlT_SJ_SK_SL_E_clISE_PlSF_SF_EESI_SY_SJ_SK_SL_EUlSY_E0_NS1_11comp_targetILNS1_3genE8ELNS1_11target_archE1030ELNS1_3gpuE2ELNS1_3repE0EEENS1_38merge_mergepath_config_static_selectorELNS0_4arch9wavefront6targetE1EEEvSK_ ; -- Begin function _ZN7rocprim17ROCPRIM_400000_NS6detail17trampoline_kernelINS0_14default_configENS1_38merge_sort_block_merge_config_selectorIlNS0_10empty_typeEEEZZNS1_27merge_sort_block_merge_implIS3_N6thrust23THRUST_200600_302600_NS6detail15normal_iteratorINS9_10device_ptrIlEEEEPS5_m14custom_greaterIlEEE10hipError_tT0_T1_T2_jT3_P12ihipStream_tbPNSt15iterator_traitsISJ_E10value_typeEPNSP_ISK_E10value_typeEPSL_NS1_7vsmem_tEENKUlT_SJ_SK_SL_E_clISE_PlSF_SF_EESI_SY_SJ_SK_SL_EUlSY_E0_NS1_11comp_targetILNS1_3genE8ELNS1_11target_archE1030ELNS1_3gpuE2ELNS1_3repE0EEENS1_38merge_mergepath_config_static_selectorELNS0_4arch9wavefront6targetE1EEEvSK_
	.globl	_ZN7rocprim17ROCPRIM_400000_NS6detail17trampoline_kernelINS0_14default_configENS1_38merge_sort_block_merge_config_selectorIlNS0_10empty_typeEEEZZNS1_27merge_sort_block_merge_implIS3_N6thrust23THRUST_200600_302600_NS6detail15normal_iteratorINS9_10device_ptrIlEEEEPS5_m14custom_greaterIlEEE10hipError_tT0_T1_T2_jT3_P12ihipStream_tbPNSt15iterator_traitsISJ_E10value_typeEPNSP_ISK_E10value_typeEPSL_NS1_7vsmem_tEENKUlT_SJ_SK_SL_E_clISE_PlSF_SF_EESI_SY_SJ_SK_SL_EUlSY_E0_NS1_11comp_targetILNS1_3genE8ELNS1_11target_archE1030ELNS1_3gpuE2ELNS1_3repE0EEENS1_38merge_mergepath_config_static_selectorELNS0_4arch9wavefront6targetE1EEEvSK_
	.p2align	8
	.type	_ZN7rocprim17ROCPRIM_400000_NS6detail17trampoline_kernelINS0_14default_configENS1_38merge_sort_block_merge_config_selectorIlNS0_10empty_typeEEEZZNS1_27merge_sort_block_merge_implIS3_N6thrust23THRUST_200600_302600_NS6detail15normal_iteratorINS9_10device_ptrIlEEEEPS5_m14custom_greaterIlEEE10hipError_tT0_T1_T2_jT3_P12ihipStream_tbPNSt15iterator_traitsISJ_E10value_typeEPNSP_ISK_E10value_typeEPSL_NS1_7vsmem_tEENKUlT_SJ_SK_SL_E_clISE_PlSF_SF_EESI_SY_SJ_SK_SL_EUlSY_E0_NS1_11comp_targetILNS1_3genE8ELNS1_11target_archE1030ELNS1_3gpuE2ELNS1_3repE0EEENS1_38merge_mergepath_config_static_selectorELNS0_4arch9wavefront6targetE1EEEvSK_,@function
_ZN7rocprim17ROCPRIM_400000_NS6detail17trampoline_kernelINS0_14default_configENS1_38merge_sort_block_merge_config_selectorIlNS0_10empty_typeEEEZZNS1_27merge_sort_block_merge_implIS3_N6thrust23THRUST_200600_302600_NS6detail15normal_iteratorINS9_10device_ptrIlEEEEPS5_m14custom_greaterIlEEE10hipError_tT0_T1_T2_jT3_P12ihipStream_tbPNSt15iterator_traitsISJ_E10value_typeEPNSP_ISK_E10value_typeEPSL_NS1_7vsmem_tEENKUlT_SJ_SK_SL_E_clISE_PlSF_SF_EESI_SY_SJ_SK_SL_EUlSY_E0_NS1_11comp_targetILNS1_3genE8ELNS1_11target_archE1030ELNS1_3gpuE2ELNS1_3repE0EEENS1_38merge_mergepath_config_static_selectorELNS0_4arch9wavefront6targetE1EEEvSK_: ; @_ZN7rocprim17ROCPRIM_400000_NS6detail17trampoline_kernelINS0_14default_configENS1_38merge_sort_block_merge_config_selectorIlNS0_10empty_typeEEEZZNS1_27merge_sort_block_merge_implIS3_N6thrust23THRUST_200600_302600_NS6detail15normal_iteratorINS9_10device_ptrIlEEEEPS5_m14custom_greaterIlEEE10hipError_tT0_T1_T2_jT3_P12ihipStream_tbPNSt15iterator_traitsISJ_E10value_typeEPNSP_ISK_E10value_typeEPSL_NS1_7vsmem_tEENKUlT_SJ_SK_SL_E_clISE_PlSF_SF_EESI_SY_SJ_SK_SL_EUlSY_E0_NS1_11comp_targetILNS1_3genE8ELNS1_11target_archE1030ELNS1_3gpuE2ELNS1_3repE0EEENS1_38merge_mergepath_config_static_selectorELNS0_4arch9wavefront6targetE1EEEvSK_
; %bb.0:
	.section	.rodata,"a",@progbits
	.p2align	6, 0x0
	.amdhsa_kernel _ZN7rocprim17ROCPRIM_400000_NS6detail17trampoline_kernelINS0_14default_configENS1_38merge_sort_block_merge_config_selectorIlNS0_10empty_typeEEEZZNS1_27merge_sort_block_merge_implIS3_N6thrust23THRUST_200600_302600_NS6detail15normal_iteratorINS9_10device_ptrIlEEEEPS5_m14custom_greaterIlEEE10hipError_tT0_T1_T2_jT3_P12ihipStream_tbPNSt15iterator_traitsISJ_E10value_typeEPNSP_ISK_E10value_typeEPSL_NS1_7vsmem_tEENKUlT_SJ_SK_SL_E_clISE_PlSF_SF_EESI_SY_SJ_SK_SL_EUlSY_E0_NS1_11comp_targetILNS1_3genE8ELNS1_11target_archE1030ELNS1_3gpuE2ELNS1_3repE0EEENS1_38merge_mergepath_config_static_selectorELNS0_4arch9wavefront6targetE1EEEvSK_
		.amdhsa_group_segment_fixed_size 0
		.amdhsa_private_segment_fixed_size 0
		.amdhsa_kernarg_size 72
		.amdhsa_user_sgpr_count 6
		.amdhsa_user_sgpr_private_segment_buffer 1
		.amdhsa_user_sgpr_dispatch_ptr 0
		.amdhsa_user_sgpr_queue_ptr 0
		.amdhsa_user_sgpr_kernarg_segment_ptr 1
		.amdhsa_user_sgpr_dispatch_id 0
		.amdhsa_user_sgpr_flat_scratch_init 0
		.amdhsa_user_sgpr_kernarg_preload_length 0
		.amdhsa_user_sgpr_kernarg_preload_offset 0
		.amdhsa_user_sgpr_private_segment_size 0
		.amdhsa_uses_dynamic_stack 0
		.amdhsa_system_sgpr_private_segment_wavefront_offset 0
		.amdhsa_system_sgpr_workgroup_id_x 1
		.amdhsa_system_sgpr_workgroup_id_y 0
		.amdhsa_system_sgpr_workgroup_id_z 0
		.amdhsa_system_sgpr_workgroup_info 0
		.amdhsa_system_vgpr_workitem_id 0
		.amdhsa_next_free_vgpr 1
		.amdhsa_next_free_sgpr 0
		.amdhsa_accum_offset 4
		.amdhsa_reserve_vcc 0
		.amdhsa_reserve_flat_scratch 0
		.amdhsa_float_round_mode_32 0
		.amdhsa_float_round_mode_16_64 0
		.amdhsa_float_denorm_mode_32 3
		.amdhsa_float_denorm_mode_16_64 3
		.amdhsa_dx10_clamp 1
		.amdhsa_ieee_mode 1
		.amdhsa_fp16_overflow 0
		.amdhsa_tg_split 0
		.amdhsa_exception_fp_ieee_invalid_op 0
		.amdhsa_exception_fp_denorm_src 0
		.amdhsa_exception_fp_ieee_div_zero 0
		.amdhsa_exception_fp_ieee_overflow 0
		.amdhsa_exception_fp_ieee_underflow 0
		.amdhsa_exception_fp_ieee_inexact 0
		.amdhsa_exception_int_div_zero 0
	.end_amdhsa_kernel
	.section	.text._ZN7rocprim17ROCPRIM_400000_NS6detail17trampoline_kernelINS0_14default_configENS1_38merge_sort_block_merge_config_selectorIlNS0_10empty_typeEEEZZNS1_27merge_sort_block_merge_implIS3_N6thrust23THRUST_200600_302600_NS6detail15normal_iteratorINS9_10device_ptrIlEEEEPS5_m14custom_greaterIlEEE10hipError_tT0_T1_T2_jT3_P12ihipStream_tbPNSt15iterator_traitsISJ_E10value_typeEPNSP_ISK_E10value_typeEPSL_NS1_7vsmem_tEENKUlT_SJ_SK_SL_E_clISE_PlSF_SF_EESI_SY_SJ_SK_SL_EUlSY_E0_NS1_11comp_targetILNS1_3genE8ELNS1_11target_archE1030ELNS1_3gpuE2ELNS1_3repE0EEENS1_38merge_mergepath_config_static_selectorELNS0_4arch9wavefront6targetE1EEEvSK_,"axG",@progbits,_ZN7rocprim17ROCPRIM_400000_NS6detail17trampoline_kernelINS0_14default_configENS1_38merge_sort_block_merge_config_selectorIlNS0_10empty_typeEEEZZNS1_27merge_sort_block_merge_implIS3_N6thrust23THRUST_200600_302600_NS6detail15normal_iteratorINS9_10device_ptrIlEEEEPS5_m14custom_greaterIlEEE10hipError_tT0_T1_T2_jT3_P12ihipStream_tbPNSt15iterator_traitsISJ_E10value_typeEPNSP_ISK_E10value_typeEPSL_NS1_7vsmem_tEENKUlT_SJ_SK_SL_E_clISE_PlSF_SF_EESI_SY_SJ_SK_SL_EUlSY_E0_NS1_11comp_targetILNS1_3genE8ELNS1_11target_archE1030ELNS1_3gpuE2ELNS1_3repE0EEENS1_38merge_mergepath_config_static_selectorELNS0_4arch9wavefront6targetE1EEEvSK_,comdat
.Lfunc_end3277:
	.size	_ZN7rocprim17ROCPRIM_400000_NS6detail17trampoline_kernelINS0_14default_configENS1_38merge_sort_block_merge_config_selectorIlNS0_10empty_typeEEEZZNS1_27merge_sort_block_merge_implIS3_N6thrust23THRUST_200600_302600_NS6detail15normal_iteratorINS9_10device_ptrIlEEEEPS5_m14custom_greaterIlEEE10hipError_tT0_T1_T2_jT3_P12ihipStream_tbPNSt15iterator_traitsISJ_E10value_typeEPNSP_ISK_E10value_typeEPSL_NS1_7vsmem_tEENKUlT_SJ_SK_SL_E_clISE_PlSF_SF_EESI_SY_SJ_SK_SL_EUlSY_E0_NS1_11comp_targetILNS1_3genE8ELNS1_11target_archE1030ELNS1_3gpuE2ELNS1_3repE0EEENS1_38merge_mergepath_config_static_selectorELNS0_4arch9wavefront6targetE1EEEvSK_, .Lfunc_end3277-_ZN7rocprim17ROCPRIM_400000_NS6detail17trampoline_kernelINS0_14default_configENS1_38merge_sort_block_merge_config_selectorIlNS0_10empty_typeEEEZZNS1_27merge_sort_block_merge_implIS3_N6thrust23THRUST_200600_302600_NS6detail15normal_iteratorINS9_10device_ptrIlEEEEPS5_m14custom_greaterIlEEE10hipError_tT0_T1_T2_jT3_P12ihipStream_tbPNSt15iterator_traitsISJ_E10value_typeEPNSP_ISK_E10value_typeEPSL_NS1_7vsmem_tEENKUlT_SJ_SK_SL_E_clISE_PlSF_SF_EESI_SY_SJ_SK_SL_EUlSY_E0_NS1_11comp_targetILNS1_3genE8ELNS1_11target_archE1030ELNS1_3gpuE2ELNS1_3repE0EEENS1_38merge_mergepath_config_static_selectorELNS0_4arch9wavefront6targetE1EEEvSK_
                                        ; -- End function
	.section	.AMDGPU.csdata,"",@progbits
; Kernel info:
; codeLenInByte = 0
; NumSgprs: 4
; NumVgprs: 0
; NumAgprs: 0
; TotalNumVgprs: 0
; ScratchSize: 0
; MemoryBound: 0
; FloatMode: 240
; IeeeMode: 1
; LDSByteSize: 0 bytes/workgroup (compile time only)
; SGPRBlocks: 0
; VGPRBlocks: 0
; NumSGPRsForWavesPerEU: 4
; NumVGPRsForWavesPerEU: 1
; AccumOffset: 4
; Occupancy: 8
; WaveLimiterHint : 0
; COMPUTE_PGM_RSRC2:SCRATCH_EN: 0
; COMPUTE_PGM_RSRC2:USER_SGPR: 6
; COMPUTE_PGM_RSRC2:TRAP_HANDLER: 0
; COMPUTE_PGM_RSRC2:TGID_X_EN: 1
; COMPUTE_PGM_RSRC2:TGID_Y_EN: 0
; COMPUTE_PGM_RSRC2:TGID_Z_EN: 0
; COMPUTE_PGM_RSRC2:TIDIG_COMP_CNT: 0
; COMPUTE_PGM_RSRC3_GFX90A:ACCUM_OFFSET: 0
; COMPUTE_PGM_RSRC3_GFX90A:TG_SPLIT: 0
	.section	.text._ZN7rocprim17ROCPRIM_400000_NS6detail17trampoline_kernelINS0_14default_configENS1_38merge_sort_block_merge_config_selectorIlNS0_10empty_typeEEEZZNS1_27merge_sort_block_merge_implIS3_N6thrust23THRUST_200600_302600_NS6detail15normal_iteratorINS9_10device_ptrIlEEEEPS5_m14custom_greaterIlEEE10hipError_tT0_T1_T2_jT3_P12ihipStream_tbPNSt15iterator_traitsISJ_E10value_typeEPNSP_ISK_E10value_typeEPSL_NS1_7vsmem_tEENKUlT_SJ_SK_SL_E_clISE_PlSF_SF_EESI_SY_SJ_SK_SL_EUlSY_E1_NS1_11comp_targetILNS1_3genE0ELNS1_11target_archE4294967295ELNS1_3gpuE0ELNS1_3repE0EEENS1_36merge_oddeven_config_static_selectorELNS0_4arch9wavefront6targetE1EEEvSK_,"axG",@progbits,_ZN7rocprim17ROCPRIM_400000_NS6detail17trampoline_kernelINS0_14default_configENS1_38merge_sort_block_merge_config_selectorIlNS0_10empty_typeEEEZZNS1_27merge_sort_block_merge_implIS3_N6thrust23THRUST_200600_302600_NS6detail15normal_iteratorINS9_10device_ptrIlEEEEPS5_m14custom_greaterIlEEE10hipError_tT0_T1_T2_jT3_P12ihipStream_tbPNSt15iterator_traitsISJ_E10value_typeEPNSP_ISK_E10value_typeEPSL_NS1_7vsmem_tEENKUlT_SJ_SK_SL_E_clISE_PlSF_SF_EESI_SY_SJ_SK_SL_EUlSY_E1_NS1_11comp_targetILNS1_3genE0ELNS1_11target_archE4294967295ELNS1_3gpuE0ELNS1_3repE0EEENS1_36merge_oddeven_config_static_selectorELNS0_4arch9wavefront6targetE1EEEvSK_,comdat
	.protected	_ZN7rocprim17ROCPRIM_400000_NS6detail17trampoline_kernelINS0_14default_configENS1_38merge_sort_block_merge_config_selectorIlNS0_10empty_typeEEEZZNS1_27merge_sort_block_merge_implIS3_N6thrust23THRUST_200600_302600_NS6detail15normal_iteratorINS9_10device_ptrIlEEEEPS5_m14custom_greaterIlEEE10hipError_tT0_T1_T2_jT3_P12ihipStream_tbPNSt15iterator_traitsISJ_E10value_typeEPNSP_ISK_E10value_typeEPSL_NS1_7vsmem_tEENKUlT_SJ_SK_SL_E_clISE_PlSF_SF_EESI_SY_SJ_SK_SL_EUlSY_E1_NS1_11comp_targetILNS1_3genE0ELNS1_11target_archE4294967295ELNS1_3gpuE0ELNS1_3repE0EEENS1_36merge_oddeven_config_static_selectorELNS0_4arch9wavefront6targetE1EEEvSK_ ; -- Begin function _ZN7rocprim17ROCPRIM_400000_NS6detail17trampoline_kernelINS0_14default_configENS1_38merge_sort_block_merge_config_selectorIlNS0_10empty_typeEEEZZNS1_27merge_sort_block_merge_implIS3_N6thrust23THRUST_200600_302600_NS6detail15normal_iteratorINS9_10device_ptrIlEEEEPS5_m14custom_greaterIlEEE10hipError_tT0_T1_T2_jT3_P12ihipStream_tbPNSt15iterator_traitsISJ_E10value_typeEPNSP_ISK_E10value_typeEPSL_NS1_7vsmem_tEENKUlT_SJ_SK_SL_E_clISE_PlSF_SF_EESI_SY_SJ_SK_SL_EUlSY_E1_NS1_11comp_targetILNS1_3genE0ELNS1_11target_archE4294967295ELNS1_3gpuE0ELNS1_3repE0EEENS1_36merge_oddeven_config_static_selectorELNS0_4arch9wavefront6targetE1EEEvSK_
	.globl	_ZN7rocprim17ROCPRIM_400000_NS6detail17trampoline_kernelINS0_14default_configENS1_38merge_sort_block_merge_config_selectorIlNS0_10empty_typeEEEZZNS1_27merge_sort_block_merge_implIS3_N6thrust23THRUST_200600_302600_NS6detail15normal_iteratorINS9_10device_ptrIlEEEEPS5_m14custom_greaterIlEEE10hipError_tT0_T1_T2_jT3_P12ihipStream_tbPNSt15iterator_traitsISJ_E10value_typeEPNSP_ISK_E10value_typeEPSL_NS1_7vsmem_tEENKUlT_SJ_SK_SL_E_clISE_PlSF_SF_EESI_SY_SJ_SK_SL_EUlSY_E1_NS1_11comp_targetILNS1_3genE0ELNS1_11target_archE4294967295ELNS1_3gpuE0ELNS1_3repE0EEENS1_36merge_oddeven_config_static_selectorELNS0_4arch9wavefront6targetE1EEEvSK_
	.p2align	8
	.type	_ZN7rocprim17ROCPRIM_400000_NS6detail17trampoline_kernelINS0_14default_configENS1_38merge_sort_block_merge_config_selectorIlNS0_10empty_typeEEEZZNS1_27merge_sort_block_merge_implIS3_N6thrust23THRUST_200600_302600_NS6detail15normal_iteratorINS9_10device_ptrIlEEEEPS5_m14custom_greaterIlEEE10hipError_tT0_T1_T2_jT3_P12ihipStream_tbPNSt15iterator_traitsISJ_E10value_typeEPNSP_ISK_E10value_typeEPSL_NS1_7vsmem_tEENKUlT_SJ_SK_SL_E_clISE_PlSF_SF_EESI_SY_SJ_SK_SL_EUlSY_E1_NS1_11comp_targetILNS1_3genE0ELNS1_11target_archE4294967295ELNS1_3gpuE0ELNS1_3repE0EEENS1_36merge_oddeven_config_static_selectorELNS0_4arch9wavefront6targetE1EEEvSK_,@function
_ZN7rocprim17ROCPRIM_400000_NS6detail17trampoline_kernelINS0_14default_configENS1_38merge_sort_block_merge_config_selectorIlNS0_10empty_typeEEEZZNS1_27merge_sort_block_merge_implIS3_N6thrust23THRUST_200600_302600_NS6detail15normal_iteratorINS9_10device_ptrIlEEEEPS5_m14custom_greaterIlEEE10hipError_tT0_T1_T2_jT3_P12ihipStream_tbPNSt15iterator_traitsISJ_E10value_typeEPNSP_ISK_E10value_typeEPSL_NS1_7vsmem_tEENKUlT_SJ_SK_SL_E_clISE_PlSF_SF_EESI_SY_SJ_SK_SL_EUlSY_E1_NS1_11comp_targetILNS1_3genE0ELNS1_11target_archE4294967295ELNS1_3gpuE0ELNS1_3repE0EEENS1_36merge_oddeven_config_static_selectorELNS0_4arch9wavefront6targetE1EEEvSK_: ; @_ZN7rocprim17ROCPRIM_400000_NS6detail17trampoline_kernelINS0_14default_configENS1_38merge_sort_block_merge_config_selectorIlNS0_10empty_typeEEEZZNS1_27merge_sort_block_merge_implIS3_N6thrust23THRUST_200600_302600_NS6detail15normal_iteratorINS9_10device_ptrIlEEEEPS5_m14custom_greaterIlEEE10hipError_tT0_T1_T2_jT3_P12ihipStream_tbPNSt15iterator_traitsISJ_E10value_typeEPNSP_ISK_E10value_typeEPSL_NS1_7vsmem_tEENKUlT_SJ_SK_SL_E_clISE_PlSF_SF_EESI_SY_SJ_SK_SL_EUlSY_E1_NS1_11comp_targetILNS1_3genE0ELNS1_11target_archE4294967295ELNS1_3gpuE0ELNS1_3repE0EEENS1_36merge_oddeven_config_static_selectorELNS0_4arch9wavefront6targetE1EEEvSK_
; %bb.0:
	.section	.rodata,"a",@progbits
	.p2align	6, 0x0
	.amdhsa_kernel _ZN7rocprim17ROCPRIM_400000_NS6detail17trampoline_kernelINS0_14default_configENS1_38merge_sort_block_merge_config_selectorIlNS0_10empty_typeEEEZZNS1_27merge_sort_block_merge_implIS3_N6thrust23THRUST_200600_302600_NS6detail15normal_iteratorINS9_10device_ptrIlEEEEPS5_m14custom_greaterIlEEE10hipError_tT0_T1_T2_jT3_P12ihipStream_tbPNSt15iterator_traitsISJ_E10value_typeEPNSP_ISK_E10value_typeEPSL_NS1_7vsmem_tEENKUlT_SJ_SK_SL_E_clISE_PlSF_SF_EESI_SY_SJ_SK_SL_EUlSY_E1_NS1_11comp_targetILNS1_3genE0ELNS1_11target_archE4294967295ELNS1_3gpuE0ELNS1_3repE0EEENS1_36merge_oddeven_config_static_selectorELNS0_4arch9wavefront6targetE1EEEvSK_
		.amdhsa_group_segment_fixed_size 0
		.amdhsa_private_segment_fixed_size 0
		.amdhsa_kernarg_size 56
		.amdhsa_user_sgpr_count 6
		.amdhsa_user_sgpr_private_segment_buffer 1
		.amdhsa_user_sgpr_dispatch_ptr 0
		.amdhsa_user_sgpr_queue_ptr 0
		.amdhsa_user_sgpr_kernarg_segment_ptr 1
		.amdhsa_user_sgpr_dispatch_id 0
		.amdhsa_user_sgpr_flat_scratch_init 0
		.amdhsa_user_sgpr_kernarg_preload_length 0
		.amdhsa_user_sgpr_kernarg_preload_offset 0
		.amdhsa_user_sgpr_private_segment_size 0
		.amdhsa_uses_dynamic_stack 0
		.amdhsa_system_sgpr_private_segment_wavefront_offset 0
		.amdhsa_system_sgpr_workgroup_id_x 1
		.amdhsa_system_sgpr_workgroup_id_y 0
		.amdhsa_system_sgpr_workgroup_id_z 0
		.amdhsa_system_sgpr_workgroup_info 0
		.amdhsa_system_vgpr_workitem_id 0
		.amdhsa_next_free_vgpr 1
		.amdhsa_next_free_sgpr 0
		.amdhsa_accum_offset 4
		.amdhsa_reserve_vcc 0
		.amdhsa_reserve_flat_scratch 0
		.amdhsa_float_round_mode_32 0
		.amdhsa_float_round_mode_16_64 0
		.amdhsa_float_denorm_mode_32 3
		.amdhsa_float_denorm_mode_16_64 3
		.amdhsa_dx10_clamp 1
		.amdhsa_ieee_mode 1
		.amdhsa_fp16_overflow 0
		.amdhsa_tg_split 0
		.amdhsa_exception_fp_ieee_invalid_op 0
		.amdhsa_exception_fp_denorm_src 0
		.amdhsa_exception_fp_ieee_div_zero 0
		.amdhsa_exception_fp_ieee_overflow 0
		.amdhsa_exception_fp_ieee_underflow 0
		.amdhsa_exception_fp_ieee_inexact 0
		.amdhsa_exception_int_div_zero 0
	.end_amdhsa_kernel
	.section	.text._ZN7rocprim17ROCPRIM_400000_NS6detail17trampoline_kernelINS0_14default_configENS1_38merge_sort_block_merge_config_selectorIlNS0_10empty_typeEEEZZNS1_27merge_sort_block_merge_implIS3_N6thrust23THRUST_200600_302600_NS6detail15normal_iteratorINS9_10device_ptrIlEEEEPS5_m14custom_greaterIlEEE10hipError_tT0_T1_T2_jT3_P12ihipStream_tbPNSt15iterator_traitsISJ_E10value_typeEPNSP_ISK_E10value_typeEPSL_NS1_7vsmem_tEENKUlT_SJ_SK_SL_E_clISE_PlSF_SF_EESI_SY_SJ_SK_SL_EUlSY_E1_NS1_11comp_targetILNS1_3genE0ELNS1_11target_archE4294967295ELNS1_3gpuE0ELNS1_3repE0EEENS1_36merge_oddeven_config_static_selectorELNS0_4arch9wavefront6targetE1EEEvSK_,"axG",@progbits,_ZN7rocprim17ROCPRIM_400000_NS6detail17trampoline_kernelINS0_14default_configENS1_38merge_sort_block_merge_config_selectorIlNS0_10empty_typeEEEZZNS1_27merge_sort_block_merge_implIS3_N6thrust23THRUST_200600_302600_NS6detail15normal_iteratorINS9_10device_ptrIlEEEEPS5_m14custom_greaterIlEEE10hipError_tT0_T1_T2_jT3_P12ihipStream_tbPNSt15iterator_traitsISJ_E10value_typeEPNSP_ISK_E10value_typeEPSL_NS1_7vsmem_tEENKUlT_SJ_SK_SL_E_clISE_PlSF_SF_EESI_SY_SJ_SK_SL_EUlSY_E1_NS1_11comp_targetILNS1_3genE0ELNS1_11target_archE4294967295ELNS1_3gpuE0ELNS1_3repE0EEENS1_36merge_oddeven_config_static_selectorELNS0_4arch9wavefront6targetE1EEEvSK_,comdat
.Lfunc_end3278:
	.size	_ZN7rocprim17ROCPRIM_400000_NS6detail17trampoline_kernelINS0_14default_configENS1_38merge_sort_block_merge_config_selectorIlNS0_10empty_typeEEEZZNS1_27merge_sort_block_merge_implIS3_N6thrust23THRUST_200600_302600_NS6detail15normal_iteratorINS9_10device_ptrIlEEEEPS5_m14custom_greaterIlEEE10hipError_tT0_T1_T2_jT3_P12ihipStream_tbPNSt15iterator_traitsISJ_E10value_typeEPNSP_ISK_E10value_typeEPSL_NS1_7vsmem_tEENKUlT_SJ_SK_SL_E_clISE_PlSF_SF_EESI_SY_SJ_SK_SL_EUlSY_E1_NS1_11comp_targetILNS1_3genE0ELNS1_11target_archE4294967295ELNS1_3gpuE0ELNS1_3repE0EEENS1_36merge_oddeven_config_static_selectorELNS0_4arch9wavefront6targetE1EEEvSK_, .Lfunc_end3278-_ZN7rocprim17ROCPRIM_400000_NS6detail17trampoline_kernelINS0_14default_configENS1_38merge_sort_block_merge_config_selectorIlNS0_10empty_typeEEEZZNS1_27merge_sort_block_merge_implIS3_N6thrust23THRUST_200600_302600_NS6detail15normal_iteratorINS9_10device_ptrIlEEEEPS5_m14custom_greaterIlEEE10hipError_tT0_T1_T2_jT3_P12ihipStream_tbPNSt15iterator_traitsISJ_E10value_typeEPNSP_ISK_E10value_typeEPSL_NS1_7vsmem_tEENKUlT_SJ_SK_SL_E_clISE_PlSF_SF_EESI_SY_SJ_SK_SL_EUlSY_E1_NS1_11comp_targetILNS1_3genE0ELNS1_11target_archE4294967295ELNS1_3gpuE0ELNS1_3repE0EEENS1_36merge_oddeven_config_static_selectorELNS0_4arch9wavefront6targetE1EEEvSK_
                                        ; -- End function
	.section	.AMDGPU.csdata,"",@progbits
; Kernel info:
; codeLenInByte = 0
; NumSgprs: 4
; NumVgprs: 0
; NumAgprs: 0
; TotalNumVgprs: 0
; ScratchSize: 0
; MemoryBound: 0
; FloatMode: 240
; IeeeMode: 1
; LDSByteSize: 0 bytes/workgroup (compile time only)
; SGPRBlocks: 0
; VGPRBlocks: 0
; NumSGPRsForWavesPerEU: 4
; NumVGPRsForWavesPerEU: 1
; AccumOffset: 4
; Occupancy: 8
; WaveLimiterHint : 0
; COMPUTE_PGM_RSRC2:SCRATCH_EN: 0
; COMPUTE_PGM_RSRC2:USER_SGPR: 6
; COMPUTE_PGM_RSRC2:TRAP_HANDLER: 0
; COMPUTE_PGM_RSRC2:TGID_X_EN: 1
; COMPUTE_PGM_RSRC2:TGID_Y_EN: 0
; COMPUTE_PGM_RSRC2:TGID_Z_EN: 0
; COMPUTE_PGM_RSRC2:TIDIG_COMP_CNT: 0
; COMPUTE_PGM_RSRC3_GFX90A:ACCUM_OFFSET: 0
; COMPUTE_PGM_RSRC3_GFX90A:TG_SPLIT: 0
	.section	.text._ZN7rocprim17ROCPRIM_400000_NS6detail17trampoline_kernelINS0_14default_configENS1_38merge_sort_block_merge_config_selectorIlNS0_10empty_typeEEEZZNS1_27merge_sort_block_merge_implIS3_N6thrust23THRUST_200600_302600_NS6detail15normal_iteratorINS9_10device_ptrIlEEEEPS5_m14custom_greaterIlEEE10hipError_tT0_T1_T2_jT3_P12ihipStream_tbPNSt15iterator_traitsISJ_E10value_typeEPNSP_ISK_E10value_typeEPSL_NS1_7vsmem_tEENKUlT_SJ_SK_SL_E_clISE_PlSF_SF_EESI_SY_SJ_SK_SL_EUlSY_E1_NS1_11comp_targetILNS1_3genE10ELNS1_11target_archE1201ELNS1_3gpuE5ELNS1_3repE0EEENS1_36merge_oddeven_config_static_selectorELNS0_4arch9wavefront6targetE1EEEvSK_,"axG",@progbits,_ZN7rocprim17ROCPRIM_400000_NS6detail17trampoline_kernelINS0_14default_configENS1_38merge_sort_block_merge_config_selectorIlNS0_10empty_typeEEEZZNS1_27merge_sort_block_merge_implIS3_N6thrust23THRUST_200600_302600_NS6detail15normal_iteratorINS9_10device_ptrIlEEEEPS5_m14custom_greaterIlEEE10hipError_tT0_T1_T2_jT3_P12ihipStream_tbPNSt15iterator_traitsISJ_E10value_typeEPNSP_ISK_E10value_typeEPSL_NS1_7vsmem_tEENKUlT_SJ_SK_SL_E_clISE_PlSF_SF_EESI_SY_SJ_SK_SL_EUlSY_E1_NS1_11comp_targetILNS1_3genE10ELNS1_11target_archE1201ELNS1_3gpuE5ELNS1_3repE0EEENS1_36merge_oddeven_config_static_selectorELNS0_4arch9wavefront6targetE1EEEvSK_,comdat
	.protected	_ZN7rocprim17ROCPRIM_400000_NS6detail17trampoline_kernelINS0_14default_configENS1_38merge_sort_block_merge_config_selectorIlNS0_10empty_typeEEEZZNS1_27merge_sort_block_merge_implIS3_N6thrust23THRUST_200600_302600_NS6detail15normal_iteratorINS9_10device_ptrIlEEEEPS5_m14custom_greaterIlEEE10hipError_tT0_T1_T2_jT3_P12ihipStream_tbPNSt15iterator_traitsISJ_E10value_typeEPNSP_ISK_E10value_typeEPSL_NS1_7vsmem_tEENKUlT_SJ_SK_SL_E_clISE_PlSF_SF_EESI_SY_SJ_SK_SL_EUlSY_E1_NS1_11comp_targetILNS1_3genE10ELNS1_11target_archE1201ELNS1_3gpuE5ELNS1_3repE0EEENS1_36merge_oddeven_config_static_selectorELNS0_4arch9wavefront6targetE1EEEvSK_ ; -- Begin function _ZN7rocprim17ROCPRIM_400000_NS6detail17trampoline_kernelINS0_14default_configENS1_38merge_sort_block_merge_config_selectorIlNS0_10empty_typeEEEZZNS1_27merge_sort_block_merge_implIS3_N6thrust23THRUST_200600_302600_NS6detail15normal_iteratorINS9_10device_ptrIlEEEEPS5_m14custom_greaterIlEEE10hipError_tT0_T1_T2_jT3_P12ihipStream_tbPNSt15iterator_traitsISJ_E10value_typeEPNSP_ISK_E10value_typeEPSL_NS1_7vsmem_tEENKUlT_SJ_SK_SL_E_clISE_PlSF_SF_EESI_SY_SJ_SK_SL_EUlSY_E1_NS1_11comp_targetILNS1_3genE10ELNS1_11target_archE1201ELNS1_3gpuE5ELNS1_3repE0EEENS1_36merge_oddeven_config_static_selectorELNS0_4arch9wavefront6targetE1EEEvSK_
	.globl	_ZN7rocprim17ROCPRIM_400000_NS6detail17trampoline_kernelINS0_14default_configENS1_38merge_sort_block_merge_config_selectorIlNS0_10empty_typeEEEZZNS1_27merge_sort_block_merge_implIS3_N6thrust23THRUST_200600_302600_NS6detail15normal_iteratorINS9_10device_ptrIlEEEEPS5_m14custom_greaterIlEEE10hipError_tT0_T1_T2_jT3_P12ihipStream_tbPNSt15iterator_traitsISJ_E10value_typeEPNSP_ISK_E10value_typeEPSL_NS1_7vsmem_tEENKUlT_SJ_SK_SL_E_clISE_PlSF_SF_EESI_SY_SJ_SK_SL_EUlSY_E1_NS1_11comp_targetILNS1_3genE10ELNS1_11target_archE1201ELNS1_3gpuE5ELNS1_3repE0EEENS1_36merge_oddeven_config_static_selectorELNS0_4arch9wavefront6targetE1EEEvSK_
	.p2align	8
	.type	_ZN7rocprim17ROCPRIM_400000_NS6detail17trampoline_kernelINS0_14default_configENS1_38merge_sort_block_merge_config_selectorIlNS0_10empty_typeEEEZZNS1_27merge_sort_block_merge_implIS3_N6thrust23THRUST_200600_302600_NS6detail15normal_iteratorINS9_10device_ptrIlEEEEPS5_m14custom_greaterIlEEE10hipError_tT0_T1_T2_jT3_P12ihipStream_tbPNSt15iterator_traitsISJ_E10value_typeEPNSP_ISK_E10value_typeEPSL_NS1_7vsmem_tEENKUlT_SJ_SK_SL_E_clISE_PlSF_SF_EESI_SY_SJ_SK_SL_EUlSY_E1_NS1_11comp_targetILNS1_3genE10ELNS1_11target_archE1201ELNS1_3gpuE5ELNS1_3repE0EEENS1_36merge_oddeven_config_static_selectorELNS0_4arch9wavefront6targetE1EEEvSK_,@function
_ZN7rocprim17ROCPRIM_400000_NS6detail17trampoline_kernelINS0_14default_configENS1_38merge_sort_block_merge_config_selectorIlNS0_10empty_typeEEEZZNS1_27merge_sort_block_merge_implIS3_N6thrust23THRUST_200600_302600_NS6detail15normal_iteratorINS9_10device_ptrIlEEEEPS5_m14custom_greaterIlEEE10hipError_tT0_T1_T2_jT3_P12ihipStream_tbPNSt15iterator_traitsISJ_E10value_typeEPNSP_ISK_E10value_typeEPSL_NS1_7vsmem_tEENKUlT_SJ_SK_SL_E_clISE_PlSF_SF_EESI_SY_SJ_SK_SL_EUlSY_E1_NS1_11comp_targetILNS1_3genE10ELNS1_11target_archE1201ELNS1_3gpuE5ELNS1_3repE0EEENS1_36merge_oddeven_config_static_selectorELNS0_4arch9wavefront6targetE1EEEvSK_: ; @_ZN7rocprim17ROCPRIM_400000_NS6detail17trampoline_kernelINS0_14default_configENS1_38merge_sort_block_merge_config_selectorIlNS0_10empty_typeEEEZZNS1_27merge_sort_block_merge_implIS3_N6thrust23THRUST_200600_302600_NS6detail15normal_iteratorINS9_10device_ptrIlEEEEPS5_m14custom_greaterIlEEE10hipError_tT0_T1_T2_jT3_P12ihipStream_tbPNSt15iterator_traitsISJ_E10value_typeEPNSP_ISK_E10value_typeEPSL_NS1_7vsmem_tEENKUlT_SJ_SK_SL_E_clISE_PlSF_SF_EESI_SY_SJ_SK_SL_EUlSY_E1_NS1_11comp_targetILNS1_3genE10ELNS1_11target_archE1201ELNS1_3gpuE5ELNS1_3repE0EEENS1_36merge_oddeven_config_static_selectorELNS0_4arch9wavefront6targetE1EEEvSK_
; %bb.0:
	.section	.rodata,"a",@progbits
	.p2align	6, 0x0
	.amdhsa_kernel _ZN7rocprim17ROCPRIM_400000_NS6detail17trampoline_kernelINS0_14default_configENS1_38merge_sort_block_merge_config_selectorIlNS0_10empty_typeEEEZZNS1_27merge_sort_block_merge_implIS3_N6thrust23THRUST_200600_302600_NS6detail15normal_iteratorINS9_10device_ptrIlEEEEPS5_m14custom_greaterIlEEE10hipError_tT0_T1_T2_jT3_P12ihipStream_tbPNSt15iterator_traitsISJ_E10value_typeEPNSP_ISK_E10value_typeEPSL_NS1_7vsmem_tEENKUlT_SJ_SK_SL_E_clISE_PlSF_SF_EESI_SY_SJ_SK_SL_EUlSY_E1_NS1_11comp_targetILNS1_3genE10ELNS1_11target_archE1201ELNS1_3gpuE5ELNS1_3repE0EEENS1_36merge_oddeven_config_static_selectorELNS0_4arch9wavefront6targetE1EEEvSK_
		.amdhsa_group_segment_fixed_size 0
		.amdhsa_private_segment_fixed_size 0
		.amdhsa_kernarg_size 56
		.amdhsa_user_sgpr_count 6
		.amdhsa_user_sgpr_private_segment_buffer 1
		.amdhsa_user_sgpr_dispatch_ptr 0
		.amdhsa_user_sgpr_queue_ptr 0
		.amdhsa_user_sgpr_kernarg_segment_ptr 1
		.amdhsa_user_sgpr_dispatch_id 0
		.amdhsa_user_sgpr_flat_scratch_init 0
		.amdhsa_user_sgpr_kernarg_preload_length 0
		.amdhsa_user_sgpr_kernarg_preload_offset 0
		.amdhsa_user_sgpr_private_segment_size 0
		.amdhsa_uses_dynamic_stack 0
		.amdhsa_system_sgpr_private_segment_wavefront_offset 0
		.amdhsa_system_sgpr_workgroup_id_x 1
		.amdhsa_system_sgpr_workgroup_id_y 0
		.amdhsa_system_sgpr_workgroup_id_z 0
		.amdhsa_system_sgpr_workgroup_info 0
		.amdhsa_system_vgpr_workitem_id 0
		.amdhsa_next_free_vgpr 1
		.amdhsa_next_free_sgpr 0
		.amdhsa_accum_offset 4
		.amdhsa_reserve_vcc 0
		.amdhsa_reserve_flat_scratch 0
		.amdhsa_float_round_mode_32 0
		.amdhsa_float_round_mode_16_64 0
		.amdhsa_float_denorm_mode_32 3
		.amdhsa_float_denorm_mode_16_64 3
		.amdhsa_dx10_clamp 1
		.amdhsa_ieee_mode 1
		.amdhsa_fp16_overflow 0
		.amdhsa_tg_split 0
		.amdhsa_exception_fp_ieee_invalid_op 0
		.amdhsa_exception_fp_denorm_src 0
		.amdhsa_exception_fp_ieee_div_zero 0
		.amdhsa_exception_fp_ieee_overflow 0
		.amdhsa_exception_fp_ieee_underflow 0
		.amdhsa_exception_fp_ieee_inexact 0
		.amdhsa_exception_int_div_zero 0
	.end_amdhsa_kernel
	.section	.text._ZN7rocprim17ROCPRIM_400000_NS6detail17trampoline_kernelINS0_14default_configENS1_38merge_sort_block_merge_config_selectorIlNS0_10empty_typeEEEZZNS1_27merge_sort_block_merge_implIS3_N6thrust23THRUST_200600_302600_NS6detail15normal_iteratorINS9_10device_ptrIlEEEEPS5_m14custom_greaterIlEEE10hipError_tT0_T1_T2_jT3_P12ihipStream_tbPNSt15iterator_traitsISJ_E10value_typeEPNSP_ISK_E10value_typeEPSL_NS1_7vsmem_tEENKUlT_SJ_SK_SL_E_clISE_PlSF_SF_EESI_SY_SJ_SK_SL_EUlSY_E1_NS1_11comp_targetILNS1_3genE10ELNS1_11target_archE1201ELNS1_3gpuE5ELNS1_3repE0EEENS1_36merge_oddeven_config_static_selectorELNS0_4arch9wavefront6targetE1EEEvSK_,"axG",@progbits,_ZN7rocprim17ROCPRIM_400000_NS6detail17trampoline_kernelINS0_14default_configENS1_38merge_sort_block_merge_config_selectorIlNS0_10empty_typeEEEZZNS1_27merge_sort_block_merge_implIS3_N6thrust23THRUST_200600_302600_NS6detail15normal_iteratorINS9_10device_ptrIlEEEEPS5_m14custom_greaterIlEEE10hipError_tT0_T1_T2_jT3_P12ihipStream_tbPNSt15iterator_traitsISJ_E10value_typeEPNSP_ISK_E10value_typeEPSL_NS1_7vsmem_tEENKUlT_SJ_SK_SL_E_clISE_PlSF_SF_EESI_SY_SJ_SK_SL_EUlSY_E1_NS1_11comp_targetILNS1_3genE10ELNS1_11target_archE1201ELNS1_3gpuE5ELNS1_3repE0EEENS1_36merge_oddeven_config_static_selectorELNS0_4arch9wavefront6targetE1EEEvSK_,comdat
.Lfunc_end3279:
	.size	_ZN7rocprim17ROCPRIM_400000_NS6detail17trampoline_kernelINS0_14default_configENS1_38merge_sort_block_merge_config_selectorIlNS0_10empty_typeEEEZZNS1_27merge_sort_block_merge_implIS3_N6thrust23THRUST_200600_302600_NS6detail15normal_iteratorINS9_10device_ptrIlEEEEPS5_m14custom_greaterIlEEE10hipError_tT0_T1_T2_jT3_P12ihipStream_tbPNSt15iterator_traitsISJ_E10value_typeEPNSP_ISK_E10value_typeEPSL_NS1_7vsmem_tEENKUlT_SJ_SK_SL_E_clISE_PlSF_SF_EESI_SY_SJ_SK_SL_EUlSY_E1_NS1_11comp_targetILNS1_3genE10ELNS1_11target_archE1201ELNS1_3gpuE5ELNS1_3repE0EEENS1_36merge_oddeven_config_static_selectorELNS0_4arch9wavefront6targetE1EEEvSK_, .Lfunc_end3279-_ZN7rocprim17ROCPRIM_400000_NS6detail17trampoline_kernelINS0_14default_configENS1_38merge_sort_block_merge_config_selectorIlNS0_10empty_typeEEEZZNS1_27merge_sort_block_merge_implIS3_N6thrust23THRUST_200600_302600_NS6detail15normal_iteratorINS9_10device_ptrIlEEEEPS5_m14custom_greaterIlEEE10hipError_tT0_T1_T2_jT3_P12ihipStream_tbPNSt15iterator_traitsISJ_E10value_typeEPNSP_ISK_E10value_typeEPSL_NS1_7vsmem_tEENKUlT_SJ_SK_SL_E_clISE_PlSF_SF_EESI_SY_SJ_SK_SL_EUlSY_E1_NS1_11comp_targetILNS1_3genE10ELNS1_11target_archE1201ELNS1_3gpuE5ELNS1_3repE0EEENS1_36merge_oddeven_config_static_selectorELNS0_4arch9wavefront6targetE1EEEvSK_
                                        ; -- End function
	.section	.AMDGPU.csdata,"",@progbits
; Kernel info:
; codeLenInByte = 0
; NumSgprs: 4
; NumVgprs: 0
; NumAgprs: 0
; TotalNumVgprs: 0
; ScratchSize: 0
; MemoryBound: 0
; FloatMode: 240
; IeeeMode: 1
; LDSByteSize: 0 bytes/workgroup (compile time only)
; SGPRBlocks: 0
; VGPRBlocks: 0
; NumSGPRsForWavesPerEU: 4
; NumVGPRsForWavesPerEU: 1
; AccumOffset: 4
; Occupancy: 8
; WaveLimiterHint : 0
; COMPUTE_PGM_RSRC2:SCRATCH_EN: 0
; COMPUTE_PGM_RSRC2:USER_SGPR: 6
; COMPUTE_PGM_RSRC2:TRAP_HANDLER: 0
; COMPUTE_PGM_RSRC2:TGID_X_EN: 1
; COMPUTE_PGM_RSRC2:TGID_Y_EN: 0
; COMPUTE_PGM_RSRC2:TGID_Z_EN: 0
; COMPUTE_PGM_RSRC2:TIDIG_COMP_CNT: 0
; COMPUTE_PGM_RSRC3_GFX90A:ACCUM_OFFSET: 0
; COMPUTE_PGM_RSRC3_GFX90A:TG_SPLIT: 0
	.section	.text._ZN7rocprim17ROCPRIM_400000_NS6detail17trampoline_kernelINS0_14default_configENS1_38merge_sort_block_merge_config_selectorIlNS0_10empty_typeEEEZZNS1_27merge_sort_block_merge_implIS3_N6thrust23THRUST_200600_302600_NS6detail15normal_iteratorINS9_10device_ptrIlEEEEPS5_m14custom_greaterIlEEE10hipError_tT0_T1_T2_jT3_P12ihipStream_tbPNSt15iterator_traitsISJ_E10value_typeEPNSP_ISK_E10value_typeEPSL_NS1_7vsmem_tEENKUlT_SJ_SK_SL_E_clISE_PlSF_SF_EESI_SY_SJ_SK_SL_EUlSY_E1_NS1_11comp_targetILNS1_3genE5ELNS1_11target_archE942ELNS1_3gpuE9ELNS1_3repE0EEENS1_36merge_oddeven_config_static_selectorELNS0_4arch9wavefront6targetE1EEEvSK_,"axG",@progbits,_ZN7rocprim17ROCPRIM_400000_NS6detail17trampoline_kernelINS0_14default_configENS1_38merge_sort_block_merge_config_selectorIlNS0_10empty_typeEEEZZNS1_27merge_sort_block_merge_implIS3_N6thrust23THRUST_200600_302600_NS6detail15normal_iteratorINS9_10device_ptrIlEEEEPS5_m14custom_greaterIlEEE10hipError_tT0_T1_T2_jT3_P12ihipStream_tbPNSt15iterator_traitsISJ_E10value_typeEPNSP_ISK_E10value_typeEPSL_NS1_7vsmem_tEENKUlT_SJ_SK_SL_E_clISE_PlSF_SF_EESI_SY_SJ_SK_SL_EUlSY_E1_NS1_11comp_targetILNS1_3genE5ELNS1_11target_archE942ELNS1_3gpuE9ELNS1_3repE0EEENS1_36merge_oddeven_config_static_selectorELNS0_4arch9wavefront6targetE1EEEvSK_,comdat
	.protected	_ZN7rocprim17ROCPRIM_400000_NS6detail17trampoline_kernelINS0_14default_configENS1_38merge_sort_block_merge_config_selectorIlNS0_10empty_typeEEEZZNS1_27merge_sort_block_merge_implIS3_N6thrust23THRUST_200600_302600_NS6detail15normal_iteratorINS9_10device_ptrIlEEEEPS5_m14custom_greaterIlEEE10hipError_tT0_T1_T2_jT3_P12ihipStream_tbPNSt15iterator_traitsISJ_E10value_typeEPNSP_ISK_E10value_typeEPSL_NS1_7vsmem_tEENKUlT_SJ_SK_SL_E_clISE_PlSF_SF_EESI_SY_SJ_SK_SL_EUlSY_E1_NS1_11comp_targetILNS1_3genE5ELNS1_11target_archE942ELNS1_3gpuE9ELNS1_3repE0EEENS1_36merge_oddeven_config_static_selectorELNS0_4arch9wavefront6targetE1EEEvSK_ ; -- Begin function _ZN7rocprim17ROCPRIM_400000_NS6detail17trampoline_kernelINS0_14default_configENS1_38merge_sort_block_merge_config_selectorIlNS0_10empty_typeEEEZZNS1_27merge_sort_block_merge_implIS3_N6thrust23THRUST_200600_302600_NS6detail15normal_iteratorINS9_10device_ptrIlEEEEPS5_m14custom_greaterIlEEE10hipError_tT0_T1_T2_jT3_P12ihipStream_tbPNSt15iterator_traitsISJ_E10value_typeEPNSP_ISK_E10value_typeEPSL_NS1_7vsmem_tEENKUlT_SJ_SK_SL_E_clISE_PlSF_SF_EESI_SY_SJ_SK_SL_EUlSY_E1_NS1_11comp_targetILNS1_3genE5ELNS1_11target_archE942ELNS1_3gpuE9ELNS1_3repE0EEENS1_36merge_oddeven_config_static_selectorELNS0_4arch9wavefront6targetE1EEEvSK_
	.globl	_ZN7rocprim17ROCPRIM_400000_NS6detail17trampoline_kernelINS0_14default_configENS1_38merge_sort_block_merge_config_selectorIlNS0_10empty_typeEEEZZNS1_27merge_sort_block_merge_implIS3_N6thrust23THRUST_200600_302600_NS6detail15normal_iteratorINS9_10device_ptrIlEEEEPS5_m14custom_greaterIlEEE10hipError_tT0_T1_T2_jT3_P12ihipStream_tbPNSt15iterator_traitsISJ_E10value_typeEPNSP_ISK_E10value_typeEPSL_NS1_7vsmem_tEENKUlT_SJ_SK_SL_E_clISE_PlSF_SF_EESI_SY_SJ_SK_SL_EUlSY_E1_NS1_11comp_targetILNS1_3genE5ELNS1_11target_archE942ELNS1_3gpuE9ELNS1_3repE0EEENS1_36merge_oddeven_config_static_selectorELNS0_4arch9wavefront6targetE1EEEvSK_
	.p2align	8
	.type	_ZN7rocprim17ROCPRIM_400000_NS6detail17trampoline_kernelINS0_14default_configENS1_38merge_sort_block_merge_config_selectorIlNS0_10empty_typeEEEZZNS1_27merge_sort_block_merge_implIS3_N6thrust23THRUST_200600_302600_NS6detail15normal_iteratorINS9_10device_ptrIlEEEEPS5_m14custom_greaterIlEEE10hipError_tT0_T1_T2_jT3_P12ihipStream_tbPNSt15iterator_traitsISJ_E10value_typeEPNSP_ISK_E10value_typeEPSL_NS1_7vsmem_tEENKUlT_SJ_SK_SL_E_clISE_PlSF_SF_EESI_SY_SJ_SK_SL_EUlSY_E1_NS1_11comp_targetILNS1_3genE5ELNS1_11target_archE942ELNS1_3gpuE9ELNS1_3repE0EEENS1_36merge_oddeven_config_static_selectorELNS0_4arch9wavefront6targetE1EEEvSK_,@function
_ZN7rocprim17ROCPRIM_400000_NS6detail17trampoline_kernelINS0_14default_configENS1_38merge_sort_block_merge_config_selectorIlNS0_10empty_typeEEEZZNS1_27merge_sort_block_merge_implIS3_N6thrust23THRUST_200600_302600_NS6detail15normal_iteratorINS9_10device_ptrIlEEEEPS5_m14custom_greaterIlEEE10hipError_tT0_T1_T2_jT3_P12ihipStream_tbPNSt15iterator_traitsISJ_E10value_typeEPNSP_ISK_E10value_typeEPSL_NS1_7vsmem_tEENKUlT_SJ_SK_SL_E_clISE_PlSF_SF_EESI_SY_SJ_SK_SL_EUlSY_E1_NS1_11comp_targetILNS1_3genE5ELNS1_11target_archE942ELNS1_3gpuE9ELNS1_3repE0EEENS1_36merge_oddeven_config_static_selectorELNS0_4arch9wavefront6targetE1EEEvSK_: ; @_ZN7rocprim17ROCPRIM_400000_NS6detail17trampoline_kernelINS0_14default_configENS1_38merge_sort_block_merge_config_selectorIlNS0_10empty_typeEEEZZNS1_27merge_sort_block_merge_implIS3_N6thrust23THRUST_200600_302600_NS6detail15normal_iteratorINS9_10device_ptrIlEEEEPS5_m14custom_greaterIlEEE10hipError_tT0_T1_T2_jT3_P12ihipStream_tbPNSt15iterator_traitsISJ_E10value_typeEPNSP_ISK_E10value_typeEPSL_NS1_7vsmem_tEENKUlT_SJ_SK_SL_E_clISE_PlSF_SF_EESI_SY_SJ_SK_SL_EUlSY_E1_NS1_11comp_targetILNS1_3genE5ELNS1_11target_archE942ELNS1_3gpuE9ELNS1_3repE0EEENS1_36merge_oddeven_config_static_selectorELNS0_4arch9wavefront6targetE1EEEvSK_
; %bb.0:
	.section	.rodata,"a",@progbits
	.p2align	6, 0x0
	.amdhsa_kernel _ZN7rocprim17ROCPRIM_400000_NS6detail17trampoline_kernelINS0_14default_configENS1_38merge_sort_block_merge_config_selectorIlNS0_10empty_typeEEEZZNS1_27merge_sort_block_merge_implIS3_N6thrust23THRUST_200600_302600_NS6detail15normal_iteratorINS9_10device_ptrIlEEEEPS5_m14custom_greaterIlEEE10hipError_tT0_T1_T2_jT3_P12ihipStream_tbPNSt15iterator_traitsISJ_E10value_typeEPNSP_ISK_E10value_typeEPSL_NS1_7vsmem_tEENKUlT_SJ_SK_SL_E_clISE_PlSF_SF_EESI_SY_SJ_SK_SL_EUlSY_E1_NS1_11comp_targetILNS1_3genE5ELNS1_11target_archE942ELNS1_3gpuE9ELNS1_3repE0EEENS1_36merge_oddeven_config_static_selectorELNS0_4arch9wavefront6targetE1EEEvSK_
		.amdhsa_group_segment_fixed_size 0
		.amdhsa_private_segment_fixed_size 0
		.amdhsa_kernarg_size 56
		.amdhsa_user_sgpr_count 6
		.amdhsa_user_sgpr_private_segment_buffer 1
		.amdhsa_user_sgpr_dispatch_ptr 0
		.amdhsa_user_sgpr_queue_ptr 0
		.amdhsa_user_sgpr_kernarg_segment_ptr 1
		.amdhsa_user_sgpr_dispatch_id 0
		.amdhsa_user_sgpr_flat_scratch_init 0
		.amdhsa_user_sgpr_kernarg_preload_length 0
		.amdhsa_user_sgpr_kernarg_preload_offset 0
		.amdhsa_user_sgpr_private_segment_size 0
		.amdhsa_uses_dynamic_stack 0
		.amdhsa_system_sgpr_private_segment_wavefront_offset 0
		.amdhsa_system_sgpr_workgroup_id_x 1
		.amdhsa_system_sgpr_workgroup_id_y 0
		.amdhsa_system_sgpr_workgroup_id_z 0
		.amdhsa_system_sgpr_workgroup_info 0
		.amdhsa_system_vgpr_workitem_id 0
		.amdhsa_next_free_vgpr 1
		.amdhsa_next_free_sgpr 0
		.amdhsa_accum_offset 4
		.amdhsa_reserve_vcc 0
		.amdhsa_reserve_flat_scratch 0
		.amdhsa_float_round_mode_32 0
		.amdhsa_float_round_mode_16_64 0
		.amdhsa_float_denorm_mode_32 3
		.amdhsa_float_denorm_mode_16_64 3
		.amdhsa_dx10_clamp 1
		.amdhsa_ieee_mode 1
		.amdhsa_fp16_overflow 0
		.amdhsa_tg_split 0
		.amdhsa_exception_fp_ieee_invalid_op 0
		.amdhsa_exception_fp_denorm_src 0
		.amdhsa_exception_fp_ieee_div_zero 0
		.amdhsa_exception_fp_ieee_overflow 0
		.amdhsa_exception_fp_ieee_underflow 0
		.amdhsa_exception_fp_ieee_inexact 0
		.amdhsa_exception_int_div_zero 0
	.end_amdhsa_kernel
	.section	.text._ZN7rocprim17ROCPRIM_400000_NS6detail17trampoline_kernelINS0_14default_configENS1_38merge_sort_block_merge_config_selectorIlNS0_10empty_typeEEEZZNS1_27merge_sort_block_merge_implIS3_N6thrust23THRUST_200600_302600_NS6detail15normal_iteratorINS9_10device_ptrIlEEEEPS5_m14custom_greaterIlEEE10hipError_tT0_T1_T2_jT3_P12ihipStream_tbPNSt15iterator_traitsISJ_E10value_typeEPNSP_ISK_E10value_typeEPSL_NS1_7vsmem_tEENKUlT_SJ_SK_SL_E_clISE_PlSF_SF_EESI_SY_SJ_SK_SL_EUlSY_E1_NS1_11comp_targetILNS1_3genE5ELNS1_11target_archE942ELNS1_3gpuE9ELNS1_3repE0EEENS1_36merge_oddeven_config_static_selectorELNS0_4arch9wavefront6targetE1EEEvSK_,"axG",@progbits,_ZN7rocprim17ROCPRIM_400000_NS6detail17trampoline_kernelINS0_14default_configENS1_38merge_sort_block_merge_config_selectorIlNS0_10empty_typeEEEZZNS1_27merge_sort_block_merge_implIS3_N6thrust23THRUST_200600_302600_NS6detail15normal_iteratorINS9_10device_ptrIlEEEEPS5_m14custom_greaterIlEEE10hipError_tT0_T1_T2_jT3_P12ihipStream_tbPNSt15iterator_traitsISJ_E10value_typeEPNSP_ISK_E10value_typeEPSL_NS1_7vsmem_tEENKUlT_SJ_SK_SL_E_clISE_PlSF_SF_EESI_SY_SJ_SK_SL_EUlSY_E1_NS1_11comp_targetILNS1_3genE5ELNS1_11target_archE942ELNS1_3gpuE9ELNS1_3repE0EEENS1_36merge_oddeven_config_static_selectorELNS0_4arch9wavefront6targetE1EEEvSK_,comdat
.Lfunc_end3280:
	.size	_ZN7rocprim17ROCPRIM_400000_NS6detail17trampoline_kernelINS0_14default_configENS1_38merge_sort_block_merge_config_selectorIlNS0_10empty_typeEEEZZNS1_27merge_sort_block_merge_implIS3_N6thrust23THRUST_200600_302600_NS6detail15normal_iteratorINS9_10device_ptrIlEEEEPS5_m14custom_greaterIlEEE10hipError_tT0_T1_T2_jT3_P12ihipStream_tbPNSt15iterator_traitsISJ_E10value_typeEPNSP_ISK_E10value_typeEPSL_NS1_7vsmem_tEENKUlT_SJ_SK_SL_E_clISE_PlSF_SF_EESI_SY_SJ_SK_SL_EUlSY_E1_NS1_11comp_targetILNS1_3genE5ELNS1_11target_archE942ELNS1_3gpuE9ELNS1_3repE0EEENS1_36merge_oddeven_config_static_selectorELNS0_4arch9wavefront6targetE1EEEvSK_, .Lfunc_end3280-_ZN7rocprim17ROCPRIM_400000_NS6detail17trampoline_kernelINS0_14default_configENS1_38merge_sort_block_merge_config_selectorIlNS0_10empty_typeEEEZZNS1_27merge_sort_block_merge_implIS3_N6thrust23THRUST_200600_302600_NS6detail15normal_iteratorINS9_10device_ptrIlEEEEPS5_m14custom_greaterIlEEE10hipError_tT0_T1_T2_jT3_P12ihipStream_tbPNSt15iterator_traitsISJ_E10value_typeEPNSP_ISK_E10value_typeEPSL_NS1_7vsmem_tEENKUlT_SJ_SK_SL_E_clISE_PlSF_SF_EESI_SY_SJ_SK_SL_EUlSY_E1_NS1_11comp_targetILNS1_3genE5ELNS1_11target_archE942ELNS1_3gpuE9ELNS1_3repE0EEENS1_36merge_oddeven_config_static_selectorELNS0_4arch9wavefront6targetE1EEEvSK_
                                        ; -- End function
	.section	.AMDGPU.csdata,"",@progbits
; Kernel info:
; codeLenInByte = 0
; NumSgprs: 4
; NumVgprs: 0
; NumAgprs: 0
; TotalNumVgprs: 0
; ScratchSize: 0
; MemoryBound: 0
; FloatMode: 240
; IeeeMode: 1
; LDSByteSize: 0 bytes/workgroup (compile time only)
; SGPRBlocks: 0
; VGPRBlocks: 0
; NumSGPRsForWavesPerEU: 4
; NumVGPRsForWavesPerEU: 1
; AccumOffset: 4
; Occupancy: 8
; WaveLimiterHint : 0
; COMPUTE_PGM_RSRC2:SCRATCH_EN: 0
; COMPUTE_PGM_RSRC2:USER_SGPR: 6
; COMPUTE_PGM_RSRC2:TRAP_HANDLER: 0
; COMPUTE_PGM_RSRC2:TGID_X_EN: 1
; COMPUTE_PGM_RSRC2:TGID_Y_EN: 0
; COMPUTE_PGM_RSRC2:TGID_Z_EN: 0
; COMPUTE_PGM_RSRC2:TIDIG_COMP_CNT: 0
; COMPUTE_PGM_RSRC3_GFX90A:ACCUM_OFFSET: 0
; COMPUTE_PGM_RSRC3_GFX90A:TG_SPLIT: 0
	.section	.text._ZN7rocprim17ROCPRIM_400000_NS6detail17trampoline_kernelINS0_14default_configENS1_38merge_sort_block_merge_config_selectorIlNS0_10empty_typeEEEZZNS1_27merge_sort_block_merge_implIS3_N6thrust23THRUST_200600_302600_NS6detail15normal_iteratorINS9_10device_ptrIlEEEEPS5_m14custom_greaterIlEEE10hipError_tT0_T1_T2_jT3_P12ihipStream_tbPNSt15iterator_traitsISJ_E10value_typeEPNSP_ISK_E10value_typeEPSL_NS1_7vsmem_tEENKUlT_SJ_SK_SL_E_clISE_PlSF_SF_EESI_SY_SJ_SK_SL_EUlSY_E1_NS1_11comp_targetILNS1_3genE4ELNS1_11target_archE910ELNS1_3gpuE8ELNS1_3repE0EEENS1_36merge_oddeven_config_static_selectorELNS0_4arch9wavefront6targetE1EEEvSK_,"axG",@progbits,_ZN7rocprim17ROCPRIM_400000_NS6detail17trampoline_kernelINS0_14default_configENS1_38merge_sort_block_merge_config_selectorIlNS0_10empty_typeEEEZZNS1_27merge_sort_block_merge_implIS3_N6thrust23THRUST_200600_302600_NS6detail15normal_iteratorINS9_10device_ptrIlEEEEPS5_m14custom_greaterIlEEE10hipError_tT0_T1_T2_jT3_P12ihipStream_tbPNSt15iterator_traitsISJ_E10value_typeEPNSP_ISK_E10value_typeEPSL_NS1_7vsmem_tEENKUlT_SJ_SK_SL_E_clISE_PlSF_SF_EESI_SY_SJ_SK_SL_EUlSY_E1_NS1_11comp_targetILNS1_3genE4ELNS1_11target_archE910ELNS1_3gpuE8ELNS1_3repE0EEENS1_36merge_oddeven_config_static_selectorELNS0_4arch9wavefront6targetE1EEEvSK_,comdat
	.protected	_ZN7rocprim17ROCPRIM_400000_NS6detail17trampoline_kernelINS0_14default_configENS1_38merge_sort_block_merge_config_selectorIlNS0_10empty_typeEEEZZNS1_27merge_sort_block_merge_implIS3_N6thrust23THRUST_200600_302600_NS6detail15normal_iteratorINS9_10device_ptrIlEEEEPS5_m14custom_greaterIlEEE10hipError_tT0_T1_T2_jT3_P12ihipStream_tbPNSt15iterator_traitsISJ_E10value_typeEPNSP_ISK_E10value_typeEPSL_NS1_7vsmem_tEENKUlT_SJ_SK_SL_E_clISE_PlSF_SF_EESI_SY_SJ_SK_SL_EUlSY_E1_NS1_11comp_targetILNS1_3genE4ELNS1_11target_archE910ELNS1_3gpuE8ELNS1_3repE0EEENS1_36merge_oddeven_config_static_selectorELNS0_4arch9wavefront6targetE1EEEvSK_ ; -- Begin function _ZN7rocprim17ROCPRIM_400000_NS6detail17trampoline_kernelINS0_14default_configENS1_38merge_sort_block_merge_config_selectorIlNS0_10empty_typeEEEZZNS1_27merge_sort_block_merge_implIS3_N6thrust23THRUST_200600_302600_NS6detail15normal_iteratorINS9_10device_ptrIlEEEEPS5_m14custom_greaterIlEEE10hipError_tT0_T1_T2_jT3_P12ihipStream_tbPNSt15iterator_traitsISJ_E10value_typeEPNSP_ISK_E10value_typeEPSL_NS1_7vsmem_tEENKUlT_SJ_SK_SL_E_clISE_PlSF_SF_EESI_SY_SJ_SK_SL_EUlSY_E1_NS1_11comp_targetILNS1_3genE4ELNS1_11target_archE910ELNS1_3gpuE8ELNS1_3repE0EEENS1_36merge_oddeven_config_static_selectorELNS0_4arch9wavefront6targetE1EEEvSK_
	.globl	_ZN7rocprim17ROCPRIM_400000_NS6detail17trampoline_kernelINS0_14default_configENS1_38merge_sort_block_merge_config_selectorIlNS0_10empty_typeEEEZZNS1_27merge_sort_block_merge_implIS3_N6thrust23THRUST_200600_302600_NS6detail15normal_iteratorINS9_10device_ptrIlEEEEPS5_m14custom_greaterIlEEE10hipError_tT0_T1_T2_jT3_P12ihipStream_tbPNSt15iterator_traitsISJ_E10value_typeEPNSP_ISK_E10value_typeEPSL_NS1_7vsmem_tEENKUlT_SJ_SK_SL_E_clISE_PlSF_SF_EESI_SY_SJ_SK_SL_EUlSY_E1_NS1_11comp_targetILNS1_3genE4ELNS1_11target_archE910ELNS1_3gpuE8ELNS1_3repE0EEENS1_36merge_oddeven_config_static_selectorELNS0_4arch9wavefront6targetE1EEEvSK_
	.p2align	8
	.type	_ZN7rocprim17ROCPRIM_400000_NS6detail17trampoline_kernelINS0_14default_configENS1_38merge_sort_block_merge_config_selectorIlNS0_10empty_typeEEEZZNS1_27merge_sort_block_merge_implIS3_N6thrust23THRUST_200600_302600_NS6detail15normal_iteratorINS9_10device_ptrIlEEEEPS5_m14custom_greaterIlEEE10hipError_tT0_T1_T2_jT3_P12ihipStream_tbPNSt15iterator_traitsISJ_E10value_typeEPNSP_ISK_E10value_typeEPSL_NS1_7vsmem_tEENKUlT_SJ_SK_SL_E_clISE_PlSF_SF_EESI_SY_SJ_SK_SL_EUlSY_E1_NS1_11comp_targetILNS1_3genE4ELNS1_11target_archE910ELNS1_3gpuE8ELNS1_3repE0EEENS1_36merge_oddeven_config_static_selectorELNS0_4arch9wavefront6targetE1EEEvSK_,@function
_ZN7rocprim17ROCPRIM_400000_NS6detail17trampoline_kernelINS0_14default_configENS1_38merge_sort_block_merge_config_selectorIlNS0_10empty_typeEEEZZNS1_27merge_sort_block_merge_implIS3_N6thrust23THRUST_200600_302600_NS6detail15normal_iteratorINS9_10device_ptrIlEEEEPS5_m14custom_greaterIlEEE10hipError_tT0_T1_T2_jT3_P12ihipStream_tbPNSt15iterator_traitsISJ_E10value_typeEPNSP_ISK_E10value_typeEPSL_NS1_7vsmem_tEENKUlT_SJ_SK_SL_E_clISE_PlSF_SF_EESI_SY_SJ_SK_SL_EUlSY_E1_NS1_11comp_targetILNS1_3genE4ELNS1_11target_archE910ELNS1_3gpuE8ELNS1_3repE0EEENS1_36merge_oddeven_config_static_selectorELNS0_4arch9wavefront6targetE1EEEvSK_: ; @_ZN7rocprim17ROCPRIM_400000_NS6detail17trampoline_kernelINS0_14default_configENS1_38merge_sort_block_merge_config_selectorIlNS0_10empty_typeEEEZZNS1_27merge_sort_block_merge_implIS3_N6thrust23THRUST_200600_302600_NS6detail15normal_iteratorINS9_10device_ptrIlEEEEPS5_m14custom_greaterIlEEE10hipError_tT0_T1_T2_jT3_P12ihipStream_tbPNSt15iterator_traitsISJ_E10value_typeEPNSP_ISK_E10value_typeEPSL_NS1_7vsmem_tEENKUlT_SJ_SK_SL_E_clISE_PlSF_SF_EESI_SY_SJ_SK_SL_EUlSY_E1_NS1_11comp_targetILNS1_3genE4ELNS1_11target_archE910ELNS1_3gpuE8ELNS1_3repE0EEENS1_36merge_oddeven_config_static_selectorELNS0_4arch9wavefront6targetE1EEEvSK_
; %bb.0:
	s_load_dword s18, s[4:5], 0x20
	s_waitcnt lgkmcnt(0)
	s_lshr_b32 s0, s18, 8
	s_cmp_lg_u32 s6, s0
	s_cselect_b64 s[14:15], -1, 0
	s_cmp_eq_u32 s6, s0
	s_cselect_b64 s[12:13], -1, 0
	s_lshl_b32 s16, s6, 8
	s_sub_i32 s0, s18, s16
	v_cmp_gt_u32_e64 s[2:3], s0, v0
	s_or_b64 s[0:1], s[14:15], s[2:3]
	s_and_saveexec_b64 s[8:9], s[0:1]
	s_cbranch_execz .LBB3281_20
; %bb.1:
	s_load_dwordx4 s[8:11], s[4:5], 0x0
	s_load_dword s19, s[4:5], 0x28
	s_mov_b32 s17, 0
	s_lshl_b64 s[0:1], s[16:17], 3
	v_lshlrev_b32_e32 v1, 3, v0
	s_waitcnt lgkmcnt(0)
	s_add_u32 s0, s8, s0
	s_addc_u32 s1, s9, s1
	global_load_dwordx2 v[2:3], v1, s[0:1]
	s_lshr_b32 s0, s19, 8
	s_sub_i32 s1, 0, s0
	s_and_b32 s1, s6, s1
	s_and_b32 s0, s1, s0
	s_lshl_b32 s20, s1, 8
	s_sub_i32 s6, 0, s19
	s_cmp_eq_u32 s0, 0
	s_cselect_b64 s[0:1], -1, 0
	s_and_b64 s[4:5], s[0:1], exec
	s_cselect_b32 s17, s19, s6
	s_add_i32 s17, s17, s20
	s_cmp_lt_u32 s17, s18
	v_add_u32_e32 v0, s16, v0
	s_cbranch_scc1 .LBB3281_3
; %bb.2:
	v_cmp_gt_u32_e32 vcc, s18, v0
	s_or_b64 s[4:5], vcc, s[14:15]
	s_and_b64 s[4:5], s[4:5], exec
	s_cbranch_execz .LBB3281_4
	s_branch .LBB3281_18
.LBB3281_3:
	s_mov_b64 s[4:5], 0
.LBB3281_4:
	s_min_u32 s14, s17, s18
	s_add_i32 s6, s14, s19
	s_min_u32 s15, s6, s18
	s_min_u32 s6, s20, s14
	s_add_i32 s20, s20, s14
	v_subrev_u32_e32 v0, s20, v0
	v_add_u32_e32 v4, s6, v0
	s_and_b64 vcc, exec, s[12:13]
	s_cbranch_vccz .LBB3281_12
; %bb.5:
                                        ; implicit-def: $vgpr0
	s_and_saveexec_b64 s[6:7], s[2:3]
	s_cbranch_execz .LBB3281_11
; %bb.6:
	s_cmp_ge_u32 s17, s15
	v_mov_b32_e32 v5, s14
	s_cbranch_scc1 .LBB3281_10
; %bb.7:
	s_mov_b64 s[2:3], 0
	v_mov_b32_e32 v6, s15
	v_mov_b32_e32 v5, s14
	;; [unrolled: 1-line block ×4, first 2 shown]
.LBB3281_8:                             ; =>This Inner Loop Header: Depth=1
	v_add_u32_e32 v0, v5, v6
	v_lshrrev_b32_e32 v0, 1, v0
	v_lshlrev_b64 v[8:9], 3, v[0:1]
	v_add_co_u32_e32 v8, vcc, s8, v8
	v_addc_co_u32_e32 v9, vcc, v7, v9, vcc
	global_load_dwordx2 v[8:9], v[8:9], off
	v_add_u32_e32 v10, 1, v0
	s_waitcnt vmcnt(0)
	v_cmp_gt_i64_e32 vcc, v[2:3], v[8:9]
	v_cndmask_b32_e64 v11, 0, 1, vcc
	v_cmp_le_i64_e32 vcc, v[8:9], v[2:3]
	v_cndmask_b32_e64 v8, 0, 1, vcc
	v_cndmask_b32_e64 v8, v8, v11, s[0:1]
	v_and_b32_e32 v8, 1, v8
	v_cmp_eq_u32_e32 vcc, 1, v8
	v_cndmask_b32_e32 v6, v0, v6, vcc
	v_cndmask_b32_e32 v5, v5, v10, vcc
	v_cmp_ge_u32_e32 vcc, v5, v6
	s_or_b64 s[2:3], vcc, s[2:3]
	s_andn2_b64 exec, exec, s[2:3]
	s_cbranch_execnz .LBB3281_8
; %bb.9:
	s_or_b64 exec, exec, s[2:3]
.LBB3281_10:
	v_add_u32_e32 v0, v5, v4
	s_or_b64 s[4:5], s[4:5], exec
.LBB3281_11:
	s_or_b64 exec, exec, s[6:7]
	s_branch .LBB3281_18
.LBB3281_12:
                                        ; implicit-def: $vgpr0
	s_cbranch_execz .LBB3281_18
; %bb.13:
	s_cmp_ge_u32 s17, s15
	v_mov_b32_e32 v5, s14
	s_cbranch_scc1 .LBB3281_17
; %bb.14:
	s_mov_b64 s[2:3], 0
	v_mov_b32_e32 v6, s15
	v_mov_b32_e32 v5, s14
	;; [unrolled: 1-line block ×4, first 2 shown]
.LBB3281_15:                            ; =>This Inner Loop Header: Depth=1
	v_add_u32_e32 v0, v5, v6
	v_lshrrev_b32_e32 v0, 1, v0
	v_lshlrev_b64 v[8:9], 3, v[0:1]
	v_add_co_u32_e32 v8, vcc, s8, v8
	v_addc_co_u32_e32 v9, vcc, v7, v9, vcc
	global_load_dwordx2 v[8:9], v[8:9], off
	v_add_u32_e32 v10, 1, v0
	s_waitcnt vmcnt(0)
	v_cmp_gt_i64_e32 vcc, v[2:3], v[8:9]
	v_cndmask_b32_e64 v11, 0, 1, vcc
	v_cmp_le_i64_e32 vcc, v[8:9], v[2:3]
	v_cndmask_b32_e64 v8, 0, 1, vcc
	v_cndmask_b32_e64 v8, v8, v11, s[0:1]
	v_and_b32_e32 v8, 1, v8
	v_cmp_eq_u32_e32 vcc, 1, v8
	v_cndmask_b32_e32 v6, v0, v6, vcc
	v_cndmask_b32_e32 v5, v5, v10, vcc
	v_cmp_ge_u32_e32 vcc, v5, v6
	s_or_b64 s[2:3], vcc, s[2:3]
	s_andn2_b64 exec, exec, s[2:3]
	s_cbranch_execnz .LBB3281_15
; %bb.16:
	s_or_b64 exec, exec, s[2:3]
.LBB3281_17:
	v_add_u32_e32 v0, v5, v4
	s_mov_b64 s[4:5], -1
.LBB3281_18:
	s_and_b64 exec, exec, s[4:5]
	s_cbranch_execz .LBB3281_20
; %bb.19:
	v_mov_b32_e32 v1, 0
	v_lshlrev_b64 v[0:1], 3, v[0:1]
	v_mov_b32_e32 v4, s11
	v_add_co_u32_e32 v0, vcc, s10, v0
	v_addc_co_u32_e32 v1, vcc, v4, v1, vcc
	s_waitcnt vmcnt(0)
	global_store_dwordx2 v[0:1], v[2:3], off
.LBB3281_20:
	s_endpgm
	.section	.rodata,"a",@progbits
	.p2align	6, 0x0
	.amdhsa_kernel _ZN7rocprim17ROCPRIM_400000_NS6detail17trampoline_kernelINS0_14default_configENS1_38merge_sort_block_merge_config_selectorIlNS0_10empty_typeEEEZZNS1_27merge_sort_block_merge_implIS3_N6thrust23THRUST_200600_302600_NS6detail15normal_iteratorINS9_10device_ptrIlEEEEPS5_m14custom_greaterIlEEE10hipError_tT0_T1_T2_jT3_P12ihipStream_tbPNSt15iterator_traitsISJ_E10value_typeEPNSP_ISK_E10value_typeEPSL_NS1_7vsmem_tEENKUlT_SJ_SK_SL_E_clISE_PlSF_SF_EESI_SY_SJ_SK_SL_EUlSY_E1_NS1_11comp_targetILNS1_3genE4ELNS1_11target_archE910ELNS1_3gpuE8ELNS1_3repE0EEENS1_36merge_oddeven_config_static_selectorELNS0_4arch9wavefront6targetE1EEEvSK_
		.amdhsa_group_segment_fixed_size 0
		.amdhsa_private_segment_fixed_size 0
		.amdhsa_kernarg_size 56
		.amdhsa_user_sgpr_count 6
		.amdhsa_user_sgpr_private_segment_buffer 1
		.amdhsa_user_sgpr_dispatch_ptr 0
		.amdhsa_user_sgpr_queue_ptr 0
		.amdhsa_user_sgpr_kernarg_segment_ptr 1
		.amdhsa_user_sgpr_dispatch_id 0
		.amdhsa_user_sgpr_flat_scratch_init 0
		.amdhsa_user_sgpr_kernarg_preload_length 0
		.amdhsa_user_sgpr_kernarg_preload_offset 0
		.amdhsa_user_sgpr_private_segment_size 0
		.amdhsa_uses_dynamic_stack 0
		.amdhsa_system_sgpr_private_segment_wavefront_offset 0
		.amdhsa_system_sgpr_workgroup_id_x 1
		.amdhsa_system_sgpr_workgroup_id_y 0
		.amdhsa_system_sgpr_workgroup_id_z 0
		.amdhsa_system_sgpr_workgroup_info 0
		.amdhsa_system_vgpr_workitem_id 0
		.amdhsa_next_free_vgpr 12
		.amdhsa_next_free_sgpr 21
		.amdhsa_accum_offset 12
		.amdhsa_reserve_vcc 1
		.amdhsa_reserve_flat_scratch 0
		.amdhsa_float_round_mode_32 0
		.amdhsa_float_round_mode_16_64 0
		.amdhsa_float_denorm_mode_32 3
		.amdhsa_float_denorm_mode_16_64 3
		.amdhsa_dx10_clamp 1
		.amdhsa_ieee_mode 1
		.amdhsa_fp16_overflow 0
		.amdhsa_tg_split 0
		.amdhsa_exception_fp_ieee_invalid_op 0
		.amdhsa_exception_fp_denorm_src 0
		.amdhsa_exception_fp_ieee_div_zero 0
		.amdhsa_exception_fp_ieee_overflow 0
		.amdhsa_exception_fp_ieee_underflow 0
		.amdhsa_exception_fp_ieee_inexact 0
		.amdhsa_exception_int_div_zero 0
	.end_amdhsa_kernel
	.section	.text._ZN7rocprim17ROCPRIM_400000_NS6detail17trampoline_kernelINS0_14default_configENS1_38merge_sort_block_merge_config_selectorIlNS0_10empty_typeEEEZZNS1_27merge_sort_block_merge_implIS3_N6thrust23THRUST_200600_302600_NS6detail15normal_iteratorINS9_10device_ptrIlEEEEPS5_m14custom_greaterIlEEE10hipError_tT0_T1_T2_jT3_P12ihipStream_tbPNSt15iterator_traitsISJ_E10value_typeEPNSP_ISK_E10value_typeEPSL_NS1_7vsmem_tEENKUlT_SJ_SK_SL_E_clISE_PlSF_SF_EESI_SY_SJ_SK_SL_EUlSY_E1_NS1_11comp_targetILNS1_3genE4ELNS1_11target_archE910ELNS1_3gpuE8ELNS1_3repE0EEENS1_36merge_oddeven_config_static_selectorELNS0_4arch9wavefront6targetE1EEEvSK_,"axG",@progbits,_ZN7rocprim17ROCPRIM_400000_NS6detail17trampoline_kernelINS0_14default_configENS1_38merge_sort_block_merge_config_selectorIlNS0_10empty_typeEEEZZNS1_27merge_sort_block_merge_implIS3_N6thrust23THRUST_200600_302600_NS6detail15normal_iteratorINS9_10device_ptrIlEEEEPS5_m14custom_greaterIlEEE10hipError_tT0_T1_T2_jT3_P12ihipStream_tbPNSt15iterator_traitsISJ_E10value_typeEPNSP_ISK_E10value_typeEPSL_NS1_7vsmem_tEENKUlT_SJ_SK_SL_E_clISE_PlSF_SF_EESI_SY_SJ_SK_SL_EUlSY_E1_NS1_11comp_targetILNS1_3genE4ELNS1_11target_archE910ELNS1_3gpuE8ELNS1_3repE0EEENS1_36merge_oddeven_config_static_selectorELNS0_4arch9wavefront6targetE1EEEvSK_,comdat
.Lfunc_end3281:
	.size	_ZN7rocprim17ROCPRIM_400000_NS6detail17trampoline_kernelINS0_14default_configENS1_38merge_sort_block_merge_config_selectorIlNS0_10empty_typeEEEZZNS1_27merge_sort_block_merge_implIS3_N6thrust23THRUST_200600_302600_NS6detail15normal_iteratorINS9_10device_ptrIlEEEEPS5_m14custom_greaterIlEEE10hipError_tT0_T1_T2_jT3_P12ihipStream_tbPNSt15iterator_traitsISJ_E10value_typeEPNSP_ISK_E10value_typeEPSL_NS1_7vsmem_tEENKUlT_SJ_SK_SL_E_clISE_PlSF_SF_EESI_SY_SJ_SK_SL_EUlSY_E1_NS1_11comp_targetILNS1_3genE4ELNS1_11target_archE910ELNS1_3gpuE8ELNS1_3repE0EEENS1_36merge_oddeven_config_static_selectorELNS0_4arch9wavefront6targetE1EEEvSK_, .Lfunc_end3281-_ZN7rocprim17ROCPRIM_400000_NS6detail17trampoline_kernelINS0_14default_configENS1_38merge_sort_block_merge_config_selectorIlNS0_10empty_typeEEEZZNS1_27merge_sort_block_merge_implIS3_N6thrust23THRUST_200600_302600_NS6detail15normal_iteratorINS9_10device_ptrIlEEEEPS5_m14custom_greaterIlEEE10hipError_tT0_T1_T2_jT3_P12ihipStream_tbPNSt15iterator_traitsISJ_E10value_typeEPNSP_ISK_E10value_typeEPSL_NS1_7vsmem_tEENKUlT_SJ_SK_SL_E_clISE_PlSF_SF_EESI_SY_SJ_SK_SL_EUlSY_E1_NS1_11comp_targetILNS1_3genE4ELNS1_11target_archE910ELNS1_3gpuE8ELNS1_3repE0EEENS1_36merge_oddeven_config_static_selectorELNS0_4arch9wavefront6targetE1EEEvSK_
                                        ; -- End function
	.section	.AMDGPU.csdata,"",@progbits
; Kernel info:
; codeLenInByte = 588
; NumSgprs: 25
; NumVgprs: 12
; NumAgprs: 0
; TotalNumVgprs: 12
; ScratchSize: 0
; MemoryBound: 0
; FloatMode: 240
; IeeeMode: 1
; LDSByteSize: 0 bytes/workgroup (compile time only)
; SGPRBlocks: 3
; VGPRBlocks: 1
; NumSGPRsForWavesPerEU: 25
; NumVGPRsForWavesPerEU: 12
; AccumOffset: 12
; Occupancy: 8
; WaveLimiterHint : 0
; COMPUTE_PGM_RSRC2:SCRATCH_EN: 0
; COMPUTE_PGM_RSRC2:USER_SGPR: 6
; COMPUTE_PGM_RSRC2:TRAP_HANDLER: 0
; COMPUTE_PGM_RSRC2:TGID_X_EN: 1
; COMPUTE_PGM_RSRC2:TGID_Y_EN: 0
; COMPUTE_PGM_RSRC2:TGID_Z_EN: 0
; COMPUTE_PGM_RSRC2:TIDIG_COMP_CNT: 0
; COMPUTE_PGM_RSRC3_GFX90A:ACCUM_OFFSET: 2
; COMPUTE_PGM_RSRC3_GFX90A:TG_SPLIT: 0
	.section	.text._ZN7rocprim17ROCPRIM_400000_NS6detail17trampoline_kernelINS0_14default_configENS1_38merge_sort_block_merge_config_selectorIlNS0_10empty_typeEEEZZNS1_27merge_sort_block_merge_implIS3_N6thrust23THRUST_200600_302600_NS6detail15normal_iteratorINS9_10device_ptrIlEEEEPS5_m14custom_greaterIlEEE10hipError_tT0_T1_T2_jT3_P12ihipStream_tbPNSt15iterator_traitsISJ_E10value_typeEPNSP_ISK_E10value_typeEPSL_NS1_7vsmem_tEENKUlT_SJ_SK_SL_E_clISE_PlSF_SF_EESI_SY_SJ_SK_SL_EUlSY_E1_NS1_11comp_targetILNS1_3genE3ELNS1_11target_archE908ELNS1_3gpuE7ELNS1_3repE0EEENS1_36merge_oddeven_config_static_selectorELNS0_4arch9wavefront6targetE1EEEvSK_,"axG",@progbits,_ZN7rocprim17ROCPRIM_400000_NS6detail17trampoline_kernelINS0_14default_configENS1_38merge_sort_block_merge_config_selectorIlNS0_10empty_typeEEEZZNS1_27merge_sort_block_merge_implIS3_N6thrust23THRUST_200600_302600_NS6detail15normal_iteratorINS9_10device_ptrIlEEEEPS5_m14custom_greaterIlEEE10hipError_tT0_T1_T2_jT3_P12ihipStream_tbPNSt15iterator_traitsISJ_E10value_typeEPNSP_ISK_E10value_typeEPSL_NS1_7vsmem_tEENKUlT_SJ_SK_SL_E_clISE_PlSF_SF_EESI_SY_SJ_SK_SL_EUlSY_E1_NS1_11comp_targetILNS1_3genE3ELNS1_11target_archE908ELNS1_3gpuE7ELNS1_3repE0EEENS1_36merge_oddeven_config_static_selectorELNS0_4arch9wavefront6targetE1EEEvSK_,comdat
	.protected	_ZN7rocprim17ROCPRIM_400000_NS6detail17trampoline_kernelINS0_14default_configENS1_38merge_sort_block_merge_config_selectorIlNS0_10empty_typeEEEZZNS1_27merge_sort_block_merge_implIS3_N6thrust23THRUST_200600_302600_NS6detail15normal_iteratorINS9_10device_ptrIlEEEEPS5_m14custom_greaterIlEEE10hipError_tT0_T1_T2_jT3_P12ihipStream_tbPNSt15iterator_traitsISJ_E10value_typeEPNSP_ISK_E10value_typeEPSL_NS1_7vsmem_tEENKUlT_SJ_SK_SL_E_clISE_PlSF_SF_EESI_SY_SJ_SK_SL_EUlSY_E1_NS1_11comp_targetILNS1_3genE3ELNS1_11target_archE908ELNS1_3gpuE7ELNS1_3repE0EEENS1_36merge_oddeven_config_static_selectorELNS0_4arch9wavefront6targetE1EEEvSK_ ; -- Begin function _ZN7rocprim17ROCPRIM_400000_NS6detail17trampoline_kernelINS0_14default_configENS1_38merge_sort_block_merge_config_selectorIlNS0_10empty_typeEEEZZNS1_27merge_sort_block_merge_implIS3_N6thrust23THRUST_200600_302600_NS6detail15normal_iteratorINS9_10device_ptrIlEEEEPS5_m14custom_greaterIlEEE10hipError_tT0_T1_T2_jT3_P12ihipStream_tbPNSt15iterator_traitsISJ_E10value_typeEPNSP_ISK_E10value_typeEPSL_NS1_7vsmem_tEENKUlT_SJ_SK_SL_E_clISE_PlSF_SF_EESI_SY_SJ_SK_SL_EUlSY_E1_NS1_11comp_targetILNS1_3genE3ELNS1_11target_archE908ELNS1_3gpuE7ELNS1_3repE0EEENS1_36merge_oddeven_config_static_selectorELNS0_4arch9wavefront6targetE1EEEvSK_
	.globl	_ZN7rocprim17ROCPRIM_400000_NS6detail17trampoline_kernelINS0_14default_configENS1_38merge_sort_block_merge_config_selectorIlNS0_10empty_typeEEEZZNS1_27merge_sort_block_merge_implIS3_N6thrust23THRUST_200600_302600_NS6detail15normal_iteratorINS9_10device_ptrIlEEEEPS5_m14custom_greaterIlEEE10hipError_tT0_T1_T2_jT3_P12ihipStream_tbPNSt15iterator_traitsISJ_E10value_typeEPNSP_ISK_E10value_typeEPSL_NS1_7vsmem_tEENKUlT_SJ_SK_SL_E_clISE_PlSF_SF_EESI_SY_SJ_SK_SL_EUlSY_E1_NS1_11comp_targetILNS1_3genE3ELNS1_11target_archE908ELNS1_3gpuE7ELNS1_3repE0EEENS1_36merge_oddeven_config_static_selectorELNS0_4arch9wavefront6targetE1EEEvSK_
	.p2align	8
	.type	_ZN7rocprim17ROCPRIM_400000_NS6detail17trampoline_kernelINS0_14default_configENS1_38merge_sort_block_merge_config_selectorIlNS0_10empty_typeEEEZZNS1_27merge_sort_block_merge_implIS3_N6thrust23THRUST_200600_302600_NS6detail15normal_iteratorINS9_10device_ptrIlEEEEPS5_m14custom_greaterIlEEE10hipError_tT0_T1_T2_jT3_P12ihipStream_tbPNSt15iterator_traitsISJ_E10value_typeEPNSP_ISK_E10value_typeEPSL_NS1_7vsmem_tEENKUlT_SJ_SK_SL_E_clISE_PlSF_SF_EESI_SY_SJ_SK_SL_EUlSY_E1_NS1_11comp_targetILNS1_3genE3ELNS1_11target_archE908ELNS1_3gpuE7ELNS1_3repE0EEENS1_36merge_oddeven_config_static_selectorELNS0_4arch9wavefront6targetE1EEEvSK_,@function
_ZN7rocprim17ROCPRIM_400000_NS6detail17trampoline_kernelINS0_14default_configENS1_38merge_sort_block_merge_config_selectorIlNS0_10empty_typeEEEZZNS1_27merge_sort_block_merge_implIS3_N6thrust23THRUST_200600_302600_NS6detail15normal_iteratorINS9_10device_ptrIlEEEEPS5_m14custom_greaterIlEEE10hipError_tT0_T1_T2_jT3_P12ihipStream_tbPNSt15iterator_traitsISJ_E10value_typeEPNSP_ISK_E10value_typeEPSL_NS1_7vsmem_tEENKUlT_SJ_SK_SL_E_clISE_PlSF_SF_EESI_SY_SJ_SK_SL_EUlSY_E1_NS1_11comp_targetILNS1_3genE3ELNS1_11target_archE908ELNS1_3gpuE7ELNS1_3repE0EEENS1_36merge_oddeven_config_static_selectorELNS0_4arch9wavefront6targetE1EEEvSK_: ; @_ZN7rocprim17ROCPRIM_400000_NS6detail17trampoline_kernelINS0_14default_configENS1_38merge_sort_block_merge_config_selectorIlNS0_10empty_typeEEEZZNS1_27merge_sort_block_merge_implIS3_N6thrust23THRUST_200600_302600_NS6detail15normal_iteratorINS9_10device_ptrIlEEEEPS5_m14custom_greaterIlEEE10hipError_tT0_T1_T2_jT3_P12ihipStream_tbPNSt15iterator_traitsISJ_E10value_typeEPNSP_ISK_E10value_typeEPSL_NS1_7vsmem_tEENKUlT_SJ_SK_SL_E_clISE_PlSF_SF_EESI_SY_SJ_SK_SL_EUlSY_E1_NS1_11comp_targetILNS1_3genE3ELNS1_11target_archE908ELNS1_3gpuE7ELNS1_3repE0EEENS1_36merge_oddeven_config_static_selectorELNS0_4arch9wavefront6targetE1EEEvSK_
; %bb.0:
	.section	.rodata,"a",@progbits
	.p2align	6, 0x0
	.amdhsa_kernel _ZN7rocprim17ROCPRIM_400000_NS6detail17trampoline_kernelINS0_14default_configENS1_38merge_sort_block_merge_config_selectorIlNS0_10empty_typeEEEZZNS1_27merge_sort_block_merge_implIS3_N6thrust23THRUST_200600_302600_NS6detail15normal_iteratorINS9_10device_ptrIlEEEEPS5_m14custom_greaterIlEEE10hipError_tT0_T1_T2_jT3_P12ihipStream_tbPNSt15iterator_traitsISJ_E10value_typeEPNSP_ISK_E10value_typeEPSL_NS1_7vsmem_tEENKUlT_SJ_SK_SL_E_clISE_PlSF_SF_EESI_SY_SJ_SK_SL_EUlSY_E1_NS1_11comp_targetILNS1_3genE3ELNS1_11target_archE908ELNS1_3gpuE7ELNS1_3repE0EEENS1_36merge_oddeven_config_static_selectorELNS0_4arch9wavefront6targetE1EEEvSK_
		.amdhsa_group_segment_fixed_size 0
		.amdhsa_private_segment_fixed_size 0
		.amdhsa_kernarg_size 56
		.amdhsa_user_sgpr_count 6
		.amdhsa_user_sgpr_private_segment_buffer 1
		.amdhsa_user_sgpr_dispatch_ptr 0
		.amdhsa_user_sgpr_queue_ptr 0
		.amdhsa_user_sgpr_kernarg_segment_ptr 1
		.amdhsa_user_sgpr_dispatch_id 0
		.amdhsa_user_sgpr_flat_scratch_init 0
		.amdhsa_user_sgpr_kernarg_preload_length 0
		.amdhsa_user_sgpr_kernarg_preload_offset 0
		.amdhsa_user_sgpr_private_segment_size 0
		.amdhsa_uses_dynamic_stack 0
		.amdhsa_system_sgpr_private_segment_wavefront_offset 0
		.amdhsa_system_sgpr_workgroup_id_x 1
		.amdhsa_system_sgpr_workgroup_id_y 0
		.amdhsa_system_sgpr_workgroup_id_z 0
		.amdhsa_system_sgpr_workgroup_info 0
		.amdhsa_system_vgpr_workitem_id 0
		.amdhsa_next_free_vgpr 1
		.amdhsa_next_free_sgpr 0
		.amdhsa_accum_offset 4
		.amdhsa_reserve_vcc 0
		.amdhsa_reserve_flat_scratch 0
		.amdhsa_float_round_mode_32 0
		.amdhsa_float_round_mode_16_64 0
		.amdhsa_float_denorm_mode_32 3
		.amdhsa_float_denorm_mode_16_64 3
		.amdhsa_dx10_clamp 1
		.amdhsa_ieee_mode 1
		.amdhsa_fp16_overflow 0
		.amdhsa_tg_split 0
		.amdhsa_exception_fp_ieee_invalid_op 0
		.amdhsa_exception_fp_denorm_src 0
		.amdhsa_exception_fp_ieee_div_zero 0
		.amdhsa_exception_fp_ieee_overflow 0
		.amdhsa_exception_fp_ieee_underflow 0
		.amdhsa_exception_fp_ieee_inexact 0
		.amdhsa_exception_int_div_zero 0
	.end_amdhsa_kernel
	.section	.text._ZN7rocprim17ROCPRIM_400000_NS6detail17trampoline_kernelINS0_14default_configENS1_38merge_sort_block_merge_config_selectorIlNS0_10empty_typeEEEZZNS1_27merge_sort_block_merge_implIS3_N6thrust23THRUST_200600_302600_NS6detail15normal_iteratorINS9_10device_ptrIlEEEEPS5_m14custom_greaterIlEEE10hipError_tT0_T1_T2_jT3_P12ihipStream_tbPNSt15iterator_traitsISJ_E10value_typeEPNSP_ISK_E10value_typeEPSL_NS1_7vsmem_tEENKUlT_SJ_SK_SL_E_clISE_PlSF_SF_EESI_SY_SJ_SK_SL_EUlSY_E1_NS1_11comp_targetILNS1_3genE3ELNS1_11target_archE908ELNS1_3gpuE7ELNS1_3repE0EEENS1_36merge_oddeven_config_static_selectorELNS0_4arch9wavefront6targetE1EEEvSK_,"axG",@progbits,_ZN7rocprim17ROCPRIM_400000_NS6detail17trampoline_kernelINS0_14default_configENS1_38merge_sort_block_merge_config_selectorIlNS0_10empty_typeEEEZZNS1_27merge_sort_block_merge_implIS3_N6thrust23THRUST_200600_302600_NS6detail15normal_iteratorINS9_10device_ptrIlEEEEPS5_m14custom_greaterIlEEE10hipError_tT0_T1_T2_jT3_P12ihipStream_tbPNSt15iterator_traitsISJ_E10value_typeEPNSP_ISK_E10value_typeEPSL_NS1_7vsmem_tEENKUlT_SJ_SK_SL_E_clISE_PlSF_SF_EESI_SY_SJ_SK_SL_EUlSY_E1_NS1_11comp_targetILNS1_3genE3ELNS1_11target_archE908ELNS1_3gpuE7ELNS1_3repE0EEENS1_36merge_oddeven_config_static_selectorELNS0_4arch9wavefront6targetE1EEEvSK_,comdat
.Lfunc_end3282:
	.size	_ZN7rocprim17ROCPRIM_400000_NS6detail17trampoline_kernelINS0_14default_configENS1_38merge_sort_block_merge_config_selectorIlNS0_10empty_typeEEEZZNS1_27merge_sort_block_merge_implIS3_N6thrust23THRUST_200600_302600_NS6detail15normal_iteratorINS9_10device_ptrIlEEEEPS5_m14custom_greaterIlEEE10hipError_tT0_T1_T2_jT3_P12ihipStream_tbPNSt15iterator_traitsISJ_E10value_typeEPNSP_ISK_E10value_typeEPSL_NS1_7vsmem_tEENKUlT_SJ_SK_SL_E_clISE_PlSF_SF_EESI_SY_SJ_SK_SL_EUlSY_E1_NS1_11comp_targetILNS1_3genE3ELNS1_11target_archE908ELNS1_3gpuE7ELNS1_3repE0EEENS1_36merge_oddeven_config_static_selectorELNS0_4arch9wavefront6targetE1EEEvSK_, .Lfunc_end3282-_ZN7rocprim17ROCPRIM_400000_NS6detail17trampoline_kernelINS0_14default_configENS1_38merge_sort_block_merge_config_selectorIlNS0_10empty_typeEEEZZNS1_27merge_sort_block_merge_implIS3_N6thrust23THRUST_200600_302600_NS6detail15normal_iteratorINS9_10device_ptrIlEEEEPS5_m14custom_greaterIlEEE10hipError_tT0_T1_T2_jT3_P12ihipStream_tbPNSt15iterator_traitsISJ_E10value_typeEPNSP_ISK_E10value_typeEPSL_NS1_7vsmem_tEENKUlT_SJ_SK_SL_E_clISE_PlSF_SF_EESI_SY_SJ_SK_SL_EUlSY_E1_NS1_11comp_targetILNS1_3genE3ELNS1_11target_archE908ELNS1_3gpuE7ELNS1_3repE0EEENS1_36merge_oddeven_config_static_selectorELNS0_4arch9wavefront6targetE1EEEvSK_
                                        ; -- End function
	.section	.AMDGPU.csdata,"",@progbits
; Kernel info:
; codeLenInByte = 0
; NumSgprs: 4
; NumVgprs: 0
; NumAgprs: 0
; TotalNumVgprs: 0
; ScratchSize: 0
; MemoryBound: 0
; FloatMode: 240
; IeeeMode: 1
; LDSByteSize: 0 bytes/workgroup (compile time only)
; SGPRBlocks: 0
; VGPRBlocks: 0
; NumSGPRsForWavesPerEU: 4
; NumVGPRsForWavesPerEU: 1
; AccumOffset: 4
; Occupancy: 8
; WaveLimiterHint : 0
; COMPUTE_PGM_RSRC2:SCRATCH_EN: 0
; COMPUTE_PGM_RSRC2:USER_SGPR: 6
; COMPUTE_PGM_RSRC2:TRAP_HANDLER: 0
; COMPUTE_PGM_RSRC2:TGID_X_EN: 1
; COMPUTE_PGM_RSRC2:TGID_Y_EN: 0
; COMPUTE_PGM_RSRC2:TGID_Z_EN: 0
; COMPUTE_PGM_RSRC2:TIDIG_COMP_CNT: 0
; COMPUTE_PGM_RSRC3_GFX90A:ACCUM_OFFSET: 0
; COMPUTE_PGM_RSRC3_GFX90A:TG_SPLIT: 0
	.section	.text._ZN7rocprim17ROCPRIM_400000_NS6detail17trampoline_kernelINS0_14default_configENS1_38merge_sort_block_merge_config_selectorIlNS0_10empty_typeEEEZZNS1_27merge_sort_block_merge_implIS3_N6thrust23THRUST_200600_302600_NS6detail15normal_iteratorINS9_10device_ptrIlEEEEPS5_m14custom_greaterIlEEE10hipError_tT0_T1_T2_jT3_P12ihipStream_tbPNSt15iterator_traitsISJ_E10value_typeEPNSP_ISK_E10value_typeEPSL_NS1_7vsmem_tEENKUlT_SJ_SK_SL_E_clISE_PlSF_SF_EESI_SY_SJ_SK_SL_EUlSY_E1_NS1_11comp_targetILNS1_3genE2ELNS1_11target_archE906ELNS1_3gpuE6ELNS1_3repE0EEENS1_36merge_oddeven_config_static_selectorELNS0_4arch9wavefront6targetE1EEEvSK_,"axG",@progbits,_ZN7rocprim17ROCPRIM_400000_NS6detail17trampoline_kernelINS0_14default_configENS1_38merge_sort_block_merge_config_selectorIlNS0_10empty_typeEEEZZNS1_27merge_sort_block_merge_implIS3_N6thrust23THRUST_200600_302600_NS6detail15normal_iteratorINS9_10device_ptrIlEEEEPS5_m14custom_greaterIlEEE10hipError_tT0_T1_T2_jT3_P12ihipStream_tbPNSt15iterator_traitsISJ_E10value_typeEPNSP_ISK_E10value_typeEPSL_NS1_7vsmem_tEENKUlT_SJ_SK_SL_E_clISE_PlSF_SF_EESI_SY_SJ_SK_SL_EUlSY_E1_NS1_11comp_targetILNS1_3genE2ELNS1_11target_archE906ELNS1_3gpuE6ELNS1_3repE0EEENS1_36merge_oddeven_config_static_selectorELNS0_4arch9wavefront6targetE1EEEvSK_,comdat
	.protected	_ZN7rocprim17ROCPRIM_400000_NS6detail17trampoline_kernelINS0_14default_configENS1_38merge_sort_block_merge_config_selectorIlNS0_10empty_typeEEEZZNS1_27merge_sort_block_merge_implIS3_N6thrust23THRUST_200600_302600_NS6detail15normal_iteratorINS9_10device_ptrIlEEEEPS5_m14custom_greaterIlEEE10hipError_tT0_T1_T2_jT3_P12ihipStream_tbPNSt15iterator_traitsISJ_E10value_typeEPNSP_ISK_E10value_typeEPSL_NS1_7vsmem_tEENKUlT_SJ_SK_SL_E_clISE_PlSF_SF_EESI_SY_SJ_SK_SL_EUlSY_E1_NS1_11comp_targetILNS1_3genE2ELNS1_11target_archE906ELNS1_3gpuE6ELNS1_3repE0EEENS1_36merge_oddeven_config_static_selectorELNS0_4arch9wavefront6targetE1EEEvSK_ ; -- Begin function _ZN7rocprim17ROCPRIM_400000_NS6detail17trampoline_kernelINS0_14default_configENS1_38merge_sort_block_merge_config_selectorIlNS0_10empty_typeEEEZZNS1_27merge_sort_block_merge_implIS3_N6thrust23THRUST_200600_302600_NS6detail15normal_iteratorINS9_10device_ptrIlEEEEPS5_m14custom_greaterIlEEE10hipError_tT0_T1_T2_jT3_P12ihipStream_tbPNSt15iterator_traitsISJ_E10value_typeEPNSP_ISK_E10value_typeEPSL_NS1_7vsmem_tEENKUlT_SJ_SK_SL_E_clISE_PlSF_SF_EESI_SY_SJ_SK_SL_EUlSY_E1_NS1_11comp_targetILNS1_3genE2ELNS1_11target_archE906ELNS1_3gpuE6ELNS1_3repE0EEENS1_36merge_oddeven_config_static_selectorELNS0_4arch9wavefront6targetE1EEEvSK_
	.globl	_ZN7rocprim17ROCPRIM_400000_NS6detail17trampoline_kernelINS0_14default_configENS1_38merge_sort_block_merge_config_selectorIlNS0_10empty_typeEEEZZNS1_27merge_sort_block_merge_implIS3_N6thrust23THRUST_200600_302600_NS6detail15normal_iteratorINS9_10device_ptrIlEEEEPS5_m14custom_greaterIlEEE10hipError_tT0_T1_T2_jT3_P12ihipStream_tbPNSt15iterator_traitsISJ_E10value_typeEPNSP_ISK_E10value_typeEPSL_NS1_7vsmem_tEENKUlT_SJ_SK_SL_E_clISE_PlSF_SF_EESI_SY_SJ_SK_SL_EUlSY_E1_NS1_11comp_targetILNS1_3genE2ELNS1_11target_archE906ELNS1_3gpuE6ELNS1_3repE0EEENS1_36merge_oddeven_config_static_selectorELNS0_4arch9wavefront6targetE1EEEvSK_
	.p2align	8
	.type	_ZN7rocprim17ROCPRIM_400000_NS6detail17trampoline_kernelINS0_14default_configENS1_38merge_sort_block_merge_config_selectorIlNS0_10empty_typeEEEZZNS1_27merge_sort_block_merge_implIS3_N6thrust23THRUST_200600_302600_NS6detail15normal_iteratorINS9_10device_ptrIlEEEEPS5_m14custom_greaterIlEEE10hipError_tT0_T1_T2_jT3_P12ihipStream_tbPNSt15iterator_traitsISJ_E10value_typeEPNSP_ISK_E10value_typeEPSL_NS1_7vsmem_tEENKUlT_SJ_SK_SL_E_clISE_PlSF_SF_EESI_SY_SJ_SK_SL_EUlSY_E1_NS1_11comp_targetILNS1_3genE2ELNS1_11target_archE906ELNS1_3gpuE6ELNS1_3repE0EEENS1_36merge_oddeven_config_static_selectorELNS0_4arch9wavefront6targetE1EEEvSK_,@function
_ZN7rocprim17ROCPRIM_400000_NS6detail17trampoline_kernelINS0_14default_configENS1_38merge_sort_block_merge_config_selectorIlNS0_10empty_typeEEEZZNS1_27merge_sort_block_merge_implIS3_N6thrust23THRUST_200600_302600_NS6detail15normal_iteratorINS9_10device_ptrIlEEEEPS5_m14custom_greaterIlEEE10hipError_tT0_T1_T2_jT3_P12ihipStream_tbPNSt15iterator_traitsISJ_E10value_typeEPNSP_ISK_E10value_typeEPSL_NS1_7vsmem_tEENKUlT_SJ_SK_SL_E_clISE_PlSF_SF_EESI_SY_SJ_SK_SL_EUlSY_E1_NS1_11comp_targetILNS1_3genE2ELNS1_11target_archE906ELNS1_3gpuE6ELNS1_3repE0EEENS1_36merge_oddeven_config_static_selectorELNS0_4arch9wavefront6targetE1EEEvSK_: ; @_ZN7rocprim17ROCPRIM_400000_NS6detail17trampoline_kernelINS0_14default_configENS1_38merge_sort_block_merge_config_selectorIlNS0_10empty_typeEEEZZNS1_27merge_sort_block_merge_implIS3_N6thrust23THRUST_200600_302600_NS6detail15normal_iteratorINS9_10device_ptrIlEEEEPS5_m14custom_greaterIlEEE10hipError_tT0_T1_T2_jT3_P12ihipStream_tbPNSt15iterator_traitsISJ_E10value_typeEPNSP_ISK_E10value_typeEPSL_NS1_7vsmem_tEENKUlT_SJ_SK_SL_E_clISE_PlSF_SF_EESI_SY_SJ_SK_SL_EUlSY_E1_NS1_11comp_targetILNS1_3genE2ELNS1_11target_archE906ELNS1_3gpuE6ELNS1_3repE0EEENS1_36merge_oddeven_config_static_selectorELNS0_4arch9wavefront6targetE1EEEvSK_
; %bb.0:
	.section	.rodata,"a",@progbits
	.p2align	6, 0x0
	.amdhsa_kernel _ZN7rocprim17ROCPRIM_400000_NS6detail17trampoline_kernelINS0_14default_configENS1_38merge_sort_block_merge_config_selectorIlNS0_10empty_typeEEEZZNS1_27merge_sort_block_merge_implIS3_N6thrust23THRUST_200600_302600_NS6detail15normal_iteratorINS9_10device_ptrIlEEEEPS5_m14custom_greaterIlEEE10hipError_tT0_T1_T2_jT3_P12ihipStream_tbPNSt15iterator_traitsISJ_E10value_typeEPNSP_ISK_E10value_typeEPSL_NS1_7vsmem_tEENKUlT_SJ_SK_SL_E_clISE_PlSF_SF_EESI_SY_SJ_SK_SL_EUlSY_E1_NS1_11comp_targetILNS1_3genE2ELNS1_11target_archE906ELNS1_3gpuE6ELNS1_3repE0EEENS1_36merge_oddeven_config_static_selectorELNS0_4arch9wavefront6targetE1EEEvSK_
		.amdhsa_group_segment_fixed_size 0
		.amdhsa_private_segment_fixed_size 0
		.amdhsa_kernarg_size 56
		.amdhsa_user_sgpr_count 6
		.amdhsa_user_sgpr_private_segment_buffer 1
		.amdhsa_user_sgpr_dispatch_ptr 0
		.amdhsa_user_sgpr_queue_ptr 0
		.amdhsa_user_sgpr_kernarg_segment_ptr 1
		.amdhsa_user_sgpr_dispatch_id 0
		.amdhsa_user_sgpr_flat_scratch_init 0
		.amdhsa_user_sgpr_kernarg_preload_length 0
		.amdhsa_user_sgpr_kernarg_preload_offset 0
		.amdhsa_user_sgpr_private_segment_size 0
		.amdhsa_uses_dynamic_stack 0
		.amdhsa_system_sgpr_private_segment_wavefront_offset 0
		.amdhsa_system_sgpr_workgroup_id_x 1
		.amdhsa_system_sgpr_workgroup_id_y 0
		.amdhsa_system_sgpr_workgroup_id_z 0
		.amdhsa_system_sgpr_workgroup_info 0
		.amdhsa_system_vgpr_workitem_id 0
		.amdhsa_next_free_vgpr 1
		.amdhsa_next_free_sgpr 0
		.amdhsa_accum_offset 4
		.amdhsa_reserve_vcc 0
		.amdhsa_reserve_flat_scratch 0
		.amdhsa_float_round_mode_32 0
		.amdhsa_float_round_mode_16_64 0
		.amdhsa_float_denorm_mode_32 3
		.amdhsa_float_denorm_mode_16_64 3
		.amdhsa_dx10_clamp 1
		.amdhsa_ieee_mode 1
		.amdhsa_fp16_overflow 0
		.amdhsa_tg_split 0
		.amdhsa_exception_fp_ieee_invalid_op 0
		.amdhsa_exception_fp_denorm_src 0
		.amdhsa_exception_fp_ieee_div_zero 0
		.amdhsa_exception_fp_ieee_overflow 0
		.amdhsa_exception_fp_ieee_underflow 0
		.amdhsa_exception_fp_ieee_inexact 0
		.amdhsa_exception_int_div_zero 0
	.end_amdhsa_kernel
	.section	.text._ZN7rocprim17ROCPRIM_400000_NS6detail17trampoline_kernelINS0_14default_configENS1_38merge_sort_block_merge_config_selectorIlNS0_10empty_typeEEEZZNS1_27merge_sort_block_merge_implIS3_N6thrust23THRUST_200600_302600_NS6detail15normal_iteratorINS9_10device_ptrIlEEEEPS5_m14custom_greaterIlEEE10hipError_tT0_T1_T2_jT3_P12ihipStream_tbPNSt15iterator_traitsISJ_E10value_typeEPNSP_ISK_E10value_typeEPSL_NS1_7vsmem_tEENKUlT_SJ_SK_SL_E_clISE_PlSF_SF_EESI_SY_SJ_SK_SL_EUlSY_E1_NS1_11comp_targetILNS1_3genE2ELNS1_11target_archE906ELNS1_3gpuE6ELNS1_3repE0EEENS1_36merge_oddeven_config_static_selectorELNS0_4arch9wavefront6targetE1EEEvSK_,"axG",@progbits,_ZN7rocprim17ROCPRIM_400000_NS6detail17trampoline_kernelINS0_14default_configENS1_38merge_sort_block_merge_config_selectorIlNS0_10empty_typeEEEZZNS1_27merge_sort_block_merge_implIS3_N6thrust23THRUST_200600_302600_NS6detail15normal_iteratorINS9_10device_ptrIlEEEEPS5_m14custom_greaterIlEEE10hipError_tT0_T1_T2_jT3_P12ihipStream_tbPNSt15iterator_traitsISJ_E10value_typeEPNSP_ISK_E10value_typeEPSL_NS1_7vsmem_tEENKUlT_SJ_SK_SL_E_clISE_PlSF_SF_EESI_SY_SJ_SK_SL_EUlSY_E1_NS1_11comp_targetILNS1_3genE2ELNS1_11target_archE906ELNS1_3gpuE6ELNS1_3repE0EEENS1_36merge_oddeven_config_static_selectorELNS0_4arch9wavefront6targetE1EEEvSK_,comdat
.Lfunc_end3283:
	.size	_ZN7rocprim17ROCPRIM_400000_NS6detail17trampoline_kernelINS0_14default_configENS1_38merge_sort_block_merge_config_selectorIlNS0_10empty_typeEEEZZNS1_27merge_sort_block_merge_implIS3_N6thrust23THRUST_200600_302600_NS6detail15normal_iteratorINS9_10device_ptrIlEEEEPS5_m14custom_greaterIlEEE10hipError_tT0_T1_T2_jT3_P12ihipStream_tbPNSt15iterator_traitsISJ_E10value_typeEPNSP_ISK_E10value_typeEPSL_NS1_7vsmem_tEENKUlT_SJ_SK_SL_E_clISE_PlSF_SF_EESI_SY_SJ_SK_SL_EUlSY_E1_NS1_11comp_targetILNS1_3genE2ELNS1_11target_archE906ELNS1_3gpuE6ELNS1_3repE0EEENS1_36merge_oddeven_config_static_selectorELNS0_4arch9wavefront6targetE1EEEvSK_, .Lfunc_end3283-_ZN7rocprim17ROCPRIM_400000_NS6detail17trampoline_kernelINS0_14default_configENS1_38merge_sort_block_merge_config_selectorIlNS0_10empty_typeEEEZZNS1_27merge_sort_block_merge_implIS3_N6thrust23THRUST_200600_302600_NS6detail15normal_iteratorINS9_10device_ptrIlEEEEPS5_m14custom_greaterIlEEE10hipError_tT0_T1_T2_jT3_P12ihipStream_tbPNSt15iterator_traitsISJ_E10value_typeEPNSP_ISK_E10value_typeEPSL_NS1_7vsmem_tEENKUlT_SJ_SK_SL_E_clISE_PlSF_SF_EESI_SY_SJ_SK_SL_EUlSY_E1_NS1_11comp_targetILNS1_3genE2ELNS1_11target_archE906ELNS1_3gpuE6ELNS1_3repE0EEENS1_36merge_oddeven_config_static_selectorELNS0_4arch9wavefront6targetE1EEEvSK_
                                        ; -- End function
	.section	.AMDGPU.csdata,"",@progbits
; Kernel info:
; codeLenInByte = 0
; NumSgprs: 4
; NumVgprs: 0
; NumAgprs: 0
; TotalNumVgprs: 0
; ScratchSize: 0
; MemoryBound: 0
; FloatMode: 240
; IeeeMode: 1
; LDSByteSize: 0 bytes/workgroup (compile time only)
; SGPRBlocks: 0
; VGPRBlocks: 0
; NumSGPRsForWavesPerEU: 4
; NumVGPRsForWavesPerEU: 1
; AccumOffset: 4
; Occupancy: 8
; WaveLimiterHint : 0
; COMPUTE_PGM_RSRC2:SCRATCH_EN: 0
; COMPUTE_PGM_RSRC2:USER_SGPR: 6
; COMPUTE_PGM_RSRC2:TRAP_HANDLER: 0
; COMPUTE_PGM_RSRC2:TGID_X_EN: 1
; COMPUTE_PGM_RSRC2:TGID_Y_EN: 0
; COMPUTE_PGM_RSRC2:TGID_Z_EN: 0
; COMPUTE_PGM_RSRC2:TIDIG_COMP_CNT: 0
; COMPUTE_PGM_RSRC3_GFX90A:ACCUM_OFFSET: 0
; COMPUTE_PGM_RSRC3_GFX90A:TG_SPLIT: 0
	.section	.text._ZN7rocprim17ROCPRIM_400000_NS6detail17trampoline_kernelINS0_14default_configENS1_38merge_sort_block_merge_config_selectorIlNS0_10empty_typeEEEZZNS1_27merge_sort_block_merge_implIS3_N6thrust23THRUST_200600_302600_NS6detail15normal_iteratorINS9_10device_ptrIlEEEEPS5_m14custom_greaterIlEEE10hipError_tT0_T1_T2_jT3_P12ihipStream_tbPNSt15iterator_traitsISJ_E10value_typeEPNSP_ISK_E10value_typeEPSL_NS1_7vsmem_tEENKUlT_SJ_SK_SL_E_clISE_PlSF_SF_EESI_SY_SJ_SK_SL_EUlSY_E1_NS1_11comp_targetILNS1_3genE9ELNS1_11target_archE1100ELNS1_3gpuE3ELNS1_3repE0EEENS1_36merge_oddeven_config_static_selectorELNS0_4arch9wavefront6targetE1EEEvSK_,"axG",@progbits,_ZN7rocprim17ROCPRIM_400000_NS6detail17trampoline_kernelINS0_14default_configENS1_38merge_sort_block_merge_config_selectorIlNS0_10empty_typeEEEZZNS1_27merge_sort_block_merge_implIS3_N6thrust23THRUST_200600_302600_NS6detail15normal_iteratorINS9_10device_ptrIlEEEEPS5_m14custom_greaterIlEEE10hipError_tT0_T1_T2_jT3_P12ihipStream_tbPNSt15iterator_traitsISJ_E10value_typeEPNSP_ISK_E10value_typeEPSL_NS1_7vsmem_tEENKUlT_SJ_SK_SL_E_clISE_PlSF_SF_EESI_SY_SJ_SK_SL_EUlSY_E1_NS1_11comp_targetILNS1_3genE9ELNS1_11target_archE1100ELNS1_3gpuE3ELNS1_3repE0EEENS1_36merge_oddeven_config_static_selectorELNS0_4arch9wavefront6targetE1EEEvSK_,comdat
	.protected	_ZN7rocprim17ROCPRIM_400000_NS6detail17trampoline_kernelINS0_14default_configENS1_38merge_sort_block_merge_config_selectorIlNS0_10empty_typeEEEZZNS1_27merge_sort_block_merge_implIS3_N6thrust23THRUST_200600_302600_NS6detail15normal_iteratorINS9_10device_ptrIlEEEEPS5_m14custom_greaterIlEEE10hipError_tT0_T1_T2_jT3_P12ihipStream_tbPNSt15iterator_traitsISJ_E10value_typeEPNSP_ISK_E10value_typeEPSL_NS1_7vsmem_tEENKUlT_SJ_SK_SL_E_clISE_PlSF_SF_EESI_SY_SJ_SK_SL_EUlSY_E1_NS1_11comp_targetILNS1_3genE9ELNS1_11target_archE1100ELNS1_3gpuE3ELNS1_3repE0EEENS1_36merge_oddeven_config_static_selectorELNS0_4arch9wavefront6targetE1EEEvSK_ ; -- Begin function _ZN7rocprim17ROCPRIM_400000_NS6detail17trampoline_kernelINS0_14default_configENS1_38merge_sort_block_merge_config_selectorIlNS0_10empty_typeEEEZZNS1_27merge_sort_block_merge_implIS3_N6thrust23THRUST_200600_302600_NS6detail15normal_iteratorINS9_10device_ptrIlEEEEPS5_m14custom_greaterIlEEE10hipError_tT0_T1_T2_jT3_P12ihipStream_tbPNSt15iterator_traitsISJ_E10value_typeEPNSP_ISK_E10value_typeEPSL_NS1_7vsmem_tEENKUlT_SJ_SK_SL_E_clISE_PlSF_SF_EESI_SY_SJ_SK_SL_EUlSY_E1_NS1_11comp_targetILNS1_3genE9ELNS1_11target_archE1100ELNS1_3gpuE3ELNS1_3repE0EEENS1_36merge_oddeven_config_static_selectorELNS0_4arch9wavefront6targetE1EEEvSK_
	.globl	_ZN7rocprim17ROCPRIM_400000_NS6detail17trampoline_kernelINS0_14default_configENS1_38merge_sort_block_merge_config_selectorIlNS0_10empty_typeEEEZZNS1_27merge_sort_block_merge_implIS3_N6thrust23THRUST_200600_302600_NS6detail15normal_iteratorINS9_10device_ptrIlEEEEPS5_m14custom_greaterIlEEE10hipError_tT0_T1_T2_jT3_P12ihipStream_tbPNSt15iterator_traitsISJ_E10value_typeEPNSP_ISK_E10value_typeEPSL_NS1_7vsmem_tEENKUlT_SJ_SK_SL_E_clISE_PlSF_SF_EESI_SY_SJ_SK_SL_EUlSY_E1_NS1_11comp_targetILNS1_3genE9ELNS1_11target_archE1100ELNS1_3gpuE3ELNS1_3repE0EEENS1_36merge_oddeven_config_static_selectorELNS0_4arch9wavefront6targetE1EEEvSK_
	.p2align	8
	.type	_ZN7rocprim17ROCPRIM_400000_NS6detail17trampoline_kernelINS0_14default_configENS1_38merge_sort_block_merge_config_selectorIlNS0_10empty_typeEEEZZNS1_27merge_sort_block_merge_implIS3_N6thrust23THRUST_200600_302600_NS6detail15normal_iteratorINS9_10device_ptrIlEEEEPS5_m14custom_greaterIlEEE10hipError_tT0_T1_T2_jT3_P12ihipStream_tbPNSt15iterator_traitsISJ_E10value_typeEPNSP_ISK_E10value_typeEPSL_NS1_7vsmem_tEENKUlT_SJ_SK_SL_E_clISE_PlSF_SF_EESI_SY_SJ_SK_SL_EUlSY_E1_NS1_11comp_targetILNS1_3genE9ELNS1_11target_archE1100ELNS1_3gpuE3ELNS1_3repE0EEENS1_36merge_oddeven_config_static_selectorELNS0_4arch9wavefront6targetE1EEEvSK_,@function
_ZN7rocprim17ROCPRIM_400000_NS6detail17trampoline_kernelINS0_14default_configENS1_38merge_sort_block_merge_config_selectorIlNS0_10empty_typeEEEZZNS1_27merge_sort_block_merge_implIS3_N6thrust23THRUST_200600_302600_NS6detail15normal_iteratorINS9_10device_ptrIlEEEEPS5_m14custom_greaterIlEEE10hipError_tT0_T1_T2_jT3_P12ihipStream_tbPNSt15iterator_traitsISJ_E10value_typeEPNSP_ISK_E10value_typeEPSL_NS1_7vsmem_tEENKUlT_SJ_SK_SL_E_clISE_PlSF_SF_EESI_SY_SJ_SK_SL_EUlSY_E1_NS1_11comp_targetILNS1_3genE9ELNS1_11target_archE1100ELNS1_3gpuE3ELNS1_3repE0EEENS1_36merge_oddeven_config_static_selectorELNS0_4arch9wavefront6targetE1EEEvSK_: ; @_ZN7rocprim17ROCPRIM_400000_NS6detail17trampoline_kernelINS0_14default_configENS1_38merge_sort_block_merge_config_selectorIlNS0_10empty_typeEEEZZNS1_27merge_sort_block_merge_implIS3_N6thrust23THRUST_200600_302600_NS6detail15normal_iteratorINS9_10device_ptrIlEEEEPS5_m14custom_greaterIlEEE10hipError_tT0_T1_T2_jT3_P12ihipStream_tbPNSt15iterator_traitsISJ_E10value_typeEPNSP_ISK_E10value_typeEPSL_NS1_7vsmem_tEENKUlT_SJ_SK_SL_E_clISE_PlSF_SF_EESI_SY_SJ_SK_SL_EUlSY_E1_NS1_11comp_targetILNS1_3genE9ELNS1_11target_archE1100ELNS1_3gpuE3ELNS1_3repE0EEENS1_36merge_oddeven_config_static_selectorELNS0_4arch9wavefront6targetE1EEEvSK_
; %bb.0:
	.section	.rodata,"a",@progbits
	.p2align	6, 0x0
	.amdhsa_kernel _ZN7rocprim17ROCPRIM_400000_NS6detail17trampoline_kernelINS0_14default_configENS1_38merge_sort_block_merge_config_selectorIlNS0_10empty_typeEEEZZNS1_27merge_sort_block_merge_implIS3_N6thrust23THRUST_200600_302600_NS6detail15normal_iteratorINS9_10device_ptrIlEEEEPS5_m14custom_greaterIlEEE10hipError_tT0_T1_T2_jT3_P12ihipStream_tbPNSt15iterator_traitsISJ_E10value_typeEPNSP_ISK_E10value_typeEPSL_NS1_7vsmem_tEENKUlT_SJ_SK_SL_E_clISE_PlSF_SF_EESI_SY_SJ_SK_SL_EUlSY_E1_NS1_11comp_targetILNS1_3genE9ELNS1_11target_archE1100ELNS1_3gpuE3ELNS1_3repE0EEENS1_36merge_oddeven_config_static_selectorELNS0_4arch9wavefront6targetE1EEEvSK_
		.amdhsa_group_segment_fixed_size 0
		.amdhsa_private_segment_fixed_size 0
		.amdhsa_kernarg_size 56
		.amdhsa_user_sgpr_count 6
		.amdhsa_user_sgpr_private_segment_buffer 1
		.amdhsa_user_sgpr_dispatch_ptr 0
		.amdhsa_user_sgpr_queue_ptr 0
		.amdhsa_user_sgpr_kernarg_segment_ptr 1
		.amdhsa_user_sgpr_dispatch_id 0
		.amdhsa_user_sgpr_flat_scratch_init 0
		.amdhsa_user_sgpr_kernarg_preload_length 0
		.amdhsa_user_sgpr_kernarg_preload_offset 0
		.amdhsa_user_sgpr_private_segment_size 0
		.amdhsa_uses_dynamic_stack 0
		.amdhsa_system_sgpr_private_segment_wavefront_offset 0
		.amdhsa_system_sgpr_workgroup_id_x 1
		.amdhsa_system_sgpr_workgroup_id_y 0
		.amdhsa_system_sgpr_workgroup_id_z 0
		.amdhsa_system_sgpr_workgroup_info 0
		.amdhsa_system_vgpr_workitem_id 0
		.amdhsa_next_free_vgpr 1
		.amdhsa_next_free_sgpr 0
		.amdhsa_accum_offset 4
		.amdhsa_reserve_vcc 0
		.amdhsa_reserve_flat_scratch 0
		.amdhsa_float_round_mode_32 0
		.amdhsa_float_round_mode_16_64 0
		.amdhsa_float_denorm_mode_32 3
		.amdhsa_float_denorm_mode_16_64 3
		.amdhsa_dx10_clamp 1
		.amdhsa_ieee_mode 1
		.amdhsa_fp16_overflow 0
		.amdhsa_tg_split 0
		.amdhsa_exception_fp_ieee_invalid_op 0
		.amdhsa_exception_fp_denorm_src 0
		.amdhsa_exception_fp_ieee_div_zero 0
		.amdhsa_exception_fp_ieee_overflow 0
		.amdhsa_exception_fp_ieee_underflow 0
		.amdhsa_exception_fp_ieee_inexact 0
		.amdhsa_exception_int_div_zero 0
	.end_amdhsa_kernel
	.section	.text._ZN7rocprim17ROCPRIM_400000_NS6detail17trampoline_kernelINS0_14default_configENS1_38merge_sort_block_merge_config_selectorIlNS0_10empty_typeEEEZZNS1_27merge_sort_block_merge_implIS3_N6thrust23THRUST_200600_302600_NS6detail15normal_iteratorINS9_10device_ptrIlEEEEPS5_m14custom_greaterIlEEE10hipError_tT0_T1_T2_jT3_P12ihipStream_tbPNSt15iterator_traitsISJ_E10value_typeEPNSP_ISK_E10value_typeEPSL_NS1_7vsmem_tEENKUlT_SJ_SK_SL_E_clISE_PlSF_SF_EESI_SY_SJ_SK_SL_EUlSY_E1_NS1_11comp_targetILNS1_3genE9ELNS1_11target_archE1100ELNS1_3gpuE3ELNS1_3repE0EEENS1_36merge_oddeven_config_static_selectorELNS0_4arch9wavefront6targetE1EEEvSK_,"axG",@progbits,_ZN7rocprim17ROCPRIM_400000_NS6detail17trampoline_kernelINS0_14default_configENS1_38merge_sort_block_merge_config_selectorIlNS0_10empty_typeEEEZZNS1_27merge_sort_block_merge_implIS3_N6thrust23THRUST_200600_302600_NS6detail15normal_iteratorINS9_10device_ptrIlEEEEPS5_m14custom_greaterIlEEE10hipError_tT0_T1_T2_jT3_P12ihipStream_tbPNSt15iterator_traitsISJ_E10value_typeEPNSP_ISK_E10value_typeEPSL_NS1_7vsmem_tEENKUlT_SJ_SK_SL_E_clISE_PlSF_SF_EESI_SY_SJ_SK_SL_EUlSY_E1_NS1_11comp_targetILNS1_3genE9ELNS1_11target_archE1100ELNS1_3gpuE3ELNS1_3repE0EEENS1_36merge_oddeven_config_static_selectorELNS0_4arch9wavefront6targetE1EEEvSK_,comdat
.Lfunc_end3284:
	.size	_ZN7rocprim17ROCPRIM_400000_NS6detail17trampoline_kernelINS0_14default_configENS1_38merge_sort_block_merge_config_selectorIlNS0_10empty_typeEEEZZNS1_27merge_sort_block_merge_implIS3_N6thrust23THRUST_200600_302600_NS6detail15normal_iteratorINS9_10device_ptrIlEEEEPS5_m14custom_greaterIlEEE10hipError_tT0_T1_T2_jT3_P12ihipStream_tbPNSt15iterator_traitsISJ_E10value_typeEPNSP_ISK_E10value_typeEPSL_NS1_7vsmem_tEENKUlT_SJ_SK_SL_E_clISE_PlSF_SF_EESI_SY_SJ_SK_SL_EUlSY_E1_NS1_11comp_targetILNS1_3genE9ELNS1_11target_archE1100ELNS1_3gpuE3ELNS1_3repE0EEENS1_36merge_oddeven_config_static_selectorELNS0_4arch9wavefront6targetE1EEEvSK_, .Lfunc_end3284-_ZN7rocprim17ROCPRIM_400000_NS6detail17trampoline_kernelINS0_14default_configENS1_38merge_sort_block_merge_config_selectorIlNS0_10empty_typeEEEZZNS1_27merge_sort_block_merge_implIS3_N6thrust23THRUST_200600_302600_NS6detail15normal_iteratorINS9_10device_ptrIlEEEEPS5_m14custom_greaterIlEEE10hipError_tT0_T1_T2_jT3_P12ihipStream_tbPNSt15iterator_traitsISJ_E10value_typeEPNSP_ISK_E10value_typeEPSL_NS1_7vsmem_tEENKUlT_SJ_SK_SL_E_clISE_PlSF_SF_EESI_SY_SJ_SK_SL_EUlSY_E1_NS1_11comp_targetILNS1_3genE9ELNS1_11target_archE1100ELNS1_3gpuE3ELNS1_3repE0EEENS1_36merge_oddeven_config_static_selectorELNS0_4arch9wavefront6targetE1EEEvSK_
                                        ; -- End function
	.section	.AMDGPU.csdata,"",@progbits
; Kernel info:
; codeLenInByte = 0
; NumSgprs: 4
; NumVgprs: 0
; NumAgprs: 0
; TotalNumVgprs: 0
; ScratchSize: 0
; MemoryBound: 0
; FloatMode: 240
; IeeeMode: 1
; LDSByteSize: 0 bytes/workgroup (compile time only)
; SGPRBlocks: 0
; VGPRBlocks: 0
; NumSGPRsForWavesPerEU: 4
; NumVGPRsForWavesPerEU: 1
; AccumOffset: 4
; Occupancy: 8
; WaveLimiterHint : 0
; COMPUTE_PGM_RSRC2:SCRATCH_EN: 0
; COMPUTE_PGM_RSRC2:USER_SGPR: 6
; COMPUTE_PGM_RSRC2:TRAP_HANDLER: 0
; COMPUTE_PGM_RSRC2:TGID_X_EN: 1
; COMPUTE_PGM_RSRC2:TGID_Y_EN: 0
; COMPUTE_PGM_RSRC2:TGID_Z_EN: 0
; COMPUTE_PGM_RSRC2:TIDIG_COMP_CNT: 0
; COMPUTE_PGM_RSRC3_GFX90A:ACCUM_OFFSET: 0
; COMPUTE_PGM_RSRC3_GFX90A:TG_SPLIT: 0
	.section	.text._ZN7rocprim17ROCPRIM_400000_NS6detail17trampoline_kernelINS0_14default_configENS1_38merge_sort_block_merge_config_selectorIlNS0_10empty_typeEEEZZNS1_27merge_sort_block_merge_implIS3_N6thrust23THRUST_200600_302600_NS6detail15normal_iteratorINS9_10device_ptrIlEEEEPS5_m14custom_greaterIlEEE10hipError_tT0_T1_T2_jT3_P12ihipStream_tbPNSt15iterator_traitsISJ_E10value_typeEPNSP_ISK_E10value_typeEPSL_NS1_7vsmem_tEENKUlT_SJ_SK_SL_E_clISE_PlSF_SF_EESI_SY_SJ_SK_SL_EUlSY_E1_NS1_11comp_targetILNS1_3genE8ELNS1_11target_archE1030ELNS1_3gpuE2ELNS1_3repE0EEENS1_36merge_oddeven_config_static_selectorELNS0_4arch9wavefront6targetE1EEEvSK_,"axG",@progbits,_ZN7rocprim17ROCPRIM_400000_NS6detail17trampoline_kernelINS0_14default_configENS1_38merge_sort_block_merge_config_selectorIlNS0_10empty_typeEEEZZNS1_27merge_sort_block_merge_implIS3_N6thrust23THRUST_200600_302600_NS6detail15normal_iteratorINS9_10device_ptrIlEEEEPS5_m14custom_greaterIlEEE10hipError_tT0_T1_T2_jT3_P12ihipStream_tbPNSt15iterator_traitsISJ_E10value_typeEPNSP_ISK_E10value_typeEPSL_NS1_7vsmem_tEENKUlT_SJ_SK_SL_E_clISE_PlSF_SF_EESI_SY_SJ_SK_SL_EUlSY_E1_NS1_11comp_targetILNS1_3genE8ELNS1_11target_archE1030ELNS1_3gpuE2ELNS1_3repE0EEENS1_36merge_oddeven_config_static_selectorELNS0_4arch9wavefront6targetE1EEEvSK_,comdat
	.protected	_ZN7rocprim17ROCPRIM_400000_NS6detail17trampoline_kernelINS0_14default_configENS1_38merge_sort_block_merge_config_selectorIlNS0_10empty_typeEEEZZNS1_27merge_sort_block_merge_implIS3_N6thrust23THRUST_200600_302600_NS6detail15normal_iteratorINS9_10device_ptrIlEEEEPS5_m14custom_greaterIlEEE10hipError_tT0_T1_T2_jT3_P12ihipStream_tbPNSt15iterator_traitsISJ_E10value_typeEPNSP_ISK_E10value_typeEPSL_NS1_7vsmem_tEENKUlT_SJ_SK_SL_E_clISE_PlSF_SF_EESI_SY_SJ_SK_SL_EUlSY_E1_NS1_11comp_targetILNS1_3genE8ELNS1_11target_archE1030ELNS1_3gpuE2ELNS1_3repE0EEENS1_36merge_oddeven_config_static_selectorELNS0_4arch9wavefront6targetE1EEEvSK_ ; -- Begin function _ZN7rocprim17ROCPRIM_400000_NS6detail17trampoline_kernelINS0_14default_configENS1_38merge_sort_block_merge_config_selectorIlNS0_10empty_typeEEEZZNS1_27merge_sort_block_merge_implIS3_N6thrust23THRUST_200600_302600_NS6detail15normal_iteratorINS9_10device_ptrIlEEEEPS5_m14custom_greaterIlEEE10hipError_tT0_T1_T2_jT3_P12ihipStream_tbPNSt15iterator_traitsISJ_E10value_typeEPNSP_ISK_E10value_typeEPSL_NS1_7vsmem_tEENKUlT_SJ_SK_SL_E_clISE_PlSF_SF_EESI_SY_SJ_SK_SL_EUlSY_E1_NS1_11comp_targetILNS1_3genE8ELNS1_11target_archE1030ELNS1_3gpuE2ELNS1_3repE0EEENS1_36merge_oddeven_config_static_selectorELNS0_4arch9wavefront6targetE1EEEvSK_
	.globl	_ZN7rocprim17ROCPRIM_400000_NS6detail17trampoline_kernelINS0_14default_configENS1_38merge_sort_block_merge_config_selectorIlNS0_10empty_typeEEEZZNS1_27merge_sort_block_merge_implIS3_N6thrust23THRUST_200600_302600_NS6detail15normal_iteratorINS9_10device_ptrIlEEEEPS5_m14custom_greaterIlEEE10hipError_tT0_T1_T2_jT3_P12ihipStream_tbPNSt15iterator_traitsISJ_E10value_typeEPNSP_ISK_E10value_typeEPSL_NS1_7vsmem_tEENKUlT_SJ_SK_SL_E_clISE_PlSF_SF_EESI_SY_SJ_SK_SL_EUlSY_E1_NS1_11comp_targetILNS1_3genE8ELNS1_11target_archE1030ELNS1_3gpuE2ELNS1_3repE0EEENS1_36merge_oddeven_config_static_selectorELNS0_4arch9wavefront6targetE1EEEvSK_
	.p2align	8
	.type	_ZN7rocprim17ROCPRIM_400000_NS6detail17trampoline_kernelINS0_14default_configENS1_38merge_sort_block_merge_config_selectorIlNS0_10empty_typeEEEZZNS1_27merge_sort_block_merge_implIS3_N6thrust23THRUST_200600_302600_NS6detail15normal_iteratorINS9_10device_ptrIlEEEEPS5_m14custom_greaterIlEEE10hipError_tT0_T1_T2_jT3_P12ihipStream_tbPNSt15iterator_traitsISJ_E10value_typeEPNSP_ISK_E10value_typeEPSL_NS1_7vsmem_tEENKUlT_SJ_SK_SL_E_clISE_PlSF_SF_EESI_SY_SJ_SK_SL_EUlSY_E1_NS1_11comp_targetILNS1_3genE8ELNS1_11target_archE1030ELNS1_3gpuE2ELNS1_3repE0EEENS1_36merge_oddeven_config_static_selectorELNS0_4arch9wavefront6targetE1EEEvSK_,@function
_ZN7rocprim17ROCPRIM_400000_NS6detail17trampoline_kernelINS0_14default_configENS1_38merge_sort_block_merge_config_selectorIlNS0_10empty_typeEEEZZNS1_27merge_sort_block_merge_implIS3_N6thrust23THRUST_200600_302600_NS6detail15normal_iteratorINS9_10device_ptrIlEEEEPS5_m14custom_greaterIlEEE10hipError_tT0_T1_T2_jT3_P12ihipStream_tbPNSt15iterator_traitsISJ_E10value_typeEPNSP_ISK_E10value_typeEPSL_NS1_7vsmem_tEENKUlT_SJ_SK_SL_E_clISE_PlSF_SF_EESI_SY_SJ_SK_SL_EUlSY_E1_NS1_11comp_targetILNS1_3genE8ELNS1_11target_archE1030ELNS1_3gpuE2ELNS1_3repE0EEENS1_36merge_oddeven_config_static_selectorELNS0_4arch9wavefront6targetE1EEEvSK_: ; @_ZN7rocprim17ROCPRIM_400000_NS6detail17trampoline_kernelINS0_14default_configENS1_38merge_sort_block_merge_config_selectorIlNS0_10empty_typeEEEZZNS1_27merge_sort_block_merge_implIS3_N6thrust23THRUST_200600_302600_NS6detail15normal_iteratorINS9_10device_ptrIlEEEEPS5_m14custom_greaterIlEEE10hipError_tT0_T1_T2_jT3_P12ihipStream_tbPNSt15iterator_traitsISJ_E10value_typeEPNSP_ISK_E10value_typeEPSL_NS1_7vsmem_tEENKUlT_SJ_SK_SL_E_clISE_PlSF_SF_EESI_SY_SJ_SK_SL_EUlSY_E1_NS1_11comp_targetILNS1_3genE8ELNS1_11target_archE1030ELNS1_3gpuE2ELNS1_3repE0EEENS1_36merge_oddeven_config_static_selectorELNS0_4arch9wavefront6targetE1EEEvSK_
; %bb.0:
	.section	.rodata,"a",@progbits
	.p2align	6, 0x0
	.amdhsa_kernel _ZN7rocprim17ROCPRIM_400000_NS6detail17trampoline_kernelINS0_14default_configENS1_38merge_sort_block_merge_config_selectorIlNS0_10empty_typeEEEZZNS1_27merge_sort_block_merge_implIS3_N6thrust23THRUST_200600_302600_NS6detail15normal_iteratorINS9_10device_ptrIlEEEEPS5_m14custom_greaterIlEEE10hipError_tT0_T1_T2_jT3_P12ihipStream_tbPNSt15iterator_traitsISJ_E10value_typeEPNSP_ISK_E10value_typeEPSL_NS1_7vsmem_tEENKUlT_SJ_SK_SL_E_clISE_PlSF_SF_EESI_SY_SJ_SK_SL_EUlSY_E1_NS1_11comp_targetILNS1_3genE8ELNS1_11target_archE1030ELNS1_3gpuE2ELNS1_3repE0EEENS1_36merge_oddeven_config_static_selectorELNS0_4arch9wavefront6targetE1EEEvSK_
		.amdhsa_group_segment_fixed_size 0
		.amdhsa_private_segment_fixed_size 0
		.amdhsa_kernarg_size 56
		.amdhsa_user_sgpr_count 6
		.amdhsa_user_sgpr_private_segment_buffer 1
		.amdhsa_user_sgpr_dispatch_ptr 0
		.amdhsa_user_sgpr_queue_ptr 0
		.amdhsa_user_sgpr_kernarg_segment_ptr 1
		.amdhsa_user_sgpr_dispatch_id 0
		.amdhsa_user_sgpr_flat_scratch_init 0
		.amdhsa_user_sgpr_kernarg_preload_length 0
		.amdhsa_user_sgpr_kernarg_preload_offset 0
		.amdhsa_user_sgpr_private_segment_size 0
		.amdhsa_uses_dynamic_stack 0
		.amdhsa_system_sgpr_private_segment_wavefront_offset 0
		.amdhsa_system_sgpr_workgroup_id_x 1
		.amdhsa_system_sgpr_workgroup_id_y 0
		.amdhsa_system_sgpr_workgroup_id_z 0
		.amdhsa_system_sgpr_workgroup_info 0
		.amdhsa_system_vgpr_workitem_id 0
		.amdhsa_next_free_vgpr 1
		.amdhsa_next_free_sgpr 0
		.amdhsa_accum_offset 4
		.amdhsa_reserve_vcc 0
		.amdhsa_reserve_flat_scratch 0
		.amdhsa_float_round_mode_32 0
		.amdhsa_float_round_mode_16_64 0
		.amdhsa_float_denorm_mode_32 3
		.amdhsa_float_denorm_mode_16_64 3
		.amdhsa_dx10_clamp 1
		.amdhsa_ieee_mode 1
		.amdhsa_fp16_overflow 0
		.amdhsa_tg_split 0
		.amdhsa_exception_fp_ieee_invalid_op 0
		.amdhsa_exception_fp_denorm_src 0
		.amdhsa_exception_fp_ieee_div_zero 0
		.amdhsa_exception_fp_ieee_overflow 0
		.amdhsa_exception_fp_ieee_underflow 0
		.amdhsa_exception_fp_ieee_inexact 0
		.amdhsa_exception_int_div_zero 0
	.end_amdhsa_kernel
	.section	.text._ZN7rocprim17ROCPRIM_400000_NS6detail17trampoline_kernelINS0_14default_configENS1_38merge_sort_block_merge_config_selectorIlNS0_10empty_typeEEEZZNS1_27merge_sort_block_merge_implIS3_N6thrust23THRUST_200600_302600_NS6detail15normal_iteratorINS9_10device_ptrIlEEEEPS5_m14custom_greaterIlEEE10hipError_tT0_T1_T2_jT3_P12ihipStream_tbPNSt15iterator_traitsISJ_E10value_typeEPNSP_ISK_E10value_typeEPSL_NS1_7vsmem_tEENKUlT_SJ_SK_SL_E_clISE_PlSF_SF_EESI_SY_SJ_SK_SL_EUlSY_E1_NS1_11comp_targetILNS1_3genE8ELNS1_11target_archE1030ELNS1_3gpuE2ELNS1_3repE0EEENS1_36merge_oddeven_config_static_selectorELNS0_4arch9wavefront6targetE1EEEvSK_,"axG",@progbits,_ZN7rocprim17ROCPRIM_400000_NS6detail17trampoline_kernelINS0_14default_configENS1_38merge_sort_block_merge_config_selectorIlNS0_10empty_typeEEEZZNS1_27merge_sort_block_merge_implIS3_N6thrust23THRUST_200600_302600_NS6detail15normal_iteratorINS9_10device_ptrIlEEEEPS5_m14custom_greaterIlEEE10hipError_tT0_T1_T2_jT3_P12ihipStream_tbPNSt15iterator_traitsISJ_E10value_typeEPNSP_ISK_E10value_typeEPSL_NS1_7vsmem_tEENKUlT_SJ_SK_SL_E_clISE_PlSF_SF_EESI_SY_SJ_SK_SL_EUlSY_E1_NS1_11comp_targetILNS1_3genE8ELNS1_11target_archE1030ELNS1_3gpuE2ELNS1_3repE0EEENS1_36merge_oddeven_config_static_selectorELNS0_4arch9wavefront6targetE1EEEvSK_,comdat
.Lfunc_end3285:
	.size	_ZN7rocprim17ROCPRIM_400000_NS6detail17trampoline_kernelINS0_14default_configENS1_38merge_sort_block_merge_config_selectorIlNS0_10empty_typeEEEZZNS1_27merge_sort_block_merge_implIS3_N6thrust23THRUST_200600_302600_NS6detail15normal_iteratorINS9_10device_ptrIlEEEEPS5_m14custom_greaterIlEEE10hipError_tT0_T1_T2_jT3_P12ihipStream_tbPNSt15iterator_traitsISJ_E10value_typeEPNSP_ISK_E10value_typeEPSL_NS1_7vsmem_tEENKUlT_SJ_SK_SL_E_clISE_PlSF_SF_EESI_SY_SJ_SK_SL_EUlSY_E1_NS1_11comp_targetILNS1_3genE8ELNS1_11target_archE1030ELNS1_3gpuE2ELNS1_3repE0EEENS1_36merge_oddeven_config_static_selectorELNS0_4arch9wavefront6targetE1EEEvSK_, .Lfunc_end3285-_ZN7rocprim17ROCPRIM_400000_NS6detail17trampoline_kernelINS0_14default_configENS1_38merge_sort_block_merge_config_selectorIlNS0_10empty_typeEEEZZNS1_27merge_sort_block_merge_implIS3_N6thrust23THRUST_200600_302600_NS6detail15normal_iteratorINS9_10device_ptrIlEEEEPS5_m14custom_greaterIlEEE10hipError_tT0_T1_T2_jT3_P12ihipStream_tbPNSt15iterator_traitsISJ_E10value_typeEPNSP_ISK_E10value_typeEPSL_NS1_7vsmem_tEENKUlT_SJ_SK_SL_E_clISE_PlSF_SF_EESI_SY_SJ_SK_SL_EUlSY_E1_NS1_11comp_targetILNS1_3genE8ELNS1_11target_archE1030ELNS1_3gpuE2ELNS1_3repE0EEENS1_36merge_oddeven_config_static_selectorELNS0_4arch9wavefront6targetE1EEEvSK_
                                        ; -- End function
	.section	.AMDGPU.csdata,"",@progbits
; Kernel info:
; codeLenInByte = 0
; NumSgprs: 4
; NumVgprs: 0
; NumAgprs: 0
; TotalNumVgprs: 0
; ScratchSize: 0
; MemoryBound: 0
; FloatMode: 240
; IeeeMode: 1
; LDSByteSize: 0 bytes/workgroup (compile time only)
; SGPRBlocks: 0
; VGPRBlocks: 0
; NumSGPRsForWavesPerEU: 4
; NumVGPRsForWavesPerEU: 1
; AccumOffset: 4
; Occupancy: 8
; WaveLimiterHint : 0
; COMPUTE_PGM_RSRC2:SCRATCH_EN: 0
; COMPUTE_PGM_RSRC2:USER_SGPR: 6
; COMPUTE_PGM_RSRC2:TRAP_HANDLER: 0
; COMPUTE_PGM_RSRC2:TGID_X_EN: 1
; COMPUTE_PGM_RSRC2:TGID_Y_EN: 0
; COMPUTE_PGM_RSRC2:TGID_Z_EN: 0
; COMPUTE_PGM_RSRC2:TIDIG_COMP_CNT: 0
; COMPUTE_PGM_RSRC3_GFX90A:ACCUM_OFFSET: 0
; COMPUTE_PGM_RSRC3_GFX90A:TG_SPLIT: 0
	.section	.text._ZN7rocprim17ROCPRIM_400000_NS6detail17trampoline_kernelINS0_14default_configENS1_25transform_config_selectorIlLb0EEEZNS1_14transform_implILb0ES3_S5_PlN6thrust23THRUST_200600_302600_NS6detail15normal_iteratorINS9_10device_ptrIlEEEENS0_8identityIlEEEE10hipError_tT2_T3_mT4_P12ihipStream_tbEUlT_E_NS1_11comp_targetILNS1_3genE0ELNS1_11target_archE4294967295ELNS1_3gpuE0ELNS1_3repE0EEENS1_30default_config_static_selectorELNS0_4arch9wavefront6targetE1EEEvT1_,"axG",@progbits,_ZN7rocprim17ROCPRIM_400000_NS6detail17trampoline_kernelINS0_14default_configENS1_25transform_config_selectorIlLb0EEEZNS1_14transform_implILb0ES3_S5_PlN6thrust23THRUST_200600_302600_NS6detail15normal_iteratorINS9_10device_ptrIlEEEENS0_8identityIlEEEE10hipError_tT2_T3_mT4_P12ihipStream_tbEUlT_E_NS1_11comp_targetILNS1_3genE0ELNS1_11target_archE4294967295ELNS1_3gpuE0ELNS1_3repE0EEENS1_30default_config_static_selectorELNS0_4arch9wavefront6targetE1EEEvT1_,comdat
	.protected	_ZN7rocprim17ROCPRIM_400000_NS6detail17trampoline_kernelINS0_14default_configENS1_25transform_config_selectorIlLb0EEEZNS1_14transform_implILb0ES3_S5_PlN6thrust23THRUST_200600_302600_NS6detail15normal_iteratorINS9_10device_ptrIlEEEENS0_8identityIlEEEE10hipError_tT2_T3_mT4_P12ihipStream_tbEUlT_E_NS1_11comp_targetILNS1_3genE0ELNS1_11target_archE4294967295ELNS1_3gpuE0ELNS1_3repE0EEENS1_30default_config_static_selectorELNS0_4arch9wavefront6targetE1EEEvT1_ ; -- Begin function _ZN7rocprim17ROCPRIM_400000_NS6detail17trampoline_kernelINS0_14default_configENS1_25transform_config_selectorIlLb0EEEZNS1_14transform_implILb0ES3_S5_PlN6thrust23THRUST_200600_302600_NS6detail15normal_iteratorINS9_10device_ptrIlEEEENS0_8identityIlEEEE10hipError_tT2_T3_mT4_P12ihipStream_tbEUlT_E_NS1_11comp_targetILNS1_3genE0ELNS1_11target_archE4294967295ELNS1_3gpuE0ELNS1_3repE0EEENS1_30default_config_static_selectorELNS0_4arch9wavefront6targetE1EEEvT1_
	.globl	_ZN7rocprim17ROCPRIM_400000_NS6detail17trampoline_kernelINS0_14default_configENS1_25transform_config_selectorIlLb0EEEZNS1_14transform_implILb0ES3_S5_PlN6thrust23THRUST_200600_302600_NS6detail15normal_iteratorINS9_10device_ptrIlEEEENS0_8identityIlEEEE10hipError_tT2_T3_mT4_P12ihipStream_tbEUlT_E_NS1_11comp_targetILNS1_3genE0ELNS1_11target_archE4294967295ELNS1_3gpuE0ELNS1_3repE0EEENS1_30default_config_static_selectorELNS0_4arch9wavefront6targetE1EEEvT1_
	.p2align	8
	.type	_ZN7rocprim17ROCPRIM_400000_NS6detail17trampoline_kernelINS0_14default_configENS1_25transform_config_selectorIlLb0EEEZNS1_14transform_implILb0ES3_S5_PlN6thrust23THRUST_200600_302600_NS6detail15normal_iteratorINS9_10device_ptrIlEEEENS0_8identityIlEEEE10hipError_tT2_T3_mT4_P12ihipStream_tbEUlT_E_NS1_11comp_targetILNS1_3genE0ELNS1_11target_archE4294967295ELNS1_3gpuE0ELNS1_3repE0EEENS1_30default_config_static_selectorELNS0_4arch9wavefront6targetE1EEEvT1_,@function
_ZN7rocprim17ROCPRIM_400000_NS6detail17trampoline_kernelINS0_14default_configENS1_25transform_config_selectorIlLb0EEEZNS1_14transform_implILb0ES3_S5_PlN6thrust23THRUST_200600_302600_NS6detail15normal_iteratorINS9_10device_ptrIlEEEENS0_8identityIlEEEE10hipError_tT2_T3_mT4_P12ihipStream_tbEUlT_E_NS1_11comp_targetILNS1_3genE0ELNS1_11target_archE4294967295ELNS1_3gpuE0ELNS1_3repE0EEENS1_30default_config_static_selectorELNS0_4arch9wavefront6targetE1EEEvT1_: ; @_ZN7rocprim17ROCPRIM_400000_NS6detail17trampoline_kernelINS0_14default_configENS1_25transform_config_selectorIlLb0EEEZNS1_14transform_implILb0ES3_S5_PlN6thrust23THRUST_200600_302600_NS6detail15normal_iteratorINS9_10device_ptrIlEEEENS0_8identityIlEEEE10hipError_tT2_T3_mT4_P12ihipStream_tbEUlT_E_NS1_11comp_targetILNS1_3genE0ELNS1_11target_archE4294967295ELNS1_3gpuE0ELNS1_3repE0EEENS1_30default_config_static_selectorELNS0_4arch9wavefront6targetE1EEEvT1_
; %bb.0:
	.section	.rodata,"a",@progbits
	.p2align	6, 0x0
	.amdhsa_kernel _ZN7rocprim17ROCPRIM_400000_NS6detail17trampoline_kernelINS0_14default_configENS1_25transform_config_selectorIlLb0EEEZNS1_14transform_implILb0ES3_S5_PlN6thrust23THRUST_200600_302600_NS6detail15normal_iteratorINS9_10device_ptrIlEEEENS0_8identityIlEEEE10hipError_tT2_T3_mT4_P12ihipStream_tbEUlT_E_NS1_11comp_targetILNS1_3genE0ELNS1_11target_archE4294967295ELNS1_3gpuE0ELNS1_3repE0EEENS1_30default_config_static_selectorELNS0_4arch9wavefront6targetE1EEEvT1_
		.amdhsa_group_segment_fixed_size 0
		.amdhsa_private_segment_fixed_size 0
		.amdhsa_kernarg_size 40
		.amdhsa_user_sgpr_count 6
		.amdhsa_user_sgpr_private_segment_buffer 1
		.amdhsa_user_sgpr_dispatch_ptr 0
		.amdhsa_user_sgpr_queue_ptr 0
		.amdhsa_user_sgpr_kernarg_segment_ptr 1
		.amdhsa_user_sgpr_dispatch_id 0
		.amdhsa_user_sgpr_flat_scratch_init 0
		.amdhsa_user_sgpr_kernarg_preload_length 0
		.amdhsa_user_sgpr_kernarg_preload_offset 0
		.amdhsa_user_sgpr_private_segment_size 0
		.amdhsa_uses_dynamic_stack 0
		.amdhsa_system_sgpr_private_segment_wavefront_offset 0
		.amdhsa_system_sgpr_workgroup_id_x 1
		.amdhsa_system_sgpr_workgroup_id_y 0
		.amdhsa_system_sgpr_workgroup_id_z 0
		.amdhsa_system_sgpr_workgroup_info 0
		.amdhsa_system_vgpr_workitem_id 0
		.amdhsa_next_free_vgpr 1
		.amdhsa_next_free_sgpr 0
		.amdhsa_accum_offset 4
		.amdhsa_reserve_vcc 0
		.amdhsa_reserve_flat_scratch 0
		.amdhsa_float_round_mode_32 0
		.amdhsa_float_round_mode_16_64 0
		.amdhsa_float_denorm_mode_32 3
		.amdhsa_float_denorm_mode_16_64 3
		.amdhsa_dx10_clamp 1
		.amdhsa_ieee_mode 1
		.amdhsa_fp16_overflow 0
		.amdhsa_tg_split 0
		.amdhsa_exception_fp_ieee_invalid_op 0
		.amdhsa_exception_fp_denorm_src 0
		.amdhsa_exception_fp_ieee_div_zero 0
		.amdhsa_exception_fp_ieee_overflow 0
		.amdhsa_exception_fp_ieee_underflow 0
		.amdhsa_exception_fp_ieee_inexact 0
		.amdhsa_exception_int_div_zero 0
	.end_amdhsa_kernel
	.section	.text._ZN7rocprim17ROCPRIM_400000_NS6detail17trampoline_kernelINS0_14default_configENS1_25transform_config_selectorIlLb0EEEZNS1_14transform_implILb0ES3_S5_PlN6thrust23THRUST_200600_302600_NS6detail15normal_iteratorINS9_10device_ptrIlEEEENS0_8identityIlEEEE10hipError_tT2_T3_mT4_P12ihipStream_tbEUlT_E_NS1_11comp_targetILNS1_3genE0ELNS1_11target_archE4294967295ELNS1_3gpuE0ELNS1_3repE0EEENS1_30default_config_static_selectorELNS0_4arch9wavefront6targetE1EEEvT1_,"axG",@progbits,_ZN7rocprim17ROCPRIM_400000_NS6detail17trampoline_kernelINS0_14default_configENS1_25transform_config_selectorIlLb0EEEZNS1_14transform_implILb0ES3_S5_PlN6thrust23THRUST_200600_302600_NS6detail15normal_iteratorINS9_10device_ptrIlEEEENS0_8identityIlEEEE10hipError_tT2_T3_mT4_P12ihipStream_tbEUlT_E_NS1_11comp_targetILNS1_3genE0ELNS1_11target_archE4294967295ELNS1_3gpuE0ELNS1_3repE0EEENS1_30default_config_static_selectorELNS0_4arch9wavefront6targetE1EEEvT1_,comdat
.Lfunc_end3286:
	.size	_ZN7rocprim17ROCPRIM_400000_NS6detail17trampoline_kernelINS0_14default_configENS1_25transform_config_selectorIlLb0EEEZNS1_14transform_implILb0ES3_S5_PlN6thrust23THRUST_200600_302600_NS6detail15normal_iteratorINS9_10device_ptrIlEEEENS0_8identityIlEEEE10hipError_tT2_T3_mT4_P12ihipStream_tbEUlT_E_NS1_11comp_targetILNS1_3genE0ELNS1_11target_archE4294967295ELNS1_3gpuE0ELNS1_3repE0EEENS1_30default_config_static_selectorELNS0_4arch9wavefront6targetE1EEEvT1_, .Lfunc_end3286-_ZN7rocprim17ROCPRIM_400000_NS6detail17trampoline_kernelINS0_14default_configENS1_25transform_config_selectorIlLb0EEEZNS1_14transform_implILb0ES3_S5_PlN6thrust23THRUST_200600_302600_NS6detail15normal_iteratorINS9_10device_ptrIlEEEENS0_8identityIlEEEE10hipError_tT2_T3_mT4_P12ihipStream_tbEUlT_E_NS1_11comp_targetILNS1_3genE0ELNS1_11target_archE4294967295ELNS1_3gpuE0ELNS1_3repE0EEENS1_30default_config_static_selectorELNS0_4arch9wavefront6targetE1EEEvT1_
                                        ; -- End function
	.section	.AMDGPU.csdata,"",@progbits
; Kernel info:
; codeLenInByte = 0
; NumSgprs: 4
; NumVgprs: 0
; NumAgprs: 0
; TotalNumVgprs: 0
; ScratchSize: 0
; MemoryBound: 0
; FloatMode: 240
; IeeeMode: 1
; LDSByteSize: 0 bytes/workgroup (compile time only)
; SGPRBlocks: 0
; VGPRBlocks: 0
; NumSGPRsForWavesPerEU: 4
; NumVGPRsForWavesPerEU: 1
; AccumOffset: 4
; Occupancy: 8
; WaveLimiterHint : 0
; COMPUTE_PGM_RSRC2:SCRATCH_EN: 0
; COMPUTE_PGM_RSRC2:USER_SGPR: 6
; COMPUTE_PGM_RSRC2:TRAP_HANDLER: 0
; COMPUTE_PGM_RSRC2:TGID_X_EN: 1
; COMPUTE_PGM_RSRC2:TGID_Y_EN: 0
; COMPUTE_PGM_RSRC2:TGID_Z_EN: 0
; COMPUTE_PGM_RSRC2:TIDIG_COMP_CNT: 0
; COMPUTE_PGM_RSRC3_GFX90A:ACCUM_OFFSET: 0
; COMPUTE_PGM_RSRC3_GFX90A:TG_SPLIT: 0
	.section	.text._ZN7rocprim17ROCPRIM_400000_NS6detail17trampoline_kernelINS0_14default_configENS1_25transform_config_selectorIlLb0EEEZNS1_14transform_implILb0ES3_S5_PlN6thrust23THRUST_200600_302600_NS6detail15normal_iteratorINS9_10device_ptrIlEEEENS0_8identityIlEEEE10hipError_tT2_T3_mT4_P12ihipStream_tbEUlT_E_NS1_11comp_targetILNS1_3genE5ELNS1_11target_archE942ELNS1_3gpuE9ELNS1_3repE0EEENS1_30default_config_static_selectorELNS0_4arch9wavefront6targetE1EEEvT1_,"axG",@progbits,_ZN7rocprim17ROCPRIM_400000_NS6detail17trampoline_kernelINS0_14default_configENS1_25transform_config_selectorIlLb0EEEZNS1_14transform_implILb0ES3_S5_PlN6thrust23THRUST_200600_302600_NS6detail15normal_iteratorINS9_10device_ptrIlEEEENS0_8identityIlEEEE10hipError_tT2_T3_mT4_P12ihipStream_tbEUlT_E_NS1_11comp_targetILNS1_3genE5ELNS1_11target_archE942ELNS1_3gpuE9ELNS1_3repE0EEENS1_30default_config_static_selectorELNS0_4arch9wavefront6targetE1EEEvT1_,comdat
	.protected	_ZN7rocprim17ROCPRIM_400000_NS6detail17trampoline_kernelINS0_14default_configENS1_25transform_config_selectorIlLb0EEEZNS1_14transform_implILb0ES3_S5_PlN6thrust23THRUST_200600_302600_NS6detail15normal_iteratorINS9_10device_ptrIlEEEENS0_8identityIlEEEE10hipError_tT2_T3_mT4_P12ihipStream_tbEUlT_E_NS1_11comp_targetILNS1_3genE5ELNS1_11target_archE942ELNS1_3gpuE9ELNS1_3repE0EEENS1_30default_config_static_selectorELNS0_4arch9wavefront6targetE1EEEvT1_ ; -- Begin function _ZN7rocprim17ROCPRIM_400000_NS6detail17trampoline_kernelINS0_14default_configENS1_25transform_config_selectorIlLb0EEEZNS1_14transform_implILb0ES3_S5_PlN6thrust23THRUST_200600_302600_NS6detail15normal_iteratorINS9_10device_ptrIlEEEENS0_8identityIlEEEE10hipError_tT2_T3_mT4_P12ihipStream_tbEUlT_E_NS1_11comp_targetILNS1_3genE5ELNS1_11target_archE942ELNS1_3gpuE9ELNS1_3repE0EEENS1_30default_config_static_selectorELNS0_4arch9wavefront6targetE1EEEvT1_
	.globl	_ZN7rocprim17ROCPRIM_400000_NS6detail17trampoline_kernelINS0_14default_configENS1_25transform_config_selectorIlLb0EEEZNS1_14transform_implILb0ES3_S5_PlN6thrust23THRUST_200600_302600_NS6detail15normal_iteratorINS9_10device_ptrIlEEEENS0_8identityIlEEEE10hipError_tT2_T3_mT4_P12ihipStream_tbEUlT_E_NS1_11comp_targetILNS1_3genE5ELNS1_11target_archE942ELNS1_3gpuE9ELNS1_3repE0EEENS1_30default_config_static_selectorELNS0_4arch9wavefront6targetE1EEEvT1_
	.p2align	8
	.type	_ZN7rocprim17ROCPRIM_400000_NS6detail17trampoline_kernelINS0_14default_configENS1_25transform_config_selectorIlLb0EEEZNS1_14transform_implILb0ES3_S5_PlN6thrust23THRUST_200600_302600_NS6detail15normal_iteratorINS9_10device_ptrIlEEEENS0_8identityIlEEEE10hipError_tT2_T3_mT4_P12ihipStream_tbEUlT_E_NS1_11comp_targetILNS1_3genE5ELNS1_11target_archE942ELNS1_3gpuE9ELNS1_3repE0EEENS1_30default_config_static_selectorELNS0_4arch9wavefront6targetE1EEEvT1_,@function
_ZN7rocprim17ROCPRIM_400000_NS6detail17trampoline_kernelINS0_14default_configENS1_25transform_config_selectorIlLb0EEEZNS1_14transform_implILb0ES3_S5_PlN6thrust23THRUST_200600_302600_NS6detail15normal_iteratorINS9_10device_ptrIlEEEENS0_8identityIlEEEE10hipError_tT2_T3_mT4_P12ihipStream_tbEUlT_E_NS1_11comp_targetILNS1_3genE5ELNS1_11target_archE942ELNS1_3gpuE9ELNS1_3repE0EEENS1_30default_config_static_selectorELNS0_4arch9wavefront6targetE1EEEvT1_: ; @_ZN7rocprim17ROCPRIM_400000_NS6detail17trampoline_kernelINS0_14default_configENS1_25transform_config_selectorIlLb0EEEZNS1_14transform_implILb0ES3_S5_PlN6thrust23THRUST_200600_302600_NS6detail15normal_iteratorINS9_10device_ptrIlEEEENS0_8identityIlEEEE10hipError_tT2_T3_mT4_P12ihipStream_tbEUlT_E_NS1_11comp_targetILNS1_3genE5ELNS1_11target_archE942ELNS1_3gpuE9ELNS1_3repE0EEENS1_30default_config_static_selectorELNS0_4arch9wavefront6targetE1EEEvT1_
; %bb.0:
	.section	.rodata,"a",@progbits
	.p2align	6, 0x0
	.amdhsa_kernel _ZN7rocprim17ROCPRIM_400000_NS6detail17trampoline_kernelINS0_14default_configENS1_25transform_config_selectorIlLb0EEEZNS1_14transform_implILb0ES3_S5_PlN6thrust23THRUST_200600_302600_NS6detail15normal_iteratorINS9_10device_ptrIlEEEENS0_8identityIlEEEE10hipError_tT2_T3_mT4_P12ihipStream_tbEUlT_E_NS1_11comp_targetILNS1_3genE5ELNS1_11target_archE942ELNS1_3gpuE9ELNS1_3repE0EEENS1_30default_config_static_selectorELNS0_4arch9wavefront6targetE1EEEvT1_
		.amdhsa_group_segment_fixed_size 0
		.amdhsa_private_segment_fixed_size 0
		.amdhsa_kernarg_size 40
		.amdhsa_user_sgpr_count 6
		.amdhsa_user_sgpr_private_segment_buffer 1
		.amdhsa_user_sgpr_dispatch_ptr 0
		.amdhsa_user_sgpr_queue_ptr 0
		.amdhsa_user_sgpr_kernarg_segment_ptr 1
		.amdhsa_user_sgpr_dispatch_id 0
		.amdhsa_user_sgpr_flat_scratch_init 0
		.amdhsa_user_sgpr_kernarg_preload_length 0
		.amdhsa_user_sgpr_kernarg_preload_offset 0
		.amdhsa_user_sgpr_private_segment_size 0
		.amdhsa_uses_dynamic_stack 0
		.amdhsa_system_sgpr_private_segment_wavefront_offset 0
		.amdhsa_system_sgpr_workgroup_id_x 1
		.amdhsa_system_sgpr_workgroup_id_y 0
		.amdhsa_system_sgpr_workgroup_id_z 0
		.amdhsa_system_sgpr_workgroup_info 0
		.amdhsa_system_vgpr_workitem_id 0
		.amdhsa_next_free_vgpr 1
		.amdhsa_next_free_sgpr 0
		.amdhsa_accum_offset 4
		.amdhsa_reserve_vcc 0
		.amdhsa_reserve_flat_scratch 0
		.amdhsa_float_round_mode_32 0
		.amdhsa_float_round_mode_16_64 0
		.amdhsa_float_denorm_mode_32 3
		.amdhsa_float_denorm_mode_16_64 3
		.amdhsa_dx10_clamp 1
		.amdhsa_ieee_mode 1
		.amdhsa_fp16_overflow 0
		.amdhsa_tg_split 0
		.amdhsa_exception_fp_ieee_invalid_op 0
		.amdhsa_exception_fp_denorm_src 0
		.amdhsa_exception_fp_ieee_div_zero 0
		.amdhsa_exception_fp_ieee_overflow 0
		.amdhsa_exception_fp_ieee_underflow 0
		.amdhsa_exception_fp_ieee_inexact 0
		.amdhsa_exception_int_div_zero 0
	.end_amdhsa_kernel
	.section	.text._ZN7rocprim17ROCPRIM_400000_NS6detail17trampoline_kernelINS0_14default_configENS1_25transform_config_selectorIlLb0EEEZNS1_14transform_implILb0ES3_S5_PlN6thrust23THRUST_200600_302600_NS6detail15normal_iteratorINS9_10device_ptrIlEEEENS0_8identityIlEEEE10hipError_tT2_T3_mT4_P12ihipStream_tbEUlT_E_NS1_11comp_targetILNS1_3genE5ELNS1_11target_archE942ELNS1_3gpuE9ELNS1_3repE0EEENS1_30default_config_static_selectorELNS0_4arch9wavefront6targetE1EEEvT1_,"axG",@progbits,_ZN7rocprim17ROCPRIM_400000_NS6detail17trampoline_kernelINS0_14default_configENS1_25transform_config_selectorIlLb0EEEZNS1_14transform_implILb0ES3_S5_PlN6thrust23THRUST_200600_302600_NS6detail15normal_iteratorINS9_10device_ptrIlEEEENS0_8identityIlEEEE10hipError_tT2_T3_mT4_P12ihipStream_tbEUlT_E_NS1_11comp_targetILNS1_3genE5ELNS1_11target_archE942ELNS1_3gpuE9ELNS1_3repE0EEENS1_30default_config_static_selectorELNS0_4arch9wavefront6targetE1EEEvT1_,comdat
.Lfunc_end3287:
	.size	_ZN7rocprim17ROCPRIM_400000_NS6detail17trampoline_kernelINS0_14default_configENS1_25transform_config_selectorIlLb0EEEZNS1_14transform_implILb0ES3_S5_PlN6thrust23THRUST_200600_302600_NS6detail15normal_iteratorINS9_10device_ptrIlEEEENS0_8identityIlEEEE10hipError_tT2_T3_mT4_P12ihipStream_tbEUlT_E_NS1_11comp_targetILNS1_3genE5ELNS1_11target_archE942ELNS1_3gpuE9ELNS1_3repE0EEENS1_30default_config_static_selectorELNS0_4arch9wavefront6targetE1EEEvT1_, .Lfunc_end3287-_ZN7rocprim17ROCPRIM_400000_NS6detail17trampoline_kernelINS0_14default_configENS1_25transform_config_selectorIlLb0EEEZNS1_14transform_implILb0ES3_S5_PlN6thrust23THRUST_200600_302600_NS6detail15normal_iteratorINS9_10device_ptrIlEEEENS0_8identityIlEEEE10hipError_tT2_T3_mT4_P12ihipStream_tbEUlT_E_NS1_11comp_targetILNS1_3genE5ELNS1_11target_archE942ELNS1_3gpuE9ELNS1_3repE0EEENS1_30default_config_static_selectorELNS0_4arch9wavefront6targetE1EEEvT1_
                                        ; -- End function
	.section	.AMDGPU.csdata,"",@progbits
; Kernel info:
; codeLenInByte = 0
; NumSgprs: 4
; NumVgprs: 0
; NumAgprs: 0
; TotalNumVgprs: 0
; ScratchSize: 0
; MemoryBound: 0
; FloatMode: 240
; IeeeMode: 1
; LDSByteSize: 0 bytes/workgroup (compile time only)
; SGPRBlocks: 0
; VGPRBlocks: 0
; NumSGPRsForWavesPerEU: 4
; NumVGPRsForWavesPerEU: 1
; AccumOffset: 4
; Occupancy: 8
; WaveLimiterHint : 0
; COMPUTE_PGM_RSRC2:SCRATCH_EN: 0
; COMPUTE_PGM_RSRC2:USER_SGPR: 6
; COMPUTE_PGM_RSRC2:TRAP_HANDLER: 0
; COMPUTE_PGM_RSRC2:TGID_X_EN: 1
; COMPUTE_PGM_RSRC2:TGID_Y_EN: 0
; COMPUTE_PGM_RSRC2:TGID_Z_EN: 0
; COMPUTE_PGM_RSRC2:TIDIG_COMP_CNT: 0
; COMPUTE_PGM_RSRC3_GFX90A:ACCUM_OFFSET: 0
; COMPUTE_PGM_RSRC3_GFX90A:TG_SPLIT: 0
	.section	.text._ZN7rocprim17ROCPRIM_400000_NS6detail17trampoline_kernelINS0_14default_configENS1_25transform_config_selectorIlLb0EEEZNS1_14transform_implILb0ES3_S5_PlN6thrust23THRUST_200600_302600_NS6detail15normal_iteratorINS9_10device_ptrIlEEEENS0_8identityIlEEEE10hipError_tT2_T3_mT4_P12ihipStream_tbEUlT_E_NS1_11comp_targetILNS1_3genE4ELNS1_11target_archE910ELNS1_3gpuE8ELNS1_3repE0EEENS1_30default_config_static_selectorELNS0_4arch9wavefront6targetE1EEEvT1_,"axG",@progbits,_ZN7rocprim17ROCPRIM_400000_NS6detail17trampoline_kernelINS0_14default_configENS1_25transform_config_selectorIlLb0EEEZNS1_14transform_implILb0ES3_S5_PlN6thrust23THRUST_200600_302600_NS6detail15normal_iteratorINS9_10device_ptrIlEEEENS0_8identityIlEEEE10hipError_tT2_T3_mT4_P12ihipStream_tbEUlT_E_NS1_11comp_targetILNS1_3genE4ELNS1_11target_archE910ELNS1_3gpuE8ELNS1_3repE0EEENS1_30default_config_static_selectorELNS0_4arch9wavefront6targetE1EEEvT1_,comdat
	.protected	_ZN7rocprim17ROCPRIM_400000_NS6detail17trampoline_kernelINS0_14default_configENS1_25transform_config_selectorIlLb0EEEZNS1_14transform_implILb0ES3_S5_PlN6thrust23THRUST_200600_302600_NS6detail15normal_iteratorINS9_10device_ptrIlEEEENS0_8identityIlEEEE10hipError_tT2_T3_mT4_P12ihipStream_tbEUlT_E_NS1_11comp_targetILNS1_3genE4ELNS1_11target_archE910ELNS1_3gpuE8ELNS1_3repE0EEENS1_30default_config_static_selectorELNS0_4arch9wavefront6targetE1EEEvT1_ ; -- Begin function _ZN7rocprim17ROCPRIM_400000_NS6detail17trampoline_kernelINS0_14default_configENS1_25transform_config_selectorIlLb0EEEZNS1_14transform_implILb0ES3_S5_PlN6thrust23THRUST_200600_302600_NS6detail15normal_iteratorINS9_10device_ptrIlEEEENS0_8identityIlEEEE10hipError_tT2_T3_mT4_P12ihipStream_tbEUlT_E_NS1_11comp_targetILNS1_3genE4ELNS1_11target_archE910ELNS1_3gpuE8ELNS1_3repE0EEENS1_30default_config_static_selectorELNS0_4arch9wavefront6targetE1EEEvT1_
	.globl	_ZN7rocprim17ROCPRIM_400000_NS6detail17trampoline_kernelINS0_14default_configENS1_25transform_config_selectorIlLb0EEEZNS1_14transform_implILb0ES3_S5_PlN6thrust23THRUST_200600_302600_NS6detail15normal_iteratorINS9_10device_ptrIlEEEENS0_8identityIlEEEE10hipError_tT2_T3_mT4_P12ihipStream_tbEUlT_E_NS1_11comp_targetILNS1_3genE4ELNS1_11target_archE910ELNS1_3gpuE8ELNS1_3repE0EEENS1_30default_config_static_selectorELNS0_4arch9wavefront6targetE1EEEvT1_
	.p2align	8
	.type	_ZN7rocprim17ROCPRIM_400000_NS6detail17trampoline_kernelINS0_14default_configENS1_25transform_config_selectorIlLb0EEEZNS1_14transform_implILb0ES3_S5_PlN6thrust23THRUST_200600_302600_NS6detail15normal_iteratorINS9_10device_ptrIlEEEENS0_8identityIlEEEE10hipError_tT2_T3_mT4_P12ihipStream_tbEUlT_E_NS1_11comp_targetILNS1_3genE4ELNS1_11target_archE910ELNS1_3gpuE8ELNS1_3repE0EEENS1_30default_config_static_selectorELNS0_4arch9wavefront6targetE1EEEvT1_,@function
_ZN7rocprim17ROCPRIM_400000_NS6detail17trampoline_kernelINS0_14default_configENS1_25transform_config_selectorIlLb0EEEZNS1_14transform_implILb0ES3_S5_PlN6thrust23THRUST_200600_302600_NS6detail15normal_iteratorINS9_10device_ptrIlEEEENS0_8identityIlEEEE10hipError_tT2_T3_mT4_P12ihipStream_tbEUlT_E_NS1_11comp_targetILNS1_3genE4ELNS1_11target_archE910ELNS1_3gpuE8ELNS1_3repE0EEENS1_30default_config_static_selectorELNS0_4arch9wavefront6targetE1EEEvT1_: ; @_ZN7rocprim17ROCPRIM_400000_NS6detail17trampoline_kernelINS0_14default_configENS1_25transform_config_selectorIlLb0EEEZNS1_14transform_implILb0ES3_S5_PlN6thrust23THRUST_200600_302600_NS6detail15normal_iteratorINS9_10device_ptrIlEEEENS0_8identityIlEEEE10hipError_tT2_T3_mT4_P12ihipStream_tbEUlT_E_NS1_11comp_targetILNS1_3genE4ELNS1_11target_archE910ELNS1_3gpuE8ELNS1_3repE0EEENS1_30default_config_static_selectorELNS0_4arch9wavefront6targetE1EEEvT1_
; %bb.0:
	s_load_dwordx8 s[8:15], s[4:5], 0x0
	s_load_dword s2, s[4:5], 0x28
	v_lshlrev_b32_e32 v8, 3, v0
	s_waitcnt lgkmcnt(0)
	s_lshl_b64 s[0:1], s[10:11], 3
	s_add_u32 s3, s8, s0
	s_addc_u32 s4, s9, s1
	s_add_u32 s7, s14, s0
	s_addc_u32 s13, s15, s1
	s_lshl_b32 s0, s6, 9
	s_mov_b32 s1, 0
	s_add_i32 s2, s2, -1
	s_lshl_b64 s[8:9], s[0:1], 3
	s_add_u32 s10, s3, s8
	s_addc_u32 s11, s4, s9
	s_cmp_lg_u32 s6, s2
	s_cbranch_scc0 .LBB3288_2
; %bb.1:
	global_load_dwordx2 v[2:3], v8, s[10:11]
	global_load_dwordx2 v[4:5], v8, s[10:11] offset:2048
	s_add_u32 s1, s7, s8
	s_addc_u32 s4, s13, s9
	v_mov_b32_e32 v1, s4
	v_add_co_u32_e32 v6, vcc, s1, v8
	v_addc_co_u32_e32 v7, vcc, 0, v1, vcc
	s_mov_b64 s[4:5], -1
	s_waitcnt vmcnt(1)
	flat_store_dwordx2 v[6:7], v[2:3]
	s_cbranch_execz .LBB3288_3
	s_branch .LBB3288_14
.LBB3288_2:
	s_mov_b64 s[4:5], 0
                                        ; implicit-def: $vgpr4_vgpr5
                                        ; implicit-def: $vgpr6_vgpr7
.LBB3288_3:
	s_sub_i32 s2, s12, s0
	v_cmp_gt_u32_e32 vcc, s2, v0
                                        ; implicit-def: $vgpr2_vgpr3_vgpr4_vgpr5
	s_and_saveexec_b64 s[0:1], vcc
	s_cbranch_execz .LBB3288_5
; %bb.4:
	global_load_dwordx2 v[2:3], v8, s[10:11]
.LBB3288_5:
	s_or_b64 exec, exec, s[0:1]
	v_or_b32_e32 v1, 0x100, v0
	v_cmp_gt_u32_e64 s[0:1], s2, v1
	v_cmp_le_u32_e64 s[2:3], s2, v1
	s_and_saveexec_b64 s[14:15], s[2:3]
	s_xor_b64 s[2:3], exec, s[14:15]
; %bb.6:
	v_mov_b32_e32 v1, 0
                                        ; implicit-def: $vgpr8
; %bb.7:
	s_andn2_saveexec_b64 s[2:3], s[2:3]
	s_cbranch_execz .LBB3288_9
; %bb.8:
	global_load_dwordx2 v[4:5], v8, s[10:11] offset:2048
	v_mov_b32_e32 v1, 0
.LBB3288_9:
	s_or_b64 exec, exec, s[2:3]
	s_add_u32 s2, s7, s8
	s_addc_u32 s3, s13, s9
	v_lshlrev_b64 v[0:1], 3, v[0:1]
	v_mov_b32_e32 v7, s3
	v_add_co_u32_e64 v6, s[2:3], s2, v0
	v_addc_co_u32_e64 v7, s[2:3], v7, v1, s[2:3]
	s_and_saveexec_b64 s[2:3], vcc
	s_cbranch_execz .LBB3288_11
; %bb.10:
	s_waitcnt vmcnt(0)
	flat_store_dwordx2 v[6:7], v[2:3]
.LBB3288_11:
	s_or_b64 exec, exec, s[2:3]
	s_and_saveexec_b64 s[2:3], s[0:1]
; %bb.12:
	s_or_b64 s[4:5], s[4:5], exec
; %bb.13:
	s_or_b64 exec, exec, s[2:3]
.LBB3288_14:
	s_and_saveexec_b64 s[0:1], s[4:5]
	s_cbranch_execnz .LBB3288_16
; %bb.15:
	s_endpgm
.LBB3288_16:
	s_waitcnt vmcnt(0)
	flat_store_dwordx2 v[6:7], v[4:5] offset:2048
	s_endpgm
	.section	.rodata,"a",@progbits
	.p2align	6, 0x0
	.amdhsa_kernel _ZN7rocprim17ROCPRIM_400000_NS6detail17trampoline_kernelINS0_14default_configENS1_25transform_config_selectorIlLb0EEEZNS1_14transform_implILb0ES3_S5_PlN6thrust23THRUST_200600_302600_NS6detail15normal_iteratorINS9_10device_ptrIlEEEENS0_8identityIlEEEE10hipError_tT2_T3_mT4_P12ihipStream_tbEUlT_E_NS1_11comp_targetILNS1_3genE4ELNS1_11target_archE910ELNS1_3gpuE8ELNS1_3repE0EEENS1_30default_config_static_selectorELNS0_4arch9wavefront6targetE1EEEvT1_
		.amdhsa_group_segment_fixed_size 0
		.amdhsa_private_segment_fixed_size 0
		.amdhsa_kernarg_size 296
		.amdhsa_user_sgpr_count 6
		.amdhsa_user_sgpr_private_segment_buffer 1
		.amdhsa_user_sgpr_dispatch_ptr 0
		.amdhsa_user_sgpr_queue_ptr 0
		.amdhsa_user_sgpr_kernarg_segment_ptr 1
		.amdhsa_user_sgpr_dispatch_id 0
		.amdhsa_user_sgpr_flat_scratch_init 0
		.amdhsa_user_sgpr_kernarg_preload_length 0
		.amdhsa_user_sgpr_kernarg_preload_offset 0
		.amdhsa_user_sgpr_private_segment_size 0
		.amdhsa_uses_dynamic_stack 0
		.amdhsa_system_sgpr_private_segment_wavefront_offset 0
		.amdhsa_system_sgpr_workgroup_id_x 1
		.amdhsa_system_sgpr_workgroup_id_y 0
		.amdhsa_system_sgpr_workgroup_id_z 0
		.amdhsa_system_sgpr_workgroup_info 0
		.amdhsa_system_vgpr_workitem_id 0
		.amdhsa_next_free_vgpr 9
		.amdhsa_next_free_sgpr 16
		.amdhsa_accum_offset 12
		.amdhsa_reserve_vcc 1
		.amdhsa_reserve_flat_scratch 0
		.amdhsa_float_round_mode_32 0
		.amdhsa_float_round_mode_16_64 0
		.amdhsa_float_denorm_mode_32 3
		.amdhsa_float_denorm_mode_16_64 3
		.amdhsa_dx10_clamp 1
		.amdhsa_ieee_mode 1
		.amdhsa_fp16_overflow 0
		.amdhsa_tg_split 0
		.amdhsa_exception_fp_ieee_invalid_op 0
		.amdhsa_exception_fp_denorm_src 0
		.amdhsa_exception_fp_ieee_div_zero 0
		.amdhsa_exception_fp_ieee_overflow 0
		.amdhsa_exception_fp_ieee_underflow 0
		.amdhsa_exception_fp_ieee_inexact 0
		.amdhsa_exception_int_div_zero 0
	.end_amdhsa_kernel
	.section	.text._ZN7rocprim17ROCPRIM_400000_NS6detail17trampoline_kernelINS0_14default_configENS1_25transform_config_selectorIlLb0EEEZNS1_14transform_implILb0ES3_S5_PlN6thrust23THRUST_200600_302600_NS6detail15normal_iteratorINS9_10device_ptrIlEEEENS0_8identityIlEEEE10hipError_tT2_T3_mT4_P12ihipStream_tbEUlT_E_NS1_11comp_targetILNS1_3genE4ELNS1_11target_archE910ELNS1_3gpuE8ELNS1_3repE0EEENS1_30default_config_static_selectorELNS0_4arch9wavefront6targetE1EEEvT1_,"axG",@progbits,_ZN7rocprim17ROCPRIM_400000_NS6detail17trampoline_kernelINS0_14default_configENS1_25transform_config_selectorIlLb0EEEZNS1_14transform_implILb0ES3_S5_PlN6thrust23THRUST_200600_302600_NS6detail15normal_iteratorINS9_10device_ptrIlEEEENS0_8identityIlEEEE10hipError_tT2_T3_mT4_P12ihipStream_tbEUlT_E_NS1_11comp_targetILNS1_3genE4ELNS1_11target_archE910ELNS1_3gpuE8ELNS1_3repE0EEENS1_30default_config_static_selectorELNS0_4arch9wavefront6targetE1EEEvT1_,comdat
.Lfunc_end3288:
	.size	_ZN7rocprim17ROCPRIM_400000_NS6detail17trampoline_kernelINS0_14default_configENS1_25transform_config_selectorIlLb0EEEZNS1_14transform_implILb0ES3_S5_PlN6thrust23THRUST_200600_302600_NS6detail15normal_iteratorINS9_10device_ptrIlEEEENS0_8identityIlEEEE10hipError_tT2_T3_mT4_P12ihipStream_tbEUlT_E_NS1_11comp_targetILNS1_3genE4ELNS1_11target_archE910ELNS1_3gpuE8ELNS1_3repE0EEENS1_30default_config_static_selectorELNS0_4arch9wavefront6targetE1EEEvT1_, .Lfunc_end3288-_ZN7rocprim17ROCPRIM_400000_NS6detail17trampoline_kernelINS0_14default_configENS1_25transform_config_selectorIlLb0EEEZNS1_14transform_implILb0ES3_S5_PlN6thrust23THRUST_200600_302600_NS6detail15normal_iteratorINS9_10device_ptrIlEEEENS0_8identityIlEEEE10hipError_tT2_T3_mT4_P12ihipStream_tbEUlT_E_NS1_11comp_targetILNS1_3genE4ELNS1_11target_archE910ELNS1_3gpuE8ELNS1_3repE0EEENS1_30default_config_static_selectorELNS0_4arch9wavefront6targetE1EEEvT1_
                                        ; -- End function
	.section	.AMDGPU.csdata,"",@progbits
; Kernel info:
; codeLenInByte = 328
; NumSgprs: 20
; NumVgprs: 9
; NumAgprs: 0
; TotalNumVgprs: 9
; ScratchSize: 0
; MemoryBound: 0
; FloatMode: 240
; IeeeMode: 1
; LDSByteSize: 0 bytes/workgroup (compile time only)
; SGPRBlocks: 2
; VGPRBlocks: 1
; NumSGPRsForWavesPerEU: 20
; NumVGPRsForWavesPerEU: 9
; AccumOffset: 12
; Occupancy: 8
; WaveLimiterHint : 1
; COMPUTE_PGM_RSRC2:SCRATCH_EN: 0
; COMPUTE_PGM_RSRC2:USER_SGPR: 6
; COMPUTE_PGM_RSRC2:TRAP_HANDLER: 0
; COMPUTE_PGM_RSRC2:TGID_X_EN: 1
; COMPUTE_PGM_RSRC2:TGID_Y_EN: 0
; COMPUTE_PGM_RSRC2:TGID_Z_EN: 0
; COMPUTE_PGM_RSRC2:TIDIG_COMP_CNT: 0
; COMPUTE_PGM_RSRC3_GFX90A:ACCUM_OFFSET: 2
; COMPUTE_PGM_RSRC3_GFX90A:TG_SPLIT: 0
	.section	.text._ZN7rocprim17ROCPRIM_400000_NS6detail17trampoline_kernelINS0_14default_configENS1_25transform_config_selectorIlLb0EEEZNS1_14transform_implILb0ES3_S5_PlN6thrust23THRUST_200600_302600_NS6detail15normal_iteratorINS9_10device_ptrIlEEEENS0_8identityIlEEEE10hipError_tT2_T3_mT4_P12ihipStream_tbEUlT_E_NS1_11comp_targetILNS1_3genE3ELNS1_11target_archE908ELNS1_3gpuE7ELNS1_3repE0EEENS1_30default_config_static_selectorELNS0_4arch9wavefront6targetE1EEEvT1_,"axG",@progbits,_ZN7rocprim17ROCPRIM_400000_NS6detail17trampoline_kernelINS0_14default_configENS1_25transform_config_selectorIlLb0EEEZNS1_14transform_implILb0ES3_S5_PlN6thrust23THRUST_200600_302600_NS6detail15normal_iteratorINS9_10device_ptrIlEEEENS0_8identityIlEEEE10hipError_tT2_T3_mT4_P12ihipStream_tbEUlT_E_NS1_11comp_targetILNS1_3genE3ELNS1_11target_archE908ELNS1_3gpuE7ELNS1_3repE0EEENS1_30default_config_static_selectorELNS0_4arch9wavefront6targetE1EEEvT1_,comdat
	.protected	_ZN7rocprim17ROCPRIM_400000_NS6detail17trampoline_kernelINS0_14default_configENS1_25transform_config_selectorIlLb0EEEZNS1_14transform_implILb0ES3_S5_PlN6thrust23THRUST_200600_302600_NS6detail15normal_iteratorINS9_10device_ptrIlEEEENS0_8identityIlEEEE10hipError_tT2_T3_mT4_P12ihipStream_tbEUlT_E_NS1_11comp_targetILNS1_3genE3ELNS1_11target_archE908ELNS1_3gpuE7ELNS1_3repE0EEENS1_30default_config_static_selectorELNS0_4arch9wavefront6targetE1EEEvT1_ ; -- Begin function _ZN7rocprim17ROCPRIM_400000_NS6detail17trampoline_kernelINS0_14default_configENS1_25transform_config_selectorIlLb0EEEZNS1_14transform_implILb0ES3_S5_PlN6thrust23THRUST_200600_302600_NS6detail15normal_iteratorINS9_10device_ptrIlEEEENS0_8identityIlEEEE10hipError_tT2_T3_mT4_P12ihipStream_tbEUlT_E_NS1_11comp_targetILNS1_3genE3ELNS1_11target_archE908ELNS1_3gpuE7ELNS1_3repE0EEENS1_30default_config_static_selectorELNS0_4arch9wavefront6targetE1EEEvT1_
	.globl	_ZN7rocprim17ROCPRIM_400000_NS6detail17trampoline_kernelINS0_14default_configENS1_25transform_config_selectorIlLb0EEEZNS1_14transform_implILb0ES3_S5_PlN6thrust23THRUST_200600_302600_NS6detail15normal_iteratorINS9_10device_ptrIlEEEENS0_8identityIlEEEE10hipError_tT2_T3_mT4_P12ihipStream_tbEUlT_E_NS1_11comp_targetILNS1_3genE3ELNS1_11target_archE908ELNS1_3gpuE7ELNS1_3repE0EEENS1_30default_config_static_selectorELNS0_4arch9wavefront6targetE1EEEvT1_
	.p2align	8
	.type	_ZN7rocprim17ROCPRIM_400000_NS6detail17trampoline_kernelINS0_14default_configENS1_25transform_config_selectorIlLb0EEEZNS1_14transform_implILb0ES3_S5_PlN6thrust23THRUST_200600_302600_NS6detail15normal_iteratorINS9_10device_ptrIlEEEENS0_8identityIlEEEE10hipError_tT2_T3_mT4_P12ihipStream_tbEUlT_E_NS1_11comp_targetILNS1_3genE3ELNS1_11target_archE908ELNS1_3gpuE7ELNS1_3repE0EEENS1_30default_config_static_selectorELNS0_4arch9wavefront6targetE1EEEvT1_,@function
_ZN7rocprim17ROCPRIM_400000_NS6detail17trampoline_kernelINS0_14default_configENS1_25transform_config_selectorIlLb0EEEZNS1_14transform_implILb0ES3_S5_PlN6thrust23THRUST_200600_302600_NS6detail15normal_iteratorINS9_10device_ptrIlEEEENS0_8identityIlEEEE10hipError_tT2_T3_mT4_P12ihipStream_tbEUlT_E_NS1_11comp_targetILNS1_3genE3ELNS1_11target_archE908ELNS1_3gpuE7ELNS1_3repE0EEENS1_30default_config_static_selectorELNS0_4arch9wavefront6targetE1EEEvT1_: ; @_ZN7rocprim17ROCPRIM_400000_NS6detail17trampoline_kernelINS0_14default_configENS1_25transform_config_selectorIlLb0EEEZNS1_14transform_implILb0ES3_S5_PlN6thrust23THRUST_200600_302600_NS6detail15normal_iteratorINS9_10device_ptrIlEEEENS0_8identityIlEEEE10hipError_tT2_T3_mT4_P12ihipStream_tbEUlT_E_NS1_11comp_targetILNS1_3genE3ELNS1_11target_archE908ELNS1_3gpuE7ELNS1_3repE0EEENS1_30default_config_static_selectorELNS0_4arch9wavefront6targetE1EEEvT1_
; %bb.0:
	.section	.rodata,"a",@progbits
	.p2align	6, 0x0
	.amdhsa_kernel _ZN7rocprim17ROCPRIM_400000_NS6detail17trampoline_kernelINS0_14default_configENS1_25transform_config_selectorIlLb0EEEZNS1_14transform_implILb0ES3_S5_PlN6thrust23THRUST_200600_302600_NS6detail15normal_iteratorINS9_10device_ptrIlEEEENS0_8identityIlEEEE10hipError_tT2_T3_mT4_P12ihipStream_tbEUlT_E_NS1_11comp_targetILNS1_3genE3ELNS1_11target_archE908ELNS1_3gpuE7ELNS1_3repE0EEENS1_30default_config_static_selectorELNS0_4arch9wavefront6targetE1EEEvT1_
		.amdhsa_group_segment_fixed_size 0
		.amdhsa_private_segment_fixed_size 0
		.amdhsa_kernarg_size 40
		.amdhsa_user_sgpr_count 6
		.amdhsa_user_sgpr_private_segment_buffer 1
		.amdhsa_user_sgpr_dispatch_ptr 0
		.amdhsa_user_sgpr_queue_ptr 0
		.amdhsa_user_sgpr_kernarg_segment_ptr 1
		.amdhsa_user_sgpr_dispatch_id 0
		.amdhsa_user_sgpr_flat_scratch_init 0
		.amdhsa_user_sgpr_kernarg_preload_length 0
		.amdhsa_user_sgpr_kernarg_preload_offset 0
		.amdhsa_user_sgpr_private_segment_size 0
		.amdhsa_uses_dynamic_stack 0
		.amdhsa_system_sgpr_private_segment_wavefront_offset 0
		.amdhsa_system_sgpr_workgroup_id_x 1
		.amdhsa_system_sgpr_workgroup_id_y 0
		.amdhsa_system_sgpr_workgroup_id_z 0
		.amdhsa_system_sgpr_workgroup_info 0
		.amdhsa_system_vgpr_workitem_id 0
		.amdhsa_next_free_vgpr 1
		.amdhsa_next_free_sgpr 0
		.amdhsa_accum_offset 4
		.amdhsa_reserve_vcc 0
		.amdhsa_reserve_flat_scratch 0
		.amdhsa_float_round_mode_32 0
		.amdhsa_float_round_mode_16_64 0
		.amdhsa_float_denorm_mode_32 3
		.amdhsa_float_denorm_mode_16_64 3
		.amdhsa_dx10_clamp 1
		.amdhsa_ieee_mode 1
		.amdhsa_fp16_overflow 0
		.amdhsa_tg_split 0
		.amdhsa_exception_fp_ieee_invalid_op 0
		.amdhsa_exception_fp_denorm_src 0
		.amdhsa_exception_fp_ieee_div_zero 0
		.amdhsa_exception_fp_ieee_overflow 0
		.amdhsa_exception_fp_ieee_underflow 0
		.amdhsa_exception_fp_ieee_inexact 0
		.amdhsa_exception_int_div_zero 0
	.end_amdhsa_kernel
	.section	.text._ZN7rocprim17ROCPRIM_400000_NS6detail17trampoline_kernelINS0_14default_configENS1_25transform_config_selectorIlLb0EEEZNS1_14transform_implILb0ES3_S5_PlN6thrust23THRUST_200600_302600_NS6detail15normal_iteratorINS9_10device_ptrIlEEEENS0_8identityIlEEEE10hipError_tT2_T3_mT4_P12ihipStream_tbEUlT_E_NS1_11comp_targetILNS1_3genE3ELNS1_11target_archE908ELNS1_3gpuE7ELNS1_3repE0EEENS1_30default_config_static_selectorELNS0_4arch9wavefront6targetE1EEEvT1_,"axG",@progbits,_ZN7rocprim17ROCPRIM_400000_NS6detail17trampoline_kernelINS0_14default_configENS1_25transform_config_selectorIlLb0EEEZNS1_14transform_implILb0ES3_S5_PlN6thrust23THRUST_200600_302600_NS6detail15normal_iteratorINS9_10device_ptrIlEEEENS0_8identityIlEEEE10hipError_tT2_T3_mT4_P12ihipStream_tbEUlT_E_NS1_11comp_targetILNS1_3genE3ELNS1_11target_archE908ELNS1_3gpuE7ELNS1_3repE0EEENS1_30default_config_static_selectorELNS0_4arch9wavefront6targetE1EEEvT1_,comdat
.Lfunc_end3289:
	.size	_ZN7rocprim17ROCPRIM_400000_NS6detail17trampoline_kernelINS0_14default_configENS1_25transform_config_selectorIlLb0EEEZNS1_14transform_implILb0ES3_S5_PlN6thrust23THRUST_200600_302600_NS6detail15normal_iteratorINS9_10device_ptrIlEEEENS0_8identityIlEEEE10hipError_tT2_T3_mT4_P12ihipStream_tbEUlT_E_NS1_11comp_targetILNS1_3genE3ELNS1_11target_archE908ELNS1_3gpuE7ELNS1_3repE0EEENS1_30default_config_static_selectorELNS0_4arch9wavefront6targetE1EEEvT1_, .Lfunc_end3289-_ZN7rocprim17ROCPRIM_400000_NS6detail17trampoline_kernelINS0_14default_configENS1_25transform_config_selectorIlLb0EEEZNS1_14transform_implILb0ES3_S5_PlN6thrust23THRUST_200600_302600_NS6detail15normal_iteratorINS9_10device_ptrIlEEEENS0_8identityIlEEEE10hipError_tT2_T3_mT4_P12ihipStream_tbEUlT_E_NS1_11comp_targetILNS1_3genE3ELNS1_11target_archE908ELNS1_3gpuE7ELNS1_3repE0EEENS1_30default_config_static_selectorELNS0_4arch9wavefront6targetE1EEEvT1_
                                        ; -- End function
	.section	.AMDGPU.csdata,"",@progbits
; Kernel info:
; codeLenInByte = 0
; NumSgprs: 4
; NumVgprs: 0
; NumAgprs: 0
; TotalNumVgprs: 0
; ScratchSize: 0
; MemoryBound: 0
; FloatMode: 240
; IeeeMode: 1
; LDSByteSize: 0 bytes/workgroup (compile time only)
; SGPRBlocks: 0
; VGPRBlocks: 0
; NumSGPRsForWavesPerEU: 4
; NumVGPRsForWavesPerEU: 1
; AccumOffset: 4
; Occupancy: 8
; WaveLimiterHint : 0
; COMPUTE_PGM_RSRC2:SCRATCH_EN: 0
; COMPUTE_PGM_RSRC2:USER_SGPR: 6
; COMPUTE_PGM_RSRC2:TRAP_HANDLER: 0
; COMPUTE_PGM_RSRC2:TGID_X_EN: 1
; COMPUTE_PGM_RSRC2:TGID_Y_EN: 0
; COMPUTE_PGM_RSRC2:TGID_Z_EN: 0
; COMPUTE_PGM_RSRC2:TIDIG_COMP_CNT: 0
; COMPUTE_PGM_RSRC3_GFX90A:ACCUM_OFFSET: 0
; COMPUTE_PGM_RSRC3_GFX90A:TG_SPLIT: 0
	.section	.text._ZN7rocprim17ROCPRIM_400000_NS6detail17trampoline_kernelINS0_14default_configENS1_25transform_config_selectorIlLb0EEEZNS1_14transform_implILb0ES3_S5_PlN6thrust23THRUST_200600_302600_NS6detail15normal_iteratorINS9_10device_ptrIlEEEENS0_8identityIlEEEE10hipError_tT2_T3_mT4_P12ihipStream_tbEUlT_E_NS1_11comp_targetILNS1_3genE2ELNS1_11target_archE906ELNS1_3gpuE6ELNS1_3repE0EEENS1_30default_config_static_selectorELNS0_4arch9wavefront6targetE1EEEvT1_,"axG",@progbits,_ZN7rocprim17ROCPRIM_400000_NS6detail17trampoline_kernelINS0_14default_configENS1_25transform_config_selectorIlLb0EEEZNS1_14transform_implILb0ES3_S5_PlN6thrust23THRUST_200600_302600_NS6detail15normal_iteratorINS9_10device_ptrIlEEEENS0_8identityIlEEEE10hipError_tT2_T3_mT4_P12ihipStream_tbEUlT_E_NS1_11comp_targetILNS1_3genE2ELNS1_11target_archE906ELNS1_3gpuE6ELNS1_3repE0EEENS1_30default_config_static_selectorELNS0_4arch9wavefront6targetE1EEEvT1_,comdat
	.protected	_ZN7rocprim17ROCPRIM_400000_NS6detail17trampoline_kernelINS0_14default_configENS1_25transform_config_selectorIlLb0EEEZNS1_14transform_implILb0ES3_S5_PlN6thrust23THRUST_200600_302600_NS6detail15normal_iteratorINS9_10device_ptrIlEEEENS0_8identityIlEEEE10hipError_tT2_T3_mT4_P12ihipStream_tbEUlT_E_NS1_11comp_targetILNS1_3genE2ELNS1_11target_archE906ELNS1_3gpuE6ELNS1_3repE0EEENS1_30default_config_static_selectorELNS0_4arch9wavefront6targetE1EEEvT1_ ; -- Begin function _ZN7rocprim17ROCPRIM_400000_NS6detail17trampoline_kernelINS0_14default_configENS1_25transform_config_selectorIlLb0EEEZNS1_14transform_implILb0ES3_S5_PlN6thrust23THRUST_200600_302600_NS6detail15normal_iteratorINS9_10device_ptrIlEEEENS0_8identityIlEEEE10hipError_tT2_T3_mT4_P12ihipStream_tbEUlT_E_NS1_11comp_targetILNS1_3genE2ELNS1_11target_archE906ELNS1_3gpuE6ELNS1_3repE0EEENS1_30default_config_static_selectorELNS0_4arch9wavefront6targetE1EEEvT1_
	.globl	_ZN7rocprim17ROCPRIM_400000_NS6detail17trampoline_kernelINS0_14default_configENS1_25transform_config_selectorIlLb0EEEZNS1_14transform_implILb0ES3_S5_PlN6thrust23THRUST_200600_302600_NS6detail15normal_iteratorINS9_10device_ptrIlEEEENS0_8identityIlEEEE10hipError_tT2_T3_mT4_P12ihipStream_tbEUlT_E_NS1_11comp_targetILNS1_3genE2ELNS1_11target_archE906ELNS1_3gpuE6ELNS1_3repE0EEENS1_30default_config_static_selectorELNS0_4arch9wavefront6targetE1EEEvT1_
	.p2align	8
	.type	_ZN7rocprim17ROCPRIM_400000_NS6detail17trampoline_kernelINS0_14default_configENS1_25transform_config_selectorIlLb0EEEZNS1_14transform_implILb0ES3_S5_PlN6thrust23THRUST_200600_302600_NS6detail15normal_iteratorINS9_10device_ptrIlEEEENS0_8identityIlEEEE10hipError_tT2_T3_mT4_P12ihipStream_tbEUlT_E_NS1_11comp_targetILNS1_3genE2ELNS1_11target_archE906ELNS1_3gpuE6ELNS1_3repE0EEENS1_30default_config_static_selectorELNS0_4arch9wavefront6targetE1EEEvT1_,@function
_ZN7rocprim17ROCPRIM_400000_NS6detail17trampoline_kernelINS0_14default_configENS1_25transform_config_selectorIlLb0EEEZNS1_14transform_implILb0ES3_S5_PlN6thrust23THRUST_200600_302600_NS6detail15normal_iteratorINS9_10device_ptrIlEEEENS0_8identityIlEEEE10hipError_tT2_T3_mT4_P12ihipStream_tbEUlT_E_NS1_11comp_targetILNS1_3genE2ELNS1_11target_archE906ELNS1_3gpuE6ELNS1_3repE0EEENS1_30default_config_static_selectorELNS0_4arch9wavefront6targetE1EEEvT1_: ; @_ZN7rocprim17ROCPRIM_400000_NS6detail17trampoline_kernelINS0_14default_configENS1_25transform_config_selectorIlLb0EEEZNS1_14transform_implILb0ES3_S5_PlN6thrust23THRUST_200600_302600_NS6detail15normal_iteratorINS9_10device_ptrIlEEEENS0_8identityIlEEEE10hipError_tT2_T3_mT4_P12ihipStream_tbEUlT_E_NS1_11comp_targetILNS1_3genE2ELNS1_11target_archE906ELNS1_3gpuE6ELNS1_3repE0EEENS1_30default_config_static_selectorELNS0_4arch9wavefront6targetE1EEEvT1_
; %bb.0:
	.section	.rodata,"a",@progbits
	.p2align	6, 0x0
	.amdhsa_kernel _ZN7rocprim17ROCPRIM_400000_NS6detail17trampoline_kernelINS0_14default_configENS1_25transform_config_selectorIlLb0EEEZNS1_14transform_implILb0ES3_S5_PlN6thrust23THRUST_200600_302600_NS6detail15normal_iteratorINS9_10device_ptrIlEEEENS0_8identityIlEEEE10hipError_tT2_T3_mT4_P12ihipStream_tbEUlT_E_NS1_11comp_targetILNS1_3genE2ELNS1_11target_archE906ELNS1_3gpuE6ELNS1_3repE0EEENS1_30default_config_static_selectorELNS0_4arch9wavefront6targetE1EEEvT1_
		.amdhsa_group_segment_fixed_size 0
		.amdhsa_private_segment_fixed_size 0
		.amdhsa_kernarg_size 40
		.amdhsa_user_sgpr_count 6
		.amdhsa_user_sgpr_private_segment_buffer 1
		.amdhsa_user_sgpr_dispatch_ptr 0
		.amdhsa_user_sgpr_queue_ptr 0
		.amdhsa_user_sgpr_kernarg_segment_ptr 1
		.amdhsa_user_sgpr_dispatch_id 0
		.amdhsa_user_sgpr_flat_scratch_init 0
		.amdhsa_user_sgpr_kernarg_preload_length 0
		.amdhsa_user_sgpr_kernarg_preload_offset 0
		.amdhsa_user_sgpr_private_segment_size 0
		.amdhsa_uses_dynamic_stack 0
		.amdhsa_system_sgpr_private_segment_wavefront_offset 0
		.amdhsa_system_sgpr_workgroup_id_x 1
		.amdhsa_system_sgpr_workgroup_id_y 0
		.amdhsa_system_sgpr_workgroup_id_z 0
		.amdhsa_system_sgpr_workgroup_info 0
		.amdhsa_system_vgpr_workitem_id 0
		.amdhsa_next_free_vgpr 1
		.amdhsa_next_free_sgpr 0
		.amdhsa_accum_offset 4
		.amdhsa_reserve_vcc 0
		.amdhsa_reserve_flat_scratch 0
		.amdhsa_float_round_mode_32 0
		.amdhsa_float_round_mode_16_64 0
		.amdhsa_float_denorm_mode_32 3
		.amdhsa_float_denorm_mode_16_64 3
		.amdhsa_dx10_clamp 1
		.amdhsa_ieee_mode 1
		.amdhsa_fp16_overflow 0
		.amdhsa_tg_split 0
		.amdhsa_exception_fp_ieee_invalid_op 0
		.amdhsa_exception_fp_denorm_src 0
		.amdhsa_exception_fp_ieee_div_zero 0
		.amdhsa_exception_fp_ieee_overflow 0
		.amdhsa_exception_fp_ieee_underflow 0
		.amdhsa_exception_fp_ieee_inexact 0
		.amdhsa_exception_int_div_zero 0
	.end_amdhsa_kernel
	.section	.text._ZN7rocprim17ROCPRIM_400000_NS6detail17trampoline_kernelINS0_14default_configENS1_25transform_config_selectorIlLb0EEEZNS1_14transform_implILb0ES3_S5_PlN6thrust23THRUST_200600_302600_NS6detail15normal_iteratorINS9_10device_ptrIlEEEENS0_8identityIlEEEE10hipError_tT2_T3_mT4_P12ihipStream_tbEUlT_E_NS1_11comp_targetILNS1_3genE2ELNS1_11target_archE906ELNS1_3gpuE6ELNS1_3repE0EEENS1_30default_config_static_selectorELNS0_4arch9wavefront6targetE1EEEvT1_,"axG",@progbits,_ZN7rocprim17ROCPRIM_400000_NS6detail17trampoline_kernelINS0_14default_configENS1_25transform_config_selectorIlLb0EEEZNS1_14transform_implILb0ES3_S5_PlN6thrust23THRUST_200600_302600_NS6detail15normal_iteratorINS9_10device_ptrIlEEEENS0_8identityIlEEEE10hipError_tT2_T3_mT4_P12ihipStream_tbEUlT_E_NS1_11comp_targetILNS1_3genE2ELNS1_11target_archE906ELNS1_3gpuE6ELNS1_3repE0EEENS1_30default_config_static_selectorELNS0_4arch9wavefront6targetE1EEEvT1_,comdat
.Lfunc_end3290:
	.size	_ZN7rocprim17ROCPRIM_400000_NS6detail17trampoline_kernelINS0_14default_configENS1_25transform_config_selectorIlLb0EEEZNS1_14transform_implILb0ES3_S5_PlN6thrust23THRUST_200600_302600_NS6detail15normal_iteratorINS9_10device_ptrIlEEEENS0_8identityIlEEEE10hipError_tT2_T3_mT4_P12ihipStream_tbEUlT_E_NS1_11comp_targetILNS1_3genE2ELNS1_11target_archE906ELNS1_3gpuE6ELNS1_3repE0EEENS1_30default_config_static_selectorELNS0_4arch9wavefront6targetE1EEEvT1_, .Lfunc_end3290-_ZN7rocprim17ROCPRIM_400000_NS6detail17trampoline_kernelINS0_14default_configENS1_25transform_config_selectorIlLb0EEEZNS1_14transform_implILb0ES3_S5_PlN6thrust23THRUST_200600_302600_NS6detail15normal_iteratorINS9_10device_ptrIlEEEENS0_8identityIlEEEE10hipError_tT2_T3_mT4_P12ihipStream_tbEUlT_E_NS1_11comp_targetILNS1_3genE2ELNS1_11target_archE906ELNS1_3gpuE6ELNS1_3repE0EEENS1_30default_config_static_selectorELNS0_4arch9wavefront6targetE1EEEvT1_
                                        ; -- End function
	.section	.AMDGPU.csdata,"",@progbits
; Kernel info:
; codeLenInByte = 0
; NumSgprs: 4
; NumVgprs: 0
; NumAgprs: 0
; TotalNumVgprs: 0
; ScratchSize: 0
; MemoryBound: 0
; FloatMode: 240
; IeeeMode: 1
; LDSByteSize: 0 bytes/workgroup (compile time only)
; SGPRBlocks: 0
; VGPRBlocks: 0
; NumSGPRsForWavesPerEU: 4
; NumVGPRsForWavesPerEU: 1
; AccumOffset: 4
; Occupancy: 8
; WaveLimiterHint : 0
; COMPUTE_PGM_RSRC2:SCRATCH_EN: 0
; COMPUTE_PGM_RSRC2:USER_SGPR: 6
; COMPUTE_PGM_RSRC2:TRAP_HANDLER: 0
; COMPUTE_PGM_RSRC2:TGID_X_EN: 1
; COMPUTE_PGM_RSRC2:TGID_Y_EN: 0
; COMPUTE_PGM_RSRC2:TGID_Z_EN: 0
; COMPUTE_PGM_RSRC2:TIDIG_COMP_CNT: 0
; COMPUTE_PGM_RSRC3_GFX90A:ACCUM_OFFSET: 0
; COMPUTE_PGM_RSRC3_GFX90A:TG_SPLIT: 0
	.section	.text._ZN7rocprim17ROCPRIM_400000_NS6detail17trampoline_kernelINS0_14default_configENS1_25transform_config_selectorIlLb0EEEZNS1_14transform_implILb0ES3_S5_PlN6thrust23THRUST_200600_302600_NS6detail15normal_iteratorINS9_10device_ptrIlEEEENS0_8identityIlEEEE10hipError_tT2_T3_mT4_P12ihipStream_tbEUlT_E_NS1_11comp_targetILNS1_3genE10ELNS1_11target_archE1201ELNS1_3gpuE5ELNS1_3repE0EEENS1_30default_config_static_selectorELNS0_4arch9wavefront6targetE1EEEvT1_,"axG",@progbits,_ZN7rocprim17ROCPRIM_400000_NS6detail17trampoline_kernelINS0_14default_configENS1_25transform_config_selectorIlLb0EEEZNS1_14transform_implILb0ES3_S5_PlN6thrust23THRUST_200600_302600_NS6detail15normal_iteratorINS9_10device_ptrIlEEEENS0_8identityIlEEEE10hipError_tT2_T3_mT4_P12ihipStream_tbEUlT_E_NS1_11comp_targetILNS1_3genE10ELNS1_11target_archE1201ELNS1_3gpuE5ELNS1_3repE0EEENS1_30default_config_static_selectorELNS0_4arch9wavefront6targetE1EEEvT1_,comdat
	.protected	_ZN7rocprim17ROCPRIM_400000_NS6detail17trampoline_kernelINS0_14default_configENS1_25transform_config_selectorIlLb0EEEZNS1_14transform_implILb0ES3_S5_PlN6thrust23THRUST_200600_302600_NS6detail15normal_iteratorINS9_10device_ptrIlEEEENS0_8identityIlEEEE10hipError_tT2_T3_mT4_P12ihipStream_tbEUlT_E_NS1_11comp_targetILNS1_3genE10ELNS1_11target_archE1201ELNS1_3gpuE5ELNS1_3repE0EEENS1_30default_config_static_selectorELNS0_4arch9wavefront6targetE1EEEvT1_ ; -- Begin function _ZN7rocprim17ROCPRIM_400000_NS6detail17trampoline_kernelINS0_14default_configENS1_25transform_config_selectorIlLb0EEEZNS1_14transform_implILb0ES3_S5_PlN6thrust23THRUST_200600_302600_NS6detail15normal_iteratorINS9_10device_ptrIlEEEENS0_8identityIlEEEE10hipError_tT2_T3_mT4_P12ihipStream_tbEUlT_E_NS1_11comp_targetILNS1_3genE10ELNS1_11target_archE1201ELNS1_3gpuE5ELNS1_3repE0EEENS1_30default_config_static_selectorELNS0_4arch9wavefront6targetE1EEEvT1_
	.globl	_ZN7rocprim17ROCPRIM_400000_NS6detail17trampoline_kernelINS0_14default_configENS1_25transform_config_selectorIlLb0EEEZNS1_14transform_implILb0ES3_S5_PlN6thrust23THRUST_200600_302600_NS6detail15normal_iteratorINS9_10device_ptrIlEEEENS0_8identityIlEEEE10hipError_tT2_T3_mT4_P12ihipStream_tbEUlT_E_NS1_11comp_targetILNS1_3genE10ELNS1_11target_archE1201ELNS1_3gpuE5ELNS1_3repE0EEENS1_30default_config_static_selectorELNS0_4arch9wavefront6targetE1EEEvT1_
	.p2align	8
	.type	_ZN7rocprim17ROCPRIM_400000_NS6detail17trampoline_kernelINS0_14default_configENS1_25transform_config_selectorIlLb0EEEZNS1_14transform_implILb0ES3_S5_PlN6thrust23THRUST_200600_302600_NS6detail15normal_iteratorINS9_10device_ptrIlEEEENS0_8identityIlEEEE10hipError_tT2_T3_mT4_P12ihipStream_tbEUlT_E_NS1_11comp_targetILNS1_3genE10ELNS1_11target_archE1201ELNS1_3gpuE5ELNS1_3repE0EEENS1_30default_config_static_selectorELNS0_4arch9wavefront6targetE1EEEvT1_,@function
_ZN7rocprim17ROCPRIM_400000_NS6detail17trampoline_kernelINS0_14default_configENS1_25transform_config_selectorIlLb0EEEZNS1_14transform_implILb0ES3_S5_PlN6thrust23THRUST_200600_302600_NS6detail15normal_iteratorINS9_10device_ptrIlEEEENS0_8identityIlEEEE10hipError_tT2_T3_mT4_P12ihipStream_tbEUlT_E_NS1_11comp_targetILNS1_3genE10ELNS1_11target_archE1201ELNS1_3gpuE5ELNS1_3repE0EEENS1_30default_config_static_selectorELNS0_4arch9wavefront6targetE1EEEvT1_: ; @_ZN7rocprim17ROCPRIM_400000_NS6detail17trampoline_kernelINS0_14default_configENS1_25transform_config_selectorIlLb0EEEZNS1_14transform_implILb0ES3_S5_PlN6thrust23THRUST_200600_302600_NS6detail15normal_iteratorINS9_10device_ptrIlEEEENS0_8identityIlEEEE10hipError_tT2_T3_mT4_P12ihipStream_tbEUlT_E_NS1_11comp_targetILNS1_3genE10ELNS1_11target_archE1201ELNS1_3gpuE5ELNS1_3repE0EEENS1_30default_config_static_selectorELNS0_4arch9wavefront6targetE1EEEvT1_
; %bb.0:
	.section	.rodata,"a",@progbits
	.p2align	6, 0x0
	.amdhsa_kernel _ZN7rocprim17ROCPRIM_400000_NS6detail17trampoline_kernelINS0_14default_configENS1_25transform_config_selectorIlLb0EEEZNS1_14transform_implILb0ES3_S5_PlN6thrust23THRUST_200600_302600_NS6detail15normal_iteratorINS9_10device_ptrIlEEEENS0_8identityIlEEEE10hipError_tT2_T3_mT4_P12ihipStream_tbEUlT_E_NS1_11comp_targetILNS1_3genE10ELNS1_11target_archE1201ELNS1_3gpuE5ELNS1_3repE0EEENS1_30default_config_static_selectorELNS0_4arch9wavefront6targetE1EEEvT1_
		.amdhsa_group_segment_fixed_size 0
		.amdhsa_private_segment_fixed_size 0
		.amdhsa_kernarg_size 40
		.amdhsa_user_sgpr_count 6
		.amdhsa_user_sgpr_private_segment_buffer 1
		.amdhsa_user_sgpr_dispatch_ptr 0
		.amdhsa_user_sgpr_queue_ptr 0
		.amdhsa_user_sgpr_kernarg_segment_ptr 1
		.amdhsa_user_sgpr_dispatch_id 0
		.amdhsa_user_sgpr_flat_scratch_init 0
		.amdhsa_user_sgpr_kernarg_preload_length 0
		.amdhsa_user_sgpr_kernarg_preload_offset 0
		.amdhsa_user_sgpr_private_segment_size 0
		.amdhsa_uses_dynamic_stack 0
		.amdhsa_system_sgpr_private_segment_wavefront_offset 0
		.amdhsa_system_sgpr_workgroup_id_x 1
		.amdhsa_system_sgpr_workgroup_id_y 0
		.amdhsa_system_sgpr_workgroup_id_z 0
		.amdhsa_system_sgpr_workgroup_info 0
		.amdhsa_system_vgpr_workitem_id 0
		.amdhsa_next_free_vgpr 1
		.amdhsa_next_free_sgpr 0
		.amdhsa_accum_offset 4
		.amdhsa_reserve_vcc 0
		.amdhsa_reserve_flat_scratch 0
		.amdhsa_float_round_mode_32 0
		.amdhsa_float_round_mode_16_64 0
		.amdhsa_float_denorm_mode_32 3
		.amdhsa_float_denorm_mode_16_64 3
		.amdhsa_dx10_clamp 1
		.amdhsa_ieee_mode 1
		.amdhsa_fp16_overflow 0
		.amdhsa_tg_split 0
		.amdhsa_exception_fp_ieee_invalid_op 0
		.amdhsa_exception_fp_denorm_src 0
		.amdhsa_exception_fp_ieee_div_zero 0
		.amdhsa_exception_fp_ieee_overflow 0
		.amdhsa_exception_fp_ieee_underflow 0
		.amdhsa_exception_fp_ieee_inexact 0
		.amdhsa_exception_int_div_zero 0
	.end_amdhsa_kernel
	.section	.text._ZN7rocprim17ROCPRIM_400000_NS6detail17trampoline_kernelINS0_14default_configENS1_25transform_config_selectorIlLb0EEEZNS1_14transform_implILb0ES3_S5_PlN6thrust23THRUST_200600_302600_NS6detail15normal_iteratorINS9_10device_ptrIlEEEENS0_8identityIlEEEE10hipError_tT2_T3_mT4_P12ihipStream_tbEUlT_E_NS1_11comp_targetILNS1_3genE10ELNS1_11target_archE1201ELNS1_3gpuE5ELNS1_3repE0EEENS1_30default_config_static_selectorELNS0_4arch9wavefront6targetE1EEEvT1_,"axG",@progbits,_ZN7rocprim17ROCPRIM_400000_NS6detail17trampoline_kernelINS0_14default_configENS1_25transform_config_selectorIlLb0EEEZNS1_14transform_implILb0ES3_S5_PlN6thrust23THRUST_200600_302600_NS6detail15normal_iteratorINS9_10device_ptrIlEEEENS0_8identityIlEEEE10hipError_tT2_T3_mT4_P12ihipStream_tbEUlT_E_NS1_11comp_targetILNS1_3genE10ELNS1_11target_archE1201ELNS1_3gpuE5ELNS1_3repE0EEENS1_30default_config_static_selectorELNS0_4arch9wavefront6targetE1EEEvT1_,comdat
.Lfunc_end3291:
	.size	_ZN7rocprim17ROCPRIM_400000_NS6detail17trampoline_kernelINS0_14default_configENS1_25transform_config_selectorIlLb0EEEZNS1_14transform_implILb0ES3_S5_PlN6thrust23THRUST_200600_302600_NS6detail15normal_iteratorINS9_10device_ptrIlEEEENS0_8identityIlEEEE10hipError_tT2_T3_mT4_P12ihipStream_tbEUlT_E_NS1_11comp_targetILNS1_3genE10ELNS1_11target_archE1201ELNS1_3gpuE5ELNS1_3repE0EEENS1_30default_config_static_selectorELNS0_4arch9wavefront6targetE1EEEvT1_, .Lfunc_end3291-_ZN7rocprim17ROCPRIM_400000_NS6detail17trampoline_kernelINS0_14default_configENS1_25transform_config_selectorIlLb0EEEZNS1_14transform_implILb0ES3_S5_PlN6thrust23THRUST_200600_302600_NS6detail15normal_iteratorINS9_10device_ptrIlEEEENS0_8identityIlEEEE10hipError_tT2_T3_mT4_P12ihipStream_tbEUlT_E_NS1_11comp_targetILNS1_3genE10ELNS1_11target_archE1201ELNS1_3gpuE5ELNS1_3repE0EEENS1_30default_config_static_selectorELNS0_4arch9wavefront6targetE1EEEvT1_
                                        ; -- End function
	.section	.AMDGPU.csdata,"",@progbits
; Kernel info:
; codeLenInByte = 0
; NumSgprs: 4
; NumVgprs: 0
; NumAgprs: 0
; TotalNumVgprs: 0
; ScratchSize: 0
; MemoryBound: 0
; FloatMode: 240
; IeeeMode: 1
; LDSByteSize: 0 bytes/workgroup (compile time only)
; SGPRBlocks: 0
; VGPRBlocks: 0
; NumSGPRsForWavesPerEU: 4
; NumVGPRsForWavesPerEU: 1
; AccumOffset: 4
; Occupancy: 8
; WaveLimiterHint : 0
; COMPUTE_PGM_RSRC2:SCRATCH_EN: 0
; COMPUTE_PGM_RSRC2:USER_SGPR: 6
; COMPUTE_PGM_RSRC2:TRAP_HANDLER: 0
; COMPUTE_PGM_RSRC2:TGID_X_EN: 1
; COMPUTE_PGM_RSRC2:TGID_Y_EN: 0
; COMPUTE_PGM_RSRC2:TGID_Z_EN: 0
; COMPUTE_PGM_RSRC2:TIDIG_COMP_CNT: 0
; COMPUTE_PGM_RSRC3_GFX90A:ACCUM_OFFSET: 0
; COMPUTE_PGM_RSRC3_GFX90A:TG_SPLIT: 0
	.section	.text._ZN7rocprim17ROCPRIM_400000_NS6detail17trampoline_kernelINS0_14default_configENS1_25transform_config_selectorIlLb0EEEZNS1_14transform_implILb0ES3_S5_PlN6thrust23THRUST_200600_302600_NS6detail15normal_iteratorINS9_10device_ptrIlEEEENS0_8identityIlEEEE10hipError_tT2_T3_mT4_P12ihipStream_tbEUlT_E_NS1_11comp_targetILNS1_3genE10ELNS1_11target_archE1200ELNS1_3gpuE4ELNS1_3repE0EEENS1_30default_config_static_selectorELNS0_4arch9wavefront6targetE1EEEvT1_,"axG",@progbits,_ZN7rocprim17ROCPRIM_400000_NS6detail17trampoline_kernelINS0_14default_configENS1_25transform_config_selectorIlLb0EEEZNS1_14transform_implILb0ES3_S5_PlN6thrust23THRUST_200600_302600_NS6detail15normal_iteratorINS9_10device_ptrIlEEEENS0_8identityIlEEEE10hipError_tT2_T3_mT4_P12ihipStream_tbEUlT_E_NS1_11comp_targetILNS1_3genE10ELNS1_11target_archE1200ELNS1_3gpuE4ELNS1_3repE0EEENS1_30default_config_static_selectorELNS0_4arch9wavefront6targetE1EEEvT1_,comdat
	.protected	_ZN7rocprim17ROCPRIM_400000_NS6detail17trampoline_kernelINS0_14default_configENS1_25transform_config_selectorIlLb0EEEZNS1_14transform_implILb0ES3_S5_PlN6thrust23THRUST_200600_302600_NS6detail15normal_iteratorINS9_10device_ptrIlEEEENS0_8identityIlEEEE10hipError_tT2_T3_mT4_P12ihipStream_tbEUlT_E_NS1_11comp_targetILNS1_3genE10ELNS1_11target_archE1200ELNS1_3gpuE4ELNS1_3repE0EEENS1_30default_config_static_selectorELNS0_4arch9wavefront6targetE1EEEvT1_ ; -- Begin function _ZN7rocprim17ROCPRIM_400000_NS6detail17trampoline_kernelINS0_14default_configENS1_25transform_config_selectorIlLb0EEEZNS1_14transform_implILb0ES3_S5_PlN6thrust23THRUST_200600_302600_NS6detail15normal_iteratorINS9_10device_ptrIlEEEENS0_8identityIlEEEE10hipError_tT2_T3_mT4_P12ihipStream_tbEUlT_E_NS1_11comp_targetILNS1_3genE10ELNS1_11target_archE1200ELNS1_3gpuE4ELNS1_3repE0EEENS1_30default_config_static_selectorELNS0_4arch9wavefront6targetE1EEEvT1_
	.globl	_ZN7rocprim17ROCPRIM_400000_NS6detail17trampoline_kernelINS0_14default_configENS1_25transform_config_selectorIlLb0EEEZNS1_14transform_implILb0ES3_S5_PlN6thrust23THRUST_200600_302600_NS6detail15normal_iteratorINS9_10device_ptrIlEEEENS0_8identityIlEEEE10hipError_tT2_T3_mT4_P12ihipStream_tbEUlT_E_NS1_11comp_targetILNS1_3genE10ELNS1_11target_archE1200ELNS1_3gpuE4ELNS1_3repE0EEENS1_30default_config_static_selectorELNS0_4arch9wavefront6targetE1EEEvT1_
	.p2align	8
	.type	_ZN7rocprim17ROCPRIM_400000_NS6detail17trampoline_kernelINS0_14default_configENS1_25transform_config_selectorIlLb0EEEZNS1_14transform_implILb0ES3_S5_PlN6thrust23THRUST_200600_302600_NS6detail15normal_iteratorINS9_10device_ptrIlEEEENS0_8identityIlEEEE10hipError_tT2_T3_mT4_P12ihipStream_tbEUlT_E_NS1_11comp_targetILNS1_3genE10ELNS1_11target_archE1200ELNS1_3gpuE4ELNS1_3repE0EEENS1_30default_config_static_selectorELNS0_4arch9wavefront6targetE1EEEvT1_,@function
_ZN7rocprim17ROCPRIM_400000_NS6detail17trampoline_kernelINS0_14default_configENS1_25transform_config_selectorIlLb0EEEZNS1_14transform_implILb0ES3_S5_PlN6thrust23THRUST_200600_302600_NS6detail15normal_iteratorINS9_10device_ptrIlEEEENS0_8identityIlEEEE10hipError_tT2_T3_mT4_P12ihipStream_tbEUlT_E_NS1_11comp_targetILNS1_3genE10ELNS1_11target_archE1200ELNS1_3gpuE4ELNS1_3repE0EEENS1_30default_config_static_selectorELNS0_4arch9wavefront6targetE1EEEvT1_: ; @_ZN7rocprim17ROCPRIM_400000_NS6detail17trampoline_kernelINS0_14default_configENS1_25transform_config_selectorIlLb0EEEZNS1_14transform_implILb0ES3_S5_PlN6thrust23THRUST_200600_302600_NS6detail15normal_iteratorINS9_10device_ptrIlEEEENS0_8identityIlEEEE10hipError_tT2_T3_mT4_P12ihipStream_tbEUlT_E_NS1_11comp_targetILNS1_3genE10ELNS1_11target_archE1200ELNS1_3gpuE4ELNS1_3repE0EEENS1_30default_config_static_selectorELNS0_4arch9wavefront6targetE1EEEvT1_
; %bb.0:
	.section	.rodata,"a",@progbits
	.p2align	6, 0x0
	.amdhsa_kernel _ZN7rocprim17ROCPRIM_400000_NS6detail17trampoline_kernelINS0_14default_configENS1_25transform_config_selectorIlLb0EEEZNS1_14transform_implILb0ES3_S5_PlN6thrust23THRUST_200600_302600_NS6detail15normal_iteratorINS9_10device_ptrIlEEEENS0_8identityIlEEEE10hipError_tT2_T3_mT4_P12ihipStream_tbEUlT_E_NS1_11comp_targetILNS1_3genE10ELNS1_11target_archE1200ELNS1_3gpuE4ELNS1_3repE0EEENS1_30default_config_static_selectorELNS0_4arch9wavefront6targetE1EEEvT1_
		.amdhsa_group_segment_fixed_size 0
		.amdhsa_private_segment_fixed_size 0
		.amdhsa_kernarg_size 40
		.amdhsa_user_sgpr_count 6
		.amdhsa_user_sgpr_private_segment_buffer 1
		.amdhsa_user_sgpr_dispatch_ptr 0
		.amdhsa_user_sgpr_queue_ptr 0
		.amdhsa_user_sgpr_kernarg_segment_ptr 1
		.amdhsa_user_sgpr_dispatch_id 0
		.amdhsa_user_sgpr_flat_scratch_init 0
		.amdhsa_user_sgpr_kernarg_preload_length 0
		.amdhsa_user_sgpr_kernarg_preload_offset 0
		.amdhsa_user_sgpr_private_segment_size 0
		.amdhsa_uses_dynamic_stack 0
		.amdhsa_system_sgpr_private_segment_wavefront_offset 0
		.amdhsa_system_sgpr_workgroup_id_x 1
		.amdhsa_system_sgpr_workgroup_id_y 0
		.amdhsa_system_sgpr_workgroup_id_z 0
		.amdhsa_system_sgpr_workgroup_info 0
		.amdhsa_system_vgpr_workitem_id 0
		.amdhsa_next_free_vgpr 1
		.amdhsa_next_free_sgpr 0
		.amdhsa_accum_offset 4
		.amdhsa_reserve_vcc 0
		.amdhsa_reserve_flat_scratch 0
		.amdhsa_float_round_mode_32 0
		.amdhsa_float_round_mode_16_64 0
		.amdhsa_float_denorm_mode_32 3
		.amdhsa_float_denorm_mode_16_64 3
		.amdhsa_dx10_clamp 1
		.amdhsa_ieee_mode 1
		.amdhsa_fp16_overflow 0
		.amdhsa_tg_split 0
		.amdhsa_exception_fp_ieee_invalid_op 0
		.amdhsa_exception_fp_denorm_src 0
		.amdhsa_exception_fp_ieee_div_zero 0
		.amdhsa_exception_fp_ieee_overflow 0
		.amdhsa_exception_fp_ieee_underflow 0
		.amdhsa_exception_fp_ieee_inexact 0
		.amdhsa_exception_int_div_zero 0
	.end_amdhsa_kernel
	.section	.text._ZN7rocprim17ROCPRIM_400000_NS6detail17trampoline_kernelINS0_14default_configENS1_25transform_config_selectorIlLb0EEEZNS1_14transform_implILb0ES3_S5_PlN6thrust23THRUST_200600_302600_NS6detail15normal_iteratorINS9_10device_ptrIlEEEENS0_8identityIlEEEE10hipError_tT2_T3_mT4_P12ihipStream_tbEUlT_E_NS1_11comp_targetILNS1_3genE10ELNS1_11target_archE1200ELNS1_3gpuE4ELNS1_3repE0EEENS1_30default_config_static_selectorELNS0_4arch9wavefront6targetE1EEEvT1_,"axG",@progbits,_ZN7rocprim17ROCPRIM_400000_NS6detail17trampoline_kernelINS0_14default_configENS1_25transform_config_selectorIlLb0EEEZNS1_14transform_implILb0ES3_S5_PlN6thrust23THRUST_200600_302600_NS6detail15normal_iteratorINS9_10device_ptrIlEEEENS0_8identityIlEEEE10hipError_tT2_T3_mT4_P12ihipStream_tbEUlT_E_NS1_11comp_targetILNS1_3genE10ELNS1_11target_archE1200ELNS1_3gpuE4ELNS1_3repE0EEENS1_30default_config_static_selectorELNS0_4arch9wavefront6targetE1EEEvT1_,comdat
.Lfunc_end3292:
	.size	_ZN7rocprim17ROCPRIM_400000_NS6detail17trampoline_kernelINS0_14default_configENS1_25transform_config_selectorIlLb0EEEZNS1_14transform_implILb0ES3_S5_PlN6thrust23THRUST_200600_302600_NS6detail15normal_iteratorINS9_10device_ptrIlEEEENS0_8identityIlEEEE10hipError_tT2_T3_mT4_P12ihipStream_tbEUlT_E_NS1_11comp_targetILNS1_3genE10ELNS1_11target_archE1200ELNS1_3gpuE4ELNS1_3repE0EEENS1_30default_config_static_selectorELNS0_4arch9wavefront6targetE1EEEvT1_, .Lfunc_end3292-_ZN7rocprim17ROCPRIM_400000_NS6detail17trampoline_kernelINS0_14default_configENS1_25transform_config_selectorIlLb0EEEZNS1_14transform_implILb0ES3_S5_PlN6thrust23THRUST_200600_302600_NS6detail15normal_iteratorINS9_10device_ptrIlEEEENS0_8identityIlEEEE10hipError_tT2_T3_mT4_P12ihipStream_tbEUlT_E_NS1_11comp_targetILNS1_3genE10ELNS1_11target_archE1200ELNS1_3gpuE4ELNS1_3repE0EEENS1_30default_config_static_selectorELNS0_4arch9wavefront6targetE1EEEvT1_
                                        ; -- End function
	.section	.AMDGPU.csdata,"",@progbits
; Kernel info:
; codeLenInByte = 0
; NumSgprs: 4
; NumVgprs: 0
; NumAgprs: 0
; TotalNumVgprs: 0
; ScratchSize: 0
; MemoryBound: 0
; FloatMode: 240
; IeeeMode: 1
; LDSByteSize: 0 bytes/workgroup (compile time only)
; SGPRBlocks: 0
; VGPRBlocks: 0
; NumSGPRsForWavesPerEU: 4
; NumVGPRsForWavesPerEU: 1
; AccumOffset: 4
; Occupancy: 8
; WaveLimiterHint : 0
; COMPUTE_PGM_RSRC2:SCRATCH_EN: 0
; COMPUTE_PGM_RSRC2:USER_SGPR: 6
; COMPUTE_PGM_RSRC2:TRAP_HANDLER: 0
; COMPUTE_PGM_RSRC2:TGID_X_EN: 1
; COMPUTE_PGM_RSRC2:TGID_Y_EN: 0
; COMPUTE_PGM_RSRC2:TGID_Z_EN: 0
; COMPUTE_PGM_RSRC2:TIDIG_COMP_CNT: 0
; COMPUTE_PGM_RSRC3_GFX90A:ACCUM_OFFSET: 0
; COMPUTE_PGM_RSRC3_GFX90A:TG_SPLIT: 0
	.section	.text._ZN7rocprim17ROCPRIM_400000_NS6detail17trampoline_kernelINS0_14default_configENS1_25transform_config_selectorIlLb0EEEZNS1_14transform_implILb0ES3_S5_PlN6thrust23THRUST_200600_302600_NS6detail15normal_iteratorINS9_10device_ptrIlEEEENS0_8identityIlEEEE10hipError_tT2_T3_mT4_P12ihipStream_tbEUlT_E_NS1_11comp_targetILNS1_3genE9ELNS1_11target_archE1100ELNS1_3gpuE3ELNS1_3repE0EEENS1_30default_config_static_selectorELNS0_4arch9wavefront6targetE1EEEvT1_,"axG",@progbits,_ZN7rocprim17ROCPRIM_400000_NS6detail17trampoline_kernelINS0_14default_configENS1_25transform_config_selectorIlLb0EEEZNS1_14transform_implILb0ES3_S5_PlN6thrust23THRUST_200600_302600_NS6detail15normal_iteratorINS9_10device_ptrIlEEEENS0_8identityIlEEEE10hipError_tT2_T3_mT4_P12ihipStream_tbEUlT_E_NS1_11comp_targetILNS1_3genE9ELNS1_11target_archE1100ELNS1_3gpuE3ELNS1_3repE0EEENS1_30default_config_static_selectorELNS0_4arch9wavefront6targetE1EEEvT1_,comdat
	.protected	_ZN7rocprim17ROCPRIM_400000_NS6detail17trampoline_kernelINS0_14default_configENS1_25transform_config_selectorIlLb0EEEZNS1_14transform_implILb0ES3_S5_PlN6thrust23THRUST_200600_302600_NS6detail15normal_iteratorINS9_10device_ptrIlEEEENS0_8identityIlEEEE10hipError_tT2_T3_mT4_P12ihipStream_tbEUlT_E_NS1_11comp_targetILNS1_3genE9ELNS1_11target_archE1100ELNS1_3gpuE3ELNS1_3repE0EEENS1_30default_config_static_selectorELNS0_4arch9wavefront6targetE1EEEvT1_ ; -- Begin function _ZN7rocprim17ROCPRIM_400000_NS6detail17trampoline_kernelINS0_14default_configENS1_25transform_config_selectorIlLb0EEEZNS1_14transform_implILb0ES3_S5_PlN6thrust23THRUST_200600_302600_NS6detail15normal_iteratorINS9_10device_ptrIlEEEENS0_8identityIlEEEE10hipError_tT2_T3_mT4_P12ihipStream_tbEUlT_E_NS1_11comp_targetILNS1_3genE9ELNS1_11target_archE1100ELNS1_3gpuE3ELNS1_3repE0EEENS1_30default_config_static_selectorELNS0_4arch9wavefront6targetE1EEEvT1_
	.globl	_ZN7rocprim17ROCPRIM_400000_NS6detail17trampoline_kernelINS0_14default_configENS1_25transform_config_selectorIlLb0EEEZNS1_14transform_implILb0ES3_S5_PlN6thrust23THRUST_200600_302600_NS6detail15normal_iteratorINS9_10device_ptrIlEEEENS0_8identityIlEEEE10hipError_tT2_T3_mT4_P12ihipStream_tbEUlT_E_NS1_11comp_targetILNS1_3genE9ELNS1_11target_archE1100ELNS1_3gpuE3ELNS1_3repE0EEENS1_30default_config_static_selectorELNS0_4arch9wavefront6targetE1EEEvT1_
	.p2align	8
	.type	_ZN7rocprim17ROCPRIM_400000_NS6detail17trampoline_kernelINS0_14default_configENS1_25transform_config_selectorIlLb0EEEZNS1_14transform_implILb0ES3_S5_PlN6thrust23THRUST_200600_302600_NS6detail15normal_iteratorINS9_10device_ptrIlEEEENS0_8identityIlEEEE10hipError_tT2_T3_mT4_P12ihipStream_tbEUlT_E_NS1_11comp_targetILNS1_3genE9ELNS1_11target_archE1100ELNS1_3gpuE3ELNS1_3repE0EEENS1_30default_config_static_selectorELNS0_4arch9wavefront6targetE1EEEvT1_,@function
_ZN7rocprim17ROCPRIM_400000_NS6detail17trampoline_kernelINS0_14default_configENS1_25transform_config_selectorIlLb0EEEZNS1_14transform_implILb0ES3_S5_PlN6thrust23THRUST_200600_302600_NS6detail15normal_iteratorINS9_10device_ptrIlEEEENS0_8identityIlEEEE10hipError_tT2_T3_mT4_P12ihipStream_tbEUlT_E_NS1_11comp_targetILNS1_3genE9ELNS1_11target_archE1100ELNS1_3gpuE3ELNS1_3repE0EEENS1_30default_config_static_selectorELNS0_4arch9wavefront6targetE1EEEvT1_: ; @_ZN7rocprim17ROCPRIM_400000_NS6detail17trampoline_kernelINS0_14default_configENS1_25transform_config_selectorIlLb0EEEZNS1_14transform_implILb0ES3_S5_PlN6thrust23THRUST_200600_302600_NS6detail15normal_iteratorINS9_10device_ptrIlEEEENS0_8identityIlEEEE10hipError_tT2_T3_mT4_P12ihipStream_tbEUlT_E_NS1_11comp_targetILNS1_3genE9ELNS1_11target_archE1100ELNS1_3gpuE3ELNS1_3repE0EEENS1_30default_config_static_selectorELNS0_4arch9wavefront6targetE1EEEvT1_
; %bb.0:
	.section	.rodata,"a",@progbits
	.p2align	6, 0x0
	.amdhsa_kernel _ZN7rocprim17ROCPRIM_400000_NS6detail17trampoline_kernelINS0_14default_configENS1_25transform_config_selectorIlLb0EEEZNS1_14transform_implILb0ES3_S5_PlN6thrust23THRUST_200600_302600_NS6detail15normal_iteratorINS9_10device_ptrIlEEEENS0_8identityIlEEEE10hipError_tT2_T3_mT4_P12ihipStream_tbEUlT_E_NS1_11comp_targetILNS1_3genE9ELNS1_11target_archE1100ELNS1_3gpuE3ELNS1_3repE0EEENS1_30default_config_static_selectorELNS0_4arch9wavefront6targetE1EEEvT1_
		.amdhsa_group_segment_fixed_size 0
		.amdhsa_private_segment_fixed_size 0
		.amdhsa_kernarg_size 40
		.amdhsa_user_sgpr_count 6
		.amdhsa_user_sgpr_private_segment_buffer 1
		.amdhsa_user_sgpr_dispatch_ptr 0
		.amdhsa_user_sgpr_queue_ptr 0
		.amdhsa_user_sgpr_kernarg_segment_ptr 1
		.amdhsa_user_sgpr_dispatch_id 0
		.amdhsa_user_sgpr_flat_scratch_init 0
		.amdhsa_user_sgpr_kernarg_preload_length 0
		.amdhsa_user_sgpr_kernarg_preload_offset 0
		.amdhsa_user_sgpr_private_segment_size 0
		.amdhsa_uses_dynamic_stack 0
		.amdhsa_system_sgpr_private_segment_wavefront_offset 0
		.amdhsa_system_sgpr_workgroup_id_x 1
		.amdhsa_system_sgpr_workgroup_id_y 0
		.amdhsa_system_sgpr_workgroup_id_z 0
		.amdhsa_system_sgpr_workgroup_info 0
		.amdhsa_system_vgpr_workitem_id 0
		.amdhsa_next_free_vgpr 1
		.amdhsa_next_free_sgpr 0
		.amdhsa_accum_offset 4
		.amdhsa_reserve_vcc 0
		.amdhsa_reserve_flat_scratch 0
		.amdhsa_float_round_mode_32 0
		.amdhsa_float_round_mode_16_64 0
		.amdhsa_float_denorm_mode_32 3
		.amdhsa_float_denorm_mode_16_64 3
		.amdhsa_dx10_clamp 1
		.amdhsa_ieee_mode 1
		.amdhsa_fp16_overflow 0
		.amdhsa_tg_split 0
		.amdhsa_exception_fp_ieee_invalid_op 0
		.amdhsa_exception_fp_denorm_src 0
		.amdhsa_exception_fp_ieee_div_zero 0
		.amdhsa_exception_fp_ieee_overflow 0
		.amdhsa_exception_fp_ieee_underflow 0
		.amdhsa_exception_fp_ieee_inexact 0
		.amdhsa_exception_int_div_zero 0
	.end_amdhsa_kernel
	.section	.text._ZN7rocprim17ROCPRIM_400000_NS6detail17trampoline_kernelINS0_14default_configENS1_25transform_config_selectorIlLb0EEEZNS1_14transform_implILb0ES3_S5_PlN6thrust23THRUST_200600_302600_NS6detail15normal_iteratorINS9_10device_ptrIlEEEENS0_8identityIlEEEE10hipError_tT2_T3_mT4_P12ihipStream_tbEUlT_E_NS1_11comp_targetILNS1_3genE9ELNS1_11target_archE1100ELNS1_3gpuE3ELNS1_3repE0EEENS1_30default_config_static_selectorELNS0_4arch9wavefront6targetE1EEEvT1_,"axG",@progbits,_ZN7rocprim17ROCPRIM_400000_NS6detail17trampoline_kernelINS0_14default_configENS1_25transform_config_selectorIlLb0EEEZNS1_14transform_implILb0ES3_S5_PlN6thrust23THRUST_200600_302600_NS6detail15normal_iteratorINS9_10device_ptrIlEEEENS0_8identityIlEEEE10hipError_tT2_T3_mT4_P12ihipStream_tbEUlT_E_NS1_11comp_targetILNS1_3genE9ELNS1_11target_archE1100ELNS1_3gpuE3ELNS1_3repE0EEENS1_30default_config_static_selectorELNS0_4arch9wavefront6targetE1EEEvT1_,comdat
.Lfunc_end3293:
	.size	_ZN7rocprim17ROCPRIM_400000_NS6detail17trampoline_kernelINS0_14default_configENS1_25transform_config_selectorIlLb0EEEZNS1_14transform_implILb0ES3_S5_PlN6thrust23THRUST_200600_302600_NS6detail15normal_iteratorINS9_10device_ptrIlEEEENS0_8identityIlEEEE10hipError_tT2_T3_mT4_P12ihipStream_tbEUlT_E_NS1_11comp_targetILNS1_3genE9ELNS1_11target_archE1100ELNS1_3gpuE3ELNS1_3repE0EEENS1_30default_config_static_selectorELNS0_4arch9wavefront6targetE1EEEvT1_, .Lfunc_end3293-_ZN7rocprim17ROCPRIM_400000_NS6detail17trampoline_kernelINS0_14default_configENS1_25transform_config_selectorIlLb0EEEZNS1_14transform_implILb0ES3_S5_PlN6thrust23THRUST_200600_302600_NS6detail15normal_iteratorINS9_10device_ptrIlEEEENS0_8identityIlEEEE10hipError_tT2_T3_mT4_P12ihipStream_tbEUlT_E_NS1_11comp_targetILNS1_3genE9ELNS1_11target_archE1100ELNS1_3gpuE3ELNS1_3repE0EEENS1_30default_config_static_selectorELNS0_4arch9wavefront6targetE1EEEvT1_
                                        ; -- End function
	.section	.AMDGPU.csdata,"",@progbits
; Kernel info:
; codeLenInByte = 0
; NumSgprs: 4
; NumVgprs: 0
; NumAgprs: 0
; TotalNumVgprs: 0
; ScratchSize: 0
; MemoryBound: 0
; FloatMode: 240
; IeeeMode: 1
; LDSByteSize: 0 bytes/workgroup (compile time only)
; SGPRBlocks: 0
; VGPRBlocks: 0
; NumSGPRsForWavesPerEU: 4
; NumVGPRsForWavesPerEU: 1
; AccumOffset: 4
; Occupancy: 8
; WaveLimiterHint : 0
; COMPUTE_PGM_RSRC2:SCRATCH_EN: 0
; COMPUTE_PGM_RSRC2:USER_SGPR: 6
; COMPUTE_PGM_RSRC2:TRAP_HANDLER: 0
; COMPUTE_PGM_RSRC2:TGID_X_EN: 1
; COMPUTE_PGM_RSRC2:TGID_Y_EN: 0
; COMPUTE_PGM_RSRC2:TGID_Z_EN: 0
; COMPUTE_PGM_RSRC2:TIDIG_COMP_CNT: 0
; COMPUTE_PGM_RSRC3_GFX90A:ACCUM_OFFSET: 0
; COMPUTE_PGM_RSRC3_GFX90A:TG_SPLIT: 0
	.section	.text._ZN7rocprim17ROCPRIM_400000_NS6detail17trampoline_kernelINS0_14default_configENS1_25transform_config_selectorIlLb0EEEZNS1_14transform_implILb0ES3_S5_PlN6thrust23THRUST_200600_302600_NS6detail15normal_iteratorINS9_10device_ptrIlEEEENS0_8identityIlEEEE10hipError_tT2_T3_mT4_P12ihipStream_tbEUlT_E_NS1_11comp_targetILNS1_3genE8ELNS1_11target_archE1030ELNS1_3gpuE2ELNS1_3repE0EEENS1_30default_config_static_selectorELNS0_4arch9wavefront6targetE1EEEvT1_,"axG",@progbits,_ZN7rocprim17ROCPRIM_400000_NS6detail17trampoline_kernelINS0_14default_configENS1_25transform_config_selectorIlLb0EEEZNS1_14transform_implILb0ES3_S5_PlN6thrust23THRUST_200600_302600_NS6detail15normal_iteratorINS9_10device_ptrIlEEEENS0_8identityIlEEEE10hipError_tT2_T3_mT4_P12ihipStream_tbEUlT_E_NS1_11comp_targetILNS1_3genE8ELNS1_11target_archE1030ELNS1_3gpuE2ELNS1_3repE0EEENS1_30default_config_static_selectorELNS0_4arch9wavefront6targetE1EEEvT1_,comdat
	.protected	_ZN7rocprim17ROCPRIM_400000_NS6detail17trampoline_kernelINS0_14default_configENS1_25transform_config_selectorIlLb0EEEZNS1_14transform_implILb0ES3_S5_PlN6thrust23THRUST_200600_302600_NS6detail15normal_iteratorINS9_10device_ptrIlEEEENS0_8identityIlEEEE10hipError_tT2_T3_mT4_P12ihipStream_tbEUlT_E_NS1_11comp_targetILNS1_3genE8ELNS1_11target_archE1030ELNS1_3gpuE2ELNS1_3repE0EEENS1_30default_config_static_selectorELNS0_4arch9wavefront6targetE1EEEvT1_ ; -- Begin function _ZN7rocprim17ROCPRIM_400000_NS6detail17trampoline_kernelINS0_14default_configENS1_25transform_config_selectorIlLb0EEEZNS1_14transform_implILb0ES3_S5_PlN6thrust23THRUST_200600_302600_NS6detail15normal_iteratorINS9_10device_ptrIlEEEENS0_8identityIlEEEE10hipError_tT2_T3_mT4_P12ihipStream_tbEUlT_E_NS1_11comp_targetILNS1_3genE8ELNS1_11target_archE1030ELNS1_3gpuE2ELNS1_3repE0EEENS1_30default_config_static_selectorELNS0_4arch9wavefront6targetE1EEEvT1_
	.globl	_ZN7rocprim17ROCPRIM_400000_NS6detail17trampoline_kernelINS0_14default_configENS1_25transform_config_selectorIlLb0EEEZNS1_14transform_implILb0ES3_S5_PlN6thrust23THRUST_200600_302600_NS6detail15normal_iteratorINS9_10device_ptrIlEEEENS0_8identityIlEEEE10hipError_tT2_T3_mT4_P12ihipStream_tbEUlT_E_NS1_11comp_targetILNS1_3genE8ELNS1_11target_archE1030ELNS1_3gpuE2ELNS1_3repE0EEENS1_30default_config_static_selectorELNS0_4arch9wavefront6targetE1EEEvT1_
	.p2align	8
	.type	_ZN7rocprim17ROCPRIM_400000_NS6detail17trampoline_kernelINS0_14default_configENS1_25transform_config_selectorIlLb0EEEZNS1_14transform_implILb0ES3_S5_PlN6thrust23THRUST_200600_302600_NS6detail15normal_iteratorINS9_10device_ptrIlEEEENS0_8identityIlEEEE10hipError_tT2_T3_mT4_P12ihipStream_tbEUlT_E_NS1_11comp_targetILNS1_3genE8ELNS1_11target_archE1030ELNS1_3gpuE2ELNS1_3repE0EEENS1_30default_config_static_selectorELNS0_4arch9wavefront6targetE1EEEvT1_,@function
_ZN7rocprim17ROCPRIM_400000_NS6detail17trampoline_kernelINS0_14default_configENS1_25transform_config_selectorIlLb0EEEZNS1_14transform_implILb0ES3_S5_PlN6thrust23THRUST_200600_302600_NS6detail15normal_iteratorINS9_10device_ptrIlEEEENS0_8identityIlEEEE10hipError_tT2_T3_mT4_P12ihipStream_tbEUlT_E_NS1_11comp_targetILNS1_3genE8ELNS1_11target_archE1030ELNS1_3gpuE2ELNS1_3repE0EEENS1_30default_config_static_selectorELNS0_4arch9wavefront6targetE1EEEvT1_: ; @_ZN7rocprim17ROCPRIM_400000_NS6detail17trampoline_kernelINS0_14default_configENS1_25transform_config_selectorIlLb0EEEZNS1_14transform_implILb0ES3_S5_PlN6thrust23THRUST_200600_302600_NS6detail15normal_iteratorINS9_10device_ptrIlEEEENS0_8identityIlEEEE10hipError_tT2_T3_mT4_P12ihipStream_tbEUlT_E_NS1_11comp_targetILNS1_3genE8ELNS1_11target_archE1030ELNS1_3gpuE2ELNS1_3repE0EEENS1_30default_config_static_selectorELNS0_4arch9wavefront6targetE1EEEvT1_
; %bb.0:
	.section	.rodata,"a",@progbits
	.p2align	6, 0x0
	.amdhsa_kernel _ZN7rocprim17ROCPRIM_400000_NS6detail17trampoline_kernelINS0_14default_configENS1_25transform_config_selectorIlLb0EEEZNS1_14transform_implILb0ES3_S5_PlN6thrust23THRUST_200600_302600_NS6detail15normal_iteratorINS9_10device_ptrIlEEEENS0_8identityIlEEEE10hipError_tT2_T3_mT4_P12ihipStream_tbEUlT_E_NS1_11comp_targetILNS1_3genE8ELNS1_11target_archE1030ELNS1_3gpuE2ELNS1_3repE0EEENS1_30default_config_static_selectorELNS0_4arch9wavefront6targetE1EEEvT1_
		.amdhsa_group_segment_fixed_size 0
		.amdhsa_private_segment_fixed_size 0
		.amdhsa_kernarg_size 40
		.amdhsa_user_sgpr_count 6
		.amdhsa_user_sgpr_private_segment_buffer 1
		.amdhsa_user_sgpr_dispatch_ptr 0
		.amdhsa_user_sgpr_queue_ptr 0
		.amdhsa_user_sgpr_kernarg_segment_ptr 1
		.amdhsa_user_sgpr_dispatch_id 0
		.amdhsa_user_sgpr_flat_scratch_init 0
		.amdhsa_user_sgpr_kernarg_preload_length 0
		.amdhsa_user_sgpr_kernarg_preload_offset 0
		.amdhsa_user_sgpr_private_segment_size 0
		.amdhsa_uses_dynamic_stack 0
		.amdhsa_system_sgpr_private_segment_wavefront_offset 0
		.amdhsa_system_sgpr_workgroup_id_x 1
		.amdhsa_system_sgpr_workgroup_id_y 0
		.amdhsa_system_sgpr_workgroup_id_z 0
		.amdhsa_system_sgpr_workgroup_info 0
		.amdhsa_system_vgpr_workitem_id 0
		.amdhsa_next_free_vgpr 1
		.amdhsa_next_free_sgpr 0
		.amdhsa_accum_offset 4
		.amdhsa_reserve_vcc 0
		.amdhsa_reserve_flat_scratch 0
		.amdhsa_float_round_mode_32 0
		.amdhsa_float_round_mode_16_64 0
		.amdhsa_float_denorm_mode_32 3
		.amdhsa_float_denorm_mode_16_64 3
		.amdhsa_dx10_clamp 1
		.amdhsa_ieee_mode 1
		.amdhsa_fp16_overflow 0
		.amdhsa_tg_split 0
		.amdhsa_exception_fp_ieee_invalid_op 0
		.amdhsa_exception_fp_denorm_src 0
		.amdhsa_exception_fp_ieee_div_zero 0
		.amdhsa_exception_fp_ieee_overflow 0
		.amdhsa_exception_fp_ieee_underflow 0
		.amdhsa_exception_fp_ieee_inexact 0
		.amdhsa_exception_int_div_zero 0
	.end_amdhsa_kernel
	.section	.text._ZN7rocprim17ROCPRIM_400000_NS6detail17trampoline_kernelINS0_14default_configENS1_25transform_config_selectorIlLb0EEEZNS1_14transform_implILb0ES3_S5_PlN6thrust23THRUST_200600_302600_NS6detail15normal_iteratorINS9_10device_ptrIlEEEENS0_8identityIlEEEE10hipError_tT2_T3_mT4_P12ihipStream_tbEUlT_E_NS1_11comp_targetILNS1_3genE8ELNS1_11target_archE1030ELNS1_3gpuE2ELNS1_3repE0EEENS1_30default_config_static_selectorELNS0_4arch9wavefront6targetE1EEEvT1_,"axG",@progbits,_ZN7rocprim17ROCPRIM_400000_NS6detail17trampoline_kernelINS0_14default_configENS1_25transform_config_selectorIlLb0EEEZNS1_14transform_implILb0ES3_S5_PlN6thrust23THRUST_200600_302600_NS6detail15normal_iteratorINS9_10device_ptrIlEEEENS0_8identityIlEEEE10hipError_tT2_T3_mT4_P12ihipStream_tbEUlT_E_NS1_11comp_targetILNS1_3genE8ELNS1_11target_archE1030ELNS1_3gpuE2ELNS1_3repE0EEENS1_30default_config_static_selectorELNS0_4arch9wavefront6targetE1EEEvT1_,comdat
.Lfunc_end3294:
	.size	_ZN7rocprim17ROCPRIM_400000_NS6detail17trampoline_kernelINS0_14default_configENS1_25transform_config_selectorIlLb0EEEZNS1_14transform_implILb0ES3_S5_PlN6thrust23THRUST_200600_302600_NS6detail15normal_iteratorINS9_10device_ptrIlEEEENS0_8identityIlEEEE10hipError_tT2_T3_mT4_P12ihipStream_tbEUlT_E_NS1_11comp_targetILNS1_3genE8ELNS1_11target_archE1030ELNS1_3gpuE2ELNS1_3repE0EEENS1_30default_config_static_selectorELNS0_4arch9wavefront6targetE1EEEvT1_, .Lfunc_end3294-_ZN7rocprim17ROCPRIM_400000_NS6detail17trampoline_kernelINS0_14default_configENS1_25transform_config_selectorIlLb0EEEZNS1_14transform_implILb0ES3_S5_PlN6thrust23THRUST_200600_302600_NS6detail15normal_iteratorINS9_10device_ptrIlEEEENS0_8identityIlEEEE10hipError_tT2_T3_mT4_P12ihipStream_tbEUlT_E_NS1_11comp_targetILNS1_3genE8ELNS1_11target_archE1030ELNS1_3gpuE2ELNS1_3repE0EEENS1_30default_config_static_selectorELNS0_4arch9wavefront6targetE1EEEvT1_
                                        ; -- End function
	.section	.AMDGPU.csdata,"",@progbits
; Kernel info:
; codeLenInByte = 0
; NumSgprs: 4
; NumVgprs: 0
; NumAgprs: 0
; TotalNumVgprs: 0
; ScratchSize: 0
; MemoryBound: 0
; FloatMode: 240
; IeeeMode: 1
; LDSByteSize: 0 bytes/workgroup (compile time only)
; SGPRBlocks: 0
; VGPRBlocks: 0
; NumSGPRsForWavesPerEU: 4
; NumVGPRsForWavesPerEU: 1
; AccumOffset: 4
; Occupancy: 8
; WaveLimiterHint : 0
; COMPUTE_PGM_RSRC2:SCRATCH_EN: 0
; COMPUTE_PGM_RSRC2:USER_SGPR: 6
; COMPUTE_PGM_RSRC2:TRAP_HANDLER: 0
; COMPUTE_PGM_RSRC2:TGID_X_EN: 1
; COMPUTE_PGM_RSRC2:TGID_Y_EN: 0
; COMPUTE_PGM_RSRC2:TGID_Z_EN: 0
; COMPUTE_PGM_RSRC2:TIDIG_COMP_CNT: 0
; COMPUTE_PGM_RSRC3_GFX90A:ACCUM_OFFSET: 0
; COMPUTE_PGM_RSRC3_GFX90A:TG_SPLIT: 0
	.section	.text._ZN7rocprim17ROCPRIM_400000_NS6detail44device_merge_sort_compile_time_verifier_archINS1_11comp_targetILNS1_3genE0ELNS1_11target_archE4294967295ELNS1_3gpuE0ELNS1_3repE0EEES8_NS0_14default_configES9_NS1_37merge_sort_block_sort_config_selectorImNS0_10empty_typeEEENS1_38merge_sort_block_merge_config_selectorImSB_EEEEvv,"axG",@progbits,_ZN7rocprim17ROCPRIM_400000_NS6detail44device_merge_sort_compile_time_verifier_archINS1_11comp_targetILNS1_3genE0ELNS1_11target_archE4294967295ELNS1_3gpuE0ELNS1_3repE0EEES8_NS0_14default_configES9_NS1_37merge_sort_block_sort_config_selectorImNS0_10empty_typeEEENS1_38merge_sort_block_merge_config_selectorImSB_EEEEvv,comdat
	.protected	_ZN7rocprim17ROCPRIM_400000_NS6detail44device_merge_sort_compile_time_verifier_archINS1_11comp_targetILNS1_3genE0ELNS1_11target_archE4294967295ELNS1_3gpuE0ELNS1_3repE0EEES8_NS0_14default_configES9_NS1_37merge_sort_block_sort_config_selectorImNS0_10empty_typeEEENS1_38merge_sort_block_merge_config_selectorImSB_EEEEvv ; -- Begin function _ZN7rocprim17ROCPRIM_400000_NS6detail44device_merge_sort_compile_time_verifier_archINS1_11comp_targetILNS1_3genE0ELNS1_11target_archE4294967295ELNS1_3gpuE0ELNS1_3repE0EEES8_NS0_14default_configES9_NS1_37merge_sort_block_sort_config_selectorImNS0_10empty_typeEEENS1_38merge_sort_block_merge_config_selectorImSB_EEEEvv
	.globl	_ZN7rocprim17ROCPRIM_400000_NS6detail44device_merge_sort_compile_time_verifier_archINS1_11comp_targetILNS1_3genE0ELNS1_11target_archE4294967295ELNS1_3gpuE0ELNS1_3repE0EEES8_NS0_14default_configES9_NS1_37merge_sort_block_sort_config_selectorImNS0_10empty_typeEEENS1_38merge_sort_block_merge_config_selectorImSB_EEEEvv
	.p2align	8
	.type	_ZN7rocprim17ROCPRIM_400000_NS6detail44device_merge_sort_compile_time_verifier_archINS1_11comp_targetILNS1_3genE0ELNS1_11target_archE4294967295ELNS1_3gpuE0ELNS1_3repE0EEES8_NS0_14default_configES9_NS1_37merge_sort_block_sort_config_selectorImNS0_10empty_typeEEENS1_38merge_sort_block_merge_config_selectorImSB_EEEEvv,@function
_ZN7rocprim17ROCPRIM_400000_NS6detail44device_merge_sort_compile_time_verifier_archINS1_11comp_targetILNS1_3genE0ELNS1_11target_archE4294967295ELNS1_3gpuE0ELNS1_3repE0EEES8_NS0_14default_configES9_NS1_37merge_sort_block_sort_config_selectorImNS0_10empty_typeEEENS1_38merge_sort_block_merge_config_selectorImSB_EEEEvv: ; @_ZN7rocprim17ROCPRIM_400000_NS6detail44device_merge_sort_compile_time_verifier_archINS1_11comp_targetILNS1_3genE0ELNS1_11target_archE4294967295ELNS1_3gpuE0ELNS1_3repE0EEES8_NS0_14default_configES9_NS1_37merge_sort_block_sort_config_selectorImNS0_10empty_typeEEENS1_38merge_sort_block_merge_config_selectorImSB_EEEEvv
; %bb.0:
	s_endpgm
	.section	.rodata,"a",@progbits
	.p2align	6, 0x0
	.amdhsa_kernel _ZN7rocprim17ROCPRIM_400000_NS6detail44device_merge_sort_compile_time_verifier_archINS1_11comp_targetILNS1_3genE0ELNS1_11target_archE4294967295ELNS1_3gpuE0ELNS1_3repE0EEES8_NS0_14default_configES9_NS1_37merge_sort_block_sort_config_selectorImNS0_10empty_typeEEENS1_38merge_sort_block_merge_config_selectorImSB_EEEEvv
		.amdhsa_group_segment_fixed_size 0
		.amdhsa_private_segment_fixed_size 0
		.amdhsa_kernarg_size 0
		.amdhsa_user_sgpr_count 4
		.amdhsa_user_sgpr_private_segment_buffer 1
		.amdhsa_user_sgpr_dispatch_ptr 0
		.amdhsa_user_sgpr_queue_ptr 0
		.amdhsa_user_sgpr_kernarg_segment_ptr 0
		.amdhsa_user_sgpr_dispatch_id 0
		.amdhsa_user_sgpr_flat_scratch_init 0
		.amdhsa_user_sgpr_kernarg_preload_length 0
		.amdhsa_user_sgpr_kernarg_preload_offset 0
		.amdhsa_user_sgpr_private_segment_size 0
		.amdhsa_uses_dynamic_stack 0
		.amdhsa_system_sgpr_private_segment_wavefront_offset 0
		.amdhsa_system_sgpr_workgroup_id_x 1
		.amdhsa_system_sgpr_workgroup_id_y 0
		.amdhsa_system_sgpr_workgroup_id_z 0
		.amdhsa_system_sgpr_workgroup_info 0
		.amdhsa_system_vgpr_workitem_id 0
		.amdhsa_next_free_vgpr 1
		.amdhsa_next_free_sgpr 0
		.amdhsa_accum_offset 4
		.amdhsa_reserve_vcc 0
		.amdhsa_reserve_flat_scratch 0
		.amdhsa_float_round_mode_32 0
		.amdhsa_float_round_mode_16_64 0
		.amdhsa_float_denorm_mode_32 3
		.amdhsa_float_denorm_mode_16_64 3
		.amdhsa_dx10_clamp 1
		.amdhsa_ieee_mode 1
		.amdhsa_fp16_overflow 0
		.amdhsa_tg_split 0
		.amdhsa_exception_fp_ieee_invalid_op 0
		.amdhsa_exception_fp_denorm_src 0
		.amdhsa_exception_fp_ieee_div_zero 0
		.amdhsa_exception_fp_ieee_overflow 0
		.amdhsa_exception_fp_ieee_underflow 0
		.amdhsa_exception_fp_ieee_inexact 0
		.amdhsa_exception_int_div_zero 0
	.end_amdhsa_kernel
	.section	.text._ZN7rocprim17ROCPRIM_400000_NS6detail44device_merge_sort_compile_time_verifier_archINS1_11comp_targetILNS1_3genE0ELNS1_11target_archE4294967295ELNS1_3gpuE0ELNS1_3repE0EEES8_NS0_14default_configES9_NS1_37merge_sort_block_sort_config_selectorImNS0_10empty_typeEEENS1_38merge_sort_block_merge_config_selectorImSB_EEEEvv,"axG",@progbits,_ZN7rocprim17ROCPRIM_400000_NS6detail44device_merge_sort_compile_time_verifier_archINS1_11comp_targetILNS1_3genE0ELNS1_11target_archE4294967295ELNS1_3gpuE0ELNS1_3repE0EEES8_NS0_14default_configES9_NS1_37merge_sort_block_sort_config_selectorImNS0_10empty_typeEEENS1_38merge_sort_block_merge_config_selectorImSB_EEEEvv,comdat
.Lfunc_end3295:
	.size	_ZN7rocprim17ROCPRIM_400000_NS6detail44device_merge_sort_compile_time_verifier_archINS1_11comp_targetILNS1_3genE0ELNS1_11target_archE4294967295ELNS1_3gpuE0ELNS1_3repE0EEES8_NS0_14default_configES9_NS1_37merge_sort_block_sort_config_selectorImNS0_10empty_typeEEENS1_38merge_sort_block_merge_config_selectorImSB_EEEEvv, .Lfunc_end3295-_ZN7rocprim17ROCPRIM_400000_NS6detail44device_merge_sort_compile_time_verifier_archINS1_11comp_targetILNS1_3genE0ELNS1_11target_archE4294967295ELNS1_3gpuE0ELNS1_3repE0EEES8_NS0_14default_configES9_NS1_37merge_sort_block_sort_config_selectorImNS0_10empty_typeEEENS1_38merge_sort_block_merge_config_selectorImSB_EEEEvv
                                        ; -- End function
	.section	.AMDGPU.csdata,"",@progbits
; Kernel info:
; codeLenInByte = 4
; NumSgprs: 4
; NumVgprs: 0
; NumAgprs: 0
; TotalNumVgprs: 0
; ScratchSize: 0
; MemoryBound: 0
; FloatMode: 240
; IeeeMode: 1
; LDSByteSize: 0 bytes/workgroup (compile time only)
; SGPRBlocks: 0
; VGPRBlocks: 0
; NumSGPRsForWavesPerEU: 4
; NumVGPRsForWavesPerEU: 1
; AccumOffset: 4
; Occupancy: 8
; WaveLimiterHint : 0
; COMPUTE_PGM_RSRC2:SCRATCH_EN: 0
; COMPUTE_PGM_RSRC2:USER_SGPR: 4
; COMPUTE_PGM_RSRC2:TRAP_HANDLER: 0
; COMPUTE_PGM_RSRC2:TGID_X_EN: 1
; COMPUTE_PGM_RSRC2:TGID_Y_EN: 0
; COMPUTE_PGM_RSRC2:TGID_Z_EN: 0
; COMPUTE_PGM_RSRC2:TIDIG_COMP_CNT: 0
; COMPUTE_PGM_RSRC3_GFX90A:ACCUM_OFFSET: 0
; COMPUTE_PGM_RSRC3_GFX90A:TG_SPLIT: 0
	.section	.text._ZN7rocprim17ROCPRIM_400000_NS6detail44device_merge_sort_compile_time_verifier_archINS1_11comp_targetILNS1_3genE5ELNS1_11target_archE942ELNS1_3gpuE9ELNS1_3repE0EEES8_NS0_14default_configES9_NS1_37merge_sort_block_sort_config_selectorImNS0_10empty_typeEEENS1_38merge_sort_block_merge_config_selectorImSB_EEEEvv,"axG",@progbits,_ZN7rocprim17ROCPRIM_400000_NS6detail44device_merge_sort_compile_time_verifier_archINS1_11comp_targetILNS1_3genE5ELNS1_11target_archE942ELNS1_3gpuE9ELNS1_3repE0EEES8_NS0_14default_configES9_NS1_37merge_sort_block_sort_config_selectorImNS0_10empty_typeEEENS1_38merge_sort_block_merge_config_selectorImSB_EEEEvv,comdat
	.protected	_ZN7rocprim17ROCPRIM_400000_NS6detail44device_merge_sort_compile_time_verifier_archINS1_11comp_targetILNS1_3genE5ELNS1_11target_archE942ELNS1_3gpuE9ELNS1_3repE0EEES8_NS0_14default_configES9_NS1_37merge_sort_block_sort_config_selectorImNS0_10empty_typeEEENS1_38merge_sort_block_merge_config_selectorImSB_EEEEvv ; -- Begin function _ZN7rocprim17ROCPRIM_400000_NS6detail44device_merge_sort_compile_time_verifier_archINS1_11comp_targetILNS1_3genE5ELNS1_11target_archE942ELNS1_3gpuE9ELNS1_3repE0EEES8_NS0_14default_configES9_NS1_37merge_sort_block_sort_config_selectorImNS0_10empty_typeEEENS1_38merge_sort_block_merge_config_selectorImSB_EEEEvv
	.globl	_ZN7rocprim17ROCPRIM_400000_NS6detail44device_merge_sort_compile_time_verifier_archINS1_11comp_targetILNS1_3genE5ELNS1_11target_archE942ELNS1_3gpuE9ELNS1_3repE0EEES8_NS0_14default_configES9_NS1_37merge_sort_block_sort_config_selectorImNS0_10empty_typeEEENS1_38merge_sort_block_merge_config_selectorImSB_EEEEvv
	.p2align	8
	.type	_ZN7rocprim17ROCPRIM_400000_NS6detail44device_merge_sort_compile_time_verifier_archINS1_11comp_targetILNS1_3genE5ELNS1_11target_archE942ELNS1_3gpuE9ELNS1_3repE0EEES8_NS0_14default_configES9_NS1_37merge_sort_block_sort_config_selectorImNS0_10empty_typeEEENS1_38merge_sort_block_merge_config_selectorImSB_EEEEvv,@function
_ZN7rocprim17ROCPRIM_400000_NS6detail44device_merge_sort_compile_time_verifier_archINS1_11comp_targetILNS1_3genE5ELNS1_11target_archE942ELNS1_3gpuE9ELNS1_3repE0EEES8_NS0_14default_configES9_NS1_37merge_sort_block_sort_config_selectorImNS0_10empty_typeEEENS1_38merge_sort_block_merge_config_selectorImSB_EEEEvv: ; @_ZN7rocprim17ROCPRIM_400000_NS6detail44device_merge_sort_compile_time_verifier_archINS1_11comp_targetILNS1_3genE5ELNS1_11target_archE942ELNS1_3gpuE9ELNS1_3repE0EEES8_NS0_14default_configES9_NS1_37merge_sort_block_sort_config_selectorImNS0_10empty_typeEEENS1_38merge_sort_block_merge_config_selectorImSB_EEEEvv
; %bb.0:
	s_endpgm
	.section	.rodata,"a",@progbits
	.p2align	6, 0x0
	.amdhsa_kernel _ZN7rocprim17ROCPRIM_400000_NS6detail44device_merge_sort_compile_time_verifier_archINS1_11comp_targetILNS1_3genE5ELNS1_11target_archE942ELNS1_3gpuE9ELNS1_3repE0EEES8_NS0_14default_configES9_NS1_37merge_sort_block_sort_config_selectorImNS0_10empty_typeEEENS1_38merge_sort_block_merge_config_selectorImSB_EEEEvv
		.amdhsa_group_segment_fixed_size 0
		.amdhsa_private_segment_fixed_size 0
		.amdhsa_kernarg_size 0
		.amdhsa_user_sgpr_count 4
		.amdhsa_user_sgpr_private_segment_buffer 1
		.amdhsa_user_sgpr_dispatch_ptr 0
		.amdhsa_user_sgpr_queue_ptr 0
		.amdhsa_user_sgpr_kernarg_segment_ptr 0
		.amdhsa_user_sgpr_dispatch_id 0
		.amdhsa_user_sgpr_flat_scratch_init 0
		.amdhsa_user_sgpr_kernarg_preload_length 0
		.amdhsa_user_sgpr_kernarg_preload_offset 0
		.amdhsa_user_sgpr_private_segment_size 0
		.amdhsa_uses_dynamic_stack 0
		.amdhsa_system_sgpr_private_segment_wavefront_offset 0
		.amdhsa_system_sgpr_workgroup_id_x 1
		.amdhsa_system_sgpr_workgroup_id_y 0
		.amdhsa_system_sgpr_workgroup_id_z 0
		.amdhsa_system_sgpr_workgroup_info 0
		.amdhsa_system_vgpr_workitem_id 0
		.amdhsa_next_free_vgpr 1
		.amdhsa_next_free_sgpr 0
		.amdhsa_accum_offset 4
		.amdhsa_reserve_vcc 0
		.amdhsa_reserve_flat_scratch 0
		.amdhsa_float_round_mode_32 0
		.amdhsa_float_round_mode_16_64 0
		.amdhsa_float_denorm_mode_32 3
		.amdhsa_float_denorm_mode_16_64 3
		.amdhsa_dx10_clamp 1
		.amdhsa_ieee_mode 1
		.amdhsa_fp16_overflow 0
		.amdhsa_tg_split 0
		.amdhsa_exception_fp_ieee_invalid_op 0
		.amdhsa_exception_fp_denorm_src 0
		.amdhsa_exception_fp_ieee_div_zero 0
		.amdhsa_exception_fp_ieee_overflow 0
		.amdhsa_exception_fp_ieee_underflow 0
		.amdhsa_exception_fp_ieee_inexact 0
		.amdhsa_exception_int_div_zero 0
	.end_amdhsa_kernel
	.section	.text._ZN7rocprim17ROCPRIM_400000_NS6detail44device_merge_sort_compile_time_verifier_archINS1_11comp_targetILNS1_3genE5ELNS1_11target_archE942ELNS1_3gpuE9ELNS1_3repE0EEES8_NS0_14default_configES9_NS1_37merge_sort_block_sort_config_selectorImNS0_10empty_typeEEENS1_38merge_sort_block_merge_config_selectorImSB_EEEEvv,"axG",@progbits,_ZN7rocprim17ROCPRIM_400000_NS6detail44device_merge_sort_compile_time_verifier_archINS1_11comp_targetILNS1_3genE5ELNS1_11target_archE942ELNS1_3gpuE9ELNS1_3repE0EEES8_NS0_14default_configES9_NS1_37merge_sort_block_sort_config_selectorImNS0_10empty_typeEEENS1_38merge_sort_block_merge_config_selectorImSB_EEEEvv,comdat
.Lfunc_end3296:
	.size	_ZN7rocprim17ROCPRIM_400000_NS6detail44device_merge_sort_compile_time_verifier_archINS1_11comp_targetILNS1_3genE5ELNS1_11target_archE942ELNS1_3gpuE9ELNS1_3repE0EEES8_NS0_14default_configES9_NS1_37merge_sort_block_sort_config_selectorImNS0_10empty_typeEEENS1_38merge_sort_block_merge_config_selectorImSB_EEEEvv, .Lfunc_end3296-_ZN7rocprim17ROCPRIM_400000_NS6detail44device_merge_sort_compile_time_verifier_archINS1_11comp_targetILNS1_3genE5ELNS1_11target_archE942ELNS1_3gpuE9ELNS1_3repE0EEES8_NS0_14default_configES9_NS1_37merge_sort_block_sort_config_selectorImNS0_10empty_typeEEENS1_38merge_sort_block_merge_config_selectorImSB_EEEEvv
                                        ; -- End function
	.section	.AMDGPU.csdata,"",@progbits
; Kernel info:
; codeLenInByte = 4
; NumSgprs: 4
; NumVgprs: 0
; NumAgprs: 0
; TotalNumVgprs: 0
; ScratchSize: 0
; MemoryBound: 0
; FloatMode: 240
; IeeeMode: 1
; LDSByteSize: 0 bytes/workgroup (compile time only)
; SGPRBlocks: 0
; VGPRBlocks: 0
; NumSGPRsForWavesPerEU: 4
; NumVGPRsForWavesPerEU: 1
; AccumOffset: 4
; Occupancy: 8
; WaveLimiterHint : 0
; COMPUTE_PGM_RSRC2:SCRATCH_EN: 0
; COMPUTE_PGM_RSRC2:USER_SGPR: 4
; COMPUTE_PGM_RSRC2:TRAP_HANDLER: 0
; COMPUTE_PGM_RSRC2:TGID_X_EN: 1
; COMPUTE_PGM_RSRC2:TGID_Y_EN: 0
; COMPUTE_PGM_RSRC2:TGID_Z_EN: 0
; COMPUTE_PGM_RSRC2:TIDIG_COMP_CNT: 0
; COMPUTE_PGM_RSRC3_GFX90A:ACCUM_OFFSET: 0
; COMPUTE_PGM_RSRC3_GFX90A:TG_SPLIT: 0
	.section	.text._ZN7rocprim17ROCPRIM_400000_NS6detail44device_merge_sort_compile_time_verifier_archINS1_11comp_targetILNS1_3genE4ELNS1_11target_archE910ELNS1_3gpuE8ELNS1_3repE0EEES8_NS0_14default_configES9_NS1_37merge_sort_block_sort_config_selectorImNS0_10empty_typeEEENS1_38merge_sort_block_merge_config_selectorImSB_EEEEvv,"axG",@progbits,_ZN7rocprim17ROCPRIM_400000_NS6detail44device_merge_sort_compile_time_verifier_archINS1_11comp_targetILNS1_3genE4ELNS1_11target_archE910ELNS1_3gpuE8ELNS1_3repE0EEES8_NS0_14default_configES9_NS1_37merge_sort_block_sort_config_selectorImNS0_10empty_typeEEENS1_38merge_sort_block_merge_config_selectorImSB_EEEEvv,comdat
	.protected	_ZN7rocprim17ROCPRIM_400000_NS6detail44device_merge_sort_compile_time_verifier_archINS1_11comp_targetILNS1_3genE4ELNS1_11target_archE910ELNS1_3gpuE8ELNS1_3repE0EEES8_NS0_14default_configES9_NS1_37merge_sort_block_sort_config_selectorImNS0_10empty_typeEEENS1_38merge_sort_block_merge_config_selectorImSB_EEEEvv ; -- Begin function _ZN7rocprim17ROCPRIM_400000_NS6detail44device_merge_sort_compile_time_verifier_archINS1_11comp_targetILNS1_3genE4ELNS1_11target_archE910ELNS1_3gpuE8ELNS1_3repE0EEES8_NS0_14default_configES9_NS1_37merge_sort_block_sort_config_selectorImNS0_10empty_typeEEENS1_38merge_sort_block_merge_config_selectorImSB_EEEEvv
	.globl	_ZN7rocprim17ROCPRIM_400000_NS6detail44device_merge_sort_compile_time_verifier_archINS1_11comp_targetILNS1_3genE4ELNS1_11target_archE910ELNS1_3gpuE8ELNS1_3repE0EEES8_NS0_14default_configES9_NS1_37merge_sort_block_sort_config_selectorImNS0_10empty_typeEEENS1_38merge_sort_block_merge_config_selectorImSB_EEEEvv
	.p2align	8
	.type	_ZN7rocprim17ROCPRIM_400000_NS6detail44device_merge_sort_compile_time_verifier_archINS1_11comp_targetILNS1_3genE4ELNS1_11target_archE910ELNS1_3gpuE8ELNS1_3repE0EEES8_NS0_14default_configES9_NS1_37merge_sort_block_sort_config_selectorImNS0_10empty_typeEEENS1_38merge_sort_block_merge_config_selectorImSB_EEEEvv,@function
_ZN7rocprim17ROCPRIM_400000_NS6detail44device_merge_sort_compile_time_verifier_archINS1_11comp_targetILNS1_3genE4ELNS1_11target_archE910ELNS1_3gpuE8ELNS1_3repE0EEES8_NS0_14default_configES9_NS1_37merge_sort_block_sort_config_selectorImNS0_10empty_typeEEENS1_38merge_sort_block_merge_config_selectorImSB_EEEEvv: ; @_ZN7rocprim17ROCPRIM_400000_NS6detail44device_merge_sort_compile_time_verifier_archINS1_11comp_targetILNS1_3genE4ELNS1_11target_archE910ELNS1_3gpuE8ELNS1_3repE0EEES8_NS0_14default_configES9_NS1_37merge_sort_block_sort_config_selectorImNS0_10empty_typeEEENS1_38merge_sort_block_merge_config_selectorImSB_EEEEvv
; %bb.0:
	s_endpgm
	.section	.rodata,"a",@progbits
	.p2align	6, 0x0
	.amdhsa_kernel _ZN7rocprim17ROCPRIM_400000_NS6detail44device_merge_sort_compile_time_verifier_archINS1_11comp_targetILNS1_3genE4ELNS1_11target_archE910ELNS1_3gpuE8ELNS1_3repE0EEES8_NS0_14default_configES9_NS1_37merge_sort_block_sort_config_selectorImNS0_10empty_typeEEENS1_38merge_sort_block_merge_config_selectorImSB_EEEEvv
		.amdhsa_group_segment_fixed_size 0
		.amdhsa_private_segment_fixed_size 0
		.amdhsa_kernarg_size 0
		.amdhsa_user_sgpr_count 4
		.amdhsa_user_sgpr_private_segment_buffer 1
		.amdhsa_user_sgpr_dispatch_ptr 0
		.amdhsa_user_sgpr_queue_ptr 0
		.amdhsa_user_sgpr_kernarg_segment_ptr 0
		.amdhsa_user_sgpr_dispatch_id 0
		.amdhsa_user_sgpr_flat_scratch_init 0
		.amdhsa_user_sgpr_kernarg_preload_length 0
		.amdhsa_user_sgpr_kernarg_preload_offset 0
		.amdhsa_user_sgpr_private_segment_size 0
		.amdhsa_uses_dynamic_stack 0
		.amdhsa_system_sgpr_private_segment_wavefront_offset 0
		.amdhsa_system_sgpr_workgroup_id_x 1
		.amdhsa_system_sgpr_workgroup_id_y 0
		.amdhsa_system_sgpr_workgroup_id_z 0
		.amdhsa_system_sgpr_workgroup_info 0
		.amdhsa_system_vgpr_workitem_id 0
		.amdhsa_next_free_vgpr 1
		.amdhsa_next_free_sgpr 0
		.amdhsa_accum_offset 4
		.amdhsa_reserve_vcc 0
		.amdhsa_reserve_flat_scratch 0
		.amdhsa_float_round_mode_32 0
		.amdhsa_float_round_mode_16_64 0
		.amdhsa_float_denorm_mode_32 3
		.amdhsa_float_denorm_mode_16_64 3
		.amdhsa_dx10_clamp 1
		.amdhsa_ieee_mode 1
		.amdhsa_fp16_overflow 0
		.amdhsa_tg_split 0
		.amdhsa_exception_fp_ieee_invalid_op 0
		.amdhsa_exception_fp_denorm_src 0
		.amdhsa_exception_fp_ieee_div_zero 0
		.amdhsa_exception_fp_ieee_overflow 0
		.amdhsa_exception_fp_ieee_underflow 0
		.amdhsa_exception_fp_ieee_inexact 0
		.amdhsa_exception_int_div_zero 0
	.end_amdhsa_kernel
	.section	.text._ZN7rocprim17ROCPRIM_400000_NS6detail44device_merge_sort_compile_time_verifier_archINS1_11comp_targetILNS1_3genE4ELNS1_11target_archE910ELNS1_3gpuE8ELNS1_3repE0EEES8_NS0_14default_configES9_NS1_37merge_sort_block_sort_config_selectorImNS0_10empty_typeEEENS1_38merge_sort_block_merge_config_selectorImSB_EEEEvv,"axG",@progbits,_ZN7rocprim17ROCPRIM_400000_NS6detail44device_merge_sort_compile_time_verifier_archINS1_11comp_targetILNS1_3genE4ELNS1_11target_archE910ELNS1_3gpuE8ELNS1_3repE0EEES8_NS0_14default_configES9_NS1_37merge_sort_block_sort_config_selectorImNS0_10empty_typeEEENS1_38merge_sort_block_merge_config_selectorImSB_EEEEvv,comdat
.Lfunc_end3297:
	.size	_ZN7rocprim17ROCPRIM_400000_NS6detail44device_merge_sort_compile_time_verifier_archINS1_11comp_targetILNS1_3genE4ELNS1_11target_archE910ELNS1_3gpuE8ELNS1_3repE0EEES8_NS0_14default_configES9_NS1_37merge_sort_block_sort_config_selectorImNS0_10empty_typeEEENS1_38merge_sort_block_merge_config_selectorImSB_EEEEvv, .Lfunc_end3297-_ZN7rocprim17ROCPRIM_400000_NS6detail44device_merge_sort_compile_time_verifier_archINS1_11comp_targetILNS1_3genE4ELNS1_11target_archE910ELNS1_3gpuE8ELNS1_3repE0EEES8_NS0_14default_configES9_NS1_37merge_sort_block_sort_config_selectorImNS0_10empty_typeEEENS1_38merge_sort_block_merge_config_selectorImSB_EEEEvv
                                        ; -- End function
	.section	.AMDGPU.csdata,"",@progbits
; Kernel info:
; codeLenInByte = 4
; NumSgprs: 4
; NumVgprs: 0
; NumAgprs: 0
; TotalNumVgprs: 0
; ScratchSize: 0
; MemoryBound: 0
; FloatMode: 240
; IeeeMode: 1
; LDSByteSize: 0 bytes/workgroup (compile time only)
; SGPRBlocks: 0
; VGPRBlocks: 0
; NumSGPRsForWavesPerEU: 4
; NumVGPRsForWavesPerEU: 1
; AccumOffset: 4
; Occupancy: 8
; WaveLimiterHint : 0
; COMPUTE_PGM_RSRC2:SCRATCH_EN: 0
; COMPUTE_PGM_RSRC2:USER_SGPR: 4
; COMPUTE_PGM_RSRC2:TRAP_HANDLER: 0
; COMPUTE_PGM_RSRC2:TGID_X_EN: 1
; COMPUTE_PGM_RSRC2:TGID_Y_EN: 0
; COMPUTE_PGM_RSRC2:TGID_Z_EN: 0
; COMPUTE_PGM_RSRC2:TIDIG_COMP_CNT: 0
; COMPUTE_PGM_RSRC3_GFX90A:ACCUM_OFFSET: 0
; COMPUTE_PGM_RSRC3_GFX90A:TG_SPLIT: 0
	.section	.text._ZN7rocprim17ROCPRIM_400000_NS6detail44device_merge_sort_compile_time_verifier_archINS1_11comp_targetILNS1_3genE3ELNS1_11target_archE908ELNS1_3gpuE7ELNS1_3repE0EEES8_NS0_14default_configES9_NS1_37merge_sort_block_sort_config_selectorImNS0_10empty_typeEEENS1_38merge_sort_block_merge_config_selectorImSB_EEEEvv,"axG",@progbits,_ZN7rocprim17ROCPRIM_400000_NS6detail44device_merge_sort_compile_time_verifier_archINS1_11comp_targetILNS1_3genE3ELNS1_11target_archE908ELNS1_3gpuE7ELNS1_3repE0EEES8_NS0_14default_configES9_NS1_37merge_sort_block_sort_config_selectorImNS0_10empty_typeEEENS1_38merge_sort_block_merge_config_selectorImSB_EEEEvv,comdat
	.protected	_ZN7rocprim17ROCPRIM_400000_NS6detail44device_merge_sort_compile_time_verifier_archINS1_11comp_targetILNS1_3genE3ELNS1_11target_archE908ELNS1_3gpuE7ELNS1_3repE0EEES8_NS0_14default_configES9_NS1_37merge_sort_block_sort_config_selectorImNS0_10empty_typeEEENS1_38merge_sort_block_merge_config_selectorImSB_EEEEvv ; -- Begin function _ZN7rocprim17ROCPRIM_400000_NS6detail44device_merge_sort_compile_time_verifier_archINS1_11comp_targetILNS1_3genE3ELNS1_11target_archE908ELNS1_3gpuE7ELNS1_3repE0EEES8_NS0_14default_configES9_NS1_37merge_sort_block_sort_config_selectorImNS0_10empty_typeEEENS1_38merge_sort_block_merge_config_selectorImSB_EEEEvv
	.globl	_ZN7rocprim17ROCPRIM_400000_NS6detail44device_merge_sort_compile_time_verifier_archINS1_11comp_targetILNS1_3genE3ELNS1_11target_archE908ELNS1_3gpuE7ELNS1_3repE0EEES8_NS0_14default_configES9_NS1_37merge_sort_block_sort_config_selectorImNS0_10empty_typeEEENS1_38merge_sort_block_merge_config_selectorImSB_EEEEvv
	.p2align	8
	.type	_ZN7rocprim17ROCPRIM_400000_NS6detail44device_merge_sort_compile_time_verifier_archINS1_11comp_targetILNS1_3genE3ELNS1_11target_archE908ELNS1_3gpuE7ELNS1_3repE0EEES8_NS0_14default_configES9_NS1_37merge_sort_block_sort_config_selectorImNS0_10empty_typeEEENS1_38merge_sort_block_merge_config_selectorImSB_EEEEvv,@function
_ZN7rocprim17ROCPRIM_400000_NS6detail44device_merge_sort_compile_time_verifier_archINS1_11comp_targetILNS1_3genE3ELNS1_11target_archE908ELNS1_3gpuE7ELNS1_3repE0EEES8_NS0_14default_configES9_NS1_37merge_sort_block_sort_config_selectorImNS0_10empty_typeEEENS1_38merge_sort_block_merge_config_selectorImSB_EEEEvv: ; @_ZN7rocprim17ROCPRIM_400000_NS6detail44device_merge_sort_compile_time_verifier_archINS1_11comp_targetILNS1_3genE3ELNS1_11target_archE908ELNS1_3gpuE7ELNS1_3repE0EEES8_NS0_14default_configES9_NS1_37merge_sort_block_sort_config_selectorImNS0_10empty_typeEEENS1_38merge_sort_block_merge_config_selectorImSB_EEEEvv
; %bb.0:
	s_endpgm
	.section	.rodata,"a",@progbits
	.p2align	6, 0x0
	.amdhsa_kernel _ZN7rocprim17ROCPRIM_400000_NS6detail44device_merge_sort_compile_time_verifier_archINS1_11comp_targetILNS1_3genE3ELNS1_11target_archE908ELNS1_3gpuE7ELNS1_3repE0EEES8_NS0_14default_configES9_NS1_37merge_sort_block_sort_config_selectorImNS0_10empty_typeEEENS1_38merge_sort_block_merge_config_selectorImSB_EEEEvv
		.amdhsa_group_segment_fixed_size 0
		.amdhsa_private_segment_fixed_size 0
		.amdhsa_kernarg_size 0
		.amdhsa_user_sgpr_count 4
		.amdhsa_user_sgpr_private_segment_buffer 1
		.amdhsa_user_sgpr_dispatch_ptr 0
		.amdhsa_user_sgpr_queue_ptr 0
		.amdhsa_user_sgpr_kernarg_segment_ptr 0
		.amdhsa_user_sgpr_dispatch_id 0
		.amdhsa_user_sgpr_flat_scratch_init 0
		.amdhsa_user_sgpr_kernarg_preload_length 0
		.amdhsa_user_sgpr_kernarg_preload_offset 0
		.amdhsa_user_sgpr_private_segment_size 0
		.amdhsa_uses_dynamic_stack 0
		.amdhsa_system_sgpr_private_segment_wavefront_offset 0
		.amdhsa_system_sgpr_workgroup_id_x 1
		.amdhsa_system_sgpr_workgroup_id_y 0
		.amdhsa_system_sgpr_workgroup_id_z 0
		.amdhsa_system_sgpr_workgroup_info 0
		.amdhsa_system_vgpr_workitem_id 0
		.amdhsa_next_free_vgpr 1
		.amdhsa_next_free_sgpr 0
		.amdhsa_accum_offset 4
		.amdhsa_reserve_vcc 0
		.amdhsa_reserve_flat_scratch 0
		.amdhsa_float_round_mode_32 0
		.amdhsa_float_round_mode_16_64 0
		.amdhsa_float_denorm_mode_32 3
		.amdhsa_float_denorm_mode_16_64 3
		.amdhsa_dx10_clamp 1
		.amdhsa_ieee_mode 1
		.amdhsa_fp16_overflow 0
		.amdhsa_tg_split 0
		.amdhsa_exception_fp_ieee_invalid_op 0
		.amdhsa_exception_fp_denorm_src 0
		.amdhsa_exception_fp_ieee_div_zero 0
		.amdhsa_exception_fp_ieee_overflow 0
		.amdhsa_exception_fp_ieee_underflow 0
		.amdhsa_exception_fp_ieee_inexact 0
		.amdhsa_exception_int_div_zero 0
	.end_amdhsa_kernel
	.section	.text._ZN7rocprim17ROCPRIM_400000_NS6detail44device_merge_sort_compile_time_verifier_archINS1_11comp_targetILNS1_3genE3ELNS1_11target_archE908ELNS1_3gpuE7ELNS1_3repE0EEES8_NS0_14default_configES9_NS1_37merge_sort_block_sort_config_selectorImNS0_10empty_typeEEENS1_38merge_sort_block_merge_config_selectorImSB_EEEEvv,"axG",@progbits,_ZN7rocprim17ROCPRIM_400000_NS6detail44device_merge_sort_compile_time_verifier_archINS1_11comp_targetILNS1_3genE3ELNS1_11target_archE908ELNS1_3gpuE7ELNS1_3repE0EEES8_NS0_14default_configES9_NS1_37merge_sort_block_sort_config_selectorImNS0_10empty_typeEEENS1_38merge_sort_block_merge_config_selectorImSB_EEEEvv,comdat
.Lfunc_end3298:
	.size	_ZN7rocprim17ROCPRIM_400000_NS6detail44device_merge_sort_compile_time_verifier_archINS1_11comp_targetILNS1_3genE3ELNS1_11target_archE908ELNS1_3gpuE7ELNS1_3repE0EEES8_NS0_14default_configES9_NS1_37merge_sort_block_sort_config_selectorImNS0_10empty_typeEEENS1_38merge_sort_block_merge_config_selectorImSB_EEEEvv, .Lfunc_end3298-_ZN7rocprim17ROCPRIM_400000_NS6detail44device_merge_sort_compile_time_verifier_archINS1_11comp_targetILNS1_3genE3ELNS1_11target_archE908ELNS1_3gpuE7ELNS1_3repE0EEES8_NS0_14default_configES9_NS1_37merge_sort_block_sort_config_selectorImNS0_10empty_typeEEENS1_38merge_sort_block_merge_config_selectorImSB_EEEEvv
                                        ; -- End function
	.section	.AMDGPU.csdata,"",@progbits
; Kernel info:
; codeLenInByte = 4
; NumSgprs: 4
; NumVgprs: 0
; NumAgprs: 0
; TotalNumVgprs: 0
; ScratchSize: 0
; MemoryBound: 0
; FloatMode: 240
; IeeeMode: 1
; LDSByteSize: 0 bytes/workgroup (compile time only)
; SGPRBlocks: 0
; VGPRBlocks: 0
; NumSGPRsForWavesPerEU: 4
; NumVGPRsForWavesPerEU: 1
; AccumOffset: 4
; Occupancy: 8
; WaveLimiterHint : 0
; COMPUTE_PGM_RSRC2:SCRATCH_EN: 0
; COMPUTE_PGM_RSRC2:USER_SGPR: 4
; COMPUTE_PGM_RSRC2:TRAP_HANDLER: 0
; COMPUTE_PGM_RSRC2:TGID_X_EN: 1
; COMPUTE_PGM_RSRC2:TGID_Y_EN: 0
; COMPUTE_PGM_RSRC2:TGID_Z_EN: 0
; COMPUTE_PGM_RSRC2:TIDIG_COMP_CNT: 0
; COMPUTE_PGM_RSRC3_GFX90A:ACCUM_OFFSET: 0
; COMPUTE_PGM_RSRC3_GFX90A:TG_SPLIT: 0
	.section	.text._ZN7rocprim17ROCPRIM_400000_NS6detail44device_merge_sort_compile_time_verifier_archINS1_11comp_targetILNS1_3genE2ELNS1_11target_archE906ELNS1_3gpuE6ELNS1_3repE0EEES8_NS0_14default_configES9_NS1_37merge_sort_block_sort_config_selectorImNS0_10empty_typeEEENS1_38merge_sort_block_merge_config_selectorImSB_EEEEvv,"axG",@progbits,_ZN7rocprim17ROCPRIM_400000_NS6detail44device_merge_sort_compile_time_verifier_archINS1_11comp_targetILNS1_3genE2ELNS1_11target_archE906ELNS1_3gpuE6ELNS1_3repE0EEES8_NS0_14default_configES9_NS1_37merge_sort_block_sort_config_selectorImNS0_10empty_typeEEENS1_38merge_sort_block_merge_config_selectorImSB_EEEEvv,comdat
	.protected	_ZN7rocprim17ROCPRIM_400000_NS6detail44device_merge_sort_compile_time_verifier_archINS1_11comp_targetILNS1_3genE2ELNS1_11target_archE906ELNS1_3gpuE6ELNS1_3repE0EEES8_NS0_14default_configES9_NS1_37merge_sort_block_sort_config_selectorImNS0_10empty_typeEEENS1_38merge_sort_block_merge_config_selectorImSB_EEEEvv ; -- Begin function _ZN7rocprim17ROCPRIM_400000_NS6detail44device_merge_sort_compile_time_verifier_archINS1_11comp_targetILNS1_3genE2ELNS1_11target_archE906ELNS1_3gpuE6ELNS1_3repE0EEES8_NS0_14default_configES9_NS1_37merge_sort_block_sort_config_selectorImNS0_10empty_typeEEENS1_38merge_sort_block_merge_config_selectorImSB_EEEEvv
	.globl	_ZN7rocprim17ROCPRIM_400000_NS6detail44device_merge_sort_compile_time_verifier_archINS1_11comp_targetILNS1_3genE2ELNS1_11target_archE906ELNS1_3gpuE6ELNS1_3repE0EEES8_NS0_14default_configES9_NS1_37merge_sort_block_sort_config_selectorImNS0_10empty_typeEEENS1_38merge_sort_block_merge_config_selectorImSB_EEEEvv
	.p2align	8
	.type	_ZN7rocprim17ROCPRIM_400000_NS6detail44device_merge_sort_compile_time_verifier_archINS1_11comp_targetILNS1_3genE2ELNS1_11target_archE906ELNS1_3gpuE6ELNS1_3repE0EEES8_NS0_14default_configES9_NS1_37merge_sort_block_sort_config_selectorImNS0_10empty_typeEEENS1_38merge_sort_block_merge_config_selectorImSB_EEEEvv,@function
_ZN7rocprim17ROCPRIM_400000_NS6detail44device_merge_sort_compile_time_verifier_archINS1_11comp_targetILNS1_3genE2ELNS1_11target_archE906ELNS1_3gpuE6ELNS1_3repE0EEES8_NS0_14default_configES9_NS1_37merge_sort_block_sort_config_selectorImNS0_10empty_typeEEENS1_38merge_sort_block_merge_config_selectorImSB_EEEEvv: ; @_ZN7rocprim17ROCPRIM_400000_NS6detail44device_merge_sort_compile_time_verifier_archINS1_11comp_targetILNS1_3genE2ELNS1_11target_archE906ELNS1_3gpuE6ELNS1_3repE0EEES8_NS0_14default_configES9_NS1_37merge_sort_block_sort_config_selectorImNS0_10empty_typeEEENS1_38merge_sort_block_merge_config_selectorImSB_EEEEvv
; %bb.0:
	s_endpgm
	.section	.rodata,"a",@progbits
	.p2align	6, 0x0
	.amdhsa_kernel _ZN7rocprim17ROCPRIM_400000_NS6detail44device_merge_sort_compile_time_verifier_archINS1_11comp_targetILNS1_3genE2ELNS1_11target_archE906ELNS1_3gpuE6ELNS1_3repE0EEES8_NS0_14default_configES9_NS1_37merge_sort_block_sort_config_selectorImNS0_10empty_typeEEENS1_38merge_sort_block_merge_config_selectorImSB_EEEEvv
		.amdhsa_group_segment_fixed_size 0
		.amdhsa_private_segment_fixed_size 0
		.amdhsa_kernarg_size 0
		.amdhsa_user_sgpr_count 4
		.amdhsa_user_sgpr_private_segment_buffer 1
		.amdhsa_user_sgpr_dispatch_ptr 0
		.amdhsa_user_sgpr_queue_ptr 0
		.amdhsa_user_sgpr_kernarg_segment_ptr 0
		.amdhsa_user_sgpr_dispatch_id 0
		.amdhsa_user_sgpr_flat_scratch_init 0
		.amdhsa_user_sgpr_kernarg_preload_length 0
		.amdhsa_user_sgpr_kernarg_preload_offset 0
		.amdhsa_user_sgpr_private_segment_size 0
		.amdhsa_uses_dynamic_stack 0
		.amdhsa_system_sgpr_private_segment_wavefront_offset 0
		.amdhsa_system_sgpr_workgroup_id_x 1
		.amdhsa_system_sgpr_workgroup_id_y 0
		.amdhsa_system_sgpr_workgroup_id_z 0
		.amdhsa_system_sgpr_workgroup_info 0
		.amdhsa_system_vgpr_workitem_id 0
		.amdhsa_next_free_vgpr 1
		.amdhsa_next_free_sgpr 0
		.amdhsa_accum_offset 4
		.amdhsa_reserve_vcc 0
		.amdhsa_reserve_flat_scratch 0
		.amdhsa_float_round_mode_32 0
		.amdhsa_float_round_mode_16_64 0
		.amdhsa_float_denorm_mode_32 3
		.amdhsa_float_denorm_mode_16_64 3
		.amdhsa_dx10_clamp 1
		.amdhsa_ieee_mode 1
		.amdhsa_fp16_overflow 0
		.amdhsa_tg_split 0
		.amdhsa_exception_fp_ieee_invalid_op 0
		.amdhsa_exception_fp_denorm_src 0
		.amdhsa_exception_fp_ieee_div_zero 0
		.amdhsa_exception_fp_ieee_overflow 0
		.amdhsa_exception_fp_ieee_underflow 0
		.amdhsa_exception_fp_ieee_inexact 0
		.amdhsa_exception_int_div_zero 0
	.end_amdhsa_kernel
	.section	.text._ZN7rocprim17ROCPRIM_400000_NS6detail44device_merge_sort_compile_time_verifier_archINS1_11comp_targetILNS1_3genE2ELNS1_11target_archE906ELNS1_3gpuE6ELNS1_3repE0EEES8_NS0_14default_configES9_NS1_37merge_sort_block_sort_config_selectorImNS0_10empty_typeEEENS1_38merge_sort_block_merge_config_selectorImSB_EEEEvv,"axG",@progbits,_ZN7rocprim17ROCPRIM_400000_NS6detail44device_merge_sort_compile_time_verifier_archINS1_11comp_targetILNS1_3genE2ELNS1_11target_archE906ELNS1_3gpuE6ELNS1_3repE0EEES8_NS0_14default_configES9_NS1_37merge_sort_block_sort_config_selectorImNS0_10empty_typeEEENS1_38merge_sort_block_merge_config_selectorImSB_EEEEvv,comdat
.Lfunc_end3299:
	.size	_ZN7rocprim17ROCPRIM_400000_NS6detail44device_merge_sort_compile_time_verifier_archINS1_11comp_targetILNS1_3genE2ELNS1_11target_archE906ELNS1_3gpuE6ELNS1_3repE0EEES8_NS0_14default_configES9_NS1_37merge_sort_block_sort_config_selectorImNS0_10empty_typeEEENS1_38merge_sort_block_merge_config_selectorImSB_EEEEvv, .Lfunc_end3299-_ZN7rocprim17ROCPRIM_400000_NS6detail44device_merge_sort_compile_time_verifier_archINS1_11comp_targetILNS1_3genE2ELNS1_11target_archE906ELNS1_3gpuE6ELNS1_3repE0EEES8_NS0_14default_configES9_NS1_37merge_sort_block_sort_config_selectorImNS0_10empty_typeEEENS1_38merge_sort_block_merge_config_selectorImSB_EEEEvv
                                        ; -- End function
	.section	.AMDGPU.csdata,"",@progbits
; Kernel info:
; codeLenInByte = 4
; NumSgprs: 4
; NumVgprs: 0
; NumAgprs: 0
; TotalNumVgprs: 0
; ScratchSize: 0
; MemoryBound: 0
; FloatMode: 240
; IeeeMode: 1
; LDSByteSize: 0 bytes/workgroup (compile time only)
; SGPRBlocks: 0
; VGPRBlocks: 0
; NumSGPRsForWavesPerEU: 4
; NumVGPRsForWavesPerEU: 1
; AccumOffset: 4
; Occupancy: 8
; WaveLimiterHint : 0
; COMPUTE_PGM_RSRC2:SCRATCH_EN: 0
; COMPUTE_PGM_RSRC2:USER_SGPR: 4
; COMPUTE_PGM_RSRC2:TRAP_HANDLER: 0
; COMPUTE_PGM_RSRC2:TGID_X_EN: 1
; COMPUTE_PGM_RSRC2:TGID_Y_EN: 0
; COMPUTE_PGM_RSRC2:TGID_Z_EN: 0
; COMPUTE_PGM_RSRC2:TIDIG_COMP_CNT: 0
; COMPUTE_PGM_RSRC3_GFX90A:ACCUM_OFFSET: 0
; COMPUTE_PGM_RSRC3_GFX90A:TG_SPLIT: 0
	.section	.text._ZN7rocprim17ROCPRIM_400000_NS6detail44device_merge_sort_compile_time_verifier_archINS1_11comp_targetILNS1_3genE10ELNS1_11target_archE1201ELNS1_3gpuE5ELNS1_3repE0EEES8_NS0_14default_configES9_NS1_37merge_sort_block_sort_config_selectorImNS0_10empty_typeEEENS1_38merge_sort_block_merge_config_selectorImSB_EEEEvv,"axG",@progbits,_ZN7rocprim17ROCPRIM_400000_NS6detail44device_merge_sort_compile_time_verifier_archINS1_11comp_targetILNS1_3genE10ELNS1_11target_archE1201ELNS1_3gpuE5ELNS1_3repE0EEES8_NS0_14default_configES9_NS1_37merge_sort_block_sort_config_selectorImNS0_10empty_typeEEENS1_38merge_sort_block_merge_config_selectorImSB_EEEEvv,comdat
	.protected	_ZN7rocprim17ROCPRIM_400000_NS6detail44device_merge_sort_compile_time_verifier_archINS1_11comp_targetILNS1_3genE10ELNS1_11target_archE1201ELNS1_3gpuE5ELNS1_3repE0EEES8_NS0_14default_configES9_NS1_37merge_sort_block_sort_config_selectorImNS0_10empty_typeEEENS1_38merge_sort_block_merge_config_selectorImSB_EEEEvv ; -- Begin function _ZN7rocprim17ROCPRIM_400000_NS6detail44device_merge_sort_compile_time_verifier_archINS1_11comp_targetILNS1_3genE10ELNS1_11target_archE1201ELNS1_3gpuE5ELNS1_3repE0EEES8_NS0_14default_configES9_NS1_37merge_sort_block_sort_config_selectorImNS0_10empty_typeEEENS1_38merge_sort_block_merge_config_selectorImSB_EEEEvv
	.globl	_ZN7rocprim17ROCPRIM_400000_NS6detail44device_merge_sort_compile_time_verifier_archINS1_11comp_targetILNS1_3genE10ELNS1_11target_archE1201ELNS1_3gpuE5ELNS1_3repE0EEES8_NS0_14default_configES9_NS1_37merge_sort_block_sort_config_selectorImNS0_10empty_typeEEENS1_38merge_sort_block_merge_config_selectorImSB_EEEEvv
	.p2align	8
	.type	_ZN7rocprim17ROCPRIM_400000_NS6detail44device_merge_sort_compile_time_verifier_archINS1_11comp_targetILNS1_3genE10ELNS1_11target_archE1201ELNS1_3gpuE5ELNS1_3repE0EEES8_NS0_14default_configES9_NS1_37merge_sort_block_sort_config_selectorImNS0_10empty_typeEEENS1_38merge_sort_block_merge_config_selectorImSB_EEEEvv,@function
_ZN7rocprim17ROCPRIM_400000_NS6detail44device_merge_sort_compile_time_verifier_archINS1_11comp_targetILNS1_3genE10ELNS1_11target_archE1201ELNS1_3gpuE5ELNS1_3repE0EEES8_NS0_14default_configES9_NS1_37merge_sort_block_sort_config_selectorImNS0_10empty_typeEEENS1_38merge_sort_block_merge_config_selectorImSB_EEEEvv: ; @_ZN7rocprim17ROCPRIM_400000_NS6detail44device_merge_sort_compile_time_verifier_archINS1_11comp_targetILNS1_3genE10ELNS1_11target_archE1201ELNS1_3gpuE5ELNS1_3repE0EEES8_NS0_14default_configES9_NS1_37merge_sort_block_sort_config_selectorImNS0_10empty_typeEEENS1_38merge_sort_block_merge_config_selectorImSB_EEEEvv
; %bb.0:
	s_endpgm
	.section	.rodata,"a",@progbits
	.p2align	6, 0x0
	.amdhsa_kernel _ZN7rocprim17ROCPRIM_400000_NS6detail44device_merge_sort_compile_time_verifier_archINS1_11comp_targetILNS1_3genE10ELNS1_11target_archE1201ELNS1_3gpuE5ELNS1_3repE0EEES8_NS0_14default_configES9_NS1_37merge_sort_block_sort_config_selectorImNS0_10empty_typeEEENS1_38merge_sort_block_merge_config_selectorImSB_EEEEvv
		.amdhsa_group_segment_fixed_size 0
		.amdhsa_private_segment_fixed_size 0
		.amdhsa_kernarg_size 0
		.amdhsa_user_sgpr_count 4
		.amdhsa_user_sgpr_private_segment_buffer 1
		.amdhsa_user_sgpr_dispatch_ptr 0
		.amdhsa_user_sgpr_queue_ptr 0
		.amdhsa_user_sgpr_kernarg_segment_ptr 0
		.amdhsa_user_sgpr_dispatch_id 0
		.amdhsa_user_sgpr_flat_scratch_init 0
		.amdhsa_user_sgpr_kernarg_preload_length 0
		.amdhsa_user_sgpr_kernarg_preload_offset 0
		.amdhsa_user_sgpr_private_segment_size 0
		.amdhsa_uses_dynamic_stack 0
		.amdhsa_system_sgpr_private_segment_wavefront_offset 0
		.amdhsa_system_sgpr_workgroup_id_x 1
		.amdhsa_system_sgpr_workgroup_id_y 0
		.amdhsa_system_sgpr_workgroup_id_z 0
		.amdhsa_system_sgpr_workgroup_info 0
		.amdhsa_system_vgpr_workitem_id 0
		.amdhsa_next_free_vgpr 1
		.amdhsa_next_free_sgpr 0
		.amdhsa_accum_offset 4
		.amdhsa_reserve_vcc 0
		.amdhsa_reserve_flat_scratch 0
		.amdhsa_float_round_mode_32 0
		.amdhsa_float_round_mode_16_64 0
		.amdhsa_float_denorm_mode_32 3
		.amdhsa_float_denorm_mode_16_64 3
		.amdhsa_dx10_clamp 1
		.amdhsa_ieee_mode 1
		.amdhsa_fp16_overflow 0
		.amdhsa_tg_split 0
		.amdhsa_exception_fp_ieee_invalid_op 0
		.amdhsa_exception_fp_denorm_src 0
		.amdhsa_exception_fp_ieee_div_zero 0
		.amdhsa_exception_fp_ieee_overflow 0
		.amdhsa_exception_fp_ieee_underflow 0
		.amdhsa_exception_fp_ieee_inexact 0
		.amdhsa_exception_int_div_zero 0
	.end_amdhsa_kernel
	.section	.text._ZN7rocprim17ROCPRIM_400000_NS6detail44device_merge_sort_compile_time_verifier_archINS1_11comp_targetILNS1_3genE10ELNS1_11target_archE1201ELNS1_3gpuE5ELNS1_3repE0EEES8_NS0_14default_configES9_NS1_37merge_sort_block_sort_config_selectorImNS0_10empty_typeEEENS1_38merge_sort_block_merge_config_selectorImSB_EEEEvv,"axG",@progbits,_ZN7rocprim17ROCPRIM_400000_NS6detail44device_merge_sort_compile_time_verifier_archINS1_11comp_targetILNS1_3genE10ELNS1_11target_archE1201ELNS1_3gpuE5ELNS1_3repE0EEES8_NS0_14default_configES9_NS1_37merge_sort_block_sort_config_selectorImNS0_10empty_typeEEENS1_38merge_sort_block_merge_config_selectorImSB_EEEEvv,comdat
.Lfunc_end3300:
	.size	_ZN7rocprim17ROCPRIM_400000_NS6detail44device_merge_sort_compile_time_verifier_archINS1_11comp_targetILNS1_3genE10ELNS1_11target_archE1201ELNS1_3gpuE5ELNS1_3repE0EEES8_NS0_14default_configES9_NS1_37merge_sort_block_sort_config_selectorImNS0_10empty_typeEEENS1_38merge_sort_block_merge_config_selectorImSB_EEEEvv, .Lfunc_end3300-_ZN7rocprim17ROCPRIM_400000_NS6detail44device_merge_sort_compile_time_verifier_archINS1_11comp_targetILNS1_3genE10ELNS1_11target_archE1201ELNS1_3gpuE5ELNS1_3repE0EEES8_NS0_14default_configES9_NS1_37merge_sort_block_sort_config_selectorImNS0_10empty_typeEEENS1_38merge_sort_block_merge_config_selectorImSB_EEEEvv
                                        ; -- End function
	.section	.AMDGPU.csdata,"",@progbits
; Kernel info:
; codeLenInByte = 4
; NumSgprs: 4
; NumVgprs: 0
; NumAgprs: 0
; TotalNumVgprs: 0
; ScratchSize: 0
; MemoryBound: 0
; FloatMode: 240
; IeeeMode: 1
; LDSByteSize: 0 bytes/workgroup (compile time only)
; SGPRBlocks: 0
; VGPRBlocks: 0
; NumSGPRsForWavesPerEU: 4
; NumVGPRsForWavesPerEU: 1
; AccumOffset: 4
; Occupancy: 8
; WaveLimiterHint : 0
; COMPUTE_PGM_RSRC2:SCRATCH_EN: 0
; COMPUTE_PGM_RSRC2:USER_SGPR: 4
; COMPUTE_PGM_RSRC2:TRAP_HANDLER: 0
; COMPUTE_PGM_RSRC2:TGID_X_EN: 1
; COMPUTE_PGM_RSRC2:TGID_Y_EN: 0
; COMPUTE_PGM_RSRC2:TGID_Z_EN: 0
; COMPUTE_PGM_RSRC2:TIDIG_COMP_CNT: 0
; COMPUTE_PGM_RSRC3_GFX90A:ACCUM_OFFSET: 0
; COMPUTE_PGM_RSRC3_GFX90A:TG_SPLIT: 0
	.section	.text._ZN7rocprim17ROCPRIM_400000_NS6detail44device_merge_sort_compile_time_verifier_archINS1_11comp_targetILNS1_3genE10ELNS1_11target_archE1200ELNS1_3gpuE4ELNS1_3repE0EEENS3_ILS4_10ELS5_1201ELS6_5ELS7_0EEENS0_14default_configESA_NS1_37merge_sort_block_sort_config_selectorImNS0_10empty_typeEEENS1_38merge_sort_block_merge_config_selectorImSC_EEEEvv,"axG",@progbits,_ZN7rocprim17ROCPRIM_400000_NS6detail44device_merge_sort_compile_time_verifier_archINS1_11comp_targetILNS1_3genE10ELNS1_11target_archE1200ELNS1_3gpuE4ELNS1_3repE0EEENS3_ILS4_10ELS5_1201ELS6_5ELS7_0EEENS0_14default_configESA_NS1_37merge_sort_block_sort_config_selectorImNS0_10empty_typeEEENS1_38merge_sort_block_merge_config_selectorImSC_EEEEvv,comdat
	.protected	_ZN7rocprim17ROCPRIM_400000_NS6detail44device_merge_sort_compile_time_verifier_archINS1_11comp_targetILNS1_3genE10ELNS1_11target_archE1200ELNS1_3gpuE4ELNS1_3repE0EEENS3_ILS4_10ELS5_1201ELS6_5ELS7_0EEENS0_14default_configESA_NS1_37merge_sort_block_sort_config_selectorImNS0_10empty_typeEEENS1_38merge_sort_block_merge_config_selectorImSC_EEEEvv ; -- Begin function _ZN7rocprim17ROCPRIM_400000_NS6detail44device_merge_sort_compile_time_verifier_archINS1_11comp_targetILNS1_3genE10ELNS1_11target_archE1200ELNS1_3gpuE4ELNS1_3repE0EEENS3_ILS4_10ELS5_1201ELS6_5ELS7_0EEENS0_14default_configESA_NS1_37merge_sort_block_sort_config_selectorImNS0_10empty_typeEEENS1_38merge_sort_block_merge_config_selectorImSC_EEEEvv
	.globl	_ZN7rocprim17ROCPRIM_400000_NS6detail44device_merge_sort_compile_time_verifier_archINS1_11comp_targetILNS1_3genE10ELNS1_11target_archE1200ELNS1_3gpuE4ELNS1_3repE0EEENS3_ILS4_10ELS5_1201ELS6_5ELS7_0EEENS0_14default_configESA_NS1_37merge_sort_block_sort_config_selectorImNS0_10empty_typeEEENS1_38merge_sort_block_merge_config_selectorImSC_EEEEvv
	.p2align	8
	.type	_ZN7rocprim17ROCPRIM_400000_NS6detail44device_merge_sort_compile_time_verifier_archINS1_11comp_targetILNS1_3genE10ELNS1_11target_archE1200ELNS1_3gpuE4ELNS1_3repE0EEENS3_ILS4_10ELS5_1201ELS6_5ELS7_0EEENS0_14default_configESA_NS1_37merge_sort_block_sort_config_selectorImNS0_10empty_typeEEENS1_38merge_sort_block_merge_config_selectorImSC_EEEEvv,@function
_ZN7rocprim17ROCPRIM_400000_NS6detail44device_merge_sort_compile_time_verifier_archINS1_11comp_targetILNS1_3genE10ELNS1_11target_archE1200ELNS1_3gpuE4ELNS1_3repE0EEENS3_ILS4_10ELS5_1201ELS6_5ELS7_0EEENS0_14default_configESA_NS1_37merge_sort_block_sort_config_selectorImNS0_10empty_typeEEENS1_38merge_sort_block_merge_config_selectorImSC_EEEEvv: ; @_ZN7rocprim17ROCPRIM_400000_NS6detail44device_merge_sort_compile_time_verifier_archINS1_11comp_targetILNS1_3genE10ELNS1_11target_archE1200ELNS1_3gpuE4ELNS1_3repE0EEENS3_ILS4_10ELS5_1201ELS6_5ELS7_0EEENS0_14default_configESA_NS1_37merge_sort_block_sort_config_selectorImNS0_10empty_typeEEENS1_38merge_sort_block_merge_config_selectorImSC_EEEEvv
; %bb.0:
	s_endpgm
	.section	.rodata,"a",@progbits
	.p2align	6, 0x0
	.amdhsa_kernel _ZN7rocprim17ROCPRIM_400000_NS6detail44device_merge_sort_compile_time_verifier_archINS1_11comp_targetILNS1_3genE10ELNS1_11target_archE1200ELNS1_3gpuE4ELNS1_3repE0EEENS3_ILS4_10ELS5_1201ELS6_5ELS7_0EEENS0_14default_configESA_NS1_37merge_sort_block_sort_config_selectorImNS0_10empty_typeEEENS1_38merge_sort_block_merge_config_selectorImSC_EEEEvv
		.amdhsa_group_segment_fixed_size 0
		.amdhsa_private_segment_fixed_size 0
		.amdhsa_kernarg_size 0
		.amdhsa_user_sgpr_count 4
		.amdhsa_user_sgpr_private_segment_buffer 1
		.amdhsa_user_sgpr_dispatch_ptr 0
		.amdhsa_user_sgpr_queue_ptr 0
		.amdhsa_user_sgpr_kernarg_segment_ptr 0
		.amdhsa_user_sgpr_dispatch_id 0
		.amdhsa_user_sgpr_flat_scratch_init 0
		.amdhsa_user_sgpr_kernarg_preload_length 0
		.amdhsa_user_sgpr_kernarg_preload_offset 0
		.amdhsa_user_sgpr_private_segment_size 0
		.amdhsa_uses_dynamic_stack 0
		.amdhsa_system_sgpr_private_segment_wavefront_offset 0
		.amdhsa_system_sgpr_workgroup_id_x 1
		.amdhsa_system_sgpr_workgroup_id_y 0
		.amdhsa_system_sgpr_workgroup_id_z 0
		.amdhsa_system_sgpr_workgroup_info 0
		.amdhsa_system_vgpr_workitem_id 0
		.amdhsa_next_free_vgpr 1
		.amdhsa_next_free_sgpr 0
		.amdhsa_accum_offset 4
		.amdhsa_reserve_vcc 0
		.amdhsa_reserve_flat_scratch 0
		.amdhsa_float_round_mode_32 0
		.amdhsa_float_round_mode_16_64 0
		.amdhsa_float_denorm_mode_32 3
		.amdhsa_float_denorm_mode_16_64 3
		.amdhsa_dx10_clamp 1
		.amdhsa_ieee_mode 1
		.amdhsa_fp16_overflow 0
		.amdhsa_tg_split 0
		.amdhsa_exception_fp_ieee_invalid_op 0
		.amdhsa_exception_fp_denorm_src 0
		.amdhsa_exception_fp_ieee_div_zero 0
		.amdhsa_exception_fp_ieee_overflow 0
		.amdhsa_exception_fp_ieee_underflow 0
		.amdhsa_exception_fp_ieee_inexact 0
		.amdhsa_exception_int_div_zero 0
	.end_amdhsa_kernel
	.section	.text._ZN7rocprim17ROCPRIM_400000_NS6detail44device_merge_sort_compile_time_verifier_archINS1_11comp_targetILNS1_3genE10ELNS1_11target_archE1200ELNS1_3gpuE4ELNS1_3repE0EEENS3_ILS4_10ELS5_1201ELS6_5ELS7_0EEENS0_14default_configESA_NS1_37merge_sort_block_sort_config_selectorImNS0_10empty_typeEEENS1_38merge_sort_block_merge_config_selectorImSC_EEEEvv,"axG",@progbits,_ZN7rocprim17ROCPRIM_400000_NS6detail44device_merge_sort_compile_time_verifier_archINS1_11comp_targetILNS1_3genE10ELNS1_11target_archE1200ELNS1_3gpuE4ELNS1_3repE0EEENS3_ILS4_10ELS5_1201ELS6_5ELS7_0EEENS0_14default_configESA_NS1_37merge_sort_block_sort_config_selectorImNS0_10empty_typeEEENS1_38merge_sort_block_merge_config_selectorImSC_EEEEvv,comdat
.Lfunc_end3301:
	.size	_ZN7rocprim17ROCPRIM_400000_NS6detail44device_merge_sort_compile_time_verifier_archINS1_11comp_targetILNS1_3genE10ELNS1_11target_archE1200ELNS1_3gpuE4ELNS1_3repE0EEENS3_ILS4_10ELS5_1201ELS6_5ELS7_0EEENS0_14default_configESA_NS1_37merge_sort_block_sort_config_selectorImNS0_10empty_typeEEENS1_38merge_sort_block_merge_config_selectorImSC_EEEEvv, .Lfunc_end3301-_ZN7rocprim17ROCPRIM_400000_NS6detail44device_merge_sort_compile_time_verifier_archINS1_11comp_targetILNS1_3genE10ELNS1_11target_archE1200ELNS1_3gpuE4ELNS1_3repE0EEENS3_ILS4_10ELS5_1201ELS6_5ELS7_0EEENS0_14default_configESA_NS1_37merge_sort_block_sort_config_selectorImNS0_10empty_typeEEENS1_38merge_sort_block_merge_config_selectorImSC_EEEEvv
                                        ; -- End function
	.section	.AMDGPU.csdata,"",@progbits
; Kernel info:
; codeLenInByte = 4
; NumSgprs: 4
; NumVgprs: 0
; NumAgprs: 0
; TotalNumVgprs: 0
; ScratchSize: 0
; MemoryBound: 0
; FloatMode: 240
; IeeeMode: 1
; LDSByteSize: 0 bytes/workgroup (compile time only)
; SGPRBlocks: 0
; VGPRBlocks: 0
; NumSGPRsForWavesPerEU: 4
; NumVGPRsForWavesPerEU: 1
; AccumOffset: 4
; Occupancy: 8
; WaveLimiterHint : 0
; COMPUTE_PGM_RSRC2:SCRATCH_EN: 0
; COMPUTE_PGM_RSRC2:USER_SGPR: 4
; COMPUTE_PGM_RSRC2:TRAP_HANDLER: 0
; COMPUTE_PGM_RSRC2:TGID_X_EN: 1
; COMPUTE_PGM_RSRC2:TGID_Y_EN: 0
; COMPUTE_PGM_RSRC2:TGID_Z_EN: 0
; COMPUTE_PGM_RSRC2:TIDIG_COMP_CNT: 0
; COMPUTE_PGM_RSRC3_GFX90A:ACCUM_OFFSET: 0
; COMPUTE_PGM_RSRC3_GFX90A:TG_SPLIT: 0
	.section	.text._ZN7rocprim17ROCPRIM_400000_NS6detail44device_merge_sort_compile_time_verifier_archINS1_11comp_targetILNS1_3genE9ELNS1_11target_archE1100ELNS1_3gpuE3ELNS1_3repE0EEES8_NS0_14default_configES9_NS1_37merge_sort_block_sort_config_selectorImNS0_10empty_typeEEENS1_38merge_sort_block_merge_config_selectorImSB_EEEEvv,"axG",@progbits,_ZN7rocprim17ROCPRIM_400000_NS6detail44device_merge_sort_compile_time_verifier_archINS1_11comp_targetILNS1_3genE9ELNS1_11target_archE1100ELNS1_3gpuE3ELNS1_3repE0EEES8_NS0_14default_configES9_NS1_37merge_sort_block_sort_config_selectorImNS0_10empty_typeEEENS1_38merge_sort_block_merge_config_selectorImSB_EEEEvv,comdat
	.protected	_ZN7rocprim17ROCPRIM_400000_NS6detail44device_merge_sort_compile_time_verifier_archINS1_11comp_targetILNS1_3genE9ELNS1_11target_archE1100ELNS1_3gpuE3ELNS1_3repE0EEES8_NS0_14default_configES9_NS1_37merge_sort_block_sort_config_selectorImNS0_10empty_typeEEENS1_38merge_sort_block_merge_config_selectorImSB_EEEEvv ; -- Begin function _ZN7rocprim17ROCPRIM_400000_NS6detail44device_merge_sort_compile_time_verifier_archINS1_11comp_targetILNS1_3genE9ELNS1_11target_archE1100ELNS1_3gpuE3ELNS1_3repE0EEES8_NS0_14default_configES9_NS1_37merge_sort_block_sort_config_selectorImNS0_10empty_typeEEENS1_38merge_sort_block_merge_config_selectorImSB_EEEEvv
	.globl	_ZN7rocprim17ROCPRIM_400000_NS6detail44device_merge_sort_compile_time_verifier_archINS1_11comp_targetILNS1_3genE9ELNS1_11target_archE1100ELNS1_3gpuE3ELNS1_3repE0EEES8_NS0_14default_configES9_NS1_37merge_sort_block_sort_config_selectorImNS0_10empty_typeEEENS1_38merge_sort_block_merge_config_selectorImSB_EEEEvv
	.p2align	8
	.type	_ZN7rocprim17ROCPRIM_400000_NS6detail44device_merge_sort_compile_time_verifier_archINS1_11comp_targetILNS1_3genE9ELNS1_11target_archE1100ELNS1_3gpuE3ELNS1_3repE0EEES8_NS0_14default_configES9_NS1_37merge_sort_block_sort_config_selectorImNS0_10empty_typeEEENS1_38merge_sort_block_merge_config_selectorImSB_EEEEvv,@function
_ZN7rocprim17ROCPRIM_400000_NS6detail44device_merge_sort_compile_time_verifier_archINS1_11comp_targetILNS1_3genE9ELNS1_11target_archE1100ELNS1_3gpuE3ELNS1_3repE0EEES8_NS0_14default_configES9_NS1_37merge_sort_block_sort_config_selectorImNS0_10empty_typeEEENS1_38merge_sort_block_merge_config_selectorImSB_EEEEvv: ; @_ZN7rocprim17ROCPRIM_400000_NS6detail44device_merge_sort_compile_time_verifier_archINS1_11comp_targetILNS1_3genE9ELNS1_11target_archE1100ELNS1_3gpuE3ELNS1_3repE0EEES8_NS0_14default_configES9_NS1_37merge_sort_block_sort_config_selectorImNS0_10empty_typeEEENS1_38merge_sort_block_merge_config_selectorImSB_EEEEvv
; %bb.0:
	s_endpgm
	.section	.rodata,"a",@progbits
	.p2align	6, 0x0
	.amdhsa_kernel _ZN7rocprim17ROCPRIM_400000_NS6detail44device_merge_sort_compile_time_verifier_archINS1_11comp_targetILNS1_3genE9ELNS1_11target_archE1100ELNS1_3gpuE3ELNS1_3repE0EEES8_NS0_14default_configES9_NS1_37merge_sort_block_sort_config_selectorImNS0_10empty_typeEEENS1_38merge_sort_block_merge_config_selectorImSB_EEEEvv
		.amdhsa_group_segment_fixed_size 0
		.amdhsa_private_segment_fixed_size 0
		.amdhsa_kernarg_size 0
		.amdhsa_user_sgpr_count 4
		.amdhsa_user_sgpr_private_segment_buffer 1
		.amdhsa_user_sgpr_dispatch_ptr 0
		.amdhsa_user_sgpr_queue_ptr 0
		.amdhsa_user_sgpr_kernarg_segment_ptr 0
		.amdhsa_user_sgpr_dispatch_id 0
		.amdhsa_user_sgpr_flat_scratch_init 0
		.amdhsa_user_sgpr_kernarg_preload_length 0
		.amdhsa_user_sgpr_kernarg_preload_offset 0
		.amdhsa_user_sgpr_private_segment_size 0
		.amdhsa_uses_dynamic_stack 0
		.amdhsa_system_sgpr_private_segment_wavefront_offset 0
		.amdhsa_system_sgpr_workgroup_id_x 1
		.amdhsa_system_sgpr_workgroup_id_y 0
		.amdhsa_system_sgpr_workgroup_id_z 0
		.amdhsa_system_sgpr_workgroup_info 0
		.amdhsa_system_vgpr_workitem_id 0
		.amdhsa_next_free_vgpr 1
		.amdhsa_next_free_sgpr 0
		.amdhsa_accum_offset 4
		.amdhsa_reserve_vcc 0
		.amdhsa_reserve_flat_scratch 0
		.amdhsa_float_round_mode_32 0
		.amdhsa_float_round_mode_16_64 0
		.amdhsa_float_denorm_mode_32 3
		.amdhsa_float_denorm_mode_16_64 3
		.amdhsa_dx10_clamp 1
		.amdhsa_ieee_mode 1
		.amdhsa_fp16_overflow 0
		.amdhsa_tg_split 0
		.amdhsa_exception_fp_ieee_invalid_op 0
		.amdhsa_exception_fp_denorm_src 0
		.amdhsa_exception_fp_ieee_div_zero 0
		.amdhsa_exception_fp_ieee_overflow 0
		.amdhsa_exception_fp_ieee_underflow 0
		.amdhsa_exception_fp_ieee_inexact 0
		.amdhsa_exception_int_div_zero 0
	.end_amdhsa_kernel
	.section	.text._ZN7rocprim17ROCPRIM_400000_NS6detail44device_merge_sort_compile_time_verifier_archINS1_11comp_targetILNS1_3genE9ELNS1_11target_archE1100ELNS1_3gpuE3ELNS1_3repE0EEES8_NS0_14default_configES9_NS1_37merge_sort_block_sort_config_selectorImNS0_10empty_typeEEENS1_38merge_sort_block_merge_config_selectorImSB_EEEEvv,"axG",@progbits,_ZN7rocprim17ROCPRIM_400000_NS6detail44device_merge_sort_compile_time_verifier_archINS1_11comp_targetILNS1_3genE9ELNS1_11target_archE1100ELNS1_3gpuE3ELNS1_3repE0EEES8_NS0_14default_configES9_NS1_37merge_sort_block_sort_config_selectorImNS0_10empty_typeEEENS1_38merge_sort_block_merge_config_selectorImSB_EEEEvv,comdat
.Lfunc_end3302:
	.size	_ZN7rocprim17ROCPRIM_400000_NS6detail44device_merge_sort_compile_time_verifier_archINS1_11comp_targetILNS1_3genE9ELNS1_11target_archE1100ELNS1_3gpuE3ELNS1_3repE0EEES8_NS0_14default_configES9_NS1_37merge_sort_block_sort_config_selectorImNS0_10empty_typeEEENS1_38merge_sort_block_merge_config_selectorImSB_EEEEvv, .Lfunc_end3302-_ZN7rocprim17ROCPRIM_400000_NS6detail44device_merge_sort_compile_time_verifier_archINS1_11comp_targetILNS1_3genE9ELNS1_11target_archE1100ELNS1_3gpuE3ELNS1_3repE0EEES8_NS0_14default_configES9_NS1_37merge_sort_block_sort_config_selectorImNS0_10empty_typeEEENS1_38merge_sort_block_merge_config_selectorImSB_EEEEvv
                                        ; -- End function
	.section	.AMDGPU.csdata,"",@progbits
; Kernel info:
; codeLenInByte = 4
; NumSgprs: 4
; NumVgprs: 0
; NumAgprs: 0
; TotalNumVgprs: 0
; ScratchSize: 0
; MemoryBound: 0
; FloatMode: 240
; IeeeMode: 1
; LDSByteSize: 0 bytes/workgroup (compile time only)
; SGPRBlocks: 0
; VGPRBlocks: 0
; NumSGPRsForWavesPerEU: 4
; NumVGPRsForWavesPerEU: 1
; AccumOffset: 4
; Occupancy: 8
; WaveLimiterHint : 0
; COMPUTE_PGM_RSRC2:SCRATCH_EN: 0
; COMPUTE_PGM_RSRC2:USER_SGPR: 4
; COMPUTE_PGM_RSRC2:TRAP_HANDLER: 0
; COMPUTE_PGM_RSRC2:TGID_X_EN: 1
; COMPUTE_PGM_RSRC2:TGID_Y_EN: 0
; COMPUTE_PGM_RSRC2:TGID_Z_EN: 0
; COMPUTE_PGM_RSRC2:TIDIG_COMP_CNT: 0
; COMPUTE_PGM_RSRC3_GFX90A:ACCUM_OFFSET: 0
; COMPUTE_PGM_RSRC3_GFX90A:TG_SPLIT: 0
	.section	.text._ZN7rocprim17ROCPRIM_400000_NS6detail44device_merge_sort_compile_time_verifier_archINS1_11comp_targetILNS1_3genE8ELNS1_11target_archE1030ELNS1_3gpuE2ELNS1_3repE0EEES8_NS0_14default_configES9_NS1_37merge_sort_block_sort_config_selectorImNS0_10empty_typeEEENS1_38merge_sort_block_merge_config_selectorImSB_EEEEvv,"axG",@progbits,_ZN7rocprim17ROCPRIM_400000_NS6detail44device_merge_sort_compile_time_verifier_archINS1_11comp_targetILNS1_3genE8ELNS1_11target_archE1030ELNS1_3gpuE2ELNS1_3repE0EEES8_NS0_14default_configES9_NS1_37merge_sort_block_sort_config_selectorImNS0_10empty_typeEEENS1_38merge_sort_block_merge_config_selectorImSB_EEEEvv,comdat
	.protected	_ZN7rocprim17ROCPRIM_400000_NS6detail44device_merge_sort_compile_time_verifier_archINS1_11comp_targetILNS1_3genE8ELNS1_11target_archE1030ELNS1_3gpuE2ELNS1_3repE0EEES8_NS0_14default_configES9_NS1_37merge_sort_block_sort_config_selectorImNS0_10empty_typeEEENS1_38merge_sort_block_merge_config_selectorImSB_EEEEvv ; -- Begin function _ZN7rocprim17ROCPRIM_400000_NS6detail44device_merge_sort_compile_time_verifier_archINS1_11comp_targetILNS1_3genE8ELNS1_11target_archE1030ELNS1_3gpuE2ELNS1_3repE0EEES8_NS0_14default_configES9_NS1_37merge_sort_block_sort_config_selectorImNS0_10empty_typeEEENS1_38merge_sort_block_merge_config_selectorImSB_EEEEvv
	.globl	_ZN7rocprim17ROCPRIM_400000_NS6detail44device_merge_sort_compile_time_verifier_archINS1_11comp_targetILNS1_3genE8ELNS1_11target_archE1030ELNS1_3gpuE2ELNS1_3repE0EEES8_NS0_14default_configES9_NS1_37merge_sort_block_sort_config_selectorImNS0_10empty_typeEEENS1_38merge_sort_block_merge_config_selectorImSB_EEEEvv
	.p2align	8
	.type	_ZN7rocprim17ROCPRIM_400000_NS6detail44device_merge_sort_compile_time_verifier_archINS1_11comp_targetILNS1_3genE8ELNS1_11target_archE1030ELNS1_3gpuE2ELNS1_3repE0EEES8_NS0_14default_configES9_NS1_37merge_sort_block_sort_config_selectorImNS0_10empty_typeEEENS1_38merge_sort_block_merge_config_selectorImSB_EEEEvv,@function
_ZN7rocprim17ROCPRIM_400000_NS6detail44device_merge_sort_compile_time_verifier_archINS1_11comp_targetILNS1_3genE8ELNS1_11target_archE1030ELNS1_3gpuE2ELNS1_3repE0EEES8_NS0_14default_configES9_NS1_37merge_sort_block_sort_config_selectorImNS0_10empty_typeEEENS1_38merge_sort_block_merge_config_selectorImSB_EEEEvv: ; @_ZN7rocprim17ROCPRIM_400000_NS6detail44device_merge_sort_compile_time_verifier_archINS1_11comp_targetILNS1_3genE8ELNS1_11target_archE1030ELNS1_3gpuE2ELNS1_3repE0EEES8_NS0_14default_configES9_NS1_37merge_sort_block_sort_config_selectorImNS0_10empty_typeEEENS1_38merge_sort_block_merge_config_selectorImSB_EEEEvv
; %bb.0:
	s_endpgm
	.section	.rodata,"a",@progbits
	.p2align	6, 0x0
	.amdhsa_kernel _ZN7rocprim17ROCPRIM_400000_NS6detail44device_merge_sort_compile_time_verifier_archINS1_11comp_targetILNS1_3genE8ELNS1_11target_archE1030ELNS1_3gpuE2ELNS1_3repE0EEES8_NS0_14default_configES9_NS1_37merge_sort_block_sort_config_selectorImNS0_10empty_typeEEENS1_38merge_sort_block_merge_config_selectorImSB_EEEEvv
		.amdhsa_group_segment_fixed_size 0
		.amdhsa_private_segment_fixed_size 0
		.amdhsa_kernarg_size 0
		.amdhsa_user_sgpr_count 4
		.amdhsa_user_sgpr_private_segment_buffer 1
		.amdhsa_user_sgpr_dispatch_ptr 0
		.amdhsa_user_sgpr_queue_ptr 0
		.amdhsa_user_sgpr_kernarg_segment_ptr 0
		.amdhsa_user_sgpr_dispatch_id 0
		.amdhsa_user_sgpr_flat_scratch_init 0
		.amdhsa_user_sgpr_kernarg_preload_length 0
		.amdhsa_user_sgpr_kernarg_preload_offset 0
		.amdhsa_user_sgpr_private_segment_size 0
		.amdhsa_uses_dynamic_stack 0
		.amdhsa_system_sgpr_private_segment_wavefront_offset 0
		.amdhsa_system_sgpr_workgroup_id_x 1
		.amdhsa_system_sgpr_workgroup_id_y 0
		.amdhsa_system_sgpr_workgroup_id_z 0
		.amdhsa_system_sgpr_workgroup_info 0
		.amdhsa_system_vgpr_workitem_id 0
		.amdhsa_next_free_vgpr 1
		.amdhsa_next_free_sgpr 0
		.amdhsa_accum_offset 4
		.amdhsa_reserve_vcc 0
		.amdhsa_reserve_flat_scratch 0
		.amdhsa_float_round_mode_32 0
		.amdhsa_float_round_mode_16_64 0
		.amdhsa_float_denorm_mode_32 3
		.amdhsa_float_denorm_mode_16_64 3
		.amdhsa_dx10_clamp 1
		.amdhsa_ieee_mode 1
		.amdhsa_fp16_overflow 0
		.amdhsa_tg_split 0
		.amdhsa_exception_fp_ieee_invalid_op 0
		.amdhsa_exception_fp_denorm_src 0
		.amdhsa_exception_fp_ieee_div_zero 0
		.amdhsa_exception_fp_ieee_overflow 0
		.amdhsa_exception_fp_ieee_underflow 0
		.amdhsa_exception_fp_ieee_inexact 0
		.amdhsa_exception_int_div_zero 0
	.end_amdhsa_kernel
	.section	.text._ZN7rocprim17ROCPRIM_400000_NS6detail44device_merge_sort_compile_time_verifier_archINS1_11comp_targetILNS1_3genE8ELNS1_11target_archE1030ELNS1_3gpuE2ELNS1_3repE0EEES8_NS0_14default_configES9_NS1_37merge_sort_block_sort_config_selectorImNS0_10empty_typeEEENS1_38merge_sort_block_merge_config_selectorImSB_EEEEvv,"axG",@progbits,_ZN7rocprim17ROCPRIM_400000_NS6detail44device_merge_sort_compile_time_verifier_archINS1_11comp_targetILNS1_3genE8ELNS1_11target_archE1030ELNS1_3gpuE2ELNS1_3repE0EEES8_NS0_14default_configES9_NS1_37merge_sort_block_sort_config_selectorImNS0_10empty_typeEEENS1_38merge_sort_block_merge_config_selectorImSB_EEEEvv,comdat
.Lfunc_end3303:
	.size	_ZN7rocprim17ROCPRIM_400000_NS6detail44device_merge_sort_compile_time_verifier_archINS1_11comp_targetILNS1_3genE8ELNS1_11target_archE1030ELNS1_3gpuE2ELNS1_3repE0EEES8_NS0_14default_configES9_NS1_37merge_sort_block_sort_config_selectorImNS0_10empty_typeEEENS1_38merge_sort_block_merge_config_selectorImSB_EEEEvv, .Lfunc_end3303-_ZN7rocprim17ROCPRIM_400000_NS6detail44device_merge_sort_compile_time_verifier_archINS1_11comp_targetILNS1_3genE8ELNS1_11target_archE1030ELNS1_3gpuE2ELNS1_3repE0EEES8_NS0_14default_configES9_NS1_37merge_sort_block_sort_config_selectorImNS0_10empty_typeEEENS1_38merge_sort_block_merge_config_selectorImSB_EEEEvv
                                        ; -- End function
	.section	.AMDGPU.csdata,"",@progbits
; Kernel info:
; codeLenInByte = 4
; NumSgprs: 4
; NumVgprs: 0
; NumAgprs: 0
; TotalNumVgprs: 0
; ScratchSize: 0
; MemoryBound: 0
; FloatMode: 240
; IeeeMode: 1
; LDSByteSize: 0 bytes/workgroup (compile time only)
; SGPRBlocks: 0
; VGPRBlocks: 0
; NumSGPRsForWavesPerEU: 4
; NumVGPRsForWavesPerEU: 1
; AccumOffset: 4
; Occupancy: 8
; WaveLimiterHint : 0
; COMPUTE_PGM_RSRC2:SCRATCH_EN: 0
; COMPUTE_PGM_RSRC2:USER_SGPR: 4
; COMPUTE_PGM_RSRC2:TRAP_HANDLER: 0
; COMPUTE_PGM_RSRC2:TGID_X_EN: 1
; COMPUTE_PGM_RSRC2:TGID_Y_EN: 0
; COMPUTE_PGM_RSRC2:TGID_Z_EN: 0
; COMPUTE_PGM_RSRC2:TIDIG_COMP_CNT: 0
; COMPUTE_PGM_RSRC3_GFX90A:ACCUM_OFFSET: 0
; COMPUTE_PGM_RSRC3_GFX90A:TG_SPLIT: 0
	.section	.text._ZN7rocprim17ROCPRIM_400000_NS6detail17trampoline_kernelINS0_14default_configENS1_37merge_sort_block_sort_config_selectorImNS0_10empty_typeEEEZNS1_21merge_sort_block_sortIS3_N6thrust23THRUST_200600_302600_NS6detail15normal_iteratorINS9_10device_ptrImEEEESE_PS5_SF_14custom_greaterImEEE10hipError_tT0_T1_T2_T3_mRjT4_P12ihipStream_tbNS1_7vsmem_tEEUlT_E_NS1_11comp_targetILNS1_3genE0ELNS1_11target_archE4294967295ELNS1_3gpuE0ELNS1_3repE0EEENS1_30default_config_static_selectorELNS0_4arch9wavefront6targetE1EEEvSK_,"axG",@progbits,_ZN7rocprim17ROCPRIM_400000_NS6detail17trampoline_kernelINS0_14default_configENS1_37merge_sort_block_sort_config_selectorImNS0_10empty_typeEEEZNS1_21merge_sort_block_sortIS3_N6thrust23THRUST_200600_302600_NS6detail15normal_iteratorINS9_10device_ptrImEEEESE_PS5_SF_14custom_greaterImEEE10hipError_tT0_T1_T2_T3_mRjT4_P12ihipStream_tbNS1_7vsmem_tEEUlT_E_NS1_11comp_targetILNS1_3genE0ELNS1_11target_archE4294967295ELNS1_3gpuE0ELNS1_3repE0EEENS1_30default_config_static_selectorELNS0_4arch9wavefront6targetE1EEEvSK_,comdat
	.protected	_ZN7rocprim17ROCPRIM_400000_NS6detail17trampoline_kernelINS0_14default_configENS1_37merge_sort_block_sort_config_selectorImNS0_10empty_typeEEEZNS1_21merge_sort_block_sortIS3_N6thrust23THRUST_200600_302600_NS6detail15normal_iteratorINS9_10device_ptrImEEEESE_PS5_SF_14custom_greaterImEEE10hipError_tT0_T1_T2_T3_mRjT4_P12ihipStream_tbNS1_7vsmem_tEEUlT_E_NS1_11comp_targetILNS1_3genE0ELNS1_11target_archE4294967295ELNS1_3gpuE0ELNS1_3repE0EEENS1_30default_config_static_selectorELNS0_4arch9wavefront6targetE1EEEvSK_ ; -- Begin function _ZN7rocprim17ROCPRIM_400000_NS6detail17trampoline_kernelINS0_14default_configENS1_37merge_sort_block_sort_config_selectorImNS0_10empty_typeEEEZNS1_21merge_sort_block_sortIS3_N6thrust23THRUST_200600_302600_NS6detail15normal_iteratorINS9_10device_ptrImEEEESE_PS5_SF_14custom_greaterImEEE10hipError_tT0_T1_T2_T3_mRjT4_P12ihipStream_tbNS1_7vsmem_tEEUlT_E_NS1_11comp_targetILNS1_3genE0ELNS1_11target_archE4294967295ELNS1_3gpuE0ELNS1_3repE0EEENS1_30default_config_static_selectorELNS0_4arch9wavefront6targetE1EEEvSK_
	.globl	_ZN7rocprim17ROCPRIM_400000_NS6detail17trampoline_kernelINS0_14default_configENS1_37merge_sort_block_sort_config_selectorImNS0_10empty_typeEEEZNS1_21merge_sort_block_sortIS3_N6thrust23THRUST_200600_302600_NS6detail15normal_iteratorINS9_10device_ptrImEEEESE_PS5_SF_14custom_greaterImEEE10hipError_tT0_T1_T2_T3_mRjT4_P12ihipStream_tbNS1_7vsmem_tEEUlT_E_NS1_11comp_targetILNS1_3genE0ELNS1_11target_archE4294967295ELNS1_3gpuE0ELNS1_3repE0EEENS1_30default_config_static_selectorELNS0_4arch9wavefront6targetE1EEEvSK_
	.p2align	8
	.type	_ZN7rocprim17ROCPRIM_400000_NS6detail17trampoline_kernelINS0_14default_configENS1_37merge_sort_block_sort_config_selectorImNS0_10empty_typeEEEZNS1_21merge_sort_block_sortIS3_N6thrust23THRUST_200600_302600_NS6detail15normal_iteratorINS9_10device_ptrImEEEESE_PS5_SF_14custom_greaterImEEE10hipError_tT0_T1_T2_T3_mRjT4_P12ihipStream_tbNS1_7vsmem_tEEUlT_E_NS1_11comp_targetILNS1_3genE0ELNS1_11target_archE4294967295ELNS1_3gpuE0ELNS1_3repE0EEENS1_30default_config_static_selectorELNS0_4arch9wavefront6targetE1EEEvSK_,@function
_ZN7rocprim17ROCPRIM_400000_NS6detail17trampoline_kernelINS0_14default_configENS1_37merge_sort_block_sort_config_selectorImNS0_10empty_typeEEEZNS1_21merge_sort_block_sortIS3_N6thrust23THRUST_200600_302600_NS6detail15normal_iteratorINS9_10device_ptrImEEEESE_PS5_SF_14custom_greaterImEEE10hipError_tT0_T1_T2_T3_mRjT4_P12ihipStream_tbNS1_7vsmem_tEEUlT_E_NS1_11comp_targetILNS1_3genE0ELNS1_11target_archE4294967295ELNS1_3gpuE0ELNS1_3repE0EEENS1_30default_config_static_selectorELNS0_4arch9wavefront6targetE1EEEvSK_: ; @_ZN7rocprim17ROCPRIM_400000_NS6detail17trampoline_kernelINS0_14default_configENS1_37merge_sort_block_sort_config_selectorImNS0_10empty_typeEEEZNS1_21merge_sort_block_sortIS3_N6thrust23THRUST_200600_302600_NS6detail15normal_iteratorINS9_10device_ptrImEEEESE_PS5_SF_14custom_greaterImEEE10hipError_tT0_T1_T2_T3_mRjT4_P12ihipStream_tbNS1_7vsmem_tEEUlT_E_NS1_11comp_targetILNS1_3genE0ELNS1_11target_archE4294967295ELNS1_3gpuE0ELNS1_3repE0EEENS1_30default_config_static_selectorELNS0_4arch9wavefront6targetE1EEEvSK_
; %bb.0:
	.section	.rodata,"a",@progbits
	.p2align	6, 0x0
	.amdhsa_kernel _ZN7rocprim17ROCPRIM_400000_NS6detail17trampoline_kernelINS0_14default_configENS1_37merge_sort_block_sort_config_selectorImNS0_10empty_typeEEEZNS1_21merge_sort_block_sortIS3_N6thrust23THRUST_200600_302600_NS6detail15normal_iteratorINS9_10device_ptrImEEEESE_PS5_SF_14custom_greaterImEEE10hipError_tT0_T1_T2_T3_mRjT4_P12ihipStream_tbNS1_7vsmem_tEEUlT_E_NS1_11comp_targetILNS1_3genE0ELNS1_11target_archE4294967295ELNS1_3gpuE0ELNS1_3repE0EEENS1_30default_config_static_selectorELNS0_4arch9wavefront6targetE1EEEvSK_
		.amdhsa_group_segment_fixed_size 0
		.amdhsa_private_segment_fixed_size 0
		.amdhsa_kernarg_size 64
		.amdhsa_user_sgpr_count 6
		.amdhsa_user_sgpr_private_segment_buffer 1
		.amdhsa_user_sgpr_dispatch_ptr 0
		.amdhsa_user_sgpr_queue_ptr 0
		.amdhsa_user_sgpr_kernarg_segment_ptr 1
		.amdhsa_user_sgpr_dispatch_id 0
		.amdhsa_user_sgpr_flat_scratch_init 0
		.amdhsa_user_sgpr_kernarg_preload_length 0
		.amdhsa_user_sgpr_kernarg_preload_offset 0
		.amdhsa_user_sgpr_private_segment_size 0
		.amdhsa_uses_dynamic_stack 0
		.amdhsa_system_sgpr_private_segment_wavefront_offset 0
		.amdhsa_system_sgpr_workgroup_id_x 1
		.amdhsa_system_sgpr_workgroup_id_y 0
		.amdhsa_system_sgpr_workgroup_id_z 0
		.amdhsa_system_sgpr_workgroup_info 0
		.amdhsa_system_vgpr_workitem_id 0
		.amdhsa_next_free_vgpr 1
		.amdhsa_next_free_sgpr 0
		.amdhsa_accum_offset 4
		.amdhsa_reserve_vcc 0
		.amdhsa_reserve_flat_scratch 0
		.amdhsa_float_round_mode_32 0
		.amdhsa_float_round_mode_16_64 0
		.amdhsa_float_denorm_mode_32 3
		.amdhsa_float_denorm_mode_16_64 3
		.amdhsa_dx10_clamp 1
		.amdhsa_ieee_mode 1
		.amdhsa_fp16_overflow 0
		.amdhsa_tg_split 0
		.amdhsa_exception_fp_ieee_invalid_op 0
		.amdhsa_exception_fp_denorm_src 0
		.amdhsa_exception_fp_ieee_div_zero 0
		.amdhsa_exception_fp_ieee_overflow 0
		.amdhsa_exception_fp_ieee_underflow 0
		.amdhsa_exception_fp_ieee_inexact 0
		.amdhsa_exception_int_div_zero 0
	.end_amdhsa_kernel
	.section	.text._ZN7rocprim17ROCPRIM_400000_NS6detail17trampoline_kernelINS0_14default_configENS1_37merge_sort_block_sort_config_selectorImNS0_10empty_typeEEEZNS1_21merge_sort_block_sortIS3_N6thrust23THRUST_200600_302600_NS6detail15normal_iteratorINS9_10device_ptrImEEEESE_PS5_SF_14custom_greaterImEEE10hipError_tT0_T1_T2_T3_mRjT4_P12ihipStream_tbNS1_7vsmem_tEEUlT_E_NS1_11comp_targetILNS1_3genE0ELNS1_11target_archE4294967295ELNS1_3gpuE0ELNS1_3repE0EEENS1_30default_config_static_selectorELNS0_4arch9wavefront6targetE1EEEvSK_,"axG",@progbits,_ZN7rocprim17ROCPRIM_400000_NS6detail17trampoline_kernelINS0_14default_configENS1_37merge_sort_block_sort_config_selectorImNS0_10empty_typeEEEZNS1_21merge_sort_block_sortIS3_N6thrust23THRUST_200600_302600_NS6detail15normal_iteratorINS9_10device_ptrImEEEESE_PS5_SF_14custom_greaterImEEE10hipError_tT0_T1_T2_T3_mRjT4_P12ihipStream_tbNS1_7vsmem_tEEUlT_E_NS1_11comp_targetILNS1_3genE0ELNS1_11target_archE4294967295ELNS1_3gpuE0ELNS1_3repE0EEENS1_30default_config_static_selectorELNS0_4arch9wavefront6targetE1EEEvSK_,comdat
.Lfunc_end3304:
	.size	_ZN7rocprim17ROCPRIM_400000_NS6detail17trampoline_kernelINS0_14default_configENS1_37merge_sort_block_sort_config_selectorImNS0_10empty_typeEEEZNS1_21merge_sort_block_sortIS3_N6thrust23THRUST_200600_302600_NS6detail15normal_iteratorINS9_10device_ptrImEEEESE_PS5_SF_14custom_greaterImEEE10hipError_tT0_T1_T2_T3_mRjT4_P12ihipStream_tbNS1_7vsmem_tEEUlT_E_NS1_11comp_targetILNS1_3genE0ELNS1_11target_archE4294967295ELNS1_3gpuE0ELNS1_3repE0EEENS1_30default_config_static_selectorELNS0_4arch9wavefront6targetE1EEEvSK_, .Lfunc_end3304-_ZN7rocprim17ROCPRIM_400000_NS6detail17trampoline_kernelINS0_14default_configENS1_37merge_sort_block_sort_config_selectorImNS0_10empty_typeEEEZNS1_21merge_sort_block_sortIS3_N6thrust23THRUST_200600_302600_NS6detail15normal_iteratorINS9_10device_ptrImEEEESE_PS5_SF_14custom_greaterImEEE10hipError_tT0_T1_T2_T3_mRjT4_P12ihipStream_tbNS1_7vsmem_tEEUlT_E_NS1_11comp_targetILNS1_3genE0ELNS1_11target_archE4294967295ELNS1_3gpuE0ELNS1_3repE0EEENS1_30default_config_static_selectorELNS0_4arch9wavefront6targetE1EEEvSK_
                                        ; -- End function
	.section	.AMDGPU.csdata,"",@progbits
; Kernel info:
; codeLenInByte = 0
; NumSgprs: 4
; NumVgprs: 0
; NumAgprs: 0
; TotalNumVgprs: 0
; ScratchSize: 0
; MemoryBound: 0
; FloatMode: 240
; IeeeMode: 1
; LDSByteSize: 0 bytes/workgroup (compile time only)
; SGPRBlocks: 0
; VGPRBlocks: 0
; NumSGPRsForWavesPerEU: 4
; NumVGPRsForWavesPerEU: 1
; AccumOffset: 4
; Occupancy: 8
; WaveLimiterHint : 0
; COMPUTE_PGM_RSRC2:SCRATCH_EN: 0
; COMPUTE_PGM_RSRC2:USER_SGPR: 6
; COMPUTE_PGM_RSRC2:TRAP_HANDLER: 0
; COMPUTE_PGM_RSRC2:TGID_X_EN: 1
; COMPUTE_PGM_RSRC2:TGID_Y_EN: 0
; COMPUTE_PGM_RSRC2:TGID_Z_EN: 0
; COMPUTE_PGM_RSRC2:TIDIG_COMP_CNT: 0
; COMPUTE_PGM_RSRC3_GFX90A:ACCUM_OFFSET: 0
; COMPUTE_PGM_RSRC3_GFX90A:TG_SPLIT: 0
	.section	.text._ZN7rocprim17ROCPRIM_400000_NS6detail17trampoline_kernelINS0_14default_configENS1_37merge_sort_block_sort_config_selectorImNS0_10empty_typeEEEZNS1_21merge_sort_block_sortIS3_N6thrust23THRUST_200600_302600_NS6detail15normal_iteratorINS9_10device_ptrImEEEESE_PS5_SF_14custom_greaterImEEE10hipError_tT0_T1_T2_T3_mRjT4_P12ihipStream_tbNS1_7vsmem_tEEUlT_E_NS1_11comp_targetILNS1_3genE5ELNS1_11target_archE942ELNS1_3gpuE9ELNS1_3repE0EEENS1_30default_config_static_selectorELNS0_4arch9wavefront6targetE1EEEvSK_,"axG",@progbits,_ZN7rocprim17ROCPRIM_400000_NS6detail17trampoline_kernelINS0_14default_configENS1_37merge_sort_block_sort_config_selectorImNS0_10empty_typeEEEZNS1_21merge_sort_block_sortIS3_N6thrust23THRUST_200600_302600_NS6detail15normal_iteratorINS9_10device_ptrImEEEESE_PS5_SF_14custom_greaterImEEE10hipError_tT0_T1_T2_T3_mRjT4_P12ihipStream_tbNS1_7vsmem_tEEUlT_E_NS1_11comp_targetILNS1_3genE5ELNS1_11target_archE942ELNS1_3gpuE9ELNS1_3repE0EEENS1_30default_config_static_selectorELNS0_4arch9wavefront6targetE1EEEvSK_,comdat
	.protected	_ZN7rocprim17ROCPRIM_400000_NS6detail17trampoline_kernelINS0_14default_configENS1_37merge_sort_block_sort_config_selectorImNS0_10empty_typeEEEZNS1_21merge_sort_block_sortIS3_N6thrust23THRUST_200600_302600_NS6detail15normal_iteratorINS9_10device_ptrImEEEESE_PS5_SF_14custom_greaterImEEE10hipError_tT0_T1_T2_T3_mRjT4_P12ihipStream_tbNS1_7vsmem_tEEUlT_E_NS1_11comp_targetILNS1_3genE5ELNS1_11target_archE942ELNS1_3gpuE9ELNS1_3repE0EEENS1_30default_config_static_selectorELNS0_4arch9wavefront6targetE1EEEvSK_ ; -- Begin function _ZN7rocprim17ROCPRIM_400000_NS6detail17trampoline_kernelINS0_14default_configENS1_37merge_sort_block_sort_config_selectorImNS0_10empty_typeEEEZNS1_21merge_sort_block_sortIS3_N6thrust23THRUST_200600_302600_NS6detail15normal_iteratorINS9_10device_ptrImEEEESE_PS5_SF_14custom_greaterImEEE10hipError_tT0_T1_T2_T3_mRjT4_P12ihipStream_tbNS1_7vsmem_tEEUlT_E_NS1_11comp_targetILNS1_3genE5ELNS1_11target_archE942ELNS1_3gpuE9ELNS1_3repE0EEENS1_30default_config_static_selectorELNS0_4arch9wavefront6targetE1EEEvSK_
	.globl	_ZN7rocprim17ROCPRIM_400000_NS6detail17trampoline_kernelINS0_14default_configENS1_37merge_sort_block_sort_config_selectorImNS0_10empty_typeEEEZNS1_21merge_sort_block_sortIS3_N6thrust23THRUST_200600_302600_NS6detail15normal_iteratorINS9_10device_ptrImEEEESE_PS5_SF_14custom_greaterImEEE10hipError_tT0_T1_T2_T3_mRjT4_P12ihipStream_tbNS1_7vsmem_tEEUlT_E_NS1_11comp_targetILNS1_3genE5ELNS1_11target_archE942ELNS1_3gpuE9ELNS1_3repE0EEENS1_30default_config_static_selectorELNS0_4arch9wavefront6targetE1EEEvSK_
	.p2align	8
	.type	_ZN7rocprim17ROCPRIM_400000_NS6detail17trampoline_kernelINS0_14default_configENS1_37merge_sort_block_sort_config_selectorImNS0_10empty_typeEEEZNS1_21merge_sort_block_sortIS3_N6thrust23THRUST_200600_302600_NS6detail15normal_iteratorINS9_10device_ptrImEEEESE_PS5_SF_14custom_greaterImEEE10hipError_tT0_T1_T2_T3_mRjT4_P12ihipStream_tbNS1_7vsmem_tEEUlT_E_NS1_11comp_targetILNS1_3genE5ELNS1_11target_archE942ELNS1_3gpuE9ELNS1_3repE0EEENS1_30default_config_static_selectorELNS0_4arch9wavefront6targetE1EEEvSK_,@function
_ZN7rocprim17ROCPRIM_400000_NS6detail17trampoline_kernelINS0_14default_configENS1_37merge_sort_block_sort_config_selectorImNS0_10empty_typeEEEZNS1_21merge_sort_block_sortIS3_N6thrust23THRUST_200600_302600_NS6detail15normal_iteratorINS9_10device_ptrImEEEESE_PS5_SF_14custom_greaterImEEE10hipError_tT0_T1_T2_T3_mRjT4_P12ihipStream_tbNS1_7vsmem_tEEUlT_E_NS1_11comp_targetILNS1_3genE5ELNS1_11target_archE942ELNS1_3gpuE9ELNS1_3repE0EEENS1_30default_config_static_selectorELNS0_4arch9wavefront6targetE1EEEvSK_: ; @_ZN7rocprim17ROCPRIM_400000_NS6detail17trampoline_kernelINS0_14default_configENS1_37merge_sort_block_sort_config_selectorImNS0_10empty_typeEEEZNS1_21merge_sort_block_sortIS3_N6thrust23THRUST_200600_302600_NS6detail15normal_iteratorINS9_10device_ptrImEEEESE_PS5_SF_14custom_greaterImEEE10hipError_tT0_T1_T2_T3_mRjT4_P12ihipStream_tbNS1_7vsmem_tEEUlT_E_NS1_11comp_targetILNS1_3genE5ELNS1_11target_archE942ELNS1_3gpuE9ELNS1_3repE0EEENS1_30default_config_static_selectorELNS0_4arch9wavefront6targetE1EEEvSK_
; %bb.0:
	.section	.rodata,"a",@progbits
	.p2align	6, 0x0
	.amdhsa_kernel _ZN7rocprim17ROCPRIM_400000_NS6detail17trampoline_kernelINS0_14default_configENS1_37merge_sort_block_sort_config_selectorImNS0_10empty_typeEEEZNS1_21merge_sort_block_sortIS3_N6thrust23THRUST_200600_302600_NS6detail15normal_iteratorINS9_10device_ptrImEEEESE_PS5_SF_14custom_greaterImEEE10hipError_tT0_T1_T2_T3_mRjT4_P12ihipStream_tbNS1_7vsmem_tEEUlT_E_NS1_11comp_targetILNS1_3genE5ELNS1_11target_archE942ELNS1_3gpuE9ELNS1_3repE0EEENS1_30default_config_static_selectorELNS0_4arch9wavefront6targetE1EEEvSK_
		.amdhsa_group_segment_fixed_size 0
		.amdhsa_private_segment_fixed_size 0
		.amdhsa_kernarg_size 64
		.amdhsa_user_sgpr_count 6
		.amdhsa_user_sgpr_private_segment_buffer 1
		.amdhsa_user_sgpr_dispatch_ptr 0
		.amdhsa_user_sgpr_queue_ptr 0
		.amdhsa_user_sgpr_kernarg_segment_ptr 1
		.amdhsa_user_sgpr_dispatch_id 0
		.amdhsa_user_sgpr_flat_scratch_init 0
		.amdhsa_user_sgpr_kernarg_preload_length 0
		.amdhsa_user_sgpr_kernarg_preload_offset 0
		.amdhsa_user_sgpr_private_segment_size 0
		.amdhsa_uses_dynamic_stack 0
		.amdhsa_system_sgpr_private_segment_wavefront_offset 0
		.amdhsa_system_sgpr_workgroup_id_x 1
		.amdhsa_system_sgpr_workgroup_id_y 0
		.amdhsa_system_sgpr_workgroup_id_z 0
		.amdhsa_system_sgpr_workgroup_info 0
		.amdhsa_system_vgpr_workitem_id 0
		.amdhsa_next_free_vgpr 1
		.amdhsa_next_free_sgpr 0
		.amdhsa_accum_offset 4
		.amdhsa_reserve_vcc 0
		.amdhsa_reserve_flat_scratch 0
		.amdhsa_float_round_mode_32 0
		.amdhsa_float_round_mode_16_64 0
		.amdhsa_float_denorm_mode_32 3
		.amdhsa_float_denorm_mode_16_64 3
		.amdhsa_dx10_clamp 1
		.amdhsa_ieee_mode 1
		.amdhsa_fp16_overflow 0
		.amdhsa_tg_split 0
		.amdhsa_exception_fp_ieee_invalid_op 0
		.amdhsa_exception_fp_denorm_src 0
		.amdhsa_exception_fp_ieee_div_zero 0
		.amdhsa_exception_fp_ieee_overflow 0
		.amdhsa_exception_fp_ieee_underflow 0
		.amdhsa_exception_fp_ieee_inexact 0
		.amdhsa_exception_int_div_zero 0
	.end_amdhsa_kernel
	.section	.text._ZN7rocprim17ROCPRIM_400000_NS6detail17trampoline_kernelINS0_14default_configENS1_37merge_sort_block_sort_config_selectorImNS0_10empty_typeEEEZNS1_21merge_sort_block_sortIS3_N6thrust23THRUST_200600_302600_NS6detail15normal_iteratorINS9_10device_ptrImEEEESE_PS5_SF_14custom_greaterImEEE10hipError_tT0_T1_T2_T3_mRjT4_P12ihipStream_tbNS1_7vsmem_tEEUlT_E_NS1_11comp_targetILNS1_3genE5ELNS1_11target_archE942ELNS1_3gpuE9ELNS1_3repE0EEENS1_30default_config_static_selectorELNS0_4arch9wavefront6targetE1EEEvSK_,"axG",@progbits,_ZN7rocprim17ROCPRIM_400000_NS6detail17trampoline_kernelINS0_14default_configENS1_37merge_sort_block_sort_config_selectorImNS0_10empty_typeEEEZNS1_21merge_sort_block_sortIS3_N6thrust23THRUST_200600_302600_NS6detail15normal_iteratorINS9_10device_ptrImEEEESE_PS5_SF_14custom_greaterImEEE10hipError_tT0_T1_T2_T3_mRjT4_P12ihipStream_tbNS1_7vsmem_tEEUlT_E_NS1_11comp_targetILNS1_3genE5ELNS1_11target_archE942ELNS1_3gpuE9ELNS1_3repE0EEENS1_30default_config_static_selectorELNS0_4arch9wavefront6targetE1EEEvSK_,comdat
.Lfunc_end3305:
	.size	_ZN7rocprim17ROCPRIM_400000_NS6detail17trampoline_kernelINS0_14default_configENS1_37merge_sort_block_sort_config_selectorImNS0_10empty_typeEEEZNS1_21merge_sort_block_sortIS3_N6thrust23THRUST_200600_302600_NS6detail15normal_iteratorINS9_10device_ptrImEEEESE_PS5_SF_14custom_greaterImEEE10hipError_tT0_T1_T2_T3_mRjT4_P12ihipStream_tbNS1_7vsmem_tEEUlT_E_NS1_11comp_targetILNS1_3genE5ELNS1_11target_archE942ELNS1_3gpuE9ELNS1_3repE0EEENS1_30default_config_static_selectorELNS0_4arch9wavefront6targetE1EEEvSK_, .Lfunc_end3305-_ZN7rocprim17ROCPRIM_400000_NS6detail17trampoline_kernelINS0_14default_configENS1_37merge_sort_block_sort_config_selectorImNS0_10empty_typeEEEZNS1_21merge_sort_block_sortIS3_N6thrust23THRUST_200600_302600_NS6detail15normal_iteratorINS9_10device_ptrImEEEESE_PS5_SF_14custom_greaterImEEE10hipError_tT0_T1_T2_T3_mRjT4_P12ihipStream_tbNS1_7vsmem_tEEUlT_E_NS1_11comp_targetILNS1_3genE5ELNS1_11target_archE942ELNS1_3gpuE9ELNS1_3repE0EEENS1_30default_config_static_selectorELNS0_4arch9wavefront6targetE1EEEvSK_
                                        ; -- End function
	.section	.AMDGPU.csdata,"",@progbits
; Kernel info:
; codeLenInByte = 0
; NumSgprs: 4
; NumVgprs: 0
; NumAgprs: 0
; TotalNumVgprs: 0
; ScratchSize: 0
; MemoryBound: 0
; FloatMode: 240
; IeeeMode: 1
; LDSByteSize: 0 bytes/workgroup (compile time only)
; SGPRBlocks: 0
; VGPRBlocks: 0
; NumSGPRsForWavesPerEU: 4
; NumVGPRsForWavesPerEU: 1
; AccumOffset: 4
; Occupancy: 8
; WaveLimiterHint : 0
; COMPUTE_PGM_RSRC2:SCRATCH_EN: 0
; COMPUTE_PGM_RSRC2:USER_SGPR: 6
; COMPUTE_PGM_RSRC2:TRAP_HANDLER: 0
; COMPUTE_PGM_RSRC2:TGID_X_EN: 1
; COMPUTE_PGM_RSRC2:TGID_Y_EN: 0
; COMPUTE_PGM_RSRC2:TGID_Z_EN: 0
; COMPUTE_PGM_RSRC2:TIDIG_COMP_CNT: 0
; COMPUTE_PGM_RSRC3_GFX90A:ACCUM_OFFSET: 0
; COMPUTE_PGM_RSRC3_GFX90A:TG_SPLIT: 0
	.section	.text._ZN7rocprim17ROCPRIM_400000_NS6detail17trampoline_kernelINS0_14default_configENS1_37merge_sort_block_sort_config_selectorImNS0_10empty_typeEEEZNS1_21merge_sort_block_sortIS3_N6thrust23THRUST_200600_302600_NS6detail15normal_iteratorINS9_10device_ptrImEEEESE_PS5_SF_14custom_greaterImEEE10hipError_tT0_T1_T2_T3_mRjT4_P12ihipStream_tbNS1_7vsmem_tEEUlT_E_NS1_11comp_targetILNS1_3genE4ELNS1_11target_archE910ELNS1_3gpuE8ELNS1_3repE0EEENS1_30default_config_static_selectorELNS0_4arch9wavefront6targetE1EEEvSK_,"axG",@progbits,_ZN7rocprim17ROCPRIM_400000_NS6detail17trampoline_kernelINS0_14default_configENS1_37merge_sort_block_sort_config_selectorImNS0_10empty_typeEEEZNS1_21merge_sort_block_sortIS3_N6thrust23THRUST_200600_302600_NS6detail15normal_iteratorINS9_10device_ptrImEEEESE_PS5_SF_14custom_greaterImEEE10hipError_tT0_T1_T2_T3_mRjT4_P12ihipStream_tbNS1_7vsmem_tEEUlT_E_NS1_11comp_targetILNS1_3genE4ELNS1_11target_archE910ELNS1_3gpuE8ELNS1_3repE0EEENS1_30default_config_static_selectorELNS0_4arch9wavefront6targetE1EEEvSK_,comdat
	.protected	_ZN7rocprim17ROCPRIM_400000_NS6detail17trampoline_kernelINS0_14default_configENS1_37merge_sort_block_sort_config_selectorImNS0_10empty_typeEEEZNS1_21merge_sort_block_sortIS3_N6thrust23THRUST_200600_302600_NS6detail15normal_iteratorINS9_10device_ptrImEEEESE_PS5_SF_14custom_greaterImEEE10hipError_tT0_T1_T2_T3_mRjT4_P12ihipStream_tbNS1_7vsmem_tEEUlT_E_NS1_11comp_targetILNS1_3genE4ELNS1_11target_archE910ELNS1_3gpuE8ELNS1_3repE0EEENS1_30default_config_static_selectorELNS0_4arch9wavefront6targetE1EEEvSK_ ; -- Begin function _ZN7rocprim17ROCPRIM_400000_NS6detail17trampoline_kernelINS0_14default_configENS1_37merge_sort_block_sort_config_selectorImNS0_10empty_typeEEEZNS1_21merge_sort_block_sortIS3_N6thrust23THRUST_200600_302600_NS6detail15normal_iteratorINS9_10device_ptrImEEEESE_PS5_SF_14custom_greaterImEEE10hipError_tT0_T1_T2_T3_mRjT4_P12ihipStream_tbNS1_7vsmem_tEEUlT_E_NS1_11comp_targetILNS1_3genE4ELNS1_11target_archE910ELNS1_3gpuE8ELNS1_3repE0EEENS1_30default_config_static_selectorELNS0_4arch9wavefront6targetE1EEEvSK_
	.globl	_ZN7rocprim17ROCPRIM_400000_NS6detail17trampoline_kernelINS0_14default_configENS1_37merge_sort_block_sort_config_selectorImNS0_10empty_typeEEEZNS1_21merge_sort_block_sortIS3_N6thrust23THRUST_200600_302600_NS6detail15normal_iteratorINS9_10device_ptrImEEEESE_PS5_SF_14custom_greaterImEEE10hipError_tT0_T1_T2_T3_mRjT4_P12ihipStream_tbNS1_7vsmem_tEEUlT_E_NS1_11comp_targetILNS1_3genE4ELNS1_11target_archE910ELNS1_3gpuE8ELNS1_3repE0EEENS1_30default_config_static_selectorELNS0_4arch9wavefront6targetE1EEEvSK_
	.p2align	8
	.type	_ZN7rocprim17ROCPRIM_400000_NS6detail17trampoline_kernelINS0_14default_configENS1_37merge_sort_block_sort_config_selectorImNS0_10empty_typeEEEZNS1_21merge_sort_block_sortIS3_N6thrust23THRUST_200600_302600_NS6detail15normal_iteratorINS9_10device_ptrImEEEESE_PS5_SF_14custom_greaterImEEE10hipError_tT0_T1_T2_T3_mRjT4_P12ihipStream_tbNS1_7vsmem_tEEUlT_E_NS1_11comp_targetILNS1_3genE4ELNS1_11target_archE910ELNS1_3gpuE8ELNS1_3repE0EEENS1_30default_config_static_selectorELNS0_4arch9wavefront6targetE1EEEvSK_,@function
_ZN7rocprim17ROCPRIM_400000_NS6detail17trampoline_kernelINS0_14default_configENS1_37merge_sort_block_sort_config_selectorImNS0_10empty_typeEEEZNS1_21merge_sort_block_sortIS3_N6thrust23THRUST_200600_302600_NS6detail15normal_iteratorINS9_10device_ptrImEEEESE_PS5_SF_14custom_greaterImEEE10hipError_tT0_T1_T2_T3_mRjT4_P12ihipStream_tbNS1_7vsmem_tEEUlT_E_NS1_11comp_targetILNS1_3genE4ELNS1_11target_archE910ELNS1_3gpuE8ELNS1_3repE0EEENS1_30default_config_static_selectorELNS0_4arch9wavefront6targetE1EEEvSK_: ; @_ZN7rocprim17ROCPRIM_400000_NS6detail17trampoline_kernelINS0_14default_configENS1_37merge_sort_block_sort_config_selectorImNS0_10empty_typeEEEZNS1_21merge_sort_block_sortIS3_N6thrust23THRUST_200600_302600_NS6detail15normal_iteratorINS9_10device_ptrImEEEESE_PS5_SF_14custom_greaterImEEE10hipError_tT0_T1_T2_T3_mRjT4_P12ihipStream_tbNS1_7vsmem_tEEUlT_E_NS1_11comp_targetILNS1_3genE4ELNS1_11target_archE910ELNS1_3gpuE8ELNS1_3repE0EEENS1_30default_config_static_selectorELNS0_4arch9wavefront6targetE1EEEvSK_
; %bb.0:
	s_load_dwordx2 s[12:13], s[4:5], 0x40
	s_load_dword s0, s[4:5], 0x0
	s_add_u32 s10, s4, 64
	s_addc_u32 s11, s5, 0
	s_waitcnt lgkmcnt(0)
	s_mul_i32 s1, s13, s8
	s_add_i32 s1, s1, s7
	s_mul_i32 s1, s1, s12
	s_add_i32 s8, s1, s6
	s_cmp_ge_u32 s8, s0
	s_cbranch_scc1 .LBB3306_154
; %bb.1:
	s_load_dwordx2 s[14:15], s[4:5], 0x8
	s_load_dwordx4 s[0:3], s[4:5], 0x18
	s_mov_b32 s9, 0
	s_lshl_b64 s[4:5], s[8:9], 13
	v_and_b32_e32 v10, 0x3ff, v0
	s_waitcnt lgkmcnt(0)
	s_lshr_b64 s[16:17], s[14:15], 10
	s_add_u32 s7, s0, s4
	s_addc_u32 s13, s1, s5
	s_add_u32 s15, s2, s4
	s_addc_u32 s18, s3, s5
	s_cmp_lg_u64 s[16:17], s[8:9]
	v_bfe_u32 v14, v0, 10, 10
	v_bfe_u32 v15, v0, 20, 10
	v_lshlrev_b32_e32 v12, 3, v10
	v_lshrrev_b32_e32 v17, 2, v10
	v_lshlrev_b32_e32 v13, 2, v10
	v_lshrrev_b32_e32 v16, 3, v10
	s_cbranch_scc0 .LBB3306_85
; %bb.2:
	v_mov_b32_e32 v1, s13
	v_add_co_u32_e32 v0, vcc, s7, v12
	v_addc_co_u32_e32 v1, vcc, 0, v1, vcc
	v_add_co_u32_e32 v2, vcc, 0x1000, v0
	v_addc_co_u32_e32 v3, vcc, 0, v1, vcc
	flat_load_dwordx2 v[4:5], v[0:1]
	flat_load_dwordx2 v[6:7], v[0:1] offset:2048
	flat_load_dwordx2 v[8:9], v[2:3]
	flat_load_dwordx2 v[24:25], v[2:3] offset:2048
	v_and_b32_e32 v0, 0xf8, v17
	v_add_u32_e32 v1, 0x100, v10
	v_add_u32_e32 v2, 0x200, v10
	;; [unrolled: 1-line block ×4, first 2 shown]
	v_lshrrev_b32_e32 v0, 2, v1
	v_lshrrev_b32_e32 v1, 2, v2
	;; [unrolled: 1-line block ×3, first 2 shown]
	v_add_lshl_u32 v19, v16, v13, 3
	v_and_b32_e32 v0, 0x1f8, v0
	v_and_b32_e32 v1, 0x1f8, v1
	;; [unrolled: 1-line block ×3, first 2 shown]
	v_add_u32_e32 v20, v0, v12
	v_add_u32_e32 v21, v1, v12
	;; [unrolled: 1-line block ×3, first 2 shown]
	v_mov_b32_e32 v11, 0
	s_movk_i32 s2, 0x400
	s_waitcnt vmcnt(0) lgkmcnt(0)
	ds_write_b64 v18, v[4:5]
	ds_write_b64 v20, v[6:7] offset:2048
	ds_write_b64 v21, v[8:9] offset:4096
	;; [unrolled: 1-line block ×3, first 2 shown]
	s_waitcnt lgkmcnt(0)
	s_barrier
	ds_read2_b64 v[2:5], v19 offset1:1
	ds_read2_b64 v[6:9], v19 offset0:2 offset1:3
	s_waitcnt lgkmcnt(0)
	s_barrier
	s_load_dword s0, s[10:11], 0xc
	s_waitcnt lgkmcnt(0)
	s_lshr_b32 s3, s0, 16
	s_cmp_lt_u32 s6, s12
	s_cselect_b32 s0, 12, 18
	s_add_u32 s0, s10, s0
	s_addc_u32 s1, s11, 0
	global_load_ushort v0, v11, s[0:1]
	v_mad_u32_u24 v1, v15, s3, v14
	s_waitcnt vmcnt(0)
	v_mul_lo_u32 v0, v1, v0
	v_add_lshl_u32 v23, v0, v10, 2
	v_cmp_gt_u32_e32 vcc, s2, v23
	v_pk_mov_b32 v[0:1], v[2:3], v[2:3] op_sel:[0,1]
	s_and_saveexec_b64 s[0:1], vcc
	s_cbranch_execz .LBB3306_4
; %bb.3:
	v_cmp_gt_u64_e32 vcc, v[2:3], v[4:5]
	v_cndmask_b32_e32 v25, v5, v3, vcc
	v_cndmask_b32_e32 v24, v4, v2, vcc
	v_cndmask_b32_e32 v28, v2, v4, vcc
	v_cndmask_b32_e32 v29, v3, v5, vcc
	v_cmp_lt_u64_e32 vcc, v[2:3], v[4:5]
	v_cndmask_b32_e32 v5, v5, v3, vcc
	v_cndmask_b32_e32 v4, v4, v2, vcc
	v_cmp_gt_u64_e32 vcc, v[6:7], v[8:9]
	v_cndmask_b32_e32 v27, v9, v7, vcc
	v_cndmask_b32_e32 v26, v8, v6, vcc
	;; [unrolled: 1-line block ×4, first 2 shown]
	v_cmp_lt_u64_e32 vcc, v[6:7], v[8:9]
	v_cndmask_b32_e32 v1, v9, v7, vcc
	v_cndmask_b32_e32 v0, v8, v6, vcc
	v_cmp_gt_u64_e32 vcc, v[24:25], v[0:1]
	v_cndmask_b32_e32 v30, v3, v25, vcc
	v_cndmask_b32_e32 v31, v2, v24, vcc
	;; [unrolled: 1-line block ×6, first 2 shown]
	v_cmp_lt_u64_e32 vcc, v[24:25], v[0:1]
	v_cndmask_b32_e32 v6, v0, v24, vcc
	v_cndmask_b32_e32 v7, v1, v25, vcc
	v_cmp_lt_u64_e32 vcc, v[0:1], v[4:5]
	v_cndmask_b32_e32 v1, v29, v7, vcc
	v_cndmask_b32_e32 v0, v28, v6, vcc
	;; [unrolled: 1-line block ×8, first 2 shown]
	v_cmp_gt_u64_e32 vcc, v[24:25], v[26:27]
	v_cndmask_b32_e32 v5, v33, v27, vcc
	v_cndmask_b32_e32 v4, v32, v26, vcc
	;; [unrolled: 1-line block ×6, first 2 shown]
	v_cmp_gt_u64_e32 vcc, v[6:7], v[4:5]
	v_cndmask_b32_e32 v5, v29, v5, vcc
	v_cndmask_b32_e32 v4, v28, v4, vcc
	;; [unrolled: 1-line block ×4, first 2 shown]
.LBB3306_4:
	s_or_b64 exec, exec, s[0:1]
	v_mbcnt_lo_u32_b32 v24, -1, 0
	v_mbcnt_hi_u32_b32 v26, -1, v24
	v_and_b32_e32 v23, 0xffffff00, v23
	v_sub_u32_e64 v24, s2, v23 clamp
	v_lshlrev_b32_e32 v23, 3, v23
	v_lshlrev_b32_e32 v25, 5, v26
	v_add_u32_e32 v25, v23, v25
	v_lshlrev_b32_e32 v26, 2, v26
	ds_write_b128 v25, v[2:5]
	ds_write_b128 v25, v[6:9] offset:16
	v_or_b32_e32 v2, 4, v26
	v_min_u32_e32 v28, v24, v2
	v_add_u32_e32 v2, 4, v28
	v_and_b32_e32 v29, 0x1f8, v26
	v_min_u32_e32 v27, v24, v2
	v_and_b32_e32 v2, 4, v26
	v_min_u32_e32 v30, v24, v2
	v_sub_u32_e32 v31, v28, v29
	v_sub_u32_e32 v3, v27, v28
	v_sub_u32_e64 v3, v30, v3 clamp
	v_min_u32_e32 v31, v30, v31
	v_lshl_add_u32 v2, v29, 3, v23
	v_cmp_lt_u32_e32 vcc, v3, v31
	; wave barrier
	s_and_saveexec_b64 s[0:1], vcc
	s_cbranch_execz .LBB3306_8
; %bb.5:
	v_lshlrev_b32_e32 v32, 3, v28
	v_lshlrev_b32_e32 v33, 3, v30
	v_add3_u32 v32, v23, v32, v33
	s_mov_b64 s[2:3], 0
.LBB3306_6:                             ; =>This Inner Loop Header: Depth=1
	v_add_u32_e32 v33, v31, v3
	v_lshrrev_b32_e32 v33, 1, v33
	v_not_b32_e32 v34, v33
	v_lshl_add_u32 v35, v33, 3, v2
	v_lshl_add_u32 v36, v34, 3, v32
	ds_read_b64 v[34:35], v35
	ds_read_b64 v[36:37], v36
	v_add_u32_e32 v38, 1, v33
	s_waitcnt lgkmcnt(0)
	v_cmp_gt_u64_e32 vcc, v[34:35], v[36:37]
	v_cndmask_b32_e32 v31, v31, v33, vcc
	v_cndmask_b32_e32 v3, v38, v3, vcc
	v_cmp_ge_u32_e32 vcc, v3, v31
	s_or_b64 s[2:3], vcc, s[2:3]
	s_andn2_b64 exec, exec, s[2:3]
	s_cbranch_execnz .LBB3306_6
; %bb.7:
	s_or_b64 exec, exec, s[2:3]
.LBB3306_8:
	s_or_b64 exec, exec, s[0:1]
	v_add_u32_e32 v30, v28, v30
	v_add_u32_e32 v29, v3, v29
	v_sub_u32_e32 v30, v30, v3
	v_cmp_le_u32_e32 vcc, v29, v28
	v_cmp_le_u32_e64 s[0:1], v30, v27
	s_or_b64 s[0:1], vcc, s[0:1]
	s_and_saveexec_b64 s[16:17], s[0:1]
	s_cbranch_execz .LBB3306_14
; %bb.9:
	v_cmp_lt_u32_e32 vcc, v29, v28
                                        ; implicit-def: $vgpr0_vgpr1
	s_and_saveexec_b64 s[0:1], vcc
	s_cbranch_execz .LBB3306_11
; %bb.10:
	v_lshl_add_u32 v0, v3, 3, v2
	ds_read_b64 v[0:1], v0
.LBB3306_11:
	s_or_b64 exec, exec, s[0:1]
	v_cmp_ge_u32_e64 s[0:1], v30, v27
	v_cmp_lt_u32_e64 s[2:3], v30, v27
                                        ; implicit-def: $vgpr2_vgpr3
	s_and_saveexec_b64 s[4:5], s[2:3]
	s_cbranch_execz .LBB3306_13
; %bb.12:
	v_lshl_add_u32 v2, v30, 3, v23
	ds_read_b64 v[2:3], v2
.LBB3306_13:
	s_or_b64 exec, exec, s[4:5]
	s_waitcnt lgkmcnt(0)
	v_cmp_le_u64_e64 s[2:3], v[0:1], v[2:3]
	s_and_b64 s[2:3], vcc, s[2:3]
	s_or_b64 vcc, s[0:1], s[2:3]
	v_cndmask_b32_e32 v4, v30, v29, vcc
	v_cndmask_b32_e32 v5, v27, v28, vcc
	v_add_u32_e32 v8, 1, v4
	v_add_u32_e32 v4, -1, v5
	v_min_u32_e32 v4, v8, v4
	v_lshl_add_u32 v4, v4, 3, v23
	ds_read_b64 v[4:5], v4
	v_cndmask_b32_e32 v29, v29, v8, vcc
	v_cndmask_b32_e32 v30, v8, v30, vcc
	v_cmp_lt_u32_e64 s[2:3], v29, v28
	v_cmp_ge_u32_e64 s[0:1], v30, v27
	s_waitcnt lgkmcnt(0)
	v_cndmask_b32_e32 v7, v5, v3, vcc
	v_cndmask_b32_e32 v6, v4, v2, vcc
	v_cndmask_b32_e32 v5, v1, v5, vcc
	v_cndmask_b32_e32 v4, v0, v4, vcc
	v_cmp_le_u64_e64 s[4:5], v[4:5], v[6:7]
	s_and_b64 s[2:3], s[2:3], s[4:5]
	s_or_b64 s[0:1], s[0:1], s[2:3]
	v_cndmask_b32_e64 v8, v30, v29, s[0:1]
	v_cndmask_b32_e64 v9, v27, v28, s[0:1]
	v_add_u32_e32 v31, 1, v8
	v_add_u32_e32 v8, -1, v9
	v_min_u32_e32 v8, v31, v8
	v_lshl_add_u32 v8, v8, 3, v23
	ds_read_b64 v[8:9], v8
	v_cndmask_b32_e32 v1, v3, v1, vcc
	v_cndmask_b32_e32 v0, v2, v0, vcc
	v_cndmask_b32_e64 v29, v29, v31, s[0:1]
	v_cndmask_b32_e64 v32, v31, v30, s[0:1]
	s_waitcnt lgkmcnt(0)
	v_cndmask_b32_e64 v3, v9, v7, s[0:1]
	v_cndmask_b32_e64 v2, v8, v6, s[0:1]
	;; [unrolled: 1-line block ×4, first 2 shown]
	v_cmp_lt_u32_e64 s[2:3], v29, v28
	v_cmp_le_u64_e64 s[4:5], v[8:9], v[2:3]
	v_cmp_ge_u32_e32 vcc, v32, v27
	s_and_b64 s[2:3], s[2:3], s[4:5]
	s_or_b64 vcc, vcc, s[2:3]
	v_cndmask_b32_e32 v30, v32, v29, vcc
	v_cndmask_b32_e32 v31, v27, v28, vcc
	v_add_u32_e32 v33, 1, v30
	v_add_u32_e32 v30, -1, v31
	v_min_u32_e32 v30, v33, v30
	v_lshl_add_u32 v30, v30, 3, v23
	ds_read_b64 v[30:31], v30
	v_cndmask_b32_e64 v5, v7, v5, s[0:1]
	v_cndmask_b32_e64 v4, v6, v4, s[0:1]
	v_cndmask_b32_e32 v7, v3, v9, vcc
	v_cndmask_b32_e32 v6, v2, v8, vcc
	s_waitcnt lgkmcnt(0)
	v_cndmask_b32_e32 v9, v9, v31, vcc
	v_cndmask_b32_e32 v8, v8, v30, vcc
	;; [unrolled: 1-line block ×6, first 2 shown]
	v_cmp_lt_u32_e32 vcc, v29, v28
	v_cmp_lt_u64_e64 s[0:1], v[8:9], v[2:3]
	s_and_b64 vcc, vcc, s[0:1]
	v_cndmask_b32_e32 v2, v2, v8, vcc
	v_cndmask_b32_e32 v3, v3, v9, vcc
	v_cmp_lt_u32_e32 vcc, v32, v27
	v_cndmask_b32_e32 v9, v9, v3, vcc
	v_cndmask_b32_e32 v8, v8, v2, vcc
.LBB3306_14:
	s_or_b64 exec, exec, s[16:17]
	v_mov_b32_e32 v2, v4
	v_mov_b32_e32 v3, v5
	v_and_b32_e32 v29, 0x1f0, v26
	; wave barrier
	ds_write_b128 v25, v[0:3]
	ds_write_b128 v25, v[6:9] offset:16
	v_or_b32_e32 v2, 8, v29
	v_min_u32_e32 v28, v24, v2
	v_add_u32_e32 v2, 8, v28
	v_min_u32_e32 v27, v24, v2
	v_and_b32_e32 v2, 12, v26
	v_min_u32_e32 v30, v24, v2
	v_sub_u32_e32 v31, v28, v29
	v_sub_u32_e32 v3, v27, v28
	v_sub_u32_e64 v3, v30, v3 clamp
	v_min_u32_e32 v31, v30, v31
	v_lshl_add_u32 v2, v29, 3, v23
	v_cmp_lt_u32_e32 vcc, v3, v31
	; wave barrier
	s_and_saveexec_b64 s[0:1], vcc
	s_cbranch_execz .LBB3306_18
; %bb.15:
	v_lshlrev_b32_e32 v32, 3, v28
	v_lshlrev_b32_e32 v33, 3, v30
	v_add3_u32 v32, v23, v32, v33
	s_mov_b64 s[2:3], 0
.LBB3306_16:                            ; =>This Inner Loop Header: Depth=1
	v_add_u32_e32 v33, v31, v3
	v_lshrrev_b32_e32 v33, 1, v33
	v_not_b32_e32 v34, v33
	v_lshl_add_u32 v35, v33, 3, v2
	v_lshl_add_u32 v36, v34, 3, v32
	ds_read_b64 v[34:35], v35
	ds_read_b64 v[36:37], v36
	v_add_u32_e32 v38, 1, v33
	s_waitcnt lgkmcnt(0)
	v_cmp_gt_u64_e32 vcc, v[34:35], v[36:37]
	v_cndmask_b32_e32 v31, v31, v33, vcc
	v_cndmask_b32_e32 v3, v38, v3, vcc
	v_cmp_ge_u32_e32 vcc, v3, v31
	s_or_b64 s[2:3], vcc, s[2:3]
	s_andn2_b64 exec, exec, s[2:3]
	s_cbranch_execnz .LBB3306_16
; %bb.17:
	s_or_b64 exec, exec, s[2:3]
.LBB3306_18:
	s_or_b64 exec, exec, s[0:1]
	v_add_u32_e32 v30, v28, v30
	v_add_u32_e32 v29, v3, v29
	v_sub_u32_e32 v30, v30, v3
	v_cmp_le_u32_e32 vcc, v29, v28
	v_cmp_le_u32_e64 s[0:1], v30, v27
	s_or_b64 s[0:1], vcc, s[0:1]
	s_and_saveexec_b64 s[16:17], s[0:1]
	s_cbranch_execz .LBB3306_24
; %bb.19:
	v_cmp_lt_u32_e32 vcc, v29, v28
                                        ; implicit-def: $vgpr0_vgpr1
	s_and_saveexec_b64 s[0:1], vcc
	s_cbranch_execz .LBB3306_21
; %bb.20:
	v_lshl_add_u32 v0, v3, 3, v2
	ds_read_b64 v[0:1], v0
.LBB3306_21:
	s_or_b64 exec, exec, s[0:1]
	v_cmp_ge_u32_e64 s[0:1], v30, v27
	v_cmp_lt_u32_e64 s[2:3], v30, v27
                                        ; implicit-def: $vgpr2_vgpr3
	s_and_saveexec_b64 s[4:5], s[2:3]
	s_cbranch_execz .LBB3306_23
; %bb.22:
	v_lshl_add_u32 v2, v30, 3, v23
	ds_read_b64 v[2:3], v2
.LBB3306_23:
	s_or_b64 exec, exec, s[4:5]
	s_waitcnt lgkmcnt(0)
	v_cmp_le_u64_e64 s[2:3], v[0:1], v[2:3]
	s_and_b64 s[2:3], vcc, s[2:3]
	s_or_b64 vcc, s[0:1], s[2:3]
	v_cndmask_b32_e32 v4, v30, v29, vcc
	v_cndmask_b32_e32 v5, v27, v28, vcc
	v_add_u32_e32 v8, 1, v4
	v_add_u32_e32 v4, -1, v5
	v_min_u32_e32 v4, v8, v4
	v_lshl_add_u32 v4, v4, 3, v23
	ds_read_b64 v[4:5], v4
	v_cndmask_b32_e32 v29, v29, v8, vcc
	v_cndmask_b32_e32 v30, v8, v30, vcc
	v_cmp_lt_u32_e64 s[2:3], v29, v28
	v_cmp_ge_u32_e64 s[0:1], v30, v27
	s_waitcnt lgkmcnt(0)
	v_cndmask_b32_e32 v7, v5, v3, vcc
	v_cndmask_b32_e32 v6, v4, v2, vcc
	;; [unrolled: 1-line block ×4, first 2 shown]
	v_cmp_le_u64_e64 s[4:5], v[4:5], v[6:7]
	s_and_b64 s[2:3], s[2:3], s[4:5]
	s_or_b64 s[0:1], s[0:1], s[2:3]
	v_cndmask_b32_e64 v8, v30, v29, s[0:1]
	v_cndmask_b32_e64 v9, v27, v28, s[0:1]
	v_add_u32_e32 v31, 1, v8
	v_add_u32_e32 v8, -1, v9
	v_min_u32_e32 v8, v31, v8
	v_lshl_add_u32 v8, v8, 3, v23
	ds_read_b64 v[8:9], v8
	v_cndmask_b32_e32 v1, v3, v1, vcc
	v_cndmask_b32_e32 v0, v2, v0, vcc
	v_cndmask_b32_e64 v29, v29, v31, s[0:1]
	v_cndmask_b32_e64 v32, v31, v30, s[0:1]
	s_waitcnt lgkmcnt(0)
	v_cndmask_b32_e64 v3, v9, v7, s[0:1]
	v_cndmask_b32_e64 v2, v8, v6, s[0:1]
	;; [unrolled: 1-line block ×4, first 2 shown]
	v_cmp_lt_u32_e64 s[2:3], v29, v28
	v_cmp_le_u64_e64 s[4:5], v[8:9], v[2:3]
	v_cmp_ge_u32_e32 vcc, v32, v27
	s_and_b64 s[2:3], s[2:3], s[4:5]
	s_or_b64 vcc, vcc, s[2:3]
	v_cndmask_b32_e32 v30, v32, v29, vcc
	v_cndmask_b32_e32 v31, v27, v28, vcc
	v_add_u32_e32 v33, 1, v30
	v_add_u32_e32 v30, -1, v31
	v_min_u32_e32 v30, v33, v30
	v_lshl_add_u32 v30, v30, 3, v23
	ds_read_b64 v[30:31], v30
	v_cndmask_b32_e64 v5, v7, v5, s[0:1]
	v_cndmask_b32_e64 v4, v6, v4, s[0:1]
	v_cndmask_b32_e32 v7, v3, v9, vcc
	v_cndmask_b32_e32 v6, v2, v8, vcc
	s_waitcnt lgkmcnt(0)
	v_cndmask_b32_e32 v9, v9, v31, vcc
	v_cndmask_b32_e32 v8, v8, v30, vcc
	;; [unrolled: 1-line block ×6, first 2 shown]
	v_cmp_lt_u32_e32 vcc, v29, v28
	v_cmp_lt_u64_e64 s[0:1], v[8:9], v[2:3]
	s_and_b64 vcc, vcc, s[0:1]
	v_cndmask_b32_e32 v2, v2, v8, vcc
	v_cndmask_b32_e32 v3, v3, v9, vcc
	v_cmp_lt_u32_e32 vcc, v32, v27
	v_cndmask_b32_e32 v9, v9, v3, vcc
	v_cndmask_b32_e32 v8, v8, v2, vcc
.LBB3306_24:
	s_or_b64 exec, exec, s[16:17]
	v_mov_b32_e32 v2, v4
	v_mov_b32_e32 v3, v5
	v_and_b32_e32 v29, 0x1e0, v26
	; wave barrier
	ds_write_b128 v25, v[0:3]
	ds_write_b128 v25, v[6:9] offset:16
	v_or_b32_e32 v2, 16, v29
	v_min_u32_e32 v28, v24, v2
	v_add_u32_e32 v2, 16, v28
	v_min_u32_e32 v27, v24, v2
	v_and_b32_e32 v2, 28, v26
	v_min_u32_e32 v30, v24, v2
	v_sub_u32_e32 v31, v28, v29
	v_sub_u32_e32 v3, v27, v28
	v_sub_u32_e64 v3, v30, v3 clamp
	v_min_u32_e32 v31, v30, v31
	v_lshl_add_u32 v2, v29, 3, v23
	v_cmp_lt_u32_e32 vcc, v3, v31
	; wave barrier
	s_and_saveexec_b64 s[0:1], vcc
	s_cbranch_execz .LBB3306_28
; %bb.25:
	v_lshlrev_b32_e32 v32, 3, v28
	v_lshlrev_b32_e32 v33, 3, v30
	v_add3_u32 v32, v23, v32, v33
	s_mov_b64 s[2:3], 0
.LBB3306_26:                            ; =>This Inner Loop Header: Depth=1
	v_add_u32_e32 v33, v31, v3
	v_lshrrev_b32_e32 v33, 1, v33
	v_not_b32_e32 v34, v33
	v_lshl_add_u32 v35, v33, 3, v2
	v_lshl_add_u32 v36, v34, 3, v32
	ds_read_b64 v[34:35], v35
	ds_read_b64 v[36:37], v36
	v_add_u32_e32 v38, 1, v33
	s_waitcnt lgkmcnt(0)
	v_cmp_gt_u64_e32 vcc, v[34:35], v[36:37]
	v_cndmask_b32_e32 v31, v31, v33, vcc
	v_cndmask_b32_e32 v3, v38, v3, vcc
	v_cmp_ge_u32_e32 vcc, v3, v31
	s_or_b64 s[2:3], vcc, s[2:3]
	s_andn2_b64 exec, exec, s[2:3]
	s_cbranch_execnz .LBB3306_26
; %bb.27:
	s_or_b64 exec, exec, s[2:3]
.LBB3306_28:
	s_or_b64 exec, exec, s[0:1]
	v_add_u32_e32 v30, v28, v30
	v_add_u32_e32 v29, v3, v29
	v_sub_u32_e32 v30, v30, v3
	v_cmp_le_u32_e32 vcc, v29, v28
	v_cmp_le_u32_e64 s[0:1], v30, v27
	s_or_b64 s[0:1], vcc, s[0:1]
	s_and_saveexec_b64 s[16:17], s[0:1]
	s_cbranch_execz .LBB3306_34
; %bb.29:
	v_cmp_lt_u32_e32 vcc, v29, v28
                                        ; implicit-def: $vgpr0_vgpr1
	s_and_saveexec_b64 s[0:1], vcc
	s_cbranch_execz .LBB3306_31
; %bb.30:
	v_lshl_add_u32 v0, v3, 3, v2
	ds_read_b64 v[0:1], v0
.LBB3306_31:
	s_or_b64 exec, exec, s[0:1]
	v_cmp_ge_u32_e64 s[0:1], v30, v27
	v_cmp_lt_u32_e64 s[2:3], v30, v27
                                        ; implicit-def: $vgpr2_vgpr3
	s_and_saveexec_b64 s[4:5], s[2:3]
	s_cbranch_execz .LBB3306_33
; %bb.32:
	v_lshl_add_u32 v2, v30, 3, v23
	ds_read_b64 v[2:3], v2
.LBB3306_33:
	s_or_b64 exec, exec, s[4:5]
	s_waitcnt lgkmcnt(0)
	v_cmp_le_u64_e64 s[2:3], v[0:1], v[2:3]
	s_and_b64 s[2:3], vcc, s[2:3]
	s_or_b64 vcc, s[0:1], s[2:3]
	v_cndmask_b32_e32 v4, v30, v29, vcc
	v_cndmask_b32_e32 v5, v27, v28, vcc
	v_add_u32_e32 v8, 1, v4
	v_add_u32_e32 v4, -1, v5
	v_min_u32_e32 v4, v8, v4
	v_lshl_add_u32 v4, v4, 3, v23
	ds_read_b64 v[4:5], v4
	v_cndmask_b32_e32 v29, v29, v8, vcc
	v_cndmask_b32_e32 v30, v8, v30, vcc
	v_cmp_lt_u32_e64 s[2:3], v29, v28
	v_cmp_ge_u32_e64 s[0:1], v30, v27
	s_waitcnt lgkmcnt(0)
	v_cndmask_b32_e32 v7, v5, v3, vcc
	v_cndmask_b32_e32 v6, v4, v2, vcc
	;; [unrolled: 1-line block ×4, first 2 shown]
	v_cmp_le_u64_e64 s[4:5], v[4:5], v[6:7]
	s_and_b64 s[2:3], s[2:3], s[4:5]
	s_or_b64 s[0:1], s[0:1], s[2:3]
	v_cndmask_b32_e64 v8, v30, v29, s[0:1]
	v_cndmask_b32_e64 v9, v27, v28, s[0:1]
	v_add_u32_e32 v31, 1, v8
	v_add_u32_e32 v8, -1, v9
	v_min_u32_e32 v8, v31, v8
	v_lshl_add_u32 v8, v8, 3, v23
	ds_read_b64 v[8:9], v8
	v_cndmask_b32_e32 v1, v3, v1, vcc
	v_cndmask_b32_e32 v0, v2, v0, vcc
	v_cndmask_b32_e64 v29, v29, v31, s[0:1]
	v_cndmask_b32_e64 v32, v31, v30, s[0:1]
	s_waitcnt lgkmcnt(0)
	v_cndmask_b32_e64 v3, v9, v7, s[0:1]
	v_cndmask_b32_e64 v2, v8, v6, s[0:1]
	;; [unrolled: 1-line block ×4, first 2 shown]
	v_cmp_lt_u32_e64 s[2:3], v29, v28
	v_cmp_le_u64_e64 s[4:5], v[8:9], v[2:3]
	v_cmp_ge_u32_e32 vcc, v32, v27
	s_and_b64 s[2:3], s[2:3], s[4:5]
	s_or_b64 vcc, vcc, s[2:3]
	v_cndmask_b32_e32 v30, v32, v29, vcc
	v_cndmask_b32_e32 v31, v27, v28, vcc
	v_add_u32_e32 v33, 1, v30
	v_add_u32_e32 v30, -1, v31
	v_min_u32_e32 v30, v33, v30
	v_lshl_add_u32 v30, v30, 3, v23
	ds_read_b64 v[30:31], v30
	v_cndmask_b32_e64 v5, v7, v5, s[0:1]
	v_cndmask_b32_e64 v4, v6, v4, s[0:1]
	v_cndmask_b32_e32 v7, v3, v9, vcc
	v_cndmask_b32_e32 v6, v2, v8, vcc
	s_waitcnt lgkmcnt(0)
	v_cndmask_b32_e32 v9, v9, v31, vcc
	v_cndmask_b32_e32 v8, v8, v30, vcc
	;; [unrolled: 1-line block ×6, first 2 shown]
	v_cmp_lt_u32_e32 vcc, v29, v28
	v_cmp_lt_u64_e64 s[0:1], v[8:9], v[2:3]
	s_and_b64 vcc, vcc, s[0:1]
	v_cndmask_b32_e32 v2, v2, v8, vcc
	v_cndmask_b32_e32 v3, v3, v9, vcc
	v_cmp_lt_u32_e32 vcc, v32, v27
	v_cndmask_b32_e32 v9, v9, v3, vcc
	v_cndmask_b32_e32 v8, v8, v2, vcc
.LBB3306_34:
	s_or_b64 exec, exec, s[16:17]
	v_mov_b32_e32 v2, v4
	v_mov_b32_e32 v3, v5
	v_and_b32_e32 v28, 0x1c0, v26
	; wave barrier
	ds_write_b128 v25, v[0:3]
	ds_write_b128 v25, v[6:9] offset:16
	v_or_b32_e32 v2, 32, v28
	v_min_u32_e32 v27, v24, v2
	v_add_u32_e32 v2, 32, v27
	v_min_u32_e32 v25, v24, v2
	v_and_b32_e32 v2, 60, v26
	v_min_u32_e32 v26, v24, v2
	v_sub_u32_e32 v24, v27, v28
	v_sub_u32_e32 v3, v25, v27
	v_sub_u32_e64 v3, v26, v3 clamp
	v_min_u32_e32 v24, v26, v24
	v_lshl_add_u32 v2, v28, 3, v23
	v_cmp_lt_u32_e32 vcc, v3, v24
	; wave barrier
	s_and_saveexec_b64 s[0:1], vcc
	s_cbranch_execz .LBB3306_38
; %bb.35:
	v_lshlrev_b32_e32 v29, 3, v27
	v_lshlrev_b32_e32 v30, 3, v26
	v_add3_u32 v29, v23, v29, v30
	s_mov_b64 s[2:3], 0
.LBB3306_36:                            ; =>This Inner Loop Header: Depth=1
	v_add_u32_e32 v30, v24, v3
	v_lshrrev_b32_e32 v34, 1, v30
	v_not_b32_e32 v30, v34
	v_lshl_add_u32 v31, v34, 3, v2
	v_lshl_add_u32 v32, v30, 3, v29
	ds_read_b64 v[30:31], v31
	ds_read_b64 v[32:33], v32
	v_add_u32_e32 v35, 1, v34
	s_waitcnt lgkmcnt(0)
	v_cmp_gt_u64_e32 vcc, v[30:31], v[32:33]
	v_cndmask_b32_e32 v24, v24, v34, vcc
	v_cndmask_b32_e32 v3, v35, v3, vcc
	v_cmp_ge_u32_e32 vcc, v3, v24
	s_or_b64 s[2:3], vcc, s[2:3]
	s_andn2_b64 exec, exec, s[2:3]
	s_cbranch_execnz .LBB3306_36
; %bb.37:
	s_or_b64 exec, exec, s[2:3]
.LBB3306_38:
	s_or_b64 exec, exec, s[0:1]
	v_add_u32_e32 v26, v27, v26
	v_add_u32_e32 v24, v3, v28
	v_sub_u32_e32 v26, v26, v3
	v_cmp_le_u32_e32 vcc, v24, v27
	v_cmp_le_u32_e64 s[0:1], v26, v25
	s_or_b64 s[0:1], vcc, s[0:1]
	s_and_saveexec_b64 s[16:17], s[0:1]
	s_cbranch_execz .LBB3306_44
; %bb.39:
	v_cmp_lt_u32_e32 vcc, v24, v27
                                        ; implicit-def: $vgpr0_vgpr1
	s_and_saveexec_b64 s[0:1], vcc
	s_cbranch_execz .LBB3306_41
; %bb.40:
	v_lshl_add_u32 v0, v3, 3, v2
	ds_read_b64 v[0:1], v0
.LBB3306_41:
	s_or_b64 exec, exec, s[0:1]
	v_cmp_ge_u32_e64 s[0:1], v26, v25
	v_cmp_lt_u32_e64 s[2:3], v26, v25
                                        ; implicit-def: $vgpr2_vgpr3
	s_and_saveexec_b64 s[4:5], s[2:3]
	s_cbranch_execz .LBB3306_43
; %bb.42:
	v_lshl_add_u32 v2, v26, 3, v23
	ds_read_b64 v[2:3], v2
.LBB3306_43:
	s_or_b64 exec, exec, s[4:5]
	s_waitcnt lgkmcnt(0)
	v_cmp_le_u64_e64 s[2:3], v[0:1], v[2:3]
	s_and_b64 s[2:3], vcc, s[2:3]
	s_or_b64 vcc, s[0:1], s[2:3]
	v_cndmask_b32_e32 v4, v26, v24, vcc
	v_cndmask_b32_e32 v5, v25, v27, vcc
	v_add_u32_e32 v8, 1, v4
	v_add_u32_e32 v4, -1, v5
	v_min_u32_e32 v4, v8, v4
	v_lshl_add_u32 v4, v4, 3, v23
	ds_read_b64 v[4:5], v4
	v_cndmask_b32_e32 v24, v24, v8, vcc
	v_cndmask_b32_e32 v26, v8, v26, vcc
	v_cmp_lt_u32_e64 s[2:3], v24, v27
	v_cmp_ge_u32_e64 s[0:1], v26, v25
	s_waitcnt lgkmcnt(0)
	v_cndmask_b32_e32 v7, v5, v3, vcc
	v_cndmask_b32_e32 v6, v4, v2, vcc
	;; [unrolled: 1-line block ×4, first 2 shown]
	v_cmp_le_u64_e64 s[4:5], v[4:5], v[6:7]
	s_and_b64 s[2:3], s[2:3], s[4:5]
	s_or_b64 s[0:1], s[0:1], s[2:3]
	v_cndmask_b32_e64 v8, v26, v24, s[0:1]
	v_cndmask_b32_e64 v9, v25, v27, s[0:1]
	v_add_u32_e32 v28, 1, v8
	v_add_u32_e32 v8, -1, v9
	v_min_u32_e32 v8, v28, v8
	v_lshl_add_u32 v8, v8, 3, v23
	ds_read_b64 v[8:9], v8
	v_cndmask_b32_e32 v1, v3, v1, vcc
	v_cndmask_b32_e32 v0, v2, v0, vcc
	v_cndmask_b32_e64 v24, v24, v28, s[0:1]
	v_cndmask_b32_e64 v26, v28, v26, s[0:1]
	s_waitcnt lgkmcnt(0)
	v_cndmask_b32_e64 v3, v9, v7, s[0:1]
	v_cndmask_b32_e64 v2, v8, v6, s[0:1]
	;; [unrolled: 1-line block ×4, first 2 shown]
	v_cmp_lt_u32_e64 s[2:3], v24, v27
	v_cmp_le_u64_e64 s[4:5], v[8:9], v[2:3]
	v_cmp_ge_u32_e32 vcc, v26, v25
	s_and_b64 s[2:3], s[2:3], s[4:5]
	s_or_b64 vcc, vcc, s[2:3]
	v_cndmask_b32_e32 v28, v26, v24, vcc
	v_cndmask_b32_e32 v29, v25, v27, vcc
	v_add_u32_e32 v30, 1, v28
	v_add_u32_e32 v28, -1, v29
	v_min_u32_e32 v28, v30, v28
	v_lshl_add_u32 v23, v28, 3, v23
	ds_read_b64 v[28:29], v23
	v_cndmask_b32_e64 v5, v7, v5, s[0:1]
	v_cndmask_b32_e64 v4, v6, v4, s[0:1]
	v_cndmask_b32_e32 v7, v3, v9, vcc
	v_cndmask_b32_e32 v6, v2, v8, vcc
	s_waitcnt lgkmcnt(0)
	v_cndmask_b32_e32 v9, v9, v29, vcc
	v_cndmask_b32_e32 v8, v8, v28, vcc
	;; [unrolled: 1-line block ×6, first 2 shown]
	v_cmp_lt_u32_e32 vcc, v24, v27
	v_cmp_lt_u64_e64 s[0:1], v[8:9], v[2:3]
	s_and_b64 vcc, vcc, s[0:1]
	v_cndmask_b32_e32 v2, v2, v8, vcc
	v_cndmask_b32_e32 v3, v3, v9, vcc
	v_cmp_lt_u32_e32 vcc, v23, v25
	v_cndmask_b32_e32 v9, v9, v3, vcc
	v_cndmask_b32_e32 v8, v8, v2, vcc
.LBB3306_44:
	s_or_b64 exec, exec, s[16:17]
	v_lshlrev_b32_e32 v23, 5, v10
	v_mov_b32_e32 v2, v4
	v_mov_b32_e32 v3, v5
	v_and_b32_e32 v26, 0xf80, v13
	; wave barrier
	s_waitcnt lgkmcnt(0)
	s_barrier
	ds_write_b128 v23, v[0:3]
	ds_write_b128 v23, v[6:9] offset:16
	v_or_b32_e32 v2, 64, v26
	v_min_u32_e32 v25, 0x400, v2
	v_min_u32_e32 v2, 0x3c0, v2
	v_add_u32_e32 v24, 64, v2
	v_and_b32_e32 v27, 0x7c, v13
	v_sub_u32_e32 v28, v25, v26
	v_sub_u32_e32 v3, v24, v25
	v_sub_u32_e64 v3, v27, v3 clamp
	v_min_u32_e32 v28, v27, v28
	v_lshlrev_b32_e32 v2, 3, v26
	v_cmp_lt_u32_e32 vcc, v3, v28
	s_waitcnt lgkmcnt(0)
	s_barrier
	s_and_saveexec_b64 s[0:1], vcc
	s_cbranch_execz .LBB3306_48
; %bb.45:
	v_lshlrev_b32_e32 v29, 3, v27
	v_lshl_add_u32 v29, v25, 3, v29
	s_mov_b64 s[2:3], 0
.LBB3306_46:                            ; =>This Inner Loop Header: Depth=1
	v_add_u32_e32 v30, v28, v3
	v_lshrrev_b32_e32 v34, 1, v30
	v_not_b32_e32 v30, v34
	v_lshl_add_u32 v31, v34, 3, v2
	v_lshl_add_u32 v32, v30, 3, v29
	ds_read_b64 v[30:31], v31
	ds_read_b64 v[32:33], v32
	v_add_u32_e32 v35, 1, v34
	s_waitcnt lgkmcnt(0)
	v_cmp_gt_u64_e32 vcc, v[30:31], v[32:33]
	v_cndmask_b32_e32 v28, v28, v34, vcc
	v_cndmask_b32_e32 v3, v35, v3, vcc
	v_cmp_ge_u32_e32 vcc, v3, v28
	s_or_b64 s[2:3], vcc, s[2:3]
	s_andn2_b64 exec, exec, s[2:3]
	s_cbranch_execnz .LBB3306_46
; %bb.47:
	s_or_b64 exec, exec, s[2:3]
.LBB3306_48:
	s_or_b64 exec, exec, s[0:1]
	v_sub_u32_e32 v27, v27, v3
	v_add_u32_e32 v26, v3, v26
	v_add_u32_e32 v27, v27, v25
	v_cmp_le_u32_e32 vcc, v26, v25
	v_cmp_le_u32_e64 s[0:1], v27, v24
	s_or_b64 s[0:1], vcc, s[0:1]
	s_and_saveexec_b64 s[16:17], s[0:1]
	s_cbranch_execz .LBB3306_54
; %bb.49:
	v_cmp_lt_u32_e32 vcc, v26, v25
                                        ; implicit-def: $vgpr0_vgpr1
	s_and_saveexec_b64 s[0:1], vcc
	s_cbranch_execz .LBB3306_51
; %bb.50:
	v_lshl_add_u32 v0, v3, 3, v2
	ds_read_b64 v[0:1], v0
.LBB3306_51:
	s_or_b64 exec, exec, s[0:1]
	v_cmp_ge_u32_e64 s[0:1], v27, v24
	v_cmp_lt_u32_e64 s[2:3], v27, v24
                                        ; implicit-def: $vgpr2_vgpr3
	s_and_saveexec_b64 s[4:5], s[2:3]
	s_cbranch_execz .LBB3306_53
; %bb.52:
	v_lshlrev_b32_e32 v2, 3, v27
	ds_read_b64 v[2:3], v2
.LBB3306_53:
	s_or_b64 exec, exec, s[4:5]
	s_waitcnt lgkmcnt(0)
	v_cmp_le_u64_e64 s[2:3], v[0:1], v[2:3]
	s_and_b64 s[2:3], vcc, s[2:3]
	s_or_b64 vcc, s[0:1], s[2:3]
	v_cndmask_b32_e32 v4, v27, v26, vcc
	v_cndmask_b32_e32 v5, v24, v25, vcc
	v_add_u32_e32 v8, 1, v4
	v_add_u32_e32 v4, -1, v5
	v_min_u32_e32 v4, v8, v4
	v_lshlrev_b32_e32 v4, 3, v4
	ds_read_b64 v[4:5], v4
	v_cndmask_b32_e32 v26, v26, v8, vcc
	v_cndmask_b32_e32 v27, v8, v27, vcc
	v_cmp_lt_u32_e64 s[2:3], v26, v25
	v_cmp_ge_u32_e64 s[0:1], v27, v24
	s_waitcnt lgkmcnt(0)
	v_cndmask_b32_e32 v7, v5, v3, vcc
	v_cndmask_b32_e32 v6, v4, v2, vcc
	;; [unrolled: 1-line block ×4, first 2 shown]
	v_cmp_le_u64_e64 s[4:5], v[4:5], v[6:7]
	s_and_b64 s[2:3], s[2:3], s[4:5]
	s_or_b64 s[0:1], s[0:1], s[2:3]
	v_cndmask_b32_e64 v8, v27, v26, s[0:1]
	v_cndmask_b32_e64 v9, v24, v25, s[0:1]
	v_add_u32_e32 v28, 1, v8
	v_add_u32_e32 v8, -1, v9
	v_min_u32_e32 v8, v28, v8
	v_lshlrev_b32_e32 v8, 3, v8
	ds_read_b64 v[8:9], v8
	v_cndmask_b32_e32 v1, v3, v1, vcc
	v_cndmask_b32_e32 v0, v2, v0, vcc
	v_cndmask_b32_e64 v29, v28, v27, s[0:1]
	v_cndmask_b32_e64 v28, v26, v28, s[0:1]
	s_waitcnt lgkmcnt(0)
	v_cndmask_b32_e64 v3, v9, v7, s[0:1]
	v_cndmask_b32_e64 v2, v8, v6, s[0:1]
	;; [unrolled: 1-line block ×4, first 2 shown]
	v_cmp_lt_u32_e64 s[2:3], v28, v25
	v_cmp_le_u64_e64 s[4:5], v[8:9], v[2:3]
	v_cmp_ge_u32_e32 vcc, v29, v24
	s_and_b64 s[2:3], s[2:3], s[4:5]
	s_or_b64 vcc, vcc, s[2:3]
	v_cndmask_b32_e32 v26, v29, v28, vcc
	v_cndmask_b32_e32 v27, v24, v25, vcc
	v_add_u32_e32 v30, 1, v26
	v_add_u32_e32 v26, -1, v27
	v_min_u32_e32 v26, v30, v26
	v_lshlrev_b32_e32 v26, 3, v26
	ds_read_b64 v[26:27], v26
	v_cndmask_b32_e64 v5, v7, v5, s[0:1]
	v_cndmask_b32_e64 v4, v6, v4, s[0:1]
	v_cndmask_b32_e32 v7, v3, v9, vcc
	v_cndmask_b32_e32 v6, v2, v8, vcc
	s_waitcnt lgkmcnt(0)
	v_cndmask_b32_e32 v9, v9, v27, vcc
	v_cndmask_b32_e32 v8, v8, v26, vcc
	;; [unrolled: 1-line block ×6, first 2 shown]
	v_cmp_lt_u32_e32 vcc, v26, v25
	v_cmp_lt_u64_e64 s[0:1], v[8:9], v[2:3]
	s_and_b64 vcc, vcc, s[0:1]
	v_cndmask_b32_e32 v2, v2, v8, vcc
	v_cndmask_b32_e32 v3, v3, v9, vcc
	v_cmp_lt_u32_e32 vcc, v29, v24
	v_cndmask_b32_e32 v9, v9, v3, vcc
	v_cndmask_b32_e32 v8, v8, v2, vcc
.LBB3306_54:
	s_or_b64 exec, exec, s[16:17]
	v_mov_b32_e32 v2, v4
	v_mov_b32_e32 v3, v5
	v_and_b32_e32 v26, 0xf00, v13
	s_barrier
	ds_write_b128 v23, v[0:3]
	ds_write_b128 v23, v[6:9] offset:16
	v_or_b32_e32 v2, 0x80, v26
	v_min_u32_e32 v25, 0x400, v2
	v_min_u32_e32 v2, 0x380, v2
	v_add_u32_e32 v24, 0x80, v2
	v_and_b32_e32 v27, 0xfc, v13
	v_sub_u32_e32 v28, v25, v26
	v_sub_u32_e32 v3, v24, v25
	v_sub_u32_e64 v3, v27, v3 clamp
	v_min_u32_e32 v28, v27, v28
	v_lshlrev_b32_e32 v2, 3, v26
	v_cmp_lt_u32_e32 vcc, v3, v28
	s_waitcnt lgkmcnt(0)
	s_barrier
	s_and_saveexec_b64 s[0:1], vcc
	s_cbranch_execz .LBB3306_58
; %bb.55:
	v_lshlrev_b32_e32 v29, 3, v27
	v_lshl_add_u32 v29, v25, 3, v29
	s_mov_b64 s[2:3], 0
.LBB3306_56:                            ; =>This Inner Loop Header: Depth=1
	v_add_u32_e32 v30, v28, v3
	v_lshrrev_b32_e32 v34, 1, v30
	v_not_b32_e32 v30, v34
	v_lshl_add_u32 v31, v34, 3, v2
	v_lshl_add_u32 v32, v30, 3, v29
	ds_read_b64 v[30:31], v31
	ds_read_b64 v[32:33], v32
	v_add_u32_e32 v35, 1, v34
	s_waitcnt lgkmcnt(0)
	v_cmp_gt_u64_e32 vcc, v[30:31], v[32:33]
	v_cndmask_b32_e32 v28, v28, v34, vcc
	v_cndmask_b32_e32 v3, v35, v3, vcc
	v_cmp_ge_u32_e32 vcc, v3, v28
	s_or_b64 s[2:3], vcc, s[2:3]
	s_andn2_b64 exec, exec, s[2:3]
	s_cbranch_execnz .LBB3306_56
; %bb.57:
	s_or_b64 exec, exec, s[2:3]
.LBB3306_58:
	s_or_b64 exec, exec, s[0:1]
	v_sub_u32_e32 v27, v27, v3
	v_add_u32_e32 v26, v3, v26
	v_add_u32_e32 v27, v27, v25
	v_cmp_le_u32_e32 vcc, v26, v25
	v_cmp_le_u32_e64 s[0:1], v27, v24
	s_or_b64 s[0:1], vcc, s[0:1]
	s_and_saveexec_b64 s[16:17], s[0:1]
	s_cbranch_execz .LBB3306_64
; %bb.59:
	v_cmp_lt_u32_e32 vcc, v26, v25
                                        ; implicit-def: $vgpr0_vgpr1
	s_and_saveexec_b64 s[0:1], vcc
	s_cbranch_execz .LBB3306_61
; %bb.60:
	v_lshl_add_u32 v0, v3, 3, v2
	ds_read_b64 v[0:1], v0
.LBB3306_61:
	s_or_b64 exec, exec, s[0:1]
	v_cmp_ge_u32_e64 s[0:1], v27, v24
	v_cmp_lt_u32_e64 s[2:3], v27, v24
                                        ; implicit-def: $vgpr2_vgpr3
	s_and_saveexec_b64 s[4:5], s[2:3]
	s_cbranch_execz .LBB3306_63
; %bb.62:
	v_lshlrev_b32_e32 v2, 3, v27
	ds_read_b64 v[2:3], v2
.LBB3306_63:
	s_or_b64 exec, exec, s[4:5]
	s_waitcnt lgkmcnt(0)
	v_cmp_le_u64_e64 s[2:3], v[0:1], v[2:3]
	s_and_b64 s[2:3], vcc, s[2:3]
	s_or_b64 vcc, s[0:1], s[2:3]
	v_cndmask_b32_e32 v4, v27, v26, vcc
	v_cndmask_b32_e32 v5, v24, v25, vcc
	v_add_u32_e32 v8, 1, v4
	v_add_u32_e32 v4, -1, v5
	v_min_u32_e32 v4, v8, v4
	v_lshlrev_b32_e32 v4, 3, v4
	ds_read_b64 v[4:5], v4
	v_cndmask_b32_e32 v26, v26, v8, vcc
	v_cndmask_b32_e32 v27, v8, v27, vcc
	v_cmp_lt_u32_e64 s[2:3], v26, v25
	v_cmp_ge_u32_e64 s[0:1], v27, v24
	s_waitcnt lgkmcnt(0)
	v_cndmask_b32_e32 v7, v5, v3, vcc
	v_cndmask_b32_e32 v6, v4, v2, vcc
	;; [unrolled: 1-line block ×4, first 2 shown]
	v_cmp_le_u64_e64 s[4:5], v[4:5], v[6:7]
	s_and_b64 s[2:3], s[2:3], s[4:5]
	s_or_b64 s[0:1], s[0:1], s[2:3]
	v_cndmask_b32_e64 v8, v27, v26, s[0:1]
	v_cndmask_b32_e64 v9, v24, v25, s[0:1]
	v_add_u32_e32 v28, 1, v8
	v_add_u32_e32 v8, -1, v9
	v_min_u32_e32 v8, v28, v8
	v_lshlrev_b32_e32 v8, 3, v8
	ds_read_b64 v[8:9], v8
	v_cndmask_b32_e32 v1, v3, v1, vcc
	v_cndmask_b32_e32 v0, v2, v0, vcc
	v_cndmask_b32_e64 v29, v28, v27, s[0:1]
	v_cndmask_b32_e64 v28, v26, v28, s[0:1]
	s_waitcnt lgkmcnt(0)
	v_cndmask_b32_e64 v3, v9, v7, s[0:1]
	v_cndmask_b32_e64 v2, v8, v6, s[0:1]
	v_cndmask_b32_e64 v9, v5, v9, s[0:1]
	v_cndmask_b32_e64 v8, v4, v8, s[0:1]
	v_cmp_lt_u32_e64 s[2:3], v28, v25
	v_cmp_le_u64_e64 s[4:5], v[8:9], v[2:3]
	v_cmp_ge_u32_e32 vcc, v29, v24
	s_and_b64 s[2:3], s[2:3], s[4:5]
	s_or_b64 vcc, vcc, s[2:3]
	v_cndmask_b32_e32 v26, v29, v28, vcc
	v_cndmask_b32_e32 v27, v24, v25, vcc
	v_add_u32_e32 v30, 1, v26
	v_add_u32_e32 v26, -1, v27
	v_min_u32_e32 v26, v30, v26
	v_lshlrev_b32_e32 v26, 3, v26
	ds_read_b64 v[26:27], v26
	v_cndmask_b32_e64 v5, v7, v5, s[0:1]
	v_cndmask_b32_e64 v4, v6, v4, s[0:1]
	v_cndmask_b32_e32 v7, v3, v9, vcc
	v_cndmask_b32_e32 v6, v2, v8, vcc
	s_waitcnt lgkmcnt(0)
	v_cndmask_b32_e32 v9, v9, v27, vcc
	v_cndmask_b32_e32 v8, v8, v26, vcc
	;; [unrolled: 1-line block ×6, first 2 shown]
	v_cmp_lt_u32_e32 vcc, v26, v25
	v_cmp_lt_u64_e64 s[0:1], v[8:9], v[2:3]
	s_and_b64 vcc, vcc, s[0:1]
	v_cndmask_b32_e32 v2, v2, v8, vcc
	v_cndmask_b32_e32 v3, v3, v9, vcc
	v_cmp_lt_u32_e32 vcc, v29, v24
	v_cndmask_b32_e32 v9, v9, v3, vcc
	v_cndmask_b32_e32 v8, v8, v2, vcc
.LBB3306_64:
	s_or_b64 exec, exec, s[16:17]
	v_mov_b32_e32 v2, v4
	v_mov_b32_e32 v3, v5
	v_and_b32_e32 v26, 0xe00, v13
	s_barrier
	ds_write_b128 v23, v[0:3]
	ds_write_b128 v23, v[6:9] offset:16
	v_or_b32_e32 v2, 0x100, v26
	v_min_u32_e32 v25, 0x400, v2
	v_min_u32_e32 v2, 0x300, v2
	v_add_u32_e32 v24, 0x100, v2
	v_and_b32_e32 v27, 0x1fc, v13
	v_sub_u32_e32 v28, v25, v26
	v_sub_u32_e32 v3, v24, v25
	v_sub_u32_e64 v3, v27, v3 clamp
	v_min_u32_e32 v28, v27, v28
	v_lshlrev_b32_e32 v2, 3, v26
	v_cmp_lt_u32_e32 vcc, v3, v28
	s_waitcnt lgkmcnt(0)
	s_barrier
	s_and_saveexec_b64 s[0:1], vcc
	s_cbranch_execz .LBB3306_68
; %bb.65:
	v_lshlrev_b32_e32 v29, 3, v27
	v_lshl_add_u32 v29, v25, 3, v29
	s_mov_b64 s[2:3], 0
.LBB3306_66:                            ; =>This Inner Loop Header: Depth=1
	v_add_u32_e32 v30, v28, v3
	v_lshrrev_b32_e32 v34, 1, v30
	v_not_b32_e32 v30, v34
	v_lshl_add_u32 v31, v34, 3, v2
	v_lshl_add_u32 v32, v30, 3, v29
	ds_read_b64 v[30:31], v31
	ds_read_b64 v[32:33], v32
	v_add_u32_e32 v35, 1, v34
	s_waitcnt lgkmcnt(0)
	v_cmp_gt_u64_e32 vcc, v[30:31], v[32:33]
	v_cndmask_b32_e32 v28, v28, v34, vcc
	v_cndmask_b32_e32 v3, v35, v3, vcc
	v_cmp_ge_u32_e32 vcc, v3, v28
	s_or_b64 s[2:3], vcc, s[2:3]
	s_andn2_b64 exec, exec, s[2:3]
	s_cbranch_execnz .LBB3306_66
; %bb.67:
	s_or_b64 exec, exec, s[2:3]
.LBB3306_68:
	s_or_b64 exec, exec, s[0:1]
	v_sub_u32_e32 v27, v27, v3
	v_add_u32_e32 v26, v3, v26
	v_add_u32_e32 v27, v27, v25
	v_cmp_le_u32_e32 vcc, v26, v25
	v_cmp_le_u32_e64 s[0:1], v27, v24
	s_or_b64 s[0:1], vcc, s[0:1]
	s_and_saveexec_b64 s[16:17], s[0:1]
	s_cbranch_execz .LBB3306_74
; %bb.69:
	v_cmp_lt_u32_e32 vcc, v26, v25
                                        ; implicit-def: $vgpr0_vgpr1
	s_and_saveexec_b64 s[0:1], vcc
	s_cbranch_execz .LBB3306_71
; %bb.70:
	v_lshl_add_u32 v0, v3, 3, v2
	ds_read_b64 v[0:1], v0
.LBB3306_71:
	s_or_b64 exec, exec, s[0:1]
	v_cmp_ge_u32_e64 s[0:1], v27, v24
	v_cmp_lt_u32_e64 s[2:3], v27, v24
                                        ; implicit-def: $vgpr2_vgpr3
	s_and_saveexec_b64 s[4:5], s[2:3]
	s_cbranch_execz .LBB3306_73
; %bb.72:
	v_lshlrev_b32_e32 v2, 3, v27
	ds_read_b64 v[2:3], v2
.LBB3306_73:
	s_or_b64 exec, exec, s[4:5]
	s_waitcnt lgkmcnt(0)
	v_cmp_le_u64_e64 s[2:3], v[0:1], v[2:3]
	s_and_b64 s[2:3], vcc, s[2:3]
	s_or_b64 vcc, s[0:1], s[2:3]
	v_cndmask_b32_e32 v4, v27, v26, vcc
	v_cndmask_b32_e32 v5, v24, v25, vcc
	v_add_u32_e32 v8, 1, v4
	v_add_u32_e32 v4, -1, v5
	v_min_u32_e32 v4, v8, v4
	v_lshlrev_b32_e32 v4, 3, v4
	ds_read_b64 v[4:5], v4
	v_cndmask_b32_e32 v26, v26, v8, vcc
	v_cndmask_b32_e32 v27, v8, v27, vcc
	v_cmp_lt_u32_e64 s[2:3], v26, v25
	v_cmp_ge_u32_e64 s[0:1], v27, v24
	s_waitcnt lgkmcnt(0)
	v_cndmask_b32_e32 v7, v5, v3, vcc
	v_cndmask_b32_e32 v6, v4, v2, vcc
	;; [unrolled: 1-line block ×4, first 2 shown]
	v_cmp_le_u64_e64 s[4:5], v[4:5], v[6:7]
	s_and_b64 s[2:3], s[2:3], s[4:5]
	s_or_b64 s[0:1], s[0:1], s[2:3]
	v_cndmask_b32_e64 v8, v27, v26, s[0:1]
	v_cndmask_b32_e64 v9, v24, v25, s[0:1]
	v_add_u32_e32 v28, 1, v8
	v_add_u32_e32 v8, -1, v9
	v_min_u32_e32 v8, v28, v8
	v_lshlrev_b32_e32 v8, 3, v8
	ds_read_b64 v[8:9], v8
	v_cndmask_b32_e32 v1, v3, v1, vcc
	v_cndmask_b32_e32 v0, v2, v0, vcc
	v_cndmask_b32_e64 v29, v28, v27, s[0:1]
	v_cndmask_b32_e64 v28, v26, v28, s[0:1]
	s_waitcnt lgkmcnt(0)
	v_cndmask_b32_e64 v3, v9, v7, s[0:1]
	v_cndmask_b32_e64 v2, v8, v6, s[0:1]
	;; [unrolled: 1-line block ×4, first 2 shown]
	v_cmp_lt_u32_e64 s[2:3], v28, v25
	v_cmp_le_u64_e64 s[4:5], v[8:9], v[2:3]
	v_cmp_ge_u32_e32 vcc, v29, v24
	s_and_b64 s[2:3], s[2:3], s[4:5]
	s_or_b64 vcc, vcc, s[2:3]
	v_cndmask_b32_e32 v26, v29, v28, vcc
	v_cndmask_b32_e32 v27, v24, v25, vcc
	v_add_u32_e32 v30, 1, v26
	v_add_u32_e32 v26, -1, v27
	v_min_u32_e32 v26, v30, v26
	v_lshlrev_b32_e32 v26, 3, v26
	ds_read_b64 v[26:27], v26
	v_cndmask_b32_e64 v5, v7, v5, s[0:1]
	v_cndmask_b32_e64 v4, v6, v4, s[0:1]
	v_cndmask_b32_e32 v7, v3, v9, vcc
	v_cndmask_b32_e32 v6, v2, v8, vcc
	s_waitcnt lgkmcnt(0)
	v_cndmask_b32_e32 v9, v9, v27, vcc
	v_cndmask_b32_e32 v8, v8, v26, vcc
	;; [unrolled: 1-line block ×6, first 2 shown]
	v_cmp_lt_u32_e32 vcc, v26, v25
	v_cmp_lt_u64_e64 s[0:1], v[8:9], v[2:3]
	s_and_b64 vcc, vcc, s[0:1]
	v_cndmask_b32_e32 v2, v2, v8, vcc
	v_cndmask_b32_e32 v3, v3, v9, vcc
	v_cmp_lt_u32_e32 vcc, v29, v24
	v_cndmask_b32_e32 v9, v9, v3, vcc
	v_cndmask_b32_e32 v8, v8, v2, vcc
.LBB3306_74:
	s_or_b64 exec, exec, s[16:17]
	v_mov_b32_e32 v2, v4
	v_mov_b32_e32 v3, v5
	v_and_b32_e32 v24, 0xc00, v13
	s_barrier
	ds_write_b128 v23, v[0:3]
	ds_write_b128 v23, v[6:9] offset:16
	v_or_b32_e32 v2, 0x200, v24
	v_min_u32_e32 v23, 0x400, v2
	v_and_b32_e32 v25, 0x3fc, v13
	v_sub_u32_e32 v26, v23, v24
	v_sub_u32_e32 v3, 0x400, v23
	v_sub_u32_e64 v3, v25, v3 clamp
	v_min_u32_e32 v26, v25, v26
	v_lshlrev_b32_e32 v2, 3, v24
	v_cmp_lt_u32_e32 vcc, v3, v26
	s_waitcnt lgkmcnt(0)
	s_barrier
	s_and_saveexec_b64 s[0:1], vcc
	s_cbranch_execz .LBB3306_78
; %bb.75:
	v_lshlrev_b32_e32 v27, 3, v25
	v_lshl_add_u32 v27, v23, 3, v27
	s_mov_b64 s[2:3], 0
.LBB3306_76:                            ; =>This Inner Loop Header: Depth=1
	v_add_u32_e32 v28, v26, v3
	v_lshrrev_b32_e32 v32, 1, v28
	v_not_b32_e32 v28, v32
	v_lshl_add_u32 v29, v32, 3, v2
	v_lshl_add_u32 v30, v28, 3, v27
	ds_read_b64 v[28:29], v29
	ds_read_b64 v[30:31], v30
	v_add_u32_e32 v33, 1, v32
	s_waitcnt lgkmcnt(0)
	v_cmp_gt_u64_e32 vcc, v[28:29], v[30:31]
	v_cndmask_b32_e32 v26, v26, v32, vcc
	v_cndmask_b32_e32 v3, v33, v3, vcc
	v_cmp_ge_u32_e32 vcc, v3, v26
	s_or_b64 s[2:3], vcc, s[2:3]
	s_andn2_b64 exec, exec, s[2:3]
	s_cbranch_execnz .LBB3306_76
; %bb.77:
	s_or_b64 exec, exec, s[2:3]
.LBB3306_78:
	s_or_b64 exec, exec, s[0:1]
	v_sub_u32_e32 v25, v25, v3
	v_add_u32_e32 v24, v3, v24
	v_add_u32_e32 v25, v25, v23
	s_movk_i32 s0, 0x401
	v_cmp_le_u32_e32 vcc, v24, v23
	v_cmp_gt_u32_e64 s[0:1], s0, v25
	s_or_b64 s[0:1], vcc, s[0:1]
	s_and_saveexec_b64 s[16:17], s[0:1]
	s_cbranch_execz .LBB3306_84
; %bb.79:
	v_cmp_lt_u32_e32 vcc, v24, v23
                                        ; implicit-def: $vgpr0_vgpr1
	s_and_saveexec_b64 s[0:1], vcc
	s_cbranch_execz .LBB3306_81
; %bb.80:
	v_lshl_add_u32 v0, v3, 3, v2
	ds_read_b64 v[0:1], v0
.LBB3306_81:
	s_or_b64 exec, exec, s[0:1]
	s_movk_i32 s20, 0x3ff
	s_movk_i32 s19, 0x400
	v_cmp_lt_u32_e64 s[0:1], s20, v25
	v_cmp_gt_u32_e64 s[2:3], s19, v25
                                        ; implicit-def: $vgpr2_vgpr3
	s_and_saveexec_b64 s[4:5], s[2:3]
	s_cbranch_execz .LBB3306_83
; %bb.82:
	v_lshlrev_b32_e32 v2, 3, v25
	ds_read_b64 v[2:3], v2
.LBB3306_83:
	s_or_b64 exec, exec, s[4:5]
	s_waitcnt lgkmcnt(0)
	v_cmp_le_u64_e64 s[2:3], v[0:1], v[2:3]
	s_and_b64 s[2:3], vcc, s[2:3]
	s_or_b64 vcc, s[0:1], s[2:3]
	v_cndmask_b32_e32 v4, v25, v24, vcc
	v_add_u32_e32 v26, -1, v23
	v_mov_b32_e32 v27, 0x3ff
	v_add_u32_e32 v8, 1, v4
	v_cndmask_b32_e32 v4, v27, v26, vcc
	v_min_u32_e32 v4, v8, v4
	v_lshlrev_b32_e32 v4, 3, v4
	ds_read_b64 v[4:5], v4
	v_cndmask_b32_e32 v24, v24, v8, vcc
	v_cndmask_b32_e32 v25, v8, v25, vcc
	v_cmp_lt_u32_e64 s[2:3], v24, v23
	v_cmp_lt_u32_e64 s[0:1], s20, v25
	s_waitcnt lgkmcnt(0)
	v_cndmask_b32_e32 v7, v5, v3, vcc
	v_cndmask_b32_e32 v6, v4, v2, vcc
	;; [unrolled: 1-line block ×4, first 2 shown]
	v_cmp_le_u64_e64 s[4:5], v[4:5], v[6:7]
	s_and_b64 s[2:3], s[2:3], s[4:5]
	s_or_b64 s[0:1], s[0:1], s[2:3]
	v_cndmask_b32_e64 v8, v25, v24, s[0:1]
	v_add_u32_e32 v28, 1, v8
	v_cndmask_b32_e64 v8, v27, v26, s[0:1]
	v_min_u32_e32 v8, v28, v8
	v_lshlrev_b32_e32 v8, 3, v8
	ds_read_b64 v[8:9], v8
	v_cndmask_b32_e32 v1, v3, v1, vcc
	v_cndmask_b32_e32 v0, v2, v0, vcc
	v_cndmask_b32_e64 v29, v28, v25, s[0:1]
	v_cndmask_b32_e64 v28, v24, v28, s[0:1]
	s_waitcnt lgkmcnt(0)
	v_cndmask_b32_e64 v3, v9, v7, s[0:1]
	v_cndmask_b32_e64 v2, v8, v6, s[0:1]
	;; [unrolled: 1-line block ×4, first 2 shown]
	v_cmp_lt_u32_e64 s[2:3], v28, v23
	v_cmp_le_u64_e64 s[4:5], v[8:9], v[2:3]
	v_cmp_lt_u32_e32 vcc, s20, v29
	s_and_b64 s[2:3], s[2:3], s[4:5]
	s_or_b64 vcc, vcc, s[2:3]
	v_cndmask_b32_e32 v24, v29, v28, vcc
	v_add_u32_e32 v30, 1, v24
	v_cndmask_b32_e32 v24, v27, v26, vcc
	v_min_u32_e32 v24, v30, v24
	v_lshlrev_b32_e32 v24, 3, v24
	ds_read_b64 v[24:25], v24
	v_cndmask_b32_e64 v5, v7, v5, s[0:1]
	v_cndmask_b32_e64 v4, v6, v4, s[0:1]
	v_cndmask_b32_e32 v7, v3, v9, vcc
	v_cndmask_b32_e32 v6, v2, v8, vcc
	s_waitcnt lgkmcnt(0)
	v_cndmask_b32_e32 v9, v9, v25, vcc
	v_cndmask_b32_e32 v8, v8, v24, vcc
	;; [unrolled: 1-line block ×6, first 2 shown]
	v_cmp_lt_u32_e32 vcc, v24, v23
	v_cmp_lt_u64_e64 s[0:1], v[8:9], v[2:3]
	s_and_b64 vcc, vcc, s[0:1]
	v_cndmask_b32_e32 v2, v2, v8, vcc
	v_cndmask_b32_e32 v3, v3, v9, vcc
	v_cmp_gt_u32_e32 vcc, s19, v26
	v_cndmask_b32_e32 v9, v9, v3, vcc
	v_cndmask_b32_e32 v8, v8, v2, vcc
.LBB3306_84:
	s_or_b64 exec, exec, s[16:17]
	v_mov_b32_e32 v2, v4
	v_mov_b32_e32 v3, v5
	s_barrier
	s_barrier
	ds_write2_b64 v19, v[0:1], v[2:3] offset1:1
	ds_write2_b64 v19, v[6:7], v[8:9] offset0:2 offset1:3
	s_waitcnt lgkmcnt(0)
	s_barrier
	ds_read_b64 v[2:3], v18
	ds_read_b64 v[4:5], v20 offset:2048
	ds_read_b64 v[6:7], v21 offset:4096
	;; [unrolled: 1-line block ×3, first 2 shown]
	v_mov_b32_e32 v9, s18
	v_add_co_u32_e32 v8, vcc, s15, v12
	v_addc_co_u32_e32 v9, vcc, 0, v9, vcc
	s_waitcnt lgkmcnt(3)
	flat_store_dwordx2 v[8:9], v[2:3]
	s_waitcnt lgkmcnt(0)
	flat_store_dwordx2 v[8:9], v[4:5] offset:2048
	v_add_co_u32_e32 v2, vcc, 0x1000, v8
	v_addc_co_u32_e32 v3, vcc, 0, v9, vcc
	flat_store_dwordx2 v[2:3], v[6:7]
	s_mov_b64 s[16:17], -1
	s_branch .LBB3306_152
.LBB3306_85:
	s_mov_b64 s[16:17], 0
                                        ; implicit-def: $vgpr0_vgpr1
	s_cbranch_execz .LBB3306_152
; %bb.86:
	s_lshl_b64 s[0:1], s[8:9], 10
	s_sub_i32 s14, s14, s0
	v_cmp_gt_u32_e32 vcc, s14, v10
                                        ; implicit-def: $vgpr0_vgpr1_vgpr2_vgpr3_vgpr4_vgpr5_vgpr6_vgpr7
	s_and_saveexec_b64 s[2:3], vcc
	s_cbranch_execz .LBB3306_88
; %bb.87:
	v_mov_b32_e32 v1, s13
	v_add_co_u32_e64 v0, s[0:1], s7, v12
	v_addc_co_u32_e64 v1, s[0:1], 0, v1, s[0:1]
	flat_load_dwordx2 v[0:1], v[0:1]
.LBB3306_88:
	s_or_b64 exec, exec, s[2:3]
	v_add_u32_e32 v9, 0x100, v10
	v_cmp_gt_u32_e64 s[0:1], s14, v9
	s_and_saveexec_b64 s[4:5], s[0:1]
	s_cbranch_execz .LBB3306_90
; %bb.89:
	v_mov_b32_e32 v3, s13
	v_add_co_u32_e64 v2, s[2:3], s7, v12
	v_addc_co_u32_e64 v3, s[2:3], 0, v3, s[2:3]
	flat_load_dwordx2 v[2:3], v[2:3] offset:2048
.LBB3306_90:
	s_or_b64 exec, exec, s[4:5]
	v_add_u32_e32 v11, 0x200, v10
	v_cmp_gt_u32_e64 s[2:3], s14, v11
	s_and_saveexec_b64 s[8:9], s[2:3]
	s_cbranch_execz .LBB3306_92
; %bb.91:
	v_lshlrev_b32_e32 v4, 3, v11
	v_mov_b32_e32 v5, s13
	v_add_co_u32_e64 v4, s[4:5], s7, v4
	v_addc_co_u32_e64 v5, s[4:5], 0, v5, s[4:5]
	flat_load_dwordx2 v[4:5], v[4:5]
.LBB3306_92:
	s_or_b64 exec, exec, s[8:9]
	v_add_u32_e32 v18, 0x300, v10
	v_cmp_gt_u32_e64 s[16:17], s14, v18
	s_and_saveexec_b64 s[8:9], s[16:17]
	s_cbranch_execz .LBB3306_94
; %bb.93:
	v_lshlrev_b32_e32 v6, 3, v18
	v_mov_b32_e32 v7, s13
	v_add_co_u32_e64 v6, s[4:5], s7, v6
	v_addc_co_u32_e64 v7, s[4:5], 0, v7, s[4:5]
	flat_load_dwordx2 v[6:7], v[6:7]
.LBB3306_94:
	s_or_b64 exec, exec, s[8:9]
	v_and_b32_e32 v8, 0xf8, v17
	v_add_u32_e32 v8, v8, v12
	s_waitcnt vmcnt(0) lgkmcnt(0)
	ds_write_b64 v8, v[0:1]
	v_lshrrev_b32_e32 v0, 2, v9
	v_and_b32_e32 v0, 0x1f8, v0
	v_add_u32_e32 v9, v0, v12
	v_lshrrev_b32_e32 v0, 2, v11
	v_and_b32_e32 v0, 0x1f8, v0
	v_add_u32_e32 v11, v0, v12
	;; [unrolled: 3-line block ×3, first 2 shown]
	v_add_lshl_u32 v16, v16, v13, 3
	ds_write_b64 v9, v[2:3] offset:2048
	ds_write_b64 v11, v[4:5] offset:4096
	;; [unrolled: 1-line block ×3, first 2 shown]
	s_waitcnt lgkmcnt(0)
	s_barrier
	ds_read2_b64 v[0:3], v16 offset1:1
	ds_read2_b64 v[4:7], v16 offset0:2 offset1:3
	s_waitcnt lgkmcnt(0)
	s_barrier
	s_load_dword s4, s[10:11], 0xc
	v_mov_b32_e32 v18, 0
	s_waitcnt lgkmcnt(0)
	s_lshr_b32 s8, s4, 16
	s_cmp_lt_u32 s6, s12
	s_cselect_b32 s4, 12, 18
	s_add_u32 s4, s10, s4
	s_addc_u32 s5, s11, 0
	global_load_ushort v19, v18, s[4:5]
	v_mad_u32_u24 v14, v15, s8, v14
	v_mbcnt_lo_u32_b32 v18, -1, 0
	v_mbcnt_hi_u32_b32 v18, -1, v18
	v_cmp_gt_u64_e64 s[4:5], v[0:1], v[2:3]
	v_cmp_gt_u64_e64 s[6:7], v[4:5], v[6:7]
	v_lshlrev_b32_e32 v20, 5, v18
	v_lshlrev_b32_e32 v18, 2, v18
	v_or_b32_e32 v21, 4, v18
	v_and_b32_e32 v22, 0x1f8, v18
	v_and_b32_e32 v23, 4, v18
	s_waitcnt vmcnt(0)
	v_mul_lo_u32 v14, v14, v19
	v_add_lshl_u32 v14, v14, v10, 2
	v_sub_u32_e64 v15, s14, v14 clamp
	v_cmp_lt_u32_e64 s[8:9], 1, v15
	v_cmp_lt_u32_e64 s[10:11], 3, v15
	v_and_b32_e32 v14, 0xffffff00, v14
	s_and_b64 s[4:5], s[8:9], s[4:5]
	s_and_b64 s[6:7], s[10:11], s[6:7]
	v_cmp_lt_u32_e64 s[12:13], 2, v15
	v_sub_u32_e64 v15, s14, v14 clamp
	v_lshlrev_b32_e32 v14, 3, v14
	v_cndmask_b32_e64 v29, v1, v3, s[4:5]
	v_cndmask_b32_e64 v28, v0, v2, s[4:5]
	;; [unrolled: 1-line block ×6, first 2 shown]
	v_add_u32_e32 v19, v14, v20
	v_min_u32_e32 v20, v15, v21
	v_cmp_gt_u64_e64 s[4:5], v[0:1], v[2:3]
	v_cndmask_b32_e64 v31, v7, v5, s[6:7]
	v_min_u32_e32 v25, v15, v23
	v_cndmask_b32_e64 v30, v6, v4, s[6:7]
	v_add_u32_e32 v4, 4, v20
	v_sub_u32_e32 v5, v20, v22
	s_and_b64 s[4:5], s[12:13], s[4:5]
	v_min_u32_e32 v21, v15, v4
	v_min_u32_e32 v26, v25, v5
	v_cndmask_b32_e64 v5, v3, v1, s[4:5]
	v_cndmask_b32_e64 v4, v2, v0, s[4:5]
	;; [unrolled: 1-line block ×4, first 2 shown]
	v_cmp_gt_u64_e64 s[4:5], v[28:29], v[2:3]
	v_cmp_gt_u64_e64 s[6:7], v[4:5], v[30:31]
	v_sub_u32_e32 v6, v21, v20
	s_and_b64 s[4:5], s[8:9], s[4:5]
	s_and_b64 s[6:7], s[10:11], s[6:7]
	v_sub_u32_e64 v24, v25, v6 clamp
	v_cndmask_b32_e64 v1, v29, v3, s[4:5]
	v_cndmask_b32_e64 v7, v31, v5, s[6:7]
	;; [unrolled: 1-line block ×8, first 2 shown]
	v_cmp_gt_u64_e64 s[4:5], v[28:29], v[4:5]
	s_and_b64 s[4:5], s[12:13], s[4:5]
	v_lshl_add_u32 v23, v22, 3, v14
	v_cndmask_b32_e64 v3, v29, v5, s[4:5]
	v_cndmask_b32_e64 v2, v28, v4, s[4:5]
	;; [unrolled: 1-line block ×4, first 2 shown]
	v_cmp_lt_u32_e64 s[4:5], v24, v26
	ds_write_b128 v19, v[0:3]
	ds_write_b128 v19, v[4:7] offset:16
	; wave barrier
	s_and_saveexec_b64 s[6:7], s[4:5]
	s_cbranch_execz .LBB3306_98
; %bb.95:
	v_lshlrev_b32_e32 v27, 3, v20
	v_lshlrev_b32_e32 v28, 3, v25
	v_add3_u32 v27, v14, v27, v28
	s_mov_b64 s[8:9], 0
.LBB3306_96:                            ; =>This Inner Loop Header: Depth=1
	v_add_u32_e32 v28, v26, v24
	v_lshrrev_b32_e32 v32, 1, v28
	v_not_b32_e32 v28, v32
	v_lshl_add_u32 v29, v32, 3, v23
	v_lshl_add_u32 v30, v28, 3, v27
	ds_read_b64 v[28:29], v29
	ds_read_b64 v[30:31], v30
	v_add_u32_e32 v33, 1, v32
	s_waitcnt lgkmcnt(0)
	v_cmp_gt_u64_e64 s[4:5], v[28:29], v[30:31]
	v_cndmask_b32_e64 v26, v26, v32, s[4:5]
	v_cndmask_b32_e64 v24, v33, v24, s[4:5]
	v_cmp_ge_u32_e64 s[4:5], v24, v26
	s_or_b64 s[8:9], s[4:5], s[8:9]
	s_andn2_b64 exec, exec, s[8:9]
	s_cbranch_execnz .LBB3306_96
; %bb.97:
	s_or_b64 exec, exec, s[8:9]
.LBB3306_98:
	s_or_b64 exec, exec, s[6:7]
	v_add_u32_e32 v25, v20, v25
	v_add_u32_e32 v22, v24, v22
	v_sub_u32_e32 v25, v25, v24
	v_cmp_le_u32_e64 s[4:5], v22, v20
	v_cmp_le_u32_e64 s[6:7], v25, v21
	s_or_b64 s[4:5], s[4:5], s[6:7]
	s_and_saveexec_b64 s[12:13], s[4:5]
	s_cbranch_execz .LBB3306_104
; %bb.99:
	v_cmp_lt_u32_e64 s[4:5], v22, v20
                                        ; implicit-def: $vgpr0_vgpr1
	s_and_saveexec_b64 s[6:7], s[4:5]
	s_cbranch_execz .LBB3306_101
; %bb.100:
	v_lshl_add_u32 v0, v24, 3, v23
	ds_read_b64 v[0:1], v0
.LBB3306_101:
	s_or_b64 exec, exec, s[6:7]
	v_cmp_ge_u32_e64 s[6:7], v25, v21
	v_cmp_lt_u32_e64 s[8:9], v25, v21
                                        ; implicit-def: $vgpr2_vgpr3
	s_and_saveexec_b64 s[10:11], s[8:9]
	s_cbranch_execz .LBB3306_103
; %bb.102:
	v_lshl_add_u32 v2, v25, 3, v14
	ds_read_b64 v[2:3], v2
.LBB3306_103:
	s_or_b64 exec, exec, s[10:11]
	s_waitcnt lgkmcnt(0)
	v_cmp_le_u64_e64 s[8:9], v[0:1], v[2:3]
	s_and_b64 s[4:5], s[4:5], s[8:9]
	s_or_b64 s[4:5], s[6:7], s[4:5]
	v_cndmask_b32_e64 v4, v25, v22, s[4:5]
	v_cndmask_b32_e64 v5, v21, v20, s[4:5]
	v_add_u32_e32 v23, 1, v4
	v_add_u32_e32 v4, -1, v5
	v_min_u32_e32 v4, v23, v4
	v_lshl_add_u32 v4, v4, 3, v14
	ds_read_b64 v[4:5], v4
	v_cndmask_b32_e64 v27, v22, v23, s[4:5]
	v_cndmask_b32_e64 v26, v23, v25, s[4:5]
	v_cmp_lt_u32_e64 s[8:9], v27, v20
	v_cmp_ge_u32_e64 s[6:7], v26, v21
	s_waitcnt lgkmcnt(0)
	v_cndmask_b32_e64 v7, v5, v3, s[4:5]
	v_cndmask_b32_e64 v6, v4, v2, s[4:5]
	;; [unrolled: 1-line block ×4, first 2 shown]
	v_cmp_le_u64_e64 s[10:11], v[4:5], v[6:7]
	s_and_b64 s[8:9], s[8:9], s[10:11]
	s_or_b64 s[6:7], s[6:7], s[8:9]
	v_cndmask_b32_e64 v22, v26, v27, s[6:7]
	v_cndmask_b32_e64 v23, v21, v20, s[6:7]
	v_add_u32_e32 v28, 1, v22
	v_add_u32_e32 v22, -1, v23
	v_min_u32_e32 v22, v28, v22
	v_lshl_add_u32 v22, v22, 3, v14
	ds_read_b64 v[22:23], v22
	v_cndmask_b32_e64 v29, v28, v26, s[6:7]
	v_cndmask_b32_e64 v28, v27, v28, s[6:7]
	v_cmp_lt_u32_e64 s[8:9], v28, v20
	v_cndmask_b32_e64 v1, v3, v1, s[4:5]
	s_waitcnt lgkmcnt(0)
	v_cndmask_b32_e64 v25, v23, v7, s[6:7]
	v_cndmask_b32_e64 v24, v22, v6, s[6:7]
	;; [unrolled: 1-line block ×4, first 2 shown]
	v_cmp_le_u64_e64 s[10:11], v[22:23], v[24:25]
	v_cndmask_b32_e64 v0, v2, v0, s[4:5]
	v_cmp_ge_u32_e64 s[4:5], v29, v21
	s_and_b64 s[8:9], s[8:9], s[10:11]
	s_or_b64 s[4:5], s[4:5], s[8:9]
	v_cndmask_b32_e64 v2, v29, v28, s[4:5]
	v_cndmask_b32_e64 v3, v21, v20, s[4:5]
	v_add_u32_e32 v30, 1, v2
	v_add_u32_e32 v2, -1, v3
	v_min_u32_e32 v2, v30, v2
	v_lshl_add_u32 v2, v2, 3, v14
	ds_read_b64 v[26:27], v2
	v_cndmask_b32_e64 v3, v7, v5, s[6:7]
	v_cndmask_b32_e64 v2, v6, v4, s[6:7]
	;; [unrolled: 1-line block ×4, first 2 shown]
	s_waitcnt lgkmcnt(0)
	v_cndmask_b32_e64 v7, v23, v27, s[4:5]
	v_cndmask_b32_e64 v6, v22, v26, s[4:5]
	;; [unrolled: 1-line block ×6, first 2 shown]
	v_cmp_lt_u32_e64 s[4:5], v24, v20
	v_cmp_lt_u64_e64 s[6:7], v[6:7], v[22:23]
	s_and_b64 s[4:5], s[4:5], s[6:7]
	v_cndmask_b32_e64 v20, v22, v6, s[4:5]
	v_cndmask_b32_e64 v22, v23, v7, s[4:5]
	v_cmp_lt_u32_e64 s[4:5], v29, v21
	v_cndmask_b32_e64 v7, v7, v22, s[4:5]
	v_cndmask_b32_e64 v6, v6, v20, s[4:5]
.LBB3306_104:
	s_or_b64 exec, exec, s[12:13]
	v_and_b32_e32 v24, 0x1f0, v18
	v_or_b32_e32 v20, 8, v24
	v_min_u32_e32 v21, v15, v20
	v_add_u32_e32 v20, 8, v21
	v_min_u32_e32 v20, v15, v20
	v_and_b32_e32 v22, 12, v18
	v_min_u32_e32 v25, v15, v22
	v_sub_u32_e32 v26, v21, v24
	v_sub_u32_e32 v23, v20, v21
	v_sub_u32_e64 v23, v25, v23 clamp
	v_min_u32_e32 v26, v25, v26
	v_lshl_add_u32 v22, v24, 3, v14
	v_cmp_lt_u32_e64 s[4:5], v23, v26
	; wave barrier
	ds_write_b128 v19, v[0:3]
	ds_write_b128 v19, v[4:7] offset:16
	; wave barrier
	s_and_saveexec_b64 s[6:7], s[4:5]
	s_cbranch_execz .LBB3306_108
; %bb.105:
	v_lshlrev_b32_e32 v27, 3, v21
	v_lshlrev_b32_e32 v28, 3, v25
	v_add3_u32 v27, v14, v27, v28
	s_mov_b64 s[8:9], 0
.LBB3306_106:                           ; =>This Inner Loop Header: Depth=1
	v_add_u32_e32 v28, v26, v23
	v_lshrrev_b32_e32 v32, 1, v28
	v_not_b32_e32 v28, v32
	v_lshl_add_u32 v29, v32, 3, v22
	v_lshl_add_u32 v30, v28, 3, v27
	ds_read_b64 v[28:29], v29
	ds_read_b64 v[30:31], v30
	v_add_u32_e32 v33, 1, v32
	s_waitcnt lgkmcnt(0)
	v_cmp_gt_u64_e64 s[4:5], v[28:29], v[30:31]
	v_cndmask_b32_e64 v26, v26, v32, s[4:5]
	v_cndmask_b32_e64 v23, v33, v23, s[4:5]
	v_cmp_ge_u32_e64 s[4:5], v23, v26
	s_or_b64 s[8:9], s[4:5], s[8:9]
	s_andn2_b64 exec, exec, s[8:9]
	s_cbranch_execnz .LBB3306_106
; %bb.107:
	s_or_b64 exec, exec, s[8:9]
.LBB3306_108:
	s_or_b64 exec, exec, s[6:7]
	v_add_u32_e32 v25, v21, v25
	v_add_u32_e32 v24, v23, v24
	v_sub_u32_e32 v25, v25, v23
	v_cmp_le_u32_e64 s[4:5], v24, v21
	v_cmp_le_u32_e64 s[6:7], v25, v20
	s_or_b64 s[4:5], s[4:5], s[6:7]
	s_and_saveexec_b64 s[12:13], s[4:5]
	s_cbranch_execz .LBB3306_114
; %bb.109:
	v_cmp_lt_u32_e64 s[4:5], v24, v21
                                        ; implicit-def: $vgpr0_vgpr1
	s_and_saveexec_b64 s[6:7], s[4:5]
	s_cbranch_execz .LBB3306_111
; %bb.110:
	v_lshl_add_u32 v0, v23, 3, v22
	ds_read_b64 v[0:1], v0
.LBB3306_111:
	s_or_b64 exec, exec, s[6:7]
	v_cmp_ge_u32_e64 s[6:7], v25, v20
	v_cmp_lt_u32_e64 s[8:9], v25, v20
                                        ; implicit-def: $vgpr2_vgpr3
	s_and_saveexec_b64 s[10:11], s[8:9]
	s_cbranch_execz .LBB3306_113
; %bb.112:
	v_lshl_add_u32 v2, v25, 3, v14
	ds_read_b64 v[2:3], v2
.LBB3306_113:
	s_or_b64 exec, exec, s[10:11]
	s_waitcnt lgkmcnt(0)
	v_cmp_le_u64_e64 s[8:9], v[0:1], v[2:3]
	s_and_b64 s[4:5], s[4:5], s[8:9]
	s_or_b64 s[4:5], s[6:7], s[4:5]
	v_cndmask_b32_e64 v4, v25, v24, s[4:5]
	v_cndmask_b32_e64 v5, v20, v21, s[4:5]
	v_add_u32_e32 v22, 1, v4
	v_add_u32_e32 v4, -1, v5
	v_min_u32_e32 v4, v22, v4
	v_lshl_add_u32 v4, v4, 3, v14
	ds_read_b64 v[4:5], v4
	v_cndmask_b32_e64 v27, v24, v22, s[4:5]
	v_cndmask_b32_e64 v26, v22, v25, s[4:5]
	v_cmp_lt_u32_e64 s[8:9], v27, v21
	v_cmp_ge_u32_e64 s[6:7], v26, v20
	s_waitcnt lgkmcnt(0)
	v_cndmask_b32_e64 v7, v5, v3, s[4:5]
	v_cndmask_b32_e64 v6, v4, v2, s[4:5]
	;; [unrolled: 1-line block ×4, first 2 shown]
	v_cmp_le_u64_e64 s[10:11], v[4:5], v[6:7]
	s_and_b64 s[8:9], s[8:9], s[10:11]
	s_or_b64 s[6:7], s[6:7], s[8:9]
	v_cndmask_b32_e64 v22, v26, v27, s[6:7]
	v_cndmask_b32_e64 v23, v20, v21, s[6:7]
	v_add_u32_e32 v28, 1, v22
	v_add_u32_e32 v22, -1, v23
	v_min_u32_e32 v22, v28, v22
	v_lshl_add_u32 v22, v22, 3, v14
	ds_read_b64 v[22:23], v22
	v_cndmask_b32_e64 v29, v28, v26, s[6:7]
	v_cndmask_b32_e64 v28, v27, v28, s[6:7]
	v_cmp_lt_u32_e64 s[8:9], v28, v21
	v_cndmask_b32_e64 v1, v3, v1, s[4:5]
	s_waitcnt lgkmcnt(0)
	v_cndmask_b32_e64 v25, v23, v7, s[6:7]
	v_cndmask_b32_e64 v24, v22, v6, s[6:7]
	;; [unrolled: 1-line block ×4, first 2 shown]
	v_cmp_le_u64_e64 s[10:11], v[22:23], v[24:25]
	v_cndmask_b32_e64 v0, v2, v0, s[4:5]
	v_cmp_ge_u32_e64 s[4:5], v29, v20
	s_and_b64 s[8:9], s[8:9], s[10:11]
	s_or_b64 s[4:5], s[4:5], s[8:9]
	v_cndmask_b32_e64 v2, v29, v28, s[4:5]
	v_cndmask_b32_e64 v3, v20, v21, s[4:5]
	v_add_u32_e32 v30, 1, v2
	v_add_u32_e32 v2, -1, v3
	v_min_u32_e32 v2, v30, v2
	v_lshl_add_u32 v2, v2, 3, v14
	ds_read_b64 v[26:27], v2
	v_cndmask_b32_e64 v3, v7, v5, s[6:7]
	v_cndmask_b32_e64 v2, v6, v4, s[6:7]
	;; [unrolled: 1-line block ×4, first 2 shown]
	s_waitcnt lgkmcnt(0)
	v_cndmask_b32_e64 v7, v23, v27, s[4:5]
	v_cndmask_b32_e64 v6, v22, v26, s[4:5]
	;; [unrolled: 1-line block ×6, first 2 shown]
	v_cmp_lt_u32_e64 s[4:5], v24, v21
	v_cmp_lt_u64_e64 s[6:7], v[6:7], v[22:23]
	s_and_b64 s[4:5], s[4:5], s[6:7]
	v_cndmask_b32_e64 v21, v22, v6, s[4:5]
	v_cndmask_b32_e64 v22, v23, v7, s[4:5]
	v_cmp_lt_u32_e64 s[4:5], v29, v20
	v_cndmask_b32_e64 v7, v7, v22, s[4:5]
	v_cndmask_b32_e64 v6, v6, v21, s[4:5]
.LBB3306_114:
	s_or_b64 exec, exec, s[12:13]
	v_and_b32_e32 v24, 0x1e0, v18
	v_or_b32_e32 v20, 16, v24
	v_min_u32_e32 v21, v15, v20
	v_add_u32_e32 v20, 16, v21
	v_min_u32_e32 v20, v15, v20
	v_and_b32_e32 v22, 28, v18
	v_min_u32_e32 v25, v15, v22
	v_sub_u32_e32 v26, v21, v24
	v_sub_u32_e32 v23, v20, v21
	v_sub_u32_e64 v23, v25, v23 clamp
	v_min_u32_e32 v26, v25, v26
	v_lshl_add_u32 v22, v24, 3, v14
	v_cmp_lt_u32_e64 s[4:5], v23, v26
	; wave barrier
	ds_write_b128 v19, v[0:3]
	ds_write_b128 v19, v[4:7] offset:16
	; wave barrier
	s_and_saveexec_b64 s[6:7], s[4:5]
	s_cbranch_execz .LBB3306_118
; %bb.115:
	v_lshlrev_b32_e32 v27, 3, v21
	v_lshlrev_b32_e32 v28, 3, v25
	v_add3_u32 v27, v14, v27, v28
	s_mov_b64 s[8:9], 0
.LBB3306_116:                           ; =>This Inner Loop Header: Depth=1
	v_add_u32_e32 v28, v26, v23
	v_lshrrev_b32_e32 v32, 1, v28
	v_not_b32_e32 v28, v32
	v_lshl_add_u32 v29, v32, 3, v22
	v_lshl_add_u32 v30, v28, 3, v27
	ds_read_b64 v[28:29], v29
	ds_read_b64 v[30:31], v30
	v_add_u32_e32 v33, 1, v32
	s_waitcnt lgkmcnt(0)
	v_cmp_gt_u64_e64 s[4:5], v[28:29], v[30:31]
	v_cndmask_b32_e64 v26, v26, v32, s[4:5]
	v_cndmask_b32_e64 v23, v33, v23, s[4:5]
	v_cmp_ge_u32_e64 s[4:5], v23, v26
	s_or_b64 s[8:9], s[4:5], s[8:9]
	s_andn2_b64 exec, exec, s[8:9]
	s_cbranch_execnz .LBB3306_116
; %bb.117:
	s_or_b64 exec, exec, s[8:9]
.LBB3306_118:
	s_or_b64 exec, exec, s[6:7]
	v_add_u32_e32 v25, v21, v25
	v_add_u32_e32 v24, v23, v24
	v_sub_u32_e32 v25, v25, v23
	v_cmp_le_u32_e64 s[4:5], v24, v21
	v_cmp_le_u32_e64 s[6:7], v25, v20
	s_or_b64 s[4:5], s[4:5], s[6:7]
	s_and_saveexec_b64 s[12:13], s[4:5]
	s_cbranch_execz .LBB3306_124
; %bb.119:
	v_cmp_lt_u32_e64 s[4:5], v24, v21
                                        ; implicit-def: $vgpr0_vgpr1
	s_and_saveexec_b64 s[6:7], s[4:5]
	s_cbranch_execz .LBB3306_121
; %bb.120:
	v_lshl_add_u32 v0, v23, 3, v22
	ds_read_b64 v[0:1], v0
.LBB3306_121:
	s_or_b64 exec, exec, s[6:7]
	v_cmp_ge_u32_e64 s[6:7], v25, v20
	v_cmp_lt_u32_e64 s[8:9], v25, v20
                                        ; implicit-def: $vgpr2_vgpr3
	s_and_saveexec_b64 s[10:11], s[8:9]
	s_cbranch_execz .LBB3306_123
; %bb.122:
	v_lshl_add_u32 v2, v25, 3, v14
	ds_read_b64 v[2:3], v2
.LBB3306_123:
	s_or_b64 exec, exec, s[10:11]
	s_waitcnt lgkmcnt(0)
	v_cmp_le_u64_e64 s[8:9], v[0:1], v[2:3]
	s_and_b64 s[4:5], s[4:5], s[8:9]
	s_or_b64 s[4:5], s[6:7], s[4:5]
	v_cndmask_b32_e64 v4, v25, v24, s[4:5]
	v_cndmask_b32_e64 v5, v20, v21, s[4:5]
	v_add_u32_e32 v22, 1, v4
	v_add_u32_e32 v4, -1, v5
	v_min_u32_e32 v4, v22, v4
	v_lshl_add_u32 v4, v4, 3, v14
	ds_read_b64 v[4:5], v4
	v_cndmask_b32_e64 v27, v24, v22, s[4:5]
	v_cndmask_b32_e64 v26, v22, v25, s[4:5]
	v_cmp_lt_u32_e64 s[8:9], v27, v21
	v_cmp_ge_u32_e64 s[6:7], v26, v20
	s_waitcnt lgkmcnt(0)
	v_cndmask_b32_e64 v7, v5, v3, s[4:5]
	v_cndmask_b32_e64 v6, v4, v2, s[4:5]
	;; [unrolled: 1-line block ×4, first 2 shown]
	v_cmp_le_u64_e64 s[10:11], v[4:5], v[6:7]
	s_and_b64 s[8:9], s[8:9], s[10:11]
	s_or_b64 s[6:7], s[6:7], s[8:9]
	v_cndmask_b32_e64 v22, v26, v27, s[6:7]
	v_cndmask_b32_e64 v23, v20, v21, s[6:7]
	v_add_u32_e32 v28, 1, v22
	v_add_u32_e32 v22, -1, v23
	v_min_u32_e32 v22, v28, v22
	v_lshl_add_u32 v22, v22, 3, v14
	ds_read_b64 v[22:23], v22
	v_cndmask_b32_e64 v29, v28, v26, s[6:7]
	v_cndmask_b32_e64 v28, v27, v28, s[6:7]
	v_cmp_lt_u32_e64 s[8:9], v28, v21
	v_cndmask_b32_e64 v1, v3, v1, s[4:5]
	s_waitcnt lgkmcnt(0)
	v_cndmask_b32_e64 v25, v23, v7, s[6:7]
	v_cndmask_b32_e64 v24, v22, v6, s[6:7]
	;; [unrolled: 1-line block ×4, first 2 shown]
	v_cmp_le_u64_e64 s[10:11], v[22:23], v[24:25]
	v_cndmask_b32_e64 v0, v2, v0, s[4:5]
	v_cmp_ge_u32_e64 s[4:5], v29, v20
	s_and_b64 s[8:9], s[8:9], s[10:11]
	s_or_b64 s[4:5], s[4:5], s[8:9]
	v_cndmask_b32_e64 v2, v29, v28, s[4:5]
	v_cndmask_b32_e64 v3, v20, v21, s[4:5]
	v_add_u32_e32 v30, 1, v2
	v_add_u32_e32 v2, -1, v3
	v_min_u32_e32 v2, v30, v2
	v_lshl_add_u32 v2, v2, 3, v14
	ds_read_b64 v[26:27], v2
	v_cndmask_b32_e64 v3, v7, v5, s[6:7]
	v_cndmask_b32_e64 v2, v6, v4, s[6:7]
	;; [unrolled: 1-line block ×4, first 2 shown]
	s_waitcnt lgkmcnt(0)
	v_cndmask_b32_e64 v7, v23, v27, s[4:5]
	v_cndmask_b32_e64 v6, v22, v26, s[4:5]
	;; [unrolled: 1-line block ×6, first 2 shown]
	v_cmp_lt_u32_e64 s[4:5], v24, v21
	v_cmp_lt_u64_e64 s[6:7], v[6:7], v[22:23]
	s_and_b64 s[4:5], s[4:5], s[6:7]
	v_cndmask_b32_e64 v21, v22, v6, s[4:5]
	v_cndmask_b32_e64 v22, v23, v7, s[4:5]
	v_cmp_lt_u32_e64 s[4:5], v29, v20
	v_cndmask_b32_e64 v7, v7, v22, s[4:5]
	v_cndmask_b32_e64 v6, v6, v21, s[4:5]
.LBB3306_124:
	s_or_b64 exec, exec, s[12:13]
	v_and_b32_e32 v21, 0x1c0, v18
	; wave barrier
	ds_write_b128 v19, v[0:3]
	ds_write_b128 v19, v[4:7] offset:16
	v_or_b32_e32 v19, 32, v21
	v_min_u32_e32 v20, v15, v19
	v_add_u32_e32 v19, 32, v20
	v_min_u32_e32 v19, v15, v19
	v_and_b32_e32 v18, 60, v18
	v_min_u32_e32 v22, v15, v18
	v_sub_u32_e32 v23, v20, v21
	v_sub_u32_e32 v18, v19, v20
	v_sub_u32_e64 v18, v22, v18 clamp
	v_min_u32_e32 v23, v22, v23
	v_lshl_add_u32 v15, v21, 3, v14
	v_cmp_lt_u32_e64 s[4:5], v18, v23
	; wave barrier
	s_and_saveexec_b64 s[6:7], s[4:5]
	s_cbranch_execz .LBB3306_128
; %bb.125:
	v_lshlrev_b32_e32 v24, 3, v20
	v_lshlrev_b32_e32 v25, 3, v22
	v_add3_u32 v24, v14, v24, v25
	s_mov_b64 s[8:9], 0
.LBB3306_126:                           ; =>This Inner Loop Header: Depth=1
	v_add_u32_e32 v25, v23, v18
	v_lshrrev_b32_e32 v25, 1, v25
	v_not_b32_e32 v26, v25
	v_lshl_add_u32 v27, v25, 3, v15
	v_lshl_add_u32 v28, v26, 3, v24
	ds_read_b64 v[26:27], v27
	ds_read_b64 v[28:29], v28
	v_add_u32_e32 v30, 1, v25
	s_waitcnt lgkmcnt(0)
	v_cmp_gt_u64_e64 s[4:5], v[26:27], v[28:29]
	v_cndmask_b32_e64 v23, v23, v25, s[4:5]
	v_cndmask_b32_e64 v18, v30, v18, s[4:5]
	v_cmp_ge_u32_e64 s[4:5], v18, v23
	s_or_b64 s[8:9], s[4:5], s[8:9]
	s_andn2_b64 exec, exec, s[8:9]
	s_cbranch_execnz .LBB3306_126
; %bb.127:
	s_or_b64 exec, exec, s[8:9]
.LBB3306_128:
	s_or_b64 exec, exec, s[6:7]
	v_add_u32_e32 v22, v20, v22
	v_add_u32_e32 v21, v18, v21
	v_sub_u32_e32 v22, v22, v18
	v_cmp_le_u32_e64 s[4:5], v21, v20
	v_cmp_le_u32_e64 s[6:7], v22, v19
	s_or_b64 s[4:5], s[4:5], s[6:7]
	s_and_saveexec_b64 s[12:13], s[4:5]
	s_cbranch_execz .LBB3306_134
; %bb.129:
	v_cmp_lt_u32_e64 s[4:5], v21, v20
                                        ; implicit-def: $vgpr0_vgpr1
	s_and_saveexec_b64 s[6:7], s[4:5]
	s_cbranch_execz .LBB3306_131
; %bb.130:
	v_lshl_add_u32 v0, v18, 3, v15
	ds_read_b64 v[0:1], v0
.LBB3306_131:
	s_or_b64 exec, exec, s[6:7]
	v_cmp_ge_u32_e64 s[6:7], v22, v19
	v_cmp_lt_u32_e64 s[8:9], v22, v19
                                        ; implicit-def: $vgpr2_vgpr3
	s_and_saveexec_b64 s[10:11], s[8:9]
	s_cbranch_execz .LBB3306_133
; %bb.132:
	v_lshl_add_u32 v2, v22, 3, v14
	ds_read_b64 v[2:3], v2
.LBB3306_133:
	s_or_b64 exec, exec, s[10:11]
	s_waitcnt lgkmcnt(0)
	v_cmp_le_u64_e64 s[8:9], v[0:1], v[2:3]
	s_and_b64 s[4:5], s[4:5], s[8:9]
	s_or_b64 s[4:5], s[6:7], s[4:5]
	v_cndmask_b32_e64 v4, v22, v21, s[4:5]
	v_cndmask_b32_e64 v5, v19, v20, s[4:5]
	v_add_u32_e32 v15, 1, v4
	v_add_u32_e32 v4, -1, v5
	v_min_u32_e32 v4, v15, v4
	v_lshl_add_u32 v4, v4, 3, v14
	ds_read_b64 v[4:5], v4
	v_cndmask_b32_e64 v18, v15, v22, s[4:5]
	v_cndmask_b32_e64 v15, v21, v15, s[4:5]
	v_cmp_lt_u32_e64 s[8:9], v15, v20
	v_cmp_ge_u32_e64 s[6:7], v18, v19
	s_waitcnt lgkmcnt(0)
	v_cndmask_b32_e64 v7, v5, v3, s[4:5]
	v_cndmask_b32_e64 v6, v4, v2, s[4:5]
	;; [unrolled: 1-line block ×4, first 2 shown]
	v_cmp_le_u64_e64 s[10:11], v[4:5], v[6:7]
	s_and_b64 s[8:9], s[8:9], s[10:11]
	s_or_b64 s[6:7], s[6:7], s[8:9]
	v_cndmask_b32_e64 v21, v18, v15, s[6:7]
	v_cndmask_b32_e64 v22, v19, v20, s[6:7]
	v_add_u32_e32 v21, 1, v21
	v_add_u32_e32 v22, -1, v22
	v_min_u32_e32 v22, v21, v22
	v_lshl_add_u32 v22, v22, 3, v14
	ds_read_b64 v[22:23], v22
	v_cndmask_b32_e64 v18, v21, v18, s[6:7]
	v_cndmask_b32_e64 v21, v15, v21, s[6:7]
	v_cmp_lt_u32_e64 s[8:9], v21, v20
	v_cndmask_b32_e64 v1, v3, v1, s[4:5]
	s_waitcnt lgkmcnt(0)
	v_cndmask_b32_e64 v25, v23, v7, s[6:7]
	v_cndmask_b32_e64 v24, v22, v6, s[6:7]
	;; [unrolled: 1-line block ×4, first 2 shown]
	v_cmp_le_u64_e64 s[10:11], v[22:23], v[24:25]
	v_cndmask_b32_e64 v0, v2, v0, s[4:5]
	v_cmp_ge_u32_e64 s[4:5], v18, v19
	s_and_b64 s[8:9], s[8:9], s[10:11]
	s_or_b64 s[4:5], s[4:5], s[8:9]
	v_cndmask_b32_e64 v2, v18, v21, s[4:5]
	v_cndmask_b32_e64 v3, v19, v20, s[4:5]
	v_add_u32_e32 v26, 1, v2
	v_add_u32_e32 v2, -1, v3
	v_min_u32_e32 v2, v26, v2
	v_lshl_add_u32 v2, v2, 3, v14
	ds_read_b64 v[14:15], v2
	v_cndmask_b32_e64 v3, v7, v5, s[6:7]
	v_cndmask_b32_e64 v2, v6, v4, s[6:7]
	;; [unrolled: 1-line block ×4, first 2 shown]
	s_waitcnt lgkmcnt(0)
	v_cndmask_b32_e64 v7, v23, v15, s[4:5]
	v_cndmask_b32_e64 v6, v22, v14, s[4:5]
	;; [unrolled: 1-line block ×6, first 2 shown]
	v_cmp_lt_u32_e64 s[4:5], v21, v20
	v_cmp_lt_u64_e64 s[6:7], v[6:7], v[14:15]
	s_and_b64 s[4:5], s[4:5], s[6:7]
	v_cndmask_b32_e64 v14, v14, v6, s[4:5]
	v_cndmask_b32_e64 v15, v15, v7, s[4:5]
	v_cmp_lt_u32_e64 s[4:5], v18, v19
	v_cndmask_b32_e64 v7, v7, v15, s[4:5]
	v_cndmask_b32_e64 v6, v6, v14, s[4:5]
.LBB3306_134:
	s_or_b64 exec, exec, s[12:13]
	s_cmpk_lt_u32 s14, 0x41
	; wave barrier
	s_waitcnt lgkmcnt(0)
	s_barrier
	s_cbranch_scc1 .LBB3306_147
; %bb.135:
	v_lshlrev_b32_e32 v14, 5, v10
	s_mov_b32 s19, 64
	s_branch .LBB3306_138
.LBB3306_136:                           ;   in Loop: Header=BB3306_138 Depth=1
	s_or_b64 exec, exec, s[10:11]
	s_waitcnt lgkmcnt(0)
	v_cmp_le_u64_e64 s[8:9], v[0:1], v[2:3]
	s_and_b64 s[4:5], s[4:5], s[8:9]
	s_or_b64 s[4:5], s[6:7], s[4:5]
	v_cndmask_b32_e64 v4, v22, v21, s[4:5]
	v_cndmask_b32_e64 v5, v15, v18, s[4:5]
	v_add_u32_e32 v19, 1, v4
	v_add_u32_e32 v4, -1, v5
	v_min_u32_e32 v4, v19, v4
	v_lshlrev_b32_e32 v4, 3, v4
	ds_read_b64 v[4:5], v4
	v_cndmask_b32_e64 v24, v19, v22, s[4:5]
	v_cndmask_b32_e64 v19, v21, v19, s[4:5]
	v_cmp_lt_u32_e64 s[8:9], v19, v18
	v_cmp_ge_u32_e64 s[6:7], v24, v15
	s_waitcnt lgkmcnt(0)
	v_cndmask_b32_e64 v7, v5, v3, s[4:5]
	v_cndmask_b32_e64 v6, v4, v2, s[4:5]
	;; [unrolled: 1-line block ×4, first 2 shown]
	v_cmp_le_u64_e64 s[10:11], v[4:5], v[6:7]
	s_and_b64 s[8:9], s[8:9], s[10:11]
	s_or_b64 s[6:7], s[6:7], s[8:9]
	v_cndmask_b32_e64 v20, v24, v19, s[6:7]
	v_cndmask_b32_e64 v21, v15, v18, s[6:7]
	v_add_u32_e32 v25, 1, v20
	v_add_u32_e32 v20, -1, v21
	v_min_u32_e32 v20, v25, v20
	v_lshlrev_b32_e32 v20, 3, v20
	ds_read_b64 v[20:21], v20
	v_cndmask_b32_e64 v19, v19, v25, s[6:7]
	v_cndmask_b32_e64 v26, v25, v24, s[6:7]
	v_cmp_lt_u32_e64 s[8:9], v19, v18
	v_cndmask_b32_e64 v1, v3, v1, s[4:5]
	s_waitcnt lgkmcnt(0)
	v_cndmask_b32_e64 v23, v21, v7, s[6:7]
	v_cndmask_b32_e64 v22, v20, v6, s[6:7]
	;; [unrolled: 1-line block ×4, first 2 shown]
	v_cmp_le_u64_e64 s[10:11], v[20:21], v[22:23]
	v_cndmask_b32_e64 v0, v2, v0, s[4:5]
	v_cmp_ge_u32_e64 s[4:5], v26, v15
	s_and_b64 s[8:9], s[8:9], s[10:11]
	s_or_b64 s[4:5], s[4:5], s[8:9]
	v_cndmask_b32_e64 v2, v26, v19, s[4:5]
	v_cndmask_b32_e64 v3, v15, v18, s[4:5]
	v_add_u32_e32 v27, 1, v2
	v_add_u32_e32 v2, -1, v3
	v_min_u32_e32 v2, v27, v2
	v_lshlrev_b32_e32 v2, 3, v2
	ds_read_b64 v[24:25], v2
	v_cndmask_b32_e64 v3, v7, v5, s[6:7]
	v_cndmask_b32_e64 v2, v6, v4, s[6:7]
	;; [unrolled: 1-line block ×4, first 2 shown]
	s_waitcnt lgkmcnt(0)
	v_cndmask_b32_e64 v7, v21, v25, s[4:5]
	v_cndmask_b32_e64 v6, v20, v24, s[4:5]
	;; [unrolled: 1-line block ×6, first 2 shown]
	v_cmp_lt_u32_e64 s[4:5], v19, v18
	v_cmp_lt_u64_e64 s[6:7], v[6:7], v[20:21]
	s_and_b64 s[4:5], s[4:5], s[6:7]
	v_cndmask_b32_e64 v18, v20, v6, s[4:5]
	v_cndmask_b32_e64 v19, v21, v7, s[4:5]
	v_cmp_lt_u32_e64 s[4:5], v26, v15
	v_cndmask_b32_e64 v7, v7, v19, s[4:5]
	v_cndmask_b32_e64 v6, v6, v18, s[4:5]
.LBB3306_137:                           ;   in Loop: Header=BB3306_138 Depth=1
	s_or_b64 exec, exec, s[12:13]
	s_cmp_lt_u32 s19, s14
	s_barrier
	s_cbranch_scc0 .LBB3306_147
.LBB3306_138:                           ; =>This Loop Header: Depth=1
                                        ;     Child Loop BB3306_140 Depth 2
	s_mov_b32 s4, s19
	s_lshl_b32 s19, s19, 1
	s_sub_i32 s6, 0, s19
	v_and_b32_e32 v21, s6, v13
	v_add_u32_e32 v15, s4, v21
	v_min_u32_e32 v18, s14, v15
	s_add_i32 s5, s19, -1
	v_add_u32_e32 v15, s4, v18
	v_min_u32_e32 v15, s14, v15
	v_and_b32_e32 v19, s5, v13
	v_min_u32_e32 v22, s14, v19
	v_sub_u32_e32 v23, v18, v21
	v_sub_u32_e32 v20, v15, v18
	v_sub_u32_e64 v20, v22, v20 clamp
	v_min_u32_e32 v23, v22, v23
	v_lshlrev_b32_e32 v19, 3, v21
	v_cmp_lt_u32_e64 s[4:5], v20, v23
	ds_write_b128 v14, v[0:3]
	ds_write_b128 v14, v[4:7] offset:16
	s_waitcnt lgkmcnt(0)
	s_barrier
	s_and_saveexec_b64 s[6:7], s[4:5]
	s_cbranch_execz .LBB3306_142
; %bb.139:                              ;   in Loop: Header=BB3306_138 Depth=1
	v_lshlrev_b32_e32 v24, 3, v22
	v_lshl_add_u32 v24, v18, 3, v24
	s_mov_b64 s[8:9], 0
.LBB3306_140:                           ;   Parent Loop BB3306_138 Depth=1
                                        ; =>  This Inner Loop Header: Depth=2
	v_add_u32_e32 v25, v23, v20
	v_lshrrev_b32_e32 v25, 1, v25
	v_not_b32_e32 v26, v25
	v_lshl_add_u32 v27, v25, 3, v19
	v_lshl_add_u32 v28, v26, 3, v24
	ds_read_b64 v[26:27], v27
	ds_read_b64 v[28:29], v28
	v_add_u32_e32 v30, 1, v25
	s_waitcnt lgkmcnt(0)
	v_cmp_gt_u64_e64 s[4:5], v[26:27], v[28:29]
	v_cndmask_b32_e64 v23, v23, v25, s[4:5]
	v_cndmask_b32_e64 v20, v30, v20, s[4:5]
	v_cmp_ge_u32_e64 s[4:5], v20, v23
	s_or_b64 s[8:9], s[4:5], s[8:9]
	s_andn2_b64 exec, exec, s[8:9]
	s_cbranch_execnz .LBB3306_140
; %bb.141:                              ;   in Loop: Header=BB3306_138 Depth=1
	s_or_b64 exec, exec, s[8:9]
.LBB3306_142:                           ;   in Loop: Header=BB3306_138 Depth=1
	s_or_b64 exec, exec, s[6:7]
	v_sub_u32_e32 v22, v22, v20
	v_add_u32_e32 v21, v20, v21
	v_add_u32_e32 v22, v22, v18
	v_cmp_le_u32_e64 s[4:5], v21, v18
	v_cmp_le_u32_e64 s[6:7], v22, v15
	s_or_b64 s[4:5], s[4:5], s[6:7]
	s_and_saveexec_b64 s[12:13], s[4:5]
	s_cbranch_execz .LBB3306_137
; %bb.143:                              ;   in Loop: Header=BB3306_138 Depth=1
	v_cmp_lt_u32_e64 s[4:5], v21, v18
                                        ; implicit-def: $vgpr0_vgpr1
	s_and_saveexec_b64 s[6:7], s[4:5]
	s_cbranch_execz .LBB3306_145
; %bb.144:                              ;   in Loop: Header=BB3306_138 Depth=1
	v_lshl_add_u32 v0, v20, 3, v19
	ds_read_b64 v[0:1], v0
.LBB3306_145:                           ;   in Loop: Header=BB3306_138 Depth=1
	s_or_b64 exec, exec, s[6:7]
	v_cmp_ge_u32_e64 s[6:7], v22, v15
	v_cmp_lt_u32_e64 s[8:9], v22, v15
                                        ; implicit-def: $vgpr2_vgpr3
	s_and_saveexec_b64 s[10:11], s[8:9]
	s_cbranch_execz .LBB3306_136
; %bb.146:                              ;   in Loop: Header=BB3306_138 Depth=1
	v_lshlrev_b32_e32 v2, 3, v22
	ds_read_b64 v[2:3], v2
	s_branch .LBB3306_136
.LBB3306_147:
	s_barrier
	ds_write2_b64 v16, v[0:1], v[2:3] offset1:1
	ds_write2_b64 v16, v[4:5], v[6:7] offset0:2 offset1:3
	s_waitcnt lgkmcnt(0)
	s_barrier
	ds_read_b64 v[6:7], v9 offset:2048
	ds_read_b64 v[2:3], v11 offset:4096
	;; [unrolled: 1-line block ×3, first 2 shown]
	v_mov_b32_e32 v5, s18
	v_add_co_u32_e64 v4, s[4:5], s15, v12
	v_mov_b32_e32 v11, 0
	v_addc_co_u32_e64 v5, s[4:5], 0, v5, s[4:5]
	s_and_saveexec_b64 s[4:5], vcc
	s_cbranch_execnz .LBB3306_155
; %bb.148:
	s_or_b64 exec, exec, s[4:5]
	s_and_saveexec_b64 s[4:5], s[0:1]
	s_cbranch_execnz .LBB3306_156
.LBB3306_149:
	s_or_b64 exec, exec, s[4:5]
	s_and_saveexec_b64 s[0:1], s[2:3]
	s_cbranch_execz .LBB3306_151
.LBB3306_150:
	v_add_co_u32_e32 v4, vcc, 0x1000, v4
	v_addc_co_u32_e32 v5, vcc, 0, v5, vcc
	s_waitcnt lgkmcnt(0)
	flat_store_dwordx2 v[4:5], v[2:3]
.LBB3306_151:
	s_or_b64 exec, exec, s[0:1]
.LBB3306_152:
	s_and_saveexec_b64 s[0:1], s[16:17]
	s_cbranch_execz .LBB3306_154
; %bb.153:
	s_waitcnt lgkmcnt(0)
	v_lshlrev_b64 v[2:3], 3, v[10:11]
	v_mov_b32_e32 v4, s18
	v_add_co_u32_e32 v2, vcc, s15, v2
	v_addc_co_u32_e32 v3, vcc, v4, v3, vcc
	v_add_co_u32_e32 v2, vcc, 0x1000, v2
	v_addc_co_u32_e32 v3, vcc, 0, v3, vcc
	flat_store_dwordx2 v[2:3], v[0:1] offset:2048
.LBB3306_154:
	s_endpgm
.LBB3306_155:
	ds_read_b64 v[8:9], v8
	s_waitcnt lgkmcnt(0)
	flat_store_dwordx2 v[4:5], v[8:9]
	s_or_b64 exec, exec, s[4:5]
	s_and_saveexec_b64 s[4:5], s[0:1]
	s_cbranch_execz .LBB3306_149
.LBB3306_156:
	s_waitcnt lgkmcnt(0)
	flat_store_dwordx2 v[4:5], v[6:7] offset:2048
	s_or_b64 exec, exec, s[4:5]
	s_and_saveexec_b64 s[0:1], s[2:3]
	s_cbranch_execnz .LBB3306_150
	s_branch .LBB3306_151
	.section	.rodata,"a",@progbits
	.p2align	6, 0x0
	.amdhsa_kernel _ZN7rocprim17ROCPRIM_400000_NS6detail17trampoline_kernelINS0_14default_configENS1_37merge_sort_block_sort_config_selectorImNS0_10empty_typeEEEZNS1_21merge_sort_block_sortIS3_N6thrust23THRUST_200600_302600_NS6detail15normal_iteratorINS9_10device_ptrImEEEESE_PS5_SF_14custom_greaterImEEE10hipError_tT0_T1_T2_T3_mRjT4_P12ihipStream_tbNS1_7vsmem_tEEUlT_E_NS1_11comp_targetILNS1_3genE4ELNS1_11target_archE910ELNS1_3gpuE8ELNS1_3repE0EEENS1_30default_config_static_selectorELNS0_4arch9wavefront6targetE1EEEvSK_
		.amdhsa_group_segment_fixed_size 8448
		.amdhsa_private_segment_fixed_size 0
		.amdhsa_kernarg_size 320
		.amdhsa_user_sgpr_count 6
		.amdhsa_user_sgpr_private_segment_buffer 1
		.amdhsa_user_sgpr_dispatch_ptr 0
		.amdhsa_user_sgpr_queue_ptr 0
		.amdhsa_user_sgpr_kernarg_segment_ptr 1
		.amdhsa_user_sgpr_dispatch_id 0
		.amdhsa_user_sgpr_flat_scratch_init 0
		.amdhsa_user_sgpr_kernarg_preload_length 0
		.amdhsa_user_sgpr_kernarg_preload_offset 0
		.amdhsa_user_sgpr_private_segment_size 0
		.amdhsa_uses_dynamic_stack 0
		.amdhsa_system_sgpr_private_segment_wavefront_offset 0
		.amdhsa_system_sgpr_workgroup_id_x 1
		.amdhsa_system_sgpr_workgroup_id_y 1
		.amdhsa_system_sgpr_workgroup_id_z 1
		.amdhsa_system_sgpr_workgroup_info 0
		.amdhsa_system_vgpr_workitem_id 2
		.amdhsa_next_free_vgpr 39
		.amdhsa_next_free_sgpr 21
		.amdhsa_accum_offset 40
		.amdhsa_reserve_vcc 1
		.amdhsa_reserve_flat_scratch 0
		.amdhsa_float_round_mode_32 0
		.amdhsa_float_round_mode_16_64 0
		.amdhsa_float_denorm_mode_32 3
		.amdhsa_float_denorm_mode_16_64 3
		.amdhsa_dx10_clamp 1
		.amdhsa_ieee_mode 1
		.amdhsa_fp16_overflow 0
		.amdhsa_tg_split 0
		.amdhsa_exception_fp_ieee_invalid_op 0
		.amdhsa_exception_fp_denorm_src 0
		.amdhsa_exception_fp_ieee_div_zero 0
		.amdhsa_exception_fp_ieee_overflow 0
		.amdhsa_exception_fp_ieee_underflow 0
		.amdhsa_exception_fp_ieee_inexact 0
		.amdhsa_exception_int_div_zero 0
	.end_amdhsa_kernel
	.section	.text._ZN7rocprim17ROCPRIM_400000_NS6detail17trampoline_kernelINS0_14default_configENS1_37merge_sort_block_sort_config_selectorImNS0_10empty_typeEEEZNS1_21merge_sort_block_sortIS3_N6thrust23THRUST_200600_302600_NS6detail15normal_iteratorINS9_10device_ptrImEEEESE_PS5_SF_14custom_greaterImEEE10hipError_tT0_T1_T2_T3_mRjT4_P12ihipStream_tbNS1_7vsmem_tEEUlT_E_NS1_11comp_targetILNS1_3genE4ELNS1_11target_archE910ELNS1_3gpuE8ELNS1_3repE0EEENS1_30default_config_static_selectorELNS0_4arch9wavefront6targetE1EEEvSK_,"axG",@progbits,_ZN7rocprim17ROCPRIM_400000_NS6detail17trampoline_kernelINS0_14default_configENS1_37merge_sort_block_sort_config_selectorImNS0_10empty_typeEEEZNS1_21merge_sort_block_sortIS3_N6thrust23THRUST_200600_302600_NS6detail15normal_iteratorINS9_10device_ptrImEEEESE_PS5_SF_14custom_greaterImEEE10hipError_tT0_T1_T2_T3_mRjT4_P12ihipStream_tbNS1_7vsmem_tEEUlT_E_NS1_11comp_targetILNS1_3genE4ELNS1_11target_archE910ELNS1_3gpuE8ELNS1_3repE0EEENS1_30default_config_static_selectorELNS0_4arch9wavefront6targetE1EEEvSK_,comdat
.Lfunc_end3306:
	.size	_ZN7rocprim17ROCPRIM_400000_NS6detail17trampoline_kernelINS0_14default_configENS1_37merge_sort_block_sort_config_selectorImNS0_10empty_typeEEEZNS1_21merge_sort_block_sortIS3_N6thrust23THRUST_200600_302600_NS6detail15normal_iteratorINS9_10device_ptrImEEEESE_PS5_SF_14custom_greaterImEEE10hipError_tT0_T1_T2_T3_mRjT4_P12ihipStream_tbNS1_7vsmem_tEEUlT_E_NS1_11comp_targetILNS1_3genE4ELNS1_11target_archE910ELNS1_3gpuE8ELNS1_3repE0EEENS1_30default_config_static_selectorELNS0_4arch9wavefront6targetE1EEEvSK_, .Lfunc_end3306-_ZN7rocprim17ROCPRIM_400000_NS6detail17trampoline_kernelINS0_14default_configENS1_37merge_sort_block_sort_config_selectorImNS0_10empty_typeEEEZNS1_21merge_sort_block_sortIS3_N6thrust23THRUST_200600_302600_NS6detail15normal_iteratorINS9_10device_ptrImEEEESE_PS5_SF_14custom_greaterImEEE10hipError_tT0_T1_T2_T3_mRjT4_P12ihipStream_tbNS1_7vsmem_tEEUlT_E_NS1_11comp_targetILNS1_3genE4ELNS1_11target_archE910ELNS1_3gpuE8ELNS1_3repE0EEENS1_30default_config_static_selectorELNS0_4arch9wavefront6targetE1EEEvSK_
                                        ; -- End function
	.section	.AMDGPU.csdata,"",@progbits
; Kernel info:
; codeLenInByte = 11560
; NumSgprs: 25
; NumVgprs: 39
; NumAgprs: 0
; TotalNumVgprs: 39
; ScratchSize: 0
; MemoryBound: 0
; FloatMode: 240
; IeeeMode: 1
; LDSByteSize: 8448 bytes/workgroup (compile time only)
; SGPRBlocks: 3
; VGPRBlocks: 4
; NumSGPRsForWavesPerEU: 25
; NumVGPRsForWavesPerEU: 39
; AccumOffset: 40
; Occupancy: 7
; WaveLimiterHint : 1
; COMPUTE_PGM_RSRC2:SCRATCH_EN: 0
; COMPUTE_PGM_RSRC2:USER_SGPR: 6
; COMPUTE_PGM_RSRC2:TRAP_HANDLER: 0
; COMPUTE_PGM_RSRC2:TGID_X_EN: 1
; COMPUTE_PGM_RSRC2:TGID_Y_EN: 1
; COMPUTE_PGM_RSRC2:TGID_Z_EN: 1
; COMPUTE_PGM_RSRC2:TIDIG_COMP_CNT: 2
; COMPUTE_PGM_RSRC3_GFX90A:ACCUM_OFFSET: 9
; COMPUTE_PGM_RSRC3_GFX90A:TG_SPLIT: 0
	.section	.text._ZN7rocprim17ROCPRIM_400000_NS6detail17trampoline_kernelINS0_14default_configENS1_37merge_sort_block_sort_config_selectorImNS0_10empty_typeEEEZNS1_21merge_sort_block_sortIS3_N6thrust23THRUST_200600_302600_NS6detail15normal_iteratorINS9_10device_ptrImEEEESE_PS5_SF_14custom_greaterImEEE10hipError_tT0_T1_T2_T3_mRjT4_P12ihipStream_tbNS1_7vsmem_tEEUlT_E_NS1_11comp_targetILNS1_3genE3ELNS1_11target_archE908ELNS1_3gpuE7ELNS1_3repE0EEENS1_30default_config_static_selectorELNS0_4arch9wavefront6targetE1EEEvSK_,"axG",@progbits,_ZN7rocprim17ROCPRIM_400000_NS6detail17trampoline_kernelINS0_14default_configENS1_37merge_sort_block_sort_config_selectorImNS0_10empty_typeEEEZNS1_21merge_sort_block_sortIS3_N6thrust23THRUST_200600_302600_NS6detail15normal_iteratorINS9_10device_ptrImEEEESE_PS5_SF_14custom_greaterImEEE10hipError_tT0_T1_T2_T3_mRjT4_P12ihipStream_tbNS1_7vsmem_tEEUlT_E_NS1_11comp_targetILNS1_3genE3ELNS1_11target_archE908ELNS1_3gpuE7ELNS1_3repE0EEENS1_30default_config_static_selectorELNS0_4arch9wavefront6targetE1EEEvSK_,comdat
	.protected	_ZN7rocprim17ROCPRIM_400000_NS6detail17trampoline_kernelINS0_14default_configENS1_37merge_sort_block_sort_config_selectorImNS0_10empty_typeEEEZNS1_21merge_sort_block_sortIS3_N6thrust23THRUST_200600_302600_NS6detail15normal_iteratorINS9_10device_ptrImEEEESE_PS5_SF_14custom_greaterImEEE10hipError_tT0_T1_T2_T3_mRjT4_P12ihipStream_tbNS1_7vsmem_tEEUlT_E_NS1_11comp_targetILNS1_3genE3ELNS1_11target_archE908ELNS1_3gpuE7ELNS1_3repE0EEENS1_30default_config_static_selectorELNS0_4arch9wavefront6targetE1EEEvSK_ ; -- Begin function _ZN7rocprim17ROCPRIM_400000_NS6detail17trampoline_kernelINS0_14default_configENS1_37merge_sort_block_sort_config_selectorImNS0_10empty_typeEEEZNS1_21merge_sort_block_sortIS3_N6thrust23THRUST_200600_302600_NS6detail15normal_iteratorINS9_10device_ptrImEEEESE_PS5_SF_14custom_greaterImEEE10hipError_tT0_T1_T2_T3_mRjT4_P12ihipStream_tbNS1_7vsmem_tEEUlT_E_NS1_11comp_targetILNS1_3genE3ELNS1_11target_archE908ELNS1_3gpuE7ELNS1_3repE0EEENS1_30default_config_static_selectorELNS0_4arch9wavefront6targetE1EEEvSK_
	.globl	_ZN7rocprim17ROCPRIM_400000_NS6detail17trampoline_kernelINS0_14default_configENS1_37merge_sort_block_sort_config_selectorImNS0_10empty_typeEEEZNS1_21merge_sort_block_sortIS3_N6thrust23THRUST_200600_302600_NS6detail15normal_iteratorINS9_10device_ptrImEEEESE_PS5_SF_14custom_greaterImEEE10hipError_tT0_T1_T2_T3_mRjT4_P12ihipStream_tbNS1_7vsmem_tEEUlT_E_NS1_11comp_targetILNS1_3genE3ELNS1_11target_archE908ELNS1_3gpuE7ELNS1_3repE0EEENS1_30default_config_static_selectorELNS0_4arch9wavefront6targetE1EEEvSK_
	.p2align	8
	.type	_ZN7rocprim17ROCPRIM_400000_NS6detail17trampoline_kernelINS0_14default_configENS1_37merge_sort_block_sort_config_selectorImNS0_10empty_typeEEEZNS1_21merge_sort_block_sortIS3_N6thrust23THRUST_200600_302600_NS6detail15normal_iteratorINS9_10device_ptrImEEEESE_PS5_SF_14custom_greaterImEEE10hipError_tT0_T1_T2_T3_mRjT4_P12ihipStream_tbNS1_7vsmem_tEEUlT_E_NS1_11comp_targetILNS1_3genE3ELNS1_11target_archE908ELNS1_3gpuE7ELNS1_3repE0EEENS1_30default_config_static_selectorELNS0_4arch9wavefront6targetE1EEEvSK_,@function
_ZN7rocprim17ROCPRIM_400000_NS6detail17trampoline_kernelINS0_14default_configENS1_37merge_sort_block_sort_config_selectorImNS0_10empty_typeEEEZNS1_21merge_sort_block_sortIS3_N6thrust23THRUST_200600_302600_NS6detail15normal_iteratorINS9_10device_ptrImEEEESE_PS5_SF_14custom_greaterImEEE10hipError_tT0_T1_T2_T3_mRjT4_P12ihipStream_tbNS1_7vsmem_tEEUlT_E_NS1_11comp_targetILNS1_3genE3ELNS1_11target_archE908ELNS1_3gpuE7ELNS1_3repE0EEENS1_30default_config_static_selectorELNS0_4arch9wavefront6targetE1EEEvSK_: ; @_ZN7rocprim17ROCPRIM_400000_NS6detail17trampoline_kernelINS0_14default_configENS1_37merge_sort_block_sort_config_selectorImNS0_10empty_typeEEEZNS1_21merge_sort_block_sortIS3_N6thrust23THRUST_200600_302600_NS6detail15normal_iteratorINS9_10device_ptrImEEEESE_PS5_SF_14custom_greaterImEEE10hipError_tT0_T1_T2_T3_mRjT4_P12ihipStream_tbNS1_7vsmem_tEEUlT_E_NS1_11comp_targetILNS1_3genE3ELNS1_11target_archE908ELNS1_3gpuE7ELNS1_3repE0EEENS1_30default_config_static_selectorELNS0_4arch9wavefront6targetE1EEEvSK_
; %bb.0:
	.section	.rodata,"a",@progbits
	.p2align	6, 0x0
	.amdhsa_kernel _ZN7rocprim17ROCPRIM_400000_NS6detail17trampoline_kernelINS0_14default_configENS1_37merge_sort_block_sort_config_selectorImNS0_10empty_typeEEEZNS1_21merge_sort_block_sortIS3_N6thrust23THRUST_200600_302600_NS6detail15normal_iteratorINS9_10device_ptrImEEEESE_PS5_SF_14custom_greaterImEEE10hipError_tT0_T1_T2_T3_mRjT4_P12ihipStream_tbNS1_7vsmem_tEEUlT_E_NS1_11comp_targetILNS1_3genE3ELNS1_11target_archE908ELNS1_3gpuE7ELNS1_3repE0EEENS1_30default_config_static_selectorELNS0_4arch9wavefront6targetE1EEEvSK_
		.amdhsa_group_segment_fixed_size 0
		.amdhsa_private_segment_fixed_size 0
		.amdhsa_kernarg_size 64
		.amdhsa_user_sgpr_count 6
		.amdhsa_user_sgpr_private_segment_buffer 1
		.amdhsa_user_sgpr_dispatch_ptr 0
		.amdhsa_user_sgpr_queue_ptr 0
		.amdhsa_user_sgpr_kernarg_segment_ptr 1
		.amdhsa_user_sgpr_dispatch_id 0
		.amdhsa_user_sgpr_flat_scratch_init 0
		.amdhsa_user_sgpr_kernarg_preload_length 0
		.amdhsa_user_sgpr_kernarg_preload_offset 0
		.amdhsa_user_sgpr_private_segment_size 0
		.amdhsa_uses_dynamic_stack 0
		.amdhsa_system_sgpr_private_segment_wavefront_offset 0
		.amdhsa_system_sgpr_workgroup_id_x 1
		.amdhsa_system_sgpr_workgroup_id_y 0
		.amdhsa_system_sgpr_workgroup_id_z 0
		.amdhsa_system_sgpr_workgroup_info 0
		.amdhsa_system_vgpr_workitem_id 0
		.amdhsa_next_free_vgpr 1
		.amdhsa_next_free_sgpr 0
		.amdhsa_accum_offset 4
		.amdhsa_reserve_vcc 0
		.amdhsa_reserve_flat_scratch 0
		.amdhsa_float_round_mode_32 0
		.amdhsa_float_round_mode_16_64 0
		.amdhsa_float_denorm_mode_32 3
		.amdhsa_float_denorm_mode_16_64 3
		.amdhsa_dx10_clamp 1
		.amdhsa_ieee_mode 1
		.amdhsa_fp16_overflow 0
		.amdhsa_tg_split 0
		.amdhsa_exception_fp_ieee_invalid_op 0
		.amdhsa_exception_fp_denorm_src 0
		.amdhsa_exception_fp_ieee_div_zero 0
		.amdhsa_exception_fp_ieee_overflow 0
		.amdhsa_exception_fp_ieee_underflow 0
		.amdhsa_exception_fp_ieee_inexact 0
		.amdhsa_exception_int_div_zero 0
	.end_amdhsa_kernel
	.section	.text._ZN7rocprim17ROCPRIM_400000_NS6detail17trampoline_kernelINS0_14default_configENS1_37merge_sort_block_sort_config_selectorImNS0_10empty_typeEEEZNS1_21merge_sort_block_sortIS3_N6thrust23THRUST_200600_302600_NS6detail15normal_iteratorINS9_10device_ptrImEEEESE_PS5_SF_14custom_greaterImEEE10hipError_tT0_T1_T2_T3_mRjT4_P12ihipStream_tbNS1_7vsmem_tEEUlT_E_NS1_11comp_targetILNS1_3genE3ELNS1_11target_archE908ELNS1_3gpuE7ELNS1_3repE0EEENS1_30default_config_static_selectorELNS0_4arch9wavefront6targetE1EEEvSK_,"axG",@progbits,_ZN7rocprim17ROCPRIM_400000_NS6detail17trampoline_kernelINS0_14default_configENS1_37merge_sort_block_sort_config_selectorImNS0_10empty_typeEEEZNS1_21merge_sort_block_sortIS3_N6thrust23THRUST_200600_302600_NS6detail15normal_iteratorINS9_10device_ptrImEEEESE_PS5_SF_14custom_greaterImEEE10hipError_tT0_T1_T2_T3_mRjT4_P12ihipStream_tbNS1_7vsmem_tEEUlT_E_NS1_11comp_targetILNS1_3genE3ELNS1_11target_archE908ELNS1_3gpuE7ELNS1_3repE0EEENS1_30default_config_static_selectorELNS0_4arch9wavefront6targetE1EEEvSK_,comdat
.Lfunc_end3307:
	.size	_ZN7rocprim17ROCPRIM_400000_NS6detail17trampoline_kernelINS0_14default_configENS1_37merge_sort_block_sort_config_selectorImNS0_10empty_typeEEEZNS1_21merge_sort_block_sortIS3_N6thrust23THRUST_200600_302600_NS6detail15normal_iteratorINS9_10device_ptrImEEEESE_PS5_SF_14custom_greaterImEEE10hipError_tT0_T1_T2_T3_mRjT4_P12ihipStream_tbNS1_7vsmem_tEEUlT_E_NS1_11comp_targetILNS1_3genE3ELNS1_11target_archE908ELNS1_3gpuE7ELNS1_3repE0EEENS1_30default_config_static_selectorELNS0_4arch9wavefront6targetE1EEEvSK_, .Lfunc_end3307-_ZN7rocprim17ROCPRIM_400000_NS6detail17trampoline_kernelINS0_14default_configENS1_37merge_sort_block_sort_config_selectorImNS0_10empty_typeEEEZNS1_21merge_sort_block_sortIS3_N6thrust23THRUST_200600_302600_NS6detail15normal_iteratorINS9_10device_ptrImEEEESE_PS5_SF_14custom_greaterImEEE10hipError_tT0_T1_T2_T3_mRjT4_P12ihipStream_tbNS1_7vsmem_tEEUlT_E_NS1_11comp_targetILNS1_3genE3ELNS1_11target_archE908ELNS1_3gpuE7ELNS1_3repE0EEENS1_30default_config_static_selectorELNS0_4arch9wavefront6targetE1EEEvSK_
                                        ; -- End function
	.section	.AMDGPU.csdata,"",@progbits
; Kernel info:
; codeLenInByte = 0
; NumSgprs: 4
; NumVgprs: 0
; NumAgprs: 0
; TotalNumVgprs: 0
; ScratchSize: 0
; MemoryBound: 0
; FloatMode: 240
; IeeeMode: 1
; LDSByteSize: 0 bytes/workgroup (compile time only)
; SGPRBlocks: 0
; VGPRBlocks: 0
; NumSGPRsForWavesPerEU: 4
; NumVGPRsForWavesPerEU: 1
; AccumOffset: 4
; Occupancy: 8
; WaveLimiterHint : 0
; COMPUTE_PGM_RSRC2:SCRATCH_EN: 0
; COMPUTE_PGM_RSRC2:USER_SGPR: 6
; COMPUTE_PGM_RSRC2:TRAP_HANDLER: 0
; COMPUTE_PGM_RSRC2:TGID_X_EN: 1
; COMPUTE_PGM_RSRC2:TGID_Y_EN: 0
; COMPUTE_PGM_RSRC2:TGID_Z_EN: 0
; COMPUTE_PGM_RSRC2:TIDIG_COMP_CNT: 0
; COMPUTE_PGM_RSRC3_GFX90A:ACCUM_OFFSET: 0
; COMPUTE_PGM_RSRC3_GFX90A:TG_SPLIT: 0
	.section	.text._ZN7rocprim17ROCPRIM_400000_NS6detail17trampoline_kernelINS0_14default_configENS1_37merge_sort_block_sort_config_selectorImNS0_10empty_typeEEEZNS1_21merge_sort_block_sortIS3_N6thrust23THRUST_200600_302600_NS6detail15normal_iteratorINS9_10device_ptrImEEEESE_PS5_SF_14custom_greaterImEEE10hipError_tT0_T1_T2_T3_mRjT4_P12ihipStream_tbNS1_7vsmem_tEEUlT_E_NS1_11comp_targetILNS1_3genE2ELNS1_11target_archE906ELNS1_3gpuE6ELNS1_3repE0EEENS1_30default_config_static_selectorELNS0_4arch9wavefront6targetE1EEEvSK_,"axG",@progbits,_ZN7rocprim17ROCPRIM_400000_NS6detail17trampoline_kernelINS0_14default_configENS1_37merge_sort_block_sort_config_selectorImNS0_10empty_typeEEEZNS1_21merge_sort_block_sortIS3_N6thrust23THRUST_200600_302600_NS6detail15normal_iteratorINS9_10device_ptrImEEEESE_PS5_SF_14custom_greaterImEEE10hipError_tT0_T1_T2_T3_mRjT4_P12ihipStream_tbNS1_7vsmem_tEEUlT_E_NS1_11comp_targetILNS1_3genE2ELNS1_11target_archE906ELNS1_3gpuE6ELNS1_3repE0EEENS1_30default_config_static_selectorELNS0_4arch9wavefront6targetE1EEEvSK_,comdat
	.protected	_ZN7rocprim17ROCPRIM_400000_NS6detail17trampoline_kernelINS0_14default_configENS1_37merge_sort_block_sort_config_selectorImNS0_10empty_typeEEEZNS1_21merge_sort_block_sortIS3_N6thrust23THRUST_200600_302600_NS6detail15normal_iteratorINS9_10device_ptrImEEEESE_PS5_SF_14custom_greaterImEEE10hipError_tT0_T1_T2_T3_mRjT4_P12ihipStream_tbNS1_7vsmem_tEEUlT_E_NS1_11comp_targetILNS1_3genE2ELNS1_11target_archE906ELNS1_3gpuE6ELNS1_3repE0EEENS1_30default_config_static_selectorELNS0_4arch9wavefront6targetE1EEEvSK_ ; -- Begin function _ZN7rocprim17ROCPRIM_400000_NS6detail17trampoline_kernelINS0_14default_configENS1_37merge_sort_block_sort_config_selectorImNS0_10empty_typeEEEZNS1_21merge_sort_block_sortIS3_N6thrust23THRUST_200600_302600_NS6detail15normal_iteratorINS9_10device_ptrImEEEESE_PS5_SF_14custom_greaterImEEE10hipError_tT0_T1_T2_T3_mRjT4_P12ihipStream_tbNS1_7vsmem_tEEUlT_E_NS1_11comp_targetILNS1_3genE2ELNS1_11target_archE906ELNS1_3gpuE6ELNS1_3repE0EEENS1_30default_config_static_selectorELNS0_4arch9wavefront6targetE1EEEvSK_
	.globl	_ZN7rocprim17ROCPRIM_400000_NS6detail17trampoline_kernelINS0_14default_configENS1_37merge_sort_block_sort_config_selectorImNS0_10empty_typeEEEZNS1_21merge_sort_block_sortIS3_N6thrust23THRUST_200600_302600_NS6detail15normal_iteratorINS9_10device_ptrImEEEESE_PS5_SF_14custom_greaterImEEE10hipError_tT0_T1_T2_T3_mRjT4_P12ihipStream_tbNS1_7vsmem_tEEUlT_E_NS1_11comp_targetILNS1_3genE2ELNS1_11target_archE906ELNS1_3gpuE6ELNS1_3repE0EEENS1_30default_config_static_selectorELNS0_4arch9wavefront6targetE1EEEvSK_
	.p2align	8
	.type	_ZN7rocprim17ROCPRIM_400000_NS6detail17trampoline_kernelINS0_14default_configENS1_37merge_sort_block_sort_config_selectorImNS0_10empty_typeEEEZNS1_21merge_sort_block_sortIS3_N6thrust23THRUST_200600_302600_NS6detail15normal_iteratorINS9_10device_ptrImEEEESE_PS5_SF_14custom_greaterImEEE10hipError_tT0_T1_T2_T3_mRjT4_P12ihipStream_tbNS1_7vsmem_tEEUlT_E_NS1_11comp_targetILNS1_3genE2ELNS1_11target_archE906ELNS1_3gpuE6ELNS1_3repE0EEENS1_30default_config_static_selectorELNS0_4arch9wavefront6targetE1EEEvSK_,@function
_ZN7rocprim17ROCPRIM_400000_NS6detail17trampoline_kernelINS0_14default_configENS1_37merge_sort_block_sort_config_selectorImNS0_10empty_typeEEEZNS1_21merge_sort_block_sortIS3_N6thrust23THRUST_200600_302600_NS6detail15normal_iteratorINS9_10device_ptrImEEEESE_PS5_SF_14custom_greaterImEEE10hipError_tT0_T1_T2_T3_mRjT4_P12ihipStream_tbNS1_7vsmem_tEEUlT_E_NS1_11comp_targetILNS1_3genE2ELNS1_11target_archE906ELNS1_3gpuE6ELNS1_3repE0EEENS1_30default_config_static_selectorELNS0_4arch9wavefront6targetE1EEEvSK_: ; @_ZN7rocprim17ROCPRIM_400000_NS6detail17trampoline_kernelINS0_14default_configENS1_37merge_sort_block_sort_config_selectorImNS0_10empty_typeEEEZNS1_21merge_sort_block_sortIS3_N6thrust23THRUST_200600_302600_NS6detail15normal_iteratorINS9_10device_ptrImEEEESE_PS5_SF_14custom_greaterImEEE10hipError_tT0_T1_T2_T3_mRjT4_P12ihipStream_tbNS1_7vsmem_tEEUlT_E_NS1_11comp_targetILNS1_3genE2ELNS1_11target_archE906ELNS1_3gpuE6ELNS1_3repE0EEENS1_30default_config_static_selectorELNS0_4arch9wavefront6targetE1EEEvSK_
; %bb.0:
	.section	.rodata,"a",@progbits
	.p2align	6, 0x0
	.amdhsa_kernel _ZN7rocprim17ROCPRIM_400000_NS6detail17trampoline_kernelINS0_14default_configENS1_37merge_sort_block_sort_config_selectorImNS0_10empty_typeEEEZNS1_21merge_sort_block_sortIS3_N6thrust23THRUST_200600_302600_NS6detail15normal_iteratorINS9_10device_ptrImEEEESE_PS5_SF_14custom_greaterImEEE10hipError_tT0_T1_T2_T3_mRjT4_P12ihipStream_tbNS1_7vsmem_tEEUlT_E_NS1_11comp_targetILNS1_3genE2ELNS1_11target_archE906ELNS1_3gpuE6ELNS1_3repE0EEENS1_30default_config_static_selectorELNS0_4arch9wavefront6targetE1EEEvSK_
		.amdhsa_group_segment_fixed_size 0
		.amdhsa_private_segment_fixed_size 0
		.amdhsa_kernarg_size 64
		.amdhsa_user_sgpr_count 6
		.amdhsa_user_sgpr_private_segment_buffer 1
		.amdhsa_user_sgpr_dispatch_ptr 0
		.amdhsa_user_sgpr_queue_ptr 0
		.amdhsa_user_sgpr_kernarg_segment_ptr 1
		.amdhsa_user_sgpr_dispatch_id 0
		.amdhsa_user_sgpr_flat_scratch_init 0
		.amdhsa_user_sgpr_kernarg_preload_length 0
		.amdhsa_user_sgpr_kernarg_preload_offset 0
		.amdhsa_user_sgpr_private_segment_size 0
		.amdhsa_uses_dynamic_stack 0
		.amdhsa_system_sgpr_private_segment_wavefront_offset 0
		.amdhsa_system_sgpr_workgroup_id_x 1
		.amdhsa_system_sgpr_workgroup_id_y 0
		.amdhsa_system_sgpr_workgroup_id_z 0
		.amdhsa_system_sgpr_workgroup_info 0
		.amdhsa_system_vgpr_workitem_id 0
		.amdhsa_next_free_vgpr 1
		.amdhsa_next_free_sgpr 0
		.amdhsa_accum_offset 4
		.amdhsa_reserve_vcc 0
		.amdhsa_reserve_flat_scratch 0
		.amdhsa_float_round_mode_32 0
		.amdhsa_float_round_mode_16_64 0
		.amdhsa_float_denorm_mode_32 3
		.amdhsa_float_denorm_mode_16_64 3
		.amdhsa_dx10_clamp 1
		.amdhsa_ieee_mode 1
		.amdhsa_fp16_overflow 0
		.amdhsa_tg_split 0
		.amdhsa_exception_fp_ieee_invalid_op 0
		.amdhsa_exception_fp_denorm_src 0
		.amdhsa_exception_fp_ieee_div_zero 0
		.amdhsa_exception_fp_ieee_overflow 0
		.amdhsa_exception_fp_ieee_underflow 0
		.amdhsa_exception_fp_ieee_inexact 0
		.amdhsa_exception_int_div_zero 0
	.end_amdhsa_kernel
	.section	.text._ZN7rocprim17ROCPRIM_400000_NS6detail17trampoline_kernelINS0_14default_configENS1_37merge_sort_block_sort_config_selectorImNS0_10empty_typeEEEZNS1_21merge_sort_block_sortIS3_N6thrust23THRUST_200600_302600_NS6detail15normal_iteratorINS9_10device_ptrImEEEESE_PS5_SF_14custom_greaterImEEE10hipError_tT0_T1_T2_T3_mRjT4_P12ihipStream_tbNS1_7vsmem_tEEUlT_E_NS1_11comp_targetILNS1_3genE2ELNS1_11target_archE906ELNS1_3gpuE6ELNS1_3repE0EEENS1_30default_config_static_selectorELNS0_4arch9wavefront6targetE1EEEvSK_,"axG",@progbits,_ZN7rocprim17ROCPRIM_400000_NS6detail17trampoline_kernelINS0_14default_configENS1_37merge_sort_block_sort_config_selectorImNS0_10empty_typeEEEZNS1_21merge_sort_block_sortIS3_N6thrust23THRUST_200600_302600_NS6detail15normal_iteratorINS9_10device_ptrImEEEESE_PS5_SF_14custom_greaterImEEE10hipError_tT0_T1_T2_T3_mRjT4_P12ihipStream_tbNS1_7vsmem_tEEUlT_E_NS1_11comp_targetILNS1_3genE2ELNS1_11target_archE906ELNS1_3gpuE6ELNS1_3repE0EEENS1_30default_config_static_selectorELNS0_4arch9wavefront6targetE1EEEvSK_,comdat
.Lfunc_end3308:
	.size	_ZN7rocprim17ROCPRIM_400000_NS6detail17trampoline_kernelINS0_14default_configENS1_37merge_sort_block_sort_config_selectorImNS0_10empty_typeEEEZNS1_21merge_sort_block_sortIS3_N6thrust23THRUST_200600_302600_NS6detail15normal_iteratorINS9_10device_ptrImEEEESE_PS5_SF_14custom_greaterImEEE10hipError_tT0_T1_T2_T3_mRjT4_P12ihipStream_tbNS1_7vsmem_tEEUlT_E_NS1_11comp_targetILNS1_3genE2ELNS1_11target_archE906ELNS1_3gpuE6ELNS1_3repE0EEENS1_30default_config_static_selectorELNS0_4arch9wavefront6targetE1EEEvSK_, .Lfunc_end3308-_ZN7rocprim17ROCPRIM_400000_NS6detail17trampoline_kernelINS0_14default_configENS1_37merge_sort_block_sort_config_selectorImNS0_10empty_typeEEEZNS1_21merge_sort_block_sortIS3_N6thrust23THRUST_200600_302600_NS6detail15normal_iteratorINS9_10device_ptrImEEEESE_PS5_SF_14custom_greaterImEEE10hipError_tT0_T1_T2_T3_mRjT4_P12ihipStream_tbNS1_7vsmem_tEEUlT_E_NS1_11comp_targetILNS1_3genE2ELNS1_11target_archE906ELNS1_3gpuE6ELNS1_3repE0EEENS1_30default_config_static_selectorELNS0_4arch9wavefront6targetE1EEEvSK_
                                        ; -- End function
	.section	.AMDGPU.csdata,"",@progbits
; Kernel info:
; codeLenInByte = 0
; NumSgprs: 4
; NumVgprs: 0
; NumAgprs: 0
; TotalNumVgprs: 0
; ScratchSize: 0
; MemoryBound: 0
; FloatMode: 240
; IeeeMode: 1
; LDSByteSize: 0 bytes/workgroup (compile time only)
; SGPRBlocks: 0
; VGPRBlocks: 0
; NumSGPRsForWavesPerEU: 4
; NumVGPRsForWavesPerEU: 1
; AccumOffset: 4
; Occupancy: 8
; WaveLimiterHint : 0
; COMPUTE_PGM_RSRC2:SCRATCH_EN: 0
; COMPUTE_PGM_RSRC2:USER_SGPR: 6
; COMPUTE_PGM_RSRC2:TRAP_HANDLER: 0
; COMPUTE_PGM_RSRC2:TGID_X_EN: 1
; COMPUTE_PGM_RSRC2:TGID_Y_EN: 0
; COMPUTE_PGM_RSRC2:TGID_Z_EN: 0
; COMPUTE_PGM_RSRC2:TIDIG_COMP_CNT: 0
; COMPUTE_PGM_RSRC3_GFX90A:ACCUM_OFFSET: 0
; COMPUTE_PGM_RSRC3_GFX90A:TG_SPLIT: 0
	.section	.text._ZN7rocprim17ROCPRIM_400000_NS6detail17trampoline_kernelINS0_14default_configENS1_37merge_sort_block_sort_config_selectorImNS0_10empty_typeEEEZNS1_21merge_sort_block_sortIS3_N6thrust23THRUST_200600_302600_NS6detail15normal_iteratorINS9_10device_ptrImEEEESE_PS5_SF_14custom_greaterImEEE10hipError_tT0_T1_T2_T3_mRjT4_P12ihipStream_tbNS1_7vsmem_tEEUlT_E_NS1_11comp_targetILNS1_3genE10ELNS1_11target_archE1201ELNS1_3gpuE5ELNS1_3repE0EEENS1_30default_config_static_selectorELNS0_4arch9wavefront6targetE1EEEvSK_,"axG",@progbits,_ZN7rocprim17ROCPRIM_400000_NS6detail17trampoline_kernelINS0_14default_configENS1_37merge_sort_block_sort_config_selectorImNS0_10empty_typeEEEZNS1_21merge_sort_block_sortIS3_N6thrust23THRUST_200600_302600_NS6detail15normal_iteratorINS9_10device_ptrImEEEESE_PS5_SF_14custom_greaterImEEE10hipError_tT0_T1_T2_T3_mRjT4_P12ihipStream_tbNS1_7vsmem_tEEUlT_E_NS1_11comp_targetILNS1_3genE10ELNS1_11target_archE1201ELNS1_3gpuE5ELNS1_3repE0EEENS1_30default_config_static_selectorELNS0_4arch9wavefront6targetE1EEEvSK_,comdat
	.protected	_ZN7rocprim17ROCPRIM_400000_NS6detail17trampoline_kernelINS0_14default_configENS1_37merge_sort_block_sort_config_selectorImNS0_10empty_typeEEEZNS1_21merge_sort_block_sortIS3_N6thrust23THRUST_200600_302600_NS6detail15normal_iteratorINS9_10device_ptrImEEEESE_PS5_SF_14custom_greaterImEEE10hipError_tT0_T1_T2_T3_mRjT4_P12ihipStream_tbNS1_7vsmem_tEEUlT_E_NS1_11comp_targetILNS1_3genE10ELNS1_11target_archE1201ELNS1_3gpuE5ELNS1_3repE0EEENS1_30default_config_static_selectorELNS0_4arch9wavefront6targetE1EEEvSK_ ; -- Begin function _ZN7rocprim17ROCPRIM_400000_NS6detail17trampoline_kernelINS0_14default_configENS1_37merge_sort_block_sort_config_selectorImNS0_10empty_typeEEEZNS1_21merge_sort_block_sortIS3_N6thrust23THRUST_200600_302600_NS6detail15normal_iteratorINS9_10device_ptrImEEEESE_PS5_SF_14custom_greaterImEEE10hipError_tT0_T1_T2_T3_mRjT4_P12ihipStream_tbNS1_7vsmem_tEEUlT_E_NS1_11comp_targetILNS1_3genE10ELNS1_11target_archE1201ELNS1_3gpuE5ELNS1_3repE0EEENS1_30default_config_static_selectorELNS0_4arch9wavefront6targetE1EEEvSK_
	.globl	_ZN7rocprim17ROCPRIM_400000_NS6detail17trampoline_kernelINS0_14default_configENS1_37merge_sort_block_sort_config_selectorImNS0_10empty_typeEEEZNS1_21merge_sort_block_sortIS3_N6thrust23THRUST_200600_302600_NS6detail15normal_iteratorINS9_10device_ptrImEEEESE_PS5_SF_14custom_greaterImEEE10hipError_tT0_T1_T2_T3_mRjT4_P12ihipStream_tbNS1_7vsmem_tEEUlT_E_NS1_11comp_targetILNS1_3genE10ELNS1_11target_archE1201ELNS1_3gpuE5ELNS1_3repE0EEENS1_30default_config_static_selectorELNS0_4arch9wavefront6targetE1EEEvSK_
	.p2align	8
	.type	_ZN7rocprim17ROCPRIM_400000_NS6detail17trampoline_kernelINS0_14default_configENS1_37merge_sort_block_sort_config_selectorImNS0_10empty_typeEEEZNS1_21merge_sort_block_sortIS3_N6thrust23THRUST_200600_302600_NS6detail15normal_iteratorINS9_10device_ptrImEEEESE_PS5_SF_14custom_greaterImEEE10hipError_tT0_T1_T2_T3_mRjT4_P12ihipStream_tbNS1_7vsmem_tEEUlT_E_NS1_11comp_targetILNS1_3genE10ELNS1_11target_archE1201ELNS1_3gpuE5ELNS1_3repE0EEENS1_30default_config_static_selectorELNS0_4arch9wavefront6targetE1EEEvSK_,@function
_ZN7rocprim17ROCPRIM_400000_NS6detail17trampoline_kernelINS0_14default_configENS1_37merge_sort_block_sort_config_selectorImNS0_10empty_typeEEEZNS1_21merge_sort_block_sortIS3_N6thrust23THRUST_200600_302600_NS6detail15normal_iteratorINS9_10device_ptrImEEEESE_PS5_SF_14custom_greaterImEEE10hipError_tT0_T1_T2_T3_mRjT4_P12ihipStream_tbNS1_7vsmem_tEEUlT_E_NS1_11comp_targetILNS1_3genE10ELNS1_11target_archE1201ELNS1_3gpuE5ELNS1_3repE0EEENS1_30default_config_static_selectorELNS0_4arch9wavefront6targetE1EEEvSK_: ; @_ZN7rocprim17ROCPRIM_400000_NS6detail17trampoline_kernelINS0_14default_configENS1_37merge_sort_block_sort_config_selectorImNS0_10empty_typeEEEZNS1_21merge_sort_block_sortIS3_N6thrust23THRUST_200600_302600_NS6detail15normal_iteratorINS9_10device_ptrImEEEESE_PS5_SF_14custom_greaterImEEE10hipError_tT0_T1_T2_T3_mRjT4_P12ihipStream_tbNS1_7vsmem_tEEUlT_E_NS1_11comp_targetILNS1_3genE10ELNS1_11target_archE1201ELNS1_3gpuE5ELNS1_3repE0EEENS1_30default_config_static_selectorELNS0_4arch9wavefront6targetE1EEEvSK_
; %bb.0:
	.section	.rodata,"a",@progbits
	.p2align	6, 0x0
	.amdhsa_kernel _ZN7rocprim17ROCPRIM_400000_NS6detail17trampoline_kernelINS0_14default_configENS1_37merge_sort_block_sort_config_selectorImNS0_10empty_typeEEEZNS1_21merge_sort_block_sortIS3_N6thrust23THRUST_200600_302600_NS6detail15normal_iteratorINS9_10device_ptrImEEEESE_PS5_SF_14custom_greaterImEEE10hipError_tT0_T1_T2_T3_mRjT4_P12ihipStream_tbNS1_7vsmem_tEEUlT_E_NS1_11comp_targetILNS1_3genE10ELNS1_11target_archE1201ELNS1_3gpuE5ELNS1_3repE0EEENS1_30default_config_static_selectorELNS0_4arch9wavefront6targetE1EEEvSK_
		.amdhsa_group_segment_fixed_size 0
		.amdhsa_private_segment_fixed_size 0
		.amdhsa_kernarg_size 64
		.amdhsa_user_sgpr_count 6
		.amdhsa_user_sgpr_private_segment_buffer 1
		.amdhsa_user_sgpr_dispatch_ptr 0
		.amdhsa_user_sgpr_queue_ptr 0
		.amdhsa_user_sgpr_kernarg_segment_ptr 1
		.amdhsa_user_sgpr_dispatch_id 0
		.amdhsa_user_sgpr_flat_scratch_init 0
		.amdhsa_user_sgpr_kernarg_preload_length 0
		.amdhsa_user_sgpr_kernarg_preload_offset 0
		.amdhsa_user_sgpr_private_segment_size 0
		.amdhsa_uses_dynamic_stack 0
		.amdhsa_system_sgpr_private_segment_wavefront_offset 0
		.amdhsa_system_sgpr_workgroup_id_x 1
		.amdhsa_system_sgpr_workgroup_id_y 0
		.amdhsa_system_sgpr_workgroup_id_z 0
		.amdhsa_system_sgpr_workgroup_info 0
		.amdhsa_system_vgpr_workitem_id 0
		.amdhsa_next_free_vgpr 1
		.amdhsa_next_free_sgpr 0
		.amdhsa_accum_offset 4
		.amdhsa_reserve_vcc 0
		.amdhsa_reserve_flat_scratch 0
		.amdhsa_float_round_mode_32 0
		.amdhsa_float_round_mode_16_64 0
		.amdhsa_float_denorm_mode_32 3
		.amdhsa_float_denorm_mode_16_64 3
		.amdhsa_dx10_clamp 1
		.amdhsa_ieee_mode 1
		.amdhsa_fp16_overflow 0
		.amdhsa_tg_split 0
		.amdhsa_exception_fp_ieee_invalid_op 0
		.amdhsa_exception_fp_denorm_src 0
		.amdhsa_exception_fp_ieee_div_zero 0
		.amdhsa_exception_fp_ieee_overflow 0
		.amdhsa_exception_fp_ieee_underflow 0
		.amdhsa_exception_fp_ieee_inexact 0
		.amdhsa_exception_int_div_zero 0
	.end_amdhsa_kernel
	.section	.text._ZN7rocprim17ROCPRIM_400000_NS6detail17trampoline_kernelINS0_14default_configENS1_37merge_sort_block_sort_config_selectorImNS0_10empty_typeEEEZNS1_21merge_sort_block_sortIS3_N6thrust23THRUST_200600_302600_NS6detail15normal_iteratorINS9_10device_ptrImEEEESE_PS5_SF_14custom_greaterImEEE10hipError_tT0_T1_T2_T3_mRjT4_P12ihipStream_tbNS1_7vsmem_tEEUlT_E_NS1_11comp_targetILNS1_3genE10ELNS1_11target_archE1201ELNS1_3gpuE5ELNS1_3repE0EEENS1_30default_config_static_selectorELNS0_4arch9wavefront6targetE1EEEvSK_,"axG",@progbits,_ZN7rocprim17ROCPRIM_400000_NS6detail17trampoline_kernelINS0_14default_configENS1_37merge_sort_block_sort_config_selectorImNS0_10empty_typeEEEZNS1_21merge_sort_block_sortIS3_N6thrust23THRUST_200600_302600_NS6detail15normal_iteratorINS9_10device_ptrImEEEESE_PS5_SF_14custom_greaterImEEE10hipError_tT0_T1_T2_T3_mRjT4_P12ihipStream_tbNS1_7vsmem_tEEUlT_E_NS1_11comp_targetILNS1_3genE10ELNS1_11target_archE1201ELNS1_3gpuE5ELNS1_3repE0EEENS1_30default_config_static_selectorELNS0_4arch9wavefront6targetE1EEEvSK_,comdat
.Lfunc_end3309:
	.size	_ZN7rocprim17ROCPRIM_400000_NS6detail17trampoline_kernelINS0_14default_configENS1_37merge_sort_block_sort_config_selectorImNS0_10empty_typeEEEZNS1_21merge_sort_block_sortIS3_N6thrust23THRUST_200600_302600_NS6detail15normal_iteratorINS9_10device_ptrImEEEESE_PS5_SF_14custom_greaterImEEE10hipError_tT0_T1_T2_T3_mRjT4_P12ihipStream_tbNS1_7vsmem_tEEUlT_E_NS1_11comp_targetILNS1_3genE10ELNS1_11target_archE1201ELNS1_3gpuE5ELNS1_3repE0EEENS1_30default_config_static_selectorELNS0_4arch9wavefront6targetE1EEEvSK_, .Lfunc_end3309-_ZN7rocprim17ROCPRIM_400000_NS6detail17trampoline_kernelINS0_14default_configENS1_37merge_sort_block_sort_config_selectorImNS0_10empty_typeEEEZNS1_21merge_sort_block_sortIS3_N6thrust23THRUST_200600_302600_NS6detail15normal_iteratorINS9_10device_ptrImEEEESE_PS5_SF_14custom_greaterImEEE10hipError_tT0_T1_T2_T3_mRjT4_P12ihipStream_tbNS1_7vsmem_tEEUlT_E_NS1_11comp_targetILNS1_3genE10ELNS1_11target_archE1201ELNS1_3gpuE5ELNS1_3repE0EEENS1_30default_config_static_selectorELNS0_4arch9wavefront6targetE1EEEvSK_
                                        ; -- End function
	.section	.AMDGPU.csdata,"",@progbits
; Kernel info:
; codeLenInByte = 0
; NumSgprs: 4
; NumVgprs: 0
; NumAgprs: 0
; TotalNumVgprs: 0
; ScratchSize: 0
; MemoryBound: 0
; FloatMode: 240
; IeeeMode: 1
; LDSByteSize: 0 bytes/workgroup (compile time only)
; SGPRBlocks: 0
; VGPRBlocks: 0
; NumSGPRsForWavesPerEU: 4
; NumVGPRsForWavesPerEU: 1
; AccumOffset: 4
; Occupancy: 8
; WaveLimiterHint : 0
; COMPUTE_PGM_RSRC2:SCRATCH_EN: 0
; COMPUTE_PGM_RSRC2:USER_SGPR: 6
; COMPUTE_PGM_RSRC2:TRAP_HANDLER: 0
; COMPUTE_PGM_RSRC2:TGID_X_EN: 1
; COMPUTE_PGM_RSRC2:TGID_Y_EN: 0
; COMPUTE_PGM_RSRC2:TGID_Z_EN: 0
; COMPUTE_PGM_RSRC2:TIDIG_COMP_CNT: 0
; COMPUTE_PGM_RSRC3_GFX90A:ACCUM_OFFSET: 0
; COMPUTE_PGM_RSRC3_GFX90A:TG_SPLIT: 0
	.section	.text._ZN7rocprim17ROCPRIM_400000_NS6detail17trampoline_kernelINS0_14default_configENS1_37merge_sort_block_sort_config_selectorImNS0_10empty_typeEEEZNS1_21merge_sort_block_sortIS3_N6thrust23THRUST_200600_302600_NS6detail15normal_iteratorINS9_10device_ptrImEEEESE_PS5_SF_14custom_greaterImEEE10hipError_tT0_T1_T2_T3_mRjT4_P12ihipStream_tbNS1_7vsmem_tEEUlT_E_NS1_11comp_targetILNS1_3genE10ELNS1_11target_archE1200ELNS1_3gpuE4ELNS1_3repE0EEENS1_30default_config_static_selectorELNS0_4arch9wavefront6targetE1EEEvSK_,"axG",@progbits,_ZN7rocprim17ROCPRIM_400000_NS6detail17trampoline_kernelINS0_14default_configENS1_37merge_sort_block_sort_config_selectorImNS0_10empty_typeEEEZNS1_21merge_sort_block_sortIS3_N6thrust23THRUST_200600_302600_NS6detail15normal_iteratorINS9_10device_ptrImEEEESE_PS5_SF_14custom_greaterImEEE10hipError_tT0_T1_T2_T3_mRjT4_P12ihipStream_tbNS1_7vsmem_tEEUlT_E_NS1_11comp_targetILNS1_3genE10ELNS1_11target_archE1200ELNS1_3gpuE4ELNS1_3repE0EEENS1_30default_config_static_selectorELNS0_4arch9wavefront6targetE1EEEvSK_,comdat
	.protected	_ZN7rocprim17ROCPRIM_400000_NS6detail17trampoline_kernelINS0_14default_configENS1_37merge_sort_block_sort_config_selectorImNS0_10empty_typeEEEZNS1_21merge_sort_block_sortIS3_N6thrust23THRUST_200600_302600_NS6detail15normal_iteratorINS9_10device_ptrImEEEESE_PS5_SF_14custom_greaterImEEE10hipError_tT0_T1_T2_T3_mRjT4_P12ihipStream_tbNS1_7vsmem_tEEUlT_E_NS1_11comp_targetILNS1_3genE10ELNS1_11target_archE1200ELNS1_3gpuE4ELNS1_3repE0EEENS1_30default_config_static_selectorELNS0_4arch9wavefront6targetE1EEEvSK_ ; -- Begin function _ZN7rocprim17ROCPRIM_400000_NS6detail17trampoline_kernelINS0_14default_configENS1_37merge_sort_block_sort_config_selectorImNS0_10empty_typeEEEZNS1_21merge_sort_block_sortIS3_N6thrust23THRUST_200600_302600_NS6detail15normal_iteratorINS9_10device_ptrImEEEESE_PS5_SF_14custom_greaterImEEE10hipError_tT0_T1_T2_T3_mRjT4_P12ihipStream_tbNS1_7vsmem_tEEUlT_E_NS1_11comp_targetILNS1_3genE10ELNS1_11target_archE1200ELNS1_3gpuE4ELNS1_3repE0EEENS1_30default_config_static_selectorELNS0_4arch9wavefront6targetE1EEEvSK_
	.globl	_ZN7rocprim17ROCPRIM_400000_NS6detail17trampoline_kernelINS0_14default_configENS1_37merge_sort_block_sort_config_selectorImNS0_10empty_typeEEEZNS1_21merge_sort_block_sortIS3_N6thrust23THRUST_200600_302600_NS6detail15normal_iteratorINS9_10device_ptrImEEEESE_PS5_SF_14custom_greaterImEEE10hipError_tT0_T1_T2_T3_mRjT4_P12ihipStream_tbNS1_7vsmem_tEEUlT_E_NS1_11comp_targetILNS1_3genE10ELNS1_11target_archE1200ELNS1_3gpuE4ELNS1_3repE0EEENS1_30default_config_static_selectorELNS0_4arch9wavefront6targetE1EEEvSK_
	.p2align	8
	.type	_ZN7rocprim17ROCPRIM_400000_NS6detail17trampoline_kernelINS0_14default_configENS1_37merge_sort_block_sort_config_selectorImNS0_10empty_typeEEEZNS1_21merge_sort_block_sortIS3_N6thrust23THRUST_200600_302600_NS6detail15normal_iteratorINS9_10device_ptrImEEEESE_PS5_SF_14custom_greaterImEEE10hipError_tT0_T1_T2_T3_mRjT4_P12ihipStream_tbNS1_7vsmem_tEEUlT_E_NS1_11comp_targetILNS1_3genE10ELNS1_11target_archE1200ELNS1_3gpuE4ELNS1_3repE0EEENS1_30default_config_static_selectorELNS0_4arch9wavefront6targetE1EEEvSK_,@function
_ZN7rocprim17ROCPRIM_400000_NS6detail17trampoline_kernelINS0_14default_configENS1_37merge_sort_block_sort_config_selectorImNS0_10empty_typeEEEZNS1_21merge_sort_block_sortIS3_N6thrust23THRUST_200600_302600_NS6detail15normal_iteratorINS9_10device_ptrImEEEESE_PS5_SF_14custom_greaterImEEE10hipError_tT0_T1_T2_T3_mRjT4_P12ihipStream_tbNS1_7vsmem_tEEUlT_E_NS1_11comp_targetILNS1_3genE10ELNS1_11target_archE1200ELNS1_3gpuE4ELNS1_3repE0EEENS1_30default_config_static_selectorELNS0_4arch9wavefront6targetE1EEEvSK_: ; @_ZN7rocprim17ROCPRIM_400000_NS6detail17trampoline_kernelINS0_14default_configENS1_37merge_sort_block_sort_config_selectorImNS0_10empty_typeEEEZNS1_21merge_sort_block_sortIS3_N6thrust23THRUST_200600_302600_NS6detail15normal_iteratorINS9_10device_ptrImEEEESE_PS5_SF_14custom_greaterImEEE10hipError_tT0_T1_T2_T3_mRjT4_P12ihipStream_tbNS1_7vsmem_tEEUlT_E_NS1_11comp_targetILNS1_3genE10ELNS1_11target_archE1200ELNS1_3gpuE4ELNS1_3repE0EEENS1_30default_config_static_selectorELNS0_4arch9wavefront6targetE1EEEvSK_
; %bb.0:
	.section	.rodata,"a",@progbits
	.p2align	6, 0x0
	.amdhsa_kernel _ZN7rocprim17ROCPRIM_400000_NS6detail17trampoline_kernelINS0_14default_configENS1_37merge_sort_block_sort_config_selectorImNS0_10empty_typeEEEZNS1_21merge_sort_block_sortIS3_N6thrust23THRUST_200600_302600_NS6detail15normal_iteratorINS9_10device_ptrImEEEESE_PS5_SF_14custom_greaterImEEE10hipError_tT0_T1_T2_T3_mRjT4_P12ihipStream_tbNS1_7vsmem_tEEUlT_E_NS1_11comp_targetILNS1_3genE10ELNS1_11target_archE1200ELNS1_3gpuE4ELNS1_3repE0EEENS1_30default_config_static_selectorELNS0_4arch9wavefront6targetE1EEEvSK_
		.amdhsa_group_segment_fixed_size 0
		.amdhsa_private_segment_fixed_size 0
		.amdhsa_kernarg_size 64
		.amdhsa_user_sgpr_count 6
		.amdhsa_user_sgpr_private_segment_buffer 1
		.amdhsa_user_sgpr_dispatch_ptr 0
		.amdhsa_user_sgpr_queue_ptr 0
		.amdhsa_user_sgpr_kernarg_segment_ptr 1
		.amdhsa_user_sgpr_dispatch_id 0
		.amdhsa_user_sgpr_flat_scratch_init 0
		.amdhsa_user_sgpr_kernarg_preload_length 0
		.amdhsa_user_sgpr_kernarg_preload_offset 0
		.amdhsa_user_sgpr_private_segment_size 0
		.amdhsa_uses_dynamic_stack 0
		.amdhsa_system_sgpr_private_segment_wavefront_offset 0
		.amdhsa_system_sgpr_workgroup_id_x 1
		.amdhsa_system_sgpr_workgroup_id_y 0
		.amdhsa_system_sgpr_workgroup_id_z 0
		.amdhsa_system_sgpr_workgroup_info 0
		.amdhsa_system_vgpr_workitem_id 0
		.amdhsa_next_free_vgpr 1
		.amdhsa_next_free_sgpr 0
		.amdhsa_accum_offset 4
		.amdhsa_reserve_vcc 0
		.amdhsa_reserve_flat_scratch 0
		.amdhsa_float_round_mode_32 0
		.amdhsa_float_round_mode_16_64 0
		.amdhsa_float_denorm_mode_32 3
		.amdhsa_float_denorm_mode_16_64 3
		.amdhsa_dx10_clamp 1
		.amdhsa_ieee_mode 1
		.amdhsa_fp16_overflow 0
		.amdhsa_tg_split 0
		.amdhsa_exception_fp_ieee_invalid_op 0
		.amdhsa_exception_fp_denorm_src 0
		.amdhsa_exception_fp_ieee_div_zero 0
		.amdhsa_exception_fp_ieee_overflow 0
		.amdhsa_exception_fp_ieee_underflow 0
		.amdhsa_exception_fp_ieee_inexact 0
		.amdhsa_exception_int_div_zero 0
	.end_amdhsa_kernel
	.section	.text._ZN7rocprim17ROCPRIM_400000_NS6detail17trampoline_kernelINS0_14default_configENS1_37merge_sort_block_sort_config_selectorImNS0_10empty_typeEEEZNS1_21merge_sort_block_sortIS3_N6thrust23THRUST_200600_302600_NS6detail15normal_iteratorINS9_10device_ptrImEEEESE_PS5_SF_14custom_greaterImEEE10hipError_tT0_T1_T2_T3_mRjT4_P12ihipStream_tbNS1_7vsmem_tEEUlT_E_NS1_11comp_targetILNS1_3genE10ELNS1_11target_archE1200ELNS1_3gpuE4ELNS1_3repE0EEENS1_30default_config_static_selectorELNS0_4arch9wavefront6targetE1EEEvSK_,"axG",@progbits,_ZN7rocprim17ROCPRIM_400000_NS6detail17trampoline_kernelINS0_14default_configENS1_37merge_sort_block_sort_config_selectorImNS0_10empty_typeEEEZNS1_21merge_sort_block_sortIS3_N6thrust23THRUST_200600_302600_NS6detail15normal_iteratorINS9_10device_ptrImEEEESE_PS5_SF_14custom_greaterImEEE10hipError_tT0_T1_T2_T3_mRjT4_P12ihipStream_tbNS1_7vsmem_tEEUlT_E_NS1_11comp_targetILNS1_3genE10ELNS1_11target_archE1200ELNS1_3gpuE4ELNS1_3repE0EEENS1_30default_config_static_selectorELNS0_4arch9wavefront6targetE1EEEvSK_,comdat
.Lfunc_end3310:
	.size	_ZN7rocprim17ROCPRIM_400000_NS6detail17trampoline_kernelINS0_14default_configENS1_37merge_sort_block_sort_config_selectorImNS0_10empty_typeEEEZNS1_21merge_sort_block_sortIS3_N6thrust23THRUST_200600_302600_NS6detail15normal_iteratorINS9_10device_ptrImEEEESE_PS5_SF_14custom_greaterImEEE10hipError_tT0_T1_T2_T3_mRjT4_P12ihipStream_tbNS1_7vsmem_tEEUlT_E_NS1_11comp_targetILNS1_3genE10ELNS1_11target_archE1200ELNS1_3gpuE4ELNS1_3repE0EEENS1_30default_config_static_selectorELNS0_4arch9wavefront6targetE1EEEvSK_, .Lfunc_end3310-_ZN7rocprim17ROCPRIM_400000_NS6detail17trampoline_kernelINS0_14default_configENS1_37merge_sort_block_sort_config_selectorImNS0_10empty_typeEEEZNS1_21merge_sort_block_sortIS3_N6thrust23THRUST_200600_302600_NS6detail15normal_iteratorINS9_10device_ptrImEEEESE_PS5_SF_14custom_greaterImEEE10hipError_tT0_T1_T2_T3_mRjT4_P12ihipStream_tbNS1_7vsmem_tEEUlT_E_NS1_11comp_targetILNS1_3genE10ELNS1_11target_archE1200ELNS1_3gpuE4ELNS1_3repE0EEENS1_30default_config_static_selectorELNS0_4arch9wavefront6targetE1EEEvSK_
                                        ; -- End function
	.section	.AMDGPU.csdata,"",@progbits
; Kernel info:
; codeLenInByte = 0
; NumSgprs: 4
; NumVgprs: 0
; NumAgprs: 0
; TotalNumVgprs: 0
; ScratchSize: 0
; MemoryBound: 0
; FloatMode: 240
; IeeeMode: 1
; LDSByteSize: 0 bytes/workgroup (compile time only)
; SGPRBlocks: 0
; VGPRBlocks: 0
; NumSGPRsForWavesPerEU: 4
; NumVGPRsForWavesPerEU: 1
; AccumOffset: 4
; Occupancy: 8
; WaveLimiterHint : 0
; COMPUTE_PGM_RSRC2:SCRATCH_EN: 0
; COMPUTE_PGM_RSRC2:USER_SGPR: 6
; COMPUTE_PGM_RSRC2:TRAP_HANDLER: 0
; COMPUTE_PGM_RSRC2:TGID_X_EN: 1
; COMPUTE_PGM_RSRC2:TGID_Y_EN: 0
; COMPUTE_PGM_RSRC2:TGID_Z_EN: 0
; COMPUTE_PGM_RSRC2:TIDIG_COMP_CNT: 0
; COMPUTE_PGM_RSRC3_GFX90A:ACCUM_OFFSET: 0
; COMPUTE_PGM_RSRC3_GFX90A:TG_SPLIT: 0
	.section	.text._ZN7rocprim17ROCPRIM_400000_NS6detail17trampoline_kernelINS0_14default_configENS1_37merge_sort_block_sort_config_selectorImNS0_10empty_typeEEEZNS1_21merge_sort_block_sortIS3_N6thrust23THRUST_200600_302600_NS6detail15normal_iteratorINS9_10device_ptrImEEEESE_PS5_SF_14custom_greaterImEEE10hipError_tT0_T1_T2_T3_mRjT4_P12ihipStream_tbNS1_7vsmem_tEEUlT_E_NS1_11comp_targetILNS1_3genE9ELNS1_11target_archE1100ELNS1_3gpuE3ELNS1_3repE0EEENS1_30default_config_static_selectorELNS0_4arch9wavefront6targetE1EEEvSK_,"axG",@progbits,_ZN7rocprim17ROCPRIM_400000_NS6detail17trampoline_kernelINS0_14default_configENS1_37merge_sort_block_sort_config_selectorImNS0_10empty_typeEEEZNS1_21merge_sort_block_sortIS3_N6thrust23THRUST_200600_302600_NS6detail15normal_iteratorINS9_10device_ptrImEEEESE_PS5_SF_14custom_greaterImEEE10hipError_tT0_T1_T2_T3_mRjT4_P12ihipStream_tbNS1_7vsmem_tEEUlT_E_NS1_11comp_targetILNS1_3genE9ELNS1_11target_archE1100ELNS1_3gpuE3ELNS1_3repE0EEENS1_30default_config_static_selectorELNS0_4arch9wavefront6targetE1EEEvSK_,comdat
	.protected	_ZN7rocprim17ROCPRIM_400000_NS6detail17trampoline_kernelINS0_14default_configENS1_37merge_sort_block_sort_config_selectorImNS0_10empty_typeEEEZNS1_21merge_sort_block_sortIS3_N6thrust23THRUST_200600_302600_NS6detail15normal_iteratorINS9_10device_ptrImEEEESE_PS5_SF_14custom_greaterImEEE10hipError_tT0_T1_T2_T3_mRjT4_P12ihipStream_tbNS1_7vsmem_tEEUlT_E_NS1_11comp_targetILNS1_3genE9ELNS1_11target_archE1100ELNS1_3gpuE3ELNS1_3repE0EEENS1_30default_config_static_selectorELNS0_4arch9wavefront6targetE1EEEvSK_ ; -- Begin function _ZN7rocprim17ROCPRIM_400000_NS6detail17trampoline_kernelINS0_14default_configENS1_37merge_sort_block_sort_config_selectorImNS0_10empty_typeEEEZNS1_21merge_sort_block_sortIS3_N6thrust23THRUST_200600_302600_NS6detail15normal_iteratorINS9_10device_ptrImEEEESE_PS5_SF_14custom_greaterImEEE10hipError_tT0_T1_T2_T3_mRjT4_P12ihipStream_tbNS1_7vsmem_tEEUlT_E_NS1_11comp_targetILNS1_3genE9ELNS1_11target_archE1100ELNS1_3gpuE3ELNS1_3repE0EEENS1_30default_config_static_selectorELNS0_4arch9wavefront6targetE1EEEvSK_
	.globl	_ZN7rocprim17ROCPRIM_400000_NS6detail17trampoline_kernelINS0_14default_configENS1_37merge_sort_block_sort_config_selectorImNS0_10empty_typeEEEZNS1_21merge_sort_block_sortIS3_N6thrust23THRUST_200600_302600_NS6detail15normal_iteratorINS9_10device_ptrImEEEESE_PS5_SF_14custom_greaterImEEE10hipError_tT0_T1_T2_T3_mRjT4_P12ihipStream_tbNS1_7vsmem_tEEUlT_E_NS1_11comp_targetILNS1_3genE9ELNS1_11target_archE1100ELNS1_3gpuE3ELNS1_3repE0EEENS1_30default_config_static_selectorELNS0_4arch9wavefront6targetE1EEEvSK_
	.p2align	8
	.type	_ZN7rocprim17ROCPRIM_400000_NS6detail17trampoline_kernelINS0_14default_configENS1_37merge_sort_block_sort_config_selectorImNS0_10empty_typeEEEZNS1_21merge_sort_block_sortIS3_N6thrust23THRUST_200600_302600_NS6detail15normal_iteratorINS9_10device_ptrImEEEESE_PS5_SF_14custom_greaterImEEE10hipError_tT0_T1_T2_T3_mRjT4_P12ihipStream_tbNS1_7vsmem_tEEUlT_E_NS1_11comp_targetILNS1_3genE9ELNS1_11target_archE1100ELNS1_3gpuE3ELNS1_3repE0EEENS1_30default_config_static_selectorELNS0_4arch9wavefront6targetE1EEEvSK_,@function
_ZN7rocprim17ROCPRIM_400000_NS6detail17trampoline_kernelINS0_14default_configENS1_37merge_sort_block_sort_config_selectorImNS0_10empty_typeEEEZNS1_21merge_sort_block_sortIS3_N6thrust23THRUST_200600_302600_NS6detail15normal_iteratorINS9_10device_ptrImEEEESE_PS5_SF_14custom_greaterImEEE10hipError_tT0_T1_T2_T3_mRjT4_P12ihipStream_tbNS1_7vsmem_tEEUlT_E_NS1_11comp_targetILNS1_3genE9ELNS1_11target_archE1100ELNS1_3gpuE3ELNS1_3repE0EEENS1_30default_config_static_selectorELNS0_4arch9wavefront6targetE1EEEvSK_: ; @_ZN7rocprim17ROCPRIM_400000_NS6detail17trampoline_kernelINS0_14default_configENS1_37merge_sort_block_sort_config_selectorImNS0_10empty_typeEEEZNS1_21merge_sort_block_sortIS3_N6thrust23THRUST_200600_302600_NS6detail15normal_iteratorINS9_10device_ptrImEEEESE_PS5_SF_14custom_greaterImEEE10hipError_tT0_T1_T2_T3_mRjT4_P12ihipStream_tbNS1_7vsmem_tEEUlT_E_NS1_11comp_targetILNS1_3genE9ELNS1_11target_archE1100ELNS1_3gpuE3ELNS1_3repE0EEENS1_30default_config_static_selectorELNS0_4arch9wavefront6targetE1EEEvSK_
; %bb.0:
	.section	.rodata,"a",@progbits
	.p2align	6, 0x0
	.amdhsa_kernel _ZN7rocprim17ROCPRIM_400000_NS6detail17trampoline_kernelINS0_14default_configENS1_37merge_sort_block_sort_config_selectorImNS0_10empty_typeEEEZNS1_21merge_sort_block_sortIS3_N6thrust23THRUST_200600_302600_NS6detail15normal_iteratorINS9_10device_ptrImEEEESE_PS5_SF_14custom_greaterImEEE10hipError_tT0_T1_T2_T3_mRjT4_P12ihipStream_tbNS1_7vsmem_tEEUlT_E_NS1_11comp_targetILNS1_3genE9ELNS1_11target_archE1100ELNS1_3gpuE3ELNS1_3repE0EEENS1_30default_config_static_selectorELNS0_4arch9wavefront6targetE1EEEvSK_
		.amdhsa_group_segment_fixed_size 0
		.amdhsa_private_segment_fixed_size 0
		.amdhsa_kernarg_size 64
		.amdhsa_user_sgpr_count 6
		.amdhsa_user_sgpr_private_segment_buffer 1
		.amdhsa_user_sgpr_dispatch_ptr 0
		.amdhsa_user_sgpr_queue_ptr 0
		.amdhsa_user_sgpr_kernarg_segment_ptr 1
		.amdhsa_user_sgpr_dispatch_id 0
		.amdhsa_user_sgpr_flat_scratch_init 0
		.amdhsa_user_sgpr_kernarg_preload_length 0
		.amdhsa_user_sgpr_kernarg_preload_offset 0
		.amdhsa_user_sgpr_private_segment_size 0
		.amdhsa_uses_dynamic_stack 0
		.amdhsa_system_sgpr_private_segment_wavefront_offset 0
		.amdhsa_system_sgpr_workgroup_id_x 1
		.amdhsa_system_sgpr_workgroup_id_y 0
		.amdhsa_system_sgpr_workgroup_id_z 0
		.amdhsa_system_sgpr_workgroup_info 0
		.amdhsa_system_vgpr_workitem_id 0
		.amdhsa_next_free_vgpr 1
		.amdhsa_next_free_sgpr 0
		.amdhsa_accum_offset 4
		.amdhsa_reserve_vcc 0
		.amdhsa_reserve_flat_scratch 0
		.amdhsa_float_round_mode_32 0
		.amdhsa_float_round_mode_16_64 0
		.amdhsa_float_denorm_mode_32 3
		.amdhsa_float_denorm_mode_16_64 3
		.amdhsa_dx10_clamp 1
		.amdhsa_ieee_mode 1
		.amdhsa_fp16_overflow 0
		.amdhsa_tg_split 0
		.amdhsa_exception_fp_ieee_invalid_op 0
		.amdhsa_exception_fp_denorm_src 0
		.amdhsa_exception_fp_ieee_div_zero 0
		.amdhsa_exception_fp_ieee_overflow 0
		.amdhsa_exception_fp_ieee_underflow 0
		.amdhsa_exception_fp_ieee_inexact 0
		.amdhsa_exception_int_div_zero 0
	.end_amdhsa_kernel
	.section	.text._ZN7rocprim17ROCPRIM_400000_NS6detail17trampoline_kernelINS0_14default_configENS1_37merge_sort_block_sort_config_selectorImNS0_10empty_typeEEEZNS1_21merge_sort_block_sortIS3_N6thrust23THRUST_200600_302600_NS6detail15normal_iteratorINS9_10device_ptrImEEEESE_PS5_SF_14custom_greaterImEEE10hipError_tT0_T1_T2_T3_mRjT4_P12ihipStream_tbNS1_7vsmem_tEEUlT_E_NS1_11comp_targetILNS1_3genE9ELNS1_11target_archE1100ELNS1_3gpuE3ELNS1_3repE0EEENS1_30default_config_static_selectorELNS0_4arch9wavefront6targetE1EEEvSK_,"axG",@progbits,_ZN7rocprim17ROCPRIM_400000_NS6detail17trampoline_kernelINS0_14default_configENS1_37merge_sort_block_sort_config_selectorImNS0_10empty_typeEEEZNS1_21merge_sort_block_sortIS3_N6thrust23THRUST_200600_302600_NS6detail15normal_iteratorINS9_10device_ptrImEEEESE_PS5_SF_14custom_greaterImEEE10hipError_tT0_T1_T2_T3_mRjT4_P12ihipStream_tbNS1_7vsmem_tEEUlT_E_NS1_11comp_targetILNS1_3genE9ELNS1_11target_archE1100ELNS1_3gpuE3ELNS1_3repE0EEENS1_30default_config_static_selectorELNS0_4arch9wavefront6targetE1EEEvSK_,comdat
.Lfunc_end3311:
	.size	_ZN7rocprim17ROCPRIM_400000_NS6detail17trampoline_kernelINS0_14default_configENS1_37merge_sort_block_sort_config_selectorImNS0_10empty_typeEEEZNS1_21merge_sort_block_sortIS3_N6thrust23THRUST_200600_302600_NS6detail15normal_iteratorINS9_10device_ptrImEEEESE_PS5_SF_14custom_greaterImEEE10hipError_tT0_T1_T2_T3_mRjT4_P12ihipStream_tbNS1_7vsmem_tEEUlT_E_NS1_11comp_targetILNS1_3genE9ELNS1_11target_archE1100ELNS1_3gpuE3ELNS1_3repE0EEENS1_30default_config_static_selectorELNS0_4arch9wavefront6targetE1EEEvSK_, .Lfunc_end3311-_ZN7rocprim17ROCPRIM_400000_NS6detail17trampoline_kernelINS0_14default_configENS1_37merge_sort_block_sort_config_selectorImNS0_10empty_typeEEEZNS1_21merge_sort_block_sortIS3_N6thrust23THRUST_200600_302600_NS6detail15normal_iteratorINS9_10device_ptrImEEEESE_PS5_SF_14custom_greaterImEEE10hipError_tT0_T1_T2_T3_mRjT4_P12ihipStream_tbNS1_7vsmem_tEEUlT_E_NS1_11comp_targetILNS1_3genE9ELNS1_11target_archE1100ELNS1_3gpuE3ELNS1_3repE0EEENS1_30default_config_static_selectorELNS0_4arch9wavefront6targetE1EEEvSK_
                                        ; -- End function
	.section	.AMDGPU.csdata,"",@progbits
; Kernel info:
; codeLenInByte = 0
; NumSgprs: 4
; NumVgprs: 0
; NumAgprs: 0
; TotalNumVgprs: 0
; ScratchSize: 0
; MemoryBound: 0
; FloatMode: 240
; IeeeMode: 1
; LDSByteSize: 0 bytes/workgroup (compile time only)
; SGPRBlocks: 0
; VGPRBlocks: 0
; NumSGPRsForWavesPerEU: 4
; NumVGPRsForWavesPerEU: 1
; AccumOffset: 4
; Occupancy: 8
; WaveLimiterHint : 0
; COMPUTE_PGM_RSRC2:SCRATCH_EN: 0
; COMPUTE_PGM_RSRC2:USER_SGPR: 6
; COMPUTE_PGM_RSRC2:TRAP_HANDLER: 0
; COMPUTE_PGM_RSRC2:TGID_X_EN: 1
; COMPUTE_PGM_RSRC2:TGID_Y_EN: 0
; COMPUTE_PGM_RSRC2:TGID_Z_EN: 0
; COMPUTE_PGM_RSRC2:TIDIG_COMP_CNT: 0
; COMPUTE_PGM_RSRC3_GFX90A:ACCUM_OFFSET: 0
; COMPUTE_PGM_RSRC3_GFX90A:TG_SPLIT: 0
	.section	.text._ZN7rocprim17ROCPRIM_400000_NS6detail17trampoline_kernelINS0_14default_configENS1_37merge_sort_block_sort_config_selectorImNS0_10empty_typeEEEZNS1_21merge_sort_block_sortIS3_N6thrust23THRUST_200600_302600_NS6detail15normal_iteratorINS9_10device_ptrImEEEESE_PS5_SF_14custom_greaterImEEE10hipError_tT0_T1_T2_T3_mRjT4_P12ihipStream_tbNS1_7vsmem_tEEUlT_E_NS1_11comp_targetILNS1_3genE8ELNS1_11target_archE1030ELNS1_3gpuE2ELNS1_3repE0EEENS1_30default_config_static_selectorELNS0_4arch9wavefront6targetE1EEEvSK_,"axG",@progbits,_ZN7rocprim17ROCPRIM_400000_NS6detail17trampoline_kernelINS0_14default_configENS1_37merge_sort_block_sort_config_selectorImNS0_10empty_typeEEEZNS1_21merge_sort_block_sortIS3_N6thrust23THRUST_200600_302600_NS6detail15normal_iteratorINS9_10device_ptrImEEEESE_PS5_SF_14custom_greaterImEEE10hipError_tT0_T1_T2_T3_mRjT4_P12ihipStream_tbNS1_7vsmem_tEEUlT_E_NS1_11comp_targetILNS1_3genE8ELNS1_11target_archE1030ELNS1_3gpuE2ELNS1_3repE0EEENS1_30default_config_static_selectorELNS0_4arch9wavefront6targetE1EEEvSK_,comdat
	.protected	_ZN7rocprim17ROCPRIM_400000_NS6detail17trampoline_kernelINS0_14default_configENS1_37merge_sort_block_sort_config_selectorImNS0_10empty_typeEEEZNS1_21merge_sort_block_sortIS3_N6thrust23THRUST_200600_302600_NS6detail15normal_iteratorINS9_10device_ptrImEEEESE_PS5_SF_14custom_greaterImEEE10hipError_tT0_T1_T2_T3_mRjT4_P12ihipStream_tbNS1_7vsmem_tEEUlT_E_NS1_11comp_targetILNS1_3genE8ELNS1_11target_archE1030ELNS1_3gpuE2ELNS1_3repE0EEENS1_30default_config_static_selectorELNS0_4arch9wavefront6targetE1EEEvSK_ ; -- Begin function _ZN7rocprim17ROCPRIM_400000_NS6detail17trampoline_kernelINS0_14default_configENS1_37merge_sort_block_sort_config_selectorImNS0_10empty_typeEEEZNS1_21merge_sort_block_sortIS3_N6thrust23THRUST_200600_302600_NS6detail15normal_iteratorINS9_10device_ptrImEEEESE_PS5_SF_14custom_greaterImEEE10hipError_tT0_T1_T2_T3_mRjT4_P12ihipStream_tbNS1_7vsmem_tEEUlT_E_NS1_11comp_targetILNS1_3genE8ELNS1_11target_archE1030ELNS1_3gpuE2ELNS1_3repE0EEENS1_30default_config_static_selectorELNS0_4arch9wavefront6targetE1EEEvSK_
	.globl	_ZN7rocprim17ROCPRIM_400000_NS6detail17trampoline_kernelINS0_14default_configENS1_37merge_sort_block_sort_config_selectorImNS0_10empty_typeEEEZNS1_21merge_sort_block_sortIS3_N6thrust23THRUST_200600_302600_NS6detail15normal_iteratorINS9_10device_ptrImEEEESE_PS5_SF_14custom_greaterImEEE10hipError_tT0_T1_T2_T3_mRjT4_P12ihipStream_tbNS1_7vsmem_tEEUlT_E_NS1_11comp_targetILNS1_3genE8ELNS1_11target_archE1030ELNS1_3gpuE2ELNS1_3repE0EEENS1_30default_config_static_selectorELNS0_4arch9wavefront6targetE1EEEvSK_
	.p2align	8
	.type	_ZN7rocprim17ROCPRIM_400000_NS6detail17trampoline_kernelINS0_14default_configENS1_37merge_sort_block_sort_config_selectorImNS0_10empty_typeEEEZNS1_21merge_sort_block_sortIS3_N6thrust23THRUST_200600_302600_NS6detail15normal_iteratorINS9_10device_ptrImEEEESE_PS5_SF_14custom_greaterImEEE10hipError_tT0_T1_T2_T3_mRjT4_P12ihipStream_tbNS1_7vsmem_tEEUlT_E_NS1_11comp_targetILNS1_3genE8ELNS1_11target_archE1030ELNS1_3gpuE2ELNS1_3repE0EEENS1_30default_config_static_selectorELNS0_4arch9wavefront6targetE1EEEvSK_,@function
_ZN7rocprim17ROCPRIM_400000_NS6detail17trampoline_kernelINS0_14default_configENS1_37merge_sort_block_sort_config_selectorImNS0_10empty_typeEEEZNS1_21merge_sort_block_sortIS3_N6thrust23THRUST_200600_302600_NS6detail15normal_iteratorINS9_10device_ptrImEEEESE_PS5_SF_14custom_greaterImEEE10hipError_tT0_T1_T2_T3_mRjT4_P12ihipStream_tbNS1_7vsmem_tEEUlT_E_NS1_11comp_targetILNS1_3genE8ELNS1_11target_archE1030ELNS1_3gpuE2ELNS1_3repE0EEENS1_30default_config_static_selectorELNS0_4arch9wavefront6targetE1EEEvSK_: ; @_ZN7rocprim17ROCPRIM_400000_NS6detail17trampoline_kernelINS0_14default_configENS1_37merge_sort_block_sort_config_selectorImNS0_10empty_typeEEEZNS1_21merge_sort_block_sortIS3_N6thrust23THRUST_200600_302600_NS6detail15normal_iteratorINS9_10device_ptrImEEEESE_PS5_SF_14custom_greaterImEEE10hipError_tT0_T1_T2_T3_mRjT4_P12ihipStream_tbNS1_7vsmem_tEEUlT_E_NS1_11comp_targetILNS1_3genE8ELNS1_11target_archE1030ELNS1_3gpuE2ELNS1_3repE0EEENS1_30default_config_static_selectorELNS0_4arch9wavefront6targetE1EEEvSK_
; %bb.0:
	.section	.rodata,"a",@progbits
	.p2align	6, 0x0
	.amdhsa_kernel _ZN7rocprim17ROCPRIM_400000_NS6detail17trampoline_kernelINS0_14default_configENS1_37merge_sort_block_sort_config_selectorImNS0_10empty_typeEEEZNS1_21merge_sort_block_sortIS3_N6thrust23THRUST_200600_302600_NS6detail15normal_iteratorINS9_10device_ptrImEEEESE_PS5_SF_14custom_greaterImEEE10hipError_tT0_T1_T2_T3_mRjT4_P12ihipStream_tbNS1_7vsmem_tEEUlT_E_NS1_11comp_targetILNS1_3genE8ELNS1_11target_archE1030ELNS1_3gpuE2ELNS1_3repE0EEENS1_30default_config_static_selectorELNS0_4arch9wavefront6targetE1EEEvSK_
		.amdhsa_group_segment_fixed_size 0
		.amdhsa_private_segment_fixed_size 0
		.amdhsa_kernarg_size 64
		.amdhsa_user_sgpr_count 6
		.amdhsa_user_sgpr_private_segment_buffer 1
		.amdhsa_user_sgpr_dispatch_ptr 0
		.amdhsa_user_sgpr_queue_ptr 0
		.amdhsa_user_sgpr_kernarg_segment_ptr 1
		.amdhsa_user_sgpr_dispatch_id 0
		.amdhsa_user_sgpr_flat_scratch_init 0
		.amdhsa_user_sgpr_kernarg_preload_length 0
		.amdhsa_user_sgpr_kernarg_preload_offset 0
		.amdhsa_user_sgpr_private_segment_size 0
		.amdhsa_uses_dynamic_stack 0
		.amdhsa_system_sgpr_private_segment_wavefront_offset 0
		.amdhsa_system_sgpr_workgroup_id_x 1
		.amdhsa_system_sgpr_workgroup_id_y 0
		.amdhsa_system_sgpr_workgroup_id_z 0
		.amdhsa_system_sgpr_workgroup_info 0
		.amdhsa_system_vgpr_workitem_id 0
		.amdhsa_next_free_vgpr 1
		.amdhsa_next_free_sgpr 0
		.amdhsa_accum_offset 4
		.amdhsa_reserve_vcc 0
		.amdhsa_reserve_flat_scratch 0
		.amdhsa_float_round_mode_32 0
		.amdhsa_float_round_mode_16_64 0
		.amdhsa_float_denorm_mode_32 3
		.amdhsa_float_denorm_mode_16_64 3
		.amdhsa_dx10_clamp 1
		.amdhsa_ieee_mode 1
		.amdhsa_fp16_overflow 0
		.amdhsa_tg_split 0
		.amdhsa_exception_fp_ieee_invalid_op 0
		.amdhsa_exception_fp_denorm_src 0
		.amdhsa_exception_fp_ieee_div_zero 0
		.amdhsa_exception_fp_ieee_overflow 0
		.amdhsa_exception_fp_ieee_underflow 0
		.amdhsa_exception_fp_ieee_inexact 0
		.amdhsa_exception_int_div_zero 0
	.end_amdhsa_kernel
	.section	.text._ZN7rocprim17ROCPRIM_400000_NS6detail17trampoline_kernelINS0_14default_configENS1_37merge_sort_block_sort_config_selectorImNS0_10empty_typeEEEZNS1_21merge_sort_block_sortIS3_N6thrust23THRUST_200600_302600_NS6detail15normal_iteratorINS9_10device_ptrImEEEESE_PS5_SF_14custom_greaterImEEE10hipError_tT0_T1_T2_T3_mRjT4_P12ihipStream_tbNS1_7vsmem_tEEUlT_E_NS1_11comp_targetILNS1_3genE8ELNS1_11target_archE1030ELNS1_3gpuE2ELNS1_3repE0EEENS1_30default_config_static_selectorELNS0_4arch9wavefront6targetE1EEEvSK_,"axG",@progbits,_ZN7rocprim17ROCPRIM_400000_NS6detail17trampoline_kernelINS0_14default_configENS1_37merge_sort_block_sort_config_selectorImNS0_10empty_typeEEEZNS1_21merge_sort_block_sortIS3_N6thrust23THRUST_200600_302600_NS6detail15normal_iteratorINS9_10device_ptrImEEEESE_PS5_SF_14custom_greaterImEEE10hipError_tT0_T1_T2_T3_mRjT4_P12ihipStream_tbNS1_7vsmem_tEEUlT_E_NS1_11comp_targetILNS1_3genE8ELNS1_11target_archE1030ELNS1_3gpuE2ELNS1_3repE0EEENS1_30default_config_static_selectorELNS0_4arch9wavefront6targetE1EEEvSK_,comdat
.Lfunc_end3312:
	.size	_ZN7rocprim17ROCPRIM_400000_NS6detail17trampoline_kernelINS0_14default_configENS1_37merge_sort_block_sort_config_selectorImNS0_10empty_typeEEEZNS1_21merge_sort_block_sortIS3_N6thrust23THRUST_200600_302600_NS6detail15normal_iteratorINS9_10device_ptrImEEEESE_PS5_SF_14custom_greaterImEEE10hipError_tT0_T1_T2_T3_mRjT4_P12ihipStream_tbNS1_7vsmem_tEEUlT_E_NS1_11comp_targetILNS1_3genE8ELNS1_11target_archE1030ELNS1_3gpuE2ELNS1_3repE0EEENS1_30default_config_static_selectorELNS0_4arch9wavefront6targetE1EEEvSK_, .Lfunc_end3312-_ZN7rocprim17ROCPRIM_400000_NS6detail17trampoline_kernelINS0_14default_configENS1_37merge_sort_block_sort_config_selectorImNS0_10empty_typeEEEZNS1_21merge_sort_block_sortIS3_N6thrust23THRUST_200600_302600_NS6detail15normal_iteratorINS9_10device_ptrImEEEESE_PS5_SF_14custom_greaterImEEE10hipError_tT0_T1_T2_T3_mRjT4_P12ihipStream_tbNS1_7vsmem_tEEUlT_E_NS1_11comp_targetILNS1_3genE8ELNS1_11target_archE1030ELNS1_3gpuE2ELNS1_3repE0EEENS1_30default_config_static_selectorELNS0_4arch9wavefront6targetE1EEEvSK_
                                        ; -- End function
	.section	.AMDGPU.csdata,"",@progbits
; Kernel info:
; codeLenInByte = 0
; NumSgprs: 4
; NumVgprs: 0
; NumAgprs: 0
; TotalNumVgprs: 0
; ScratchSize: 0
; MemoryBound: 0
; FloatMode: 240
; IeeeMode: 1
; LDSByteSize: 0 bytes/workgroup (compile time only)
; SGPRBlocks: 0
; VGPRBlocks: 0
; NumSGPRsForWavesPerEU: 4
; NumVGPRsForWavesPerEU: 1
; AccumOffset: 4
; Occupancy: 8
; WaveLimiterHint : 0
; COMPUTE_PGM_RSRC2:SCRATCH_EN: 0
; COMPUTE_PGM_RSRC2:USER_SGPR: 6
; COMPUTE_PGM_RSRC2:TRAP_HANDLER: 0
; COMPUTE_PGM_RSRC2:TGID_X_EN: 1
; COMPUTE_PGM_RSRC2:TGID_Y_EN: 0
; COMPUTE_PGM_RSRC2:TGID_Z_EN: 0
; COMPUTE_PGM_RSRC2:TIDIG_COMP_CNT: 0
; COMPUTE_PGM_RSRC3_GFX90A:ACCUM_OFFSET: 0
; COMPUTE_PGM_RSRC3_GFX90A:TG_SPLIT: 0
	.section	.text._ZN7rocprim17ROCPRIM_400000_NS6detail17trampoline_kernelINS0_14default_configENS1_38merge_sort_block_merge_config_selectorImNS0_10empty_typeEEEZZNS1_27merge_sort_block_merge_implIS3_N6thrust23THRUST_200600_302600_NS6detail15normal_iteratorINS9_10device_ptrImEEEEPS5_m14custom_greaterImEEE10hipError_tT0_T1_T2_jT3_P12ihipStream_tbPNSt15iterator_traitsISJ_E10value_typeEPNSP_ISK_E10value_typeEPSL_NS1_7vsmem_tEENKUlT_SJ_SK_SL_E_clIPmSE_SF_SF_EESI_SY_SJ_SK_SL_EUlSY_E_NS1_11comp_targetILNS1_3genE0ELNS1_11target_archE4294967295ELNS1_3gpuE0ELNS1_3repE0EEENS1_48merge_mergepath_partition_config_static_selectorELNS0_4arch9wavefront6targetE1EEEvSK_,"axG",@progbits,_ZN7rocprim17ROCPRIM_400000_NS6detail17trampoline_kernelINS0_14default_configENS1_38merge_sort_block_merge_config_selectorImNS0_10empty_typeEEEZZNS1_27merge_sort_block_merge_implIS3_N6thrust23THRUST_200600_302600_NS6detail15normal_iteratorINS9_10device_ptrImEEEEPS5_m14custom_greaterImEEE10hipError_tT0_T1_T2_jT3_P12ihipStream_tbPNSt15iterator_traitsISJ_E10value_typeEPNSP_ISK_E10value_typeEPSL_NS1_7vsmem_tEENKUlT_SJ_SK_SL_E_clIPmSE_SF_SF_EESI_SY_SJ_SK_SL_EUlSY_E_NS1_11comp_targetILNS1_3genE0ELNS1_11target_archE4294967295ELNS1_3gpuE0ELNS1_3repE0EEENS1_48merge_mergepath_partition_config_static_selectorELNS0_4arch9wavefront6targetE1EEEvSK_,comdat
	.protected	_ZN7rocprim17ROCPRIM_400000_NS6detail17trampoline_kernelINS0_14default_configENS1_38merge_sort_block_merge_config_selectorImNS0_10empty_typeEEEZZNS1_27merge_sort_block_merge_implIS3_N6thrust23THRUST_200600_302600_NS6detail15normal_iteratorINS9_10device_ptrImEEEEPS5_m14custom_greaterImEEE10hipError_tT0_T1_T2_jT3_P12ihipStream_tbPNSt15iterator_traitsISJ_E10value_typeEPNSP_ISK_E10value_typeEPSL_NS1_7vsmem_tEENKUlT_SJ_SK_SL_E_clIPmSE_SF_SF_EESI_SY_SJ_SK_SL_EUlSY_E_NS1_11comp_targetILNS1_3genE0ELNS1_11target_archE4294967295ELNS1_3gpuE0ELNS1_3repE0EEENS1_48merge_mergepath_partition_config_static_selectorELNS0_4arch9wavefront6targetE1EEEvSK_ ; -- Begin function _ZN7rocprim17ROCPRIM_400000_NS6detail17trampoline_kernelINS0_14default_configENS1_38merge_sort_block_merge_config_selectorImNS0_10empty_typeEEEZZNS1_27merge_sort_block_merge_implIS3_N6thrust23THRUST_200600_302600_NS6detail15normal_iteratorINS9_10device_ptrImEEEEPS5_m14custom_greaterImEEE10hipError_tT0_T1_T2_jT3_P12ihipStream_tbPNSt15iterator_traitsISJ_E10value_typeEPNSP_ISK_E10value_typeEPSL_NS1_7vsmem_tEENKUlT_SJ_SK_SL_E_clIPmSE_SF_SF_EESI_SY_SJ_SK_SL_EUlSY_E_NS1_11comp_targetILNS1_3genE0ELNS1_11target_archE4294967295ELNS1_3gpuE0ELNS1_3repE0EEENS1_48merge_mergepath_partition_config_static_selectorELNS0_4arch9wavefront6targetE1EEEvSK_
	.globl	_ZN7rocprim17ROCPRIM_400000_NS6detail17trampoline_kernelINS0_14default_configENS1_38merge_sort_block_merge_config_selectorImNS0_10empty_typeEEEZZNS1_27merge_sort_block_merge_implIS3_N6thrust23THRUST_200600_302600_NS6detail15normal_iteratorINS9_10device_ptrImEEEEPS5_m14custom_greaterImEEE10hipError_tT0_T1_T2_jT3_P12ihipStream_tbPNSt15iterator_traitsISJ_E10value_typeEPNSP_ISK_E10value_typeEPSL_NS1_7vsmem_tEENKUlT_SJ_SK_SL_E_clIPmSE_SF_SF_EESI_SY_SJ_SK_SL_EUlSY_E_NS1_11comp_targetILNS1_3genE0ELNS1_11target_archE4294967295ELNS1_3gpuE0ELNS1_3repE0EEENS1_48merge_mergepath_partition_config_static_selectorELNS0_4arch9wavefront6targetE1EEEvSK_
	.p2align	8
	.type	_ZN7rocprim17ROCPRIM_400000_NS6detail17trampoline_kernelINS0_14default_configENS1_38merge_sort_block_merge_config_selectorImNS0_10empty_typeEEEZZNS1_27merge_sort_block_merge_implIS3_N6thrust23THRUST_200600_302600_NS6detail15normal_iteratorINS9_10device_ptrImEEEEPS5_m14custom_greaterImEEE10hipError_tT0_T1_T2_jT3_P12ihipStream_tbPNSt15iterator_traitsISJ_E10value_typeEPNSP_ISK_E10value_typeEPSL_NS1_7vsmem_tEENKUlT_SJ_SK_SL_E_clIPmSE_SF_SF_EESI_SY_SJ_SK_SL_EUlSY_E_NS1_11comp_targetILNS1_3genE0ELNS1_11target_archE4294967295ELNS1_3gpuE0ELNS1_3repE0EEENS1_48merge_mergepath_partition_config_static_selectorELNS0_4arch9wavefront6targetE1EEEvSK_,@function
_ZN7rocprim17ROCPRIM_400000_NS6detail17trampoline_kernelINS0_14default_configENS1_38merge_sort_block_merge_config_selectorImNS0_10empty_typeEEEZZNS1_27merge_sort_block_merge_implIS3_N6thrust23THRUST_200600_302600_NS6detail15normal_iteratorINS9_10device_ptrImEEEEPS5_m14custom_greaterImEEE10hipError_tT0_T1_T2_jT3_P12ihipStream_tbPNSt15iterator_traitsISJ_E10value_typeEPNSP_ISK_E10value_typeEPSL_NS1_7vsmem_tEENKUlT_SJ_SK_SL_E_clIPmSE_SF_SF_EESI_SY_SJ_SK_SL_EUlSY_E_NS1_11comp_targetILNS1_3genE0ELNS1_11target_archE4294967295ELNS1_3gpuE0ELNS1_3repE0EEENS1_48merge_mergepath_partition_config_static_selectorELNS0_4arch9wavefront6targetE1EEEvSK_: ; @_ZN7rocprim17ROCPRIM_400000_NS6detail17trampoline_kernelINS0_14default_configENS1_38merge_sort_block_merge_config_selectorImNS0_10empty_typeEEEZZNS1_27merge_sort_block_merge_implIS3_N6thrust23THRUST_200600_302600_NS6detail15normal_iteratorINS9_10device_ptrImEEEEPS5_m14custom_greaterImEEE10hipError_tT0_T1_T2_jT3_P12ihipStream_tbPNSt15iterator_traitsISJ_E10value_typeEPNSP_ISK_E10value_typeEPSL_NS1_7vsmem_tEENKUlT_SJ_SK_SL_E_clIPmSE_SF_SF_EESI_SY_SJ_SK_SL_EUlSY_E_NS1_11comp_targetILNS1_3genE0ELNS1_11target_archE4294967295ELNS1_3gpuE0ELNS1_3repE0EEENS1_48merge_mergepath_partition_config_static_selectorELNS0_4arch9wavefront6targetE1EEEvSK_
; %bb.0:
	.section	.rodata,"a",@progbits
	.p2align	6, 0x0
	.amdhsa_kernel _ZN7rocprim17ROCPRIM_400000_NS6detail17trampoline_kernelINS0_14default_configENS1_38merge_sort_block_merge_config_selectorImNS0_10empty_typeEEEZZNS1_27merge_sort_block_merge_implIS3_N6thrust23THRUST_200600_302600_NS6detail15normal_iteratorINS9_10device_ptrImEEEEPS5_m14custom_greaterImEEE10hipError_tT0_T1_T2_jT3_P12ihipStream_tbPNSt15iterator_traitsISJ_E10value_typeEPNSP_ISK_E10value_typeEPSL_NS1_7vsmem_tEENKUlT_SJ_SK_SL_E_clIPmSE_SF_SF_EESI_SY_SJ_SK_SL_EUlSY_E_NS1_11comp_targetILNS1_3genE0ELNS1_11target_archE4294967295ELNS1_3gpuE0ELNS1_3repE0EEENS1_48merge_mergepath_partition_config_static_selectorELNS0_4arch9wavefront6targetE1EEEvSK_
		.amdhsa_group_segment_fixed_size 0
		.amdhsa_private_segment_fixed_size 0
		.amdhsa_kernarg_size 48
		.amdhsa_user_sgpr_count 6
		.amdhsa_user_sgpr_private_segment_buffer 1
		.amdhsa_user_sgpr_dispatch_ptr 0
		.amdhsa_user_sgpr_queue_ptr 0
		.amdhsa_user_sgpr_kernarg_segment_ptr 1
		.amdhsa_user_sgpr_dispatch_id 0
		.amdhsa_user_sgpr_flat_scratch_init 0
		.amdhsa_user_sgpr_kernarg_preload_length 0
		.amdhsa_user_sgpr_kernarg_preload_offset 0
		.amdhsa_user_sgpr_private_segment_size 0
		.amdhsa_uses_dynamic_stack 0
		.amdhsa_system_sgpr_private_segment_wavefront_offset 0
		.amdhsa_system_sgpr_workgroup_id_x 1
		.amdhsa_system_sgpr_workgroup_id_y 0
		.amdhsa_system_sgpr_workgroup_id_z 0
		.amdhsa_system_sgpr_workgroup_info 0
		.amdhsa_system_vgpr_workitem_id 0
		.amdhsa_next_free_vgpr 1
		.amdhsa_next_free_sgpr 0
		.amdhsa_accum_offset 4
		.amdhsa_reserve_vcc 0
		.amdhsa_reserve_flat_scratch 0
		.amdhsa_float_round_mode_32 0
		.amdhsa_float_round_mode_16_64 0
		.amdhsa_float_denorm_mode_32 3
		.amdhsa_float_denorm_mode_16_64 3
		.amdhsa_dx10_clamp 1
		.amdhsa_ieee_mode 1
		.amdhsa_fp16_overflow 0
		.amdhsa_tg_split 0
		.amdhsa_exception_fp_ieee_invalid_op 0
		.amdhsa_exception_fp_denorm_src 0
		.amdhsa_exception_fp_ieee_div_zero 0
		.amdhsa_exception_fp_ieee_overflow 0
		.amdhsa_exception_fp_ieee_underflow 0
		.amdhsa_exception_fp_ieee_inexact 0
		.amdhsa_exception_int_div_zero 0
	.end_amdhsa_kernel
	.section	.text._ZN7rocprim17ROCPRIM_400000_NS6detail17trampoline_kernelINS0_14default_configENS1_38merge_sort_block_merge_config_selectorImNS0_10empty_typeEEEZZNS1_27merge_sort_block_merge_implIS3_N6thrust23THRUST_200600_302600_NS6detail15normal_iteratorINS9_10device_ptrImEEEEPS5_m14custom_greaterImEEE10hipError_tT0_T1_T2_jT3_P12ihipStream_tbPNSt15iterator_traitsISJ_E10value_typeEPNSP_ISK_E10value_typeEPSL_NS1_7vsmem_tEENKUlT_SJ_SK_SL_E_clIPmSE_SF_SF_EESI_SY_SJ_SK_SL_EUlSY_E_NS1_11comp_targetILNS1_3genE0ELNS1_11target_archE4294967295ELNS1_3gpuE0ELNS1_3repE0EEENS1_48merge_mergepath_partition_config_static_selectorELNS0_4arch9wavefront6targetE1EEEvSK_,"axG",@progbits,_ZN7rocprim17ROCPRIM_400000_NS6detail17trampoline_kernelINS0_14default_configENS1_38merge_sort_block_merge_config_selectorImNS0_10empty_typeEEEZZNS1_27merge_sort_block_merge_implIS3_N6thrust23THRUST_200600_302600_NS6detail15normal_iteratorINS9_10device_ptrImEEEEPS5_m14custom_greaterImEEE10hipError_tT0_T1_T2_jT3_P12ihipStream_tbPNSt15iterator_traitsISJ_E10value_typeEPNSP_ISK_E10value_typeEPSL_NS1_7vsmem_tEENKUlT_SJ_SK_SL_E_clIPmSE_SF_SF_EESI_SY_SJ_SK_SL_EUlSY_E_NS1_11comp_targetILNS1_3genE0ELNS1_11target_archE4294967295ELNS1_3gpuE0ELNS1_3repE0EEENS1_48merge_mergepath_partition_config_static_selectorELNS0_4arch9wavefront6targetE1EEEvSK_,comdat
.Lfunc_end3313:
	.size	_ZN7rocprim17ROCPRIM_400000_NS6detail17trampoline_kernelINS0_14default_configENS1_38merge_sort_block_merge_config_selectorImNS0_10empty_typeEEEZZNS1_27merge_sort_block_merge_implIS3_N6thrust23THRUST_200600_302600_NS6detail15normal_iteratorINS9_10device_ptrImEEEEPS5_m14custom_greaterImEEE10hipError_tT0_T1_T2_jT3_P12ihipStream_tbPNSt15iterator_traitsISJ_E10value_typeEPNSP_ISK_E10value_typeEPSL_NS1_7vsmem_tEENKUlT_SJ_SK_SL_E_clIPmSE_SF_SF_EESI_SY_SJ_SK_SL_EUlSY_E_NS1_11comp_targetILNS1_3genE0ELNS1_11target_archE4294967295ELNS1_3gpuE0ELNS1_3repE0EEENS1_48merge_mergepath_partition_config_static_selectorELNS0_4arch9wavefront6targetE1EEEvSK_, .Lfunc_end3313-_ZN7rocprim17ROCPRIM_400000_NS6detail17trampoline_kernelINS0_14default_configENS1_38merge_sort_block_merge_config_selectorImNS0_10empty_typeEEEZZNS1_27merge_sort_block_merge_implIS3_N6thrust23THRUST_200600_302600_NS6detail15normal_iteratorINS9_10device_ptrImEEEEPS5_m14custom_greaterImEEE10hipError_tT0_T1_T2_jT3_P12ihipStream_tbPNSt15iterator_traitsISJ_E10value_typeEPNSP_ISK_E10value_typeEPSL_NS1_7vsmem_tEENKUlT_SJ_SK_SL_E_clIPmSE_SF_SF_EESI_SY_SJ_SK_SL_EUlSY_E_NS1_11comp_targetILNS1_3genE0ELNS1_11target_archE4294967295ELNS1_3gpuE0ELNS1_3repE0EEENS1_48merge_mergepath_partition_config_static_selectorELNS0_4arch9wavefront6targetE1EEEvSK_
                                        ; -- End function
	.section	.AMDGPU.csdata,"",@progbits
; Kernel info:
; codeLenInByte = 0
; NumSgprs: 4
; NumVgprs: 0
; NumAgprs: 0
; TotalNumVgprs: 0
; ScratchSize: 0
; MemoryBound: 0
; FloatMode: 240
; IeeeMode: 1
; LDSByteSize: 0 bytes/workgroup (compile time only)
; SGPRBlocks: 0
; VGPRBlocks: 0
; NumSGPRsForWavesPerEU: 4
; NumVGPRsForWavesPerEU: 1
; AccumOffset: 4
; Occupancy: 8
; WaveLimiterHint : 0
; COMPUTE_PGM_RSRC2:SCRATCH_EN: 0
; COMPUTE_PGM_RSRC2:USER_SGPR: 6
; COMPUTE_PGM_RSRC2:TRAP_HANDLER: 0
; COMPUTE_PGM_RSRC2:TGID_X_EN: 1
; COMPUTE_PGM_RSRC2:TGID_Y_EN: 0
; COMPUTE_PGM_RSRC2:TGID_Z_EN: 0
; COMPUTE_PGM_RSRC2:TIDIG_COMP_CNT: 0
; COMPUTE_PGM_RSRC3_GFX90A:ACCUM_OFFSET: 0
; COMPUTE_PGM_RSRC3_GFX90A:TG_SPLIT: 0
	.section	.text._ZN7rocprim17ROCPRIM_400000_NS6detail17trampoline_kernelINS0_14default_configENS1_38merge_sort_block_merge_config_selectorImNS0_10empty_typeEEEZZNS1_27merge_sort_block_merge_implIS3_N6thrust23THRUST_200600_302600_NS6detail15normal_iteratorINS9_10device_ptrImEEEEPS5_m14custom_greaterImEEE10hipError_tT0_T1_T2_jT3_P12ihipStream_tbPNSt15iterator_traitsISJ_E10value_typeEPNSP_ISK_E10value_typeEPSL_NS1_7vsmem_tEENKUlT_SJ_SK_SL_E_clIPmSE_SF_SF_EESI_SY_SJ_SK_SL_EUlSY_E_NS1_11comp_targetILNS1_3genE10ELNS1_11target_archE1201ELNS1_3gpuE5ELNS1_3repE0EEENS1_48merge_mergepath_partition_config_static_selectorELNS0_4arch9wavefront6targetE1EEEvSK_,"axG",@progbits,_ZN7rocprim17ROCPRIM_400000_NS6detail17trampoline_kernelINS0_14default_configENS1_38merge_sort_block_merge_config_selectorImNS0_10empty_typeEEEZZNS1_27merge_sort_block_merge_implIS3_N6thrust23THRUST_200600_302600_NS6detail15normal_iteratorINS9_10device_ptrImEEEEPS5_m14custom_greaterImEEE10hipError_tT0_T1_T2_jT3_P12ihipStream_tbPNSt15iterator_traitsISJ_E10value_typeEPNSP_ISK_E10value_typeEPSL_NS1_7vsmem_tEENKUlT_SJ_SK_SL_E_clIPmSE_SF_SF_EESI_SY_SJ_SK_SL_EUlSY_E_NS1_11comp_targetILNS1_3genE10ELNS1_11target_archE1201ELNS1_3gpuE5ELNS1_3repE0EEENS1_48merge_mergepath_partition_config_static_selectorELNS0_4arch9wavefront6targetE1EEEvSK_,comdat
	.protected	_ZN7rocprim17ROCPRIM_400000_NS6detail17trampoline_kernelINS0_14default_configENS1_38merge_sort_block_merge_config_selectorImNS0_10empty_typeEEEZZNS1_27merge_sort_block_merge_implIS3_N6thrust23THRUST_200600_302600_NS6detail15normal_iteratorINS9_10device_ptrImEEEEPS5_m14custom_greaterImEEE10hipError_tT0_T1_T2_jT3_P12ihipStream_tbPNSt15iterator_traitsISJ_E10value_typeEPNSP_ISK_E10value_typeEPSL_NS1_7vsmem_tEENKUlT_SJ_SK_SL_E_clIPmSE_SF_SF_EESI_SY_SJ_SK_SL_EUlSY_E_NS1_11comp_targetILNS1_3genE10ELNS1_11target_archE1201ELNS1_3gpuE5ELNS1_3repE0EEENS1_48merge_mergepath_partition_config_static_selectorELNS0_4arch9wavefront6targetE1EEEvSK_ ; -- Begin function _ZN7rocprim17ROCPRIM_400000_NS6detail17trampoline_kernelINS0_14default_configENS1_38merge_sort_block_merge_config_selectorImNS0_10empty_typeEEEZZNS1_27merge_sort_block_merge_implIS3_N6thrust23THRUST_200600_302600_NS6detail15normal_iteratorINS9_10device_ptrImEEEEPS5_m14custom_greaterImEEE10hipError_tT0_T1_T2_jT3_P12ihipStream_tbPNSt15iterator_traitsISJ_E10value_typeEPNSP_ISK_E10value_typeEPSL_NS1_7vsmem_tEENKUlT_SJ_SK_SL_E_clIPmSE_SF_SF_EESI_SY_SJ_SK_SL_EUlSY_E_NS1_11comp_targetILNS1_3genE10ELNS1_11target_archE1201ELNS1_3gpuE5ELNS1_3repE0EEENS1_48merge_mergepath_partition_config_static_selectorELNS0_4arch9wavefront6targetE1EEEvSK_
	.globl	_ZN7rocprim17ROCPRIM_400000_NS6detail17trampoline_kernelINS0_14default_configENS1_38merge_sort_block_merge_config_selectorImNS0_10empty_typeEEEZZNS1_27merge_sort_block_merge_implIS3_N6thrust23THRUST_200600_302600_NS6detail15normal_iteratorINS9_10device_ptrImEEEEPS5_m14custom_greaterImEEE10hipError_tT0_T1_T2_jT3_P12ihipStream_tbPNSt15iterator_traitsISJ_E10value_typeEPNSP_ISK_E10value_typeEPSL_NS1_7vsmem_tEENKUlT_SJ_SK_SL_E_clIPmSE_SF_SF_EESI_SY_SJ_SK_SL_EUlSY_E_NS1_11comp_targetILNS1_3genE10ELNS1_11target_archE1201ELNS1_3gpuE5ELNS1_3repE0EEENS1_48merge_mergepath_partition_config_static_selectorELNS0_4arch9wavefront6targetE1EEEvSK_
	.p2align	8
	.type	_ZN7rocprim17ROCPRIM_400000_NS6detail17trampoline_kernelINS0_14default_configENS1_38merge_sort_block_merge_config_selectorImNS0_10empty_typeEEEZZNS1_27merge_sort_block_merge_implIS3_N6thrust23THRUST_200600_302600_NS6detail15normal_iteratorINS9_10device_ptrImEEEEPS5_m14custom_greaterImEEE10hipError_tT0_T1_T2_jT3_P12ihipStream_tbPNSt15iterator_traitsISJ_E10value_typeEPNSP_ISK_E10value_typeEPSL_NS1_7vsmem_tEENKUlT_SJ_SK_SL_E_clIPmSE_SF_SF_EESI_SY_SJ_SK_SL_EUlSY_E_NS1_11comp_targetILNS1_3genE10ELNS1_11target_archE1201ELNS1_3gpuE5ELNS1_3repE0EEENS1_48merge_mergepath_partition_config_static_selectorELNS0_4arch9wavefront6targetE1EEEvSK_,@function
_ZN7rocprim17ROCPRIM_400000_NS6detail17trampoline_kernelINS0_14default_configENS1_38merge_sort_block_merge_config_selectorImNS0_10empty_typeEEEZZNS1_27merge_sort_block_merge_implIS3_N6thrust23THRUST_200600_302600_NS6detail15normal_iteratorINS9_10device_ptrImEEEEPS5_m14custom_greaterImEEE10hipError_tT0_T1_T2_jT3_P12ihipStream_tbPNSt15iterator_traitsISJ_E10value_typeEPNSP_ISK_E10value_typeEPSL_NS1_7vsmem_tEENKUlT_SJ_SK_SL_E_clIPmSE_SF_SF_EESI_SY_SJ_SK_SL_EUlSY_E_NS1_11comp_targetILNS1_3genE10ELNS1_11target_archE1201ELNS1_3gpuE5ELNS1_3repE0EEENS1_48merge_mergepath_partition_config_static_selectorELNS0_4arch9wavefront6targetE1EEEvSK_: ; @_ZN7rocprim17ROCPRIM_400000_NS6detail17trampoline_kernelINS0_14default_configENS1_38merge_sort_block_merge_config_selectorImNS0_10empty_typeEEEZZNS1_27merge_sort_block_merge_implIS3_N6thrust23THRUST_200600_302600_NS6detail15normal_iteratorINS9_10device_ptrImEEEEPS5_m14custom_greaterImEEE10hipError_tT0_T1_T2_jT3_P12ihipStream_tbPNSt15iterator_traitsISJ_E10value_typeEPNSP_ISK_E10value_typeEPSL_NS1_7vsmem_tEENKUlT_SJ_SK_SL_E_clIPmSE_SF_SF_EESI_SY_SJ_SK_SL_EUlSY_E_NS1_11comp_targetILNS1_3genE10ELNS1_11target_archE1201ELNS1_3gpuE5ELNS1_3repE0EEENS1_48merge_mergepath_partition_config_static_selectorELNS0_4arch9wavefront6targetE1EEEvSK_
; %bb.0:
	.section	.rodata,"a",@progbits
	.p2align	6, 0x0
	.amdhsa_kernel _ZN7rocprim17ROCPRIM_400000_NS6detail17trampoline_kernelINS0_14default_configENS1_38merge_sort_block_merge_config_selectorImNS0_10empty_typeEEEZZNS1_27merge_sort_block_merge_implIS3_N6thrust23THRUST_200600_302600_NS6detail15normal_iteratorINS9_10device_ptrImEEEEPS5_m14custom_greaterImEEE10hipError_tT0_T1_T2_jT3_P12ihipStream_tbPNSt15iterator_traitsISJ_E10value_typeEPNSP_ISK_E10value_typeEPSL_NS1_7vsmem_tEENKUlT_SJ_SK_SL_E_clIPmSE_SF_SF_EESI_SY_SJ_SK_SL_EUlSY_E_NS1_11comp_targetILNS1_3genE10ELNS1_11target_archE1201ELNS1_3gpuE5ELNS1_3repE0EEENS1_48merge_mergepath_partition_config_static_selectorELNS0_4arch9wavefront6targetE1EEEvSK_
		.amdhsa_group_segment_fixed_size 0
		.amdhsa_private_segment_fixed_size 0
		.amdhsa_kernarg_size 48
		.amdhsa_user_sgpr_count 6
		.amdhsa_user_sgpr_private_segment_buffer 1
		.amdhsa_user_sgpr_dispatch_ptr 0
		.amdhsa_user_sgpr_queue_ptr 0
		.amdhsa_user_sgpr_kernarg_segment_ptr 1
		.amdhsa_user_sgpr_dispatch_id 0
		.amdhsa_user_sgpr_flat_scratch_init 0
		.amdhsa_user_sgpr_kernarg_preload_length 0
		.amdhsa_user_sgpr_kernarg_preload_offset 0
		.amdhsa_user_sgpr_private_segment_size 0
		.amdhsa_uses_dynamic_stack 0
		.amdhsa_system_sgpr_private_segment_wavefront_offset 0
		.amdhsa_system_sgpr_workgroup_id_x 1
		.amdhsa_system_sgpr_workgroup_id_y 0
		.amdhsa_system_sgpr_workgroup_id_z 0
		.amdhsa_system_sgpr_workgroup_info 0
		.amdhsa_system_vgpr_workitem_id 0
		.amdhsa_next_free_vgpr 1
		.amdhsa_next_free_sgpr 0
		.amdhsa_accum_offset 4
		.amdhsa_reserve_vcc 0
		.amdhsa_reserve_flat_scratch 0
		.amdhsa_float_round_mode_32 0
		.amdhsa_float_round_mode_16_64 0
		.amdhsa_float_denorm_mode_32 3
		.amdhsa_float_denorm_mode_16_64 3
		.amdhsa_dx10_clamp 1
		.amdhsa_ieee_mode 1
		.amdhsa_fp16_overflow 0
		.amdhsa_tg_split 0
		.amdhsa_exception_fp_ieee_invalid_op 0
		.amdhsa_exception_fp_denorm_src 0
		.amdhsa_exception_fp_ieee_div_zero 0
		.amdhsa_exception_fp_ieee_overflow 0
		.amdhsa_exception_fp_ieee_underflow 0
		.amdhsa_exception_fp_ieee_inexact 0
		.amdhsa_exception_int_div_zero 0
	.end_amdhsa_kernel
	.section	.text._ZN7rocprim17ROCPRIM_400000_NS6detail17trampoline_kernelINS0_14default_configENS1_38merge_sort_block_merge_config_selectorImNS0_10empty_typeEEEZZNS1_27merge_sort_block_merge_implIS3_N6thrust23THRUST_200600_302600_NS6detail15normal_iteratorINS9_10device_ptrImEEEEPS5_m14custom_greaterImEEE10hipError_tT0_T1_T2_jT3_P12ihipStream_tbPNSt15iterator_traitsISJ_E10value_typeEPNSP_ISK_E10value_typeEPSL_NS1_7vsmem_tEENKUlT_SJ_SK_SL_E_clIPmSE_SF_SF_EESI_SY_SJ_SK_SL_EUlSY_E_NS1_11comp_targetILNS1_3genE10ELNS1_11target_archE1201ELNS1_3gpuE5ELNS1_3repE0EEENS1_48merge_mergepath_partition_config_static_selectorELNS0_4arch9wavefront6targetE1EEEvSK_,"axG",@progbits,_ZN7rocprim17ROCPRIM_400000_NS6detail17trampoline_kernelINS0_14default_configENS1_38merge_sort_block_merge_config_selectorImNS0_10empty_typeEEEZZNS1_27merge_sort_block_merge_implIS3_N6thrust23THRUST_200600_302600_NS6detail15normal_iteratorINS9_10device_ptrImEEEEPS5_m14custom_greaterImEEE10hipError_tT0_T1_T2_jT3_P12ihipStream_tbPNSt15iterator_traitsISJ_E10value_typeEPNSP_ISK_E10value_typeEPSL_NS1_7vsmem_tEENKUlT_SJ_SK_SL_E_clIPmSE_SF_SF_EESI_SY_SJ_SK_SL_EUlSY_E_NS1_11comp_targetILNS1_3genE10ELNS1_11target_archE1201ELNS1_3gpuE5ELNS1_3repE0EEENS1_48merge_mergepath_partition_config_static_selectorELNS0_4arch9wavefront6targetE1EEEvSK_,comdat
.Lfunc_end3314:
	.size	_ZN7rocprim17ROCPRIM_400000_NS6detail17trampoline_kernelINS0_14default_configENS1_38merge_sort_block_merge_config_selectorImNS0_10empty_typeEEEZZNS1_27merge_sort_block_merge_implIS3_N6thrust23THRUST_200600_302600_NS6detail15normal_iteratorINS9_10device_ptrImEEEEPS5_m14custom_greaterImEEE10hipError_tT0_T1_T2_jT3_P12ihipStream_tbPNSt15iterator_traitsISJ_E10value_typeEPNSP_ISK_E10value_typeEPSL_NS1_7vsmem_tEENKUlT_SJ_SK_SL_E_clIPmSE_SF_SF_EESI_SY_SJ_SK_SL_EUlSY_E_NS1_11comp_targetILNS1_3genE10ELNS1_11target_archE1201ELNS1_3gpuE5ELNS1_3repE0EEENS1_48merge_mergepath_partition_config_static_selectorELNS0_4arch9wavefront6targetE1EEEvSK_, .Lfunc_end3314-_ZN7rocprim17ROCPRIM_400000_NS6detail17trampoline_kernelINS0_14default_configENS1_38merge_sort_block_merge_config_selectorImNS0_10empty_typeEEEZZNS1_27merge_sort_block_merge_implIS3_N6thrust23THRUST_200600_302600_NS6detail15normal_iteratorINS9_10device_ptrImEEEEPS5_m14custom_greaterImEEE10hipError_tT0_T1_T2_jT3_P12ihipStream_tbPNSt15iterator_traitsISJ_E10value_typeEPNSP_ISK_E10value_typeEPSL_NS1_7vsmem_tEENKUlT_SJ_SK_SL_E_clIPmSE_SF_SF_EESI_SY_SJ_SK_SL_EUlSY_E_NS1_11comp_targetILNS1_3genE10ELNS1_11target_archE1201ELNS1_3gpuE5ELNS1_3repE0EEENS1_48merge_mergepath_partition_config_static_selectorELNS0_4arch9wavefront6targetE1EEEvSK_
                                        ; -- End function
	.section	.AMDGPU.csdata,"",@progbits
; Kernel info:
; codeLenInByte = 0
; NumSgprs: 4
; NumVgprs: 0
; NumAgprs: 0
; TotalNumVgprs: 0
; ScratchSize: 0
; MemoryBound: 0
; FloatMode: 240
; IeeeMode: 1
; LDSByteSize: 0 bytes/workgroup (compile time only)
; SGPRBlocks: 0
; VGPRBlocks: 0
; NumSGPRsForWavesPerEU: 4
; NumVGPRsForWavesPerEU: 1
; AccumOffset: 4
; Occupancy: 8
; WaveLimiterHint : 0
; COMPUTE_PGM_RSRC2:SCRATCH_EN: 0
; COMPUTE_PGM_RSRC2:USER_SGPR: 6
; COMPUTE_PGM_RSRC2:TRAP_HANDLER: 0
; COMPUTE_PGM_RSRC2:TGID_X_EN: 1
; COMPUTE_PGM_RSRC2:TGID_Y_EN: 0
; COMPUTE_PGM_RSRC2:TGID_Z_EN: 0
; COMPUTE_PGM_RSRC2:TIDIG_COMP_CNT: 0
; COMPUTE_PGM_RSRC3_GFX90A:ACCUM_OFFSET: 0
; COMPUTE_PGM_RSRC3_GFX90A:TG_SPLIT: 0
	.section	.text._ZN7rocprim17ROCPRIM_400000_NS6detail17trampoline_kernelINS0_14default_configENS1_38merge_sort_block_merge_config_selectorImNS0_10empty_typeEEEZZNS1_27merge_sort_block_merge_implIS3_N6thrust23THRUST_200600_302600_NS6detail15normal_iteratorINS9_10device_ptrImEEEEPS5_m14custom_greaterImEEE10hipError_tT0_T1_T2_jT3_P12ihipStream_tbPNSt15iterator_traitsISJ_E10value_typeEPNSP_ISK_E10value_typeEPSL_NS1_7vsmem_tEENKUlT_SJ_SK_SL_E_clIPmSE_SF_SF_EESI_SY_SJ_SK_SL_EUlSY_E_NS1_11comp_targetILNS1_3genE5ELNS1_11target_archE942ELNS1_3gpuE9ELNS1_3repE0EEENS1_48merge_mergepath_partition_config_static_selectorELNS0_4arch9wavefront6targetE1EEEvSK_,"axG",@progbits,_ZN7rocprim17ROCPRIM_400000_NS6detail17trampoline_kernelINS0_14default_configENS1_38merge_sort_block_merge_config_selectorImNS0_10empty_typeEEEZZNS1_27merge_sort_block_merge_implIS3_N6thrust23THRUST_200600_302600_NS6detail15normal_iteratorINS9_10device_ptrImEEEEPS5_m14custom_greaterImEEE10hipError_tT0_T1_T2_jT3_P12ihipStream_tbPNSt15iterator_traitsISJ_E10value_typeEPNSP_ISK_E10value_typeEPSL_NS1_7vsmem_tEENKUlT_SJ_SK_SL_E_clIPmSE_SF_SF_EESI_SY_SJ_SK_SL_EUlSY_E_NS1_11comp_targetILNS1_3genE5ELNS1_11target_archE942ELNS1_3gpuE9ELNS1_3repE0EEENS1_48merge_mergepath_partition_config_static_selectorELNS0_4arch9wavefront6targetE1EEEvSK_,comdat
	.protected	_ZN7rocprim17ROCPRIM_400000_NS6detail17trampoline_kernelINS0_14default_configENS1_38merge_sort_block_merge_config_selectorImNS0_10empty_typeEEEZZNS1_27merge_sort_block_merge_implIS3_N6thrust23THRUST_200600_302600_NS6detail15normal_iteratorINS9_10device_ptrImEEEEPS5_m14custom_greaterImEEE10hipError_tT0_T1_T2_jT3_P12ihipStream_tbPNSt15iterator_traitsISJ_E10value_typeEPNSP_ISK_E10value_typeEPSL_NS1_7vsmem_tEENKUlT_SJ_SK_SL_E_clIPmSE_SF_SF_EESI_SY_SJ_SK_SL_EUlSY_E_NS1_11comp_targetILNS1_3genE5ELNS1_11target_archE942ELNS1_3gpuE9ELNS1_3repE0EEENS1_48merge_mergepath_partition_config_static_selectorELNS0_4arch9wavefront6targetE1EEEvSK_ ; -- Begin function _ZN7rocprim17ROCPRIM_400000_NS6detail17trampoline_kernelINS0_14default_configENS1_38merge_sort_block_merge_config_selectorImNS0_10empty_typeEEEZZNS1_27merge_sort_block_merge_implIS3_N6thrust23THRUST_200600_302600_NS6detail15normal_iteratorINS9_10device_ptrImEEEEPS5_m14custom_greaterImEEE10hipError_tT0_T1_T2_jT3_P12ihipStream_tbPNSt15iterator_traitsISJ_E10value_typeEPNSP_ISK_E10value_typeEPSL_NS1_7vsmem_tEENKUlT_SJ_SK_SL_E_clIPmSE_SF_SF_EESI_SY_SJ_SK_SL_EUlSY_E_NS1_11comp_targetILNS1_3genE5ELNS1_11target_archE942ELNS1_3gpuE9ELNS1_3repE0EEENS1_48merge_mergepath_partition_config_static_selectorELNS0_4arch9wavefront6targetE1EEEvSK_
	.globl	_ZN7rocprim17ROCPRIM_400000_NS6detail17trampoline_kernelINS0_14default_configENS1_38merge_sort_block_merge_config_selectorImNS0_10empty_typeEEEZZNS1_27merge_sort_block_merge_implIS3_N6thrust23THRUST_200600_302600_NS6detail15normal_iteratorINS9_10device_ptrImEEEEPS5_m14custom_greaterImEEE10hipError_tT0_T1_T2_jT3_P12ihipStream_tbPNSt15iterator_traitsISJ_E10value_typeEPNSP_ISK_E10value_typeEPSL_NS1_7vsmem_tEENKUlT_SJ_SK_SL_E_clIPmSE_SF_SF_EESI_SY_SJ_SK_SL_EUlSY_E_NS1_11comp_targetILNS1_3genE5ELNS1_11target_archE942ELNS1_3gpuE9ELNS1_3repE0EEENS1_48merge_mergepath_partition_config_static_selectorELNS0_4arch9wavefront6targetE1EEEvSK_
	.p2align	8
	.type	_ZN7rocprim17ROCPRIM_400000_NS6detail17trampoline_kernelINS0_14default_configENS1_38merge_sort_block_merge_config_selectorImNS0_10empty_typeEEEZZNS1_27merge_sort_block_merge_implIS3_N6thrust23THRUST_200600_302600_NS6detail15normal_iteratorINS9_10device_ptrImEEEEPS5_m14custom_greaterImEEE10hipError_tT0_T1_T2_jT3_P12ihipStream_tbPNSt15iterator_traitsISJ_E10value_typeEPNSP_ISK_E10value_typeEPSL_NS1_7vsmem_tEENKUlT_SJ_SK_SL_E_clIPmSE_SF_SF_EESI_SY_SJ_SK_SL_EUlSY_E_NS1_11comp_targetILNS1_3genE5ELNS1_11target_archE942ELNS1_3gpuE9ELNS1_3repE0EEENS1_48merge_mergepath_partition_config_static_selectorELNS0_4arch9wavefront6targetE1EEEvSK_,@function
_ZN7rocprim17ROCPRIM_400000_NS6detail17trampoline_kernelINS0_14default_configENS1_38merge_sort_block_merge_config_selectorImNS0_10empty_typeEEEZZNS1_27merge_sort_block_merge_implIS3_N6thrust23THRUST_200600_302600_NS6detail15normal_iteratorINS9_10device_ptrImEEEEPS5_m14custom_greaterImEEE10hipError_tT0_T1_T2_jT3_P12ihipStream_tbPNSt15iterator_traitsISJ_E10value_typeEPNSP_ISK_E10value_typeEPSL_NS1_7vsmem_tEENKUlT_SJ_SK_SL_E_clIPmSE_SF_SF_EESI_SY_SJ_SK_SL_EUlSY_E_NS1_11comp_targetILNS1_3genE5ELNS1_11target_archE942ELNS1_3gpuE9ELNS1_3repE0EEENS1_48merge_mergepath_partition_config_static_selectorELNS0_4arch9wavefront6targetE1EEEvSK_: ; @_ZN7rocprim17ROCPRIM_400000_NS6detail17trampoline_kernelINS0_14default_configENS1_38merge_sort_block_merge_config_selectorImNS0_10empty_typeEEEZZNS1_27merge_sort_block_merge_implIS3_N6thrust23THRUST_200600_302600_NS6detail15normal_iteratorINS9_10device_ptrImEEEEPS5_m14custom_greaterImEEE10hipError_tT0_T1_T2_jT3_P12ihipStream_tbPNSt15iterator_traitsISJ_E10value_typeEPNSP_ISK_E10value_typeEPSL_NS1_7vsmem_tEENKUlT_SJ_SK_SL_E_clIPmSE_SF_SF_EESI_SY_SJ_SK_SL_EUlSY_E_NS1_11comp_targetILNS1_3genE5ELNS1_11target_archE942ELNS1_3gpuE9ELNS1_3repE0EEENS1_48merge_mergepath_partition_config_static_selectorELNS0_4arch9wavefront6targetE1EEEvSK_
; %bb.0:
	.section	.rodata,"a",@progbits
	.p2align	6, 0x0
	.amdhsa_kernel _ZN7rocprim17ROCPRIM_400000_NS6detail17trampoline_kernelINS0_14default_configENS1_38merge_sort_block_merge_config_selectorImNS0_10empty_typeEEEZZNS1_27merge_sort_block_merge_implIS3_N6thrust23THRUST_200600_302600_NS6detail15normal_iteratorINS9_10device_ptrImEEEEPS5_m14custom_greaterImEEE10hipError_tT0_T1_T2_jT3_P12ihipStream_tbPNSt15iterator_traitsISJ_E10value_typeEPNSP_ISK_E10value_typeEPSL_NS1_7vsmem_tEENKUlT_SJ_SK_SL_E_clIPmSE_SF_SF_EESI_SY_SJ_SK_SL_EUlSY_E_NS1_11comp_targetILNS1_3genE5ELNS1_11target_archE942ELNS1_3gpuE9ELNS1_3repE0EEENS1_48merge_mergepath_partition_config_static_selectorELNS0_4arch9wavefront6targetE1EEEvSK_
		.amdhsa_group_segment_fixed_size 0
		.amdhsa_private_segment_fixed_size 0
		.amdhsa_kernarg_size 48
		.amdhsa_user_sgpr_count 6
		.amdhsa_user_sgpr_private_segment_buffer 1
		.amdhsa_user_sgpr_dispatch_ptr 0
		.amdhsa_user_sgpr_queue_ptr 0
		.amdhsa_user_sgpr_kernarg_segment_ptr 1
		.amdhsa_user_sgpr_dispatch_id 0
		.amdhsa_user_sgpr_flat_scratch_init 0
		.amdhsa_user_sgpr_kernarg_preload_length 0
		.amdhsa_user_sgpr_kernarg_preload_offset 0
		.amdhsa_user_sgpr_private_segment_size 0
		.amdhsa_uses_dynamic_stack 0
		.amdhsa_system_sgpr_private_segment_wavefront_offset 0
		.amdhsa_system_sgpr_workgroup_id_x 1
		.amdhsa_system_sgpr_workgroup_id_y 0
		.amdhsa_system_sgpr_workgroup_id_z 0
		.amdhsa_system_sgpr_workgroup_info 0
		.amdhsa_system_vgpr_workitem_id 0
		.amdhsa_next_free_vgpr 1
		.amdhsa_next_free_sgpr 0
		.amdhsa_accum_offset 4
		.amdhsa_reserve_vcc 0
		.amdhsa_reserve_flat_scratch 0
		.amdhsa_float_round_mode_32 0
		.amdhsa_float_round_mode_16_64 0
		.amdhsa_float_denorm_mode_32 3
		.amdhsa_float_denorm_mode_16_64 3
		.amdhsa_dx10_clamp 1
		.amdhsa_ieee_mode 1
		.amdhsa_fp16_overflow 0
		.amdhsa_tg_split 0
		.amdhsa_exception_fp_ieee_invalid_op 0
		.amdhsa_exception_fp_denorm_src 0
		.amdhsa_exception_fp_ieee_div_zero 0
		.amdhsa_exception_fp_ieee_overflow 0
		.amdhsa_exception_fp_ieee_underflow 0
		.amdhsa_exception_fp_ieee_inexact 0
		.amdhsa_exception_int_div_zero 0
	.end_amdhsa_kernel
	.section	.text._ZN7rocprim17ROCPRIM_400000_NS6detail17trampoline_kernelINS0_14default_configENS1_38merge_sort_block_merge_config_selectorImNS0_10empty_typeEEEZZNS1_27merge_sort_block_merge_implIS3_N6thrust23THRUST_200600_302600_NS6detail15normal_iteratorINS9_10device_ptrImEEEEPS5_m14custom_greaterImEEE10hipError_tT0_T1_T2_jT3_P12ihipStream_tbPNSt15iterator_traitsISJ_E10value_typeEPNSP_ISK_E10value_typeEPSL_NS1_7vsmem_tEENKUlT_SJ_SK_SL_E_clIPmSE_SF_SF_EESI_SY_SJ_SK_SL_EUlSY_E_NS1_11comp_targetILNS1_3genE5ELNS1_11target_archE942ELNS1_3gpuE9ELNS1_3repE0EEENS1_48merge_mergepath_partition_config_static_selectorELNS0_4arch9wavefront6targetE1EEEvSK_,"axG",@progbits,_ZN7rocprim17ROCPRIM_400000_NS6detail17trampoline_kernelINS0_14default_configENS1_38merge_sort_block_merge_config_selectorImNS0_10empty_typeEEEZZNS1_27merge_sort_block_merge_implIS3_N6thrust23THRUST_200600_302600_NS6detail15normal_iteratorINS9_10device_ptrImEEEEPS5_m14custom_greaterImEEE10hipError_tT0_T1_T2_jT3_P12ihipStream_tbPNSt15iterator_traitsISJ_E10value_typeEPNSP_ISK_E10value_typeEPSL_NS1_7vsmem_tEENKUlT_SJ_SK_SL_E_clIPmSE_SF_SF_EESI_SY_SJ_SK_SL_EUlSY_E_NS1_11comp_targetILNS1_3genE5ELNS1_11target_archE942ELNS1_3gpuE9ELNS1_3repE0EEENS1_48merge_mergepath_partition_config_static_selectorELNS0_4arch9wavefront6targetE1EEEvSK_,comdat
.Lfunc_end3315:
	.size	_ZN7rocprim17ROCPRIM_400000_NS6detail17trampoline_kernelINS0_14default_configENS1_38merge_sort_block_merge_config_selectorImNS0_10empty_typeEEEZZNS1_27merge_sort_block_merge_implIS3_N6thrust23THRUST_200600_302600_NS6detail15normal_iteratorINS9_10device_ptrImEEEEPS5_m14custom_greaterImEEE10hipError_tT0_T1_T2_jT3_P12ihipStream_tbPNSt15iterator_traitsISJ_E10value_typeEPNSP_ISK_E10value_typeEPSL_NS1_7vsmem_tEENKUlT_SJ_SK_SL_E_clIPmSE_SF_SF_EESI_SY_SJ_SK_SL_EUlSY_E_NS1_11comp_targetILNS1_3genE5ELNS1_11target_archE942ELNS1_3gpuE9ELNS1_3repE0EEENS1_48merge_mergepath_partition_config_static_selectorELNS0_4arch9wavefront6targetE1EEEvSK_, .Lfunc_end3315-_ZN7rocprim17ROCPRIM_400000_NS6detail17trampoline_kernelINS0_14default_configENS1_38merge_sort_block_merge_config_selectorImNS0_10empty_typeEEEZZNS1_27merge_sort_block_merge_implIS3_N6thrust23THRUST_200600_302600_NS6detail15normal_iteratorINS9_10device_ptrImEEEEPS5_m14custom_greaterImEEE10hipError_tT0_T1_T2_jT3_P12ihipStream_tbPNSt15iterator_traitsISJ_E10value_typeEPNSP_ISK_E10value_typeEPSL_NS1_7vsmem_tEENKUlT_SJ_SK_SL_E_clIPmSE_SF_SF_EESI_SY_SJ_SK_SL_EUlSY_E_NS1_11comp_targetILNS1_3genE5ELNS1_11target_archE942ELNS1_3gpuE9ELNS1_3repE0EEENS1_48merge_mergepath_partition_config_static_selectorELNS0_4arch9wavefront6targetE1EEEvSK_
                                        ; -- End function
	.section	.AMDGPU.csdata,"",@progbits
; Kernel info:
; codeLenInByte = 0
; NumSgprs: 4
; NumVgprs: 0
; NumAgprs: 0
; TotalNumVgprs: 0
; ScratchSize: 0
; MemoryBound: 0
; FloatMode: 240
; IeeeMode: 1
; LDSByteSize: 0 bytes/workgroup (compile time only)
; SGPRBlocks: 0
; VGPRBlocks: 0
; NumSGPRsForWavesPerEU: 4
; NumVGPRsForWavesPerEU: 1
; AccumOffset: 4
; Occupancy: 8
; WaveLimiterHint : 0
; COMPUTE_PGM_RSRC2:SCRATCH_EN: 0
; COMPUTE_PGM_RSRC2:USER_SGPR: 6
; COMPUTE_PGM_RSRC2:TRAP_HANDLER: 0
; COMPUTE_PGM_RSRC2:TGID_X_EN: 1
; COMPUTE_PGM_RSRC2:TGID_Y_EN: 0
; COMPUTE_PGM_RSRC2:TGID_Z_EN: 0
; COMPUTE_PGM_RSRC2:TIDIG_COMP_CNT: 0
; COMPUTE_PGM_RSRC3_GFX90A:ACCUM_OFFSET: 0
; COMPUTE_PGM_RSRC3_GFX90A:TG_SPLIT: 0
	.section	.text._ZN7rocprim17ROCPRIM_400000_NS6detail17trampoline_kernelINS0_14default_configENS1_38merge_sort_block_merge_config_selectorImNS0_10empty_typeEEEZZNS1_27merge_sort_block_merge_implIS3_N6thrust23THRUST_200600_302600_NS6detail15normal_iteratorINS9_10device_ptrImEEEEPS5_m14custom_greaterImEEE10hipError_tT0_T1_T2_jT3_P12ihipStream_tbPNSt15iterator_traitsISJ_E10value_typeEPNSP_ISK_E10value_typeEPSL_NS1_7vsmem_tEENKUlT_SJ_SK_SL_E_clIPmSE_SF_SF_EESI_SY_SJ_SK_SL_EUlSY_E_NS1_11comp_targetILNS1_3genE4ELNS1_11target_archE910ELNS1_3gpuE8ELNS1_3repE0EEENS1_48merge_mergepath_partition_config_static_selectorELNS0_4arch9wavefront6targetE1EEEvSK_,"axG",@progbits,_ZN7rocprim17ROCPRIM_400000_NS6detail17trampoline_kernelINS0_14default_configENS1_38merge_sort_block_merge_config_selectorImNS0_10empty_typeEEEZZNS1_27merge_sort_block_merge_implIS3_N6thrust23THRUST_200600_302600_NS6detail15normal_iteratorINS9_10device_ptrImEEEEPS5_m14custom_greaterImEEE10hipError_tT0_T1_T2_jT3_P12ihipStream_tbPNSt15iterator_traitsISJ_E10value_typeEPNSP_ISK_E10value_typeEPSL_NS1_7vsmem_tEENKUlT_SJ_SK_SL_E_clIPmSE_SF_SF_EESI_SY_SJ_SK_SL_EUlSY_E_NS1_11comp_targetILNS1_3genE4ELNS1_11target_archE910ELNS1_3gpuE8ELNS1_3repE0EEENS1_48merge_mergepath_partition_config_static_selectorELNS0_4arch9wavefront6targetE1EEEvSK_,comdat
	.protected	_ZN7rocprim17ROCPRIM_400000_NS6detail17trampoline_kernelINS0_14default_configENS1_38merge_sort_block_merge_config_selectorImNS0_10empty_typeEEEZZNS1_27merge_sort_block_merge_implIS3_N6thrust23THRUST_200600_302600_NS6detail15normal_iteratorINS9_10device_ptrImEEEEPS5_m14custom_greaterImEEE10hipError_tT0_T1_T2_jT3_P12ihipStream_tbPNSt15iterator_traitsISJ_E10value_typeEPNSP_ISK_E10value_typeEPSL_NS1_7vsmem_tEENKUlT_SJ_SK_SL_E_clIPmSE_SF_SF_EESI_SY_SJ_SK_SL_EUlSY_E_NS1_11comp_targetILNS1_3genE4ELNS1_11target_archE910ELNS1_3gpuE8ELNS1_3repE0EEENS1_48merge_mergepath_partition_config_static_selectorELNS0_4arch9wavefront6targetE1EEEvSK_ ; -- Begin function _ZN7rocprim17ROCPRIM_400000_NS6detail17trampoline_kernelINS0_14default_configENS1_38merge_sort_block_merge_config_selectorImNS0_10empty_typeEEEZZNS1_27merge_sort_block_merge_implIS3_N6thrust23THRUST_200600_302600_NS6detail15normal_iteratorINS9_10device_ptrImEEEEPS5_m14custom_greaterImEEE10hipError_tT0_T1_T2_jT3_P12ihipStream_tbPNSt15iterator_traitsISJ_E10value_typeEPNSP_ISK_E10value_typeEPSL_NS1_7vsmem_tEENKUlT_SJ_SK_SL_E_clIPmSE_SF_SF_EESI_SY_SJ_SK_SL_EUlSY_E_NS1_11comp_targetILNS1_3genE4ELNS1_11target_archE910ELNS1_3gpuE8ELNS1_3repE0EEENS1_48merge_mergepath_partition_config_static_selectorELNS0_4arch9wavefront6targetE1EEEvSK_
	.globl	_ZN7rocprim17ROCPRIM_400000_NS6detail17trampoline_kernelINS0_14default_configENS1_38merge_sort_block_merge_config_selectorImNS0_10empty_typeEEEZZNS1_27merge_sort_block_merge_implIS3_N6thrust23THRUST_200600_302600_NS6detail15normal_iteratorINS9_10device_ptrImEEEEPS5_m14custom_greaterImEEE10hipError_tT0_T1_T2_jT3_P12ihipStream_tbPNSt15iterator_traitsISJ_E10value_typeEPNSP_ISK_E10value_typeEPSL_NS1_7vsmem_tEENKUlT_SJ_SK_SL_E_clIPmSE_SF_SF_EESI_SY_SJ_SK_SL_EUlSY_E_NS1_11comp_targetILNS1_3genE4ELNS1_11target_archE910ELNS1_3gpuE8ELNS1_3repE0EEENS1_48merge_mergepath_partition_config_static_selectorELNS0_4arch9wavefront6targetE1EEEvSK_
	.p2align	8
	.type	_ZN7rocprim17ROCPRIM_400000_NS6detail17trampoline_kernelINS0_14default_configENS1_38merge_sort_block_merge_config_selectorImNS0_10empty_typeEEEZZNS1_27merge_sort_block_merge_implIS3_N6thrust23THRUST_200600_302600_NS6detail15normal_iteratorINS9_10device_ptrImEEEEPS5_m14custom_greaterImEEE10hipError_tT0_T1_T2_jT3_P12ihipStream_tbPNSt15iterator_traitsISJ_E10value_typeEPNSP_ISK_E10value_typeEPSL_NS1_7vsmem_tEENKUlT_SJ_SK_SL_E_clIPmSE_SF_SF_EESI_SY_SJ_SK_SL_EUlSY_E_NS1_11comp_targetILNS1_3genE4ELNS1_11target_archE910ELNS1_3gpuE8ELNS1_3repE0EEENS1_48merge_mergepath_partition_config_static_selectorELNS0_4arch9wavefront6targetE1EEEvSK_,@function
_ZN7rocprim17ROCPRIM_400000_NS6detail17trampoline_kernelINS0_14default_configENS1_38merge_sort_block_merge_config_selectorImNS0_10empty_typeEEEZZNS1_27merge_sort_block_merge_implIS3_N6thrust23THRUST_200600_302600_NS6detail15normal_iteratorINS9_10device_ptrImEEEEPS5_m14custom_greaterImEEE10hipError_tT0_T1_T2_jT3_P12ihipStream_tbPNSt15iterator_traitsISJ_E10value_typeEPNSP_ISK_E10value_typeEPSL_NS1_7vsmem_tEENKUlT_SJ_SK_SL_E_clIPmSE_SF_SF_EESI_SY_SJ_SK_SL_EUlSY_E_NS1_11comp_targetILNS1_3genE4ELNS1_11target_archE910ELNS1_3gpuE8ELNS1_3repE0EEENS1_48merge_mergepath_partition_config_static_selectorELNS0_4arch9wavefront6targetE1EEEvSK_: ; @_ZN7rocprim17ROCPRIM_400000_NS6detail17trampoline_kernelINS0_14default_configENS1_38merge_sort_block_merge_config_selectorImNS0_10empty_typeEEEZZNS1_27merge_sort_block_merge_implIS3_N6thrust23THRUST_200600_302600_NS6detail15normal_iteratorINS9_10device_ptrImEEEEPS5_m14custom_greaterImEEE10hipError_tT0_T1_T2_jT3_P12ihipStream_tbPNSt15iterator_traitsISJ_E10value_typeEPNSP_ISK_E10value_typeEPSL_NS1_7vsmem_tEENKUlT_SJ_SK_SL_E_clIPmSE_SF_SF_EESI_SY_SJ_SK_SL_EUlSY_E_NS1_11comp_targetILNS1_3genE4ELNS1_11target_archE910ELNS1_3gpuE8ELNS1_3repE0EEENS1_48merge_mergepath_partition_config_static_selectorELNS0_4arch9wavefront6targetE1EEEvSK_
; %bb.0:
	s_load_dword s0, s[4:5], 0x0
	v_lshl_or_b32 v0, s6, 7, v0
	s_waitcnt lgkmcnt(0)
	v_cmp_gt_u32_e32 vcc, s0, v0
	s_and_saveexec_b64 s[0:1], vcc
	s_cbranch_execz .LBB3316_6
; %bb.1:
	s_load_dwordx4 s[0:3], s[4:5], 0x8
	s_load_dwordx2 s[6:7], s[4:5], 0x28
	v_mov_b32_e32 v5, 0
	s_waitcnt lgkmcnt(0)
	v_mov_b32_e32 v1, s0
	v_alignbit_b32 v1, s1, v1, 9
	v_and_b32_e32 v1, -2, v1
	v_add_u32_e32 v2, -1, v1
	v_sub_u32_e32 v1, 0, v1
	v_and_b32_e32 v4, v0, v1
	v_lshlrev_b64 v[8:9], 10, v[4:5]
	v_mov_b32_e32 v1, s3
	v_cmp_lt_u64_e32 vcc, s[2:3], v[8:9]
	v_mov_b32_e32 v4, s2
	v_and_b32_e32 v6, v2, v0
	v_cndmask_b32_e32 v3, v9, v1, vcc
	v_cndmask_b32_e32 v2, v8, v4, vcc
	v_mov_b32_e32 v7, s1
	v_add_co_u32_e32 v8, vcc, s0, v8
	v_addc_co_u32_e32 v9, vcc, v9, v7, vcc
	v_cmp_lt_u64_e32 vcc, s[2:3], v[8:9]
	v_cndmask_b32_e32 v8, v8, v4, vcc
	v_cndmask_b32_e32 v9, v9, v1, vcc
	v_add_co_u32_e32 v10, vcc, s0, v8
	v_addc_co_u32_e32 v11, vcc, v9, v7, vcc
	v_cmp_lt_u64_e32 vcc, s[2:3], v[10:11]
	v_cndmask_b32_e32 v12, v10, v4, vcc
	v_cndmask_b32_e32 v1, v11, v1, vcc
	v_sub_co_u32_e32 v10, vcc, v12, v2
	v_mov_b32_e32 v7, v5
	v_subb_co_u32_e32 v11, vcc, v1, v3, vcc
	v_lshlrev_b64 v[4:5], 10, v[6:7]
	v_cmp_lt_u64_e32 vcc, v[10:11], v[4:5]
	v_cndmask_b32_e32 v11, v5, v11, vcc
	v_cndmask_b32_e32 v10, v4, v10, vcc
	v_sub_co_u32_e32 v6, vcc, v8, v2
	v_subb_co_u32_e32 v7, vcc, v9, v3, vcc
	v_sub_co_u32_e32 v4, vcc, v8, v12
	v_subb_co_u32_e32 v1, vcc, v9, v1, vcc
	v_add_co_u32_e32 v4, vcc, v10, v4
	v_addc_co_u32_e32 v5, vcc, v11, v1, vcc
	v_cmp_gt_u64_e32 vcc, v[4:5], v[10:11]
	v_cndmask_b32_e64 v5, v5, 0, vcc
	v_cndmask_b32_e64 v4, v4, 0, vcc
	v_cmp_lt_u64_e32 vcc, v[10:11], v[6:7]
	v_cndmask_b32_e32 v7, v7, v11, vcc
	v_cndmask_b32_e32 v6, v6, v10, vcc
	v_cmp_lt_u64_e32 vcc, v[4:5], v[6:7]
	s_and_saveexec_b64 s[0:1], vcc
	s_cbranch_execz .LBB3316_5
; %bb.2:
	s_load_dwordx2 s[2:3], s[4:5], 0x18
	v_lshlrev_b64 v[12:13], 3, v[2:3]
	v_lshlrev_b64 v[8:9], 3, v[8:9]
	s_waitcnt lgkmcnt(0)
	v_mov_b32_e32 v14, s3
	v_add_co_u32_e32 v1, vcc, s2, v12
	v_addc_co_u32_e32 v12, vcc, v14, v13, vcc
	v_add_co_u32_e32 v13, vcc, s2, v8
	v_addc_co_u32_e32 v14, vcc, v14, v9, vcc
	v_lshlrev_b64 v[8:9], 3, v[10:11]
	v_add_co_u32_e32 v8, vcc, v13, v8
	v_addc_co_u32_e32 v9, vcc, v14, v9, vcc
	s_mov_b64 s[2:3], 0
.LBB3316_3:                             ; =>This Inner Loop Header: Depth=1
	v_add_co_u32_e32 v10, vcc, v6, v4
	v_addc_co_u32_e32 v11, vcc, v7, v5, vcc
	v_lshrrev_b64 v[10:11], 1, v[10:11]
	v_lshlrev_b64 v[16:17], 3, v[10:11]
	v_not_b32_e32 v15, v11
	v_not_b32_e32 v14, v10
	v_add_co_u32_e32 v16, vcc, v1, v16
	v_addc_co_u32_e32 v17, vcc, v12, v17, vcc
	v_lshlrev_b64 v[14:15], 3, v[14:15]
	v_add_co_u32_e32 v14, vcc, v8, v14
	v_addc_co_u32_e32 v15, vcc, v9, v15, vcc
	global_load_dwordx2 v[18:19], v[16:17], off
	global_load_dwordx2 v[20:21], v[14:15], off
	v_add_co_u32_e32 v13, vcc, 1, v10
	v_addc_co_u32_e32 v14, vcc, 0, v11, vcc
	s_waitcnt vmcnt(0)
	v_cmp_gt_u64_e32 vcc, v[18:19], v[20:21]
	v_cndmask_b32_e32 v7, v7, v11, vcc
	v_cndmask_b32_e32 v6, v6, v10, vcc
	;; [unrolled: 1-line block ×4, first 2 shown]
	v_cmp_ge_u64_e32 vcc, v[4:5], v[6:7]
	s_or_b64 s[2:3], vcc, s[2:3]
	s_andn2_b64 exec, exec, s[2:3]
	s_cbranch_execnz .LBB3316_3
; %bb.4:
	s_or_b64 exec, exec, s[2:3]
.LBB3316_5:
	s_or_b64 exec, exec, s[0:1]
	v_add_co_u32_e32 v2, vcc, v4, v2
	v_mov_b32_e32 v1, 0
	v_addc_co_u32_e32 v3, vcc, v5, v3, vcc
	v_lshlrev_b64 v[0:1], 3, v[0:1]
	v_mov_b32_e32 v4, s7
	v_add_co_u32_e32 v0, vcc, s6, v0
	v_addc_co_u32_e32 v1, vcc, v4, v1, vcc
	global_store_dwordx2 v[0:1], v[2:3], off
.LBB3316_6:
	s_endpgm
	.section	.rodata,"a",@progbits
	.p2align	6, 0x0
	.amdhsa_kernel _ZN7rocprim17ROCPRIM_400000_NS6detail17trampoline_kernelINS0_14default_configENS1_38merge_sort_block_merge_config_selectorImNS0_10empty_typeEEEZZNS1_27merge_sort_block_merge_implIS3_N6thrust23THRUST_200600_302600_NS6detail15normal_iteratorINS9_10device_ptrImEEEEPS5_m14custom_greaterImEEE10hipError_tT0_T1_T2_jT3_P12ihipStream_tbPNSt15iterator_traitsISJ_E10value_typeEPNSP_ISK_E10value_typeEPSL_NS1_7vsmem_tEENKUlT_SJ_SK_SL_E_clIPmSE_SF_SF_EESI_SY_SJ_SK_SL_EUlSY_E_NS1_11comp_targetILNS1_3genE4ELNS1_11target_archE910ELNS1_3gpuE8ELNS1_3repE0EEENS1_48merge_mergepath_partition_config_static_selectorELNS0_4arch9wavefront6targetE1EEEvSK_
		.amdhsa_group_segment_fixed_size 0
		.amdhsa_private_segment_fixed_size 0
		.amdhsa_kernarg_size 48
		.amdhsa_user_sgpr_count 6
		.amdhsa_user_sgpr_private_segment_buffer 1
		.amdhsa_user_sgpr_dispatch_ptr 0
		.amdhsa_user_sgpr_queue_ptr 0
		.amdhsa_user_sgpr_kernarg_segment_ptr 1
		.amdhsa_user_sgpr_dispatch_id 0
		.amdhsa_user_sgpr_flat_scratch_init 0
		.amdhsa_user_sgpr_kernarg_preload_length 0
		.amdhsa_user_sgpr_kernarg_preload_offset 0
		.amdhsa_user_sgpr_private_segment_size 0
		.amdhsa_uses_dynamic_stack 0
		.amdhsa_system_sgpr_private_segment_wavefront_offset 0
		.amdhsa_system_sgpr_workgroup_id_x 1
		.amdhsa_system_sgpr_workgroup_id_y 0
		.amdhsa_system_sgpr_workgroup_id_z 0
		.amdhsa_system_sgpr_workgroup_info 0
		.amdhsa_system_vgpr_workitem_id 0
		.amdhsa_next_free_vgpr 22
		.amdhsa_next_free_sgpr 8
		.amdhsa_accum_offset 24
		.amdhsa_reserve_vcc 1
		.amdhsa_reserve_flat_scratch 0
		.amdhsa_float_round_mode_32 0
		.amdhsa_float_round_mode_16_64 0
		.amdhsa_float_denorm_mode_32 3
		.amdhsa_float_denorm_mode_16_64 3
		.amdhsa_dx10_clamp 1
		.amdhsa_ieee_mode 1
		.amdhsa_fp16_overflow 0
		.amdhsa_tg_split 0
		.amdhsa_exception_fp_ieee_invalid_op 0
		.amdhsa_exception_fp_denorm_src 0
		.amdhsa_exception_fp_ieee_div_zero 0
		.amdhsa_exception_fp_ieee_overflow 0
		.amdhsa_exception_fp_ieee_underflow 0
		.amdhsa_exception_fp_ieee_inexact 0
		.amdhsa_exception_int_div_zero 0
	.end_amdhsa_kernel
	.section	.text._ZN7rocprim17ROCPRIM_400000_NS6detail17trampoline_kernelINS0_14default_configENS1_38merge_sort_block_merge_config_selectorImNS0_10empty_typeEEEZZNS1_27merge_sort_block_merge_implIS3_N6thrust23THRUST_200600_302600_NS6detail15normal_iteratorINS9_10device_ptrImEEEEPS5_m14custom_greaterImEEE10hipError_tT0_T1_T2_jT3_P12ihipStream_tbPNSt15iterator_traitsISJ_E10value_typeEPNSP_ISK_E10value_typeEPSL_NS1_7vsmem_tEENKUlT_SJ_SK_SL_E_clIPmSE_SF_SF_EESI_SY_SJ_SK_SL_EUlSY_E_NS1_11comp_targetILNS1_3genE4ELNS1_11target_archE910ELNS1_3gpuE8ELNS1_3repE0EEENS1_48merge_mergepath_partition_config_static_selectorELNS0_4arch9wavefront6targetE1EEEvSK_,"axG",@progbits,_ZN7rocprim17ROCPRIM_400000_NS6detail17trampoline_kernelINS0_14default_configENS1_38merge_sort_block_merge_config_selectorImNS0_10empty_typeEEEZZNS1_27merge_sort_block_merge_implIS3_N6thrust23THRUST_200600_302600_NS6detail15normal_iteratorINS9_10device_ptrImEEEEPS5_m14custom_greaterImEEE10hipError_tT0_T1_T2_jT3_P12ihipStream_tbPNSt15iterator_traitsISJ_E10value_typeEPNSP_ISK_E10value_typeEPSL_NS1_7vsmem_tEENKUlT_SJ_SK_SL_E_clIPmSE_SF_SF_EESI_SY_SJ_SK_SL_EUlSY_E_NS1_11comp_targetILNS1_3genE4ELNS1_11target_archE910ELNS1_3gpuE8ELNS1_3repE0EEENS1_48merge_mergepath_partition_config_static_selectorELNS0_4arch9wavefront6targetE1EEEvSK_,comdat
.Lfunc_end3316:
	.size	_ZN7rocprim17ROCPRIM_400000_NS6detail17trampoline_kernelINS0_14default_configENS1_38merge_sort_block_merge_config_selectorImNS0_10empty_typeEEEZZNS1_27merge_sort_block_merge_implIS3_N6thrust23THRUST_200600_302600_NS6detail15normal_iteratorINS9_10device_ptrImEEEEPS5_m14custom_greaterImEEE10hipError_tT0_T1_T2_jT3_P12ihipStream_tbPNSt15iterator_traitsISJ_E10value_typeEPNSP_ISK_E10value_typeEPSL_NS1_7vsmem_tEENKUlT_SJ_SK_SL_E_clIPmSE_SF_SF_EESI_SY_SJ_SK_SL_EUlSY_E_NS1_11comp_targetILNS1_3genE4ELNS1_11target_archE910ELNS1_3gpuE8ELNS1_3repE0EEENS1_48merge_mergepath_partition_config_static_selectorELNS0_4arch9wavefront6targetE1EEEvSK_, .Lfunc_end3316-_ZN7rocprim17ROCPRIM_400000_NS6detail17trampoline_kernelINS0_14default_configENS1_38merge_sort_block_merge_config_selectorImNS0_10empty_typeEEEZZNS1_27merge_sort_block_merge_implIS3_N6thrust23THRUST_200600_302600_NS6detail15normal_iteratorINS9_10device_ptrImEEEEPS5_m14custom_greaterImEEE10hipError_tT0_T1_T2_jT3_P12ihipStream_tbPNSt15iterator_traitsISJ_E10value_typeEPNSP_ISK_E10value_typeEPSL_NS1_7vsmem_tEENKUlT_SJ_SK_SL_E_clIPmSE_SF_SF_EESI_SY_SJ_SK_SL_EUlSY_E_NS1_11comp_targetILNS1_3genE4ELNS1_11target_archE910ELNS1_3gpuE8ELNS1_3repE0EEENS1_48merge_mergepath_partition_config_static_selectorELNS0_4arch9wavefront6targetE1EEEvSK_
                                        ; -- End function
	.section	.AMDGPU.csdata,"",@progbits
; Kernel info:
; codeLenInByte = 500
; NumSgprs: 12
; NumVgprs: 22
; NumAgprs: 0
; TotalNumVgprs: 22
; ScratchSize: 0
; MemoryBound: 0
; FloatMode: 240
; IeeeMode: 1
; LDSByteSize: 0 bytes/workgroup (compile time only)
; SGPRBlocks: 1
; VGPRBlocks: 2
; NumSGPRsForWavesPerEU: 12
; NumVGPRsForWavesPerEU: 22
; AccumOffset: 24
; Occupancy: 8
; WaveLimiterHint : 0
; COMPUTE_PGM_RSRC2:SCRATCH_EN: 0
; COMPUTE_PGM_RSRC2:USER_SGPR: 6
; COMPUTE_PGM_RSRC2:TRAP_HANDLER: 0
; COMPUTE_PGM_RSRC2:TGID_X_EN: 1
; COMPUTE_PGM_RSRC2:TGID_Y_EN: 0
; COMPUTE_PGM_RSRC2:TGID_Z_EN: 0
; COMPUTE_PGM_RSRC2:TIDIG_COMP_CNT: 0
; COMPUTE_PGM_RSRC3_GFX90A:ACCUM_OFFSET: 5
; COMPUTE_PGM_RSRC3_GFX90A:TG_SPLIT: 0
	.section	.text._ZN7rocprim17ROCPRIM_400000_NS6detail17trampoline_kernelINS0_14default_configENS1_38merge_sort_block_merge_config_selectorImNS0_10empty_typeEEEZZNS1_27merge_sort_block_merge_implIS3_N6thrust23THRUST_200600_302600_NS6detail15normal_iteratorINS9_10device_ptrImEEEEPS5_m14custom_greaterImEEE10hipError_tT0_T1_T2_jT3_P12ihipStream_tbPNSt15iterator_traitsISJ_E10value_typeEPNSP_ISK_E10value_typeEPSL_NS1_7vsmem_tEENKUlT_SJ_SK_SL_E_clIPmSE_SF_SF_EESI_SY_SJ_SK_SL_EUlSY_E_NS1_11comp_targetILNS1_3genE3ELNS1_11target_archE908ELNS1_3gpuE7ELNS1_3repE0EEENS1_48merge_mergepath_partition_config_static_selectorELNS0_4arch9wavefront6targetE1EEEvSK_,"axG",@progbits,_ZN7rocprim17ROCPRIM_400000_NS6detail17trampoline_kernelINS0_14default_configENS1_38merge_sort_block_merge_config_selectorImNS0_10empty_typeEEEZZNS1_27merge_sort_block_merge_implIS3_N6thrust23THRUST_200600_302600_NS6detail15normal_iteratorINS9_10device_ptrImEEEEPS5_m14custom_greaterImEEE10hipError_tT0_T1_T2_jT3_P12ihipStream_tbPNSt15iterator_traitsISJ_E10value_typeEPNSP_ISK_E10value_typeEPSL_NS1_7vsmem_tEENKUlT_SJ_SK_SL_E_clIPmSE_SF_SF_EESI_SY_SJ_SK_SL_EUlSY_E_NS1_11comp_targetILNS1_3genE3ELNS1_11target_archE908ELNS1_3gpuE7ELNS1_3repE0EEENS1_48merge_mergepath_partition_config_static_selectorELNS0_4arch9wavefront6targetE1EEEvSK_,comdat
	.protected	_ZN7rocprim17ROCPRIM_400000_NS6detail17trampoline_kernelINS0_14default_configENS1_38merge_sort_block_merge_config_selectorImNS0_10empty_typeEEEZZNS1_27merge_sort_block_merge_implIS3_N6thrust23THRUST_200600_302600_NS6detail15normal_iteratorINS9_10device_ptrImEEEEPS5_m14custom_greaterImEEE10hipError_tT0_T1_T2_jT3_P12ihipStream_tbPNSt15iterator_traitsISJ_E10value_typeEPNSP_ISK_E10value_typeEPSL_NS1_7vsmem_tEENKUlT_SJ_SK_SL_E_clIPmSE_SF_SF_EESI_SY_SJ_SK_SL_EUlSY_E_NS1_11comp_targetILNS1_3genE3ELNS1_11target_archE908ELNS1_3gpuE7ELNS1_3repE0EEENS1_48merge_mergepath_partition_config_static_selectorELNS0_4arch9wavefront6targetE1EEEvSK_ ; -- Begin function _ZN7rocprim17ROCPRIM_400000_NS6detail17trampoline_kernelINS0_14default_configENS1_38merge_sort_block_merge_config_selectorImNS0_10empty_typeEEEZZNS1_27merge_sort_block_merge_implIS3_N6thrust23THRUST_200600_302600_NS6detail15normal_iteratorINS9_10device_ptrImEEEEPS5_m14custom_greaterImEEE10hipError_tT0_T1_T2_jT3_P12ihipStream_tbPNSt15iterator_traitsISJ_E10value_typeEPNSP_ISK_E10value_typeEPSL_NS1_7vsmem_tEENKUlT_SJ_SK_SL_E_clIPmSE_SF_SF_EESI_SY_SJ_SK_SL_EUlSY_E_NS1_11comp_targetILNS1_3genE3ELNS1_11target_archE908ELNS1_3gpuE7ELNS1_3repE0EEENS1_48merge_mergepath_partition_config_static_selectorELNS0_4arch9wavefront6targetE1EEEvSK_
	.globl	_ZN7rocprim17ROCPRIM_400000_NS6detail17trampoline_kernelINS0_14default_configENS1_38merge_sort_block_merge_config_selectorImNS0_10empty_typeEEEZZNS1_27merge_sort_block_merge_implIS3_N6thrust23THRUST_200600_302600_NS6detail15normal_iteratorINS9_10device_ptrImEEEEPS5_m14custom_greaterImEEE10hipError_tT0_T1_T2_jT3_P12ihipStream_tbPNSt15iterator_traitsISJ_E10value_typeEPNSP_ISK_E10value_typeEPSL_NS1_7vsmem_tEENKUlT_SJ_SK_SL_E_clIPmSE_SF_SF_EESI_SY_SJ_SK_SL_EUlSY_E_NS1_11comp_targetILNS1_3genE3ELNS1_11target_archE908ELNS1_3gpuE7ELNS1_3repE0EEENS1_48merge_mergepath_partition_config_static_selectorELNS0_4arch9wavefront6targetE1EEEvSK_
	.p2align	8
	.type	_ZN7rocprim17ROCPRIM_400000_NS6detail17trampoline_kernelINS0_14default_configENS1_38merge_sort_block_merge_config_selectorImNS0_10empty_typeEEEZZNS1_27merge_sort_block_merge_implIS3_N6thrust23THRUST_200600_302600_NS6detail15normal_iteratorINS9_10device_ptrImEEEEPS5_m14custom_greaterImEEE10hipError_tT0_T1_T2_jT3_P12ihipStream_tbPNSt15iterator_traitsISJ_E10value_typeEPNSP_ISK_E10value_typeEPSL_NS1_7vsmem_tEENKUlT_SJ_SK_SL_E_clIPmSE_SF_SF_EESI_SY_SJ_SK_SL_EUlSY_E_NS1_11comp_targetILNS1_3genE3ELNS1_11target_archE908ELNS1_3gpuE7ELNS1_3repE0EEENS1_48merge_mergepath_partition_config_static_selectorELNS0_4arch9wavefront6targetE1EEEvSK_,@function
_ZN7rocprim17ROCPRIM_400000_NS6detail17trampoline_kernelINS0_14default_configENS1_38merge_sort_block_merge_config_selectorImNS0_10empty_typeEEEZZNS1_27merge_sort_block_merge_implIS3_N6thrust23THRUST_200600_302600_NS6detail15normal_iteratorINS9_10device_ptrImEEEEPS5_m14custom_greaterImEEE10hipError_tT0_T1_T2_jT3_P12ihipStream_tbPNSt15iterator_traitsISJ_E10value_typeEPNSP_ISK_E10value_typeEPSL_NS1_7vsmem_tEENKUlT_SJ_SK_SL_E_clIPmSE_SF_SF_EESI_SY_SJ_SK_SL_EUlSY_E_NS1_11comp_targetILNS1_3genE3ELNS1_11target_archE908ELNS1_3gpuE7ELNS1_3repE0EEENS1_48merge_mergepath_partition_config_static_selectorELNS0_4arch9wavefront6targetE1EEEvSK_: ; @_ZN7rocprim17ROCPRIM_400000_NS6detail17trampoline_kernelINS0_14default_configENS1_38merge_sort_block_merge_config_selectorImNS0_10empty_typeEEEZZNS1_27merge_sort_block_merge_implIS3_N6thrust23THRUST_200600_302600_NS6detail15normal_iteratorINS9_10device_ptrImEEEEPS5_m14custom_greaterImEEE10hipError_tT0_T1_T2_jT3_P12ihipStream_tbPNSt15iterator_traitsISJ_E10value_typeEPNSP_ISK_E10value_typeEPSL_NS1_7vsmem_tEENKUlT_SJ_SK_SL_E_clIPmSE_SF_SF_EESI_SY_SJ_SK_SL_EUlSY_E_NS1_11comp_targetILNS1_3genE3ELNS1_11target_archE908ELNS1_3gpuE7ELNS1_3repE0EEENS1_48merge_mergepath_partition_config_static_selectorELNS0_4arch9wavefront6targetE1EEEvSK_
; %bb.0:
	.section	.rodata,"a",@progbits
	.p2align	6, 0x0
	.amdhsa_kernel _ZN7rocprim17ROCPRIM_400000_NS6detail17trampoline_kernelINS0_14default_configENS1_38merge_sort_block_merge_config_selectorImNS0_10empty_typeEEEZZNS1_27merge_sort_block_merge_implIS3_N6thrust23THRUST_200600_302600_NS6detail15normal_iteratorINS9_10device_ptrImEEEEPS5_m14custom_greaterImEEE10hipError_tT0_T1_T2_jT3_P12ihipStream_tbPNSt15iterator_traitsISJ_E10value_typeEPNSP_ISK_E10value_typeEPSL_NS1_7vsmem_tEENKUlT_SJ_SK_SL_E_clIPmSE_SF_SF_EESI_SY_SJ_SK_SL_EUlSY_E_NS1_11comp_targetILNS1_3genE3ELNS1_11target_archE908ELNS1_3gpuE7ELNS1_3repE0EEENS1_48merge_mergepath_partition_config_static_selectorELNS0_4arch9wavefront6targetE1EEEvSK_
		.amdhsa_group_segment_fixed_size 0
		.amdhsa_private_segment_fixed_size 0
		.amdhsa_kernarg_size 48
		.amdhsa_user_sgpr_count 6
		.amdhsa_user_sgpr_private_segment_buffer 1
		.amdhsa_user_sgpr_dispatch_ptr 0
		.amdhsa_user_sgpr_queue_ptr 0
		.amdhsa_user_sgpr_kernarg_segment_ptr 1
		.amdhsa_user_sgpr_dispatch_id 0
		.amdhsa_user_sgpr_flat_scratch_init 0
		.amdhsa_user_sgpr_kernarg_preload_length 0
		.amdhsa_user_sgpr_kernarg_preload_offset 0
		.amdhsa_user_sgpr_private_segment_size 0
		.amdhsa_uses_dynamic_stack 0
		.amdhsa_system_sgpr_private_segment_wavefront_offset 0
		.amdhsa_system_sgpr_workgroup_id_x 1
		.amdhsa_system_sgpr_workgroup_id_y 0
		.amdhsa_system_sgpr_workgroup_id_z 0
		.amdhsa_system_sgpr_workgroup_info 0
		.amdhsa_system_vgpr_workitem_id 0
		.amdhsa_next_free_vgpr 1
		.amdhsa_next_free_sgpr 0
		.amdhsa_accum_offset 4
		.amdhsa_reserve_vcc 0
		.amdhsa_reserve_flat_scratch 0
		.amdhsa_float_round_mode_32 0
		.amdhsa_float_round_mode_16_64 0
		.amdhsa_float_denorm_mode_32 3
		.amdhsa_float_denorm_mode_16_64 3
		.amdhsa_dx10_clamp 1
		.amdhsa_ieee_mode 1
		.amdhsa_fp16_overflow 0
		.amdhsa_tg_split 0
		.amdhsa_exception_fp_ieee_invalid_op 0
		.amdhsa_exception_fp_denorm_src 0
		.amdhsa_exception_fp_ieee_div_zero 0
		.amdhsa_exception_fp_ieee_overflow 0
		.amdhsa_exception_fp_ieee_underflow 0
		.amdhsa_exception_fp_ieee_inexact 0
		.amdhsa_exception_int_div_zero 0
	.end_amdhsa_kernel
	.section	.text._ZN7rocprim17ROCPRIM_400000_NS6detail17trampoline_kernelINS0_14default_configENS1_38merge_sort_block_merge_config_selectorImNS0_10empty_typeEEEZZNS1_27merge_sort_block_merge_implIS3_N6thrust23THRUST_200600_302600_NS6detail15normal_iteratorINS9_10device_ptrImEEEEPS5_m14custom_greaterImEEE10hipError_tT0_T1_T2_jT3_P12ihipStream_tbPNSt15iterator_traitsISJ_E10value_typeEPNSP_ISK_E10value_typeEPSL_NS1_7vsmem_tEENKUlT_SJ_SK_SL_E_clIPmSE_SF_SF_EESI_SY_SJ_SK_SL_EUlSY_E_NS1_11comp_targetILNS1_3genE3ELNS1_11target_archE908ELNS1_3gpuE7ELNS1_3repE0EEENS1_48merge_mergepath_partition_config_static_selectorELNS0_4arch9wavefront6targetE1EEEvSK_,"axG",@progbits,_ZN7rocprim17ROCPRIM_400000_NS6detail17trampoline_kernelINS0_14default_configENS1_38merge_sort_block_merge_config_selectorImNS0_10empty_typeEEEZZNS1_27merge_sort_block_merge_implIS3_N6thrust23THRUST_200600_302600_NS6detail15normal_iteratorINS9_10device_ptrImEEEEPS5_m14custom_greaterImEEE10hipError_tT0_T1_T2_jT3_P12ihipStream_tbPNSt15iterator_traitsISJ_E10value_typeEPNSP_ISK_E10value_typeEPSL_NS1_7vsmem_tEENKUlT_SJ_SK_SL_E_clIPmSE_SF_SF_EESI_SY_SJ_SK_SL_EUlSY_E_NS1_11comp_targetILNS1_3genE3ELNS1_11target_archE908ELNS1_3gpuE7ELNS1_3repE0EEENS1_48merge_mergepath_partition_config_static_selectorELNS0_4arch9wavefront6targetE1EEEvSK_,comdat
.Lfunc_end3317:
	.size	_ZN7rocprim17ROCPRIM_400000_NS6detail17trampoline_kernelINS0_14default_configENS1_38merge_sort_block_merge_config_selectorImNS0_10empty_typeEEEZZNS1_27merge_sort_block_merge_implIS3_N6thrust23THRUST_200600_302600_NS6detail15normal_iteratorINS9_10device_ptrImEEEEPS5_m14custom_greaterImEEE10hipError_tT0_T1_T2_jT3_P12ihipStream_tbPNSt15iterator_traitsISJ_E10value_typeEPNSP_ISK_E10value_typeEPSL_NS1_7vsmem_tEENKUlT_SJ_SK_SL_E_clIPmSE_SF_SF_EESI_SY_SJ_SK_SL_EUlSY_E_NS1_11comp_targetILNS1_3genE3ELNS1_11target_archE908ELNS1_3gpuE7ELNS1_3repE0EEENS1_48merge_mergepath_partition_config_static_selectorELNS0_4arch9wavefront6targetE1EEEvSK_, .Lfunc_end3317-_ZN7rocprim17ROCPRIM_400000_NS6detail17trampoline_kernelINS0_14default_configENS1_38merge_sort_block_merge_config_selectorImNS0_10empty_typeEEEZZNS1_27merge_sort_block_merge_implIS3_N6thrust23THRUST_200600_302600_NS6detail15normal_iteratorINS9_10device_ptrImEEEEPS5_m14custom_greaterImEEE10hipError_tT0_T1_T2_jT3_P12ihipStream_tbPNSt15iterator_traitsISJ_E10value_typeEPNSP_ISK_E10value_typeEPSL_NS1_7vsmem_tEENKUlT_SJ_SK_SL_E_clIPmSE_SF_SF_EESI_SY_SJ_SK_SL_EUlSY_E_NS1_11comp_targetILNS1_3genE3ELNS1_11target_archE908ELNS1_3gpuE7ELNS1_3repE0EEENS1_48merge_mergepath_partition_config_static_selectorELNS0_4arch9wavefront6targetE1EEEvSK_
                                        ; -- End function
	.section	.AMDGPU.csdata,"",@progbits
; Kernel info:
; codeLenInByte = 0
; NumSgprs: 4
; NumVgprs: 0
; NumAgprs: 0
; TotalNumVgprs: 0
; ScratchSize: 0
; MemoryBound: 0
; FloatMode: 240
; IeeeMode: 1
; LDSByteSize: 0 bytes/workgroup (compile time only)
; SGPRBlocks: 0
; VGPRBlocks: 0
; NumSGPRsForWavesPerEU: 4
; NumVGPRsForWavesPerEU: 1
; AccumOffset: 4
; Occupancy: 8
; WaveLimiterHint : 0
; COMPUTE_PGM_RSRC2:SCRATCH_EN: 0
; COMPUTE_PGM_RSRC2:USER_SGPR: 6
; COMPUTE_PGM_RSRC2:TRAP_HANDLER: 0
; COMPUTE_PGM_RSRC2:TGID_X_EN: 1
; COMPUTE_PGM_RSRC2:TGID_Y_EN: 0
; COMPUTE_PGM_RSRC2:TGID_Z_EN: 0
; COMPUTE_PGM_RSRC2:TIDIG_COMP_CNT: 0
; COMPUTE_PGM_RSRC3_GFX90A:ACCUM_OFFSET: 0
; COMPUTE_PGM_RSRC3_GFX90A:TG_SPLIT: 0
	.section	.text._ZN7rocprim17ROCPRIM_400000_NS6detail17trampoline_kernelINS0_14default_configENS1_38merge_sort_block_merge_config_selectorImNS0_10empty_typeEEEZZNS1_27merge_sort_block_merge_implIS3_N6thrust23THRUST_200600_302600_NS6detail15normal_iteratorINS9_10device_ptrImEEEEPS5_m14custom_greaterImEEE10hipError_tT0_T1_T2_jT3_P12ihipStream_tbPNSt15iterator_traitsISJ_E10value_typeEPNSP_ISK_E10value_typeEPSL_NS1_7vsmem_tEENKUlT_SJ_SK_SL_E_clIPmSE_SF_SF_EESI_SY_SJ_SK_SL_EUlSY_E_NS1_11comp_targetILNS1_3genE2ELNS1_11target_archE906ELNS1_3gpuE6ELNS1_3repE0EEENS1_48merge_mergepath_partition_config_static_selectorELNS0_4arch9wavefront6targetE1EEEvSK_,"axG",@progbits,_ZN7rocprim17ROCPRIM_400000_NS6detail17trampoline_kernelINS0_14default_configENS1_38merge_sort_block_merge_config_selectorImNS0_10empty_typeEEEZZNS1_27merge_sort_block_merge_implIS3_N6thrust23THRUST_200600_302600_NS6detail15normal_iteratorINS9_10device_ptrImEEEEPS5_m14custom_greaterImEEE10hipError_tT0_T1_T2_jT3_P12ihipStream_tbPNSt15iterator_traitsISJ_E10value_typeEPNSP_ISK_E10value_typeEPSL_NS1_7vsmem_tEENKUlT_SJ_SK_SL_E_clIPmSE_SF_SF_EESI_SY_SJ_SK_SL_EUlSY_E_NS1_11comp_targetILNS1_3genE2ELNS1_11target_archE906ELNS1_3gpuE6ELNS1_3repE0EEENS1_48merge_mergepath_partition_config_static_selectorELNS0_4arch9wavefront6targetE1EEEvSK_,comdat
	.protected	_ZN7rocprim17ROCPRIM_400000_NS6detail17trampoline_kernelINS0_14default_configENS1_38merge_sort_block_merge_config_selectorImNS0_10empty_typeEEEZZNS1_27merge_sort_block_merge_implIS3_N6thrust23THRUST_200600_302600_NS6detail15normal_iteratorINS9_10device_ptrImEEEEPS5_m14custom_greaterImEEE10hipError_tT0_T1_T2_jT3_P12ihipStream_tbPNSt15iterator_traitsISJ_E10value_typeEPNSP_ISK_E10value_typeEPSL_NS1_7vsmem_tEENKUlT_SJ_SK_SL_E_clIPmSE_SF_SF_EESI_SY_SJ_SK_SL_EUlSY_E_NS1_11comp_targetILNS1_3genE2ELNS1_11target_archE906ELNS1_3gpuE6ELNS1_3repE0EEENS1_48merge_mergepath_partition_config_static_selectorELNS0_4arch9wavefront6targetE1EEEvSK_ ; -- Begin function _ZN7rocprim17ROCPRIM_400000_NS6detail17trampoline_kernelINS0_14default_configENS1_38merge_sort_block_merge_config_selectorImNS0_10empty_typeEEEZZNS1_27merge_sort_block_merge_implIS3_N6thrust23THRUST_200600_302600_NS6detail15normal_iteratorINS9_10device_ptrImEEEEPS5_m14custom_greaterImEEE10hipError_tT0_T1_T2_jT3_P12ihipStream_tbPNSt15iterator_traitsISJ_E10value_typeEPNSP_ISK_E10value_typeEPSL_NS1_7vsmem_tEENKUlT_SJ_SK_SL_E_clIPmSE_SF_SF_EESI_SY_SJ_SK_SL_EUlSY_E_NS1_11comp_targetILNS1_3genE2ELNS1_11target_archE906ELNS1_3gpuE6ELNS1_3repE0EEENS1_48merge_mergepath_partition_config_static_selectorELNS0_4arch9wavefront6targetE1EEEvSK_
	.globl	_ZN7rocprim17ROCPRIM_400000_NS6detail17trampoline_kernelINS0_14default_configENS1_38merge_sort_block_merge_config_selectorImNS0_10empty_typeEEEZZNS1_27merge_sort_block_merge_implIS3_N6thrust23THRUST_200600_302600_NS6detail15normal_iteratorINS9_10device_ptrImEEEEPS5_m14custom_greaterImEEE10hipError_tT0_T1_T2_jT3_P12ihipStream_tbPNSt15iterator_traitsISJ_E10value_typeEPNSP_ISK_E10value_typeEPSL_NS1_7vsmem_tEENKUlT_SJ_SK_SL_E_clIPmSE_SF_SF_EESI_SY_SJ_SK_SL_EUlSY_E_NS1_11comp_targetILNS1_3genE2ELNS1_11target_archE906ELNS1_3gpuE6ELNS1_3repE0EEENS1_48merge_mergepath_partition_config_static_selectorELNS0_4arch9wavefront6targetE1EEEvSK_
	.p2align	8
	.type	_ZN7rocprim17ROCPRIM_400000_NS6detail17trampoline_kernelINS0_14default_configENS1_38merge_sort_block_merge_config_selectorImNS0_10empty_typeEEEZZNS1_27merge_sort_block_merge_implIS3_N6thrust23THRUST_200600_302600_NS6detail15normal_iteratorINS9_10device_ptrImEEEEPS5_m14custom_greaterImEEE10hipError_tT0_T1_T2_jT3_P12ihipStream_tbPNSt15iterator_traitsISJ_E10value_typeEPNSP_ISK_E10value_typeEPSL_NS1_7vsmem_tEENKUlT_SJ_SK_SL_E_clIPmSE_SF_SF_EESI_SY_SJ_SK_SL_EUlSY_E_NS1_11comp_targetILNS1_3genE2ELNS1_11target_archE906ELNS1_3gpuE6ELNS1_3repE0EEENS1_48merge_mergepath_partition_config_static_selectorELNS0_4arch9wavefront6targetE1EEEvSK_,@function
_ZN7rocprim17ROCPRIM_400000_NS6detail17trampoline_kernelINS0_14default_configENS1_38merge_sort_block_merge_config_selectorImNS0_10empty_typeEEEZZNS1_27merge_sort_block_merge_implIS3_N6thrust23THRUST_200600_302600_NS6detail15normal_iteratorINS9_10device_ptrImEEEEPS5_m14custom_greaterImEEE10hipError_tT0_T1_T2_jT3_P12ihipStream_tbPNSt15iterator_traitsISJ_E10value_typeEPNSP_ISK_E10value_typeEPSL_NS1_7vsmem_tEENKUlT_SJ_SK_SL_E_clIPmSE_SF_SF_EESI_SY_SJ_SK_SL_EUlSY_E_NS1_11comp_targetILNS1_3genE2ELNS1_11target_archE906ELNS1_3gpuE6ELNS1_3repE0EEENS1_48merge_mergepath_partition_config_static_selectorELNS0_4arch9wavefront6targetE1EEEvSK_: ; @_ZN7rocprim17ROCPRIM_400000_NS6detail17trampoline_kernelINS0_14default_configENS1_38merge_sort_block_merge_config_selectorImNS0_10empty_typeEEEZZNS1_27merge_sort_block_merge_implIS3_N6thrust23THRUST_200600_302600_NS6detail15normal_iteratorINS9_10device_ptrImEEEEPS5_m14custom_greaterImEEE10hipError_tT0_T1_T2_jT3_P12ihipStream_tbPNSt15iterator_traitsISJ_E10value_typeEPNSP_ISK_E10value_typeEPSL_NS1_7vsmem_tEENKUlT_SJ_SK_SL_E_clIPmSE_SF_SF_EESI_SY_SJ_SK_SL_EUlSY_E_NS1_11comp_targetILNS1_3genE2ELNS1_11target_archE906ELNS1_3gpuE6ELNS1_3repE0EEENS1_48merge_mergepath_partition_config_static_selectorELNS0_4arch9wavefront6targetE1EEEvSK_
; %bb.0:
	.section	.rodata,"a",@progbits
	.p2align	6, 0x0
	.amdhsa_kernel _ZN7rocprim17ROCPRIM_400000_NS6detail17trampoline_kernelINS0_14default_configENS1_38merge_sort_block_merge_config_selectorImNS0_10empty_typeEEEZZNS1_27merge_sort_block_merge_implIS3_N6thrust23THRUST_200600_302600_NS6detail15normal_iteratorINS9_10device_ptrImEEEEPS5_m14custom_greaterImEEE10hipError_tT0_T1_T2_jT3_P12ihipStream_tbPNSt15iterator_traitsISJ_E10value_typeEPNSP_ISK_E10value_typeEPSL_NS1_7vsmem_tEENKUlT_SJ_SK_SL_E_clIPmSE_SF_SF_EESI_SY_SJ_SK_SL_EUlSY_E_NS1_11comp_targetILNS1_3genE2ELNS1_11target_archE906ELNS1_3gpuE6ELNS1_3repE0EEENS1_48merge_mergepath_partition_config_static_selectorELNS0_4arch9wavefront6targetE1EEEvSK_
		.amdhsa_group_segment_fixed_size 0
		.amdhsa_private_segment_fixed_size 0
		.amdhsa_kernarg_size 48
		.amdhsa_user_sgpr_count 6
		.amdhsa_user_sgpr_private_segment_buffer 1
		.amdhsa_user_sgpr_dispatch_ptr 0
		.amdhsa_user_sgpr_queue_ptr 0
		.amdhsa_user_sgpr_kernarg_segment_ptr 1
		.amdhsa_user_sgpr_dispatch_id 0
		.amdhsa_user_sgpr_flat_scratch_init 0
		.amdhsa_user_sgpr_kernarg_preload_length 0
		.amdhsa_user_sgpr_kernarg_preload_offset 0
		.amdhsa_user_sgpr_private_segment_size 0
		.amdhsa_uses_dynamic_stack 0
		.amdhsa_system_sgpr_private_segment_wavefront_offset 0
		.amdhsa_system_sgpr_workgroup_id_x 1
		.amdhsa_system_sgpr_workgroup_id_y 0
		.amdhsa_system_sgpr_workgroup_id_z 0
		.amdhsa_system_sgpr_workgroup_info 0
		.amdhsa_system_vgpr_workitem_id 0
		.amdhsa_next_free_vgpr 1
		.amdhsa_next_free_sgpr 0
		.amdhsa_accum_offset 4
		.amdhsa_reserve_vcc 0
		.amdhsa_reserve_flat_scratch 0
		.amdhsa_float_round_mode_32 0
		.amdhsa_float_round_mode_16_64 0
		.amdhsa_float_denorm_mode_32 3
		.amdhsa_float_denorm_mode_16_64 3
		.amdhsa_dx10_clamp 1
		.amdhsa_ieee_mode 1
		.amdhsa_fp16_overflow 0
		.amdhsa_tg_split 0
		.amdhsa_exception_fp_ieee_invalid_op 0
		.amdhsa_exception_fp_denorm_src 0
		.amdhsa_exception_fp_ieee_div_zero 0
		.amdhsa_exception_fp_ieee_overflow 0
		.amdhsa_exception_fp_ieee_underflow 0
		.amdhsa_exception_fp_ieee_inexact 0
		.amdhsa_exception_int_div_zero 0
	.end_amdhsa_kernel
	.section	.text._ZN7rocprim17ROCPRIM_400000_NS6detail17trampoline_kernelINS0_14default_configENS1_38merge_sort_block_merge_config_selectorImNS0_10empty_typeEEEZZNS1_27merge_sort_block_merge_implIS3_N6thrust23THRUST_200600_302600_NS6detail15normal_iteratorINS9_10device_ptrImEEEEPS5_m14custom_greaterImEEE10hipError_tT0_T1_T2_jT3_P12ihipStream_tbPNSt15iterator_traitsISJ_E10value_typeEPNSP_ISK_E10value_typeEPSL_NS1_7vsmem_tEENKUlT_SJ_SK_SL_E_clIPmSE_SF_SF_EESI_SY_SJ_SK_SL_EUlSY_E_NS1_11comp_targetILNS1_3genE2ELNS1_11target_archE906ELNS1_3gpuE6ELNS1_3repE0EEENS1_48merge_mergepath_partition_config_static_selectorELNS0_4arch9wavefront6targetE1EEEvSK_,"axG",@progbits,_ZN7rocprim17ROCPRIM_400000_NS6detail17trampoline_kernelINS0_14default_configENS1_38merge_sort_block_merge_config_selectorImNS0_10empty_typeEEEZZNS1_27merge_sort_block_merge_implIS3_N6thrust23THRUST_200600_302600_NS6detail15normal_iteratorINS9_10device_ptrImEEEEPS5_m14custom_greaterImEEE10hipError_tT0_T1_T2_jT3_P12ihipStream_tbPNSt15iterator_traitsISJ_E10value_typeEPNSP_ISK_E10value_typeEPSL_NS1_7vsmem_tEENKUlT_SJ_SK_SL_E_clIPmSE_SF_SF_EESI_SY_SJ_SK_SL_EUlSY_E_NS1_11comp_targetILNS1_3genE2ELNS1_11target_archE906ELNS1_3gpuE6ELNS1_3repE0EEENS1_48merge_mergepath_partition_config_static_selectorELNS0_4arch9wavefront6targetE1EEEvSK_,comdat
.Lfunc_end3318:
	.size	_ZN7rocprim17ROCPRIM_400000_NS6detail17trampoline_kernelINS0_14default_configENS1_38merge_sort_block_merge_config_selectorImNS0_10empty_typeEEEZZNS1_27merge_sort_block_merge_implIS3_N6thrust23THRUST_200600_302600_NS6detail15normal_iteratorINS9_10device_ptrImEEEEPS5_m14custom_greaterImEEE10hipError_tT0_T1_T2_jT3_P12ihipStream_tbPNSt15iterator_traitsISJ_E10value_typeEPNSP_ISK_E10value_typeEPSL_NS1_7vsmem_tEENKUlT_SJ_SK_SL_E_clIPmSE_SF_SF_EESI_SY_SJ_SK_SL_EUlSY_E_NS1_11comp_targetILNS1_3genE2ELNS1_11target_archE906ELNS1_3gpuE6ELNS1_3repE0EEENS1_48merge_mergepath_partition_config_static_selectorELNS0_4arch9wavefront6targetE1EEEvSK_, .Lfunc_end3318-_ZN7rocprim17ROCPRIM_400000_NS6detail17trampoline_kernelINS0_14default_configENS1_38merge_sort_block_merge_config_selectorImNS0_10empty_typeEEEZZNS1_27merge_sort_block_merge_implIS3_N6thrust23THRUST_200600_302600_NS6detail15normal_iteratorINS9_10device_ptrImEEEEPS5_m14custom_greaterImEEE10hipError_tT0_T1_T2_jT3_P12ihipStream_tbPNSt15iterator_traitsISJ_E10value_typeEPNSP_ISK_E10value_typeEPSL_NS1_7vsmem_tEENKUlT_SJ_SK_SL_E_clIPmSE_SF_SF_EESI_SY_SJ_SK_SL_EUlSY_E_NS1_11comp_targetILNS1_3genE2ELNS1_11target_archE906ELNS1_3gpuE6ELNS1_3repE0EEENS1_48merge_mergepath_partition_config_static_selectorELNS0_4arch9wavefront6targetE1EEEvSK_
                                        ; -- End function
	.section	.AMDGPU.csdata,"",@progbits
; Kernel info:
; codeLenInByte = 0
; NumSgprs: 4
; NumVgprs: 0
; NumAgprs: 0
; TotalNumVgprs: 0
; ScratchSize: 0
; MemoryBound: 0
; FloatMode: 240
; IeeeMode: 1
; LDSByteSize: 0 bytes/workgroup (compile time only)
; SGPRBlocks: 0
; VGPRBlocks: 0
; NumSGPRsForWavesPerEU: 4
; NumVGPRsForWavesPerEU: 1
; AccumOffset: 4
; Occupancy: 8
; WaveLimiterHint : 0
; COMPUTE_PGM_RSRC2:SCRATCH_EN: 0
; COMPUTE_PGM_RSRC2:USER_SGPR: 6
; COMPUTE_PGM_RSRC2:TRAP_HANDLER: 0
; COMPUTE_PGM_RSRC2:TGID_X_EN: 1
; COMPUTE_PGM_RSRC2:TGID_Y_EN: 0
; COMPUTE_PGM_RSRC2:TGID_Z_EN: 0
; COMPUTE_PGM_RSRC2:TIDIG_COMP_CNT: 0
; COMPUTE_PGM_RSRC3_GFX90A:ACCUM_OFFSET: 0
; COMPUTE_PGM_RSRC3_GFX90A:TG_SPLIT: 0
	.section	.text._ZN7rocprim17ROCPRIM_400000_NS6detail17trampoline_kernelINS0_14default_configENS1_38merge_sort_block_merge_config_selectorImNS0_10empty_typeEEEZZNS1_27merge_sort_block_merge_implIS3_N6thrust23THRUST_200600_302600_NS6detail15normal_iteratorINS9_10device_ptrImEEEEPS5_m14custom_greaterImEEE10hipError_tT0_T1_T2_jT3_P12ihipStream_tbPNSt15iterator_traitsISJ_E10value_typeEPNSP_ISK_E10value_typeEPSL_NS1_7vsmem_tEENKUlT_SJ_SK_SL_E_clIPmSE_SF_SF_EESI_SY_SJ_SK_SL_EUlSY_E_NS1_11comp_targetILNS1_3genE9ELNS1_11target_archE1100ELNS1_3gpuE3ELNS1_3repE0EEENS1_48merge_mergepath_partition_config_static_selectorELNS0_4arch9wavefront6targetE1EEEvSK_,"axG",@progbits,_ZN7rocprim17ROCPRIM_400000_NS6detail17trampoline_kernelINS0_14default_configENS1_38merge_sort_block_merge_config_selectorImNS0_10empty_typeEEEZZNS1_27merge_sort_block_merge_implIS3_N6thrust23THRUST_200600_302600_NS6detail15normal_iteratorINS9_10device_ptrImEEEEPS5_m14custom_greaterImEEE10hipError_tT0_T1_T2_jT3_P12ihipStream_tbPNSt15iterator_traitsISJ_E10value_typeEPNSP_ISK_E10value_typeEPSL_NS1_7vsmem_tEENKUlT_SJ_SK_SL_E_clIPmSE_SF_SF_EESI_SY_SJ_SK_SL_EUlSY_E_NS1_11comp_targetILNS1_3genE9ELNS1_11target_archE1100ELNS1_3gpuE3ELNS1_3repE0EEENS1_48merge_mergepath_partition_config_static_selectorELNS0_4arch9wavefront6targetE1EEEvSK_,comdat
	.protected	_ZN7rocprim17ROCPRIM_400000_NS6detail17trampoline_kernelINS0_14default_configENS1_38merge_sort_block_merge_config_selectorImNS0_10empty_typeEEEZZNS1_27merge_sort_block_merge_implIS3_N6thrust23THRUST_200600_302600_NS6detail15normal_iteratorINS9_10device_ptrImEEEEPS5_m14custom_greaterImEEE10hipError_tT0_T1_T2_jT3_P12ihipStream_tbPNSt15iterator_traitsISJ_E10value_typeEPNSP_ISK_E10value_typeEPSL_NS1_7vsmem_tEENKUlT_SJ_SK_SL_E_clIPmSE_SF_SF_EESI_SY_SJ_SK_SL_EUlSY_E_NS1_11comp_targetILNS1_3genE9ELNS1_11target_archE1100ELNS1_3gpuE3ELNS1_3repE0EEENS1_48merge_mergepath_partition_config_static_selectorELNS0_4arch9wavefront6targetE1EEEvSK_ ; -- Begin function _ZN7rocprim17ROCPRIM_400000_NS6detail17trampoline_kernelINS0_14default_configENS1_38merge_sort_block_merge_config_selectorImNS0_10empty_typeEEEZZNS1_27merge_sort_block_merge_implIS3_N6thrust23THRUST_200600_302600_NS6detail15normal_iteratorINS9_10device_ptrImEEEEPS5_m14custom_greaterImEEE10hipError_tT0_T1_T2_jT3_P12ihipStream_tbPNSt15iterator_traitsISJ_E10value_typeEPNSP_ISK_E10value_typeEPSL_NS1_7vsmem_tEENKUlT_SJ_SK_SL_E_clIPmSE_SF_SF_EESI_SY_SJ_SK_SL_EUlSY_E_NS1_11comp_targetILNS1_3genE9ELNS1_11target_archE1100ELNS1_3gpuE3ELNS1_3repE0EEENS1_48merge_mergepath_partition_config_static_selectorELNS0_4arch9wavefront6targetE1EEEvSK_
	.globl	_ZN7rocprim17ROCPRIM_400000_NS6detail17trampoline_kernelINS0_14default_configENS1_38merge_sort_block_merge_config_selectorImNS0_10empty_typeEEEZZNS1_27merge_sort_block_merge_implIS3_N6thrust23THRUST_200600_302600_NS6detail15normal_iteratorINS9_10device_ptrImEEEEPS5_m14custom_greaterImEEE10hipError_tT0_T1_T2_jT3_P12ihipStream_tbPNSt15iterator_traitsISJ_E10value_typeEPNSP_ISK_E10value_typeEPSL_NS1_7vsmem_tEENKUlT_SJ_SK_SL_E_clIPmSE_SF_SF_EESI_SY_SJ_SK_SL_EUlSY_E_NS1_11comp_targetILNS1_3genE9ELNS1_11target_archE1100ELNS1_3gpuE3ELNS1_3repE0EEENS1_48merge_mergepath_partition_config_static_selectorELNS0_4arch9wavefront6targetE1EEEvSK_
	.p2align	8
	.type	_ZN7rocprim17ROCPRIM_400000_NS6detail17trampoline_kernelINS0_14default_configENS1_38merge_sort_block_merge_config_selectorImNS0_10empty_typeEEEZZNS1_27merge_sort_block_merge_implIS3_N6thrust23THRUST_200600_302600_NS6detail15normal_iteratorINS9_10device_ptrImEEEEPS5_m14custom_greaterImEEE10hipError_tT0_T1_T2_jT3_P12ihipStream_tbPNSt15iterator_traitsISJ_E10value_typeEPNSP_ISK_E10value_typeEPSL_NS1_7vsmem_tEENKUlT_SJ_SK_SL_E_clIPmSE_SF_SF_EESI_SY_SJ_SK_SL_EUlSY_E_NS1_11comp_targetILNS1_3genE9ELNS1_11target_archE1100ELNS1_3gpuE3ELNS1_3repE0EEENS1_48merge_mergepath_partition_config_static_selectorELNS0_4arch9wavefront6targetE1EEEvSK_,@function
_ZN7rocprim17ROCPRIM_400000_NS6detail17trampoline_kernelINS0_14default_configENS1_38merge_sort_block_merge_config_selectorImNS0_10empty_typeEEEZZNS1_27merge_sort_block_merge_implIS3_N6thrust23THRUST_200600_302600_NS6detail15normal_iteratorINS9_10device_ptrImEEEEPS5_m14custom_greaterImEEE10hipError_tT0_T1_T2_jT3_P12ihipStream_tbPNSt15iterator_traitsISJ_E10value_typeEPNSP_ISK_E10value_typeEPSL_NS1_7vsmem_tEENKUlT_SJ_SK_SL_E_clIPmSE_SF_SF_EESI_SY_SJ_SK_SL_EUlSY_E_NS1_11comp_targetILNS1_3genE9ELNS1_11target_archE1100ELNS1_3gpuE3ELNS1_3repE0EEENS1_48merge_mergepath_partition_config_static_selectorELNS0_4arch9wavefront6targetE1EEEvSK_: ; @_ZN7rocprim17ROCPRIM_400000_NS6detail17trampoline_kernelINS0_14default_configENS1_38merge_sort_block_merge_config_selectorImNS0_10empty_typeEEEZZNS1_27merge_sort_block_merge_implIS3_N6thrust23THRUST_200600_302600_NS6detail15normal_iteratorINS9_10device_ptrImEEEEPS5_m14custom_greaterImEEE10hipError_tT0_T1_T2_jT3_P12ihipStream_tbPNSt15iterator_traitsISJ_E10value_typeEPNSP_ISK_E10value_typeEPSL_NS1_7vsmem_tEENKUlT_SJ_SK_SL_E_clIPmSE_SF_SF_EESI_SY_SJ_SK_SL_EUlSY_E_NS1_11comp_targetILNS1_3genE9ELNS1_11target_archE1100ELNS1_3gpuE3ELNS1_3repE0EEENS1_48merge_mergepath_partition_config_static_selectorELNS0_4arch9wavefront6targetE1EEEvSK_
; %bb.0:
	.section	.rodata,"a",@progbits
	.p2align	6, 0x0
	.amdhsa_kernel _ZN7rocprim17ROCPRIM_400000_NS6detail17trampoline_kernelINS0_14default_configENS1_38merge_sort_block_merge_config_selectorImNS0_10empty_typeEEEZZNS1_27merge_sort_block_merge_implIS3_N6thrust23THRUST_200600_302600_NS6detail15normal_iteratorINS9_10device_ptrImEEEEPS5_m14custom_greaterImEEE10hipError_tT0_T1_T2_jT3_P12ihipStream_tbPNSt15iterator_traitsISJ_E10value_typeEPNSP_ISK_E10value_typeEPSL_NS1_7vsmem_tEENKUlT_SJ_SK_SL_E_clIPmSE_SF_SF_EESI_SY_SJ_SK_SL_EUlSY_E_NS1_11comp_targetILNS1_3genE9ELNS1_11target_archE1100ELNS1_3gpuE3ELNS1_3repE0EEENS1_48merge_mergepath_partition_config_static_selectorELNS0_4arch9wavefront6targetE1EEEvSK_
		.amdhsa_group_segment_fixed_size 0
		.amdhsa_private_segment_fixed_size 0
		.amdhsa_kernarg_size 48
		.amdhsa_user_sgpr_count 6
		.amdhsa_user_sgpr_private_segment_buffer 1
		.amdhsa_user_sgpr_dispatch_ptr 0
		.amdhsa_user_sgpr_queue_ptr 0
		.amdhsa_user_sgpr_kernarg_segment_ptr 1
		.amdhsa_user_sgpr_dispatch_id 0
		.amdhsa_user_sgpr_flat_scratch_init 0
		.amdhsa_user_sgpr_kernarg_preload_length 0
		.amdhsa_user_sgpr_kernarg_preload_offset 0
		.amdhsa_user_sgpr_private_segment_size 0
		.amdhsa_uses_dynamic_stack 0
		.amdhsa_system_sgpr_private_segment_wavefront_offset 0
		.amdhsa_system_sgpr_workgroup_id_x 1
		.amdhsa_system_sgpr_workgroup_id_y 0
		.amdhsa_system_sgpr_workgroup_id_z 0
		.amdhsa_system_sgpr_workgroup_info 0
		.amdhsa_system_vgpr_workitem_id 0
		.amdhsa_next_free_vgpr 1
		.amdhsa_next_free_sgpr 0
		.amdhsa_accum_offset 4
		.amdhsa_reserve_vcc 0
		.amdhsa_reserve_flat_scratch 0
		.amdhsa_float_round_mode_32 0
		.amdhsa_float_round_mode_16_64 0
		.amdhsa_float_denorm_mode_32 3
		.amdhsa_float_denorm_mode_16_64 3
		.amdhsa_dx10_clamp 1
		.amdhsa_ieee_mode 1
		.amdhsa_fp16_overflow 0
		.amdhsa_tg_split 0
		.amdhsa_exception_fp_ieee_invalid_op 0
		.amdhsa_exception_fp_denorm_src 0
		.amdhsa_exception_fp_ieee_div_zero 0
		.amdhsa_exception_fp_ieee_overflow 0
		.amdhsa_exception_fp_ieee_underflow 0
		.amdhsa_exception_fp_ieee_inexact 0
		.amdhsa_exception_int_div_zero 0
	.end_amdhsa_kernel
	.section	.text._ZN7rocprim17ROCPRIM_400000_NS6detail17trampoline_kernelINS0_14default_configENS1_38merge_sort_block_merge_config_selectorImNS0_10empty_typeEEEZZNS1_27merge_sort_block_merge_implIS3_N6thrust23THRUST_200600_302600_NS6detail15normal_iteratorINS9_10device_ptrImEEEEPS5_m14custom_greaterImEEE10hipError_tT0_T1_T2_jT3_P12ihipStream_tbPNSt15iterator_traitsISJ_E10value_typeEPNSP_ISK_E10value_typeEPSL_NS1_7vsmem_tEENKUlT_SJ_SK_SL_E_clIPmSE_SF_SF_EESI_SY_SJ_SK_SL_EUlSY_E_NS1_11comp_targetILNS1_3genE9ELNS1_11target_archE1100ELNS1_3gpuE3ELNS1_3repE0EEENS1_48merge_mergepath_partition_config_static_selectorELNS0_4arch9wavefront6targetE1EEEvSK_,"axG",@progbits,_ZN7rocprim17ROCPRIM_400000_NS6detail17trampoline_kernelINS0_14default_configENS1_38merge_sort_block_merge_config_selectorImNS0_10empty_typeEEEZZNS1_27merge_sort_block_merge_implIS3_N6thrust23THRUST_200600_302600_NS6detail15normal_iteratorINS9_10device_ptrImEEEEPS5_m14custom_greaterImEEE10hipError_tT0_T1_T2_jT3_P12ihipStream_tbPNSt15iterator_traitsISJ_E10value_typeEPNSP_ISK_E10value_typeEPSL_NS1_7vsmem_tEENKUlT_SJ_SK_SL_E_clIPmSE_SF_SF_EESI_SY_SJ_SK_SL_EUlSY_E_NS1_11comp_targetILNS1_3genE9ELNS1_11target_archE1100ELNS1_3gpuE3ELNS1_3repE0EEENS1_48merge_mergepath_partition_config_static_selectorELNS0_4arch9wavefront6targetE1EEEvSK_,comdat
.Lfunc_end3319:
	.size	_ZN7rocprim17ROCPRIM_400000_NS6detail17trampoline_kernelINS0_14default_configENS1_38merge_sort_block_merge_config_selectorImNS0_10empty_typeEEEZZNS1_27merge_sort_block_merge_implIS3_N6thrust23THRUST_200600_302600_NS6detail15normal_iteratorINS9_10device_ptrImEEEEPS5_m14custom_greaterImEEE10hipError_tT0_T1_T2_jT3_P12ihipStream_tbPNSt15iterator_traitsISJ_E10value_typeEPNSP_ISK_E10value_typeEPSL_NS1_7vsmem_tEENKUlT_SJ_SK_SL_E_clIPmSE_SF_SF_EESI_SY_SJ_SK_SL_EUlSY_E_NS1_11comp_targetILNS1_3genE9ELNS1_11target_archE1100ELNS1_3gpuE3ELNS1_3repE0EEENS1_48merge_mergepath_partition_config_static_selectorELNS0_4arch9wavefront6targetE1EEEvSK_, .Lfunc_end3319-_ZN7rocprim17ROCPRIM_400000_NS6detail17trampoline_kernelINS0_14default_configENS1_38merge_sort_block_merge_config_selectorImNS0_10empty_typeEEEZZNS1_27merge_sort_block_merge_implIS3_N6thrust23THRUST_200600_302600_NS6detail15normal_iteratorINS9_10device_ptrImEEEEPS5_m14custom_greaterImEEE10hipError_tT0_T1_T2_jT3_P12ihipStream_tbPNSt15iterator_traitsISJ_E10value_typeEPNSP_ISK_E10value_typeEPSL_NS1_7vsmem_tEENKUlT_SJ_SK_SL_E_clIPmSE_SF_SF_EESI_SY_SJ_SK_SL_EUlSY_E_NS1_11comp_targetILNS1_3genE9ELNS1_11target_archE1100ELNS1_3gpuE3ELNS1_3repE0EEENS1_48merge_mergepath_partition_config_static_selectorELNS0_4arch9wavefront6targetE1EEEvSK_
                                        ; -- End function
	.section	.AMDGPU.csdata,"",@progbits
; Kernel info:
; codeLenInByte = 0
; NumSgprs: 4
; NumVgprs: 0
; NumAgprs: 0
; TotalNumVgprs: 0
; ScratchSize: 0
; MemoryBound: 0
; FloatMode: 240
; IeeeMode: 1
; LDSByteSize: 0 bytes/workgroup (compile time only)
; SGPRBlocks: 0
; VGPRBlocks: 0
; NumSGPRsForWavesPerEU: 4
; NumVGPRsForWavesPerEU: 1
; AccumOffset: 4
; Occupancy: 8
; WaveLimiterHint : 0
; COMPUTE_PGM_RSRC2:SCRATCH_EN: 0
; COMPUTE_PGM_RSRC2:USER_SGPR: 6
; COMPUTE_PGM_RSRC2:TRAP_HANDLER: 0
; COMPUTE_PGM_RSRC2:TGID_X_EN: 1
; COMPUTE_PGM_RSRC2:TGID_Y_EN: 0
; COMPUTE_PGM_RSRC2:TGID_Z_EN: 0
; COMPUTE_PGM_RSRC2:TIDIG_COMP_CNT: 0
; COMPUTE_PGM_RSRC3_GFX90A:ACCUM_OFFSET: 0
; COMPUTE_PGM_RSRC3_GFX90A:TG_SPLIT: 0
	.section	.text._ZN7rocprim17ROCPRIM_400000_NS6detail17trampoline_kernelINS0_14default_configENS1_38merge_sort_block_merge_config_selectorImNS0_10empty_typeEEEZZNS1_27merge_sort_block_merge_implIS3_N6thrust23THRUST_200600_302600_NS6detail15normal_iteratorINS9_10device_ptrImEEEEPS5_m14custom_greaterImEEE10hipError_tT0_T1_T2_jT3_P12ihipStream_tbPNSt15iterator_traitsISJ_E10value_typeEPNSP_ISK_E10value_typeEPSL_NS1_7vsmem_tEENKUlT_SJ_SK_SL_E_clIPmSE_SF_SF_EESI_SY_SJ_SK_SL_EUlSY_E_NS1_11comp_targetILNS1_3genE8ELNS1_11target_archE1030ELNS1_3gpuE2ELNS1_3repE0EEENS1_48merge_mergepath_partition_config_static_selectorELNS0_4arch9wavefront6targetE1EEEvSK_,"axG",@progbits,_ZN7rocprim17ROCPRIM_400000_NS6detail17trampoline_kernelINS0_14default_configENS1_38merge_sort_block_merge_config_selectorImNS0_10empty_typeEEEZZNS1_27merge_sort_block_merge_implIS3_N6thrust23THRUST_200600_302600_NS6detail15normal_iteratorINS9_10device_ptrImEEEEPS5_m14custom_greaterImEEE10hipError_tT0_T1_T2_jT3_P12ihipStream_tbPNSt15iterator_traitsISJ_E10value_typeEPNSP_ISK_E10value_typeEPSL_NS1_7vsmem_tEENKUlT_SJ_SK_SL_E_clIPmSE_SF_SF_EESI_SY_SJ_SK_SL_EUlSY_E_NS1_11comp_targetILNS1_3genE8ELNS1_11target_archE1030ELNS1_3gpuE2ELNS1_3repE0EEENS1_48merge_mergepath_partition_config_static_selectorELNS0_4arch9wavefront6targetE1EEEvSK_,comdat
	.protected	_ZN7rocprim17ROCPRIM_400000_NS6detail17trampoline_kernelINS0_14default_configENS1_38merge_sort_block_merge_config_selectorImNS0_10empty_typeEEEZZNS1_27merge_sort_block_merge_implIS3_N6thrust23THRUST_200600_302600_NS6detail15normal_iteratorINS9_10device_ptrImEEEEPS5_m14custom_greaterImEEE10hipError_tT0_T1_T2_jT3_P12ihipStream_tbPNSt15iterator_traitsISJ_E10value_typeEPNSP_ISK_E10value_typeEPSL_NS1_7vsmem_tEENKUlT_SJ_SK_SL_E_clIPmSE_SF_SF_EESI_SY_SJ_SK_SL_EUlSY_E_NS1_11comp_targetILNS1_3genE8ELNS1_11target_archE1030ELNS1_3gpuE2ELNS1_3repE0EEENS1_48merge_mergepath_partition_config_static_selectorELNS0_4arch9wavefront6targetE1EEEvSK_ ; -- Begin function _ZN7rocprim17ROCPRIM_400000_NS6detail17trampoline_kernelINS0_14default_configENS1_38merge_sort_block_merge_config_selectorImNS0_10empty_typeEEEZZNS1_27merge_sort_block_merge_implIS3_N6thrust23THRUST_200600_302600_NS6detail15normal_iteratorINS9_10device_ptrImEEEEPS5_m14custom_greaterImEEE10hipError_tT0_T1_T2_jT3_P12ihipStream_tbPNSt15iterator_traitsISJ_E10value_typeEPNSP_ISK_E10value_typeEPSL_NS1_7vsmem_tEENKUlT_SJ_SK_SL_E_clIPmSE_SF_SF_EESI_SY_SJ_SK_SL_EUlSY_E_NS1_11comp_targetILNS1_3genE8ELNS1_11target_archE1030ELNS1_3gpuE2ELNS1_3repE0EEENS1_48merge_mergepath_partition_config_static_selectorELNS0_4arch9wavefront6targetE1EEEvSK_
	.globl	_ZN7rocprim17ROCPRIM_400000_NS6detail17trampoline_kernelINS0_14default_configENS1_38merge_sort_block_merge_config_selectorImNS0_10empty_typeEEEZZNS1_27merge_sort_block_merge_implIS3_N6thrust23THRUST_200600_302600_NS6detail15normal_iteratorINS9_10device_ptrImEEEEPS5_m14custom_greaterImEEE10hipError_tT0_T1_T2_jT3_P12ihipStream_tbPNSt15iterator_traitsISJ_E10value_typeEPNSP_ISK_E10value_typeEPSL_NS1_7vsmem_tEENKUlT_SJ_SK_SL_E_clIPmSE_SF_SF_EESI_SY_SJ_SK_SL_EUlSY_E_NS1_11comp_targetILNS1_3genE8ELNS1_11target_archE1030ELNS1_3gpuE2ELNS1_3repE0EEENS1_48merge_mergepath_partition_config_static_selectorELNS0_4arch9wavefront6targetE1EEEvSK_
	.p2align	8
	.type	_ZN7rocprim17ROCPRIM_400000_NS6detail17trampoline_kernelINS0_14default_configENS1_38merge_sort_block_merge_config_selectorImNS0_10empty_typeEEEZZNS1_27merge_sort_block_merge_implIS3_N6thrust23THRUST_200600_302600_NS6detail15normal_iteratorINS9_10device_ptrImEEEEPS5_m14custom_greaterImEEE10hipError_tT0_T1_T2_jT3_P12ihipStream_tbPNSt15iterator_traitsISJ_E10value_typeEPNSP_ISK_E10value_typeEPSL_NS1_7vsmem_tEENKUlT_SJ_SK_SL_E_clIPmSE_SF_SF_EESI_SY_SJ_SK_SL_EUlSY_E_NS1_11comp_targetILNS1_3genE8ELNS1_11target_archE1030ELNS1_3gpuE2ELNS1_3repE0EEENS1_48merge_mergepath_partition_config_static_selectorELNS0_4arch9wavefront6targetE1EEEvSK_,@function
_ZN7rocprim17ROCPRIM_400000_NS6detail17trampoline_kernelINS0_14default_configENS1_38merge_sort_block_merge_config_selectorImNS0_10empty_typeEEEZZNS1_27merge_sort_block_merge_implIS3_N6thrust23THRUST_200600_302600_NS6detail15normal_iteratorINS9_10device_ptrImEEEEPS5_m14custom_greaterImEEE10hipError_tT0_T1_T2_jT3_P12ihipStream_tbPNSt15iterator_traitsISJ_E10value_typeEPNSP_ISK_E10value_typeEPSL_NS1_7vsmem_tEENKUlT_SJ_SK_SL_E_clIPmSE_SF_SF_EESI_SY_SJ_SK_SL_EUlSY_E_NS1_11comp_targetILNS1_3genE8ELNS1_11target_archE1030ELNS1_3gpuE2ELNS1_3repE0EEENS1_48merge_mergepath_partition_config_static_selectorELNS0_4arch9wavefront6targetE1EEEvSK_: ; @_ZN7rocprim17ROCPRIM_400000_NS6detail17trampoline_kernelINS0_14default_configENS1_38merge_sort_block_merge_config_selectorImNS0_10empty_typeEEEZZNS1_27merge_sort_block_merge_implIS3_N6thrust23THRUST_200600_302600_NS6detail15normal_iteratorINS9_10device_ptrImEEEEPS5_m14custom_greaterImEEE10hipError_tT0_T1_T2_jT3_P12ihipStream_tbPNSt15iterator_traitsISJ_E10value_typeEPNSP_ISK_E10value_typeEPSL_NS1_7vsmem_tEENKUlT_SJ_SK_SL_E_clIPmSE_SF_SF_EESI_SY_SJ_SK_SL_EUlSY_E_NS1_11comp_targetILNS1_3genE8ELNS1_11target_archE1030ELNS1_3gpuE2ELNS1_3repE0EEENS1_48merge_mergepath_partition_config_static_selectorELNS0_4arch9wavefront6targetE1EEEvSK_
; %bb.0:
	.section	.rodata,"a",@progbits
	.p2align	6, 0x0
	.amdhsa_kernel _ZN7rocprim17ROCPRIM_400000_NS6detail17trampoline_kernelINS0_14default_configENS1_38merge_sort_block_merge_config_selectorImNS0_10empty_typeEEEZZNS1_27merge_sort_block_merge_implIS3_N6thrust23THRUST_200600_302600_NS6detail15normal_iteratorINS9_10device_ptrImEEEEPS5_m14custom_greaterImEEE10hipError_tT0_T1_T2_jT3_P12ihipStream_tbPNSt15iterator_traitsISJ_E10value_typeEPNSP_ISK_E10value_typeEPSL_NS1_7vsmem_tEENKUlT_SJ_SK_SL_E_clIPmSE_SF_SF_EESI_SY_SJ_SK_SL_EUlSY_E_NS1_11comp_targetILNS1_3genE8ELNS1_11target_archE1030ELNS1_3gpuE2ELNS1_3repE0EEENS1_48merge_mergepath_partition_config_static_selectorELNS0_4arch9wavefront6targetE1EEEvSK_
		.amdhsa_group_segment_fixed_size 0
		.amdhsa_private_segment_fixed_size 0
		.amdhsa_kernarg_size 48
		.amdhsa_user_sgpr_count 6
		.amdhsa_user_sgpr_private_segment_buffer 1
		.amdhsa_user_sgpr_dispatch_ptr 0
		.amdhsa_user_sgpr_queue_ptr 0
		.amdhsa_user_sgpr_kernarg_segment_ptr 1
		.amdhsa_user_sgpr_dispatch_id 0
		.amdhsa_user_sgpr_flat_scratch_init 0
		.amdhsa_user_sgpr_kernarg_preload_length 0
		.amdhsa_user_sgpr_kernarg_preload_offset 0
		.amdhsa_user_sgpr_private_segment_size 0
		.amdhsa_uses_dynamic_stack 0
		.amdhsa_system_sgpr_private_segment_wavefront_offset 0
		.amdhsa_system_sgpr_workgroup_id_x 1
		.amdhsa_system_sgpr_workgroup_id_y 0
		.amdhsa_system_sgpr_workgroup_id_z 0
		.amdhsa_system_sgpr_workgroup_info 0
		.amdhsa_system_vgpr_workitem_id 0
		.amdhsa_next_free_vgpr 1
		.amdhsa_next_free_sgpr 0
		.amdhsa_accum_offset 4
		.amdhsa_reserve_vcc 0
		.amdhsa_reserve_flat_scratch 0
		.amdhsa_float_round_mode_32 0
		.amdhsa_float_round_mode_16_64 0
		.amdhsa_float_denorm_mode_32 3
		.amdhsa_float_denorm_mode_16_64 3
		.amdhsa_dx10_clamp 1
		.amdhsa_ieee_mode 1
		.amdhsa_fp16_overflow 0
		.amdhsa_tg_split 0
		.amdhsa_exception_fp_ieee_invalid_op 0
		.amdhsa_exception_fp_denorm_src 0
		.amdhsa_exception_fp_ieee_div_zero 0
		.amdhsa_exception_fp_ieee_overflow 0
		.amdhsa_exception_fp_ieee_underflow 0
		.amdhsa_exception_fp_ieee_inexact 0
		.amdhsa_exception_int_div_zero 0
	.end_amdhsa_kernel
	.section	.text._ZN7rocprim17ROCPRIM_400000_NS6detail17trampoline_kernelINS0_14default_configENS1_38merge_sort_block_merge_config_selectorImNS0_10empty_typeEEEZZNS1_27merge_sort_block_merge_implIS3_N6thrust23THRUST_200600_302600_NS6detail15normal_iteratorINS9_10device_ptrImEEEEPS5_m14custom_greaterImEEE10hipError_tT0_T1_T2_jT3_P12ihipStream_tbPNSt15iterator_traitsISJ_E10value_typeEPNSP_ISK_E10value_typeEPSL_NS1_7vsmem_tEENKUlT_SJ_SK_SL_E_clIPmSE_SF_SF_EESI_SY_SJ_SK_SL_EUlSY_E_NS1_11comp_targetILNS1_3genE8ELNS1_11target_archE1030ELNS1_3gpuE2ELNS1_3repE0EEENS1_48merge_mergepath_partition_config_static_selectorELNS0_4arch9wavefront6targetE1EEEvSK_,"axG",@progbits,_ZN7rocprim17ROCPRIM_400000_NS6detail17trampoline_kernelINS0_14default_configENS1_38merge_sort_block_merge_config_selectorImNS0_10empty_typeEEEZZNS1_27merge_sort_block_merge_implIS3_N6thrust23THRUST_200600_302600_NS6detail15normal_iteratorINS9_10device_ptrImEEEEPS5_m14custom_greaterImEEE10hipError_tT0_T1_T2_jT3_P12ihipStream_tbPNSt15iterator_traitsISJ_E10value_typeEPNSP_ISK_E10value_typeEPSL_NS1_7vsmem_tEENKUlT_SJ_SK_SL_E_clIPmSE_SF_SF_EESI_SY_SJ_SK_SL_EUlSY_E_NS1_11comp_targetILNS1_3genE8ELNS1_11target_archE1030ELNS1_3gpuE2ELNS1_3repE0EEENS1_48merge_mergepath_partition_config_static_selectorELNS0_4arch9wavefront6targetE1EEEvSK_,comdat
.Lfunc_end3320:
	.size	_ZN7rocprim17ROCPRIM_400000_NS6detail17trampoline_kernelINS0_14default_configENS1_38merge_sort_block_merge_config_selectorImNS0_10empty_typeEEEZZNS1_27merge_sort_block_merge_implIS3_N6thrust23THRUST_200600_302600_NS6detail15normal_iteratorINS9_10device_ptrImEEEEPS5_m14custom_greaterImEEE10hipError_tT0_T1_T2_jT3_P12ihipStream_tbPNSt15iterator_traitsISJ_E10value_typeEPNSP_ISK_E10value_typeEPSL_NS1_7vsmem_tEENKUlT_SJ_SK_SL_E_clIPmSE_SF_SF_EESI_SY_SJ_SK_SL_EUlSY_E_NS1_11comp_targetILNS1_3genE8ELNS1_11target_archE1030ELNS1_3gpuE2ELNS1_3repE0EEENS1_48merge_mergepath_partition_config_static_selectorELNS0_4arch9wavefront6targetE1EEEvSK_, .Lfunc_end3320-_ZN7rocprim17ROCPRIM_400000_NS6detail17trampoline_kernelINS0_14default_configENS1_38merge_sort_block_merge_config_selectorImNS0_10empty_typeEEEZZNS1_27merge_sort_block_merge_implIS3_N6thrust23THRUST_200600_302600_NS6detail15normal_iteratorINS9_10device_ptrImEEEEPS5_m14custom_greaterImEEE10hipError_tT0_T1_T2_jT3_P12ihipStream_tbPNSt15iterator_traitsISJ_E10value_typeEPNSP_ISK_E10value_typeEPSL_NS1_7vsmem_tEENKUlT_SJ_SK_SL_E_clIPmSE_SF_SF_EESI_SY_SJ_SK_SL_EUlSY_E_NS1_11comp_targetILNS1_3genE8ELNS1_11target_archE1030ELNS1_3gpuE2ELNS1_3repE0EEENS1_48merge_mergepath_partition_config_static_selectorELNS0_4arch9wavefront6targetE1EEEvSK_
                                        ; -- End function
	.section	.AMDGPU.csdata,"",@progbits
; Kernel info:
; codeLenInByte = 0
; NumSgprs: 4
; NumVgprs: 0
; NumAgprs: 0
; TotalNumVgprs: 0
; ScratchSize: 0
; MemoryBound: 0
; FloatMode: 240
; IeeeMode: 1
; LDSByteSize: 0 bytes/workgroup (compile time only)
; SGPRBlocks: 0
; VGPRBlocks: 0
; NumSGPRsForWavesPerEU: 4
; NumVGPRsForWavesPerEU: 1
; AccumOffset: 4
; Occupancy: 8
; WaveLimiterHint : 0
; COMPUTE_PGM_RSRC2:SCRATCH_EN: 0
; COMPUTE_PGM_RSRC2:USER_SGPR: 6
; COMPUTE_PGM_RSRC2:TRAP_HANDLER: 0
; COMPUTE_PGM_RSRC2:TGID_X_EN: 1
; COMPUTE_PGM_RSRC2:TGID_Y_EN: 0
; COMPUTE_PGM_RSRC2:TGID_Z_EN: 0
; COMPUTE_PGM_RSRC2:TIDIG_COMP_CNT: 0
; COMPUTE_PGM_RSRC3_GFX90A:ACCUM_OFFSET: 0
; COMPUTE_PGM_RSRC3_GFX90A:TG_SPLIT: 0
	.section	.text._ZN7rocprim17ROCPRIM_400000_NS6detail17trampoline_kernelINS0_14default_configENS1_38merge_sort_block_merge_config_selectorImNS0_10empty_typeEEEZZNS1_27merge_sort_block_merge_implIS3_N6thrust23THRUST_200600_302600_NS6detail15normal_iteratorINS9_10device_ptrImEEEEPS5_m14custom_greaterImEEE10hipError_tT0_T1_T2_jT3_P12ihipStream_tbPNSt15iterator_traitsISJ_E10value_typeEPNSP_ISK_E10value_typeEPSL_NS1_7vsmem_tEENKUlT_SJ_SK_SL_E_clIPmSE_SF_SF_EESI_SY_SJ_SK_SL_EUlSY_E0_NS1_11comp_targetILNS1_3genE0ELNS1_11target_archE4294967295ELNS1_3gpuE0ELNS1_3repE0EEENS1_38merge_mergepath_config_static_selectorELNS0_4arch9wavefront6targetE1EEEvSK_,"axG",@progbits,_ZN7rocprim17ROCPRIM_400000_NS6detail17trampoline_kernelINS0_14default_configENS1_38merge_sort_block_merge_config_selectorImNS0_10empty_typeEEEZZNS1_27merge_sort_block_merge_implIS3_N6thrust23THRUST_200600_302600_NS6detail15normal_iteratorINS9_10device_ptrImEEEEPS5_m14custom_greaterImEEE10hipError_tT0_T1_T2_jT3_P12ihipStream_tbPNSt15iterator_traitsISJ_E10value_typeEPNSP_ISK_E10value_typeEPSL_NS1_7vsmem_tEENKUlT_SJ_SK_SL_E_clIPmSE_SF_SF_EESI_SY_SJ_SK_SL_EUlSY_E0_NS1_11comp_targetILNS1_3genE0ELNS1_11target_archE4294967295ELNS1_3gpuE0ELNS1_3repE0EEENS1_38merge_mergepath_config_static_selectorELNS0_4arch9wavefront6targetE1EEEvSK_,comdat
	.protected	_ZN7rocprim17ROCPRIM_400000_NS6detail17trampoline_kernelINS0_14default_configENS1_38merge_sort_block_merge_config_selectorImNS0_10empty_typeEEEZZNS1_27merge_sort_block_merge_implIS3_N6thrust23THRUST_200600_302600_NS6detail15normal_iteratorINS9_10device_ptrImEEEEPS5_m14custom_greaterImEEE10hipError_tT0_T1_T2_jT3_P12ihipStream_tbPNSt15iterator_traitsISJ_E10value_typeEPNSP_ISK_E10value_typeEPSL_NS1_7vsmem_tEENKUlT_SJ_SK_SL_E_clIPmSE_SF_SF_EESI_SY_SJ_SK_SL_EUlSY_E0_NS1_11comp_targetILNS1_3genE0ELNS1_11target_archE4294967295ELNS1_3gpuE0ELNS1_3repE0EEENS1_38merge_mergepath_config_static_selectorELNS0_4arch9wavefront6targetE1EEEvSK_ ; -- Begin function _ZN7rocprim17ROCPRIM_400000_NS6detail17trampoline_kernelINS0_14default_configENS1_38merge_sort_block_merge_config_selectorImNS0_10empty_typeEEEZZNS1_27merge_sort_block_merge_implIS3_N6thrust23THRUST_200600_302600_NS6detail15normal_iteratorINS9_10device_ptrImEEEEPS5_m14custom_greaterImEEE10hipError_tT0_T1_T2_jT3_P12ihipStream_tbPNSt15iterator_traitsISJ_E10value_typeEPNSP_ISK_E10value_typeEPSL_NS1_7vsmem_tEENKUlT_SJ_SK_SL_E_clIPmSE_SF_SF_EESI_SY_SJ_SK_SL_EUlSY_E0_NS1_11comp_targetILNS1_3genE0ELNS1_11target_archE4294967295ELNS1_3gpuE0ELNS1_3repE0EEENS1_38merge_mergepath_config_static_selectorELNS0_4arch9wavefront6targetE1EEEvSK_
	.globl	_ZN7rocprim17ROCPRIM_400000_NS6detail17trampoline_kernelINS0_14default_configENS1_38merge_sort_block_merge_config_selectorImNS0_10empty_typeEEEZZNS1_27merge_sort_block_merge_implIS3_N6thrust23THRUST_200600_302600_NS6detail15normal_iteratorINS9_10device_ptrImEEEEPS5_m14custom_greaterImEEE10hipError_tT0_T1_T2_jT3_P12ihipStream_tbPNSt15iterator_traitsISJ_E10value_typeEPNSP_ISK_E10value_typeEPSL_NS1_7vsmem_tEENKUlT_SJ_SK_SL_E_clIPmSE_SF_SF_EESI_SY_SJ_SK_SL_EUlSY_E0_NS1_11comp_targetILNS1_3genE0ELNS1_11target_archE4294967295ELNS1_3gpuE0ELNS1_3repE0EEENS1_38merge_mergepath_config_static_selectorELNS0_4arch9wavefront6targetE1EEEvSK_
	.p2align	8
	.type	_ZN7rocprim17ROCPRIM_400000_NS6detail17trampoline_kernelINS0_14default_configENS1_38merge_sort_block_merge_config_selectorImNS0_10empty_typeEEEZZNS1_27merge_sort_block_merge_implIS3_N6thrust23THRUST_200600_302600_NS6detail15normal_iteratorINS9_10device_ptrImEEEEPS5_m14custom_greaterImEEE10hipError_tT0_T1_T2_jT3_P12ihipStream_tbPNSt15iterator_traitsISJ_E10value_typeEPNSP_ISK_E10value_typeEPSL_NS1_7vsmem_tEENKUlT_SJ_SK_SL_E_clIPmSE_SF_SF_EESI_SY_SJ_SK_SL_EUlSY_E0_NS1_11comp_targetILNS1_3genE0ELNS1_11target_archE4294967295ELNS1_3gpuE0ELNS1_3repE0EEENS1_38merge_mergepath_config_static_selectorELNS0_4arch9wavefront6targetE1EEEvSK_,@function
_ZN7rocprim17ROCPRIM_400000_NS6detail17trampoline_kernelINS0_14default_configENS1_38merge_sort_block_merge_config_selectorImNS0_10empty_typeEEEZZNS1_27merge_sort_block_merge_implIS3_N6thrust23THRUST_200600_302600_NS6detail15normal_iteratorINS9_10device_ptrImEEEEPS5_m14custom_greaterImEEE10hipError_tT0_T1_T2_jT3_P12ihipStream_tbPNSt15iterator_traitsISJ_E10value_typeEPNSP_ISK_E10value_typeEPSL_NS1_7vsmem_tEENKUlT_SJ_SK_SL_E_clIPmSE_SF_SF_EESI_SY_SJ_SK_SL_EUlSY_E0_NS1_11comp_targetILNS1_3genE0ELNS1_11target_archE4294967295ELNS1_3gpuE0ELNS1_3repE0EEENS1_38merge_mergepath_config_static_selectorELNS0_4arch9wavefront6targetE1EEEvSK_: ; @_ZN7rocprim17ROCPRIM_400000_NS6detail17trampoline_kernelINS0_14default_configENS1_38merge_sort_block_merge_config_selectorImNS0_10empty_typeEEEZZNS1_27merge_sort_block_merge_implIS3_N6thrust23THRUST_200600_302600_NS6detail15normal_iteratorINS9_10device_ptrImEEEEPS5_m14custom_greaterImEEE10hipError_tT0_T1_T2_jT3_P12ihipStream_tbPNSt15iterator_traitsISJ_E10value_typeEPNSP_ISK_E10value_typeEPSL_NS1_7vsmem_tEENKUlT_SJ_SK_SL_E_clIPmSE_SF_SF_EESI_SY_SJ_SK_SL_EUlSY_E0_NS1_11comp_targetILNS1_3genE0ELNS1_11target_archE4294967295ELNS1_3gpuE0ELNS1_3repE0EEENS1_38merge_mergepath_config_static_selectorELNS0_4arch9wavefront6targetE1EEEvSK_
; %bb.0:
	.section	.rodata,"a",@progbits
	.p2align	6, 0x0
	.amdhsa_kernel _ZN7rocprim17ROCPRIM_400000_NS6detail17trampoline_kernelINS0_14default_configENS1_38merge_sort_block_merge_config_selectorImNS0_10empty_typeEEEZZNS1_27merge_sort_block_merge_implIS3_N6thrust23THRUST_200600_302600_NS6detail15normal_iteratorINS9_10device_ptrImEEEEPS5_m14custom_greaterImEEE10hipError_tT0_T1_T2_jT3_P12ihipStream_tbPNSt15iterator_traitsISJ_E10value_typeEPNSP_ISK_E10value_typeEPSL_NS1_7vsmem_tEENKUlT_SJ_SK_SL_E_clIPmSE_SF_SF_EESI_SY_SJ_SK_SL_EUlSY_E0_NS1_11comp_targetILNS1_3genE0ELNS1_11target_archE4294967295ELNS1_3gpuE0ELNS1_3repE0EEENS1_38merge_mergepath_config_static_selectorELNS0_4arch9wavefront6targetE1EEEvSK_
		.amdhsa_group_segment_fixed_size 0
		.amdhsa_private_segment_fixed_size 0
		.amdhsa_kernarg_size 72
		.amdhsa_user_sgpr_count 6
		.amdhsa_user_sgpr_private_segment_buffer 1
		.amdhsa_user_sgpr_dispatch_ptr 0
		.amdhsa_user_sgpr_queue_ptr 0
		.amdhsa_user_sgpr_kernarg_segment_ptr 1
		.amdhsa_user_sgpr_dispatch_id 0
		.amdhsa_user_sgpr_flat_scratch_init 0
		.amdhsa_user_sgpr_kernarg_preload_length 0
		.amdhsa_user_sgpr_kernarg_preload_offset 0
		.amdhsa_user_sgpr_private_segment_size 0
		.amdhsa_uses_dynamic_stack 0
		.amdhsa_system_sgpr_private_segment_wavefront_offset 0
		.amdhsa_system_sgpr_workgroup_id_x 1
		.amdhsa_system_sgpr_workgroup_id_y 0
		.amdhsa_system_sgpr_workgroup_id_z 0
		.amdhsa_system_sgpr_workgroup_info 0
		.amdhsa_system_vgpr_workitem_id 0
		.amdhsa_next_free_vgpr 1
		.amdhsa_next_free_sgpr 0
		.amdhsa_accum_offset 4
		.amdhsa_reserve_vcc 0
		.amdhsa_reserve_flat_scratch 0
		.amdhsa_float_round_mode_32 0
		.amdhsa_float_round_mode_16_64 0
		.amdhsa_float_denorm_mode_32 3
		.amdhsa_float_denorm_mode_16_64 3
		.amdhsa_dx10_clamp 1
		.amdhsa_ieee_mode 1
		.amdhsa_fp16_overflow 0
		.amdhsa_tg_split 0
		.amdhsa_exception_fp_ieee_invalid_op 0
		.amdhsa_exception_fp_denorm_src 0
		.amdhsa_exception_fp_ieee_div_zero 0
		.amdhsa_exception_fp_ieee_overflow 0
		.amdhsa_exception_fp_ieee_underflow 0
		.amdhsa_exception_fp_ieee_inexact 0
		.amdhsa_exception_int_div_zero 0
	.end_amdhsa_kernel
	.section	.text._ZN7rocprim17ROCPRIM_400000_NS6detail17trampoline_kernelINS0_14default_configENS1_38merge_sort_block_merge_config_selectorImNS0_10empty_typeEEEZZNS1_27merge_sort_block_merge_implIS3_N6thrust23THRUST_200600_302600_NS6detail15normal_iteratorINS9_10device_ptrImEEEEPS5_m14custom_greaterImEEE10hipError_tT0_T1_T2_jT3_P12ihipStream_tbPNSt15iterator_traitsISJ_E10value_typeEPNSP_ISK_E10value_typeEPSL_NS1_7vsmem_tEENKUlT_SJ_SK_SL_E_clIPmSE_SF_SF_EESI_SY_SJ_SK_SL_EUlSY_E0_NS1_11comp_targetILNS1_3genE0ELNS1_11target_archE4294967295ELNS1_3gpuE0ELNS1_3repE0EEENS1_38merge_mergepath_config_static_selectorELNS0_4arch9wavefront6targetE1EEEvSK_,"axG",@progbits,_ZN7rocprim17ROCPRIM_400000_NS6detail17trampoline_kernelINS0_14default_configENS1_38merge_sort_block_merge_config_selectorImNS0_10empty_typeEEEZZNS1_27merge_sort_block_merge_implIS3_N6thrust23THRUST_200600_302600_NS6detail15normal_iteratorINS9_10device_ptrImEEEEPS5_m14custom_greaterImEEE10hipError_tT0_T1_T2_jT3_P12ihipStream_tbPNSt15iterator_traitsISJ_E10value_typeEPNSP_ISK_E10value_typeEPSL_NS1_7vsmem_tEENKUlT_SJ_SK_SL_E_clIPmSE_SF_SF_EESI_SY_SJ_SK_SL_EUlSY_E0_NS1_11comp_targetILNS1_3genE0ELNS1_11target_archE4294967295ELNS1_3gpuE0ELNS1_3repE0EEENS1_38merge_mergepath_config_static_selectorELNS0_4arch9wavefront6targetE1EEEvSK_,comdat
.Lfunc_end3321:
	.size	_ZN7rocprim17ROCPRIM_400000_NS6detail17trampoline_kernelINS0_14default_configENS1_38merge_sort_block_merge_config_selectorImNS0_10empty_typeEEEZZNS1_27merge_sort_block_merge_implIS3_N6thrust23THRUST_200600_302600_NS6detail15normal_iteratorINS9_10device_ptrImEEEEPS5_m14custom_greaterImEEE10hipError_tT0_T1_T2_jT3_P12ihipStream_tbPNSt15iterator_traitsISJ_E10value_typeEPNSP_ISK_E10value_typeEPSL_NS1_7vsmem_tEENKUlT_SJ_SK_SL_E_clIPmSE_SF_SF_EESI_SY_SJ_SK_SL_EUlSY_E0_NS1_11comp_targetILNS1_3genE0ELNS1_11target_archE4294967295ELNS1_3gpuE0ELNS1_3repE0EEENS1_38merge_mergepath_config_static_selectorELNS0_4arch9wavefront6targetE1EEEvSK_, .Lfunc_end3321-_ZN7rocprim17ROCPRIM_400000_NS6detail17trampoline_kernelINS0_14default_configENS1_38merge_sort_block_merge_config_selectorImNS0_10empty_typeEEEZZNS1_27merge_sort_block_merge_implIS3_N6thrust23THRUST_200600_302600_NS6detail15normal_iteratorINS9_10device_ptrImEEEEPS5_m14custom_greaterImEEE10hipError_tT0_T1_T2_jT3_P12ihipStream_tbPNSt15iterator_traitsISJ_E10value_typeEPNSP_ISK_E10value_typeEPSL_NS1_7vsmem_tEENKUlT_SJ_SK_SL_E_clIPmSE_SF_SF_EESI_SY_SJ_SK_SL_EUlSY_E0_NS1_11comp_targetILNS1_3genE0ELNS1_11target_archE4294967295ELNS1_3gpuE0ELNS1_3repE0EEENS1_38merge_mergepath_config_static_selectorELNS0_4arch9wavefront6targetE1EEEvSK_
                                        ; -- End function
	.section	.AMDGPU.csdata,"",@progbits
; Kernel info:
; codeLenInByte = 0
; NumSgprs: 4
; NumVgprs: 0
; NumAgprs: 0
; TotalNumVgprs: 0
; ScratchSize: 0
; MemoryBound: 0
; FloatMode: 240
; IeeeMode: 1
; LDSByteSize: 0 bytes/workgroup (compile time only)
; SGPRBlocks: 0
; VGPRBlocks: 0
; NumSGPRsForWavesPerEU: 4
; NumVGPRsForWavesPerEU: 1
; AccumOffset: 4
; Occupancy: 8
; WaveLimiterHint : 0
; COMPUTE_PGM_RSRC2:SCRATCH_EN: 0
; COMPUTE_PGM_RSRC2:USER_SGPR: 6
; COMPUTE_PGM_RSRC2:TRAP_HANDLER: 0
; COMPUTE_PGM_RSRC2:TGID_X_EN: 1
; COMPUTE_PGM_RSRC2:TGID_Y_EN: 0
; COMPUTE_PGM_RSRC2:TGID_Z_EN: 0
; COMPUTE_PGM_RSRC2:TIDIG_COMP_CNT: 0
; COMPUTE_PGM_RSRC3_GFX90A:ACCUM_OFFSET: 0
; COMPUTE_PGM_RSRC3_GFX90A:TG_SPLIT: 0
	.section	.text._ZN7rocprim17ROCPRIM_400000_NS6detail17trampoline_kernelINS0_14default_configENS1_38merge_sort_block_merge_config_selectorImNS0_10empty_typeEEEZZNS1_27merge_sort_block_merge_implIS3_N6thrust23THRUST_200600_302600_NS6detail15normal_iteratorINS9_10device_ptrImEEEEPS5_m14custom_greaterImEEE10hipError_tT0_T1_T2_jT3_P12ihipStream_tbPNSt15iterator_traitsISJ_E10value_typeEPNSP_ISK_E10value_typeEPSL_NS1_7vsmem_tEENKUlT_SJ_SK_SL_E_clIPmSE_SF_SF_EESI_SY_SJ_SK_SL_EUlSY_E0_NS1_11comp_targetILNS1_3genE10ELNS1_11target_archE1201ELNS1_3gpuE5ELNS1_3repE0EEENS1_38merge_mergepath_config_static_selectorELNS0_4arch9wavefront6targetE1EEEvSK_,"axG",@progbits,_ZN7rocprim17ROCPRIM_400000_NS6detail17trampoline_kernelINS0_14default_configENS1_38merge_sort_block_merge_config_selectorImNS0_10empty_typeEEEZZNS1_27merge_sort_block_merge_implIS3_N6thrust23THRUST_200600_302600_NS6detail15normal_iteratorINS9_10device_ptrImEEEEPS5_m14custom_greaterImEEE10hipError_tT0_T1_T2_jT3_P12ihipStream_tbPNSt15iterator_traitsISJ_E10value_typeEPNSP_ISK_E10value_typeEPSL_NS1_7vsmem_tEENKUlT_SJ_SK_SL_E_clIPmSE_SF_SF_EESI_SY_SJ_SK_SL_EUlSY_E0_NS1_11comp_targetILNS1_3genE10ELNS1_11target_archE1201ELNS1_3gpuE5ELNS1_3repE0EEENS1_38merge_mergepath_config_static_selectorELNS0_4arch9wavefront6targetE1EEEvSK_,comdat
	.protected	_ZN7rocprim17ROCPRIM_400000_NS6detail17trampoline_kernelINS0_14default_configENS1_38merge_sort_block_merge_config_selectorImNS0_10empty_typeEEEZZNS1_27merge_sort_block_merge_implIS3_N6thrust23THRUST_200600_302600_NS6detail15normal_iteratorINS9_10device_ptrImEEEEPS5_m14custom_greaterImEEE10hipError_tT0_T1_T2_jT3_P12ihipStream_tbPNSt15iterator_traitsISJ_E10value_typeEPNSP_ISK_E10value_typeEPSL_NS1_7vsmem_tEENKUlT_SJ_SK_SL_E_clIPmSE_SF_SF_EESI_SY_SJ_SK_SL_EUlSY_E0_NS1_11comp_targetILNS1_3genE10ELNS1_11target_archE1201ELNS1_3gpuE5ELNS1_3repE0EEENS1_38merge_mergepath_config_static_selectorELNS0_4arch9wavefront6targetE1EEEvSK_ ; -- Begin function _ZN7rocprim17ROCPRIM_400000_NS6detail17trampoline_kernelINS0_14default_configENS1_38merge_sort_block_merge_config_selectorImNS0_10empty_typeEEEZZNS1_27merge_sort_block_merge_implIS3_N6thrust23THRUST_200600_302600_NS6detail15normal_iteratorINS9_10device_ptrImEEEEPS5_m14custom_greaterImEEE10hipError_tT0_T1_T2_jT3_P12ihipStream_tbPNSt15iterator_traitsISJ_E10value_typeEPNSP_ISK_E10value_typeEPSL_NS1_7vsmem_tEENKUlT_SJ_SK_SL_E_clIPmSE_SF_SF_EESI_SY_SJ_SK_SL_EUlSY_E0_NS1_11comp_targetILNS1_3genE10ELNS1_11target_archE1201ELNS1_3gpuE5ELNS1_3repE0EEENS1_38merge_mergepath_config_static_selectorELNS0_4arch9wavefront6targetE1EEEvSK_
	.globl	_ZN7rocprim17ROCPRIM_400000_NS6detail17trampoline_kernelINS0_14default_configENS1_38merge_sort_block_merge_config_selectorImNS0_10empty_typeEEEZZNS1_27merge_sort_block_merge_implIS3_N6thrust23THRUST_200600_302600_NS6detail15normal_iteratorINS9_10device_ptrImEEEEPS5_m14custom_greaterImEEE10hipError_tT0_T1_T2_jT3_P12ihipStream_tbPNSt15iterator_traitsISJ_E10value_typeEPNSP_ISK_E10value_typeEPSL_NS1_7vsmem_tEENKUlT_SJ_SK_SL_E_clIPmSE_SF_SF_EESI_SY_SJ_SK_SL_EUlSY_E0_NS1_11comp_targetILNS1_3genE10ELNS1_11target_archE1201ELNS1_3gpuE5ELNS1_3repE0EEENS1_38merge_mergepath_config_static_selectorELNS0_4arch9wavefront6targetE1EEEvSK_
	.p2align	8
	.type	_ZN7rocprim17ROCPRIM_400000_NS6detail17trampoline_kernelINS0_14default_configENS1_38merge_sort_block_merge_config_selectorImNS0_10empty_typeEEEZZNS1_27merge_sort_block_merge_implIS3_N6thrust23THRUST_200600_302600_NS6detail15normal_iteratorINS9_10device_ptrImEEEEPS5_m14custom_greaterImEEE10hipError_tT0_T1_T2_jT3_P12ihipStream_tbPNSt15iterator_traitsISJ_E10value_typeEPNSP_ISK_E10value_typeEPSL_NS1_7vsmem_tEENKUlT_SJ_SK_SL_E_clIPmSE_SF_SF_EESI_SY_SJ_SK_SL_EUlSY_E0_NS1_11comp_targetILNS1_3genE10ELNS1_11target_archE1201ELNS1_3gpuE5ELNS1_3repE0EEENS1_38merge_mergepath_config_static_selectorELNS0_4arch9wavefront6targetE1EEEvSK_,@function
_ZN7rocprim17ROCPRIM_400000_NS6detail17trampoline_kernelINS0_14default_configENS1_38merge_sort_block_merge_config_selectorImNS0_10empty_typeEEEZZNS1_27merge_sort_block_merge_implIS3_N6thrust23THRUST_200600_302600_NS6detail15normal_iteratorINS9_10device_ptrImEEEEPS5_m14custom_greaterImEEE10hipError_tT0_T1_T2_jT3_P12ihipStream_tbPNSt15iterator_traitsISJ_E10value_typeEPNSP_ISK_E10value_typeEPSL_NS1_7vsmem_tEENKUlT_SJ_SK_SL_E_clIPmSE_SF_SF_EESI_SY_SJ_SK_SL_EUlSY_E0_NS1_11comp_targetILNS1_3genE10ELNS1_11target_archE1201ELNS1_3gpuE5ELNS1_3repE0EEENS1_38merge_mergepath_config_static_selectorELNS0_4arch9wavefront6targetE1EEEvSK_: ; @_ZN7rocprim17ROCPRIM_400000_NS6detail17trampoline_kernelINS0_14default_configENS1_38merge_sort_block_merge_config_selectorImNS0_10empty_typeEEEZZNS1_27merge_sort_block_merge_implIS3_N6thrust23THRUST_200600_302600_NS6detail15normal_iteratorINS9_10device_ptrImEEEEPS5_m14custom_greaterImEEE10hipError_tT0_T1_T2_jT3_P12ihipStream_tbPNSt15iterator_traitsISJ_E10value_typeEPNSP_ISK_E10value_typeEPSL_NS1_7vsmem_tEENKUlT_SJ_SK_SL_E_clIPmSE_SF_SF_EESI_SY_SJ_SK_SL_EUlSY_E0_NS1_11comp_targetILNS1_3genE10ELNS1_11target_archE1201ELNS1_3gpuE5ELNS1_3repE0EEENS1_38merge_mergepath_config_static_selectorELNS0_4arch9wavefront6targetE1EEEvSK_
; %bb.0:
	.section	.rodata,"a",@progbits
	.p2align	6, 0x0
	.amdhsa_kernel _ZN7rocprim17ROCPRIM_400000_NS6detail17trampoline_kernelINS0_14default_configENS1_38merge_sort_block_merge_config_selectorImNS0_10empty_typeEEEZZNS1_27merge_sort_block_merge_implIS3_N6thrust23THRUST_200600_302600_NS6detail15normal_iteratorINS9_10device_ptrImEEEEPS5_m14custom_greaterImEEE10hipError_tT0_T1_T2_jT3_P12ihipStream_tbPNSt15iterator_traitsISJ_E10value_typeEPNSP_ISK_E10value_typeEPSL_NS1_7vsmem_tEENKUlT_SJ_SK_SL_E_clIPmSE_SF_SF_EESI_SY_SJ_SK_SL_EUlSY_E0_NS1_11comp_targetILNS1_3genE10ELNS1_11target_archE1201ELNS1_3gpuE5ELNS1_3repE0EEENS1_38merge_mergepath_config_static_selectorELNS0_4arch9wavefront6targetE1EEEvSK_
		.amdhsa_group_segment_fixed_size 0
		.amdhsa_private_segment_fixed_size 0
		.amdhsa_kernarg_size 72
		.amdhsa_user_sgpr_count 6
		.amdhsa_user_sgpr_private_segment_buffer 1
		.amdhsa_user_sgpr_dispatch_ptr 0
		.amdhsa_user_sgpr_queue_ptr 0
		.amdhsa_user_sgpr_kernarg_segment_ptr 1
		.amdhsa_user_sgpr_dispatch_id 0
		.amdhsa_user_sgpr_flat_scratch_init 0
		.amdhsa_user_sgpr_kernarg_preload_length 0
		.amdhsa_user_sgpr_kernarg_preload_offset 0
		.amdhsa_user_sgpr_private_segment_size 0
		.amdhsa_uses_dynamic_stack 0
		.amdhsa_system_sgpr_private_segment_wavefront_offset 0
		.amdhsa_system_sgpr_workgroup_id_x 1
		.amdhsa_system_sgpr_workgroup_id_y 0
		.amdhsa_system_sgpr_workgroup_id_z 0
		.amdhsa_system_sgpr_workgroup_info 0
		.amdhsa_system_vgpr_workitem_id 0
		.amdhsa_next_free_vgpr 1
		.amdhsa_next_free_sgpr 0
		.amdhsa_accum_offset 4
		.amdhsa_reserve_vcc 0
		.amdhsa_reserve_flat_scratch 0
		.amdhsa_float_round_mode_32 0
		.amdhsa_float_round_mode_16_64 0
		.amdhsa_float_denorm_mode_32 3
		.amdhsa_float_denorm_mode_16_64 3
		.amdhsa_dx10_clamp 1
		.amdhsa_ieee_mode 1
		.amdhsa_fp16_overflow 0
		.amdhsa_tg_split 0
		.amdhsa_exception_fp_ieee_invalid_op 0
		.amdhsa_exception_fp_denorm_src 0
		.amdhsa_exception_fp_ieee_div_zero 0
		.amdhsa_exception_fp_ieee_overflow 0
		.amdhsa_exception_fp_ieee_underflow 0
		.amdhsa_exception_fp_ieee_inexact 0
		.amdhsa_exception_int_div_zero 0
	.end_amdhsa_kernel
	.section	.text._ZN7rocprim17ROCPRIM_400000_NS6detail17trampoline_kernelINS0_14default_configENS1_38merge_sort_block_merge_config_selectorImNS0_10empty_typeEEEZZNS1_27merge_sort_block_merge_implIS3_N6thrust23THRUST_200600_302600_NS6detail15normal_iteratorINS9_10device_ptrImEEEEPS5_m14custom_greaterImEEE10hipError_tT0_T1_T2_jT3_P12ihipStream_tbPNSt15iterator_traitsISJ_E10value_typeEPNSP_ISK_E10value_typeEPSL_NS1_7vsmem_tEENKUlT_SJ_SK_SL_E_clIPmSE_SF_SF_EESI_SY_SJ_SK_SL_EUlSY_E0_NS1_11comp_targetILNS1_3genE10ELNS1_11target_archE1201ELNS1_3gpuE5ELNS1_3repE0EEENS1_38merge_mergepath_config_static_selectorELNS0_4arch9wavefront6targetE1EEEvSK_,"axG",@progbits,_ZN7rocprim17ROCPRIM_400000_NS6detail17trampoline_kernelINS0_14default_configENS1_38merge_sort_block_merge_config_selectorImNS0_10empty_typeEEEZZNS1_27merge_sort_block_merge_implIS3_N6thrust23THRUST_200600_302600_NS6detail15normal_iteratorINS9_10device_ptrImEEEEPS5_m14custom_greaterImEEE10hipError_tT0_T1_T2_jT3_P12ihipStream_tbPNSt15iterator_traitsISJ_E10value_typeEPNSP_ISK_E10value_typeEPSL_NS1_7vsmem_tEENKUlT_SJ_SK_SL_E_clIPmSE_SF_SF_EESI_SY_SJ_SK_SL_EUlSY_E0_NS1_11comp_targetILNS1_3genE10ELNS1_11target_archE1201ELNS1_3gpuE5ELNS1_3repE0EEENS1_38merge_mergepath_config_static_selectorELNS0_4arch9wavefront6targetE1EEEvSK_,comdat
.Lfunc_end3322:
	.size	_ZN7rocprim17ROCPRIM_400000_NS6detail17trampoline_kernelINS0_14default_configENS1_38merge_sort_block_merge_config_selectorImNS0_10empty_typeEEEZZNS1_27merge_sort_block_merge_implIS3_N6thrust23THRUST_200600_302600_NS6detail15normal_iteratorINS9_10device_ptrImEEEEPS5_m14custom_greaterImEEE10hipError_tT0_T1_T2_jT3_P12ihipStream_tbPNSt15iterator_traitsISJ_E10value_typeEPNSP_ISK_E10value_typeEPSL_NS1_7vsmem_tEENKUlT_SJ_SK_SL_E_clIPmSE_SF_SF_EESI_SY_SJ_SK_SL_EUlSY_E0_NS1_11comp_targetILNS1_3genE10ELNS1_11target_archE1201ELNS1_3gpuE5ELNS1_3repE0EEENS1_38merge_mergepath_config_static_selectorELNS0_4arch9wavefront6targetE1EEEvSK_, .Lfunc_end3322-_ZN7rocprim17ROCPRIM_400000_NS6detail17trampoline_kernelINS0_14default_configENS1_38merge_sort_block_merge_config_selectorImNS0_10empty_typeEEEZZNS1_27merge_sort_block_merge_implIS3_N6thrust23THRUST_200600_302600_NS6detail15normal_iteratorINS9_10device_ptrImEEEEPS5_m14custom_greaterImEEE10hipError_tT0_T1_T2_jT3_P12ihipStream_tbPNSt15iterator_traitsISJ_E10value_typeEPNSP_ISK_E10value_typeEPSL_NS1_7vsmem_tEENKUlT_SJ_SK_SL_E_clIPmSE_SF_SF_EESI_SY_SJ_SK_SL_EUlSY_E0_NS1_11comp_targetILNS1_3genE10ELNS1_11target_archE1201ELNS1_3gpuE5ELNS1_3repE0EEENS1_38merge_mergepath_config_static_selectorELNS0_4arch9wavefront6targetE1EEEvSK_
                                        ; -- End function
	.section	.AMDGPU.csdata,"",@progbits
; Kernel info:
; codeLenInByte = 0
; NumSgprs: 4
; NumVgprs: 0
; NumAgprs: 0
; TotalNumVgprs: 0
; ScratchSize: 0
; MemoryBound: 0
; FloatMode: 240
; IeeeMode: 1
; LDSByteSize: 0 bytes/workgroup (compile time only)
; SGPRBlocks: 0
; VGPRBlocks: 0
; NumSGPRsForWavesPerEU: 4
; NumVGPRsForWavesPerEU: 1
; AccumOffset: 4
; Occupancy: 8
; WaveLimiterHint : 0
; COMPUTE_PGM_RSRC2:SCRATCH_EN: 0
; COMPUTE_PGM_RSRC2:USER_SGPR: 6
; COMPUTE_PGM_RSRC2:TRAP_HANDLER: 0
; COMPUTE_PGM_RSRC2:TGID_X_EN: 1
; COMPUTE_PGM_RSRC2:TGID_Y_EN: 0
; COMPUTE_PGM_RSRC2:TGID_Z_EN: 0
; COMPUTE_PGM_RSRC2:TIDIG_COMP_CNT: 0
; COMPUTE_PGM_RSRC3_GFX90A:ACCUM_OFFSET: 0
; COMPUTE_PGM_RSRC3_GFX90A:TG_SPLIT: 0
	.section	.text._ZN7rocprim17ROCPRIM_400000_NS6detail17trampoline_kernelINS0_14default_configENS1_38merge_sort_block_merge_config_selectorImNS0_10empty_typeEEEZZNS1_27merge_sort_block_merge_implIS3_N6thrust23THRUST_200600_302600_NS6detail15normal_iteratorINS9_10device_ptrImEEEEPS5_m14custom_greaterImEEE10hipError_tT0_T1_T2_jT3_P12ihipStream_tbPNSt15iterator_traitsISJ_E10value_typeEPNSP_ISK_E10value_typeEPSL_NS1_7vsmem_tEENKUlT_SJ_SK_SL_E_clIPmSE_SF_SF_EESI_SY_SJ_SK_SL_EUlSY_E0_NS1_11comp_targetILNS1_3genE5ELNS1_11target_archE942ELNS1_3gpuE9ELNS1_3repE0EEENS1_38merge_mergepath_config_static_selectorELNS0_4arch9wavefront6targetE1EEEvSK_,"axG",@progbits,_ZN7rocprim17ROCPRIM_400000_NS6detail17trampoline_kernelINS0_14default_configENS1_38merge_sort_block_merge_config_selectorImNS0_10empty_typeEEEZZNS1_27merge_sort_block_merge_implIS3_N6thrust23THRUST_200600_302600_NS6detail15normal_iteratorINS9_10device_ptrImEEEEPS5_m14custom_greaterImEEE10hipError_tT0_T1_T2_jT3_P12ihipStream_tbPNSt15iterator_traitsISJ_E10value_typeEPNSP_ISK_E10value_typeEPSL_NS1_7vsmem_tEENKUlT_SJ_SK_SL_E_clIPmSE_SF_SF_EESI_SY_SJ_SK_SL_EUlSY_E0_NS1_11comp_targetILNS1_3genE5ELNS1_11target_archE942ELNS1_3gpuE9ELNS1_3repE0EEENS1_38merge_mergepath_config_static_selectorELNS0_4arch9wavefront6targetE1EEEvSK_,comdat
	.protected	_ZN7rocprim17ROCPRIM_400000_NS6detail17trampoline_kernelINS0_14default_configENS1_38merge_sort_block_merge_config_selectorImNS0_10empty_typeEEEZZNS1_27merge_sort_block_merge_implIS3_N6thrust23THRUST_200600_302600_NS6detail15normal_iteratorINS9_10device_ptrImEEEEPS5_m14custom_greaterImEEE10hipError_tT0_T1_T2_jT3_P12ihipStream_tbPNSt15iterator_traitsISJ_E10value_typeEPNSP_ISK_E10value_typeEPSL_NS1_7vsmem_tEENKUlT_SJ_SK_SL_E_clIPmSE_SF_SF_EESI_SY_SJ_SK_SL_EUlSY_E0_NS1_11comp_targetILNS1_3genE5ELNS1_11target_archE942ELNS1_3gpuE9ELNS1_3repE0EEENS1_38merge_mergepath_config_static_selectorELNS0_4arch9wavefront6targetE1EEEvSK_ ; -- Begin function _ZN7rocprim17ROCPRIM_400000_NS6detail17trampoline_kernelINS0_14default_configENS1_38merge_sort_block_merge_config_selectorImNS0_10empty_typeEEEZZNS1_27merge_sort_block_merge_implIS3_N6thrust23THRUST_200600_302600_NS6detail15normal_iteratorINS9_10device_ptrImEEEEPS5_m14custom_greaterImEEE10hipError_tT0_T1_T2_jT3_P12ihipStream_tbPNSt15iterator_traitsISJ_E10value_typeEPNSP_ISK_E10value_typeEPSL_NS1_7vsmem_tEENKUlT_SJ_SK_SL_E_clIPmSE_SF_SF_EESI_SY_SJ_SK_SL_EUlSY_E0_NS1_11comp_targetILNS1_3genE5ELNS1_11target_archE942ELNS1_3gpuE9ELNS1_3repE0EEENS1_38merge_mergepath_config_static_selectorELNS0_4arch9wavefront6targetE1EEEvSK_
	.globl	_ZN7rocprim17ROCPRIM_400000_NS6detail17trampoline_kernelINS0_14default_configENS1_38merge_sort_block_merge_config_selectorImNS0_10empty_typeEEEZZNS1_27merge_sort_block_merge_implIS3_N6thrust23THRUST_200600_302600_NS6detail15normal_iteratorINS9_10device_ptrImEEEEPS5_m14custom_greaterImEEE10hipError_tT0_T1_T2_jT3_P12ihipStream_tbPNSt15iterator_traitsISJ_E10value_typeEPNSP_ISK_E10value_typeEPSL_NS1_7vsmem_tEENKUlT_SJ_SK_SL_E_clIPmSE_SF_SF_EESI_SY_SJ_SK_SL_EUlSY_E0_NS1_11comp_targetILNS1_3genE5ELNS1_11target_archE942ELNS1_3gpuE9ELNS1_3repE0EEENS1_38merge_mergepath_config_static_selectorELNS0_4arch9wavefront6targetE1EEEvSK_
	.p2align	8
	.type	_ZN7rocprim17ROCPRIM_400000_NS6detail17trampoline_kernelINS0_14default_configENS1_38merge_sort_block_merge_config_selectorImNS0_10empty_typeEEEZZNS1_27merge_sort_block_merge_implIS3_N6thrust23THRUST_200600_302600_NS6detail15normal_iteratorINS9_10device_ptrImEEEEPS5_m14custom_greaterImEEE10hipError_tT0_T1_T2_jT3_P12ihipStream_tbPNSt15iterator_traitsISJ_E10value_typeEPNSP_ISK_E10value_typeEPSL_NS1_7vsmem_tEENKUlT_SJ_SK_SL_E_clIPmSE_SF_SF_EESI_SY_SJ_SK_SL_EUlSY_E0_NS1_11comp_targetILNS1_3genE5ELNS1_11target_archE942ELNS1_3gpuE9ELNS1_3repE0EEENS1_38merge_mergepath_config_static_selectorELNS0_4arch9wavefront6targetE1EEEvSK_,@function
_ZN7rocprim17ROCPRIM_400000_NS6detail17trampoline_kernelINS0_14default_configENS1_38merge_sort_block_merge_config_selectorImNS0_10empty_typeEEEZZNS1_27merge_sort_block_merge_implIS3_N6thrust23THRUST_200600_302600_NS6detail15normal_iteratorINS9_10device_ptrImEEEEPS5_m14custom_greaterImEEE10hipError_tT0_T1_T2_jT3_P12ihipStream_tbPNSt15iterator_traitsISJ_E10value_typeEPNSP_ISK_E10value_typeEPSL_NS1_7vsmem_tEENKUlT_SJ_SK_SL_E_clIPmSE_SF_SF_EESI_SY_SJ_SK_SL_EUlSY_E0_NS1_11comp_targetILNS1_3genE5ELNS1_11target_archE942ELNS1_3gpuE9ELNS1_3repE0EEENS1_38merge_mergepath_config_static_selectorELNS0_4arch9wavefront6targetE1EEEvSK_: ; @_ZN7rocprim17ROCPRIM_400000_NS6detail17trampoline_kernelINS0_14default_configENS1_38merge_sort_block_merge_config_selectorImNS0_10empty_typeEEEZZNS1_27merge_sort_block_merge_implIS3_N6thrust23THRUST_200600_302600_NS6detail15normal_iteratorINS9_10device_ptrImEEEEPS5_m14custom_greaterImEEE10hipError_tT0_T1_T2_jT3_P12ihipStream_tbPNSt15iterator_traitsISJ_E10value_typeEPNSP_ISK_E10value_typeEPSL_NS1_7vsmem_tEENKUlT_SJ_SK_SL_E_clIPmSE_SF_SF_EESI_SY_SJ_SK_SL_EUlSY_E0_NS1_11comp_targetILNS1_3genE5ELNS1_11target_archE942ELNS1_3gpuE9ELNS1_3repE0EEENS1_38merge_mergepath_config_static_selectorELNS0_4arch9wavefront6targetE1EEEvSK_
; %bb.0:
	.section	.rodata,"a",@progbits
	.p2align	6, 0x0
	.amdhsa_kernel _ZN7rocprim17ROCPRIM_400000_NS6detail17trampoline_kernelINS0_14default_configENS1_38merge_sort_block_merge_config_selectorImNS0_10empty_typeEEEZZNS1_27merge_sort_block_merge_implIS3_N6thrust23THRUST_200600_302600_NS6detail15normal_iteratorINS9_10device_ptrImEEEEPS5_m14custom_greaterImEEE10hipError_tT0_T1_T2_jT3_P12ihipStream_tbPNSt15iterator_traitsISJ_E10value_typeEPNSP_ISK_E10value_typeEPSL_NS1_7vsmem_tEENKUlT_SJ_SK_SL_E_clIPmSE_SF_SF_EESI_SY_SJ_SK_SL_EUlSY_E0_NS1_11comp_targetILNS1_3genE5ELNS1_11target_archE942ELNS1_3gpuE9ELNS1_3repE0EEENS1_38merge_mergepath_config_static_selectorELNS0_4arch9wavefront6targetE1EEEvSK_
		.amdhsa_group_segment_fixed_size 0
		.amdhsa_private_segment_fixed_size 0
		.amdhsa_kernarg_size 72
		.amdhsa_user_sgpr_count 6
		.amdhsa_user_sgpr_private_segment_buffer 1
		.amdhsa_user_sgpr_dispatch_ptr 0
		.amdhsa_user_sgpr_queue_ptr 0
		.amdhsa_user_sgpr_kernarg_segment_ptr 1
		.amdhsa_user_sgpr_dispatch_id 0
		.amdhsa_user_sgpr_flat_scratch_init 0
		.amdhsa_user_sgpr_kernarg_preload_length 0
		.amdhsa_user_sgpr_kernarg_preload_offset 0
		.amdhsa_user_sgpr_private_segment_size 0
		.amdhsa_uses_dynamic_stack 0
		.amdhsa_system_sgpr_private_segment_wavefront_offset 0
		.amdhsa_system_sgpr_workgroup_id_x 1
		.amdhsa_system_sgpr_workgroup_id_y 0
		.amdhsa_system_sgpr_workgroup_id_z 0
		.amdhsa_system_sgpr_workgroup_info 0
		.amdhsa_system_vgpr_workitem_id 0
		.amdhsa_next_free_vgpr 1
		.amdhsa_next_free_sgpr 0
		.amdhsa_accum_offset 4
		.amdhsa_reserve_vcc 0
		.amdhsa_reserve_flat_scratch 0
		.amdhsa_float_round_mode_32 0
		.amdhsa_float_round_mode_16_64 0
		.amdhsa_float_denorm_mode_32 3
		.amdhsa_float_denorm_mode_16_64 3
		.amdhsa_dx10_clamp 1
		.amdhsa_ieee_mode 1
		.amdhsa_fp16_overflow 0
		.amdhsa_tg_split 0
		.amdhsa_exception_fp_ieee_invalid_op 0
		.amdhsa_exception_fp_denorm_src 0
		.amdhsa_exception_fp_ieee_div_zero 0
		.amdhsa_exception_fp_ieee_overflow 0
		.amdhsa_exception_fp_ieee_underflow 0
		.amdhsa_exception_fp_ieee_inexact 0
		.amdhsa_exception_int_div_zero 0
	.end_amdhsa_kernel
	.section	.text._ZN7rocprim17ROCPRIM_400000_NS6detail17trampoline_kernelINS0_14default_configENS1_38merge_sort_block_merge_config_selectorImNS0_10empty_typeEEEZZNS1_27merge_sort_block_merge_implIS3_N6thrust23THRUST_200600_302600_NS6detail15normal_iteratorINS9_10device_ptrImEEEEPS5_m14custom_greaterImEEE10hipError_tT0_T1_T2_jT3_P12ihipStream_tbPNSt15iterator_traitsISJ_E10value_typeEPNSP_ISK_E10value_typeEPSL_NS1_7vsmem_tEENKUlT_SJ_SK_SL_E_clIPmSE_SF_SF_EESI_SY_SJ_SK_SL_EUlSY_E0_NS1_11comp_targetILNS1_3genE5ELNS1_11target_archE942ELNS1_3gpuE9ELNS1_3repE0EEENS1_38merge_mergepath_config_static_selectorELNS0_4arch9wavefront6targetE1EEEvSK_,"axG",@progbits,_ZN7rocprim17ROCPRIM_400000_NS6detail17trampoline_kernelINS0_14default_configENS1_38merge_sort_block_merge_config_selectorImNS0_10empty_typeEEEZZNS1_27merge_sort_block_merge_implIS3_N6thrust23THRUST_200600_302600_NS6detail15normal_iteratorINS9_10device_ptrImEEEEPS5_m14custom_greaterImEEE10hipError_tT0_T1_T2_jT3_P12ihipStream_tbPNSt15iterator_traitsISJ_E10value_typeEPNSP_ISK_E10value_typeEPSL_NS1_7vsmem_tEENKUlT_SJ_SK_SL_E_clIPmSE_SF_SF_EESI_SY_SJ_SK_SL_EUlSY_E0_NS1_11comp_targetILNS1_3genE5ELNS1_11target_archE942ELNS1_3gpuE9ELNS1_3repE0EEENS1_38merge_mergepath_config_static_selectorELNS0_4arch9wavefront6targetE1EEEvSK_,comdat
.Lfunc_end3323:
	.size	_ZN7rocprim17ROCPRIM_400000_NS6detail17trampoline_kernelINS0_14default_configENS1_38merge_sort_block_merge_config_selectorImNS0_10empty_typeEEEZZNS1_27merge_sort_block_merge_implIS3_N6thrust23THRUST_200600_302600_NS6detail15normal_iteratorINS9_10device_ptrImEEEEPS5_m14custom_greaterImEEE10hipError_tT0_T1_T2_jT3_P12ihipStream_tbPNSt15iterator_traitsISJ_E10value_typeEPNSP_ISK_E10value_typeEPSL_NS1_7vsmem_tEENKUlT_SJ_SK_SL_E_clIPmSE_SF_SF_EESI_SY_SJ_SK_SL_EUlSY_E0_NS1_11comp_targetILNS1_3genE5ELNS1_11target_archE942ELNS1_3gpuE9ELNS1_3repE0EEENS1_38merge_mergepath_config_static_selectorELNS0_4arch9wavefront6targetE1EEEvSK_, .Lfunc_end3323-_ZN7rocprim17ROCPRIM_400000_NS6detail17trampoline_kernelINS0_14default_configENS1_38merge_sort_block_merge_config_selectorImNS0_10empty_typeEEEZZNS1_27merge_sort_block_merge_implIS3_N6thrust23THRUST_200600_302600_NS6detail15normal_iteratorINS9_10device_ptrImEEEEPS5_m14custom_greaterImEEE10hipError_tT0_T1_T2_jT3_P12ihipStream_tbPNSt15iterator_traitsISJ_E10value_typeEPNSP_ISK_E10value_typeEPSL_NS1_7vsmem_tEENKUlT_SJ_SK_SL_E_clIPmSE_SF_SF_EESI_SY_SJ_SK_SL_EUlSY_E0_NS1_11comp_targetILNS1_3genE5ELNS1_11target_archE942ELNS1_3gpuE9ELNS1_3repE0EEENS1_38merge_mergepath_config_static_selectorELNS0_4arch9wavefront6targetE1EEEvSK_
                                        ; -- End function
	.section	.AMDGPU.csdata,"",@progbits
; Kernel info:
; codeLenInByte = 0
; NumSgprs: 4
; NumVgprs: 0
; NumAgprs: 0
; TotalNumVgprs: 0
; ScratchSize: 0
; MemoryBound: 0
; FloatMode: 240
; IeeeMode: 1
; LDSByteSize: 0 bytes/workgroup (compile time only)
; SGPRBlocks: 0
; VGPRBlocks: 0
; NumSGPRsForWavesPerEU: 4
; NumVGPRsForWavesPerEU: 1
; AccumOffset: 4
; Occupancy: 8
; WaveLimiterHint : 0
; COMPUTE_PGM_RSRC2:SCRATCH_EN: 0
; COMPUTE_PGM_RSRC2:USER_SGPR: 6
; COMPUTE_PGM_RSRC2:TRAP_HANDLER: 0
; COMPUTE_PGM_RSRC2:TGID_X_EN: 1
; COMPUTE_PGM_RSRC2:TGID_Y_EN: 0
; COMPUTE_PGM_RSRC2:TGID_Z_EN: 0
; COMPUTE_PGM_RSRC2:TIDIG_COMP_CNT: 0
; COMPUTE_PGM_RSRC3_GFX90A:ACCUM_OFFSET: 0
; COMPUTE_PGM_RSRC3_GFX90A:TG_SPLIT: 0
	.section	.text._ZN7rocprim17ROCPRIM_400000_NS6detail17trampoline_kernelINS0_14default_configENS1_38merge_sort_block_merge_config_selectorImNS0_10empty_typeEEEZZNS1_27merge_sort_block_merge_implIS3_N6thrust23THRUST_200600_302600_NS6detail15normal_iteratorINS9_10device_ptrImEEEEPS5_m14custom_greaterImEEE10hipError_tT0_T1_T2_jT3_P12ihipStream_tbPNSt15iterator_traitsISJ_E10value_typeEPNSP_ISK_E10value_typeEPSL_NS1_7vsmem_tEENKUlT_SJ_SK_SL_E_clIPmSE_SF_SF_EESI_SY_SJ_SK_SL_EUlSY_E0_NS1_11comp_targetILNS1_3genE4ELNS1_11target_archE910ELNS1_3gpuE8ELNS1_3repE0EEENS1_38merge_mergepath_config_static_selectorELNS0_4arch9wavefront6targetE1EEEvSK_,"axG",@progbits,_ZN7rocprim17ROCPRIM_400000_NS6detail17trampoline_kernelINS0_14default_configENS1_38merge_sort_block_merge_config_selectorImNS0_10empty_typeEEEZZNS1_27merge_sort_block_merge_implIS3_N6thrust23THRUST_200600_302600_NS6detail15normal_iteratorINS9_10device_ptrImEEEEPS5_m14custom_greaterImEEE10hipError_tT0_T1_T2_jT3_P12ihipStream_tbPNSt15iterator_traitsISJ_E10value_typeEPNSP_ISK_E10value_typeEPSL_NS1_7vsmem_tEENKUlT_SJ_SK_SL_E_clIPmSE_SF_SF_EESI_SY_SJ_SK_SL_EUlSY_E0_NS1_11comp_targetILNS1_3genE4ELNS1_11target_archE910ELNS1_3gpuE8ELNS1_3repE0EEENS1_38merge_mergepath_config_static_selectorELNS0_4arch9wavefront6targetE1EEEvSK_,comdat
	.protected	_ZN7rocprim17ROCPRIM_400000_NS6detail17trampoline_kernelINS0_14default_configENS1_38merge_sort_block_merge_config_selectorImNS0_10empty_typeEEEZZNS1_27merge_sort_block_merge_implIS3_N6thrust23THRUST_200600_302600_NS6detail15normal_iteratorINS9_10device_ptrImEEEEPS5_m14custom_greaterImEEE10hipError_tT0_T1_T2_jT3_P12ihipStream_tbPNSt15iterator_traitsISJ_E10value_typeEPNSP_ISK_E10value_typeEPSL_NS1_7vsmem_tEENKUlT_SJ_SK_SL_E_clIPmSE_SF_SF_EESI_SY_SJ_SK_SL_EUlSY_E0_NS1_11comp_targetILNS1_3genE4ELNS1_11target_archE910ELNS1_3gpuE8ELNS1_3repE0EEENS1_38merge_mergepath_config_static_selectorELNS0_4arch9wavefront6targetE1EEEvSK_ ; -- Begin function _ZN7rocprim17ROCPRIM_400000_NS6detail17trampoline_kernelINS0_14default_configENS1_38merge_sort_block_merge_config_selectorImNS0_10empty_typeEEEZZNS1_27merge_sort_block_merge_implIS3_N6thrust23THRUST_200600_302600_NS6detail15normal_iteratorINS9_10device_ptrImEEEEPS5_m14custom_greaterImEEE10hipError_tT0_T1_T2_jT3_P12ihipStream_tbPNSt15iterator_traitsISJ_E10value_typeEPNSP_ISK_E10value_typeEPSL_NS1_7vsmem_tEENKUlT_SJ_SK_SL_E_clIPmSE_SF_SF_EESI_SY_SJ_SK_SL_EUlSY_E0_NS1_11comp_targetILNS1_3genE4ELNS1_11target_archE910ELNS1_3gpuE8ELNS1_3repE0EEENS1_38merge_mergepath_config_static_selectorELNS0_4arch9wavefront6targetE1EEEvSK_
	.globl	_ZN7rocprim17ROCPRIM_400000_NS6detail17trampoline_kernelINS0_14default_configENS1_38merge_sort_block_merge_config_selectorImNS0_10empty_typeEEEZZNS1_27merge_sort_block_merge_implIS3_N6thrust23THRUST_200600_302600_NS6detail15normal_iteratorINS9_10device_ptrImEEEEPS5_m14custom_greaterImEEE10hipError_tT0_T1_T2_jT3_P12ihipStream_tbPNSt15iterator_traitsISJ_E10value_typeEPNSP_ISK_E10value_typeEPSL_NS1_7vsmem_tEENKUlT_SJ_SK_SL_E_clIPmSE_SF_SF_EESI_SY_SJ_SK_SL_EUlSY_E0_NS1_11comp_targetILNS1_3genE4ELNS1_11target_archE910ELNS1_3gpuE8ELNS1_3repE0EEENS1_38merge_mergepath_config_static_selectorELNS0_4arch9wavefront6targetE1EEEvSK_
	.p2align	8
	.type	_ZN7rocprim17ROCPRIM_400000_NS6detail17trampoline_kernelINS0_14default_configENS1_38merge_sort_block_merge_config_selectorImNS0_10empty_typeEEEZZNS1_27merge_sort_block_merge_implIS3_N6thrust23THRUST_200600_302600_NS6detail15normal_iteratorINS9_10device_ptrImEEEEPS5_m14custom_greaterImEEE10hipError_tT0_T1_T2_jT3_P12ihipStream_tbPNSt15iterator_traitsISJ_E10value_typeEPNSP_ISK_E10value_typeEPSL_NS1_7vsmem_tEENKUlT_SJ_SK_SL_E_clIPmSE_SF_SF_EESI_SY_SJ_SK_SL_EUlSY_E0_NS1_11comp_targetILNS1_3genE4ELNS1_11target_archE910ELNS1_3gpuE8ELNS1_3repE0EEENS1_38merge_mergepath_config_static_selectorELNS0_4arch9wavefront6targetE1EEEvSK_,@function
_ZN7rocprim17ROCPRIM_400000_NS6detail17trampoline_kernelINS0_14default_configENS1_38merge_sort_block_merge_config_selectorImNS0_10empty_typeEEEZZNS1_27merge_sort_block_merge_implIS3_N6thrust23THRUST_200600_302600_NS6detail15normal_iteratorINS9_10device_ptrImEEEEPS5_m14custom_greaterImEEE10hipError_tT0_T1_T2_jT3_P12ihipStream_tbPNSt15iterator_traitsISJ_E10value_typeEPNSP_ISK_E10value_typeEPSL_NS1_7vsmem_tEENKUlT_SJ_SK_SL_E_clIPmSE_SF_SF_EESI_SY_SJ_SK_SL_EUlSY_E0_NS1_11comp_targetILNS1_3genE4ELNS1_11target_archE910ELNS1_3gpuE8ELNS1_3repE0EEENS1_38merge_mergepath_config_static_selectorELNS0_4arch9wavefront6targetE1EEEvSK_: ; @_ZN7rocprim17ROCPRIM_400000_NS6detail17trampoline_kernelINS0_14default_configENS1_38merge_sort_block_merge_config_selectorImNS0_10empty_typeEEEZZNS1_27merge_sort_block_merge_implIS3_N6thrust23THRUST_200600_302600_NS6detail15normal_iteratorINS9_10device_ptrImEEEEPS5_m14custom_greaterImEEE10hipError_tT0_T1_T2_jT3_P12ihipStream_tbPNSt15iterator_traitsISJ_E10value_typeEPNSP_ISK_E10value_typeEPSL_NS1_7vsmem_tEENKUlT_SJ_SK_SL_E_clIPmSE_SF_SF_EESI_SY_SJ_SK_SL_EUlSY_E0_NS1_11comp_targetILNS1_3genE4ELNS1_11target_archE910ELNS1_3gpuE8ELNS1_3repE0EEENS1_38merge_mergepath_config_static_selectorELNS0_4arch9wavefront6targetE1EEEvSK_
; %bb.0:
	s_load_dwordx2 s[22:23], s[4:5], 0x48
	s_load_dword s0, s[4:5], 0x38
	s_add_u32 s18, s4, 0x48
	s_addc_u32 s19, s5, 0
	s_waitcnt lgkmcnt(0)
	s_mul_i32 s1, s23, s8
	s_add_i32 s1, s1, s7
	s_mul_i32 s1, s1, s22
	s_add_i32 s20, s1, s6
	s_cmp_ge_u32 s20, s0
	s_cbranch_scc1 .LBB3324_33
; %bb.1:
	s_load_dwordx2 s[0:1], s[4:5], 0x40
	s_load_dwordx4 s[12:15], s[4:5], 0x8
	s_load_dwordx4 s[8:11], s[4:5], 0x28
	s_mov_b32 s21, 0
	s_lshl_b64 s[2:3], s[20:21], 3
	s_waitcnt lgkmcnt(0)
	s_add_u32 s0, s0, s2
	s_addc_u32 s1, s1, s3
	v_mov_b32_e32 v1, s10
	v_alignbit_b32 v1, s11, v1, 9
	v_readfirstlane_b32 s4, v1
	s_and_b32 s4, s4, -2
	s_sub_i32 s30, 0, s4
	s_and_b32 s24, s20, s30
	s_mov_b32 s25, s21
	s_lshl_b64 s[4:5], s[24:25], 10
	s_lshl_b64 s[16:17], s[20:21], 10
	s_sub_u32 s7, s16, s4
	s_load_dwordx4 s[0:3], s[0:1], 0x0
	s_subb_u32 s23, s17, s5
	s_lshl_b64 s[24:25], s[24:25], 11
	s_add_u32 s24, s24, s10
	s_addc_u32 s25, s25, s11
	s_add_u32 s7, s24, s7
	s_addc_u32 s23, s25, s23
	s_waitcnt lgkmcnt(0)
	s_sub_u32 s26, s7, s2
	s_subb_u32 s3, s23, s3
	s_add_u32 s26, s26, 0x400
	s_addc_u32 s27, s3, 0
	v_pk_mov_b32 v[2:3], s[26:27], s[26:27] op_sel:[0,1]
	v_cmp_lt_u64_e32 vcc, s[8:9], v[2:3]
	s_and_b64 s[28:29], vcc, exec
	s_cselect_b32 s3, s8, s26
	s_or_b32 s26, s20, s30
	s_cmp_lg_u32 s26, -1
	s_cbranch_scc1 .LBB3324_3
; %bb.2:
	s_sub_u32 s4, s24, s4
	s_subb_u32 s5, s25, s5
	v_pk_mov_b32 v[2:3], s[4:5], s[4:5] op_sel:[0,1]
	v_cmp_lt_u64_e32 vcc, s[8:9], v[2:3]
	s_and_b64 s[2:3], vcc, exec
	s_cselect_b32 s2, s8, s4
	s_add_u32 s4, s4, s10
	s_addc_u32 s5, s5, s11
	v_pk_mov_b32 v[2:3], s[4:5], s[4:5] op_sel:[0,1]
	v_cmp_lt_u64_e32 vcc, s[8:9], v[2:3]
	s_and_b64 s[10:11], vcc, exec
	s_cselect_b32 s3, s8, s4
.LBB3324_3:
	s_lshr_b64 s[26:27], s[8:9], 10
	s_cmp_lg_u64 s[26:27], s[20:21]
	s_cselect_b64 s[10:11], -1, 0
	s_sub_u32 s4, s7, s0
	s_subb_u32 s5, s23, s1
	v_pk_mov_b32 v[2:3], s[4:5], s[4:5] op_sel:[0,1]
	v_cmp_lt_u64_e32 vcc, s[8:9], v[2:3]
	s_and_b64 s[24:25], vcc, exec
	s_cselect_b32 s28, s8, s4
	s_cselect_b32 s29, s9, s5
	s_sub_i32 s9, s2, s0
	s_sub_i32 s4, s3, s28
	s_lshl_b64 s[0:1], s[0:1], 3
	s_add_u32 s23, s12, s0
	s_addc_u32 s24, s13, s1
	s_lshl_b64 s[0:1], s[28:29], 3
	s_add_u32 s5, s12, s0
	s_addc_u32 s7, s13, s1
	s_cmp_lt_u32 s6, s22
	v_mov_b32_e32 v9, 0
	s_cselect_b32 s0, 12, 18
	global_load_dword v1, v9, s[18:19] offset:14
	s_add_u32 s0, s18, s0
	s_addc_u32 s1, s19, 0
	global_load_ushort v2, v9, s[0:1]
	s_cmp_eq_u64 s[26:27], s[20:21]
	s_waitcnt vmcnt(1)
	v_lshrrev_b32_e32 v3, 16, v1
	v_and_b32_e32 v1, 0xffff, v1
	v_mul_lo_u32 v1, v1, v3
	s_waitcnt vmcnt(0)
	v_mul_lo_u32 v14, v1, v2
	v_add_u32_e32 v12, v14, v0
	v_lshlrev_b32_e32 v1, 3, v0
	v_add_u32_e32 v10, v12, v14
	s_cbranch_scc1 .LBB3324_5
; %bb.4:
	v_mov_b32_e32 v2, s24
	v_add_co_u32_e32 v4, vcc, s23, v1
	v_subrev_u32_e32 v8, s9, v0
	v_addc_co_u32_e32 v5, vcc, 0, v2, vcc
	v_lshlrev_b64 v[2:3], 3, v[8:9]
	v_mov_b32_e32 v6, s7
	v_add_co_u32_e32 v2, vcc, s5, v2
	v_addc_co_u32_e32 v3, vcc, v6, v3, vcc
	v_cmp_gt_u32_e32 vcc, s9, v0
	v_mov_b32_e32 v13, v9
	v_cndmask_b32_e32 v3, v3, v5, vcc
	v_cndmask_b32_e32 v2, v2, v4, vcc
	v_lshlrev_b64 v[4:5], 3, v[12:13]
	v_mov_b32_e32 v6, s24
	v_add_co_u32_e32 v7, vcc, s23, v4
	v_subrev_u32_e32 v8, s9, v12
	v_addc_co_u32_e32 v6, vcc, v6, v5, vcc
	v_lshlrev_b64 v[4:5], 3, v[8:9]
	v_mov_b32_e32 v8, s7
	v_add_co_u32_e32 v4, vcc, s5, v4
	v_addc_co_u32_e32 v5, vcc, v8, v5, vcc
	v_cmp_gt_u32_e32 vcc, s9, v12
	v_mov_b32_e32 v11, v9
	v_cndmask_b32_e32 v5, v5, v6, vcc
	v_cndmask_b32_e32 v4, v4, v7, vcc
	v_lshlrev_b64 v[6:7], 3, v[10:11]
	v_mov_b32_e32 v8, s24
	v_add_co_u32_e32 v11, vcc, s23, v6
	v_addc_co_u32_e32 v13, vcc, v8, v7, vcc
	v_subrev_u32_e32 v8, s9, v10
	v_lshlrev_b64 v[6:7], 3, v[8:9]
	v_mov_b32_e32 v8, s7
	v_add_co_u32_e32 v6, vcc, s5, v6
	v_addc_co_u32_e32 v7, vcc, v8, v7, vcc
	v_add_u32_e32 v8, v10, v14
	v_cmp_gt_u32_e32 vcc, s9, v10
	v_lshlrev_b64 v[16:17], 3, v[8:9]
	v_cndmask_b32_e32 v7, v7, v13, vcc
	v_cndmask_b32_e32 v6, v6, v11, vcc
	v_mov_b32_e32 v11, s24
	v_add_co_u32_e32 v13, vcc, s23, v16
	v_addc_co_u32_e32 v11, vcc, v11, v17, vcc
	v_cmp_gt_u32_e32 vcc, s9, v8
	v_subrev_u32_e32 v8, s9, v8
	v_lshlrev_b64 v[8:9], 3, v[8:9]
	v_mov_b32_e32 v15, s7
	v_add_co_u32_e64 v8, s[0:1], s5, v8
	v_addc_co_u32_e64 v9, s[0:1], v15, v9, s[0:1]
	v_cndmask_b32_e32 v9, v9, v11, vcc
	v_cndmask_b32_e32 v8, v8, v13, vcc
	global_load_dwordx2 v[2:3], v[2:3], off
	s_add_i32 s12, s9, s4
	global_load_dwordx2 v[4:5], v[4:5], off
	s_nop 0
	global_load_dwordx2 v[6:7], v[6:7], off
	s_nop 0
	global_load_dwordx2 v[8:9], v[8:9], off
	s_cbranch_execz .LBB3324_6
	s_branch .LBB3324_13
.LBB3324_5:
                                        ; implicit-def: $vgpr2_vgpr3_vgpr4_vgpr5_vgpr6_vgpr7_vgpr8_vgpr9
                                        ; implicit-def: $sgpr12
.LBB3324_6:
	s_add_i32 s12, s9, s4
	v_cmp_gt_u32_e32 vcc, s12, v0
                                        ; implicit-def: $vgpr2_vgpr3_vgpr4_vgpr5_vgpr6_vgpr7_vgpr8_vgpr9
	s_and_saveexec_b64 s[0:1], vcc
	s_cbranch_execnz .LBB3324_34
; %bb.7:
	s_or_b64 exec, exec, s[0:1]
	v_cmp_gt_u32_e32 vcc, s12, v12
	s_and_saveexec_b64 s[2:3], vcc
	s_cbranch_execnz .LBB3324_35
.LBB3324_8:
	s_or_b64 exec, exec, s[2:3]
	v_cmp_gt_u32_e32 vcc, s12, v10
	s_and_saveexec_b64 s[0:1], vcc
	s_cbranch_execz .LBB3324_10
.LBB3324_9:
	v_mov_b32_e32 v11, 0
	s_waitcnt vmcnt(1)
	v_lshlrev_b64 v[6:7], 3, v[10:11]
	v_mov_b32_e32 v12, s24
	v_add_co_u32_e32 v13, vcc, s23, v6
	v_addc_co_u32_e32 v12, vcc, v12, v7, vcc
	v_subrev_u32_e32 v6, s9, v10
	v_mov_b32_e32 v7, v11
	v_lshlrev_b64 v[6:7], 3, v[6:7]
	v_mov_b32_e32 v11, s7
	v_add_co_u32_e32 v6, vcc, s5, v6
	v_addc_co_u32_e32 v7, vcc, v11, v7, vcc
	v_cmp_gt_u32_e32 vcc, s9, v10
	v_cndmask_b32_e32 v7, v7, v12, vcc
	v_cndmask_b32_e32 v6, v6, v13, vcc
	global_load_dwordx2 v[6:7], v[6:7], off
.LBB3324_10:
	s_or_b64 exec, exec, s[0:1]
	v_add_u32_e32 v10, v10, v14
	v_cmp_gt_u32_e32 vcc, s12, v10
	s_and_saveexec_b64 s[2:3], vcc
	s_cbranch_execz .LBB3324_12
; %bb.11:
	v_mov_b32_e32 v11, 0
	s_waitcnt vmcnt(0)
	v_lshlrev_b64 v[8:9], 3, v[10:11]
	v_mov_b32_e32 v12, s24
	v_add_co_u32_e32 v13, vcc, s23, v8
	v_addc_co_u32_e32 v12, vcc, v12, v9, vcc
	v_cmp_gt_u32_e32 vcc, s9, v10
	v_subrev_u32_e32 v10, s9, v10
	v_lshlrev_b64 v[8:9], 3, v[10:11]
	v_mov_b32_e32 v10, s7
	v_add_co_u32_e64 v8, s[0:1], s5, v8
	v_addc_co_u32_e64 v9, s[0:1], v10, v9, s[0:1]
	v_cndmask_b32_e32 v9, v9, v12, vcc
	v_cndmask_b32_e32 v8, v8, v13, vcc
	global_load_dwordx2 v[8:9], v[8:9], off
.LBB3324_12:
	s_or_b64 exec, exec, s[2:3]
.LBB3324_13:
	v_lshlrev_b32_e32 v10, 2, v0
	v_min_u32_e32 v12, s12, v10
	v_sub_u32_e64 v11, v12, s4 clamp
	v_min_u32_e32 v13, s9, v12
	v_cmp_lt_u32_e32 vcc, v11, v13
	s_waitcnt vmcnt(0)
	ds_write2st64_b64 v1, v[2:3], v[4:5] offset1:4
	ds_write2st64_b64 v1, v[6:7], v[8:9] offset0:8 offset1:12
	s_waitcnt lgkmcnt(0)
	s_barrier
	s_and_saveexec_b64 s[0:1], vcc
	s_cbranch_execz .LBB3324_17
; %bb.14:
	v_lshlrev_b32_e32 v14, 3, v12
	v_lshl_add_u32 v14, s9, 3, v14
	s_mov_b64 s[2:3], 0
.LBB3324_15:                            ; =>This Inner Loop Header: Depth=1
	v_add_u32_e32 v15, v13, v11
	v_lshrrev_b32_e32 v15, 1, v15
	v_not_b32_e32 v16, v15
	v_lshlrev_b32_e32 v17, 3, v15
	v_lshl_add_u32 v18, v16, 3, v14
	ds_read_b64 v[16:17], v17
	ds_read_b64 v[18:19], v18
	v_add_u32_e32 v20, 1, v15
	s_waitcnt lgkmcnt(0)
	v_cmp_gt_u64_e32 vcc, v[16:17], v[18:19]
	v_cndmask_b32_e32 v13, v13, v15, vcc
	v_cndmask_b32_e32 v11, v20, v11, vcc
	v_cmp_ge_u32_e32 vcc, v11, v13
	s_or_b64 s[2:3], vcc, s[2:3]
	s_andn2_b64 exec, exec, s[2:3]
	s_cbranch_execnz .LBB3324_15
; %bb.16:
	s_or_b64 exec, exec, s[2:3]
.LBB3324_17:
	s_or_b64 exec, exec, s[0:1]
	v_sub_u32_e32 v12, v12, v11
	v_add_u32_e32 v12, s9, v12
	v_cmp_ge_u32_e32 vcc, s9, v11
	v_cmp_ge_u32_e64 s[0:1], s12, v12
	s_or_b64 s[0:1], vcc, s[0:1]
	s_and_saveexec_b64 s[6:7], s[0:1]
	s_cbranch_execz .LBB3324_23
; %bb.18:
	v_cmp_gt_u32_e32 vcc, s9, v11
                                        ; implicit-def: $vgpr2_vgpr3
	s_and_saveexec_b64 s[0:1], vcc
	s_cbranch_execz .LBB3324_20
; %bb.19:
	v_lshlrev_b32_e32 v2, 3, v11
	ds_read_b64 v[2:3], v2
.LBB3324_20:
	s_or_b64 exec, exec, s[0:1]
	v_cmp_le_u32_e64 s[0:1], s12, v12
	v_cmp_gt_u32_e64 s[2:3], s12, v12
                                        ; implicit-def: $vgpr4_vgpr5
	s_and_saveexec_b64 s[4:5], s[2:3]
	s_cbranch_execz .LBB3324_22
; %bb.21:
	v_lshlrev_b32_e32 v4, 3, v12
	ds_read_b64 v[4:5], v4
.LBB3324_22:
	s_or_b64 exec, exec, s[4:5]
	s_waitcnt lgkmcnt(0)
	v_cmp_le_u64_e64 s[2:3], v[2:3], v[4:5]
	s_and_b64 s[2:3], vcc, s[2:3]
	s_or_b64 vcc, s[0:1], s[2:3]
	v_mov_b32_e32 v16, s12
	v_mov_b32_e32 v17, s9
	v_cndmask_b32_e32 v6, v12, v11, vcc
	v_cndmask_b32_e32 v7, v16, v17, vcc
	v_add_u32_e32 v13, 1, v6
	v_add_u32_e32 v6, -1, v7
	v_min_u32_e32 v6, v13, v6
	v_lshlrev_b32_e32 v6, 3, v6
	ds_read_b64 v[6:7], v6
	v_cndmask_b32_e32 v11, v11, v13, vcc
	v_cndmask_b32_e32 v18, v13, v12, vcc
	v_cmp_gt_u32_e64 s[2:3], s9, v11
	v_cmp_le_u32_e64 s[0:1], s12, v18
	s_waitcnt lgkmcnt(0)
	v_cndmask_b32_e32 v9, v7, v5, vcc
	v_cndmask_b32_e32 v8, v6, v4, vcc
	;; [unrolled: 1-line block ×4, first 2 shown]
	v_cmp_le_u64_e64 s[4:5], v[6:7], v[8:9]
	s_and_b64 s[2:3], s[2:3], s[4:5]
	s_or_b64 s[0:1], s[0:1], s[2:3]
	v_cndmask_b32_e64 v12, v18, v11, s[0:1]
	v_cndmask_b32_e64 v13, v16, v17, s[0:1]
	v_add_u32_e32 v19, 1, v12
	v_add_u32_e32 v12, -1, v13
	v_min_u32_e32 v12, v19, v12
	v_lshlrev_b32_e32 v12, 3, v12
	ds_read_b64 v[12:13], v12
	v_cndmask_b32_e64 v11, v11, v19, s[0:1]
	v_cndmask_b32_e64 v18, v19, v18, s[0:1]
	v_cmp_gt_u32_e64 s[2:3], s9, v11
	v_cndmask_b32_e32 v3, v5, v3, vcc
	s_waitcnt lgkmcnt(0)
	v_cndmask_b32_e64 v15, v13, v9, s[0:1]
	v_cndmask_b32_e64 v14, v12, v8, s[0:1]
	;; [unrolled: 1-line block ×4, first 2 shown]
	v_cmp_le_u64_e64 s[4:5], v[12:13], v[14:15]
	v_cndmask_b32_e32 v2, v4, v2, vcc
	v_cmp_le_u32_e32 vcc, s12, v18
	s_and_b64 s[2:3], s[2:3], s[4:5]
	s_or_b64 vcc, vcc, s[2:3]
	v_cndmask_b32_e32 v4, v18, v11, vcc
	v_cndmask_b32_e32 v5, v16, v17, vcc
	v_add_u32_e32 v19, 1, v4
	v_add_u32_e32 v4, -1, v5
	v_min_u32_e32 v4, v19, v4
	v_lshlrev_b32_e32 v4, 3, v4
	ds_read_b64 v[16:17], v4
	v_cndmask_b32_e64 v5, v9, v7, s[0:1]
	v_cndmask_b32_e64 v4, v8, v6, s[0:1]
	v_cndmask_b32_e32 v7, v15, v13, vcc
	v_cndmask_b32_e32 v6, v14, v12, vcc
	s_waitcnt lgkmcnt(0)
	v_cndmask_b32_e32 v9, v17, v15, vcc
	v_cndmask_b32_e32 v8, v16, v14, vcc
	;; [unrolled: 1-line block ×6, first 2 shown]
	v_cmp_gt_u32_e64 s[0:1], s9, v11
	v_cmp_le_u64_e64 s[2:3], v[12:13], v[8:9]
	v_cmp_le_u32_e32 vcc, s12, v14
	s_and_b64 s[0:1], s[0:1], s[2:3]
	s_or_b64 vcc, vcc, s[0:1]
	v_cndmask_b32_e32 v9, v9, v13, vcc
	v_cndmask_b32_e32 v8, v8, v12, vcc
.LBB3324_23:
	s_or_b64 exec, exec, s[6:7]
	v_and_b32_e32 v11, 0xf8, v0
	v_lshl_add_u32 v10, v10, 3, v11
	s_barrier
	s_barrier
	ds_write2_b64 v10, v[2:3], v[4:5] offset1:1
	ds_write2_b64 v10, v[6:7], v[8:9] offset0:2 offset1:3
	v_lshrrev_b32_e32 v2, 2, v0
	v_and_b32_e32 v2, 56, v2
	v_or_b32_e32 v12, 0x100, v0
	v_add_u32_e32 v13, v1, v2
	v_lshrrev_b32_e32 v2, 2, v12
	v_and_b32_e32 v2, 0x78, v2
	v_or_b32_e32 v11, 0x200, v0
	v_add_u32_e32 v6, v1, v2
	v_lshrrev_b32_e32 v2, 2, v11
	s_lshl_b64 s[0:1], s[16:17], 3
	v_and_b32_e32 v2, 0xb8, v2
	v_or_b32_e32 v10, 0x300, v0
	s_add_u32 s0, s14, s0
	v_add_u32_e32 v7, v1, v2
	v_lshrrev_b32_e32 v2, 2, v10
	s_addc_u32 s1, s15, s1
	v_and_b32_e32 v2, 0xf8, v2
	v_add_u32_e32 v14, v1, v2
	v_mov_b32_e32 v3, s1
	v_add_co_u32_e32 v2, vcc, s0, v1
	v_addc_co_u32_e32 v3, vcc, 0, v3, vcc
	s_and_b64 vcc, exec, s[10:11]
	s_waitcnt lgkmcnt(0)
	s_cbranch_vccz .LBB3324_25
; %bb.24:
	s_barrier
	ds_read_b64 v[8:9], v13
	ds_read_b64 v[16:17], v6 offset:2048
	ds_read_b64 v[18:19], v7 offset:4096
	;; [unrolled: 1-line block ×3, first 2 shown]
	s_waitcnt lgkmcnt(3)
	global_store_dwordx2 v[2:3], v[8:9], off
	s_waitcnt lgkmcnt(2)
	global_store_dwordx2 v[2:3], v[16:17], off offset:2048
	v_add_co_u32_e32 v8, vcc, 0x1000, v2
	v_addc_co_u32_e32 v9, vcc, 0, v3, vcc
	s_waitcnt lgkmcnt(1)
	global_store_dwordx2 v[8:9], v[18:19], off
	s_mov_b64 s[0:1], -1
	s_cbranch_execz .LBB3324_26
	s_branch .LBB3324_31
.LBB3324_25:
	s_mov_b64 s[0:1], 0
                                        ; implicit-def: $vgpr4_vgpr5
.LBB3324_26:
	s_barrier
	s_waitcnt lgkmcnt(0)
	ds_read_b64 v[8:9], v6 offset:2048
	ds_read_b64 v[6:7], v7 offset:4096
	;; [unrolled: 1-line block ×3, first 2 shown]
	s_sub_i32 s2, s8, s16
	v_cmp_gt_u32_e32 vcc, s2, v0
	s_and_saveexec_b64 s[0:1], vcc
	s_cbranch_execnz .LBB3324_36
; %bb.27:
	s_or_b64 exec, exec, s[0:1]
	v_cmp_gt_u32_e32 vcc, s2, v12
	s_and_saveexec_b64 s[0:1], vcc
	s_cbranch_execnz .LBB3324_37
.LBB3324_28:
	s_or_b64 exec, exec, s[0:1]
	v_cmp_gt_u32_e32 vcc, s2, v11
	s_and_saveexec_b64 s[0:1], vcc
	s_cbranch_execz .LBB3324_30
.LBB3324_29:
	v_add_co_u32_e32 v0, vcc, 0x1000, v2
	v_addc_co_u32_e32 v1, vcc, 0, v3, vcc
	s_waitcnt lgkmcnt(1)
	global_store_dwordx2 v[0:1], v[6:7], off
.LBB3324_30:
	s_or_b64 exec, exec, s[0:1]
	v_cmp_gt_u32_e64 s[0:1], s2, v10
.LBB3324_31:
	s_and_saveexec_b64 s[2:3], s[0:1]
	s_cbranch_execz .LBB3324_33
; %bb.32:
	v_add_co_u32_e32 v0, vcc, 0x1000, v2
	v_addc_co_u32_e32 v1, vcc, 0, v3, vcc
	s_waitcnt lgkmcnt(0)
	global_store_dwordx2 v[0:1], v[4:5], off offset:2048
.LBB3324_33:
	s_endpgm
.LBB3324_34:
	s_waitcnt vmcnt(3)
	v_mov_b32_e32 v2, s24
	s_waitcnt vmcnt(2)
	v_add_co_u32_e32 v4, vcc, s23, v1
	v_mov_b32_e32 v3, 0
	v_addc_co_u32_e32 v5, vcc, 0, v2, vcc
	v_subrev_u32_e32 v2, s9, v0
	v_lshlrev_b64 v[2:3], 3, v[2:3]
	s_waitcnt vmcnt(1)
	v_mov_b32_e32 v6, s7
	v_add_co_u32_e32 v2, vcc, s5, v2
	v_addc_co_u32_e32 v3, vcc, v6, v3, vcc
	v_cmp_gt_u32_e32 vcc, s9, v0
	v_cndmask_b32_e32 v3, v3, v5, vcc
	v_cndmask_b32_e32 v2, v2, v4, vcc
	global_load_dwordx2 v[2:3], v[2:3], off
	s_or_b64 exec, exec, s[0:1]
	v_cmp_gt_u32_e32 vcc, s12, v12
	s_and_saveexec_b64 s[2:3], vcc
	s_cbranch_execz .LBB3324_8
.LBB3324_35:
	v_mov_b32_e32 v13, 0
	s_waitcnt vmcnt(2)
	v_lshlrev_b64 v[4:5], 3, v[12:13]
	v_mov_b32_e32 v11, s24
	v_add_co_u32_e32 v15, vcc, s23, v4
	v_addc_co_u32_e32 v11, vcc, v11, v5, vcc
	v_cmp_gt_u32_e32 vcc, s9, v12
	v_subrev_u32_e32 v12, s9, v12
	v_lshlrev_b64 v[4:5], 3, v[12:13]
	v_mov_b32_e32 v12, s7
	v_add_co_u32_e64 v4, s[0:1], s5, v4
	v_addc_co_u32_e64 v5, s[0:1], v12, v5, s[0:1]
	v_cndmask_b32_e32 v5, v5, v11, vcc
	v_cndmask_b32_e32 v4, v4, v15, vcc
	global_load_dwordx2 v[4:5], v[4:5], off
	s_or_b64 exec, exec, s[2:3]
	v_cmp_gt_u32_e32 vcc, s12, v10
	s_and_saveexec_b64 s[0:1], vcc
	s_cbranch_execnz .LBB3324_9
	s_branch .LBB3324_10
.LBB3324_36:
	ds_read_b64 v[0:1], v13
	s_waitcnt lgkmcnt(0)
	global_store_dwordx2 v[2:3], v[0:1], off
	s_or_b64 exec, exec, s[0:1]
	v_cmp_gt_u32_e32 vcc, s2, v12
	s_and_saveexec_b64 s[0:1], vcc
	s_cbranch_execz .LBB3324_28
.LBB3324_37:
	s_waitcnt lgkmcnt(2)
	global_store_dwordx2 v[2:3], v[8:9], off offset:2048
	s_or_b64 exec, exec, s[0:1]
	v_cmp_gt_u32_e32 vcc, s2, v11
	s_and_saveexec_b64 s[0:1], vcc
	s_cbranch_execnz .LBB3324_29
	s_branch .LBB3324_30
	.section	.rodata,"a",@progbits
	.p2align	6, 0x0
	.amdhsa_kernel _ZN7rocprim17ROCPRIM_400000_NS6detail17trampoline_kernelINS0_14default_configENS1_38merge_sort_block_merge_config_selectorImNS0_10empty_typeEEEZZNS1_27merge_sort_block_merge_implIS3_N6thrust23THRUST_200600_302600_NS6detail15normal_iteratorINS9_10device_ptrImEEEEPS5_m14custom_greaterImEEE10hipError_tT0_T1_T2_jT3_P12ihipStream_tbPNSt15iterator_traitsISJ_E10value_typeEPNSP_ISK_E10value_typeEPSL_NS1_7vsmem_tEENKUlT_SJ_SK_SL_E_clIPmSE_SF_SF_EESI_SY_SJ_SK_SL_EUlSY_E0_NS1_11comp_targetILNS1_3genE4ELNS1_11target_archE910ELNS1_3gpuE8ELNS1_3repE0EEENS1_38merge_mergepath_config_static_selectorELNS0_4arch9wavefront6targetE1EEEvSK_
		.amdhsa_group_segment_fixed_size 8448
		.amdhsa_private_segment_fixed_size 0
		.amdhsa_kernarg_size 328
		.amdhsa_user_sgpr_count 6
		.amdhsa_user_sgpr_private_segment_buffer 1
		.amdhsa_user_sgpr_dispatch_ptr 0
		.amdhsa_user_sgpr_queue_ptr 0
		.amdhsa_user_sgpr_kernarg_segment_ptr 1
		.amdhsa_user_sgpr_dispatch_id 0
		.amdhsa_user_sgpr_flat_scratch_init 0
		.amdhsa_user_sgpr_kernarg_preload_length 0
		.amdhsa_user_sgpr_kernarg_preload_offset 0
		.amdhsa_user_sgpr_private_segment_size 0
		.amdhsa_uses_dynamic_stack 0
		.amdhsa_system_sgpr_private_segment_wavefront_offset 0
		.amdhsa_system_sgpr_workgroup_id_x 1
		.amdhsa_system_sgpr_workgroup_id_y 1
		.amdhsa_system_sgpr_workgroup_id_z 1
		.amdhsa_system_sgpr_workgroup_info 0
		.amdhsa_system_vgpr_workitem_id 0
		.amdhsa_next_free_vgpr 21
		.amdhsa_next_free_sgpr 31
		.amdhsa_accum_offset 24
		.amdhsa_reserve_vcc 1
		.amdhsa_reserve_flat_scratch 0
		.amdhsa_float_round_mode_32 0
		.amdhsa_float_round_mode_16_64 0
		.amdhsa_float_denorm_mode_32 3
		.amdhsa_float_denorm_mode_16_64 3
		.amdhsa_dx10_clamp 1
		.amdhsa_ieee_mode 1
		.amdhsa_fp16_overflow 0
		.amdhsa_tg_split 0
		.amdhsa_exception_fp_ieee_invalid_op 0
		.amdhsa_exception_fp_denorm_src 0
		.amdhsa_exception_fp_ieee_div_zero 0
		.amdhsa_exception_fp_ieee_overflow 0
		.amdhsa_exception_fp_ieee_underflow 0
		.amdhsa_exception_fp_ieee_inexact 0
		.amdhsa_exception_int_div_zero 0
	.end_amdhsa_kernel
	.section	.text._ZN7rocprim17ROCPRIM_400000_NS6detail17trampoline_kernelINS0_14default_configENS1_38merge_sort_block_merge_config_selectorImNS0_10empty_typeEEEZZNS1_27merge_sort_block_merge_implIS3_N6thrust23THRUST_200600_302600_NS6detail15normal_iteratorINS9_10device_ptrImEEEEPS5_m14custom_greaterImEEE10hipError_tT0_T1_T2_jT3_P12ihipStream_tbPNSt15iterator_traitsISJ_E10value_typeEPNSP_ISK_E10value_typeEPSL_NS1_7vsmem_tEENKUlT_SJ_SK_SL_E_clIPmSE_SF_SF_EESI_SY_SJ_SK_SL_EUlSY_E0_NS1_11comp_targetILNS1_3genE4ELNS1_11target_archE910ELNS1_3gpuE8ELNS1_3repE0EEENS1_38merge_mergepath_config_static_selectorELNS0_4arch9wavefront6targetE1EEEvSK_,"axG",@progbits,_ZN7rocprim17ROCPRIM_400000_NS6detail17trampoline_kernelINS0_14default_configENS1_38merge_sort_block_merge_config_selectorImNS0_10empty_typeEEEZZNS1_27merge_sort_block_merge_implIS3_N6thrust23THRUST_200600_302600_NS6detail15normal_iteratorINS9_10device_ptrImEEEEPS5_m14custom_greaterImEEE10hipError_tT0_T1_T2_jT3_P12ihipStream_tbPNSt15iterator_traitsISJ_E10value_typeEPNSP_ISK_E10value_typeEPSL_NS1_7vsmem_tEENKUlT_SJ_SK_SL_E_clIPmSE_SF_SF_EESI_SY_SJ_SK_SL_EUlSY_E0_NS1_11comp_targetILNS1_3genE4ELNS1_11target_archE910ELNS1_3gpuE8ELNS1_3repE0EEENS1_38merge_mergepath_config_static_selectorELNS0_4arch9wavefront6targetE1EEEvSK_,comdat
.Lfunc_end3324:
	.size	_ZN7rocprim17ROCPRIM_400000_NS6detail17trampoline_kernelINS0_14default_configENS1_38merge_sort_block_merge_config_selectorImNS0_10empty_typeEEEZZNS1_27merge_sort_block_merge_implIS3_N6thrust23THRUST_200600_302600_NS6detail15normal_iteratorINS9_10device_ptrImEEEEPS5_m14custom_greaterImEEE10hipError_tT0_T1_T2_jT3_P12ihipStream_tbPNSt15iterator_traitsISJ_E10value_typeEPNSP_ISK_E10value_typeEPSL_NS1_7vsmem_tEENKUlT_SJ_SK_SL_E_clIPmSE_SF_SF_EESI_SY_SJ_SK_SL_EUlSY_E0_NS1_11comp_targetILNS1_3genE4ELNS1_11target_archE910ELNS1_3gpuE8ELNS1_3repE0EEENS1_38merge_mergepath_config_static_selectorELNS0_4arch9wavefront6targetE1EEEvSK_, .Lfunc_end3324-_ZN7rocprim17ROCPRIM_400000_NS6detail17trampoline_kernelINS0_14default_configENS1_38merge_sort_block_merge_config_selectorImNS0_10empty_typeEEEZZNS1_27merge_sort_block_merge_implIS3_N6thrust23THRUST_200600_302600_NS6detail15normal_iteratorINS9_10device_ptrImEEEEPS5_m14custom_greaterImEEE10hipError_tT0_T1_T2_jT3_P12ihipStream_tbPNSt15iterator_traitsISJ_E10value_typeEPNSP_ISK_E10value_typeEPSL_NS1_7vsmem_tEENKUlT_SJ_SK_SL_E_clIPmSE_SF_SF_EESI_SY_SJ_SK_SL_EUlSY_E0_NS1_11comp_targetILNS1_3genE4ELNS1_11target_archE910ELNS1_3gpuE8ELNS1_3repE0EEENS1_38merge_mergepath_config_static_selectorELNS0_4arch9wavefront6targetE1EEEvSK_
                                        ; -- End function
	.section	.AMDGPU.csdata,"",@progbits
; Kernel info:
; codeLenInByte = 2272
; NumSgprs: 35
; NumVgprs: 21
; NumAgprs: 0
; TotalNumVgprs: 21
; ScratchSize: 0
; MemoryBound: 0
; FloatMode: 240
; IeeeMode: 1
; LDSByteSize: 8448 bytes/workgroup (compile time only)
; SGPRBlocks: 4
; VGPRBlocks: 2
; NumSGPRsForWavesPerEU: 35
; NumVGPRsForWavesPerEU: 21
; AccumOffset: 24
; Occupancy: 7
; WaveLimiterHint : 1
; COMPUTE_PGM_RSRC2:SCRATCH_EN: 0
; COMPUTE_PGM_RSRC2:USER_SGPR: 6
; COMPUTE_PGM_RSRC2:TRAP_HANDLER: 0
; COMPUTE_PGM_RSRC2:TGID_X_EN: 1
; COMPUTE_PGM_RSRC2:TGID_Y_EN: 1
; COMPUTE_PGM_RSRC2:TGID_Z_EN: 1
; COMPUTE_PGM_RSRC2:TIDIG_COMP_CNT: 0
; COMPUTE_PGM_RSRC3_GFX90A:ACCUM_OFFSET: 5
; COMPUTE_PGM_RSRC3_GFX90A:TG_SPLIT: 0
	.section	.text._ZN7rocprim17ROCPRIM_400000_NS6detail17trampoline_kernelINS0_14default_configENS1_38merge_sort_block_merge_config_selectorImNS0_10empty_typeEEEZZNS1_27merge_sort_block_merge_implIS3_N6thrust23THRUST_200600_302600_NS6detail15normal_iteratorINS9_10device_ptrImEEEEPS5_m14custom_greaterImEEE10hipError_tT0_T1_T2_jT3_P12ihipStream_tbPNSt15iterator_traitsISJ_E10value_typeEPNSP_ISK_E10value_typeEPSL_NS1_7vsmem_tEENKUlT_SJ_SK_SL_E_clIPmSE_SF_SF_EESI_SY_SJ_SK_SL_EUlSY_E0_NS1_11comp_targetILNS1_3genE3ELNS1_11target_archE908ELNS1_3gpuE7ELNS1_3repE0EEENS1_38merge_mergepath_config_static_selectorELNS0_4arch9wavefront6targetE1EEEvSK_,"axG",@progbits,_ZN7rocprim17ROCPRIM_400000_NS6detail17trampoline_kernelINS0_14default_configENS1_38merge_sort_block_merge_config_selectorImNS0_10empty_typeEEEZZNS1_27merge_sort_block_merge_implIS3_N6thrust23THRUST_200600_302600_NS6detail15normal_iteratorINS9_10device_ptrImEEEEPS5_m14custom_greaterImEEE10hipError_tT0_T1_T2_jT3_P12ihipStream_tbPNSt15iterator_traitsISJ_E10value_typeEPNSP_ISK_E10value_typeEPSL_NS1_7vsmem_tEENKUlT_SJ_SK_SL_E_clIPmSE_SF_SF_EESI_SY_SJ_SK_SL_EUlSY_E0_NS1_11comp_targetILNS1_3genE3ELNS1_11target_archE908ELNS1_3gpuE7ELNS1_3repE0EEENS1_38merge_mergepath_config_static_selectorELNS0_4arch9wavefront6targetE1EEEvSK_,comdat
	.protected	_ZN7rocprim17ROCPRIM_400000_NS6detail17trampoline_kernelINS0_14default_configENS1_38merge_sort_block_merge_config_selectorImNS0_10empty_typeEEEZZNS1_27merge_sort_block_merge_implIS3_N6thrust23THRUST_200600_302600_NS6detail15normal_iteratorINS9_10device_ptrImEEEEPS5_m14custom_greaterImEEE10hipError_tT0_T1_T2_jT3_P12ihipStream_tbPNSt15iterator_traitsISJ_E10value_typeEPNSP_ISK_E10value_typeEPSL_NS1_7vsmem_tEENKUlT_SJ_SK_SL_E_clIPmSE_SF_SF_EESI_SY_SJ_SK_SL_EUlSY_E0_NS1_11comp_targetILNS1_3genE3ELNS1_11target_archE908ELNS1_3gpuE7ELNS1_3repE0EEENS1_38merge_mergepath_config_static_selectorELNS0_4arch9wavefront6targetE1EEEvSK_ ; -- Begin function _ZN7rocprim17ROCPRIM_400000_NS6detail17trampoline_kernelINS0_14default_configENS1_38merge_sort_block_merge_config_selectorImNS0_10empty_typeEEEZZNS1_27merge_sort_block_merge_implIS3_N6thrust23THRUST_200600_302600_NS6detail15normal_iteratorINS9_10device_ptrImEEEEPS5_m14custom_greaterImEEE10hipError_tT0_T1_T2_jT3_P12ihipStream_tbPNSt15iterator_traitsISJ_E10value_typeEPNSP_ISK_E10value_typeEPSL_NS1_7vsmem_tEENKUlT_SJ_SK_SL_E_clIPmSE_SF_SF_EESI_SY_SJ_SK_SL_EUlSY_E0_NS1_11comp_targetILNS1_3genE3ELNS1_11target_archE908ELNS1_3gpuE7ELNS1_3repE0EEENS1_38merge_mergepath_config_static_selectorELNS0_4arch9wavefront6targetE1EEEvSK_
	.globl	_ZN7rocprim17ROCPRIM_400000_NS6detail17trampoline_kernelINS0_14default_configENS1_38merge_sort_block_merge_config_selectorImNS0_10empty_typeEEEZZNS1_27merge_sort_block_merge_implIS3_N6thrust23THRUST_200600_302600_NS6detail15normal_iteratorINS9_10device_ptrImEEEEPS5_m14custom_greaterImEEE10hipError_tT0_T1_T2_jT3_P12ihipStream_tbPNSt15iterator_traitsISJ_E10value_typeEPNSP_ISK_E10value_typeEPSL_NS1_7vsmem_tEENKUlT_SJ_SK_SL_E_clIPmSE_SF_SF_EESI_SY_SJ_SK_SL_EUlSY_E0_NS1_11comp_targetILNS1_3genE3ELNS1_11target_archE908ELNS1_3gpuE7ELNS1_3repE0EEENS1_38merge_mergepath_config_static_selectorELNS0_4arch9wavefront6targetE1EEEvSK_
	.p2align	8
	.type	_ZN7rocprim17ROCPRIM_400000_NS6detail17trampoline_kernelINS0_14default_configENS1_38merge_sort_block_merge_config_selectorImNS0_10empty_typeEEEZZNS1_27merge_sort_block_merge_implIS3_N6thrust23THRUST_200600_302600_NS6detail15normal_iteratorINS9_10device_ptrImEEEEPS5_m14custom_greaterImEEE10hipError_tT0_T1_T2_jT3_P12ihipStream_tbPNSt15iterator_traitsISJ_E10value_typeEPNSP_ISK_E10value_typeEPSL_NS1_7vsmem_tEENKUlT_SJ_SK_SL_E_clIPmSE_SF_SF_EESI_SY_SJ_SK_SL_EUlSY_E0_NS1_11comp_targetILNS1_3genE3ELNS1_11target_archE908ELNS1_3gpuE7ELNS1_3repE0EEENS1_38merge_mergepath_config_static_selectorELNS0_4arch9wavefront6targetE1EEEvSK_,@function
_ZN7rocprim17ROCPRIM_400000_NS6detail17trampoline_kernelINS0_14default_configENS1_38merge_sort_block_merge_config_selectorImNS0_10empty_typeEEEZZNS1_27merge_sort_block_merge_implIS3_N6thrust23THRUST_200600_302600_NS6detail15normal_iteratorINS9_10device_ptrImEEEEPS5_m14custom_greaterImEEE10hipError_tT0_T1_T2_jT3_P12ihipStream_tbPNSt15iterator_traitsISJ_E10value_typeEPNSP_ISK_E10value_typeEPSL_NS1_7vsmem_tEENKUlT_SJ_SK_SL_E_clIPmSE_SF_SF_EESI_SY_SJ_SK_SL_EUlSY_E0_NS1_11comp_targetILNS1_3genE3ELNS1_11target_archE908ELNS1_3gpuE7ELNS1_3repE0EEENS1_38merge_mergepath_config_static_selectorELNS0_4arch9wavefront6targetE1EEEvSK_: ; @_ZN7rocprim17ROCPRIM_400000_NS6detail17trampoline_kernelINS0_14default_configENS1_38merge_sort_block_merge_config_selectorImNS0_10empty_typeEEEZZNS1_27merge_sort_block_merge_implIS3_N6thrust23THRUST_200600_302600_NS6detail15normal_iteratorINS9_10device_ptrImEEEEPS5_m14custom_greaterImEEE10hipError_tT0_T1_T2_jT3_P12ihipStream_tbPNSt15iterator_traitsISJ_E10value_typeEPNSP_ISK_E10value_typeEPSL_NS1_7vsmem_tEENKUlT_SJ_SK_SL_E_clIPmSE_SF_SF_EESI_SY_SJ_SK_SL_EUlSY_E0_NS1_11comp_targetILNS1_3genE3ELNS1_11target_archE908ELNS1_3gpuE7ELNS1_3repE0EEENS1_38merge_mergepath_config_static_selectorELNS0_4arch9wavefront6targetE1EEEvSK_
; %bb.0:
	.section	.rodata,"a",@progbits
	.p2align	6, 0x0
	.amdhsa_kernel _ZN7rocprim17ROCPRIM_400000_NS6detail17trampoline_kernelINS0_14default_configENS1_38merge_sort_block_merge_config_selectorImNS0_10empty_typeEEEZZNS1_27merge_sort_block_merge_implIS3_N6thrust23THRUST_200600_302600_NS6detail15normal_iteratorINS9_10device_ptrImEEEEPS5_m14custom_greaterImEEE10hipError_tT0_T1_T2_jT3_P12ihipStream_tbPNSt15iterator_traitsISJ_E10value_typeEPNSP_ISK_E10value_typeEPSL_NS1_7vsmem_tEENKUlT_SJ_SK_SL_E_clIPmSE_SF_SF_EESI_SY_SJ_SK_SL_EUlSY_E0_NS1_11comp_targetILNS1_3genE3ELNS1_11target_archE908ELNS1_3gpuE7ELNS1_3repE0EEENS1_38merge_mergepath_config_static_selectorELNS0_4arch9wavefront6targetE1EEEvSK_
		.amdhsa_group_segment_fixed_size 0
		.amdhsa_private_segment_fixed_size 0
		.amdhsa_kernarg_size 72
		.amdhsa_user_sgpr_count 6
		.amdhsa_user_sgpr_private_segment_buffer 1
		.amdhsa_user_sgpr_dispatch_ptr 0
		.amdhsa_user_sgpr_queue_ptr 0
		.amdhsa_user_sgpr_kernarg_segment_ptr 1
		.amdhsa_user_sgpr_dispatch_id 0
		.amdhsa_user_sgpr_flat_scratch_init 0
		.amdhsa_user_sgpr_kernarg_preload_length 0
		.amdhsa_user_sgpr_kernarg_preload_offset 0
		.amdhsa_user_sgpr_private_segment_size 0
		.amdhsa_uses_dynamic_stack 0
		.amdhsa_system_sgpr_private_segment_wavefront_offset 0
		.amdhsa_system_sgpr_workgroup_id_x 1
		.amdhsa_system_sgpr_workgroup_id_y 0
		.amdhsa_system_sgpr_workgroup_id_z 0
		.amdhsa_system_sgpr_workgroup_info 0
		.amdhsa_system_vgpr_workitem_id 0
		.amdhsa_next_free_vgpr 1
		.amdhsa_next_free_sgpr 0
		.amdhsa_accum_offset 4
		.amdhsa_reserve_vcc 0
		.amdhsa_reserve_flat_scratch 0
		.amdhsa_float_round_mode_32 0
		.amdhsa_float_round_mode_16_64 0
		.amdhsa_float_denorm_mode_32 3
		.amdhsa_float_denorm_mode_16_64 3
		.amdhsa_dx10_clamp 1
		.amdhsa_ieee_mode 1
		.amdhsa_fp16_overflow 0
		.amdhsa_tg_split 0
		.amdhsa_exception_fp_ieee_invalid_op 0
		.amdhsa_exception_fp_denorm_src 0
		.amdhsa_exception_fp_ieee_div_zero 0
		.amdhsa_exception_fp_ieee_overflow 0
		.amdhsa_exception_fp_ieee_underflow 0
		.amdhsa_exception_fp_ieee_inexact 0
		.amdhsa_exception_int_div_zero 0
	.end_amdhsa_kernel
	.section	.text._ZN7rocprim17ROCPRIM_400000_NS6detail17trampoline_kernelINS0_14default_configENS1_38merge_sort_block_merge_config_selectorImNS0_10empty_typeEEEZZNS1_27merge_sort_block_merge_implIS3_N6thrust23THRUST_200600_302600_NS6detail15normal_iteratorINS9_10device_ptrImEEEEPS5_m14custom_greaterImEEE10hipError_tT0_T1_T2_jT3_P12ihipStream_tbPNSt15iterator_traitsISJ_E10value_typeEPNSP_ISK_E10value_typeEPSL_NS1_7vsmem_tEENKUlT_SJ_SK_SL_E_clIPmSE_SF_SF_EESI_SY_SJ_SK_SL_EUlSY_E0_NS1_11comp_targetILNS1_3genE3ELNS1_11target_archE908ELNS1_3gpuE7ELNS1_3repE0EEENS1_38merge_mergepath_config_static_selectorELNS0_4arch9wavefront6targetE1EEEvSK_,"axG",@progbits,_ZN7rocprim17ROCPRIM_400000_NS6detail17trampoline_kernelINS0_14default_configENS1_38merge_sort_block_merge_config_selectorImNS0_10empty_typeEEEZZNS1_27merge_sort_block_merge_implIS3_N6thrust23THRUST_200600_302600_NS6detail15normal_iteratorINS9_10device_ptrImEEEEPS5_m14custom_greaterImEEE10hipError_tT0_T1_T2_jT3_P12ihipStream_tbPNSt15iterator_traitsISJ_E10value_typeEPNSP_ISK_E10value_typeEPSL_NS1_7vsmem_tEENKUlT_SJ_SK_SL_E_clIPmSE_SF_SF_EESI_SY_SJ_SK_SL_EUlSY_E0_NS1_11comp_targetILNS1_3genE3ELNS1_11target_archE908ELNS1_3gpuE7ELNS1_3repE0EEENS1_38merge_mergepath_config_static_selectorELNS0_4arch9wavefront6targetE1EEEvSK_,comdat
.Lfunc_end3325:
	.size	_ZN7rocprim17ROCPRIM_400000_NS6detail17trampoline_kernelINS0_14default_configENS1_38merge_sort_block_merge_config_selectorImNS0_10empty_typeEEEZZNS1_27merge_sort_block_merge_implIS3_N6thrust23THRUST_200600_302600_NS6detail15normal_iteratorINS9_10device_ptrImEEEEPS5_m14custom_greaterImEEE10hipError_tT0_T1_T2_jT3_P12ihipStream_tbPNSt15iterator_traitsISJ_E10value_typeEPNSP_ISK_E10value_typeEPSL_NS1_7vsmem_tEENKUlT_SJ_SK_SL_E_clIPmSE_SF_SF_EESI_SY_SJ_SK_SL_EUlSY_E0_NS1_11comp_targetILNS1_3genE3ELNS1_11target_archE908ELNS1_3gpuE7ELNS1_3repE0EEENS1_38merge_mergepath_config_static_selectorELNS0_4arch9wavefront6targetE1EEEvSK_, .Lfunc_end3325-_ZN7rocprim17ROCPRIM_400000_NS6detail17trampoline_kernelINS0_14default_configENS1_38merge_sort_block_merge_config_selectorImNS0_10empty_typeEEEZZNS1_27merge_sort_block_merge_implIS3_N6thrust23THRUST_200600_302600_NS6detail15normal_iteratorINS9_10device_ptrImEEEEPS5_m14custom_greaterImEEE10hipError_tT0_T1_T2_jT3_P12ihipStream_tbPNSt15iterator_traitsISJ_E10value_typeEPNSP_ISK_E10value_typeEPSL_NS1_7vsmem_tEENKUlT_SJ_SK_SL_E_clIPmSE_SF_SF_EESI_SY_SJ_SK_SL_EUlSY_E0_NS1_11comp_targetILNS1_3genE3ELNS1_11target_archE908ELNS1_3gpuE7ELNS1_3repE0EEENS1_38merge_mergepath_config_static_selectorELNS0_4arch9wavefront6targetE1EEEvSK_
                                        ; -- End function
	.section	.AMDGPU.csdata,"",@progbits
; Kernel info:
; codeLenInByte = 0
; NumSgprs: 4
; NumVgprs: 0
; NumAgprs: 0
; TotalNumVgprs: 0
; ScratchSize: 0
; MemoryBound: 0
; FloatMode: 240
; IeeeMode: 1
; LDSByteSize: 0 bytes/workgroup (compile time only)
; SGPRBlocks: 0
; VGPRBlocks: 0
; NumSGPRsForWavesPerEU: 4
; NumVGPRsForWavesPerEU: 1
; AccumOffset: 4
; Occupancy: 8
; WaveLimiterHint : 0
; COMPUTE_PGM_RSRC2:SCRATCH_EN: 0
; COMPUTE_PGM_RSRC2:USER_SGPR: 6
; COMPUTE_PGM_RSRC2:TRAP_HANDLER: 0
; COMPUTE_PGM_RSRC2:TGID_X_EN: 1
; COMPUTE_PGM_RSRC2:TGID_Y_EN: 0
; COMPUTE_PGM_RSRC2:TGID_Z_EN: 0
; COMPUTE_PGM_RSRC2:TIDIG_COMP_CNT: 0
; COMPUTE_PGM_RSRC3_GFX90A:ACCUM_OFFSET: 0
; COMPUTE_PGM_RSRC3_GFX90A:TG_SPLIT: 0
	.section	.text._ZN7rocprim17ROCPRIM_400000_NS6detail17trampoline_kernelINS0_14default_configENS1_38merge_sort_block_merge_config_selectorImNS0_10empty_typeEEEZZNS1_27merge_sort_block_merge_implIS3_N6thrust23THRUST_200600_302600_NS6detail15normal_iteratorINS9_10device_ptrImEEEEPS5_m14custom_greaterImEEE10hipError_tT0_T1_T2_jT3_P12ihipStream_tbPNSt15iterator_traitsISJ_E10value_typeEPNSP_ISK_E10value_typeEPSL_NS1_7vsmem_tEENKUlT_SJ_SK_SL_E_clIPmSE_SF_SF_EESI_SY_SJ_SK_SL_EUlSY_E0_NS1_11comp_targetILNS1_3genE2ELNS1_11target_archE906ELNS1_3gpuE6ELNS1_3repE0EEENS1_38merge_mergepath_config_static_selectorELNS0_4arch9wavefront6targetE1EEEvSK_,"axG",@progbits,_ZN7rocprim17ROCPRIM_400000_NS6detail17trampoline_kernelINS0_14default_configENS1_38merge_sort_block_merge_config_selectorImNS0_10empty_typeEEEZZNS1_27merge_sort_block_merge_implIS3_N6thrust23THRUST_200600_302600_NS6detail15normal_iteratorINS9_10device_ptrImEEEEPS5_m14custom_greaterImEEE10hipError_tT0_T1_T2_jT3_P12ihipStream_tbPNSt15iterator_traitsISJ_E10value_typeEPNSP_ISK_E10value_typeEPSL_NS1_7vsmem_tEENKUlT_SJ_SK_SL_E_clIPmSE_SF_SF_EESI_SY_SJ_SK_SL_EUlSY_E0_NS1_11comp_targetILNS1_3genE2ELNS1_11target_archE906ELNS1_3gpuE6ELNS1_3repE0EEENS1_38merge_mergepath_config_static_selectorELNS0_4arch9wavefront6targetE1EEEvSK_,comdat
	.protected	_ZN7rocprim17ROCPRIM_400000_NS6detail17trampoline_kernelINS0_14default_configENS1_38merge_sort_block_merge_config_selectorImNS0_10empty_typeEEEZZNS1_27merge_sort_block_merge_implIS3_N6thrust23THRUST_200600_302600_NS6detail15normal_iteratorINS9_10device_ptrImEEEEPS5_m14custom_greaterImEEE10hipError_tT0_T1_T2_jT3_P12ihipStream_tbPNSt15iterator_traitsISJ_E10value_typeEPNSP_ISK_E10value_typeEPSL_NS1_7vsmem_tEENKUlT_SJ_SK_SL_E_clIPmSE_SF_SF_EESI_SY_SJ_SK_SL_EUlSY_E0_NS1_11comp_targetILNS1_3genE2ELNS1_11target_archE906ELNS1_3gpuE6ELNS1_3repE0EEENS1_38merge_mergepath_config_static_selectorELNS0_4arch9wavefront6targetE1EEEvSK_ ; -- Begin function _ZN7rocprim17ROCPRIM_400000_NS6detail17trampoline_kernelINS0_14default_configENS1_38merge_sort_block_merge_config_selectorImNS0_10empty_typeEEEZZNS1_27merge_sort_block_merge_implIS3_N6thrust23THRUST_200600_302600_NS6detail15normal_iteratorINS9_10device_ptrImEEEEPS5_m14custom_greaterImEEE10hipError_tT0_T1_T2_jT3_P12ihipStream_tbPNSt15iterator_traitsISJ_E10value_typeEPNSP_ISK_E10value_typeEPSL_NS1_7vsmem_tEENKUlT_SJ_SK_SL_E_clIPmSE_SF_SF_EESI_SY_SJ_SK_SL_EUlSY_E0_NS1_11comp_targetILNS1_3genE2ELNS1_11target_archE906ELNS1_3gpuE6ELNS1_3repE0EEENS1_38merge_mergepath_config_static_selectorELNS0_4arch9wavefront6targetE1EEEvSK_
	.globl	_ZN7rocprim17ROCPRIM_400000_NS6detail17trampoline_kernelINS0_14default_configENS1_38merge_sort_block_merge_config_selectorImNS0_10empty_typeEEEZZNS1_27merge_sort_block_merge_implIS3_N6thrust23THRUST_200600_302600_NS6detail15normal_iteratorINS9_10device_ptrImEEEEPS5_m14custom_greaterImEEE10hipError_tT0_T1_T2_jT3_P12ihipStream_tbPNSt15iterator_traitsISJ_E10value_typeEPNSP_ISK_E10value_typeEPSL_NS1_7vsmem_tEENKUlT_SJ_SK_SL_E_clIPmSE_SF_SF_EESI_SY_SJ_SK_SL_EUlSY_E0_NS1_11comp_targetILNS1_3genE2ELNS1_11target_archE906ELNS1_3gpuE6ELNS1_3repE0EEENS1_38merge_mergepath_config_static_selectorELNS0_4arch9wavefront6targetE1EEEvSK_
	.p2align	8
	.type	_ZN7rocprim17ROCPRIM_400000_NS6detail17trampoline_kernelINS0_14default_configENS1_38merge_sort_block_merge_config_selectorImNS0_10empty_typeEEEZZNS1_27merge_sort_block_merge_implIS3_N6thrust23THRUST_200600_302600_NS6detail15normal_iteratorINS9_10device_ptrImEEEEPS5_m14custom_greaterImEEE10hipError_tT0_T1_T2_jT3_P12ihipStream_tbPNSt15iterator_traitsISJ_E10value_typeEPNSP_ISK_E10value_typeEPSL_NS1_7vsmem_tEENKUlT_SJ_SK_SL_E_clIPmSE_SF_SF_EESI_SY_SJ_SK_SL_EUlSY_E0_NS1_11comp_targetILNS1_3genE2ELNS1_11target_archE906ELNS1_3gpuE6ELNS1_3repE0EEENS1_38merge_mergepath_config_static_selectorELNS0_4arch9wavefront6targetE1EEEvSK_,@function
_ZN7rocprim17ROCPRIM_400000_NS6detail17trampoline_kernelINS0_14default_configENS1_38merge_sort_block_merge_config_selectorImNS0_10empty_typeEEEZZNS1_27merge_sort_block_merge_implIS3_N6thrust23THRUST_200600_302600_NS6detail15normal_iteratorINS9_10device_ptrImEEEEPS5_m14custom_greaterImEEE10hipError_tT0_T1_T2_jT3_P12ihipStream_tbPNSt15iterator_traitsISJ_E10value_typeEPNSP_ISK_E10value_typeEPSL_NS1_7vsmem_tEENKUlT_SJ_SK_SL_E_clIPmSE_SF_SF_EESI_SY_SJ_SK_SL_EUlSY_E0_NS1_11comp_targetILNS1_3genE2ELNS1_11target_archE906ELNS1_3gpuE6ELNS1_3repE0EEENS1_38merge_mergepath_config_static_selectorELNS0_4arch9wavefront6targetE1EEEvSK_: ; @_ZN7rocprim17ROCPRIM_400000_NS6detail17trampoline_kernelINS0_14default_configENS1_38merge_sort_block_merge_config_selectorImNS0_10empty_typeEEEZZNS1_27merge_sort_block_merge_implIS3_N6thrust23THRUST_200600_302600_NS6detail15normal_iteratorINS9_10device_ptrImEEEEPS5_m14custom_greaterImEEE10hipError_tT0_T1_T2_jT3_P12ihipStream_tbPNSt15iterator_traitsISJ_E10value_typeEPNSP_ISK_E10value_typeEPSL_NS1_7vsmem_tEENKUlT_SJ_SK_SL_E_clIPmSE_SF_SF_EESI_SY_SJ_SK_SL_EUlSY_E0_NS1_11comp_targetILNS1_3genE2ELNS1_11target_archE906ELNS1_3gpuE6ELNS1_3repE0EEENS1_38merge_mergepath_config_static_selectorELNS0_4arch9wavefront6targetE1EEEvSK_
; %bb.0:
	.section	.rodata,"a",@progbits
	.p2align	6, 0x0
	.amdhsa_kernel _ZN7rocprim17ROCPRIM_400000_NS6detail17trampoline_kernelINS0_14default_configENS1_38merge_sort_block_merge_config_selectorImNS0_10empty_typeEEEZZNS1_27merge_sort_block_merge_implIS3_N6thrust23THRUST_200600_302600_NS6detail15normal_iteratorINS9_10device_ptrImEEEEPS5_m14custom_greaterImEEE10hipError_tT0_T1_T2_jT3_P12ihipStream_tbPNSt15iterator_traitsISJ_E10value_typeEPNSP_ISK_E10value_typeEPSL_NS1_7vsmem_tEENKUlT_SJ_SK_SL_E_clIPmSE_SF_SF_EESI_SY_SJ_SK_SL_EUlSY_E0_NS1_11comp_targetILNS1_3genE2ELNS1_11target_archE906ELNS1_3gpuE6ELNS1_3repE0EEENS1_38merge_mergepath_config_static_selectorELNS0_4arch9wavefront6targetE1EEEvSK_
		.amdhsa_group_segment_fixed_size 0
		.amdhsa_private_segment_fixed_size 0
		.amdhsa_kernarg_size 72
		.amdhsa_user_sgpr_count 6
		.amdhsa_user_sgpr_private_segment_buffer 1
		.amdhsa_user_sgpr_dispatch_ptr 0
		.amdhsa_user_sgpr_queue_ptr 0
		.amdhsa_user_sgpr_kernarg_segment_ptr 1
		.amdhsa_user_sgpr_dispatch_id 0
		.amdhsa_user_sgpr_flat_scratch_init 0
		.amdhsa_user_sgpr_kernarg_preload_length 0
		.amdhsa_user_sgpr_kernarg_preload_offset 0
		.amdhsa_user_sgpr_private_segment_size 0
		.amdhsa_uses_dynamic_stack 0
		.amdhsa_system_sgpr_private_segment_wavefront_offset 0
		.amdhsa_system_sgpr_workgroup_id_x 1
		.amdhsa_system_sgpr_workgroup_id_y 0
		.amdhsa_system_sgpr_workgroup_id_z 0
		.amdhsa_system_sgpr_workgroup_info 0
		.amdhsa_system_vgpr_workitem_id 0
		.amdhsa_next_free_vgpr 1
		.amdhsa_next_free_sgpr 0
		.amdhsa_accum_offset 4
		.amdhsa_reserve_vcc 0
		.amdhsa_reserve_flat_scratch 0
		.amdhsa_float_round_mode_32 0
		.amdhsa_float_round_mode_16_64 0
		.amdhsa_float_denorm_mode_32 3
		.amdhsa_float_denorm_mode_16_64 3
		.amdhsa_dx10_clamp 1
		.amdhsa_ieee_mode 1
		.amdhsa_fp16_overflow 0
		.amdhsa_tg_split 0
		.amdhsa_exception_fp_ieee_invalid_op 0
		.amdhsa_exception_fp_denorm_src 0
		.amdhsa_exception_fp_ieee_div_zero 0
		.amdhsa_exception_fp_ieee_overflow 0
		.amdhsa_exception_fp_ieee_underflow 0
		.amdhsa_exception_fp_ieee_inexact 0
		.amdhsa_exception_int_div_zero 0
	.end_amdhsa_kernel
	.section	.text._ZN7rocprim17ROCPRIM_400000_NS6detail17trampoline_kernelINS0_14default_configENS1_38merge_sort_block_merge_config_selectorImNS0_10empty_typeEEEZZNS1_27merge_sort_block_merge_implIS3_N6thrust23THRUST_200600_302600_NS6detail15normal_iteratorINS9_10device_ptrImEEEEPS5_m14custom_greaterImEEE10hipError_tT0_T1_T2_jT3_P12ihipStream_tbPNSt15iterator_traitsISJ_E10value_typeEPNSP_ISK_E10value_typeEPSL_NS1_7vsmem_tEENKUlT_SJ_SK_SL_E_clIPmSE_SF_SF_EESI_SY_SJ_SK_SL_EUlSY_E0_NS1_11comp_targetILNS1_3genE2ELNS1_11target_archE906ELNS1_3gpuE6ELNS1_3repE0EEENS1_38merge_mergepath_config_static_selectorELNS0_4arch9wavefront6targetE1EEEvSK_,"axG",@progbits,_ZN7rocprim17ROCPRIM_400000_NS6detail17trampoline_kernelINS0_14default_configENS1_38merge_sort_block_merge_config_selectorImNS0_10empty_typeEEEZZNS1_27merge_sort_block_merge_implIS3_N6thrust23THRUST_200600_302600_NS6detail15normal_iteratorINS9_10device_ptrImEEEEPS5_m14custom_greaterImEEE10hipError_tT0_T1_T2_jT3_P12ihipStream_tbPNSt15iterator_traitsISJ_E10value_typeEPNSP_ISK_E10value_typeEPSL_NS1_7vsmem_tEENKUlT_SJ_SK_SL_E_clIPmSE_SF_SF_EESI_SY_SJ_SK_SL_EUlSY_E0_NS1_11comp_targetILNS1_3genE2ELNS1_11target_archE906ELNS1_3gpuE6ELNS1_3repE0EEENS1_38merge_mergepath_config_static_selectorELNS0_4arch9wavefront6targetE1EEEvSK_,comdat
.Lfunc_end3326:
	.size	_ZN7rocprim17ROCPRIM_400000_NS6detail17trampoline_kernelINS0_14default_configENS1_38merge_sort_block_merge_config_selectorImNS0_10empty_typeEEEZZNS1_27merge_sort_block_merge_implIS3_N6thrust23THRUST_200600_302600_NS6detail15normal_iteratorINS9_10device_ptrImEEEEPS5_m14custom_greaterImEEE10hipError_tT0_T1_T2_jT3_P12ihipStream_tbPNSt15iterator_traitsISJ_E10value_typeEPNSP_ISK_E10value_typeEPSL_NS1_7vsmem_tEENKUlT_SJ_SK_SL_E_clIPmSE_SF_SF_EESI_SY_SJ_SK_SL_EUlSY_E0_NS1_11comp_targetILNS1_3genE2ELNS1_11target_archE906ELNS1_3gpuE6ELNS1_3repE0EEENS1_38merge_mergepath_config_static_selectorELNS0_4arch9wavefront6targetE1EEEvSK_, .Lfunc_end3326-_ZN7rocprim17ROCPRIM_400000_NS6detail17trampoline_kernelINS0_14default_configENS1_38merge_sort_block_merge_config_selectorImNS0_10empty_typeEEEZZNS1_27merge_sort_block_merge_implIS3_N6thrust23THRUST_200600_302600_NS6detail15normal_iteratorINS9_10device_ptrImEEEEPS5_m14custom_greaterImEEE10hipError_tT0_T1_T2_jT3_P12ihipStream_tbPNSt15iterator_traitsISJ_E10value_typeEPNSP_ISK_E10value_typeEPSL_NS1_7vsmem_tEENKUlT_SJ_SK_SL_E_clIPmSE_SF_SF_EESI_SY_SJ_SK_SL_EUlSY_E0_NS1_11comp_targetILNS1_3genE2ELNS1_11target_archE906ELNS1_3gpuE6ELNS1_3repE0EEENS1_38merge_mergepath_config_static_selectorELNS0_4arch9wavefront6targetE1EEEvSK_
                                        ; -- End function
	.section	.AMDGPU.csdata,"",@progbits
; Kernel info:
; codeLenInByte = 0
; NumSgprs: 4
; NumVgprs: 0
; NumAgprs: 0
; TotalNumVgprs: 0
; ScratchSize: 0
; MemoryBound: 0
; FloatMode: 240
; IeeeMode: 1
; LDSByteSize: 0 bytes/workgroup (compile time only)
; SGPRBlocks: 0
; VGPRBlocks: 0
; NumSGPRsForWavesPerEU: 4
; NumVGPRsForWavesPerEU: 1
; AccumOffset: 4
; Occupancy: 8
; WaveLimiterHint : 0
; COMPUTE_PGM_RSRC2:SCRATCH_EN: 0
; COMPUTE_PGM_RSRC2:USER_SGPR: 6
; COMPUTE_PGM_RSRC2:TRAP_HANDLER: 0
; COMPUTE_PGM_RSRC2:TGID_X_EN: 1
; COMPUTE_PGM_RSRC2:TGID_Y_EN: 0
; COMPUTE_PGM_RSRC2:TGID_Z_EN: 0
; COMPUTE_PGM_RSRC2:TIDIG_COMP_CNT: 0
; COMPUTE_PGM_RSRC3_GFX90A:ACCUM_OFFSET: 0
; COMPUTE_PGM_RSRC3_GFX90A:TG_SPLIT: 0
	.section	.text._ZN7rocprim17ROCPRIM_400000_NS6detail17trampoline_kernelINS0_14default_configENS1_38merge_sort_block_merge_config_selectorImNS0_10empty_typeEEEZZNS1_27merge_sort_block_merge_implIS3_N6thrust23THRUST_200600_302600_NS6detail15normal_iteratorINS9_10device_ptrImEEEEPS5_m14custom_greaterImEEE10hipError_tT0_T1_T2_jT3_P12ihipStream_tbPNSt15iterator_traitsISJ_E10value_typeEPNSP_ISK_E10value_typeEPSL_NS1_7vsmem_tEENKUlT_SJ_SK_SL_E_clIPmSE_SF_SF_EESI_SY_SJ_SK_SL_EUlSY_E0_NS1_11comp_targetILNS1_3genE9ELNS1_11target_archE1100ELNS1_3gpuE3ELNS1_3repE0EEENS1_38merge_mergepath_config_static_selectorELNS0_4arch9wavefront6targetE1EEEvSK_,"axG",@progbits,_ZN7rocprim17ROCPRIM_400000_NS6detail17trampoline_kernelINS0_14default_configENS1_38merge_sort_block_merge_config_selectorImNS0_10empty_typeEEEZZNS1_27merge_sort_block_merge_implIS3_N6thrust23THRUST_200600_302600_NS6detail15normal_iteratorINS9_10device_ptrImEEEEPS5_m14custom_greaterImEEE10hipError_tT0_T1_T2_jT3_P12ihipStream_tbPNSt15iterator_traitsISJ_E10value_typeEPNSP_ISK_E10value_typeEPSL_NS1_7vsmem_tEENKUlT_SJ_SK_SL_E_clIPmSE_SF_SF_EESI_SY_SJ_SK_SL_EUlSY_E0_NS1_11comp_targetILNS1_3genE9ELNS1_11target_archE1100ELNS1_3gpuE3ELNS1_3repE0EEENS1_38merge_mergepath_config_static_selectorELNS0_4arch9wavefront6targetE1EEEvSK_,comdat
	.protected	_ZN7rocprim17ROCPRIM_400000_NS6detail17trampoline_kernelINS0_14default_configENS1_38merge_sort_block_merge_config_selectorImNS0_10empty_typeEEEZZNS1_27merge_sort_block_merge_implIS3_N6thrust23THRUST_200600_302600_NS6detail15normal_iteratorINS9_10device_ptrImEEEEPS5_m14custom_greaterImEEE10hipError_tT0_T1_T2_jT3_P12ihipStream_tbPNSt15iterator_traitsISJ_E10value_typeEPNSP_ISK_E10value_typeEPSL_NS1_7vsmem_tEENKUlT_SJ_SK_SL_E_clIPmSE_SF_SF_EESI_SY_SJ_SK_SL_EUlSY_E0_NS1_11comp_targetILNS1_3genE9ELNS1_11target_archE1100ELNS1_3gpuE3ELNS1_3repE0EEENS1_38merge_mergepath_config_static_selectorELNS0_4arch9wavefront6targetE1EEEvSK_ ; -- Begin function _ZN7rocprim17ROCPRIM_400000_NS6detail17trampoline_kernelINS0_14default_configENS1_38merge_sort_block_merge_config_selectorImNS0_10empty_typeEEEZZNS1_27merge_sort_block_merge_implIS3_N6thrust23THRUST_200600_302600_NS6detail15normal_iteratorINS9_10device_ptrImEEEEPS5_m14custom_greaterImEEE10hipError_tT0_T1_T2_jT3_P12ihipStream_tbPNSt15iterator_traitsISJ_E10value_typeEPNSP_ISK_E10value_typeEPSL_NS1_7vsmem_tEENKUlT_SJ_SK_SL_E_clIPmSE_SF_SF_EESI_SY_SJ_SK_SL_EUlSY_E0_NS1_11comp_targetILNS1_3genE9ELNS1_11target_archE1100ELNS1_3gpuE3ELNS1_3repE0EEENS1_38merge_mergepath_config_static_selectorELNS0_4arch9wavefront6targetE1EEEvSK_
	.globl	_ZN7rocprim17ROCPRIM_400000_NS6detail17trampoline_kernelINS0_14default_configENS1_38merge_sort_block_merge_config_selectorImNS0_10empty_typeEEEZZNS1_27merge_sort_block_merge_implIS3_N6thrust23THRUST_200600_302600_NS6detail15normal_iteratorINS9_10device_ptrImEEEEPS5_m14custom_greaterImEEE10hipError_tT0_T1_T2_jT3_P12ihipStream_tbPNSt15iterator_traitsISJ_E10value_typeEPNSP_ISK_E10value_typeEPSL_NS1_7vsmem_tEENKUlT_SJ_SK_SL_E_clIPmSE_SF_SF_EESI_SY_SJ_SK_SL_EUlSY_E0_NS1_11comp_targetILNS1_3genE9ELNS1_11target_archE1100ELNS1_3gpuE3ELNS1_3repE0EEENS1_38merge_mergepath_config_static_selectorELNS0_4arch9wavefront6targetE1EEEvSK_
	.p2align	8
	.type	_ZN7rocprim17ROCPRIM_400000_NS6detail17trampoline_kernelINS0_14default_configENS1_38merge_sort_block_merge_config_selectorImNS0_10empty_typeEEEZZNS1_27merge_sort_block_merge_implIS3_N6thrust23THRUST_200600_302600_NS6detail15normal_iteratorINS9_10device_ptrImEEEEPS5_m14custom_greaterImEEE10hipError_tT0_T1_T2_jT3_P12ihipStream_tbPNSt15iterator_traitsISJ_E10value_typeEPNSP_ISK_E10value_typeEPSL_NS1_7vsmem_tEENKUlT_SJ_SK_SL_E_clIPmSE_SF_SF_EESI_SY_SJ_SK_SL_EUlSY_E0_NS1_11comp_targetILNS1_3genE9ELNS1_11target_archE1100ELNS1_3gpuE3ELNS1_3repE0EEENS1_38merge_mergepath_config_static_selectorELNS0_4arch9wavefront6targetE1EEEvSK_,@function
_ZN7rocprim17ROCPRIM_400000_NS6detail17trampoline_kernelINS0_14default_configENS1_38merge_sort_block_merge_config_selectorImNS0_10empty_typeEEEZZNS1_27merge_sort_block_merge_implIS3_N6thrust23THRUST_200600_302600_NS6detail15normal_iteratorINS9_10device_ptrImEEEEPS5_m14custom_greaterImEEE10hipError_tT0_T1_T2_jT3_P12ihipStream_tbPNSt15iterator_traitsISJ_E10value_typeEPNSP_ISK_E10value_typeEPSL_NS1_7vsmem_tEENKUlT_SJ_SK_SL_E_clIPmSE_SF_SF_EESI_SY_SJ_SK_SL_EUlSY_E0_NS1_11comp_targetILNS1_3genE9ELNS1_11target_archE1100ELNS1_3gpuE3ELNS1_3repE0EEENS1_38merge_mergepath_config_static_selectorELNS0_4arch9wavefront6targetE1EEEvSK_: ; @_ZN7rocprim17ROCPRIM_400000_NS6detail17trampoline_kernelINS0_14default_configENS1_38merge_sort_block_merge_config_selectorImNS0_10empty_typeEEEZZNS1_27merge_sort_block_merge_implIS3_N6thrust23THRUST_200600_302600_NS6detail15normal_iteratorINS9_10device_ptrImEEEEPS5_m14custom_greaterImEEE10hipError_tT0_T1_T2_jT3_P12ihipStream_tbPNSt15iterator_traitsISJ_E10value_typeEPNSP_ISK_E10value_typeEPSL_NS1_7vsmem_tEENKUlT_SJ_SK_SL_E_clIPmSE_SF_SF_EESI_SY_SJ_SK_SL_EUlSY_E0_NS1_11comp_targetILNS1_3genE9ELNS1_11target_archE1100ELNS1_3gpuE3ELNS1_3repE0EEENS1_38merge_mergepath_config_static_selectorELNS0_4arch9wavefront6targetE1EEEvSK_
; %bb.0:
	.section	.rodata,"a",@progbits
	.p2align	6, 0x0
	.amdhsa_kernel _ZN7rocprim17ROCPRIM_400000_NS6detail17trampoline_kernelINS0_14default_configENS1_38merge_sort_block_merge_config_selectorImNS0_10empty_typeEEEZZNS1_27merge_sort_block_merge_implIS3_N6thrust23THRUST_200600_302600_NS6detail15normal_iteratorINS9_10device_ptrImEEEEPS5_m14custom_greaterImEEE10hipError_tT0_T1_T2_jT3_P12ihipStream_tbPNSt15iterator_traitsISJ_E10value_typeEPNSP_ISK_E10value_typeEPSL_NS1_7vsmem_tEENKUlT_SJ_SK_SL_E_clIPmSE_SF_SF_EESI_SY_SJ_SK_SL_EUlSY_E0_NS1_11comp_targetILNS1_3genE9ELNS1_11target_archE1100ELNS1_3gpuE3ELNS1_3repE0EEENS1_38merge_mergepath_config_static_selectorELNS0_4arch9wavefront6targetE1EEEvSK_
		.amdhsa_group_segment_fixed_size 0
		.amdhsa_private_segment_fixed_size 0
		.amdhsa_kernarg_size 72
		.amdhsa_user_sgpr_count 6
		.amdhsa_user_sgpr_private_segment_buffer 1
		.amdhsa_user_sgpr_dispatch_ptr 0
		.amdhsa_user_sgpr_queue_ptr 0
		.amdhsa_user_sgpr_kernarg_segment_ptr 1
		.amdhsa_user_sgpr_dispatch_id 0
		.amdhsa_user_sgpr_flat_scratch_init 0
		.amdhsa_user_sgpr_kernarg_preload_length 0
		.amdhsa_user_sgpr_kernarg_preload_offset 0
		.amdhsa_user_sgpr_private_segment_size 0
		.amdhsa_uses_dynamic_stack 0
		.amdhsa_system_sgpr_private_segment_wavefront_offset 0
		.amdhsa_system_sgpr_workgroup_id_x 1
		.amdhsa_system_sgpr_workgroup_id_y 0
		.amdhsa_system_sgpr_workgroup_id_z 0
		.amdhsa_system_sgpr_workgroup_info 0
		.amdhsa_system_vgpr_workitem_id 0
		.amdhsa_next_free_vgpr 1
		.amdhsa_next_free_sgpr 0
		.amdhsa_accum_offset 4
		.amdhsa_reserve_vcc 0
		.amdhsa_reserve_flat_scratch 0
		.amdhsa_float_round_mode_32 0
		.amdhsa_float_round_mode_16_64 0
		.amdhsa_float_denorm_mode_32 3
		.amdhsa_float_denorm_mode_16_64 3
		.amdhsa_dx10_clamp 1
		.amdhsa_ieee_mode 1
		.amdhsa_fp16_overflow 0
		.amdhsa_tg_split 0
		.amdhsa_exception_fp_ieee_invalid_op 0
		.amdhsa_exception_fp_denorm_src 0
		.amdhsa_exception_fp_ieee_div_zero 0
		.amdhsa_exception_fp_ieee_overflow 0
		.amdhsa_exception_fp_ieee_underflow 0
		.amdhsa_exception_fp_ieee_inexact 0
		.amdhsa_exception_int_div_zero 0
	.end_amdhsa_kernel
	.section	.text._ZN7rocprim17ROCPRIM_400000_NS6detail17trampoline_kernelINS0_14default_configENS1_38merge_sort_block_merge_config_selectorImNS0_10empty_typeEEEZZNS1_27merge_sort_block_merge_implIS3_N6thrust23THRUST_200600_302600_NS6detail15normal_iteratorINS9_10device_ptrImEEEEPS5_m14custom_greaterImEEE10hipError_tT0_T1_T2_jT3_P12ihipStream_tbPNSt15iterator_traitsISJ_E10value_typeEPNSP_ISK_E10value_typeEPSL_NS1_7vsmem_tEENKUlT_SJ_SK_SL_E_clIPmSE_SF_SF_EESI_SY_SJ_SK_SL_EUlSY_E0_NS1_11comp_targetILNS1_3genE9ELNS1_11target_archE1100ELNS1_3gpuE3ELNS1_3repE0EEENS1_38merge_mergepath_config_static_selectorELNS0_4arch9wavefront6targetE1EEEvSK_,"axG",@progbits,_ZN7rocprim17ROCPRIM_400000_NS6detail17trampoline_kernelINS0_14default_configENS1_38merge_sort_block_merge_config_selectorImNS0_10empty_typeEEEZZNS1_27merge_sort_block_merge_implIS3_N6thrust23THRUST_200600_302600_NS6detail15normal_iteratorINS9_10device_ptrImEEEEPS5_m14custom_greaterImEEE10hipError_tT0_T1_T2_jT3_P12ihipStream_tbPNSt15iterator_traitsISJ_E10value_typeEPNSP_ISK_E10value_typeEPSL_NS1_7vsmem_tEENKUlT_SJ_SK_SL_E_clIPmSE_SF_SF_EESI_SY_SJ_SK_SL_EUlSY_E0_NS1_11comp_targetILNS1_3genE9ELNS1_11target_archE1100ELNS1_3gpuE3ELNS1_3repE0EEENS1_38merge_mergepath_config_static_selectorELNS0_4arch9wavefront6targetE1EEEvSK_,comdat
.Lfunc_end3327:
	.size	_ZN7rocprim17ROCPRIM_400000_NS6detail17trampoline_kernelINS0_14default_configENS1_38merge_sort_block_merge_config_selectorImNS0_10empty_typeEEEZZNS1_27merge_sort_block_merge_implIS3_N6thrust23THRUST_200600_302600_NS6detail15normal_iteratorINS9_10device_ptrImEEEEPS5_m14custom_greaterImEEE10hipError_tT0_T1_T2_jT3_P12ihipStream_tbPNSt15iterator_traitsISJ_E10value_typeEPNSP_ISK_E10value_typeEPSL_NS1_7vsmem_tEENKUlT_SJ_SK_SL_E_clIPmSE_SF_SF_EESI_SY_SJ_SK_SL_EUlSY_E0_NS1_11comp_targetILNS1_3genE9ELNS1_11target_archE1100ELNS1_3gpuE3ELNS1_3repE0EEENS1_38merge_mergepath_config_static_selectorELNS0_4arch9wavefront6targetE1EEEvSK_, .Lfunc_end3327-_ZN7rocprim17ROCPRIM_400000_NS6detail17trampoline_kernelINS0_14default_configENS1_38merge_sort_block_merge_config_selectorImNS0_10empty_typeEEEZZNS1_27merge_sort_block_merge_implIS3_N6thrust23THRUST_200600_302600_NS6detail15normal_iteratorINS9_10device_ptrImEEEEPS5_m14custom_greaterImEEE10hipError_tT0_T1_T2_jT3_P12ihipStream_tbPNSt15iterator_traitsISJ_E10value_typeEPNSP_ISK_E10value_typeEPSL_NS1_7vsmem_tEENKUlT_SJ_SK_SL_E_clIPmSE_SF_SF_EESI_SY_SJ_SK_SL_EUlSY_E0_NS1_11comp_targetILNS1_3genE9ELNS1_11target_archE1100ELNS1_3gpuE3ELNS1_3repE0EEENS1_38merge_mergepath_config_static_selectorELNS0_4arch9wavefront6targetE1EEEvSK_
                                        ; -- End function
	.section	.AMDGPU.csdata,"",@progbits
; Kernel info:
; codeLenInByte = 0
; NumSgprs: 4
; NumVgprs: 0
; NumAgprs: 0
; TotalNumVgprs: 0
; ScratchSize: 0
; MemoryBound: 0
; FloatMode: 240
; IeeeMode: 1
; LDSByteSize: 0 bytes/workgroup (compile time only)
; SGPRBlocks: 0
; VGPRBlocks: 0
; NumSGPRsForWavesPerEU: 4
; NumVGPRsForWavesPerEU: 1
; AccumOffset: 4
; Occupancy: 8
; WaveLimiterHint : 0
; COMPUTE_PGM_RSRC2:SCRATCH_EN: 0
; COMPUTE_PGM_RSRC2:USER_SGPR: 6
; COMPUTE_PGM_RSRC2:TRAP_HANDLER: 0
; COMPUTE_PGM_RSRC2:TGID_X_EN: 1
; COMPUTE_PGM_RSRC2:TGID_Y_EN: 0
; COMPUTE_PGM_RSRC2:TGID_Z_EN: 0
; COMPUTE_PGM_RSRC2:TIDIG_COMP_CNT: 0
; COMPUTE_PGM_RSRC3_GFX90A:ACCUM_OFFSET: 0
; COMPUTE_PGM_RSRC3_GFX90A:TG_SPLIT: 0
	.section	.text._ZN7rocprim17ROCPRIM_400000_NS6detail17trampoline_kernelINS0_14default_configENS1_38merge_sort_block_merge_config_selectorImNS0_10empty_typeEEEZZNS1_27merge_sort_block_merge_implIS3_N6thrust23THRUST_200600_302600_NS6detail15normal_iteratorINS9_10device_ptrImEEEEPS5_m14custom_greaterImEEE10hipError_tT0_T1_T2_jT3_P12ihipStream_tbPNSt15iterator_traitsISJ_E10value_typeEPNSP_ISK_E10value_typeEPSL_NS1_7vsmem_tEENKUlT_SJ_SK_SL_E_clIPmSE_SF_SF_EESI_SY_SJ_SK_SL_EUlSY_E0_NS1_11comp_targetILNS1_3genE8ELNS1_11target_archE1030ELNS1_3gpuE2ELNS1_3repE0EEENS1_38merge_mergepath_config_static_selectorELNS0_4arch9wavefront6targetE1EEEvSK_,"axG",@progbits,_ZN7rocprim17ROCPRIM_400000_NS6detail17trampoline_kernelINS0_14default_configENS1_38merge_sort_block_merge_config_selectorImNS0_10empty_typeEEEZZNS1_27merge_sort_block_merge_implIS3_N6thrust23THRUST_200600_302600_NS6detail15normal_iteratorINS9_10device_ptrImEEEEPS5_m14custom_greaterImEEE10hipError_tT0_T1_T2_jT3_P12ihipStream_tbPNSt15iterator_traitsISJ_E10value_typeEPNSP_ISK_E10value_typeEPSL_NS1_7vsmem_tEENKUlT_SJ_SK_SL_E_clIPmSE_SF_SF_EESI_SY_SJ_SK_SL_EUlSY_E0_NS1_11comp_targetILNS1_3genE8ELNS1_11target_archE1030ELNS1_3gpuE2ELNS1_3repE0EEENS1_38merge_mergepath_config_static_selectorELNS0_4arch9wavefront6targetE1EEEvSK_,comdat
	.protected	_ZN7rocprim17ROCPRIM_400000_NS6detail17trampoline_kernelINS0_14default_configENS1_38merge_sort_block_merge_config_selectorImNS0_10empty_typeEEEZZNS1_27merge_sort_block_merge_implIS3_N6thrust23THRUST_200600_302600_NS6detail15normal_iteratorINS9_10device_ptrImEEEEPS5_m14custom_greaterImEEE10hipError_tT0_T1_T2_jT3_P12ihipStream_tbPNSt15iterator_traitsISJ_E10value_typeEPNSP_ISK_E10value_typeEPSL_NS1_7vsmem_tEENKUlT_SJ_SK_SL_E_clIPmSE_SF_SF_EESI_SY_SJ_SK_SL_EUlSY_E0_NS1_11comp_targetILNS1_3genE8ELNS1_11target_archE1030ELNS1_3gpuE2ELNS1_3repE0EEENS1_38merge_mergepath_config_static_selectorELNS0_4arch9wavefront6targetE1EEEvSK_ ; -- Begin function _ZN7rocprim17ROCPRIM_400000_NS6detail17trampoline_kernelINS0_14default_configENS1_38merge_sort_block_merge_config_selectorImNS0_10empty_typeEEEZZNS1_27merge_sort_block_merge_implIS3_N6thrust23THRUST_200600_302600_NS6detail15normal_iteratorINS9_10device_ptrImEEEEPS5_m14custom_greaterImEEE10hipError_tT0_T1_T2_jT3_P12ihipStream_tbPNSt15iterator_traitsISJ_E10value_typeEPNSP_ISK_E10value_typeEPSL_NS1_7vsmem_tEENKUlT_SJ_SK_SL_E_clIPmSE_SF_SF_EESI_SY_SJ_SK_SL_EUlSY_E0_NS1_11comp_targetILNS1_3genE8ELNS1_11target_archE1030ELNS1_3gpuE2ELNS1_3repE0EEENS1_38merge_mergepath_config_static_selectorELNS0_4arch9wavefront6targetE1EEEvSK_
	.globl	_ZN7rocprim17ROCPRIM_400000_NS6detail17trampoline_kernelINS0_14default_configENS1_38merge_sort_block_merge_config_selectorImNS0_10empty_typeEEEZZNS1_27merge_sort_block_merge_implIS3_N6thrust23THRUST_200600_302600_NS6detail15normal_iteratorINS9_10device_ptrImEEEEPS5_m14custom_greaterImEEE10hipError_tT0_T1_T2_jT3_P12ihipStream_tbPNSt15iterator_traitsISJ_E10value_typeEPNSP_ISK_E10value_typeEPSL_NS1_7vsmem_tEENKUlT_SJ_SK_SL_E_clIPmSE_SF_SF_EESI_SY_SJ_SK_SL_EUlSY_E0_NS1_11comp_targetILNS1_3genE8ELNS1_11target_archE1030ELNS1_3gpuE2ELNS1_3repE0EEENS1_38merge_mergepath_config_static_selectorELNS0_4arch9wavefront6targetE1EEEvSK_
	.p2align	8
	.type	_ZN7rocprim17ROCPRIM_400000_NS6detail17trampoline_kernelINS0_14default_configENS1_38merge_sort_block_merge_config_selectorImNS0_10empty_typeEEEZZNS1_27merge_sort_block_merge_implIS3_N6thrust23THRUST_200600_302600_NS6detail15normal_iteratorINS9_10device_ptrImEEEEPS5_m14custom_greaterImEEE10hipError_tT0_T1_T2_jT3_P12ihipStream_tbPNSt15iterator_traitsISJ_E10value_typeEPNSP_ISK_E10value_typeEPSL_NS1_7vsmem_tEENKUlT_SJ_SK_SL_E_clIPmSE_SF_SF_EESI_SY_SJ_SK_SL_EUlSY_E0_NS1_11comp_targetILNS1_3genE8ELNS1_11target_archE1030ELNS1_3gpuE2ELNS1_3repE0EEENS1_38merge_mergepath_config_static_selectorELNS0_4arch9wavefront6targetE1EEEvSK_,@function
_ZN7rocprim17ROCPRIM_400000_NS6detail17trampoline_kernelINS0_14default_configENS1_38merge_sort_block_merge_config_selectorImNS0_10empty_typeEEEZZNS1_27merge_sort_block_merge_implIS3_N6thrust23THRUST_200600_302600_NS6detail15normal_iteratorINS9_10device_ptrImEEEEPS5_m14custom_greaterImEEE10hipError_tT0_T1_T2_jT3_P12ihipStream_tbPNSt15iterator_traitsISJ_E10value_typeEPNSP_ISK_E10value_typeEPSL_NS1_7vsmem_tEENKUlT_SJ_SK_SL_E_clIPmSE_SF_SF_EESI_SY_SJ_SK_SL_EUlSY_E0_NS1_11comp_targetILNS1_3genE8ELNS1_11target_archE1030ELNS1_3gpuE2ELNS1_3repE0EEENS1_38merge_mergepath_config_static_selectorELNS0_4arch9wavefront6targetE1EEEvSK_: ; @_ZN7rocprim17ROCPRIM_400000_NS6detail17trampoline_kernelINS0_14default_configENS1_38merge_sort_block_merge_config_selectorImNS0_10empty_typeEEEZZNS1_27merge_sort_block_merge_implIS3_N6thrust23THRUST_200600_302600_NS6detail15normal_iteratorINS9_10device_ptrImEEEEPS5_m14custom_greaterImEEE10hipError_tT0_T1_T2_jT3_P12ihipStream_tbPNSt15iterator_traitsISJ_E10value_typeEPNSP_ISK_E10value_typeEPSL_NS1_7vsmem_tEENKUlT_SJ_SK_SL_E_clIPmSE_SF_SF_EESI_SY_SJ_SK_SL_EUlSY_E0_NS1_11comp_targetILNS1_3genE8ELNS1_11target_archE1030ELNS1_3gpuE2ELNS1_3repE0EEENS1_38merge_mergepath_config_static_selectorELNS0_4arch9wavefront6targetE1EEEvSK_
; %bb.0:
	.section	.rodata,"a",@progbits
	.p2align	6, 0x0
	.amdhsa_kernel _ZN7rocprim17ROCPRIM_400000_NS6detail17trampoline_kernelINS0_14default_configENS1_38merge_sort_block_merge_config_selectorImNS0_10empty_typeEEEZZNS1_27merge_sort_block_merge_implIS3_N6thrust23THRUST_200600_302600_NS6detail15normal_iteratorINS9_10device_ptrImEEEEPS5_m14custom_greaterImEEE10hipError_tT0_T1_T2_jT3_P12ihipStream_tbPNSt15iterator_traitsISJ_E10value_typeEPNSP_ISK_E10value_typeEPSL_NS1_7vsmem_tEENKUlT_SJ_SK_SL_E_clIPmSE_SF_SF_EESI_SY_SJ_SK_SL_EUlSY_E0_NS1_11comp_targetILNS1_3genE8ELNS1_11target_archE1030ELNS1_3gpuE2ELNS1_3repE0EEENS1_38merge_mergepath_config_static_selectorELNS0_4arch9wavefront6targetE1EEEvSK_
		.amdhsa_group_segment_fixed_size 0
		.amdhsa_private_segment_fixed_size 0
		.amdhsa_kernarg_size 72
		.amdhsa_user_sgpr_count 6
		.amdhsa_user_sgpr_private_segment_buffer 1
		.amdhsa_user_sgpr_dispatch_ptr 0
		.amdhsa_user_sgpr_queue_ptr 0
		.amdhsa_user_sgpr_kernarg_segment_ptr 1
		.amdhsa_user_sgpr_dispatch_id 0
		.amdhsa_user_sgpr_flat_scratch_init 0
		.amdhsa_user_sgpr_kernarg_preload_length 0
		.amdhsa_user_sgpr_kernarg_preload_offset 0
		.amdhsa_user_sgpr_private_segment_size 0
		.amdhsa_uses_dynamic_stack 0
		.amdhsa_system_sgpr_private_segment_wavefront_offset 0
		.amdhsa_system_sgpr_workgroup_id_x 1
		.amdhsa_system_sgpr_workgroup_id_y 0
		.amdhsa_system_sgpr_workgroup_id_z 0
		.amdhsa_system_sgpr_workgroup_info 0
		.amdhsa_system_vgpr_workitem_id 0
		.amdhsa_next_free_vgpr 1
		.amdhsa_next_free_sgpr 0
		.amdhsa_accum_offset 4
		.amdhsa_reserve_vcc 0
		.amdhsa_reserve_flat_scratch 0
		.amdhsa_float_round_mode_32 0
		.amdhsa_float_round_mode_16_64 0
		.amdhsa_float_denorm_mode_32 3
		.amdhsa_float_denorm_mode_16_64 3
		.amdhsa_dx10_clamp 1
		.amdhsa_ieee_mode 1
		.amdhsa_fp16_overflow 0
		.amdhsa_tg_split 0
		.amdhsa_exception_fp_ieee_invalid_op 0
		.amdhsa_exception_fp_denorm_src 0
		.amdhsa_exception_fp_ieee_div_zero 0
		.amdhsa_exception_fp_ieee_overflow 0
		.amdhsa_exception_fp_ieee_underflow 0
		.amdhsa_exception_fp_ieee_inexact 0
		.amdhsa_exception_int_div_zero 0
	.end_amdhsa_kernel
	.section	.text._ZN7rocprim17ROCPRIM_400000_NS6detail17trampoline_kernelINS0_14default_configENS1_38merge_sort_block_merge_config_selectorImNS0_10empty_typeEEEZZNS1_27merge_sort_block_merge_implIS3_N6thrust23THRUST_200600_302600_NS6detail15normal_iteratorINS9_10device_ptrImEEEEPS5_m14custom_greaterImEEE10hipError_tT0_T1_T2_jT3_P12ihipStream_tbPNSt15iterator_traitsISJ_E10value_typeEPNSP_ISK_E10value_typeEPSL_NS1_7vsmem_tEENKUlT_SJ_SK_SL_E_clIPmSE_SF_SF_EESI_SY_SJ_SK_SL_EUlSY_E0_NS1_11comp_targetILNS1_3genE8ELNS1_11target_archE1030ELNS1_3gpuE2ELNS1_3repE0EEENS1_38merge_mergepath_config_static_selectorELNS0_4arch9wavefront6targetE1EEEvSK_,"axG",@progbits,_ZN7rocprim17ROCPRIM_400000_NS6detail17trampoline_kernelINS0_14default_configENS1_38merge_sort_block_merge_config_selectorImNS0_10empty_typeEEEZZNS1_27merge_sort_block_merge_implIS3_N6thrust23THRUST_200600_302600_NS6detail15normal_iteratorINS9_10device_ptrImEEEEPS5_m14custom_greaterImEEE10hipError_tT0_T1_T2_jT3_P12ihipStream_tbPNSt15iterator_traitsISJ_E10value_typeEPNSP_ISK_E10value_typeEPSL_NS1_7vsmem_tEENKUlT_SJ_SK_SL_E_clIPmSE_SF_SF_EESI_SY_SJ_SK_SL_EUlSY_E0_NS1_11comp_targetILNS1_3genE8ELNS1_11target_archE1030ELNS1_3gpuE2ELNS1_3repE0EEENS1_38merge_mergepath_config_static_selectorELNS0_4arch9wavefront6targetE1EEEvSK_,comdat
.Lfunc_end3328:
	.size	_ZN7rocprim17ROCPRIM_400000_NS6detail17trampoline_kernelINS0_14default_configENS1_38merge_sort_block_merge_config_selectorImNS0_10empty_typeEEEZZNS1_27merge_sort_block_merge_implIS3_N6thrust23THRUST_200600_302600_NS6detail15normal_iteratorINS9_10device_ptrImEEEEPS5_m14custom_greaterImEEE10hipError_tT0_T1_T2_jT3_P12ihipStream_tbPNSt15iterator_traitsISJ_E10value_typeEPNSP_ISK_E10value_typeEPSL_NS1_7vsmem_tEENKUlT_SJ_SK_SL_E_clIPmSE_SF_SF_EESI_SY_SJ_SK_SL_EUlSY_E0_NS1_11comp_targetILNS1_3genE8ELNS1_11target_archE1030ELNS1_3gpuE2ELNS1_3repE0EEENS1_38merge_mergepath_config_static_selectorELNS0_4arch9wavefront6targetE1EEEvSK_, .Lfunc_end3328-_ZN7rocprim17ROCPRIM_400000_NS6detail17trampoline_kernelINS0_14default_configENS1_38merge_sort_block_merge_config_selectorImNS0_10empty_typeEEEZZNS1_27merge_sort_block_merge_implIS3_N6thrust23THRUST_200600_302600_NS6detail15normal_iteratorINS9_10device_ptrImEEEEPS5_m14custom_greaterImEEE10hipError_tT0_T1_T2_jT3_P12ihipStream_tbPNSt15iterator_traitsISJ_E10value_typeEPNSP_ISK_E10value_typeEPSL_NS1_7vsmem_tEENKUlT_SJ_SK_SL_E_clIPmSE_SF_SF_EESI_SY_SJ_SK_SL_EUlSY_E0_NS1_11comp_targetILNS1_3genE8ELNS1_11target_archE1030ELNS1_3gpuE2ELNS1_3repE0EEENS1_38merge_mergepath_config_static_selectorELNS0_4arch9wavefront6targetE1EEEvSK_
                                        ; -- End function
	.section	.AMDGPU.csdata,"",@progbits
; Kernel info:
; codeLenInByte = 0
; NumSgprs: 4
; NumVgprs: 0
; NumAgprs: 0
; TotalNumVgprs: 0
; ScratchSize: 0
; MemoryBound: 0
; FloatMode: 240
; IeeeMode: 1
; LDSByteSize: 0 bytes/workgroup (compile time only)
; SGPRBlocks: 0
; VGPRBlocks: 0
; NumSGPRsForWavesPerEU: 4
; NumVGPRsForWavesPerEU: 1
; AccumOffset: 4
; Occupancy: 8
; WaveLimiterHint : 0
; COMPUTE_PGM_RSRC2:SCRATCH_EN: 0
; COMPUTE_PGM_RSRC2:USER_SGPR: 6
; COMPUTE_PGM_RSRC2:TRAP_HANDLER: 0
; COMPUTE_PGM_RSRC2:TGID_X_EN: 1
; COMPUTE_PGM_RSRC2:TGID_Y_EN: 0
; COMPUTE_PGM_RSRC2:TGID_Z_EN: 0
; COMPUTE_PGM_RSRC2:TIDIG_COMP_CNT: 0
; COMPUTE_PGM_RSRC3_GFX90A:ACCUM_OFFSET: 0
; COMPUTE_PGM_RSRC3_GFX90A:TG_SPLIT: 0
	.section	.text._ZN7rocprim17ROCPRIM_400000_NS6detail17trampoline_kernelINS0_14default_configENS1_38merge_sort_block_merge_config_selectorImNS0_10empty_typeEEEZZNS1_27merge_sort_block_merge_implIS3_N6thrust23THRUST_200600_302600_NS6detail15normal_iteratorINS9_10device_ptrImEEEEPS5_m14custom_greaterImEEE10hipError_tT0_T1_T2_jT3_P12ihipStream_tbPNSt15iterator_traitsISJ_E10value_typeEPNSP_ISK_E10value_typeEPSL_NS1_7vsmem_tEENKUlT_SJ_SK_SL_E_clIPmSE_SF_SF_EESI_SY_SJ_SK_SL_EUlSY_E1_NS1_11comp_targetILNS1_3genE0ELNS1_11target_archE4294967295ELNS1_3gpuE0ELNS1_3repE0EEENS1_36merge_oddeven_config_static_selectorELNS0_4arch9wavefront6targetE1EEEvSK_,"axG",@progbits,_ZN7rocprim17ROCPRIM_400000_NS6detail17trampoline_kernelINS0_14default_configENS1_38merge_sort_block_merge_config_selectorImNS0_10empty_typeEEEZZNS1_27merge_sort_block_merge_implIS3_N6thrust23THRUST_200600_302600_NS6detail15normal_iteratorINS9_10device_ptrImEEEEPS5_m14custom_greaterImEEE10hipError_tT0_T1_T2_jT3_P12ihipStream_tbPNSt15iterator_traitsISJ_E10value_typeEPNSP_ISK_E10value_typeEPSL_NS1_7vsmem_tEENKUlT_SJ_SK_SL_E_clIPmSE_SF_SF_EESI_SY_SJ_SK_SL_EUlSY_E1_NS1_11comp_targetILNS1_3genE0ELNS1_11target_archE4294967295ELNS1_3gpuE0ELNS1_3repE0EEENS1_36merge_oddeven_config_static_selectorELNS0_4arch9wavefront6targetE1EEEvSK_,comdat
	.protected	_ZN7rocprim17ROCPRIM_400000_NS6detail17trampoline_kernelINS0_14default_configENS1_38merge_sort_block_merge_config_selectorImNS0_10empty_typeEEEZZNS1_27merge_sort_block_merge_implIS3_N6thrust23THRUST_200600_302600_NS6detail15normal_iteratorINS9_10device_ptrImEEEEPS5_m14custom_greaterImEEE10hipError_tT0_T1_T2_jT3_P12ihipStream_tbPNSt15iterator_traitsISJ_E10value_typeEPNSP_ISK_E10value_typeEPSL_NS1_7vsmem_tEENKUlT_SJ_SK_SL_E_clIPmSE_SF_SF_EESI_SY_SJ_SK_SL_EUlSY_E1_NS1_11comp_targetILNS1_3genE0ELNS1_11target_archE4294967295ELNS1_3gpuE0ELNS1_3repE0EEENS1_36merge_oddeven_config_static_selectorELNS0_4arch9wavefront6targetE1EEEvSK_ ; -- Begin function _ZN7rocprim17ROCPRIM_400000_NS6detail17trampoline_kernelINS0_14default_configENS1_38merge_sort_block_merge_config_selectorImNS0_10empty_typeEEEZZNS1_27merge_sort_block_merge_implIS3_N6thrust23THRUST_200600_302600_NS6detail15normal_iteratorINS9_10device_ptrImEEEEPS5_m14custom_greaterImEEE10hipError_tT0_T1_T2_jT3_P12ihipStream_tbPNSt15iterator_traitsISJ_E10value_typeEPNSP_ISK_E10value_typeEPSL_NS1_7vsmem_tEENKUlT_SJ_SK_SL_E_clIPmSE_SF_SF_EESI_SY_SJ_SK_SL_EUlSY_E1_NS1_11comp_targetILNS1_3genE0ELNS1_11target_archE4294967295ELNS1_3gpuE0ELNS1_3repE0EEENS1_36merge_oddeven_config_static_selectorELNS0_4arch9wavefront6targetE1EEEvSK_
	.globl	_ZN7rocprim17ROCPRIM_400000_NS6detail17trampoline_kernelINS0_14default_configENS1_38merge_sort_block_merge_config_selectorImNS0_10empty_typeEEEZZNS1_27merge_sort_block_merge_implIS3_N6thrust23THRUST_200600_302600_NS6detail15normal_iteratorINS9_10device_ptrImEEEEPS5_m14custom_greaterImEEE10hipError_tT0_T1_T2_jT3_P12ihipStream_tbPNSt15iterator_traitsISJ_E10value_typeEPNSP_ISK_E10value_typeEPSL_NS1_7vsmem_tEENKUlT_SJ_SK_SL_E_clIPmSE_SF_SF_EESI_SY_SJ_SK_SL_EUlSY_E1_NS1_11comp_targetILNS1_3genE0ELNS1_11target_archE4294967295ELNS1_3gpuE0ELNS1_3repE0EEENS1_36merge_oddeven_config_static_selectorELNS0_4arch9wavefront6targetE1EEEvSK_
	.p2align	8
	.type	_ZN7rocprim17ROCPRIM_400000_NS6detail17trampoline_kernelINS0_14default_configENS1_38merge_sort_block_merge_config_selectorImNS0_10empty_typeEEEZZNS1_27merge_sort_block_merge_implIS3_N6thrust23THRUST_200600_302600_NS6detail15normal_iteratorINS9_10device_ptrImEEEEPS5_m14custom_greaterImEEE10hipError_tT0_T1_T2_jT3_P12ihipStream_tbPNSt15iterator_traitsISJ_E10value_typeEPNSP_ISK_E10value_typeEPSL_NS1_7vsmem_tEENKUlT_SJ_SK_SL_E_clIPmSE_SF_SF_EESI_SY_SJ_SK_SL_EUlSY_E1_NS1_11comp_targetILNS1_3genE0ELNS1_11target_archE4294967295ELNS1_3gpuE0ELNS1_3repE0EEENS1_36merge_oddeven_config_static_selectorELNS0_4arch9wavefront6targetE1EEEvSK_,@function
_ZN7rocprim17ROCPRIM_400000_NS6detail17trampoline_kernelINS0_14default_configENS1_38merge_sort_block_merge_config_selectorImNS0_10empty_typeEEEZZNS1_27merge_sort_block_merge_implIS3_N6thrust23THRUST_200600_302600_NS6detail15normal_iteratorINS9_10device_ptrImEEEEPS5_m14custom_greaterImEEE10hipError_tT0_T1_T2_jT3_P12ihipStream_tbPNSt15iterator_traitsISJ_E10value_typeEPNSP_ISK_E10value_typeEPSL_NS1_7vsmem_tEENKUlT_SJ_SK_SL_E_clIPmSE_SF_SF_EESI_SY_SJ_SK_SL_EUlSY_E1_NS1_11comp_targetILNS1_3genE0ELNS1_11target_archE4294967295ELNS1_3gpuE0ELNS1_3repE0EEENS1_36merge_oddeven_config_static_selectorELNS0_4arch9wavefront6targetE1EEEvSK_: ; @_ZN7rocprim17ROCPRIM_400000_NS6detail17trampoline_kernelINS0_14default_configENS1_38merge_sort_block_merge_config_selectorImNS0_10empty_typeEEEZZNS1_27merge_sort_block_merge_implIS3_N6thrust23THRUST_200600_302600_NS6detail15normal_iteratorINS9_10device_ptrImEEEEPS5_m14custom_greaterImEEE10hipError_tT0_T1_T2_jT3_P12ihipStream_tbPNSt15iterator_traitsISJ_E10value_typeEPNSP_ISK_E10value_typeEPSL_NS1_7vsmem_tEENKUlT_SJ_SK_SL_E_clIPmSE_SF_SF_EESI_SY_SJ_SK_SL_EUlSY_E1_NS1_11comp_targetILNS1_3genE0ELNS1_11target_archE4294967295ELNS1_3gpuE0ELNS1_3repE0EEENS1_36merge_oddeven_config_static_selectorELNS0_4arch9wavefront6targetE1EEEvSK_
; %bb.0:
	.section	.rodata,"a",@progbits
	.p2align	6, 0x0
	.amdhsa_kernel _ZN7rocprim17ROCPRIM_400000_NS6detail17trampoline_kernelINS0_14default_configENS1_38merge_sort_block_merge_config_selectorImNS0_10empty_typeEEEZZNS1_27merge_sort_block_merge_implIS3_N6thrust23THRUST_200600_302600_NS6detail15normal_iteratorINS9_10device_ptrImEEEEPS5_m14custom_greaterImEEE10hipError_tT0_T1_T2_jT3_P12ihipStream_tbPNSt15iterator_traitsISJ_E10value_typeEPNSP_ISK_E10value_typeEPSL_NS1_7vsmem_tEENKUlT_SJ_SK_SL_E_clIPmSE_SF_SF_EESI_SY_SJ_SK_SL_EUlSY_E1_NS1_11comp_targetILNS1_3genE0ELNS1_11target_archE4294967295ELNS1_3gpuE0ELNS1_3repE0EEENS1_36merge_oddeven_config_static_selectorELNS0_4arch9wavefront6targetE1EEEvSK_
		.amdhsa_group_segment_fixed_size 0
		.amdhsa_private_segment_fixed_size 0
		.amdhsa_kernarg_size 56
		.amdhsa_user_sgpr_count 6
		.amdhsa_user_sgpr_private_segment_buffer 1
		.amdhsa_user_sgpr_dispatch_ptr 0
		.amdhsa_user_sgpr_queue_ptr 0
		.amdhsa_user_sgpr_kernarg_segment_ptr 1
		.amdhsa_user_sgpr_dispatch_id 0
		.amdhsa_user_sgpr_flat_scratch_init 0
		.amdhsa_user_sgpr_kernarg_preload_length 0
		.amdhsa_user_sgpr_kernarg_preload_offset 0
		.amdhsa_user_sgpr_private_segment_size 0
		.amdhsa_uses_dynamic_stack 0
		.amdhsa_system_sgpr_private_segment_wavefront_offset 0
		.amdhsa_system_sgpr_workgroup_id_x 1
		.amdhsa_system_sgpr_workgroup_id_y 0
		.amdhsa_system_sgpr_workgroup_id_z 0
		.amdhsa_system_sgpr_workgroup_info 0
		.amdhsa_system_vgpr_workitem_id 0
		.amdhsa_next_free_vgpr 1
		.amdhsa_next_free_sgpr 0
		.amdhsa_accum_offset 4
		.amdhsa_reserve_vcc 0
		.amdhsa_reserve_flat_scratch 0
		.amdhsa_float_round_mode_32 0
		.amdhsa_float_round_mode_16_64 0
		.amdhsa_float_denorm_mode_32 3
		.amdhsa_float_denorm_mode_16_64 3
		.amdhsa_dx10_clamp 1
		.amdhsa_ieee_mode 1
		.amdhsa_fp16_overflow 0
		.amdhsa_tg_split 0
		.amdhsa_exception_fp_ieee_invalid_op 0
		.amdhsa_exception_fp_denorm_src 0
		.amdhsa_exception_fp_ieee_div_zero 0
		.amdhsa_exception_fp_ieee_overflow 0
		.amdhsa_exception_fp_ieee_underflow 0
		.amdhsa_exception_fp_ieee_inexact 0
		.amdhsa_exception_int_div_zero 0
	.end_amdhsa_kernel
	.section	.text._ZN7rocprim17ROCPRIM_400000_NS6detail17trampoline_kernelINS0_14default_configENS1_38merge_sort_block_merge_config_selectorImNS0_10empty_typeEEEZZNS1_27merge_sort_block_merge_implIS3_N6thrust23THRUST_200600_302600_NS6detail15normal_iteratorINS9_10device_ptrImEEEEPS5_m14custom_greaterImEEE10hipError_tT0_T1_T2_jT3_P12ihipStream_tbPNSt15iterator_traitsISJ_E10value_typeEPNSP_ISK_E10value_typeEPSL_NS1_7vsmem_tEENKUlT_SJ_SK_SL_E_clIPmSE_SF_SF_EESI_SY_SJ_SK_SL_EUlSY_E1_NS1_11comp_targetILNS1_3genE0ELNS1_11target_archE4294967295ELNS1_3gpuE0ELNS1_3repE0EEENS1_36merge_oddeven_config_static_selectorELNS0_4arch9wavefront6targetE1EEEvSK_,"axG",@progbits,_ZN7rocprim17ROCPRIM_400000_NS6detail17trampoline_kernelINS0_14default_configENS1_38merge_sort_block_merge_config_selectorImNS0_10empty_typeEEEZZNS1_27merge_sort_block_merge_implIS3_N6thrust23THRUST_200600_302600_NS6detail15normal_iteratorINS9_10device_ptrImEEEEPS5_m14custom_greaterImEEE10hipError_tT0_T1_T2_jT3_P12ihipStream_tbPNSt15iterator_traitsISJ_E10value_typeEPNSP_ISK_E10value_typeEPSL_NS1_7vsmem_tEENKUlT_SJ_SK_SL_E_clIPmSE_SF_SF_EESI_SY_SJ_SK_SL_EUlSY_E1_NS1_11comp_targetILNS1_3genE0ELNS1_11target_archE4294967295ELNS1_3gpuE0ELNS1_3repE0EEENS1_36merge_oddeven_config_static_selectorELNS0_4arch9wavefront6targetE1EEEvSK_,comdat
.Lfunc_end3329:
	.size	_ZN7rocprim17ROCPRIM_400000_NS6detail17trampoline_kernelINS0_14default_configENS1_38merge_sort_block_merge_config_selectorImNS0_10empty_typeEEEZZNS1_27merge_sort_block_merge_implIS3_N6thrust23THRUST_200600_302600_NS6detail15normal_iteratorINS9_10device_ptrImEEEEPS5_m14custom_greaterImEEE10hipError_tT0_T1_T2_jT3_P12ihipStream_tbPNSt15iterator_traitsISJ_E10value_typeEPNSP_ISK_E10value_typeEPSL_NS1_7vsmem_tEENKUlT_SJ_SK_SL_E_clIPmSE_SF_SF_EESI_SY_SJ_SK_SL_EUlSY_E1_NS1_11comp_targetILNS1_3genE0ELNS1_11target_archE4294967295ELNS1_3gpuE0ELNS1_3repE0EEENS1_36merge_oddeven_config_static_selectorELNS0_4arch9wavefront6targetE1EEEvSK_, .Lfunc_end3329-_ZN7rocprim17ROCPRIM_400000_NS6detail17trampoline_kernelINS0_14default_configENS1_38merge_sort_block_merge_config_selectorImNS0_10empty_typeEEEZZNS1_27merge_sort_block_merge_implIS3_N6thrust23THRUST_200600_302600_NS6detail15normal_iteratorINS9_10device_ptrImEEEEPS5_m14custom_greaterImEEE10hipError_tT0_T1_T2_jT3_P12ihipStream_tbPNSt15iterator_traitsISJ_E10value_typeEPNSP_ISK_E10value_typeEPSL_NS1_7vsmem_tEENKUlT_SJ_SK_SL_E_clIPmSE_SF_SF_EESI_SY_SJ_SK_SL_EUlSY_E1_NS1_11comp_targetILNS1_3genE0ELNS1_11target_archE4294967295ELNS1_3gpuE0ELNS1_3repE0EEENS1_36merge_oddeven_config_static_selectorELNS0_4arch9wavefront6targetE1EEEvSK_
                                        ; -- End function
	.section	.AMDGPU.csdata,"",@progbits
; Kernel info:
; codeLenInByte = 0
; NumSgprs: 4
; NumVgprs: 0
; NumAgprs: 0
; TotalNumVgprs: 0
; ScratchSize: 0
; MemoryBound: 0
; FloatMode: 240
; IeeeMode: 1
; LDSByteSize: 0 bytes/workgroup (compile time only)
; SGPRBlocks: 0
; VGPRBlocks: 0
; NumSGPRsForWavesPerEU: 4
; NumVGPRsForWavesPerEU: 1
; AccumOffset: 4
; Occupancy: 8
; WaveLimiterHint : 0
; COMPUTE_PGM_RSRC2:SCRATCH_EN: 0
; COMPUTE_PGM_RSRC2:USER_SGPR: 6
; COMPUTE_PGM_RSRC2:TRAP_HANDLER: 0
; COMPUTE_PGM_RSRC2:TGID_X_EN: 1
; COMPUTE_PGM_RSRC2:TGID_Y_EN: 0
; COMPUTE_PGM_RSRC2:TGID_Z_EN: 0
; COMPUTE_PGM_RSRC2:TIDIG_COMP_CNT: 0
; COMPUTE_PGM_RSRC3_GFX90A:ACCUM_OFFSET: 0
; COMPUTE_PGM_RSRC3_GFX90A:TG_SPLIT: 0
	.section	.text._ZN7rocprim17ROCPRIM_400000_NS6detail17trampoline_kernelINS0_14default_configENS1_38merge_sort_block_merge_config_selectorImNS0_10empty_typeEEEZZNS1_27merge_sort_block_merge_implIS3_N6thrust23THRUST_200600_302600_NS6detail15normal_iteratorINS9_10device_ptrImEEEEPS5_m14custom_greaterImEEE10hipError_tT0_T1_T2_jT3_P12ihipStream_tbPNSt15iterator_traitsISJ_E10value_typeEPNSP_ISK_E10value_typeEPSL_NS1_7vsmem_tEENKUlT_SJ_SK_SL_E_clIPmSE_SF_SF_EESI_SY_SJ_SK_SL_EUlSY_E1_NS1_11comp_targetILNS1_3genE10ELNS1_11target_archE1201ELNS1_3gpuE5ELNS1_3repE0EEENS1_36merge_oddeven_config_static_selectorELNS0_4arch9wavefront6targetE1EEEvSK_,"axG",@progbits,_ZN7rocprim17ROCPRIM_400000_NS6detail17trampoline_kernelINS0_14default_configENS1_38merge_sort_block_merge_config_selectorImNS0_10empty_typeEEEZZNS1_27merge_sort_block_merge_implIS3_N6thrust23THRUST_200600_302600_NS6detail15normal_iteratorINS9_10device_ptrImEEEEPS5_m14custom_greaterImEEE10hipError_tT0_T1_T2_jT3_P12ihipStream_tbPNSt15iterator_traitsISJ_E10value_typeEPNSP_ISK_E10value_typeEPSL_NS1_7vsmem_tEENKUlT_SJ_SK_SL_E_clIPmSE_SF_SF_EESI_SY_SJ_SK_SL_EUlSY_E1_NS1_11comp_targetILNS1_3genE10ELNS1_11target_archE1201ELNS1_3gpuE5ELNS1_3repE0EEENS1_36merge_oddeven_config_static_selectorELNS0_4arch9wavefront6targetE1EEEvSK_,comdat
	.protected	_ZN7rocprim17ROCPRIM_400000_NS6detail17trampoline_kernelINS0_14default_configENS1_38merge_sort_block_merge_config_selectorImNS0_10empty_typeEEEZZNS1_27merge_sort_block_merge_implIS3_N6thrust23THRUST_200600_302600_NS6detail15normal_iteratorINS9_10device_ptrImEEEEPS5_m14custom_greaterImEEE10hipError_tT0_T1_T2_jT3_P12ihipStream_tbPNSt15iterator_traitsISJ_E10value_typeEPNSP_ISK_E10value_typeEPSL_NS1_7vsmem_tEENKUlT_SJ_SK_SL_E_clIPmSE_SF_SF_EESI_SY_SJ_SK_SL_EUlSY_E1_NS1_11comp_targetILNS1_3genE10ELNS1_11target_archE1201ELNS1_3gpuE5ELNS1_3repE0EEENS1_36merge_oddeven_config_static_selectorELNS0_4arch9wavefront6targetE1EEEvSK_ ; -- Begin function _ZN7rocprim17ROCPRIM_400000_NS6detail17trampoline_kernelINS0_14default_configENS1_38merge_sort_block_merge_config_selectorImNS0_10empty_typeEEEZZNS1_27merge_sort_block_merge_implIS3_N6thrust23THRUST_200600_302600_NS6detail15normal_iteratorINS9_10device_ptrImEEEEPS5_m14custom_greaterImEEE10hipError_tT0_T1_T2_jT3_P12ihipStream_tbPNSt15iterator_traitsISJ_E10value_typeEPNSP_ISK_E10value_typeEPSL_NS1_7vsmem_tEENKUlT_SJ_SK_SL_E_clIPmSE_SF_SF_EESI_SY_SJ_SK_SL_EUlSY_E1_NS1_11comp_targetILNS1_3genE10ELNS1_11target_archE1201ELNS1_3gpuE5ELNS1_3repE0EEENS1_36merge_oddeven_config_static_selectorELNS0_4arch9wavefront6targetE1EEEvSK_
	.globl	_ZN7rocprim17ROCPRIM_400000_NS6detail17trampoline_kernelINS0_14default_configENS1_38merge_sort_block_merge_config_selectorImNS0_10empty_typeEEEZZNS1_27merge_sort_block_merge_implIS3_N6thrust23THRUST_200600_302600_NS6detail15normal_iteratorINS9_10device_ptrImEEEEPS5_m14custom_greaterImEEE10hipError_tT0_T1_T2_jT3_P12ihipStream_tbPNSt15iterator_traitsISJ_E10value_typeEPNSP_ISK_E10value_typeEPSL_NS1_7vsmem_tEENKUlT_SJ_SK_SL_E_clIPmSE_SF_SF_EESI_SY_SJ_SK_SL_EUlSY_E1_NS1_11comp_targetILNS1_3genE10ELNS1_11target_archE1201ELNS1_3gpuE5ELNS1_3repE0EEENS1_36merge_oddeven_config_static_selectorELNS0_4arch9wavefront6targetE1EEEvSK_
	.p2align	8
	.type	_ZN7rocprim17ROCPRIM_400000_NS6detail17trampoline_kernelINS0_14default_configENS1_38merge_sort_block_merge_config_selectorImNS0_10empty_typeEEEZZNS1_27merge_sort_block_merge_implIS3_N6thrust23THRUST_200600_302600_NS6detail15normal_iteratorINS9_10device_ptrImEEEEPS5_m14custom_greaterImEEE10hipError_tT0_T1_T2_jT3_P12ihipStream_tbPNSt15iterator_traitsISJ_E10value_typeEPNSP_ISK_E10value_typeEPSL_NS1_7vsmem_tEENKUlT_SJ_SK_SL_E_clIPmSE_SF_SF_EESI_SY_SJ_SK_SL_EUlSY_E1_NS1_11comp_targetILNS1_3genE10ELNS1_11target_archE1201ELNS1_3gpuE5ELNS1_3repE0EEENS1_36merge_oddeven_config_static_selectorELNS0_4arch9wavefront6targetE1EEEvSK_,@function
_ZN7rocprim17ROCPRIM_400000_NS6detail17trampoline_kernelINS0_14default_configENS1_38merge_sort_block_merge_config_selectorImNS0_10empty_typeEEEZZNS1_27merge_sort_block_merge_implIS3_N6thrust23THRUST_200600_302600_NS6detail15normal_iteratorINS9_10device_ptrImEEEEPS5_m14custom_greaterImEEE10hipError_tT0_T1_T2_jT3_P12ihipStream_tbPNSt15iterator_traitsISJ_E10value_typeEPNSP_ISK_E10value_typeEPSL_NS1_7vsmem_tEENKUlT_SJ_SK_SL_E_clIPmSE_SF_SF_EESI_SY_SJ_SK_SL_EUlSY_E1_NS1_11comp_targetILNS1_3genE10ELNS1_11target_archE1201ELNS1_3gpuE5ELNS1_3repE0EEENS1_36merge_oddeven_config_static_selectorELNS0_4arch9wavefront6targetE1EEEvSK_: ; @_ZN7rocprim17ROCPRIM_400000_NS6detail17trampoline_kernelINS0_14default_configENS1_38merge_sort_block_merge_config_selectorImNS0_10empty_typeEEEZZNS1_27merge_sort_block_merge_implIS3_N6thrust23THRUST_200600_302600_NS6detail15normal_iteratorINS9_10device_ptrImEEEEPS5_m14custom_greaterImEEE10hipError_tT0_T1_T2_jT3_P12ihipStream_tbPNSt15iterator_traitsISJ_E10value_typeEPNSP_ISK_E10value_typeEPSL_NS1_7vsmem_tEENKUlT_SJ_SK_SL_E_clIPmSE_SF_SF_EESI_SY_SJ_SK_SL_EUlSY_E1_NS1_11comp_targetILNS1_3genE10ELNS1_11target_archE1201ELNS1_3gpuE5ELNS1_3repE0EEENS1_36merge_oddeven_config_static_selectorELNS0_4arch9wavefront6targetE1EEEvSK_
; %bb.0:
	.section	.rodata,"a",@progbits
	.p2align	6, 0x0
	.amdhsa_kernel _ZN7rocprim17ROCPRIM_400000_NS6detail17trampoline_kernelINS0_14default_configENS1_38merge_sort_block_merge_config_selectorImNS0_10empty_typeEEEZZNS1_27merge_sort_block_merge_implIS3_N6thrust23THRUST_200600_302600_NS6detail15normal_iteratorINS9_10device_ptrImEEEEPS5_m14custom_greaterImEEE10hipError_tT0_T1_T2_jT3_P12ihipStream_tbPNSt15iterator_traitsISJ_E10value_typeEPNSP_ISK_E10value_typeEPSL_NS1_7vsmem_tEENKUlT_SJ_SK_SL_E_clIPmSE_SF_SF_EESI_SY_SJ_SK_SL_EUlSY_E1_NS1_11comp_targetILNS1_3genE10ELNS1_11target_archE1201ELNS1_3gpuE5ELNS1_3repE0EEENS1_36merge_oddeven_config_static_selectorELNS0_4arch9wavefront6targetE1EEEvSK_
		.amdhsa_group_segment_fixed_size 0
		.amdhsa_private_segment_fixed_size 0
		.amdhsa_kernarg_size 56
		.amdhsa_user_sgpr_count 6
		.amdhsa_user_sgpr_private_segment_buffer 1
		.amdhsa_user_sgpr_dispatch_ptr 0
		.amdhsa_user_sgpr_queue_ptr 0
		.amdhsa_user_sgpr_kernarg_segment_ptr 1
		.amdhsa_user_sgpr_dispatch_id 0
		.amdhsa_user_sgpr_flat_scratch_init 0
		.amdhsa_user_sgpr_kernarg_preload_length 0
		.amdhsa_user_sgpr_kernarg_preload_offset 0
		.amdhsa_user_sgpr_private_segment_size 0
		.amdhsa_uses_dynamic_stack 0
		.amdhsa_system_sgpr_private_segment_wavefront_offset 0
		.amdhsa_system_sgpr_workgroup_id_x 1
		.amdhsa_system_sgpr_workgroup_id_y 0
		.amdhsa_system_sgpr_workgroup_id_z 0
		.amdhsa_system_sgpr_workgroup_info 0
		.amdhsa_system_vgpr_workitem_id 0
		.amdhsa_next_free_vgpr 1
		.amdhsa_next_free_sgpr 0
		.amdhsa_accum_offset 4
		.amdhsa_reserve_vcc 0
		.amdhsa_reserve_flat_scratch 0
		.amdhsa_float_round_mode_32 0
		.amdhsa_float_round_mode_16_64 0
		.amdhsa_float_denorm_mode_32 3
		.amdhsa_float_denorm_mode_16_64 3
		.amdhsa_dx10_clamp 1
		.amdhsa_ieee_mode 1
		.amdhsa_fp16_overflow 0
		.amdhsa_tg_split 0
		.amdhsa_exception_fp_ieee_invalid_op 0
		.amdhsa_exception_fp_denorm_src 0
		.amdhsa_exception_fp_ieee_div_zero 0
		.amdhsa_exception_fp_ieee_overflow 0
		.amdhsa_exception_fp_ieee_underflow 0
		.amdhsa_exception_fp_ieee_inexact 0
		.amdhsa_exception_int_div_zero 0
	.end_amdhsa_kernel
	.section	.text._ZN7rocprim17ROCPRIM_400000_NS6detail17trampoline_kernelINS0_14default_configENS1_38merge_sort_block_merge_config_selectorImNS0_10empty_typeEEEZZNS1_27merge_sort_block_merge_implIS3_N6thrust23THRUST_200600_302600_NS6detail15normal_iteratorINS9_10device_ptrImEEEEPS5_m14custom_greaterImEEE10hipError_tT0_T1_T2_jT3_P12ihipStream_tbPNSt15iterator_traitsISJ_E10value_typeEPNSP_ISK_E10value_typeEPSL_NS1_7vsmem_tEENKUlT_SJ_SK_SL_E_clIPmSE_SF_SF_EESI_SY_SJ_SK_SL_EUlSY_E1_NS1_11comp_targetILNS1_3genE10ELNS1_11target_archE1201ELNS1_3gpuE5ELNS1_3repE0EEENS1_36merge_oddeven_config_static_selectorELNS0_4arch9wavefront6targetE1EEEvSK_,"axG",@progbits,_ZN7rocprim17ROCPRIM_400000_NS6detail17trampoline_kernelINS0_14default_configENS1_38merge_sort_block_merge_config_selectorImNS0_10empty_typeEEEZZNS1_27merge_sort_block_merge_implIS3_N6thrust23THRUST_200600_302600_NS6detail15normal_iteratorINS9_10device_ptrImEEEEPS5_m14custom_greaterImEEE10hipError_tT0_T1_T2_jT3_P12ihipStream_tbPNSt15iterator_traitsISJ_E10value_typeEPNSP_ISK_E10value_typeEPSL_NS1_7vsmem_tEENKUlT_SJ_SK_SL_E_clIPmSE_SF_SF_EESI_SY_SJ_SK_SL_EUlSY_E1_NS1_11comp_targetILNS1_3genE10ELNS1_11target_archE1201ELNS1_3gpuE5ELNS1_3repE0EEENS1_36merge_oddeven_config_static_selectorELNS0_4arch9wavefront6targetE1EEEvSK_,comdat
.Lfunc_end3330:
	.size	_ZN7rocprim17ROCPRIM_400000_NS6detail17trampoline_kernelINS0_14default_configENS1_38merge_sort_block_merge_config_selectorImNS0_10empty_typeEEEZZNS1_27merge_sort_block_merge_implIS3_N6thrust23THRUST_200600_302600_NS6detail15normal_iteratorINS9_10device_ptrImEEEEPS5_m14custom_greaterImEEE10hipError_tT0_T1_T2_jT3_P12ihipStream_tbPNSt15iterator_traitsISJ_E10value_typeEPNSP_ISK_E10value_typeEPSL_NS1_7vsmem_tEENKUlT_SJ_SK_SL_E_clIPmSE_SF_SF_EESI_SY_SJ_SK_SL_EUlSY_E1_NS1_11comp_targetILNS1_3genE10ELNS1_11target_archE1201ELNS1_3gpuE5ELNS1_3repE0EEENS1_36merge_oddeven_config_static_selectorELNS0_4arch9wavefront6targetE1EEEvSK_, .Lfunc_end3330-_ZN7rocprim17ROCPRIM_400000_NS6detail17trampoline_kernelINS0_14default_configENS1_38merge_sort_block_merge_config_selectorImNS0_10empty_typeEEEZZNS1_27merge_sort_block_merge_implIS3_N6thrust23THRUST_200600_302600_NS6detail15normal_iteratorINS9_10device_ptrImEEEEPS5_m14custom_greaterImEEE10hipError_tT0_T1_T2_jT3_P12ihipStream_tbPNSt15iterator_traitsISJ_E10value_typeEPNSP_ISK_E10value_typeEPSL_NS1_7vsmem_tEENKUlT_SJ_SK_SL_E_clIPmSE_SF_SF_EESI_SY_SJ_SK_SL_EUlSY_E1_NS1_11comp_targetILNS1_3genE10ELNS1_11target_archE1201ELNS1_3gpuE5ELNS1_3repE0EEENS1_36merge_oddeven_config_static_selectorELNS0_4arch9wavefront6targetE1EEEvSK_
                                        ; -- End function
	.section	.AMDGPU.csdata,"",@progbits
; Kernel info:
; codeLenInByte = 0
; NumSgprs: 4
; NumVgprs: 0
; NumAgprs: 0
; TotalNumVgprs: 0
; ScratchSize: 0
; MemoryBound: 0
; FloatMode: 240
; IeeeMode: 1
; LDSByteSize: 0 bytes/workgroup (compile time only)
; SGPRBlocks: 0
; VGPRBlocks: 0
; NumSGPRsForWavesPerEU: 4
; NumVGPRsForWavesPerEU: 1
; AccumOffset: 4
; Occupancy: 8
; WaveLimiterHint : 0
; COMPUTE_PGM_RSRC2:SCRATCH_EN: 0
; COMPUTE_PGM_RSRC2:USER_SGPR: 6
; COMPUTE_PGM_RSRC2:TRAP_HANDLER: 0
; COMPUTE_PGM_RSRC2:TGID_X_EN: 1
; COMPUTE_PGM_RSRC2:TGID_Y_EN: 0
; COMPUTE_PGM_RSRC2:TGID_Z_EN: 0
; COMPUTE_PGM_RSRC2:TIDIG_COMP_CNT: 0
; COMPUTE_PGM_RSRC3_GFX90A:ACCUM_OFFSET: 0
; COMPUTE_PGM_RSRC3_GFX90A:TG_SPLIT: 0
	.section	.text._ZN7rocprim17ROCPRIM_400000_NS6detail17trampoline_kernelINS0_14default_configENS1_38merge_sort_block_merge_config_selectorImNS0_10empty_typeEEEZZNS1_27merge_sort_block_merge_implIS3_N6thrust23THRUST_200600_302600_NS6detail15normal_iteratorINS9_10device_ptrImEEEEPS5_m14custom_greaterImEEE10hipError_tT0_T1_T2_jT3_P12ihipStream_tbPNSt15iterator_traitsISJ_E10value_typeEPNSP_ISK_E10value_typeEPSL_NS1_7vsmem_tEENKUlT_SJ_SK_SL_E_clIPmSE_SF_SF_EESI_SY_SJ_SK_SL_EUlSY_E1_NS1_11comp_targetILNS1_3genE5ELNS1_11target_archE942ELNS1_3gpuE9ELNS1_3repE0EEENS1_36merge_oddeven_config_static_selectorELNS0_4arch9wavefront6targetE1EEEvSK_,"axG",@progbits,_ZN7rocprim17ROCPRIM_400000_NS6detail17trampoline_kernelINS0_14default_configENS1_38merge_sort_block_merge_config_selectorImNS0_10empty_typeEEEZZNS1_27merge_sort_block_merge_implIS3_N6thrust23THRUST_200600_302600_NS6detail15normal_iteratorINS9_10device_ptrImEEEEPS5_m14custom_greaterImEEE10hipError_tT0_T1_T2_jT3_P12ihipStream_tbPNSt15iterator_traitsISJ_E10value_typeEPNSP_ISK_E10value_typeEPSL_NS1_7vsmem_tEENKUlT_SJ_SK_SL_E_clIPmSE_SF_SF_EESI_SY_SJ_SK_SL_EUlSY_E1_NS1_11comp_targetILNS1_3genE5ELNS1_11target_archE942ELNS1_3gpuE9ELNS1_3repE0EEENS1_36merge_oddeven_config_static_selectorELNS0_4arch9wavefront6targetE1EEEvSK_,comdat
	.protected	_ZN7rocprim17ROCPRIM_400000_NS6detail17trampoline_kernelINS0_14default_configENS1_38merge_sort_block_merge_config_selectorImNS0_10empty_typeEEEZZNS1_27merge_sort_block_merge_implIS3_N6thrust23THRUST_200600_302600_NS6detail15normal_iteratorINS9_10device_ptrImEEEEPS5_m14custom_greaterImEEE10hipError_tT0_T1_T2_jT3_P12ihipStream_tbPNSt15iterator_traitsISJ_E10value_typeEPNSP_ISK_E10value_typeEPSL_NS1_7vsmem_tEENKUlT_SJ_SK_SL_E_clIPmSE_SF_SF_EESI_SY_SJ_SK_SL_EUlSY_E1_NS1_11comp_targetILNS1_3genE5ELNS1_11target_archE942ELNS1_3gpuE9ELNS1_3repE0EEENS1_36merge_oddeven_config_static_selectorELNS0_4arch9wavefront6targetE1EEEvSK_ ; -- Begin function _ZN7rocprim17ROCPRIM_400000_NS6detail17trampoline_kernelINS0_14default_configENS1_38merge_sort_block_merge_config_selectorImNS0_10empty_typeEEEZZNS1_27merge_sort_block_merge_implIS3_N6thrust23THRUST_200600_302600_NS6detail15normal_iteratorINS9_10device_ptrImEEEEPS5_m14custom_greaterImEEE10hipError_tT0_T1_T2_jT3_P12ihipStream_tbPNSt15iterator_traitsISJ_E10value_typeEPNSP_ISK_E10value_typeEPSL_NS1_7vsmem_tEENKUlT_SJ_SK_SL_E_clIPmSE_SF_SF_EESI_SY_SJ_SK_SL_EUlSY_E1_NS1_11comp_targetILNS1_3genE5ELNS1_11target_archE942ELNS1_3gpuE9ELNS1_3repE0EEENS1_36merge_oddeven_config_static_selectorELNS0_4arch9wavefront6targetE1EEEvSK_
	.globl	_ZN7rocprim17ROCPRIM_400000_NS6detail17trampoline_kernelINS0_14default_configENS1_38merge_sort_block_merge_config_selectorImNS0_10empty_typeEEEZZNS1_27merge_sort_block_merge_implIS3_N6thrust23THRUST_200600_302600_NS6detail15normal_iteratorINS9_10device_ptrImEEEEPS5_m14custom_greaterImEEE10hipError_tT0_T1_T2_jT3_P12ihipStream_tbPNSt15iterator_traitsISJ_E10value_typeEPNSP_ISK_E10value_typeEPSL_NS1_7vsmem_tEENKUlT_SJ_SK_SL_E_clIPmSE_SF_SF_EESI_SY_SJ_SK_SL_EUlSY_E1_NS1_11comp_targetILNS1_3genE5ELNS1_11target_archE942ELNS1_3gpuE9ELNS1_3repE0EEENS1_36merge_oddeven_config_static_selectorELNS0_4arch9wavefront6targetE1EEEvSK_
	.p2align	8
	.type	_ZN7rocprim17ROCPRIM_400000_NS6detail17trampoline_kernelINS0_14default_configENS1_38merge_sort_block_merge_config_selectorImNS0_10empty_typeEEEZZNS1_27merge_sort_block_merge_implIS3_N6thrust23THRUST_200600_302600_NS6detail15normal_iteratorINS9_10device_ptrImEEEEPS5_m14custom_greaterImEEE10hipError_tT0_T1_T2_jT3_P12ihipStream_tbPNSt15iterator_traitsISJ_E10value_typeEPNSP_ISK_E10value_typeEPSL_NS1_7vsmem_tEENKUlT_SJ_SK_SL_E_clIPmSE_SF_SF_EESI_SY_SJ_SK_SL_EUlSY_E1_NS1_11comp_targetILNS1_3genE5ELNS1_11target_archE942ELNS1_3gpuE9ELNS1_3repE0EEENS1_36merge_oddeven_config_static_selectorELNS0_4arch9wavefront6targetE1EEEvSK_,@function
_ZN7rocprim17ROCPRIM_400000_NS6detail17trampoline_kernelINS0_14default_configENS1_38merge_sort_block_merge_config_selectorImNS0_10empty_typeEEEZZNS1_27merge_sort_block_merge_implIS3_N6thrust23THRUST_200600_302600_NS6detail15normal_iteratorINS9_10device_ptrImEEEEPS5_m14custom_greaterImEEE10hipError_tT0_T1_T2_jT3_P12ihipStream_tbPNSt15iterator_traitsISJ_E10value_typeEPNSP_ISK_E10value_typeEPSL_NS1_7vsmem_tEENKUlT_SJ_SK_SL_E_clIPmSE_SF_SF_EESI_SY_SJ_SK_SL_EUlSY_E1_NS1_11comp_targetILNS1_3genE5ELNS1_11target_archE942ELNS1_3gpuE9ELNS1_3repE0EEENS1_36merge_oddeven_config_static_selectorELNS0_4arch9wavefront6targetE1EEEvSK_: ; @_ZN7rocprim17ROCPRIM_400000_NS6detail17trampoline_kernelINS0_14default_configENS1_38merge_sort_block_merge_config_selectorImNS0_10empty_typeEEEZZNS1_27merge_sort_block_merge_implIS3_N6thrust23THRUST_200600_302600_NS6detail15normal_iteratorINS9_10device_ptrImEEEEPS5_m14custom_greaterImEEE10hipError_tT0_T1_T2_jT3_P12ihipStream_tbPNSt15iterator_traitsISJ_E10value_typeEPNSP_ISK_E10value_typeEPSL_NS1_7vsmem_tEENKUlT_SJ_SK_SL_E_clIPmSE_SF_SF_EESI_SY_SJ_SK_SL_EUlSY_E1_NS1_11comp_targetILNS1_3genE5ELNS1_11target_archE942ELNS1_3gpuE9ELNS1_3repE0EEENS1_36merge_oddeven_config_static_selectorELNS0_4arch9wavefront6targetE1EEEvSK_
; %bb.0:
	.section	.rodata,"a",@progbits
	.p2align	6, 0x0
	.amdhsa_kernel _ZN7rocprim17ROCPRIM_400000_NS6detail17trampoline_kernelINS0_14default_configENS1_38merge_sort_block_merge_config_selectorImNS0_10empty_typeEEEZZNS1_27merge_sort_block_merge_implIS3_N6thrust23THRUST_200600_302600_NS6detail15normal_iteratorINS9_10device_ptrImEEEEPS5_m14custom_greaterImEEE10hipError_tT0_T1_T2_jT3_P12ihipStream_tbPNSt15iterator_traitsISJ_E10value_typeEPNSP_ISK_E10value_typeEPSL_NS1_7vsmem_tEENKUlT_SJ_SK_SL_E_clIPmSE_SF_SF_EESI_SY_SJ_SK_SL_EUlSY_E1_NS1_11comp_targetILNS1_3genE5ELNS1_11target_archE942ELNS1_3gpuE9ELNS1_3repE0EEENS1_36merge_oddeven_config_static_selectorELNS0_4arch9wavefront6targetE1EEEvSK_
		.amdhsa_group_segment_fixed_size 0
		.amdhsa_private_segment_fixed_size 0
		.amdhsa_kernarg_size 56
		.amdhsa_user_sgpr_count 6
		.amdhsa_user_sgpr_private_segment_buffer 1
		.amdhsa_user_sgpr_dispatch_ptr 0
		.amdhsa_user_sgpr_queue_ptr 0
		.amdhsa_user_sgpr_kernarg_segment_ptr 1
		.amdhsa_user_sgpr_dispatch_id 0
		.amdhsa_user_sgpr_flat_scratch_init 0
		.amdhsa_user_sgpr_kernarg_preload_length 0
		.amdhsa_user_sgpr_kernarg_preload_offset 0
		.amdhsa_user_sgpr_private_segment_size 0
		.amdhsa_uses_dynamic_stack 0
		.amdhsa_system_sgpr_private_segment_wavefront_offset 0
		.amdhsa_system_sgpr_workgroup_id_x 1
		.amdhsa_system_sgpr_workgroup_id_y 0
		.amdhsa_system_sgpr_workgroup_id_z 0
		.amdhsa_system_sgpr_workgroup_info 0
		.amdhsa_system_vgpr_workitem_id 0
		.amdhsa_next_free_vgpr 1
		.amdhsa_next_free_sgpr 0
		.amdhsa_accum_offset 4
		.amdhsa_reserve_vcc 0
		.amdhsa_reserve_flat_scratch 0
		.amdhsa_float_round_mode_32 0
		.amdhsa_float_round_mode_16_64 0
		.amdhsa_float_denorm_mode_32 3
		.amdhsa_float_denorm_mode_16_64 3
		.amdhsa_dx10_clamp 1
		.amdhsa_ieee_mode 1
		.amdhsa_fp16_overflow 0
		.amdhsa_tg_split 0
		.amdhsa_exception_fp_ieee_invalid_op 0
		.amdhsa_exception_fp_denorm_src 0
		.amdhsa_exception_fp_ieee_div_zero 0
		.amdhsa_exception_fp_ieee_overflow 0
		.amdhsa_exception_fp_ieee_underflow 0
		.amdhsa_exception_fp_ieee_inexact 0
		.amdhsa_exception_int_div_zero 0
	.end_amdhsa_kernel
	.section	.text._ZN7rocprim17ROCPRIM_400000_NS6detail17trampoline_kernelINS0_14default_configENS1_38merge_sort_block_merge_config_selectorImNS0_10empty_typeEEEZZNS1_27merge_sort_block_merge_implIS3_N6thrust23THRUST_200600_302600_NS6detail15normal_iteratorINS9_10device_ptrImEEEEPS5_m14custom_greaterImEEE10hipError_tT0_T1_T2_jT3_P12ihipStream_tbPNSt15iterator_traitsISJ_E10value_typeEPNSP_ISK_E10value_typeEPSL_NS1_7vsmem_tEENKUlT_SJ_SK_SL_E_clIPmSE_SF_SF_EESI_SY_SJ_SK_SL_EUlSY_E1_NS1_11comp_targetILNS1_3genE5ELNS1_11target_archE942ELNS1_3gpuE9ELNS1_3repE0EEENS1_36merge_oddeven_config_static_selectorELNS0_4arch9wavefront6targetE1EEEvSK_,"axG",@progbits,_ZN7rocprim17ROCPRIM_400000_NS6detail17trampoline_kernelINS0_14default_configENS1_38merge_sort_block_merge_config_selectorImNS0_10empty_typeEEEZZNS1_27merge_sort_block_merge_implIS3_N6thrust23THRUST_200600_302600_NS6detail15normal_iteratorINS9_10device_ptrImEEEEPS5_m14custom_greaterImEEE10hipError_tT0_T1_T2_jT3_P12ihipStream_tbPNSt15iterator_traitsISJ_E10value_typeEPNSP_ISK_E10value_typeEPSL_NS1_7vsmem_tEENKUlT_SJ_SK_SL_E_clIPmSE_SF_SF_EESI_SY_SJ_SK_SL_EUlSY_E1_NS1_11comp_targetILNS1_3genE5ELNS1_11target_archE942ELNS1_3gpuE9ELNS1_3repE0EEENS1_36merge_oddeven_config_static_selectorELNS0_4arch9wavefront6targetE1EEEvSK_,comdat
.Lfunc_end3331:
	.size	_ZN7rocprim17ROCPRIM_400000_NS6detail17trampoline_kernelINS0_14default_configENS1_38merge_sort_block_merge_config_selectorImNS0_10empty_typeEEEZZNS1_27merge_sort_block_merge_implIS3_N6thrust23THRUST_200600_302600_NS6detail15normal_iteratorINS9_10device_ptrImEEEEPS5_m14custom_greaterImEEE10hipError_tT0_T1_T2_jT3_P12ihipStream_tbPNSt15iterator_traitsISJ_E10value_typeEPNSP_ISK_E10value_typeEPSL_NS1_7vsmem_tEENKUlT_SJ_SK_SL_E_clIPmSE_SF_SF_EESI_SY_SJ_SK_SL_EUlSY_E1_NS1_11comp_targetILNS1_3genE5ELNS1_11target_archE942ELNS1_3gpuE9ELNS1_3repE0EEENS1_36merge_oddeven_config_static_selectorELNS0_4arch9wavefront6targetE1EEEvSK_, .Lfunc_end3331-_ZN7rocprim17ROCPRIM_400000_NS6detail17trampoline_kernelINS0_14default_configENS1_38merge_sort_block_merge_config_selectorImNS0_10empty_typeEEEZZNS1_27merge_sort_block_merge_implIS3_N6thrust23THRUST_200600_302600_NS6detail15normal_iteratorINS9_10device_ptrImEEEEPS5_m14custom_greaterImEEE10hipError_tT0_T1_T2_jT3_P12ihipStream_tbPNSt15iterator_traitsISJ_E10value_typeEPNSP_ISK_E10value_typeEPSL_NS1_7vsmem_tEENKUlT_SJ_SK_SL_E_clIPmSE_SF_SF_EESI_SY_SJ_SK_SL_EUlSY_E1_NS1_11comp_targetILNS1_3genE5ELNS1_11target_archE942ELNS1_3gpuE9ELNS1_3repE0EEENS1_36merge_oddeven_config_static_selectorELNS0_4arch9wavefront6targetE1EEEvSK_
                                        ; -- End function
	.section	.AMDGPU.csdata,"",@progbits
; Kernel info:
; codeLenInByte = 0
; NumSgprs: 4
; NumVgprs: 0
; NumAgprs: 0
; TotalNumVgprs: 0
; ScratchSize: 0
; MemoryBound: 0
; FloatMode: 240
; IeeeMode: 1
; LDSByteSize: 0 bytes/workgroup (compile time only)
; SGPRBlocks: 0
; VGPRBlocks: 0
; NumSGPRsForWavesPerEU: 4
; NumVGPRsForWavesPerEU: 1
; AccumOffset: 4
; Occupancy: 8
; WaveLimiterHint : 0
; COMPUTE_PGM_RSRC2:SCRATCH_EN: 0
; COMPUTE_PGM_RSRC2:USER_SGPR: 6
; COMPUTE_PGM_RSRC2:TRAP_HANDLER: 0
; COMPUTE_PGM_RSRC2:TGID_X_EN: 1
; COMPUTE_PGM_RSRC2:TGID_Y_EN: 0
; COMPUTE_PGM_RSRC2:TGID_Z_EN: 0
; COMPUTE_PGM_RSRC2:TIDIG_COMP_CNT: 0
; COMPUTE_PGM_RSRC3_GFX90A:ACCUM_OFFSET: 0
; COMPUTE_PGM_RSRC3_GFX90A:TG_SPLIT: 0
	.section	.text._ZN7rocprim17ROCPRIM_400000_NS6detail17trampoline_kernelINS0_14default_configENS1_38merge_sort_block_merge_config_selectorImNS0_10empty_typeEEEZZNS1_27merge_sort_block_merge_implIS3_N6thrust23THRUST_200600_302600_NS6detail15normal_iteratorINS9_10device_ptrImEEEEPS5_m14custom_greaterImEEE10hipError_tT0_T1_T2_jT3_P12ihipStream_tbPNSt15iterator_traitsISJ_E10value_typeEPNSP_ISK_E10value_typeEPSL_NS1_7vsmem_tEENKUlT_SJ_SK_SL_E_clIPmSE_SF_SF_EESI_SY_SJ_SK_SL_EUlSY_E1_NS1_11comp_targetILNS1_3genE4ELNS1_11target_archE910ELNS1_3gpuE8ELNS1_3repE0EEENS1_36merge_oddeven_config_static_selectorELNS0_4arch9wavefront6targetE1EEEvSK_,"axG",@progbits,_ZN7rocprim17ROCPRIM_400000_NS6detail17trampoline_kernelINS0_14default_configENS1_38merge_sort_block_merge_config_selectorImNS0_10empty_typeEEEZZNS1_27merge_sort_block_merge_implIS3_N6thrust23THRUST_200600_302600_NS6detail15normal_iteratorINS9_10device_ptrImEEEEPS5_m14custom_greaterImEEE10hipError_tT0_T1_T2_jT3_P12ihipStream_tbPNSt15iterator_traitsISJ_E10value_typeEPNSP_ISK_E10value_typeEPSL_NS1_7vsmem_tEENKUlT_SJ_SK_SL_E_clIPmSE_SF_SF_EESI_SY_SJ_SK_SL_EUlSY_E1_NS1_11comp_targetILNS1_3genE4ELNS1_11target_archE910ELNS1_3gpuE8ELNS1_3repE0EEENS1_36merge_oddeven_config_static_selectorELNS0_4arch9wavefront6targetE1EEEvSK_,comdat
	.protected	_ZN7rocprim17ROCPRIM_400000_NS6detail17trampoline_kernelINS0_14default_configENS1_38merge_sort_block_merge_config_selectorImNS0_10empty_typeEEEZZNS1_27merge_sort_block_merge_implIS3_N6thrust23THRUST_200600_302600_NS6detail15normal_iteratorINS9_10device_ptrImEEEEPS5_m14custom_greaterImEEE10hipError_tT0_T1_T2_jT3_P12ihipStream_tbPNSt15iterator_traitsISJ_E10value_typeEPNSP_ISK_E10value_typeEPSL_NS1_7vsmem_tEENKUlT_SJ_SK_SL_E_clIPmSE_SF_SF_EESI_SY_SJ_SK_SL_EUlSY_E1_NS1_11comp_targetILNS1_3genE4ELNS1_11target_archE910ELNS1_3gpuE8ELNS1_3repE0EEENS1_36merge_oddeven_config_static_selectorELNS0_4arch9wavefront6targetE1EEEvSK_ ; -- Begin function _ZN7rocprim17ROCPRIM_400000_NS6detail17trampoline_kernelINS0_14default_configENS1_38merge_sort_block_merge_config_selectorImNS0_10empty_typeEEEZZNS1_27merge_sort_block_merge_implIS3_N6thrust23THRUST_200600_302600_NS6detail15normal_iteratorINS9_10device_ptrImEEEEPS5_m14custom_greaterImEEE10hipError_tT0_T1_T2_jT3_P12ihipStream_tbPNSt15iterator_traitsISJ_E10value_typeEPNSP_ISK_E10value_typeEPSL_NS1_7vsmem_tEENKUlT_SJ_SK_SL_E_clIPmSE_SF_SF_EESI_SY_SJ_SK_SL_EUlSY_E1_NS1_11comp_targetILNS1_3genE4ELNS1_11target_archE910ELNS1_3gpuE8ELNS1_3repE0EEENS1_36merge_oddeven_config_static_selectorELNS0_4arch9wavefront6targetE1EEEvSK_
	.globl	_ZN7rocprim17ROCPRIM_400000_NS6detail17trampoline_kernelINS0_14default_configENS1_38merge_sort_block_merge_config_selectorImNS0_10empty_typeEEEZZNS1_27merge_sort_block_merge_implIS3_N6thrust23THRUST_200600_302600_NS6detail15normal_iteratorINS9_10device_ptrImEEEEPS5_m14custom_greaterImEEE10hipError_tT0_T1_T2_jT3_P12ihipStream_tbPNSt15iterator_traitsISJ_E10value_typeEPNSP_ISK_E10value_typeEPSL_NS1_7vsmem_tEENKUlT_SJ_SK_SL_E_clIPmSE_SF_SF_EESI_SY_SJ_SK_SL_EUlSY_E1_NS1_11comp_targetILNS1_3genE4ELNS1_11target_archE910ELNS1_3gpuE8ELNS1_3repE0EEENS1_36merge_oddeven_config_static_selectorELNS0_4arch9wavefront6targetE1EEEvSK_
	.p2align	8
	.type	_ZN7rocprim17ROCPRIM_400000_NS6detail17trampoline_kernelINS0_14default_configENS1_38merge_sort_block_merge_config_selectorImNS0_10empty_typeEEEZZNS1_27merge_sort_block_merge_implIS3_N6thrust23THRUST_200600_302600_NS6detail15normal_iteratorINS9_10device_ptrImEEEEPS5_m14custom_greaterImEEE10hipError_tT0_T1_T2_jT3_P12ihipStream_tbPNSt15iterator_traitsISJ_E10value_typeEPNSP_ISK_E10value_typeEPSL_NS1_7vsmem_tEENKUlT_SJ_SK_SL_E_clIPmSE_SF_SF_EESI_SY_SJ_SK_SL_EUlSY_E1_NS1_11comp_targetILNS1_3genE4ELNS1_11target_archE910ELNS1_3gpuE8ELNS1_3repE0EEENS1_36merge_oddeven_config_static_selectorELNS0_4arch9wavefront6targetE1EEEvSK_,@function
_ZN7rocprim17ROCPRIM_400000_NS6detail17trampoline_kernelINS0_14default_configENS1_38merge_sort_block_merge_config_selectorImNS0_10empty_typeEEEZZNS1_27merge_sort_block_merge_implIS3_N6thrust23THRUST_200600_302600_NS6detail15normal_iteratorINS9_10device_ptrImEEEEPS5_m14custom_greaterImEEE10hipError_tT0_T1_T2_jT3_P12ihipStream_tbPNSt15iterator_traitsISJ_E10value_typeEPNSP_ISK_E10value_typeEPSL_NS1_7vsmem_tEENKUlT_SJ_SK_SL_E_clIPmSE_SF_SF_EESI_SY_SJ_SK_SL_EUlSY_E1_NS1_11comp_targetILNS1_3genE4ELNS1_11target_archE910ELNS1_3gpuE8ELNS1_3repE0EEENS1_36merge_oddeven_config_static_selectorELNS0_4arch9wavefront6targetE1EEEvSK_: ; @_ZN7rocprim17ROCPRIM_400000_NS6detail17trampoline_kernelINS0_14default_configENS1_38merge_sort_block_merge_config_selectorImNS0_10empty_typeEEEZZNS1_27merge_sort_block_merge_implIS3_N6thrust23THRUST_200600_302600_NS6detail15normal_iteratorINS9_10device_ptrImEEEEPS5_m14custom_greaterImEEE10hipError_tT0_T1_T2_jT3_P12ihipStream_tbPNSt15iterator_traitsISJ_E10value_typeEPNSP_ISK_E10value_typeEPSL_NS1_7vsmem_tEENKUlT_SJ_SK_SL_E_clIPmSE_SF_SF_EESI_SY_SJ_SK_SL_EUlSY_E1_NS1_11comp_targetILNS1_3genE4ELNS1_11target_archE910ELNS1_3gpuE8ELNS1_3repE0EEENS1_36merge_oddeven_config_static_selectorELNS0_4arch9wavefront6targetE1EEEvSK_
; %bb.0:
	s_load_dword s18, s[4:5], 0x20
	s_waitcnt lgkmcnt(0)
	s_lshr_b32 s0, s18, 8
	s_cmp_lg_u32 s6, s0
	s_cselect_b64 s[14:15], -1, 0
	s_cmp_eq_u32 s6, s0
	s_cselect_b64 s[12:13], -1, 0
	s_lshl_b32 s16, s6, 8
	s_sub_i32 s0, s18, s16
	v_cmp_gt_u32_e64 s[2:3], s0, v0
	s_or_b64 s[0:1], s[14:15], s[2:3]
	s_and_saveexec_b64 s[8:9], s[0:1]
	s_cbranch_execz .LBB3332_20
; %bb.1:
	s_load_dwordx4 s[8:11], s[4:5], 0x0
	s_load_dword s19, s[4:5], 0x28
	s_mov_b32 s17, 0
	s_lshl_b64 s[0:1], s[16:17], 3
	v_lshlrev_b32_e32 v1, 3, v0
	s_waitcnt lgkmcnt(0)
	s_add_u32 s0, s8, s0
	s_addc_u32 s1, s9, s1
	global_load_dwordx2 v[2:3], v1, s[0:1]
	s_lshr_b32 s0, s19, 8
	s_sub_i32 s1, 0, s0
	s_and_b32 s1, s6, s1
	s_and_b32 s0, s1, s0
	s_lshl_b32 s20, s1, 8
	s_sub_i32 s6, 0, s19
	s_cmp_eq_u32 s0, 0
	s_cselect_b64 s[0:1], -1, 0
	s_and_b64 s[4:5], s[0:1], exec
	s_cselect_b32 s17, s19, s6
	s_add_i32 s17, s17, s20
	s_cmp_lt_u32 s17, s18
	v_add_u32_e32 v0, s16, v0
	s_cbranch_scc1 .LBB3332_3
; %bb.2:
	v_cmp_gt_u32_e32 vcc, s18, v0
	s_or_b64 s[4:5], vcc, s[14:15]
	s_and_b64 s[4:5], s[4:5], exec
	s_cbranch_execz .LBB3332_4
	s_branch .LBB3332_18
.LBB3332_3:
	s_mov_b64 s[4:5], 0
.LBB3332_4:
	s_min_u32 s14, s17, s18
	s_add_i32 s6, s14, s19
	s_min_u32 s15, s6, s18
	s_min_u32 s6, s20, s14
	s_add_i32 s20, s20, s14
	v_subrev_u32_e32 v0, s20, v0
	v_add_u32_e32 v4, s6, v0
	s_and_b64 vcc, exec, s[12:13]
	s_cbranch_vccz .LBB3332_12
; %bb.5:
                                        ; implicit-def: $vgpr0
	s_and_saveexec_b64 s[6:7], s[2:3]
	s_cbranch_execz .LBB3332_11
; %bb.6:
	s_cmp_ge_u32 s17, s15
	v_mov_b32_e32 v5, s14
	s_cbranch_scc1 .LBB3332_10
; %bb.7:
	s_mov_b64 s[2:3], 0
	v_mov_b32_e32 v6, s15
	v_mov_b32_e32 v5, s14
	;; [unrolled: 1-line block ×4, first 2 shown]
.LBB3332_8:                             ; =>This Inner Loop Header: Depth=1
	v_add_u32_e32 v0, v5, v6
	v_lshrrev_b32_e32 v0, 1, v0
	v_lshlrev_b64 v[8:9], 3, v[0:1]
	v_add_co_u32_e32 v8, vcc, s8, v8
	v_addc_co_u32_e32 v9, vcc, v7, v9, vcc
	global_load_dwordx2 v[8:9], v[8:9], off
	v_add_u32_e32 v10, 1, v0
	s_waitcnt vmcnt(0)
	v_cmp_gt_u64_e32 vcc, v[2:3], v[8:9]
	v_cndmask_b32_e64 v11, 0, 1, vcc
	v_cmp_le_u64_e32 vcc, v[8:9], v[2:3]
	v_cndmask_b32_e64 v8, 0, 1, vcc
	v_cndmask_b32_e64 v8, v8, v11, s[0:1]
	v_and_b32_e32 v8, 1, v8
	v_cmp_eq_u32_e32 vcc, 1, v8
	v_cndmask_b32_e32 v6, v0, v6, vcc
	v_cndmask_b32_e32 v5, v5, v10, vcc
	v_cmp_ge_u32_e32 vcc, v5, v6
	s_or_b64 s[2:3], vcc, s[2:3]
	s_andn2_b64 exec, exec, s[2:3]
	s_cbranch_execnz .LBB3332_8
; %bb.9:
	s_or_b64 exec, exec, s[2:3]
.LBB3332_10:
	v_add_u32_e32 v0, v5, v4
	s_or_b64 s[4:5], s[4:5], exec
.LBB3332_11:
	s_or_b64 exec, exec, s[6:7]
	s_branch .LBB3332_18
.LBB3332_12:
                                        ; implicit-def: $vgpr0
	s_cbranch_execz .LBB3332_18
; %bb.13:
	s_cmp_ge_u32 s17, s15
	v_mov_b32_e32 v5, s14
	s_cbranch_scc1 .LBB3332_17
; %bb.14:
	s_mov_b64 s[2:3], 0
	v_mov_b32_e32 v6, s15
	v_mov_b32_e32 v5, s14
	;; [unrolled: 1-line block ×4, first 2 shown]
.LBB3332_15:                            ; =>This Inner Loop Header: Depth=1
	v_add_u32_e32 v0, v5, v6
	v_lshrrev_b32_e32 v0, 1, v0
	v_lshlrev_b64 v[8:9], 3, v[0:1]
	v_add_co_u32_e32 v8, vcc, s8, v8
	v_addc_co_u32_e32 v9, vcc, v7, v9, vcc
	global_load_dwordx2 v[8:9], v[8:9], off
	v_add_u32_e32 v10, 1, v0
	s_waitcnt vmcnt(0)
	v_cmp_gt_u64_e32 vcc, v[2:3], v[8:9]
	v_cndmask_b32_e64 v11, 0, 1, vcc
	v_cmp_le_u64_e32 vcc, v[8:9], v[2:3]
	v_cndmask_b32_e64 v8, 0, 1, vcc
	v_cndmask_b32_e64 v8, v8, v11, s[0:1]
	v_and_b32_e32 v8, 1, v8
	v_cmp_eq_u32_e32 vcc, 1, v8
	v_cndmask_b32_e32 v6, v0, v6, vcc
	v_cndmask_b32_e32 v5, v5, v10, vcc
	v_cmp_ge_u32_e32 vcc, v5, v6
	s_or_b64 s[2:3], vcc, s[2:3]
	s_andn2_b64 exec, exec, s[2:3]
	s_cbranch_execnz .LBB3332_15
; %bb.16:
	s_or_b64 exec, exec, s[2:3]
.LBB3332_17:
	v_add_u32_e32 v0, v5, v4
	s_mov_b64 s[4:5], -1
.LBB3332_18:
	s_and_b64 exec, exec, s[4:5]
	s_cbranch_execz .LBB3332_20
; %bb.19:
	v_mov_b32_e32 v1, 0
	v_lshlrev_b64 v[0:1], 3, v[0:1]
	v_mov_b32_e32 v4, s11
	v_add_co_u32_e32 v0, vcc, s10, v0
	v_addc_co_u32_e32 v1, vcc, v4, v1, vcc
	s_waitcnt vmcnt(0)
	global_store_dwordx2 v[0:1], v[2:3], off
.LBB3332_20:
	s_endpgm
	.section	.rodata,"a",@progbits
	.p2align	6, 0x0
	.amdhsa_kernel _ZN7rocprim17ROCPRIM_400000_NS6detail17trampoline_kernelINS0_14default_configENS1_38merge_sort_block_merge_config_selectorImNS0_10empty_typeEEEZZNS1_27merge_sort_block_merge_implIS3_N6thrust23THRUST_200600_302600_NS6detail15normal_iteratorINS9_10device_ptrImEEEEPS5_m14custom_greaterImEEE10hipError_tT0_T1_T2_jT3_P12ihipStream_tbPNSt15iterator_traitsISJ_E10value_typeEPNSP_ISK_E10value_typeEPSL_NS1_7vsmem_tEENKUlT_SJ_SK_SL_E_clIPmSE_SF_SF_EESI_SY_SJ_SK_SL_EUlSY_E1_NS1_11comp_targetILNS1_3genE4ELNS1_11target_archE910ELNS1_3gpuE8ELNS1_3repE0EEENS1_36merge_oddeven_config_static_selectorELNS0_4arch9wavefront6targetE1EEEvSK_
		.amdhsa_group_segment_fixed_size 0
		.amdhsa_private_segment_fixed_size 0
		.amdhsa_kernarg_size 56
		.amdhsa_user_sgpr_count 6
		.amdhsa_user_sgpr_private_segment_buffer 1
		.amdhsa_user_sgpr_dispatch_ptr 0
		.amdhsa_user_sgpr_queue_ptr 0
		.amdhsa_user_sgpr_kernarg_segment_ptr 1
		.amdhsa_user_sgpr_dispatch_id 0
		.amdhsa_user_sgpr_flat_scratch_init 0
		.amdhsa_user_sgpr_kernarg_preload_length 0
		.amdhsa_user_sgpr_kernarg_preload_offset 0
		.amdhsa_user_sgpr_private_segment_size 0
		.amdhsa_uses_dynamic_stack 0
		.amdhsa_system_sgpr_private_segment_wavefront_offset 0
		.amdhsa_system_sgpr_workgroup_id_x 1
		.amdhsa_system_sgpr_workgroup_id_y 0
		.amdhsa_system_sgpr_workgroup_id_z 0
		.amdhsa_system_sgpr_workgroup_info 0
		.amdhsa_system_vgpr_workitem_id 0
		.amdhsa_next_free_vgpr 12
		.amdhsa_next_free_sgpr 21
		.amdhsa_accum_offset 12
		.amdhsa_reserve_vcc 1
		.amdhsa_reserve_flat_scratch 0
		.amdhsa_float_round_mode_32 0
		.amdhsa_float_round_mode_16_64 0
		.amdhsa_float_denorm_mode_32 3
		.amdhsa_float_denorm_mode_16_64 3
		.amdhsa_dx10_clamp 1
		.amdhsa_ieee_mode 1
		.amdhsa_fp16_overflow 0
		.amdhsa_tg_split 0
		.amdhsa_exception_fp_ieee_invalid_op 0
		.amdhsa_exception_fp_denorm_src 0
		.amdhsa_exception_fp_ieee_div_zero 0
		.amdhsa_exception_fp_ieee_overflow 0
		.amdhsa_exception_fp_ieee_underflow 0
		.amdhsa_exception_fp_ieee_inexact 0
		.amdhsa_exception_int_div_zero 0
	.end_amdhsa_kernel
	.section	.text._ZN7rocprim17ROCPRIM_400000_NS6detail17trampoline_kernelINS0_14default_configENS1_38merge_sort_block_merge_config_selectorImNS0_10empty_typeEEEZZNS1_27merge_sort_block_merge_implIS3_N6thrust23THRUST_200600_302600_NS6detail15normal_iteratorINS9_10device_ptrImEEEEPS5_m14custom_greaterImEEE10hipError_tT0_T1_T2_jT3_P12ihipStream_tbPNSt15iterator_traitsISJ_E10value_typeEPNSP_ISK_E10value_typeEPSL_NS1_7vsmem_tEENKUlT_SJ_SK_SL_E_clIPmSE_SF_SF_EESI_SY_SJ_SK_SL_EUlSY_E1_NS1_11comp_targetILNS1_3genE4ELNS1_11target_archE910ELNS1_3gpuE8ELNS1_3repE0EEENS1_36merge_oddeven_config_static_selectorELNS0_4arch9wavefront6targetE1EEEvSK_,"axG",@progbits,_ZN7rocprim17ROCPRIM_400000_NS6detail17trampoline_kernelINS0_14default_configENS1_38merge_sort_block_merge_config_selectorImNS0_10empty_typeEEEZZNS1_27merge_sort_block_merge_implIS3_N6thrust23THRUST_200600_302600_NS6detail15normal_iteratorINS9_10device_ptrImEEEEPS5_m14custom_greaterImEEE10hipError_tT0_T1_T2_jT3_P12ihipStream_tbPNSt15iterator_traitsISJ_E10value_typeEPNSP_ISK_E10value_typeEPSL_NS1_7vsmem_tEENKUlT_SJ_SK_SL_E_clIPmSE_SF_SF_EESI_SY_SJ_SK_SL_EUlSY_E1_NS1_11comp_targetILNS1_3genE4ELNS1_11target_archE910ELNS1_3gpuE8ELNS1_3repE0EEENS1_36merge_oddeven_config_static_selectorELNS0_4arch9wavefront6targetE1EEEvSK_,comdat
.Lfunc_end3332:
	.size	_ZN7rocprim17ROCPRIM_400000_NS6detail17trampoline_kernelINS0_14default_configENS1_38merge_sort_block_merge_config_selectorImNS0_10empty_typeEEEZZNS1_27merge_sort_block_merge_implIS3_N6thrust23THRUST_200600_302600_NS6detail15normal_iteratorINS9_10device_ptrImEEEEPS5_m14custom_greaterImEEE10hipError_tT0_T1_T2_jT3_P12ihipStream_tbPNSt15iterator_traitsISJ_E10value_typeEPNSP_ISK_E10value_typeEPSL_NS1_7vsmem_tEENKUlT_SJ_SK_SL_E_clIPmSE_SF_SF_EESI_SY_SJ_SK_SL_EUlSY_E1_NS1_11comp_targetILNS1_3genE4ELNS1_11target_archE910ELNS1_3gpuE8ELNS1_3repE0EEENS1_36merge_oddeven_config_static_selectorELNS0_4arch9wavefront6targetE1EEEvSK_, .Lfunc_end3332-_ZN7rocprim17ROCPRIM_400000_NS6detail17trampoline_kernelINS0_14default_configENS1_38merge_sort_block_merge_config_selectorImNS0_10empty_typeEEEZZNS1_27merge_sort_block_merge_implIS3_N6thrust23THRUST_200600_302600_NS6detail15normal_iteratorINS9_10device_ptrImEEEEPS5_m14custom_greaterImEEE10hipError_tT0_T1_T2_jT3_P12ihipStream_tbPNSt15iterator_traitsISJ_E10value_typeEPNSP_ISK_E10value_typeEPSL_NS1_7vsmem_tEENKUlT_SJ_SK_SL_E_clIPmSE_SF_SF_EESI_SY_SJ_SK_SL_EUlSY_E1_NS1_11comp_targetILNS1_3genE4ELNS1_11target_archE910ELNS1_3gpuE8ELNS1_3repE0EEENS1_36merge_oddeven_config_static_selectorELNS0_4arch9wavefront6targetE1EEEvSK_
                                        ; -- End function
	.section	.AMDGPU.csdata,"",@progbits
; Kernel info:
; codeLenInByte = 588
; NumSgprs: 25
; NumVgprs: 12
; NumAgprs: 0
; TotalNumVgprs: 12
; ScratchSize: 0
; MemoryBound: 0
; FloatMode: 240
; IeeeMode: 1
; LDSByteSize: 0 bytes/workgroup (compile time only)
; SGPRBlocks: 3
; VGPRBlocks: 1
; NumSGPRsForWavesPerEU: 25
; NumVGPRsForWavesPerEU: 12
; AccumOffset: 12
; Occupancy: 8
; WaveLimiterHint : 0
; COMPUTE_PGM_RSRC2:SCRATCH_EN: 0
; COMPUTE_PGM_RSRC2:USER_SGPR: 6
; COMPUTE_PGM_RSRC2:TRAP_HANDLER: 0
; COMPUTE_PGM_RSRC2:TGID_X_EN: 1
; COMPUTE_PGM_RSRC2:TGID_Y_EN: 0
; COMPUTE_PGM_RSRC2:TGID_Z_EN: 0
; COMPUTE_PGM_RSRC2:TIDIG_COMP_CNT: 0
; COMPUTE_PGM_RSRC3_GFX90A:ACCUM_OFFSET: 2
; COMPUTE_PGM_RSRC3_GFX90A:TG_SPLIT: 0
	.section	.text._ZN7rocprim17ROCPRIM_400000_NS6detail17trampoline_kernelINS0_14default_configENS1_38merge_sort_block_merge_config_selectorImNS0_10empty_typeEEEZZNS1_27merge_sort_block_merge_implIS3_N6thrust23THRUST_200600_302600_NS6detail15normal_iteratorINS9_10device_ptrImEEEEPS5_m14custom_greaterImEEE10hipError_tT0_T1_T2_jT3_P12ihipStream_tbPNSt15iterator_traitsISJ_E10value_typeEPNSP_ISK_E10value_typeEPSL_NS1_7vsmem_tEENKUlT_SJ_SK_SL_E_clIPmSE_SF_SF_EESI_SY_SJ_SK_SL_EUlSY_E1_NS1_11comp_targetILNS1_3genE3ELNS1_11target_archE908ELNS1_3gpuE7ELNS1_3repE0EEENS1_36merge_oddeven_config_static_selectorELNS0_4arch9wavefront6targetE1EEEvSK_,"axG",@progbits,_ZN7rocprim17ROCPRIM_400000_NS6detail17trampoline_kernelINS0_14default_configENS1_38merge_sort_block_merge_config_selectorImNS0_10empty_typeEEEZZNS1_27merge_sort_block_merge_implIS3_N6thrust23THRUST_200600_302600_NS6detail15normal_iteratorINS9_10device_ptrImEEEEPS5_m14custom_greaterImEEE10hipError_tT0_T1_T2_jT3_P12ihipStream_tbPNSt15iterator_traitsISJ_E10value_typeEPNSP_ISK_E10value_typeEPSL_NS1_7vsmem_tEENKUlT_SJ_SK_SL_E_clIPmSE_SF_SF_EESI_SY_SJ_SK_SL_EUlSY_E1_NS1_11comp_targetILNS1_3genE3ELNS1_11target_archE908ELNS1_3gpuE7ELNS1_3repE0EEENS1_36merge_oddeven_config_static_selectorELNS0_4arch9wavefront6targetE1EEEvSK_,comdat
	.protected	_ZN7rocprim17ROCPRIM_400000_NS6detail17trampoline_kernelINS0_14default_configENS1_38merge_sort_block_merge_config_selectorImNS0_10empty_typeEEEZZNS1_27merge_sort_block_merge_implIS3_N6thrust23THRUST_200600_302600_NS6detail15normal_iteratorINS9_10device_ptrImEEEEPS5_m14custom_greaterImEEE10hipError_tT0_T1_T2_jT3_P12ihipStream_tbPNSt15iterator_traitsISJ_E10value_typeEPNSP_ISK_E10value_typeEPSL_NS1_7vsmem_tEENKUlT_SJ_SK_SL_E_clIPmSE_SF_SF_EESI_SY_SJ_SK_SL_EUlSY_E1_NS1_11comp_targetILNS1_3genE3ELNS1_11target_archE908ELNS1_3gpuE7ELNS1_3repE0EEENS1_36merge_oddeven_config_static_selectorELNS0_4arch9wavefront6targetE1EEEvSK_ ; -- Begin function _ZN7rocprim17ROCPRIM_400000_NS6detail17trampoline_kernelINS0_14default_configENS1_38merge_sort_block_merge_config_selectorImNS0_10empty_typeEEEZZNS1_27merge_sort_block_merge_implIS3_N6thrust23THRUST_200600_302600_NS6detail15normal_iteratorINS9_10device_ptrImEEEEPS5_m14custom_greaterImEEE10hipError_tT0_T1_T2_jT3_P12ihipStream_tbPNSt15iterator_traitsISJ_E10value_typeEPNSP_ISK_E10value_typeEPSL_NS1_7vsmem_tEENKUlT_SJ_SK_SL_E_clIPmSE_SF_SF_EESI_SY_SJ_SK_SL_EUlSY_E1_NS1_11comp_targetILNS1_3genE3ELNS1_11target_archE908ELNS1_3gpuE7ELNS1_3repE0EEENS1_36merge_oddeven_config_static_selectorELNS0_4arch9wavefront6targetE1EEEvSK_
	.globl	_ZN7rocprim17ROCPRIM_400000_NS6detail17trampoline_kernelINS0_14default_configENS1_38merge_sort_block_merge_config_selectorImNS0_10empty_typeEEEZZNS1_27merge_sort_block_merge_implIS3_N6thrust23THRUST_200600_302600_NS6detail15normal_iteratorINS9_10device_ptrImEEEEPS5_m14custom_greaterImEEE10hipError_tT0_T1_T2_jT3_P12ihipStream_tbPNSt15iterator_traitsISJ_E10value_typeEPNSP_ISK_E10value_typeEPSL_NS1_7vsmem_tEENKUlT_SJ_SK_SL_E_clIPmSE_SF_SF_EESI_SY_SJ_SK_SL_EUlSY_E1_NS1_11comp_targetILNS1_3genE3ELNS1_11target_archE908ELNS1_3gpuE7ELNS1_3repE0EEENS1_36merge_oddeven_config_static_selectorELNS0_4arch9wavefront6targetE1EEEvSK_
	.p2align	8
	.type	_ZN7rocprim17ROCPRIM_400000_NS6detail17trampoline_kernelINS0_14default_configENS1_38merge_sort_block_merge_config_selectorImNS0_10empty_typeEEEZZNS1_27merge_sort_block_merge_implIS3_N6thrust23THRUST_200600_302600_NS6detail15normal_iteratorINS9_10device_ptrImEEEEPS5_m14custom_greaterImEEE10hipError_tT0_T1_T2_jT3_P12ihipStream_tbPNSt15iterator_traitsISJ_E10value_typeEPNSP_ISK_E10value_typeEPSL_NS1_7vsmem_tEENKUlT_SJ_SK_SL_E_clIPmSE_SF_SF_EESI_SY_SJ_SK_SL_EUlSY_E1_NS1_11comp_targetILNS1_3genE3ELNS1_11target_archE908ELNS1_3gpuE7ELNS1_3repE0EEENS1_36merge_oddeven_config_static_selectorELNS0_4arch9wavefront6targetE1EEEvSK_,@function
_ZN7rocprim17ROCPRIM_400000_NS6detail17trampoline_kernelINS0_14default_configENS1_38merge_sort_block_merge_config_selectorImNS0_10empty_typeEEEZZNS1_27merge_sort_block_merge_implIS3_N6thrust23THRUST_200600_302600_NS6detail15normal_iteratorINS9_10device_ptrImEEEEPS5_m14custom_greaterImEEE10hipError_tT0_T1_T2_jT3_P12ihipStream_tbPNSt15iterator_traitsISJ_E10value_typeEPNSP_ISK_E10value_typeEPSL_NS1_7vsmem_tEENKUlT_SJ_SK_SL_E_clIPmSE_SF_SF_EESI_SY_SJ_SK_SL_EUlSY_E1_NS1_11comp_targetILNS1_3genE3ELNS1_11target_archE908ELNS1_3gpuE7ELNS1_3repE0EEENS1_36merge_oddeven_config_static_selectorELNS0_4arch9wavefront6targetE1EEEvSK_: ; @_ZN7rocprim17ROCPRIM_400000_NS6detail17trampoline_kernelINS0_14default_configENS1_38merge_sort_block_merge_config_selectorImNS0_10empty_typeEEEZZNS1_27merge_sort_block_merge_implIS3_N6thrust23THRUST_200600_302600_NS6detail15normal_iteratorINS9_10device_ptrImEEEEPS5_m14custom_greaterImEEE10hipError_tT0_T1_T2_jT3_P12ihipStream_tbPNSt15iterator_traitsISJ_E10value_typeEPNSP_ISK_E10value_typeEPSL_NS1_7vsmem_tEENKUlT_SJ_SK_SL_E_clIPmSE_SF_SF_EESI_SY_SJ_SK_SL_EUlSY_E1_NS1_11comp_targetILNS1_3genE3ELNS1_11target_archE908ELNS1_3gpuE7ELNS1_3repE0EEENS1_36merge_oddeven_config_static_selectorELNS0_4arch9wavefront6targetE1EEEvSK_
; %bb.0:
	.section	.rodata,"a",@progbits
	.p2align	6, 0x0
	.amdhsa_kernel _ZN7rocprim17ROCPRIM_400000_NS6detail17trampoline_kernelINS0_14default_configENS1_38merge_sort_block_merge_config_selectorImNS0_10empty_typeEEEZZNS1_27merge_sort_block_merge_implIS3_N6thrust23THRUST_200600_302600_NS6detail15normal_iteratorINS9_10device_ptrImEEEEPS5_m14custom_greaterImEEE10hipError_tT0_T1_T2_jT3_P12ihipStream_tbPNSt15iterator_traitsISJ_E10value_typeEPNSP_ISK_E10value_typeEPSL_NS1_7vsmem_tEENKUlT_SJ_SK_SL_E_clIPmSE_SF_SF_EESI_SY_SJ_SK_SL_EUlSY_E1_NS1_11comp_targetILNS1_3genE3ELNS1_11target_archE908ELNS1_3gpuE7ELNS1_3repE0EEENS1_36merge_oddeven_config_static_selectorELNS0_4arch9wavefront6targetE1EEEvSK_
		.amdhsa_group_segment_fixed_size 0
		.amdhsa_private_segment_fixed_size 0
		.amdhsa_kernarg_size 56
		.amdhsa_user_sgpr_count 6
		.amdhsa_user_sgpr_private_segment_buffer 1
		.amdhsa_user_sgpr_dispatch_ptr 0
		.amdhsa_user_sgpr_queue_ptr 0
		.amdhsa_user_sgpr_kernarg_segment_ptr 1
		.amdhsa_user_sgpr_dispatch_id 0
		.amdhsa_user_sgpr_flat_scratch_init 0
		.amdhsa_user_sgpr_kernarg_preload_length 0
		.amdhsa_user_sgpr_kernarg_preload_offset 0
		.amdhsa_user_sgpr_private_segment_size 0
		.amdhsa_uses_dynamic_stack 0
		.amdhsa_system_sgpr_private_segment_wavefront_offset 0
		.amdhsa_system_sgpr_workgroup_id_x 1
		.amdhsa_system_sgpr_workgroup_id_y 0
		.amdhsa_system_sgpr_workgroup_id_z 0
		.amdhsa_system_sgpr_workgroup_info 0
		.amdhsa_system_vgpr_workitem_id 0
		.amdhsa_next_free_vgpr 1
		.amdhsa_next_free_sgpr 0
		.amdhsa_accum_offset 4
		.amdhsa_reserve_vcc 0
		.amdhsa_reserve_flat_scratch 0
		.amdhsa_float_round_mode_32 0
		.amdhsa_float_round_mode_16_64 0
		.amdhsa_float_denorm_mode_32 3
		.amdhsa_float_denorm_mode_16_64 3
		.amdhsa_dx10_clamp 1
		.amdhsa_ieee_mode 1
		.amdhsa_fp16_overflow 0
		.amdhsa_tg_split 0
		.amdhsa_exception_fp_ieee_invalid_op 0
		.amdhsa_exception_fp_denorm_src 0
		.amdhsa_exception_fp_ieee_div_zero 0
		.amdhsa_exception_fp_ieee_overflow 0
		.amdhsa_exception_fp_ieee_underflow 0
		.amdhsa_exception_fp_ieee_inexact 0
		.amdhsa_exception_int_div_zero 0
	.end_amdhsa_kernel
	.section	.text._ZN7rocprim17ROCPRIM_400000_NS6detail17trampoline_kernelINS0_14default_configENS1_38merge_sort_block_merge_config_selectorImNS0_10empty_typeEEEZZNS1_27merge_sort_block_merge_implIS3_N6thrust23THRUST_200600_302600_NS6detail15normal_iteratorINS9_10device_ptrImEEEEPS5_m14custom_greaterImEEE10hipError_tT0_T1_T2_jT3_P12ihipStream_tbPNSt15iterator_traitsISJ_E10value_typeEPNSP_ISK_E10value_typeEPSL_NS1_7vsmem_tEENKUlT_SJ_SK_SL_E_clIPmSE_SF_SF_EESI_SY_SJ_SK_SL_EUlSY_E1_NS1_11comp_targetILNS1_3genE3ELNS1_11target_archE908ELNS1_3gpuE7ELNS1_3repE0EEENS1_36merge_oddeven_config_static_selectorELNS0_4arch9wavefront6targetE1EEEvSK_,"axG",@progbits,_ZN7rocprim17ROCPRIM_400000_NS6detail17trampoline_kernelINS0_14default_configENS1_38merge_sort_block_merge_config_selectorImNS0_10empty_typeEEEZZNS1_27merge_sort_block_merge_implIS3_N6thrust23THRUST_200600_302600_NS6detail15normal_iteratorINS9_10device_ptrImEEEEPS5_m14custom_greaterImEEE10hipError_tT0_T1_T2_jT3_P12ihipStream_tbPNSt15iterator_traitsISJ_E10value_typeEPNSP_ISK_E10value_typeEPSL_NS1_7vsmem_tEENKUlT_SJ_SK_SL_E_clIPmSE_SF_SF_EESI_SY_SJ_SK_SL_EUlSY_E1_NS1_11comp_targetILNS1_3genE3ELNS1_11target_archE908ELNS1_3gpuE7ELNS1_3repE0EEENS1_36merge_oddeven_config_static_selectorELNS0_4arch9wavefront6targetE1EEEvSK_,comdat
.Lfunc_end3333:
	.size	_ZN7rocprim17ROCPRIM_400000_NS6detail17trampoline_kernelINS0_14default_configENS1_38merge_sort_block_merge_config_selectorImNS0_10empty_typeEEEZZNS1_27merge_sort_block_merge_implIS3_N6thrust23THRUST_200600_302600_NS6detail15normal_iteratorINS9_10device_ptrImEEEEPS5_m14custom_greaterImEEE10hipError_tT0_T1_T2_jT3_P12ihipStream_tbPNSt15iterator_traitsISJ_E10value_typeEPNSP_ISK_E10value_typeEPSL_NS1_7vsmem_tEENKUlT_SJ_SK_SL_E_clIPmSE_SF_SF_EESI_SY_SJ_SK_SL_EUlSY_E1_NS1_11comp_targetILNS1_3genE3ELNS1_11target_archE908ELNS1_3gpuE7ELNS1_3repE0EEENS1_36merge_oddeven_config_static_selectorELNS0_4arch9wavefront6targetE1EEEvSK_, .Lfunc_end3333-_ZN7rocprim17ROCPRIM_400000_NS6detail17trampoline_kernelINS0_14default_configENS1_38merge_sort_block_merge_config_selectorImNS0_10empty_typeEEEZZNS1_27merge_sort_block_merge_implIS3_N6thrust23THRUST_200600_302600_NS6detail15normal_iteratorINS9_10device_ptrImEEEEPS5_m14custom_greaterImEEE10hipError_tT0_T1_T2_jT3_P12ihipStream_tbPNSt15iterator_traitsISJ_E10value_typeEPNSP_ISK_E10value_typeEPSL_NS1_7vsmem_tEENKUlT_SJ_SK_SL_E_clIPmSE_SF_SF_EESI_SY_SJ_SK_SL_EUlSY_E1_NS1_11comp_targetILNS1_3genE3ELNS1_11target_archE908ELNS1_3gpuE7ELNS1_3repE0EEENS1_36merge_oddeven_config_static_selectorELNS0_4arch9wavefront6targetE1EEEvSK_
                                        ; -- End function
	.section	.AMDGPU.csdata,"",@progbits
; Kernel info:
; codeLenInByte = 0
; NumSgprs: 4
; NumVgprs: 0
; NumAgprs: 0
; TotalNumVgprs: 0
; ScratchSize: 0
; MemoryBound: 0
; FloatMode: 240
; IeeeMode: 1
; LDSByteSize: 0 bytes/workgroup (compile time only)
; SGPRBlocks: 0
; VGPRBlocks: 0
; NumSGPRsForWavesPerEU: 4
; NumVGPRsForWavesPerEU: 1
; AccumOffset: 4
; Occupancy: 8
; WaveLimiterHint : 0
; COMPUTE_PGM_RSRC2:SCRATCH_EN: 0
; COMPUTE_PGM_RSRC2:USER_SGPR: 6
; COMPUTE_PGM_RSRC2:TRAP_HANDLER: 0
; COMPUTE_PGM_RSRC2:TGID_X_EN: 1
; COMPUTE_PGM_RSRC2:TGID_Y_EN: 0
; COMPUTE_PGM_RSRC2:TGID_Z_EN: 0
; COMPUTE_PGM_RSRC2:TIDIG_COMP_CNT: 0
; COMPUTE_PGM_RSRC3_GFX90A:ACCUM_OFFSET: 0
; COMPUTE_PGM_RSRC3_GFX90A:TG_SPLIT: 0
	.section	.text._ZN7rocprim17ROCPRIM_400000_NS6detail17trampoline_kernelINS0_14default_configENS1_38merge_sort_block_merge_config_selectorImNS0_10empty_typeEEEZZNS1_27merge_sort_block_merge_implIS3_N6thrust23THRUST_200600_302600_NS6detail15normal_iteratorINS9_10device_ptrImEEEEPS5_m14custom_greaterImEEE10hipError_tT0_T1_T2_jT3_P12ihipStream_tbPNSt15iterator_traitsISJ_E10value_typeEPNSP_ISK_E10value_typeEPSL_NS1_7vsmem_tEENKUlT_SJ_SK_SL_E_clIPmSE_SF_SF_EESI_SY_SJ_SK_SL_EUlSY_E1_NS1_11comp_targetILNS1_3genE2ELNS1_11target_archE906ELNS1_3gpuE6ELNS1_3repE0EEENS1_36merge_oddeven_config_static_selectorELNS0_4arch9wavefront6targetE1EEEvSK_,"axG",@progbits,_ZN7rocprim17ROCPRIM_400000_NS6detail17trampoline_kernelINS0_14default_configENS1_38merge_sort_block_merge_config_selectorImNS0_10empty_typeEEEZZNS1_27merge_sort_block_merge_implIS3_N6thrust23THRUST_200600_302600_NS6detail15normal_iteratorINS9_10device_ptrImEEEEPS5_m14custom_greaterImEEE10hipError_tT0_T1_T2_jT3_P12ihipStream_tbPNSt15iterator_traitsISJ_E10value_typeEPNSP_ISK_E10value_typeEPSL_NS1_7vsmem_tEENKUlT_SJ_SK_SL_E_clIPmSE_SF_SF_EESI_SY_SJ_SK_SL_EUlSY_E1_NS1_11comp_targetILNS1_3genE2ELNS1_11target_archE906ELNS1_3gpuE6ELNS1_3repE0EEENS1_36merge_oddeven_config_static_selectorELNS0_4arch9wavefront6targetE1EEEvSK_,comdat
	.protected	_ZN7rocprim17ROCPRIM_400000_NS6detail17trampoline_kernelINS0_14default_configENS1_38merge_sort_block_merge_config_selectorImNS0_10empty_typeEEEZZNS1_27merge_sort_block_merge_implIS3_N6thrust23THRUST_200600_302600_NS6detail15normal_iteratorINS9_10device_ptrImEEEEPS5_m14custom_greaterImEEE10hipError_tT0_T1_T2_jT3_P12ihipStream_tbPNSt15iterator_traitsISJ_E10value_typeEPNSP_ISK_E10value_typeEPSL_NS1_7vsmem_tEENKUlT_SJ_SK_SL_E_clIPmSE_SF_SF_EESI_SY_SJ_SK_SL_EUlSY_E1_NS1_11comp_targetILNS1_3genE2ELNS1_11target_archE906ELNS1_3gpuE6ELNS1_3repE0EEENS1_36merge_oddeven_config_static_selectorELNS0_4arch9wavefront6targetE1EEEvSK_ ; -- Begin function _ZN7rocprim17ROCPRIM_400000_NS6detail17trampoline_kernelINS0_14default_configENS1_38merge_sort_block_merge_config_selectorImNS0_10empty_typeEEEZZNS1_27merge_sort_block_merge_implIS3_N6thrust23THRUST_200600_302600_NS6detail15normal_iteratorINS9_10device_ptrImEEEEPS5_m14custom_greaterImEEE10hipError_tT0_T1_T2_jT3_P12ihipStream_tbPNSt15iterator_traitsISJ_E10value_typeEPNSP_ISK_E10value_typeEPSL_NS1_7vsmem_tEENKUlT_SJ_SK_SL_E_clIPmSE_SF_SF_EESI_SY_SJ_SK_SL_EUlSY_E1_NS1_11comp_targetILNS1_3genE2ELNS1_11target_archE906ELNS1_3gpuE6ELNS1_3repE0EEENS1_36merge_oddeven_config_static_selectorELNS0_4arch9wavefront6targetE1EEEvSK_
	.globl	_ZN7rocprim17ROCPRIM_400000_NS6detail17trampoline_kernelINS0_14default_configENS1_38merge_sort_block_merge_config_selectorImNS0_10empty_typeEEEZZNS1_27merge_sort_block_merge_implIS3_N6thrust23THRUST_200600_302600_NS6detail15normal_iteratorINS9_10device_ptrImEEEEPS5_m14custom_greaterImEEE10hipError_tT0_T1_T2_jT3_P12ihipStream_tbPNSt15iterator_traitsISJ_E10value_typeEPNSP_ISK_E10value_typeEPSL_NS1_7vsmem_tEENKUlT_SJ_SK_SL_E_clIPmSE_SF_SF_EESI_SY_SJ_SK_SL_EUlSY_E1_NS1_11comp_targetILNS1_3genE2ELNS1_11target_archE906ELNS1_3gpuE6ELNS1_3repE0EEENS1_36merge_oddeven_config_static_selectorELNS0_4arch9wavefront6targetE1EEEvSK_
	.p2align	8
	.type	_ZN7rocprim17ROCPRIM_400000_NS6detail17trampoline_kernelINS0_14default_configENS1_38merge_sort_block_merge_config_selectorImNS0_10empty_typeEEEZZNS1_27merge_sort_block_merge_implIS3_N6thrust23THRUST_200600_302600_NS6detail15normal_iteratorINS9_10device_ptrImEEEEPS5_m14custom_greaterImEEE10hipError_tT0_T1_T2_jT3_P12ihipStream_tbPNSt15iterator_traitsISJ_E10value_typeEPNSP_ISK_E10value_typeEPSL_NS1_7vsmem_tEENKUlT_SJ_SK_SL_E_clIPmSE_SF_SF_EESI_SY_SJ_SK_SL_EUlSY_E1_NS1_11comp_targetILNS1_3genE2ELNS1_11target_archE906ELNS1_3gpuE6ELNS1_3repE0EEENS1_36merge_oddeven_config_static_selectorELNS0_4arch9wavefront6targetE1EEEvSK_,@function
_ZN7rocprim17ROCPRIM_400000_NS6detail17trampoline_kernelINS0_14default_configENS1_38merge_sort_block_merge_config_selectorImNS0_10empty_typeEEEZZNS1_27merge_sort_block_merge_implIS3_N6thrust23THRUST_200600_302600_NS6detail15normal_iteratorINS9_10device_ptrImEEEEPS5_m14custom_greaterImEEE10hipError_tT0_T1_T2_jT3_P12ihipStream_tbPNSt15iterator_traitsISJ_E10value_typeEPNSP_ISK_E10value_typeEPSL_NS1_7vsmem_tEENKUlT_SJ_SK_SL_E_clIPmSE_SF_SF_EESI_SY_SJ_SK_SL_EUlSY_E1_NS1_11comp_targetILNS1_3genE2ELNS1_11target_archE906ELNS1_3gpuE6ELNS1_3repE0EEENS1_36merge_oddeven_config_static_selectorELNS0_4arch9wavefront6targetE1EEEvSK_: ; @_ZN7rocprim17ROCPRIM_400000_NS6detail17trampoline_kernelINS0_14default_configENS1_38merge_sort_block_merge_config_selectorImNS0_10empty_typeEEEZZNS1_27merge_sort_block_merge_implIS3_N6thrust23THRUST_200600_302600_NS6detail15normal_iteratorINS9_10device_ptrImEEEEPS5_m14custom_greaterImEEE10hipError_tT0_T1_T2_jT3_P12ihipStream_tbPNSt15iterator_traitsISJ_E10value_typeEPNSP_ISK_E10value_typeEPSL_NS1_7vsmem_tEENKUlT_SJ_SK_SL_E_clIPmSE_SF_SF_EESI_SY_SJ_SK_SL_EUlSY_E1_NS1_11comp_targetILNS1_3genE2ELNS1_11target_archE906ELNS1_3gpuE6ELNS1_3repE0EEENS1_36merge_oddeven_config_static_selectorELNS0_4arch9wavefront6targetE1EEEvSK_
; %bb.0:
	.section	.rodata,"a",@progbits
	.p2align	6, 0x0
	.amdhsa_kernel _ZN7rocprim17ROCPRIM_400000_NS6detail17trampoline_kernelINS0_14default_configENS1_38merge_sort_block_merge_config_selectorImNS0_10empty_typeEEEZZNS1_27merge_sort_block_merge_implIS3_N6thrust23THRUST_200600_302600_NS6detail15normal_iteratorINS9_10device_ptrImEEEEPS5_m14custom_greaterImEEE10hipError_tT0_T1_T2_jT3_P12ihipStream_tbPNSt15iterator_traitsISJ_E10value_typeEPNSP_ISK_E10value_typeEPSL_NS1_7vsmem_tEENKUlT_SJ_SK_SL_E_clIPmSE_SF_SF_EESI_SY_SJ_SK_SL_EUlSY_E1_NS1_11comp_targetILNS1_3genE2ELNS1_11target_archE906ELNS1_3gpuE6ELNS1_3repE0EEENS1_36merge_oddeven_config_static_selectorELNS0_4arch9wavefront6targetE1EEEvSK_
		.amdhsa_group_segment_fixed_size 0
		.amdhsa_private_segment_fixed_size 0
		.amdhsa_kernarg_size 56
		.amdhsa_user_sgpr_count 6
		.amdhsa_user_sgpr_private_segment_buffer 1
		.amdhsa_user_sgpr_dispatch_ptr 0
		.amdhsa_user_sgpr_queue_ptr 0
		.amdhsa_user_sgpr_kernarg_segment_ptr 1
		.amdhsa_user_sgpr_dispatch_id 0
		.amdhsa_user_sgpr_flat_scratch_init 0
		.amdhsa_user_sgpr_kernarg_preload_length 0
		.amdhsa_user_sgpr_kernarg_preload_offset 0
		.amdhsa_user_sgpr_private_segment_size 0
		.amdhsa_uses_dynamic_stack 0
		.amdhsa_system_sgpr_private_segment_wavefront_offset 0
		.amdhsa_system_sgpr_workgroup_id_x 1
		.amdhsa_system_sgpr_workgroup_id_y 0
		.amdhsa_system_sgpr_workgroup_id_z 0
		.amdhsa_system_sgpr_workgroup_info 0
		.amdhsa_system_vgpr_workitem_id 0
		.amdhsa_next_free_vgpr 1
		.amdhsa_next_free_sgpr 0
		.amdhsa_accum_offset 4
		.amdhsa_reserve_vcc 0
		.amdhsa_reserve_flat_scratch 0
		.amdhsa_float_round_mode_32 0
		.amdhsa_float_round_mode_16_64 0
		.amdhsa_float_denorm_mode_32 3
		.amdhsa_float_denorm_mode_16_64 3
		.amdhsa_dx10_clamp 1
		.amdhsa_ieee_mode 1
		.amdhsa_fp16_overflow 0
		.amdhsa_tg_split 0
		.amdhsa_exception_fp_ieee_invalid_op 0
		.amdhsa_exception_fp_denorm_src 0
		.amdhsa_exception_fp_ieee_div_zero 0
		.amdhsa_exception_fp_ieee_overflow 0
		.amdhsa_exception_fp_ieee_underflow 0
		.amdhsa_exception_fp_ieee_inexact 0
		.amdhsa_exception_int_div_zero 0
	.end_amdhsa_kernel
	.section	.text._ZN7rocprim17ROCPRIM_400000_NS6detail17trampoline_kernelINS0_14default_configENS1_38merge_sort_block_merge_config_selectorImNS0_10empty_typeEEEZZNS1_27merge_sort_block_merge_implIS3_N6thrust23THRUST_200600_302600_NS6detail15normal_iteratorINS9_10device_ptrImEEEEPS5_m14custom_greaterImEEE10hipError_tT0_T1_T2_jT3_P12ihipStream_tbPNSt15iterator_traitsISJ_E10value_typeEPNSP_ISK_E10value_typeEPSL_NS1_7vsmem_tEENKUlT_SJ_SK_SL_E_clIPmSE_SF_SF_EESI_SY_SJ_SK_SL_EUlSY_E1_NS1_11comp_targetILNS1_3genE2ELNS1_11target_archE906ELNS1_3gpuE6ELNS1_3repE0EEENS1_36merge_oddeven_config_static_selectorELNS0_4arch9wavefront6targetE1EEEvSK_,"axG",@progbits,_ZN7rocprim17ROCPRIM_400000_NS6detail17trampoline_kernelINS0_14default_configENS1_38merge_sort_block_merge_config_selectorImNS0_10empty_typeEEEZZNS1_27merge_sort_block_merge_implIS3_N6thrust23THRUST_200600_302600_NS6detail15normal_iteratorINS9_10device_ptrImEEEEPS5_m14custom_greaterImEEE10hipError_tT0_T1_T2_jT3_P12ihipStream_tbPNSt15iterator_traitsISJ_E10value_typeEPNSP_ISK_E10value_typeEPSL_NS1_7vsmem_tEENKUlT_SJ_SK_SL_E_clIPmSE_SF_SF_EESI_SY_SJ_SK_SL_EUlSY_E1_NS1_11comp_targetILNS1_3genE2ELNS1_11target_archE906ELNS1_3gpuE6ELNS1_3repE0EEENS1_36merge_oddeven_config_static_selectorELNS0_4arch9wavefront6targetE1EEEvSK_,comdat
.Lfunc_end3334:
	.size	_ZN7rocprim17ROCPRIM_400000_NS6detail17trampoline_kernelINS0_14default_configENS1_38merge_sort_block_merge_config_selectorImNS0_10empty_typeEEEZZNS1_27merge_sort_block_merge_implIS3_N6thrust23THRUST_200600_302600_NS6detail15normal_iteratorINS9_10device_ptrImEEEEPS5_m14custom_greaterImEEE10hipError_tT0_T1_T2_jT3_P12ihipStream_tbPNSt15iterator_traitsISJ_E10value_typeEPNSP_ISK_E10value_typeEPSL_NS1_7vsmem_tEENKUlT_SJ_SK_SL_E_clIPmSE_SF_SF_EESI_SY_SJ_SK_SL_EUlSY_E1_NS1_11comp_targetILNS1_3genE2ELNS1_11target_archE906ELNS1_3gpuE6ELNS1_3repE0EEENS1_36merge_oddeven_config_static_selectorELNS0_4arch9wavefront6targetE1EEEvSK_, .Lfunc_end3334-_ZN7rocprim17ROCPRIM_400000_NS6detail17trampoline_kernelINS0_14default_configENS1_38merge_sort_block_merge_config_selectorImNS0_10empty_typeEEEZZNS1_27merge_sort_block_merge_implIS3_N6thrust23THRUST_200600_302600_NS6detail15normal_iteratorINS9_10device_ptrImEEEEPS5_m14custom_greaterImEEE10hipError_tT0_T1_T2_jT3_P12ihipStream_tbPNSt15iterator_traitsISJ_E10value_typeEPNSP_ISK_E10value_typeEPSL_NS1_7vsmem_tEENKUlT_SJ_SK_SL_E_clIPmSE_SF_SF_EESI_SY_SJ_SK_SL_EUlSY_E1_NS1_11comp_targetILNS1_3genE2ELNS1_11target_archE906ELNS1_3gpuE6ELNS1_3repE0EEENS1_36merge_oddeven_config_static_selectorELNS0_4arch9wavefront6targetE1EEEvSK_
                                        ; -- End function
	.section	.AMDGPU.csdata,"",@progbits
; Kernel info:
; codeLenInByte = 0
; NumSgprs: 4
; NumVgprs: 0
; NumAgprs: 0
; TotalNumVgprs: 0
; ScratchSize: 0
; MemoryBound: 0
; FloatMode: 240
; IeeeMode: 1
; LDSByteSize: 0 bytes/workgroup (compile time only)
; SGPRBlocks: 0
; VGPRBlocks: 0
; NumSGPRsForWavesPerEU: 4
; NumVGPRsForWavesPerEU: 1
; AccumOffset: 4
; Occupancy: 8
; WaveLimiterHint : 0
; COMPUTE_PGM_RSRC2:SCRATCH_EN: 0
; COMPUTE_PGM_RSRC2:USER_SGPR: 6
; COMPUTE_PGM_RSRC2:TRAP_HANDLER: 0
; COMPUTE_PGM_RSRC2:TGID_X_EN: 1
; COMPUTE_PGM_RSRC2:TGID_Y_EN: 0
; COMPUTE_PGM_RSRC2:TGID_Z_EN: 0
; COMPUTE_PGM_RSRC2:TIDIG_COMP_CNT: 0
; COMPUTE_PGM_RSRC3_GFX90A:ACCUM_OFFSET: 0
; COMPUTE_PGM_RSRC3_GFX90A:TG_SPLIT: 0
	.section	.text._ZN7rocprim17ROCPRIM_400000_NS6detail17trampoline_kernelINS0_14default_configENS1_38merge_sort_block_merge_config_selectorImNS0_10empty_typeEEEZZNS1_27merge_sort_block_merge_implIS3_N6thrust23THRUST_200600_302600_NS6detail15normal_iteratorINS9_10device_ptrImEEEEPS5_m14custom_greaterImEEE10hipError_tT0_T1_T2_jT3_P12ihipStream_tbPNSt15iterator_traitsISJ_E10value_typeEPNSP_ISK_E10value_typeEPSL_NS1_7vsmem_tEENKUlT_SJ_SK_SL_E_clIPmSE_SF_SF_EESI_SY_SJ_SK_SL_EUlSY_E1_NS1_11comp_targetILNS1_3genE9ELNS1_11target_archE1100ELNS1_3gpuE3ELNS1_3repE0EEENS1_36merge_oddeven_config_static_selectorELNS0_4arch9wavefront6targetE1EEEvSK_,"axG",@progbits,_ZN7rocprim17ROCPRIM_400000_NS6detail17trampoline_kernelINS0_14default_configENS1_38merge_sort_block_merge_config_selectorImNS0_10empty_typeEEEZZNS1_27merge_sort_block_merge_implIS3_N6thrust23THRUST_200600_302600_NS6detail15normal_iteratorINS9_10device_ptrImEEEEPS5_m14custom_greaterImEEE10hipError_tT0_T1_T2_jT3_P12ihipStream_tbPNSt15iterator_traitsISJ_E10value_typeEPNSP_ISK_E10value_typeEPSL_NS1_7vsmem_tEENKUlT_SJ_SK_SL_E_clIPmSE_SF_SF_EESI_SY_SJ_SK_SL_EUlSY_E1_NS1_11comp_targetILNS1_3genE9ELNS1_11target_archE1100ELNS1_3gpuE3ELNS1_3repE0EEENS1_36merge_oddeven_config_static_selectorELNS0_4arch9wavefront6targetE1EEEvSK_,comdat
	.protected	_ZN7rocprim17ROCPRIM_400000_NS6detail17trampoline_kernelINS0_14default_configENS1_38merge_sort_block_merge_config_selectorImNS0_10empty_typeEEEZZNS1_27merge_sort_block_merge_implIS3_N6thrust23THRUST_200600_302600_NS6detail15normal_iteratorINS9_10device_ptrImEEEEPS5_m14custom_greaterImEEE10hipError_tT0_T1_T2_jT3_P12ihipStream_tbPNSt15iterator_traitsISJ_E10value_typeEPNSP_ISK_E10value_typeEPSL_NS1_7vsmem_tEENKUlT_SJ_SK_SL_E_clIPmSE_SF_SF_EESI_SY_SJ_SK_SL_EUlSY_E1_NS1_11comp_targetILNS1_3genE9ELNS1_11target_archE1100ELNS1_3gpuE3ELNS1_3repE0EEENS1_36merge_oddeven_config_static_selectorELNS0_4arch9wavefront6targetE1EEEvSK_ ; -- Begin function _ZN7rocprim17ROCPRIM_400000_NS6detail17trampoline_kernelINS0_14default_configENS1_38merge_sort_block_merge_config_selectorImNS0_10empty_typeEEEZZNS1_27merge_sort_block_merge_implIS3_N6thrust23THRUST_200600_302600_NS6detail15normal_iteratorINS9_10device_ptrImEEEEPS5_m14custom_greaterImEEE10hipError_tT0_T1_T2_jT3_P12ihipStream_tbPNSt15iterator_traitsISJ_E10value_typeEPNSP_ISK_E10value_typeEPSL_NS1_7vsmem_tEENKUlT_SJ_SK_SL_E_clIPmSE_SF_SF_EESI_SY_SJ_SK_SL_EUlSY_E1_NS1_11comp_targetILNS1_3genE9ELNS1_11target_archE1100ELNS1_3gpuE3ELNS1_3repE0EEENS1_36merge_oddeven_config_static_selectorELNS0_4arch9wavefront6targetE1EEEvSK_
	.globl	_ZN7rocprim17ROCPRIM_400000_NS6detail17trampoline_kernelINS0_14default_configENS1_38merge_sort_block_merge_config_selectorImNS0_10empty_typeEEEZZNS1_27merge_sort_block_merge_implIS3_N6thrust23THRUST_200600_302600_NS6detail15normal_iteratorINS9_10device_ptrImEEEEPS5_m14custom_greaterImEEE10hipError_tT0_T1_T2_jT3_P12ihipStream_tbPNSt15iterator_traitsISJ_E10value_typeEPNSP_ISK_E10value_typeEPSL_NS1_7vsmem_tEENKUlT_SJ_SK_SL_E_clIPmSE_SF_SF_EESI_SY_SJ_SK_SL_EUlSY_E1_NS1_11comp_targetILNS1_3genE9ELNS1_11target_archE1100ELNS1_3gpuE3ELNS1_3repE0EEENS1_36merge_oddeven_config_static_selectorELNS0_4arch9wavefront6targetE1EEEvSK_
	.p2align	8
	.type	_ZN7rocprim17ROCPRIM_400000_NS6detail17trampoline_kernelINS0_14default_configENS1_38merge_sort_block_merge_config_selectorImNS0_10empty_typeEEEZZNS1_27merge_sort_block_merge_implIS3_N6thrust23THRUST_200600_302600_NS6detail15normal_iteratorINS9_10device_ptrImEEEEPS5_m14custom_greaterImEEE10hipError_tT0_T1_T2_jT3_P12ihipStream_tbPNSt15iterator_traitsISJ_E10value_typeEPNSP_ISK_E10value_typeEPSL_NS1_7vsmem_tEENKUlT_SJ_SK_SL_E_clIPmSE_SF_SF_EESI_SY_SJ_SK_SL_EUlSY_E1_NS1_11comp_targetILNS1_3genE9ELNS1_11target_archE1100ELNS1_3gpuE3ELNS1_3repE0EEENS1_36merge_oddeven_config_static_selectorELNS0_4arch9wavefront6targetE1EEEvSK_,@function
_ZN7rocprim17ROCPRIM_400000_NS6detail17trampoline_kernelINS0_14default_configENS1_38merge_sort_block_merge_config_selectorImNS0_10empty_typeEEEZZNS1_27merge_sort_block_merge_implIS3_N6thrust23THRUST_200600_302600_NS6detail15normal_iteratorINS9_10device_ptrImEEEEPS5_m14custom_greaterImEEE10hipError_tT0_T1_T2_jT3_P12ihipStream_tbPNSt15iterator_traitsISJ_E10value_typeEPNSP_ISK_E10value_typeEPSL_NS1_7vsmem_tEENKUlT_SJ_SK_SL_E_clIPmSE_SF_SF_EESI_SY_SJ_SK_SL_EUlSY_E1_NS1_11comp_targetILNS1_3genE9ELNS1_11target_archE1100ELNS1_3gpuE3ELNS1_3repE0EEENS1_36merge_oddeven_config_static_selectorELNS0_4arch9wavefront6targetE1EEEvSK_: ; @_ZN7rocprim17ROCPRIM_400000_NS6detail17trampoline_kernelINS0_14default_configENS1_38merge_sort_block_merge_config_selectorImNS0_10empty_typeEEEZZNS1_27merge_sort_block_merge_implIS3_N6thrust23THRUST_200600_302600_NS6detail15normal_iteratorINS9_10device_ptrImEEEEPS5_m14custom_greaterImEEE10hipError_tT0_T1_T2_jT3_P12ihipStream_tbPNSt15iterator_traitsISJ_E10value_typeEPNSP_ISK_E10value_typeEPSL_NS1_7vsmem_tEENKUlT_SJ_SK_SL_E_clIPmSE_SF_SF_EESI_SY_SJ_SK_SL_EUlSY_E1_NS1_11comp_targetILNS1_3genE9ELNS1_11target_archE1100ELNS1_3gpuE3ELNS1_3repE0EEENS1_36merge_oddeven_config_static_selectorELNS0_4arch9wavefront6targetE1EEEvSK_
; %bb.0:
	.section	.rodata,"a",@progbits
	.p2align	6, 0x0
	.amdhsa_kernel _ZN7rocprim17ROCPRIM_400000_NS6detail17trampoline_kernelINS0_14default_configENS1_38merge_sort_block_merge_config_selectorImNS0_10empty_typeEEEZZNS1_27merge_sort_block_merge_implIS3_N6thrust23THRUST_200600_302600_NS6detail15normal_iteratorINS9_10device_ptrImEEEEPS5_m14custom_greaterImEEE10hipError_tT0_T1_T2_jT3_P12ihipStream_tbPNSt15iterator_traitsISJ_E10value_typeEPNSP_ISK_E10value_typeEPSL_NS1_7vsmem_tEENKUlT_SJ_SK_SL_E_clIPmSE_SF_SF_EESI_SY_SJ_SK_SL_EUlSY_E1_NS1_11comp_targetILNS1_3genE9ELNS1_11target_archE1100ELNS1_3gpuE3ELNS1_3repE0EEENS1_36merge_oddeven_config_static_selectorELNS0_4arch9wavefront6targetE1EEEvSK_
		.amdhsa_group_segment_fixed_size 0
		.amdhsa_private_segment_fixed_size 0
		.amdhsa_kernarg_size 56
		.amdhsa_user_sgpr_count 6
		.amdhsa_user_sgpr_private_segment_buffer 1
		.amdhsa_user_sgpr_dispatch_ptr 0
		.amdhsa_user_sgpr_queue_ptr 0
		.amdhsa_user_sgpr_kernarg_segment_ptr 1
		.amdhsa_user_sgpr_dispatch_id 0
		.amdhsa_user_sgpr_flat_scratch_init 0
		.amdhsa_user_sgpr_kernarg_preload_length 0
		.amdhsa_user_sgpr_kernarg_preload_offset 0
		.amdhsa_user_sgpr_private_segment_size 0
		.amdhsa_uses_dynamic_stack 0
		.amdhsa_system_sgpr_private_segment_wavefront_offset 0
		.amdhsa_system_sgpr_workgroup_id_x 1
		.amdhsa_system_sgpr_workgroup_id_y 0
		.amdhsa_system_sgpr_workgroup_id_z 0
		.amdhsa_system_sgpr_workgroup_info 0
		.amdhsa_system_vgpr_workitem_id 0
		.amdhsa_next_free_vgpr 1
		.amdhsa_next_free_sgpr 0
		.amdhsa_accum_offset 4
		.amdhsa_reserve_vcc 0
		.amdhsa_reserve_flat_scratch 0
		.amdhsa_float_round_mode_32 0
		.amdhsa_float_round_mode_16_64 0
		.amdhsa_float_denorm_mode_32 3
		.amdhsa_float_denorm_mode_16_64 3
		.amdhsa_dx10_clamp 1
		.amdhsa_ieee_mode 1
		.amdhsa_fp16_overflow 0
		.amdhsa_tg_split 0
		.amdhsa_exception_fp_ieee_invalid_op 0
		.amdhsa_exception_fp_denorm_src 0
		.amdhsa_exception_fp_ieee_div_zero 0
		.amdhsa_exception_fp_ieee_overflow 0
		.amdhsa_exception_fp_ieee_underflow 0
		.amdhsa_exception_fp_ieee_inexact 0
		.amdhsa_exception_int_div_zero 0
	.end_amdhsa_kernel
	.section	.text._ZN7rocprim17ROCPRIM_400000_NS6detail17trampoline_kernelINS0_14default_configENS1_38merge_sort_block_merge_config_selectorImNS0_10empty_typeEEEZZNS1_27merge_sort_block_merge_implIS3_N6thrust23THRUST_200600_302600_NS6detail15normal_iteratorINS9_10device_ptrImEEEEPS5_m14custom_greaterImEEE10hipError_tT0_T1_T2_jT3_P12ihipStream_tbPNSt15iterator_traitsISJ_E10value_typeEPNSP_ISK_E10value_typeEPSL_NS1_7vsmem_tEENKUlT_SJ_SK_SL_E_clIPmSE_SF_SF_EESI_SY_SJ_SK_SL_EUlSY_E1_NS1_11comp_targetILNS1_3genE9ELNS1_11target_archE1100ELNS1_3gpuE3ELNS1_3repE0EEENS1_36merge_oddeven_config_static_selectorELNS0_4arch9wavefront6targetE1EEEvSK_,"axG",@progbits,_ZN7rocprim17ROCPRIM_400000_NS6detail17trampoline_kernelINS0_14default_configENS1_38merge_sort_block_merge_config_selectorImNS0_10empty_typeEEEZZNS1_27merge_sort_block_merge_implIS3_N6thrust23THRUST_200600_302600_NS6detail15normal_iteratorINS9_10device_ptrImEEEEPS5_m14custom_greaterImEEE10hipError_tT0_T1_T2_jT3_P12ihipStream_tbPNSt15iterator_traitsISJ_E10value_typeEPNSP_ISK_E10value_typeEPSL_NS1_7vsmem_tEENKUlT_SJ_SK_SL_E_clIPmSE_SF_SF_EESI_SY_SJ_SK_SL_EUlSY_E1_NS1_11comp_targetILNS1_3genE9ELNS1_11target_archE1100ELNS1_3gpuE3ELNS1_3repE0EEENS1_36merge_oddeven_config_static_selectorELNS0_4arch9wavefront6targetE1EEEvSK_,comdat
.Lfunc_end3335:
	.size	_ZN7rocprim17ROCPRIM_400000_NS6detail17trampoline_kernelINS0_14default_configENS1_38merge_sort_block_merge_config_selectorImNS0_10empty_typeEEEZZNS1_27merge_sort_block_merge_implIS3_N6thrust23THRUST_200600_302600_NS6detail15normal_iteratorINS9_10device_ptrImEEEEPS5_m14custom_greaterImEEE10hipError_tT0_T1_T2_jT3_P12ihipStream_tbPNSt15iterator_traitsISJ_E10value_typeEPNSP_ISK_E10value_typeEPSL_NS1_7vsmem_tEENKUlT_SJ_SK_SL_E_clIPmSE_SF_SF_EESI_SY_SJ_SK_SL_EUlSY_E1_NS1_11comp_targetILNS1_3genE9ELNS1_11target_archE1100ELNS1_3gpuE3ELNS1_3repE0EEENS1_36merge_oddeven_config_static_selectorELNS0_4arch9wavefront6targetE1EEEvSK_, .Lfunc_end3335-_ZN7rocprim17ROCPRIM_400000_NS6detail17trampoline_kernelINS0_14default_configENS1_38merge_sort_block_merge_config_selectorImNS0_10empty_typeEEEZZNS1_27merge_sort_block_merge_implIS3_N6thrust23THRUST_200600_302600_NS6detail15normal_iteratorINS9_10device_ptrImEEEEPS5_m14custom_greaterImEEE10hipError_tT0_T1_T2_jT3_P12ihipStream_tbPNSt15iterator_traitsISJ_E10value_typeEPNSP_ISK_E10value_typeEPSL_NS1_7vsmem_tEENKUlT_SJ_SK_SL_E_clIPmSE_SF_SF_EESI_SY_SJ_SK_SL_EUlSY_E1_NS1_11comp_targetILNS1_3genE9ELNS1_11target_archE1100ELNS1_3gpuE3ELNS1_3repE0EEENS1_36merge_oddeven_config_static_selectorELNS0_4arch9wavefront6targetE1EEEvSK_
                                        ; -- End function
	.section	.AMDGPU.csdata,"",@progbits
; Kernel info:
; codeLenInByte = 0
; NumSgprs: 4
; NumVgprs: 0
; NumAgprs: 0
; TotalNumVgprs: 0
; ScratchSize: 0
; MemoryBound: 0
; FloatMode: 240
; IeeeMode: 1
; LDSByteSize: 0 bytes/workgroup (compile time only)
; SGPRBlocks: 0
; VGPRBlocks: 0
; NumSGPRsForWavesPerEU: 4
; NumVGPRsForWavesPerEU: 1
; AccumOffset: 4
; Occupancy: 8
; WaveLimiterHint : 0
; COMPUTE_PGM_RSRC2:SCRATCH_EN: 0
; COMPUTE_PGM_RSRC2:USER_SGPR: 6
; COMPUTE_PGM_RSRC2:TRAP_HANDLER: 0
; COMPUTE_PGM_RSRC2:TGID_X_EN: 1
; COMPUTE_PGM_RSRC2:TGID_Y_EN: 0
; COMPUTE_PGM_RSRC2:TGID_Z_EN: 0
; COMPUTE_PGM_RSRC2:TIDIG_COMP_CNT: 0
; COMPUTE_PGM_RSRC3_GFX90A:ACCUM_OFFSET: 0
; COMPUTE_PGM_RSRC3_GFX90A:TG_SPLIT: 0
	.section	.text._ZN7rocprim17ROCPRIM_400000_NS6detail17trampoline_kernelINS0_14default_configENS1_38merge_sort_block_merge_config_selectorImNS0_10empty_typeEEEZZNS1_27merge_sort_block_merge_implIS3_N6thrust23THRUST_200600_302600_NS6detail15normal_iteratorINS9_10device_ptrImEEEEPS5_m14custom_greaterImEEE10hipError_tT0_T1_T2_jT3_P12ihipStream_tbPNSt15iterator_traitsISJ_E10value_typeEPNSP_ISK_E10value_typeEPSL_NS1_7vsmem_tEENKUlT_SJ_SK_SL_E_clIPmSE_SF_SF_EESI_SY_SJ_SK_SL_EUlSY_E1_NS1_11comp_targetILNS1_3genE8ELNS1_11target_archE1030ELNS1_3gpuE2ELNS1_3repE0EEENS1_36merge_oddeven_config_static_selectorELNS0_4arch9wavefront6targetE1EEEvSK_,"axG",@progbits,_ZN7rocprim17ROCPRIM_400000_NS6detail17trampoline_kernelINS0_14default_configENS1_38merge_sort_block_merge_config_selectorImNS0_10empty_typeEEEZZNS1_27merge_sort_block_merge_implIS3_N6thrust23THRUST_200600_302600_NS6detail15normal_iteratorINS9_10device_ptrImEEEEPS5_m14custom_greaterImEEE10hipError_tT0_T1_T2_jT3_P12ihipStream_tbPNSt15iterator_traitsISJ_E10value_typeEPNSP_ISK_E10value_typeEPSL_NS1_7vsmem_tEENKUlT_SJ_SK_SL_E_clIPmSE_SF_SF_EESI_SY_SJ_SK_SL_EUlSY_E1_NS1_11comp_targetILNS1_3genE8ELNS1_11target_archE1030ELNS1_3gpuE2ELNS1_3repE0EEENS1_36merge_oddeven_config_static_selectorELNS0_4arch9wavefront6targetE1EEEvSK_,comdat
	.protected	_ZN7rocprim17ROCPRIM_400000_NS6detail17trampoline_kernelINS0_14default_configENS1_38merge_sort_block_merge_config_selectorImNS0_10empty_typeEEEZZNS1_27merge_sort_block_merge_implIS3_N6thrust23THRUST_200600_302600_NS6detail15normal_iteratorINS9_10device_ptrImEEEEPS5_m14custom_greaterImEEE10hipError_tT0_T1_T2_jT3_P12ihipStream_tbPNSt15iterator_traitsISJ_E10value_typeEPNSP_ISK_E10value_typeEPSL_NS1_7vsmem_tEENKUlT_SJ_SK_SL_E_clIPmSE_SF_SF_EESI_SY_SJ_SK_SL_EUlSY_E1_NS1_11comp_targetILNS1_3genE8ELNS1_11target_archE1030ELNS1_3gpuE2ELNS1_3repE0EEENS1_36merge_oddeven_config_static_selectorELNS0_4arch9wavefront6targetE1EEEvSK_ ; -- Begin function _ZN7rocprim17ROCPRIM_400000_NS6detail17trampoline_kernelINS0_14default_configENS1_38merge_sort_block_merge_config_selectorImNS0_10empty_typeEEEZZNS1_27merge_sort_block_merge_implIS3_N6thrust23THRUST_200600_302600_NS6detail15normal_iteratorINS9_10device_ptrImEEEEPS5_m14custom_greaterImEEE10hipError_tT0_T1_T2_jT3_P12ihipStream_tbPNSt15iterator_traitsISJ_E10value_typeEPNSP_ISK_E10value_typeEPSL_NS1_7vsmem_tEENKUlT_SJ_SK_SL_E_clIPmSE_SF_SF_EESI_SY_SJ_SK_SL_EUlSY_E1_NS1_11comp_targetILNS1_3genE8ELNS1_11target_archE1030ELNS1_3gpuE2ELNS1_3repE0EEENS1_36merge_oddeven_config_static_selectorELNS0_4arch9wavefront6targetE1EEEvSK_
	.globl	_ZN7rocprim17ROCPRIM_400000_NS6detail17trampoline_kernelINS0_14default_configENS1_38merge_sort_block_merge_config_selectorImNS0_10empty_typeEEEZZNS1_27merge_sort_block_merge_implIS3_N6thrust23THRUST_200600_302600_NS6detail15normal_iteratorINS9_10device_ptrImEEEEPS5_m14custom_greaterImEEE10hipError_tT0_T1_T2_jT3_P12ihipStream_tbPNSt15iterator_traitsISJ_E10value_typeEPNSP_ISK_E10value_typeEPSL_NS1_7vsmem_tEENKUlT_SJ_SK_SL_E_clIPmSE_SF_SF_EESI_SY_SJ_SK_SL_EUlSY_E1_NS1_11comp_targetILNS1_3genE8ELNS1_11target_archE1030ELNS1_3gpuE2ELNS1_3repE0EEENS1_36merge_oddeven_config_static_selectorELNS0_4arch9wavefront6targetE1EEEvSK_
	.p2align	8
	.type	_ZN7rocprim17ROCPRIM_400000_NS6detail17trampoline_kernelINS0_14default_configENS1_38merge_sort_block_merge_config_selectorImNS0_10empty_typeEEEZZNS1_27merge_sort_block_merge_implIS3_N6thrust23THRUST_200600_302600_NS6detail15normal_iteratorINS9_10device_ptrImEEEEPS5_m14custom_greaterImEEE10hipError_tT0_T1_T2_jT3_P12ihipStream_tbPNSt15iterator_traitsISJ_E10value_typeEPNSP_ISK_E10value_typeEPSL_NS1_7vsmem_tEENKUlT_SJ_SK_SL_E_clIPmSE_SF_SF_EESI_SY_SJ_SK_SL_EUlSY_E1_NS1_11comp_targetILNS1_3genE8ELNS1_11target_archE1030ELNS1_3gpuE2ELNS1_3repE0EEENS1_36merge_oddeven_config_static_selectorELNS0_4arch9wavefront6targetE1EEEvSK_,@function
_ZN7rocprim17ROCPRIM_400000_NS6detail17trampoline_kernelINS0_14default_configENS1_38merge_sort_block_merge_config_selectorImNS0_10empty_typeEEEZZNS1_27merge_sort_block_merge_implIS3_N6thrust23THRUST_200600_302600_NS6detail15normal_iteratorINS9_10device_ptrImEEEEPS5_m14custom_greaterImEEE10hipError_tT0_T1_T2_jT3_P12ihipStream_tbPNSt15iterator_traitsISJ_E10value_typeEPNSP_ISK_E10value_typeEPSL_NS1_7vsmem_tEENKUlT_SJ_SK_SL_E_clIPmSE_SF_SF_EESI_SY_SJ_SK_SL_EUlSY_E1_NS1_11comp_targetILNS1_3genE8ELNS1_11target_archE1030ELNS1_3gpuE2ELNS1_3repE0EEENS1_36merge_oddeven_config_static_selectorELNS0_4arch9wavefront6targetE1EEEvSK_: ; @_ZN7rocprim17ROCPRIM_400000_NS6detail17trampoline_kernelINS0_14default_configENS1_38merge_sort_block_merge_config_selectorImNS0_10empty_typeEEEZZNS1_27merge_sort_block_merge_implIS3_N6thrust23THRUST_200600_302600_NS6detail15normal_iteratorINS9_10device_ptrImEEEEPS5_m14custom_greaterImEEE10hipError_tT0_T1_T2_jT3_P12ihipStream_tbPNSt15iterator_traitsISJ_E10value_typeEPNSP_ISK_E10value_typeEPSL_NS1_7vsmem_tEENKUlT_SJ_SK_SL_E_clIPmSE_SF_SF_EESI_SY_SJ_SK_SL_EUlSY_E1_NS1_11comp_targetILNS1_3genE8ELNS1_11target_archE1030ELNS1_3gpuE2ELNS1_3repE0EEENS1_36merge_oddeven_config_static_selectorELNS0_4arch9wavefront6targetE1EEEvSK_
; %bb.0:
	.section	.rodata,"a",@progbits
	.p2align	6, 0x0
	.amdhsa_kernel _ZN7rocprim17ROCPRIM_400000_NS6detail17trampoline_kernelINS0_14default_configENS1_38merge_sort_block_merge_config_selectorImNS0_10empty_typeEEEZZNS1_27merge_sort_block_merge_implIS3_N6thrust23THRUST_200600_302600_NS6detail15normal_iteratorINS9_10device_ptrImEEEEPS5_m14custom_greaterImEEE10hipError_tT0_T1_T2_jT3_P12ihipStream_tbPNSt15iterator_traitsISJ_E10value_typeEPNSP_ISK_E10value_typeEPSL_NS1_7vsmem_tEENKUlT_SJ_SK_SL_E_clIPmSE_SF_SF_EESI_SY_SJ_SK_SL_EUlSY_E1_NS1_11comp_targetILNS1_3genE8ELNS1_11target_archE1030ELNS1_3gpuE2ELNS1_3repE0EEENS1_36merge_oddeven_config_static_selectorELNS0_4arch9wavefront6targetE1EEEvSK_
		.amdhsa_group_segment_fixed_size 0
		.amdhsa_private_segment_fixed_size 0
		.amdhsa_kernarg_size 56
		.amdhsa_user_sgpr_count 6
		.amdhsa_user_sgpr_private_segment_buffer 1
		.amdhsa_user_sgpr_dispatch_ptr 0
		.amdhsa_user_sgpr_queue_ptr 0
		.amdhsa_user_sgpr_kernarg_segment_ptr 1
		.amdhsa_user_sgpr_dispatch_id 0
		.amdhsa_user_sgpr_flat_scratch_init 0
		.amdhsa_user_sgpr_kernarg_preload_length 0
		.amdhsa_user_sgpr_kernarg_preload_offset 0
		.amdhsa_user_sgpr_private_segment_size 0
		.amdhsa_uses_dynamic_stack 0
		.amdhsa_system_sgpr_private_segment_wavefront_offset 0
		.amdhsa_system_sgpr_workgroup_id_x 1
		.amdhsa_system_sgpr_workgroup_id_y 0
		.amdhsa_system_sgpr_workgroup_id_z 0
		.amdhsa_system_sgpr_workgroup_info 0
		.amdhsa_system_vgpr_workitem_id 0
		.amdhsa_next_free_vgpr 1
		.amdhsa_next_free_sgpr 0
		.amdhsa_accum_offset 4
		.amdhsa_reserve_vcc 0
		.amdhsa_reserve_flat_scratch 0
		.amdhsa_float_round_mode_32 0
		.amdhsa_float_round_mode_16_64 0
		.amdhsa_float_denorm_mode_32 3
		.amdhsa_float_denorm_mode_16_64 3
		.amdhsa_dx10_clamp 1
		.amdhsa_ieee_mode 1
		.amdhsa_fp16_overflow 0
		.amdhsa_tg_split 0
		.amdhsa_exception_fp_ieee_invalid_op 0
		.amdhsa_exception_fp_denorm_src 0
		.amdhsa_exception_fp_ieee_div_zero 0
		.amdhsa_exception_fp_ieee_overflow 0
		.amdhsa_exception_fp_ieee_underflow 0
		.amdhsa_exception_fp_ieee_inexact 0
		.amdhsa_exception_int_div_zero 0
	.end_amdhsa_kernel
	.section	.text._ZN7rocprim17ROCPRIM_400000_NS6detail17trampoline_kernelINS0_14default_configENS1_38merge_sort_block_merge_config_selectorImNS0_10empty_typeEEEZZNS1_27merge_sort_block_merge_implIS3_N6thrust23THRUST_200600_302600_NS6detail15normal_iteratorINS9_10device_ptrImEEEEPS5_m14custom_greaterImEEE10hipError_tT0_T1_T2_jT3_P12ihipStream_tbPNSt15iterator_traitsISJ_E10value_typeEPNSP_ISK_E10value_typeEPSL_NS1_7vsmem_tEENKUlT_SJ_SK_SL_E_clIPmSE_SF_SF_EESI_SY_SJ_SK_SL_EUlSY_E1_NS1_11comp_targetILNS1_3genE8ELNS1_11target_archE1030ELNS1_3gpuE2ELNS1_3repE0EEENS1_36merge_oddeven_config_static_selectorELNS0_4arch9wavefront6targetE1EEEvSK_,"axG",@progbits,_ZN7rocprim17ROCPRIM_400000_NS6detail17trampoline_kernelINS0_14default_configENS1_38merge_sort_block_merge_config_selectorImNS0_10empty_typeEEEZZNS1_27merge_sort_block_merge_implIS3_N6thrust23THRUST_200600_302600_NS6detail15normal_iteratorINS9_10device_ptrImEEEEPS5_m14custom_greaterImEEE10hipError_tT0_T1_T2_jT3_P12ihipStream_tbPNSt15iterator_traitsISJ_E10value_typeEPNSP_ISK_E10value_typeEPSL_NS1_7vsmem_tEENKUlT_SJ_SK_SL_E_clIPmSE_SF_SF_EESI_SY_SJ_SK_SL_EUlSY_E1_NS1_11comp_targetILNS1_3genE8ELNS1_11target_archE1030ELNS1_3gpuE2ELNS1_3repE0EEENS1_36merge_oddeven_config_static_selectorELNS0_4arch9wavefront6targetE1EEEvSK_,comdat
.Lfunc_end3336:
	.size	_ZN7rocprim17ROCPRIM_400000_NS6detail17trampoline_kernelINS0_14default_configENS1_38merge_sort_block_merge_config_selectorImNS0_10empty_typeEEEZZNS1_27merge_sort_block_merge_implIS3_N6thrust23THRUST_200600_302600_NS6detail15normal_iteratorINS9_10device_ptrImEEEEPS5_m14custom_greaterImEEE10hipError_tT0_T1_T2_jT3_P12ihipStream_tbPNSt15iterator_traitsISJ_E10value_typeEPNSP_ISK_E10value_typeEPSL_NS1_7vsmem_tEENKUlT_SJ_SK_SL_E_clIPmSE_SF_SF_EESI_SY_SJ_SK_SL_EUlSY_E1_NS1_11comp_targetILNS1_3genE8ELNS1_11target_archE1030ELNS1_3gpuE2ELNS1_3repE0EEENS1_36merge_oddeven_config_static_selectorELNS0_4arch9wavefront6targetE1EEEvSK_, .Lfunc_end3336-_ZN7rocprim17ROCPRIM_400000_NS6detail17trampoline_kernelINS0_14default_configENS1_38merge_sort_block_merge_config_selectorImNS0_10empty_typeEEEZZNS1_27merge_sort_block_merge_implIS3_N6thrust23THRUST_200600_302600_NS6detail15normal_iteratorINS9_10device_ptrImEEEEPS5_m14custom_greaterImEEE10hipError_tT0_T1_T2_jT3_P12ihipStream_tbPNSt15iterator_traitsISJ_E10value_typeEPNSP_ISK_E10value_typeEPSL_NS1_7vsmem_tEENKUlT_SJ_SK_SL_E_clIPmSE_SF_SF_EESI_SY_SJ_SK_SL_EUlSY_E1_NS1_11comp_targetILNS1_3genE8ELNS1_11target_archE1030ELNS1_3gpuE2ELNS1_3repE0EEENS1_36merge_oddeven_config_static_selectorELNS0_4arch9wavefront6targetE1EEEvSK_
                                        ; -- End function
	.section	.AMDGPU.csdata,"",@progbits
; Kernel info:
; codeLenInByte = 0
; NumSgprs: 4
; NumVgprs: 0
; NumAgprs: 0
; TotalNumVgprs: 0
; ScratchSize: 0
; MemoryBound: 0
; FloatMode: 240
; IeeeMode: 1
; LDSByteSize: 0 bytes/workgroup (compile time only)
; SGPRBlocks: 0
; VGPRBlocks: 0
; NumSGPRsForWavesPerEU: 4
; NumVGPRsForWavesPerEU: 1
; AccumOffset: 4
; Occupancy: 8
; WaveLimiterHint : 0
; COMPUTE_PGM_RSRC2:SCRATCH_EN: 0
; COMPUTE_PGM_RSRC2:USER_SGPR: 6
; COMPUTE_PGM_RSRC2:TRAP_HANDLER: 0
; COMPUTE_PGM_RSRC2:TGID_X_EN: 1
; COMPUTE_PGM_RSRC2:TGID_Y_EN: 0
; COMPUTE_PGM_RSRC2:TGID_Z_EN: 0
; COMPUTE_PGM_RSRC2:TIDIG_COMP_CNT: 0
; COMPUTE_PGM_RSRC3_GFX90A:ACCUM_OFFSET: 0
; COMPUTE_PGM_RSRC3_GFX90A:TG_SPLIT: 0
	.section	.text._ZN7rocprim17ROCPRIM_400000_NS6detail17trampoline_kernelINS0_14default_configENS1_38merge_sort_block_merge_config_selectorImNS0_10empty_typeEEEZZNS1_27merge_sort_block_merge_implIS3_N6thrust23THRUST_200600_302600_NS6detail15normal_iteratorINS9_10device_ptrImEEEEPS5_m14custom_greaterImEEE10hipError_tT0_T1_T2_jT3_P12ihipStream_tbPNSt15iterator_traitsISJ_E10value_typeEPNSP_ISK_E10value_typeEPSL_NS1_7vsmem_tEENKUlT_SJ_SK_SL_E_clISE_PmSF_SF_EESI_SY_SJ_SK_SL_EUlSY_E_NS1_11comp_targetILNS1_3genE0ELNS1_11target_archE4294967295ELNS1_3gpuE0ELNS1_3repE0EEENS1_48merge_mergepath_partition_config_static_selectorELNS0_4arch9wavefront6targetE1EEEvSK_,"axG",@progbits,_ZN7rocprim17ROCPRIM_400000_NS6detail17trampoline_kernelINS0_14default_configENS1_38merge_sort_block_merge_config_selectorImNS0_10empty_typeEEEZZNS1_27merge_sort_block_merge_implIS3_N6thrust23THRUST_200600_302600_NS6detail15normal_iteratorINS9_10device_ptrImEEEEPS5_m14custom_greaterImEEE10hipError_tT0_T1_T2_jT3_P12ihipStream_tbPNSt15iterator_traitsISJ_E10value_typeEPNSP_ISK_E10value_typeEPSL_NS1_7vsmem_tEENKUlT_SJ_SK_SL_E_clISE_PmSF_SF_EESI_SY_SJ_SK_SL_EUlSY_E_NS1_11comp_targetILNS1_3genE0ELNS1_11target_archE4294967295ELNS1_3gpuE0ELNS1_3repE0EEENS1_48merge_mergepath_partition_config_static_selectorELNS0_4arch9wavefront6targetE1EEEvSK_,comdat
	.protected	_ZN7rocprim17ROCPRIM_400000_NS6detail17trampoline_kernelINS0_14default_configENS1_38merge_sort_block_merge_config_selectorImNS0_10empty_typeEEEZZNS1_27merge_sort_block_merge_implIS3_N6thrust23THRUST_200600_302600_NS6detail15normal_iteratorINS9_10device_ptrImEEEEPS5_m14custom_greaterImEEE10hipError_tT0_T1_T2_jT3_P12ihipStream_tbPNSt15iterator_traitsISJ_E10value_typeEPNSP_ISK_E10value_typeEPSL_NS1_7vsmem_tEENKUlT_SJ_SK_SL_E_clISE_PmSF_SF_EESI_SY_SJ_SK_SL_EUlSY_E_NS1_11comp_targetILNS1_3genE0ELNS1_11target_archE4294967295ELNS1_3gpuE0ELNS1_3repE0EEENS1_48merge_mergepath_partition_config_static_selectorELNS0_4arch9wavefront6targetE1EEEvSK_ ; -- Begin function _ZN7rocprim17ROCPRIM_400000_NS6detail17trampoline_kernelINS0_14default_configENS1_38merge_sort_block_merge_config_selectorImNS0_10empty_typeEEEZZNS1_27merge_sort_block_merge_implIS3_N6thrust23THRUST_200600_302600_NS6detail15normal_iteratorINS9_10device_ptrImEEEEPS5_m14custom_greaterImEEE10hipError_tT0_T1_T2_jT3_P12ihipStream_tbPNSt15iterator_traitsISJ_E10value_typeEPNSP_ISK_E10value_typeEPSL_NS1_7vsmem_tEENKUlT_SJ_SK_SL_E_clISE_PmSF_SF_EESI_SY_SJ_SK_SL_EUlSY_E_NS1_11comp_targetILNS1_3genE0ELNS1_11target_archE4294967295ELNS1_3gpuE0ELNS1_3repE0EEENS1_48merge_mergepath_partition_config_static_selectorELNS0_4arch9wavefront6targetE1EEEvSK_
	.globl	_ZN7rocprim17ROCPRIM_400000_NS6detail17trampoline_kernelINS0_14default_configENS1_38merge_sort_block_merge_config_selectorImNS0_10empty_typeEEEZZNS1_27merge_sort_block_merge_implIS3_N6thrust23THRUST_200600_302600_NS6detail15normal_iteratorINS9_10device_ptrImEEEEPS5_m14custom_greaterImEEE10hipError_tT0_T1_T2_jT3_P12ihipStream_tbPNSt15iterator_traitsISJ_E10value_typeEPNSP_ISK_E10value_typeEPSL_NS1_7vsmem_tEENKUlT_SJ_SK_SL_E_clISE_PmSF_SF_EESI_SY_SJ_SK_SL_EUlSY_E_NS1_11comp_targetILNS1_3genE0ELNS1_11target_archE4294967295ELNS1_3gpuE0ELNS1_3repE0EEENS1_48merge_mergepath_partition_config_static_selectorELNS0_4arch9wavefront6targetE1EEEvSK_
	.p2align	8
	.type	_ZN7rocprim17ROCPRIM_400000_NS6detail17trampoline_kernelINS0_14default_configENS1_38merge_sort_block_merge_config_selectorImNS0_10empty_typeEEEZZNS1_27merge_sort_block_merge_implIS3_N6thrust23THRUST_200600_302600_NS6detail15normal_iteratorINS9_10device_ptrImEEEEPS5_m14custom_greaterImEEE10hipError_tT0_T1_T2_jT3_P12ihipStream_tbPNSt15iterator_traitsISJ_E10value_typeEPNSP_ISK_E10value_typeEPSL_NS1_7vsmem_tEENKUlT_SJ_SK_SL_E_clISE_PmSF_SF_EESI_SY_SJ_SK_SL_EUlSY_E_NS1_11comp_targetILNS1_3genE0ELNS1_11target_archE4294967295ELNS1_3gpuE0ELNS1_3repE0EEENS1_48merge_mergepath_partition_config_static_selectorELNS0_4arch9wavefront6targetE1EEEvSK_,@function
_ZN7rocprim17ROCPRIM_400000_NS6detail17trampoline_kernelINS0_14default_configENS1_38merge_sort_block_merge_config_selectorImNS0_10empty_typeEEEZZNS1_27merge_sort_block_merge_implIS3_N6thrust23THRUST_200600_302600_NS6detail15normal_iteratorINS9_10device_ptrImEEEEPS5_m14custom_greaterImEEE10hipError_tT0_T1_T2_jT3_P12ihipStream_tbPNSt15iterator_traitsISJ_E10value_typeEPNSP_ISK_E10value_typeEPSL_NS1_7vsmem_tEENKUlT_SJ_SK_SL_E_clISE_PmSF_SF_EESI_SY_SJ_SK_SL_EUlSY_E_NS1_11comp_targetILNS1_3genE0ELNS1_11target_archE4294967295ELNS1_3gpuE0ELNS1_3repE0EEENS1_48merge_mergepath_partition_config_static_selectorELNS0_4arch9wavefront6targetE1EEEvSK_: ; @_ZN7rocprim17ROCPRIM_400000_NS6detail17trampoline_kernelINS0_14default_configENS1_38merge_sort_block_merge_config_selectorImNS0_10empty_typeEEEZZNS1_27merge_sort_block_merge_implIS3_N6thrust23THRUST_200600_302600_NS6detail15normal_iteratorINS9_10device_ptrImEEEEPS5_m14custom_greaterImEEE10hipError_tT0_T1_T2_jT3_P12ihipStream_tbPNSt15iterator_traitsISJ_E10value_typeEPNSP_ISK_E10value_typeEPSL_NS1_7vsmem_tEENKUlT_SJ_SK_SL_E_clISE_PmSF_SF_EESI_SY_SJ_SK_SL_EUlSY_E_NS1_11comp_targetILNS1_3genE0ELNS1_11target_archE4294967295ELNS1_3gpuE0ELNS1_3repE0EEENS1_48merge_mergepath_partition_config_static_selectorELNS0_4arch9wavefront6targetE1EEEvSK_
; %bb.0:
	.section	.rodata,"a",@progbits
	.p2align	6, 0x0
	.amdhsa_kernel _ZN7rocprim17ROCPRIM_400000_NS6detail17trampoline_kernelINS0_14default_configENS1_38merge_sort_block_merge_config_selectorImNS0_10empty_typeEEEZZNS1_27merge_sort_block_merge_implIS3_N6thrust23THRUST_200600_302600_NS6detail15normal_iteratorINS9_10device_ptrImEEEEPS5_m14custom_greaterImEEE10hipError_tT0_T1_T2_jT3_P12ihipStream_tbPNSt15iterator_traitsISJ_E10value_typeEPNSP_ISK_E10value_typeEPSL_NS1_7vsmem_tEENKUlT_SJ_SK_SL_E_clISE_PmSF_SF_EESI_SY_SJ_SK_SL_EUlSY_E_NS1_11comp_targetILNS1_3genE0ELNS1_11target_archE4294967295ELNS1_3gpuE0ELNS1_3repE0EEENS1_48merge_mergepath_partition_config_static_selectorELNS0_4arch9wavefront6targetE1EEEvSK_
		.amdhsa_group_segment_fixed_size 0
		.amdhsa_private_segment_fixed_size 0
		.amdhsa_kernarg_size 48
		.amdhsa_user_sgpr_count 6
		.amdhsa_user_sgpr_private_segment_buffer 1
		.amdhsa_user_sgpr_dispatch_ptr 0
		.amdhsa_user_sgpr_queue_ptr 0
		.amdhsa_user_sgpr_kernarg_segment_ptr 1
		.amdhsa_user_sgpr_dispatch_id 0
		.amdhsa_user_sgpr_flat_scratch_init 0
		.amdhsa_user_sgpr_kernarg_preload_length 0
		.amdhsa_user_sgpr_kernarg_preload_offset 0
		.amdhsa_user_sgpr_private_segment_size 0
		.amdhsa_uses_dynamic_stack 0
		.amdhsa_system_sgpr_private_segment_wavefront_offset 0
		.amdhsa_system_sgpr_workgroup_id_x 1
		.amdhsa_system_sgpr_workgroup_id_y 0
		.amdhsa_system_sgpr_workgroup_id_z 0
		.amdhsa_system_sgpr_workgroup_info 0
		.amdhsa_system_vgpr_workitem_id 0
		.amdhsa_next_free_vgpr 1
		.amdhsa_next_free_sgpr 0
		.amdhsa_accum_offset 4
		.amdhsa_reserve_vcc 0
		.amdhsa_reserve_flat_scratch 0
		.amdhsa_float_round_mode_32 0
		.amdhsa_float_round_mode_16_64 0
		.amdhsa_float_denorm_mode_32 3
		.amdhsa_float_denorm_mode_16_64 3
		.amdhsa_dx10_clamp 1
		.amdhsa_ieee_mode 1
		.amdhsa_fp16_overflow 0
		.amdhsa_tg_split 0
		.amdhsa_exception_fp_ieee_invalid_op 0
		.amdhsa_exception_fp_denorm_src 0
		.amdhsa_exception_fp_ieee_div_zero 0
		.amdhsa_exception_fp_ieee_overflow 0
		.amdhsa_exception_fp_ieee_underflow 0
		.amdhsa_exception_fp_ieee_inexact 0
		.amdhsa_exception_int_div_zero 0
	.end_amdhsa_kernel
	.section	.text._ZN7rocprim17ROCPRIM_400000_NS6detail17trampoline_kernelINS0_14default_configENS1_38merge_sort_block_merge_config_selectorImNS0_10empty_typeEEEZZNS1_27merge_sort_block_merge_implIS3_N6thrust23THRUST_200600_302600_NS6detail15normal_iteratorINS9_10device_ptrImEEEEPS5_m14custom_greaterImEEE10hipError_tT0_T1_T2_jT3_P12ihipStream_tbPNSt15iterator_traitsISJ_E10value_typeEPNSP_ISK_E10value_typeEPSL_NS1_7vsmem_tEENKUlT_SJ_SK_SL_E_clISE_PmSF_SF_EESI_SY_SJ_SK_SL_EUlSY_E_NS1_11comp_targetILNS1_3genE0ELNS1_11target_archE4294967295ELNS1_3gpuE0ELNS1_3repE0EEENS1_48merge_mergepath_partition_config_static_selectorELNS0_4arch9wavefront6targetE1EEEvSK_,"axG",@progbits,_ZN7rocprim17ROCPRIM_400000_NS6detail17trampoline_kernelINS0_14default_configENS1_38merge_sort_block_merge_config_selectorImNS0_10empty_typeEEEZZNS1_27merge_sort_block_merge_implIS3_N6thrust23THRUST_200600_302600_NS6detail15normal_iteratorINS9_10device_ptrImEEEEPS5_m14custom_greaterImEEE10hipError_tT0_T1_T2_jT3_P12ihipStream_tbPNSt15iterator_traitsISJ_E10value_typeEPNSP_ISK_E10value_typeEPSL_NS1_7vsmem_tEENKUlT_SJ_SK_SL_E_clISE_PmSF_SF_EESI_SY_SJ_SK_SL_EUlSY_E_NS1_11comp_targetILNS1_3genE0ELNS1_11target_archE4294967295ELNS1_3gpuE0ELNS1_3repE0EEENS1_48merge_mergepath_partition_config_static_selectorELNS0_4arch9wavefront6targetE1EEEvSK_,comdat
.Lfunc_end3337:
	.size	_ZN7rocprim17ROCPRIM_400000_NS6detail17trampoline_kernelINS0_14default_configENS1_38merge_sort_block_merge_config_selectorImNS0_10empty_typeEEEZZNS1_27merge_sort_block_merge_implIS3_N6thrust23THRUST_200600_302600_NS6detail15normal_iteratorINS9_10device_ptrImEEEEPS5_m14custom_greaterImEEE10hipError_tT0_T1_T2_jT3_P12ihipStream_tbPNSt15iterator_traitsISJ_E10value_typeEPNSP_ISK_E10value_typeEPSL_NS1_7vsmem_tEENKUlT_SJ_SK_SL_E_clISE_PmSF_SF_EESI_SY_SJ_SK_SL_EUlSY_E_NS1_11comp_targetILNS1_3genE0ELNS1_11target_archE4294967295ELNS1_3gpuE0ELNS1_3repE0EEENS1_48merge_mergepath_partition_config_static_selectorELNS0_4arch9wavefront6targetE1EEEvSK_, .Lfunc_end3337-_ZN7rocprim17ROCPRIM_400000_NS6detail17trampoline_kernelINS0_14default_configENS1_38merge_sort_block_merge_config_selectorImNS0_10empty_typeEEEZZNS1_27merge_sort_block_merge_implIS3_N6thrust23THRUST_200600_302600_NS6detail15normal_iteratorINS9_10device_ptrImEEEEPS5_m14custom_greaterImEEE10hipError_tT0_T1_T2_jT3_P12ihipStream_tbPNSt15iterator_traitsISJ_E10value_typeEPNSP_ISK_E10value_typeEPSL_NS1_7vsmem_tEENKUlT_SJ_SK_SL_E_clISE_PmSF_SF_EESI_SY_SJ_SK_SL_EUlSY_E_NS1_11comp_targetILNS1_3genE0ELNS1_11target_archE4294967295ELNS1_3gpuE0ELNS1_3repE0EEENS1_48merge_mergepath_partition_config_static_selectorELNS0_4arch9wavefront6targetE1EEEvSK_
                                        ; -- End function
	.section	.AMDGPU.csdata,"",@progbits
; Kernel info:
; codeLenInByte = 0
; NumSgprs: 4
; NumVgprs: 0
; NumAgprs: 0
; TotalNumVgprs: 0
; ScratchSize: 0
; MemoryBound: 0
; FloatMode: 240
; IeeeMode: 1
; LDSByteSize: 0 bytes/workgroup (compile time only)
; SGPRBlocks: 0
; VGPRBlocks: 0
; NumSGPRsForWavesPerEU: 4
; NumVGPRsForWavesPerEU: 1
; AccumOffset: 4
; Occupancy: 8
; WaveLimiterHint : 0
; COMPUTE_PGM_RSRC2:SCRATCH_EN: 0
; COMPUTE_PGM_RSRC2:USER_SGPR: 6
; COMPUTE_PGM_RSRC2:TRAP_HANDLER: 0
; COMPUTE_PGM_RSRC2:TGID_X_EN: 1
; COMPUTE_PGM_RSRC2:TGID_Y_EN: 0
; COMPUTE_PGM_RSRC2:TGID_Z_EN: 0
; COMPUTE_PGM_RSRC2:TIDIG_COMP_CNT: 0
; COMPUTE_PGM_RSRC3_GFX90A:ACCUM_OFFSET: 0
; COMPUTE_PGM_RSRC3_GFX90A:TG_SPLIT: 0
	.section	.text._ZN7rocprim17ROCPRIM_400000_NS6detail17trampoline_kernelINS0_14default_configENS1_38merge_sort_block_merge_config_selectorImNS0_10empty_typeEEEZZNS1_27merge_sort_block_merge_implIS3_N6thrust23THRUST_200600_302600_NS6detail15normal_iteratorINS9_10device_ptrImEEEEPS5_m14custom_greaterImEEE10hipError_tT0_T1_T2_jT3_P12ihipStream_tbPNSt15iterator_traitsISJ_E10value_typeEPNSP_ISK_E10value_typeEPSL_NS1_7vsmem_tEENKUlT_SJ_SK_SL_E_clISE_PmSF_SF_EESI_SY_SJ_SK_SL_EUlSY_E_NS1_11comp_targetILNS1_3genE10ELNS1_11target_archE1201ELNS1_3gpuE5ELNS1_3repE0EEENS1_48merge_mergepath_partition_config_static_selectorELNS0_4arch9wavefront6targetE1EEEvSK_,"axG",@progbits,_ZN7rocprim17ROCPRIM_400000_NS6detail17trampoline_kernelINS0_14default_configENS1_38merge_sort_block_merge_config_selectorImNS0_10empty_typeEEEZZNS1_27merge_sort_block_merge_implIS3_N6thrust23THRUST_200600_302600_NS6detail15normal_iteratorINS9_10device_ptrImEEEEPS5_m14custom_greaterImEEE10hipError_tT0_T1_T2_jT3_P12ihipStream_tbPNSt15iterator_traitsISJ_E10value_typeEPNSP_ISK_E10value_typeEPSL_NS1_7vsmem_tEENKUlT_SJ_SK_SL_E_clISE_PmSF_SF_EESI_SY_SJ_SK_SL_EUlSY_E_NS1_11comp_targetILNS1_3genE10ELNS1_11target_archE1201ELNS1_3gpuE5ELNS1_3repE0EEENS1_48merge_mergepath_partition_config_static_selectorELNS0_4arch9wavefront6targetE1EEEvSK_,comdat
	.protected	_ZN7rocprim17ROCPRIM_400000_NS6detail17trampoline_kernelINS0_14default_configENS1_38merge_sort_block_merge_config_selectorImNS0_10empty_typeEEEZZNS1_27merge_sort_block_merge_implIS3_N6thrust23THRUST_200600_302600_NS6detail15normal_iteratorINS9_10device_ptrImEEEEPS5_m14custom_greaterImEEE10hipError_tT0_T1_T2_jT3_P12ihipStream_tbPNSt15iterator_traitsISJ_E10value_typeEPNSP_ISK_E10value_typeEPSL_NS1_7vsmem_tEENKUlT_SJ_SK_SL_E_clISE_PmSF_SF_EESI_SY_SJ_SK_SL_EUlSY_E_NS1_11comp_targetILNS1_3genE10ELNS1_11target_archE1201ELNS1_3gpuE5ELNS1_3repE0EEENS1_48merge_mergepath_partition_config_static_selectorELNS0_4arch9wavefront6targetE1EEEvSK_ ; -- Begin function _ZN7rocprim17ROCPRIM_400000_NS6detail17trampoline_kernelINS0_14default_configENS1_38merge_sort_block_merge_config_selectorImNS0_10empty_typeEEEZZNS1_27merge_sort_block_merge_implIS3_N6thrust23THRUST_200600_302600_NS6detail15normal_iteratorINS9_10device_ptrImEEEEPS5_m14custom_greaterImEEE10hipError_tT0_T1_T2_jT3_P12ihipStream_tbPNSt15iterator_traitsISJ_E10value_typeEPNSP_ISK_E10value_typeEPSL_NS1_7vsmem_tEENKUlT_SJ_SK_SL_E_clISE_PmSF_SF_EESI_SY_SJ_SK_SL_EUlSY_E_NS1_11comp_targetILNS1_3genE10ELNS1_11target_archE1201ELNS1_3gpuE5ELNS1_3repE0EEENS1_48merge_mergepath_partition_config_static_selectorELNS0_4arch9wavefront6targetE1EEEvSK_
	.globl	_ZN7rocprim17ROCPRIM_400000_NS6detail17trampoline_kernelINS0_14default_configENS1_38merge_sort_block_merge_config_selectorImNS0_10empty_typeEEEZZNS1_27merge_sort_block_merge_implIS3_N6thrust23THRUST_200600_302600_NS6detail15normal_iteratorINS9_10device_ptrImEEEEPS5_m14custom_greaterImEEE10hipError_tT0_T1_T2_jT3_P12ihipStream_tbPNSt15iterator_traitsISJ_E10value_typeEPNSP_ISK_E10value_typeEPSL_NS1_7vsmem_tEENKUlT_SJ_SK_SL_E_clISE_PmSF_SF_EESI_SY_SJ_SK_SL_EUlSY_E_NS1_11comp_targetILNS1_3genE10ELNS1_11target_archE1201ELNS1_3gpuE5ELNS1_3repE0EEENS1_48merge_mergepath_partition_config_static_selectorELNS0_4arch9wavefront6targetE1EEEvSK_
	.p2align	8
	.type	_ZN7rocprim17ROCPRIM_400000_NS6detail17trampoline_kernelINS0_14default_configENS1_38merge_sort_block_merge_config_selectorImNS0_10empty_typeEEEZZNS1_27merge_sort_block_merge_implIS3_N6thrust23THRUST_200600_302600_NS6detail15normal_iteratorINS9_10device_ptrImEEEEPS5_m14custom_greaterImEEE10hipError_tT0_T1_T2_jT3_P12ihipStream_tbPNSt15iterator_traitsISJ_E10value_typeEPNSP_ISK_E10value_typeEPSL_NS1_7vsmem_tEENKUlT_SJ_SK_SL_E_clISE_PmSF_SF_EESI_SY_SJ_SK_SL_EUlSY_E_NS1_11comp_targetILNS1_3genE10ELNS1_11target_archE1201ELNS1_3gpuE5ELNS1_3repE0EEENS1_48merge_mergepath_partition_config_static_selectorELNS0_4arch9wavefront6targetE1EEEvSK_,@function
_ZN7rocprim17ROCPRIM_400000_NS6detail17trampoline_kernelINS0_14default_configENS1_38merge_sort_block_merge_config_selectorImNS0_10empty_typeEEEZZNS1_27merge_sort_block_merge_implIS3_N6thrust23THRUST_200600_302600_NS6detail15normal_iteratorINS9_10device_ptrImEEEEPS5_m14custom_greaterImEEE10hipError_tT0_T1_T2_jT3_P12ihipStream_tbPNSt15iterator_traitsISJ_E10value_typeEPNSP_ISK_E10value_typeEPSL_NS1_7vsmem_tEENKUlT_SJ_SK_SL_E_clISE_PmSF_SF_EESI_SY_SJ_SK_SL_EUlSY_E_NS1_11comp_targetILNS1_3genE10ELNS1_11target_archE1201ELNS1_3gpuE5ELNS1_3repE0EEENS1_48merge_mergepath_partition_config_static_selectorELNS0_4arch9wavefront6targetE1EEEvSK_: ; @_ZN7rocprim17ROCPRIM_400000_NS6detail17trampoline_kernelINS0_14default_configENS1_38merge_sort_block_merge_config_selectorImNS0_10empty_typeEEEZZNS1_27merge_sort_block_merge_implIS3_N6thrust23THRUST_200600_302600_NS6detail15normal_iteratorINS9_10device_ptrImEEEEPS5_m14custom_greaterImEEE10hipError_tT0_T1_T2_jT3_P12ihipStream_tbPNSt15iterator_traitsISJ_E10value_typeEPNSP_ISK_E10value_typeEPSL_NS1_7vsmem_tEENKUlT_SJ_SK_SL_E_clISE_PmSF_SF_EESI_SY_SJ_SK_SL_EUlSY_E_NS1_11comp_targetILNS1_3genE10ELNS1_11target_archE1201ELNS1_3gpuE5ELNS1_3repE0EEENS1_48merge_mergepath_partition_config_static_selectorELNS0_4arch9wavefront6targetE1EEEvSK_
; %bb.0:
	.section	.rodata,"a",@progbits
	.p2align	6, 0x0
	.amdhsa_kernel _ZN7rocprim17ROCPRIM_400000_NS6detail17trampoline_kernelINS0_14default_configENS1_38merge_sort_block_merge_config_selectorImNS0_10empty_typeEEEZZNS1_27merge_sort_block_merge_implIS3_N6thrust23THRUST_200600_302600_NS6detail15normal_iteratorINS9_10device_ptrImEEEEPS5_m14custom_greaterImEEE10hipError_tT0_T1_T2_jT3_P12ihipStream_tbPNSt15iterator_traitsISJ_E10value_typeEPNSP_ISK_E10value_typeEPSL_NS1_7vsmem_tEENKUlT_SJ_SK_SL_E_clISE_PmSF_SF_EESI_SY_SJ_SK_SL_EUlSY_E_NS1_11comp_targetILNS1_3genE10ELNS1_11target_archE1201ELNS1_3gpuE5ELNS1_3repE0EEENS1_48merge_mergepath_partition_config_static_selectorELNS0_4arch9wavefront6targetE1EEEvSK_
		.amdhsa_group_segment_fixed_size 0
		.amdhsa_private_segment_fixed_size 0
		.amdhsa_kernarg_size 48
		.amdhsa_user_sgpr_count 6
		.amdhsa_user_sgpr_private_segment_buffer 1
		.amdhsa_user_sgpr_dispatch_ptr 0
		.amdhsa_user_sgpr_queue_ptr 0
		.amdhsa_user_sgpr_kernarg_segment_ptr 1
		.amdhsa_user_sgpr_dispatch_id 0
		.amdhsa_user_sgpr_flat_scratch_init 0
		.amdhsa_user_sgpr_kernarg_preload_length 0
		.amdhsa_user_sgpr_kernarg_preload_offset 0
		.amdhsa_user_sgpr_private_segment_size 0
		.amdhsa_uses_dynamic_stack 0
		.amdhsa_system_sgpr_private_segment_wavefront_offset 0
		.amdhsa_system_sgpr_workgroup_id_x 1
		.amdhsa_system_sgpr_workgroup_id_y 0
		.amdhsa_system_sgpr_workgroup_id_z 0
		.amdhsa_system_sgpr_workgroup_info 0
		.amdhsa_system_vgpr_workitem_id 0
		.amdhsa_next_free_vgpr 1
		.amdhsa_next_free_sgpr 0
		.amdhsa_accum_offset 4
		.amdhsa_reserve_vcc 0
		.amdhsa_reserve_flat_scratch 0
		.amdhsa_float_round_mode_32 0
		.amdhsa_float_round_mode_16_64 0
		.amdhsa_float_denorm_mode_32 3
		.amdhsa_float_denorm_mode_16_64 3
		.amdhsa_dx10_clamp 1
		.amdhsa_ieee_mode 1
		.amdhsa_fp16_overflow 0
		.amdhsa_tg_split 0
		.amdhsa_exception_fp_ieee_invalid_op 0
		.amdhsa_exception_fp_denorm_src 0
		.amdhsa_exception_fp_ieee_div_zero 0
		.amdhsa_exception_fp_ieee_overflow 0
		.amdhsa_exception_fp_ieee_underflow 0
		.amdhsa_exception_fp_ieee_inexact 0
		.amdhsa_exception_int_div_zero 0
	.end_amdhsa_kernel
	.section	.text._ZN7rocprim17ROCPRIM_400000_NS6detail17trampoline_kernelINS0_14default_configENS1_38merge_sort_block_merge_config_selectorImNS0_10empty_typeEEEZZNS1_27merge_sort_block_merge_implIS3_N6thrust23THRUST_200600_302600_NS6detail15normal_iteratorINS9_10device_ptrImEEEEPS5_m14custom_greaterImEEE10hipError_tT0_T1_T2_jT3_P12ihipStream_tbPNSt15iterator_traitsISJ_E10value_typeEPNSP_ISK_E10value_typeEPSL_NS1_7vsmem_tEENKUlT_SJ_SK_SL_E_clISE_PmSF_SF_EESI_SY_SJ_SK_SL_EUlSY_E_NS1_11comp_targetILNS1_3genE10ELNS1_11target_archE1201ELNS1_3gpuE5ELNS1_3repE0EEENS1_48merge_mergepath_partition_config_static_selectorELNS0_4arch9wavefront6targetE1EEEvSK_,"axG",@progbits,_ZN7rocprim17ROCPRIM_400000_NS6detail17trampoline_kernelINS0_14default_configENS1_38merge_sort_block_merge_config_selectorImNS0_10empty_typeEEEZZNS1_27merge_sort_block_merge_implIS3_N6thrust23THRUST_200600_302600_NS6detail15normal_iteratorINS9_10device_ptrImEEEEPS5_m14custom_greaterImEEE10hipError_tT0_T1_T2_jT3_P12ihipStream_tbPNSt15iterator_traitsISJ_E10value_typeEPNSP_ISK_E10value_typeEPSL_NS1_7vsmem_tEENKUlT_SJ_SK_SL_E_clISE_PmSF_SF_EESI_SY_SJ_SK_SL_EUlSY_E_NS1_11comp_targetILNS1_3genE10ELNS1_11target_archE1201ELNS1_3gpuE5ELNS1_3repE0EEENS1_48merge_mergepath_partition_config_static_selectorELNS0_4arch9wavefront6targetE1EEEvSK_,comdat
.Lfunc_end3338:
	.size	_ZN7rocprim17ROCPRIM_400000_NS6detail17trampoline_kernelINS0_14default_configENS1_38merge_sort_block_merge_config_selectorImNS0_10empty_typeEEEZZNS1_27merge_sort_block_merge_implIS3_N6thrust23THRUST_200600_302600_NS6detail15normal_iteratorINS9_10device_ptrImEEEEPS5_m14custom_greaterImEEE10hipError_tT0_T1_T2_jT3_P12ihipStream_tbPNSt15iterator_traitsISJ_E10value_typeEPNSP_ISK_E10value_typeEPSL_NS1_7vsmem_tEENKUlT_SJ_SK_SL_E_clISE_PmSF_SF_EESI_SY_SJ_SK_SL_EUlSY_E_NS1_11comp_targetILNS1_3genE10ELNS1_11target_archE1201ELNS1_3gpuE5ELNS1_3repE0EEENS1_48merge_mergepath_partition_config_static_selectorELNS0_4arch9wavefront6targetE1EEEvSK_, .Lfunc_end3338-_ZN7rocprim17ROCPRIM_400000_NS6detail17trampoline_kernelINS0_14default_configENS1_38merge_sort_block_merge_config_selectorImNS0_10empty_typeEEEZZNS1_27merge_sort_block_merge_implIS3_N6thrust23THRUST_200600_302600_NS6detail15normal_iteratorINS9_10device_ptrImEEEEPS5_m14custom_greaterImEEE10hipError_tT0_T1_T2_jT3_P12ihipStream_tbPNSt15iterator_traitsISJ_E10value_typeEPNSP_ISK_E10value_typeEPSL_NS1_7vsmem_tEENKUlT_SJ_SK_SL_E_clISE_PmSF_SF_EESI_SY_SJ_SK_SL_EUlSY_E_NS1_11comp_targetILNS1_3genE10ELNS1_11target_archE1201ELNS1_3gpuE5ELNS1_3repE0EEENS1_48merge_mergepath_partition_config_static_selectorELNS0_4arch9wavefront6targetE1EEEvSK_
                                        ; -- End function
	.section	.AMDGPU.csdata,"",@progbits
; Kernel info:
; codeLenInByte = 0
; NumSgprs: 4
; NumVgprs: 0
; NumAgprs: 0
; TotalNumVgprs: 0
; ScratchSize: 0
; MemoryBound: 0
; FloatMode: 240
; IeeeMode: 1
; LDSByteSize: 0 bytes/workgroup (compile time only)
; SGPRBlocks: 0
; VGPRBlocks: 0
; NumSGPRsForWavesPerEU: 4
; NumVGPRsForWavesPerEU: 1
; AccumOffset: 4
; Occupancy: 8
; WaveLimiterHint : 0
; COMPUTE_PGM_RSRC2:SCRATCH_EN: 0
; COMPUTE_PGM_RSRC2:USER_SGPR: 6
; COMPUTE_PGM_RSRC2:TRAP_HANDLER: 0
; COMPUTE_PGM_RSRC2:TGID_X_EN: 1
; COMPUTE_PGM_RSRC2:TGID_Y_EN: 0
; COMPUTE_PGM_RSRC2:TGID_Z_EN: 0
; COMPUTE_PGM_RSRC2:TIDIG_COMP_CNT: 0
; COMPUTE_PGM_RSRC3_GFX90A:ACCUM_OFFSET: 0
; COMPUTE_PGM_RSRC3_GFX90A:TG_SPLIT: 0
	.section	.text._ZN7rocprim17ROCPRIM_400000_NS6detail17trampoline_kernelINS0_14default_configENS1_38merge_sort_block_merge_config_selectorImNS0_10empty_typeEEEZZNS1_27merge_sort_block_merge_implIS3_N6thrust23THRUST_200600_302600_NS6detail15normal_iteratorINS9_10device_ptrImEEEEPS5_m14custom_greaterImEEE10hipError_tT0_T1_T2_jT3_P12ihipStream_tbPNSt15iterator_traitsISJ_E10value_typeEPNSP_ISK_E10value_typeEPSL_NS1_7vsmem_tEENKUlT_SJ_SK_SL_E_clISE_PmSF_SF_EESI_SY_SJ_SK_SL_EUlSY_E_NS1_11comp_targetILNS1_3genE5ELNS1_11target_archE942ELNS1_3gpuE9ELNS1_3repE0EEENS1_48merge_mergepath_partition_config_static_selectorELNS0_4arch9wavefront6targetE1EEEvSK_,"axG",@progbits,_ZN7rocprim17ROCPRIM_400000_NS6detail17trampoline_kernelINS0_14default_configENS1_38merge_sort_block_merge_config_selectorImNS0_10empty_typeEEEZZNS1_27merge_sort_block_merge_implIS3_N6thrust23THRUST_200600_302600_NS6detail15normal_iteratorINS9_10device_ptrImEEEEPS5_m14custom_greaterImEEE10hipError_tT0_T1_T2_jT3_P12ihipStream_tbPNSt15iterator_traitsISJ_E10value_typeEPNSP_ISK_E10value_typeEPSL_NS1_7vsmem_tEENKUlT_SJ_SK_SL_E_clISE_PmSF_SF_EESI_SY_SJ_SK_SL_EUlSY_E_NS1_11comp_targetILNS1_3genE5ELNS1_11target_archE942ELNS1_3gpuE9ELNS1_3repE0EEENS1_48merge_mergepath_partition_config_static_selectorELNS0_4arch9wavefront6targetE1EEEvSK_,comdat
	.protected	_ZN7rocprim17ROCPRIM_400000_NS6detail17trampoline_kernelINS0_14default_configENS1_38merge_sort_block_merge_config_selectorImNS0_10empty_typeEEEZZNS1_27merge_sort_block_merge_implIS3_N6thrust23THRUST_200600_302600_NS6detail15normal_iteratorINS9_10device_ptrImEEEEPS5_m14custom_greaterImEEE10hipError_tT0_T1_T2_jT3_P12ihipStream_tbPNSt15iterator_traitsISJ_E10value_typeEPNSP_ISK_E10value_typeEPSL_NS1_7vsmem_tEENKUlT_SJ_SK_SL_E_clISE_PmSF_SF_EESI_SY_SJ_SK_SL_EUlSY_E_NS1_11comp_targetILNS1_3genE5ELNS1_11target_archE942ELNS1_3gpuE9ELNS1_3repE0EEENS1_48merge_mergepath_partition_config_static_selectorELNS0_4arch9wavefront6targetE1EEEvSK_ ; -- Begin function _ZN7rocprim17ROCPRIM_400000_NS6detail17trampoline_kernelINS0_14default_configENS1_38merge_sort_block_merge_config_selectorImNS0_10empty_typeEEEZZNS1_27merge_sort_block_merge_implIS3_N6thrust23THRUST_200600_302600_NS6detail15normal_iteratorINS9_10device_ptrImEEEEPS5_m14custom_greaterImEEE10hipError_tT0_T1_T2_jT3_P12ihipStream_tbPNSt15iterator_traitsISJ_E10value_typeEPNSP_ISK_E10value_typeEPSL_NS1_7vsmem_tEENKUlT_SJ_SK_SL_E_clISE_PmSF_SF_EESI_SY_SJ_SK_SL_EUlSY_E_NS1_11comp_targetILNS1_3genE5ELNS1_11target_archE942ELNS1_3gpuE9ELNS1_3repE0EEENS1_48merge_mergepath_partition_config_static_selectorELNS0_4arch9wavefront6targetE1EEEvSK_
	.globl	_ZN7rocprim17ROCPRIM_400000_NS6detail17trampoline_kernelINS0_14default_configENS1_38merge_sort_block_merge_config_selectorImNS0_10empty_typeEEEZZNS1_27merge_sort_block_merge_implIS3_N6thrust23THRUST_200600_302600_NS6detail15normal_iteratorINS9_10device_ptrImEEEEPS5_m14custom_greaterImEEE10hipError_tT0_T1_T2_jT3_P12ihipStream_tbPNSt15iterator_traitsISJ_E10value_typeEPNSP_ISK_E10value_typeEPSL_NS1_7vsmem_tEENKUlT_SJ_SK_SL_E_clISE_PmSF_SF_EESI_SY_SJ_SK_SL_EUlSY_E_NS1_11comp_targetILNS1_3genE5ELNS1_11target_archE942ELNS1_3gpuE9ELNS1_3repE0EEENS1_48merge_mergepath_partition_config_static_selectorELNS0_4arch9wavefront6targetE1EEEvSK_
	.p2align	8
	.type	_ZN7rocprim17ROCPRIM_400000_NS6detail17trampoline_kernelINS0_14default_configENS1_38merge_sort_block_merge_config_selectorImNS0_10empty_typeEEEZZNS1_27merge_sort_block_merge_implIS3_N6thrust23THRUST_200600_302600_NS6detail15normal_iteratorINS9_10device_ptrImEEEEPS5_m14custom_greaterImEEE10hipError_tT0_T1_T2_jT3_P12ihipStream_tbPNSt15iterator_traitsISJ_E10value_typeEPNSP_ISK_E10value_typeEPSL_NS1_7vsmem_tEENKUlT_SJ_SK_SL_E_clISE_PmSF_SF_EESI_SY_SJ_SK_SL_EUlSY_E_NS1_11comp_targetILNS1_3genE5ELNS1_11target_archE942ELNS1_3gpuE9ELNS1_3repE0EEENS1_48merge_mergepath_partition_config_static_selectorELNS0_4arch9wavefront6targetE1EEEvSK_,@function
_ZN7rocprim17ROCPRIM_400000_NS6detail17trampoline_kernelINS0_14default_configENS1_38merge_sort_block_merge_config_selectorImNS0_10empty_typeEEEZZNS1_27merge_sort_block_merge_implIS3_N6thrust23THRUST_200600_302600_NS6detail15normal_iteratorINS9_10device_ptrImEEEEPS5_m14custom_greaterImEEE10hipError_tT0_T1_T2_jT3_P12ihipStream_tbPNSt15iterator_traitsISJ_E10value_typeEPNSP_ISK_E10value_typeEPSL_NS1_7vsmem_tEENKUlT_SJ_SK_SL_E_clISE_PmSF_SF_EESI_SY_SJ_SK_SL_EUlSY_E_NS1_11comp_targetILNS1_3genE5ELNS1_11target_archE942ELNS1_3gpuE9ELNS1_3repE0EEENS1_48merge_mergepath_partition_config_static_selectorELNS0_4arch9wavefront6targetE1EEEvSK_: ; @_ZN7rocprim17ROCPRIM_400000_NS6detail17trampoline_kernelINS0_14default_configENS1_38merge_sort_block_merge_config_selectorImNS0_10empty_typeEEEZZNS1_27merge_sort_block_merge_implIS3_N6thrust23THRUST_200600_302600_NS6detail15normal_iteratorINS9_10device_ptrImEEEEPS5_m14custom_greaterImEEE10hipError_tT0_T1_T2_jT3_P12ihipStream_tbPNSt15iterator_traitsISJ_E10value_typeEPNSP_ISK_E10value_typeEPSL_NS1_7vsmem_tEENKUlT_SJ_SK_SL_E_clISE_PmSF_SF_EESI_SY_SJ_SK_SL_EUlSY_E_NS1_11comp_targetILNS1_3genE5ELNS1_11target_archE942ELNS1_3gpuE9ELNS1_3repE0EEENS1_48merge_mergepath_partition_config_static_selectorELNS0_4arch9wavefront6targetE1EEEvSK_
; %bb.0:
	.section	.rodata,"a",@progbits
	.p2align	6, 0x0
	.amdhsa_kernel _ZN7rocprim17ROCPRIM_400000_NS6detail17trampoline_kernelINS0_14default_configENS1_38merge_sort_block_merge_config_selectorImNS0_10empty_typeEEEZZNS1_27merge_sort_block_merge_implIS3_N6thrust23THRUST_200600_302600_NS6detail15normal_iteratorINS9_10device_ptrImEEEEPS5_m14custom_greaterImEEE10hipError_tT0_T1_T2_jT3_P12ihipStream_tbPNSt15iterator_traitsISJ_E10value_typeEPNSP_ISK_E10value_typeEPSL_NS1_7vsmem_tEENKUlT_SJ_SK_SL_E_clISE_PmSF_SF_EESI_SY_SJ_SK_SL_EUlSY_E_NS1_11comp_targetILNS1_3genE5ELNS1_11target_archE942ELNS1_3gpuE9ELNS1_3repE0EEENS1_48merge_mergepath_partition_config_static_selectorELNS0_4arch9wavefront6targetE1EEEvSK_
		.amdhsa_group_segment_fixed_size 0
		.amdhsa_private_segment_fixed_size 0
		.amdhsa_kernarg_size 48
		.amdhsa_user_sgpr_count 6
		.amdhsa_user_sgpr_private_segment_buffer 1
		.amdhsa_user_sgpr_dispatch_ptr 0
		.amdhsa_user_sgpr_queue_ptr 0
		.amdhsa_user_sgpr_kernarg_segment_ptr 1
		.amdhsa_user_sgpr_dispatch_id 0
		.amdhsa_user_sgpr_flat_scratch_init 0
		.amdhsa_user_sgpr_kernarg_preload_length 0
		.amdhsa_user_sgpr_kernarg_preload_offset 0
		.amdhsa_user_sgpr_private_segment_size 0
		.amdhsa_uses_dynamic_stack 0
		.amdhsa_system_sgpr_private_segment_wavefront_offset 0
		.amdhsa_system_sgpr_workgroup_id_x 1
		.amdhsa_system_sgpr_workgroup_id_y 0
		.amdhsa_system_sgpr_workgroup_id_z 0
		.amdhsa_system_sgpr_workgroup_info 0
		.amdhsa_system_vgpr_workitem_id 0
		.amdhsa_next_free_vgpr 1
		.amdhsa_next_free_sgpr 0
		.amdhsa_accum_offset 4
		.amdhsa_reserve_vcc 0
		.amdhsa_reserve_flat_scratch 0
		.amdhsa_float_round_mode_32 0
		.amdhsa_float_round_mode_16_64 0
		.amdhsa_float_denorm_mode_32 3
		.amdhsa_float_denorm_mode_16_64 3
		.amdhsa_dx10_clamp 1
		.amdhsa_ieee_mode 1
		.amdhsa_fp16_overflow 0
		.amdhsa_tg_split 0
		.amdhsa_exception_fp_ieee_invalid_op 0
		.amdhsa_exception_fp_denorm_src 0
		.amdhsa_exception_fp_ieee_div_zero 0
		.amdhsa_exception_fp_ieee_overflow 0
		.amdhsa_exception_fp_ieee_underflow 0
		.amdhsa_exception_fp_ieee_inexact 0
		.amdhsa_exception_int_div_zero 0
	.end_amdhsa_kernel
	.section	.text._ZN7rocprim17ROCPRIM_400000_NS6detail17trampoline_kernelINS0_14default_configENS1_38merge_sort_block_merge_config_selectorImNS0_10empty_typeEEEZZNS1_27merge_sort_block_merge_implIS3_N6thrust23THRUST_200600_302600_NS6detail15normal_iteratorINS9_10device_ptrImEEEEPS5_m14custom_greaterImEEE10hipError_tT0_T1_T2_jT3_P12ihipStream_tbPNSt15iterator_traitsISJ_E10value_typeEPNSP_ISK_E10value_typeEPSL_NS1_7vsmem_tEENKUlT_SJ_SK_SL_E_clISE_PmSF_SF_EESI_SY_SJ_SK_SL_EUlSY_E_NS1_11comp_targetILNS1_3genE5ELNS1_11target_archE942ELNS1_3gpuE9ELNS1_3repE0EEENS1_48merge_mergepath_partition_config_static_selectorELNS0_4arch9wavefront6targetE1EEEvSK_,"axG",@progbits,_ZN7rocprim17ROCPRIM_400000_NS6detail17trampoline_kernelINS0_14default_configENS1_38merge_sort_block_merge_config_selectorImNS0_10empty_typeEEEZZNS1_27merge_sort_block_merge_implIS3_N6thrust23THRUST_200600_302600_NS6detail15normal_iteratorINS9_10device_ptrImEEEEPS5_m14custom_greaterImEEE10hipError_tT0_T1_T2_jT3_P12ihipStream_tbPNSt15iterator_traitsISJ_E10value_typeEPNSP_ISK_E10value_typeEPSL_NS1_7vsmem_tEENKUlT_SJ_SK_SL_E_clISE_PmSF_SF_EESI_SY_SJ_SK_SL_EUlSY_E_NS1_11comp_targetILNS1_3genE5ELNS1_11target_archE942ELNS1_3gpuE9ELNS1_3repE0EEENS1_48merge_mergepath_partition_config_static_selectorELNS0_4arch9wavefront6targetE1EEEvSK_,comdat
.Lfunc_end3339:
	.size	_ZN7rocprim17ROCPRIM_400000_NS6detail17trampoline_kernelINS0_14default_configENS1_38merge_sort_block_merge_config_selectorImNS0_10empty_typeEEEZZNS1_27merge_sort_block_merge_implIS3_N6thrust23THRUST_200600_302600_NS6detail15normal_iteratorINS9_10device_ptrImEEEEPS5_m14custom_greaterImEEE10hipError_tT0_T1_T2_jT3_P12ihipStream_tbPNSt15iterator_traitsISJ_E10value_typeEPNSP_ISK_E10value_typeEPSL_NS1_7vsmem_tEENKUlT_SJ_SK_SL_E_clISE_PmSF_SF_EESI_SY_SJ_SK_SL_EUlSY_E_NS1_11comp_targetILNS1_3genE5ELNS1_11target_archE942ELNS1_3gpuE9ELNS1_3repE0EEENS1_48merge_mergepath_partition_config_static_selectorELNS0_4arch9wavefront6targetE1EEEvSK_, .Lfunc_end3339-_ZN7rocprim17ROCPRIM_400000_NS6detail17trampoline_kernelINS0_14default_configENS1_38merge_sort_block_merge_config_selectorImNS0_10empty_typeEEEZZNS1_27merge_sort_block_merge_implIS3_N6thrust23THRUST_200600_302600_NS6detail15normal_iteratorINS9_10device_ptrImEEEEPS5_m14custom_greaterImEEE10hipError_tT0_T1_T2_jT3_P12ihipStream_tbPNSt15iterator_traitsISJ_E10value_typeEPNSP_ISK_E10value_typeEPSL_NS1_7vsmem_tEENKUlT_SJ_SK_SL_E_clISE_PmSF_SF_EESI_SY_SJ_SK_SL_EUlSY_E_NS1_11comp_targetILNS1_3genE5ELNS1_11target_archE942ELNS1_3gpuE9ELNS1_3repE0EEENS1_48merge_mergepath_partition_config_static_selectorELNS0_4arch9wavefront6targetE1EEEvSK_
                                        ; -- End function
	.section	.AMDGPU.csdata,"",@progbits
; Kernel info:
; codeLenInByte = 0
; NumSgprs: 4
; NumVgprs: 0
; NumAgprs: 0
; TotalNumVgprs: 0
; ScratchSize: 0
; MemoryBound: 0
; FloatMode: 240
; IeeeMode: 1
; LDSByteSize: 0 bytes/workgroup (compile time only)
; SGPRBlocks: 0
; VGPRBlocks: 0
; NumSGPRsForWavesPerEU: 4
; NumVGPRsForWavesPerEU: 1
; AccumOffset: 4
; Occupancy: 8
; WaveLimiterHint : 0
; COMPUTE_PGM_RSRC2:SCRATCH_EN: 0
; COMPUTE_PGM_RSRC2:USER_SGPR: 6
; COMPUTE_PGM_RSRC2:TRAP_HANDLER: 0
; COMPUTE_PGM_RSRC2:TGID_X_EN: 1
; COMPUTE_PGM_RSRC2:TGID_Y_EN: 0
; COMPUTE_PGM_RSRC2:TGID_Z_EN: 0
; COMPUTE_PGM_RSRC2:TIDIG_COMP_CNT: 0
; COMPUTE_PGM_RSRC3_GFX90A:ACCUM_OFFSET: 0
; COMPUTE_PGM_RSRC3_GFX90A:TG_SPLIT: 0
	.section	.text._ZN7rocprim17ROCPRIM_400000_NS6detail17trampoline_kernelINS0_14default_configENS1_38merge_sort_block_merge_config_selectorImNS0_10empty_typeEEEZZNS1_27merge_sort_block_merge_implIS3_N6thrust23THRUST_200600_302600_NS6detail15normal_iteratorINS9_10device_ptrImEEEEPS5_m14custom_greaterImEEE10hipError_tT0_T1_T2_jT3_P12ihipStream_tbPNSt15iterator_traitsISJ_E10value_typeEPNSP_ISK_E10value_typeEPSL_NS1_7vsmem_tEENKUlT_SJ_SK_SL_E_clISE_PmSF_SF_EESI_SY_SJ_SK_SL_EUlSY_E_NS1_11comp_targetILNS1_3genE4ELNS1_11target_archE910ELNS1_3gpuE8ELNS1_3repE0EEENS1_48merge_mergepath_partition_config_static_selectorELNS0_4arch9wavefront6targetE1EEEvSK_,"axG",@progbits,_ZN7rocprim17ROCPRIM_400000_NS6detail17trampoline_kernelINS0_14default_configENS1_38merge_sort_block_merge_config_selectorImNS0_10empty_typeEEEZZNS1_27merge_sort_block_merge_implIS3_N6thrust23THRUST_200600_302600_NS6detail15normal_iteratorINS9_10device_ptrImEEEEPS5_m14custom_greaterImEEE10hipError_tT0_T1_T2_jT3_P12ihipStream_tbPNSt15iterator_traitsISJ_E10value_typeEPNSP_ISK_E10value_typeEPSL_NS1_7vsmem_tEENKUlT_SJ_SK_SL_E_clISE_PmSF_SF_EESI_SY_SJ_SK_SL_EUlSY_E_NS1_11comp_targetILNS1_3genE4ELNS1_11target_archE910ELNS1_3gpuE8ELNS1_3repE0EEENS1_48merge_mergepath_partition_config_static_selectorELNS0_4arch9wavefront6targetE1EEEvSK_,comdat
	.protected	_ZN7rocprim17ROCPRIM_400000_NS6detail17trampoline_kernelINS0_14default_configENS1_38merge_sort_block_merge_config_selectorImNS0_10empty_typeEEEZZNS1_27merge_sort_block_merge_implIS3_N6thrust23THRUST_200600_302600_NS6detail15normal_iteratorINS9_10device_ptrImEEEEPS5_m14custom_greaterImEEE10hipError_tT0_T1_T2_jT3_P12ihipStream_tbPNSt15iterator_traitsISJ_E10value_typeEPNSP_ISK_E10value_typeEPSL_NS1_7vsmem_tEENKUlT_SJ_SK_SL_E_clISE_PmSF_SF_EESI_SY_SJ_SK_SL_EUlSY_E_NS1_11comp_targetILNS1_3genE4ELNS1_11target_archE910ELNS1_3gpuE8ELNS1_3repE0EEENS1_48merge_mergepath_partition_config_static_selectorELNS0_4arch9wavefront6targetE1EEEvSK_ ; -- Begin function _ZN7rocprim17ROCPRIM_400000_NS6detail17trampoline_kernelINS0_14default_configENS1_38merge_sort_block_merge_config_selectorImNS0_10empty_typeEEEZZNS1_27merge_sort_block_merge_implIS3_N6thrust23THRUST_200600_302600_NS6detail15normal_iteratorINS9_10device_ptrImEEEEPS5_m14custom_greaterImEEE10hipError_tT0_T1_T2_jT3_P12ihipStream_tbPNSt15iterator_traitsISJ_E10value_typeEPNSP_ISK_E10value_typeEPSL_NS1_7vsmem_tEENKUlT_SJ_SK_SL_E_clISE_PmSF_SF_EESI_SY_SJ_SK_SL_EUlSY_E_NS1_11comp_targetILNS1_3genE4ELNS1_11target_archE910ELNS1_3gpuE8ELNS1_3repE0EEENS1_48merge_mergepath_partition_config_static_selectorELNS0_4arch9wavefront6targetE1EEEvSK_
	.globl	_ZN7rocprim17ROCPRIM_400000_NS6detail17trampoline_kernelINS0_14default_configENS1_38merge_sort_block_merge_config_selectorImNS0_10empty_typeEEEZZNS1_27merge_sort_block_merge_implIS3_N6thrust23THRUST_200600_302600_NS6detail15normal_iteratorINS9_10device_ptrImEEEEPS5_m14custom_greaterImEEE10hipError_tT0_T1_T2_jT3_P12ihipStream_tbPNSt15iterator_traitsISJ_E10value_typeEPNSP_ISK_E10value_typeEPSL_NS1_7vsmem_tEENKUlT_SJ_SK_SL_E_clISE_PmSF_SF_EESI_SY_SJ_SK_SL_EUlSY_E_NS1_11comp_targetILNS1_3genE4ELNS1_11target_archE910ELNS1_3gpuE8ELNS1_3repE0EEENS1_48merge_mergepath_partition_config_static_selectorELNS0_4arch9wavefront6targetE1EEEvSK_
	.p2align	8
	.type	_ZN7rocprim17ROCPRIM_400000_NS6detail17trampoline_kernelINS0_14default_configENS1_38merge_sort_block_merge_config_selectorImNS0_10empty_typeEEEZZNS1_27merge_sort_block_merge_implIS3_N6thrust23THRUST_200600_302600_NS6detail15normal_iteratorINS9_10device_ptrImEEEEPS5_m14custom_greaterImEEE10hipError_tT0_T1_T2_jT3_P12ihipStream_tbPNSt15iterator_traitsISJ_E10value_typeEPNSP_ISK_E10value_typeEPSL_NS1_7vsmem_tEENKUlT_SJ_SK_SL_E_clISE_PmSF_SF_EESI_SY_SJ_SK_SL_EUlSY_E_NS1_11comp_targetILNS1_3genE4ELNS1_11target_archE910ELNS1_3gpuE8ELNS1_3repE0EEENS1_48merge_mergepath_partition_config_static_selectorELNS0_4arch9wavefront6targetE1EEEvSK_,@function
_ZN7rocprim17ROCPRIM_400000_NS6detail17trampoline_kernelINS0_14default_configENS1_38merge_sort_block_merge_config_selectorImNS0_10empty_typeEEEZZNS1_27merge_sort_block_merge_implIS3_N6thrust23THRUST_200600_302600_NS6detail15normal_iteratorINS9_10device_ptrImEEEEPS5_m14custom_greaterImEEE10hipError_tT0_T1_T2_jT3_P12ihipStream_tbPNSt15iterator_traitsISJ_E10value_typeEPNSP_ISK_E10value_typeEPSL_NS1_7vsmem_tEENKUlT_SJ_SK_SL_E_clISE_PmSF_SF_EESI_SY_SJ_SK_SL_EUlSY_E_NS1_11comp_targetILNS1_3genE4ELNS1_11target_archE910ELNS1_3gpuE8ELNS1_3repE0EEENS1_48merge_mergepath_partition_config_static_selectorELNS0_4arch9wavefront6targetE1EEEvSK_: ; @_ZN7rocprim17ROCPRIM_400000_NS6detail17trampoline_kernelINS0_14default_configENS1_38merge_sort_block_merge_config_selectorImNS0_10empty_typeEEEZZNS1_27merge_sort_block_merge_implIS3_N6thrust23THRUST_200600_302600_NS6detail15normal_iteratorINS9_10device_ptrImEEEEPS5_m14custom_greaterImEEE10hipError_tT0_T1_T2_jT3_P12ihipStream_tbPNSt15iterator_traitsISJ_E10value_typeEPNSP_ISK_E10value_typeEPSL_NS1_7vsmem_tEENKUlT_SJ_SK_SL_E_clISE_PmSF_SF_EESI_SY_SJ_SK_SL_EUlSY_E_NS1_11comp_targetILNS1_3genE4ELNS1_11target_archE910ELNS1_3gpuE8ELNS1_3repE0EEENS1_48merge_mergepath_partition_config_static_selectorELNS0_4arch9wavefront6targetE1EEEvSK_
; %bb.0:
	s_load_dword s0, s[4:5], 0x0
	v_lshl_or_b32 v0, s6, 7, v0
	s_waitcnt lgkmcnt(0)
	v_cmp_gt_u32_e32 vcc, s0, v0
	s_and_saveexec_b64 s[0:1], vcc
	s_cbranch_execz .LBB3340_6
; %bb.1:
	s_load_dwordx4 s[0:3], s[4:5], 0x8
	s_load_dwordx2 s[6:7], s[4:5], 0x28
	v_mov_b32_e32 v5, 0
	s_waitcnt lgkmcnt(0)
	v_mov_b32_e32 v1, s0
	v_alignbit_b32 v1, s1, v1, 9
	v_and_b32_e32 v1, -2, v1
	v_add_u32_e32 v2, -1, v1
	v_sub_u32_e32 v1, 0, v1
	v_and_b32_e32 v4, v0, v1
	v_lshlrev_b64 v[8:9], 10, v[4:5]
	v_mov_b32_e32 v1, s3
	v_cmp_lt_u64_e32 vcc, s[2:3], v[8:9]
	v_mov_b32_e32 v4, s2
	v_and_b32_e32 v6, v2, v0
	v_cndmask_b32_e32 v3, v9, v1, vcc
	v_cndmask_b32_e32 v2, v8, v4, vcc
	v_mov_b32_e32 v7, s1
	v_add_co_u32_e32 v8, vcc, s0, v8
	v_addc_co_u32_e32 v9, vcc, v9, v7, vcc
	v_cmp_lt_u64_e32 vcc, s[2:3], v[8:9]
	v_cndmask_b32_e32 v8, v8, v4, vcc
	v_cndmask_b32_e32 v9, v9, v1, vcc
	v_add_co_u32_e32 v10, vcc, s0, v8
	v_addc_co_u32_e32 v11, vcc, v9, v7, vcc
	v_cmp_lt_u64_e32 vcc, s[2:3], v[10:11]
	v_cndmask_b32_e32 v12, v10, v4, vcc
	v_cndmask_b32_e32 v1, v11, v1, vcc
	v_sub_co_u32_e32 v10, vcc, v12, v2
	v_mov_b32_e32 v7, v5
	v_subb_co_u32_e32 v11, vcc, v1, v3, vcc
	v_lshlrev_b64 v[4:5], 10, v[6:7]
	v_cmp_lt_u64_e32 vcc, v[10:11], v[4:5]
	v_cndmask_b32_e32 v11, v5, v11, vcc
	v_cndmask_b32_e32 v10, v4, v10, vcc
	v_sub_co_u32_e32 v6, vcc, v8, v2
	v_subb_co_u32_e32 v7, vcc, v9, v3, vcc
	v_sub_co_u32_e32 v4, vcc, v8, v12
	v_subb_co_u32_e32 v1, vcc, v9, v1, vcc
	v_add_co_u32_e32 v4, vcc, v10, v4
	v_addc_co_u32_e32 v5, vcc, v11, v1, vcc
	v_cmp_gt_u64_e32 vcc, v[4:5], v[10:11]
	v_cndmask_b32_e64 v5, v5, 0, vcc
	v_cndmask_b32_e64 v4, v4, 0, vcc
	v_cmp_lt_u64_e32 vcc, v[10:11], v[6:7]
	v_cndmask_b32_e32 v7, v7, v11, vcc
	v_cndmask_b32_e32 v6, v6, v10, vcc
	v_cmp_lt_u64_e32 vcc, v[4:5], v[6:7]
	s_and_saveexec_b64 s[0:1], vcc
	s_cbranch_execz .LBB3340_5
; %bb.2:
	s_load_dwordx2 s[2:3], s[4:5], 0x18
	v_lshlrev_b64 v[12:13], 3, v[2:3]
	v_lshlrev_b64 v[8:9], 3, v[8:9]
	s_waitcnt lgkmcnt(0)
	v_mov_b32_e32 v14, s3
	v_add_co_u32_e32 v1, vcc, s2, v12
	v_addc_co_u32_e32 v12, vcc, v14, v13, vcc
	v_add_co_u32_e32 v13, vcc, s2, v8
	v_addc_co_u32_e32 v14, vcc, v14, v9, vcc
	v_lshlrev_b64 v[8:9], 3, v[10:11]
	v_add_co_u32_e32 v8, vcc, v13, v8
	v_addc_co_u32_e32 v9, vcc, v14, v9, vcc
	s_mov_b64 s[2:3], 0
.LBB3340_3:                             ; =>This Inner Loop Header: Depth=1
	v_add_co_u32_e32 v10, vcc, v6, v4
	v_addc_co_u32_e32 v11, vcc, v7, v5, vcc
	v_lshrrev_b64 v[10:11], 1, v[10:11]
	v_lshlrev_b64 v[16:17], 3, v[10:11]
	v_not_b32_e32 v15, v11
	v_not_b32_e32 v14, v10
	v_add_co_u32_e32 v16, vcc, v1, v16
	v_addc_co_u32_e32 v17, vcc, v12, v17, vcc
	v_lshlrev_b64 v[14:15], 3, v[14:15]
	v_add_co_u32_e32 v14, vcc, v8, v14
	v_addc_co_u32_e32 v15, vcc, v9, v15, vcc
	flat_load_dwordx2 v[18:19], v[16:17]
	flat_load_dwordx2 v[20:21], v[14:15]
	v_add_co_u32_e32 v13, vcc, 1, v10
	v_addc_co_u32_e32 v14, vcc, 0, v11, vcc
	s_waitcnt vmcnt(0) lgkmcnt(0)
	v_cmp_gt_u64_e32 vcc, v[18:19], v[20:21]
	v_cndmask_b32_e32 v7, v7, v11, vcc
	v_cndmask_b32_e32 v6, v6, v10, vcc
	;; [unrolled: 1-line block ×4, first 2 shown]
	v_cmp_ge_u64_e32 vcc, v[4:5], v[6:7]
	s_or_b64 s[2:3], vcc, s[2:3]
	s_andn2_b64 exec, exec, s[2:3]
	s_cbranch_execnz .LBB3340_3
; %bb.4:
	s_or_b64 exec, exec, s[2:3]
.LBB3340_5:
	s_or_b64 exec, exec, s[0:1]
	v_add_co_u32_e32 v2, vcc, v4, v2
	v_mov_b32_e32 v1, 0
	v_addc_co_u32_e32 v3, vcc, v5, v3, vcc
	v_lshlrev_b64 v[0:1], 3, v[0:1]
	v_mov_b32_e32 v4, s7
	v_add_co_u32_e32 v0, vcc, s6, v0
	v_addc_co_u32_e32 v1, vcc, v4, v1, vcc
	global_store_dwordx2 v[0:1], v[2:3], off
.LBB3340_6:
	s_endpgm
	.section	.rodata,"a",@progbits
	.p2align	6, 0x0
	.amdhsa_kernel _ZN7rocprim17ROCPRIM_400000_NS6detail17trampoline_kernelINS0_14default_configENS1_38merge_sort_block_merge_config_selectorImNS0_10empty_typeEEEZZNS1_27merge_sort_block_merge_implIS3_N6thrust23THRUST_200600_302600_NS6detail15normal_iteratorINS9_10device_ptrImEEEEPS5_m14custom_greaterImEEE10hipError_tT0_T1_T2_jT3_P12ihipStream_tbPNSt15iterator_traitsISJ_E10value_typeEPNSP_ISK_E10value_typeEPSL_NS1_7vsmem_tEENKUlT_SJ_SK_SL_E_clISE_PmSF_SF_EESI_SY_SJ_SK_SL_EUlSY_E_NS1_11comp_targetILNS1_3genE4ELNS1_11target_archE910ELNS1_3gpuE8ELNS1_3repE0EEENS1_48merge_mergepath_partition_config_static_selectorELNS0_4arch9wavefront6targetE1EEEvSK_
		.amdhsa_group_segment_fixed_size 0
		.amdhsa_private_segment_fixed_size 0
		.amdhsa_kernarg_size 48
		.amdhsa_user_sgpr_count 6
		.amdhsa_user_sgpr_private_segment_buffer 1
		.amdhsa_user_sgpr_dispatch_ptr 0
		.amdhsa_user_sgpr_queue_ptr 0
		.amdhsa_user_sgpr_kernarg_segment_ptr 1
		.amdhsa_user_sgpr_dispatch_id 0
		.amdhsa_user_sgpr_flat_scratch_init 0
		.amdhsa_user_sgpr_kernarg_preload_length 0
		.amdhsa_user_sgpr_kernarg_preload_offset 0
		.amdhsa_user_sgpr_private_segment_size 0
		.amdhsa_uses_dynamic_stack 0
		.amdhsa_system_sgpr_private_segment_wavefront_offset 0
		.amdhsa_system_sgpr_workgroup_id_x 1
		.amdhsa_system_sgpr_workgroup_id_y 0
		.amdhsa_system_sgpr_workgroup_id_z 0
		.amdhsa_system_sgpr_workgroup_info 0
		.amdhsa_system_vgpr_workitem_id 0
		.amdhsa_next_free_vgpr 22
		.amdhsa_next_free_sgpr 8
		.amdhsa_accum_offset 24
		.amdhsa_reserve_vcc 1
		.amdhsa_reserve_flat_scratch 0
		.amdhsa_float_round_mode_32 0
		.amdhsa_float_round_mode_16_64 0
		.amdhsa_float_denorm_mode_32 3
		.amdhsa_float_denorm_mode_16_64 3
		.amdhsa_dx10_clamp 1
		.amdhsa_ieee_mode 1
		.amdhsa_fp16_overflow 0
		.amdhsa_tg_split 0
		.amdhsa_exception_fp_ieee_invalid_op 0
		.amdhsa_exception_fp_denorm_src 0
		.amdhsa_exception_fp_ieee_div_zero 0
		.amdhsa_exception_fp_ieee_overflow 0
		.amdhsa_exception_fp_ieee_underflow 0
		.amdhsa_exception_fp_ieee_inexact 0
		.amdhsa_exception_int_div_zero 0
	.end_amdhsa_kernel
	.section	.text._ZN7rocprim17ROCPRIM_400000_NS6detail17trampoline_kernelINS0_14default_configENS1_38merge_sort_block_merge_config_selectorImNS0_10empty_typeEEEZZNS1_27merge_sort_block_merge_implIS3_N6thrust23THRUST_200600_302600_NS6detail15normal_iteratorINS9_10device_ptrImEEEEPS5_m14custom_greaterImEEE10hipError_tT0_T1_T2_jT3_P12ihipStream_tbPNSt15iterator_traitsISJ_E10value_typeEPNSP_ISK_E10value_typeEPSL_NS1_7vsmem_tEENKUlT_SJ_SK_SL_E_clISE_PmSF_SF_EESI_SY_SJ_SK_SL_EUlSY_E_NS1_11comp_targetILNS1_3genE4ELNS1_11target_archE910ELNS1_3gpuE8ELNS1_3repE0EEENS1_48merge_mergepath_partition_config_static_selectorELNS0_4arch9wavefront6targetE1EEEvSK_,"axG",@progbits,_ZN7rocprim17ROCPRIM_400000_NS6detail17trampoline_kernelINS0_14default_configENS1_38merge_sort_block_merge_config_selectorImNS0_10empty_typeEEEZZNS1_27merge_sort_block_merge_implIS3_N6thrust23THRUST_200600_302600_NS6detail15normal_iteratorINS9_10device_ptrImEEEEPS5_m14custom_greaterImEEE10hipError_tT0_T1_T2_jT3_P12ihipStream_tbPNSt15iterator_traitsISJ_E10value_typeEPNSP_ISK_E10value_typeEPSL_NS1_7vsmem_tEENKUlT_SJ_SK_SL_E_clISE_PmSF_SF_EESI_SY_SJ_SK_SL_EUlSY_E_NS1_11comp_targetILNS1_3genE4ELNS1_11target_archE910ELNS1_3gpuE8ELNS1_3repE0EEENS1_48merge_mergepath_partition_config_static_selectorELNS0_4arch9wavefront6targetE1EEEvSK_,comdat
.Lfunc_end3340:
	.size	_ZN7rocprim17ROCPRIM_400000_NS6detail17trampoline_kernelINS0_14default_configENS1_38merge_sort_block_merge_config_selectorImNS0_10empty_typeEEEZZNS1_27merge_sort_block_merge_implIS3_N6thrust23THRUST_200600_302600_NS6detail15normal_iteratorINS9_10device_ptrImEEEEPS5_m14custom_greaterImEEE10hipError_tT0_T1_T2_jT3_P12ihipStream_tbPNSt15iterator_traitsISJ_E10value_typeEPNSP_ISK_E10value_typeEPSL_NS1_7vsmem_tEENKUlT_SJ_SK_SL_E_clISE_PmSF_SF_EESI_SY_SJ_SK_SL_EUlSY_E_NS1_11comp_targetILNS1_3genE4ELNS1_11target_archE910ELNS1_3gpuE8ELNS1_3repE0EEENS1_48merge_mergepath_partition_config_static_selectorELNS0_4arch9wavefront6targetE1EEEvSK_, .Lfunc_end3340-_ZN7rocprim17ROCPRIM_400000_NS6detail17trampoline_kernelINS0_14default_configENS1_38merge_sort_block_merge_config_selectorImNS0_10empty_typeEEEZZNS1_27merge_sort_block_merge_implIS3_N6thrust23THRUST_200600_302600_NS6detail15normal_iteratorINS9_10device_ptrImEEEEPS5_m14custom_greaterImEEE10hipError_tT0_T1_T2_jT3_P12ihipStream_tbPNSt15iterator_traitsISJ_E10value_typeEPNSP_ISK_E10value_typeEPSL_NS1_7vsmem_tEENKUlT_SJ_SK_SL_E_clISE_PmSF_SF_EESI_SY_SJ_SK_SL_EUlSY_E_NS1_11comp_targetILNS1_3genE4ELNS1_11target_archE910ELNS1_3gpuE8ELNS1_3repE0EEENS1_48merge_mergepath_partition_config_static_selectorELNS0_4arch9wavefront6targetE1EEEvSK_
                                        ; -- End function
	.section	.AMDGPU.csdata,"",@progbits
; Kernel info:
; codeLenInByte = 500
; NumSgprs: 12
; NumVgprs: 22
; NumAgprs: 0
; TotalNumVgprs: 22
; ScratchSize: 0
; MemoryBound: 0
; FloatMode: 240
; IeeeMode: 1
; LDSByteSize: 0 bytes/workgroup (compile time only)
; SGPRBlocks: 1
; VGPRBlocks: 2
; NumSGPRsForWavesPerEU: 12
; NumVGPRsForWavesPerEU: 22
; AccumOffset: 24
; Occupancy: 8
; WaveLimiterHint : 0
; COMPUTE_PGM_RSRC2:SCRATCH_EN: 0
; COMPUTE_PGM_RSRC2:USER_SGPR: 6
; COMPUTE_PGM_RSRC2:TRAP_HANDLER: 0
; COMPUTE_PGM_RSRC2:TGID_X_EN: 1
; COMPUTE_PGM_RSRC2:TGID_Y_EN: 0
; COMPUTE_PGM_RSRC2:TGID_Z_EN: 0
; COMPUTE_PGM_RSRC2:TIDIG_COMP_CNT: 0
; COMPUTE_PGM_RSRC3_GFX90A:ACCUM_OFFSET: 5
; COMPUTE_PGM_RSRC3_GFX90A:TG_SPLIT: 0
	.section	.text._ZN7rocprim17ROCPRIM_400000_NS6detail17trampoline_kernelINS0_14default_configENS1_38merge_sort_block_merge_config_selectorImNS0_10empty_typeEEEZZNS1_27merge_sort_block_merge_implIS3_N6thrust23THRUST_200600_302600_NS6detail15normal_iteratorINS9_10device_ptrImEEEEPS5_m14custom_greaterImEEE10hipError_tT0_T1_T2_jT3_P12ihipStream_tbPNSt15iterator_traitsISJ_E10value_typeEPNSP_ISK_E10value_typeEPSL_NS1_7vsmem_tEENKUlT_SJ_SK_SL_E_clISE_PmSF_SF_EESI_SY_SJ_SK_SL_EUlSY_E_NS1_11comp_targetILNS1_3genE3ELNS1_11target_archE908ELNS1_3gpuE7ELNS1_3repE0EEENS1_48merge_mergepath_partition_config_static_selectorELNS0_4arch9wavefront6targetE1EEEvSK_,"axG",@progbits,_ZN7rocprim17ROCPRIM_400000_NS6detail17trampoline_kernelINS0_14default_configENS1_38merge_sort_block_merge_config_selectorImNS0_10empty_typeEEEZZNS1_27merge_sort_block_merge_implIS3_N6thrust23THRUST_200600_302600_NS6detail15normal_iteratorINS9_10device_ptrImEEEEPS5_m14custom_greaterImEEE10hipError_tT0_T1_T2_jT3_P12ihipStream_tbPNSt15iterator_traitsISJ_E10value_typeEPNSP_ISK_E10value_typeEPSL_NS1_7vsmem_tEENKUlT_SJ_SK_SL_E_clISE_PmSF_SF_EESI_SY_SJ_SK_SL_EUlSY_E_NS1_11comp_targetILNS1_3genE3ELNS1_11target_archE908ELNS1_3gpuE7ELNS1_3repE0EEENS1_48merge_mergepath_partition_config_static_selectorELNS0_4arch9wavefront6targetE1EEEvSK_,comdat
	.protected	_ZN7rocprim17ROCPRIM_400000_NS6detail17trampoline_kernelINS0_14default_configENS1_38merge_sort_block_merge_config_selectorImNS0_10empty_typeEEEZZNS1_27merge_sort_block_merge_implIS3_N6thrust23THRUST_200600_302600_NS6detail15normal_iteratorINS9_10device_ptrImEEEEPS5_m14custom_greaterImEEE10hipError_tT0_T1_T2_jT3_P12ihipStream_tbPNSt15iterator_traitsISJ_E10value_typeEPNSP_ISK_E10value_typeEPSL_NS1_7vsmem_tEENKUlT_SJ_SK_SL_E_clISE_PmSF_SF_EESI_SY_SJ_SK_SL_EUlSY_E_NS1_11comp_targetILNS1_3genE3ELNS1_11target_archE908ELNS1_3gpuE7ELNS1_3repE0EEENS1_48merge_mergepath_partition_config_static_selectorELNS0_4arch9wavefront6targetE1EEEvSK_ ; -- Begin function _ZN7rocprim17ROCPRIM_400000_NS6detail17trampoline_kernelINS0_14default_configENS1_38merge_sort_block_merge_config_selectorImNS0_10empty_typeEEEZZNS1_27merge_sort_block_merge_implIS3_N6thrust23THRUST_200600_302600_NS6detail15normal_iteratorINS9_10device_ptrImEEEEPS5_m14custom_greaterImEEE10hipError_tT0_T1_T2_jT3_P12ihipStream_tbPNSt15iterator_traitsISJ_E10value_typeEPNSP_ISK_E10value_typeEPSL_NS1_7vsmem_tEENKUlT_SJ_SK_SL_E_clISE_PmSF_SF_EESI_SY_SJ_SK_SL_EUlSY_E_NS1_11comp_targetILNS1_3genE3ELNS1_11target_archE908ELNS1_3gpuE7ELNS1_3repE0EEENS1_48merge_mergepath_partition_config_static_selectorELNS0_4arch9wavefront6targetE1EEEvSK_
	.globl	_ZN7rocprim17ROCPRIM_400000_NS6detail17trampoline_kernelINS0_14default_configENS1_38merge_sort_block_merge_config_selectorImNS0_10empty_typeEEEZZNS1_27merge_sort_block_merge_implIS3_N6thrust23THRUST_200600_302600_NS6detail15normal_iteratorINS9_10device_ptrImEEEEPS5_m14custom_greaterImEEE10hipError_tT0_T1_T2_jT3_P12ihipStream_tbPNSt15iterator_traitsISJ_E10value_typeEPNSP_ISK_E10value_typeEPSL_NS1_7vsmem_tEENKUlT_SJ_SK_SL_E_clISE_PmSF_SF_EESI_SY_SJ_SK_SL_EUlSY_E_NS1_11comp_targetILNS1_3genE3ELNS1_11target_archE908ELNS1_3gpuE7ELNS1_3repE0EEENS1_48merge_mergepath_partition_config_static_selectorELNS0_4arch9wavefront6targetE1EEEvSK_
	.p2align	8
	.type	_ZN7rocprim17ROCPRIM_400000_NS6detail17trampoline_kernelINS0_14default_configENS1_38merge_sort_block_merge_config_selectorImNS0_10empty_typeEEEZZNS1_27merge_sort_block_merge_implIS3_N6thrust23THRUST_200600_302600_NS6detail15normal_iteratorINS9_10device_ptrImEEEEPS5_m14custom_greaterImEEE10hipError_tT0_T1_T2_jT3_P12ihipStream_tbPNSt15iterator_traitsISJ_E10value_typeEPNSP_ISK_E10value_typeEPSL_NS1_7vsmem_tEENKUlT_SJ_SK_SL_E_clISE_PmSF_SF_EESI_SY_SJ_SK_SL_EUlSY_E_NS1_11comp_targetILNS1_3genE3ELNS1_11target_archE908ELNS1_3gpuE7ELNS1_3repE0EEENS1_48merge_mergepath_partition_config_static_selectorELNS0_4arch9wavefront6targetE1EEEvSK_,@function
_ZN7rocprim17ROCPRIM_400000_NS6detail17trampoline_kernelINS0_14default_configENS1_38merge_sort_block_merge_config_selectorImNS0_10empty_typeEEEZZNS1_27merge_sort_block_merge_implIS3_N6thrust23THRUST_200600_302600_NS6detail15normal_iteratorINS9_10device_ptrImEEEEPS5_m14custom_greaterImEEE10hipError_tT0_T1_T2_jT3_P12ihipStream_tbPNSt15iterator_traitsISJ_E10value_typeEPNSP_ISK_E10value_typeEPSL_NS1_7vsmem_tEENKUlT_SJ_SK_SL_E_clISE_PmSF_SF_EESI_SY_SJ_SK_SL_EUlSY_E_NS1_11comp_targetILNS1_3genE3ELNS1_11target_archE908ELNS1_3gpuE7ELNS1_3repE0EEENS1_48merge_mergepath_partition_config_static_selectorELNS0_4arch9wavefront6targetE1EEEvSK_: ; @_ZN7rocprim17ROCPRIM_400000_NS6detail17trampoline_kernelINS0_14default_configENS1_38merge_sort_block_merge_config_selectorImNS0_10empty_typeEEEZZNS1_27merge_sort_block_merge_implIS3_N6thrust23THRUST_200600_302600_NS6detail15normal_iteratorINS9_10device_ptrImEEEEPS5_m14custom_greaterImEEE10hipError_tT0_T1_T2_jT3_P12ihipStream_tbPNSt15iterator_traitsISJ_E10value_typeEPNSP_ISK_E10value_typeEPSL_NS1_7vsmem_tEENKUlT_SJ_SK_SL_E_clISE_PmSF_SF_EESI_SY_SJ_SK_SL_EUlSY_E_NS1_11comp_targetILNS1_3genE3ELNS1_11target_archE908ELNS1_3gpuE7ELNS1_3repE0EEENS1_48merge_mergepath_partition_config_static_selectorELNS0_4arch9wavefront6targetE1EEEvSK_
; %bb.0:
	.section	.rodata,"a",@progbits
	.p2align	6, 0x0
	.amdhsa_kernel _ZN7rocprim17ROCPRIM_400000_NS6detail17trampoline_kernelINS0_14default_configENS1_38merge_sort_block_merge_config_selectorImNS0_10empty_typeEEEZZNS1_27merge_sort_block_merge_implIS3_N6thrust23THRUST_200600_302600_NS6detail15normal_iteratorINS9_10device_ptrImEEEEPS5_m14custom_greaterImEEE10hipError_tT0_T1_T2_jT3_P12ihipStream_tbPNSt15iterator_traitsISJ_E10value_typeEPNSP_ISK_E10value_typeEPSL_NS1_7vsmem_tEENKUlT_SJ_SK_SL_E_clISE_PmSF_SF_EESI_SY_SJ_SK_SL_EUlSY_E_NS1_11comp_targetILNS1_3genE3ELNS1_11target_archE908ELNS1_3gpuE7ELNS1_3repE0EEENS1_48merge_mergepath_partition_config_static_selectorELNS0_4arch9wavefront6targetE1EEEvSK_
		.amdhsa_group_segment_fixed_size 0
		.amdhsa_private_segment_fixed_size 0
		.amdhsa_kernarg_size 48
		.amdhsa_user_sgpr_count 6
		.amdhsa_user_sgpr_private_segment_buffer 1
		.amdhsa_user_sgpr_dispatch_ptr 0
		.amdhsa_user_sgpr_queue_ptr 0
		.amdhsa_user_sgpr_kernarg_segment_ptr 1
		.amdhsa_user_sgpr_dispatch_id 0
		.amdhsa_user_sgpr_flat_scratch_init 0
		.amdhsa_user_sgpr_kernarg_preload_length 0
		.amdhsa_user_sgpr_kernarg_preload_offset 0
		.amdhsa_user_sgpr_private_segment_size 0
		.amdhsa_uses_dynamic_stack 0
		.amdhsa_system_sgpr_private_segment_wavefront_offset 0
		.amdhsa_system_sgpr_workgroup_id_x 1
		.amdhsa_system_sgpr_workgroup_id_y 0
		.amdhsa_system_sgpr_workgroup_id_z 0
		.amdhsa_system_sgpr_workgroup_info 0
		.amdhsa_system_vgpr_workitem_id 0
		.amdhsa_next_free_vgpr 1
		.amdhsa_next_free_sgpr 0
		.amdhsa_accum_offset 4
		.amdhsa_reserve_vcc 0
		.amdhsa_reserve_flat_scratch 0
		.amdhsa_float_round_mode_32 0
		.amdhsa_float_round_mode_16_64 0
		.amdhsa_float_denorm_mode_32 3
		.amdhsa_float_denorm_mode_16_64 3
		.amdhsa_dx10_clamp 1
		.amdhsa_ieee_mode 1
		.amdhsa_fp16_overflow 0
		.amdhsa_tg_split 0
		.amdhsa_exception_fp_ieee_invalid_op 0
		.amdhsa_exception_fp_denorm_src 0
		.amdhsa_exception_fp_ieee_div_zero 0
		.amdhsa_exception_fp_ieee_overflow 0
		.amdhsa_exception_fp_ieee_underflow 0
		.amdhsa_exception_fp_ieee_inexact 0
		.amdhsa_exception_int_div_zero 0
	.end_amdhsa_kernel
	.section	.text._ZN7rocprim17ROCPRIM_400000_NS6detail17trampoline_kernelINS0_14default_configENS1_38merge_sort_block_merge_config_selectorImNS0_10empty_typeEEEZZNS1_27merge_sort_block_merge_implIS3_N6thrust23THRUST_200600_302600_NS6detail15normal_iteratorINS9_10device_ptrImEEEEPS5_m14custom_greaterImEEE10hipError_tT0_T1_T2_jT3_P12ihipStream_tbPNSt15iterator_traitsISJ_E10value_typeEPNSP_ISK_E10value_typeEPSL_NS1_7vsmem_tEENKUlT_SJ_SK_SL_E_clISE_PmSF_SF_EESI_SY_SJ_SK_SL_EUlSY_E_NS1_11comp_targetILNS1_3genE3ELNS1_11target_archE908ELNS1_3gpuE7ELNS1_3repE0EEENS1_48merge_mergepath_partition_config_static_selectorELNS0_4arch9wavefront6targetE1EEEvSK_,"axG",@progbits,_ZN7rocprim17ROCPRIM_400000_NS6detail17trampoline_kernelINS0_14default_configENS1_38merge_sort_block_merge_config_selectorImNS0_10empty_typeEEEZZNS1_27merge_sort_block_merge_implIS3_N6thrust23THRUST_200600_302600_NS6detail15normal_iteratorINS9_10device_ptrImEEEEPS5_m14custom_greaterImEEE10hipError_tT0_T1_T2_jT3_P12ihipStream_tbPNSt15iterator_traitsISJ_E10value_typeEPNSP_ISK_E10value_typeEPSL_NS1_7vsmem_tEENKUlT_SJ_SK_SL_E_clISE_PmSF_SF_EESI_SY_SJ_SK_SL_EUlSY_E_NS1_11comp_targetILNS1_3genE3ELNS1_11target_archE908ELNS1_3gpuE7ELNS1_3repE0EEENS1_48merge_mergepath_partition_config_static_selectorELNS0_4arch9wavefront6targetE1EEEvSK_,comdat
.Lfunc_end3341:
	.size	_ZN7rocprim17ROCPRIM_400000_NS6detail17trampoline_kernelINS0_14default_configENS1_38merge_sort_block_merge_config_selectorImNS0_10empty_typeEEEZZNS1_27merge_sort_block_merge_implIS3_N6thrust23THRUST_200600_302600_NS6detail15normal_iteratorINS9_10device_ptrImEEEEPS5_m14custom_greaterImEEE10hipError_tT0_T1_T2_jT3_P12ihipStream_tbPNSt15iterator_traitsISJ_E10value_typeEPNSP_ISK_E10value_typeEPSL_NS1_7vsmem_tEENKUlT_SJ_SK_SL_E_clISE_PmSF_SF_EESI_SY_SJ_SK_SL_EUlSY_E_NS1_11comp_targetILNS1_3genE3ELNS1_11target_archE908ELNS1_3gpuE7ELNS1_3repE0EEENS1_48merge_mergepath_partition_config_static_selectorELNS0_4arch9wavefront6targetE1EEEvSK_, .Lfunc_end3341-_ZN7rocprim17ROCPRIM_400000_NS6detail17trampoline_kernelINS0_14default_configENS1_38merge_sort_block_merge_config_selectorImNS0_10empty_typeEEEZZNS1_27merge_sort_block_merge_implIS3_N6thrust23THRUST_200600_302600_NS6detail15normal_iteratorINS9_10device_ptrImEEEEPS5_m14custom_greaterImEEE10hipError_tT0_T1_T2_jT3_P12ihipStream_tbPNSt15iterator_traitsISJ_E10value_typeEPNSP_ISK_E10value_typeEPSL_NS1_7vsmem_tEENKUlT_SJ_SK_SL_E_clISE_PmSF_SF_EESI_SY_SJ_SK_SL_EUlSY_E_NS1_11comp_targetILNS1_3genE3ELNS1_11target_archE908ELNS1_3gpuE7ELNS1_3repE0EEENS1_48merge_mergepath_partition_config_static_selectorELNS0_4arch9wavefront6targetE1EEEvSK_
                                        ; -- End function
	.section	.AMDGPU.csdata,"",@progbits
; Kernel info:
; codeLenInByte = 0
; NumSgprs: 4
; NumVgprs: 0
; NumAgprs: 0
; TotalNumVgprs: 0
; ScratchSize: 0
; MemoryBound: 0
; FloatMode: 240
; IeeeMode: 1
; LDSByteSize: 0 bytes/workgroup (compile time only)
; SGPRBlocks: 0
; VGPRBlocks: 0
; NumSGPRsForWavesPerEU: 4
; NumVGPRsForWavesPerEU: 1
; AccumOffset: 4
; Occupancy: 8
; WaveLimiterHint : 0
; COMPUTE_PGM_RSRC2:SCRATCH_EN: 0
; COMPUTE_PGM_RSRC2:USER_SGPR: 6
; COMPUTE_PGM_RSRC2:TRAP_HANDLER: 0
; COMPUTE_PGM_RSRC2:TGID_X_EN: 1
; COMPUTE_PGM_RSRC2:TGID_Y_EN: 0
; COMPUTE_PGM_RSRC2:TGID_Z_EN: 0
; COMPUTE_PGM_RSRC2:TIDIG_COMP_CNT: 0
; COMPUTE_PGM_RSRC3_GFX90A:ACCUM_OFFSET: 0
; COMPUTE_PGM_RSRC3_GFX90A:TG_SPLIT: 0
	.section	.text._ZN7rocprim17ROCPRIM_400000_NS6detail17trampoline_kernelINS0_14default_configENS1_38merge_sort_block_merge_config_selectorImNS0_10empty_typeEEEZZNS1_27merge_sort_block_merge_implIS3_N6thrust23THRUST_200600_302600_NS6detail15normal_iteratorINS9_10device_ptrImEEEEPS5_m14custom_greaterImEEE10hipError_tT0_T1_T2_jT3_P12ihipStream_tbPNSt15iterator_traitsISJ_E10value_typeEPNSP_ISK_E10value_typeEPSL_NS1_7vsmem_tEENKUlT_SJ_SK_SL_E_clISE_PmSF_SF_EESI_SY_SJ_SK_SL_EUlSY_E_NS1_11comp_targetILNS1_3genE2ELNS1_11target_archE906ELNS1_3gpuE6ELNS1_3repE0EEENS1_48merge_mergepath_partition_config_static_selectorELNS0_4arch9wavefront6targetE1EEEvSK_,"axG",@progbits,_ZN7rocprim17ROCPRIM_400000_NS6detail17trampoline_kernelINS0_14default_configENS1_38merge_sort_block_merge_config_selectorImNS0_10empty_typeEEEZZNS1_27merge_sort_block_merge_implIS3_N6thrust23THRUST_200600_302600_NS6detail15normal_iteratorINS9_10device_ptrImEEEEPS5_m14custom_greaterImEEE10hipError_tT0_T1_T2_jT3_P12ihipStream_tbPNSt15iterator_traitsISJ_E10value_typeEPNSP_ISK_E10value_typeEPSL_NS1_7vsmem_tEENKUlT_SJ_SK_SL_E_clISE_PmSF_SF_EESI_SY_SJ_SK_SL_EUlSY_E_NS1_11comp_targetILNS1_3genE2ELNS1_11target_archE906ELNS1_3gpuE6ELNS1_3repE0EEENS1_48merge_mergepath_partition_config_static_selectorELNS0_4arch9wavefront6targetE1EEEvSK_,comdat
	.protected	_ZN7rocprim17ROCPRIM_400000_NS6detail17trampoline_kernelINS0_14default_configENS1_38merge_sort_block_merge_config_selectorImNS0_10empty_typeEEEZZNS1_27merge_sort_block_merge_implIS3_N6thrust23THRUST_200600_302600_NS6detail15normal_iteratorINS9_10device_ptrImEEEEPS5_m14custom_greaterImEEE10hipError_tT0_T1_T2_jT3_P12ihipStream_tbPNSt15iterator_traitsISJ_E10value_typeEPNSP_ISK_E10value_typeEPSL_NS1_7vsmem_tEENKUlT_SJ_SK_SL_E_clISE_PmSF_SF_EESI_SY_SJ_SK_SL_EUlSY_E_NS1_11comp_targetILNS1_3genE2ELNS1_11target_archE906ELNS1_3gpuE6ELNS1_3repE0EEENS1_48merge_mergepath_partition_config_static_selectorELNS0_4arch9wavefront6targetE1EEEvSK_ ; -- Begin function _ZN7rocprim17ROCPRIM_400000_NS6detail17trampoline_kernelINS0_14default_configENS1_38merge_sort_block_merge_config_selectorImNS0_10empty_typeEEEZZNS1_27merge_sort_block_merge_implIS3_N6thrust23THRUST_200600_302600_NS6detail15normal_iteratorINS9_10device_ptrImEEEEPS5_m14custom_greaterImEEE10hipError_tT0_T1_T2_jT3_P12ihipStream_tbPNSt15iterator_traitsISJ_E10value_typeEPNSP_ISK_E10value_typeEPSL_NS1_7vsmem_tEENKUlT_SJ_SK_SL_E_clISE_PmSF_SF_EESI_SY_SJ_SK_SL_EUlSY_E_NS1_11comp_targetILNS1_3genE2ELNS1_11target_archE906ELNS1_3gpuE6ELNS1_3repE0EEENS1_48merge_mergepath_partition_config_static_selectorELNS0_4arch9wavefront6targetE1EEEvSK_
	.globl	_ZN7rocprim17ROCPRIM_400000_NS6detail17trampoline_kernelINS0_14default_configENS1_38merge_sort_block_merge_config_selectorImNS0_10empty_typeEEEZZNS1_27merge_sort_block_merge_implIS3_N6thrust23THRUST_200600_302600_NS6detail15normal_iteratorINS9_10device_ptrImEEEEPS5_m14custom_greaterImEEE10hipError_tT0_T1_T2_jT3_P12ihipStream_tbPNSt15iterator_traitsISJ_E10value_typeEPNSP_ISK_E10value_typeEPSL_NS1_7vsmem_tEENKUlT_SJ_SK_SL_E_clISE_PmSF_SF_EESI_SY_SJ_SK_SL_EUlSY_E_NS1_11comp_targetILNS1_3genE2ELNS1_11target_archE906ELNS1_3gpuE6ELNS1_3repE0EEENS1_48merge_mergepath_partition_config_static_selectorELNS0_4arch9wavefront6targetE1EEEvSK_
	.p2align	8
	.type	_ZN7rocprim17ROCPRIM_400000_NS6detail17trampoline_kernelINS0_14default_configENS1_38merge_sort_block_merge_config_selectorImNS0_10empty_typeEEEZZNS1_27merge_sort_block_merge_implIS3_N6thrust23THRUST_200600_302600_NS6detail15normal_iteratorINS9_10device_ptrImEEEEPS5_m14custom_greaterImEEE10hipError_tT0_T1_T2_jT3_P12ihipStream_tbPNSt15iterator_traitsISJ_E10value_typeEPNSP_ISK_E10value_typeEPSL_NS1_7vsmem_tEENKUlT_SJ_SK_SL_E_clISE_PmSF_SF_EESI_SY_SJ_SK_SL_EUlSY_E_NS1_11comp_targetILNS1_3genE2ELNS1_11target_archE906ELNS1_3gpuE6ELNS1_3repE0EEENS1_48merge_mergepath_partition_config_static_selectorELNS0_4arch9wavefront6targetE1EEEvSK_,@function
_ZN7rocprim17ROCPRIM_400000_NS6detail17trampoline_kernelINS0_14default_configENS1_38merge_sort_block_merge_config_selectorImNS0_10empty_typeEEEZZNS1_27merge_sort_block_merge_implIS3_N6thrust23THRUST_200600_302600_NS6detail15normal_iteratorINS9_10device_ptrImEEEEPS5_m14custom_greaterImEEE10hipError_tT0_T1_T2_jT3_P12ihipStream_tbPNSt15iterator_traitsISJ_E10value_typeEPNSP_ISK_E10value_typeEPSL_NS1_7vsmem_tEENKUlT_SJ_SK_SL_E_clISE_PmSF_SF_EESI_SY_SJ_SK_SL_EUlSY_E_NS1_11comp_targetILNS1_3genE2ELNS1_11target_archE906ELNS1_3gpuE6ELNS1_3repE0EEENS1_48merge_mergepath_partition_config_static_selectorELNS0_4arch9wavefront6targetE1EEEvSK_: ; @_ZN7rocprim17ROCPRIM_400000_NS6detail17trampoline_kernelINS0_14default_configENS1_38merge_sort_block_merge_config_selectorImNS0_10empty_typeEEEZZNS1_27merge_sort_block_merge_implIS3_N6thrust23THRUST_200600_302600_NS6detail15normal_iteratorINS9_10device_ptrImEEEEPS5_m14custom_greaterImEEE10hipError_tT0_T1_T2_jT3_P12ihipStream_tbPNSt15iterator_traitsISJ_E10value_typeEPNSP_ISK_E10value_typeEPSL_NS1_7vsmem_tEENKUlT_SJ_SK_SL_E_clISE_PmSF_SF_EESI_SY_SJ_SK_SL_EUlSY_E_NS1_11comp_targetILNS1_3genE2ELNS1_11target_archE906ELNS1_3gpuE6ELNS1_3repE0EEENS1_48merge_mergepath_partition_config_static_selectorELNS0_4arch9wavefront6targetE1EEEvSK_
; %bb.0:
	.section	.rodata,"a",@progbits
	.p2align	6, 0x0
	.amdhsa_kernel _ZN7rocprim17ROCPRIM_400000_NS6detail17trampoline_kernelINS0_14default_configENS1_38merge_sort_block_merge_config_selectorImNS0_10empty_typeEEEZZNS1_27merge_sort_block_merge_implIS3_N6thrust23THRUST_200600_302600_NS6detail15normal_iteratorINS9_10device_ptrImEEEEPS5_m14custom_greaterImEEE10hipError_tT0_T1_T2_jT3_P12ihipStream_tbPNSt15iterator_traitsISJ_E10value_typeEPNSP_ISK_E10value_typeEPSL_NS1_7vsmem_tEENKUlT_SJ_SK_SL_E_clISE_PmSF_SF_EESI_SY_SJ_SK_SL_EUlSY_E_NS1_11comp_targetILNS1_3genE2ELNS1_11target_archE906ELNS1_3gpuE6ELNS1_3repE0EEENS1_48merge_mergepath_partition_config_static_selectorELNS0_4arch9wavefront6targetE1EEEvSK_
		.amdhsa_group_segment_fixed_size 0
		.amdhsa_private_segment_fixed_size 0
		.amdhsa_kernarg_size 48
		.amdhsa_user_sgpr_count 6
		.amdhsa_user_sgpr_private_segment_buffer 1
		.amdhsa_user_sgpr_dispatch_ptr 0
		.amdhsa_user_sgpr_queue_ptr 0
		.amdhsa_user_sgpr_kernarg_segment_ptr 1
		.amdhsa_user_sgpr_dispatch_id 0
		.amdhsa_user_sgpr_flat_scratch_init 0
		.amdhsa_user_sgpr_kernarg_preload_length 0
		.amdhsa_user_sgpr_kernarg_preload_offset 0
		.amdhsa_user_sgpr_private_segment_size 0
		.amdhsa_uses_dynamic_stack 0
		.amdhsa_system_sgpr_private_segment_wavefront_offset 0
		.amdhsa_system_sgpr_workgroup_id_x 1
		.amdhsa_system_sgpr_workgroup_id_y 0
		.amdhsa_system_sgpr_workgroup_id_z 0
		.amdhsa_system_sgpr_workgroup_info 0
		.amdhsa_system_vgpr_workitem_id 0
		.amdhsa_next_free_vgpr 1
		.amdhsa_next_free_sgpr 0
		.amdhsa_accum_offset 4
		.amdhsa_reserve_vcc 0
		.amdhsa_reserve_flat_scratch 0
		.amdhsa_float_round_mode_32 0
		.amdhsa_float_round_mode_16_64 0
		.amdhsa_float_denorm_mode_32 3
		.amdhsa_float_denorm_mode_16_64 3
		.amdhsa_dx10_clamp 1
		.amdhsa_ieee_mode 1
		.amdhsa_fp16_overflow 0
		.amdhsa_tg_split 0
		.amdhsa_exception_fp_ieee_invalid_op 0
		.amdhsa_exception_fp_denorm_src 0
		.amdhsa_exception_fp_ieee_div_zero 0
		.amdhsa_exception_fp_ieee_overflow 0
		.amdhsa_exception_fp_ieee_underflow 0
		.amdhsa_exception_fp_ieee_inexact 0
		.amdhsa_exception_int_div_zero 0
	.end_amdhsa_kernel
	.section	.text._ZN7rocprim17ROCPRIM_400000_NS6detail17trampoline_kernelINS0_14default_configENS1_38merge_sort_block_merge_config_selectorImNS0_10empty_typeEEEZZNS1_27merge_sort_block_merge_implIS3_N6thrust23THRUST_200600_302600_NS6detail15normal_iteratorINS9_10device_ptrImEEEEPS5_m14custom_greaterImEEE10hipError_tT0_T1_T2_jT3_P12ihipStream_tbPNSt15iterator_traitsISJ_E10value_typeEPNSP_ISK_E10value_typeEPSL_NS1_7vsmem_tEENKUlT_SJ_SK_SL_E_clISE_PmSF_SF_EESI_SY_SJ_SK_SL_EUlSY_E_NS1_11comp_targetILNS1_3genE2ELNS1_11target_archE906ELNS1_3gpuE6ELNS1_3repE0EEENS1_48merge_mergepath_partition_config_static_selectorELNS0_4arch9wavefront6targetE1EEEvSK_,"axG",@progbits,_ZN7rocprim17ROCPRIM_400000_NS6detail17trampoline_kernelINS0_14default_configENS1_38merge_sort_block_merge_config_selectorImNS0_10empty_typeEEEZZNS1_27merge_sort_block_merge_implIS3_N6thrust23THRUST_200600_302600_NS6detail15normal_iteratorINS9_10device_ptrImEEEEPS5_m14custom_greaterImEEE10hipError_tT0_T1_T2_jT3_P12ihipStream_tbPNSt15iterator_traitsISJ_E10value_typeEPNSP_ISK_E10value_typeEPSL_NS1_7vsmem_tEENKUlT_SJ_SK_SL_E_clISE_PmSF_SF_EESI_SY_SJ_SK_SL_EUlSY_E_NS1_11comp_targetILNS1_3genE2ELNS1_11target_archE906ELNS1_3gpuE6ELNS1_3repE0EEENS1_48merge_mergepath_partition_config_static_selectorELNS0_4arch9wavefront6targetE1EEEvSK_,comdat
.Lfunc_end3342:
	.size	_ZN7rocprim17ROCPRIM_400000_NS6detail17trampoline_kernelINS0_14default_configENS1_38merge_sort_block_merge_config_selectorImNS0_10empty_typeEEEZZNS1_27merge_sort_block_merge_implIS3_N6thrust23THRUST_200600_302600_NS6detail15normal_iteratorINS9_10device_ptrImEEEEPS5_m14custom_greaterImEEE10hipError_tT0_T1_T2_jT3_P12ihipStream_tbPNSt15iterator_traitsISJ_E10value_typeEPNSP_ISK_E10value_typeEPSL_NS1_7vsmem_tEENKUlT_SJ_SK_SL_E_clISE_PmSF_SF_EESI_SY_SJ_SK_SL_EUlSY_E_NS1_11comp_targetILNS1_3genE2ELNS1_11target_archE906ELNS1_3gpuE6ELNS1_3repE0EEENS1_48merge_mergepath_partition_config_static_selectorELNS0_4arch9wavefront6targetE1EEEvSK_, .Lfunc_end3342-_ZN7rocprim17ROCPRIM_400000_NS6detail17trampoline_kernelINS0_14default_configENS1_38merge_sort_block_merge_config_selectorImNS0_10empty_typeEEEZZNS1_27merge_sort_block_merge_implIS3_N6thrust23THRUST_200600_302600_NS6detail15normal_iteratorINS9_10device_ptrImEEEEPS5_m14custom_greaterImEEE10hipError_tT0_T1_T2_jT3_P12ihipStream_tbPNSt15iterator_traitsISJ_E10value_typeEPNSP_ISK_E10value_typeEPSL_NS1_7vsmem_tEENKUlT_SJ_SK_SL_E_clISE_PmSF_SF_EESI_SY_SJ_SK_SL_EUlSY_E_NS1_11comp_targetILNS1_3genE2ELNS1_11target_archE906ELNS1_3gpuE6ELNS1_3repE0EEENS1_48merge_mergepath_partition_config_static_selectorELNS0_4arch9wavefront6targetE1EEEvSK_
                                        ; -- End function
	.section	.AMDGPU.csdata,"",@progbits
; Kernel info:
; codeLenInByte = 0
; NumSgprs: 4
; NumVgprs: 0
; NumAgprs: 0
; TotalNumVgprs: 0
; ScratchSize: 0
; MemoryBound: 0
; FloatMode: 240
; IeeeMode: 1
; LDSByteSize: 0 bytes/workgroup (compile time only)
; SGPRBlocks: 0
; VGPRBlocks: 0
; NumSGPRsForWavesPerEU: 4
; NumVGPRsForWavesPerEU: 1
; AccumOffset: 4
; Occupancy: 8
; WaveLimiterHint : 0
; COMPUTE_PGM_RSRC2:SCRATCH_EN: 0
; COMPUTE_PGM_RSRC2:USER_SGPR: 6
; COMPUTE_PGM_RSRC2:TRAP_HANDLER: 0
; COMPUTE_PGM_RSRC2:TGID_X_EN: 1
; COMPUTE_PGM_RSRC2:TGID_Y_EN: 0
; COMPUTE_PGM_RSRC2:TGID_Z_EN: 0
; COMPUTE_PGM_RSRC2:TIDIG_COMP_CNT: 0
; COMPUTE_PGM_RSRC3_GFX90A:ACCUM_OFFSET: 0
; COMPUTE_PGM_RSRC3_GFX90A:TG_SPLIT: 0
	.section	.text._ZN7rocprim17ROCPRIM_400000_NS6detail17trampoline_kernelINS0_14default_configENS1_38merge_sort_block_merge_config_selectorImNS0_10empty_typeEEEZZNS1_27merge_sort_block_merge_implIS3_N6thrust23THRUST_200600_302600_NS6detail15normal_iteratorINS9_10device_ptrImEEEEPS5_m14custom_greaterImEEE10hipError_tT0_T1_T2_jT3_P12ihipStream_tbPNSt15iterator_traitsISJ_E10value_typeEPNSP_ISK_E10value_typeEPSL_NS1_7vsmem_tEENKUlT_SJ_SK_SL_E_clISE_PmSF_SF_EESI_SY_SJ_SK_SL_EUlSY_E_NS1_11comp_targetILNS1_3genE9ELNS1_11target_archE1100ELNS1_3gpuE3ELNS1_3repE0EEENS1_48merge_mergepath_partition_config_static_selectorELNS0_4arch9wavefront6targetE1EEEvSK_,"axG",@progbits,_ZN7rocprim17ROCPRIM_400000_NS6detail17trampoline_kernelINS0_14default_configENS1_38merge_sort_block_merge_config_selectorImNS0_10empty_typeEEEZZNS1_27merge_sort_block_merge_implIS3_N6thrust23THRUST_200600_302600_NS6detail15normal_iteratorINS9_10device_ptrImEEEEPS5_m14custom_greaterImEEE10hipError_tT0_T1_T2_jT3_P12ihipStream_tbPNSt15iterator_traitsISJ_E10value_typeEPNSP_ISK_E10value_typeEPSL_NS1_7vsmem_tEENKUlT_SJ_SK_SL_E_clISE_PmSF_SF_EESI_SY_SJ_SK_SL_EUlSY_E_NS1_11comp_targetILNS1_3genE9ELNS1_11target_archE1100ELNS1_3gpuE3ELNS1_3repE0EEENS1_48merge_mergepath_partition_config_static_selectorELNS0_4arch9wavefront6targetE1EEEvSK_,comdat
	.protected	_ZN7rocprim17ROCPRIM_400000_NS6detail17trampoline_kernelINS0_14default_configENS1_38merge_sort_block_merge_config_selectorImNS0_10empty_typeEEEZZNS1_27merge_sort_block_merge_implIS3_N6thrust23THRUST_200600_302600_NS6detail15normal_iteratorINS9_10device_ptrImEEEEPS5_m14custom_greaterImEEE10hipError_tT0_T1_T2_jT3_P12ihipStream_tbPNSt15iterator_traitsISJ_E10value_typeEPNSP_ISK_E10value_typeEPSL_NS1_7vsmem_tEENKUlT_SJ_SK_SL_E_clISE_PmSF_SF_EESI_SY_SJ_SK_SL_EUlSY_E_NS1_11comp_targetILNS1_3genE9ELNS1_11target_archE1100ELNS1_3gpuE3ELNS1_3repE0EEENS1_48merge_mergepath_partition_config_static_selectorELNS0_4arch9wavefront6targetE1EEEvSK_ ; -- Begin function _ZN7rocprim17ROCPRIM_400000_NS6detail17trampoline_kernelINS0_14default_configENS1_38merge_sort_block_merge_config_selectorImNS0_10empty_typeEEEZZNS1_27merge_sort_block_merge_implIS3_N6thrust23THRUST_200600_302600_NS6detail15normal_iteratorINS9_10device_ptrImEEEEPS5_m14custom_greaterImEEE10hipError_tT0_T1_T2_jT3_P12ihipStream_tbPNSt15iterator_traitsISJ_E10value_typeEPNSP_ISK_E10value_typeEPSL_NS1_7vsmem_tEENKUlT_SJ_SK_SL_E_clISE_PmSF_SF_EESI_SY_SJ_SK_SL_EUlSY_E_NS1_11comp_targetILNS1_3genE9ELNS1_11target_archE1100ELNS1_3gpuE3ELNS1_3repE0EEENS1_48merge_mergepath_partition_config_static_selectorELNS0_4arch9wavefront6targetE1EEEvSK_
	.globl	_ZN7rocprim17ROCPRIM_400000_NS6detail17trampoline_kernelINS0_14default_configENS1_38merge_sort_block_merge_config_selectorImNS0_10empty_typeEEEZZNS1_27merge_sort_block_merge_implIS3_N6thrust23THRUST_200600_302600_NS6detail15normal_iteratorINS9_10device_ptrImEEEEPS5_m14custom_greaterImEEE10hipError_tT0_T1_T2_jT3_P12ihipStream_tbPNSt15iterator_traitsISJ_E10value_typeEPNSP_ISK_E10value_typeEPSL_NS1_7vsmem_tEENKUlT_SJ_SK_SL_E_clISE_PmSF_SF_EESI_SY_SJ_SK_SL_EUlSY_E_NS1_11comp_targetILNS1_3genE9ELNS1_11target_archE1100ELNS1_3gpuE3ELNS1_3repE0EEENS1_48merge_mergepath_partition_config_static_selectorELNS0_4arch9wavefront6targetE1EEEvSK_
	.p2align	8
	.type	_ZN7rocprim17ROCPRIM_400000_NS6detail17trampoline_kernelINS0_14default_configENS1_38merge_sort_block_merge_config_selectorImNS0_10empty_typeEEEZZNS1_27merge_sort_block_merge_implIS3_N6thrust23THRUST_200600_302600_NS6detail15normal_iteratorINS9_10device_ptrImEEEEPS5_m14custom_greaterImEEE10hipError_tT0_T1_T2_jT3_P12ihipStream_tbPNSt15iterator_traitsISJ_E10value_typeEPNSP_ISK_E10value_typeEPSL_NS1_7vsmem_tEENKUlT_SJ_SK_SL_E_clISE_PmSF_SF_EESI_SY_SJ_SK_SL_EUlSY_E_NS1_11comp_targetILNS1_3genE9ELNS1_11target_archE1100ELNS1_3gpuE3ELNS1_3repE0EEENS1_48merge_mergepath_partition_config_static_selectorELNS0_4arch9wavefront6targetE1EEEvSK_,@function
_ZN7rocprim17ROCPRIM_400000_NS6detail17trampoline_kernelINS0_14default_configENS1_38merge_sort_block_merge_config_selectorImNS0_10empty_typeEEEZZNS1_27merge_sort_block_merge_implIS3_N6thrust23THRUST_200600_302600_NS6detail15normal_iteratorINS9_10device_ptrImEEEEPS5_m14custom_greaterImEEE10hipError_tT0_T1_T2_jT3_P12ihipStream_tbPNSt15iterator_traitsISJ_E10value_typeEPNSP_ISK_E10value_typeEPSL_NS1_7vsmem_tEENKUlT_SJ_SK_SL_E_clISE_PmSF_SF_EESI_SY_SJ_SK_SL_EUlSY_E_NS1_11comp_targetILNS1_3genE9ELNS1_11target_archE1100ELNS1_3gpuE3ELNS1_3repE0EEENS1_48merge_mergepath_partition_config_static_selectorELNS0_4arch9wavefront6targetE1EEEvSK_: ; @_ZN7rocprim17ROCPRIM_400000_NS6detail17trampoline_kernelINS0_14default_configENS1_38merge_sort_block_merge_config_selectorImNS0_10empty_typeEEEZZNS1_27merge_sort_block_merge_implIS3_N6thrust23THRUST_200600_302600_NS6detail15normal_iteratorINS9_10device_ptrImEEEEPS5_m14custom_greaterImEEE10hipError_tT0_T1_T2_jT3_P12ihipStream_tbPNSt15iterator_traitsISJ_E10value_typeEPNSP_ISK_E10value_typeEPSL_NS1_7vsmem_tEENKUlT_SJ_SK_SL_E_clISE_PmSF_SF_EESI_SY_SJ_SK_SL_EUlSY_E_NS1_11comp_targetILNS1_3genE9ELNS1_11target_archE1100ELNS1_3gpuE3ELNS1_3repE0EEENS1_48merge_mergepath_partition_config_static_selectorELNS0_4arch9wavefront6targetE1EEEvSK_
; %bb.0:
	.section	.rodata,"a",@progbits
	.p2align	6, 0x0
	.amdhsa_kernel _ZN7rocprim17ROCPRIM_400000_NS6detail17trampoline_kernelINS0_14default_configENS1_38merge_sort_block_merge_config_selectorImNS0_10empty_typeEEEZZNS1_27merge_sort_block_merge_implIS3_N6thrust23THRUST_200600_302600_NS6detail15normal_iteratorINS9_10device_ptrImEEEEPS5_m14custom_greaterImEEE10hipError_tT0_T1_T2_jT3_P12ihipStream_tbPNSt15iterator_traitsISJ_E10value_typeEPNSP_ISK_E10value_typeEPSL_NS1_7vsmem_tEENKUlT_SJ_SK_SL_E_clISE_PmSF_SF_EESI_SY_SJ_SK_SL_EUlSY_E_NS1_11comp_targetILNS1_3genE9ELNS1_11target_archE1100ELNS1_3gpuE3ELNS1_3repE0EEENS1_48merge_mergepath_partition_config_static_selectorELNS0_4arch9wavefront6targetE1EEEvSK_
		.amdhsa_group_segment_fixed_size 0
		.amdhsa_private_segment_fixed_size 0
		.amdhsa_kernarg_size 48
		.amdhsa_user_sgpr_count 6
		.amdhsa_user_sgpr_private_segment_buffer 1
		.amdhsa_user_sgpr_dispatch_ptr 0
		.amdhsa_user_sgpr_queue_ptr 0
		.amdhsa_user_sgpr_kernarg_segment_ptr 1
		.amdhsa_user_sgpr_dispatch_id 0
		.amdhsa_user_sgpr_flat_scratch_init 0
		.amdhsa_user_sgpr_kernarg_preload_length 0
		.amdhsa_user_sgpr_kernarg_preload_offset 0
		.amdhsa_user_sgpr_private_segment_size 0
		.amdhsa_uses_dynamic_stack 0
		.amdhsa_system_sgpr_private_segment_wavefront_offset 0
		.amdhsa_system_sgpr_workgroup_id_x 1
		.amdhsa_system_sgpr_workgroup_id_y 0
		.amdhsa_system_sgpr_workgroup_id_z 0
		.amdhsa_system_sgpr_workgroup_info 0
		.amdhsa_system_vgpr_workitem_id 0
		.amdhsa_next_free_vgpr 1
		.amdhsa_next_free_sgpr 0
		.amdhsa_accum_offset 4
		.amdhsa_reserve_vcc 0
		.amdhsa_reserve_flat_scratch 0
		.amdhsa_float_round_mode_32 0
		.amdhsa_float_round_mode_16_64 0
		.amdhsa_float_denorm_mode_32 3
		.amdhsa_float_denorm_mode_16_64 3
		.amdhsa_dx10_clamp 1
		.amdhsa_ieee_mode 1
		.amdhsa_fp16_overflow 0
		.amdhsa_tg_split 0
		.amdhsa_exception_fp_ieee_invalid_op 0
		.amdhsa_exception_fp_denorm_src 0
		.amdhsa_exception_fp_ieee_div_zero 0
		.amdhsa_exception_fp_ieee_overflow 0
		.amdhsa_exception_fp_ieee_underflow 0
		.amdhsa_exception_fp_ieee_inexact 0
		.amdhsa_exception_int_div_zero 0
	.end_amdhsa_kernel
	.section	.text._ZN7rocprim17ROCPRIM_400000_NS6detail17trampoline_kernelINS0_14default_configENS1_38merge_sort_block_merge_config_selectorImNS0_10empty_typeEEEZZNS1_27merge_sort_block_merge_implIS3_N6thrust23THRUST_200600_302600_NS6detail15normal_iteratorINS9_10device_ptrImEEEEPS5_m14custom_greaterImEEE10hipError_tT0_T1_T2_jT3_P12ihipStream_tbPNSt15iterator_traitsISJ_E10value_typeEPNSP_ISK_E10value_typeEPSL_NS1_7vsmem_tEENKUlT_SJ_SK_SL_E_clISE_PmSF_SF_EESI_SY_SJ_SK_SL_EUlSY_E_NS1_11comp_targetILNS1_3genE9ELNS1_11target_archE1100ELNS1_3gpuE3ELNS1_3repE0EEENS1_48merge_mergepath_partition_config_static_selectorELNS0_4arch9wavefront6targetE1EEEvSK_,"axG",@progbits,_ZN7rocprim17ROCPRIM_400000_NS6detail17trampoline_kernelINS0_14default_configENS1_38merge_sort_block_merge_config_selectorImNS0_10empty_typeEEEZZNS1_27merge_sort_block_merge_implIS3_N6thrust23THRUST_200600_302600_NS6detail15normal_iteratorINS9_10device_ptrImEEEEPS5_m14custom_greaterImEEE10hipError_tT0_T1_T2_jT3_P12ihipStream_tbPNSt15iterator_traitsISJ_E10value_typeEPNSP_ISK_E10value_typeEPSL_NS1_7vsmem_tEENKUlT_SJ_SK_SL_E_clISE_PmSF_SF_EESI_SY_SJ_SK_SL_EUlSY_E_NS1_11comp_targetILNS1_3genE9ELNS1_11target_archE1100ELNS1_3gpuE3ELNS1_3repE0EEENS1_48merge_mergepath_partition_config_static_selectorELNS0_4arch9wavefront6targetE1EEEvSK_,comdat
.Lfunc_end3343:
	.size	_ZN7rocprim17ROCPRIM_400000_NS6detail17trampoline_kernelINS0_14default_configENS1_38merge_sort_block_merge_config_selectorImNS0_10empty_typeEEEZZNS1_27merge_sort_block_merge_implIS3_N6thrust23THRUST_200600_302600_NS6detail15normal_iteratorINS9_10device_ptrImEEEEPS5_m14custom_greaterImEEE10hipError_tT0_T1_T2_jT3_P12ihipStream_tbPNSt15iterator_traitsISJ_E10value_typeEPNSP_ISK_E10value_typeEPSL_NS1_7vsmem_tEENKUlT_SJ_SK_SL_E_clISE_PmSF_SF_EESI_SY_SJ_SK_SL_EUlSY_E_NS1_11comp_targetILNS1_3genE9ELNS1_11target_archE1100ELNS1_3gpuE3ELNS1_3repE0EEENS1_48merge_mergepath_partition_config_static_selectorELNS0_4arch9wavefront6targetE1EEEvSK_, .Lfunc_end3343-_ZN7rocprim17ROCPRIM_400000_NS6detail17trampoline_kernelINS0_14default_configENS1_38merge_sort_block_merge_config_selectorImNS0_10empty_typeEEEZZNS1_27merge_sort_block_merge_implIS3_N6thrust23THRUST_200600_302600_NS6detail15normal_iteratorINS9_10device_ptrImEEEEPS5_m14custom_greaterImEEE10hipError_tT0_T1_T2_jT3_P12ihipStream_tbPNSt15iterator_traitsISJ_E10value_typeEPNSP_ISK_E10value_typeEPSL_NS1_7vsmem_tEENKUlT_SJ_SK_SL_E_clISE_PmSF_SF_EESI_SY_SJ_SK_SL_EUlSY_E_NS1_11comp_targetILNS1_3genE9ELNS1_11target_archE1100ELNS1_3gpuE3ELNS1_3repE0EEENS1_48merge_mergepath_partition_config_static_selectorELNS0_4arch9wavefront6targetE1EEEvSK_
                                        ; -- End function
	.section	.AMDGPU.csdata,"",@progbits
; Kernel info:
; codeLenInByte = 0
; NumSgprs: 4
; NumVgprs: 0
; NumAgprs: 0
; TotalNumVgprs: 0
; ScratchSize: 0
; MemoryBound: 0
; FloatMode: 240
; IeeeMode: 1
; LDSByteSize: 0 bytes/workgroup (compile time only)
; SGPRBlocks: 0
; VGPRBlocks: 0
; NumSGPRsForWavesPerEU: 4
; NumVGPRsForWavesPerEU: 1
; AccumOffset: 4
; Occupancy: 8
; WaveLimiterHint : 0
; COMPUTE_PGM_RSRC2:SCRATCH_EN: 0
; COMPUTE_PGM_RSRC2:USER_SGPR: 6
; COMPUTE_PGM_RSRC2:TRAP_HANDLER: 0
; COMPUTE_PGM_RSRC2:TGID_X_EN: 1
; COMPUTE_PGM_RSRC2:TGID_Y_EN: 0
; COMPUTE_PGM_RSRC2:TGID_Z_EN: 0
; COMPUTE_PGM_RSRC2:TIDIG_COMP_CNT: 0
; COMPUTE_PGM_RSRC3_GFX90A:ACCUM_OFFSET: 0
; COMPUTE_PGM_RSRC3_GFX90A:TG_SPLIT: 0
	.section	.text._ZN7rocprim17ROCPRIM_400000_NS6detail17trampoline_kernelINS0_14default_configENS1_38merge_sort_block_merge_config_selectorImNS0_10empty_typeEEEZZNS1_27merge_sort_block_merge_implIS3_N6thrust23THRUST_200600_302600_NS6detail15normal_iteratorINS9_10device_ptrImEEEEPS5_m14custom_greaterImEEE10hipError_tT0_T1_T2_jT3_P12ihipStream_tbPNSt15iterator_traitsISJ_E10value_typeEPNSP_ISK_E10value_typeEPSL_NS1_7vsmem_tEENKUlT_SJ_SK_SL_E_clISE_PmSF_SF_EESI_SY_SJ_SK_SL_EUlSY_E_NS1_11comp_targetILNS1_3genE8ELNS1_11target_archE1030ELNS1_3gpuE2ELNS1_3repE0EEENS1_48merge_mergepath_partition_config_static_selectorELNS0_4arch9wavefront6targetE1EEEvSK_,"axG",@progbits,_ZN7rocprim17ROCPRIM_400000_NS6detail17trampoline_kernelINS0_14default_configENS1_38merge_sort_block_merge_config_selectorImNS0_10empty_typeEEEZZNS1_27merge_sort_block_merge_implIS3_N6thrust23THRUST_200600_302600_NS6detail15normal_iteratorINS9_10device_ptrImEEEEPS5_m14custom_greaterImEEE10hipError_tT0_T1_T2_jT3_P12ihipStream_tbPNSt15iterator_traitsISJ_E10value_typeEPNSP_ISK_E10value_typeEPSL_NS1_7vsmem_tEENKUlT_SJ_SK_SL_E_clISE_PmSF_SF_EESI_SY_SJ_SK_SL_EUlSY_E_NS1_11comp_targetILNS1_3genE8ELNS1_11target_archE1030ELNS1_3gpuE2ELNS1_3repE0EEENS1_48merge_mergepath_partition_config_static_selectorELNS0_4arch9wavefront6targetE1EEEvSK_,comdat
	.protected	_ZN7rocprim17ROCPRIM_400000_NS6detail17trampoline_kernelINS0_14default_configENS1_38merge_sort_block_merge_config_selectorImNS0_10empty_typeEEEZZNS1_27merge_sort_block_merge_implIS3_N6thrust23THRUST_200600_302600_NS6detail15normal_iteratorINS9_10device_ptrImEEEEPS5_m14custom_greaterImEEE10hipError_tT0_T1_T2_jT3_P12ihipStream_tbPNSt15iterator_traitsISJ_E10value_typeEPNSP_ISK_E10value_typeEPSL_NS1_7vsmem_tEENKUlT_SJ_SK_SL_E_clISE_PmSF_SF_EESI_SY_SJ_SK_SL_EUlSY_E_NS1_11comp_targetILNS1_3genE8ELNS1_11target_archE1030ELNS1_3gpuE2ELNS1_3repE0EEENS1_48merge_mergepath_partition_config_static_selectorELNS0_4arch9wavefront6targetE1EEEvSK_ ; -- Begin function _ZN7rocprim17ROCPRIM_400000_NS6detail17trampoline_kernelINS0_14default_configENS1_38merge_sort_block_merge_config_selectorImNS0_10empty_typeEEEZZNS1_27merge_sort_block_merge_implIS3_N6thrust23THRUST_200600_302600_NS6detail15normal_iteratorINS9_10device_ptrImEEEEPS5_m14custom_greaterImEEE10hipError_tT0_T1_T2_jT3_P12ihipStream_tbPNSt15iterator_traitsISJ_E10value_typeEPNSP_ISK_E10value_typeEPSL_NS1_7vsmem_tEENKUlT_SJ_SK_SL_E_clISE_PmSF_SF_EESI_SY_SJ_SK_SL_EUlSY_E_NS1_11comp_targetILNS1_3genE8ELNS1_11target_archE1030ELNS1_3gpuE2ELNS1_3repE0EEENS1_48merge_mergepath_partition_config_static_selectorELNS0_4arch9wavefront6targetE1EEEvSK_
	.globl	_ZN7rocprim17ROCPRIM_400000_NS6detail17trampoline_kernelINS0_14default_configENS1_38merge_sort_block_merge_config_selectorImNS0_10empty_typeEEEZZNS1_27merge_sort_block_merge_implIS3_N6thrust23THRUST_200600_302600_NS6detail15normal_iteratorINS9_10device_ptrImEEEEPS5_m14custom_greaterImEEE10hipError_tT0_T1_T2_jT3_P12ihipStream_tbPNSt15iterator_traitsISJ_E10value_typeEPNSP_ISK_E10value_typeEPSL_NS1_7vsmem_tEENKUlT_SJ_SK_SL_E_clISE_PmSF_SF_EESI_SY_SJ_SK_SL_EUlSY_E_NS1_11comp_targetILNS1_3genE8ELNS1_11target_archE1030ELNS1_3gpuE2ELNS1_3repE0EEENS1_48merge_mergepath_partition_config_static_selectorELNS0_4arch9wavefront6targetE1EEEvSK_
	.p2align	8
	.type	_ZN7rocprim17ROCPRIM_400000_NS6detail17trampoline_kernelINS0_14default_configENS1_38merge_sort_block_merge_config_selectorImNS0_10empty_typeEEEZZNS1_27merge_sort_block_merge_implIS3_N6thrust23THRUST_200600_302600_NS6detail15normal_iteratorINS9_10device_ptrImEEEEPS5_m14custom_greaterImEEE10hipError_tT0_T1_T2_jT3_P12ihipStream_tbPNSt15iterator_traitsISJ_E10value_typeEPNSP_ISK_E10value_typeEPSL_NS1_7vsmem_tEENKUlT_SJ_SK_SL_E_clISE_PmSF_SF_EESI_SY_SJ_SK_SL_EUlSY_E_NS1_11comp_targetILNS1_3genE8ELNS1_11target_archE1030ELNS1_3gpuE2ELNS1_3repE0EEENS1_48merge_mergepath_partition_config_static_selectorELNS0_4arch9wavefront6targetE1EEEvSK_,@function
_ZN7rocprim17ROCPRIM_400000_NS6detail17trampoline_kernelINS0_14default_configENS1_38merge_sort_block_merge_config_selectorImNS0_10empty_typeEEEZZNS1_27merge_sort_block_merge_implIS3_N6thrust23THRUST_200600_302600_NS6detail15normal_iteratorINS9_10device_ptrImEEEEPS5_m14custom_greaterImEEE10hipError_tT0_T1_T2_jT3_P12ihipStream_tbPNSt15iterator_traitsISJ_E10value_typeEPNSP_ISK_E10value_typeEPSL_NS1_7vsmem_tEENKUlT_SJ_SK_SL_E_clISE_PmSF_SF_EESI_SY_SJ_SK_SL_EUlSY_E_NS1_11comp_targetILNS1_3genE8ELNS1_11target_archE1030ELNS1_3gpuE2ELNS1_3repE0EEENS1_48merge_mergepath_partition_config_static_selectorELNS0_4arch9wavefront6targetE1EEEvSK_: ; @_ZN7rocprim17ROCPRIM_400000_NS6detail17trampoline_kernelINS0_14default_configENS1_38merge_sort_block_merge_config_selectorImNS0_10empty_typeEEEZZNS1_27merge_sort_block_merge_implIS3_N6thrust23THRUST_200600_302600_NS6detail15normal_iteratorINS9_10device_ptrImEEEEPS5_m14custom_greaterImEEE10hipError_tT0_T1_T2_jT3_P12ihipStream_tbPNSt15iterator_traitsISJ_E10value_typeEPNSP_ISK_E10value_typeEPSL_NS1_7vsmem_tEENKUlT_SJ_SK_SL_E_clISE_PmSF_SF_EESI_SY_SJ_SK_SL_EUlSY_E_NS1_11comp_targetILNS1_3genE8ELNS1_11target_archE1030ELNS1_3gpuE2ELNS1_3repE0EEENS1_48merge_mergepath_partition_config_static_selectorELNS0_4arch9wavefront6targetE1EEEvSK_
; %bb.0:
	.section	.rodata,"a",@progbits
	.p2align	6, 0x0
	.amdhsa_kernel _ZN7rocprim17ROCPRIM_400000_NS6detail17trampoline_kernelINS0_14default_configENS1_38merge_sort_block_merge_config_selectorImNS0_10empty_typeEEEZZNS1_27merge_sort_block_merge_implIS3_N6thrust23THRUST_200600_302600_NS6detail15normal_iteratorINS9_10device_ptrImEEEEPS5_m14custom_greaterImEEE10hipError_tT0_T1_T2_jT3_P12ihipStream_tbPNSt15iterator_traitsISJ_E10value_typeEPNSP_ISK_E10value_typeEPSL_NS1_7vsmem_tEENKUlT_SJ_SK_SL_E_clISE_PmSF_SF_EESI_SY_SJ_SK_SL_EUlSY_E_NS1_11comp_targetILNS1_3genE8ELNS1_11target_archE1030ELNS1_3gpuE2ELNS1_3repE0EEENS1_48merge_mergepath_partition_config_static_selectorELNS0_4arch9wavefront6targetE1EEEvSK_
		.amdhsa_group_segment_fixed_size 0
		.amdhsa_private_segment_fixed_size 0
		.amdhsa_kernarg_size 48
		.amdhsa_user_sgpr_count 6
		.amdhsa_user_sgpr_private_segment_buffer 1
		.amdhsa_user_sgpr_dispatch_ptr 0
		.amdhsa_user_sgpr_queue_ptr 0
		.amdhsa_user_sgpr_kernarg_segment_ptr 1
		.amdhsa_user_sgpr_dispatch_id 0
		.amdhsa_user_sgpr_flat_scratch_init 0
		.amdhsa_user_sgpr_kernarg_preload_length 0
		.amdhsa_user_sgpr_kernarg_preload_offset 0
		.amdhsa_user_sgpr_private_segment_size 0
		.amdhsa_uses_dynamic_stack 0
		.amdhsa_system_sgpr_private_segment_wavefront_offset 0
		.amdhsa_system_sgpr_workgroup_id_x 1
		.amdhsa_system_sgpr_workgroup_id_y 0
		.amdhsa_system_sgpr_workgroup_id_z 0
		.amdhsa_system_sgpr_workgroup_info 0
		.amdhsa_system_vgpr_workitem_id 0
		.amdhsa_next_free_vgpr 1
		.amdhsa_next_free_sgpr 0
		.amdhsa_accum_offset 4
		.amdhsa_reserve_vcc 0
		.amdhsa_reserve_flat_scratch 0
		.amdhsa_float_round_mode_32 0
		.amdhsa_float_round_mode_16_64 0
		.amdhsa_float_denorm_mode_32 3
		.amdhsa_float_denorm_mode_16_64 3
		.amdhsa_dx10_clamp 1
		.amdhsa_ieee_mode 1
		.amdhsa_fp16_overflow 0
		.amdhsa_tg_split 0
		.amdhsa_exception_fp_ieee_invalid_op 0
		.amdhsa_exception_fp_denorm_src 0
		.amdhsa_exception_fp_ieee_div_zero 0
		.amdhsa_exception_fp_ieee_overflow 0
		.amdhsa_exception_fp_ieee_underflow 0
		.amdhsa_exception_fp_ieee_inexact 0
		.amdhsa_exception_int_div_zero 0
	.end_amdhsa_kernel
	.section	.text._ZN7rocprim17ROCPRIM_400000_NS6detail17trampoline_kernelINS0_14default_configENS1_38merge_sort_block_merge_config_selectorImNS0_10empty_typeEEEZZNS1_27merge_sort_block_merge_implIS3_N6thrust23THRUST_200600_302600_NS6detail15normal_iteratorINS9_10device_ptrImEEEEPS5_m14custom_greaterImEEE10hipError_tT0_T1_T2_jT3_P12ihipStream_tbPNSt15iterator_traitsISJ_E10value_typeEPNSP_ISK_E10value_typeEPSL_NS1_7vsmem_tEENKUlT_SJ_SK_SL_E_clISE_PmSF_SF_EESI_SY_SJ_SK_SL_EUlSY_E_NS1_11comp_targetILNS1_3genE8ELNS1_11target_archE1030ELNS1_3gpuE2ELNS1_3repE0EEENS1_48merge_mergepath_partition_config_static_selectorELNS0_4arch9wavefront6targetE1EEEvSK_,"axG",@progbits,_ZN7rocprim17ROCPRIM_400000_NS6detail17trampoline_kernelINS0_14default_configENS1_38merge_sort_block_merge_config_selectorImNS0_10empty_typeEEEZZNS1_27merge_sort_block_merge_implIS3_N6thrust23THRUST_200600_302600_NS6detail15normal_iteratorINS9_10device_ptrImEEEEPS5_m14custom_greaterImEEE10hipError_tT0_T1_T2_jT3_P12ihipStream_tbPNSt15iterator_traitsISJ_E10value_typeEPNSP_ISK_E10value_typeEPSL_NS1_7vsmem_tEENKUlT_SJ_SK_SL_E_clISE_PmSF_SF_EESI_SY_SJ_SK_SL_EUlSY_E_NS1_11comp_targetILNS1_3genE8ELNS1_11target_archE1030ELNS1_3gpuE2ELNS1_3repE0EEENS1_48merge_mergepath_partition_config_static_selectorELNS0_4arch9wavefront6targetE1EEEvSK_,comdat
.Lfunc_end3344:
	.size	_ZN7rocprim17ROCPRIM_400000_NS6detail17trampoline_kernelINS0_14default_configENS1_38merge_sort_block_merge_config_selectorImNS0_10empty_typeEEEZZNS1_27merge_sort_block_merge_implIS3_N6thrust23THRUST_200600_302600_NS6detail15normal_iteratorINS9_10device_ptrImEEEEPS5_m14custom_greaterImEEE10hipError_tT0_T1_T2_jT3_P12ihipStream_tbPNSt15iterator_traitsISJ_E10value_typeEPNSP_ISK_E10value_typeEPSL_NS1_7vsmem_tEENKUlT_SJ_SK_SL_E_clISE_PmSF_SF_EESI_SY_SJ_SK_SL_EUlSY_E_NS1_11comp_targetILNS1_3genE8ELNS1_11target_archE1030ELNS1_3gpuE2ELNS1_3repE0EEENS1_48merge_mergepath_partition_config_static_selectorELNS0_4arch9wavefront6targetE1EEEvSK_, .Lfunc_end3344-_ZN7rocprim17ROCPRIM_400000_NS6detail17trampoline_kernelINS0_14default_configENS1_38merge_sort_block_merge_config_selectorImNS0_10empty_typeEEEZZNS1_27merge_sort_block_merge_implIS3_N6thrust23THRUST_200600_302600_NS6detail15normal_iteratorINS9_10device_ptrImEEEEPS5_m14custom_greaterImEEE10hipError_tT0_T1_T2_jT3_P12ihipStream_tbPNSt15iterator_traitsISJ_E10value_typeEPNSP_ISK_E10value_typeEPSL_NS1_7vsmem_tEENKUlT_SJ_SK_SL_E_clISE_PmSF_SF_EESI_SY_SJ_SK_SL_EUlSY_E_NS1_11comp_targetILNS1_3genE8ELNS1_11target_archE1030ELNS1_3gpuE2ELNS1_3repE0EEENS1_48merge_mergepath_partition_config_static_selectorELNS0_4arch9wavefront6targetE1EEEvSK_
                                        ; -- End function
	.section	.AMDGPU.csdata,"",@progbits
; Kernel info:
; codeLenInByte = 0
; NumSgprs: 4
; NumVgprs: 0
; NumAgprs: 0
; TotalNumVgprs: 0
; ScratchSize: 0
; MemoryBound: 0
; FloatMode: 240
; IeeeMode: 1
; LDSByteSize: 0 bytes/workgroup (compile time only)
; SGPRBlocks: 0
; VGPRBlocks: 0
; NumSGPRsForWavesPerEU: 4
; NumVGPRsForWavesPerEU: 1
; AccumOffset: 4
; Occupancy: 8
; WaveLimiterHint : 0
; COMPUTE_PGM_RSRC2:SCRATCH_EN: 0
; COMPUTE_PGM_RSRC2:USER_SGPR: 6
; COMPUTE_PGM_RSRC2:TRAP_HANDLER: 0
; COMPUTE_PGM_RSRC2:TGID_X_EN: 1
; COMPUTE_PGM_RSRC2:TGID_Y_EN: 0
; COMPUTE_PGM_RSRC2:TGID_Z_EN: 0
; COMPUTE_PGM_RSRC2:TIDIG_COMP_CNT: 0
; COMPUTE_PGM_RSRC3_GFX90A:ACCUM_OFFSET: 0
; COMPUTE_PGM_RSRC3_GFX90A:TG_SPLIT: 0
	.section	.text._ZN7rocprim17ROCPRIM_400000_NS6detail17trampoline_kernelINS0_14default_configENS1_38merge_sort_block_merge_config_selectorImNS0_10empty_typeEEEZZNS1_27merge_sort_block_merge_implIS3_N6thrust23THRUST_200600_302600_NS6detail15normal_iteratorINS9_10device_ptrImEEEEPS5_m14custom_greaterImEEE10hipError_tT0_T1_T2_jT3_P12ihipStream_tbPNSt15iterator_traitsISJ_E10value_typeEPNSP_ISK_E10value_typeEPSL_NS1_7vsmem_tEENKUlT_SJ_SK_SL_E_clISE_PmSF_SF_EESI_SY_SJ_SK_SL_EUlSY_E0_NS1_11comp_targetILNS1_3genE0ELNS1_11target_archE4294967295ELNS1_3gpuE0ELNS1_3repE0EEENS1_38merge_mergepath_config_static_selectorELNS0_4arch9wavefront6targetE1EEEvSK_,"axG",@progbits,_ZN7rocprim17ROCPRIM_400000_NS6detail17trampoline_kernelINS0_14default_configENS1_38merge_sort_block_merge_config_selectorImNS0_10empty_typeEEEZZNS1_27merge_sort_block_merge_implIS3_N6thrust23THRUST_200600_302600_NS6detail15normal_iteratorINS9_10device_ptrImEEEEPS5_m14custom_greaterImEEE10hipError_tT0_T1_T2_jT3_P12ihipStream_tbPNSt15iterator_traitsISJ_E10value_typeEPNSP_ISK_E10value_typeEPSL_NS1_7vsmem_tEENKUlT_SJ_SK_SL_E_clISE_PmSF_SF_EESI_SY_SJ_SK_SL_EUlSY_E0_NS1_11comp_targetILNS1_3genE0ELNS1_11target_archE4294967295ELNS1_3gpuE0ELNS1_3repE0EEENS1_38merge_mergepath_config_static_selectorELNS0_4arch9wavefront6targetE1EEEvSK_,comdat
	.protected	_ZN7rocprim17ROCPRIM_400000_NS6detail17trampoline_kernelINS0_14default_configENS1_38merge_sort_block_merge_config_selectorImNS0_10empty_typeEEEZZNS1_27merge_sort_block_merge_implIS3_N6thrust23THRUST_200600_302600_NS6detail15normal_iteratorINS9_10device_ptrImEEEEPS5_m14custom_greaterImEEE10hipError_tT0_T1_T2_jT3_P12ihipStream_tbPNSt15iterator_traitsISJ_E10value_typeEPNSP_ISK_E10value_typeEPSL_NS1_7vsmem_tEENKUlT_SJ_SK_SL_E_clISE_PmSF_SF_EESI_SY_SJ_SK_SL_EUlSY_E0_NS1_11comp_targetILNS1_3genE0ELNS1_11target_archE4294967295ELNS1_3gpuE0ELNS1_3repE0EEENS1_38merge_mergepath_config_static_selectorELNS0_4arch9wavefront6targetE1EEEvSK_ ; -- Begin function _ZN7rocprim17ROCPRIM_400000_NS6detail17trampoline_kernelINS0_14default_configENS1_38merge_sort_block_merge_config_selectorImNS0_10empty_typeEEEZZNS1_27merge_sort_block_merge_implIS3_N6thrust23THRUST_200600_302600_NS6detail15normal_iteratorINS9_10device_ptrImEEEEPS5_m14custom_greaterImEEE10hipError_tT0_T1_T2_jT3_P12ihipStream_tbPNSt15iterator_traitsISJ_E10value_typeEPNSP_ISK_E10value_typeEPSL_NS1_7vsmem_tEENKUlT_SJ_SK_SL_E_clISE_PmSF_SF_EESI_SY_SJ_SK_SL_EUlSY_E0_NS1_11comp_targetILNS1_3genE0ELNS1_11target_archE4294967295ELNS1_3gpuE0ELNS1_3repE0EEENS1_38merge_mergepath_config_static_selectorELNS0_4arch9wavefront6targetE1EEEvSK_
	.globl	_ZN7rocprim17ROCPRIM_400000_NS6detail17trampoline_kernelINS0_14default_configENS1_38merge_sort_block_merge_config_selectorImNS0_10empty_typeEEEZZNS1_27merge_sort_block_merge_implIS3_N6thrust23THRUST_200600_302600_NS6detail15normal_iteratorINS9_10device_ptrImEEEEPS5_m14custom_greaterImEEE10hipError_tT0_T1_T2_jT3_P12ihipStream_tbPNSt15iterator_traitsISJ_E10value_typeEPNSP_ISK_E10value_typeEPSL_NS1_7vsmem_tEENKUlT_SJ_SK_SL_E_clISE_PmSF_SF_EESI_SY_SJ_SK_SL_EUlSY_E0_NS1_11comp_targetILNS1_3genE0ELNS1_11target_archE4294967295ELNS1_3gpuE0ELNS1_3repE0EEENS1_38merge_mergepath_config_static_selectorELNS0_4arch9wavefront6targetE1EEEvSK_
	.p2align	8
	.type	_ZN7rocprim17ROCPRIM_400000_NS6detail17trampoline_kernelINS0_14default_configENS1_38merge_sort_block_merge_config_selectorImNS0_10empty_typeEEEZZNS1_27merge_sort_block_merge_implIS3_N6thrust23THRUST_200600_302600_NS6detail15normal_iteratorINS9_10device_ptrImEEEEPS5_m14custom_greaterImEEE10hipError_tT0_T1_T2_jT3_P12ihipStream_tbPNSt15iterator_traitsISJ_E10value_typeEPNSP_ISK_E10value_typeEPSL_NS1_7vsmem_tEENKUlT_SJ_SK_SL_E_clISE_PmSF_SF_EESI_SY_SJ_SK_SL_EUlSY_E0_NS1_11comp_targetILNS1_3genE0ELNS1_11target_archE4294967295ELNS1_3gpuE0ELNS1_3repE0EEENS1_38merge_mergepath_config_static_selectorELNS0_4arch9wavefront6targetE1EEEvSK_,@function
_ZN7rocprim17ROCPRIM_400000_NS6detail17trampoline_kernelINS0_14default_configENS1_38merge_sort_block_merge_config_selectorImNS0_10empty_typeEEEZZNS1_27merge_sort_block_merge_implIS3_N6thrust23THRUST_200600_302600_NS6detail15normal_iteratorINS9_10device_ptrImEEEEPS5_m14custom_greaterImEEE10hipError_tT0_T1_T2_jT3_P12ihipStream_tbPNSt15iterator_traitsISJ_E10value_typeEPNSP_ISK_E10value_typeEPSL_NS1_7vsmem_tEENKUlT_SJ_SK_SL_E_clISE_PmSF_SF_EESI_SY_SJ_SK_SL_EUlSY_E0_NS1_11comp_targetILNS1_3genE0ELNS1_11target_archE4294967295ELNS1_3gpuE0ELNS1_3repE0EEENS1_38merge_mergepath_config_static_selectorELNS0_4arch9wavefront6targetE1EEEvSK_: ; @_ZN7rocprim17ROCPRIM_400000_NS6detail17trampoline_kernelINS0_14default_configENS1_38merge_sort_block_merge_config_selectorImNS0_10empty_typeEEEZZNS1_27merge_sort_block_merge_implIS3_N6thrust23THRUST_200600_302600_NS6detail15normal_iteratorINS9_10device_ptrImEEEEPS5_m14custom_greaterImEEE10hipError_tT0_T1_T2_jT3_P12ihipStream_tbPNSt15iterator_traitsISJ_E10value_typeEPNSP_ISK_E10value_typeEPSL_NS1_7vsmem_tEENKUlT_SJ_SK_SL_E_clISE_PmSF_SF_EESI_SY_SJ_SK_SL_EUlSY_E0_NS1_11comp_targetILNS1_3genE0ELNS1_11target_archE4294967295ELNS1_3gpuE0ELNS1_3repE0EEENS1_38merge_mergepath_config_static_selectorELNS0_4arch9wavefront6targetE1EEEvSK_
; %bb.0:
	.section	.rodata,"a",@progbits
	.p2align	6, 0x0
	.amdhsa_kernel _ZN7rocprim17ROCPRIM_400000_NS6detail17trampoline_kernelINS0_14default_configENS1_38merge_sort_block_merge_config_selectorImNS0_10empty_typeEEEZZNS1_27merge_sort_block_merge_implIS3_N6thrust23THRUST_200600_302600_NS6detail15normal_iteratorINS9_10device_ptrImEEEEPS5_m14custom_greaterImEEE10hipError_tT0_T1_T2_jT3_P12ihipStream_tbPNSt15iterator_traitsISJ_E10value_typeEPNSP_ISK_E10value_typeEPSL_NS1_7vsmem_tEENKUlT_SJ_SK_SL_E_clISE_PmSF_SF_EESI_SY_SJ_SK_SL_EUlSY_E0_NS1_11comp_targetILNS1_3genE0ELNS1_11target_archE4294967295ELNS1_3gpuE0ELNS1_3repE0EEENS1_38merge_mergepath_config_static_selectorELNS0_4arch9wavefront6targetE1EEEvSK_
		.amdhsa_group_segment_fixed_size 0
		.amdhsa_private_segment_fixed_size 0
		.amdhsa_kernarg_size 72
		.amdhsa_user_sgpr_count 6
		.amdhsa_user_sgpr_private_segment_buffer 1
		.amdhsa_user_sgpr_dispatch_ptr 0
		.amdhsa_user_sgpr_queue_ptr 0
		.amdhsa_user_sgpr_kernarg_segment_ptr 1
		.amdhsa_user_sgpr_dispatch_id 0
		.amdhsa_user_sgpr_flat_scratch_init 0
		.amdhsa_user_sgpr_kernarg_preload_length 0
		.amdhsa_user_sgpr_kernarg_preload_offset 0
		.amdhsa_user_sgpr_private_segment_size 0
		.amdhsa_uses_dynamic_stack 0
		.amdhsa_system_sgpr_private_segment_wavefront_offset 0
		.amdhsa_system_sgpr_workgroup_id_x 1
		.amdhsa_system_sgpr_workgroup_id_y 0
		.amdhsa_system_sgpr_workgroup_id_z 0
		.amdhsa_system_sgpr_workgroup_info 0
		.amdhsa_system_vgpr_workitem_id 0
		.amdhsa_next_free_vgpr 1
		.amdhsa_next_free_sgpr 0
		.amdhsa_accum_offset 4
		.amdhsa_reserve_vcc 0
		.amdhsa_reserve_flat_scratch 0
		.amdhsa_float_round_mode_32 0
		.amdhsa_float_round_mode_16_64 0
		.amdhsa_float_denorm_mode_32 3
		.amdhsa_float_denorm_mode_16_64 3
		.amdhsa_dx10_clamp 1
		.amdhsa_ieee_mode 1
		.amdhsa_fp16_overflow 0
		.amdhsa_tg_split 0
		.amdhsa_exception_fp_ieee_invalid_op 0
		.amdhsa_exception_fp_denorm_src 0
		.amdhsa_exception_fp_ieee_div_zero 0
		.amdhsa_exception_fp_ieee_overflow 0
		.amdhsa_exception_fp_ieee_underflow 0
		.amdhsa_exception_fp_ieee_inexact 0
		.amdhsa_exception_int_div_zero 0
	.end_amdhsa_kernel
	.section	.text._ZN7rocprim17ROCPRIM_400000_NS6detail17trampoline_kernelINS0_14default_configENS1_38merge_sort_block_merge_config_selectorImNS0_10empty_typeEEEZZNS1_27merge_sort_block_merge_implIS3_N6thrust23THRUST_200600_302600_NS6detail15normal_iteratorINS9_10device_ptrImEEEEPS5_m14custom_greaterImEEE10hipError_tT0_T1_T2_jT3_P12ihipStream_tbPNSt15iterator_traitsISJ_E10value_typeEPNSP_ISK_E10value_typeEPSL_NS1_7vsmem_tEENKUlT_SJ_SK_SL_E_clISE_PmSF_SF_EESI_SY_SJ_SK_SL_EUlSY_E0_NS1_11comp_targetILNS1_3genE0ELNS1_11target_archE4294967295ELNS1_3gpuE0ELNS1_3repE0EEENS1_38merge_mergepath_config_static_selectorELNS0_4arch9wavefront6targetE1EEEvSK_,"axG",@progbits,_ZN7rocprim17ROCPRIM_400000_NS6detail17trampoline_kernelINS0_14default_configENS1_38merge_sort_block_merge_config_selectorImNS0_10empty_typeEEEZZNS1_27merge_sort_block_merge_implIS3_N6thrust23THRUST_200600_302600_NS6detail15normal_iteratorINS9_10device_ptrImEEEEPS5_m14custom_greaterImEEE10hipError_tT0_T1_T2_jT3_P12ihipStream_tbPNSt15iterator_traitsISJ_E10value_typeEPNSP_ISK_E10value_typeEPSL_NS1_7vsmem_tEENKUlT_SJ_SK_SL_E_clISE_PmSF_SF_EESI_SY_SJ_SK_SL_EUlSY_E0_NS1_11comp_targetILNS1_3genE0ELNS1_11target_archE4294967295ELNS1_3gpuE0ELNS1_3repE0EEENS1_38merge_mergepath_config_static_selectorELNS0_4arch9wavefront6targetE1EEEvSK_,comdat
.Lfunc_end3345:
	.size	_ZN7rocprim17ROCPRIM_400000_NS6detail17trampoline_kernelINS0_14default_configENS1_38merge_sort_block_merge_config_selectorImNS0_10empty_typeEEEZZNS1_27merge_sort_block_merge_implIS3_N6thrust23THRUST_200600_302600_NS6detail15normal_iteratorINS9_10device_ptrImEEEEPS5_m14custom_greaterImEEE10hipError_tT0_T1_T2_jT3_P12ihipStream_tbPNSt15iterator_traitsISJ_E10value_typeEPNSP_ISK_E10value_typeEPSL_NS1_7vsmem_tEENKUlT_SJ_SK_SL_E_clISE_PmSF_SF_EESI_SY_SJ_SK_SL_EUlSY_E0_NS1_11comp_targetILNS1_3genE0ELNS1_11target_archE4294967295ELNS1_3gpuE0ELNS1_3repE0EEENS1_38merge_mergepath_config_static_selectorELNS0_4arch9wavefront6targetE1EEEvSK_, .Lfunc_end3345-_ZN7rocprim17ROCPRIM_400000_NS6detail17trampoline_kernelINS0_14default_configENS1_38merge_sort_block_merge_config_selectorImNS0_10empty_typeEEEZZNS1_27merge_sort_block_merge_implIS3_N6thrust23THRUST_200600_302600_NS6detail15normal_iteratorINS9_10device_ptrImEEEEPS5_m14custom_greaterImEEE10hipError_tT0_T1_T2_jT3_P12ihipStream_tbPNSt15iterator_traitsISJ_E10value_typeEPNSP_ISK_E10value_typeEPSL_NS1_7vsmem_tEENKUlT_SJ_SK_SL_E_clISE_PmSF_SF_EESI_SY_SJ_SK_SL_EUlSY_E0_NS1_11comp_targetILNS1_3genE0ELNS1_11target_archE4294967295ELNS1_3gpuE0ELNS1_3repE0EEENS1_38merge_mergepath_config_static_selectorELNS0_4arch9wavefront6targetE1EEEvSK_
                                        ; -- End function
	.section	.AMDGPU.csdata,"",@progbits
; Kernel info:
; codeLenInByte = 0
; NumSgprs: 4
; NumVgprs: 0
; NumAgprs: 0
; TotalNumVgprs: 0
; ScratchSize: 0
; MemoryBound: 0
; FloatMode: 240
; IeeeMode: 1
; LDSByteSize: 0 bytes/workgroup (compile time only)
; SGPRBlocks: 0
; VGPRBlocks: 0
; NumSGPRsForWavesPerEU: 4
; NumVGPRsForWavesPerEU: 1
; AccumOffset: 4
; Occupancy: 8
; WaveLimiterHint : 0
; COMPUTE_PGM_RSRC2:SCRATCH_EN: 0
; COMPUTE_PGM_RSRC2:USER_SGPR: 6
; COMPUTE_PGM_RSRC2:TRAP_HANDLER: 0
; COMPUTE_PGM_RSRC2:TGID_X_EN: 1
; COMPUTE_PGM_RSRC2:TGID_Y_EN: 0
; COMPUTE_PGM_RSRC2:TGID_Z_EN: 0
; COMPUTE_PGM_RSRC2:TIDIG_COMP_CNT: 0
; COMPUTE_PGM_RSRC3_GFX90A:ACCUM_OFFSET: 0
; COMPUTE_PGM_RSRC3_GFX90A:TG_SPLIT: 0
	.section	.text._ZN7rocprim17ROCPRIM_400000_NS6detail17trampoline_kernelINS0_14default_configENS1_38merge_sort_block_merge_config_selectorImNS0_10empty_typeEEEZZNS1_27merge_sort_block_merge_implIS3_N6thrust23THRUST_200600_302600_NS6detail15normal_iteratorINS9_10device_ptrImEEEEPS5_m14custom_greaterImEEE10hipError_tT0_T1_T2_jT3_P12ihipStream_tbPNSt15iterator_traitsISJ_E10value_typeEPNSP_ISK_E10value_typeEPSL_NS1_7vsmem_tEENKUlT_SJ_SK_SL_E_clISE_PmSF_SF_EESI_SY_SJ_SK_SL_EUlSY_E0_NS1_11comp_targetILNS1_3genE10ELNS1_11target_archE1201ELNS1_3gpuE5ELNS1_3repE0EEENS1_38merge_mergepath_config_static_selectorELNS0_4arch9wavefront6targetE1EEEvSK_,"axG",@progbits,_ZN7rocprim17ROCPRIM_400000_NS6detail17trampoline_kernelINS0_14default_configENS1_38merge_sort_block_merge_config_selectorImNS0_10empty_typeEEEZZNS1_27merge_sort_block_merge_implIS3_N6thrust23THRUST_200600_302600_NS6detail15normal_iteratorINS9_10device_ptrImEEEEPS5_m14custom_greaterImEEE10hipError_tT0_T1_T2_jT3_P12ihipStream_tbPNSt15iterator_traitsISJ_E10value_typeEPNSP_ISK_E10value_typeEPSL_NS1_7vsmem_tEENKUlT_SJ_SK_SL_E_clISE_PmSF_SF_EESI_SY_SJ_SK_SL_EUlSY_E0_NS1_11comp_targetILNS1_3genE10ELNS1_11target_archE1201ELNS1_3gpuE5ELNS1_3repE0EEENS1_38merge_mergepath_config_static_selectorELNS0_4arch9wavefront6targetE1EEEvSK_,comdat
	.protected	_ZN7rocprim17ROCPRIM_400000_NS6detail17trampoline_kernelINS0_14default_configENS1_38merge_sort_block_merge_config_selectorImNS0_10empty_typeEEEZZNS1_27merge_sort_block_merge_implIS3_N6thrust23THRUST_200600_302600_NS6detail15normal_iteratorINS9_10device_ptrImEEEEPS5_m14custom_greaterImEEE10hipError_tT0_T1_T2_jT3_P12ihipStream_tbPNSt15iterator_traitsISJ_E10value_typeEPNSP_ISK_E10value_typeEPSL_NS1_7vsmem_tEENKUlT_SJ_SK_SL_E_clISE_PmSF_SF_EESI_SY_SJ_SK_SL_EUlSY_E0_NS1_11comp_targetILNS1_3genE10ELNS1_11target_archE1201ELNS1_3gpuE5ELNS1_3repE0EEENS1_38merge_mergepath_config_static_selectorELNS0_4arch9wavefront6targetE1EEEvSK_ ; -- Begin function _ZN7rocprim17ROCPRIM_400000_NS6detail17trampoline_kernelINS0_14default_configENS1_38merge_sort_block_merge_config_selectorImNS0_10empty_typeEEEZZNS1_27merge_sort_block_merge_implIS3_N6thrust23THRUST_200600_302600_NS6detail15normal_iteratorINS9_10device_ptrImEEEEPS5_m14custom_greaterImEEE10hipError_tT0_T1_T2_jT3_P12ihipStream_tbPNSt15iterator_traitsISJ_E10value_typeEPNSP_ISK_E10value_typeEPSL_NS1_7vsmem_tEENKUlT_SJ_SK_SL_E_clISE_PmSF_SF_EESI_SY_SJ_SK_SL_EUlSY_E0_NS1_11comp_targetILNS1_3genE10ELNS1_11target_archE1201ELNS1_3gpuE5ELNS1_3repE0EEENS1_38merge_mergepath_config_static_selectorELNS0_4arch9wavefront6targetE1EEEvSK_
	.globl	_ZN7rocprim17ROCPRIM_400000_NS6detail17trampoline_kernelINS0_14default_configENS1_38merge_sort_block_merge_config_selectorImNS0_10empty_typeEEEZZNS1_27merge_sort_block_merge_implIS3_N6thrust23THRUST_200600_302600_NS6detail15normal_iteratorINS9_10device_ptrImEEEEPS5_m14custom_greaterImEEE10hipError_tT0_T1_T2_jT3_P12ihipStream_tbPNSt15iterator_traitsISJ_E10value_typeEPNSP_ISK_E10value_typeEPSL_NS1_7vsmem_tEENKUlT_SJ_SK_SL_E_clISE_PmSF_SF_EESI_SY_SJ_SK_SL_EUlSY_E0_NS1_11comp_targetILNS1_3genE10ELNS1_11target_archE1201ELNS1_3gpuE5ELNS1_3repE0EEENS1_38merge_mergepath_config_static_selectorELNS0_4arch9wavefront6targetE1EEEvSK_
	.p2align	8
	.type	_ZN7rocprim17ROCPRIM_400000_NS6detail17trampoline_kernelINS0_14default_configENS1_38merge_sort_block_merge_config_selectorImNS0_10empty_typeEEEZZNS1_27merge_sort_block_merge_implIS3_N6thrust23THRUST_200600_302600_NS6detail15normal_iteratorINS9_10device_ptrImEEEEPS5_m14custom_greaterImEEE10hipError_tT0_T1_T2_jT3_P12ihipStream_tbPNSt15iterator_traitsISJ_E10value_typeEPNSP_ISK_E10value_typeEPSL_NS1_7vsmem_tEENKUlT_SJ_SK_SL_E_clISE_PmSF_SF_EESI_SY_SJ_SK_SL_EUlSY_E0_NS1_11comp_targetILNS1_3genE10ELNS1_11target_archE1201ELNS1_3gpuE5ELNS1_3repE0EEENS1_38merge_mergepath_config_static_selectorELNS0_4arch9wavefront6targetE1EEEvSK_,@function
_ZN7rocprim17ROCPRIM_400000_NS6detail17trampoline_kernelINS0_14default_configENS1_38merge_sort_block_merge_config_selectorImNS0_10empty_typeEEEZZNS1_27merge_sort_block_merge_implIS3_N6thrust23THRUST_200600_302600_NS6detail15normal_iteratorINS9_10device_ptrImEEEEPS5_m14custom_greaterImEEE10hipError_tT0_T1_T2_jT3_P12ihipStream_tbPNSt15iterator_traitsISJ_E10value_typeEPNSP_ISK_E10value_typeEPSL_NS1_7vsmem_tEENKUlT_SJ_SK_SL_E_clISE_PmSF_SF_EESI_SY_SJ_SK_SL_EUlSY_E0_NS1_11comp_targetILNS1_3genE10ELNS1_11target_archE1201ELNS1_3gpuE5ELNS1_3repE0EEENS1_38merge_mergepath_config_static_selectorELNS0_4arch9wavefront6targetE1EEEvSK_: ; @_ZN7rocprim17ROCPRIM_400000_NS6detail17trampoline_kernelINS0_14default_configENS1_38merge_sort_block_merge_config_selectorImNS0_10empty_typeEEEZZNS1_27merge_sort_block_merge_implIS3_N6thrust23THRUST_200600_302600_NS6detail15normal_iteratorINS9_10device_ptrImEEEEPS5_m14custom_greaterImEEE10hipError_tT0_T1_T2_jT3_P12ihipStream_tbPNSt15iterator_traitsISJ_E10value_typeEPNSP_ISK_E10value_typeEPSL_NS1_7vsmem_tEENKUlT_SJ_SK_SL_E_clISE_PmSF_SF_EESI_SY_SJ_SK_SL_EUlSY_E0_NS1_11comp_targetILNS1_3genE10ELNS1_11target_archE1201ELNS1_3gpuE5ELNS1_3repE0EEENS1_38merge_mergepath_config_static_selectorELNS0_4arch9wavefront6targetE1EEEvSK_
; %bb.0:
	.section	.rodata,"a",@progbits
	.p2align	6, 0x0
	.amdhsa_kernel _ZN7rocprim17ROCPRIM_400000_NS6detail17trampoline_kernelINS0_14default_configENS1_38merge_sort_block_merge_config_selectorImNS0_10empty_typeEEEZZNS1_27merge_sort_block_merge_implIS3_N6thrust23THRUST_200600_302600_NS6detail15normal_iteratorINS9_10device_ptrImEEEEPS5_m14custom_greaterImEEE10hipError_tT0_T1_T2_jT3_P12ihipStream_tbPNSt15iterator_traitsISJ_E10value_typeEPNSP_ISK_E10value_typeEPSL_NS1_7vsmem_tEENKUlT_SJ_SK_SL_E_clISE_PmSF_SF_EESI_SY_SJ_SK_SL_EUlSY_E0_NS1_11comp_targetILNS1_3genE10ELNS1_11target_archE1201ELNS1_3gpuE5ELNS1_3repE0EEENS1_38merge_mergepath_config_static_selectorELNS0_4arch9wavefront6targetE1EEEvSK_
		.amdhsa_group_segment_fixed_size 0
		.amdhsa_private_segment_fixed_size 0
		.amdhsa_kernarg_size 72
		.amdhsa_user_sgpr_count 6
		.amdhsa_user_sgpr_private_segment_buffer 1
		.amdhsa_user_sgpr_dispatch_ptr 0
		.amdhsa_user_sgpr_queue_ptr 0
		.amdhsa_user_sgpr_kernarg_segment_ptr 1
		.amdhsa_user_sgpr_dispatch_id 0
		.amdhsa_user_sgpr_flat_scratch_init 0
		.amdhsa_user_sgpr_kernarg_preload_length 0
		.amdhsa_user_sgpr_kernarg_preload_offset 0
		.amdhsa_user_sgpr_private_segment_size 0
		.amdhsa_uses_dynamic_stack 0
		.amdhsa_system_sgpr_private_segment_wavefront_offset 0
		.amdhsa_system_sgpr_workgroup_id_x 1
		.amdhsa_system_sgpr_workgroup_id_y 0
		.amdhsa_system_sgpr_workgroup_id_z 0
		.amdhsa_system_sgpr_workgroup_info 0
		.amdhsa_system_vgpr_workitem_id 0
		.amdhsa_next_free_vgpr 1
		.amdhsa_next_free_sgpr 0
		.amdhsa_accum_offset 4
		.amdhsa_reserve_vcc 0
		.amdhsa_reserve_flat_scratch 0
		.amdhsa_float_round_mode_32 0
		.amdhsa_float_round_mode_16_64 0
		.amdhsa_float_denorm_mode_32 3
		.amdhsa_float_denorm_mode_16_64 3
		.amdhsa_dx10_clamp 1
		.amdhsa_ieee_mode 1
		.amdhsa_fp16_overflow 0
		.amdhsa_tg_split 0
		.amdhsa_exception_fp_ieee_invalid_op 0
		.amdhsa_exception_fp_denorm_src 0
		.amdhsa_exception_fp_ieee_div_zero 0
		.amdhsa_exception_fp_ieee_overflow 0
		.amdhsa_exception_fp_ieee_underflow 0
		.amdhsa_exception_fp_ieee_inexact 0
		.amdhsa_exception_int_div_zero 0
	.end_amdhsa_kernel
	.section	.text._ZN7rocprim17ROCPRIM_400000_NS6detail17trampoline_kernelINS0_14default_configENS1_38merge_sort_block_merge_config_selectorImNS0_10empty_typeEEEZZNS1_27merge_sort_block_merge_implIS3_N6thrust23THRUST_200600_302600_NS6detail15normal_iteratorINS9_10device_ptrImEEEEPS5_m14custom_greaterImEEE10hipError_tT0_T1_T2_jT3_P12ihipStream_tbPNSt15iterator_traitsISJ_E10value_typeEPNSP_ISK_E10value_typeEPSL_NS1_7vsmem_tEENKUlT_SJ_SK_SL_E_clISE_PmSF_SF_EESI_SY_SJ_SK_SL_EUlSY_E0_NS1_11comp_targetILNS1_3genE10ELNS1_11target_archE1201ELNS1_3gpuE5ELNS1_3repE0EEENS1_38merge_mergepath_config_static_selectorELNS0_4arch9wavefront6targetE1EEEvSK_,"axG",@progbits,_ZN7rocprim17ROCPRIM_400000_NS6detail17trampoline_kernelINS0_14default_configENS1_38merge_sort_block_merge_config_selectorImNS0_10empty_typeEEEZZNS1_27merge_sort_block_merge_implIS3_N6thrust23THRUST_200600_302600_NS6detail15normal_iteratorINS9_10device_ptrImEEEEPS5_m14custom_greaterImEEE10hipError_tT0_T1_T2_jT3_P12ihipStream_tbPNSt15iterator_traitsISJ_E10value_typeEPNSP_ISK_E10value_typeEPSL_NS1_7vsmem_tEENKUlT_SJ_SK_SL_E_clISE_PmSF_SF_EESI_SY_SJ_SK_SL_EUlSY_E0_NS1_11comp_targetILNS1_3genE10ELNS1_11target_archE1201ELNS1_3gpuE5ELNS1_3repE0EEENS1_38merge_mergepath_config_static_selectorELNS0_4arch9wavefront6targetE1EEEvSK_,comdat
.Lfunc_end3346:
	.size	_ZN7rocprim17ROCPRIM_400000_NS6detail17trampoline_kernelINS0_14default_configENS1_38merge_sort_block_merge_config_selectorImNS0_10empty_typeEEEZZNS1_27merge_sort_block_merge_implIS3_N6thrust23THRUST_200600_302600_NS6detail15normal_iteratorINS9_10device_ptrImEEEEPS5_m14custom_greaterImEEE10hipError_tT0_T1_T2_jT3_P12ihipStream_tbPNSt15iterator_traitsISJ_E10value_typeEPNSP_ISK_E10value_typeEPSL_NS1_7vsmem_tEENKUlT_SJ_SK_SL_E_clISE_PmSF_SF_EESI_SY_SJ_SK_SL_EUlSY_E0_NS1_11comp_targetILNS1_3genE10ELNS1_11target_archE1201ELNS1_3gpuE5ELNS1_3repE0EEENS1_38merge_mergepath_config_static_selectorELNS0_4arch9wavefront6targetE1EEEvSK_, .Lfunc_end3346-_ZN7rocprim17ROCPRIM_400000_NS6detail17trampoline_kernelINS0_14default_configENS1_38merge_sort_block_merge_config_selectorImNS0_10empty_typeEEEZZNS1_27merge_sort_block_merge_implIS3_N6thrust23THRUST_200600_302600_NS6detail15normal_iteratorINS9_10device_ptrImEEEEPS5_m14custom_greaterImEEE10hipError_tT0_T1_T2_jT3_P12ihipStream_tbPNSt15iterator_traitsISJ_E10value_typeEPNSP_ISK_E10value_typeEPSL_NS1_7vsmem_tEENKUlT_SJ_SK_SL_E_clISE_PmSF_SF_EESI_SY_SJ_SK_SL_EUlSY_E0_NS1_11comp_targetILNS1_3genE10ELNS1_11target_archE1201ELNS1_3gpuE5ELNS1_3repE0EEENS1_38merge_mergepath_config_static_selectorELNS0_4arch9wavefront6targetE1EEEvSK_
                                        ; -- End function
	.section	.AMDGPU.csdata,"",@progbits
; Kernel info:
; codeLenInByte = 0
; NumSgprs: 4
; NumVgprs: 0
; NumAgprs: 0
; TotalNumVgprs: 0
; ScratchSize: 0
; MemoryBound: 0
; FloatMode: 240
; IeeeMode: 1
; LDSByteSize: 0 bytes/workgroup (compile time only)
; SGPRBlocks: 0
; VGPRBlocks: 0
; NumSGPRsForWavesPerEU: 4
; NumVGPRsForWavesPerEU: 1
; AccumOffset: 4
; Occupancy: 8
; WaveLimiterHint : 0
; COMPUTE_PGM_RSRC2:SCRATCH_EN: 0
; COMPUTE_PGM_RSRC2:USER_SGPR: 6
; COMPUTE_PGM_RSRC2:TRAP_HANDLER: 0
; COMPUTE_PGM_RSRC2:TGID_X_EN: 1
; COMPUTE_PGM_RSRC2:TGID_Y_EN: 0
; COMPUTE_PGM_RSRC2:TGID_Z_EN: 0
; COMPUTE_PGM_RSRC2:TIDIG_COMP_CNT: 0
; COMPUTE_PGM_RSRC3_GFX90A:ACCUM_OFFSET: 0
; COMPUTE_PGM_RSRC3_GFX90A:TG_SPLIT: 0
	.section	.text._ZN7rocprim17ROCPRIM_400000_NS6detail17trampoline_kernelINS0_14default_configENS1_38merge_sort_block_merge_config_selectorImNS0_10empty_typeEEEZZNS1_27merge_sort_block_merge_implIS3_N6thrust23THRUST_200600_302600_NS6detail15normal_iteratorINS9_10device_ptrImEEEEPS5_m14custom_greaterImEEE10hipError_tT0_T1_T2_jT3_P12ihipStream_tbPNSt15iterator_traitsISJ_E10value_typeEPNSP_ISK_E10value_typeEPSL_NS1_7vsmem_tEENKUlT_SJ_SK_SL_E_clISE_PmSF_SF_EESI_SY_SJ_SK_SL_EUlSY_E0_NS1_11comp_targetILNS1_3genE5ELNS1_11target_archE942ELNS1_3gpuE9ELNS1_3repE0EEENS1_38merge_mergepath_config_static_selectorELNS0_4arch9wavefront6targetE1EEEvSK_,"axG",@progbits,_ZN7rocprim17ROCPRIM_400000_NS6detail17trampoline_kernelINS0_14default_configENS1_38merge_sort_block_merge_config_selectorImNS0_10empty_typeEEEZZNS1_27merge_sort_block_merge_implIS3_N6thrust23THRUST_200600_302600_NS6detail15normal_iteratorINS9_10device_ptrImEEEEPS5_m14custom_greaterImEEE10hipError_tT0_T1_T2_jT3_P12ihipStream_tbPNSt15iterator_traitsISJ_E10value_typeEPNSP_ISK_E10value_typeEPSL_NS1_7vsmem_tEENKUlT_SJ_SK_SL_E_clISE_PmSF_SF_EESI_SY_SJ_SK_SL_EUlSY_E0_NS1_11comp_targetILNS1_3genE5ELNS1_11target_archE942ELNS1_3gpuE9ELNS1_3repE0EEENS1_38merge_mergepath_config_static_selectorELNS0_4arch9wavefront6targetE1EEEvSK_,comdat
	.protected	_ZN7rocprim17ROCPRIM_400000_NS6detail17trampoline_kernelINS0_14default_configENS1_38merge_sort_block_merge_config_selectorImNS0_10empty_typeEEEZZNS1_27merge_sort_block_merge_implIS3_N6thrust23THRUST_200600_302600_NS6detail15normal_iteratorINS9_10device_ptrImEEEEPS5_m14custom_greaterImEEE10hipError_tT0_T1_T2_jT3_P12ihipStream_tbPNSt15iterator_traitsISJ_E10value_typeEPNSP_ISK_E10value_typeEPSL_NS1_7vsmem_tEENKUlT_SJ_SK_SL_E_clISE_PmSF_SF_EESI_SY_SJ_SK_SL_EUlSY_E0_NS1_11comp_targetILNS1_3genE5ELNS1_11target_archE942ELNS1_3gpuE9ELNS1_3repE0EEENS1_38merge_mergepath_config_static_selectorELNS0_4arch9wavefront6targetE1EEEvSK_ ; -- Begin function _ZN7rocprim17ROCPRIM_400000_NS6detail17trampoline_kernelINS0_14default_configENS1_38merge_sort_block_merge_config_selectorImNS0_10empty_typeEEEZZNS1_27merge_sort_block_merge_implIS3_N6thrust23THRUST_200600_302600_NS6detail15normal_iteratorINS9_10device_ptrImEEEEPS5_m14custom_greaterImEEE10hipError_tT0_T1_T2_jT3_P12ihipStream_tbPNSt15iterator_traitsISJ_E10value_typeEPNSP_ISK_E10value_typeEPSL_NS1_7vsmem_tEENKUlT_SJ_SK_SL_E_clISE_PmSF_SF_EESI_SY_SJ_SK_SL_EUlSY_E0_NS1_11comp_targetILNS1_3genE5ELNS1_11target_archE942ELNS1_3gpuE9ELNS1_3repE0EEENS1_38merge_mergepath_config_static_selectorELNS0_4arch9wavefront6targetE1EEEvSK_
	.globl	_ZN7rocprim17ROCPRIM_400000_NS6detail17trampoline_kernelINS0_14default_configENS1_38merge_sort_block_merge_config_selectorImNS0_10empty_typeEEEZZNS1_27merge_sort_block_merge_implIS3_N6thrust23THRUST_200600_302600_NS6detail15normal_iteratorINS9_10device_ptrImEEEEPS5_m14custom_greaterImEEE10hipError_tT0_T1_T2_jT3_P12ihipStream_tbPNSt15iterator_traitsISJ_E10value_typeEPNSP_ISK_E10value_typeEPSL_NS1_7vsmem_tEENKUlT_SJ_SK_SL_E_clISE_PmSF_SF_EESI_SY_SJ_SK_SL_EUlSY_E0_NS1_11comp_targetILNS1_3genE5ELNS1_11target_archE942ELNS1_3gpuE9ELNS1_3repE0EEENS1_38merge_mergepath_config_static_selectorELNS0_4arch9wavefront6targetE1EEEvSK_
	.p2align	8
	.type	_ZN7rocprim17ROCPRIM_400000_NS6detail17trampoline_kernelINS0_14default_configENS1_38merge_sort_block_merge_config_selectorImNS0_10empty_typeEEEZZNS1_27merge_sort_block_merge_implIS3_N6thrust23THRUST_200600_302600_NS6detail15normal_iteratorINS9_10device_ptrImEEEEPS5_m14custom_greaterImEEE10hipError_tT0_T1_T2_jT3_P12ihipStream_tbPNSt15iterator_traitsISJ_E10value_typeEPNSP_ISK_E10value_typeEPSL_NS1_7vsmem_tEENKUlT_SJ_SK_SL_E_clISE_PmSF_SF_EESI_SY_SJ_SK_SL_EUlSY_E0_NS1_11comp_targetILNS1_3genE5ELNS1_11target_archE942ELNS1_3gpuE9ELNS1_3repE0EEENS1_38merge_mergepath_config_static_selectorELNS0_4arch9wavefront6targetE1EEEvSK_,@function
_ZN7rocprim17ROCPRIM_400000_NS6detail17trampoline_kernelINS0_14default_configENS1_38merge_sort_block_merge_config_selectorImNS0_10empty_typeEEEZZNS1_27merge_sort_block_merge_implIS3_N6thrust23THRUST_200600_302600_NS6detail15normal_iteratorINS9_10device_ptrImEEEEPS5_m14custom_greaterImEEE10hipError_tT0_T1_T2_jT3_P12ihipStream_tbPNSt15iterator_traitsISJ_E10value_typeEPNSP_ISK_E10value_typeEPSL_NS1_7vsmem_tEENKUlT_SJ_SK_SL_E_clISE_PmSF_SF_EESI_SY_SJ_SK_SL_EUlSY_E0_NS1_11comp_targetILNS1_3genE5ELNS1_11target_archE942ELNS1_3gpuE9ELNS1_3repE0EEENS1_38merge_mergepath_config_static_selectorELNS0_4arch9wavefront6targetE1EEEvSK_: ; @_ZN7rocprim17ROCPRIM_400000_NS6detail17trampoline_kernelINS0_14default_configENS1_38merge_sort_block_merge_config_selectorImNS0_10empty_typeEEEZZNS1_27merge_sort_block_merge_implIS3_N6thrust23THRUST_200600_302600_NS6detail15normal_iteratorINS9_10device_ptrImEEEEPS5_m14custom_greaterImEEE10hipError_tT0_T1_T2_jT3_P12ihipStream_tbPNSt15iterator_traitsISJ_E10value_typeEPNSP_ISK_E10value_typeEPSL_NS1_7vsmem_tEENKUlT_SJ_SK_SL_E_clISE_PmSF_SF_EESI_SY_SJ_SK_SL_EUlSY_E0_NS1_11comp_targetILNS1_3genE5ELNS1_11target_archE942ELNS1_3gpuE9ELNS1_3repE0EEENS1_38merge_mergepath_config_static_selectorELNS0_4arch9wavefront6targetE1EEEvSK_
; %bb.0:
	.section	.rodata,"a",@progbits
	.p2align	6, 0x0
	.amdhsa_kernel _ZN7rocprim17ROCPRIM_400000_NS6detail17trampoline_kernelINS0_14default_configENS1_38merge_sort_block_merge_config_selectorImNS0_10empty_typeEEEZZNS1_27merge_sort_block_merge_implIS3_N6thrust23THRUST_200600_302600_NS6detail15normal_iteratorINS9_10device_ptrImEEEEPS5_m14custom_greaterImEEE10hipError_tT0_T1_T2_jT3_P12ihipStream_tbPNSt15iterator_traitsISJ_E10value_typeEPNSP_ISK_E10value_typeEPSL_NS1_7vsmem_tEENKUlT_SJ_SK_SL_E_clISE_PmSF_SF_EESI_SY_SJ_SK_SL_EUlSY_E0_NS1_11comp_targetILNS1_3genE5ELNS1_11target_archE942ELNS1_3gpuE9ELNS1_3repE0EEENS1_38merge_mergepath_config_static_selectorELNS0_4arch9wavefront6targetE1EEEvSK_
		.amdhsa_group_segment_fixed_size 0
		.amdhsa_private_segment_fixed_size 0
		.amdhsa_kernarg_size 72
		.amdhsa_user_sgpr_count 6
		.amdhsa_user_sgpr_private_segment_buffer 1
		.amdhsa_user_sgpr_dispatch_ptr 0
		.amdhsa_user_sgpr_queue_ptr 0
		.amdhsa_user_sgpr_kernarg_segment_ptr 1
		.amdhsa_user_sgpr_dispatch_id 0
		.amdhsa_user_sgpr_flat_scratch_init 0
		.amdhsa_user_sgpr_kernarg_preload_length 0
		.amdhsa_user_sgpr_kernarg_preload_offset 0
		.amdhsa_user_sgpr_private_segment_size 0
		.amdhsa_uses_dynamic_stack 0
		.amdhsa_system_sgpr_private_segment_wavefront_offset 0
		.amdhsa_system_sgpr_workgroup_id_x 1
		.amdhsa_system_sgpr_workgroup_id_y 0
		.amdhsa_system_sgpr_workgroup_id_z 0
		.amdhsa_system_sgpr_workgroup_info 0
		.amdhsa_system_vgpr_workitem_id 0
		.amdhsa_next_free_vgpr 1
		.amdhsa_next_free_sgpr 0
		.amdhsa_accum_offset 4
		.amdhsa_reserve_vcc 0
		.amdhsa_reserve_flat_scratch 0
		.amdhsa_float_round_mode_32 0
		.amdhsa_float_round_mode_16_64 0
		.amdhsa_float_denorm_mode_32 3
		.amdhsa_float_denorm_mode_16_64 3
		.amdhsa_dx10_clamp 1
		.amdhsa_ieee_mode 1
		.amdhsa_fp16_overflow 0
		.amdhsa_tg_split 0
		.amdhsa_exception_fp_ieee_invalid_op 0
		.amdhsa_exception_fp_denorm_src 0
		.amdhsa_exception_fp_ieee_div_zero 0
		.amdhsa_exception_fp_ieee_overflow 0
		.amdhsa_exception_fp_ieee_underflow 0
		.amdhsa_exception_fp_ieee_inexact 0
		.amdhsa_exception_int_div_zero 0
	.end_amdhsa_kernel
	.section	.text._ZN7rocprim17ROCPRIM_400000_NS6detail17trampoline_kernelINS0_14default_configENS1_38merge_sort_block_merge_config_selectorImNS0_10empty_typeEEEZZNS1_27merge_sort_block_merge_implIS3_N6thrust23THRUST_200600_302600_NS6detail15normal_iteratorINS9_10device_ptrImEEEEPS5_m14custom_greaterImEEE10hipError_tT0_T1_T2_jT3_P12ihipStream_tbPNSt15iterator_traitsISJ_E10value_typeEPNSP_ISK_E10value_typeEPSL_NS1_7vsmem_tEENKUlT_SJ_SK_SL_E_clISE_PmSF_SF_EESI_SY_SJ_SK_SL_EUlSY_E0_NS1_11comp_targetILNS1_3genE5ELNS1_11target_archE942ELNS1_3gpuE9ELNS1_3repE0EEENS1_38merge_mergepath_config_static_selectorELNS0_4arch9wavefront6targetE1EEEvSK_,"axG",@progbits,_ZN7rocprim17ROCPRIM_400000_NS6detail17trampoline_kernelINS0_14default_configENS1_38merge_sort_block_merge_config_selectorImNS0_10empty_typeEEEZZNS1_27merge_sort_block_merge_implIS3_N6thrust23THRUST_200600_302600_NS6detail15normal_iteratorINS9_10device_ptrImEEEEPS5_m14custom_greaterImEEE10hipError_tT0_T1_T2_jT3_P12ihipStream_tbPNSt15iterator_traitsISJ_E10value_typeEPNSP_ISK_E10value_typeEPSL_NS1_7vsmem_tEENKUlT_SJ_SK_SL_E_clISE_PmSF_SF_EESI_SY_SJ_SK_SL_EUlSY_E0_NS1_11comp_targetILNS1_3genE5ELNS1_11target_archE942ELNS1_3gpuE9ELNS1_3repE0EEENS1_38merge_mergepath_config_static_selectorELNS0_4arch9wavefront6targetE1EEEvSK_,comdat
.Lfunc_end3347:
	.size	_ZN7rocprim17ROCPRIM_400000_NS6detail17trampoline_kernelINS0_14default_configENS1_38merge_sort_block_merge_config_selectorImNS0_10empty_typeEEEZZNS1_27merge_sort_block_merge_implIS3_N6thrust23THRUST_200600_302600_NS6detail15normal_iteratorINS9_10device_ptrImEEEEPS5_m14custom_greaterImEEE10hipError_tT0_T1_T2_jT3_P12ihipStream_tbPNSt15iterator_traitsISJ_E10value_typeEPNSP_ISK_E10value_typeEPSL_NS1_7vsmem_tEENKUlT_SJ_SK_SL_E_clISE_PmSF_SF_EESI_SY_SJ_SK_SL_EUlSY_E0_NS1_11comp_targetILNS1_3genE5ELNS1_11target_archE942ELNS1_3gpuE9ELNS1_3repE0EEENS1_38merge_mergepath_config_static_selectorELNS0_4arch9wavefront6targetE1EEEvSK_, .Lfunc_end3347-_ZN7rocprim17ROCPRIM_400000_NS6detail17trampoline_kernelINS0_14default_configENS1_38merge_sort_block_merge_config_selectorImNS0_10empty_typeEEEZZNS1_27merge_sort_block_merge_implIS3_N6thrust23THRUST_200600_302600_NS6detail15normal_iteratorINS9_10device_ptrImEEEEPS5_m14custom_greaterImEEE10hipError_tT0_T1_T2_jT3_P12ihipStream_tbPNSt15iterator_traitsISJ_E10value_typeEPNSP_ISK_E10value_typeEPSL_NS1_7vsmem_tEENKUlT_SJ_SK_SL_E_clISE_PmSF_SF_EESI_SY_SJ_SK_SL_EUlSY_E0_NS1_11comp_targetILNS1_3genE5ELNS1_11target_archE942ELNS1_3gpuE9ELNS1_3repE0EEENS1_38merge_mergepath_config_static_selectorELNS0_4arch9wavefront6targetE1EEEvSK_
                                        ; -- End function
	.section	.AMDGPU.csdata,"",@progbits
; Kernel info:
; codeLenInByte = 0
; NumSgprs: 4
; NumVgprs: 0
; NumAgprs: 0
; TotalNumVgprs: 0
; ScratchSize: 0
; MemoryBound: 0
; FloatMode: 240
; IeeeMode: 1
; LDSByteSize: 0 bytes/workgroup (compile time only)
; SGPRBlocks: 0
; VGPRBlocks: 0
; NumSGPRsForWavesPerEU: 4
; NumVGPRsForWavesPerEU: 1
; AccumOffset: 4
; Occupancy: 8
; WaveLimiterHint : 0
; COMPUTE_PGM_RSRC2:SCRATCH_EN: 0
; COMPUTE_PGM_RSRC2:USER_SGPR: 6
; COMPUTE_PGM_RSRC2:TRAP_HANDLER: 0
; COMPUTE_PGM_RSRC2:TGID_X_EN: 1
; COMPUTE_PGM_RSRC2:TGID_Y_EN: 0
; COMPUTE_PGM_RSRC2:TGID_Z_EN: 0
; COMPUTE_PGM_RSRC2:TIDIG_COMP_CNT: 0
; COMPUTE_PGM_RSRC3_GFX90A:ACCUM_OFFSET: 0
; COMPUTE_PGM_RSRC3_GFX90A:TG_SPLIT: 0
	.section	.text._ZN7rocprim17ROCPRIM_400000_NS6detail17trampoline_kernelINS0_14default_configENS1_38merge_sort_block_merge_config_selectorImNS0_10empty_typeEEEZZNS1_27merge_sort_block_merge_implIS3_N6thrust23THRUST_200600_302600_NS6detail15normal_iteratorINS9_10device_ptrImEEEEPS5_m14custom_greaterImEEE10hipError_tT0_T1_T2_jT3_P12ihipStream_tbPNSt15iterator_traitsISJ_E10value_typeEPNSP_ISK_E10value_typeEPSL_NS1_7vsmem_tEENKUlT_SJ_SK_SL_E_clISE_PmSF_SF_EESI_SY_SJ_SK_SL_EUlSY_E0_NS1_11comp_targetILNS1_3genE4ELNS1_11target_archE910ELNS1_3gpuE8ELNS1_3repE0EEENS1_38merge_mergepath_config_static_selectorELNS0_4arch9wavefront6targetE1EEEvSK_,"axG",@progbits,_ZN7rocprim17ROCPRIM_400000_NS6detail17trampoline_kernelINS0_14default_configENS1_38merge_sort_block_merge_config_selectorImNS0_10empty_typeEEEZZNS1_27merge_sort_block_merge_implIS3_N6thrust23THRUST_200600_302600_NS6detail15normal_iteratorINS9_10device_ptrImEEEEPS5_m14custom_greaterImEEE10hipError_tT0_T1_T2_jT3_P12ihipStream_tbPNSt15iterator_traitsISJ_E10value_typeEPNSP_ISK_E10value_typeEPSL_NS1_7vsmem_tEENKUlT_SJ_SK_SL_E_clISE_PmSF_SF_EESI_SY_SJ_SK_SL_EUlSY_E0_NS1_11comp_targetILNS1_3genE4ELNS1_11target_archE910ELNS1_3gpuE8ELNS1_3repE0EEENS1_38merge_mergepath_config_static_selectorELNS0_4arch9wavefront6targetE1EEEvSK_,comdat
	.protected	_ZN7rocprim17ROCPRIM_400000_NS6detail17trampoline_kernelINS0_14default_configENS1_38merge_sort_block_merge_config_selectorImNS0_10empty_typeEEEZZNS1_27merge_sort_block_merge_implIS3_N6thrust23THRUST_200600_302600_NS6detail15normal_iteratorINS9_10device_ptrImEEEEPS5_m14custom_greaterImEEE10hipError_tT0_T1_T2_jT3_P12ihipStream_tbPNSt15iterator_traitsISJ_E10value_typeEPNSP_ISK_E10value_typeEPSL_NS1_7vsmem_tEENKUlT_SJ_SK_SL_E_clISE_PmSF_SF_EESI_SY_SJ_SK_SL_EUlSY_E0_NS1_11comp_targetILNS1_3genE4ELNS1_11target_archE910ELNS1_3gpuE8ELNS1_3repE0EEENS1_38merge_mergepath_config_static_selectorELNS0_4arch9wavefront6targetE1EEEvSK_ ; -- Begin function _ZN7rocprim17ROCPRIM_400000_NS6detail17trampoline_kernelINS0_14default_configENS1_38merge_sort_block_merge_config_selectorImNS0_10empty_typeEEEZZNS1_27merge_sort_block_merge_implIS3_N6thrust23THRUST_200600_302600_NS6detail15normal_iteratorINS9_10device_ptrImEEEEPS5_m14custom_greaterImEEE10hipError_tT0_T1_T2_jT3_P12ihipStream_tbPNSt15iterator_traitsISJ_E10value_typeEPNSP_ISK_E10value_typeEPSL_NS1_7vsmem_tEENKUlT_SJ_SK_SL_E_clISE_PmSF_SF_EESI_SY_SJ_SK_SL_EUlSY_E0_NS1_11comp_targetILNS1_3genE4ELNS1_11target_archE910ELNS1_3gpuE8ELNS1_3repE0EEENS1_38merge_mergepath_config_static_selectorELNS0_4arch9wavefront6targetE1EEEvSK_
	.globl	_ZN7rocprim17ROCPRIM_400000_NS6detail17trampoline_kernelINS0_14default_configENS1_38merge_sort_block_merge_config_selectorImNS0_10empty_typeEEEZZNS1_27merge_sort_block_merge_implIS3_N6thrust23THRUST_200600_302600_NS6detail15normal_iteratorINS9_10device_ptrImEEEEPS5_m14custom_greaterImEEE10hipError_tT0_T1_T2_jT3_P12ihipStream_tbPNSt15iterator_traitsISJ_E10value_typeEPNSP_ISK_E10value_typeEPSL_NS1_7vsmem_tEENKUlT_SJ_SK_SL_E_clISE_PmSF_SF_EESI_SY_SJ_SK_SL_EUlSY_E0_NS1_11comp_targetILNS1_3genE4ELNS1_11target_archE910ELNS1_3gpuE8ELNS1_3repE0EEENS1_38merge_mergepath_config_static_selectorELNS0_4arch9wavefront6targetE1EEEvSK_
	.p2align	8
	.type	_ZN7rocprim17ROCPRIM_400000_NS6detail17trampoline_kernelINS0_14default_configENS1_38merge_sort_block_merge_config_selectorImNS0_10empty_typeEEEZZNS1_27merge_sort_block_merge_implIS3_N6thrust23THRUST_200600_302600_NS6detail15normal_iteratorINS9_10device_ptrImEEEEPS5_m14custom_greaterImEEE10hipError_tT0_T1_T2_jT3_P12ihipStream_tbPNSt15iterator_traitsISJ_E10value_typeEPNSP_ISK_E10value_typeEPSL_NS1_7vsmem_tEENKUlT_SJ_SK_SL_E_clISE_PmSF_SF_EESI_SY_SJ_SK_SL_EUlSY_E0_NS1_11comp_targetILNS1_3genE4ELNS1_11target_archE910ELNS1_3gpuE8ELNS1_3repE0EEENS1_38merge_mergepath_config_static_selectorELNS0_4arch9wavefront6targetE1EEEvSK_,@function
_ZN7rocprim17ROCPRIM_400000_NS6detail17trampoline_kernelINS0_14default_configENS1_38merge_sort_block_merge_config_selectorImNS0_10empty_typeEEEZZNS1_27merge_sort_block_merge_implIS3_N6thrust23THRUST_200600_302600_NS6detail15normal_iteratorINS9_10device_ptrImEEEEPS5_m14custom_greaterImEEE10hipError_tT0_T1_T2_jT3_P12ihipStream_tbPNSt15iterator_traitsISJ_E10value_typeEPNSP_ISK_E10value_typeEPSL_NS1_7vsmem_tEENKUlT_SJ_SK_SL_E_clISE_PmSF_SF_EESI_SY_SJ_SK_SL_EUlSY_E0_NS1_11comp_targetILNS1_3genE4ELNS1_11target_archE910ELNS1_3gpuE8ELNS1_3repE0EEENS1_38merge_mergepath_config_static_selectorELNS0_4arch9wavefront6targetE1EEEvSK_: ; @_ZN7rocprim17ROCPRIM_400000_NS6detail17trampoline_kernelINS0_14default_configENS1_38merge_sort_block_merge_config_selectorImNS0_10empty_typeEEEZZNS1_27merge_sort_block_merge_implIS3_N6thrust23THRUST_200600_302600_NS6detail15normal_iteratorINS9_10device_ptrImEEEEPS5_m14custom_greaterImEEE10hipError_tT0_T1_T2_jT3_P12ihipStream_tbPNSt15iterator_traitsISJ_E10value_typeEPNSP_ISK_E10value_typeEPSL_NS1_7vsmem_tEENKUlT_SJ_SK_SL_E_clISE_PmSF_SF_EESI_SY_SJ_SK_SL_EUlSY_E0_NS1_11comp_targetILNS1_3genE4ELNS1_11target_archE910ELNS1_3gpuE8ELNS1_3repE0EEENS1_38merge_mergepath_config_static_selectorELNS0_4arch9wavefront6targetE1EEEvSK_
; %bb.0:
	s_load_dwordx2 s[22:23], s[4:5], 0x48
	s_load_dword s0, s[4:5], 0x38
	s_add_u32 s18, s4, 0x48
	s_addc_u32 s19, s5, 0
	s_waitcnt lgkmcnt(0)
	s_mul_i32 s1, s23, s8
	s_add_i32 s1, s1, s7
	s_mul_i32 s1, s1, s22
	s_add_i32 s20, s1, s6
	s_cmp_ge_u32 s20, s0
	s_cbranch_scc1 .LBB3348_33
; %bb.1:
	s_load_dwordx2 s[0:1], s[4:5], 0x40
	s_load_dwordx4 s[12:15], s[4:5], 0x8
	s_load_dwordx4 s[8:11], s[4:5], 0x28
	s_mov_b32 s21, 0
	s_lshl_b64 s[2:3], s[20:21], 3
	s_waitcnt lgkmcnt(0)
	s_add_u32 s0, s0, s2
	s_addc_u32 s1, s1, s3
	v_mov_b32_e32 v1, s10
	v_alignbit_b32 v1, s11, v1, 9
	v_readfirstlane_b32 s4, v1
	s_and_b32 s4, s4, -2
	s_sub_i32 s30, 0, s4
	s_and_b32 s24, s20, s30
	s_mov_b32 s25, s21
	s_lshl_b64 s[4:5], s[24:25], 10
	s_lshl_b64 s[16:17], s[20:21], 10
	s_sub_u32 s7, s16, s4
	s_load_dwordx4 s[0:3], s[0:1], 0x0
	s_subb_u32 s23, s17, s5
	s_lshl_b64 s[24:25], s[24:25], 11
	s_add_u32 s24, s24, s10
	s_addc_u32 s25, s25, s11
	s_add_u32 s7, s24, s7
	s_addc_u32 s23, s25, s23
	s_waitcnt lgkmcnt(0)
	s_sub_u32 s26, s7, s2
	s_subb_u32 s3, s23, s3
	s_add_u32 s26, s26, 0x400
	s_addc_u32 s27, s3, 0
	v_pk_mov_b32 v[2:3], s[26:27], s[26:27] op_sel:[0,1]
	v_cmp_lt_u64_e32 vcc, s[8:9], v[2:3]
	s_and_b64 s[28:29], vcc, exec
	s_cselect_b32 s3, s8, s26
	s_or_b32 s26, s20, s30
	s_cmp_lg_u32 s26, -1
	s_cbranch_scc1 .LBB3348_3
; %bb.2:
	s_sub_u32 s4, s24, s4
	s_subb_u32 s5, s25, s5
	v_pk_mov_b32 v[2:3], s[4:5], s[4:5] op_sel:[0,1]
	v_cmp_lt_u64_e32 vcc, s[8:9], v[2:3]
	s_and_b64 s[2:3], vcc, exec
	s_cselect_b32 s2, s8, s4
	s_add_u32 s4, s4, s10
	s_addc_u32 s5, s5, s11
	v_pk_mov_b32 v[2:3], s[4:5], s[4:5] op_sel:[0,1]
	v_cmp_lt_u64_e32 vcc, s[8:9], v[2:3]
	s_and_b64 s[10:11], vcc, exec
	s_cselect_b32 s3, s8, s4
.LBB3348_3:
	s_lshr_b64 s[24:25], s[8:9], 10
	s_cmp_lg_u64 s[24:25], s[20:21]
	s_cselect_b64 s[10:11], -1, 0
	s_sub_u32 s4, s7, s0
	s_subb_u32 s5, s23, s1
	v_pk_mov_b32 v[2:3], s[4:5], s[4:5] op_sel:[0,1]
	v_cmp_lt_u64_e32 vcc, s[8:9], v[2:3]
	s_and_b64 s[26:27], vcc, exec
	s_cselect_b32 s26, s8, s4
	s_cselect_b32 s27, s9, s5
	s_sub_i32 s9, s2, s0
	s_sub_i32 s4, s3, s26
	s_lshl_b64 s[0:1], s[0:1], 3
	s_add_u32 s5, s12, s0
	s_addc_u32 s7, s13, s1
	s_lshl_b64 s[0:1], s[26:27], 3
	s_add_u32 s12, s12, s0
	s_addc_u32 s13, s13, s1
	s_cmp_lt_u32 s6, s22
	v_mov_b32_e32 v7, 0
	s_cselect_b32 s0, 12, 18
	global_load_dword v1, v7, s[18:19] offset:14
	s_add_u32 s0, s18, s0
	s_addc_u32 s1, s19, 0
	global_load_ushort v2, v7, s[0:1]
	s_cmp_eq_u64 s[24:25], s[20:21]
	s_waitcnt vmcnt(1)
	v_lshrrev_b32_e32 v3, 16, v1
	v_and_b32_e32 v1, 0xffff, v1
	v_mul_lo_u32 v1, v1, v3
	s_waitcnt vmcnt(0)
	v_mul_lo_u32 v15, v1, v2
	v_add_u32_e32 v12, v15, v0
	v_lshlrev_b32_e32 v1, 3, v0
	v_add_u32_e32 v10, v12, v15
	s_cbranch_scc1 .LBB3348_5
; %bb.4:
	v_subrev_u32_e32 v6, s9, v0
	v_lshlrev_b64 v[2:3], 3, v[6:7]
	v_mov_b32_e32 v4, s13
	v_add_co_u32_e32 v2, vcc, s12, v2
	v_addc_co_u32_e32 v3, vcc, v4, v3, vcc
	v_mov_b32_e32 v4, s7
	v_add_co_u32_e32 v5, vcc, s5, v1
	v_addc_co_u32_e32 v4, vcc, 0, v4, vcc
	v_cmp_gt_u32_e32 vcc, s9, v0
	v_subrev_u32_e32 v6, s9, v12
	v_cndmask_b32_e32 v3, v3, v4, vcc
	v_cndmask_b32_e32 v2, v2, v5, vcc
	v_lshlrev_b64 v[4:5], 3, v[6:7]
	v_mov_b32_e32 v6, s13
	v_add_co_u32_e32 v8, vcc, s12, v4
	v_mov_b32_e32 v13, v7
	v_addc_co_u32_e32 v6, vcc, v6, v5, vcc
	v_lshlrev_b64 v[4:5], 3, v[12:13]
	v_mov_b32_e32 v9, s7
	v_add_co_u32_e32 v4, vcc, s5, v4
	v_addc_co_u32_e32 v5, vcc, v9, v5, vcc
	v_cmp_gt_u32_e32 vcc, s9, v12
	v_cndmask_b32_e32 v5, v6, v5, vcc
	v_subrev_u32_e32 v6, s9, v10
	v_cndmask_b32_e32 v4, v8, v4, vcc
	v_lshlrev_b64 v[8:9], 3, v[6:7]
	v_mov_b32_e32 v6, s13
	v_add_co_u32_e32 v8, vcc, s12, v8
	v_mov_b32_e32 v11, v7
	v_addc_co_u32_e32 v9, vcc, v6, v9, vcc
	v_lshlrev_b64 v[6:7], 3, v[10:11]
	v_mov_b32_e32 v11, s7
	v_add_co_u32_e32 v6, vcc, s5, v6
	v_addc_co_u32_e32 v7, vcc, v11, v7, vcc
	v_cmp_gt_u32_e32 vcc, s9, v10
	v_cndmask_b32_e32 v7, v9, v7, vcc
	v_cndmask_b32_e32 v6, v8, v6, vcc
	global_load_dwordx2 v[2:3], v[2:3], off
	v_add_u32_e32 v14, v10, v15
	global_load_dwordx2 v[4:5], v[4:5], off
	s_add_i32 s6, s9, s4
	global_load_dwordx2 v[6:7], v[6:7], off
	s_mov_b64 s[0:1], -1
	s_cbranch_execz .LBB3348_6
	s_branch .LBB3348_11
.LBB3348_5:
	s_mov_b64 s[0:1], 0
                                        ; implicit-def: $vgpr14
                                        ; implicit-def: $vgpr2_vgpr3_vgpr4_vgpr5_vgpr6_vgpr7_vgpr8_vgpr9
                                        ; implicit-def: $sgpr6
.LBB3348_6:
	s_add_i32 s6, s9, s4
	v_cmp_gt_u32_e32 vcc, s6, v0
                                        ; implicit-def: $vgpr2_vgpr3_vgpr4_vgpr5_vgpr6_vgpr7_vgpr8_vgpr9
	s_and_saveexec_b64 s[0:1], vcc
	s_cbranch_execnz .LBB3348_34
; %bb.7:
	s_or_b64 exec, exec, s[0:1]
	v_cmp_gt_u32_e32 vcc, s6, v12
	s_and_saveexec_b64 s[2:3], vcc
	s_cbranch_execnz .LBB3348_35
.LBB3348_8:
	s_or_b64 exec, exec, s[2:3]
	v_cmp_gt_u32_e32 vcc, s6, v10
	s_and_saveexec_b64 s[0:1], vcc
	s_cbranch_execz .LBB3348_10
.LBB3348_9:
	v_mov_b32_e32 v11, 0
	s_waitcnt vmcnt(0)
	v_lshlrev_b64 v[6:7], 3, v[10:11]
	v_mov_b32_e32 v12, s7
	v_add_co_u32_e32 v13, vcc, s5, v6
	v_addc_co_u32_e32 v12, vcc, v12, v7, vcc
	v_subrev_u32_e32 v6, s9, v10
	v_mov_b32_e32 v7, v11
	v_lshlrev_b64 v[6:7], 3, v[6:7]
	v_mov_b32_e32 v11, s13
	v_add_co_u32_e32 v6, vcc, s12, v6
	v_addc_co_u32_e32 v7, vcc, v11, v7, vcc
	v_cmp_gt_u32_e32 vcc, s9, v10
	v_cndmask_b32_e32 v7, v7, v12, vcc
	v_cndmask_b32_e32 v6, v6, v13, vcc
	global_load_dwordx2 v[6:7], v[6:7], off
.LBB3348_10:
	s_or_b64 exec, exec, s[0:1]
	v_add_u32_e32 v14, v10, v15
	v_cmp_gt_u32_e64 s[0:1], s6, v14
.LBB3348_11:
	v_mov_b32_e32 v10, s6
	s_and_saveexec_b64 s[2:3], s[0:1]
	s_cbranch_execz .LBB3348_13
; %bb.12:
	v_subrev_u32_e32 v8, s9, v14
	v_mov_b32_e32 v9, 0
	v_lshlrev_b64 v[10:11], 3, v[8:9]
	v_mov_b32_e32 v8, s13
	v_add_co_u32_e32 v10, vcc, s12, v10
	v_mov_b32_e32 v15, v9
	v_addc_co_u32_e32 v11, vcc, v8, v11, vcc
	v_lshlrev_b64 v[8:9], 3, v[14:15]
	v_mov_b32_e32 v12, s7
	v_add_co_u32_e32 v8, vcc, s5, v8
	v_addc_co_u32_e32 v9, vcc, v12, v9, vcc
	v_cmp_gt_u32_e32 vcc, s9, v14
	v_cndmask_b32_e32 v9, v11, v9, vcc
	v_cndmask_b32_e32 v8, v10, v8, vcc
	global_load_dwordx2 v[8:9], v[8:9], off
	v_mov_b32_e32 v10, s6
.LBB3348_13:
	s_or_b64 exec, exec, s[2:3]
	v_lshlrev_b32_e32 v11, 2, v0
	v_min_u32_e32 v13, v10, v11
	v_sub_u32_e64 v12, v13, s4 clamp
	v_min_u32_e32 v14, s9, v13
	v_cmp_lt_u32_e32 vcc, v12, v14
	s_waitcnt vmcnt(0)
	ds_write2st64_b64 v1, v[2:3], v[4:5] offset1:4
	ds_write2st64_b64 v1, v[6:7], v[8:9] offset0:8 offset1:12
	s_waitcnt lgkmcnt(0)
	s_barrier
	s_and_saveexec_b64 s[0:1], vcc
	s_cbranch_execz .LBB3348_17
; %bb.14:
	v_lshlrev_b32_e32 v15, 3, v13
	v_lshl_add_u32 v15, s9, 3, v15
	s_mov_b64 s[2:3], 0
.LBB3348_15:                            ; =>This Inner Loop Header: Depth=1
	v_add_u32_e32 v16, v14, v12
	v_lshrrev_b32_e32 v20, 1, v16
	v_not_b32_e32 v16, v20
	v_lshlrev_b32_e32 v17, 3, v20
	v_lshl_add_u32 v18, v16, 3, v15
	ds_read_b64 v[16:17], v17
	ds_read_b64 v[18:19], v18
	v_add_u32_e32 v21, 1, v20
	s_waitcnt lgkmcnt(0)
	v_cmp_gt_u64_e32 vcc, v[16:17], v[18:19]
	v_cndmask_b32_e32 v14, v14, v20, vcc
	v_cndmask_b32_e32 v12, v21, v12, vcc
	v_cmp_ge_u32_e32 vcc, v12, v14
	s_or_b64 s[2:3], vcc, s[2:3]
	s_andn2_b64 exec, exec, s[2:3]
	s_cbranch_execnz .LBB3348_15
; %bb.16:
	s_or_b64 exec, exec, s[2:3]
.LBB3348_17:
	s_or_b64 exec, exec, s[0:1]
	v_sub_u32_e32 v13, v13, v12
	v_add_u32_e32 v13, s9, v13
	v_cmp_ge_u32_e32 vcc, s9, v12
	v_cmp_le_u32_e64 s[0:1], v13, v10
	s_or_b64 s[0:1], vcc, s[0:1]
	s_and_saveexec_b64 s[6:7], s[0:1]
	s_cbranch_execz .LBB3348_23
; %bb.18:
	v_cmp_gt_u32_e32 vcc, s9, v12
                                        ; implicit-def: $vgpr2_vgpr3
	s_and_saveexec_b64 s[0:1], vcc
	s_cbranch_execz .LBB3348_20
; %bb.19:
	v_lshlrev_b32_e32 v2, 3, v12
	ds_read_b64 v[2:3], v2
.LBB3348_20:
	s_or_b64 exec, exec, s[0:1]
	v_cmp_ge_u32_e64 s[0:1], v13, v10
	v_cmp_lt_u32_e64 s[2:3], v13, v10
                                        ; implicit-def: $vgpr4_vgpr5
	s_and_saveexec_b64 s[4:5], s[2:3]
	s_cbranch_execz .LBB3348_22
; %bb.21:
	v_lshlrev_b32_e32 v4, 3, v13
	ds_read_b64 v[4:5], v4
.LBB3348_22:
	s_or_b64 exec, exec, s[4:5]
	s_waitcnt lgkmcnt(0)
	v_cmp_le_u64_e64 s[2:3], v[2:3], v[4:5]
	s_and_b64 s[2:3], vcc, s[2:3]
	s_or_b64 vcc, s[0:1], s[2:3]
	v_mov_b32_e32 v16, s9
	v_cndmask_b32_e32 v6, v13, v12, vcc
	v_cndmask_b32_e32 v7, v10, v16, vcc
	v_add_u32_e32 v14, 1, v6
	v_add_u32_e32 v6, -1, v7
	v_min_u32_e32 v6, v14, v6
	v_lshlrev_b32_e32 v6, 3, v6
	ds_read_b64 v[6:7], v6
	v_cndmask_b32_e32 v18, v12, v14, vcc
	v_cndmask_b32_e32 v17, v14, v13, vcc
	v_cmp_gt_u32_e64 s[2:3], s9, v18
	v_cmp_ge_u32_e64 s[0:1], v17, v10
	s_waitcnt lgkmcnt(0)
	v_cndmask_b32_e32 v9, v7, v5, vcc
	v_cndmask_b32_e32 v8, v6, v4, vcc
	;; [unrolled: 1-line block ×4, first 2 shown]
	v_cmp_le_u64_e64 s[4:5], v[6:7], v[8:9]
	s_and_b64 s[2:3], s[2:3], s[4:5]
	s_or_b64 s[0:1], s[0:1], s[2:3]
	v_cndmask_b32_e64 v12, v17, v18, s[0:1]
	v_cndmask_b32_e64 v13, v10, v16, s[0:1]
	v_add_u32_e32 v19, 1, v12
	v_add_u32_e32 v12, -1, v13
	v_min_u32_e32 v12, v19, v12
	v_lshlrev_b32_e32 v12, 3, v12
	ds_read_b64 v[12:13], v12
	v_cndmask_b32_e64 v18, v18, v19, s[0:1]
	v_cndmask_b32_e64 v20, v19, v17, s[0:1]
	v_cmp_gt_u32_e64 s[2:3], s9, v18
	v_cndmask_b32_e32 v3, v5, v3, vcc
	s_waitcnt lgkmcnt(0)
	v_cndmask_b32_e64 v15, v13, v9, s[0:1]
	v_cndmask_b32_e64 v14, v12, v8, s[0:1]
	;; [unrolled: 1-line block ×4, first 2 shown]
	v_cmp_le_u64_e64 s[4:5], v[12:13], v[14:15]
	v_cndmask_b32_e32 v2, v4, v2, vcc
	v_cmp_ge_u32_e32 vcc, v20, v10
	s_and_b64 s[2:3], s[2:3], s[4:5]
	s_or_b64 vcc, vcc, s[2:3]
	v_cndmask_b32_e32 v4, v20, v18, vcc
	v_cndmask_b32_e32 v5, v10, v16, vcc
	v_add_u32_e32 v19, 1, v4
	v_add_u32_e32 v4, -1, v5
	v_min_u32_e32 v4, v19, v4
	v_lshlrev_b32_e32 v4, 3, v4
	ds_read_b64 v[16:17], v4
	v_cndmask_b32_e64 v5, v9, v7, s[0:1]
	v_cndmask_b32_e64 v4, v8, v6, s[0:1]
	v_cndmask_b32_e32 v7, v15, v13, vcc
	v_cndmask_b32_e32 v6, v14, v12, vcc
	s_waitcnt lgkmcnt(0)
	v_cndmask_b32_e32 v9, v17, v15, vcc
	v_cndmask_b32_e32 v8, v16, v14, vcc
	;; [unrolled: 1-line block ×6, first 2 shown]
	v_cmp_gt_u32_e64 s[0:1], s9, v15
	v_cmp_le_u64_e64 s[2:3], v[12:13], v[8:9]
	v_cmp_ge_u32_e32 vcc, v14, v10
	s_and_b64 s[0:1], s[0:1], s[2:3]
	s_or_b64 vcc, vcc, s[0:1]
	v_cndmask_b32_e32 v9, v9, v13, vcc
	v_cndmask_b32_e32 v8, v8, v12, vcc
.LBB3348_23:
	s_or_b64 exec, exec, s[6:7]
	v_and_b32_e32 v10, 0xf8, v0
	v_lshl_add_u32 v10, v11, 3, v10
	s_barrier
	s_barrier
	ds_write2_b64 v10, v[2:3], v[4:5] offset1:1
	ds_write2_b64 v10, v[6:7], v[8:9] offset0:2 offset1:3
	v_lshrrev_b32_e32 v2, 2, v0
	v_and_b32_e32 v2, 56, v2
	v_or_b32_e32 v12, 0x100, v0
	v_add_u32_e32 v13, v1, v2
	v_lshrrev_b32_e32 v2, 2, v12
	v_and_b32_e32 v2, 0x78, v2
	v_or_b32_e32 v11, 0x200, v0
	v_add_u32_e32 v6, v1, v2
	v_lshrrev_b32_e32 v2, 2, v11
	s_lshl_b64 s[0:1], s[16:17], 3
	v_and_b32_e32 v2, 0xb8, v2
	v_or_b32_e32 v10, 0x300, v0
	s_add_u32 s0, s14, s0
	v_add_u32_e32 v7, v1, v2
	v_lshrrev_b32_e32 v2, 2, v10
	s_addc_u32 s1, s15, s1
	v_and_b32_e32 v2, 0xf8, v2
	v_add_u32_e32 v14, v1, v2
	v_mov_b32_e32 v3, s1
	v_add_co_u32_e32 v2, vcc, s0, v1
	v_addc_co_u32_e32 v3, vcc, 0, v3, vcc
	s_and_b64 vcc, exec, s[10:11]
	s_waitcnt lgkmcnt(0)
	s_cbranch_vccz .LBB3348_25
; %bb.24:
	s_barrier
	ds_read_b64 v[8:9], v13
	ds_read_b64 v[16:17], v6 offset:2048
	ds_read_b64 v[18:19], v7 offset:4096
	;; [unrolled: 1-line block ×3, first 2 shown]
	s_waitcnt lgkmcnt(3)
	global_store_dwordx2 v[2:3], v[8:9], off
	s_waitcnt lgkmcnt(2)
	global_store_dwordx2 v[2:3], v[16:17], off offset:2048
	v_add_co_u32_e32 v8, vcc, 0x1000, v2
	v_addc_co_u32_e32 v9, vcc, 0, v3, vcc
	s_waitcnt lgkmcnt(1)
	global_store_dwordx2 v[8:9], v[18:19], off
	s_mov_b64 s[0:1], -1
	s_cbranch_execz .LBB3348_26
	s_branch .LBB3348_31
.LBB3348_25:
	s_mov_b64 s[0:1], 0
                                        ; implicit-def: $vgpr4_vgpr5
.LBB3348_26:
	s_barrier
	s_waitcnt lgkmcnt(0)
	ds_read_b64 v[8:9], v6 offset:2048
	ds_read_b64 v[6:7], v7 offset:4096
	ds_read_b64 v[4:5], v14 offset:6144
	s_sub_i32 s2, s8, s16
	v_cmp_gt_u32_e32 vcc, s2, v0
	s_and_saveexec_b64 s[0:1], vcc
	s_cbranch_execnz .LBB3348_36
; %bb.27:
	s_or_b64 exec, exec, s[0:1]
	v_cmp_gt_u32_e32 vcc, s2, v12
	s_and_saveexec_b64 s[0:1], vcc
	s_cbranch_execnz .LBB3348_37
.LBB3348_28:
	s_or_b64 exec, exec, s[0:1]
	v_cmp_gt_u32_e32 vcc, s2, v11
	s_and_saveexec_b64 s[0:1], vcc
	s_cbranch_execz .LBB3348_30
.LBB3348_29:
	v_add_co_u32_e32 v0, vcc, 0x1000, v2
	v_addc_co_u32_e32 v1, vcc, 0, v3, vcc
	s_waitcnt lgkmcnt(1)
	global_store_dwordx2 v[0:1], v[6:7], off
.LBB3348_30:
	s_or_b64 exec, exec, s[0:1]
	v_cmp_gt_u32_e64 s[0:1], s2, v10
.LBB3348_31:
	s_and_saveexec_b64 s[2:3], s[0:1]
	s_cbranch_execz .LBB3348_33
; %bb.32:
	v_add_co_u32_e32 v0, vcc, 0x1000, v2
	v_addc_co_u32_e32 v1, vcc, 0, v3, vcc
	s_waitcnt lgkmcnt(0)
	global_store_dwordx2 v[0:1], v[4:5], off offset:2048
.LBB3348_33:
	s_endpgm
.LBB3348_34:
	s_waitcnt vmcnt(2)
	v_mov_b32_e32 v2, s7
	s_waitcnt vmcnt(1)
	v_add_co_u32_e32 v4, vcc, s5, v1
	v_mov_b32_e32 v3, 0
	v_addc_co_u32_e32 v5, vcc, 0, v2, vcc
	v_subrev_u32_e32 v2, s9, v0
	v_lshlrev_b64 v[2:3], 3, v[2:3]
	s_waitcnt vmcnt(0)
	v_mov_b32_e32 v6, s13
	v_add_co_u32_e32 v2, vcc, s12, v2
	v_addc_co_u32_e32 v3, vcc, v6, v3, vcc
	v_cmp_gt_u32_e32 vcc, s9, v0
	v_cndmask_b32_e32 v3, v3, v5, vcc
	v_cndmask_b32_e32 v2, v2, v4, vcc
	global_load_dwordx2 v[2:3], v[2:3], off
	s_or_b64 exec, exec, s[0:1]
	v_cmp_gt_u32_e32 vcc, s6, v12
	s_and_saveexec_b64 s[2:3], vcc
	s_cbranch_execz .LBB3348_8
.LBB3348_35:
	v_mov_b32_e32 v13, 0
	s_waitcnt vmcnt(1)
	v_lshlrev_b64 v[4:5], 3, v[12:13]
	v_mov_b32_e32 v11, s7
	v_add_co_u32_e32 v14, vcc, s5, v4
	v_addc_co_u32_e32 v11, vcc, v11, v5, vcc
	v_cmp_gt_u32_e32 vcc, s9, v12
	v_subrev_u32_e32 v12, s9, v12
	v_lshlrev_b64 v[4:5], 3, v[12:13]
	v_mov_b32_e32 v12, s13
	v_add_co_u32_e64 v4, s[0:1], s12, v4
	v_addc_co_u32_e64 v5, s[0:1], v12, v5, s[0:1]
	v_cndmask_b32_e32 v5, v5, v11, vcc
	v_cndmask_b32_e32 v4, v4, v14, vcc
	global_load_dwordx2 v[4:5], v[4:5], off
	s_or_b64 exec, exec, s[2:3]
	v_cmp_gt_u32_e32 vcc, s6, v10
	s_and_saveexec_b64 s[0:1], vcc
	s_cbranch_execnz .LBB3348_9
	s_branch .LBB3348_10
.LBB3348_36:
	ds_read_b64 v[0:1], v13
	s_waitcnt lgkmcnt(0)
	global_store_dwordx2 v[2:3], v[0:1], off
	s_or_b64 exec, exec, s[0:1]
	v_cmp_gt_u32_e32 vcc, s2, v12
	s_and_saveexec_b64 s[0:1], vcc
	s_cbranch_execz .LBB3348_28
.LBB3348_37:
	s_waitcnt lgkmcnt(2)
	global_store_dwordx2 v[2:3], v[8:9], off offset:2048
	s_or_b64 exec, exec, s[0:1]
	v_cmp_gt_u32_e32 vcc, s2, v11
	s_and_saveexec_b64 s[0:1], vcc
	s_cbranch_execnz .LBB3348_29
	s_branch .LBB3348_30
	.section	.rodata,"a",@progbits
	.p2align	6, 0x0
	.amdhsa_kernel _ZN7rocprim17ROCPRIM_400000_NS6detail17trampoline_kernelINS0_14default_configENS1_38merge_sort_block_merge_config_selectorImNS0_10empty_typeEEEZZNS1_27merge_sort_block_merge_implIS3_N6thrust23THRUST_200600_302600_NS6detail15normal_iteratorINS9_10device_ptrImEEEEPS5_m14custom_greaterImEEE10hipError_tT0_T1_T2_jT3_P12ihipStream_tbPNSt15iterator_traitsISJ_E10value_typeEPNSP_ISK_E10value_typeEPSL_NS1_7vsmem_tEENKUlT_SJ_SK_SL_E_clISE_PmSF_SF_EESI_SY_SJ_SK_SL_EUlSY_E0_NS1_11comp_targetILNS1_3genE4ELNS1_11target_archE910ELNS1_3gpuE8ELNS1_3repE0EEENS1_38merge_mergepath_config_static_selectorELNS0_4arch9wavefront6targetE1EEEvSK_
		.amdhsa_group_segment_fixed_size 8448
		.amdhsa_private_segment_fixed_size 0
		.amdhsa_kernarg_size 328
		.amdhsa_user_sgpr_count 6
		.amdhsa_user_sgpr_private_segment_buffer 1
		.amdhsa_user_sgpr_dispatch_ptr 0
		.amdhsa_user_sgpr_queue_ptr 0
		.amdhsa_user_sgpr_kernarg_segment_ptr 1
		.amdhsa_user_sgpr_dispatch_id 0
		.amdhsa_user_sgpr_flat_scratch_init 0
		.amdhsa_user_sgpr_kernarg_preload_length 0
		.amdhsa_user_sgpr_kernarg_preload_offset 0
		.amdhsa_user_sgpr_private_segment_size 0
		.amdhsa_uses_dynamic_stack 0
		.amdhsa_system_sgpr_private_segment_wavefront_offset 0
		.amdhsa_system_sgpr_workgroup_id_x 1
		.amdhsa_system_sgpr_workgroup_id_y 1
		.amdhsa_system_sgpr_workgroup_id_z 1
		.amdhsa_system_sgpr_workgroup_info 0
		.amdhsa_system_vgpr_workitem_id 0
		.amdhsa_next_free_vgpr 22
		.amdhsa_next_free_sgpr 31
		.amdhsa_accum_offset 24
		.amdhsa_reserve_vcc 1
		.amdhsa_reserve_flat_scratch 0
		.amdhsa_float_round_mode_32 0
		.amdhsa_float_round_mode_16_64 0
		.amdhsa_float_denorm_mode_32 3
		.amdhsa_float_denorm_mode_16_64 3
		.amdhsa_dx10_clamp 1
		.amdhsa_ieee_mode 1
		.amdhsa_fp16_overflow 0
		.amdhsa_tg_split 0
		.amdhsa_exception_fp_ieee_invalid_op 0
		.amdhsa_exception_fp_denorm_src 0
		.amdhsa_exception_fp_ieee_div_zero 0
		.amdhsa_exception_fp_ieee_overflow 0
		.amdhsa_exception_fp_ieee_underflow 0
		.amdhsa_exception_fp_ieee_inexact 0
		.amdhsa_exception_int_div_zero 0
	.end_amdhsa_kernel
	.section	.text._ZN7rocprim17ROCPRIM_400000_NS6detail17trampoline_kernelINS0_14default_configENS1_38merge_sort_block_merge_config_selectorImNS0_10empty_typeEEEZZNS1_27merge_sort_block_merge_implIS3_N6thrust23THRUST_200600_302600_NS6detail15normal_iteratorINS9_10device_ptrImEEEEPS5_m14custom_greaterImEEE10hipError_tT0_T1_T2_jT3_P12ihipStream_tbPNSt15iterator_traitsISJ_E10value_typeEPNSP_ISK_E10value_typeEPSL_NS1_7vsmem_tEENKUlT_SJ_SK_SL_E_clISE_PmSF_SF_EESI_SY_SJ_SK_SL_EUlSY_E0_NS1_11comp_targetILNS1_3genE4ELNS1_11target_archE910ELNS1_3gpuE8ELNS1_3repE0EEENS1_38merge_mergepath_config_static_selectorELNS0_4arch9wavefront6targetE1EEEvSK_,"axG",@progbits,_ZN7rocprim17ROCPRIM_400000_NS6detail17trampoline_kernelINS0_14default_configENS1_38merge_sort_block_merge_config_selectorImNS0_10empty_typeEEEZZNS1_27merge_sort_block_merge_implIS3_N6thrust23THRUST_200600_302600_NS6detail15normal_iteratorINS9_10device_ptrImEEEEPS5_m14custom_greaterImEEE10hipError_tT0_T1_T2_jT3_P12ihipStream_tbPNSt15iterator_traitsISJ_E10value_typeEPNSP_ISK_E10value_typeEPSL_NS1_7vsmem_tEENKUlT_SJ_SK_SL_E_clISE_PmSF_SF_EESI_SY_SJ_SK_SL_EUlSY_E0_NS1_11comp_targetILNS1_3genE4ELNS1_11target_archE910ELNS1_3gpuE8ELNS1_3repE0EEENS1_38merge_mergepath_config_static_selectorELNS0_4arch9wavefront6targetE1EEEvSK_,comdat
.Lfunc_end3348:
	.size	_ZN7rocprim17ROCPRIM_400000_NS6detail17trampoline_kernelINS0_14default_configENS1_38merge_sort_block_merge_config_selectorImNS0_10empty_typeEEEZZNS1_27merge_sort_block_merge_implIS3_N6thrust23THRUST_200600_302600_NS6detail15normal_iteratorINS9_10device_ptrImEEEEPS5_m14custom_greaterImEEE10hipError_tT0_T1_T2_jT3_P12ihipStream_tbPNSt15iterator_traitsISJ_E10value_typeEPNSP_ISK_E10value_typeEPSL_NS1_7vsmem_tEENKUlT_SJ_SK_SL_E_clISE_PmSF_SF_EESI_SY_SJ_SK_SL_EUlSY_E0_NS1_11comp_targetILNS1_3genE4ELNS1_11target_archE910ELNS1_3gpuE8ELNS1_3repE0EEENS1_38merge_mergepath_config_static_selectorELNS0_4arch9wavefront6targetE1EEEvSK_, .Lfunc_end3348-_ZN7rocprim17ROCPRIM_400000_NS6detail17trampoline_kernelINS0_14default_configENS1_38merge_sort_block_merge_config_selectorImNS0_10empty_typeEEEZZNS1_27merge_sort_block_merge_implIS3_N6thrust23THRUST_200600_302600_NS6detail15normal_iteratorINS9_10device_ptrImEEEEPS5_m14custom_greaterImEEE10hipError_tT0_T1_T2_jT3_P12ihipStream_tbPNSt15iterator_traitsISJ_E10value_typeEPNSP_ISK_E10value_typeEPSL_NS1_7vsmem_tEENKUlT_SJ_SK_SL_E_clISE_PmSF_SF_EESI_SY_SJ_SK_SL_EUlSY_E0_NS1_11comp_targetILNS1_3genE4ELNS1_11target_archE910ELNS1_3gpuE8ELNS1_3repE0EEENS1_38merge_mergepath_config_static_selectorELNS0_4arch9wavefront6targetE1EEEvSK_
                                        ; -- End function
	.section	.AMDGPU.csdata,"",@progbits
; Kernel info:
; codeLenInByte = 2200
; NumSgprs: 35
; NumVgprs: 22
; NumAgprs: 0
; TotalNumVgprs: 22
; ScratchSize: 0
; MemoryBound: 0
; FloatMode: 240
; IeeeMode: 1
; LDSByteSize: 8448 bytes/workgroup (compile time only)
; SGPRBlocks: 4
; VGPRBlocks: 2
; NumSGPRsForWavesPerEU: 35
; NumVGPRsForWavesPerEU: 22
; AccumOffset: 24
; Occupancy: 7
; WaveLimiterHint : 1
; COMPUTE_PGM_RSRC2:SCRATCH_EN: 0
; COMPUTE_PGM_RSRC2:USER_SGPR: 6
; COMPUTE_PGM_RSRC2:TRAP_HANDLER: 0
; COMPUTE_PGM_RSRC2:TGID_X_EN: 1
; COMPUTE_PGM_RSRC2:TGID_Y_EN: 1
; COMPUTE_PGM_RSRC2:TGID_Z_EN: 1
; COMPUTE_PGM_RSRC2:TIDIG_COMP_CNT: 0
; COMPUTE_PGM_RSRC3_GFX90A:ACCUM_OFFSET: 5
; COMPUTE_PGM_RSRC3_GFX90A:TG_SPLIT: 0
	.section	.text._ZN7rocprim17ROCPRIM_400000_NS6detail17trampoline_kernelINS0_14default_configENS1_38merge_sort_block_merge_config_selectorImNS0_10empty_typeEEEZZNS1_27merge_sort_block_merge_implIS3_N6thrust23THRUST_200600_302600_NS6detail15normal_iteratorINS9_10device_ptrImEEEEPS5_m14custom_greaterImEEE10hipError_tT0_T1_T2_jT3_P12ihipStream_tbPNSt15iterator_traitsISJ_E10value_typeEPNSP_ISK_E10value_typeEPSL_NS1_7vsmem_tEENKUlT_SJ_SK_SL_E_clISE_PmSF_SF_EESI_SY_SJ_SK_SL_EUlSY_E0_NS1_11comp_targetILNS1_3genE3ELNS1_11target_archE908ELNS1_3gpuE7ELNS1_3repE0EEENS1_38merge_mergepath_config_static_selectorELNS0_4arch9wavefront6targetE1EEEvSK_,"axG",@progbits,_ZN7rocprim17ROCPRIM_400000_NS6detail17trampoline_kernelINS0_14default_configENS1_38merge_sort_block_merge_config_selectorImNS0_10empty_typeEEEZZNS1_27merge_sort_block_merge_implIS3_N6thrust23THRUST_200600_302600_NS6detail15normal_iteratorINS9_10device_ptrImEEEEPS5_m14custom_greaterImEEE10hipError_tT0_T1_T2_jT3_P12ihipStream_tbPNSt15iterator_traitsISJ_E10value_typeEPNSP_ISK_E10value_typeEPSL_NS1_7vsmem_tEENKUlT_SJ_SK_SL_E_clISE_PmSF_SF_EESI_SY_SJ_SK_SL_EUlSY_E0_NS1_11comp_targetILNS1_3genE3ELNS1_11target_archE908ELNS1_3gpuE7ELNS1_3repE0EEENS1_38merge_mergepath_config_static_selectorELNS0_4arch9wavefront6targetE1EEEvSK_,comdat
	.protected	_ZN7rocprim17ROCPRIM_400000_NS6detail17trampoline_kernelINS0_14default_configENS1_38merge_sort_block_merge_config_selectorImNS0_10empty_typeEEEZZNS1_27merge_sort_block_merge_implIS3_N6thrust23THRUST_200600_302600_NS6detail15normal_iteratorINS9_10device_ptrImEEEEPS5_m14custom_greaterImEEE10hipError_tT0_T1_T2_jT3_P12ihipStream_tbPNSt15iterator_traitsISJ_E10value_typeEPNSP_ISK_E10value_typeEPSL_NS1_7vsmem_tEENKUlT_SJ_SK_SL_E_clISE_PmSF_SF_EESI_SY_SJ_SK_SL_EUlSY_E0_NS1_11comp_targetILNS1_3genE3ELNS1_11target_archE908ELNS1_3gpuE7ELNS1_3repE0EEENS1_38merge_mergepath_config_static_selectorELNS0_4arch9wavefront6targetE1EEEvSK_ ; -- Begin function _ZN7rocprim17ROCPRIM_400000_NS6detail17trampoline_kernelINS0_14default_configENS1_38merge_sort_block_merge_config_selectorImNS0_10empty_typeEEEZZNS1_27merge_sort_block_merge_implIS3_N6thrust23THRUST_200600_302600_NS6detail15normal_iteratorINS9_10device_ptrImEEEEPS5_m14custom_greaterImEEE10hipError_tT0_T1_T2_jT3_P12ihipStream_tbPNSt15iterator_traitsISJ_E10value_typeEPNSP_ISK_E10value_typeEPSL_NS1_7vsmem_tEENKUlT_SJ_SK_SL_E_clISE_PmSF_SF_EESI_SY_SJ_SK_SL_EUlSY_E0_NS1_11comp_targetILNS1_3genE3ELNS1_11target_archE908ELNS1_3gpuE7ELNS1_3repE0EEENS1_38merge_mergepath_config_static_selectorELNS0_4arch9wavefront6targetE1EEEvSK_
	.globl	_ZN7rocprim17ROCPRIM_400000_NS6detail17trampoline_kernelINS0_14default_configENS1_38merge_sort_block_merge_config_selectorImNS0_10empty_typeEEEZZNS1_27merge_sort_block_merge_implIS3_N6thrust23THRUST_200600_302600_NS6detail15normal_iteratorINS9_10device_ptrImEEEEPS5_m14custom_greaterImEEE10hipError_tT0_T1_T2_jT3_P12ihipStream_tbPNSt15iterator_traitsISJ_E10value_typeEPNSP_ISK_E10value_typeEPSL_NS1_7vsmem_tEENKUlT_SJ_SK_SL_E_clISE_PmSF_SF_EESI_SY_SJ_SK_SL_EUlSY_E0_NS1_11comp_targetILNS1_3genE3ELNS1_11target_archE908ELNS1_3gpuE7ELNS1_3repE0EEENS1_38merge_mergepath_config_static_selectorELNS0_4arch9wavefront6targetE1EEEvSK_
	.p2align	8
	.type	_ZN7rocprim17ROCPRIM_400000_NS6detail17trampoline_kernelINS0_14default_configENS1_38merge_sort_block_merge_config_selectorImNS0_10empty_typeEEEZZNS1_27merge_sort_block_merge_implIS3_N6thrust23THRUST_200600_302600_NS6detail15normal_iteratorINS9_10device_ptrImEEEEPS5_m14custom_greaterImEEE10hipError_tT0_T1_T2_jT3_P12ihipStream_tbPNSt15iterator_traitsISJ_E10value_typeEPNSP_ISK_E10value_typeEPSL_NS1_7vsmem_tEENKUlT_SJ_SK_SL_E_clISE_PmSF_SF_EESI_SY_SJ_SK_SL_EUlSY_E0_NS1_11comp_targetILNS1_3genE3ELNS1_11target_archE908ELNS1_3gpuE7ELNS1_3repE0EEENS1_38merge_mergepath_config_static_selectorELNS0_4arch9wavefront6targetE1EEEvSK_,@function
_ZN7rocprim17ROCPRIM_400000_NS6detail17trampoline_kernelINS0_14default_configENS1_38merge_sort_block_merge_config_selectorImNS0_10empty_typeEEEZZNS1_27merge_sort_block_merge_implIS3_N6thrust23THRUST_200600_302600_NS6detail15normal_iteratorINS9_10device_ptrImEEEEPS5_m14custom_greaterImEEE10hipError_tT0_T1_T2_jT3_P12ihipStream_tbPNSt15iterator_traitsISJ_E10value_typeEPNSP_ISK_E10value_typeEPSL_NS1_7vsmem_tEENKUlT_SJ_SK_SL_E_clISE_PmSF_SF_EESI_SY_SJ_SK_SL_EUlSY_E0_NS1_11comp_targetILNS1_3genE3ELNS1_11target_archE908ELNS1_3gpuE7ELNS1_3repE0EEENS1_38merge_mergepath_config_static_selectorELNS0_4arch9wavefront6targetE1EEEvSK_: ; @_ZN7rocprim17ROCPRIM_400000_NS6detail17trampoline_kernelINS0_14default_configENS1_38merge_sort_block_merge_config_selectorImNS0_10empty_typeEEEZZNS1_27merge_sort_block_merge_implIS3_N6thrust23THRUST_200600_302600_NS6detail15normal_iteratorINS9_10device_ptrImEEEEPS5_m14custom_greaterImEEE10hipError_tT0_T1_T2_jT3_P12ihipStream_tbPNSt15iterator_traitsISJ_E10value_typeEPNSP_ISK_E10value_typeEPSL_NS1_7vsmem_tEENKUlT_SJ_SK_SL_E_clISE_PmSF_SF_EESI_SY_SJ_SK_SL_EUlSY_E0_NS1_11comp_targetILNS1_3genE3ELNS1_11target_archE908ELNS1_3gpuE7ELNS1_3repE0EEENS1_38merge_mergepath_config_static_selectorELNS0_4arch9wavefront6targetE1EEEvSK_
; %bb.0:
	.section	.rodata,"a",@progbits
	.p2align	6, 0x0
	.amdhsa_kernel _ZN7rocprim17ROCPRIM_400000_NS6detail17trampoline_kernelINS0_14default_configENS1_38merge_sort_block_merge_config_selectorImNS0_10empty_typeEEEZZNS1_27merge_sort_block_merge_implIS3_N6thrust23THRUST_200600_302600_NS6detail15normal_iteratorINS9_10device_ptrImEEEEPS5_m14custom_greaterImEEE10hipError_tT0_T1_T2_jT3_P12ihipStream_tbPNSt15iterator_traitsISJ_E10value_typeEPNSP_ISK_E10value_typeEPSL_NS1_7vsmem_tEENKUlT_SJ_SK_SL_E_clISE_PmSF_SF_EESI_SY_SJ_SK_SL_EUlSY_E0_NS1_11comp_targetILNS1_3genE3ELNS1_11target_archE908ELNS1_3gpuE7ELNS1_3repE0EEENS1_38merge_mergepath_config_static_selectorELNS0_4arch9wavefront6targetE1EEEvSK_
		.amdhsa_group_segment_fixed_size 0
		.amdhsa_private_segment_fixed_size 0
		.amdhsa_kernarg_size 72
		.amdhsa_user_sgpr_count 6
		.amdhsa_user_sgpr_private_segment_buffer 1
		.amdhsa_user_sgpr_dispatch_ptr 0
		.amdhsa_user_sgpr_queue_ptr 0
		.amdhsa_user_sgpr_kernarg_segment_ptr 1
		.amdhsa_user_sgpr_dispatch_id 0
		.amdhsa_user_sgpr_flat_scratch_init 0
		.amdhsa_user_sgpr_kernarg_preload_length 0
		.amdhsa_user_sgpr_kernarg_preload_offset 0
		.amdhsa_user_sgpr_private_segment_size 0
		.amdhsa_uses_dynamic_stack 0
		.amdhsa_system_sgpr_private_segment_wavefront_offset 0
		.amdhsa_system_sgpr_workgroup_id_x 1
		.amdhsa_system_sgpr_workgroup_id_y 0
		.amdhsa_system_sgpr_workgroup_id_z 0
		.amdhsa_system_sgpr_workgroup_info 0
		.amdhsa_system_vgpr_workitem_id 0
		.amdhsa_next_free_vgpr 1
		.amdhsa_next_free_sgpr 0
		.amdhsa_accum_offset 4
		.amdhsa_reserve_vcc 0
		.amdhsa_reserve_flat_scratch 0
		.amdhsa_float_round_mode_32 0
		.amdhsa_float_round_mode_16_64 0
		.amdhsa_float_denorm_mode_32 3
		.amdhsa_float_denorm_mode_16_64 3
		.amdhsa_dx10_clamp 1
		.amdhsa_ieee_mode 1
		.amdhsa_fp16_overflow 0
		.amdhsa_tg_split 0
		.amdhsa_exception_fp_ieee_invalid_op 0
		.amdhsa_exception_fp_denorm_src 0
		.amdhsa_exception_fp_ieee_div_zero 0
		.amdhsa_exception_fp_ieee_overflow 0
		.amdhsa_exception_fp_ieee_underflow 0
		.amdhsa_exception_fp_ieee_inexact 0
		.amdhsa_exception_int_div_zero 0
	.end_amdhsa_kernel
	.section	.text._ZN7rocprim17ROCPRIM_400000_NS6detail17trampoline_kernelINS0_14default_configENS1_38merge_sort_block_merge_config_selectorImNS0_10empty_typeEEEZZNS1_27merge_sort_block_merge_implIS3_N6thrust23THRUST_200600_302600_NS6detail15normal_iteratorINS9_10device_ptrImEEEEPS5_m14custom_greaterImEEE10hipError_tT0_T1_T2_jT3_P12ihipStream_tbPNSt15iterator_traitsISJ_E10value_typeEPNSP_ISK_E10value_typeEPSL_NS1_7vsmem_tEENKUlT_SJ_SK_SL_E_clISE_PmSF_SF_EESI_SY_SJ_SK_SL_EUlSY_E0_NS1_11comp_targetILNS1_3genE3ELNS1_11target_archE908ELNS1_3gpuE7ELNS1_3repE0EEENS1_38merge_mergepath_config_static_selectorELNS0_4arch9wavefront6targetE1EEEvSK_,"axG",@progbits,_ZN7rocprim17ROCPRIM_400000_NS6detail17trampoline_kernelINS0_14default_configENS1_38merge_sort_block_merge_config_selectorImNS0_10empty_typeEEEZZNS1_27merge_sort_block_merge_implIS3_N6thrust23THRUST_200600_302600_NS6detail15normal_iteratorINS9_10device_ptrImEEEEPS5_m14custom_greaterImEEE10hipError_tT0_T1_T2_jT3_P12ihipStream_tbPNSt15iterator_traitsISJ_E10value_typeEPNSP_ISK_E10value_typeEPSL_NS1_7vsmem_tEENKUlT_SJ_SK_SL_E_clISE_PmSF_SF_EESI_SY_SJ_SK_SL_EUlSY_E0_NS1_11comp_targetILNS1_3genE3ELNS1_11target_archE908ELNS1_3gpuE7ELNS1_3repE0EEENS1_38merge_mergepath_config_static_selectorELNS0_4arch9wavefront6targetE1EEEvSK_,comdat
.Lfunc_end3349:
	.size	_ZN7rocprim17ROCPRIM_400000_NS6detail17trampoline_kernelINS0_14default_configENS1_38merge_sort_block_merge_config_selectorImNS0_10empty_typeEEEZZNS1_27merge_sort_block_merge_implIS3_N6thrust23THRUST_200600_302600_NS6detail15normal_iteratorINS9_10device_ptrImEEEEPS5_m14custom_greaterImEEE10hipError_tT0_T1_T2_jT3_P12ihipStream_tbPNSt15iterator_traitsISJ_E10value_typeEPNSP_ISK_E10value_typeEPSL_NS1_7vsmem_tEENKUlT_SJ_SK_SL_E_clISE_PmSF_SF_EESI_SY_SJ_SK_SL_EUlSY_E0_NS1_11comp_targetILNS1_3genE3ELNS1_11target_archE908ELNS1_3gpuE7ELNS1_3repE0EEENS1_38merge_mergepath_config_static_selectorELNS0_4arch9wavefront6targetE1EEEvSK_, .Lfunc_end3349-_ZN7rocprim17ROCPRIM_400000_NS6detail17trampoline_kernelINS0_14default_configENS1_38merge_sort_block_merge_config_selectorImNS0_10empty_typeEEEZZNS1_27merge_sort_block_merge_implIS3_N6thrust23THRUST_200600_302600_NS6detail15normal_iteratorINS9_10device_ptrImEEEEPS5_m14custom_greaterImEEE10hipError_tT0_T1_T2_jT3_P12ihipStream_tbPNSt15iterator_traitsISJ_E10value_typeEPNSP_ISK_E10value_typeEPSL_NS1_7vsmem_tEENKUlT_SJ_SK_SL_E_clISE_PmSF_SF_EESI_SY_SJ_SK_SL_EUlSY_E0_NS1_11comp_targetILNS1_3genE3ELNS1_11target_archE908ELNS1_3gpuE7ELNS1_3repE0EEENS1_38merge_mergepath_config_static_selectorELNS0_4arch9wavefront6targetE1EEEvSK_
                                        ; -- End function
	.section	.AMDGPU.csdata,"",@progbits
; Kernel info:
; codeLenInByte = 0
; NumSgprs: 4
; NumVgprs: 0
; NumAgprs: 0
; TotalNumVgprs: 0
; ScratchSize: 0
; MemoryBound: 0
; FloatMode: 240
; IeeeMode: 1
; LDSByteSize: 0 bytes/workgroup (compile time only)
; SGPRBlocks: 0
; VGPRBlocks: 0
; NumSGPRsForWavesPerEU: 4
; NumVGPRsForWavesPerEU: 1
; AccumOffset: 4
; Occupancy: 8
; WaveLimiterHint : 0
; COMPUTE_PGM_RSRC2:SCRATCH_EN: 0
; COMPUTE_PGM_RSRC2:USER_SGPR: 6
; COMPUTE_PGM_RSRC2:TRAP_HANDLER: 0
; COMPUTE_PGM_RSRC2:TGID_X_EN: 1
; COMPUTE_PGM_RSRC2:TGID_Y_EN: 0
; COMPUTE_PGM_RSRC2:TGID_Z_EN: 0
; COMPUTE_PGM_RSRC2:TIDIG_COMP_CNT: 0
; COMPUTE_PGM_RSRC3_GFX90A:ACCUM_OFFSET: 0
; COMPUTE_PGM_RSRC3_GFX90A:TG_SPLIT: 0
	.section	.text._ZN7rocprim17ROCPRIM_400000_NS6detail17trampoline_kernelINS0_14default_configENS1_38merge_sort_block_merge_config_selectorImNS0_10empty_typeEEEZZNS1_27merge_sort_block_merge_implIS3_N6thrust23THRUST_200600_302600_NS6detail15normal_iteratorINS9_10device_ptrImEEEEPS5_m14custom_greaterImEEE10hipError_tT0_T1_T2_jT3_P12ihipStream_tbPNSt15iterator_traitsISJ_E10value_typeEPNSP_ISK_E10value_typeEPSL_NS1_7vsmem_tEENKUlT_SJ_SK_SL_E_clISE_PmSF_SF_EESI_SY_SJ_SK_SL_EUlSY_E0_NS1_11comp_targetILNS1_3genE2ELNS1_11target_archE906ELNS1_3gpuE6ELNS1_3repE0EEENS1_38merge_mergepath_config_static_selectorELNS0_4arch9wavefront6targetE1EEEvSK_,"axG",@progbits,_ZN7rocprim17ROCPRIM_400000_NS6detail17trampoline_kernelINS0_14default_configENS1_38merge_sort_block_merge_config_selectorImNS0_10empty_typeEEEZZNS1_27merge_sort_block_merge_implIS3_N6thrust23THRUST_200600_302600_NS6detail15normal_iteratorINS9_10device_ptrImEEEEPS5_m14custom_greaterImEEE10hipError_tT0_T1_T2_jT3_P12ihipStream_tbPNSt15iterator_traitsISJ_E10value_typeEPNSP_ISK_E10value_typeEPSL_NS1_7vsmem_tEENKUlT_SJ_SK_SL_E_clISE_PmSF_SF_EESI_SY_SJ_SK_SL_EUlSY_E0_NS1_11comp_targetILNS1_3genE2ELNS1_11target_archE906ELNS1_3gpuE6ELNS1_3repE0EEENS1_38merge_mergepath_config_static_selectorELNS0_4arch9wavefront6targetE1EEEvSK_,comdat
	.protected	_ZN7rocprim17ROCPRIM_400000_NS6detail17trampoline_kernelINS0_14default_configENS1_38merge_sort_block_merge_config_selectorImNS0_10empty_typeEEEZZNS1_27merge_sort_block_merge_implIS3_N6thrust23THRUST_200600_302600_NS6detail15normal_iteratorINS9_10device_ptrImEEEEPS5_m14custom_greaterImEEE10hipError_tT0_T1_T2_jT3_P12ihipStream_tbPNSt15iterator_traitsISJ_E10value_typeEPNSP_ISK_E10value_typeEPSL_NS1_7vsmem_tEENKUlT_SJ_SK_SL_E_clISE_PmSF_SF_EESI_SY_SJ_SK_SL_EUlSY_E0_NS1_11comp_targetILNS1_3genE2ELNS1_11target_archE906ELNS1_3gpuE6ELNS1_3repE0EEENS1_38merge_mergepath_config_static_selectorELNS0_4arch9wavefront6targetE1EEEvSK_ ; -- Begin function _ZN7rocprim17ROCPRIM_400000_NS6detail17trampoline_kernelINS0_14default_configENS1_38merge_sort_block_merge_config_selectorImNS0_10empty_typeEEEZZNS1_27merge_sort_block_merge_implIS3_N6thrust23THRUST_200600_302600_NS6detail15normal_iteratorINS9_10device_ptrImEEEEPS5_m14custom_greaterImEEE10hipError_tT0_T1_T2_jT3_P12ihipStream_tbPNSt15iterator_traitsISJ_E10value_typeEPNSP_ISK_E10value_typeEPSL_NS1_7vsmem_tEENKUlT_SJ_SK_SL_E_clISE_PmSF_SF_EESI_SY_SJ_SK_SL_EUlSY_E0_NS1_11comp_targetILNS1_3genE2ELNS1_11target_archE906ELNS1_3gpuE6ELNS1_3repE0EEENS1_38merge_mergepath_config_static_selectorELNS0_4arch9wavefront6targetE1EEEvSK_
	.globl	_ZN7rocprim17ROCPRIM_400000_NS6detail17trampoline_kernelINS0_14default_configENS1_38merge_sort_block_merge_config_selectorImNS0_10empty_typeEEEZZNS1_27merge_sort_block_merge_implIS3_N6thrust23THRUST_200600_302600_NS6detail15normal_iteratorINS9_10device_ptrImEEEEPS5_m14custom_greaterImEEE10hipError_tT0_T1_T2_jT3_P12ihipStream_tbPNSt15iterator_traitsISJ_E10value_typeEPNSP_ISK_E10value_typeEPSL_NS1_7vsmem_tEENKUlT_SJ_SK_SL_E_clISE_PmSF_SF_EESI_SY_SJ_SK_SL_EUlSY_E0_NS1_11comp_targetILNS1_3genE2ELNS1_11target_archE906ELNS1_3gpuE6ELNS1_3repE0EEENS1_38merge_mergepath_config_static_selectorELNS0_4arch9wavefront6targetE1EEEvSK_
	.p2align	8
	.type	_ZN7rocprim17ROCPRIM_400000_NS6detail17trampoline_kernelINS0_14default_configENS1_38merge_sort_block_merge_config_selectorImNS0_10empty_typeEEEZZNS1_27merge_sort_block_merge_implIS3_N6thrust23THRUST_200600_302600_NS6detail15normal_iteratorINS9_10device_ptrImEEEEPS5_m14custom_greaterImEEE10hipError_tT0_T1_T2_jT3_P12ihipStream_tbPNSt15iterator_traitsISJ_E10value_typeEPNSP_ISK_E10value_typeEPSL_NS1_7vsmem_tEENKUlT_SJ_SK_SL_E_clISE_PmSF_SF_EESI_SY_SJ_SK_SL_EUlSY_E0_NS1_11comp_targetILNS1_3genE2ELNS1_11target_archE906ELNS1_3gpuE6ELNS1_3repE0EEENS1_38merge_mergepath_config_static_selectorELNS0_4arch9wavefront6targetE1EEEvSK_,@function
_ZN7rocprim17ROCPRIM_400000_NS6detail17trampoline_kernelINS0_14default_configENS1_38merge_sort_block_merge_config_selectorImNS0_10empty_typeEEEZZNS1_27merge_sort_block_merge_implIS3_N6thrust23THRUST_200600_302600_NS6detail15normal_iteratorINS9_10device_ptrImEEEEPS5_m14custom_greaterImEEE10hipError_tT0_T1_T2_jT3_P12ihipStream_tbPNSt15iterator_traitsISJ_E10value_typeEPNSP_ISK_E10value_typeEPSL_NS1_7vsmem_tEENKUlT_SJ_SK_SL_E_clISE_PmSF_SF_EESI_SY_SJ_SK_SL_EUlSY_E0_NS1_11comp_targetILNS1_3genE2ELNS1_11target_archE906ELNS1_3gpuE6ELNS1_3repE0EEENS1_38merge_mergepath_config_static_selectorELNS0_4arch9wavefront6targetE1EEEvSK_: ; @_ZN7rocprim17ROCPRIM_400000_NS6detail17trampoline_kernelINS0_14default_configENS1_38merge_sort_block_merge_config_selectorImNS0_10empty_typeEEEZZNS1_27merge_sort_block_merge_implIS3_N6thrust23THRUST_200600_302600_NS6detail15normal_iteratorINS9_10device_ptrImEEEEPS5_m14custom_greaterImEEE10hipError_tT0_T1_T2_jT3_P12ihipStream_tbPNSt15iterator_traitsISJ_E10value_typeEPNSP_ISK_E10value_typeEPSL_NS1_7vsmem_tEENKUlT_SJ_SK_SL_E_clISE_PmSF_SF_EESI_SY_SJ_SK_SL_EUlSY_E0_NS1_11comp_targetILNS1_3genE2ELNS1_11target_archE906ELNS1_3gpuE6ELNS1_3repE0EEENS1_38merge_mergepath_config_static_selectorELNS0_4arch9wavefront6targetE1EEEvSK_
; %bb.0:
	.section	.rodata,"a",@progbits
	.p2align	6, 0x0
	.amdhsa_kernel _ZN7rocprim17ROCPRIM_400000_NS6detail17trampoline_kernelINS0_14default_configENS1_38merge_sort_block_merge_config_selectorImNS0_10empty_typeEEEZZNS1_27merge_sort_block_merge_implIS3_N6thrust23THRUST_200600_302600_NS6detail15normal_iteratorINS9_10device_ptrImEEEEPS5_m14custom_greaterImEEE10hipError_tT0_T1_T2_jT3_P12ihipStream_tbPNSt15iterator_traitsISJ_E10value_typeEPNSP_ISK_E10value_typeEPSL_NS1_7vsmem_tEENKUlT_SJ_SK_SL_E_clISE_PmSF_SF_EESI_SY_SJ_SK_SL_EUlSY_E0_NS1_11comp_targetILNS1_3genE2ELNS1_11target_archE906ELNS1_3gpuE6ELNS1_3repE0EEENS1_38merge_mergepath_config_static_selectorELNS0_4arch9wavefront6targetE1EEEvSK_
		.amdhsa_group_segment_fixed_size 0
		.amdhsa_private_segment_fixed_size 0
		.amdhsa_kernarg_size 72
		.amdhsa_user_sgpr_count 6
		.amdhsa_user_sgpr_private_segment_buffer 1
		.amdhsa_user_sgpr_dispatch_ptr 0
		.amdhsa_user_sgpr_queue_ptr 0
		.amdhsa_user_sgpr_kernarg_segment_ptr 1
		.amdhsa_user_sgpr_dispatch_id 0
		.amdhsa_user_sgpr_flat_scratch_init 0
		.amdhsa_user_sgpr_kernarg_preload_length 0
		.amdhsa_user_sgpr_kernarg_preload_offset 0
		.amdhsa_user_sgpr_private_segment_size 0
		.amdhsa_uses_dynamic_stack 0
		.amdhsa_system_sgpr_private_segment_wavefront_offset 0
		.amdhsa_system_sgpr_workgroup_id_x 1
		.amdhsa_system_sgpr_workgroup_id_y 0
		.amdhsa_system_sgpr_workgroup_id_z 0
		.amdhsa_system_sgpr_workgroup_info 0
		.amdhsa_system_vgpr_workitem_id 0
		.amdhsa_next_free_vgpr 1
		.amdhsa_next_free_sgpr 0
		.amdhsa_accum_offset 4
		.amdhsa_reserve_vcc 0
		.amdhsa_reserve_flat_scratch 0
		.amdhsa_float_round_mode_32 0
		.amdhsa_float_round_mode_16_64 0
		.amdhsa_float_denorm_mode_32 3
		.amdhsa_float_denorm_mode_16_64 3
		.amdhsa_dx10_clamp 1
		.amdhsa_ieee_mode 1
		.amdhsa_fp16_overflow 0
		.amdhsa_tg_split 0
		.amdhsa_exception_fp_ieee_invalid_op 0
		.amdhsa_exception_fp_denorm_src 0
		.amdhsa_exception_fp_ieee_div_zero 0
		.amdhsa_exception_fp_ieee_overflow 0
		.amdhsa_exception_fp_ieee_underflow 0
		.amdhsa_exception_fp_ieee_inexact 0
		.amdhsa_exception_int_div_zero 0
	.end_amdhsa_kernel
	.section	.text._ZN7rocprim17ROCPRIM_400000_NS6detail17trampoline_kernelINS0_14default_configENS1_38merge_sort_block_merge_config_selectorImNS0_10empty_typeEEEZZNS1_27merge_sort_block_merge_implIS3_N6thrust23THRUST_200600_302600_NS6detail15normal_iteratorINS9_10device_ptrImEEEEPS5_m14custom_greaterImEEE10hipError_tT0_T1_T2_jT3_P12ihipStream_tbPNSt15iterator_traitsISJ_E10value_typeEPNSP_ISK_E10value_typeEPSL_NS1_7vsmem_tEENKUlT_SJ_SK_SL_E_clISE_PmSF_SF_EESI_SY_SJ_SK_SL_EUlSY_E0_NS1_11comp_targetILNS1_3genE2ELNS1_11target_archE906ELNS1_3gpuE6ELNS1_3repE0EEENS1_38merge_mergepath_config_static_selectorELNS0_4arch9wavefront6targetE1EEEvSK_,"axG",@progbits,_ZN7rocprim17ROCPRIM_400000_NS6detail17trampoline_kernelINS0_14default_configENS1_38merge_sort_block_merge_config_selectorImNS0_10empty_typeEEEZZNS1_27merge_sort_block_merge_implIS3_N6thrust23THRUST_200600_302600_NS6detail15normal_iteratorINS9_10device_ptrImEEEEPS5_m14custom_greaterImEEE10hipError_tT0_T1_T2_jT3_P12ihipStream_tbPNSt15iterator_traitsISJ_E10value_typeEPNSP_ISK_E10value_typeEPSL_NS1_7vsmem_tEENKUlT_SJ_SK_SL_E_clISE_PmSF_SF_EESI_SY_SJ_SK_SL_EUlSY_E0_NS1_11comp_targetILNS1_3genE2ELNS1_11target_archE906ELNS1_3gpuE6ELNS1_3repE0EEENS1_38merge_mergepath_config_static_selectorELNS0_4arch9wavefront6targetE1EEEvSK_,comdat
.Lfunc_end3350:
	.size	_ZN7rocprim17ROCPRIM_400000_NS6detail17trampoline_kernelINS0_14default_configENS1_38merge_sort_block_merge_config_selectorImNS0_10empty_typeEEEZZNS1_27merge_sort_block_merge_implIS3_N6thrust23THRUST_200600_302600_NS6detail15normal_iteratorINS9_10device_ptrImEEEEPS5_m14custom_greaterImEEE10hipError_tT0_T1_T2_jT3_P12ihipStream_tbPNSt15iterator_traitsISJ_E10value_typeEPNSP_ISK_E10value_typeEPSL_NS1_7vsmem_tEENKUlT_SJ_SK_SL_E_clISE_PmSF_SF_EESI_SY_SJ_SK_SL_EUlSY_E0_NS1_11comp_targetILNS1_3genE2ELNS1_11target_archE906ELNS1_3gpuE6ELNS1_3repE0EEENS1_38merge_mergepath_config_static_selectorELNS0_4arch9wavefront6targetE1EEEvSK_, .Lfunc_end3350-_ZN7rocprim17ROCPRIM_400000_NS6detail17trampoline_kernelINS0_14default_configENS1_38merge_sort_block_merge_config_selectorImNS0_10empty_typeEEEZZNS1_27merge_sort_block_merge_implIS3_N6thrust23THRUST_200600_302600_NS6detail15normal_iteratorINS9_10device_ptrImEEEEPS5_m14custom_greaterImEEE10hipError_tT0_T1_T2_jT3_P12ihipStream_tbPNSt15iterator_traitsISJ_E10value_typeEPNSP_ISK_E10value_typeEPSL_NS1_7vsmem_tEENKUlT_SJ_SK_SL_E_clISE_PmSF_SF_EESI_SY_SJ_SK_SL_EUlSY_E0_NS1_11comp_targetILNS1_3genE2ELNS1_11target_archE906ELNS1_3gpuE6ELNS1_3repE0EEENS1_38merge_mergepath_config_static_selectorELNS0_4arch9wavefront6targetE1EEEvSK_
                                        ; -- End function
	.section	.AMDGPU.csdata,"",@progbits
; Kernel info:
; codeLenInByte = 0
; NumSgprs: 4
; NumVgprs: 0
; NumAgprs: 0
; TotalNumVgprs: 0
; ScratchSize: 0
; MemoryBound: 0
; FloatMode: 240
; IeeeMode: 1
; LDSByteSize: 0 bytes/workgroup (compile time only)
; SGPRBlocks: 0
; VGPRBlocks: 0
; NumSGPRsForWavesPerEU: 4
; NumVGPRsForWavesPerEU: 1
; AccumOffset: 4
; Occupancy: 8
; WaveLimiterHint : 0
; COMPUTE_PGM_RSRC2:SCRATCH_EN: 0
; COMPUTE_PGM_RSRC2:USER_SGPR: 6
; COMPUTE_PGM_RSRC2:TRAP_HANDLER: 0
; COMPUTE_PGM_RSRC2:TGID_X_EN: 1
; COMPUTE_PGM_RSRC2:TGID_Y_EN: 0
; COMPUTE_PGM_RSRC2:TGID_Z_EN: 0
; COMPUTE_PGM_RSRC2:TIDIG_COMP_CNT: 0
; COMPUTE_PGM_RSRC3_GFX90A:ACCUM_OFFSET: 0
; COMPUTE_PGM_RSRC3_GFX90A:TG_SPLIT: 0
	.section	.text._ZN7rocprim17ROCPRIM_400000_NS6detail17trampoline_kernelINS0_14default_configENS1_38merge_sort_block_merge_config_selectorImNS0_10empty_typeEEEZZNS1_27merge_sort_block_merge_implIS3_N6thrust23THRUST_200600_302600_NS6detail15normal_iteratorINS9_10device_ptrImEEEEPS5_m14custom_greaterImEEE10hipError_tT0_T1_T2_jT3_P12ihipStream_tbPNSt15iterator_traitsISJ_E10value_typeEPNSP_ISK_E10value_typeEPSL_NS1_7vsmem_tEENKUlT_SJ_SK_SL_E_clISE_PmSF_SF_EESI_SY_SJ_SK_SL_EUlSY_E0_NS1_11comp_targetILNS1_3genE9ELNS1_11target_archE1100ELNS1_3gpuE3ELNS1_3repE0EEENS1_38merge_mergepath_config_static_selectorELNS0_4arch9wavefront6targetE1EEEvSK_,"axG",@progbits,_ZN7rocprim17ROCPRIM_400000_NS6detail17trampoline_kernelINS0_14default_configENS1_38merge_sort_block_merge_config_selectorImNS0_10empty_typeEEEZZNS1_27merge_sort_block_merge_implIS3_N6thrust23THRUST_200600_302600_NS6detail15normal_iteratorINS9_10device_ptrImEEEEPS5_m14custom_greaterImEEE10hipError_tT0_T1_T2_jT3_P12ihipStream_tbPNSt15iterator_traitsISJ_E10value_typeEPNSP_ISK_E10value_typeEPSL_NS1_7vsmem_tEENKUlT_SJ_SK_SL_E_clISE_PmSF_SF_EESI_SY_SJ_SK_SL_EUlSY_E0_NS1_11comp_targetILNS1_3genE9ELNS1_11target_archE1100ELNS1_3gpuE3ELNS1_3repE0EEENS1_38merge_mergepath_config_static_selectorELNS0_4arch9wavefront6targetE1EEEvSK_,comdat
	.protected	_ZN7rocprim17ROCPRIM_400000_NS6detail17trampoline_kernelINS0_14default_configENS1_38merge_sort_block_merge_config_selectorImNS0_10empty_typeEEEZZNS1_27merge_sort_block_merge_implIS3_N6thrust23THRUST_200600_302600_NS6detail15normal_iteratorINS9_10device_ptrImEEEEPS5_m14custom_greaterImEEE10hipError_tT0_T1_T2_jT3_P12ihipStream_tbPNSt15iterator_traitsISJ_E10value_typeEPNSP_ISK_E10value_typeEPSL_NS1_7vsmem_tEENKUlT_SJ_SK_SL_E_clISE_PmSF_SF_EESI_SY_SJ_SK_SL_EUlSY_E0_NS1_11comp_targetILNS1_3genE9ELNS1_11target_archE1100ELNS1_3gpuE3ELNS1_3repE0EEENS1_38merge_mergepath_config_static_selectorELNS0_4arch9wavefront6targetE1EEEvSK_ ; -- Begin function _ZN7rocprim17ROCPRIM_400000_NS6detail17trampoline_kernelINS0_14default_configENS1_38merge_sort_block_merge_config_selectorImNS0_10empty_typeEEEZZNS1_27merge_sort_block_merge_implIS3_N6thrust23THRUST_200600_302600_NS6detail15normal_iteratorINS9_10device_ptrImEEEEPS5_m14custom_greaterImEEE10hipError_tT0_T1_T2_jT3_P12ihipStream_tbPNSt15iterator_traitsISJ_E10value_typeEPNSP_ISK_E10value_typeEPSL_NS1_7vsmem_tEENKUlT_SJ_SK_SL_E_clISE_PmSF_SF_EESI_SY_SJ_SK_SL_EUlSY_E0_NS1_11comp_targetILNS1_3genE9ELNS1_11target_archE1100ELNS1_3gpuE3ELNS1_3repE0EEENS1_38merge_mergepath_config_static_selectorELNS0_4arch9wavefront6targetE1EEEvSK_
	.globl	_ZN7rocprim17ROCPRIM_400000_NS6detail17trampoline_kernelINS0_14default_configENS1_38merge_sort_block_merge_config_selectorImNS0_10empty_typeEEEZZNS1_27merge_sort_block_merge_implIS3_N6thrust23THRUST_200600_302600_NS6detail15normal_iteratorINS9_10device_ptrImEEEEPS5_m14custom_greaterImEEE10hipError_tT0_T1_T2_jT3_P12ihipStream_tbPNSt15iterator_traitsISJ_E10value_typeEPNSP_ISK_E10value_typeEPSL_NS1_7vsmem_tEENKUlT_SJ_SK_SL_E_clISE_PmSF_SF_EESI_SY_SJ_SK_SL_EUlSY_E0_NS1_11comp_targetILNS1_3genE9ELNS1_11target_archE1100ELNS1_3gpuE3ELNS1_3repE0EEENS1_38merge_mergepath_config_static_selectorELNS0_4arch9wavefront6targetE1EEEvSK_
	.p2align	8
	.type	_ZN7rocprim17ROCPRIM_400000_NS6detail17trampoline_kernelINS0_14default_configENS1_38merge_sort_block_merge_config_selectorImNS0_10empty_typeEEEZZNS1_27merge_sort_block_merge_implIS3_N6thrust23THRUST_200600_302600_NS6detail15normal_iteratorINS9_10device_ptrImEEEEPS5_m14custom_greaterImEEE10hipError_tT0_T1_T2_jT3_P12ihipStream_tbPNSt15iterator_traitsISJ_E10value_typeEPNSP_ISK_E10value_typeEPSL_NS1_7vsmem_tEENKUlT_SJ_SK_SL_E_clISE_PmSF_SF_EESI_SY_SJ_SK_SL_EUlSY_E0_NS1_11comp_targetILNS1_3genE9ELNS1_11target_archE1100ELNS1_3gpuE3ELNS1_3repE0EEENS1_38merge_mergepath_config_static_selectorELNS0_4arch9wavefront6targetE1EEEvSK_,@function
_ZN7rocprim17ROCPRIM_400000_NS6detail17trampoline_kernelINS0_14default_configENS1_38merge_sort_block_merge_config_selectorImNS0_10empty_typeEEEZZNS1_27merge_sort_block_merge_implIS3_N6thrust23THRUST_200600_302600_NS6detail15normal_iteratorINS9_10device_ptrImEEEEPS5_m14custom_greaterImEEE10hipError_tT0_T1_T2_jT3_P12ihipStream_tbPNSt15iterator_traitsISJ_E10value_typeEPNSP_ISK_E10value_typeEPSL_NS1_7vsmem_tEENKUlT_SJ_SK_SL_E_clISE_PmSF_SF_EESI_SY_SJ_SK_SL_EUlSY_E0_NS1_11comp_targetILNS1_3genE9ELNS1_11target_archE1100ELNS1_3gpuE3ELNS1_3repE0EEENS1_38merge_mergepath_config_static_selectorELNS0_4arch9wavefront6targetE1EEEvSK_: ; @_ZN7rocprim17ROCPRIM_400000_NS6detail17trampoline_kernelINS0_14default_configENS1_38merge_sort_block_merge_config_selectorImNS0_10empty_typeEEEZZNS1_27merge_sort_block_merge_implIS3_N6thrust23THRUST_200600_302600_NS6detail15normal_iteratorINS9_10device_ptrImEEEEPS5_m14custom_greaterImEEE10hipError_tT0_T1_T2_jT3_P12ihipStream_tbPNSt15iterator_traitsISJ_E10value_typeEPNSP_ISK_E10value_typeEPSL_NS1_7vsmem_tEENKUlT_SJ_SK_SL_E_clISE_PmSF_SF_EESI_SY_SJ_SK_SL_EUlSY_E0_NS1_11comp_targetILNS1_3genE9ELNS1_11target_archE1100ELNS1_3gpuE3ELNS1_3repE0EEENS1_38merge_mergepath_config_static_selectorELNS0_4arch9wavefront6targetE1EEEvSK_
; %bb.0:
	.section	.rodata,"a",@progbits
	.p2align	6, 0x0
	.amdhsa_kernel _ZN7rocprim17ROCPRIM_400000_NS6detail17trampoline_kernelINS0_14default_configENS1_38merge_sort_block_merge_config_selectorImNS0_10empty_typeEEEZZNS1_27merge_sort_block_merge_implIS3_N6thrust23THRUST_200600_302600_NS6detail15normal_iteratorINS9_10device_ptrImEEEEPS5_m14custom_greaterImEEE10hipError_tT0_T1_T2_jT3_P12ihipStream_tbPNSt15iterator_traitsISJ_E10value_typeEPNSP_ISK_E10value_typeEPSL_NS1_7vsmem_tEENKUlT_SJ_SK_SL_E_clISE_PmSF_SF_EESI_SY_SJ_SK_SL_EUlSY_E0_NS1_11comp_targetILNS1_3genE9ELNS1_11target_archE1100ELNS1_3gpuE3ELNS1_3repE0EEENS1_38merge_mergepath_config_static_selectorELNS0_4arch9wavefront6targetE1EEEvSK_
		.amdhsa_group_segment_fixed_size 0
		.amdhsa_private_segment_fixed_size 0
		.amdhsa_kernarg_size 72
		.amdhsa_user_sgpr_count 6
		.amdhsa_user_sgpr_private_segment_buffer 1
		.amdhsa_user_sgpr_dispatch_ptr 0
		.amdhsa_user_sgpr_queue_ptr 0
		.amdhsa_user_sgpr_kernarg_segment_ptr 1
		.amdhsa_user_sgpr_dispatch_id 0
		.amdhsa_user_sgpr_flat_scratch_init 0
		.amdhsa_user_sgpr_kernarg_preload_length 0
		.amdhsa_user_sgpr_kernarg_preload_offset 0
		.amdhsa_user_sgpr_private_segment_size 0
		.amdhsa_uses_dynamic_stack 0
		.amdhsa_system_sgpr_private_segment_wavefront_offset 0
		.amdhsa_system_sgpr_workgroup_id_x 1
		.amdhsa_system_sgpr_workgroup_id_y 0
		.amdhsa_system_sgpr_workgroup_id_z 0
		.amdhsa_system_sgpr_workgroup_info 0
		.amdhsa_system_vgpr_workitem_id 0
		.amdhsa_next_free_vgpr 1
		.amdhsa_next_free_sgpr 0
		.amdhsa_accum_offset 4
		.amdhsa_reserve_vcc 0
		.amdhsa_reserve_flat_scratch 0
		.amdhsa_float_round_mode_32 0
		.amdhsa_float_round_mode_16_64 0
		.amdhsa_float_denorm_mode_32 3
		.amdhsa_float_denorm_mode_16_64 3
		.amdhsa_dx10_clamp 1
		.amdhsa_ieee_mode 1
		.amdhsa_fp16_overflow 0
		.amdhsa_tg_split 0
		.amdhsa_exception_fp_ieee_invalid_op 0
		.amdhsa_exception_fp_denorm_src 0
		.amdhsa_exception_fp_ieee_div_zero 0
		.amdhsa_exception_fp_ieee_overflow 0
		.amdhsa_exception_fp_ieee_underflow 0
		.amdhsa_exception_fp_ieee_inexact 0
		.amdhsa_exception_int_div_zero 0
	.end_amdhsa_kernel
	.section	.text._ZN7rocprim17ROCPRIM_400000_NS6detail17trampoline_kernelINS0_14default_configENS1_38merge_sort_block_merge_config_selectorImNS0_10empty_typeEEEZZNS1_27merge_sort_block_merge_implIS3_N6thrust23THRUST_200600_302600_NS6detail15normal_iteratorINS9_10device_ptrImEEEEPS5_m14custom_greaterImEEE10hipError_tT0_T1_T2_jT3_P12ihipStream_tbPNSt15iterator_traitsISJ_E10value_typeEPNSP_ISK_E10value_typeEPSL_NS1_7vsmem_tEENKUlT_SJ_SK_SL_E_clISE_PmSF_SF_EESI_SY_SJ_SK_SL_EUlSY_E0_NS1_11comp_targetILNS1_3genE9ELNS1_11target_archE1100ELNS1_3gpuE3ELNS1_3repE0EEENS1_38merge_mergepath_config_static_selectorELNS0_4arch9wavefront6targetE1EEEvSK_,"axG",@progbits,_ZN7rocprim17ROCPRIM_400000_NS6detail17trampoline_kernelINS0_14default_configENS1_38merge_sort_block_merge_config_selectorImNS0_10empty_typeEEEZZNS1_27merge_sort_block_merge_implIS3_N6thrust23THRUST_200600_302600_NS6detail15normal_iteratorINS9_10device_ptrImEEEEPS5_m14custom_greaterImEEE10hipError_tT0_T1_T2_jT3_P12ihipStream_tbPNSt15iterator_traitsISJ_E10value_typeEPNSP_ISK_E10value_typeEPSL_NS1_7vsmem_tEENKUlT_SJ_SK_SL_E_clISE_PmSF_SF_EESI_SY_SJ_SK_SL_EUlSY_E0_NS1_11comp_targetILNS1_3genE9ELNS1_11target_archE1100ELNS1_3gpuE3ELNS1_3repE0EEENS1_38merge_mergepath_config_static_selectorELNS0_4arch9wavefront6targetE1EEEvSK_,comdat
.Lfunc_end3351:
	.size	_ZN7rocprim17ROCPRIM_400000_NS6detail17trampoline_kernelINS0_14default_configENS1_38merge_sort_block_merge_config_selectorImNS0_10empty_typeEEEZZNS1_27merge_sort_block_merge_implIS3_N6thrust23THRUST_200600_302600_NS6detail15normal_iteratorINS9_10device_ptrImEEEEPS5_m14custom_greaterImEEE10hipError_tT0_T1_T2_jT3_P12ihipStream_tbPNSt15iterator_traitsISJ_E10value_typeEPNSP_ISK_E10value_typeEPSL_NS1_7vsmem_tEENKUlT_SJ_SK_SL_E_clISE_PmSF_SF_EESI_SY_SJ_SK_SL_EUlSY_E0_NS1_11comp_targetILNS1_3genE9ELNS1_11target_archE1100ELNS1_3gpuE3ELNS1_3repE0EEENS1_38merge_mergepath_config_static_selectorELNS0_4arch9wavefront6targetE1EEEvSK_, .Lfunc_end3351-_ZN7rocprim17ROCPRIM_400000_NS6detail17trampoline_kernelINS0_14default_configENS1_38merge_sort_block_merge_config_selectorImNS0_10empty_typeEEEZZNS1_27merge_sort_block_merge_implIS3_N6thrust23THRUST_200600_302600_NS6detail15normal_iteratorINS9_10device_ptrImEEEEPS5_m14custom_greaterImEEE10hipError_tT0_T1_T2_jT3_P12ihipStream_tbPNSt15iterator_traitsISJ_E10value_typeEPNSP_ISK_E10value_typeEPSL_NS1_7vsmem_tEENKUlT_SJ_SK_SL_E_clISE_PmSF_SF_EESI_SY_SJ_SK_SL_EUlSY_E0_NS1_11comp_targetILNS1_3genE9ELNS1_11target_archE1100ELNS1_3gpuE3ELNS1_3repE0EEENS1_38merge_mergepath_config_static_selectorELNS0_4arch9wavefront6targetE1EEEvSK_
                                        ; -- End function
	.section	.AMDGPU.csdata,"",@progbits
; Kernel info:
; codeLenInByte = 0
; NumSgprs: 4
; NumVgprs: 0
; NumAgprs: 0
; TotalNumVgprs: 0
; ScratchSize: 0
; MemoryBound: 0
; FloatMode: 240
; IeeeMode: 1
; LDSByteSize: 0 bytes/workgroup (compile time only)
; SGPRBlocks: 0
; VGPRBlocks: 0
; NumSGPRsForWavesPerEU: 4
; NumVGPRsForWavesPerEU: 1
; AccumOffset: 4
; Occupancy: 8
; WaveLimiterHint : 0
; COMPUTE_PGM_RSRC2:SCRATCH_EN: 0
; COMPUTE_PGM_RSRC2:USER_SGPR: 6
; COMPUTE_PGM_RSRC2:TRAP_HANDLER: 0
; COMPUTE_PGM_RSRC2:TGID_X_EN: 1
; COMPUTE_PGM_RSRC2:TGID_Y_EN: 0
; COMPUTE_PGM_RSRC2:TGID_Z_EN: 0
; COMPUTE_PGM_RSRC2:TIDIG_COMP_CNT: 0
; COMPUTE_PGM_RSRC3_GFX90A:ACCUM_OFFSET: 0
; COMPUTE_PGM_RSRC3_GFX90A:TG_SPLIT: 0
	.section	.text._ZN7rocprim17ROCPRIM_400000_NS6detail17trampoline_kernelINS0_14default_configENS1_38merge_sort_block_merge_config_selectorImNS0_10empty_typeEEEZZNS1_27merge_sort_block_merge_implIS3_N6thrust23THRUST_200600_302600_NS6detail15normal_iteratorINS9_10device_ptrImEEEEPS5_m14custom_greaterImEEE10hipError_tT0_T1_T2_jT3_P12ihipStream_tbPNSt15iterator_traitsISJ_E10value_typeEPNSP_ISK_E10value_typeEPSL_NS1_7vsmem_tEENKUlT_SJ_SK_SL_E_clISE_PmSF_SF_EESI_SY_SJ_SK_SL_EUlSY_E0_NS1_11comp_targetILNS1_3genE8ELNS1_11target_archE1030ELNS1_3gpuE2ELNS1_3repE0EEENS1_38merge_mergepath_config_static_selectorELNS0_4arch9wavefront6targetE1EEEvSK_,"axG",@progbits,_ZN7rocprim17ROCPRIM_400000_NS6detail17trampoline_kernelINS0_14default_configENS1_38merge_sort_block_merge_config_selectorImNS0_10empty_typeEEEZZNS1_27merge_sort_block_merge_implIS3_N6thrust23THRUST_200600_302600_NS6detail15normal_iteratorINS9_10device_ptrImEEEEPS5_m14custom_greaterImEEE10hipError_tT0_T1_T2_jT3_P12ihipStream_tbPNSt15iterator_traitsISJ_E10value_typeEPNSP_ISK_E10value_typeEPSL_NS1_7vsmem_tEENKUlT_SJ_SK_SL_E_clISE_PmSF_SF_EESI_SY_SJ_SK_SL_EUlSY_E0_NS1_11comp_targetILNS1_3genE8ELNS1_11target_archE1030ELNS1_3gpuE2ELNS1_3repE0EEENS1_38merge_mergepath_config_static_selectorELNS0_4arch9wavefront6targetE1EEEvSK_,comdat
	.protected	_ZN7rocprim17ROCPRIM_400000_NS6detail17trampoline_kernelINS0_14default_configENS1_38merge_sort_block_merge_config_selectorImNS0_10empty_typeEEEZZNS1_27merge_sort_block_merge_implIS3_N6thrust23THRUST_200600_302600_NS6detail15normal_iteratorINS9_10device_ptrImEEEEPS5_m14custom_greaterImEEE10hipError_tT0_T1_T2_jT3_P12ihipStream_tbPNSt15iterator_traitsISJ_E10value_typeEPNSP_ISK_E10value_typeEPSL_NS1_7vsmem_tEENKUlT_SJ_SK_SL_E_clISE_PmSF_SF_EESI_SY_SJ_SK_SL_EUlSY_E0_NS1_11comp_targetILNS1_3genE8ELNS1_11target_archE1030ELNS1_3gpuE2ELNS1_3repE0EEENS1_38merge_mergepath_config_static_selectorELNS0_4arch9wavefront6targetE1EEEvSK_ ; -- Begin function _ZN7rocprim17ROCPRIM_400000_NS6detail17trampoline_kernelINS0_14default_configENS1_38merge_sort_block_merge_config_selectorImNS0_10empty_typeEEEZZNS1_27merge_sort_block_merge_implIS3_N6thrust23THRUST_200600_302600_NS6detail15normal_iteratorINS9_10device_ptrImEEEEPS5_m14custom_greaterImEEE10hipError_tT0_T1_T2_jT3_P12ihipStream_tbPNSt15iterator_traitsISJ_E10value_typeEPNSP_ISK_E10value_typeEPSL_NS1_7vsmem_tEENKUlT_SJ_SK_SL_E_clISE_PmSF_SF_EESI_SY_SJ_SK_SL_EUlSY_E0_NS1_11comp_targetILNS1_3genE8ELNS1_11target_archE1030ELNS1_3gpuE2ELNS1_3repE0EEENS1_38merge_mergepath_config_static_selectorELNS0_4arch9wavefront6targetE1EEEvSK_
	.globl	_ZN7rocprim17ROCPRIM_400000_NS6detail17trampoline_kernelINS0_14default_configENS1_38merge_sort_block_merge_config_selectorImNS0_10empty_typeEEEZZNS1_27merge_sort_block_merge_implIS3_N6thrust23THRUST_200600_302600_NS6detail15normal_iteratorINS9_10device_ptrImEEEEPS5_m14custom_greaterImEEE10hipError_tT0_T1_T2_jT3_P12ihipStream_tbPNSt15iterator_traitsISJ_E10value_typeEPNSP_ISK_E10value_typeEPSL_NS1_7vsmem_tEENKUlT_SJ_SK_SL_E_clISE_PmSF_SF_EESI_SY_SJ_SK_SL_EUlSY_E0_NS1_11comp_targetILNS1_3genE8ELNS1_11target_archE1030ELNS1_3gpuE2ELNS1_3repE0EEENS1_38merge_mergepath_config_static_selectorELNS0_4arch9wavefront6targetE1EEEvSK_
	.p2align	8
	.type	_ZN7rocprim17ROCPRIM_400000_NS6detail17trampoline_kernelINS0_14default_configENS1_38merge_sort_block_merge_config_selectorImNS0_10empty_typeEEEZZNS1_27merge_sort_block_merge_implIS3_N6thrust23THRUST_200600_302600_NS6detail15normal_iteratorINS9_10device_ptrImEEEEPS5_m14custom_greaterImEEE10hipError_tT0_T1_T2_jT3_P12ihipStream_tbPNSt15iterator_traitsISJ_E10value_typeEPNSP_ISK_E10value_typeEPSL_NS1_7vsmem_tEENKUlT_SJ_SK_SL_E_clISE_PmSF_SF_EESI_SY_SJ_SK_SL_EUlSY_E0_NS1_11comp_targetILNS1_3genE8ELNS1_11target_archE1030ELNS1_3gpuE2ELNS1_3repE0EEENS1_38merge_mergepath_config_static_selectorELNS0_4arch9wavefront6targetE1EEEvSK_,@function
_ZN7rocprim17ROCPRIM_400000_NS6detail17trampoline_kernelINS0_14default_configENS1_38merge_sort_block_merge_config_selectorImNS0_10empty_typeEEEZZNS1_27merge_sort_block_merge_implIS3_N6thrust23THRUST_200600_302600_NS6detail15normal_iteratorINS9_10device_ptrImEEEEPS5_m14custom_greaterImEEE10hipError_tT0_T1_T2_jT3_P12ihipStream_tbPNSt15iterator_traitsISJ_E10value_typeEPNSP_ISK_E10value_typeEPSL_NS1_7vsmem_tEENKUlT_SJ_SK_SL_E_clISE_PmSF_SF_EESI_SY_SJ_SK_SL_EUlSY_E0_NS1_11comp_targetILNS1_3genE8ELNS1_11target_archE1030ELNS1_3gpuE2ELNS1_3repE0EEENS1_38merge_mergepath_config_static_selectorELNS0_4arch9wavefront6targetE1EEEvSK_: ; @_ZN7rocprim17ROCPRIM_400000_NS6detail17trampoline_kernelINS0_14default_configENS1_38merge_sort_block_merge_config_selectorImNS0_10empty_typeEEEZZNS1_27merge_sort_block_merge_implIS3_N6thrust23THRUST_200600_302600_NS6detail15normal_iteratorINS9_10device_ptrImEEEEPS5_m14custom_greaterImEEE10hipError_tT0_T1_T2_jT3_P12ihipStream_tbPNSt15iterator_traitsISJ_E10value_typeEPNSP_ISK_E10value_typeEPSL_NS1_7vsmem_tEENKUlT_SJ_SK_SL_E_clISE_PmSF_SF_EESI_SY_SJ_SK_SL_EUlSY_E0_NS1_11comp_targetILNS1_3genE8ELNS1_11target_archE1030ELNS1_3gpuE2ELNS1_3repE0EEENS1_38merge_mergepath_config_static_selectorELNS0_4arch9wavefront6targetE1EEEvSK_
; %bb.0:
	.section	.rodata,"a",@progbits
	.p2align	6, 0x0
	.amdhsa_kernel _ZN7rocprim17ROCPRIM_400000_NS6detail17trampoline_kernelINS0_14default_configENS1_38merge_sort_block_merge_config_selectorImNS0_10empty_typeEEEZZNS1_27merge_sort_block_merge_implIS3_N6thrust23THRUST_200600_302600_NS6detail15normal_iteratorINS9_10device_ptrImEEEEPS5_m14custom_greaterImEEE10hipError_tT0_T1_T2_jT3_P12ihipStream_tbPNSt15iterator_traitsISJ_E10value_typeEPNSP_ISK_E10value_typeEPSL_NS1_7vsmem_tEENKUlT_SJ_SK_SL_E_clISE_PmSF_SF_EESI_SY_SJ_SK_SL_EUlSY_E0_NS1_11comp_targetILNS1_3genE8ELNS1_11target_archE1030ELNS1_3gpuE2ELNS1_3repE0EEENS1_38merge_mergepath_config_static_selectorELNS0_4arch9wavefront6targetE1EEEvSK_
		.amdhsa_group_segment_fixed_size 0
		.amdhsa_private_segment_fixed_size 0
		.amdhsa_kernarg_size 72
		.amdhsa_user_sgpr_count 6
		.amdhsa_user_sgpr_private_segment_buffer 1
		.amdhsa_user_sgpr_dispatch_ptr 0
		.amdhsa_user_sgpr_queue_ptr 0
		.amdhsa_user_sgpr_kernarg_segment_ptr 1
		.amdhsa_user_sgpr_dispatch_id 0
		.amdhsa_user_sgpr_flat_scratch_init 0
		.amdhsa_user_sgpr_kernarg_preload_length 0
		.amdhsa_user_sgpr_kernarg_preload_offset 0
		.amdhsa_user_sgpr_private_segment_size 0
		.amdhsa_uses_dynamic_stack 0
		.amdhsa_system_sgpr_private_segment_wavefront_offset 0
		.amdhsa_system_sgpr_workgroup_id_x 1
		.amdhsa_system_sgpr_workgroup_id_y 0
		.amdhsa_system_sgpr_workgroup_id_z 0
		.amdhsa_system_sgpr_workgroup_info 0
		.amdhsa_system_vgpr_workitem_id 0
		.amdhsa_next_free_vgpr 1
		.amdhsa_next_free_sgpr 0
		.amdhsa_accum_offset 4
		.amdhsa_reserve_vcc 0
		.amdhsa_reserve_flat_scratch 0
		.amdhsa_float_round_mode_32 0
		.amdhsa_float_round_mode_16_64 0
		.amdhsa_float_denorm_mode_32 3
		.amdhsa_float_denorm_mode_16_64 3
		.amdhsa_dx10_clamp 1
		.amdhsa_ieee_mode 1
		.amdhsa_fp16_overflow 0
		.amdhsa_tg_split 0
		.amdhsa_exception_fp_ieee_invalid_op 0
		.amdhsa_exception_fp_denorm_src 0
		.amdhsa_exception_fp_ieee_div_zero 0
		.amdhsa_exception_fp_ieee_overflow 0
		.amdhsa_exception_fp_ieee_underflow 0
		.amdhsa_exception_fp_ieee_inexact 0
		.amdhsa_exception_int_div_zero 0
	.end_amdhsa_kernel
	.section	.text._ZN7rocprim17ROCPRIM_400000_NS6detail17trampoline_kernelINS0_14default_configENS1_38merge_sort_block_merge_config_selectorImNS0_10empty_typeEEEZZNS1_27merge_sort_block_merge_implIS3_N6thrust23THRUST_200600_302600_NS6detail15normal_iteratorINS9_10device_ptrImEEEEPS5_m14custom_greaterImEEE10hipError_tT0_T1_T2_jT3_P12ihipStream_tbPNSt15iterator_traitsISJ_E10value_typeEPNSP_ISK_E10value_typeEPSL_NS1_7vsmem_tEENKUlT_SJ_SK_SL_E_clISE_PmSF_SF_EESI_SY_SJ_SK_SL_EUlSY_E0_NS1_11comp_targetILNS1_3genE8ELNS1_11target_archE1030ELNS1_3gpuE2ELNS1_3repE0EEENS1_38merge_mergepath_config_static_selectorELNS0_4arch9wavefront6targetE1EEEvSK_,"axG",@progbits,_ZN7rocprim17ROCPRIM_400000_NS6detail17trampoline_kernelINS0_14default_configENS1_38merge_sort_block_merge_config_selectorImNS0_10empty_typeEEEZZNS1_27merge_sort_block_merge_implIS3_N6thrust23THRUST_200600_302600_NS6detail15normal_iteratorINS9_10device_ptrImEEEEPS5_m14custom_greaterImEEE10hipError_tT0_T1_T2_jT3_P12ihipStream_tbPNSt15iterator_traitsISJ_E10value_typeEPNSP_ISK_E10value_typeEPSL_NS1_7vsmem_tEENKUlT_SJ_SK_SL_E_clISE_PmSF_SF_EESI_SY_SJ_SK_SL_EUlSY_E0_NS1_11comp_targetILNS1_3genE8ELNS1_11target_archE1030ELNS1_3gpuE2ELNS1_3repE0EEENS1_38merge_mergepath_config_static_selectorELNS0_4arch9wavefront6targetE1EEEvSK_,comdat
.Lfunc_end3352:
	.size	_ZN7rocprim17ROCPRIM_400000_NS6detail17trampoline_kernelINS0_14default_configENS1_38merge_sort_block_merge_config_selectorImNS0_10empty_typeEEEZZNS1_27merge_sort_block_merge_implIS3_N6thrust23THRUST_200600_302600_NS6detail15normal_iteratorINS9_10device_ptrImEEEEPS5_m14custom_greaterImEEE10hipError_tT0_T1_T2_jT3_P12ihipStream_tbPNSt15iterator_traitsISJ_E10value_typeEPNSP_ISK_E10value_typeEPSL_NS1_7vsmem_tEENKUlT_SJ_SK_SL_E_clISE_PmSF_SF_EESI_SY_SJ_SK_SL_EUlSY_E0_NS1_11comp_targetILNS1_3genE8ELNS1_11target_archE1030ELNS1_3gpuE2ELNS1_3repE0EEENS1_38merge_mergepath_config_static_selectorELNS0_4arch9wavefront6targetE1EEEvSK_, .Lfunc_end3352-_ZN7rocprim17ROCPRIM_400000_NS6detail17trampoline_kernelINS0_14default_configENS1_38merge_sort_block_merge_config_selectorImNS0_10empty_typeEEEZZNS1_27merge_sort_block_merge_implIS3_N6thrust23THRUST_200600_302600_NS6detail15normal_iteratorINS9_10device_ptrImEEEEPS5_m14custom_greaterImEEE10hipError_tT0_T1_T2_jT3_P12ihipStream_tbPNSt15iterator_traitsISJ_E10value_typeEPNSP_ISK_E10value_typeEPSL_NS1_7vsmem_tEENKUlT_SJ_SK_SL_E_clISE_PmSF_SF_EESI_SY_SJ_SK_SL_EUlSY_E0_NS1_11comp_targetILNS1_3genE8ELNS1_11target_archE1030ELNS1_3gpuE2ELNS1_3repE0EEENS1_38merge_mergepath_config_static_selectorELNS0_4arch9wavefront6targetE1EEEvSK_
                                        ; -- End function
	.section	.AMDGPU.csdata,"",@progbits
; Kernel info:
; codeLenInByte = 0
; NumSgprs: 4
; NumVgprs: 0
; NumAgprs: 0
; TotalNumVgprs: 0
; ScratchSize: 0
; MemoryBound: 0
; FloatMode: 240
; IeeeMode: 1
; LDSByteSize: 0 bytes/workgroup (compile time only)
; SGPRBlocks: 0
; VGPRBlocks: 0
; NumSGPRsForWavesPerEU: 4
; NumVGPRsForWavesPerEU: 1
; AccumOffset: 4
; Occupancy: 8
; WaveLimiterHint : 0
; COMPUTE_PGM_RSRC2:SCRATCH_EN: 0
; COMPUTE_PGM_RSRC2:USER_SGPR: 6
; COMPUTE_PGM_RSRC2:TRAP_HANDLER: 0
; COMPUTE_PGM_RSRC2:TGID_X_EN: 1
; COMPUTE_PGM_RSRC2:TGID_Y_EN: 0
; COMPUTE_PGM_RSRC2:TGID_Z_EN: 0
; COMPUTE_PGM_RSRC2:TIDIG_COMP_CNT: 0
; COMPUTE_PGM_RSRC3_GFX90A:ACCUM_OFFSET: 0
; COMPUTE_PGM_RSRC3_GFX90A:TG_SPLIT: 0
	.section	.text._ZN7rocprim17ROCPRIM_400000_NS6detail17trampoline_kernelINS0_14default_configENS1_38merge_sort_block_merge_config_selectorImNS0_10empty_typeEEEZZNS1_27merge_sort_block_merge_implIS3_N6thrust23THRUST_200600_302600_NS6detail15normal_iteratorINS9_10device_ptrImEEEEPS5_m14custom_greaterImEEE10hipError_tT0_T1_T2_jT3_P12ihipStream_tbPNSt15iterator_traitsISJ_E10value_typeEPNSP_ISK_E10value_typeEPSL_NS1_7vsmem_tEENKUlT_SJ_SK_SL_E_clISE_PmSF_SF_EESI_SY_SJ_SK_SL_EUlSY_E1_NS1_11comp_targetILNS1_3genE0ELNS1_11target_archE4294967295ELNS1_3gpuE0ELNS1_3repE0EEENS1_36merge_oddeven_config_static_selectorELNS0_4arch9wavefront6targetE1EEEvSK_,"axG",@progbits,_ZN7rocprim17ROCPRIM_400000_NS6detail17trampoline_kernelINS0_14default_configENS1_38merge_sort_block_merge_config_selectorImNS0_10empty_typeEEEZZNS1_27merge_sort_block_merge_implIS3_N6thrust23THRUST_200600_302600_NS6detail15normal_iteratorINS9_10device_ptrImEEEEPS5_m14custom_greaterImEEE10hipError_tT0_T1_T2_jT3_P12ihipStream_tbPNSt15iterator_traitsISJ_E10value_typeEPNSP_ISK_E10value_typeEPSL_NS1_7vsmem_tEENKUlT_SJ_SK_SL_E_clISE_PmSF_SF_EESI_SY_SJ_SK_SL_EUlSY_E1_NS1_11comp_targetILNS1_3genE0ELNS1_11target_archE4294967295ELNS1_3gpuE0ELNS1_3repE0EEENS1_36merge_oddeven_config_static_selectorELNS0_4arch9wavefront6targetE1EEEvSK_,comdat
	.protected	_ZN7rocprim17ROCPRIM_400000_NS6detail17trampoline_kernelINS0_14default_configENS1_38merge_sort_block_merge_config_selectorImNS0_10empty_typeEEEZZNS1_27merge_sort_block_merge_implIS3_N6thrust23THRUST_200600_302600_NS6detail15normal_iteratorINS9_10device_ptrImEEEEPS5_m14custom_greaterImEEE10hipError_tT0_T1_T2_jT3_P12ihipStream_tbPNSt15iterator_traitsISJ_E10value_typeEPNSP_ISK_E10value_typeEPSL_NS1_7vsmem_tEENKUlT_SJ_SK_SL_E_clISE_PmSF_SF_EESI_SY_SJ_SK_SL_EUlSY_E1_NS1_11comp_targetILNS1_3genE0ELNS1_11target_archE4294967295ELNS1_3gpuE0ELNS1_3repE0EEENS1_36merge_oddeven_config_static_selectorELNS0_4arch9wavefront6targetE1EEEvSK_ ; -- Begin function _ZN7rocprim17ROCPRIM_400000_NS6detail17trampoline_kernelINS0_14default_configENS1_38merge_sort_block_merge_config_selectorImNS0_10empty_typeEEEZZNS1_27merge_sort_block_merge_implIS3_N6thrust23THRUST_200600_302600_NS6detail15normal_iteratorINS9_10device_ptrImEEEEPS5_m14custom_greaterImEEE10hipError_tT0_T1_T2_jT3_P12ihipStream_tbPNSt15iterator_traitsISJ_E10value_typeEPNSP_ISK_E10value_typeEPSL_NS1_7vsmem_tEENKUlT_SJ_SK_SL_E_clISE_PmSF_SF_EESI_SY_SJ_SK_SL_EUlSY_E1_NS1_11comp_targetILNS1_3genE0ELNS1_11target_archE4294967295ELNS1_3gpuE0ELNS1_3repE0EEENS1_36merge_oddeven_config_static_selectorELNS0_4arch9wavefront6targetE1EEEvSK_
	.globl	_ZN7rocprim17ROCPRIM_400000_NS6detail17trampoline_kernelINS0_14default_configENS1_38merge_sort_block_merge_config_selectorImNS0_10empty_typeEEEZZNS1_27merge_sort_block_merge_implIS3_N6thrust23THRUST_200600_302600_NS6detail15normal_iteratorINS9_10device_ptrImEEEEPS5_m14custom_greaterImEEE10hipError_tT0_T1_T2_jT3_P12ihipStream_tbPNSt15iterator_traitsISJ_E10value_typeEPNSP_ISK_E10value_typeEPSL_NS1_7vsmem_tEENKUlT_SJ_SK_SL_E_clISE_PmSF_SF_EESI_SY_SJ_SK_SL_EUlSY_E1_NS1_11comp_targetILNS1_3genE0ELNS1_11target_archE4294967295ELNS1_3gpuE0ELNS1_3repE0EEENS1_36merge_oddeven_config_static_selectorELNS0_4arch9wavefront6targetE1EEEvSK_
	.p2align	8
	.type	_ZN7rocprim17ROCPRIM_400000_NS6detail17trampoline_kernelINS0_14default_configENS1_38merge_sort_block_merge_config_selectorImNS0_10empty_typeEEEZZNS1_27merge_sort_block_merge_implIS3_N6thrust23THRUST_200600_302600_NS6detail15normal_iteratorINS9_10device_ptrImEEEEPS5_m14custom_greaterImEEE10hipError_tT0_T1_T2_jT3_P12ihipStream_tbPNSt15iterator_traitsISJ_E10value_typeEPNSP_ISK_E10value_typeEPSL_NS1_7vsmem_tEENKUlT_SJ_SK_SL_E_clISE_PmSF_SF_EESI_SY_SJ_SK_SL_EUlSY_E1_NS1_11comp_targetILNS1_3genE0ELNS1_11target_archE4294967295ELNS1_3gpuE0ELNS1_3repE0EEENS1_36merge_oddeven_config_static_selectorELNS0_4arch9wavefront6targetE1EEEvSK_,@function
_ZN7rocprim17ROCPRIM_400000_NS6detail17trampoline_kernelINS0_14default_configENS1_38merge_sort_block_merge_config_selectorImNS0_10empty_typeEEEZZNS1_27merge_sort_block_merge_implIS3_N6thrust23THRUST_200600_302600_NS6detail15normal_iteratorINS9_10device_ptrImEEEEPS5_m14custom_greaterImEEE10hipError_tT0_T1_T2_jT3_P12ihipStream_tbPNSt15iterator_traitsISJ_E10value_typeEPNSP_ISK_E10value_typeEPSL_NS1_7vsmem_tEENKUlT_SJ_SK_SL_E_clISE_PmSF_SF_EESI_SY_SJ_SK_SL_EUlSY_E1_NS1_11comp_targetILNS1_3genE0ELNS1_11target_archE4294967295ELNS1_3gpuE0ELNS1_3repE0EEENS1_36merge_oddeven_config_static_selectorELNS0_4arch9wavefront6targetE1EEEvSK_: ; @_ZN7rocprim17ROCPRIM_400000_NS6detail17trampoline_kernelINS0_14default_configENS1_38merge_sort_block_merge_config_selectorImNS0_10empty_typeEEEZZNS1_27merge_sort_block_merge_implIS3_N6thrust23THRUST_200600_302600_NS6detail15normal_iteratorINS9_10device_ptrImEEEEPS5_m14custom_greaterImEEE10hipError_tT0_T1_T2_jT3_P12ihipStream_tbPNSt15iterator_traitsISJ_E10value_typeEPNSP_ISK_E10value_typeEPSL_NS1_7vsmem_tEENKUlT_SJ_SK_SL_E_clISE_PmSF_SF_EESI_SY_SJ_SK_SL_EUlSY_E1_NS1_11comp_targetILNS1_3genE0ELNS1_11target_archE4294967295ELNS1_3gpuE0ELNS1_3repE0EEENS1_36merge_oddeven_config_static_selectorELNS0_4arch9wavefront6targetE1EEEvSK_
; %bb.0:
	.section	.rodata,"a",@progbits
	.p2align	6, 0x0
	.amdhsa_kernel _ZN7rocprim17ROCPRIM_400000_NS6detail17trampoline_kernelINS0_14default_configENS1_38merge_sort_block_merge_config_selectorImNS0_10empty_typeEEEZZNS1_27merge_sort_block_merge_implIS3_N6thrust23THRUST_200600_302600_NS6detail15normal_iteratorINS9_10device_ptrImEEEEPS5_m14custom_greaterImEEE10hipError_tT0_T1_T2_jT3_P12ihipStream_tbPNSt15iterator_traitsISJ_E10value_typeEPNSP_ISK_E10value_typeEPSL_NS1_7vsmem_tEENKUlT_SJ_SK_SL_E_clISE_PmSF_SF_EESI_SY_SJ_SK_SL_EUlSY_E1_NS1_11comp_targetILNS1_3genE0ELNS1_11target_archE4294967295ELNS1_3gpuE0ELNS1_3repE0EEENS1_36merge_oddeven_config_static_selectorELNS0_4arch9wavefront6targetE1EEEvSK_
		.amdhsa_group_segment_fixed_size 0
		.amdhsa_private_segment_fixed_size 0
		.amdhsa_kernarg_size 56
		.amdhsa_user_sgpr_count 6
		.amdhsa_user_sgpr_private_segment_buffer 1
		.amdhsa_user_sgpr_dispatch_ptr 0
		.amdhsa_user_sgpr_queue_ptr 0
		.amdhsa_user_sgpr_kernarg_segment_ptr 1
		.amdhsa_user_sgpr_dispatch_id 0
		.amdhsa_user_sgpr_flat_scratch_init 0
		.amdhsa_user_sgpr_kernarg_preload_length 0
		.amdhsa_user_sgpr_kernarg_preload_offset 0
		.amdhsa_user_sgpr_private_segment_size 0
		.amdhsa_uses_dynamic_stack 0
		.amdhsa_system_sgpr_private_segment_wavefront_offset 0
		.amdhsa_system_sgpr_workgroup_id_x 1
		.amdhsa_system_sgpr_workgroup_id_y 0
		.amdhsa_system_sgpr_workgroup_id_z 0
		.amdhsa_system_sgpr_workgroup_info 0
		.amdhsa_system_vgpr_workitem_id 0
		.amdhsa_next_free_vgpr 1
		.amdhsa_next_free_sgpr 0
		.amdhsa_accum_offset 4
		.amdhsa_reserve_vcc 0
		.amdhsa_reserve_flat_scratch 0
		.amdhsa_float_round_mode_32 0
		.amdhsa_float_round_mode_16_64 0
		.amdhsa_float_denorm_mode_32 3
		.amdhsa_float_denorm_mode_16_64 3
		.amdhsa_dx10_clamp 1
		.amdhsa_ieee_mode 1
		.amdhsa_fp16_overflow 0
		.amdhsa_tg_split 0
		.amdhsa_exception_fp_ieee_invalid_op 0
		.amdhsa_exception_fp_denorm_src 0
		.amdhsa_exception_fp_ieee_div_zero 0
		.amdhsa_exception_fp_ieee_overflow 0
		.amdhsa_exception_fp_ieee_underflow 0
		.amdhsa_exception_fp_ieee_inexact 0
		.amdhsa_exception_int_div_zero 0
	.end_amdhsa_kernel
	.section	.text._ZN7rocprim17ROCPRIM_400000_NS6detail17trampoline_kernelINS0_14default_configENS1_38merge_sort_block_merge_config_selectorImNS0_10empty_typeEEEZZNS1_27merge_sort_block_merge_implIS3_N6thrust23THRUST_200600_302600_NS6detail15normal_iteratorINS9_10device_ptrImEEEEPS5_m14custom_greaterImEEE10hipError_tT0_T1_T2_jT3_P12ihipStream_tbPNSt15iterator_traitsISJ_E10value_typeEPNSP_ISK_E10value_typeEPSL_NS1_7vsmem_tEENKUlT_SJ_SK_SL_E_clISE_PmSF_SF_EESI_SY_SJ_SK_SL_EUlSY_E1_NS1_11comp_targetILNS1_3genE0ELNS1_11target_archE4294967295ELNS1_3gpuE0ELNS1_3repE0EEENS1_36merge_oddeven_config_static_selectorELNS0_4arch9wavefront6targetE1EEEvSK_,"axG",@progbits,_ZN7rocprim17ROCPRIM_400000_NS6detail17trampoline_kernelINS0_14default_configENS1_38merge_sort_block_merge_config_selectorImNS0_10empty_typeEEEZZNS1_27merge_sort_block_merge_implIS3_N6thrust23THRUST_200600_302600_NS6detail15normal_iteratorINS9_10device_ptrImEEEEPS5_m14custom_greaterImEEE10hipError_tT0_T1_T2_jT3_P12ihipStream_tbPNSt15iterator_traitsISJ_E10value_typeEPNSP_ISK_E10value_typeEPSL_NS1_7vsmem_tEENKUlT_SJ_SK_SL_E_clISE_PmSF_SF_EESI_SY_SJ_SK_SL_EUlSY_E1_NS1_11comp_targetILNS1_3genE0ELNS1_11target_archE4294967295ELNS1_3gpuE0ELNS1_3repE0EEENS1_36merge_oddeven_config_static_selectorELNS0_4arch9wavefront6targetE1EEEvSK_,comdat
.Lfunc_end3353:
	.size	_ZN7rocprim17ROCPRIM_400000_NS6detail17trampoline_kernelINS0_14default_configENS1_38merge_sort_block_merge_config_selectorImNS0_10empty_typeEEEZZNS1_27merge_sort_block_merge_implIS3_N6thrust23THRUST_200600_302600_NS6detail15normal_iteratorINS9_10device_ptrImEEEEPS5_m14custom_greaterImEEE10hipError_tT0_T1_T2_jT3_P12ihipStream_tbPNSt15iterator_traitsISJ_E10value_typeEPNSP_ISK_E10value_typeEPSL_NS1_7vsmem_tEENKUlT_SJ_SK_SL_E_clISE_PmSF_SF_EESI_SY_SJ_SK_SL_EUlSY_E1_NS1_11comp_targetILNS1_3genE0ELNS1_11target_archE4294967295ELNS1_3gpuE0ELNS1_3repE0EEENS1_36merge_oddeven_config_static_selectorELNS0_4arch9wavefront6targetE1EEEvSK_, .Lfunc_end3353-_ZN7rocprim17ROCPRIM_400000_NS6detail17trampoline_kernelINS0_14default_configENS1_38merge_sort_block_merge_config_selectorImNS0_10empty_typeEEEZZNS1_27merge_sort_block_merge_implIS3_N6thrust23THRUST_200600_302600_NS6detail15normal_iteratorINS9_10device_ptrImEEEEPS5_m14custom_greaterImEEE10hipError_tT0_T1_T2_jT3_P12ihipStream_tbPNSt15iterator_traitsISJ_E10value_typeEPNSP_ISK_E10value_typeEPSL_NS1_7vsmem_tEENKUlT_SJ_SK_SL_E_clISE_PmSF_SF_EESI_SY_SJ_SK_SL_EUlSY_E1_NS1_11comp_targetILNS1_3genE0ELNS1_11target_archE4294967295ELNS1_3gpuE0ELNS1_3repE0EEENS1_36merge_oddeven_config_static_selectorELNS0_4arch9wavefront6targetE1EEEvSK_
                                        ; -- End function
	.section	.AMDGPU.csdata,"",@progbits
; Kernel info:
; codeLenInByte = 0
; NumSgprs: 4
; NumVgprs: 0
; NumAgprs: 0
; TotalNumVgprs: 0
; ScratchSize: 0
; MemoryBound: 0
; FloatMode: 240
; IeeeMode: 1
; LDSByteSize: 0 bytes/workgroup (compile time only)
; SGPRBlocks: 0
; VGPRBlocks: 0
; NumSGPRsForWavesPerEU: 4
; NumVGPRsForWavesPerEU: 1
; AccumOffset: 4
; Occupancy: 8
; WaveLimiterHint : 0
; COMPUTE_PGM_RSRC2:SCRATCH_EN: 0
; COMPUTE_PGM_RSRC2:USER_SGPR: 6
; COMPUTE_PGM_RSRC2:TRAP_HANDLER: 0
; COMPUTE_PGM_RSRC2:TGID_X_EN: 1
; COMPUTE_PGM_RSRC2:TGID_Y_EN: 0
; COMPUTE_PGM_RSRC2:TGID_Z_EN: 0
; COMPUTE_PGM_RSRC2:TIDIG_COMP_CNT: 0
; COMPUTE_PGM_RSRC3_GFX90A:ACCUM_OFFSET: 0
; COMPUTE_PGM_RSRC3_GFX90A:TG_SPLIT: 0
	.section	.text._ZN7rocprim17ROCPRIM_400000_NS6detail17trampoline_kernelINS0_14default_configENS1_38merge_sort_block_merge_config_selectorImNS0_10empty_typeEEEZZNS1_27merge_sort_block_merge_implIS3_N6thrust23THRUST_200600_302600_NS6detail15normal_iteratorINS9_10device_ptrImEEEEPS5_m14custom_greaterImEEE10hipError_tT0_T1_T2_jT3_P12ihipStream_tbPNSt15iterator_traitsISJ_E10value_typeEPNSP_ISK_E10value_typeEPSL_NS1_7vsmem_tEENKUlT_SJ_SK_SL_E_clISE_PmSF_SF_EESI_SY_SJ_SK_SL_EUlSY_E1_NS1_11comp_targetILNS1_3genE10ELNS1_11target_archE1201ELNS1_3gpuE5ELNS1_3repE0EEENS1_36merge_oddeven_config_static_selectorELNS0_4arch9wavefront6targetE1EEEvSK_,"axG",@progbits,_ZN7rocprim17ROCPRIM_400000_NS6detail17trampoline_kernelINS0_14default_configENS1_38merge_sort_block_merge_config_selectorImNS0_10empty_typeEEEZZNS1_27merge_sort_block_merge_implIS3_N6thrust23THRUST_200600_302600_NS6detail15normal_iteratorINS9_10device_ptrImEEEEPS5_m14custom_greaterImEEE10hipError_tT0_T1_T2_jT3_P12ihipStream_tbPNSt15iterator_traitsISJ_E10value_typeEPNSP_ISK_E10value_typeEPSL_NS1_7vsmem_tEENKUlT_SJ_SK_SL_E_clISE_PmSF_SF_EESI_SY_SJ_SK_SL_EUlSY_E1_NS1_11comp_targetILNS1_3genE10ELNS1_11target_archE1201ELNS1_3gpuE5ELNS1_3repE0EEENS1_36merge_oddeven_config_static_selectorELNS0_4arch9wavefront6targetE1EEEvSK_,comdat
	.protected	_ZN7rocprim17ROCPRIM_400000_NS6detail17trampoline_kernelINS0_14default_configENS1_38merge_sort_block_merge_config_selectorImNS0_10empty_typeEEEZZNS1_27merge_sort_block_merge_implIS3_N6thrust23THRUST_200600_302600_NS6detail15normal_iteratorINS9_10device_ptrImEEEEPS5_m14custom_greaterImEEE10hipError_tT0_T1_T2_jT3_P12ihipStream_tbPNSt15iterator_traitsISJ_E10value_typeEPNSP_ISK_E10value_typeEPSL_NS1_7vsmem_tEENKUlT_SJ_SK_SL_E_clISE_PmSF_SF_EESI_SY_SJ_SK_SL_EUlSY_E1_NS1_11comp_targetILNS1_3genE10ELNS1_11target_archE1201ELNS1_3gpuE5ELNS1_3repE0EEENS1_36merge_oddeven_config_static_selectorELNS0_4arch9wavefront6targetE1EEEvSK_ ; -- Begin function _ZN7rocprim17ROCPRIM_400000_NS6detail17trampoline_kernelINS0_14default_configENS1_38merge_sort_block_merge_config_selectorImNS0_10empty_typeEEEZZNS1_27merge_sort_block_merge_implIS3_N6thrust23THRUST_200600_302600_NS6detail15normal_iteratorINS9_10device_ptrImEEEEPS5_m14custom_greaterImEEE10hipError_tT0_T1_T2_jT3_P12ihipStream_tbPNSt15iterator_traitsISJ_E10value_typeEPNSP_ISK_E10value_typeEPSL_NS1_7vsmem_tEENKUlT_SJ_SK_SL_E_clISE_PmSF_SF_EESI_SY_SJ_SK_SL_EUlSY_E1_NS1_11comp_targetILNS1_3genE10ELNS1_11target_archE1201ELNS1_3gpuE5ELNS1_3repE0EEENS1_36merge_oddeven_config_static_selectorELNS0_4arch9wavefront6targetE1EEEvSK_
	.globl	_ZN7rocprim17ROCPRIM_400000_NS6detail17trampoline_kernelINS0_14default_configENS1_38merge_sort_block_merge_config_selectorImNS0_10empty_typeEEEZZNS1_27merge_sort_block_merge_implIS3_N6thrust23THRUST_200600_302600_NS6detail15normal_iteratorINS9_10device_ptrImEEEEPS5_m14custom_greaterImEEE10hipError_tT0_T1_T2_jT3_P12ihipStream_tbPNSt15iterator_traitsISJ_E10value_typeEPNSP_ISK_E10value_typeEPSL_NS1_7vsmem_tEENKUlT_SJ_SK_SL_E_clISE_PmSF_SF_EESI_SY_SJ_SK_SL_EUlSY_E1_NS1_11comp_targetILNS1_3genE10ELNS1_11target_archE1201ELNS1_3gpuE5ELNS1_3repE0EEENS1_36merge_oddeven_config_static_selectorELNS0_4arch9wavefront6targetE1EEEvSK_
	.p2align	8
	.type	_ZN7rocprim17ROCPRIM_400000_NS6detail17trampoline_kernelINS0_14default_configENS1_38merge_sort_block_merge_config_selectorImNS0_10empty_typeEEEZZNS1_27merge_sort_block_merge_implIS3_N6thrust23THRUST_200600_302600_NS6detail15normal_iteratorINS9_10device_ptrImEEEEPS5_m14custom_greaterImEEE10hipError_tT0_T1_T2_jT3_P12ihipStream_tbPNSt15iterator_traitsISJ_E10value_typeEPNSP_ISK_E10value_typeEPSL_NS1_7vsmem_tEENKUlT_SJ_SK_SL_E_clISE_PmSF_SF_EESI_SY_SJ_SK_SL_EUlSY_E1_NS1_11comp_targetILNS1_3genE10ELNS1_11target_archE1201ELNS1_3gpuE5ELNS1_3repE0EEENS1_36merge_oddeven_config_static_selectorELNS0_4arch9wavefront6targetE1EEEvSK_,@function
_ZN7rocprim17ROCPRIM_400000_NS6detail17trampoline_kernelINS0_14default_configENS1_38merge_sort_block_merge_config_selectorImNS0_10empty_typeEEEZZNS1_27merge_sort_block_merge_implIS3_N6thrust23THRUST_200600_302600_NS6detail15normal_iteratorINS9_10device_ptrImEEEEPS5_m14custom_greaterImEEE10hipError_tT0_T1_T2_jT3_P12ihipStream_tbPNSt15iterator_traitsISJ_E10value_typeEPNSP_ISK_E10value_typeEPSL_NS1_7vsmem_tEENKUlT_SJ_SK_SL_E_clISE_PmSF_SF_EESI_SY_SJ_SK_SL_EUlSY_E1_NS1_11comp_targetILNS1_3genE10ELNS1_11target_archE1201ELNS1_3gpuE5ELNS1_3repE0EEENS1_36merge_oddeven_config_static_selectorELNS0_4arch9wavefront6targetE1EEEvSK_: ; @_ZN7rocprim17ROCPRIM_400000_NS6detail17trampoline_kernelINS0_14default_configENS1_38merge_sort_block_merge_config_selectorImNS0_10empty_typeEEEZZNS1_27merge_sort_block_merge_implIS3_N6thrust23THRUST_200600_302600_NS6detail15normal_iteratorINS9_10device_ptrImEEEEPS5_m14custom_greaterImEEE10hipError_tT0_T1_T2_jT3_P12ihipStream_tbPNSt15iterator_traitsISJ_E10value_typeEPNSP_ISK_E10value_typeEPSL_NS1_7vsmem_tEENKUlT_SJ_SK_SL_E_clISE_PmSF_SF_EESI_SY_SJ_SK_SL_EUlSY_E1_NS1_11comp_targetILNS1_3genE10ELNS1_11target_archE1201ELNS1_3gpuE5ELNS1_3repE0EEENS1_36merge_oddeven_config_static_selectorELNS0_4arch9wavefront6targetE1EEEvSK_
; %bb.0:
	.section	.rodata,"a",@progbits
	.p2align	6, 0x0
	.amdhsa_kernel _ZN7rocprim17ROCPRIM_400000_NS6detail17trampoline_kernelINS0_14default_configENS1_38merge_sort_block_merge_config_selectorImNS0_10empty_typeEEEZZNS1_27merge_sort_block_merge_implIS3_N6thrust23THRUST_200600_302600_NS6detail15normal_iteratorINS9_10device_ptrImEEEEPS5_m14custom_greaterImEEE10hipError_tT0_T1_T2_jT3_P12ihipStream_tbPNSt15iterator_traitsISJ_E10value_typeEPNSP_ISK_E10value_typeEPSL_NS1_7vsmem_tEENKUlT_SJ_SK_SL_E_clISE_PmSF_SF_EESI_SY_SJ_SK_SL_EUlSY_E1_NS1_11comp_targetILNS1_3genE10ELNS1_11target_archE1201ELNS1_3gpuE5ELNS1_3repE0EEENS1_36merge_oddeven_config_static_selectorELNS0_4arch9wavefront6targetE1EEEvSK_
		.amdhsa_group_segment_fixed_size 0
		.amdhsa_private_segment_fixed_size 0
		.amdhsa_kernarg_size 56
		.amdhsa_user_sgpr_count 6
		.amdhsa_user_sgpr_private_segment_buffer 1
		.amdhsa_user_sgpr_dispatch_ptr 0
		.amdhsa_user_sgpr_queue_ptr 0
		.amdhsa_user_sgpr_kernarg_segment_ptr 1
		.amdhsa_user_sgpr_dispatch_id 0
		.amdhsa_user_sgpr_flat_scratch_init 0
		.amdhsa_user_sgpr_kernarg_preload_length 0
		.amdhsa_user_sgpr_kernarg_preload_offset 0
		.amdhsa_user_sgpr_private_segment_size 0
		.amdhsa_uses_dynamic_stack 0
		.amdhsa_system_sgpr_private_segment_wavefront_offset 0
		.amdhsa_system_sgpr_workgroup_id_x 1
		.amdhsa_system_sgpr_workgroup_id_y 0
		.amdhsa_system_sgpr_workgroup_id_z 0
		.amdhsa_system_sgpr_workgroup_info 0
		.amdhsa_system_vgpr_workitem_id 0
		.amdhsa_next_free_vgpr 1
		.amdhsa_next_free_sgpr 0
		.amdhsa_accum_offset 4
		.amdhsa_reserve_vcc 0
		.amdhsa_reserve_flat_scratch 0
		.amdhsa_float_round_mode_32 0
		.amdhsa_float_round_mode_16_64 0
		.amdhsa_float_denorm_mode_32 3
		.amdhsa_float_denorm_mode_16_64 3
		.amdhsa_dx10_clamp 1
		.amdhsa_ieee_mode 1
		.amdhsa_fp16_overflow 0
		.amdhsa_tg_split 0
		.amdhsa_exception_fp_ieee_invalid_op 0
		.amdhsa_exception_fp_denorm_src 0
		.amdhsa_exception_fp_ieee_div_zero 0
		.amdhsa_exception_fp_ieee_overflow 0
		.amdhsa_exception_fp_ieee_underflow 0
		.amdhsa_exception_fp_ieee_inexact 0
		.amdhsa_exception_int_div_zero 0
	.end_amdhsa_kernel
	.section	.text._ZN7rocprim17ROCPRIM_400000_NS6detail17trampoline_kernelINS0_14default_configENS1_38merge_sort_block_merge_config_selectorImNS0_10empty_typeEEEZZNS1_27merge_sort_block_merge_implIS3_N6thrust23THRUST_200600_302600_NS6detail15normal_iteratorINS9_10device_ptrImEEEEPS5_m14custom_greaterImEEE10hipError_tT0_T1_T2_jT3_P12ihipStream_tbPNSt15iterator_traitsISJ_E10value_typeEPNSP_ISK_E10value_typeEPSL_NS1_7vsmem_tEENKUlT_SJ_SK_SL_E_clISE_PmSF_SF_EESI_SY_SJ_SK_SL_EUlSY_E1_NS1_11comp_targetILNS1_3genE10ELNS1_11target_archE1201ELNS1_3gpuE5ELNS1_3repE0EEENS1_36merge_oddeven_config_static_selectorELNS0_4arch9wavefront6targetE1EEEvSK_,"axG",@progbits,_ZN7rocprim17ROCPRIM_400000_NS6detail17trampoline_kernelINS0_14default_configENS1_38merge_sort_block_merge_config_selectorImNS0_10empty_typeEEEZZNS1_27merge_sort_block_merge_implIS3_N6thrust23THRUST_200600_302600_NS6detail15normal_iteratorINS9_10device_ptrImEEEEPS5_m14custom_greaterImEEE10hipError_tT0_T1_T2_jT3_P12ihipStream_tbPNSt15iterator_traitsISJ_E10value_typeEPNSP_ISK_E10value_typeEPSL_NS1_7vsmem_tEENKUlT_SJ_SK_SL_E_clISE_PmSF_SF_EESI_SY_SJ_SK_SL_EUlSY_E1_NS1_11comp_targetILNS1_3genE10ELNS1_11target_archE1201ELNS1_3gpuE5ELNS1_3repE0EEENS1_36merge_oddeven_config_static_selectorELNS0_4arch9wavefront6targetE1EEEvSK_,comdat
.Lfunc_end3354:
	.size	_ZN7rocprim17ROCPRIM_400000_NS6detail17trampoline_kernelINS0_14default_configENS1_38merge_sort_block_merge_config_selectorImNS0_10empty_typeEEEZZNS1_27merge_sort_block_merge_implIS3_N6thrust23THRUST_200600_302600_NS6detail15normal_iteratorINS9_10device_ptrImEEEEPS5_m14custom_greaterImEEE10hipError_tT0_T1_T2_jT3_P12ihipStream_tbPNSt15iterator_traitsISJ_E10value_typeEPNSP_ISK_E10value_typeEPSL_NS1_7vsmem_tEENKUlT_SJ_SK_SL_E_clISE_PmSF_SF_EESI_SY_SJ_SK_SL_EUlSY_E1_NS1_11comp_targetILNS1_3genE10ELNS1_11target_archE1201ELNS1_3gpuE5ELNS1_3repE0EEENS1_36merge_oddeven_config_static_selectorELNS0_4arch9wavefront6targetE1EEEvSK_, .Lfunc_end3354-_ZN7rocprim17ROCPRIM_400000_NS6detail17trampoline_kernelINS0_14default_configENS1_38merge_sort_block_merge_config_selectorImNS0_10empty_typeEEEZZNS1_27merge_sort_block_merge_implIS3_N6thrust23THRUST_200600_302600_NS6detail15normal_iteratorINS9_10device_ptrImEEEEPS5_m14custom_greaterImEEE10hipError_tT0_T1_T2_jT3_P12ihipStream_tbPNSt15iterator_traitsISJ_E10value_typeEPNSP_ISK_E10value_typeEPSL_NS1_7vsmem_tEENKUlT_SJ_SK_SL_E_clISE_PmSF_SF_EESI_SY_SJ_SK_SL_EUlSY_E1_NS1_11comp_targetILNS1_3genE10ELNS1_11target_archE1201ELNS1_3gpuE5ELNS1_3repE0EEENS1_36merge_oddeven_config_static_selectorELNS0_4arch9wavefront6targetE1EEEvSK_
                                        ; -- End function
	.section	.AMDGPU.csdata,"",@progbits
; Kernel info:
; codeLenInByte = 0
; NumSgprs: 4
; NumVgprs: 0
; NumAgprs: 0
; TotalNumVgprs: 0
; ScratchSize: 0
; MemoryBound: 0
; FloatMode: 240
; IeeeMode: 1
; LDSByteSize: 0 bytes/workgroup (compile time only)
; SGPRBlocks: 0
; VGPRBlocks: 0
; NumSGPRsForWavesPerEU: 4
; NumVGPRsForWavesPerEU: 1
; AccumOffset: 4
; Occupancy: 8
; WaveLimiterHint : 0
; COMPUTE_PGM_RSRC2:SCRATCH_EN: 0
; COMPUTE_PGM_RSRC2:USER_SGPR: 6
; COMPUTE_PGM_RSRC2:TRAP_HANDLER: 0
; COMPUTE_PGM_RSRC2:TGID_X_EN: 1
; COMPUTE_PGM_RSRC2:TGID_Y_EN: 0
; COMPUTE_PGM_RSRC2:TGID_Z_EN: 0
; COMPUTE_PGM_RSRC2:TIDIG_COMP_CNT: 0
; COMPUTE_PGM_RSRC3_GFX90A:ACCUM_OFFSET: 0
; COMPUTE_PGM_RSRC3_GFX90A:TG_SPLIT: 0
	.section	.text._ZN7rocprim17ROCPRIM_400000_NS6detail17trampoline_kernelINS0_14default_configENS1_38merge_sort_block_merge_config_selectorImNS0_10empty_typeEEEZZNS1_27merge_sort_block_merge_implIS3_N6thrust23THRUST_200600_302600_NS6detail15normal_iteratorINS9_10device_ptrImEEEEPS5_m14custom_greaterImEEE10hipError_tT0_T1_T2_jT3_P12ihipStream_tbPNSt15iterator_traitsISJ_E10value_typeEPNSP_ISK_E10value_typeEPSL_NS1_7vsmem_tEENKUlT_SJ_SK_SL_E_clISE_PmSF_SF_EESI_SY_SJ_SK_SL_EUlSY_E1_NS1_11comp_targetILNS1_3genE5ELNS1_11target_archE942ELNS1_3gpuE9ELNS1_3repE0EEENS1_36merge_oddeven_config_static_selectorELNS0_4arch9wavefront6targetE1EEEvSK_,"axG",@progbits,_ZN7rocprim17ROCPRIM_400000_NS6detail17trampoline_kernelINS0_14default_configENS1_38merge_sort_block_merge_config_selectorImNS0_10empty_typeEEEZZNS1_27merge_sort_block_merge_implIS3_N6thrust23THRUST_200600_302600_NS6detail15normal_iteratorINS9_10device_ptrImEEEEPS5_m14custom_greaterImEEE10hipError_tT0_T1_T2_jT3_P12ihipStream_tbPNSt15iterator_traitsISJ_E10value_typeEPNSP_ISK_E10value_typeEPSL_NS1_7vsmem_tEENKUlT_SJ_SK_SL_E_clISE_PmSF_SF_EESI_SY_SJ_SK_SL_EUlSY_E1_NS1_11comp_targetILNS1_3genE5ELNS1_11target_archE942ELNS1_3gpuE9ELNS1_3repE0EEENS1_36merge_oddeven_config_static_selectorELNS0_4arch9wavefront6targetE1EEEvSK_,comdat
	.protected	_ZN7rocprim17ROCPRIM_400000_NS6detail17trampoline_kernelINS0_14default_configENS1_38merge_sort_block_merge_config_selectorImNS0_10empty_typeEEEZZNS1_27merge_sort_block_merge_implIS3_N6thrust23THRUST_200600_302600_NS6detail15normal_iteratorINS9_10device_ptrImEEEEPS5_m14custom_greaterImEEE10hipError_tT0_T1_T2_jT3_P12ihipStream_tbPNSt15iterator_traitsISJ_E10value_typeEPNSP_ISK_E10value_typeEPSL_NS1_7vsmem_tEENKUlT_SJ_SK_SL_E_clISE_PmSF_SF_EESI_SY_SJ_SK_SL_EUlSY_E1_NS1_11comp_targetILNS1_3genE5ELNS1_11target_archE942ELNS1_3gpuE9ELNS1_3repE0EEENS1_36merge_oddeven_config_static_selectorELNS0_4arch9wavefront6targetE1EEEvSK_ ; -- Begin function _ZN7rocprim17ROCPRIM_400000_NS6detail17trampoline_kernelINS0_14default_configENS1_38merge_sort_block_merge_config_selectorImNS0_10empty_typeEEEZZNS1_27merge_sort_block_merge_implIS3_N6thrust23THRUST_200600_302600_NS6detail15normal_iteratorINS9_10device_ptrImEEEEPS5_m14custom_greaterImEEE10hipError_tT0_T1_T2_jT3_P12ihipStream_tbPNSt15iterator_traitsISJ_E10value_typeEPNSP_ISK_E10value_typeEPSL_NS1_7vsmem_tEENKUlT_SJ_SK_SL_E_clISE_PmSF_SF_EESI_SY_SJ_SK_SL_EUlSY_E1_NS1_11comp_targetILNS1_3genE5ELNS1_11target_archE942ELNS1_3gpuE9ELNS1_3repE0EEENS1_36merge_oddeven_config_static_selectorELNS0_4arch9wavefront6targetE1EEEvSK_
	.globl	_ZN7rocprim17ROCPRIM_400000_NS6detail17trampoline_kernelINS0_14default_configENS1_38merge_sort_block_merge_config_selectorImNS0_10empty_typeEEEZZNS1_27merge_sort_block_merge_implIS3_N6thrust23THRUST_200600_302600_NS6detail15normal_iteratorINS9_10device_ptrImEEEEPS5_m14custom_greaterImEEE10hipError_tT0_T1_T2_jT3_P12ihipStream_tbPNSt15iterator_traitsISJ_E10value_typeEPNSP_ISK_E10value_typeEPSL_NS1_7vsmem_tEENKUlT_SJ_SK_SL_E_clISE_PmSF_SF_EESI_SY_SJ_SK_SL_EUlSY_E1_NS1_11comp_targetILNS1_3genE5ELNS1_11target_archE942ELNS1_3gpuE9ELNS1_3repE0EEENS1_36merge_oddeven_config_static_selectorELNS0_4arch9wavefront6targetE1EEEvSK_
	.p2align	8
	.type	_ZN7rocprim17ROCPRIM_400000_NS6detail17trampoline_kernelINS0_14default_configENS1_38merge_sort_block_merge_config_selectorImNS0_10empty_typeEEEZZNS1_27merge_sort_block_merge_implIS3_N6thrust23THRUST_200600_302600_NS6detail15normal_iteratorINS9_10device_ptrImEEEEPS5_m14custom_greaterImEEE10hipError_tT0_T1_T2_jT3_P12ihipStream_tbPNSt15iterator_traitsISJ_E10value_typeEPNSP_ISK_E10value_typeEPSL_NS1_7vsmem_tEENKUlT_SJ_SK_SL_E_clISE_PmSF_SF_EESI_SY_SJ_SK_SL_EUlSY_E1_NS1_11comp_targetILNS1_3genE5ELNS1_11target_archE942ELNS1_3gpuE9ELNS1_3repE0EEENS1_36merge_oddeven_config_static_selectorELNS0_4arch9wavefront6targetE1EEEvSK_,@function
_ZN7rocprim17ROCPRIM_400000_NS6detail17trampoline_kernelINS0_14default_configENS1_38merge_sort_block_merge_config_selectorImNS0_10empty_typeEEEZZNS1_27merge_sort_block_merge_implIS3_N6thrust23THRUST_200600_302600_NS6detail15normal_iteratorINS9_10device_ptrImEEEEPS5_m14custom_greaterImEEE10hipError_tT0_T1_T2_jT3_P12ihipStream_tbPNSt15iterator_traitsISJ_E10value_typeEPNSP_ISK_E10value_typeEPSL_NS1_7vsmem_tEENKUlT_SJ_SK_SL_E_clISE_PmSF_SF_EESI_SY_SJ_SK_SL_EUlSY_E1_NS1_11comp_targetILNS1_3genE5ELNS1_11target_archE942ELNS1_3gpuE9ELNS1_3repE0EEENS1_36merge_oddeven_config_static_selectorELNS0_4arch9wavefront6targetE1EEEvSK_: ; @_ZN7rocprim17ROCPRIM_400000_NS6detail17trampoline_kernelINS0_14default_configENS1_38merge_sort_block_merge_config_selectorImNS0_10empty_typeEEEZZNS1_27merge_sort_block_merge_implIS3_N6thrust23THRUST_200600_302600_NS6detail15normal_iteratorINS9_10device_ptrImEEEEPS5_m14custom_greaterImEEE10hipError_tT0_T1_T2_jT3_P12ihipStream_tbPNSt15iterator_traitsISJ_E10value_typeEPNSP_ISK_E10value_typeEPSL_NS1_7vsmem_tEENKUlT_SJ_SK_SL_E_clISE_PmSF_SF_EESI_SY_SJ_SK_SL_EUlSY_E1_NS1_11comp_targetILNS1_3genE5ELNS1_11target_archE942ELNS1_3gpuE9ELNS1_3repE0EEENS1_36merge_oddeven_config_static_selectorELNS0_4arch9wavefront6targetE1EEEvSK_
; %bb.0:
	.section	.rodata,"a",@progbits
	.p2align	6, 0x0
	.amdhsa_kernel _ZN7rocprim17ROCPRIM_400000_NS6detail17trampoline_kernelINS0_14default_configENS1_38merge_sort_block_merge_config_selectorImNS0_10empty_typeEEEZZNS1_27merge_sort_block_merge_implIS3_N6thrust23THRUST_200600_302600_NS6detail15normal_iteratorINS9_10device_ptrImEEEEPS5_m14custom_greaterImEEE10hipError_tT0_T1_T2_jT3_P12ihipStream_tbPNSt15iterator_traitsISJ_E10value_typeEPNSP_ISK_E10value_typeEPSL_NS1_7vsmem_tEENKUlT_SJ_SK_SL_E_clISE_PmSF_SF_EESI_SY_SJ_SK_SL_EUlSY_E1_NS1_11comp_targetILNS1_3genE5ELNS1_11target_archE942ELNS1_3gpuE9ELNS1_3repE0EEENS1_36merge_oddeven_config_static_selectorELNS0_4arch9wavefront6targetE1EEEvSK_
		.amdhsa_group_segment_fixed_size 0
		.amdhsa_private_segment_fixed_size 0
		.amdhsa_kernarg_size 56
		.amdhsa_user_sgpr_count 6
		.amdhsa_user_sgpr_private_segment_buffer 1
		.amdhsa_user_sgpr_dispatch_ptr 0
		.amdhsa_user_sgpr_queue_ptr 0
		.amdhsa_user_sgpr_kernarg_segment_ptr 1
		.amdhsa_user_sgpr_dispatch_id 0
		.amdhsa_user_sgpr_flat_scratch_init 0
		.amdhsa_user_sgpr_kernarg_preload_length 0
		.amdhsa_user_sgpr_kernarg_preload_offset 0
		.amdhsa_user_sgpr_private_segment_size 0
		.amdhsa_uses_dynamic_stack 0
		.amdhsa_system_sgpr_private_segment_wavefront_offset 0
		.amdhsa_system_sgpr_workgroup_id_x 1
		.amdhsa_system_sgpr_workgroup_id_y 0
		.amdhsa_system_sgpr_workgroup_id_z 0
		.amdhsa_system_sgpr_workgroup_info 0
		.amdhsa_system_vgpr_workitem_id 0
		.amdhsa_next_free_vgpr 1
		.amdhsa_next_free_sgpr 0
		.amdhsa_accum_offset 4
		.amdhsa_reserve_vcc 0
		.amdhsa_reserve_flat_scratch 0
		.amdhsa_float_round_mode_32 0
		.amdhsa_float_round_mode_16_64 0
		.amdhsa_float_denorm_mode_32 3
		.amdhsa_float_denorm_mode_16_64 3
		.amdhsa_dx10_clamp 1
		.amdhsa_ieee_mode 1
		.amdhsa_fp16_overflow 0
		.amdhsa_tg_split 0
		.amdhsa_exception_fp_ieee_invalid_op 0
		.amdhsa_exception_fp_denorm_src 0
		.amdhsa_exception_fp_ieee_div_zero 0
		.amdhsa_exception_fp_ieee_overflow 0
		.amdhsa_exception_fp_ieee_underflow 0
		.amdhsa_exception_fp_ieee_inexact 0
		.amdhsa_exception_int_div_zero 0
	.end_amdhsa_kernel
	.section	.text._ZN7rocprim17ROCPRIM_400000_NS6detail17trampoline_kernelINS0_14default_configENS1_38merge_sort_block_merge_config_selectorImNS0_10empty_typeEEEZZNS1_27merge_sort_block_merge_implIS3_N6thrust23THRUST_200600_302600_NS6detail15normal_iteratorINS9_10device_ptrImEEEEPS5_m14custom_greaterImEEE10hipError_tT0_T1_T2_jT3_P12ihipStream_tbPNSt15iterator_traitsISJ_E10value_typeEPNSP_ISK_E10value_typeEPSL_NS1_7vsmem_tEENKUlT_SJ_SK_SL_E_clISE_PmSF_SF_EESI_SY_SJ_SK_SL_EUlSY_E1_NS1_11comp_targetILNS1_3genE5ELNS1_11target_archE942ELNS1_3gpuE9ELNS1_3repE0EEENS1_36merge_oddeven_config_static_selectorELNS0_4arch9wavefront6targetE1EEEvSK_,"axG",@progbits,_ZN7rocprim17ROCPRIM_400000_NS6detail17trampoline_kernelINS0_14default_configENS1_38merge_sort_block_merge_config_selectorImNS0_10empty_typeEEEZZNS1_27merge_sort_block_merge_implIS3_N6thrust23THRUST_200600_302600_NS6detail15normal_iteratorINS9_10device_ptrImEEEEPS5_m14custom_greaterImEEE10hipError_tT0_T1_T2_jT3_P12ihipStream_tbPNSt15iterator_traitsISJ_E10value_typeEPNSP_ISK_E10value_typeEPSL_NS1_7vsmem_tEENKUlT_SJ_SK_SL_E_clISE_PmSF_SF_EESI_SY_SJ_SK_SL_EUlSY_E1_NS1_11comp_targetILNS1_3genE5ELNS1_11target_archE942ELNS1_3gpuE9ELNS1_3repE0EEENS1_36merge_oddeven_config_static_selectorELNS0_4arch9wavefront6targetE1EEEvSK_,comdat
.Lfunc_end3355:
	.size	_ZN7rocprim17ROCPRIM_400000_NS6detail17trampoline_kernelINS0_14default_configENS1_38merge_sort_block_merge_config_selectorImNS0_10empty_typeEEEZZNS1_27merge_sort_block_merge_implIS3_N6thrust23THRUST_200600_302600_NS6detail15normal_iteratorINS9_10device_ptrImEEEEPS5_m14custom_greaterImEEE10hipError_tT0_T1_T2_jT3_P12ihipStream_tbPNSt15iterator_traitsISJ_E10value_typeEPNSP_ISK_E10value_typeEPSL_NS1_7vsmem_tEENKUlT_SJ_SK_SL_E_clISE_PmSF_SF_EESI_SY_SJ_SK_SL_EUlSY_E1_NS1_11comp_targetILNS1_3genE5ELNS1_11target_archE942ELNS1_3gpuE9ELNS1_3repE0EEENS1_36merge_oddeven_config_static_selectorELNS0_4arch9wavefront6targetE1EEEvSK_, .Lfunc_end3355-_ZN7rocprim17ROCPRIM_400000_NS6detail17trampoline_kernelINS0_14default_configENS1_38merge_sort_block_merge_config_selectorImNS0_10empty_typeEEEZZNS1_27merge_sort_block_merge_implIS3_N6thrust23THRUST_200600_302600_NS6detail15normal_iteratorINS9_10device_ptrImEEEEPS5_m14custom_greaterImEEE10hipError_tT0_T1_T2_jT3_P12ihipStream_tbPNSt15iterator_traitsISJ_E10value_typeEPNSP_ISK_E10value_typeEPSL_NS1_7vsmem_tEENKUlT_SJ_SK_SL_E_clISE_PmSF_SF_EESI_SY_SJ_SK_SL_EUlSY_E1_NS1_11comp_targetILNS1_3genE5ELNS1_11target_archE942ELNS1_3gpuE9ELNS1_3repE0EEENS1_36merge_oddeven_config_static_selectorELNS0_4arch9wavefront6targetE1EEEvSK_
                                        ; -- End function
	.section	.AMDGPU.csdata,"",@progbits
; Kernel info:
; codeLenInByte = 0
; NumSgprs: 4
; NumVgprs: 0
; NumAgprs: 0
; TotalNumVgprs: 0
; ScratchSize: 0
; MemoryBound: 0
; FloatMode: 240
; IeeeMode: 1
; LDSByteSize: 0 bytes/workgroup (compile time only)
; SGPRBlocks: 0
; VGPRBlocks: 0
; NumSGPRsForWavesPerEU: 4
; NumVGPRsForWavesPerEU: 1
; AccumOffset: 4
; Occupancy: 8
; WaveLimiterHint : 0
; COMPUTE_PGM_RSRC2:SCRATCH_EN: 0
; COMPUTE_PGM_RSRC2:USER_SGPR: 6
; COMPUTE_PGM_RSRC2:TRAP_HANDLER: 0
; COMPUTE_PGM_RSRC2:TGID_X_EN: 1
; COMPUTE_PGM_RSRC2:TGID_Y_EN: 0
; COMPUTE_PGM_RSRC2:TGID_Z_EN: 0
; COMPUTE_PGM_RSRC2:TIDIG_COMP_CNT: 0
; COMPUTE_PGM_RSRC3_GFX90A:ACCUM_OFFSET: 0
; COMPUTE_PGM_RSRC3_GFX90A:TG_SPLIT: 0
	.section	.text._ZN7rocprim17ROCPRIM_400000_NS6detail17trampoline_kernelINS0_14default_configENS1_38merge_sort_block_merge_config_selectorImNS0_10empty_typeEEEZZNS1_27merge_sort_block_merge_implIS3_N6thrust23THRUST_200600_302600_NS6detail15normal_iteratorINS9_10device_ptrImEEEEPS5_m14custom_greaterImEEE10hipError_tT0_T1_T2_jT3_P12ihipStream_tbPNSt15iterator_traitsISJ_E10value_typeEPNSP_ISK_E10value_typeEPSL_NS1_7vsmem_tEENKUlT_SJ_SK_SL_E_clISE_PmSF_SF_EESI_SY_SJ_SK_SL_EUlSY_E1_NS1_11comp_targetILNS1_3genE4ELNS1_11target_archE910ELNS1_3gpuE8ELNS1_3repE0EEENS1_36merge_oddeven_config_static_selectorELNS0_4arch9wavefront6targetE1EEEvSK_,"axG",@progbits,_ZN7rocprim17ROCPRIM_400000_NS6detail17trampoline_kernelINS0_14default_configENS1_38merge_sort_block_merge_config_selectorImNS0_10empty_typeEEEZZNS1_27merge_sort_block_merge_implIS3_N6thrust23THRUST_200600_302600_NS6detail15normal_iteratorINS9_10device_ptrImEEEEPS5_m14custom_greaterImEEE10hipError_tT0_T1_T2_jT3_P12ihipStream_tbPNSt15iterator_traitsISJ_E10value_typeEPNSP_ISK_E10value_typeEPSL_NS1_7vsmem_tEENKUlT_SJ_SK_SL_E_clISE_PmSF_SF_EESI_SY_SJ_SK_SL_EUlSY_E1_NS1_11comp_targetILNS1_3genE4ELNS1_11target_archE910ELNS1_3gpuE8ELNS1_3repE0EEENS1_36merge_oddeven_config_static_selectorELNS0_4arch9wavefront6targetE1EEEvSK_,comdat
	.protected	_ZN7rocprim17ROCPRIM_400000_NS6detail17trampoline_kernelINS0_14default_configENS1_38merge_sort_block_merge_config_selectorImNS0_10empty_typeEEEZZNS1_27merge_sort_block_merge_implIS3_N6thrust23THRUST_200600_302600_NS6detail15normal_iteratorINS9_10device_ptrImEEEEPS5_m14custom_greaterImEEE10hipError_tT0_T1_T2_jT3_P12ihipStream_tbPNSt15iterator_traitsISJ_E10value_typeEPNSP_ISK_E10value_typeEPSL_NS1_7vsmem_tEENKUlT_SJ_SK_SL_E_clISE_PmSF_SF_EESI_SY_SJ_SK_SL_EUlSY_E1_NS1_11comp_targetILNS1_3genE4ELNS1_11target_archE910ELNS1_3gpuE8ELNS1_3repE0EEENS1_36merge_oddeven_config_static_selectorELNS0_4arch9wavefront6targetE1EEEvSK_ ; -- Begin function _ZN7rocprim17ROCPRIM_400000_NS6detail17trampoline_kernelINS0_14default_configENS1_38merge_sort_block_merge_config_selectorImNS0_10empty_typeEEEZZNS1_27merge_sort_block_merge_implIS3_N6thrust23THRUST_200600_302600_NS6detail15normal_iteratorINS9_10device_ptrImEEEEPS5_m14custom_greaterImEEE10hipError_tT0_T1_T2_jT3_P12ihipStream_tbPNSt15iterator_traitsISJ_E10value_typeEPNSP_ISK_E10value_typeEPSL_NS1_7vsmem_tEENKUlT_SJ_SK_SL_E_clISE_PmSF_SF_EESI_SY_SJ_SK_SL_EUlSY_E1_NS1_11comp_targetILNS1_3genE4ELNS1_11target_archE910ELNS1_3gpuE8ELNS1_3repE0EEENS1_36merge_oddeven_config_static_selectorELNS0_4arch9wavefront6targetE1EEEvSK_
	.globl	_ZN7rocprim17ROCPRIM_400000_NS6detail17trampoline_kernelINS0_14default_configENS1_38merge_sort_block_merge_config_selectorImNS0_10empty_typeEEEZZNS1_27merge_sort_block_merge_implIS3_N6thrust23THRUST_200600_302600_NS6detail15normal_iteratorINS9_10device_ptrImEEEEPS5_m14custom_greaterImEEE10hipError_tT0_T1_T2_jT3_P12ihipStream_tbPNSt15iterator_traitsISJ_E10value_typeEPNSP_ISK_E10value_typeEPSL_NS1_7vsmem_tEENKUlT_SJ_SK_SL_E_clISE_PmSF_SF_EESI_SY_SJ_SK_SL_EUlSY_E1_NS1_11comp_targetILNS1_3genE4ELNS1_11target_archE910ELNS1_3gpuE8ELNS1_3repE0EEENS1_36merge_oddeven_config_static_selectorELNS0_4arch9wavefront6targetE1EEEvSK_
	.p2align	8
	.type	_ZN7rocprim17ROCPRIM_400000_NS6detail17trampoline_kernelINS0_14default_configENS1_38merge_sort_block_merge_config_selectorImNS0_10empty_typeEEEZZNS1_27merge_sort_block_merge_implIS3_N6thrust23THRUST_200600_302600_NS6detail15normal_iteratorINS9_10device_ptrImEEEEPS5_m14custom_greaterImEEE10hipError_tT0_T1_T2_jT3_P12ihipStream_tbPNSt15iterator_traitsISJ_E10value_typeEPNSP_ISK_E10value_typeEPSL_NS1_7vsmem_tEENKUlT_SJ_SK_SL_E_clISE_PmSF_SF_EESI_SY_SJ_SK_SL_EUlSY_E1_NS1_11comp_targetILNS1_3genE4ELNS1_11target_archE910ELNS1_3gpuE8ELNS1_3repE0EEENS1_36merge_oddeven_config_static_selectorELNS0_4arch9wavefront6targetE1EEEvSK_,@function
_ZN7rocprim17ROCPRIM_400000_NS6detail17trampoline_kernelINS0_14default_configENS1_38merge_sort_block_merge_config_selectorImNS0_10empty_typeEEEZZNS1_27merge_sort_block_merge_implIS3_N6thrust23THRUST_200600_302600_NS6detail15normal_iteratorINS9_10device_ptrImEEEEPS5_m14custom_greaterImEEE10hipError_tT0_T1_T2_jT3_P12ihipStream_tbPNSt15iterator_traitsISJ_E10value_typeEPNSP_ISK_E10value_typeEPSL_NS1_7vsmem_tEENKUlT_SJ_SK_SL_E_clISE_PmSF_SF_EESI_SY_SJ_SK_SL_EUlSY_E1_NS1_11comp_targetILNS1_3genE4ELNS1_11target_archE910ELNS1_3gpuE8ELNS1_3repE0EEENS1_36merge_oddeven_config_static_selectorELNS0_4arch9wavefront6targetE1EEEvSK_: ; @_ZN7rocprim17ROCPRIM_400000_NS6detail17trampoline_kernelINS0_14default_configENS1_38merge_sort_block_merge_config_selectorImNS0_10empty_typeEEEZZNS1_27merge_sort_block_merge_implIS3_N6thrust23THRUST_200600_302600_NS6detail15normal_iteratorINS9_10device_ptrImEEEEPS5_m14custom_greaterImEEE10hipError_tT0_T1_T2_jT3_P12ihipStream_tbPNSt15iterator_traitsISJ_E10value_typeEPNSP_ISK_E10value_typeEPSL_NS1_7vsmem_tEENKUlT_SJ_SK_SL_E_clISE_PmSF_SF_EESI_SY_SJ_SK_SL_EUlSY_E1_NS1_11comp_targetILNS1_3genE4ELNS1_11target_archE910ELNS1_3gpuE8ELNS1_3repE0EEENS1_36merge_oddeven_config_static_selectorELNS0_4arch9wavefront6targetE1EEEvSK_
; %bb.0:
	s_load_dword s18, s[4:5], 0x20
	s_waitcnt lgkmcnt(0)
	s_lshr_b32 s0, s18, 8
	s_cmp_lg_u32 s6, s0
	s_cselect_b64 s[14:15], -1, 0
	s_cmp_eq_u32 s6, s0
	s_cselect_b64 s[12:13], -1, 0
	s_lshl_b32 s16, s6, 8
	s_sub_i32 s0, s18, s16
	v_cmp_gt_u32_e64 s[2:3], s0, v0
	s_or_b64 s[0:1], s[14:15], s[2:3]
	s_and_saveexec_b64 s[8:9], s[0:1]
	s_cbranch_execz .LBB3356_20
; %bb.1:
	s_load_dwordx4 s[8:11], s[4:5], 0x0
	s_load_dword s19, s[4:5], 0x28
	s_mov_b32 s17, 0
	s_lshl_b64 s[0:1], s[16:17], 3
	v_lshlrev_b32_e32 v1, 3, v0
	s_waitcnt lgkmcnt(0)
	s_add_u32 s0, s8, s0
	s_addc_u32 s1, s9, s1
	global_load_dwordx2 v[2:3], v1, s[0:1]
	s_lshr_b32 s0, s19, 8
	s_sub_i32 s1, 0, s0
	s_and_b32 s1, s6, s1
	s_and_b32 s0, s1, s0
	s_lshl_b32 s20, s1, 8
	s_sub_i32 s6, 0, s19
	s_cmp_eq_u32 s0, 0
	s_cselect_b64 s[0:1], -1, 0
	s_and_b64 s[4:5], s[0:1], exec
	s_cselect_b32 s17, s19, s6
	s_add_i32 s17, s17, s20
	s_cmp_lt_u32 s17, s18
	v_add_u32_e32 v0, s16, v0
	s_cbranch_scc1 .LBB3356_3
; %bb.2:
	v_cmp_gt_u32_e32 vcc, s18, v0
	s_or_b64 s[4:5], vcc, s[14:15]
	s_and_b64 s[4:5], s[4:5], exec
	s_cbranch_execz .LBB3356_4
	s_branch .LBB3356_18
.LBB3356_3:
	s_mov_b64 s[4:5], 0
.LBB3356_4:
	s_min_u32 s14, s17, s18
	s_add_i32 s6, s14, s19
	s_min_u32 s15, s6, s18
	s_min_u32 s6, s20, s14
	s_add_i32 s20, s20, s14
	v_subrev_u32_e32 v0, s20, v0
	v_add_u32_e32 v4, s6, v0
	s_and_b64 vcc, exec, s[12:13]
	s_cbranch_vccz .LBB3356_12
; %bb.5:
                                        ; implicit-def: $vgpr0
	s_and_saveexec_b64 s[6:7], s[2:3]
	s_cbranch_execz .LBB3356_11
; %bb.6:
	s_cmp_ge_u32 s17, s15
	v_mov_b32_e32 v5, s14
	s_cbranch_scc1 .LBB3356_10
; %bb.7:
	s_mov_b64 s[2:3], 0
	v_mov_b32_e32 v6, s15
	v_mov_b32_e32 v5, s14
	;; [unrolled: 1-line block ×4, first 2 shown]
.LBB3356_8:                             ; =>This Inner Loop Header: Depth=1
	v_add_u32_e32 v0, v5, v6
	v_lshrrev_b32_e32 v0, 1, v0
	v_lshlrev_b64 v[8:9], 3, v[0:1]
	v_add_co_u32_e32 v8, vcc, s8, v8
	v_addc_co_u32_e32 v9, vcc, v7, v9, vcc
	global_load_dwordx2 v[8:9], v[8:9], off
	v_add_u32_e32 v10, 1, v0
	s_waitcnt vmcnt(0)
	v_cmp_gt_u64_e32 vcc, v[2:3], v[8:9]
	v_cndmask_b32_e64 v11, 0, 1, vcc
	v_cmp_le_u64_e32 vcc, v[8:9], v[2:3]
	v_cndmask_b32_e64 v8, 0, 1, vcc
	v_cndmask_b32_e64 v8, v8, v11, s[0:1]
	v_and_b32_e32 v8, 1, v8
	v_cmp_eq_u32_e32 vcc, 1, v8
	v_cndmask_b32_e32 v6, v0, v6, vcc
	v_cndmask_b32_e32 v5, v5, v10, vcc
	v_cmp_ge_u32_e32 vcc, v5, v6
	s_or_b64 s[2:3], vcc, s[2:3]
	s_andn2_b64 exec, exec, s[2:3]
	s_cbranch_execnz .LBB3356_8
; %bb.9:
	s_or_b64 exec, exec, s[2:3]
.LBB3356_10:
	v_add_u32_e32 v0, v5, v4
	s_or_b64 s[4:5], s[4:5], exec
.LBB3356_11:
	s_or_b64 exec, exec, s[6:7]
	s_branch .LBB3356_18
.LBB3356_12:
                                        ; implicit-def: $vgpr0
	s_cbranch_execz .LBB3356_18
; %bb.13:
	s_cmp_ge_u32 s17, s15
	v_mov_b32_e32 v5, s14
	s_cbranch_scc1 .LBB3356_17
; %bb.14:
	s_mov_b64 s[2:3], 0
	v_mov_b32_e32 v6, s15
	v_mov_b32_e32 v5, s14
	;; [unrolled: 1-line block ×4, first 2 shown]
.LBB3356_15:                            ; =>This Inner Loop Header: Depth=1
	v_add_u32_e32 v0, v5, v6
	v_lshrrev_b32_e32 v0, 1, v0
	v_lshlrev_b64 v[8:9], 3, v[0:1]
	v_add_co_u32_e32 v8, vcc, s8, v8
	v_addc_co_u32_e32 v9, vcc, v7, v9, vcc
	global_load_dwordx2 v[8:9], v[8:9], off
	v_add_u32_e32 v10, 1, v0
	s_waitcnt vmcnt(0)
	v_cmp_gt_u64_e32 vcc, v[2:3], v[8:9]
	v_cndmask_b32_e64 v11, 0, 1, vcc
	v_cmp_le_u64_e32 vcc, v[8:9], v[2:3]
	v_cndmask_b32_e64 v8, 0, 1, vcc
	v_cndmask_b32_e64 v8, v8, v11, s[0:1]
	v_and_b32_e32 v8, 1, v8
	v_cmp_eq_u32_e32 vcc, 1, v8
	v_cndmask_b32_e32 v6, v0, v6, vcc
	v_cndmask_b32_e32 v5, v5, v10, vcc
	v_cmp_ge_u32_e32 vcc, v5, v6
	s_or_b64 s[2:3], vcc, s[2:3]
	s_andn2_b64 exec, exec, s[2:3]
	s_cbranch_execnz .LBB3356_15
; %bb.16:
	s_or_b64 exec, exec, s[2:3]
.LBB3356_17:
	v_add_u32_e32 v0, v5, v4
	s_mov_b64 s[4:5], -1
.LBB3356_18:
	s_and_b64 exec, exec, s[4:5]
	s_cbranch_execz .LBB3356_20
; %bb.19:
	v_mov_b32_e32 v1, 0
	v_lshlrev_b64 v[0:1], 3, v[0:1]
	v_mov_b32_e32 v4, s11
	v_add_co_u32_e32 v0, vcc, s10, v0
	v_addc_co_u32_e32 v1, vcc, v4, v1, vcc
	s_waitcnt vmcnt(0)
	global_store_dwordx2 v[0:1], v[2:3], off
.LBB3356_20:
	s_endpgm
	.section	.rodata,"a",@progbits
	.p2align	6, 0x0
	.amdhsa_kernel _ZN7rocprim17ROCPRIM_400000_NS6detail17trampoline_kernelINS0_14default_configENS1_38merge_sort_block_merge_config_selectorImNS0_10empty_typeEEEZZNS1_27merge_sort_block_merge_implIS3_N6thrust23THRUST_200600_302600_NS6detail15normal_iteratorINS9_10device_ptrImEEEEPS5_m14custom_greaterImEEE10hipError_tT0_T1_T2_jT3_P12ihipStream_tbPNSt15iterator_traitsISJ_E10value_typeEPNSP_ISK_E10value_typeEPSL_NS1_7vsmem_tEENKUlT_SJ_SK_SL_E_clISE_PmSF_SF_EESI_SY_SJ_SK_SL_EUlSY_E1_NS1_11comp_targetILNS1_3genE4ELNS1_11target_archE910ELNS1_3gpuE8ELNS1_3repE0EEENS1_36merge_oddeven_config_static_selectorELNS0_4arch9wavefront6targetE1EEEvSK_
		.amdhsa_group_segment_fixed_size 0
		.amdhsa_private_segment_fixed_size 0
		.amdhsa_kernarg_size 56
		.amdhsa_user_sgpr_count 6
		.amdhsa_user_sgpr_private_segment_buffer 1
		.amdhsa_user_sgpr_dispatch_ptr 0
		.amdhsa_user_sgpr_queue_ptr 0
		.amdhsa_user_sgpr_kernarg_segment_ptr 1
		.amdhsa_user_sgpr_dispatch_id 0
		.amdhsa_user_sgpr_flat_scratch_init 0
		.amdhsa_user_sgpr_kernarg_preload_length 0
		.amdhsa_user_sgpr_kernarg_preload_offset 0
		.amdhsa_user_sgpr_private_segment_size 0
		.amdhsa_uses_dynamic_stack 0
		.amdhsa_system_sgpr_private_segment_wavefront_offset 0
		.amdhsa_system_sgpr_workgroup_id_x 1
		.amdhsa_system_sgpr_workgroup_id_y 0
		.amdhsa_system_sgpr_workgroup_id_z 0
		.amdhsa_system_sgpr_workgroup_info 0
		.amdhsa_system_vgpr_workitem_id 0
		.amdhsa_next_free_vgpr 12
		.amdhsa_next_free_sgpr 21
		.amdhsa_accum_offset 12
		.amdhsa_reserve_vcc 1
		.amdhsa_reserve_flat_scratch 0
		.amdhsa_float_round_mode_32 0
		.amdhsa_float_round_mode_16_64 0
		.amdhsa_float_denorm_mode_32 3
		.amdhsa_float_denorm_mode_16_64 3
		.amdhsa_dx10_clamp 1
		.amdhsa_ieee_mode 1
		.amdhsa_fp16_overflow 0
		.amdhsa_tg_split 0
		.amdhsa_exception_fp_ieee_invalid_op 0
		.amdhsa_exception_fp_denorm_src 0
		.amdhsa_exception_fp_ieee_div_zero 0
		.amdhsa_exception_fp_ieee_overflow 0
		.amdhsa_exception_fp_ieee_underflow 0
		.amdhsa_exception_fp_ieee_inexact 0
		.amdhsa_exception_int_div_zero 0
	.end_amdhsa_kernel
	.section	.text._ZN7rocprim17ROCPRIM_400000_NS6detail17trampoline_kernelINS0_14default_configENS1_38merge_sort_block_merge_config_selectorImNS0_10empty_typeEEEZZNS1_27merge_sort_block_merge_implIS3_N6thrust23THRUST_200600_302600_NS6detail15normal_iteratorINS9_10device_ptrImEEEEPS5_m14custom_greaterImEEE10hipError_tT0_T1_T2_jT3_P12ihipStream_tbPNSt15iterator_traitsISJ_E10value_typeEPNSP_ISK_E10value_typeEPSL_NS1_7vsmem_tEENKUlT_SJ_SK_SL_E_clISE_PmSF_SF_EESI_SY_SJ_SK_SL_EUlSY_E1_NS1_11comp_targetILNS1_3genE4ELNS1_11target_archE910ELNS1_3gpuE8ELNS1_3repE0EEENS1_36merge_oddeven_config_static_selectorELNS0_4arch9wavefront6targetE1EEEvSK_,"axG",@progbits,_ZN7rocprim17ROCPRIM_400000_NS6detail17trampoline_kernelINS0_14default_configENS1_38merge_sort_block_merge_config_selectorImNS0_10empty_typeEEEZZNS1_27merge_sort_block_merge_implIS3_N6thrust23THRUST_200600_302600_NS6detail15normal_iteratorINS9_10device_ptrImEEEEPS5_m14custom_greaterImEEE10hipError_tT0_T1_T2_jT3_P12ihipStream_tbPNSt15iterator_traitsISJ_E10value_typeEPNSP_ISK_E10value_typeEPSL_NS1_7vsmem_tEENKUlT_SJ_SK_SL_E_clISE_PmSF_SF_EESI_SY_SJ_SK_SL_EUlSY_E1_NS1_11comp_targetILNS1_3genE4ELNS1_11target_archE910ELNS1_3gpuE8ELNS1_3repE0EEENS1_36merge_oddeven_config_static_selectorELNS0_4arch9wavefront6targetE1EEEvSK_,comdat
.Lfunc_end3356:
	.size	_ZN7rocprim17ROCPRIM_400000_NS6detail17trampoline_kernelINS0_14default_configENS1_38merge_sort_block_merge_config_selectorImNS0_10empty_typeEEEZZNS1_27merge_sort_block_merge_implIS3_N6thrust23THRUST_200600_302600_NS6detail15normal_iteratorINS9_10device_ptrImEEEEPS5_m14custom_greaterImEEE10hipError_tT0_T1_T2_jT3_P12ihipStream_tbPNSt15iterator_traitsISJ_E10value_typeEPNSP_ISK_E10value_typeEPSL_NS1_7vsmem_tEENKUlT_SJ_SK_SL_E_clISE_PmSF_SF_EESI_SY_SJ_SK_SL_EUlSY_E1_NS1_11comp_targetILNS1_3genE4ELNS1_11target_archE910ELNS1_3gpuE8ELNS1_3repE0EEENS1_36merge_oddeven_config_static_selectorELNS0_4arch9wavefront6targetE1EEEvSK_, .Lfunc_end3356-_ZN7rocprim17ROCPRIM_400000_NS6detail17trampoline_kernelINS0_14default_configENS1_38merge_sort_block_merge_config_selectorImNS0_10empty_typeEEEZZNS1_27merge_sort_block_merge_implIS3_N6thrust23THRUST_200600_302600_NS6detail15normal_iteratorINS9_10device_ptrImEEEEPS5_m14custom_greaterImEEE10hipError_tT0_T1_T2_jT3_P12ihipStream_tbPNSt15iterator_traitsISJ_E10value_typeEPNSP_ISK_E10value_typeEPSL_NS1_7vsmem_tEENKUlT_SJ_SK_SL_E_clISE_PmSF_SF_EESI_SY_SJ_SK_SL_EUlSY_E1_NS1_11comp_targetILNS1_3genE4ELNS1_11target_archE910ELNS1_3gpuE8ELNS1_3repE0EEENS1_36merge_oddeven_config_static_selectorELNS0_4arch9wavefront6targetE1EEEvSK_
                                        ; -- End function
	.section	.AMDGPU.csdata,"",@progbits
; Kernel info:
; codeLenInByte = 588
; NumSgprs: 25
; NumVgprs: 12
; NumAgprs: 0
; TotalNumVgprs: 12
; ScratchSize: 0
; MemoryBound: 0
; FloatMode: 240
; IeeeMode: 1
; LDSByteSize: 0 bytes/workgroup (compile time only)
; SGPRBlocks: 3
; VGPRBlocks: 1
; NumSGPRsForWavesPerEU: 25
; NumVGPRsForWavesPerEU: 12
; AccumOffset: 12
; Occupancy: 8
; WaveLimiterHint : 0
; COMPUTE_PGM_RSRC2:SCRATCH_EN: 0
; COMPUTE_PGM_RSRC2:USER_SGPR: 6
; COMPUTE_PGM_RSRC2:TRAP_HANDLER: 0
; COMPUTE_PGM_RSRC2:TGID_X_EN: 1
; COMPUTE_PGM_RSRC2:TGID_Y_EN: 0
; COMPUTE_PGM_RSRC2:TGID_Z_EN: 0
; COMPUTE_PGM_RSRC2:TIDIG_COMP_CNT: 0
; COMPUTE_PGM_RSRC3_GFX90A:ACCUM_OFFSET: 2
; COMPUTE_PGM_RSRC3_GFX90A:TG_SPLIT: 0
	.section	.text._ZN7rocprim17ROCPRIM_400000_NS6detail17trampoline_kernelINS0_14default_configENS1_38merge_sort_block_merge_config_selectorImNS0_10empty_typeEEEZZNS1_27merge_sort_block_merge_implIS3_N6thrust23THRUST_200600_302600_NS6detail15normal_iteratorINS9_10device_ptrImEEEEPS5_m14custom_greaterImEEE10hipError_tT0_T1_T2_jT3_P12ihipStream_tbPNSt15iterator_traitsISJ_E10value_typeEPNSP_ISK_E10value_typeEPSL_NS1_7vsmem_tEENKUlT_SJ_SK_SL_E_clISE_PmSF_SF_EESI_SY_SJ_SK_SL_EUlSY_E1_NS1_11comp_targetILNS1_3genE3ELNS1_11target_archE908ELNS1_3gpuE7ELNS1_3repE0EEENS1_36merge_oddeven_config_static_selectorELNS0_4arch9wavefront6targetE1EEEvSK_,"axG",@progbits,_ZN7rocprim17ROCPRIM_400000_NS6detail17trampoline_kernelINS0_14default_configENS1_38merge_sort_block_merge_config_selectorImNS0_10empty_typeEEEZZNS1_27merge_sort_block_merge_implIS3_N6thrust23THRUST_200600_302600_NS6detail15normal_iteratorINS9_10device_ptrImEEEEPS5_m14custom_greaterImEEE10hipError_tT0_T1_T2_jT3_P12ihipStream_tbPNSt15iterator_traitsISJ_E10value_typeEPNSP_ISK_E10value_typeEPSL_NS1_7vsmem_tEENKUlT_SJ_SK_SL_E_clISE_PmSF_SF_EESI_SY_SJ_SK_SL_EUlSY_E1_NS1_11comp_targetILNS1_3genE3ELNS1_11target_archE908ELNS1_3gpuE7ELNS1_3repE0EEENS1_36merge_oddeven_config_static_selectorELNS0_4arch9wavefront6targetE1EEEvSK_,comdat
	.protected	_ZN7rocprim17ROCPRIM_400000_NS6detail17trampoline_kernelINS0_14default_configENS1_38merge_sort_block_merge_config_selectorImNS0_10empty_typeEEEZZNS1_27merge_sort_block_merge_implIS3_N6thrust23THRUST_200600_302600_NS6detail15normal_iteratorINS9_10device_ptrImEEEEPS5_m14custom_greaterImEEE10hipError_tT0_T1_T2_jT3_P12ihipStream_tbPNSt15iterator_traitsISJ_E10value_typeEPNSP_ISK_E10value_typeEPSL_NS1_7vsmem_tEENKUlT_SJ_SK_SL_E_clISE_PmSF_SF_EESI_SY_SJ_SK_SL_EUlSY_E1_NS1_11comp_targetILNS1_3genE3ELNS1_11target_archE908ELNS1_3gpuE7ELNS1_3repE0EEENS1_36merge_oddeven_config_static_selectorELNS0_4arch9wavefront6targetE1EEEvSK_ ; -- Begin function _ZN7rocprim17ROCPRIM_400000_NS6detail17trampoline_kernelINS0_14default_configENS1_38merge_sort_block_merge_config_selectorImNS0_10empty_typeEEEZZNS1_27merge_sort_block_merge_implIS3_N6thrust23THRUST_200600_302600_NS6detail15normal_iteratorINS9_10device_ptrImEEEEPS5_m14custom_greaterImEEE10hipError_tT0_T1_T2_jT3_P12ihipStream_tbPNSt15iterator_traitsISJ_E10value_typeEPNSP_ISK_E10value_typeEPSL_NS1_7vsmem_tEENKUlT_SJ_SK_SL_E_clISE_PmSF_SF_EESI_SY_SJ_SK_SL_EUlSY_E1_NS1_11comp_targetILNS1_3genE3ELNS1_11target_archE908ELNS1_3gpuE7ELNS1_3repE0EEENS1_36merge_oddeven_config_static_selectorELNS0_4arch9wavefront6targetE1EEEvSK_
	.globl	_ZN7rocprim17ROCPRIM_400000_NS6detail17trampoline_kernelINS0_14default_configENS1_38merge_sort_block_merge_config_selectorImNS0_10empty_typeEEEZZNS1_27merge_sort_block_merge_implIS3_N6thrust23THRUST_200600_302600_NS6detail15normal_iteratorINS9_10device_ptrImEEEEPS5_m14custom_greaterImEEE10hipError_tT0_T1_T2_jT3_P12ihipStream_tbPNSt15iterator_traitsISJ_E10value_typeEPNSP_ISK_E10value_typeEPSL_NS1_7vsmem_tEENKUlT_SJ_SK_SL_E_clISE_PmSF_SF_EESI_SY_SJ_SK_SL_EUlSY_E1_NS1_11comp_targetILNS1_3genE3ELNS1_11target_archE908ELNS1_3gpuE7ELNS1_3repE0EEENS1_36merge_oddeven_config_static_selectorELNS0_4arch9wavefront6targetE1EEEvSK_
	.p2align	8
	.type	_ZN7rocprim17ROCPRIM_400000_NS6detail17trampoline_kernelINS0_14default_configENS1_38merge_sort_block_merge_config_selectorImNS0_10empty_typeEEEZZNS1_27merge_sort_block_merge_implIS3_N6thrust23THRUST_200600_302600_NS6detail15normal_iteratorINS9_10device_ptrImEEEEPS5_m14custom_greaterImEEE10hipError_tT0_T1_T2_jT3_P12ihipStream_tbPNSt15iterator_traitsISJ_E10value_typeEPNSP_ISK_E10value_typeEPSL_NS1_7vsmem_tEENKUlT_SJ_SK_SL_E_clISE_PmSF_SF_EESI_SY_SJ_SK_SL_EUlSY_E1_NS1_11comp_targetILNS1_3genE3ELNS1_11target_archE908ELNS1_3gpuE7ELNS1_3repE0EEENS1_36merge_oddeven_config_static_selectorELNS0_4arch9wavefront6targetE1EEEvSK_,@function
_ZN7rocprim17ROCPRIM_400000_NS6detail17trampoline_kernelINS0_14default_configENS1_38merge_sort_block_merge_config_selectorImNS0_10empty_typeEEEZZNS1_27merge_sort_block_merge_implIS3_N6thrust23THRUST_200600_302600_NS6detail15normal_iteratorINS9_10device_ptrImEEEEPS5_m14custom_greaterImEEE10hipError_tT0_T1_T2_jT3_P12ihipStream_tbPNSt15iterator_traitsISJ_E10value_typeEPNSP_ISK_E10value_typeEPSL_NS1_7vsmem_tEENKUlT_SJ_SK_SL_E_clISE_PmSF_SF_EESI_SY_SJ_SK_SL_EUlSY_E1_NS1_11comp_targetILNS1_3genE3ELNS1_11target_archE908ELNS1_3gpuE7ELNS1_3repE0EEENS1_36merge_oddeven_config_static_selectorELNS0_4arch9wavefront6targetE1EEEvSK_: ; @_ZN7rocprim17ROCPRIM_400000_NS6detail17trampoline_kernelINS0_14default_configENS1_38merge_sort_block_merge_config_selectorImNS0_10empty_typeEEEZZNS1_27merge_sort_block_merge_implIS3_N6thrust23THRUST_200600_302600_NS6detail15normal_iteratorINS9_10device_ptrImEEEEPS5_m14custom_greaterImEEE10hipError_tT0_T1_T2_jT3_P12ihipStream_tbPNSt15iterator_traitsISJ_E10value_typeEPNSP_ISK_E10value_typeEPSL_NS1_7vsmem_tEENKUlT_SJ_SK_SL_E_clISE_PmSF_SF_EESI_SY_SJ_SK_SL_EUlSY_E1_NS1_11comp_targetILNS1_3genE3ELNS1_11target_archE908ELNS1_3gpuE7ELNS1_3repE0EEENS1_36merge_oddeven_config_static_selectorELNS0_4arch9wavefront6targetE1EEEvSK_
; %bb.0:
	.section	.rodata,"a",@progbits
	.p2align	6, 0x0
	.amdhsa_kernel _ZN7rocprim17ROCPRIM_400000_NS6detail17trampoline_kernelINS0_14default_configENS1_38merge_sort_block_merge_config_selectorImNS0_10empty_typeEEEZZNS1_27merge_sort_block_merge_implIS3_N6thrust23THRUST_200600_302600_NS6detail15normal_iteratorINS9_10device_ptrImEEEEPS5_m14custom_greaterImEEE10hipError_tT0_T1_T2_jT3_P12ihipStream_tbPNSt15iterator_traitsISJ_E10value_typeEPNSP_ISK_E10value_typeEPSL_NS1_7vsmem_tEENKUlT_SJ_SK_SL_E_clISE_PmSF_SF_EESI_SY_SJ_SK_SL_EUlSY_E1_NS1_11comp_targetILNS1_3genE3ELNS1_11target_archE908ELNS1_3gpuE7ELNS1_3repE0EEENS1_36merge_oddeven_config_static_selectorELNS0_4arch9wavefront6targetE1EEEvSK_
		.amdhsa_group_segment_fixed_size 0
		.amdhsa_private_segment_fixed_size 0
		.amdhsa_kernarg_size 56
		.amdhsa_user_sgpr_count 6
		.amdhsa_user_sgpr_private_segment_buffer 1
		.amdhsa_user_sgpr_dispatch_ptr 0
		.amdhsa_user_sgpr_queue_ptr 0
		.amdhsa_user_sgpr_kernarg_segment_ptr 1
		.amdhsa_user_sgpr_dispatch_id 0
		.amdhsa_user_sgpr_flat_scratch_init 0
		.amdhsa_user_sgpr_kernarg_preload_length 0
		.amdhsa_user_sgpr_kernarg_preload_offset 0
		.amdhsa_user_sgpr_private_segment_size 0
		.amdhsa_uses_dynamic_stack 0
		.amdhsa_system_sgpr_private_segment_wavefront_offset 0
		.amdhsa_system_sgpr_workgroup_id_x 1
		.amdhsa_system_sgpr_workgroup_id_y 0
		.amdhsa_system_sgpr_workgroup_id_z 0
		.amdhsa_system_sgpr_workgroup_info 0
		.amdhsa_system_vgpr_workitem_id 0
		.amdhsa_next_free_vgpr 1
		.amdhsa_next_free_sgpr 0
		.amdhsa_accum_offset 4
		.amdhsa_reserve_vcc 0
		.amdhsa_reserve_flat_scratch 0
		.amdhsa_float_round_mode_32 0
		.amdhsa_float_round_mode_16_64 0
		.amdhsa_float_denorm_mode_32 3
		.amdhsa_float_denorm_mode_16_64 3
		.amdhsa_dx10_clamp 1
		.amdhsa_ieee_mode 1
		.amdhsa_fp16_overflow 0
		.amdhsa_tg_split 0
		.amdhsa_exception_fp_ieee_invalid_op 0
		.amdhsa_exception_fp_denorm_src 0
		.amdhsa_exception_fp_ieee_div_zero 0
		.amdhsa_exception_fp_ieee_overflow 0
		.amdhsa_exception_fp_ieee_underflow 0
		.amdhsa_exception_fp_ieee_inexact 0
		.amdhsa_exception_int_div_zero 0
	.end_amdhsa_kernel
	.section	.text._ZN7rocprim17ROCPRIM_400000_NS6detail17trampoline_kernelINS0_14default_configENS1_38merge_sort_block_merge_config_selectorImNS0_10empty_typeEEEZZNS1_27merge_sort_block_merge_implIS3_N6thrust23THRUST_200600_302600_NS6detail15normal_iteratorINS9_10device_ptrImEEEEPS5_m14custom_greaterImEEE10hipError_tT0_T1_T2_jT3_P12ihipStream_tbPNSt15iterator_traitsISJ_E10value_typeEPNSP_ISK_E10value_typeEPSL_NS1_7vsmem_tEENKUlT_SJ_SK_SL_E_clISE_PmSF_SF_EESI_SY_SJ_SK_SL_EUlSY_E1_NS1_11comp_targetILNS1_3genE3ELNS1_11target_archE908ELNS1_3gpuE7ELNS1_3repE0EEENS1_36merge_oddeven_config_static_selectorELNS0_4arch9wavefront6targetE1EEEvSK_,"axG",@progbits,_ZN7rocprim17ROCPRIM_400000_NS6detail17trampoline_kernelINS0_14default_configENS1_38merge_sort_block_merge_config_selectorImNS0_10empty_typeEEEZZNS1_27merge_sort_block_merge_implIS3_N6thrust23THRUST_200600_302600_NS6detail15normal_iteratorINS9_10device_ptrImEEEEPS5_m14custom_greaterImEEE10hipError_tT0_T1_T2_jT3_P12ihipStream_tbPNSt15iterator_traitsISJ_E10value_typeEPNSP_ISK_E10value_typeEPSL_NS1_7vsmem_tEENKUlT_SJ_SK_SL_E_clISE_PmSF_SF_EESI_SY_SJ_SK_SL_EUlSY_E1_NS1_11comp_targetILNS1_3genE3ELNS1_11target_archE908ELNS1_3gpuE7ELNS1_3repE0EEENS1_36merge_oddeven_config_static_selectorELNS0_4arch9wavefront6targetE1EEEvSK_,comdat
.Lfunc_end3357:
	.size	_ZN7rocprim17ROCPRIM_400000_NS6detail17trampoline_kernelINS0_14default_configENS1_38merge_sort_block_merge_config_selectorImNS0_10empty_typeEEEZZNS1_27merge_sort_block_merge_implIS3_N6thrust23THRUST_200600_302600_NS6detail15normal_iteratorINS9_10device_ptrImEEEEPS5_m14custom_greaterImEEE10hipError_tT0_T1_T2_jT3_P12ihipStream_tbPNSt15iterator_traitsISJ_E10value_typeEPNSP_ISK_E10value_typeEPSL_NS1_7vsmem_tEENKUlT_SJ_SK_SL_E_clISE_PmSF_SF_EESI_SY_SJ_SK_SL_EUlSY_E1_NS1_11comp_targetILNS1_3genE3ELNS1_11target_archE908ELNS1_3gpuE7ELNS1_3repE0EEENS1_36merge_oddeven_config_static_selectorELNS0_4arch9wavefront6targetE1EEEvSK_, .Lfunc_end3357-_ZN7rocprim17ROCPRIM_400000_NS6detail17trampoline_kernelINS0_14default_configENS1_38merge_sort_block_merge_config_selectorImNS0_10empty_typeEEEZZNS1_27merge_sort_block_merge_implIS3_N6thrust23THRUST_200600_302600_NS6detail15normal_iteratorINS9_10device_ptrImEEEEPS5_m14custom_greaterImEEE10hipError_tT0_T1_T2_jT3_P12ihipStream_tbPNSt15iterator_traitsISJ_E10value_typeEPNSP_ISK_E10value_typeEPSL_NS1_7vsmem_tEENKUlT_SJ_SK_SL_E_clISE_PmSF_SF_EESI_SY_SJ_SK_SL_EUlSY_E1_NS1_11comp_targetILNS1_3genE3ELNS1_11target_archE908ELNS1_3gpuE7ELNS1_3repE0EEENS1_36merge_oddeven_config_static_selectorELNS0_4arch9wavefront6targetE1EEEvSK_
                                        ; -- End function
	.section	.AMDGPU.csdata,"",@progbits
; Kernel info:
; codeLenInByte = 0
; NumSgprs: 4
; NumVgprs: 0
; NumAgprs: 0
; TotalNumVgprs: 0
; ScratchSize: 0
; MemoryBound: 0
; FloatMode: 240
; IeeeMode: 1
; LDSByteSize: 0 bytes/workgroup (compile time only)
; SGPRBlocks: 0
; VGPRBlocks: 0
; NumSGPRsForWavesPerEU: 4
; NumVGPRsForWavesPerEU: 1
; AccumOffset: 4
; Occupancy: 8
; WaveLimiterHint : 0
; COMPUTE_PGM_RSRC2:SCRATCH_EN: 0
; COMPUTE_PGM_RSRC2:USER_SGPR: 6
; COMPUTE_PGM_RSRC2:TRAP_HANDLER: 0
; COMPUTE_PGM_RSRC2:TGID_X_EN: 1
; COMPUTE_PGM_RSRC2:TGID_Y_EN: 0
; COMPUTE_PGM_RSRC2:TGID_Z_EN: 0
; COMPUTE_PGM_RSRC2:TIDIG_COMP_CNT: 0
; COMPUTE_PGM_RSRC3_GFX90A:ACCUM_OFFSET: 0
; COMPUTE_PGM_RSRC3_GFX90A:TG_SPLIT: 0
	.section	.text._ZN7rocprim17ROCPRIM_400000_NS6detail17trampoline_kernelINS0_14default_configENS1_38merge_sort_block_merge_config_selectorImNS0_10empty_typeEEEZZNS1_27merge_sort_block_merge_implIS3_N6thrust23THRUST_200600_302600_NS6detail15normal_iteratorINS9_10device_ptrImEEEEPS5_m14custom_greaterImEEE10hipError_tT0_T1_T2_jT3_P12ihipStream_tbPNSt15iterator_traitsISJ_E10value_typeEPNSP_ISK_E10value_typeEPSL_NS1_7vsmem_tEENKUlT_SJ_SK_SL_E_clISE_PmSF_SF_EESI_SY_SJ_SK_SL_EUlSY_E1_NS1_11comp_targetILNS1_3genE2ELNS1_11target_archE906ELNS1_3gpuE6ELNS1_3repE0EEENS1_36merge_oddeven_config_static_selectorELNS0_4arch9wavefront6targetE1EEEvSK_,"axG",@progbits,_ZN7rocprim17ROCPRIM_400000_NS6detail17trampoline_kernelINS0_14default_configENS1_38merge_sort_block_merge_config_selectorImNS0_10empty_typeEEEZZNS1_27merge_sort_block_merge_implIS3_N6thrust23THRUST_200600_302600_NS6detail15normal_iteratorINS9_10device_ptrImEEEEPS5_m14custom_greaterImEEE10hipError_tT0_T1_T2_jT3_P12ihipStream_tbPNSt15iterator_traitsISJ_E10value_typeEPNSP_ISK_E10value_typeEPSL_NS1_7vsmem_tEENKUlT_SJ_SK_SL_E_clISE_PmSF_SF_EESI_SY_SJ_SK_SL_EUlSY_E1_NS1_11comp_targetILNS1_3genE2ELNS1_11target_archE906ELNS1_3gpuE6ELNS1_3repE0EEENS1_36merge_oddeven_config_static_selectorELNS0_4arch9wavefront6targetE1EEEvSK_,comdat
	.protected	_ZN7rocprim17ROCPRIM_400000_NS6detail17trampoline_kernelINS0_14default_configENS1_38merge_sort_block_merge_config_selectorImNS0_10empty_typeEEEZZNS1_27merge_sort_block_merge_implIS3_N6thrust23THRUST_200600_302600_NS6detail15normal_iteratorINS9_10device_ptrImEEEEPS5_m14custom_greaterImEEE10hipError_tT0_T1_T2_jT3_P12ihipStream_tbPNSt15iterator_traitsISJ_E10value_typeEPNSP_ISK_E10value_typeEPSL_NS1_7vsmem_tEENKUlT_SJ_SK_SL_E_clISE_PmSF_SF_EESI_SY_SJ_SK_SL_EUlSY_E1_NS1_11comp_targetILNS1_3genE2ELNS1_11target_archE906ELNS1_3gpuE6ELNS1_3repE0EEENS1_36merge_oddeven_config_static_selectorELNS0_4arch9wavefront6targetE1EEEvSK_ ; -- Begin function _ZN7rocprim17ROCPRIM_400000_NS6detail17trampoline_kernelINS0_14default_configENS1_38merge_sort_block_merge_config_selectorImNS0_10empty_typeEEEZZNS1_27merge_sort_block_merge_implIS3_N6thrust23THRUST_200600_302600_NS6detail15normal_iteratorINS9_10device_ptrImEEEEPS5_m14custom_greaterImEEE10hipError_tT0_T1_T2_jT3_P12ihipStream_tbPNSt15iterator_traitsISJ_E10value_typeEPNSP_ISK_E10value_typeEPSL_NS1_7vsmem_tEENKUlT_SJ_SK_SL_E_clISE_PmSF_SF_EESI_SY_SJ_SK_SL_EUlSY_E1_NS1_11comp_targetILNS1_3genE2ELNS1_11target_archE906ELNS1_3gpuE6ELNS1_3repE0EEENS1_36merge_oddeven_config_static_selectorELNS0_4arch9wavefront6targetE1EEEvSK_
	.globl	_ZN7rocprim17ROCPRIM_400000_NS6detail17trampoline_kernelINS0_14default_configENS1_38merge_sort_block_merge_config_selectorImNS0_10empty_typeEEEZZNS1_27merge_sort_block_merge_implIS3_N6thrust23THRUST_200600_302600_NS6detail15normal_iteratorINS9_10device_ptrImEEEEPS5_m14custom_greaterImEEE10hipError_tT0_T1_T2_jT3_P12ihipStream_tbPNSt15iterator_traitsISJ_E10value_typeEPNSP_ISK_E10value_typeEPSL_NS1_7vsmem_tEENKUlT_SJ_SK_SL_E_clISE_PmSF_SF_EESI_SY_SJ_SK_SL_EUlSY_E1_NS1_11comp_targetILNS1_3genE2ELNS1_11target_archE906ELNS1_3gpuE6ELNS1_3repE0EEENS1_36merge_oddeven_config_static_selectorELNS0_4arch9wavefront6targetE1EEEvSK_
	.p2align	8
	.type	_ZN7rocprim17ROCPRIM_400000_NS6detail17trampoline_kernelINS0_14default_configENS1_38merge_sort_block_merge_config_selectorImNS0_10empty_typeEEEZZNS1_27merge_sort_block_merge_implIS3_N6thrust23THRUST_200600_302600_NS6detail15normal_iteratorINS9_10device_ptrImEEEEPS5_m14custom_greaterImEEE10hipError_tT0_T1_T2_jT3_P12ihipStream_tbPNSt15iterator_traitsISJ_E10value_typeEPNSP_ISK_E10value_typeEPSL_NS1_7vsmem_tEENKUlT_SJ_SK_SL_E_clISE_PmSF_SF_EESI_SY_SJ_SK_SL_EUlSY_E1_NS1_11comp_targetILNS1_3genE2ELNS1_11target_archE906ELNS1_3gpuE6ELNS1_3repE0EEENS1_36merge_oddeven_config_static_selectorELNS0_4arch9wavefront6targetE1EEEvSK_,@function
_ZN7rocprim17ROCPRIM_400000_NS6detail17trampoline_kernelINS0_14default_configENS1_38merge_sort_block_merge_config_selectorImNS0_10empty_typeEEEZZNS1_27merge_sort_block_merge_implIS3_N6thrust23THRUST_200600_302600_NS6detail15normal_iteratorINS9_10device_ptrImEEEEPS5_m14custom_greaterImEEE10hipError_tT0_T1_T2_jT3_P12ihipStream_tbPNSt15iterator_traitsISJ_E10value_typeEPNSP_ISK_E10value_typeEPSL_NS1_7vsmem_tEENKUlT_SJ_SK_SL_E_clISE_PmSF_SF_EESI_SY_SJ_SK_SL_EUlSY_E1_NS1_11comp_targetILNS1_3genE2ELNS1_11target_archE906ELNS1_3gpuE6ELNS1_3repE0EEENS1_36merge_oddeven_config_static_selectorELNS0_4arch9wavefront6targetE1EEEvSK_: ; @_ZN7rocprim17ROCPRIM_400000_NS6detail17trampoline_kernelINS0_14default_configENS1_38merge_sort_block_merge_config_selectorImNS0_10empty_typeEEEZZNS1_27merge_sort_block_merge_implIS3_N6thrust23THRUST_200600_302600_NS6detail15normal_iteratorINS9_10device_ptrImEEEEPS5_m14custom_greaterImEEE10hipError_tT0_T1_T2_jT3_P12ihipStream_tbPNSt15iterator_traitsISJ_E10value_typeEPNSP_ISK_E10value_typeEPSL_NS1_7vsmem_tEENKUlT_SJ_SK_SL_E_clISE_PmSF_SF_EESI_SY_SJ_SK_SL_EUlSY_E1_NS1_11comp_targetILNS1_3genE2ELNS1_11target_archE906ELNS1_3gpuE6ELNS1_3repE0EEENS1_36merge_oddeven_config_static_selectorELNS0_4arch9wavefront6targetE1EEEvSK_
; %bb.0:
	.section	.rodata,"a",@progbits
	.p2align	6, 0x0
	.amdhsa_kernel _ZN7rocprim17ROCPRIM_400000_NS6detail17trampoline_kernelINS0_14default_configENS1_38merge_sort_block_merge_config_selectorImNS0_10empty_typeEEEZZNS1_27merge_sort_block_merge_implIS3_N6thrust23THRUST_200600_302600_NS6detail15normal_iteratorINS9_10device_ptrImEEEEPS5_m14custom_greaterImEEE10hipError_tT0_T1_T2_jT3_P12ihipStream_tbPNSt15iterator_traitsISJ_E10value_typeEPNSP_ISK_E10value_typeEPSL_NS1_7vsmem_tEENKUlT_SJ_SK_SL_E_clISE_PmSF_SF_EESI_SY_SJ_SK_SL_EUlSY_E1_NS1_11comp_targetILNS1_3genE2ELNS1_11target_archE906ELNS1_3gpuE6ELNS1_3repE0EEENS1_36merge_oddeven_config_static_selectorELNS0_4arch9wavefront6targetE1EEEvSK_
		.amdhsa_group_segment_fixed_size 0
		.amdhsa_private_segment_fixed_size 0
		.amdhsa_kernarg_size 56
		.amdhsa_user_sgpr_count 6
		.amdhsa_user_sgpr_private_segment_buffer 1
		.amdhsa_user_sgpr_dispatch_ptr 0
		.amdhsa_user_sgpr_queue_ptr 0
		.amdhsa_user_sgpr_kernarg_segment_ptr 1
		.amdhsa_user_sgpr_dispatch_id 0
		.amdhsa_user_sgpr_flat_scratch_init 0
		.amdhsa_user_sgpr_kernarg_preload_length 0
		.amdhsa_user_sgpr_kernarg_preload_offset 0
		.amdhsa_user_sgpr_private_segment_size 0
		.amdhsa_uses_dynamic_stack 0
		.amdhsa_system_sgpr_private_segment_wavefront_offset 0
		.amdhsa_system_sgpr_workgroup_id_x 1
		.amdhsa_system_sgpr_workgroup_id_y 0
		.amdhsa_system_sgpr_workgroup_id_z 0
		.amdhsa_system_sgpr_workgroup_info 0
		.amdhsa_system_vgpr_workitem_id 0
		.amdhsa_next_free_vgpr 1
		.amdhsa_next_free_sgpr 0
		.amdhsa_accum_offset 4
		.amdhsa_reserve_vcc 0
		.amdhsa_reserve_flat_scratch 0
		.amdhsa_float_round_mode_32 0
		.amdhsa_float_round_mode_16_64 0
		.amdhsa_float_denorm_mode_32 3
		.amdhsa_float_denorm_mode_16_64 3
		.amdhsa_dx10_clamp 1
		.amdhsa_ieee_mode 1
		.amdhsa_fp16_overflow 0
		.amdhsa_tg_split 0
		.amdhsa_exception_fp_ieee_invalid_op 0
		.amdhsa_exception_fp_denorm_src 0
		.amdhsa_exception_fp_ieee_div_zero 0
		.amdhsa_exception_fp_ieee_overflow 0
		.amdhsa_exception_fp_ieee_underflow 0
		.amdhsa_exception_fp_ieee_inexact 0
		.amdhsa_exception_int_div_zero 0
	.end_amdhsa_kernel
	.section	.text._ZN7rocprim17ROCPRIM_400000_NS6detail17trampoline_kernelINS0_14default_configENS1_38merge_sort_block_merge_config_selectorImNS0_10empty_typeEEEZZNS1_27merge_sort_block_merge_implIS3_N6thrust23THRUST_200600_302600_NS6detail15normal_iteratorINS9_10device_ptrImEEEEPS5_m14custom_greaterImEEE10hipError_tT0_T1_T2_jT3_P12ihipStream_tbPNSt15iterator_traitsISJ_E10value_typeEPNSP_ISK_E10value_typeEPSL_NS1_7vsmem_tEENKUlT_SJ_SK_SL_E_clISE_PmSF_SF_EESI_SY_SJ_SK_SL_EUlSY_E1_NS1_11comp_targetILNS1_3genE2ELNS1_11target_archE906ELNS1_3gpuE6ELNS1_3repE0EEENS1_36merge_oddeven_config_static_selectorELNS0_4arch9wavefront6targetE1EEEvSK_,"axG",@progbits,_ZN7rocprim17ROCPRIM_400000_NS6detail17trampoline_kernelINS0_14default_configENS1_38merge_sort_block_merge_config_selectorImNS0_10empty_typeEEEZZNS1_27merge_sort_block_merge_implIS3_N6thrust23THRUST_200600_302600_NS6detail15normal_iteratorINS9_10device_ptrImEEEEPS5_m14custom_greaterImEEE10hipError_tT0_T1_T2_jT3_P12ihipStream_tbPNSt15iterator_traitsISJ_E10value_typeEPNSP_ISK_E10value_typeEPSL_NS1_7vsmem_tEENKUlT_SJ_SK_SL_E_clISE_PmSF_SF_EESI_SY_SJ_SK_SL_EUlSY_E1_NS1_11comp_targetILNS1_3genE2ELNS1_11target_archE906ELNS1_3gpuE6ELNS1_3repE0EEENS1_36merge_oddeven_config_static_selectorELNS0_4arch9wavefront6targetE1EEEvSK_,comdat
.Lfunc_end3358:
	.size	_ZN7rocprim17ROCPRIM_400000_NS6detail17trampoline_kernelINS0_14default_configENS1_38merge_sort_block_merge_config_selectorImNS0_10empty_typeEEEZZNS1_27merge_sort_block_merge_implIS3_N6thrust23THRUST_200600_302600_NS6detail15normal_iteratorINS9_10device_ptrImEEEEPS5_m14custom_greaterImEEE10hipError_tT0_T1_T2_jT3_P12ihipStream_tbPNSt15iterator_traitsISJ_E10value_typeEPNSP_ISK_E10value_typeEPSL_NS1_7vsmem_tEENKUlT_SJ_SK_SL_E_clISE_PmSF_SF_EESI_SY_SJ_SK_SL_EUlSY_E1_NS1_11comp_targetILNS1_3genE2ELNS1_11target_archE906ELNS1_3gpuE6ELNS1_3repE0EEENS1_36merge_oddeven_config_static_selectorELNS0_4arch9wavefront6targetE1EEEvSK_, .Lfunc_end3358-_ZN7rocprim17ROCPRIM_400000_NS6detail17trampoline_kernelINS0_14default_configENS1_38merge_sort_block_merge_config_selectorImNS0_10empty_typeEEEZZNS1_27merge_sort_block_merge_implIS3_N6thrust23THRUST_200600_302600_NS6detail15normal_iteratorINS9_10device_ptrImEEEEPS5_m14custom_greaterImEEE10hipError_tT0_T1_T2_jT3_P12ihipStream_tbPNSt15iterator_traitsISJ_E10value_typeEPNSP_ISK_E10value_typeEPSL_NS1_7vsmem_tEENKUlT_SJ_SK_SL_E_clISE_PmSF_SF_EESI_SY_SJ_SK_SL_EUlSY_E1_NS1_11comp_targetILNS1_3genE2ELNS1_11target_archE906ELNS1_3gpuE6ELNS1_3repE0EEENS1_36merge_oddeven_config_static_selectorELNS0_4arch9wavefront6targetE1EEEvSK_
                                        ; -- End function
	.section	.AMDGPU.csdata,"",@progbits
; Kernel info:
; codeLenInByte = 0
; NumSgprs: 4
; NumVgprs: 0
; NumAgprs: 0
; TotalNumVgprs: 0
; ScratchSize: 0
; MemoryBound: 0
; FloatMode: 240
; IeeeMode: 1
; LDSByteSize: 0 bytes/workgroup (compile time only)
; SGPRBlocks: 0
; VGPRBlocks: 0
; NumSGPRsForWavesPerEU: 4
; NumVGPRsForWavesPerEU: 1
; AccumOffset: 4
; Occupancy: 8
; WaveLimiterHint : 0
; COMPUTE_PGM_RSRC2:SCRATCH_EN: 0
; COMPUTE_PGM_RSRC2:USER_SGPR: 6
; COMPUTE_PGM_RSRC2:TRAP_HANDLER: 0
; COMPUTE_PGM_RSRC2:TGID_X_EN: 1
; COMPUTE_PGM_RSRC2:TGID_Y_EN: 0
; COMPUTE_PGM_RSRC2:TGID_Z_EN: 0
; COMPUTE_PGM_RSRC2:TIDIG_COMP_CNT: 0
; COMPUTE_PGM_RSRC3_GFX90A:ACCUM_OFFSET: 0
; COMPUTE_PGM_RSRC3_GFX90A:TG_SPLIT: 0
	.section	.text._ZN7rocprim17ROCPRIM_400000_NS6detail17trampoline_kernelINS0_14default_configENS1_38merge_sort_block_merge_config_selectorImNS0_10empty_typeEEEZZNS1_27merge_sort_block_merge_implIS3_N6thrust23THRUST_200600_302600_NS6detail15normal_iteratorINS9_10device_ptrImEEEEPS5_m14custom_greaterImEEE10hipError_tT0_T1_T2_jT3_P12ihipStream_tbPNSt15iterator_traitsISJ_E10value_typeEPNSP_ISK_E10value_typeEPSL_NS1_7vsmem_tEENKUlT_SJ_SK_SL_E_clISE_PmSF_SF_EESI_SY_SJ_SK_SL_EUlSY_E1_NS1_11comp_targetILNS1_3genE9ELNS1_11target_archE1100ELNS1_3gpuE3ELNS1_3repE0EEENS1_36merge_oddeven_config_static_selectorELNS0_4arch9wavefront6targetE1EEEvSK_,"axG",@progbits,_ZN7rocprim17ROCPRIM_400000_NS6detail17trampoline_kernelINS0_14default_configENS1_38merge_sort_block_merge_config_selectorImNS0_10empty_typeEEEZZNS1_27merge_sort_block_merge_implIS3_N6thrust23THRUST_200600_302600_NS6detail15normal_iteratorINS9_10device_ptrImEEEEPS5_m14custom_greaterImEEE10hipError_tT0_T1_T2_jT3_P12ihipStream_tbPNSt15iterator_traitsISJ_E10value_typeEPNSP_ISK_E10value_typeEPSL_NS1_7vsmem_tEENKUlT_SJ_SK_SL_E_clISE_PmSF_SF_EESI_SY_SJ_SK_SL_EUlSY_E1_NS1_11comp_targetILNS1_3genE9ELNS1_11target_archE1100ELNS1_3gpuE3ELNS1_3repE0EEENS1_36merge_oddeven_config_static_selectorELNS0_4arch9wavefront6targetE1EEEvSK_,comdat
	.protected	_ZN7rocprim17ROCPRIM_400000_NS6detail17trampoline_kernelINS0_14default_configENS1_38merge_sort_block_merge_config_selectorImNS0_10empty_typeEEEZZNS1_27merge_sort_block_merge_implIS3_N6thrust23THRUST_200600_302600_NS6detail15normal_iteratorINS9_10device_ptrImEEEEPS5_m14custom_greaterImEEE10hipError_tT0_T1_T2_jT3_P12ihipStream_tbPNSt15iterator_traitsISJ_E10value_typeEPNSP_ISK_E10value_typeEPSL_NS1_7vsmem_tEENKUlT_SJ_SK_SL_E_clISE_PmSF_SF_EESI_SY_SJ_SK_SL_EUlSY_E1_NS1_11comp_targetILNS1_3genE9ELNS1_11target_archE1100ELNS1_3gpuE3ELNS1_3repE0EEENS1_36merge_oddeven_config_static_selectorELNS0_4arch9wavefront6targetE1EEEvSK_ ; -- Begin function _ZN7rocprim17ROCPRIM_400000_NS6detail17trampoline_kernelINS0_14default_configENS1_38merge_sort_block_merge_config_selectorImNS0_10empty_typeEEEZZNS1_27merge_sort_block_merge_implIS3_N6thrust23THRUST_200600_302600_NS6detail15normal_iteratorINS9_10device_ptrImEEEEPS5_m14custom_greaterImEEE10hipError_tT0_T1_T2_jT3_P12ihipStream_tbPNSt15iterator_traitsISJ_E10value_typeEPNSP_ISK_E10value_typeEPSL_NS1_7vsmem_tEENKUlT_SJ_SK_SL_E_clISE_PmSF_SF_EESI_SY_SJ_SK_SL_EUlSY_E1_NS1_11comp_targetILNS1_3genE9ELNS1_11target_archE1100ELNS1_3gpuE3ELNS1_3repE0EEENS1_36merge_oddeven_config_static_selectorELNS0_4arch9wavefront6targetE1EEEvSK_
	.globl	_ZN7rocprim17ROCPRIM_400000_NS6detail17trampoline_kernelINS0_14default_configENS1_38merge_sort_block_merge_config_selectorImNS0_10empty_typeEEEZZNS1_27merge_sort_block_merge_implIS3_N6thrust23THRUST_200600_302600_NS6detail15normal_iteratorINS9_10device_ptrImEEEEPS5_m14custom_greaterImEEE10hipError_tT0_T1_T2_jT3_P12ihipStream_tbPNSt15iterator_traitsISJ_E10value_typeEPNSP_ISK_E10value_typeEPSL_NS1_7vsmem_tEENKUlT_SJ_SK_SL_E_clISE_PmSF_SF_EESI_SY_SJ_SK_SL_EUlSY_E1_NS1_11comp_targetILNS1_3genE9ELNS1_11target_archE1100ELNS1_3gpuE3ELNS1_3repE0EEENS1_36merge_oddeven_config_static_selectorELNS0_4arch9wavefront6targetE1EEEvSK_
	.p2align	8
	.type	_ZN7rocprim17ROCPRIM_400000_NS6detail17trampoline_kernelINS0_14default_configENS1_38merge_sort_block_merge_config_selectorImNS0_10empty_typeEEEZZNS1_27merge_sort_block_merge_implIS3_N6thrust23THRUST_200600_302600_NS6detail15normal_iteratorINS9_10device_ptrImEEEEPS5_m14custom_greaterImEEE10hipError_tT0_T1_T2_jT3_P12ihipStream_tbPNSt15iterator_traitsISJ_E10value_typeEPNSP_ISK_E10value_typeEPSL_NS1_7vsmem_tEENKUlT_SJ_SK_SL_E_clISE_PmSF_SF_EESI_SY_SJ_SK_SL_EUlSY_E1_NS1_11comp_targetILNS1_3genE9ELNS1_11target_archE1100ELNS1_3gpuE3ELNS1_3repE0EEENS1_36merge_oddeven_config_static_selectorELNS0_4arch9wavefront6targetE1EEEvSK_,@function
_ZN7rocprim17ROCPRIM_400000_NS6detail17trampoline_kernelINS0_14default_configENS1_38merge_sort_block_merge_config_selectorImNS0_10empty_typeEEEZZNS1_27merge_sort_block_merge_implIS3_N6thrust23THRUST_200600_302600_NS6detail15normal_iteratorINS9_10device_ptrImEEEEPS5_m14custom_greaterImEEE10hipError_tT0_T1_T2_jT3_P12ihipStream_tbPNSt15iterator_traitsISJ_E10value_typeEPNSP_ISK_E10value_typeEPSL_NS1_7vsmem_tEENKUlT_SJ_SK_SL_E_clISE_PmSF_SF_EESI_SY_SJ_SK_SL_EUlSY_E1_NS1_11comp_targetILNS1_3genE9ELNS1_11target_archE1100ELNS1_3gpuE3ELNS1_3repE0EEENS1_36merge_oddeven_config_static_selectorELNS0_4arch9wavefront6targetE1EEEvSK_: ; @_ZN7rocprim17ROCPRIM_400000_NS6detail17trampoline_kernelINS0_14default_configENS1_38merge_sort_block_merge_config_selectorImNS0_10empty_typeEEEZZNS1_27merge_sort_block_merge_implIS3_N6thrust23THRUST_200600_302600_NS6detail15normal_iteratorINS9_10device_ptrImEEEEPS5_m14custom_greaterImEEE10hipError_tT0_T1_T2_jT3_P12ihipStream_tbPNSt15iterator_traitsISJ_E10value_typeEPNSP_ISK_E10value_typeEPSL_NS1_7vsmem_tEENKUlT_SJ_SK_SL_E_clISE_PmSF_SF_EESI_SY_SJ_SK_SL_EUlSY_E1_NS1_11comp_targetILNS1_3genE9ELNS1_11target_archE1100ELNS1_3gpuE3ELNS1_3repE0EEENS1_36merge_oddeven_config_static_selectorELNS0_4arch9wavefront6targetE1EEEvSK_
; %bb.0:
	.section	.rodata,"a",@progbits
	.p2align	6, 0x0
	.amdhsa_kernel _ZN7rocprim17ROCPRIM_400000_NS6detail17trampoline_kernelINS0_14default_configENS1_38merge_sort_block_merge_config_selectorImNS0_10empty_typeEEEZZNS1_27merge_sort_block_merge_implIS3_N6thrust23THRUST_200600_302600_NS6detail15normal_iteratorINS9_10device_ptrImEEEEPS5_m14custom_greaterImEEE10hipError_tT0_T1_T2_jT3_P12ihipStream_tbPNSt15iterator_traitsISJ_E10value_typeEPNSP_ISK_E10value_typeEPSL_NS1_7vsmem_tEENKUlT_SJ_SK_SL_E_clISE_PmSF_SF_EESI_SY_SJ_SK_SL_EUlSY_E1_NS1_11comp_targetILNS1_3genE9ELNS1_11target_archE1100ELNS1_3gpuE3ELNS1_3repE0EEENS1_36merge_oddeven_config_static_selectorELNS0_4arch9wavefront6targetE1EEEvSK_
		.amdhsa_group_segment_fixed_size 0
		.amdhsa_private_segment_fixed_size 0
		.amdhsa_kernarg_size 56
		.amdhsa_user_sgpr_count 6
		.amdhsa_user_sgpr_private_segment_buffer 1
		.amdhsa_user_sgpr_dispatch_ptr 0
		.amdhsa_user_sgpr_queue_ptr 0
		.amdhsa_user_sgpr_kernarg_segment_ptr 1
		.amdhsa_user_sgpr_dispatch_id 0
		.amdhsa_user_sgpr_flat_scratch_init 0
		.amdhsa_user_sgpr_kernarg_preload_length 0
		.amdhsa_user_sgpr_kernarg_preload_offset 0
		.amdhsa_user_sgpr_private_segment_size 0
		.amdhsa_uses_dynamic_stack 0
		.amdhsa_system_sgpr_private_segment_wavefront_offset 0
		.amdhsa_system_sgpr_workgroup_id_x 1
		.amdhsa_system_sgpr_workgroup_id_y 0
		.amdhsa_system_sgpr_workgroup_id_z 0
		.amdhsa_system_sgpr_workgroup_info 0
		.amdhsa_system_vgpr_workitem_id 0
		.amdhsa_next_free_vgpr 1
		.amdhsa_next_free_sgpr 0
		.amdhsa_accum_offset 4
		.amdhsa_reserve_vcc 0
		.amdhsa_reserve_flat_scratch 0
		.amdhsa_float_round_mode_32 0
		.amdhsa_float_round_mode_16_64 0
		.amdhsa_float_denorm_mode_32 3
		.amdhsa_float_denorm_mode_16_64 3
		.amdhsa_dx10_clamp 1
		.amdhsa_ieee_mode 1
		.amdhsa_fp16_overflow 0
		.amdhsa_tg_split 0
		.amdhsa_exception_fp_ieee_invalid_op 0
		.amdhsa_exception_fp_denorm_src 0
		.amdhsa_exception_fp_ieee_div_zero 0
		.amdhsa_exception_fp_ieee_overflow 0
		.amdhsa_exception_fp_ieee_underflow 0
		.amdhsa_exception_fp_ieee_inexact 0
		.amdhsa_exception_int_div_zero 0
	.end_amdhsa_kernel
	.section	.text._ZN7rocprim17ROCPRIM_400000_NS6detail17trampoline_kernelINS0_14default_configENS1_38merge_sort_block_merge_config_selectorImNS0_10empty_typeEEEZZNS1_27merge_sort_block_merge_implIS3_N6thrust23THRUST_200600_302600_NS6detail15normal_iteratorINS9_10device_ptrImEEEEPS5_m14custom_greaterImEEE10hipError_tT0_T1_T2_jT3_P12ihipStream_tbPNSt15iterator_traitsISJ_E10value_typeEPNSP_ISK_E10value_typeEPSL_NS1_7vsmem_tEENKUlT_SJ_SK_SL_E_clISE_PmSF_SF_EESI_SY_SJ_SK_SL_EUlSY_E1_NS1_11comp_targetILNS1_3genE9ELNS1_11target_archE1100ELNS1_3gpuE3ELNS1_3repE0EEENS1_36merge_oddeven_config_static_selectorELNS0_4arch9wavefront6targetE1EEEvSK_,"axG",@progbits,_ZN7rocprim17ROCPRIM_400000_NS6detail17trampoline_kernelINS0_14default_configENS1_38merge_sort_block_merge_config_selectorImNS0_10empty_typeEEEZZNS1_27merge_sort_block_merge_implIS3_N6thrust23THRUST_200600_302600_NS6detail15normal_iteratorINS9_10device_ptrImEEEEPS5_m14custom_greaterImEEE10hipError_tT0_T1_T2_jT3_P12ihipStream_tbPNSt15iterator_traitsISJ_E10value_typeEPNSP_ISK_E10value_typeEPSL_NS1_7vsmem_tEENKUlT_SJ_SK_SL_E_clISE_PmSF_SF_EESI_SY_SJ_SK_SL_EUlSY_E1_NS1_11comp_targetILNS1_3genE9ELNS1_11target_archE1100ELNS1_3gpuE3ELNS1_3repE0EEENS1_36merge_oddeven_config_static_selectorELNS0_4arch9wavefront6targetE1EEEvSK_,comdat
.Lfunc_end3359:
	.size	_ZN7rocprim17ROCPRIM_400000_NS6detail17trampoline_kernelINS0_14default_configENS1_38merge_sort_block_merge_config_selectorImNS0_10empty_typeEEEZZNS1_27merge_sort_block_merge_implIS3_N6thrust23THRUST_200600_302600_NS6detail15normal_iteratorINS9_10device_ptrImEEEEPS5_m14custom_greaterImEEE10hipError_tT0_T1_T2_jT3_P12ihipStream_tbPNSt15iterator_traitsISJ_E10value_typeEPNSP_ISK_E10value_typeEPSL_NS1_7vsmem_tEENKUlT_SJ_SK_SL_E_clISE_PmSF_SF_EESI_SY_SJ_SK_SL_EUlSY_E1_NS1_11comp_targetILNS1_3genE9ELNS1_11target_archE1100ELNS1_3gpuE3ELNS1_3repE0EEENS1_36merge_oddeven_config_static_selectorELNS0_4arch9wavefront6targetE1EEEvSK_, .Lfunc_end3359-_ZN7rocprim17ROCPRIM_400000_NS6detail17trampoline_kernelINS0_14default_configENS1_38merge_sort_block_merge_config_selectorImNS0_10empty_typeEEEZZNS1_27merge_sort_block_merge_implIS3_N6thrust23THRUST_200600_302600_NS6detail15normal_iteratorINS9_10device_ptrImEEEEPS5_m14custom_greaterImEEE10hipError_tT0_T1_T2_jT3_P12ihipStream_tbPNSt15iterator_traitsISJ_E10value_typeEPNSP_ISK_E10value_typeEPSL_NS1_7vsmem_tEENKUlT_SJ_SK_SL_E_clISE_PmSF_SF_EESI_SY_SJ_SK_SL_EUlSY_E1_NS1_11comp_targetILNS1_3genE9ELNS1_11target_archE1100ELNS1_3gpuE3ELNS1_3repE0EEENS1_36merge_oddeven_config_static_selectorELNS0_4arch9wavefront6targetE1EEEvSK_
                                        ; -- End function
	.section	.AMDGPU.csdata,"",@progbits
; Kernel info:
; codeLenInByte = 0
; NumSgprs: 4
; NumVgprs: 0
; NumAgprs: 0
; TotalNumVgprs: 0
; ScratchSize: 0
; MemoryBound: 0
; FloatMode: 240
; IeeeMode: 1
; LDSByteSize: 0 bytes/workgroup (compile time only)
; SGPRBlocks: 0
; VGPRBlocks: 0
; NumSGPRsForWavesPerEU: 4
; NumVGPRsForWavesPerEU: 1
; AccumOffset: 4
; Occupancy: 8
; WaveLimiterHint : 0
; COMPUTE_PGM_RSRC2:SCRATCH_EN: 0
; COMPUTE_PGM_RSRC2:USER_SGPR: 6
; COMPUTE_PGM_RSRC2:TRAP_HANDLER: 0
; COMPUTE_PGM_RSRC2:TGID_X_EN: 1
; COMPUTE_PGM_RSRC2:TGID_Y_EN: 0
; COMPUTE_PGM_RSRC2:TGID_Z_EN: 0
; COMPUTE_PGM_RSRC2:TIDIG_COMP_CNT: 0
; COMPUTE_PGM_RSRC3_GFX90A:ACCUM_OFFSET: 0
; COMPUTE_PGM_RSRC3_GFX90A:TG_SPLIT: 0
	.section	.text._ZN7rocprim17ROCPRIM_400000_NS6detail17trampoline_kernelINS0_14default_configENS1_38merge_sort_block_merge_config_selectorImNS0_10empty_typeEEEZZNS1_27merge_sort_block_merge_implIS3_N6thrust23THRUST_200600_302600_NS6detail15normal_iteratorINS9_10device_ptrImEEEEPS5_m14custom_greaterImEEE10hipError_tT0_T1_T2_jT3_P12ihipStream_tbPNSt15iterator_traitsISJ_E10value_typeEPNSP_ISK_E10value_typeEPSL_NS1_7vsmem_tEENKUlT_SJ_SK_SL_E_clISE_PmSF_SF_EESI_SY_SJ_SK_SL_EUlSY_E1_NS1_11comp_targetILNS1_3genE8ELNS1_11target_archE1030ELNS1_3gpuE2ELNS1_3repE0EEENS1_36merge_oddeven_config_static_selectorELNS0_4arch9wavefront6targetE1EEEvSK_,"axG",@progbits,_ZN7rocprim17ROCPRIM_400000_NS6detail17trampoline_kernelINS0_14default_configENS1_38merge_sort_block_merge_config_selectorImNS0_10empty_typeEEEZZNS1_27merge_sort_block_merge_implIS3_N6thrust23THRUST_200600_302600_NS6detail15normal_iteratorINS9_10device_ptrImEEEEPS5_m14custom_greaterImEEE10hipError_tT0_T1_T2_jT3_P12ihipStream_tbPNSt15iterator_traitsISJ_E10value_typeEPNSP_ISK_E10value_typeEPSL_NS1_7vsmem_tEENKUlT_SJ_SK_SL_E_clISE_PmSF_SF_EESI_SY_SJ_SK_SL_EUlSY_E1_NS1_11comp_targetILNS1_3genE8ELNS1_11target_archE1030ELNS1_3gpuE2ELNS1_3repE0EEENS1_36merge_oddeven_config_static_selectorELNS0_4arch9wavefront6targetE1EEEvSK_,comdat
	.protected	_ZN7rocprim17ROCPRIM_400000_NS6detail17trampoline_kernelINS0_14default_configENS1_38merge_sort_block_merge_config_selectorImNS0_10empty_typeEEEZZNS1_27merge_sort_block_merge_implIS3_N6thrust23THRUST_200600_302600_NS6detail15normal_iteratorINS9_10device_ptrImEEEEPS5_m14custom_greaterImEEE10hipError_tT0_T1_T2_jT3_P12ihipStream_tbPNSt15iterator_traitsISJ_E10value_typeEPNSP_ISK_E10value_typeEPSL_NS1_7vsmem_tEENKUlT_SJ_SK_SL_E_clISE_PmSF_SF_EESI_SY_SJ_SK_SL_EUlSY_E1_NS1_11comp_targetILNS1_3genE8ELNS1_11target_archE1030ELNS1_3gpuE2ELNS1_3repE0EEENS1_36merge_oddeven_config_static_selectorELNS0_4arch9wavefront6targetE1EEEvSK_ ; -- Begin function _ZN7rocprim17ROCPRIM_400000_NS6detail17trampoline_kernelINS0_14default_configENS1_38merge_sort_block_merge_config_selectorImNS0_10empty_typeEEEZZNS1_27merge_sort_block_merge_implIS3_N6thrust23THRUST_200600_302600_NS6detail15normal_iteratorINS9_10device_ptrImEEEEPS5_m14custom_greaterImEEE10hipError_tT0_T1_T2_jT3_P12ihipStream_tbPNSt15iterator_traitsISJ_E10value_typeEPNSP_ISK_E10value_typeEPSL_NS1_7vsmem_tEENKUlT_SJ_SK_SL_E_clISE_PmSF_SF_EESI_SY_SJ_SK_SL_EUlSY_E1_NS1_11comp_targetILNS1_3genE8ELNS1_11target_archE1030ELNS1_3gpuE2ELNS1_3repE0EEENS1_36merge_oddeven_config_static_selectorELNS0_4arch9wavefront6targetE1EEEvSK_
	.globl	_ZN7rocprim17ROCPRIM_400000_NS6detail17trampoline_kernelINS0_14default_configENS1_38merge_sort_block_merge_config_selectorImNS0_10empty_typeEEEZZNS1_27merge_sort_block_merge_implIS3_N6thrust23THRUST_200600_302600_NS6detail15normal_iteratorINS9_10device_ptrImEEEEPS5_m14custom_greaterImEEE10hipError_tT0_T1_T2_jT3_P12ihipStream_tbPNSt15iterator_traitsISJ_E10value_typeEPNSP_ISK_E10value_typeEPSL_NS1_7vsmem_tEENKUlT_SJ_SK_SL_E_clISE_PmSF_SF_EESI_SY_SJ_SK_SL_EUlSY_E1_NS1_11comp_targetILNS1_3genE8ELNS1_11target_archE1030ELNS1_3gpuE2ELNS1_3repE0EEENS1_36merge_oddeven_config_static_selectorELNS0_4arch9wavefront6targetE1EEEvSK_
	.p2align	8
	.type	_ZN7rocprim17ROCPRIM_400000_NS6detail17trampoline_kernelINS0_14default_configENS1_38merge_sort_block_merge_config_selectorImNS0_10empty_typeEEEZZNS1_27merge_sort_block_merge_implIS3_N6thrust23THRUST_200600_302600_NS6detail15normal_iteratorINS9_10device_ptrImEEEEPS5_m14custom_greaterImEEE10hipError_tT0_T1_T2_jT3_P12ihipStream_tbPNSt15iterator_traitsISJ_E10value_typeEPNSP_ISK_E10value_typeEPSL_NS1_7vsmem_tEENKUlT_SJ_SK_SL_E_clISE_PmSF_SF_EESI_SY_SJ_SK_SL_EUlSY_E1_NS1_11comp_targetILNS1_3genE8ELNS1_11target_archE1030ELNS1_3gpuE2ELNS1_3repE0EEENS1_36merge_oddeven_config_static_selectorELNS0_4arch9wavefront6targetE1EEEvSK_,@function
_ZN7rocprim17ROCPRIM_400000_NS6detail17trampoline_kernelINS0_14default_configENS1_38merge_sort_block_merge_config_selectorImNS0_10empty_typeEEEZZNS1_27merge_sort_block_merge_implIS3_N6thrust23THRUST_200600_302600_NS6detail15normal_iteratorINS9_10device_ptrImEEEEPS5_m14custom_greaterImEEE10hipError_tT0_T1_T2_jT3_P12ihipStream_tbPNSt15iterator_traitsISJ_E10value_typeEPNSP_ISK_E10value_typeEPSL_NS1_7vsmem_tEENKUlT_SJ_SK_SL_E_clISE_PmSF_SF_EESI_SY_SJ_SK_SL_EUlSY_E1_NS1_11comp_targetILNS1_3genE8ELNS1_11target_archE1030ELNS1_3gpuE2ELNS1_3repE0EEENS1_36merge_oddeven_config_static_selectorELNS0_4arch9wavefront6targetE1EEEvSK_: ; @_ZN7rocprim17ROCPRIM_400000_NS6detail17trampoline_kernelINS0_14default_configENS1_38merge_sort_block_merge_config_selectorImNS0_10empty_typeEEEZZNS1_27merge_sort_block_merge_implIS3_N6thrust23THRUST_200600_302600_NS6detail15normal_iteratorINS9_10device_ptrImEEEEPS5_m14custom_greaterImEEE10hipError_tT0_T1_T2_jT3_P12ihipStream_tbPNSt15iterator_traitsISJ_E10value_typeEPNSP_ISK_E10value_typeEPSL_NS1_7vsmem_tEENKUlT_SJ_SK_SL_E_clISE_PmSF_SF_EESI_SY_SJ_SK_SL_EUlSY_E1_NS1_11comp_targetILNS1_3genE8ELNS1_11target_archE1030ELNS1_3gpuE2ELNS1_3repE0EEENS1_36merge_oddeven_config_static_selectorELNS0_4arch9wavefront6targetE1EEEvSK_
; %bb.0:
	.section	.rodata,"a",@progbits
	.p2align	6, 0x0
	.amdhsa_kernel _ZN7rocprim17ROCPRIM_400000_NS6detail17trampoline_kernelINS0_14default_configENS1_38merge_sort_block_merge_config_selectorImNS0_10empty_typeEEEZZNS1_27merge_sort_block_merge_implIS3_N6thrust23THRUST_200600_302600_NS6detail15normal_iteratorINS9_10device_ptrImEEEEPS5_m14custom_greaterImEEE10hipError_tT0_T1_T2_jT3_P12ihipStream_tbPNSt15iterator_traitsISJ_E10value_typeEPNSP_ISK_E10value_typeEPSL_NS1_7vsmem_tEENKUlT_SJ_SK_SL_E_clISE_PmSF_SF_EESI_SY_SJ_SK_SL_EUlSY_E1_NS1_11comp_targetILNS1_3genE8ELNS1_11target_archE1030ELNS1_3gpuE2ELNS1_3repE0EEENS1_36merge_oddeven_config_static_selectorELNS0_4arch9wavefront6targetE1EEEvSK_
		.amdhsa_group_segment_fixed_size 0
		.amdhsa_private_segment_fixed_size 0
		.amdhsa_kernarg_size 56
		.amdhsa_user_sgpr_count 6
		.amdhsa_user_sgpr_private_segment_buffer 1
		.amdhsa_user_sgpr_dispatch_ptr 0
		.amdhsa_user_sgpr_queue_ptr 0
		.amdhsa_user_sgpr_kernarg_segment_ptr 1
		.amdhsa_user_sgpr_dispatch_id 0
		.amdhsa_user_sgpr_flat_scratch_init 0
		.amdhsa_user_sgpr_kernarg_preload_length 0
		.amdhsa_user_sgpr_kernarg_preload_offset 0
		.amdhsa_user_sgpr_private_segment_size 0
		.amdhsa_uses_dynamic_stack 0
		.amdhsa_system_sgpr_private_segment_wavefront_offset 0
		.amdhsa_system_sgpr_workgroup_id_x 1
		.amdhsa_system_sgpr_workgroup_id_y 0
		.amdhsa_system_sgpr_workgroup_id_z 0
		.amdhsa_system_sgpr_workgroup_info 0
		.amdhsa_system_vgpr_workitem_id 0
		.amdhsa_next_free_vgpr 1
		.amdhsa_next_free_sgpr 0
		.amdhsa_accum_offset 4
		.amdhsa_reserve_vcc 0
		.amdhsa_reserve_flat_scratch 0
		.amdhsa_float_round_mode_32 0
		.amdhsa_float_round_mode_16_64 0
		.amdhsa_float_denorm_mode_32 3
		.amdhsa_float_denorm_mode_16_64 3
		.amdhsa_dx10_clamp 1
		.amdhsa_ieee_mode 1
		.amdhsa_fp16_overflow 0
		.amdhsa_tg_split 0
		.amdhsa_exception_fp_ieee_invalid_op 0
		.amdhsa_exception_fp_denorm_src 0
		.amdhsa_exception_fp_ieee_div_zero 0
		.amdhsa_exception_fp_ieee_overflow 0
		.amdhsa_exception_fp_ieee_underflow 0
		.amdhsa_exception_fp_ieee_inexact 0
		.amdhsa_exception_int_div_zero 0
	.end_amdhsa_kernel
	.section	.text._ZN7rocprim17ROCPRIM_400000_NS6detail17trampoline_kernelINS0_14default_configENS1_38merge_sort_block_merge_config_selectorImNS0_10empty_typeEEEZZNS1_27merge_sort_block_merge_implIS3_N6thrust23THRUST_200600_302600_NS6detail15normal_iteratorINS9_10device_ptrImEEEEPS5_m14custom_greaterImEEE10hipError_tT0_T1_T2_jT3_P12ihipStream_tbPNSt15iterator_traitsISJ_E10value_typeEPNSP_ISK_E10value_typeEPSL_NS1_7vsmem_tEENKUlT_SJ_SK_SL_E_clISE_PmSF_SF_EESI_SY_SJ_SK_SL_EUlSY_E1_NS1_11comp_targetILNS1_3genE8ELNS1_11target_archE1030ELNS1_3gpuE2ELNS1_3repE0EEENS1_36merge_oddeven_config_static_selectorELNS0_4arch9wavefront6targetE1EEEvSK_,"axG",@progbits,_ZN7rocprim17ROCPRIM_400000_NS6detail17trampoline_kernelINS0_14default_configENS1_38merge_sort_block_merge_config_selectorImNS0_10empty_typeEEEZZNS1_27merge_sort_block_merge_implIS3_N6thrust23THRUST_200600_302600_NS6detail15normal_iteratorINS9_10device_ptrImEEEEPS5_m14custom_greaterImEEE10hipError_tT0_T1_T2_jT3_P12ihipStream_tbPNSt15iterator_traitsISJ_E10value_typeEPNSP_ISK_E10value_typeEPSL_NS1_7vsmem_tEENKUlT_SJ_SK_SL_E_clISE_PmSF_SF_EESI_SY_SJ_SK_SL_EUlSY_E1_NS1_11comp_targetILNS1_3genE8ELNS1_11target_archE1030ELNS1_3gpuE2ELNS1_3repE0EEENS1_36merge_oddeven_config_static_selectorELNS0_4arch9wavefront6targetE1EEEvSK_,comdat
.Lfunc_end3360:
	.size	_ZN7rocprim17ROCPRIM_400000_NS6detail17trampoline_kernelINS0_14default_configENS1_38merge_sort_block_merge_config_selectorImNS0_10empty_typeEEEZZNS1_27merge_sort_block_merge_implIS3_N6thrust23THRUST_200600_302600_NS6detail15normal_iteratorINS9_10device_ptrImEEEEPS5_m14custom_greaterImEEE10hipError_tT0_T1_T2_jT3_P12ihipStream_tbPNSt15iterator_traitsISJ_E10value_typeEPNSP_ISK_E10value_typeEPSL_NS1_7vsmem_tEENKUlT_SJ_SK_SL_E_clISE_PmSF_SF_EESI_SY_SJ_SK_SL_EUlSY_E1_NS1_11comp_targetILNS1_3genE8ELNS1_11target_archE1030ELNS1_3gpuE2ELNS1_3repE0EEENS1_36merge_oddeven_config_static_selectorELNS0_4arch9wavefront6targetE1EEEvSK_, .Lfunc_end3360-_ZN7rocprim17ROCPRIM_400000_NS6detail17trampoline_kernelINS0_14default_configENS1_38merge_sort_block_merge_config_selectorImNS0_10empty_typeEEEZZNS1_27merge_sort_block_merge_implIS3_N6thrust23THRUST_200600_302600_NS6detail15normal_iteratorINS9_10device_ptrImEEEEPS5_m14custom_greaterImEEE10hipError_tT0_T1_T2_jT3_P12ihipStream_tbPNSt15iterator_traitsISJ_E10value_typeEPNSP_ISK_E10value_typeEPSL_NS1_7vsmem_tEENKUlT_SJ_SK_SL_E_clISE_PmSF_SF_EESI_SY_SJ_SK_SL_EUlSY_E1_NS1_11comp_targetILNS1_3genE8ELNS1_11target_archE1030ELNS1_3gpuE2ELNS1_3repE0EEENS1_36merge_oddeven_config_static_selectorELNS0_4arch9wavefront6targetE1EEEvSK_
                                        ; -- End function
	.section	.AMDGPU.csdata,"",@progbits
; Kernel info:
; codeLenInByte = 0
; NumSgprs: 4
; NumVgprs: 0
; NumAgprs: 0
; TotalNumVgprs: 0
; ScratchSize: 0
; MemoryBound: 0
; FloatMode: 240
; IeeeMode: 1
; LDSByteSize: 0 bytes/workgroup (compile time only)
; SGPRBlocks: 0
; VGPRBlocks: 0
; NumSGPRsForWavesPerEU: 4
; NumVGPRsForWavesPerEU: 1
; AccumOffset: 4
; Occupancy: 8
; WaveLimiterHint : 0
; COMPUTE_PGM_RSRC2:SCRATCH_EN: 0
; COMPUTE_PGM_RSRC2:USER_SGPR: 6
; COMPUTE_PGM_RSRC2:TRAP_HANDLER: 0
; COMPUTE_PGM_RSRC2:TGID_X_EN: 1
; COMPUTE_PGM_RSRC2:TGID_Y_EN: 0
; COMPUTE_PGM_RSRC2:TGID_Z_EN: 0
; COMPUTE_PGM_RSRC2:TIDIG_COMP_CNT: 0
; COMPUTE_PGM_RSRC3_GFX90A:ACCUM_OFFSET: 0
; COMPUTE_PGM_RSRC3_GFX90A:TG_SPLIT: 0
	.section	.text._ZN7rocprim17ROCPRIM_400000_NS6detail17trampoline_kernelINS0_14default_configENS1_25transform_config_selectorImLb0EEEZNS1_14transform_implILb0ES3_S5_PmN6thrust23THRUST_200600_302600_NS6detail15normal_iteratorINS9_10device_ptrImEEEENS0_8identityImEEEE10hipError_tT2_T3_mT4_P12ihipStream_tbEUlT_E_NS1_11comp_targetILNS1_3genE0ELNS1_11target_archE4294967295ELNS1_3gpuE0ELNS1_3repE0EEENS1_30default_config_static_selectorELNS0_4arch9wavefront6targetE1EEEvT1_,"axG",@progbits,_ZN7rocprim17ROCPRIM_400000_NS6detail17trampoline_kernelINS0_14default_configENS1_25transform_config_selectorImLb0EEEZNS1_14transform_implILb0ES3_S5_PmN6thrust23THRUST_200600_302600_NS6detail15normal_iteratorINS9_10device_ptrImEEEENS0_8identityImEEEE10hipError_tT2_T3_mT4_P12ihipStream_tbEUlT_E_NS1_11comp_targetILNS1_3genE0ELNS1_11target_archE4294967295ELNS1_3gpuE0ELNS1_3repE0EEENS1_30default_config_static_selectorELNS0_4arch9wavefront6targetE1EEEvT1_,comdat
	.protected	_ZN7rocprim17ROCPRIM_400000_NS6detail17trampoline_kernelINS0_14default_configENS1_25transform_config_selectorImLb0EEEZNS1_14transform_implILb0ES3_S5_PmN6thrust23THRUST_200600_302600_NS6detail15normal_iteratorINS9_10device_ptrImEEEENS0_8identityImEEEE10hipError_tT2_T3_mT4_P12ihipStream_tbEUlT_E_NS1_11comp_targetILNS1_3genE0ELNS1_11target_archE4294967295ELNS1_3gpuE0ELNS1_3repE0EEENS1_30default_config_static_selectorELNS0_4arch9wavefront6targetE1EEEvT1_ ; -- Begin function _ZN7rocprim17ROCPRIM_400000_NS6detail17trampoline_kernelINS0_14default_configENS1_25transform_config_selectorImLb0EEEZNS1_14transform_implILb0ES3_S5_PmN6thrust23THRUST_200600_302600_NS6detail15normal_iteratorINS9_10device_ptrImEEEENS0_8identityImEEEE10hipError_tT2_T3_mT4_P12ihipStream_tbEUlT_E_NS1_11comp_targetILNS1_3genE0ELNS1_11target_archE4294967295ELNS1_3gpuE0ELNS1_3repE0EEENS1_30default_config_static_selectorELNS0_4arch9wavefront6targetE1EEEvT1_
	.globl	_ZN7rocprim17ROCPRIM_400000_NS6detail17trampoline_kernelINS0_14default_configENS1_25transform_config_selectorImLb0EEEZNS1_14transform_implILb0ES3_S5_PmN6thrust23THRUST_200600_302600_NS6detail15normal_iteratorINS9_10device_ptrImEEEENS0_8identityImEEEE10hipError_tT2_T3_mT4_P12ihipStream_tbEUlT_E_NS1_11comp_targetILNS1_3genE0ELNS1_11target_archE4294967295ELNS1_3gpuE0ELNS1_3repE0EEENS1_30default_config_static_selectorELNS0_4arch9wavefront6targetE1EEEvT1_
	.p2align	8
	.type	_ZN7rocprim17ROCPRIM_400000_NS6detail17trampoline_kernelINS0_14default_configENS1_25transform_config_selectorImLb0EEEZNS1_14transform_implILb0ES3_S5_PmN6thrust23THRUST_200600_302600_NS6detail15normal_iteratorINS9_10device_ptrImEEEENS0_8identityImEEEE10hipError_tT2_T3_mT4_P12ihipStream_tbEUlT_E_NS1_11comp_targetILNS1_3genE0ELNS1_11target_archE4294967295ELNS1_3gpuE0ELNS1_3repE0EEENS1_30default_config_static_selectorELNS0_4arch9wavefront6targetE1EEEvT1_,@function
_ZN7rocprim17ROCPRIM_400000_NS6detail17trampoline_kernelINS0_14default_configENS1_25transform_config_selectorImLb0EEEZNS1_14transform_implILb0ES3_S5_PmN6thrust23THRUST_200600_302600_NS6detail15normal_iteratorINS9_10device_ptrImEEEENS0_8identityImEEEE10hipError_tT2_T3_mT4_P12ihipStream_tbEUlT_E_NS1_11comp_targetILNS1_3genE0ELNS1_11target_archE4294967295ELNS1_3gpuE0ELNS1_3repE0EEENS1_30default_config_static_selectorELNS0_4arch9wavefront6targetE1EEEvT1_: ; @_ZN7rocprim17ROCPRIM_400000_NS6detail17trampoline_kernelINS0_14default_configENS1_25transform_config_selectorImLb0EEEZNS1_14transform_implILb0ES3_S5_PmN6thrust23THRUST_200600_302600_NS6detail15normal_iteratorINS9_10device_ptrImEEEENS0_8identityImEEEE10hipError_tT2_T3_mT4_P12ihipStream_tbEUlT_E_NS1_11comp_targetILNS1_3genE0ELNS1_11target_archE4294967295ELNS1_3gpuE0ELNS1_3repE0EEENS1_30default_config_static_selectorELNS0_4arch9wavefront6targetE1EEEvT1_
; %bb.0:
	.section	.rodata,"a",@progbits
	.p2align	6, 0x0
	.amdhsa_kernel _ZN7rocprim17ROCPRIM_400000_NS6detail17trampoline_kernelINS0_14default_configENS1_25transform_config_selectorImLb0EEEZNS1_14transform_implILb0ES3_S5_PmN6thrust23THRUST_200600_302600_NS6detail15normal_iteratorINS9_10device_ptrImEEEENS0_8identityImEEEE10hipError_tT2_T3_mT4_P12ihipStream_tbEUlT_E_NS1_11comp_targetILNS1_3genE0ELNS1_11target_archE4294967295ELNS1_3gpuE0ELNS1_3repE0EEENS1_30default_config_static_selectorELNS0_4arch9wavefront6targetE1EEEvT1_
		.amdhsa_group_segment_fixed_size 0
		.amdhsa_private_segment_fixed_size 0
		.amdhsa_kernarg_size 40
		.amdhsa_user_sgpr_count 6
		.amdhsa_user_sgpr_private_segment_buffer 1
		.amdhsa_user_sgpr_dispatch_ptr 0
		.amdhsa_user_sgpr_queue_ptr 0
		.amdhsa_user_sgpr_kernarg_segment_ptr 1
		.amdhsa_user_sgpr_dispatch_id 0
		.amdhsa_user_sgpr_flat_scratch_init 0
		.amdhsa_user_sgpr_kernarg_preload_length 0
		.amdhsa_user_sgpr_kernarg_preload_offset 0
		.amdhsa_user_sgpr_private_segment_size 0
		.amdhsa_uses_dynamic_stack 0
		.amdhsa_system_sgpr_private_segment_wavefront_offset 0
		.amdhsa_system_sgpr_workgroup_id_x 1
		.amdhsa_system_sgpr_workgroup_id_y 0
		.amdhsa_system_sgpr_workgroup_id_z 0
		.amdhsa_system_sgpr_workgroup_info 0
		.amdhsa_system_vgpr_workitem_id 0
		.amdhsa_next_free_vgpr 1
		.amdhsa_next_free_sgpr 0
		.amdhsa_accum_offset 4
		.amdhsa_reserve_vcc 0
		.amdhsa_reserve_flat_scratch 0
		.amdhsa_float_round_mode_32 0
		.amdhsa_float_round_mode_16_64 0
		.amdhsa_float_denorm_mode_32 3
		.amdhsa_float_denorm_mode_16_64 3
		.amdhsa_dx10_clamp 1
		.amdhsa_ieee_mode 1
		.amdhsa_fp16_overflow 0
		.amdhsa_tg_split 0
		.amdhsa_exception_fp_ieee_invalid_op 0
		.amdhsa_exception_fp_denorm_src 0
		.amdhsa_exception_fp_ieee_div_zero 0
		.amdhsa_exception_fp_ieee_overflow 0
		.amdhsa_exception_fp_ieee_underflow 0
		.amdhsa_exception_fp_ieee_inexact 0
		.amdhsa_exception_int_div_zero 0
	.end_amdhsa_kernel
	.section	.text._ZN7rocprim17ROCPRIM_400000_NS6detail17trampoline_kernelINS0_14default_configENS1_25transform_config_selectorImLb0EEEZNS1_14transform_implILb0ES3_S5_PmN6thrust23THRUST_200600_302600_NS6detail15normal_iteratorINS9_10device_ptrImEEEENS0_8identityImEEEE10hipError_tT2_T3_mT4_P12ihipStream_tbEUlT_E_NS1_11comp_targetILNS1_3genE0ELNS1_11target_archE4294967295ELNS1_3gpuE0ELNS1_3repE0EEENS1_30default_config_static_selectorELNS0_4arch9wavefront6targetE1EEEvT1_,"axG",@progbits,_ZN7rocprim17ROCPRIM_400000_NS6detail17trampoline_kernelINS0_14default_configENS1_25transform_config_selectorImLb0EEEZNS1_14transform_implILb0ES3_S5_PmN6thrust23THRUST_200600_302600_NS6detail15normal_iteratorINS9_10device_ptrImEEEENS0_8identityImEEEE10hipError_tT2_T3_mT4_P12ihipStream_tbEUlT_E_NS1_11comp_targetILNS1_3genE0ELNS1_11target_archE4294967295ELNS1_3gpuE0ELNS1_3repE0EEENS1_30default_config_static_selectorELNS0_4arch9wavefront6targetE1EEEvT1_,comdat
.Lfunc_end3361:
	.size	_ZN7rocprim17ROCPRIM_400000_NS6detail17trampoline_kernelINS0_14default_configENS1_25transform_config_selectorImLb0EEEZNS1_14transform_implILb0ES3_S5_PmN6thrust23THRUST_200600_302600_NS6detail15normal_iteratorINS9_10device_ptrImEEEENS0_8identityImEEEE10hipError_tT2_T3_mT4_P12ihipStream_tbEUlT_E_NS1_11comp_targetILNS1_3genE0ELNS1_11target_archE4294967295ELNS1_3gpuE0ELNS1_3repE0EEENS1_30default_config_static_selectorELNS0_4arch9wavefront6targetE1EEEvT1_, .Lfunc_end3361-_ZN7rocprim17ROCPRIM_400000_NS6detail17trampoline_kernelINS0_14default_configENS1_25transform_config_selectorImLb0EEEZNS1_14transform_implILb0ES3_S5_PmN6thrust23THRUST_200600_302600_NS6detail15normal_iteratorINS9_10device_ptrImEEEENS0_8identityImEEEE10hipError_tT2_T3_mT4_P12ihipStream_tbEUlT_E_NS1_11comp_targetILNS1_3genE0ELNS1_11target_archE4294967295ELNS1_3gpuE0ELNS1_3repE0EEENS1_30default_config_static_selectorELNS0_4arch9wavefront6targetE1EEEvT1_
                                        ; -- End function
	.section	.AMDGPU.csdata,"",@progbits
; Kernel info:
; codeLenInByte = 0
; NumSgprs: 4
; NumVgprs: 0
; NumAgprs: 0
; TotalNumVgprs: 0
; ScratchSize: 0
; MemoryBound: 0
; FloatMode: 240
; IeeeMode: 1
; LDSByteSize: 0 bytes/workgroup (compile time only)
; SGPRBlocks: 0
; VGPRBlocks: 0
; NumSGPRsForWavesPerEU: 4
; NumVGPRsForWavesPerEU: 1
; AccumOffset: 4
; Occupancy: 8
; WaveLimiterHint : 0
; COMPUTE_PGM_RSRC2:SCRATCH_EN: 0
; COMPUTE_PGM_RSRC2:USER_SGPR: 6
; COMPUTE_PGM_RSRC2:TRAP_HANDLER: 0
; COMPUTE_PGM_RSRC2:TGID_X_EN: 1
; COMPUTE_PGM_RSRC2:TGID_Y_EN: 0
; COMPUTE_PGM_RSRC2:TGID_Z_EN: 0
; COMPUTE_PGM_RSRC2:TIDIG_COMP_CNT: 0
; COMPUTE_PGM_RSRC3_GFX90A:ACCUM_OFFSET: 0
; COMPUTE_PGM_RSRC3_GFX90A:TG_SPLIT: 0
	.section	.text._ZN7rocprim17ROCPRIM_400000_NS6detail17trampoline_kernelINS0_14default_configENS1_25transform_config_selectorImLb0EEEZNS1_14transform_implILb0ES3_S5_PmN6thrust23THRUST_200600_302600_NS6detail15normal_iteratorINS9_10device_ptrImEEEENS0_8identityImEEEE10hipError_tT2_T3_mT4_P12ihipStream_tbEUlT_E_NS1_11comp_targetILNS1_3genE5ELNS1_11target_archE942ELNS1_3gpuE9ELNS1_3repE0EEENS1_30default_config_static_selectorELNS0_4arch9wavefront6targetE1EEEvT1_,"axG",@progbits,_ZN7rocprim17ROCPRIM_400000_NS6detail17trampoline_kernelINS0_14default_configENS1_25transform_config_selectorImLb0EEEZNS1_14transform_implILb0ES3_S5_PmN6thrust23THRUST_200600_302600_NS6detail15normal_iteratorINS9_10device_ptrImEEEENS0_8identityImEEEE10hipError_tT2_T3_mT4_P12ihipStream_tbEUlT_E_NS1_11comp_targetILNS1_3genE5ELNS1_11target_archE942ELNS1_3gpuE9ELNS1_3repE0EEENS1_30default_config_static_selectorELNS0_4arch9wavefront6targetE1EEEvT1_,comdat
	.protected	_ZN7rocprim17ROCPRIM_400000_NS6detail17trampoline_kernelINS0_14default_configENS1_25transform_config_selectorImLb0EEEZNS1_14transform_implILb0ES3_S5_PmN6thrust23THRUST_200600_302600_NS6detail15normal_iteratorINS9_10device_ptrImEEEENS0_8identityImEEEE10hipError_tT2_T3_mT4_P12ihipStream_tbEUlT_E_NS1_11comp_targetILNS1_3genE5ELNS1_11target_archE942ELNS1_3gpuE9ELNS1_3repE0EEENS1_30default_config_static_selectorELNS0_4arch9wavefront6targetE1EEEvT1_ ; -- Begin function _ZN7rocprim17ROCPRIM_400000_NS6detail17trampoline_kernelINS0_14default_configENS1_25transform_config_selectorImLb0EEEZNS1_14transform_implILb0ES3_S5_PmN6thrust23THRUST_200600_302600_NS6detail15normal_iteratorINS9_10device_ptrImEEEENS0_8identityImEEEE10hipError_tT2_T3_mT4_P12ihipStream_tbEUlT_E_NS1_11comp_targetILNS1_3genE5ELNS1_11target_archE942ELNS1_3gpuE9ELNS1_3repE0EEENS1_30default_config_static_selectorELNS0_4arch9wavefront6targetE1EEEvT1_
	.globl	_ZN7rocprim17ROCPRIM_400000_NS6detail17trampoline_kernelINS0_14default_configENS1_25transform_config_selectorImLb0EEEZNS1_14transform_implILb0ES3_S5_PmN6thrust23THRUST_200600_302600_NS6detail15normal_iteratorINS9_10device_ptrImEEEENS0_8identityImEEEE10hipError_tT2_T3_mT4_P12ihipStream_tbEUlT_E_NS1_11comp_targetILNS1_3genE5ELNS1_11target_archE942ELNS1_3gpuE9ELNS1_3repE0EEENS1_30default_config_static_selectorELNS0_4arch9wavefront6targetE1EEEvT1_
	.p2align	8
	.type	_ZN7rocprim17ROCPRIM_400000_NS6detail17trampoline_kernelINS0_14default_configENS1_25transform_config_selectorImLb0EEEZNS1_14transform_implILb0ES3_S5_PmN6thrust23THRUST_200600_302600_NS6detail15normal_iteratorINS9_10device_ptrImEEEENS0_8identityImEEEE10hipError_tT2_T3_mT4_P12ihipStream_tbEUlT_E_NS1_11comp_targetILNS1_3genE5ELNS1_11target_archE942ELNS1_3gpuE9ELNS1_3repE0EEENS1_30default_config_static_selectorELNS0_4arch9wavefront6targetE1EEEvT1_,@function
_ZN7rocprim17ROCPRIM_400000_NS6detail17trampoline_kernelINS0_14default_configENS1_25transform_config_selectorImLb0EEEZNS1_14transform_implILb0ES3_S5_PmN6thrust23THRUST_200600_302600_NS6detail15normal_iteratorINS9_10device_ptrImEEEENS0_8identityImEEEE10hipError_tT2_T3_mT4_P12ihipStream_tbEUlT_E_NS1_11comp_targetILNS1_3genE5ELNS1_11target_archE942ELNS1_3gpuE9ELNS1_3repE0EEENS1_30default_config_static_selectorELNS0_4arch9wavefront6targetE1EEEvT1_: ; @_ZN7rocprim17ROCPRIM_400000_NS6detail17trampoline_kernelINS0_14default_configENS1_25transform_config_selectorImLb0EEEZNS1_14transform_implILb0ES3_S5_PmN6thrust23THRUST_200600_302600_NS6detail15normal_iteratorINS9_10device_ptrImEEEENS0_8identityImEEEE10hipError_tT2_T3_mT4_P12ihipStream_tbEUlT_E_NS1_11comp_targetILNS1_3genE5ELNS1_11target_archE942ELNS1_3gpuE9ELNS1_3repE0EEENS1_30default_config_static_selectorELNS0_4arch9wavefront6targetE1EEEvT1_
; %bb.0:
	.section	.rodata,"a",@progbits
	.p2align	6, 0x0
	.amdhsa_kernel _ZN7rocprim17ROCPRIM_400000_NS6detail17trampoline_kernelINS0_14default_configENS1_25transform_config_selectorImLb0EEEZNS1_14transform_implILb0ES3_S5_PmN6thrust23THRUST_200600_302600_NS6detail15normal_iteratorINS9_10device_ptrImEEEENS0_8identityImEEEE10hipError_tT2_T3_mT4_P12ihipStream_tbEUlT_E_NS1_11comp_targetILNS1_3genE5ELNS1_11target_archE942ELNS1_3gpuE9ELNS1_3repE0EEENS1_30default_config_static_selectorELNS0_4arch9wavefront6targetE1EEEvT1_
		.amdhsa_group_segment_fixed_size 0
		.amdhsa_private_segment_fixed_size 0
		.amdhsa_kernarg_size 40
		.amdhsa_user_sgpr_count 6
		.amdhsa_user_sgpr_private_segment_buffer 1
		.amdhsa_user_sgpr_dispatch_ptr 0
		.amdhsa_user_sgpr_queue_ptr 0
		.amdhsa_user_sgpr_kernarg_segment_ptr 1
		.amdhsa_user_sgpr_dispatch_id 0
		.amdhsa_user_sgpr_flat_scratch_init 0
		.amdhsa_user_sgpr_kernarg_preload_length 0
		.amdhsa_user_sgpr_kernarg_preload_offset 0
		.amdhsa_user_sgpr_private_segment_size 0
		.amdhsa_uses_dynamic_stack 0
		.amdhsa_system_sgpr_private_segment_wavefront_offset 0
		.amdhsa_system_sgpr_workgroup_id_x 1
		.amdhsa_system_sgpr_workgroup_id_y 0
		.amdhsa_system_sgpr_workgroup_id_z 0
		.amdhsa_system_sgpr_workgroup_info 0
		.amdhsa_system_vgpr_workitem_id 0
		.amdhsa_next_free_vgpr 1
		.amdhsa_next_free_sgpr 0
		.amdhsa_accum_offset 4
		.amdhsa_reserve_vcc 0
		.amdhsa_reserve_flat_scratch 0
		.amdhsa_float_round_mode_32 0
		.amdhsa_float_round_mode_16_64 0
		.amdhsa_float_denorm_mode_32 3
		.amdhsa_float_denorm_mode_16_64 3
		.amdhsa_dx10_clamp 1
		.amdhsa_ieee_mode 1
		.amdhsa_fp16_overflow 0
		.amdhsa_tg_split 0
		.amdhsa_exception_fp_ieee_invalid_op 0
		.amdhsa_exception_fp_denorm_src 0
		.amdhsa_exception_fp_ieee_div_zero 0
		.amdhsa_exception_fp_ieee_overflow 0
		.amdhsa_exception_fp_ieee_underflow 0
		.amdhsa_exception_fp_ieee_inexact 0
		.amdhsa_exception_int_div_zero 0
	.end_amdhsa_kernel
	.section	.text._ZN7rocprim17ROCPRIM_400000_NS6detail17trampoline_kernelINS0_14default_configENS1_25transform_config_selectorImLb0EEEZNS1_14transform_implILb0ES3_S5_PmN6thrust23THRUST_200600_302600_NS6detail15normal_iteratorINS9_10device_ptrImEEEENS0_8identityImEEEE10hipError_tT2_T3_mT4_P12ihipStream_tbEUlT_E_NS1_11comp_targetILNS1_3genE5ELNS1_11target_archE942ELNS1_3gpuE9ELNS1_3repE0EEENS1_30default_config_static_selectorELNS0_4arch9wavefront6targetE1EEEvT1_,"axG",@progbits,_ZN7rocprim17ROCPRIM_400000_NS6detail17trampoline_kernelINS0_14default_configENS1_25transform_config_selectorImLb0EEEZNS1_14transform_implILb0ES3_S5_PmN6thrust23THRUST_200600_302600_NS6detail15normal_iteratorINS9_10device_ptrImEEEENS0_8identityImEEEE10hipError_tT2_T3_mT4_P12ihipStream_tbEUlT_E_NS1_11comp_targetILNS1_3genE5ELNS1_11target_archE942ELNS1_3gpuE9ELNS1_3repE0EEENS1_30default_config_static_selectorELNS0_4arch9wavefront6targetE1EEEvT1_,comdat
.Lfunc_end3362:
	.size	_ZN7rocprim17ROCPRIM_400000_NS6detail17trampoline_kernelINS0_14default_configENS1_25transform_config_selectorImLb0EEEZNS1_14transform_implILb0ES3_S5_PmN6thrust23THRUST_200600_302600_NS6detail15normal_iteratorINS9_10device_ptrImEEEENS0_8identityImEEEE10hipError_tT2_T3_mT4_P12ihipStream_tbEUlT_E_NS1_11comp_targetILNS1_3genE5ELNS1_11target_archE942ELNS1_3gpuE9ELNS1_3repE0EEENS1_30default_config_static_selectorELNS0_4arch9wavefront6targetE1EEEvT1_, .Lfunc_end3362-_ZN7rocprim17ROCPRIM_400000_NS6detail17trampoline_kernelINS0_14default_configENS1_25transform_config_selectorImLb0EEEZNS1_14transform_implILb0ES3_S5_PmN6thrust23THRUST_200600_302600_NS6detail15normal_iteratorINS9_10device_ptrImEEEENS0_8identityImEEEE10hipError_tT2_T3_mT4_P12ihipStream_tbEUlT_E_NS1_11comp_targetILNS1_3genE5ELNS1_11target_archE942ELNS1_3gpuE9ELNS1_3repE0EEENS1_30default_config_static_selectorELNS0_4arch9wavefront6targetE1EEEvT1_
                                        ; -- End function
	.section	.AMDGPU.csdata,"",@progbits
; Kernel info:
; codeLenInByte = 0
; NumSgprs: 4
; NumVgprs: 0
; NumAgprs: 0
; TotalNumVgprs: 0
; ScratchSize: 0
; MemoryBound: 0
; FloatMode: 240
; IeeeMode: 1
; LDSByteSize: 0 bytes/workgroup (compile time only)
; SGPRBlocks: 0
; VGPRBlocks: 0
; NumSGPRsForWavesPerEU: 4
; NumVGPRsForWavesPerEU: 1
; AccumOffset: 4
; Occupancy: 8
; WaveLimiterHint : 0
; COMPUTE_PGM_RSRC2:SCRATCH_EN: 0
; COMPUTE_PGM_RSRC2:USER_SGPR: 6
; COMPUTE_PGM_RSRC2:TRAP_HANDLER: 0
; COMPUTE_PGM_RSRC2:TGID_X_EN: 1
; COMPUTE_PGM_RSRC2:TGID_Y_EN: 0
; COMPUTE_PGM_RSRC2:TGID_Z_EN: 0
; COMPUTE_PGM_RSRC2:TIDIG_COMP_CNT: 0
; COMPUTE_PGM_RSRC3_GFX90A:ACCUM_OFFSET: 0
; COMPUTE_PGM_RSRC3_GFX90A:TG_SPLIT: 0
	.section	.text._ZN7rocprim17ROCPRIM_400000_NS6detail17trampoline_kernelINS0_14default_configENS1_25transform_config_selectorImLb0EEEZNS1_14transform_implILb0ES3_S5_PmN6thrust23THRUST_200600_302600_NS6detail15normal_iteratorINS9_10device_ptrImEEEENS0_8identityImEEEE10hipError_tT2_T3_mT4_P12ihipStream_tbEUlT_E_NS1_11comp_targetILNS1_3genE4ELNS1_11target_archE910ELNS1_3gpuE8ELNS1_3repE0EEENS1_30default_config_static_selectorELNS0_4arch9wavefront6targetE1EEEvT1_,"axG",@progbits,_ZN7rocprim17ROCPRIM_400000_NS6detail17trampoline_kernelINS0_14default_configENS1_25transform_config_selectorImLb0EEEZNS1_14transform_implILb0ES3_S5_PmN6thrust23THRUST_200600_302600_NS6detail15normal_iteratorINS9_10device_ptrImEEEENS0_8identityImEEEE10hipError_tT2_T3_mT4_P12ihipStream_tbEUlT_E_NS1_11comp_targetILNS1_3genE4ELNS1_11target_archE910ELNS1_3gpuE8ELNS1_3repE0EEENS1_30default_config_static_selectorELNS0_4arch9wavefront6targetE1EEEvT1_,comdat
	.protected	_ZN7rocprim17ROCPRIM_400000_NS6detail17trampoline_kernelINS0_14default_configENS1_25transform_config_selectorImLb0EEEZNS1_14transform_implILb0ES3_S5_PmN6thrust23THRUST_200600_302600_NS6detail15normal_iteratorINS9_10device_ptrImEEEENS0_8identityImEEEE10hipError_tT2_T3_mT4_P12ihipStream_tbEUlT_E_NS1_11comp_targetILNS1_3genE4ELNS1_11target_archE910ELNS1_3gpuE8ELNS1_3repE0EEENS1_30default_config_static_selectorELNS0_4arch9wavefront6targetE1EEEvT1_ ; -- Begin function _ZN7rocprim17ROCPRIM_400000_NS6detail17trampoline_kernelINS0_14default_configENS1_25transform_config_selectorImLb0EEEZNS1_14transform_implILb0ES3_S5_PmN6thrust23THRUST_200600_302600_NS6detail15normal_iteratorINS9_10device_ptrImEEEENS0_8identityImEEEE10hipError_tT2_T3_mT4_P12ihipStream_tbEUlT_E_NS1_11comp_targetILNS1_3genE4ELNS1_11target_archE910ELNS1_3gpuE8ELNS1_3repE0EEENS1_30default_config_static_selectorELNS0_4arch9wavefront6targetE1EEEvT1_
	.globl	_ZN7rocprim17ROCPRIM_400000_NS6detail17trampoline_kernelINS0_14default_configENS1_25transform_config_selectorImLb0EEEZNS1_14transform_implILb0ES3_S5_PmN6thrust23THRUST_200600_302600_NS6detail15normal_iteratorINS9_10device_ptrImEEEENS0_8identityImEEEE10hipError_tT2_T3_mT4_P12ihipStream_tbEUlT_E_NS1_11comp_targetILNS1_3genE4ELNS1_11target_archE910ELNS1_3gpuE8ELNS1_3repE0EEENS1_30default_config_static_selectorELNS0_4arch9wavefront6targetE1EEEvT1_
	.p2align	8
	.type	_ZN7rocprim17ROCPRIM_400000_NS6detail17trampoline_kernelINS0_14default_configENS1_25transform_config_selectorImLb0EEEZNS1_14transform_implILb0ES3_S5_PmN6thrust23THRUST_200600_302600_NS6detail15normal_iteratorINS9_10device_ptrImEEEENS0_8identityImEEEE10hipError_tT2_T3_mT4_P12ihipStream_tbEUlT_E_NS1_11comp_targetILNS1_3genE4ELNS1_11target_archE910ELNS1_3gpuE8ELNS1_3repE0EEENS1_30default_config_static_selectorELNS0_4arch9wavefront6targetE1EEEvT1_,@function
_ZN7rocprim17ROCPRIM_400000_NS6detail17trampoline_kernelINS0_14default_configENS1_25transform_config_selectorImLb0EEEZNS1_14transform_implILb0ES3_S5_PmN6thrust23THRUST_200600_302600_NS6detail15normal_iteratorINS9_10device_ptrImEEEENS0_8identityImEEEE10hipError_tT2_T3_mT4_P12ihipStream_tbEUlT_E_NS1_11comp_targetILNS1_3genE4ELNS1_11target_archE910ELNS1_3gpuE8ELNS1_3repE0EEENS1_30default_config_static_selectorELNS0_4arch9wavefront6targetE1EEEvT1_: ; @_ZN7rocprim17ROCPRIM_400000_NS6detail17trampoline_kernelINS0_14default_configENS1_25transform_config_selectorImLb0EEEZNS1_14transform_implILb0ES3_S5_PmN6thrust23THRUST_200600_302600_NS6detail15normal_iteratorINS9_10device_ptrImEEEENS0_8identityImEEEE10hipError_tT2_T3_mT4_P12ihipStream_tbEUlT_E_NS1_11comp_targetILNS1_3genE4ELNS1_11target_archE910ELNS1_3gpuE8ELNS1_3repE0EEENS1_30default_config_static_selectorELNS0_4arch9wavefront6targetE1EEEvT1_
; %bb.0:
	s_load_dwordx8 s[8:15], s[4:5], 0x0
	s_load_dword s2, s[4:5], 0x28
	v_lshlrev_b32_e32 v8, 3, v0
	s_waitcnt lgkmcnt(0)
	s_lshl_b64 s[0:1], s[10:11], 3
	s_add_u32 s3, s8, s0
	s_addc_u32 s4, s9, s1
	s_add_u32 s7, s14, s0
	s_addc_u32 s13, s15, s1
	s_lshl_b32 s0, s6, 9
	s_mov_b32 s1, 0
	s_add_i32 s2, s2, -1
	s_lshl_b64 s[8:9], s[0:1], 3
	s_add_u32 s10, s3, s8
	s_addc_u32 s11, s4, s9
	s_cmp_lg_u32 s6, s2
	s_cbranch_scc0 .LBB3363_2
; %bb.1:
	global_load_dwordx2 v[2:3], v8, s[10:11]
	global_load_dwordx2 v[4:5], v8, s[10:11] offset:2048
	s_add_u32 s1, s7, s8
	s_addc_u32 s4, s13, s9
	v_mov_b32_e32 v1, s4
	v_add_co_u32_e32 v6, vcc, s1, v8
	v_addc_co_u32_e32 v7, vcc, 0, v1, vcc
	s_mov_b64 s[4:5], -1
	s_waitcnt vmcnt(1)
	flat_store_dwordx2 v[6:7], v[2:3]
	s_cbranch_execz .LBB3363_3
	s_branch .LBB3363_14
.LBB3363_2:
	s_mov_b64 s[4:5], 0
                                        ; implicit-def: $vgpr4_vgpr5
                                        ; implicit-def: $vgpr6_vgpr7
.LBB3363_3:
	s_sub_i32 s2, s12, s0
	v_cmp_gt_u32_e32 vcc, s2, v0
                                        ; implicit-def: $vgpr2_vgpr3_vgpr4_vgpr5
	s_and_saveexec_b64 s[0:1], vcc
	s_cbranch_execz .LBB3363_5
; %bb.4:
	global_load_dwordx2 v[2:3], v8, s[10:11]
.LBB3363_5:
	s_or_b64 exec, exec, s[0:1]
	v_or_b32_e32 v1, 0x100, v0
	v_cmp_gt_u32_e64 s[0:1], s2, v1
	v_cmp_le_u32_e64 s[2:3], s2, v1
	s_and_saveexec_b64 s[14:15], s[2:3]
	s_xor_b64 s[2:3], exec, s[14:15]
; %bb.6:
	v_mov_b32_e32 v1, 0
                                        ; implicit-def: $vgpr8
; %bb.7:
	s_andn2_saveexec_b64 s[2:3], s[2:3]
	s_cbranch_execz .LBB3363_9
; %bb.8:
	global_load_dwordx2 v[4:5], v8, s[10:11] offset:2048
	v_mov_b32_e32 v1, 0
.LBB3363_9:
	s_or_b64 exec, exec, s[2:3]
	s_add_u32 s2, s7, s8
	s_addc_u32 s3, s13, s9
	v_lshlrev_b64 v[0:1], 3, v[0:1]
	v_mov_b32_e32 v7, s3
	v_add_co_u32_e64 v6, s[2:3], s2, v0
	v_addc_co_u32_e64 v7, s[2:3], v7, v1, s[2:3]
	s_and_saveexec_b64 s[2:3], vcc
	s_cbranch_execz .LBB3363_11
; %bb.10:
	s_waitcnt vmcnt(0)
	flat_store_dwordx2 v[6:7], v[2:3]
.LBB3363_11:
	s_or_b64 exec, exec, s[2:3]
	s_and_saveexec_b64 s[2:3], s[0:1]
; %bb.12:
	s_or_b64 s[4:5], s[4:5], exec
; %bb.13:
	s_or_b64 exec, exec, s[2:3]
.LBB3363_14:
	s_and_saveexec_b64 s[0:1], s[4:5]
	s_cbranch_execnz .LBB3363_16
; %bb.15:
	s_endpgm
.LBB3363_16:
	s_waitcnt vmcnt(0)
	flat_store_dwordx2 v[6:7], v[4:5] offset:2048
	s_endpgm
	.section	.rodata,"a",@progbits
	.p2align	6, 0x0
	.amdhsa_kernel _ZN7rocprim17ROCPRIM_400000_NS6detail17trampoline_kernelINS0_14default_configENS1_25transform_config_selectorImLb0EEEZNS1_14transform_implILb0ES3_S5_PmN6thrust23THRUST_200600_302600_NS6detail15normal_iteratorINS9_10device_ptrImEEEENS0_8identityImEEEE10hipError_tT2_T3_mT4_P12ihipStream_tbEUlT_E_NS1_11comp_targetILNS1_3genE4ELNS1_11target_archE910ELNS1_3gpuE8ELNS1_3repE0EEENS1_30default_config_static_selectorELNS0_4arch9wavefront6targetE1EEEvT1_
		.amdhsa_group_segment_fixed_size 0
		.amdhsa_private_segment_fixed_size 0
		.amdhsa_kernarg_size 296
		.amdhsa_user_sgpr_count 6
		.amdhsa_user_sgpr_private_segment_buffer 1
		.amdhsa_user_sgpr_dispatch_ptr 0
		.amdhsa_user_sgpr_queue_ptr 0
		.amdhsa_user_sgpr_kernarg_segment_ptr 1
		.amdhsa_user_sgpr_dispatch_id 0
		.amdhsa_user_sgpr_flat_scratch_init 0
		.amdhsa_user_sgpr_kernarg_preload_length 0
		.amdhsa_user_sgpr_kernarg_preload_offset 0
		.amdhsa_user_sgpr_private_segment_size 0
		.amdhsa_uses_dynamic_stack 0
		.amdhsa_system_sgpr_private_segment_wavefront_offset 0
		.amdhsa_system_sgpr_workgroup_id_x 1
		.amdhsa_system_sgpr_workgroup_id_y 0
		.amdhsa_system_sgpr_workgroup_id_z 0
		.amdhsa_system_sgpr_workgroup_info 0
		.amdhsa_system_vgpr_workitem_id 0
		.amdhsa_next_free_vgpr 9
		.amdhsa_next_free_sgpr 16
		.amdhsa_accum_offset 12
		.amdhsa_reserve_vcc 1
		.amdhsa_reserve_flat_scratch 0
		.amdhsa_float_round_mode_32 0
		.amdhsa_float_round_mode_16_64 0
		.amdhsa_float_denorm_mode_32 3
		.amdhsa_float_denorm_mode_16_64 3
		.amdhsa_dx10_clamp 1
		.amdhsa_ieee_mode 1
		.amdhsa_fp16_overflow 0
		.amdhsa_tg_split 0
		.amdhsa_exception_fp_ieee_invalid_op 0
		.amdhsa_exception_fp_denorm_src 0
		.amdhsa_exception_fp_ieee_div_zero 0
		.amdhsa_exception_fp_ieee_overflow 0
		.amdhsa_exception_fp_ieee_underflow 0
		.amdhsa_exception_fp_ieee_inexact 0
		.amdhsa_exception_int_div_zero 0
	.end_amdhsa_kernel
	.section	.text._ZN7rocprim17ROCPRIM_400000_NS6detail17trampoline_kernelINS0_14default_configENS1_25transform_config_selectorImLb0EEEZNS1_14transform_implILb0ES3_S5_PmN6thrust23THRUST_200600_302600_NS6detail15normal_iteratorINS9_10device_ptrImEEEENS0_8identityImEEEE10hipError_tT2_T3_mT4_P12ihipStream_tbEUlT_E_NS1_11comp_targetILNS1_3genE4ELNS1_11target_archE910ELNS1_3gpuE8ELNS1_3repE0EEENS1_30default_config_static_selectorELNS0_4arch9wavefront6targetE1EEEvT1_,"axG",@progbits,_ZN7rocprim17ROCPRIM_400000_NS6detail17trampoline_kernelINS0_14default_configENS1_25transform_config_selectorImLb0EEEZNS1_14transform_implILb0ES3_S5_PmN6thrust23THRUST_200600_302600_NS6detail15normal_iteratorINS9_10device_ptrImEEEENS0_8identityImEEEE10hipError_tT2_T3_mT4_P12ihipStream_tbEUlT_E_NS1_11comp_targetILNS1_3genE4ELNS1_11target_archE910ELNS1_3gpuE8ELNS1_3repE0EEENS1_30default_config_static_selectorELNS0_4arch9wavefront6targetE1EEEvT1_,comdat
.Lfunc_end3363:
	.size	_ZN7rocprim17ROCPRIM_400000_NS6detail17trampoline_kernelINS0_14default_configENS1_25transform_config_selectorImLb0EEEZNS1_14transform_implILb0ES3_S5_PmN6thrust23THRUST_200600_302600_NS6detail15normal_iteratorINS9_10device_ptrImEEEENS0_8identityImEEEE10hipError_tT2_T3_mT4_P12ihipStream_tbEUlT_E_NS1_11comp_targetILNS1_3genE4ELNS1_11target_archE910ELNS1_3gpuE8ELNS1_3repE0EEENS1_30default_config_static_selectorELNS0_4arch9wavefront6targetE1EEEvT1_, .Lfunc_end3363-_ZN7rocprim17ROCPRIM_400000_NS6detail17trampoline_kernelINS0_14default_configENS1_25transform_config_selectorImLb0EEEZNS1_14transform_implILb0ES3_S5_PmN6thrust23THRUST_200600_302600_NS6detail15normal_iteratorINS9_10device_ptrImEEEENS0_8identityImEEEE10hipError_tT2_T3_mT4_P12ihipStream_tbEUlT_E_NS1_11comp_targetILNS1_3genE4ELNS1_11target_archE910ELNS1_3gpuE8ELNS1_3repE0EEENS1_30default_config_static_selectorELNS0_4arch9wavefront6targetE1EEEvT1_
                                        ; -- End function
	.section	.AMDGPU.csdata,"",@progbits
; Kernel info:
; codeLenInByte = 328
; NumSgprs: 20
; NumVgprs: 9
; NumAgprs: 0
; TotalNumVgprs: 9
; ScratchSize: 0
; MemoryBound: 0
; FloatMode: 240
; IeeeMode: 1
; LDSByteSize: 0 bytes/workgroup (compile time only)
; SGPRBlocks: 2
; VGPRBlocks: 1
; NumSGPRsForWavesPerEU: 20
; NumVGPRsForWavesPerEU: 9
; AccumOffset: 12
; Occupancy: 8
; WaveLimiterHint : 1
; COMPUTE_PGM_RSRC2:SCRATCH_EN: 0
; COMPUTE_PGM_RSRC2:USER_SGPR: 6
; COMPUTE_PGM_RSRC2:TRAP_HANDLER: 0
; COMPUTE_PGM_RSRC2:TGID_X_EN: 1
; COMPUTE_PGM_RSRC2:TGID_Y_EN: 0
; COMPUTE_PGM_RSRC2:TGID_Z_EN: 0
; COMPUTE_PGM_RSRC2:TIDIG_COMP_CNT: 0
; COMPUTE_PGM_RSRC3_GFX90A:ACCUM_OFFSET: 2
; COMPUTE_PGM_RSRC3_GFX90A:TG_SPLIT: 0
	.section	.text._ZN7rocprim17ROCPRIM_400000_NS6detail17trampoline_kernelINS0_14default_configENS1_25transform_config_selectorImLb0EEEZNS1_14transform_implILb0ES3_S5_PmN6thrust23THRUST_200600_302600_NS6detail15normal_iteratorINS9_10device_ptrImEEEENS0_8identityImEEEE10hipError_tT2_T3_mT4_P12ihipStream_tbEUlT_E_NS1_11comp_targetILNS1_3genE3ELNS1_11target_archE908ELNS1_3gpuE7ELNS1_3repE0EEENS1_30default_config_static_selectorELNS0_4arch9wavefront6targetE1EEEvT1_,"axG",@progbits,_ZN7rocprim17ROCPRIM_400000_NS6detail17trampoline_kernelINS0_14default_configENS1_25transform_config_selectorImLb0EEEZNS1_14transform_implILb0ES3_S5_PmN6thrust23THRUST_200600_302600_NS6detail15normal_iteratorINS9_10device_ptrImEEEENS0_8identityImEEEE10hipError_tT2_T3_mT4_P12ihipStream_tbEUlT_E_NS1_11comp_targetILNS1_3genE3ELNS1_11target_archE908ELNS1_3gpuE7ELNS1_3repE0EEENS1_30default_config_static_selectorELNS0_4arch9wavefront6targetE1EEEvT1_,comdat
	.protected	_ZN7rocprim17ROCPRIM_400000_NS6detail17trampoline_kernelINS0_14default_configENS1_25transform_config_selectorImLb0EEEZNS1_14transform_implILb0ES3_S5_PmN6thrust23THRUST_200600_302600_NS6detail15normal_iteratorINS9_10device_ptrImEEEENS0_8identityImEEEE10hipError_tT2_T3_mT4_P12ihipStream_tbEUlT_E_NS1_11comp_targetILNS1_3genE3ELNS1_11target_archE908ELNS1_3gpuE7ELNS1_3repE0EEENS1_30default_config_static_selectorELNS0_4arch9wavefront6targetE1EEEvT1_ ; -- Begin function _ZN7rocprim17ROCPRIM_400000_NS6detail17trampoline_kernelINS0_14default_configENS1_25transform_config_selectorImLb0EEEZNS1_14transform_implILb0ES3_S5_PmN6thrust23THRUST_200600_302600_NS6detail15normal_iteratorINS9_10device_ptrImEEEENS0_8identityImEEEE10hipError_tT2_T3_mT4_P12ihipStream_tbEUlT_E_NS1_11comp_targetILNS1_3genE3ELNS1_11target_archE908ELNS1_3gpuE7ELNS1_3repE0EEENS1_30default_config_static_selectorELNS0_4arch9wavefront6targetE1EEEvT1_
	.globl	_ZN7rocprim17ROCPRIM_400000_NS6detail17trampoline_kernelINS0_14default_configENS1_25transform_config_selectorImLb0EEEZNS1_14transform_implILb0ES3_S5_PmN6thrust23THRUST_200600_302600_NS6detail15normal_iteratorINS9_10device_ptrImEEEENS0_8identityImEEEE10hipError_tT2_T3_mT4_P12ihipStream_tbEUlT_E_NS1_11comp_targetILNS1_3genE3ELNS1_11target_archE908ELNS1_3gpuE7ELNS1_3repE0EEENS1_30default_config_static_selectorELNS0_4arch9wavefront6targetE1EEEvT1_
	.p2align	8
	.type	_ZN7rocprim17ROCPRIM_400000_NS6detail17trampoline_kernelINS0_14default_configENS1_25transform_config_selectorImLb0EEEZNS1_14transform_implILb0ES3_S5_PmN6thrust23THRUST_200600_302600_NS6detail15normal_iteratorINS9_10device_ptrImEEEENS0_8identityImEEEE10hipError_tT2_T3_mT4_P12ihipStream_tbEUlT_E_NS1_11comp_targetILNS1_3genE3ELNS1_11target_archE908ELNS1_3gpuE7ELNS1_3repE0EEENS1_30default_config_static_selectorELNS0_4arch9wavefront6targetE1EEEvT1_,@function
_ZN7rocprim17ROCPRIM_400000_NS6detail17trampoline_kernelINS0_14default_configENS1_25transform_config_selectorImLb0EEEZNS1_14transform_implILb0ES3_S5_PmN6thrust23THRUST_200600_302600_NS6detail15normal_iteratorINS9_10device_ptrImEEEENS0_8identityImEEEE10hipError_tT2_T3_mT4_P12ihipStream_tbEUlT_E_NS1_11comp_targetILNS1_3genE3ELNS1_11target_archE908ELNS1_3gpuE7ELNS1_3repE0EEENS1_30default_config_static_selectorELNS0_4arch9wavefront6targetE1EEEvT1_: ; @_ZN7rocprim17ROCPRIM_400000_NS6detail17trampoline_kernelINS0_14default_configENS1_25transform_config_selectorImLb0EEEZNS1_14transform_implILb0ES3_S5_PmN6thrust23THRUST_200600_302600_NS6detail15normal_iteratorINS9_10device_ptrImEEEENS0_8identityImEEEE10hipError_tT2_T3_mT4_P12ihipStream_tbEUlT_E_NS1_11comp_targetILNS1_3genE3ELNS1_11target_archE908ELNS1_3gpuE7ELNS1_3repE0EEENS1_30default_config_static_selectorELNS0_4arch9wavefront6targetE1EEEvT1_
; %bb.0:
	.section	.rodata,"a",@progbits
	.p2align	6, 0x0
	.amdhsa_kernel _ZN7rocprim17ROCPRIM_400000_NS6detail17trampoline_kernelINS0_14default_configENS1_25transform_config_selectorImLb0EEEZNS1_14transform_implILb0ES3_S5_PmN6thrust23THRUST_200600_302600_NS6detail15normal_iteratorINS9_10device_ptrImEEEENS0_8identityImEEEE10hipError_tT2_T3_mT4_P12ihipStream_tbEUlT_E_NS1_11comp_targetILNS1_3genE3ELNS1_11target_archE908ELNS1_3gpuE7ELNS1_3repE0EEENS1_30default_config_static_selectorELNS0_4arch9wavefront6targetE1EEEvT1_
		.amdhsa_group_segment_fixed_size 0
		.amdhsa_private_segment_fixed_size 0
		.amdhsa_kernarg_size 40
		.amdhsa_user_sgpr_count 6
		.amdhsa_user_sgpr_private_segment_buffer 1
		.amdhsa_user_sgpr_dispatch_ptr 0
		.amdhsa_user_sgpr_queue_ptr 0
		.amdhsa_user_sgpr_kernarg_segment_ptr 1
		.amdhsa_user_sgpr_dispatch_id 0
		.amdhsa_user_sgpr_flat_scratch_init 0
		.amdhsa_user_sgpr_kernarg_preload_length 0
		.amdhsa_user_sgpr_kernarg_preload_offset 0
		.amdhsa_user_sgpr_private_segment_size 0
		.amdhsa_uses_dynamic_stack 0
		.amdhsa_system_sgpr_private_segment_wavefront_offset 0
		.amdhsa_system_sgpr_workgroup_id_x 1
		.amdhsa_system_sgpr_workgroup_id_y 0
		.amdhsa_system_sgpr_workgroup_id_z 0
		.amdhsa_system_sgpr_workgroup_info 0
		.amdhsa_system_vgpr_workitem_id 0
		.amdhsa_next_free_vgpr 1
		.amdhsa_next_free_sgpr 0
		.amdhsa_accum_offset 4
		.amdhsa_reserve_vcc 0
		.amdhsa_reserve_flat_scratch 0
		.amdhsa_float_round_mode_32 0
		.amdhsa_float_round_mode_16_64 0
		.amdhsa_float_denorm_mode_32 3
		.amdhsa_float_denorm_mode_16_64 3
		.amdhsa_dx10_clamp 1
		.amdhsa_ieee_mode 1
		.amdhsa_fp16_overflow 0
		.amdhsa_tg_split 0
		.amdhsa_exception_fp_ieee_invalid_op 0
		.amdhsa_exception_fp_denorm_src 0
		.amdhsa_exception_fp_ieee_div_zero 0
		.amdhsa_exception_fp_ieee_overflow 0
		.amdhsa_exception_fp_ieee_underflow 0
		.amdhsa_exception_fp_ieee_inexact 0
		.amdhsa_exception_int_div_zero 0
	.end_amdhsa_kernel
	.section	.text._ZN7rocprim17ROCPRIM_400000_NS6detail17trampoline_kernelINS0_14default_configENS1_25transform_config_selectorImLb0EEEZNS1_14transform_implILb0ES3_S5_PmN6thrust23THRUST_200600_302600_NS6detail15normal_iteratorINS9_10device_ptrImEEEENS0_8identityImEEEE10hipError_tT2_T3_mT4_P12ihipStream_tbEUlT_E_NS1_11comp_targetILNS1_3genE3ELNS1_11target_archE908ELNS1_3gpuE7ELNS1_3repE0EEENS1_30default_config_static_selectorELNS0_4arch9wavefront6targetE1EEEvT1_,"axG",@progbits,_ZN7rocprim17ROCPRIM_400000_NS6detail17trampoline_kernelINS0_14default_configENS1_25transform_config_selectorImLb0EEEZNS1_14transform_implILb0ES3_S5_PmN6thrust23THRUST_200600_302600_NS6detail15normal_iteratorINS9_10device_ptrImEEEENS0_8identityImEEEE10hipError_tT2_T3_mT4_P12ihipStream_tbEUlT_E_NS1_11comp_targetILNS1_3genE3ELNS1_11target_archE908ELNS1_3gpuE7ELNS1_3repE0EEENS1_30default_config_static_selectorELNS0_4arch9wavefront6targetE1EEEvT1_,comdat
.Lfunc_end3364:
	.size	_ZN7rocprim17ROCPRIM_400000_NS6detail17trampoline_kernelINS0_14default_configENS1_25transform_config_selectorImLb0EEEZNS1_14transform_implILb0ES3_S5_PmN6thrust23THRUST_200600_302600_NS6detail15normal_iteratorINS9_10device_ptrImEEEENS0_8identityImEEEE10hipError_tT2_T3_mT4_P12ihipStream_tbEUlT_E_NS1_11comp_targetILNS1_3genE3ELNS1_11target_archE908ELNS1_3gpuE7ELNS1_3repE0EEENS1_30default_config_static_selectorELNS0_4arch9wavefront6targetE1EEEvT1_, .Lfunc_end3364-_ZN7rocprim17ROCPRIM_400000_NS6detail17trampoline_kernelINS0_14default_configENS1_25transform_config_selectorImLb0EEEZNS1_14transform_implILb0ES3_S5_PmN6thrust23THRUST_200600_302600_NS6detail15normal_iteratorINS9_10device_ptrImEEEENS0_8identityImEEEE10hipError_tT2_T3_mT4_P12ihipStream_tbEUlT_E_NS1_11comp_targetILNS1_3genE3ELNS1_11target_archE908ELNS1_3gpuE7ELNS1_3repE0EEENS1_30default_config_static_selectorELNS0_4arch9wavefront6targetE1EEEvT1_
                                        ; -- End function
	.section	.AMDGPU.csdata,"",@progbits
; Kernel info:
; codeLenInByte = 0
; NumSgprs: 4
; NumVgprs: 0
; NumAgprs: 0
; TotalNumVgprs: 0
; ScratchSize: 0
; MemoryBound: 0
; FloatMode: 240
; IeeeMode: 1
; LDSByteSize: 0 bytes/workgroup (compile time only)
; SGPRBlocks: 0
; VGPRBlocks: 0
; NumSGPRsForWavesPerEU: 4
; NumVGPRsForWavesPerEU: 1
; AccumOffset: 4
; Occupancy: 8
; WaveLimiterHint : 0
; COMPUTE_PGM_RSRC2:SCRATCH_EN: 0
; COMPUTE_PGM_RSRC2:USER_SGPR: 6
; COMPUTE_PGM_RSRC2:TRAP_HANDLER: 0
; COMPUTE_PGM_RSRC2:TGID_X_EN: 1
; COMPUTE_PGM_RSRC2:TGID_Y_EN: 0
; COMPUTE_PGM_RSRC2:TGID_Z_EN: 0
; COMPUTE_PGM_RSRC2:TIDIG_COMP_CNT: 0
; COMPUTE_PGM_RSRC3_GFX90A:ACCUM_OFFSET: 0
; COMPUTE_PGM_RSRC3_GFX90A:TG_SPLIT: 0
	.section	.text._ZN7rocprim17ROCPRIM_400000_NS6detail17trampoline_kernelINS0_14default_configENS1_25transform_config_selectorImLb0EEEZNS1_14transform_implILb0ES3_S5_PmN6thrust23THRUST_200600_302600_NS6detail15normal_iteratorINS9_10device_ptrImEEEENS0_8identityImEEEE10hipError_tT2_T3_mT4_P12ihipStream_tbEUlT_E_NS1_11comp_targetILNS1_3genE2ELNS1_11target_archE906ELNS1_3gpuE6ELNS1_3repE0EEENS1_30default_config_static_selectorELNS0_4arch9wavefront6targetE1EEEvT1_,"axG",@progbits,_ZN7rocprim17ROCPRIM_400000_NS6detail17trampoline_kernelINS0_14default_configENS1_25transform_config_selectorImLb0EEEZNS1_14transform_implILb0ES3_S5_PmN6thrust23THRUST_200600_302600_NS6detail15normal_iteratorINS9_10device_ptrImEEEENS0_8identityImEEEE10hipError_tT2_T3_mT4_P12ihipStream_tbEUlT_E_NS1_11comp_targetILNS1_3genE2ELNS1_11target_archE906ELNS1_3gpuE6ELNS1_3repE0EEENS1_30default_config_static_selectorELNS0_4arch9wavefront6targetE1EEEvT1_,comdat
	.protected	_ZN7rocprim17ROCPRIM_400000_NS6detail17trampoline_kernelINS0_14default_configENS1_25transform_config_selectorImLb0EEEZNS1_14transform_implILb0ES3_S5_PmN6thrust23THRUST_200600_302600_NS6detail15normal_iteratorINS9_10device_ptrImEEEENS0_8identityImEEEE10hipError_tT2_T3_mT4_P12ihipStream_tbEUlT_E_NS1_11comp_targetILNS1_3genE2ELNS1_11target_archE906ELNS1_3gpuE6ELNS1_3repE0EEENS1_30default_config_static_selectorELNS0_4arch9wavefront6targetE1EEEvT1_ ; -- Begin function _ZN7rocprim17ROCPRIM_400000_NS6detail17trampoline_kernelINS0_14default_configENS1_25transform_config_selectorImLb0EEEZNS1_14transform_implILb0ES3_S5_PmN6thrust23THRUST_200600_302600_NS6detail15normal_iteratorINS9_10device_ptrImEEEENS0_8identityImEEEE10hipError_tT2_T3_mT4_P12ihipStream_tbEUlT_E_NS1_11comp_targetILNS1_3genE2ELNS1_11target_archE906ELNS1_3gpuE6ELNS1_3repE0EEENS1_30default_config_static_selectorELNS0_4arch9wavefront6targetE1EEEvT1_
	.globl	_ZN7rocprim17ROCPRIM_400000_NS6detail17trampoline_kernelINS0_14default_configENS1_25transform_config_selectorImLb0EEEZNS1_14transform_implILb0ES3_S5_PmN6thrust23THRUST_200600_302600_NS6detail15normal_iteratorINS9_10device_ptrImEEEENS0_8identityImEEEE10hipError_tT2_T3_mT4_P12ihipStream_tbEUlT_E_NS1_11comp_targetILNS1_3genE2ELNS1_11target_archE906ELNS1_3gpuE6ELNS1_3repE0EEENS1_30default_config_static_selectorELNS0_4arch9wavefront6targetE1EEEvT1_
	.p2align	8
	.type	_ZN7rocprim17ROCPRIM_400000_NS6detail17trampoline_kernelINS0_14default_configENS1_25transform_config_selectorImLb0EEEZNS1_14transform_implILb0ES3_S5_PmN6thrust23THRUST_200600_302600_NS6detail15normal_iteratorINS9_10device_ptrImEEEENS0_8identityImEEEE10hipError_tT2_T3_mT4_P12ihipStream_tbEUlT_E_NS1_11comp_targetILNS1_3genE2ELNS1_11target_archE906ELNS1_3gpuE6ELNS1_3repE0EEENS1_30default_config_static_selectorELNS0_4arch9wavefront6targetE1EEEvT1_,@function
_ZN7rocprim17ROCPRIM_400000_NS6detail17trampoline_kernelINS0_14default_configENS1_25transform_config_selectorImLb0EEEZNS1_14transform_implILb0ES3_S5_PmN6thrust23THRUST_200600_302600_NS6detail15normal_iteratorINS9_10device_ptrImEEEENS0_8identityImEEEE10hipError_tT2_T3_mT4_P12ihipStream_tbEUlT_E_NS1_11comp_targetILNS1_3genE2ELNS1_11target_archE906ELNS1_3gpuE6ELNS1_3repE0EEENS1_30default_config_static_selectorELNS0_4arch9wavefront6targetE1EEEvT1_: ; @_ZN7rocprim17ROCPRIM_400000_NS6detail17trampoline_kernelINS0_14default_configENS1_25transform_config_selectorImLb0EEEZNS1_14transform_implILb0ES3_S5_PmN6thrust23THRUST_200600_302600_NS6detail15normal_iteratorINS9_10device_ptrImEEEENS0_8identityImEEEE10hipError_tT2_T3_mT4_P12ihipStream_tbEUlT_E_NS1_11comp_targetILNS1_3genE2ELNS1_11target_archE906ELNS1_3gpuE6ELNS1_3repE0EEENS1_30default_config_static_selectorELNS0_4arch9wavefront6targetE1EEEvT1_
; %bb.0:
	.section	.rodata,"a",@progbits
	.p2align	6, 0x0
	.amdhsa_kernel _ZN7rocprim17ROCPRIM_400000_NS6detail17trampoline_kernelINS0_14default_configENS1_25transform_config_selectorImLb0EEEZNS1_14transform_implILb0ES3_S5_PmN6thrust23THRUST_200600_302600_NS6detail15normal_iteratorINS9_10device_ptrImEEEENS0_8identityImEEEE10hipError_tT2_T3_mT4_P12ihipStream_tbEUlT_E_NS1_11comp_targetILNS1_3genE2ELNS1_11target_archE906ELNS1_3gpuE6ELNS1_3repE0EEENS1_30default_config_static_selectorELNS0_4arch9wavefront6targetE1EEEvT1_
		.amdhsa_group_segment_fixed_size 0
		.amdhsa_private_segment_fixed_size 0
		.amdhsa_kernarg_size 40
		.amdhsa_user_sgpr_count 6
		.amdhsa_user_sgpr_private_segment_buffer 1
		.amdhsa_user_sgpr_dispatch_ptr 0
		.amdhsa_user_sgpr_queue_ptr 0
		.amdhsa_user_sgpr_kernarg_segment_ptr 1
		.amdhsa_user_sgpr_dispatch_id 0
		.amdhsa_user_sgpr_flat_scratch_init 0
		.amdhsa_user_sgpr_kernarg_preload_length 0
		.amdhsa_user_sgpr_kernarg_preload_offset 0
		.amdhsa_user_sgpr_private_segment_size 0
		.amdhsa_uses_dynamic_stack 0
		.amdhsa_system_sgpr_private_segment_wavefront_offset 0
		.amdhsa_system_sgpr_workgroup_id_x 1
		.amdhsa_system_sgpr_workgroup_id_y 0
		.amdhsa_system_sgpr_workgroup_id_z 0
		.amdhsa_system_sgpr_workgroup_info 0
		.amdhsa_system_vgpr_workitem_id 0
		.amdhsa_next_free_vgpr 1
		.amdhsa_next_free_sgpr 0
		.amdhsa_accum_offset 4
		.amdhsa_reserve_vcc 0
		.amdhsa_reserve_flat_scratch 0
		.amdhsa_float_round_mode_32 0
		.amdhsa_float_round_mode_16_64 0
		.amdhsa_float_denorm_mode_32 3
		.amdhsa_float_denorm_mode_16_64 3
		.amdhsa_dx10_clamp 1
		.amdhsa_ieee_mode 1
		.amdhsa_fp16_overflow 0
		.amdhsa_tg_split 0
		.amdhsa_exception_fp_ieee_invalid_op 0
		.amdhsa_exception_fp_denorm_src 0
		.amdhsa_exception_fp_ieee_div_zero 0
		.amdhsa_exception_fp_ieee_overflow 0
		.amdhsa_exception_fp_ieee_underflow 0
		.amdhsa_exception_fp_ieee_inexact 0
		.amdhsa_exception_int_div_zero 0
	.end_amdhsa_kernel
	.section	.text._ZN7rocprim17ROCPRIM_400000_NS6detail17trampoline_kernelINS0_14default_configENS1_25transform_config_selectorImLb0EEEZNS1_14transform_implILb0ES3_S5_PmN6thrust23THRUST_200600_302600_NS6detail15normal_iteratorINS9_10device_ptrImEEEENS0_8identityImEEEE10hipError_tT2_T3_mT4_P12ihipStream_tbEUlT_E_NS1_11comp_targetILNS1_3genE2ELNS1_11target_archE906ELNS1_3gpuE6ELNS1_3repE0EEENS1_30default_config_static_selectorELNS0_4arch9wavefront6targetE1EEEvT1_,"axG",@progbits,_ZN7rocprim17ROCPRIM_400000_NS6detail17trampoline_kernelINS0_14default_configENS1_25transform_config_selectorImLb0EEEZNS1_14transform_implILb0ES3_S5_PmN6thrust23THRUST_200600_302600_NS6detail15normal_iteratorINS9_10device_ptrImEEEENS0_8identityImEEEE10hipError_tT2_T3_mT4_P12ihipStream_tbEUlT_E_NS1_11comp_targetILNS1_3genE2ELNS1_11target_archE906ELNS1_3gpuE6ELNS1_3repE0EEENS1_30default_config_static_selectorELNS0_4arch9wavefront6targetE1EEEvT1_,comdat
.Lfunc_end3365:
	.size	_ZN7rocprim17ROCPRIM_400000_NS6detail17trampoline_kernelINS0_14default_configENS1_25transform_config_selectorImLb0EEEZNS1_14transform_implILb0ES3_S5_PmN6thrust23THRUST_200600_302600_NS6detail15normal_iteratorINS9_10device_ptrImEEEENS0_8identityImEEEE10hipError_tT2_T3_mT4_P12ihipStream_tbEUlT_E_NS1_11comp_targetILNS1_3genE2ELNS1_11target_archE906ELNS1_3gpuE6ELNS1_3repE0EEENS1_30default_config_static_selectorELNS0_4arch9wavefront6targetE1EEEvT1_, .Lfunc_end3365-_ZN7rocprim17ROCPRIM_400000_NS6detail17trampoline_kernelINS0_14default_configENS1_25transform_config_selectorImLb0EEEZNS1_14transform_implILb0ES3_S5_PmN6thrust23THRUST_200600_302600_NS6detail15normal_iteratorINS9_10device_ptrImEEEENS0_8identityImEEEE10hipError_tT2_T3_mT4_P12ihipStream_tbEUlT_E_NS1_11comp_targetILNS1_3genE2ELNS1_11target_archE906ELNS1_3gpuE6ELNS1_3repE0EEENS1_30default_config_static_selectorELNS0_4arch9wavefront6targetE1EEEvT1_
                                        ; -- End function
	.section	.AMDGPU.csdata,"",@progbits
; Kernel info:
; codeLenInByte = 0
; NumSgprs: 4
; NumVgprs: 0
; NumAgprs: 0
; TotalNumVgprs: 0
; ScratchSize: 0
; MemoryBound: 0
; FloatMode: 240
; IeeeMode: 1
; LDSByteSize: 0 bytes/workgroup (compile time only)
; SGPRBlocks: 0
; VGPRBlocks: 0
; NumSGPRsForWavesPerEU: 4
; NumVGPRsForWavesPerEU: 1
; AccumOffset: 4
; Occupancy: 8
; WaveLimiterHint : 0
; COMPUTE_PGM_RSRC2:SCRATCH_EN: 0
; COMPUTE_PGM_RSRC2:USER_SGPR: 6
; COMPUTE_PGM_RSRC2:TRAP_HANDLER: 0
; COMPUTE_PGM_RSRC2:TGID_X_EN: 1
; COMPUTE_PGM_RSRC2:TGID_Y_EN: 0
; COMPUTE_PGM_RSRC2:TGID_Z_EN: 0
; COMPUTE_PGM_RSRC2:TIDIG_COMP_CNT: 0
; COMPUTE_PGM_RSRC3_GFX90A:ACCUM_OFFSET: 0
; COMPUTE_PGM_RSRC3_GFX90A:TG_SPLIT: 0
	.section	.text._ZN7rocprim17ROCPRIM_400000_NS6detail17trampoline_kernelINS0_14default_configENS1_25transform_config_selectorImLb0EEEZNS1_14transform_implILb0ES3_S5_PmN6thrust23THRUST_200600_302600_NS6detail15normal_iteratorINS9_10device_ptrImEEEENS0_8identityImEEEE10hipError_tT2_T3_mT4_P12ihipStream_tbEUlT_E_NS1_11comp_targetILNS1_3genE10ELNS1_11target_archE1201ELNS1_3gpuE5ELNS1_3repE0EEENS1_30default_config_static_selectorELNS0_4arch9wavefront6targetE1EEEvT1_,"axG",@progbits,_ZN7rocprim17ROCPRIM_400000_NS6detail17trampoline_kernelINS0_14default_configENS1_25transform_config_selectorImLb0EEEZNS1_14transform_implILb0ES3_S5_PmN6thrust23THRUST_200600_302600_NS6detail15normal_iteratorINS9_10device_ptrImEEEENS0_8identityImEEEE10hipError_tT2_T3_mT4_P12ihipStream_tbEUlT_E_NS1_11comp_targetILNS1_3genE10ELNS1_11target_archE1201ELNS1_3gpuE5ELNS1_3repE0EEENS1_30default_config_static_selectorELNS0_4arch9wavefront6targetE1EEEvT1_,comdat
	.protected	_ZN7rocprim17ROCPRIM_400000_NS6detail17trampoline_kernelINS0_14default_configENS1_25transform_config_selectorImLb0EEEZNS1_14transform_implILb0ES3_S5_PmN6thrust23THRUST_200600_302600_NS6detail15normal_iteratorINS9_10device_ptrImEEEENS0_8identityImEEEE10hipError_tT2_T3_mT4_P12ihipStream_tbEUlT_E_NS1_11comp_targetILNS1_3genE10ELNS1_11target_archE1201ELNS1_3gpuE5ELNS1_3repE0EEENS1_30default_config_static_selectorELNS0_4arch9wavefront6targetE1EEEvT1_ ; -- Begin function _ZN7rocprim17ROCPRIM_400000_NS6detail17trampoline_kernelINS0_14default_configENS1_25transform_config_selectorImLb0EEEZNS1_14transform_implILb0ES3_S5_PmN6thrust23THRUST_200600_302600_NS6detail15normal_iteratorINS9_10device_ptrImEEEENS0_8identityImEEEE10hipError_tT2_T3_mT4_P12ihipStream_tbEUlT_E_NS1_11comp_targetILNS1_3genE10ELNS1_11target_archE1201ELNS1_3gpuE5ELNS1_3repE0EEENS1_30default_config_static_selectorELNS0_4arch9wavefront6targetE1EEEvT1_
	.globl	_ZN7rocprim17ROCPRIM_400000_NS6detail17trampoline_kernelINS0_14default_configENS1_25transform_config_selectorImLb0EEEZNS1_14transform_implILb0ES3_S5_PmN6thrust23THRUST_200600_302600_NS6detail15normal_iteratorINS9_10device_ptrImEEEENS0_8identityImEEEE10hipError_tT2_T3_mT4_P12ihipStream_tbEUlT_E_NS1_11comp_targetILNS1_3genE10ELNS1_11target_archE1201ELNS1_3gpuE5ELNS1_3repE0EEENS1_30default_config_static_selectorELNS0_4arch9wavefront6targetE1EEEvT1_
	.p2align	8
	.type	_ZN7rocprim17ROCPRIM_400000_NS6detail17trampoline_kernelINS0_14default_configENS1_25transform_config_selectorImLb0EEEZNS1_14transform_implILb0ES3_S5_PmN6thrust23THRUST_200600_302600_NS6detail15normal_iteratorINS9_10device_ptrImEEEENS0_8identityImEEEE10hipError_tT2_T3_mT4_P12ihipStream_tbEUlT_E_NS1_11comp_targetILNS1_3genE10ELNS1_11target_archE1201ELNS1_3gpuE5ELNS1_3repE0EEENS1_30default_config_static_selectorELNS0_4arch9wavefront6targetE1EEEvT1_,@function
_ZN7rocprim17ROCPRIM_400000_NS6detail17trampoline_kernelINS0_14default_configENS1_25transform_config_selectorImLb0EEEZNS1_14transform_implILb0ES3_S5_PmN6thrust23THRUST_200600_302600_NS6detail15normal_iteratorINS9_10device_ptrImEEEENS0_8identityImEEEE10hipError_tT2_T3_mT4_P12ihipStream_tbEUlT_E_NS1_11comp_targetILNS1_3genE10ELNS1_11target_archE1201ELNS1_3gpuE5ELNS1_3repE0EEENS1_30default_config_static_selectorELNS0_4arch9wavefront6targetE1EEEvT1_: ; @_ZN7rocprim17ROCPRIM_400000_NS6detail17trampoline_kernelINS0_14default_configENS1_25transform_config_selectorImLb0EEEZNS1_14transform_implILb0ES3_S5_PmN6thrust23THRUST_200600_302600_NS6detail15normal_iteratorINS9_10device_ptrImEEEENS0_8identityImEEEE10hipError_tT2_T3_mT4_P12ihipStream_tbEUlT_E_NS1_11comp_targetILNS1_3genE10ELNS1_11target_archE1201ELNS1_3gpuE5ELNS1_3repE0EEENS1_30default_config_static_selectorELNS0_4arch9wavefront6targetE1EEEvT1_
; %bb.0:
	.section	.rodata,"a",@progbits
	.p2align	6, 0x0
	.amdhsa_kernel _ZN7rocprim17ROCPRIM_400000_NS6detail17trampoline_kernelINS0_14default_configENS1_25transform_config_selectorImLb0EEEZNS1_14transform_implILb0ES3_S5_PmN6thrust23THRUST_200600_302600_NS6detail15normal_iteratorINS9_10device_ptrImEEEENS0_8identityImEEEE10hipError_tT2_T3_mT4_P12ihipStream_tbEUlT_E_NS1_11comp_targetILNS1_3genE10ELNS1_11target_archE1201ELNS1_3gpuE5ELNS1_3repE0EEENS1_30default_config_static_selectorELNS0_4arch9wavefront6targetE1EEEvT1_
		.amdhsa_group_segment_fixed_size 0
		.amdhsa_private_segment_fixed_size 0
		.amdhsa_kernarg_size 40
		.amdhsa_user_sgpr_count 6
		.amdhsa_user_sgpr_private_segment_buffer 1
		.amdhsa_user_sgpr_dispatch_ptr 0
		.amdhsa_user_sgpr_queue_ptr 0
		.amdhsa_user_sgpr_kernarg_segment_ptr 1
		.amdhsa_user_sgpr_dispatch_id 0
		.amdhsa_user_sgpr_flat_scratch_init 0
		.amdhsa_user_sgpr_kernarg_preload_length 0
		.amdhsa_user_sgpr_kernarg_preload_offset 0
		.amdhsa_user_sgpr_private_segment_size 0
		.amdhsa_uses_dynamic_stack 0
		.amdhsa_system_sgpr_private_segment_wavefront_offset 0
		.amdhsa_system_sgpr_workgroup_id_x 1
		.amdhsa_system_sgpr_workgroup_id_y 0
		.amdhsa_system_sgpr_workgroup_id_z 0
		.amdhsa_system_sgpr_workgroup_info 0
		.amdhsa_system_vgpr_workitem_id 0
		.amdhsa_next_free_vgpr 1
		.amdhsa_next_free_sgpr 0
		.amdhsa_accum_offset 4
		.amdhsa_reserve_vcc 0
		.amdhsa_reserve_flat_scratch 0
		.amdhsa_float_round_mode_32 0
		.amdhsa_float_round_mode_16_64 0
		.amdhsa_float_denorm_mode_32 3
		.amdhsa_float_denorm_mode_16_64 3
		.amdhsa_dx10_clamp 1
		.amdhsa_ieee_mode 1
		.amdhsa_fp16_overflow 0
		.amdhsa_tg_split 0
		.amdhsa_exception_fp_ieee_invalid_op 0
		.amdhsa_exception_fp_denorm_src 0
		.amdhsa_exception_fp_ieee_div_zero 0
		.amdhsa_exception_fp_ieee_overflow 0
		.amdhsa_exception_fp_ieee_underflow 0
		.amdhsa_exception_fp_ieee_inexact 0
		.amdhsa_exception_int_div_zero 0
	.end_amdhsa_kernel
	.section	.text._ZN7rocprim17ROCPRIM_400000_NS6detail17trampoline_kernelINS0_14default_configENS1_25transform_config_selectorImLb0EEEZNS1_14transform_implILb0ES3_S5_PmN6thrust23THRUST_200600_302600_NS6detail15normal_iteratorINS9_10device_ptrImEEEENS0_8identityImEEEE10hipError_tT2_T3_mT4_P12ihipStream_tbEUlT_E_NS1_11comp_targetILNS1_3genE10ELNS1_11target_archE1201ELNS1_3gpuE5ELNS1_3repE0EEENS1_30default_config_static_selectorELNS0_4arch9wavefront6targetE1EEEvT1_,"axG",@progbits,_ZN7rocprim17ROCPRIM_400000_NS6detail17trampoline_kernelINS0_14default_configENS1_25transform_config_selectorImLb0EEEZNS1_14transform_implILb0ES3_S5_PmN6thrust23THRUST_200600_302600_NS6detail15normal_iteratorINS9_10device_ptrImEEEENS0_8identityImEEEE10hipError_tT2_T3_mT4_P12ihipStream_tbEUlT_E_NS1_11comp_targetILNS1_3genE10ELNS1_11target_archE1201ELNS1_3gpuE5ELNS1_3repE0EEENS1_30default_config_static_selectorELNS0_4arch9wavefront6targetE1EEEvT1_,comdat
.Lfunc_end3366:
	.size	_ZN7rocprim17ROCPRIM_400000_NS6detail17trampoline_kernelINS0_14default_configENS1_25transform_config_selectorImLb0EEEZNS1_14transform_implILb0ES3_S5_PmN6thrust23THRUST_200600_302600_NS6detail15normal_iteratorINS9_10device_ptrImEEEENS0_8identityImEEEE10hipError_tT2_T3_mT4_P12ihipStream_tbEUlT_E_NS1_11comp_targetILNS1_3genE10ELNS1_11target_archE1201ELNS1_3gpuE5ELNS1_3repE0EEENS1_30default_config_static_selectorELNS0_4arch9wavefront6targetE1EEEvT1_, .Lfunc_end3366-_ZN7rocprim17ROCPRIM_400000_NS6detail17trampoline_kernelINS0_14default_configENS1_25transform_config_selectorImLb0EEEZNS1_14transform_implILb0ES3_S5_PmN6thrust23THRUST_200600_302600_NS6detail15normal_iteratorINS9_10device_ptrImEEEENS0_8identityImEEEE10hipError_tT2_T3_mT4_P12ihipStream_tbEUlT_E_NS1_11comp_targetILNS1_3genE10ELNS1_11target_archE1201ELNS1_3gpuE5ELNS1_3repE0EEENS1_30default_config_static_selectorELNS0_4arch9wavefront6targetE1EEEvT1_
                                        ; -- End function
	.section	.AMDGPU.csdata,"",@progbits
; Kernel info:
; codeLenInByte = 0
; NumSgprs: 4
; NumVgprs: 0
; NumAgprs: 0
; TotalNumVgprs: 0
; ScratchSize: 0
; MemoryBound: 0
; FloatMode: 240
; IeeeMode: 1
; LDSByteSize: 0 bytes/workgroup (compile time only)
; SGPRBlocks: 0
; VGPRBlocks: 0
; NumSGPRsForWavesPerEU: 4
; NumVGPRsForWavesPerEU: 1
; AccumOffset: 4
; Occupancy: 8
; WaveLimiterHint : 0
; COMPUTE_PGM_RSRC2:SCRATCH_EN: 0
; COMPUTE_PGM_RSRC2:USER_SGPR: 6
; COMPUTE_PGM_RSRC2:TRAP_HANDLER: 0
; COMPUTE_PGM_RSRC2:TGID_X_EN: 1
; COMPUTE_PGM_RSRC2:TGID_Y_EN: 0
; COMPUTE_PGM_RSRC2:TGID_Z_EN: 0
; COMPUTE_PGM_RSRC2:TIDIG_COMP_CNT: 0
; COMPUTE_PGM_RSRC3_GFX90A:ACCUM_OFFSET: 0
; COMPUTE_PGM_RSRC3_GFX90A:TG_SPLIT: 0
	.section	.text._ZN7rocprim17ROCPRIM_400000_NS6detail17trampoline_kernelINS0_14default_configENS1_25transform_config_selectorImLb0EEEZNS1_14transform_implILb0ES3_S5_PmN6thrust23THRUST_200600_302600_NS6detail15normal_iteratorINS9_10device_ptrImEEEENS0_8identityImEEEE10hipError_tT2_T3_mT4_P12ihipStream_tbEUlT_E_NS1_11comp_targetILNS1_3genE10ELNS1_11target_archE1200ELNS1_3gpuE4ELNS1_3repE0EEENS1_30default_config_static_selectorELNS0_4arch9wavefront6targetE1EEEvT1_,"axG",@progbits,_ZN7rocprim17ROCPRIM_400000_NS6detail17trampoline_kernelINS0_14default_configENS1_25transform_config_selectorImLb0EEEZNS1_14transform_implILb0ES3_S5_PmN6thrust23THRUST_200600_302600_NS6detail15normal_iteratorINS9_10device_ptrImEEEENS0_8identityImEEEE10hipError_tT2_T3_mT4_P12ihipStream_tbEUlT_E_NS1_11comp_targetILNS1_3genE10ELNS1_11target_archE1200ELNS1_3gpuE4ELNS1_3repE0EEENS1_30default_config_static_selectorELNS0_4arch9wavefront6targetE1EEEvT1_,comdat
	.protected	_ZN7rocprim17ROCPRIM_400000_NS6detail17trampoline_kernelINS0_14default_configENS1_25transform_config_selectorImLb0EEEZNS1_14transform_implILb0ES3_S5_PmN6thrust23THRUST_200600_302600_NS6detail15normal_iteratorINS9_10device_ptrImEEEENS0_8identityImEEEE10hipError_tT2_T3_mT4_P12ihipStream_tbEUlT_E_NS1_11comp_targetILNS1_3genE10ELNS1_11target_archE1200ELNS1_3gpuE4ELNS1_3repE0EEENS1_30default_config_static_selectorELNS0_4arch9wavefront6targetE1EEEvT1_ ; -- Begin function _ZN7rocprim17ROCPRIM_400000_NS6detail17trampoline_kernelINS0_14default_configENS1_25transform_config_selectorImLb0EEEZNS1_14transform_implILb0ES3_S5_PmN6thrust23THRUST_200600_302600_NS6detail15normal_iteratorINS9_10device_ptrImEEEENS0_8identityImEEEE10hipError_tT2_T3_mT4_P12ihipStream_tbEUlT_E_NS1_11comp_targetILNS1_3genE10ELNS1_11target_archE1200ELNS1_3gpuE4ELNS1_3repE0EEENS1_30default_config_static_selectorELNS0_4arch9wavefront6targetE1EEEvT1_
	.globl	_ZN7rocprim17ROCPRIM_400000_NS6detail17trampoline_kernelINS0_14default_configENS1_25transform_config_selectorImLb0EEEZNS1_14transform_implILb0ES3_S5_PmN6thrust23THRUST_200600_302600_NS6detail15normal_iteratorINS9_10device_ptrImEEEENS0_8identityImEEEE10hipError_tT2_T3_mT4_P12ihipStream_tbEUlT_E_NS1_11comp_targetILNS1_3genE10ELNS1_11target_archE1200ELNS1_3gpuE4ELNS1_3repE0EEENS1_30default_config_static_selectorELNS0_4arch9wavefront6targetE1EEEvT1_
	.p2align	8
	.type	_ZN7rocprim17ROCPRIM_400000_NS6detail17trampoline_kernelINS0_14default_configENS1_25transform_config_selectorImLb0EEEZNS1_14transform_implILb0ES3_S5_PmN6thrust23THRUST_200600_302600_NS6detail15normal_iteratorINS9_10device_ptrImEEEENS0_8identityImEEEE10hipError_tT2_T3_mT4_P12ihipStream_tbEUlT_E_NS1_11comp_targetILNS1_3genE10ELNS1_11target_archE1200ELNS1_3gpuE4ELNS1_3repE0EEENS1_30default_config_static_selectorELNS0_4arch9wavefront6targetE1EEEvT1_,@function
_ZN7rocprim17ROCPRIM_400000_NS6detail17trampoline_kernelINS0_14default_configENS1_25transform_config_selectorImLb0EEEZNS1_14transform_implILb0ES3_S5_PmN6thrust23THRUST_200600_302600_NS6detail15normal_iteratorINS9_10device_ptrImEEEENS0_8identityImEEEE10hipError_tT2_T3_mT4_P12ihipStream_tbEUlT_E_NS1_11comp_targetILNS1_3genE10ELNS1_11target_archE1200ELNS1_3gpuE4ELNS1_3repE0EEENS1_30default_config_static_selectorELNS0_4arch9wavefront6targetE1EEEvT1_: ; @_ZN7rocprim17ROCPRIM_400000_NS6detail17trampoline_kernelINS0_14default_configENS1_25transform_config_selectorImLb0EEEZNS1_14transform_implILb0ES3_S5_PmN6thrust23THRUST_200600_302600_NS6detail15normal_iteratorINS9_10device_ptrImEEEENS0_8identityImEEEE10hipError_tT2_T3_mT4_P12ihipStream_tbEUlT_E_NS1_11comp_targetILNS1_3genE10ELNS1_11target_archE1200ELNS1_3gpuE4ELNS1_3repE0EEENS1_30default_config_static_selectorELNS0_4arch9wavefront6targetE1EEEvT1_
; %bb.0:
	.section	.rodata,"a",@progbits
	.p2align	6, 0x0
	.amdhsa_kernel _ZN7rocprim17ROCPRIM_400000_NS6detail17trampoline_kernelINS0_14default_configENS1_25transform_config_selectorImLb0EEEZNS1_14transform_implILb0ES3_S5_PmN6thrust23THRUST_200600_302600_NS6detail15normal_iteratorINS9_10device_ptrImEEEENS0_8identityImEEEE10hipError_tT2_T3_mT4_P12ihipStream_tbEUlT_E_NS1_11comp_targetILNS1_3genE10ELNS1_11target_archE1200ELNS1_3gpuE4ELNS1_3repE0EEENS1_30default_config_static_selectorELNS0_4arch9wavefront6targetE1EEEvT1_
		.amdhsa_group_segment_fixed_size 0
		.amdhsa_private_segment_fixed_size 0
		.amdhsa_kernarg_size 40
		.amdhsa_user_sgpr_count 6
		.amdhsa_user_sgpr_private_segment_buffer 1
		.amdhsa_user_sgpr_dispatch_ptr 0
		.amdhsa_user_sgpr_queue_ptr 0
		.amdhsa_user_sgpr_kernarg_segment_ptr 1
		.amdhsa_user_sgpr_dispatch_id 0
		.amdhsa_user_sgpr_flat_scratch_init 0
		.amdhsa_user_sgpr_kernarg_preload_length 0
		.amdhsa_user_sgpr_kernarg_preload_offset 0
		.amdhsa_user_sgpr_private_segment_size 0
		.amdhsa_uses_dynamic_stack 0
		.amdhsa_system_sgpr_private_segment_wavefront_offset 0
		.amdhsa_system_sgpr_workgroup_id_x 1
		.amdhsa_system_sgpr_workgroup_id_y 0
		.amdhsa_system_sgpr_workgroup_id_z 0
		.amdhsa_system_sgpr_workgroup_info 0
		.amdhsa_system_vgpr_workitem_id 0
		.amdhsa_next_free_vgpr 1
		.amdhsa_next_free_sgpr 0
		.amdhsa_accum_offset 4
		.amdhsa_reserve_vcc 0
		.amdhsa_reserve_flat_scratch 0
		.amdhsa_float_round_mode_32 0
		.amdhsa_float_round_mode_16_64 0
		.amdhsa_float_denorm_mode_32 3
		.amdhsa_float_denorm_mode_16_64 3
		.amdhsa_dx10_clamp 1
		.amdhsa_ieee_mode 1
		.amdhsa_fp16_overflow 0
		.amdhsa_tg_split 0
		.amdhsa_exception_fp_ieee_invalid_op 0
		.amdhsa_exception_fp_denorm_src 0
		.amdhsa_exception_fp_ieee_div_zero 0
		.amdhsa_exception_fp_ieee_overflow 0
		.amdhsa_exception_fp_ieee_underflow 0
		.amdhsa_exception_fp_ieee_inexact 0
		.amdhsa_exception_int_div_zero 0
	.end_amdhsa_kernel
	.section	.text._ZN7rocprim17ROCPRIM_400000_NS6detail17trampoline_kernelINS0_14default_configENS1_25transform_config_selectorImLb0EEEZNS1_14transform_implILb0ES3_S5_PmN6thrust23THRUST_200600_302600_NS6detail15normal_iteratorINS9_10device_ptrImEEEENS0_8identityImEEEE10hipError_tT2_T3_mT4_P12ihipStream_tbEUlT_E_NS1_11comp_targetILNS1_3genE10ELNS1_11target_archE1200ELNS1_3gpuE4ELNS1_3repE0EEENS1_30default_config_static_selectorELNS0_4arch9wavefront6targetE1EEEvT1_,"axG",@progbits,_ZN7rocprim17ROCPRIM_400000_NS6detail17trampoline_kernelINS0_14default_configENS1_25transform_config_selectorImLb0EEEZNS1_14transform_implILb0ES3_S5_PmN6thrust23THRUST_200600_302600_NS6detail15normal_iteratorINS9_10device_ptrImEEEENS0_8identityImEEEE10hipError_tT2_T3_mT4_P12ihipStream_tbEUlT_E_NS1_11comp_targetILNS1_3genE10ELNS1_11target_archE1200ELNS1_3gpuE4ELNS1_3repE0EEENS1_30default_config_static_selectorELNS0_4arch9wavefront6targetE1EEEvT1_,comdat
.Lfunc_end3367:
	.size	_ZN7rocprim17ROCPRIM_400000_NS6detail17trampoline_kernelINS0_14default_configENS1_25transform_config_selectorImLb0EEEZNS1_14transform_implILb0ES3_S5_PmN6thrust23THRUST_200600_302600_NS6detail15normal_iteratorINS9_10device_ptrImEEEENS0_8identityImEEEE10hipError_tT2_T3_mT4_P12ihipStream_tbEUlT_E_NS1_11comp_targetILNS1_3genE10ELNS1_11target_archE1200ELNS1_3gpuE4ELNS1_3repE0EEENS1_30default_config_static_selectorELNS0_4arch9wavefront6targetE1EEEvT1_, .Lfunc_end3367-_ZN7rocprim17ROCPRIM_400000_NS6detail17trampoline_kernelINS0_14default_configENS1_25transform_config_selectorImLb0EEEZNS1_14transform_implILb0ES3_S5_PmN6thrust23THRUST_200600_302600_NS6detail15normal_iteratorINS9_10device_ptrImEEEENS0_8identityImEEEE10hipError_tT2_T3_mT4_P12ihipStream_tbEUlT_E_NS1_11comp_targetILNS1_3genE10ELNS1_11target_archE1200ELNS1_3gpuE4ELNS1_3repE0EEENS1_30default_config_static_selectorELNS0_4arch9wavefront6targetE1EEEvT1_
                                        ; -- End function
	.section	.AMDGPU.csdata,"",@progbits
; Kernel info:
; codeLenInByte = 0
; NumSgprs: 4
; NumVgprs: 0
; NumAgprs: 0
; TotalNumVgprs: 0
; ScratchSize: 0
; MemoryBound: 0
; FloatMode: 240
; IeeeMode: 1
; LDSByteSize: 0 bytes/workgroup (compile time only)
; SGPRBlocks: 0
; VGPRBlocks: 0
; NumSGPRsForWavesPerEU: 4
; NumVGPRsForWavesPerEU: 1
; AccumOffset: 4
; Occupancy: 8
; WaveLimiterHint : 0
; COMPUTE_PGM_RSRC2:SCRATCH_EN: 0
; COMPUTE_PGM_RSRC2:USER_SGPR: 6
; COMPUTE_PGM_RSRC2:TRAP_HANDLER: 0
; COMPUTE_PGM_RSRC2:TGID_X_EN: 1
; COMPUTE_PGM_RSRC2:TGID_Y_EN: 0
; COMPUTE_PGM_RSRC2:TGID_Z_EN: 0
; COMPUTE_PGM_RSRC2:TIDIG_COMP_CNT: 0
; COMPUTE_PGM_RSRC3_GFX90A:ACCUM_OFFSET: 0
; COMPUTE_PGM_RSRC3_GFX90A:TG_SPLIT: 0
	.section	.text._ZN7rocprim17ROCPRIM_400000_NS6detail17trampoline_kernelINS0_14default_configENS1_25transform_config_selectorImLb0EEEZNS1_14transform_implILb0ES3_S5_PmN6thrust23THRUST_200600_302600_NS6detail15normal_iteratorINS9_10device_ptrImEEEENS0_8identityImEEEE10hipError_tT2_T3_mT4_P12ihipStream_tbEUlT_E_NS1_11comp_targetILNS1_3genE9ELNS1_11target_archE1100ELNS1_3gpuE3ELNS1_3repE0EEENS1_30default_config_static_selectorELNS0_4arch9wavefront6targetE1EEEvT1_,"axG",@progbits,_ZN7rocprim17ROCPRIM_400000_NS6detail17trampoline_kernelINS0_14default_configENS1_25transform_config_selectorImLb0EEEZNS1_14transform_implILb0ES3_S5_PmN6thrust23THRUST_200600_302600_NS6detail15normal_iteratorINS9_10device_ptrImEEEENS0_8identityImEEEE10hipError_tT2_T3_mT4_P12ihipStream_tbEUlT_E_NS1_11comp_targetILNS1_3genE9ELNS1_11target_archE1100ELNS1_3gpuE3ELNS1_3repE0EEENS1_30default_config_static_selectorELNS0_4arch9wavefront6targetE1EEEvT1_,comdat
	.protected	_ZN7rocprim17ROCPRIM_400000_NS6detail17trampoline_kernelINS0_14default_configENS1_25transform_config_selectorImLb0EEEZNS1_14transform_implILb0ES3_S5_PmN6thrust23THRUST_200600_302600_NS6detail15normal_iteratorINS9_10device_ptrImEEEENS0_8identityImEEEE10hipError_tT2_T3_mT4_P12ihipStream_tbEUlT_E_NS1_11comp_targetILNS1_3genE9ELNS1_11target_archE1100ELNS1_3gpuE3ELNS1_3repE0EEENS1_30default_config_static_selectorELNS0_4arch9wavefront6targetE1EEEvT1_ ; -- Begin function _ZN7rocprim17ROCPRIM_400000_NS6detail17trampoline_kernelINS0_14default_configENS1_25transform_config_selectorImLb0EEEZNS1_14transform_implILb0ES3_S5_PmN6thrust23THRUST_200600_302600_NS6detail15normal_iteratorINS9_10device_ptrImEEEENS0_8identityImEEEE10hipError_tT2_T3_mT4_P12ihipStream_tbEUlT_E_NS1_11comp_targetILNS1_3genE9ELNS1_11target_archE1100ELNS1_3gpuE3ELNS1_3repE0EEENS1_30default_config_static_selectorELNS0_4arch9wavefront6targetE1EEEvT1_
	.globl	_ZN7rocprim17ROCPRIM_400000_NS6detail17trampoline_kernelINS0_14default_configENS1_25transform_config_selectorImLb0EEEZNS1_14transform_implILb0ES3_S5_PmN6thrust23THRUST_200600_302600_NS6detail15normal_iteratorINS9_10device_ptrImEEEENS0_8identityImEEEE10hipError_tT2_T3_mT4_P12ihipStream_tbEUlT_E_NS1_11comp_targetILNS1_3genE9ELNS1_11target_archE1100ELNS1_3gpuE3ELNS1_3repE0EEENS1_30default_config_static_selectorELNS0_4arch9wavefront6targetE1EEEvT1_
	.p2align	8
	.type	_ZN7rocprim17ROCPRIM_400000_NS6detail17trampoline_kernelINS0_14default_configENS1_25transform_config_selectorImLb0EEEZNS1_14transform_implILb0ES3_S5_PmN6thrust23THRUST_200600_302600_NS6detail15normal_iteratorINS9_10device_ptrImEEEENS0_8identityImEEEE10hipError_tT2_T3_mT4_P12ihipStream_tbEUlT_E_NS1_11comp_targetILNS1_3genE9ELNS1_11target_archE1100ELNS1_3gpuE3ELNS1_3repE0EEENS1_30default_config_static_selectorELNS0_4arch9wavefront6targetE1EEEvT1_,@function
_ZN7rocprim17ROCPRIM_400000_NS6detail17trampoline_kernelINS0_14default_configENS1_25transform_config_selectorImLb0EEEZNS1_14transform_implILb0ES3_S5_PmN6thrust23THRUST_200600_302600_NS6detail15normal_iteratorINS9_10device_ptrImEEEENS0_8identityImEEEE10hipError_tT2_T3_mT4_P12ihipStream_tbEUlT_E_NS1_11comp_targetILNS1_3genE9ELNS1_11target_archE1100ELNS1_3gpuE3ELNS1_3repE0EEENS1_30default_config_static_selectorELNS0_4arch9wavefront6targetE1EEEvT1_: ; @_ZN7rocprim17ROCPRIM_400000_NS6detail17trampoline_kernelINS0_14default_configENS1_25transform_config_selectorImLb0EEEZNS1_14transform_implILb0ES3_S5_PmN6thrust23THRUST_200600_302600_NS6detail15normal_iteratorINS9_10device_ptrImEEEENS0_8identityImEEEE10hipError_tT2_T3_mT4_P12ihipStream_tbEUlT_E_NS1_11comp_targetILNS1_3genE9ELNS1_11target_archE1100ELNS1_3gpuE3ELNS1_3repE0EEENS1_30default_config_static_selectorELNS0_4arch9wavefront6targetE1EEEvT1_
; %bb.0:
	.section	.rodata,"a",@progbits
	.p2align	6, 0x0
	.amdhsa_kernel _ZN7rocprim17ROCPRIM_400000_NS6detail17trampoline_kernelINS0_14default_configENS1_25transform_config_selectorImLb0EEEZNS1_14transform_implILb0ES3_S5_PmN6thrust23THRUST_200600_302600_NS6detail15normal_iteratorINS9_10device_ptrImEEEENS0_8identityImEEEE10hipError_tT2_T3_mT4_P12ihipStream_tbEUlT_E_NS1_11comp_targetILNS1_3genE9ELNS1_11target_archE1100ELNS1_3gpuE3ELNS1_3repE0EEENS1_30default_config_static_selectorELNS0_4arch9wavefront6targetE1EEEvT1_
		.amdhsa_group_segment_fixed_size 0
		.amdhsa_private_segment_fixed_size 0
		.amdhsa_kernarg_size 40
		.amdhsa_user_sgpr_count 6
		.amdhsa_user_sgpr_private_segment_buffer 1
		.amdhsa_user_sgpr_dispatch_ptr 0
		.amdhsa_user_sgpr_queue_ptr 0
		.amdhsa_user_sgpr_kernarg_segment_ptr 1
		.amdhsa_user_sgpr_dispatch_id 0
		.amdhsa_user_sgpr_flat_scratch_init 0
		.amdhsa_user_sgpr_kernarg_preload_length 0
		.amdhsa_user_sgpr_kernarg_preload_offset 0
		.amdhsa_user_sgpr_private_segment_size 0
		.amdhsa_uses_dynamic_stack 0
		.amdhsa_system_sgpr_private_segment_wavefront_offset 0
		.amdhsa_system_sgpr_workgroup_id_x 1
		.amdhsa_system_sgpr_workgroup_id_y 0
		.amdhsa_system_sgpr_workgroup_id_z 0
		.amdhsa_system_sgpr_workgroup_info 0
		.amdhsa_system_vgpr_workitem_id 0
		.amdhsa_next_free_vgpr 1
		.amdhsa_next_free_sgpr 0
		.amdhsa_accum_offset 4
		.amdhsa_reserve_vcc 0
		.amdhsa_reserve_flat_scratch 0
		.amdhsa_float_round_mode_32 0
		.amdhsa_float_round_mode_16_64 0
		.amdhsa_float_denorm_mode_32 3
		.amdhsa_float_denorm_mode_16_64 3
		.amdhsa_dx10_clamp 1
		.amdhsa_ieee_mode 1
		.amdhsa_fp16_overflow 0
		.amdhsa_tg_split 0
		.amdhsa_exception_fp_ieee_invalid_op 0
		.amdhsa_exception_fp_denorm_src 0
		.amdhsa_exception_fp_ieee_div_zero 0
		.amdhsa_exception_fp_ieee_overflow 0
		.amdhsa_exception_fp_ieee_underflow 0
		.amdhsa_exception_fp_ieee_inexact 0
		.amdhsa_exception_int_div_zero 0
	.end_amdhsa_kernel
	.section	.text._ZN7rocprim17ROCPRIM_400000_NS6detail17trampoline_kernelINS0_14default_configENS1_25transform_config_selectorImLb0EEEZNS1_14transform_implILb0ES3_S5_PmN6thrust23THRUST_200600_302600_NS6detail15normal_iteratorINS9_10device_ptrImEEEENS0_8identityImEEEE10hipError_tT2_T3_mT4_P12ihipStream_tbEUlT_E_NS1_11comp_targetILNS1_3genE9ELNS1_11target_archE1100ELNS1_3gpuE3ELNS1_3repE0EEENS1_30default_config_static_selectorELNS0_4arch9wavefront6targetE1EEEvT1_,"axG",@progbits,_ZN7rocprim17ROCPRIM_400000_NS6detail17trampoline_kernelINS0_14default_configENS1_25transform_config_selectorImLb0EEEZNS1_14transform_implILb0ES3_S5_PmN6thrust23THRUST_200600_302600_NS6detail15normal_iteratorINS9_10device_ptrImEEEENS0_8identityImEEEE10hipError_tT2_T3_mT4_P12ihipStream_tbEUlT_E_NS1_11comp_targetILNS1_3genE9ELNS1_11target_archE1100ELNS1_3gpuE3ELNS1_3repE0EEENS1_30default_config_static_selectorELNS0_4arch9wavefront6targetE1EEEvT1_,comdat
.Lfunc_end3368:
	.size	_ZN7rocprim17ROCPRIM_400000_NS6detail17trampoline_kernelINS0_14default_configENS1_25transform_config_selectorImLb0EEEZNS1_14transform_implILb0ES3_S5_PmN6thrust23THRUST_200600_302600_NS6detail15normal_iteratorINS9_10device_ptrImEEEENS0_8identityImEEEE10hipError_tT2_T3_mT4_P12ihipStream_tbEUlT_E_NS1_11comp_targetILNS1_3genE9ELNS1_11target_archE1100ELNS1_3gpuE3ELNS1_3repE0EEENS1_30default_config_static_selectorELNS0_4arch9wavefront6targetE1EEEvT1_, .Lfunc_end3368-_ZN7rocprim17ROCPRIM_400000_NS6detail17trampoline_kernelINS0_14default_configENS1_25transform_config_selectorImLb0EEEZNS1_14transform_implILb0ES3_S5_PmN6thrust23THRUST_200600_302600_NS6detail15normal_iteratorINS9_10device_ptrImEEEENS0_8identityImEEEE10hipError_tT2_T3_mT4_P12ihipStream_tbEUlT_E_NS1_11comp_targetILNS1_3genE9ELNS1_11target_archE1100ELNS1_3gpuE3ELNS1_3repE0EEENS1_30default_config_static_selectorELNS0_4arch9wavefront6targetE1EEEvT1_
                                        ; -- End function
	.section	.AMDGPU.csdata,"",@progbits
; Kernel info:
; codeLenInByte = 0
; NumSgprs: 4
; NumVgprs: 0
; NumAgprs: 0
; TotalNumVgprs: 0
; ScratchSize: 0
; MemoryBound: 0
; FloatMode: 240
; IeeeMode: 1
; LDSByteSize: 0 bytes/workgroup (compile time only)
; SGPRBlocks: 0
; VGPRBlocks: 0
; NumSGPRsForWavesPerEU: 4
; NumVGPRsForWavesPerEU: 1
; AccumOffset: 4
; Occupancy: 8
; WaveLimiterHint : 0
; COMPUTE_PGM_RSRC2:SCRATCH_EN: 0
; COMPUTE_PGM_RSRC2:USER_SGPR: 6
; COMPUTE_PGM_RSRC2:TRAP_HANDLER: 0
; COMPUTE_PGM_RSRC2:TGID_X_EN: 1
; COMPUTE_PGM_RSRC2:TGID_Y_EN: 0
; COMPUTE_PGM_RSRC2:TGID_Z_EN: 0
; COMPUTE_PGM_RSRC2:TIDIG_COMP_CNT: 0
; COMPUTE_PGM_RSRC3_GFX90A:ACCUM_OFFSET: 0
; COMPUTE_PGM_RSRC3_GFX90A:TG_SPLIT: 0
	.section	.text._ZN7rocprim17ROCPRIM_400000_NS6detail17trampoline_kernelINS0_14default_configENS1_25transform_config_selectorImLb0EEEZNS1_14transform_implILb0ES3_S5_PmN6thrust23THRUST_200600_302600_NS6detail15normal_iteratorINS9_10device_ptrImEEEENS0_8identityImEEEE10hipError_tT2_T3_mT4_P12ihipStream_tbEUlT_E_NS1_11comp_targetILNS1_3genE8ELNS1_11target_archE1030ELNS1_3gpuE2ELNS1_3repE0EEENS1_30default_config_static_selectorELNS0_4arch9wavefront6targetE1EEEvT1_,"axG",@progbits,_ZN7rocprim17ROCPRIM_400000_NS6detail17trampoline_kernelINS0_14default_configENS1_25transform_config_selectorImLb0EEEZNS1_14transform_implILb0ES3_S5_PmN6thrust23THRUST_200600_302600_NS6detail15normal_iteratorINS9_10device_ptrImEEEENS0_8identityImEEEE10hipError_tT2_T3_mT4_P12ihipStream_tbEUlT_E_NS1_11comp_targetILNS1_3genE8ELNS1_11target_archE1030ELNS1_3gpuE2ELNS1_3repE0EEENS1_30default_config_static_selectorELNS0_4arch9wavefront6targetE1EEEvT1_,comdat
	.protected	_ZN7rocprim17ROCPRIM_400000_NS6detail17trampoline_kernelINS0_14default_configENS1_25transform_config_selectorImLb0EEEZNS1_14transform_implILb0ES3_S5_PmN6thrust23THRUST_200600_302600_NS6detail15normal_iteratorINS9_10device_ptrImEEEENS0_8identityImEEEE10hipError_tT2_T3_mT4_P12ihipStream_tbEUlT_E_NS1_11comp_targetILNS1_3genE8ELNS1_11target_archE1030ELNS1_3gpuE2ELNS1_3repE0EEENS1_30default_config_static_selectorELNS0_4arch9wavefront6targetE1EEEvT1_ ; -- Begin function _ZN7rocprim17ROCPRIM_400000_NS6detail17trampoline_kernelINS0_14default_configENS1_25transform_config_selectorImLb0EEEZNS1_14transform_implILb0ES3_S5_PmN6thrust23THRUST_200600_302600_NS6detail15normal_iteratorINS9_10device_ptrImEEEENS0_8identityImEEEE10hipError_tT2_T3_mT4_P12ihipStream_tbEUlT_E_NS1_11comp_targetILNS1_3genE8ELNS1_11target_archE1030ELNS1_3gpuE2ELNS1_3repE0EEENS1_30default_config_static_selectorELNS0_4arch9wavefront6targetE1EEEvT1_
	.globl	_ZN7rocprim17ROCPRIM_400000_NS6detail17trampoline_kernelINS0_14default_configENS1_25transform_config_selectorImLb0EEEZNS1_14transform_implILb0ES3_S5_PmN6thrust23THRUST_200600_302600_NS6detail15normal_iteratorINS9_10device_ptrImEEEENS0_8identityImEEEE10hipError_tT2_T3_mT4_P12ihipStream_tbEUlT_E_NS1_11comp_targetILNS1_3genE8ELNS1_11target_archE1030ELNS1_3gpuE2ELNS1_3repE0EEENS1_30default_config_static_selectorELNS0_4arch9wavefront6targetE1EEEvT1_
	.p2align	8
	.type	_ZN7rocprim17ROCPRIM_400000_NS6detail17trampoline_kernelINS0_14default_configENS1_25transform_config_selectorImLb0EEEZNS1_14transform_implILb0ES3_S5_PmN6thrust23THRUST_200600_302600_NS6detail15normal_iteratorINS9_10device_ptrImEEEENS0_8identityImEEEE10hipError_tT2_T3_mT4_P12ihipStream_tbEUlT_E_NS1_11comp_targetILNS1_3genE8ELNS1_11target_archE1030ELNS1_3gpuE2ELNS1_3repE0EEENS1_30default_config_static_selectorELNS0_4arch9wavefront6targetE1EEEvT1_,@function
_ZN7rocprim17ROCPRIM_400000_NS6detail17trampoline_kernelINS0_14default_configENS1_25transform_config_selectorImLb0EEEZNS1_14transform_implILb0ES3_S5_PmN6thrust23THRUST_200600_302600_NS6detail15normal_iteratorINS9_10device_ptrImEEEENS0_8identityImEEEE10hipError_tT2_T3_mT4_P12ihipStream_tbEUlT_E_NS1_11comp_targetILNS1_3genE8ELNS1_11target_archE1030ELNS1_3gpuE2ELNS1_3repE0EEENS1_30default_config_static_selectorELNS0_4arch9wavefront6targetE1EEEvT1_: ; @_ZN7rocprim17ROCPRIM_400000_NS6detail17trampoline_kernelINS0_14default_configENS1_25transform_config_selectorImLb0EEEZNS1_14transform_implILb0ES3_S5_PmN6thrust23THRUST_200600_302600_NS6detail15normal_iteratorINS9_10device_ptrImEEEENS0_8identityImEEEE10hipError_tT2_T3_mT4_P12ihipStream_tbEUlT_E_NS1_11comp_targetILNS1_3genE8ELNS1_11target_archE1030ELNS1_3gpuE2ELNS1_3repE0EEENS1_30default_config_static_selectorELNS0_4arch9wavefront6targetE1EEEvT1_
; %bb.0:
	.section	.rodata,"a",@progbits
	.p2align	6, 0x0
	.amdhsa_kernel _ZN7rocprim17ROCPRIM_400000_NS6detail17trampoline_kernelINS0_14default_configENS1_25transform_config_selectorImLb0EEEZNS1_14transform_implILb0ES3_S5_PmN6thrust23THRUST_200600_302600_NS6detail15normal_iteratorINS9_10device_ptrImEEEENS0_8identityImEEEE10hipError_tT2_T3_mT4_P12ihipStream_tbEUlT_E_NS1_11comp_targetILNS1_3genE8ELNS1_11target_archE1030ELNS1_3gpuE2ELNS1_3repE0EEENS1_30default_config_static_selectorELNS0_4arch9wavefront6targetE1EEEvT1_
		.amdhsa_group_segment_fixed_size 0
		.amdhsa_private_segment_fixed_size 0
		.amdhsa_kernarg_size 40
		.amdhsa_user_sgpr_count 6
		.amdhsa_user_sgpr_private_segment_buffer 1
		.amdhsa_user_sgpr_dispatch_ptr 0
		.amdhsa_user_sgpr_queue_ptr 0
		.amdhsa_user_sgpr_kernarg_segment_ptr 1
		.amdhsa_user_sgpr_dispatch_id 0
		.amdhsa_user_sgpr_flat_scratch_init 0
		.amdhsa_user_sgpr_kernarg_preload_length 0
		.amdhsa_user_sgpr_kernarg_preload_offset 0
		.amdhsa_user_sgpr_private_segment_size 0
		.amdhsa_uses_dynamic_stack 0
		.amdhsa_system_sgpr_private_segment_wavefront_offset 0
		.amdhsa_system_sgpr_workgroup_id_x 1
		.amdhsa_system_sgpr_workgroup_id_y 0
		.amdhsa_system_sgpr_workgroup_id_z 0
		.amdhsa_system_sgpr_workgroup_info 0
		.amdhsa_system_vgpr_workitem_id 0
		.amdhsa_next_free_vgpr 1
		.amdhsa_next_free_sgpr 0
		.amdhsa_accum_offset 4
		.amdhsa_reserve_vcc 0
		.amdhsa_reserve_flat_scratch 0
		.amdhsa_float_round_mode_32 0
		.amdhsa_float_round_mode_16_64 0
		.amdhsa_float_denorm_mode_32 3
		.amdhsa_float_denorm_mode_16_64 3
		.amdhsa_dx10_clamp 1
		.amdhsa_ieee_mode 1
		.amdhsa_fp16_overflow 0
		.amdhsa_tg_split 0
		.amdhsa_exception_fp_ieee_invalid_op 0
		.amdhsa_exception_fp_denorm_src 0
		.amdhsa_exception_fp_ieee_div_zero 0
		.amdhsa_exception_fp_ieee_overflow 0
		.amdhsa_exception_fp_ieee_underflow 0
		.amdhsa_exception_fp_ieee_inexact 0
		.amdhsa_exception_int_div_zero 0
	.end_amdhsa_kernel
	.section	.text._ZN7rocprim17ROCPRIM_400000_NS6detail17trampoline_kernelINS0_14default_configENS1_25transform_config_selectorImLb0EEEZNS1_14transform_implILb0ES3_S5_PmN6thrust23THRUST_200600_302600_NS6detail15normal_iteratorINS9_10device_ptrImEEEENS0_8identityImEEEE10hipError_tT2_T3_mT4_P12ihipStream_tbEUlT_E_NS1_11comp_targetILNS1_3genE8ELNS1_11target_archE1030ELNS1_3gpuE2ELNS1_3repE0EEENS1_30default_config_static_selectorELNS0_4arch9wavefront6targetE1EEEvT1_,"axG",@progbits,_ZN7rocprim17ROCPRIM_400000_NS6detail17trampoline_kernelINS0_14default_configENS1_25transform_config_selectorImLb0EEEZNS1_14transform_implILb0ES3_S5_PmN6thrust23THRUST_200600_302600_NS6detail15normal_iteratorINS9_10device_ptrImEEEENS0_8identityImEEEE10hipError_tT2_T3_mT4_P12ihipStream_tbEUlT_E_NS1_11comp_targetILNS1_3genE8ELNS1_11target_archE1030ELNS1_3gpuE2ELNS1_3repE0EEENS1_30default_config_static_selectorELNS0_4arch9wavefront6targetE1EEEvT1_,comdat
.Lfunc_end3369:
	.size	_ZN7rocprim17ROCPRIM_400000_NS6detail17trampoline_kernelINS0_14default_configENS1_25transform_config_selectorImLb0EEEZNS1_14transform_implILb0ES3_S5_PmN6thrust23THRUST_200600_302600_NS6detail15normal_iteratorINS9_10device_ptrImEEEENS0_8identityImEEEE10hipError_tT2_T3_mT4_P12ihipStream_tbEUlT_E_NS1_11comp_targetILNS1_3genE8ELNS1_11target_archE1030ELNS1_3gpuE2ELNS1_3repE0EEENS1_30default_config_static_selectorELNS0_4arch9wavefront6targetE1EEEvT1_, .Lfunc_end3369-_ZN7rocprim17ROCPRIM_400000_NS6detail17trampoline_kernelINS0_14default_configENS1_25transform_config_selectorImLb0EEEZNS1_14transform_implILb0ES3_S5_PmN6thrust23THRUST_200600_302600_NS6detail15normal_iteratorINS9_10device_ptrImEEEENS0_8identityImEEEE10hipError_tT2_T3_mT4_P12ihipStream_tbEUlT_E_NS1_11comp_targetILNS1_3genE8ELNS1_11target_archE1030ELNS1_3gpuE2ELNS1_3repE0EEENS1_30default_config_static_selectorELNS0_4arch9wavefront6targetE1EEEvT1_
                                        ; -- End function
	.section	.AMDGPU.csdata,"",@progbits
; Kernel info:
; codeLenInByte = 0
; NumSgprs: 4
; NumVgprs: 0
; NumAgprs: 0
; TotalNumVgprs: 0
; ScratchSize: 0
; MemoryBound: 0
; FloatMode: 240
; IeeeMode: 1
; LDSByteSize: 0 bytes/workgroup (compile time only)
; SGPRBlocks: 0
; VGPRBlocks: 0
; NumSGPRsForWavesPerEU: 4
; NumVGPRsForWavesPerEU: 1
; AccumOffset: 4
; Occupancy: 8
; WaveLimiterHint : 0
; COMPUTE_PGM_RSRC2:SCRATCH_EN: 0
; COMPUTE_PGM_RSRC2:USER_SGPR: 6
; COMPUTE_PGM_RSRC2:TRAP_HANDLER: 0
; COMPUTE_PGM_RSRC2:TGID_X_EN: 1
; COMPUTE_PGM_RSRC2:TGID_Y_EN: 0
; COMPUTE_PGM_RSRC2:TGID_Z_EN: 0
; COMPUTE_PGM_RSRC2:TIDIG_COMP_CNT: 0
; COMPUTE_PGM_RSRC3_GFX90A:ACCUM_OFFSET: 0
; COMPUTE_PGM_RSRC3_GFX90A:TG_SPLIT: 0
	.section	.text._ZN7rocprim17ROCPRIM_400000_NS6detail44device_merge_sort_compile_time_verifier_archINS1_11comp_targetILNS1_3genE0ELNS1_11target_archE4294967295ELNS1_3gpuE0ELNS1_3repE0EEES8_NS0_14default_configES9_NS1_37merge_sort_block_sort_config_selectorIxNS0_10empty_typeEEENS1_38merge_sort_block_merge_config_selectorIxSB_EEEEvv,"axG",@progbits,_ZN7rocprim17ROCPRIM_400000_NS6detail44device_merge_sort_compile_time_verifier_archINS1_11comp_targetILNS1_3genE0ELNS1_11target_archE4294967295ELNS1_3gpuE0ELNS1_3repE0EEES8_NS0_14default_configES9_NS1_37merge_sort_block_sort_config_selectorIxNS0_10empty_typeEEENS1_38merge_sort_block_merge_config_selectorIxSB_EEEEvv,comdat
	.protected	_ZN7rocprim17ROCPRIM_400000_NS6detail44device_merge_sort_compile_time_verifier_archINS1_11comp_targetILNS1_3genE0ELNS1_11target_archE4294967295ELNS1_3gpuE0ELNS1_3repE0EEES8_NS0_14default_configES9_NS1_37merge_sort_block_sort_config_selectorIxNS0_10empty_typeEEENS1_38merge_sort_block_merge_config_selectorIxSB_EEEEvv ; -- Begin function _ZN7rocprim17ROCPRIM_400000_NS6detail44device_merge_sort_compile_time_verifier_archINS1_11comp_targetILNS1_3genE0ELNS1_11target_archE4294967295ELNS1_3gpuE0ELNS1_3repE0EEES8_NS0_14default_configES9_NS1_37merge_sort_block_sort_config_selectorIxNS0_10empty_typeEEENS1_38merge_sort_block_merge_config_selectorIxSB_EEEEvv
	.globl	_ZN7rocprim17ROCPRIM_400000_NS6detail44device_merge_sort_compile_time_verifier_archINS1_11comp_targetILNS1_3genE0ELNS1_11target_archE4294967295ELNS1_3gpuE0ELNS1_3repE0EEES8_NS0_14default_configES9_NS1_37merge_sort_block_sort_config_selectorIxNS0_10empty_typeEEENS1_38merge_sort_block_merge_config_selectorIxSB_EEEEvv
	.p2align	8
	.type	_ZN7rocprim17ROCPRIM_400000_NS6detail44device_merge_sort_compile_time_verifier_archINS1_11comp_targetILNS1_3genE0ELNS1_11target_archE4294967295ELNS1_3gpuE0ELNS1_3repE0EEES8_NS0_14default_configES9_NS1_37merge_sort_block_sort_config_selectorIxNS0_10empty_typeEEENS1_38merge_sort_block_merge_config_selectorIxSB_EEEEvv,@function
_ZN7rocprim17ROCPRIM_400000_NS6detail44device_merge_sort_compile_time_verifier_archINS1_11comp_targetILNS1_3genE0ELNS1_11target_archE4294967295ELNS1_3gpuE0ELNS1_3repE0EEES8_NS0_14default_configES9_NS1_37merge_sort_block_sort_config_selectorIxNS0_10empty_typeEEENS1_38merge_sort_block_merge_config_selectorIxSB_EEEEvv: ; @_ZN7rocprim17ROCPRIM_400000_NS6detail44device_merge_sort_compile_time_verifier_archINS1_11comp_targetILNS1_3genE0ELNS1_11target_archE4294967295ELNS1_3gpuE0ELNS1_3repE0EEES8_NS0_14default_configES9_NS1_37merge_sort_block_sort_config_selectorIxNS0_10empty_typeEEENS1_38merge_sort_block_merge_config_selectorIxSB_EEEEvv
; %bb.0:
	s_endpgm
	.section	.rodata,"a",@progbits
	.p2align	6, 0x0
	.amdhsa_kernel _ZN7rocprim17ROCPRIM_400000_NS6detail44device_merge_sort_compile_time_verifier_archINS1_11comp_targetILNS1_3genE0ELNS1_11target_archE4294967295ELNS1_3gpuE0ELNS1_3repE0EEES8_NS0_14default_configES9_NS1_37merge_sort_block_sort_config_selectorIxNS0_10empty_typeEEENS1_38merge_sort_block_merge_config_selectorIxSB_EEEEvv
		.amdhsa_group_segment_fixed_size 0
		.amdhsa_private_segment_fixed_size 0
		.amdhsa_kernarg_size 0
		.amdhsa_user_sgpr_count 4
		.amdhsa_user_sgpr_private_segment_buffer 1
		.amdhsa_user_sgpr_dispatch_ptr 0
		.amdhsa_user_sgpr_queue_ptr 0
		.amdhsa_user_sgpr_kernarg_segment_ptr 0
		.amdhsa_user_sgpr_dispatch_id 0
		.amdhsa_user_sgpr_flat_scratch_init 0
		.amdhsa_user_sgpr_kernarg_preload_length 0
		.amdhsa_user_sgpr_kernarg_preload_offset 0
		.amdhsa_user_sgpr_private_segment_size 0
		.amdhsa_uses_dynamic_stack 0
		.amdhsa_system_sgpr_private_segment_wavefront_offset 0
		.amdhsa_system_sgpr_workgroup_id_x 1
		.amdhsa_system_sgpr_workgroup_id_y 0
		.amdhsa_system_sgpr_workgroup_id_z 0
		.amdhsa_system_sgpr_workgroup_info 0
		.amdhsa_system_vgpr_workitem_id 0
		.amdhsa_next_free_vgpr 1
		.amdhsa_next_free_sgpr 0
		.amdhsa_accum_offset 4
		.amdhsa_reserve_vcc 0
		.amdhsa_reserve_flat_scratch 0
		.amdhsa_float_round_mode_32 0
		.amdhsa_float_round_mode_16_64 0
		.amdhsa_float_denorm_mode_32 3
		.amdhsa_float_denorm_mode_16_64 3
		.amdhsa_dx10_clamp 1
		.amdhsa_ieee_mode 1
		.amdhsa_fp16_overflow 0
		.amdhsa_tg_split 0
		.amdhsa_exception_fp_ieee_invalid_op 0
		.amdhsa_exception_fp_denorm_src 0
		.amdhsa_exception_fp_ieee_div_zero 0
		.amdhsa_exception_fp_ieee_overflow 0
		.amdhsa_exception_fp_ieee_underflow 0
		.amdhsa_exception_fp_ieee_inexact 0
		.amdhsa_exception_int_div_zero 0
	.end_amdhsa_kernel
	.section	.text._ZN7rocprim17ROCPRIM_400000_NS6detail44device_merge_sort_compile_time_verifier_archINS1_11comp_targetILNS1_3genE0ELNS1_11target_archE4294967295ELNS1_3gpuE0ELNS1_3repE0EEES8_NS0_14default_configES9_NS1_37merge_sort_block_sort_config_selectorIxNS0_10empty_typeEEENS1_38merge_sort_block_merge_config_selectorIxSB_EEEEvv,"axG",@progbits,_ZN7rocprim17ROCPRIM_400000_NS6detail44device_merge_sort_compile_time_verifier_archINS1_11comp_targetILNS1_3genE0ELNS1_11target_archE4294967295ELNS1_3gpuE0ELNS1_3repE0EEES8_NS0_14default_configES9_NS1_37merge_sort_block_sort_config_selectorIxNS0_10empty_typeEEENS1_38merge_sort_block_merge_config_selectorIxSB_EEEEvv,comdat
.Lfunc_end3370:
	.size	_ZN7rocprim17ROCPRIM_400000_NS6detail44device_merge_sort_compile_time_verifier_archINS1_11comp_targetILNS1_3genE0ELNS1_11target_archE4294967295ELNS1_3gpuE0ELNS1_3repE0EEES8_NS0_14default_configES9_NS1_37merge_sort_block_sort_config_selectorIxNS0_10empty_typeEEENS1_38merge_sort_block_merge_config_selectorIxSB_EEEEvv, .Lfunc_end3370-_ZN7rocprim17ROCPRIM_400000_NS6detail44device_merge_sort_compile_time_verifier_archINS1_11comp_targetILNS1_3genE0ELNS1_11target_archE4294967295ELNS1_3gpuE0ELNS1_3repE0EEES8_NS0_14default_configES9_NS1_37merge_sort_block_sort_config_selectorIxNS0_10empty_typeEEENS1_38merge_sort_block_merge_config_selectorIxSB_EEEEvv
                                        ; -- End function
	.section	.AMDGPU.csdata,"",@progbits
; Kernel info:
; codeLenInByte = 4
; NumSgprs: 4
; NumVgprs: 0
; NumAgprs: 0
; TotalNumVgprs: 0
; ScratchSize: 0
; MemoryBound: 0
; FloatMode: 240
; IeeeMode: 1
; LDSByteSize: 0 bytes/workgroup (compile time only)
; SGPRBlocks: 0
; VGPRBlocks: 0
; NumSGPRsForWavesPerEU: 4
; NumVGPRsForWavesPerEU: 1
; AccumOffset: 4
; Occupancy: 8
; WaveLimiterHint : 0
; COMPUTE_PGM_RSRC2:SCRATCH_EN: 0
; COMPUTE_PGM_RSRC2:USER_SGPR: 4
; COMPUTE_PGM_RSRC2:TRAP_HANDLER: 0
; COMPUTE_PGM_RSRC2:TGID_X_EN: 1
; COMPUTE_PGM_RSRC2:TGID_Y_EN: 0
; COMPUTE_PGM_RSRC2:TGID_Z_EN: 0
; COMPUTE_PGM_RSRC2:TIDIG_COMP_CNT: 0
; COMPUTE_PGM_RSRC3_GFX90A:ACCUM_OFFSET: 0
; COMPUTE_PGM_RSRC3_GFX90A:TG_SPLIT: 0
	.section	.text._ZN7rocprim17ROCPRIM_400000_NS6detail44device_merge_sort_compile_time_verifier_archINS1_11comp_targetILNS1_3genE5ELNS1_11target_archE942ELNS1_3gpuE9ELNS1_3repE0EEES8_NS0_14default_configES9_NS1_37merge_sort_block_sort_config_selectorIxNS0_10empty_typeEEENS1_38merge_sort_block_merge_config_selectorIxSB_EEEEvv,"axG",@progbits,_ZN7rocprim17ROCPRIM_400000_NS6detail44device_merge_sort_compile_time_verifier_archINS1_11comp_targetILNS1_3genE5ELNS1_11target_archE942ELNS1_3gpuE9ELNS1_3repE0EEES8_NS0_14default_configES9_NS1_37merge_sort_block_sort_config_selectorIxNS0_10empty_typeEEENS1_38merge_sort_block_merge_config_selectorIxSB_EEEEvv,comdat
	.protected	_ZN7rocprim17ROCPRIM_400000_NS6detail44device_merge_sort_compile_time_verifier_archINS1_11comp_targetILNS1_3genE5ELNS1_11target_archE942ELNS1_3gpuE9ELNS1_3repE0EEES8_NS0_14default_configES9_NS1_37merge_sort_block_sort_config_selectorIxNS0_10empty_typeEEENS1_38merge_sort_block_merge_config_selectorIxSB_EEEEvv ; -- Begin function _ZN7rocprim17ROCPRIM_400000_NS6detail44device_merge_sort_compile_time_verifier_archINS1_11comp_targetILNS1_3genE5ELNS1_11target_archE942ELNS1_3gpuE9ELNS1_3repE0EEES8_NS0_14default_configES9_NS1_37merge_sort_block_sort_config_selectorIxNS0_10empty_typeEEENS1_38merge_sort_block_merge_config_selectorIxSB_EEEEvv
	.globl	_ZN7rocprim17ROCPRIM_400000_NS6detail44device_merge_sort_compile_time_verifier_archINS1_11comp_targetILNS1_3genE5ELNS1_11target_archE942ELNS1_3gpuE9ELNS1_3repE0EEES8_NS0_14default_configES9_NS1_37merge_sort_block_sort_config_selectorIxNS0_10empty_typeEEENS1_38merge_sort_block_merge_config_selectorIxSB_EEEEvv
	.p2align	8
	.type	_ZN7rocprim17ROCPRIM_400000_NS6detail44device_merge_sort_compile_time_verifier_archINS1_11comp_targetILNS1_3genE5ELNS1_11target_archE942ELNS1_3gpuE9ELNS1_3repE0EEES8_NS0_14default_configES9_NS1_37merge_sort_block_sort_config_selectorIxNS0_10empty_typeEEENS1_38merge_sort_block_merge_config_selectorIxSB_EEEEvv,@function
_ZN7rocprim17ROCPRIM_400000_NS6detail44device_merge_sort_compile_time_verifier_archINS1_11comp_targetILNS1_3genE5ELNS1_11target_archE942ELNS1_3gpuE9ELNS1_3repE0EEES8_NS0_14default_configES9_NS1_37merge_sort_block_sort_config_selectorIxNS0_10empty_typeEEENS1_38merge_sort_block_merge_config_selectorIxSB_EEEEvv: ; @_ZN7rocprim17ROCPRIM_400000_NS6detail44device_merge_sort_compile_time_verifier_archINS1_11comp_targetILNS1_3genE5ELNS1_11target_archE942ELNS1_3gpuE9ELNS1_3repE0EEES8_NS0_14default_configES9_NS1_37merge_sort_block_sort_config_selectorIxNS0_10empty_typeEEENS1_38merge_sort_block_merge_config_selectorIxSB_EEEEvv
; %bb.0:
	s_endpgm
	.section	.rodata,"a",@progbits
	.p2align	6, 0x0
	.amdhsa_kernel _ZN7rocprim17ROCPRIM_400000_NS6detail44device_merge_sort_compile_time_verifier_archINS1_11comp_targetILNS1_3genE5ELNS1_11target_archE942ELNS1_3gpuE9ELNS1_3repE0EEES8_NS0_14default_configES9_NS1_37merge_sort_block_sort_config_selectorIxNS0_10empty_typeEEENS1_38merge_sort_block_merge_config_selectorIxSB_EEEEvv
		.amdhsa_group_segment_fixed_size 0
		.amdhsa_private_segment_fixed_size 0
		.amdhsa_kernarg_size 0
		.amdhsa_user_sgpr_count 4
		.amdhsa_user_sgpr_private_segment_buffer 1
		.amdhsa_user_sgpr_dispatch_ptr 0
		.amdhsa_user_sgpr_queue_ptr 0
		.amdhsa_user_sgpr_kernarg_segment_ptr 0
		.amdhsa_user_sgpr_dispatch_id 0
		.amdhsa_user_sgpr_flat_scratch_init 0
		.amdhsa_user_sgpr_kernarg_preload_length 0
		.amdhsa_user_sgpr_kernarg_preload_offset 0
		.amdhsa_user_sgpr_private_segment_size 0
		.amdhsa_uses_dynamic_stack 0
		.amdhsa_system_sgpr_private_segment_wavefront_offset 0
		.amdhsa_system_sgpr_workgroup_id_x 1
		.amdhsa_system_sgpr_workgroup_id_y 0
		.amdhsa_system_sgpr_workgroup_id_z 0
		.amdhsa_system_sgpr_workgroup_info 0
		.amdhsa_system_vgpr_workitem_id 0
		.amdhsa_next_free_vgpr 1
		.amdhsa_next_free_sgpr 0
		.amdhsa_accum_offset 4
		.amdhsa_reserve_vcc 0
		.amdhsa_reserve_flat_scratch 0
		.amdhsa_float_round_mode_32 0
		.amdhsa_float_round_mode_16_64 0
		.amdhsa_float_denorm_mode_32 3
		.amdhsa_float_denorm_mode_16_64 3
		.amdhsa_dx10_clamp 1
		.amdhsa_ieee_mode 1
		.amdhsa_fp16_overflow 0
		.amdhsa_tg_split 0
		.amdhsa_exception_fp_ieee_invalid_op 0
		.amdhsa_exception_fp_denorm_src 0
		.amdhsa_exception_fp_ieee_div_zero 0
		.amdhsa_exception_fp_ieee_overflow 0
		.amdhsa_exception_fp_ieee_underflow 0
		.amdhsa_exception_fp_ieee_inexact 0
		.amdhsa_exception_int_div_zero 0
	.end_amdhsa_kernel
	.section	.text._ZN7rocprim17ROCPRIM_400000_NS6detail44device_merge_sort_compile_time_verifier_archINS1_11comp_targetILNS1_3genE5ELNS1_11target_archE942ELNS1_3gpuE9ELNS1_3repE0EEES8_NS0_14default_configES9_NS1_37merge_sort_block_sort_config_selectorIxNS0_10empty_typeEEENS1_38merge_sort_block_merge_config_selectorIxSB_EEEEvv,"axG",@progbits,_ZN7rocprim17ROCPRIM_400000_NS6detail44device_merge_sort_compile_time_verifier_archINS1_11comp_targetILNS1_3genE5ELNS1_11target_archE942ELNS1_3gpuE9ELNS1_3repE0EEES8_NS0_14default_configES9_NS1_37merge_sort_block_sort_config_selectorIxNS0_10empty_typeEEENS1_38merge_sort_block_merge_config_selectorIxSB_EEEEvv,comdat
.Lfunc_end3371:
	.size	_ZN7rocprim17ROCPRIM_400000_NS6detail44device_merge_sort_compile_time_verifier_archINS1_11comp_targetILNS1_3genE5ELNS1_11target_archE942ELNS1_3gpuE9ELNS1_3repE0EEES8_NS0_14default_configES9_NS1_37merge_sort_block_sort_config_selectorIxNS0_10empty_typeEEENS1_38merge_sort_block_merge_config_selectorIxSB_EEEEvv, .Lfunc_end3371-_ZN7rocprim17ROCPRIM_400000_NS6detail44device_merge_sort_compile_time_verifier_archINS1_11comp_targetILNS1_3genE5ELNS1_11target_archE942ELNS1_3gpuE9ELNS1_3repE0EEES8_NS0_14default_configES9_NS1_37merge_sort_block_sort_config_selectorIxNS0_10empty_typeEEENS1_38merge_sort_block_merge_config_selectorIxSB_EEEEvv
                                        ; -- End function
	.section	.AMDGPU.csdata,"",@progbits
; Kernel info:
; codeLenInByte = 4
; NumSgprs: 4
; NumVgprs: 0
; NumAgprs: 0
; TotalNumVgprs: 0
; ScratchSize: 0
; MemoryBound: 0
; FloatMode: 240
; IeeeMode: 1
; LDSByteSize: 0 bytes/workgroup (compile time only)
; SGPRBlocks: 0
; VGPRBlocks: 0
; NumSGPRsForWavesPerEU: 4
; NumVGPRsForWavesPerEU: 1
; AccumOffset: 4
; Occupancy: 8
; WaveLimiterHint : 0
; COMPUTE_PGM_RSRC2:SCRATCH_EN: 0
; COMPUTE_PGM_RSRC2:USER_SGPR: 4
; COMPUTE_PGM_RSRC2:TRAP_HANDLER: 0
; COMPUTE_PGM_RSRC2:TGID_X_EN: 1
; COMPUTE_PGM_RSRC2:TGID_Y_EN: 0
; COMPUTE_PGM_RSRC2:TGID_Z_EN: 0
; COMPUTE_PGM_RSRC2:TIDIG_COMP_CNT: 0
; COMPUTE_PGM_RSRC3_GFX90A:ACCUM_OFFSET: 0
; COMPUTE_PGM_RSRC3_GFX90A:TG_SPLIT: 0
	.section	.text._ZN7rocprim17ROCPRIM_400000_NS6detail44device_merge_sort_compile_time_verifier_archINS1_11comp_targetILNS1_3genE4ELNS1_11target_archE910ELNS1_3gpuE8ELNS1_3repE0EEES8_NS0_14default_configES9_NS1_37merge_sort_block_sort_config_selectorIxNS0_10empty_typeEEENS1_38merge_sort_block_merge_config_selectorIxSB_EEEEvv,"axG",@progbits,_ZN7rocprim17ROCPRIM_400000_NS6detail44device_merge_sort_compile_time_verifier_archINS1_11comp_targetILNS1_3genE4ELNS1_11target_archE910ELNS1_3gpuE8ELNS1_3repE0EEES8_NS0_14default_configES9_NS1_37merge_sort_block_sort_config_selectorIxNS0_10empty_typeEEENS1_38merge_sort_block_merge_config_selectorIxSB_EEEEvv,comdat
	.protected	_ZN7rocprim17ROCPRIM_400000_NS6detail44device_merge_sort_compile_time_verifier_archINS1_11comp_targetILNS1_3genE4ELNS1_11target_archE910ELNS1_3gpuE8ELNS1_3repE0EEES8_NS0_14default_configES9_NS1_37merge_sort_block_sort_config_selectorIxNS0_10empty_typeEEENS1_38merge_sort_block_merge_config_selectorIxSB_EEEEvv ; -- Begin function _ZN7rocprim17ROCPRIM_400000_NS6detail44device_merge_sort_compile_time_verifier_archINS1_11comp_targetILNS1_3genE4ELNS1_11target_archE910ELNS1_3gpuE8ELNS1_3repE0EEES8_NS0_14default_configES9_NS1_37merge_sort_block_sort_config_selectorIxNS0_10empty_typeEEENS1_38merge_sort_block_merge_config_selectorIxSB_EEEEvv
	.globl	_ZN7rocprim17ROCPRIM_400000_NS6detail44device_merge_sort_compile_time_verifier_archINS1_11comp_targetILNS1_3genE4ELNS1_11target_archE910ELNS1_3gpuE8ELNS1_3repE0EEES8_NS0_14default_configES9_NS1_37merge_sort_block_sort_config_selectorIxNS0_10empty_typeEEENS1_38merge_sort_block_merge_config_selectorIxSB_EEEEvv
	.p2align	8
	.type	_ZN7rocprim17ROCPRIM_400000_NS6detail44device_merge_sort_compile_time_verifier_archINS1_11comp_targetILNS1_3genE4ELNS1_11target_archE910ELNS1_3gpuE8ELNS1_3repE0EEES8_NS0_14default_configES9_NS1_37merge_sort_block_sort_config_selectorIxNS0_10empty_typeEEENS1_38merge_sort_block_merge_config_selectorIxSB_EEEEvv,@function
_ZN7rocprim17ROCPRIM_400000_NS6detail44device_merge_sort_compile_time_verifier_archINS1_11comp_targetILNS1_3genE4ELNS1_11target_archE910ELNS1_3gpuE8ELNS1_3repE0EEES8_NS0_14default_configES9_NS1_37merge_sort_block_sort_config_selectorIxNS0_10empty_typeEEENS1_38merge_sort_block_merge_config_selectorIxSB_EEEEvv: ; @_ZN7rocprim17ROCPRIM_400000_NS6detail44device_merge_sort_compile_time_verifier_archINS1_11comp_targetILNS1_3genE4ELNS1_11target_archE910ELNS1_3gpuE8ELNS1_3repE0EEES8_NS0_14default_configES9_NS1_37merge_sort_block_sort_config_selectorIxNS0_10empty_typeEEENS1_38merge_sort_block_merge_config_selectorIxSB_EEEEvv
; %bb.0:
	s_endpgm
	.section	.rodata,"a",@progbits
	.p2align	6, 0x0
	.amdhsa_kernel _ZN7rocprim17ROCPRIM_400000_NS6detail44device_merge_sort_compile_time_verifier_archINS1_11comp_targetILNS1_3genE4ELNS1_11target_archE910ELNS1_3gpuE8ELNS1_3repE0EEES8_NS0_14default_configES9_NS1_37merge_sort_block_sort_config_selectorIxNS0_10empty_typeEEENS1_38merge_sort_block_merge_config_selectorIxSB_EEEEvv
		.amdhsa_group_segment_fixed_size 0
		.amdhsa_private_segment_fixed_size 0
		.amdhsa_kernarg_size 0
		.amdhsa_user_sgpr_count 4
		.amdhsa_user_sgpr_private_segment_buffer 1
		.amdhsa_user_sgpr_dispatch_ptr 0
		.amdhsa_user_sgpr_queue_ptr 0
		.amdhsa_user_sgpr_kernarg_segment_ptr 0
		.amdhsa_user_sgpr_dispatch_id 0
		.amdhsa_user_sgpr_flat_scratch_init 0
		.amdhsa_user_sgpr_kernarg_preload_length 0
		.amdhsa_user_sgpr_kernarg_preload_offset 0
		.amdhsa_user_sgpr_private_segment_size 0
		.amdhsa_uses_dynamic_stack 0
		.amdhsa_system_sgpr_private_segment_wavefront_offset 0
		.amdhsa_system_sgpr_workgroup_id_x 1
		.amdhsa_system_sgpr_workgroup_id_y 0
		.amdhsa_system_sgpr_workgroup_id_z 0
		.amdhsa_system_sgpr_workgroup_info 0
		.amdhsa_system_vgpr_workitem_id 0
		.amdhsa_next_free_vgpr 1
		.amdhsa_next_free_sgpr 0
		.amdhsa_accum_offset 4
		.amdhsa_reserve_vcc 0
		.amdhsa_reserve_flat_scratch 0
		.amdhsa_float_round_mode_32 0
		.amdhsa_float_round_mode_16_64 0
		.amdhsa_float_denorm_mode_32 3
		.amdhsa_float_denorm_mode_16_64 3
		.amdhsa_dx10_clamp 1
		.amdhsa_ieee_mode 1
		.amdhsa_fp16_overflow 0
		.amdhsa_tg_split 0
		.amdhsa_exception_fp_ieee_invalid_op 0
		.amdhsa_exception_fp_denorm_src 0
		.amdhsa_exception_fp_ieee_div_zero 0
		.amdhsa_exception_fp_ieee_overflow 0
		.amdhsa_exception_fp_ieee_underflow 0
		.amdhsa_exception_fp_ieee_inexact 0
		.amdhsa_exception_int_div_zero 0
	.end_amdhsa_kernel
	.section	.text._ZN7rocprim17ROCPRIM_400000_NS6detail44device_merge_sort_compile_time_verifier_archINS1_11comp_targetILNS1_3genE4ELNS1_11target_archE910ELNS1_3gpuE8ELNS1_3repE0EEES8_NS0_14default_configES9_NS1_37merge_sort_block_sort_config_selectorIxNS0_10empty_typeEEENS1_38merge_sort_block_merge_config_selectorIxSB_EEEEvv,"axG",@progbits,_ZN7rocprim17ROCPRIM_400000_NS6detail44device_merge_sort_compile_time_verifier_archINS1_11comp_targetILNS1_3genE4ELNS1_11target_archE910ELNS1_3gpuE8ELNS1_3repE0EEES8_NS0_14default_configES9_NS1_37merge_sort_block_sort_config_selectorIxNS0_10empty_typeEEENS1_38merge_sort_block_merge_config_selectorIxSB_EEEEvv,comdat
.Lfunc_end3372:
	.size	_ZN7rocprim17ROCPRIM_400000_NS6detail44device_merge_sort_compile_time_verifier_archINS1_11comp_targetILNS1_3genE4ELNS1_11target_archE910ELNS1_3gpuE8ELNS1_3repE0EEES8_NS0_14default_configES9_NS1_37merge_sort_block_sort_config_selectorIxNS0_10empty_typeEEENS1_38merge_sort_block_merge_config_selectorIxSB_EEEEvv, .Lfunc_end3372-_ZN7rocprim17ROCPRIM_400000_NS6detail44device_merge_sort_compile_time_verifier_archINS1_11comp_targetILNS1_3genE4ELNS1_11target_archE910ELNS1_3gpuE8ELNS1_3repE0EEES8_NS0_14default_configES9_NS1_37merge_sort_block_sort_config_selectorIxNS0_10empty_typeEEENS1_38merge_sort_block_merge_config_selectorIxSB_EEEEvv
                                        ; -- End function
	.section	.AMDGPU.csdata,"",@progbits
; Kernel info:
; codeLenInByte = 4
; NumSgprs: 4
; NumVgprs: 0
; NumAgprs: 0
; TotalNumVgprs: 0
; ScratchSize: 0
; MemoryBound: 0
; FloatMode: 240
; IeeeMode: 1
; LDSByteSize: 0 bytes/workgroup (compile time only)
; SGPRBlocks: 0
; VGPRBlocks: 0
; NumSGPRsForWavesPerEU: 4
; NumVGPRsForWavesPerEU: 1
; AccumOffset: 4
; Occupancy: 8
; WaveLimiterHint : 0
; COMPUTE_PGM_RSRC2:SCRATCH_EN: 0
; COMPUTE_PGM_RSRC2:USER_SGPR: 4
; COMPUTE_PGM_RSRC2:TRAP_HANDLER: 0
; COMPUTE_PGM_RSRC2:TGID_X_EN: 1
; COMPUTE_PGM_RSRC2:TGID_Y_EN: 0
; COMPUTE_PGM_RSRC2:TGID_Z_EN: 0
; COMPUTE_PGM_RSRC2:TIDIG_COMP_CNT: 0
; COMPUTE_PGM_RSRC3_GFX90A:ACCUM_OFFSET: 0
; COMPUTE_PGM_RSRC3_GFX90A:TG_SPLIT: 0
	.section	.text._ZN7rocprim17ROCPRIM_400000_NS6detail44device_merge_sort_compile_time_verifier_archINS1_11comp_targetILNS1_3genE3ELNS1_11target_archE908ELNS1_3gpuE7ELNS1_3repE0EEES8_NS0_14default_configES9_NS1_37merge_sort_block_sort_config_selectorIxNS0_10empty_typeEEENS1_38merge_sort_block_merge_config_selectorIxSB_EEEEvv,"axG",@progbits,_ZN7rocprim17ROCPRIM_400000_NS6detail44device_merge_sort_compile_time_verifier_archINS1_11comp_targetILNS1_3genE3ELNS1_11target_archE908ELNS1_3gpuE7ELNS1_3repE0EEES8_NS0_14default_configES9_NS1_37merge_sort_block_sort_config_selectorIxNS0_10empty_typeEEENS1_38merge_sort_block_merge_config_selectorIxSB_EEEEvv,comdat
	.protected	_ZN7rocprim17ROCPRIM_400000_NS6detail44device_merge_sort_compile_time_verifier_archINS1_11comp_targetILNS1_3genE3ELNS1_11target_archE908ELNS1_3gpuE7ELNS1_3repE0EEES8_NS0_14default_configES9_NS1_37merge_sort_block_sort_config_selectorIxNS0_10empty_typeEEENS1_38merge_sort_block_merge_config_selectorIxSB_EEEEvv ; -- Begin function _ZN7rocprim17ROCPRIM_400000_NS6detail44device_merge_sort_compile_time_verifier_archINS1_11comp_targetILNS1_3genE3ELNS1_11target_archE908ELNS1_3gpuE7ELNS1_3repE0EEES8_NS0_14default_configES9_NS1_37merge_sort_block_sort_config_selectorIxNS0_10empty_typeEEENS1_38merge_sort_block_merge_config_selectorIxSB_EEEEvv
	.globl	_ZN7rocprim17ROCPRIM_400000_NS6detail44device_merge_sort_compile_time_verifier_archINS1_11comp_targetILNS1_3genE3ELNS1_11target_archE908ELNS1_3gpuE7ELNS1_3repE0EEES8_NS0_14default_configES9_NS1_37merge_sort_block_sort_config_selectorIxNS0_10empty_typeEEENS1_38merge_sort_block_merge_config_selectorIxSB_EEEEvv
	.p2align	8
	.type	_ZN7rocprim17ROCPRIM_400000_NS6detail44device_merge_sort_compile_time_verifier_archINS1_11comp_targetILNS1_3genE3ELNS1_11target_archE908ELNS1_3gpuE7ELNS1_3repE0EEES8_NS0_14default_configES9_NS1_37merge_sort_block_sort_config_selectorIxNS0_10empty_typeEEENS1_38merge_sort_block_merge_config_selectorIxSB_EEEEvv,@function
_ZN7rocprim17ROCPRIM_400000_NS6detail44device_merge_sort_compile_time_verifier_archINS1_11comp_targetILNS1_3genE3ELNS1_11target_archE908ELNS1_3gpuE7ELNS1_3repE0EEES8_NS0_14default_configES9_NS1_37merge_sort_block_sort_config_selectorIxNS0_10empty_typeEEENS1_38merge_sort_block_merge_config_selectorIxSB_EEEEvv: ; @_ZN7rocprim17ROCPRIM_400000_NS6detail44device_merge_sort_compile_time_verifier_archINS1_11comp_targetILNS1_3genE3ELNS1_11target_archE908ELNS1_3gpuE7ELNS1_3repE0EEES8_NS0_14default_configES9_NS1_37merge_sort_block_sort_config_selectorIxNS0_10empty_typeEEENS1_38merge_sort_block_merge_config_selectorIxSB_EEEEvv
; %bb.0:
	s_endpgm
	.section	.rodata,"a",@progbits
	.p2align	6, 0x0
	.amdhsa_kernel _ZN7rocprim17ROCPRIM_400000_NS6detail44device_merge_sort_compile_time_verifier_archINS1_11comp_targetILNS1_3genE3ELNS1_11target_archE908ELNS1_3gpuE7ELNS1_3repE0EEES8_NS0_14default_configES9_NS1_37merge_sort_block_sort_config_selectorIxNS0_10empty_typeEEENS1_38merge_sort_block_merge_config_selectorIxSB_EEEEvv
		.amdhsa_group_segment_fixed_size 0
		.amdhsa_private_segment_fixed_size 0
		.amdhsa_kernarg_size 0
		.amdhsa_user_sgpr_count 4
		.amdhsa_user_sgpr_private_segment_buffer 1
		.amdhsa_user_sgpr_dispatch_ptr 0
		.amdhsa_user_sgpr_queue_ptr 0
		.amdhsa_user_sgpr_kernarg_segment_ptr 0
		.amdhsa_user_sgpr_dispatch_id 0
		.amdhsa_user_sgpr_flat_scratch_init 0
		.amdhsa_user_sgpr_kernarg_preload_length 0
		.amdhsa_user_sgpr_kernarg_preload_offset 0
		.amdhsa_user_sgpr_private_segment_size 0
		.amdhsa_uses_dynamic_stack 0
		.amdhsa_system_sgpr_private_segment_wavefront_offset 0
		.amdhsa_system_sgpr_workgroup_id_x 1
		.amdhsa_system_sgpr_workgroup_id_y 0
		.amdhsa_system_sgpr_workgroup_id_z 0
		.amdhsa_system_sgpr_workgroup_info 0
		.amdhsa_system_vgpr_workitem_id 0
		.amdhsa_next_free_vgpr 1
		.amdhsa_next_free_sgpr 0
		.amdhsa_accum_offset 4
		.amdhsa_reserve_vcc 0
		.amdhsa_reserve_flat_scratch 0
		.amdhsa_float_round_mode_32 0
		.amdhsa_float_round_mode_16_64 0
		.amdhsa_float_denorm_mode_32 3
		.amdhsa_float_denorm_mode_16_64 3
		.amdhsa_dx10_clamp 1
		.amdhsa_ieee_mode 1
		.amdhsa_fp16_overflow 0
		.amdhsa_tg_split 0
		.amdhsa_exception_fp_ieee_invalid_op 0
		.amdhsa_exception_fp_denorm_src 0
		.amdhsa_exception_fp_ieee_div_zero 0
		.amdhsa_exception_fp_ieee_overflow 0
		.amdhsa_exception_fp_ieee_underflow 0
		.amdhsa_exception_fp_ieee_inexact 0
		.amdhsa_exception_int_div_zero 0
	.end_amdhsa_kernel
	.section	.text._ZN7rocprim17ROCPRIM_400000_NS6detail44device_merge_sort_compile_time_verifier_archINS1_11comp_targetILNS1_3genE3ELNS1_11target_archE908ELNS1_3gpuE7ELNS1_3repE0EEES8_NS0_14default_configES9_NS1_37merge_sort_block_sort_config_selectorIxNS0_10empty_typeEEENS1_38merge_sort_block_merge_config_selectorIxSB_EEEEvv,"axG",@progbits,_ZN7rocprim17ROCPRIM_400000_NS6detail44device_merge_sort_compile_time_verifier_archINS1_11comp_targetILNS1_3genE3ELNS1_11target_archE908ELNS1_3gpuE7ELNS1_3repE0EEES8_NS0_14default_configES9_NS1_37merge_sort_block_sort_config_selectorIxNS0_10empty_typeEEENS1_38merge_sort_block_merge_config_selectorIxSB_EEEEvv,comdat
.Lfunc_end3373:
	.size	_ZN7rocprim17ROCPRIM_400000_NS6detail44device_merge_sort_compile_time_verifier_archINS1_11comp_targetILNS1_3genE3ELNS1_11target_archE908ELNS1_3gpuE7ELNS1_3repE0EEES8_NS0_14default_configES9_NS1_37merge_sort_block_sort_config_selectorIxNS0_10empty_typeEEENS1_38merge_sort_block_merge_config_selectorIxSB_EEEEvv, .Lfunc_end3373-_ZN7rocprim17ROCPRIM_400000_NS6detail44device_merge_sort_compile_time_verifier_archINS1_11comp_targetILNS1_3genE3ELNS1_11target_archE908ELNS1_3gpuE7ELNS1_3repE0EEES8_NS0_14default_configES9_NS1_37merge_sort_block_sort_config_selectorIxNS0_10empty_typeEEENS1_38merge_sort_block_merge_config_selectorIxSB_EEEEvv
                                        ; -- End function
	.section	.AMDGPU.csdata,"",@progbits
; Kernel info:
; codeLenInByte = 4
; NumSgprs: 4
; NumVgprs: 0
; NumAgprs: 0
; TotalNumVgprs: 0
; ScratchSize: 0
; MemoryBound: 0
; FloatMode: 240
; IeeeMode: 1
; LDSByteSize: 0 bytes/workgroup (compile time only)
; SGPRBlocks: 0
; VGPRBlocks: 0
; NumSGPRsForWavesPerEU: 4
; NumVGPRsForWavesPerEU: 1
; AccumOffset: 4
; Occupancy: 8
; WaveLimiterHint : 0
; COMPUTE_PGM_RSRC2:SCRATCH_EN: 0
; COMPUTE_PGM_RSRC2:USER_SGPR: 4
; COMPUTE_PGM_RSRC2:TRAP_HANDLER: 0
; COMPUTE_PGM_RSRC2:TGID_X_EN: 1
; COMPUTE_PGM_RSRC2:TGID_Y_EN: 0
; COMPUTE_PGM_RSRC2:TGID_Z_EN: 0
; COMPUTE_PGM_RSRC2:TIDIG_COMP_CNT: 0
; COMPUTE_PGM_RSRC3_GFX90A:ACCUM_OFFSET: 0
; COMPUTE_PGM_RSRC3_GFX90A:TG_SPLIT: 0
	.section	.text._ZN7rocprim17ROCPRIM_400000_NS6detail44device_merge_sort_compile_time_verifier_archINS1_11comp_targetILNS1_3genE2ELNS1_11target_archE906ELNS1_3gpuE6ELNS1_3repE0EEES8_NS0_14default_configES9_NS1_37merge_sort_block_sort_config_selectorIxNS0_10empty_typeEEENS1_38merge_sort_block_merge_config_selectorIxSB_EEEEvv,"axG",@progbits,_ZN7rocprim17ROCPRIM_400000_NS6detail44device_merge_sort_compile_time_verifier_archINS1_11comp_targetILNS1_3genE2ELNS1_11target_archE906ELNS1_3gpuE6ELNS1_3repE0EEES8_NS0_14default_configES9_NS1_37merge_sort_block_sort_config_selectorIxNS0_10empty_typeEEENS1_38merge_sort_block_merge_config_selectorIxSB_EEEEvv,comdat
	.protected	_ZN7rocprim17ROCPRIM_400000_NS6detail44device_merge_sort_compile_time_verifier_archINS1_11comp_targetILNS1_3genE2ELNS1_11target_archE906ELNS1_3gpuE6ELNS1_3repE0EEES8_NS0_14default_configES9_NS1_37merge_sort_block_sort_config_selectorIxNS0_10empty_typeEEENS1_38merge_sort_block_merge_config_selectorIxSB_EEEEvv ; -- Begin function _ZN7rocprim17ROCPRIM_400000_NS6detail44device_merge_sort_compile_time_verifier_archINS1_11comp_targetILNS1_3genE2ELNS1_11target_archE906ELNS1_3gpuE6ELNS1_3repE0EEES8_NS0_14default_configES9_NS1_37merge_sort_block_sort_config_selectorIxNS0_10empty_typeEEENS1_38merge_sort_block_merge_config_selectorIxSB_EEEEvv
	.globl	_ZN7rocprim17ROCPRIM_400000_NS6detail44device_merge_sort_compile_time_verifier_archINS1_11comp_targetILNS1_3genE2ELNS1_11target_archE906ELNS1_3gpuE6ELNS1_3repE0EEES8_NS0_14default_configES9_NS1_37merge_sort_block_sort_config_selectorIxNS0_10empty_typeEEENS1_38merge_sort_block_merge_config_selectorIxSB_EEEEvv
	.p2align	8
	.type	_ZN7rocprim17ROCPRIM_400000_NS6detail44device_merge_sort_compile_time_verifier_archINS1_11comp_targetILNS1_3genE2ELNS1_11target_archE906ELNS1_3gpuE6ELNS1_3repE0EEES8_NS0_14default_configES9_NS1_37merge_sort_block_sort_config_selectorIxNS0_10empty_typeEEENS1_38merge_sort_block_merge_config_selectorIxSB_EEEEvv,@function
_ZN7rocprim17ROCPRIM_400000_NS6detail44device_merge_sort_compile_time_verifier_archINS1_11comp_targetILNS1_3genE2ELNS1_11target_archE906ELNS1_3gpuE6ELNS1_3repE0EEES8_NS0_14default_configES9_NS1_37merge_sort_block_sort_config_selectorIxNS0_10empty_typeEEENS1_38merge_sort_block_merge_config_selectorIxSB_EEEEvv: ; @_ZN7rocprim17ROCPRIM_400000_NS6detail44device_merge_sort_compile_time_verifier_archINS1_11comp_targetILNS1_3genE2ELNS1_11target_archE906ELNS1_3gpuE6ELNS1_3repE0EEES8_NS0_14default_configES9_NS1_37merge_sort_block_sort_config_selectorIxNS0_10empty_typeEEENS1_38merge_sort_block_merge_config_selectorIxSB_EEEEvv
; %bb.0:
	s_endpgm
	.section	.rodata,"a",@progbits
	.p2align	6, 0x0
	.amdhsa_kernel _ZN7rocprim17ROCPRIM_400000_NS6detail44device_merge_sort_compile_time_verifier_archINS1_11comp_targetILNS1_3genE2ELNS1_11target_archE906ELNS1_3gpuE6ELNS1_3repE0EEES8_NS0_14default_configES9_NS1_37merge_sort_block_sort_config_selectorIxNS0_10empty_typeEEENS1_38merge_sort_block_merge_config_selectorIxSB_EEEEvv
		.amdhsa_group_segment_fixed_size 0
		.amdhsa_private_segment_fixed_size 0
		.amdhsa_kernarg_size 0
		.amdhsa_user_sgpr_count 4
		.amdhsa_user_sgpr_private_segment_buffer 1
		.amdhsa_user_sgpr_dispatch_ptr 0
		.amdhsa_user_sgpr_queue_ptr 0
		.amdhsa_user_sgpr_kernarg_segment_ptr 0
		.amdhsa_user_sgpr_dispatch_id 0
		.amdhsa_user_sgpr_flat_scratch_init 0
		.amdhsa_user_sgpr_kernarg_preload_length 0
		.amdhsa_user_sgpr_kernarg_preload_offset 0
		.amdhsa_user_sgpr_private_segment_size 0
		.amdhsa_uses_dynamic_stack 0
		.amdhsa_system_sgpr_private_segment_wavefront_offset 0
		.amdhsa_system_sgpr_workgroup_id_x 1
		.amdhsa_system_sgpr_workgroup_id_y 0
		.amdhsa_system_sgpr_workgroup_id_z 0
		.amdhsa_system_sgpr_workgroup_info 0
		.amdhsa_system_vgpr_workitem_id 0
		.amdhsa_next_free_vgpr 1
		.amdhsa_next_free_sgpr 0
		.amdhsa_accum_offset 4
		.amdhsa_reserve_vcc 0
		.amdhsa_reserve_flat_scratch 0
		.amdhsa_float_round_mode_32 0
		.amdhsa_float_round_mode_16_64 0
		.amdhsa_float_denorm_mode_32 3
		.amdhsa_float_denorm_mode_16_64 3
		.amdhsa_dx10_clamp 1
		.amdhsa_ieee_mode 1
		.amdhsa_fp16_overflow 0
		.amdhsa_tg_split 0
		.amdhsa_exception_fp_ieee_invalid_op 0
		.amdhsa_exception_fp_denorm_src 0
		.amdhsa_exception_fp_ieee_div_zero 0
		.amdhsa_exception_fp_ieee_overflow 0
		.amdhsa_exception_fp_ieee_underflow 0
		.amdhsa_exception_fp_ieee_inexact 0
		.amdhsa_exception_int_div_zero 0
	.end_amdhsa_kernel
	.section	.text._ZN7rocprim17ROCPRIM_400000_NS6detail44device_merge_sort_compile_time_verifier_archINS1_11comp_targetILNS1_3genE2ELNS1_11target_archE906ELNS1_3gpuE6ELNS1_3repE0EEES8_NS0_14default_configES9_NS1_37merge_sort_block_sort_config_selectorIxNS0_10empty_typeEEENS1_38merge_sort_block_merge_config_selectorIxSB_EEEEvv,"axG",@progbits,_ZN7rocprim17ROCPRIM_400000_NS6detail44device_merge_sort_compile_time_verifier_archINS1_11comp_targetILNS1_3genE2ELNS1_11target_archE906ELNS1_3gpuE6ELNS1_3repE0EEES8_NS0_14default_configES9_NS1_37merge_sort_block_sort_config_selectorIxNS0_10empty_typeEEENS1_38merge_sort_block_merge_config_selectorIxSB_EEEEvv,comdat
.Lfunc_end3374:
	.size	_ZN7rocprim17ROCPRIM_400000_NS6detail44device_merge_sort_compile_time_verifier_archINS1_11comp_targetILNS1_3genE2ELNS1_11target_archE906ELNS1_3gpuE6ELNS1_3repE0EEES8_NS0_14default_configES9_NS1_37merge_sort_block_sort_config_selectorIxNS0_10empty_typeEEENS1_38merge_sort_block_merge_config_selectorIxSB_EEEEvv, .Lfunc_end3374-_ZN7rocprim17ROCPRIM_400000_NS6detail44device_merge_sort_compile_time_verifier_archINS1_11comp_targetILNS1_3genE2ELNS1_11target_archE906ELNS1_3gpuE6ELNS1_3repE0EEES8_NS0_14default_configES9_NS1_37merge_sort_block_sort_config_selectorIxNS0_10empty_typeEEENS1_38merge_sort_block_merge_config_selectorIxSB_EEEEvv
                                        ; -- End function
	.section	.AMDGPU.csdata,"",@progbits
; Kernel info:
; codeLenInByte = 4
; NumSgprs: 4
; NumVgprs: 0
; NumAgprs: 0
; TotalNumVgprs: 0
; ScratchSize: 0
; MemoryBound: 0
; FloatMode: 240
; IeeeMode: 1
; LDSByteSize: 0 bytes/workgroup (compile time only)
; SGPRBlocks: 0
; VGPRBlocks: 0
; NumSGPRsForWavesPerEU: 4
; NumVGPRsForWavesPerEU: 1
; AccumOffset: 4
; Occupancy: 8
; WaveLimiterHint : 0
; COMPUTE_PGM_RSRC2:SCRATCH_EN: 0
; COMPUTE_PGM_RSRC2:USER_SGPR: 4
; COMPUTE_PGM_RSRC2:TRAP_HANDLER: 0
; COMPUTE_PGM_RSRC2:TGID_X_EN: 1
; COMPUTE_PGM_RSRC2:TGID_Y_EN: 0
; COMPUTE_PGM_RSRC2:TGID_Z_EN: 0
; COMPUTE_PGM_RSRC2:TIDIG_COMP_CNT: 0
; COMPUTE_PGM_RSRC3_GFX90A:ACCUM_OFFSET: 0
; COMPUTE_PGM_RSRC3_GFX90A:TG_SPLIT: 0
	.section	.text._ZN7rocprim17ROCPRIM_400000_NS6detail44device_merge_sort_compile_time_verifier_archINS1_11comp_targetILNS1_3genE10ELNS1_11target_archE1201ELNS1_3gpuE5ELNS1_3repE0EEES8_NS0_14default_configES9_NS1_37merge_sort_block_sort_config_selectorIxNS0_10empty_typeEEENS1_38merge_sort_block_merge_config_selectorIxSB_EEEEvv,"axG",@progbits,_ZN7rocprim17ROCPRIM_400000_NS6detail44device_merge_sort_compile_time_verifier_archINS1_11comp_targetILNS1_3genE10ELNS1_11target_archE1201ELNS1_3gpuE5ELNS1_3repE0EEES8_NS0_14default_configES9_NS1_37merge_sort_block_sort_config_selectorIxNS0_10empty_typeEEENS1_38merge_sort_block_merge_config_selectorIxSB_EEEEvv,comdat
	.protected	_ZN7rocprim17ROCPRIM_400000_NS6detail44device_merge_sort_compile_time_verifier_archINS1_11comp_targetILNS1_3genE10ELNS1_11target_archE1201ELNS1_3gpuE5ELNS1_3repE0EEES8_NS0_14default_configES9_NS1_37merge_sort_block_sort_config_selectorIxNS0_10empty_typeEEENS1_38merge_sort_block_merge_config_selectorIxSB_EEEEvv ; -- Begin function _ZN7rocprim17ROCPRIM_400000_NS6detail44device_merge_sort_compile_time_verifier_archINS1_11comp_targetILNS1_3genE10ELNS1_11target_archE1201ELNS1_3gpuE5ELNS1_3repE0EEES8_NS0_14default_configES9_NS1_37merge_sort_block_sort_config_selectorIxNS0_10empty_typeEEENS1_38merge_sort_block_merge_config_selectorIxSB_EEEEvv
	.globl	_ZN7rocprim17ROCPRIM_400000_NS6detail44device_merge_sort_compile_time_verifier_archINS1_11comp_targetILNS1_3genE10ELNS1_11target_archE1201ELNS1_3gpuE5ELNS1_3repE0EEES8_NS0_14default_configES9_NS1_37merge_sort_block_sort_config_selectorIxNS0_10empty_typeEEENS1_38merge_sort_block_merge_config_selectorIxSB_EEEEvv
	.p2align	8
	.type	_ZN7rocprim17ROCPRIM_400000_NS6detail44device_merge_sort_compile_time_verifier_archINS1_11comp_targetILNS1_3genE10ELNS1_11target_archE1201ELNS1_3gpuE5ELNS1_3repE0EEES8_NS0_14default_configES9_NS1_37merge_sort_block_sort_config_selectorIxNS0_10empty_typeEEENS1_38merge_sort_block_merge_config_selectorIxSB_EEEEvv,@function
_ZN7rocprim17ROCPRIM_400000_NS6detail44device_merge_sort_compile_time_verifier_archINS1_11comp_targetILNS1_3genE10ELNS1_11target_archE1201ELNS1_3gpuE5ELNS1_3repE0EEES8_NS0_14default_configES9_NS1_37merge_sort_block_sort_config_selectorIxNS0_10empty_typeEEENS1_38merge_sort_block_merge_config_selectorIxSB_EEEEvv: ; @_ZN7rocprim17ROCPRIM_400000_NS6detail44device_merge_sort_compile_time_verifier_archINS1_11comp_targetILNS1_3genE10ELNS1_11target_archE1201ELNS1_3gpuE5ELNS1_3repE0EEES8_NS0_14default_configES9_NS1_37merge_sort_block_sort_config_selectorIxNS0_10empty_typeEEENS1_38merge_sort_block_merge_config_selectorIxSB_EEEEvv
; %bb.0:
	s_endpgm
	.section	.rodata,"a",@progbits
	.p2align	6, 0x0
	.amdhsa_kernel _ZN7rocprim17ROCPRIM_400000_NS6detail44device_merge_sort_compile_time_verifier_archINS1_11comp_targetILNS1_3genE10ELNS1_11target_archE1201ELNS1_3gpuE5ELNS1_3repE0EEES8_NS0_14default_configES9_NS1_37merge_sort_block_sort_config_selectorIxNS0_10empty_typeEEENS1_38merge_sort_block_merge_config_selectorIxSB_EEEEvv
		.amdhsa_group_segment_fixed_size 0
		.amdhsa_private_segment_fixed_size 0
		.amdhsa_kernarg_size 0
		.amdhsa_user_sgpr_count 4
		.amdhsa_user_sgpr_private_segment_buffer 1
		.amdhsa_user_sgpr_dispatch_ptr 0
		.amdhsa_user_sgpr_queue_ptr 0
		.amdhsa_user_sgpr_kernarg_segment_ptr 0
		.amdhsa_user_sgpr_dispatch_id 0
		.amdhsa_user_sgpr_flat_scratch_init 0
		.amdhsa_user_sgpr_kernarg_preload_length 0
		.amdhsa_user_sgpr_kernarg_preload_offset 0
		.amdhsa_user_sgpr_private_segment_size 0
		.amdhsa_uses_dynamic_stack 0
		.amdhsa_system_sgpr_private_segment_wavefront_offset 0
		.amdhsa_system_sgpr_workgroup_id_x 1
		.amdhsa_system_sgpr_workgroup_id_y 0
		.amdhsa_system_sgpr_workgroup_id_z 0
		.amdhsa_system_sgpr_workgroup_info 0
		.amdhsa_system_vgpr_workitem_id 0
		.amdhsa_next_free_vgpr 1
		.amdhsa_next_free_sgpr 0
		.amdhsa_accum_offset 4
		.amdhsa_reserve_vcc 0
		.amdhsa_reserve_flat_scratch 0
		.amdhsa_float_round_mode_32 0
		.amdhsa_float_round_mode_16_64 0
		.amdhsa_float_denorm_mode_32 3
		.amdhsa_float_denorm_mode_16_64 3
		.amdhsa_dx10_clamp 1
		.amdhsa_ieee_mode 1
		.amdhsa_fp16_overflow 0
		.amdhsa_tg_split 0
		.amdhsa_exception_fp_ieee_invalid_op 0
		.amdhsa_exception_fp_denorm_src 0
		.amdhsa_exception_fp_ieee_div_zero 0
		.amdhsa_exception_fp_ieee_overflow 0
		.amdhsa_exception_fp_ieee_underflow 0
		.amdhsa_exception_fp_ieee_inexact 0
		.amdhsa_exception_int_div_zero 0
	.end_amdhsa_kernel
	.section	.text._ZN7rocprim17ROCPRIM_400000_NS6detail44device_merge_sort_compile_time_verifier_archINS1_11comp_targetILNS1_3genE10ELNS1_11target_archE1201ELNS1_3gpuE5ELNS1_3repE0EEES8_NS0_14default_configES9_NS1_37merge_sort_block_sort_config_selectorIxNS0_10empty_typeEEENS1_38merge_sort_block_merge_config_selectorIxSB_EEEEvv,"axG",@progbits,_ZN7rocprim17ROCPRIM_400000_NS6detail44device_merge_sort_compile_time_verifier_archINS1_11comp_targetILNS1_3genE10ELNS1_11target_archE1201ELNS1_3gpuE5ELNS1_3repE0EEES8_NS0_14default_configES9_NS1_37merge_sort_block_sort_config_selectorIxNS0_10empty_typeEEENS1_38merge_sort_block_merge_config_selectorIxSB_EEEEvv,comdat
.Lfunc_end3375:
	.size	_ZN7rocprim17ROCPRIM_400000_NS6detail44device_merge_sort_compile_time_verifier_archINS1_11comp_targetILNS1_3genE10ELNS1_11target_archE1201ELNS1_3gpuE5ELNS1_3repE0EEES8_NS0_14default_configES9_NS1_37merge_sort_block_sort_config_selectorIxNS0_10empty_typeEEENS1_38merge_sort_block_merge_config_selectorIxSB_EEEEvv, .Lfunc_end3375-_ZN7rocprim17ROCPRIM_400000_NS6detail44device_merge_sort_compile_time_verifier_archINS1_11comp_targetILNS1_3genE10ELNS1_11target_archE1201ELNS1_3gpuE5ELNS1_3repE0EEES8_NS0_14default_configES9_NS1_37merge_sort_block_sort_config_selectorIxNS0_10empty_typeEEENS1_38merge_sort_block_merge_config_selectorIxSB_EEEEvv
                                        ; -- End function
	.section	.AMDGPU.csdata,"",@progbits
; Kernel info:
; codeLenInByte = 4
; NumSgprs: 4
; NumVgprs: 0
; NumAgprs: 0
; TotalNumVgprs: 0
; ScratchSize: 0
; MemoryBound: 0
; FloatMode: 240
; IeeeMode: 1
; LDSByteSize: 0 bytes/workgroup (compile time only)
; SGPRBlocks: 0
; VGPRBlocks: 0
; NumSGPRsForWavesPerEU: 4
; NumVGPRsForWavesPerEU: 1
; AccumOffset: 4
; Occupancy: 8
; WaveLimiterHint : 0
; COMPUTE_PGM_RSRC2:SCRATCH_EN: 0
; COMPUTE_PGM_RSRC2:USER_SGPR: 4
; COMPUTE_PGM_RSRC2:TRAP_HANDLER: 0
; COMPUTE_PGM_RSRC2:TGID_X_EN: 1
; COMPUTE_PGM_RSRC2:TGID_Y_EN: 0
; COMPUTE_PGM_RSRC2:TGID_Z_EN: 0
; COMPUTE_PGM_RSRC2:TIDIG_COMP_CNT: 0
; COMPUTE_PGM_RSRC3_GFX90A:ACCUM_OFFSET: 0
; COMPUTE_PGM_RSRC3_GFX90A:TG_SPLIT: 0
	.section	.text._ZN7rocprim17ROCPRIM_400000_NS6detail44device_merge_sort_compile_time_verifier_archINS1_11comp_targetILNS1_3genE10ELNS1_11target_archE1200ELNS1_3gpuE4ELNS1_3repE0EEENS3_ILS4_10ELS5_1201ELS6_5ELS7_0EEENS0_14default_configESA_NS1_37merge_sort_block_sort_config_selectorIxNS0_10empty_typeEEENS1_38merge_sort_block_merge_config_selectorIxSC_EEEEvv,"axG",@progbits,_ZN7rocprim17ROCPRIM_400000_NS6detail44device_merge_sort_compile_time_verifier_archINS1_11comp_targetILNS1_3genE10ELNS1_11target_archE1200ELNS1_3gpuE4ELNS1_3repE0EEENS3_ILS4_10ELS5_1201ELS6_5ELS7_0EEENS0_14default_configESA_NS1_37merge_sort_block_sort_config_selectorIxNS0_10empty_typeEEENS1_38merge_sort_block_merge_config_selectorIxSC_EEEEvv,comdat
	.protected	_ZN7rocprim17ROCPRIM_400000_NS6detail44device_merge_sort_compile_time_verifier_archINS1_11comp_targetILNS1_3genE10ELNS1_11target_archE1200ELNS1_3gpuE4ELNS1_3repE0EEENS3_ILS4_10ELS5_1201ELS6_5ELS7_0EEENS0_14default_configESA_NS1_37merge_sort_block_sort_config_selectorIxNS0_10empty_typeEEENS1_38merge_sort_block_merge_config_selectorIxSC_EEEEvv ; -- Begin function _ZN7rocprim17ROCPRIM_400000_NS6detail44device_merge_sort_compile_time_verifier_archINS1_11comp_targetILNS1_3genE10ELNS1_11target_archE1200ELNS1_3gpuE4ELNS1_3repE0EEENS3_ILS4_10ELS5_1201ELS6_5ELS7_0EEENS0_14default_configESA_NS1_37merge_sort_block_sort_config_selectorIxNS0_10empty_typeEEENS1_38merge_sort_block_merge_config_selectorIxSC_EEEEvv
	.globl	_ZN7rocprim17ROCPRIM_400000_NS6detail44device_merge_sort_compile_time_verifier_archINS1_11comp_targetILNS1_3genE10ELNS1_11target_archE1200ELNS1_3gpuE4ELNS1_3repE0EEENS3_ILS4_10ELS5_1201ELS6_5ELS7_0EEENS0_14default_configESA_NS1_37merge_sort_block_sort_config_selectorIxNS0_10empty_typeEEENS1_38merge_sort_block_merge_config_selectorIxSC_EEEEvv
	.p2align	8
	.type	_ZN7rocprim17ROCPRIM_400000_NS6detail44device_merge_sort_compile_time_verifier_archINS1_11comp_targetILNS1_3genE10ELNS1_11target_archE1200ELNS1_3gpuE4ELNS1_3repE0EEENS3_ILS4_10ELS5_1201ELS6_5ELS7_0EEENS0_14default_configESA_NS1_37merge_sort_block_sort_config_selectorIxNS0_10empty_typeEEENS1_38merge_sort_block_merge_config_selectorIxSC_EEEEvv,@function
_ZN7rocprim17ROCPRIM_400000_NS6detail44device_merge_sort_compile_time_verifier_archINS1_11comp_targetILNS1_3genE10ELNS1_11target_archE1200ELNS1_3gpuE4ELNS1_3repE0EEENS3_ILS4_10ELS5_1201ELS6_5ELS7_0EEENS0_14default_configESA_NS1_37merge_sort_block_sort_config_selectorIxNS0_10empty_typeEEENS1_38merge_sort_block_merge_config_selectorIxSC_EEEEvv: ; @_ZN7rocprim17ROCPRIM_400000_NS6detail44device_merge_sort_compile_time_verifier_archINS1_11comp_targetILNS1_3genE10ELNS1_11target_archE1200ELNS1_3gpuE4ELNS1_3repE0EEENS3_ILS4_10ELS5_1201ELS6_5ELS7_0EEENS0_14default_configESA_NS1_37merge_sort_block_sort_config_selectorIxNS0_10empty_typeEEENS1_38merge_sort_block_merge_config_selectorIxSC_EEEEvv
; %bb.0:
	s_endpgm
	.section	.rodata,"a",@progbits
	.p2align	6, 0x0
	.amdhsa_kernel _ZN7rocprim17ROCPRIM_400000_NS6detail44device_merge_sort_compile_time_verifier_archINS1_11comp_targetILNS1_3genE10ELNS1_11target_archE1200ELNS1_3gpuE4ELNS1_3repE0EEENS3_ILS4_10ELS5_1201ELS6_5ELS7_0EEENS0_14default_configESA_NS1_37merge_sort_block_sort_config_selectorIxNS0_10empty_typeEEENS1_38merge_sort_block_merge_config_selectorIxSC_EEEEvv
		.amdhsa_group_segment_fixed_size 0
		.amdhsa_private_segment_fixed_size 0
		.amdhsa_kernarg_size 0
		.amdhsa_user_sgpr_count 4
		.amdhsa_user_sgpr_private_segment_buffer 1
		.amdhsa_user_sgpr_dispatch_ptr 0
		.amdhsa_user_sgpr_queue_ptr 0
		.amdhsa_user_sgpr_kernarg_segment_ptr 0
		.amdhsa_user_sgpr_dispatch_id 0
		.amdhsa_user_sgpr_flat_scratch_init 0
		.amdhsa_user_sgpr_kernarg_preload_length 0
		.amdhsa_user_sgpr_kernarg_preload_offset 0
		.amdhsa_user_sgpr_private_segment_size 0
		.amdhsa_uses_dynamic_stack 0
		.amdhsa_system_sgpr_private_segment_wavefront_offset 0
		.amdhsa_system_sgpr_workgroup_id_x 1
		.amdhsa_system_sgpr_workgroup_id_y 0
		.amdhsa_system_sgpr_workgroup_id_z 0
		.amdhsa_system_sgpr_workgroup_info 0
		.amdhsa_system_vgpr_workitem_id 0
		.amdhsa_next_free_vgpr 1
		.amdhsa_next_free_sgpr 0
		.amdhsa_accum_offset 4
		.amdhsa_reserve_vcc 0
		.amdhsa_reserve_flat_scratch 0
		.amdhsa_float_round_mode_32 0
		.amdhsa_float_round_mode_16_64 0
		.amdhsa_float_denorm_mode_32 3
		.amdhsa_float_denorm_mode_16_64 3
		.amdhsa_dx10_clamp 1
		.amdhsa_ieee_mode 1
		.amdhsa_fp16_overflow 0
		.amdhsa_tg_split 0
		.amdhsa_exception_fp_ieee_invalid_op 0
		.amdhsa_exception_fp_denorm_src 0
		.amdhsa_exception_fp_ieee_div_zero 0
		.amdhsa_exception_fp_ieee_overflow 0
		.amdhsa_exception_fp_ieee_underflow 0
		.amdhsa_exception_fp_ieee_inexact 0
		.amdhsa_exception_int_div_zero 0
	.end_amdhsa_kernel
	.section	.text._ZN7rocprim17ROCPRIM_400000_NS6detail44device_merge_sort_compile_time_verifier_archINS1_11comp_targetILNS1_3genE10ELNS1_11target_archE1200ELNS1_3gpuE4ELNS1_3repE0EEENS3_ILS4_10ELS5_1201ELS6_5ELS7_0EEENS0_14default_configESA_NS1_37merge_sort_block_sort_config_selectorIxNS0_10empty_typeEEENS1_38merge_sort_block_merge_config_selectorIxSC_EEEEvv,"axG",@progbits,_ZN7rocprim17ROCPRIM_400000_NS6detail44device_merge_sort_compile_time_verifier_archINS1_11comp_targetILNS1_3genE10ELNS1_11target_archE1200ELNS1_3gpuE4ELNS1_3repE0EEENS3_ILS4_10ELS5_1201ELS6_5ELS7_0EEENS0_14default_configESA_NS1_37merge_sort_block_sort_config_selectorIxNS0_10empty_typeEEENS1_38merge_sort_block_merge_config_selectorIxSC_EEEEvv,comdat
.Lfunc_end3376:
	.size	_ZN7rocprim17ROCPRIM_400000_NS6detail44device_merge_sort_compile_time_verifier_archINS1_11comp_targetILNS1_3genE10ELNS1_11target_archE1200ELNS1_3gpuE4ELNS1_3repE0EEENS3_ILS4_10ELS5_1201ELS6_5ELS7_0EEENS0_14default_configESA_NS1_37merge_sort_block_sort_config_selectorIxNS0_10empty_typeEEENS1_38merge_sort_block_merge_config_selectorIxSC_EEEEvv, .Lfunc_end3376-_ZN7rocprim17ROCPRIM_400000_NS6detail44device_merge_sort_compile_time_verifier_archINS1_11comp_targetILNS1_3genE10ELNS1_11target_archE1200ELNS1_3gpuE4ELNS1_3repE0EEENS3_ILS4_10ELS5_1201ELS6_5ELS7_0EEENS0_14default_configESA_NS1_37merge_sort_block_sort_config_selectorIxNS0_10empty_typeEEENS1_38merge_sort_block_merge_config_selectorIxSC_EEEEvv
                                        ; -- End function
	.section	.AMDGPU.csdata,"",@progbits
; Kernel info:
; codeLenInByte = 4
; NumSgprs: 4
; NumVgprs: 0
; NumAgprs: 0
; TotalNumVgprs: 0
; ScratchSize: 0
; MemoryBound: 0
; FloatMode: 240
; IeeeMode: 1
; LDSByteSize: 0 bytes/workgroup (compile time only)
; SGPRBlocks: 0
; VGPRBlocks: 0
; NumSGPRsForWavesPerEU: 4
; NumVGPRsForWavesPerEU: 1
; AccumOffset: 4
; Occupancy: 8
; WaveLimiterHint : 0
; COMPUTE_PGM_RSRC2:SCRATCH_EN: 0
; COMPUTE_PGM_RSRC2:USER_SGPR: 4
; COMPUTE_PGM_RSRC2:TRAP_HANDLER: 0
; COMPUTE_PGM_RSRC2:TGID_X_EN: 1
; COMPUTE_PGM_RSRC2:TGID_Y_EN: 0
; COMPUTE_PGM_RSRC2:TGID_Z_EN: 0
; COMPUTE_PGM_RSRC2:TIDIG_COMP_CNT: 0
; COMPUTE_PGM_RSRC3_GFX90A:ACCUM_OFFSET: 0
; COMPUTE_PGM_RSRC3_GFX90A:TG_SPLIT: 0
	.section	.text._ZN7rocprim17ROCPRIM_400000_NS6detail44device_merge_sort_compile_time_verifier_archINS1_11comp_targetILNS1_3genE9ELNS1_11target_archE1100ELNS1_3gpuE3ELNS1_3repE0EEES8_NS0_14default_configES9_NS1_37merge_sort_block_sort_config_selectorIxNS0_10empty_typeEEENS1_38merge_sort_block_merge_config_selectorIxSB_EEEEvv,"axG",@progbits,_ZN7rocprim17ROCPRIM_400000_NS6detail44device_merge_sort_compile_time_verifier_archINS1_11comp_targetILNS1_3genE9ELNS1_11target_archE1100ELNS1_3gpuE3ELNS1_3repE0EEES8_NS0_14default_configES9_NS1_37merge_sort_block_sort_config_selectorIxNS0_10empty_typeEEENS1_38merge_sort_block_merge_config_selectorIxSB_EEEEvv,comdat
	.protected	_ZN7rocprim17ROCPRIM_400000_NS6detail44device_merge_sort_compile_time_verifier_archINS1_11comp_targetILNS1_3genE9ELNS1_11target_archE1100ELNS1_3gpuE3ELNS1_3repE0EEES8_NS0_14default_configES9_NS1_37merge_sort_block_sort_config_selectorIxNS0_10empty_typeEEENS1_38merge_sort_block_merge_config_selectorIxSB_EEEEvv ; -- Begin function _ZN7rocprim17ROCPRIM_400000_NS6detail44device_merge_sort_compile_time_verifier_archINS1_11comp_targetILNS1_3genE9ELNS1_11target_archE1100ELNS1_3gpuE3ELNS1_3repE0EEES8_NS0_14default_configES9_NS1_37merge_sort_block_sort_config_selectorIxNS0_10empty_typeEEENS1_38merge_sort_block_merge_config_selectorIxSB_EEEEvv
	.globl	_ZN7rocprim17ROCPRIM_400000_NS6detail44device_merge_sort_compile_time_verifier_archINS1_11comp_targetILNS1_3genE9ELNS1_11target_archE1100ELNS1_3gpuE3ELNS1_3repE0EEES8_NS0_14default_configES9_NS1_37merge_sort_block_sort_config_selectorIxNS0_10empty_typeEEENS1_38merge_sort_block_merge_config_selectorIxSB_EEEEvv
	.p2align	8
	.type	_ZN7rocprim17ROCPRIM_400000_NS6detail44device_merge_sort_compile_time_verifier_archINS1_11comp_targetILNS1_3genE9ELNS1_11target_archE1100ELNS1_3gpuE3ELNS1_3repE0EEES8_NS0_14default_configES9_NS1_37merge_sort_block_sort_config_selectorIxNS0_10empty_typeEEENS1_38merge_sort_block_merge_config_selectorIxSB_EEEEvv,@function
_ZN7rocprim17ROCPRIM_400000_NS6detail44device_merge_sort_compile_time_verifier_archINS1_11comp_targetILNS1_3genE9ELNS1_11target_archE1100ELNS1_3gpuE3ELNS1_3repE0EEES8_NS0_14default_configES9_NS1_37merge_sort_block_sort_config_selectorIxNS0_10empty_typeEEENS1_38merge_sort_block_merge_config_selectorIxSB_EEEEvv: ; @_ZN7rocprim17ROCPRIM_400000_NS6detail44device_merge_sort_compile_time_verifier_archINS1_11comp_targetILNS1_3genE9ELNS1_11target_archE1100ELNS1_3gpuE3ELNS1_3repE0EEES8_NS0_14default_configES9_NS1_37merge_sort_block_sort_config_selectorIxNS0_10empty_typeEEENS1_38merge_sort_block_merge_config_selectorIxSB_EEEEvv
; %bb.0:
	s_endpgm
	.section	.rodata,"a",@progbits
	.p2align	6, 0x0
	.amdhsa_kernel _ZN7rocprim17ROCPRIM_400000_NS6detail44device_merge_sort_compile_time_verifier_archINS1_11comp_targetILNS1_3genE9ELNS1_11target_archE1100ELNS1_3gpuE3ELNS1_3repE0EEES8_NS0_14default_configES9_NS1_37merge_sort_block_sort_config_selectorIxNS0_10empty_typeEEENS1_38merge_sort_block_merge_config_selectorIxSB_EEEEvv
		.amdhsa_group_segment_fixed_size 0
		.amdhsa_private_segment_fixed_size 0
		.amdhsa_kernarg_size 0
		.amdhsa_user_sgpr_count 4
		.amdhsa_user_sgpr_private_segment_buffer 1
		.amdhsa_user_sgpr_dispatch_ptr 0
		.amdhsa_user_sgpr_queue_ptr 0
		.amdhsa_user_sgpr_kernarg_segment_ptr 0
		.amdhsa_user_sgpr_dispatch_id 0
		.amdhsa_user_sgpr_flat_scratch_init 0
		.amdhsa_user_sgpr_kernarg_preload_length 0
		.amdhsa_user_sgpr_kernarg_preload_offset 0
		.amdhsa_user_sgpr_private_segment_size 0
		.amdhsa_uses_dynamic_stack 0
		.amdhsa_system_sgpr_private_segment_wavefront_offset 0
		.amdhsa_system_sgpr_workgroup_id_x 1
		.amdhsa_system_sgpr_workgroup_id_y 0
		.amdhsa_system_sgpr_workgroup_id_z 0
		.amdhsa_system_sgpr_workgroup_info 0
		.amdhsa_system_vgpr_workitem_id 0
		.amdhsa_next_free_vgpr 1
		.amdhsa_next_free_sgpr 0
		.amdhsa_accum_offset 4
		.amdhsa_reserve_vcc 0
		.amdhsa_reserve_flat_scratch 0
		.amdhsa_float_round_mode_32 0
		.amdhsa_float_round_mode_16_64 0
		.amdhsa_float_denorm_mode_32 3
		.amdhsa_float_denorm_mode_16_64 3
		.amdhsa_dx10_clamp 1
		.amdhsa_ieee_mode 1
		.amdhsa_fp16_overflow 0
		.amdhsa_tg_split 0
		.amdhsa_exception_fp_ieee_invalid_op 0
		.amdhsa_exception_fp_denorm_src 0
		.amdhsa_exception_fp_ieee_div_zero 0
		.amdhsa_exception_fp_ieee_overflow 0
		.amdhsa_exception_fp_ieee_underflow 0
		.amdhsa_exception_fp_ieee_inexact 0
		.amdhsa_exception_int_div_zero 0
	.end_amdhsa_kernel
	.section	.text._ZN7rocprim17ROCPRIM_400000_NS6detail44device_merge_sort_compile_time_verifier_archINS1_11comp_targetILNS1_3genE9ELNS1_11target_archE1100ELNS1_3gpuE3ELNS1_3repE0EEES8_NS0_14default_configES9_NS1_37merge_sort_block_sort_config_selectorIxNS0_10empty_typeEEENS1_38merge_sort_block_merge_config_selectorIxSB_EEEEvv,"axG",@progbits,_ZN7rocprim17ROCPRIM_400000_NS6detail44device_merge_sort_compile_time_verifier_archINS1_11comp_targetILNS1_3genE9ELNS1_11target_archE1100ELNS1_3gpuE3ELNS1_3repE0EEES8_NS0_14default_configES9_NS1_37merge_sort_block_sort_config_selectorIxNS0_10empty_typeEEENS1_38merge_sort_block_merge_config_selectorIxSB_EEEEvv,comdat
.Lfunc_end3377:
	.size	_ZN7rocprim17ROCPRIM_400000_NS6detail44device_merge_sort_compile_time_verifier_archINS1_11comp_targetILNS1_3genE9ELNS1_11target_archE1100ELNS1_3gpuE3ELNS1_3repE0EEES8_NS0_14default_configES9_NS1_37merge_sort_block_sort_config_selectorIxNS0_10empty_typeEEENS1_38merge_sort_block_merge_config_selectorIxSB_EEEEvv, .Lfunc_end3377-_ZN7rocprim17ROCPRIM_400000_NS6detail44device_merge_sort_compile_time_verifier_archINS1_11comp_targetILNS1_3genE9ELNS1_11target_archE1100ELNS1_3gpuE3ELNS1_3repE0EEES8_NS0_14default_configES9_NS1_37merge_sort_block_sort_config_selectorIxNS0_10empty_typeEEENS1_38merge_sort_block_merge_config_selectorIxSB_EEEEvv
                                        ; -- End function
	.section	.AMDGPU.csdata,"",@progbits
; Kernel info:
; codeLenInByte = 4
; NumSgprs: 4
; NumVgprs: 0
; NumAgprs: 0
; TotalNumVgprs: 0
; ScratchSize: 0
; MemoryBound: 0
; FloatMode: 240
; IeeeMode: 1
; LDSByteSize: 0 bytes/workgroup (compile time only)
; SGPRBlocks: 0
; VGPRBlocks: 0
; NumSGPRsForWavesPerEU: 4
; NumVGPRsForWavesPerEU: 1
; AccumOffset: 4
; Occupancy: 8
; WaveLimiterHint : 0
; COMPUTE_PGM_RSRC2:SCRATCH_EN: 0
; COMPUTE_PGM_RSRC2:USER_SGPR: 4
; COMPUTE_PGM_RSRC2:TRAP_HANDLER: 0
; COMPUTE_PGM_RSRC2:TGID_X_EN: 1
; COMPUTE_PGM_RSRC2:TGID_Y_EN: 0
; COMPUTE_PGM_RSRC2:TGID_Z_EN: 0
; COMPUTE_PGM_RSRC2:TIDIG_COMP_CNT: 0
; COMPUTE_PGM_RSRC3_GFX90A:ACCUM_OFFSET: 0
; COMPUTE_PGM_RSRC3_GFX90A:TG_SPLIT: 0
	.section	.text._ZN7rocprim17ROCPRIM_400000_NS6detail44device_merge_sort_compile_time_verifier_archINS1_11comp_targetILNS1_3genE8ELNS1_11target_archE1030ELNS1_3gpuE2ELNS1_3repE0EEES8_NS0_14default_configES9_NS1_37merge_sort_block_sort_config_selectorIxNS0_10empty_typeEEENS1_38merge_sort_block_merge_config_selectorIxSB_EEEEvv,"axG",@progbits,_ZN7rocprim17ROCPRIM_400000_NS6detail44device_merge_sort_compile_time_verifier_archINS1_11comp_targetILNS1_3genE8ELNS1_11target_archE1030ELNS1_3gpuE2ELNS1_3repE0EEES8_NS0_14default_configES9_NS1_37merge_sort_block_sort_config_selectorIxNS0_10empty_typeEEENS1_38merge_sort_block_merge_config_selectorIxSB_EEEEvv,comdat
	.protected	_ZN7rocprim17ROCPRIM_400000_NS6detail44device_merge_sort_compile_time_verifier_archINS1_11comp_targetILNS1_3genE8ELNS1_11target_archE1030ELNS1_3gpuE2ELNS1_3repE0EEES8_NS0_14default_configES9_NS1_37merge_sort_block_sort_config_selectorIxNS0_10empty_typeEEENS1_38merge_sort_block_merge_config_selectorIxSB_EEEEvv ; -- Begin function _ZN7rocprim17ROCPRIM_400000_NS6detail44device_merge_sort_compile_time_verifier_archINS1_11comp_targetILNS1_3genE8ELNS1_11target_archE1030ELNS1_3gpuE2ELNS1_3repE0EEES8_NS0_14default_configES9_NS1_37merge_sort_block_sort_config_selectorIxNS0_10empty_typeEEENS1_38merge_sort_block_merge_config_selectorIxSB_EEEEvv
	.globl	_ZN7rocprim17ROCPRIM_400000_NS6detail44device_merge_sort_compile_time_verifier_archINS1_11comp_targetILNS1_3genE8ELNS1_11target_archE1030ELNS1_3gpuE2ELNS1_3repE0EEES8_NS0_14default_configES9_NS1_37merge_sort_block_sort_config_selectorIxNS0_10empty_typeEEENS1_38merge_sort_block_merge_config_selectorIxSB_EEEEvv
	.p2align	8
	.type	_ZN7rocprim17ROCPRIM_400000_NS6detail44device_merge_sort_compile_time_verifier_archINS1_11comp_targetILNS1_3genE8ELNS1_11target_archE1030ELNS1_3gpuE2ELNS1_3repE0EEES8_NS0_14default_configES9_NS1_37merge_sort_block_sort_config_selectorIxNS0_10empty_typeEEENS1_38merge_sort_block_merge_config_selectorIxSB_EEEEvv,@function
_ZN7rocprim17ROCPRIM_400000_NS6detail44device_merge_sort_compile_time_verifier_archINS1_11comp_targetILNS1_3genE8ELNS1_11target_archE1030ELNS1_3gpuE2ELNS1_3repE0EEES8_NS0_14default_configES9_NS1_37merge_sort_block_sort_config_selectorIxNS0_10empty_typeEEENS1_38merge_sort_block_merge_config_selectorIxSB_EEEEvv: ; @_ZN7rocprim17ROCPRIM_400000_NS6detail44device_merge_sort_compile_time_verifier_archINS1_11comp_targetILNS1_3genE8ELNS1_11target_archE1030ELNS1_3gpuE2ELNS1_3repE0EEES8_NS0_14default_configES9_NS1_37merge_sort_block_sort_config_selectorIxNS0_10empty_typeEEENS1_38merge_sort_block_merge_config_selectorIxSB_EEEEvv
; %bb.0:
	s_endpgm
	.section	.rodata,"a",@progbits
	.p2align	6, 0x0
	.amdhsa_kernel _ZN7rocprim17ROCPRIM_400000_NS6detail44device_merge_sort_compile_time_verifier_archINS1_11comp_targetILNS1_3genE8ELNS1_11target_archE1030ELNS1_3gpuE2ELNS1_3repE0EEES8_NS0_14default_configES9_NS1_37merge_sort_block_sort_config_selectorIxNS0_10empty_typeEEENS1_38merge_sort_block_merge_config_selectorIxSB_EEEEvv
		.amdhsa_group_segment_fixed_size 0
		.amdhsa_private_segment_fixed_size 0
		.amdhsa_kernarg_size 0
		.amdhsa_user_sgpr_count 4
		.amdhsa_user_sgpr_private_segment_buffer 1
		.amdhsa_user_sgpr_dispatch_ptr 0
		.amdhsa_user_sgpr_queue_ptr 0
		.amdhsa_user_sgpr_kernarg_segment_ptr 0
		.amdhsa_user_sgpr_dispatch_id 0
		.amdhsa_user_sgpr_flat_scratch_init 0
		.amdhsa_user_sgpr_kernarg_preload_length 0
		.amdhsa_user_sgpr_kernarg_preload_offset 0
		.amdhsa_user_sgpr_private_segment_size 0
		.amdhsa_uses_dynamic_stack 0
		.amdhsa_system_sgpr_private_segment_wavefront_offset 0
		.amdhsa_system_sgpr_workgroup_id_x 1
		.amdhsa_system_sgpr_workgroup_id_y 0
		.amdhsa_system_sgpr_workgroup_id_z 0
		.amdhsa_system_sgpr_workgroup_info 0
		.amdhsa_system_vgpr_workitem_id 0
		.amdhsa_next_free_vgpr 1
		.amdhsa_next_free_sgpr 0
		.amdhsa_accum_offset 4
		.amdhsa_reserve_vcc 0
		.amdhsa_reserve_flat_scratch 0
		.amdhsa_float_round_mode_32 0
		.amdhsa_float_round_mode_16_64 0
		.amdhsa_float_denorm_mode_32 3
		.amdhsa_float_denorm_mode_16_64 3
		.amdhsa_dx10_clamp 1
		.amdhsa_ieee_mode 1
		.amdhsa_fp16_overflow 0
		.amdhsa_tg_split 0
		.amdhsa_exception_fp_ieee_invalid_op 0
		.amdhsa_exception_fp_denorm_src 0
		.amdhsa_exception_fp_ieee_div_zero 0
		.amdhsa_exception_fp_ieee_overflow 0
		.amdhsa_exception_fp_ieee_underflow 0
		.amdhsa_exception_fp_ieee_inexact 0
		.amdhsa_exception_int_div_zero 0
	.end_amdhsa_kernel
	.section	.text._ZN7rocprim17ROCPRIM_400000_NS6detail44device_merge_sort_compile_time_verifier_archINS1_11comp_targetILNS1_3genE8ELNS1_11target_archE1030ELNS1_3gpuE2ELNS1_3repE0EEES8_NS0_14default_configES9_NS1_37merge_sort_block_sort_config_selectorIxNS0_10empty_typeEEENS1_38merge_sort_block_merge_config_selectorIxSB_EEEEvv,"axG",@progbits,_ZN7rocprim17ROCPRIM_400000_NS6detail44device_merge_sort_compile_time_verifier_archINS1_11comp_targetILNS1_3genE8ELNS1_11target_archE1030ELNS1_3gpuE2ELNS1_3repE0EEES8_NS0_14default_configES9_NS1_37merge_sort_block_sort_config_selectorIxNS0_10empty_typeEEENS1_38merge_sort_block_merge_config_selectorIxSB_EEEEvv,comdat
.Lfunc_end3378:
	.size	_ZN7rocprim17ROCPRIM_400000_NS6detail44device_merge_sort_compile_time_verifier_archINS1_11comp_targetILNS1_3genE8ELNS1_11target_archE1030ELNS1_3gpuE2ELNS1_3repE0EEES8_NS0_14default_configES9_NS1_37merge_sort_block_sort_config_selectorIxNS0_10empty_typeEEENS1_38merge_sort_block_merge_config_selectorIxSB_EEEEvv, .Lfunc_end3378-_ZN7rocprim17ROCPRIM_400000_NS6detail44device_merge_sort_compile_time_verifier_archINS1_11comp_targetILNS1_3genE8ELNS1_11target_archE1030ELNS1_3gpuE2ELNS1_3repE0EEES8_NS0_14default_configES9_NS1_37merge_sort_block_sort_config_selectorIxNS0_10empty_typeEEENS1_38merge_sort_block_merge_config_selectorIxSB_EEEEvv
                                        ; -- End function
	.section	.AMDGPU.csdata,"",@progbits
; Kernel info:
; codeLenInByte = 4
; NumSgprs: 4
; NumVgprs: 0
; NumAgprs: 0
; TotalNumVgprs: 0
; ScratchSize: 0
; MemoryBound: 0
; FloatMode: 240
; IeeeMode: 1
; LDSByteSize: 0 bytes/workgroup (compile time only)
; SGPRBlocks: 0
; VGPRBlocks: 0
; NumSGPRsForWavesPerEU: 4
; NumVGPRsForWavesPerEU: 1
; AccumOffset: 4
; Occupancy: 8
; WaveLimiterHint : 0
; COMPUTE_PGM_RSRC2:SCRATCH_EN: 0
; COMPUTE_PGM_RSRC2:USER_SGPR: 4
; COMPUTE_PGM_RSRC2:TRAP_HANDLER: 0
; COMPUTE_PGM_RSRC2:TGID_X_EN: 1
; COMPUTE_PGM_RSRC2:TGID_Y_EN: 0
; COMPUTE_PGM_RSRC2:TGID_Z_EN: 0
; COMPUTE_PGM_RSRC2:TIDIG_COMP_CNT: 0
; COMPUTE_PGM_RSRC3_GFX90A:ACCUM_OFFSET: 0
; COMPUTE_PGM_RSRC3_GFX90A:TG_SPLIT: 0
	.section	.text._ZN7rocprim17ROCPRIM_400000_NS6detail17trampoline_kernelINS0_14default_configENS1_37merge_sort_block_sort_config_selectorIxNS0_10empty_typeEEEZNS1_21merge_sort_block_sortIS3_N6thrust23THRUST_200600_302600_NS6detail15normal_iteratorINS9_10device_ptrIxEEEESE_PS5_SF_14custom_greaterIxEEE10hipError_tT0_T1_T2_T3_mRjT4_P12ihipStream_tbNS1_7vsmem_tEEUlT_E_NS1_11comp_targetILNS1_3genE0ELNS1_11target_archE4294967295ELNS1_3gpuE0ELNS1_3repE0EEENS1_30default_config_static_selectorELNS0_4arch9wavefront6targetE1EEEvSK_,"axG",@progbits,_ZN7rocprim17ROCPRIM_400000_NS6detail17trampoline_kernelINS0_14default_configENS1_37merge_sort_block_sort_config_selectorIxNS0_10empty_typeEEEZNS1_21merge_sort_block_sortIS3_N6thrust23THRUST_200600_302600_NS6detail15normal_iteratorINS9_10device_ptrIxEEEESE_PS5_SF_14custom_greaterIxEEE10hipError_tT0_T1_T2_T3_mRjT4_P12ihipStream_tbNS1_7vsmem_tEEUlT_E_NS1_11comp_targetILNS1_3genE0ELNS1_11target_archE4294967295ELNS1_3gpuE0ELNS1_3repE0EEENS1_30default_config_static_selectorELNS0_4arch9wavefront6targetE1EEEvSK_,comdat
	.protected	_ZN7rocprim17ROCPRIM_400000_NS6detail17trampoline_kernelINS0_14default_configENS1_37merge_sort_block_sort_config_selectorIxNS0_10empty_typeEEEZNS1_21merge_sort_block_sortIS3_N6thrust23THRUST_200600_302600_NS6detail15normal_iteratorINS9_10device_ptrIxEEEESE_PS5_SF_14custom_greaterIxEEE10hipError_tT0_T1_T2_T3_mRjT4_P12ihipStream_tbNS1_7vsmem_tEEUlT_E_NS1_11comp_targetILNS1_3genE0ELNS1_11target_archE4294967295ELNS1_3gpuE0ELNS1_3repE0EEENS1_30default_config_static_selectorELNS0_4arch9wavefront6targetE1EEEvSK_ ; -- Begin function _ZN7rocprim17ROCPRIM_400000_NS6detail17trampoline_kernelINS0_14default_configENS1_37merge_sort_block_sort_config_selectorIxNS0_10empty_typeEEEZNS1_21merge_sort_block_sortIS3_N6thrust23THRUST_200600_302600_NS6detail15normal_iteratorINS9_10device_ptrIxEEEESE_PS5_SF_14custom_greaterIxEEE10hipError_tT0_T1_T2_T3_mRjT4_P12ihipStream_tbNS1_7vsmem_tEEUlT_E_NS1_11comp_targetILNS1_3genE0ELNS1_11target_archE4294967295ELNS1_3gpuE0ELNS1_3repE0EEENS1_30default_config_static_selectorELNS0_4arch9wavefront6targetE1EEEvSK_
	.globl	_ZN7rocprim17ROCPRIM_400000_NS6detail17trampoline_kernelINS0_14default_configENS1_37merge_sort_block_sort_config_selectorIxNS0_10empty_typeEEEZNS1_21merge_sort_block_sortIS3_N6thrust23THRUST_200600_302600_NS6detail15normal_iteratorINS9_10device_ptrIxEEEESE_PS5_SF_14custom_greaterIxEEE10hipError_tT0_T1_T2_T3_mRjT4_P12ihipStream_tbNS1_7vsmem_tEEUlT_E_NS1_11comp_targetILNS1_3genE0ELNS1_11target_archE4294967295ELNS1_3gpuE0ELNS1_3repE0EEENS1_30default_config_static_selectorELNS0_4arch9wavefront6targetE1EEEvSK_
	.p2align	8
	.type	_ZN7rocprim17ROCPRIM_400000_NS6detail17trampoline_kernelINS0_14default_configENS1_37merge_sort_block_sort_config_selectorIxNS0_10empty_typeEEEZNS1_21merge_sort_block_sortIS3_N6thrust23THRUST_200600_302600_NS6detail15normal_iteratorINS9_10device_ptrIxEEEESE_PS5_SF_14custom_greaterIxEEE10hipError_tT0_T1_T2_T3_mRjT4_P12ihipStream_tbNS1_7vsmem_tEEUlT_E_NS1_11comp_targetILNS1_3genE0ELNS1_11target_archE4294967295ELNS1_3gpuE0ELNS1_3repE0EEENS1_30default_config_static_selectorELNS0_4arch9wavefront6targetE1EEEvSK_,@function
_ZN7rocprim17ROCPRIM_400000_NS6detail17trampoline_kernelINS0_14default_configENS1_37merge_sort_block_sort_config_selectorIxNS0_10empty_typeEEEZNS1_21merge_sort_block_sortIS3_N6thrust23THRUST_200600_302600_NS6detail15normal_iteratorINS9_10device_ptrIxEEEESE_PS5_SF_14custom_greaterIxEEE10hipError_tT0_T1_T2_T3_mRjT4_P12ihipStream_tbNS1_7vsmem_tEEUlT_E_NS1_11comp_targetILNS1_3genE0ELNS1_11target_archE4294967295ELNS1_3gpuE0ELNS1_3repE0EEENS1_30default_config_static_selectorELNS0_4arch9wavefront6targetE1EEEvSK_: ; @_ZN7rocprim17ROCPRIM_400000_NS6detail17trampoline_kernelINS0_14default_configENS1_37merge_sort_block_sort_config_selectorIxNS0_10empty_typeEEEZNS1_21merge_sort_block_sortIS3_N6thrust23THRUST_200600_302600_NS6detail15normal_iteratorINS9_10device_ptrIxEEEESE_PS5_SF_14custom_greaterIxEEE10hipError_tT0_T1_T2_T3_mRjT4_P12ihipStream_tbNS1_7vsmem_tEEUlT_E_NS1_11comp_targetILNS1_3genE0ELNS1_11target_archE4294967295ELNS1_3gpuE0ELNS1_3repE0EEENS1_30default_config_static_selectorELNS0_4arch9wavefront6targetE1EEEvSK_
; %bb.0:
	.section	.rodata,"a",@progbits
	.p2align	6, 0x0
	.amdhsa_kernel _ZN7rocprim17ROCPRIM_400000_NS6detail17trampoline_kernelINS0_14default_configENS1_37merge_sort_block_sort_config_selectorIxNS0_10empty_typeEEEZNS1_21merge_sort_block_sortIS3_N6thrust23THRUST_200600_302600_NS6detail15normal_iteratorINS9_10device_ptrIxEEEESE_PS5_SF_14custom_greaterIxEEE10hipError_tT0_T1_T2_T3_mRjT4_P12ihipStream_tbNS1_7vsmem_tEEUlT_E_NS1_11comp_targetILNS1_3genE0ELNS1_11target_archE4294967295ELNS1_3gpuE0ELNS1_3repE0EEENS1_30default_config_static_selectorELNS0_4arch9wavefront6targetE1EEEvSK_
		.amdhsa_group_segment_fixed_size 0
		.amdhsa_private_segment_fixed_size 0
		.amdhsa_kernarg_size 64
		.amdhsa_user_sgpr_count 6
		.amdhsa_user_sgpr_private_segment_buffer 1
		.amdhsa_user_sgpr_dispatch_ptr 0
		.amdhsa_user_sgpr_queue_ptr 0
		.amdhsa_user_sgpr_kernarg_segment_ptr 1
		.amdhsa_user_sgpr_dispatch_id 0
		.amdhsa_user_sgpr_flat_scratch_init 0
		.amdhsa_user_sgpr_kernarg_preload_length 0
		.amdhsa_user_sgpr_kernarg_preload_offset 0
		.amdhsa_user_sgpr_private_segment_size 0
		.amdhsa_uses_dynamic_stack 0
		.amdhsa_system_sgpr_private_segment_wavefront_offset 0
		.amdhsa_system_sgpr_workgroup_id_x 1
		.amdhsa_system_sgpr_workgroup_id_y 0
		.amdhsa_system_sgpr_workgroup_id_z 0
		.amdhsa_system_sgpr_workgroup_info 0
		.amdhsa_system_vgpr_workitem_id 0
		.amdhsa_next_free_vgpr 1
		.amdhsa_next_free_sgpr 0
		.amdhsa_accum_offset 4
		.amdhsa_reserve_vcc 0
		.amdhsa_reserve_flat_scratch 0
		.amdhsa_float_round_mode_32 0
		.amdhsa_float_round_mode_16_64 0
		.amdhsa_float_denorm_mode_32 3
		.amdhsa_float_denorm_mode_16_64 3
		.amdhsa_dx10_clamp 1
		.amdhsa_ieee_mode 1
		.amdhsa_fp16_overflow 0
		.amdhsa_tg_split 0
		.amdhsa_exception_fp_ieee_invalid_op 0
		.amdhsa_exception_fp_denorm_src 0
		.amdhsa_exception_fp_ieee_div_zero 0
		.amdhsa_exception_fp_ieee_overflow 0
		.amdhsa_exception_fp_ieee_underflow 0
		.amdhsa_exception_fp_ieee_inexact 0
		.amdhsa_exception_int_div_zero 0
	.end_amdhsa_kernel
	.section	.text._ZN7rocprim17ROCPRIM_400000_NS6detail17trampoline_kernelINS0_14default_configENS1_37merge_sort_block_sort_config_selectorIxNS0_10empty_typeEEEZNS1_21merge_sort_block_sortIS3_N6thrust23THRUST_200600_302600_NS6detail15normal_iteratorINS9_10device_ptrIxEEEESE_PS5_SF_14custom_greaterIxEEE10hipError_tT0_T1_T2_T3_mRjT4_P12ihipStream_tbNS1_7vsmem_tEEUlT_E_NS1_11comp_targetILNS1_3genE0ELNS1_11target_archE4294967295ELNS1_3gpuE0ELNS1_3repE0EEENS1_30default_config_static_selectorELNS0_4arch9wavefront6targetE1EEEvSK_,"axG",@progbits,_ZN7rocprim17ROCPRIM_400000_NS6detail17trampoline_kernelINS0_14default_configENS1_37merge_sort_block_sort_config_selectorIxNS0_10empty_typeEEEZNS1_21merge_sort_block_sortIS3_N6thrust23THRUST_200600_302600_NS6detail15normal_iteratorINS9_10device_ptrIxEEEESE_PS5_SF_14custom_greaterIxEEE10hipError_tT0_T1_T2_T3_mRjT4_P12ihipStream_tbNS1_7vsmem_tEEUlT_E_NS1_11comp_targetILNS1_3genE0ELNS1_11target_archE4294967295ELNS1_3gpuE0ELNS1_3repE0EEENS1_30default_config_static_selectorELNS0_4arch9wavefront6targetE1EEEvSK_,comdat
.Lfunc_end3379:
	.size	_ZN7rocprim17ROCPRIM_400000_NS6detail17trampoline_kernelINS0_14default_configENS1_37merge_sort_block_sort_config_selectorIxNS0_10empty_typeEEEZNS1_21merge_sort_block_sortIS3_N6thrust23THRUST_200600_302600_NS6detail15normal_iteratorINS9_10device_ptrIxEEEESE_PS5_SF_14custom_greaterIxEEE10hipError_tT0_T1_T2_T3_mRjT4_P12ihipStream_tbNS1_7vsmem_tEEUlT_E_NS1_11comp_targetILNS1_3genE0ELNS1_11target_archE4294967295ELNS1_3gpuE0ELNS1_3repE0EEENS1_30default_config_static_selectorELNS0_4arch9wavefront6targetE1EEEvSK_, .Lfunc_end3379-_ZN7rocprim17ROCPRIM_400000_NS6detail17trampoline_kernelINS0_14default_configENS1_37merge_sort_block_sort_config_selectorIxNS0_10empty_typeEEEZNS1_21merge_sort_block_sortIS3_N6thrust23THRUST_200600_302600_NS6detail15normal_iteratorINS9_10device_ptrIxEEEESE_PS5_SF_14custom_greaterIxEEE10hipError_tT0_T1_T2_T3_mRjT4_P12ihipStream_tbNS1_7vsmem_tEEUlT_E_NS1_11comp_targetILNS1_3genE0ELNS1_11target_archE4294967295ELNS1_3gpuE0ELNS1_3repE0EEENS1_30default_config_static_selectorELNS0_4arch9wavefront6targetE1EEEvSK_
                                        ; -- End function
	.section	.AMDGPU.csdata,"",@progbits
; Kernel info:
; codeLenInByte = 0
; NumSgprs: 4
; NumVgprs: 0
; NumAgprs: 0
; TotalNumVgprs: 0
; ScratchSize: 0
; MemoryBound: 0
; FloatMode: 240
; IeeeMode: 1
; LDSByteSize: 0 bytes/workgroup (compile time only)
; SGPRBlocks: 0
; VGPRBlocks: 0
; NumSGPRsForWavesPerEU: 4
; NumVGPRsForWavesPerEU: 1
; AccumOffset: 4
; Occupancy: 8
; WaveLimiterHint : 0
; COMPUTE_PGM_RSRC2:SCRATCH_EN: 0
; COMPUTE_PGM_RSRC2:USER_SGPR: 6
; COMPUTE_PGM_RSRC2:TRAP_HANDLER: 0
; COMPUTE_PGM_RSRC2:TGID_X_EN: 1
; COMPUTE_PGM_RSRC2:TGID_Y_EN: 0
; COMPUTE_PGM_RSRC2:TGID_Z_EN: 0
; COMPUTE_PGM_RSRC2:TIDIG_COMP_CNT: 0
; COMPUTE_PGM_RSRC3_GFX90A:ACCUM_OFFSET: 0
; COMPUTE_PGM_RSRC3_GFX90A:TG_SPLIT: 0
	.section	.text._ZN7rocprim17ROCPRIM_400000_NS6detail17trampoline_kernelINS0_14default_configENS1_37merge_sort_block_sort_config_selectorIxNS0_10empty_typeEEEZNS1_21merge_sort_block_sortIS3_N6thrust23THRUST_200600_302600_NS6detail15normal_iteratorINS9_10device_ptrIxEEEESE_PS5_SF_14custom_greaterIxEEE10hipError_tT0_T1_T2_T3_mRjT4_P12ihipStream_tbNS1_7vsmem_tEEUlT_E_NS1_11comp_targetILNS1_3genE5ELNS1_11target_archE942ELNS1_3gpuE9ELNS1_3repE0EEENS1_30default_config_static_selectorELNS0_4arch9wavefront6targetE1EEEvSK_,"axG",@progbits,_ZN7rocprim17ROCPRIM_400000_NS6detail17trampoline_kernelINS0_14default_configENS1_37merge_sort_block_sort_config_selectorIxNS0_10empty_typeEEEZNS1_21merge_sort_block_sortIS3_N6thrust23THRUST_200600_302600_NS6detail15normal_iteratorINS9_10device_ptrIxEEEESE_PS5_SF_14custom_greaterIxEEE10hipError_tT0_T1_T2_T3_mRjT4_P12ihipStream_tbNS1_7vsmem_tEEUlT_E_NS1_11comp_targetILNS1_3genE5ELNS1_11target_archE942ELNS1_3gpuE9ELNS1_3repE0EEENS1_30default_config_static_selectorELNS0_4arch9wavefront6targetE1EEEvSK_,comdat
	.protected	_ZN7rocprim17ROCPRIM_400000_NS6detail17trampoline_kernelINS0_14default_configENS1_37merge_sort_block_sort_config_selectorIxNS0_10empty_typeEEEZNS1_21merge_sort_block_sortIS3_N6thrust23THRUST_200600_302600_NS6detail15normal_iteratorINS9_10device_ptrIxEEEESE_PS5_SF_14custom_greaterIxEEE10hipError_tT0_T1_T2_T3_mRjT4_P12ihipStream_tbNS1_7vsmem_tEEUlT_E_NS1_11comp_targetILNS1_3genE5ELNS1_11target_archE942ELNS1_3gpuE9ELNS1_3repE0EEENS1_30default_config_static_selectorELNS0_4arch9wavefront6targetE1EEEvSK_ ; -- Begin function _ZN7rocprim17ROCPRIM_400000_NS6detail17trampoline_kernelINS0_14default_configENS1_37merge_sort_block_sort_config_selectorIxNS0_10empty_typeEEEZNS1_21merge_sort_block_sortIS3_N6thrust23THRUST_200600_302600_NS6detail15normal_iteratorINS9_10device_ptrIxEEEESE_PS5_SF_14custom_greaterIxEEE10hipError_tT0_T1_T2_T3_mRjT4_P12ihipStream_tbNS1_7vsmem_tEEUlT_E_NS1_11comp_targetILNS1_3genE5ELNS1_11target_archE942ELNS1_3gpuE9ELNS1_3repE0EEENS1_30default_config_static_selectorELNS0_4arch9wavefront6targetE1EEEvSK_
	.globl	_ZN7rocprim17ROCPRIM_400000_NS6detail17trampoline_kernelINS0_14default_configENS1_37merge_sort_block_sort_config_selectorIxNS0_10empty_typeEEEZNS1_21merge_sort_block_sortIS3_N6thrust23THRUST_200600_302600_NS6detail15normal_iteratorINS9_10device_ptrIxEEEESE_PS5_SF_14custom_greaterIxEEE10hipError_tT0_T1_T2_T3_mRjT4_P12ihipStream_tbNS1_7vsmem_tEEUlT_E_NS1_11comp_targetILNS1_3genE5ELNS1_11target_archE942ELNS1_3gpuE9ELNS1_3repE0EEENS1_30default_config_static_selectorELNS0_4arch9wavefront6targetE1EEEvSK_
	.p2align	8
	.type	_ZN7rocprim17ROCPRIM_400000_NS6detail17trampoline_kernelINS0_14default_configENS1_37merge_sort_block_sort_config_selectorIxNS0_10empty_typeEEEZNS1_21merge_sort_block_sortIS3_N6thrust23THRUST_200600_302600_NS6detail15normal_iteratorINS9_10device_ptrIxEEEESE_PS5_SF_14custom_greaterIxEEE10hipError_tT0_T1_T2_T3_mRjT4_P12ihipStream_tbNS1_7vsmem_tEEUlT_E_NS1_11comp_targetILNS1_3genE5ELNS1_11target_archE942ELNS1_3gpuE9ELNS1_3repE0EEENS1_30default_config_static_selectorELNS0_4arch9wavefront6targetE1EEEvSK_,@function
_ZN7rocprim17ROCPRIM_400000_NS6detail17trampoline_kernelINS0_14default_configENS1_37merge_sort_block_sort_config_selectorIxNS0_10empty_typeEEEZNS1_21merge_sort_block_sortIS3_N6thrust23THRUST_200600_302600_NS6detail15normal_iteratorINS9_10device_ptrIxEEEESE_PS5_SF_14custom_greaterIxEEE10hipError_tT0_T1_T2_T3_mRjT4_P12ihipStream_tbNS1_7vsmem_tEEUlT_E_NS1_11comp_targetILNS1_3genE5ELNS1_11target_archE942ELNS1_3gpuE9ELNS1_3repE0EEENS1_30default_config_static_selectorELNS0_4arch9wavefront6targetE1EEEvSK_: ; @_ZN7rocprim17ROCPRIM_400000_NS6detail17trampoline_kernelINS0_14default_configENS1_37merge_sort_block_sort_config_selectorIxNS0_10empty_typeEEEZNS1_21merge_sort_block_sortIS3_N6thrust23THRUST_200600_302600_NS6detail15normal_iteratorINS9_10device_ptrIxEEEESE_PS5_SF_14custom_greaterIxEEE10hipError_tT0_T1_T2_T3_mRjT4_P12ihipStream_tbNS1_7vsmem_tEEUlT_E_NS1_11comp_targetILNS1_3genE5ELNS1_11target_archE942ELNS1_3gpuE9ELNS1_3repE0EEENS1_30default_config_static_selectorELNS0_4arch9wavefront6targetE1EEEvSK_
; %bb.0:
	.section	.rodata,"a",@progbits
	.p2align	6, 0x0
	.amdhsa_kernel _ZN7rocprim17ROCPRIM_400000_NS6detail17trampoline_kernelINS0_14default_configENS1_37merge_sort_block_sort_config_selectorIxNS0_10empty_typeEEEZNS1_21merge_sort_block_sortIS3_N6thrust23THRUST_200600_302600_NS6detail15normal_iteratorINS9_10device_ptrIxEEEESE_PS5_SF_14custom_greaterIxEEE10hipError_tT0_T1_T2_T3_mRjT4_P12ihipStream_tbNS1_7vsmem_tEEUlT_E_NS1_11comp_targetILNS1_3genE5ELNS1_11target_archE942ELNS1_3gpuE9ELNS1_3repE0EEENS1_30default_config_static_selectorELNS0_4arch9wavefront6targetE1EEEvSK_
		.amdhsa_group_segment_fixed_size 0
		.amdhsa_private_segment_fixed_size 0
		.amdhsa_kernarg_size 64
		.amdhsa_user_sgpr_count 6
		.amdhsa_user_sgpr_private_segment_buffer 1
		.amdhsa_user_sgpr_dispatch_ptr 0
		.amdhsa_user_sgpr_queue_ptr 0
		.amdhsa_user_sgpr_kernarg_segment_ptr 1
		.amdhsa_user_sgpr_dispatch_id 0
		.amdhsa_user_sgpr_flat_scratch_init 0
		.amdhsa_user_sgpr_kernarg_preload_length 0
		.amdhsa_user_sgpr_kernarg_preload_offset 0
		.amdhsa_user_sgpr_private_segment_size 0
		.amdhsa_uses_dynamic_stack 0
		.amdhsa_system_sgpr_private_segment_wavefront_offset 0
		.amdhsa_system_sgpr_workgroup_id_x 1
		.amdhsa_system_sgpr_workgroup_id_y 0
		.amdhsa_system_sgpr_workgroup_id_z 0
		.amdhsa_system_sgpr_workgroup_info 0
		.amdhsa_system_vgpr_workitem_id 0
		.amdhsa_next_free_vgpr 1
		.amdhsa_next_free_sgpr 0
		.amdhsa_accum_offset 4
		.amdhsa_reserve_vcc 0
		.amdhsa_reserve_flat_scratch 0
		.amdhsa_float_round_mode_32 0
		.amdhsa_float_round_mode_16_64 0
		.amdhsa_float_denorm_mode_32 3
		.amdhsa_float_denorm_mode_16_64 3
		.amdhsa_dx10_clamp 1
		.amdhsa_ieee_mode 1
		.amdhsa_fp16_overflow 0
		.amdhsa_tg_split 0
		.amdhsa_exception_fp_ieee_invalid_op 0
		.amdhsa_exception_fp_denorm_src 0
		.amdhsa_exception_fp_ieee_div_zero 0
		.amdhsa_exception_fp_ieee_overflow 0
		.amdhsa_exception_fp_ieee_underflow 0
		.amdhsa_exception_fp_ieee_inexact 0
		.amdhsa_exception_int_div_zero 0
	.end_amdhsa_kernel
	.section	.text._ZN7rocprim17ROCPRIM_400000_NS6detail17trampoline_kernelINS0_14default_configENS1_37merge_sort_block_sort_config_selectorIxNS0_10empty_typeEEEZNS1_21merge_sort_block_sortIS3_N6thrust23THRUST_200600_302600_NS6detail15normal_iteratorINS9_10device_ptrIxEEEESE_PS5_SF_14custom_greaterIxEEE10hipError_tT0_T1_T2_T3_mRjT4_P12ihipStream_tbNS1_7vsmem_tEEUlT_E_NS1_11comp_targetILNS1_3genE5ELNS1_11target_archE942ELNS1_3gpuE9ELNS1_3repE0EEENS1_30default_config_static_selectorELNS0_4arch9wavefront6targetE1EEEvSK_,"axG",@progbits,_ZN7rocprim17ROCPRIM_400000_NS6detail17trampoline_kernelINS0_14default_configENS1_37merge_sort_block_sort_config_selectorIxNS0_10empty_typeEEEZNS1_21merge_sort_block_sortIS3_N6thrust23THRUST_200600_302600_NS6detail15normal_iteratorINS9_10device_ptrIxEEEESE_PS5_SF_14custom_greaterIxEEE10hipError_tT0_T1_T2_T3_mRjT4_P12ihipStream_tbNS1_7vsmem_tEEUlT_E_NS1_11comp_targetILNS1_3genE5ELNS1_11target_archE942ELNS1_3gpuE9ELNS1_3repE0EEENS1_30default_config_static_selectorELNS0_4arch9wavefront6targetE1EEEvSK_,comdat
.Lfunc_end3380:
	.size	_ZN7rocprim17ROCPRIM_400000_NS6detail17trampoline_kernelINS0_14default_configENS1_37merge_sort_block_sort_config_selectorIxNS0_10empty_typeEEEZNS1_21merge_sort_block_sortIS3_N6thrust23THRUST_200600_302600_NS6detail15normal_iteratorINS9_10device_ptrIxEEEESE_PS5_SF_14custom_greaterIxEEE10hipError_tT0_T1_T2_T3_mRjT4_P12ihipStream_tbNS1_7vsmem_tEEUlT_E_NS1_11comp_targetILNS1_3genE5ELNS1_11target_archE942ELNS1_3gpuE9ELNS1_3repE0EEENS1_30default_config_static_selectorELNS0_4arch9wavefront6targetE1EEEvSK_, .Lfunc_end3380-_ZN7rocprim17ROCPRIM_400000_NS6detail17trampoline_kernelINS0_14default_configENS1_37merge_sort_block_sort_config_selectorIxNS0_10empty_typeEEEZNS1_21merge_sort_block_sortIS3_N6thrust23THRUST_200600_302600_NS6detail15normal_iteratorINS9_10device_ptrIxEEEESE_PS5_SF_14custom_greaterIxEEE10hipError_tT0_T1_T2_T3_mRjT4_P12ihipStream_tbNS1_7vsmem_tEEUlT_E_NS1_11comp_targetILNS1_3genE5ELNS1_11target_archE942ELNS1_3gpuE9ELNS1_3repE0EEENS1_30default_config_static_selectorELNS0_4arch9wavefront6targetE1EEEvSK_
                                        ; -- End function
	.section	.AMDGPU.csdata,"",@progbits
; Kernel info:
; codeLenInByte = 0
; NumSgprs: 4
; NumVgprs: 0
; NumAgprs: 0
; TotalNumVgprs: 0
; ScratchSize: 0
; MemoryBound: 0
; FloatMode: 240
; IeeeMode: 1
; LDSByteSize: 0 bytes/workgroup (compile time only)
; SGPRBlocks: 0
; VGPRBlocks: 0
; NumSGPRsForWavesPerEU: 4
; NumVGPRsForWavesPerEU: 1
; AccumOffset: 4
; Occupancy: 8
; WaveLimiterHint : 0
; COMPUTE_PGM_RSRC2:SCRATCH_EN: 0
; COMPUTE_PGM_RSRC2:USER_SGPR: 6
; COMPUTE_PGM_RSRC2:TRAP_HANDLER: 0
; COMPUTE_PGM_RSRC2:TGID_X_EN: 1
; COMPUTE_PGM_RSRC2:TGID_Y_EN: 0
; COMPUTE_PGM_RSRC2:TGID_Z_EN: 0
; COMPUTE_PGM_RSRC2:TIDIG_COMP_CNT: 0
; COMPUTE_PGM_RSRC3_GFX90A:ACCUM_OFFSET: 0
; COMPUTE_PGM_RSRC3_GFX90A:TG_SPLIT: 0
	.section	.text._ZN7rocprim17ROCPRIM_400000_NS6detail17trampoline_kernelINS0_14default_configENS1_37merge_sort_block_sort_config_selectorIxNS0_10empty_typeEEEZNS1_21merge_sort_block_sortIS3_N6thrust23THRUST_200600_302600_NS6detail15normal_iteratorINS9_10device_ptrIxEEEESE_PS5_SF_14custom_greaterIxEEE10hipError_tT0_T1_T2_T3_mRjT4_P12ihipStream_tbNS1_7vsmem_tEEUlT_E_NS1_11comp_targetILNS1_3genE4ELNS1_11target_archE910ELNS1_3gpuE8ELNS1_3repE0EEENS1_30default_config_static_selectorELNS0_4arch9wavefront6targetE1EEEvSK_,"axG",@progbits,_ZN7rocprim17ROCPRIM_400000_NS6detail17trampoline_kernelINS0_14default_configENS1_37merge_sort_block_sort_config_selectorIxNS0_10empty_typeEEEZNS1_21merge_sort_block_sortIS3_N6thrust23THRUST_200600_302600_NS6detail15normal_iteratorINS9_10device_ptrIxEEEESE_PS5_SF_14custom_greaterIxEEE10hipError_tT0_T1_T2_T3_mRjT4_P12ihipStream_tbNS1_7vsmem_tEEUlT_E_NS1_11comp_targetILNS1_3genE4ELNS1_11target_archE910ELNS1_3gpuE8ELNS1_3repE0EEENS1_30default_config_static_selectorELNS0_4arch9wavefront6targetE1EEEvSK_,comdat
	.protected	_ZN7rocprim17ROCPRIM_400000_NS6detail17trampoline_kernelINS0_14default_configENS1_37merge_sort_block_sort_config_selectorIxNS0_10empty_typeEEEZNS1_21merge_sort_block_sortIS3_N6thrust23THRUST_200600_302600_NS6detail15normal_iteratorINS9_10device_ptrIxEEEESE_PS5_SF_14custom_greaterIxEEE10hipError_tT0_T1_T2_T3_mRjT4_P12ihipStream_tbNS1_7vsmem_tEEUlT_E_NS1_11comp_targetILNS1_3genE4ELNS1_11target_archE910ELNS1_3gpuE8ELNS1_3repE0EEENS1_30default_config_static_selectorELNS0_4arch9wavefront6targetE1EEEvSK_ ; -- Begin function _ZN7rocprim17ROCPRIM_400000_NS6detail17trampoline_kernelINS0_14default_configENS1_37merge_sort_block_sort_config_selectorIxNS0_10empty_typeEEEZNS1_21merge_sort_block_sortIS3_N6thrust23THRUST_200600_302600_NS6detail15normal_iteratorINS9_10device_ptrIxEEEESE_PS5_SF_14custom_greaterIxEEE10hipError_tT0_T1_T2_T3_mRjT4_P12ihipStream_tbNS1_7vsmem_tEEUlT_E_NS1_11comp_targetILNS1_3genE4ELNS1_11target_archE910ELNS1_3gpuE8ELNS1_3repE0EEENS1_30default_config_static_selectorELNS0_4arch9wavefront6targetE1EEEvSK_
	.globl	_ZN7rocprim17ROCPRIM_400000_NS6detail17trampoline_kernelINS0_14default_configENS1_37merge_sort_block_sort_config_selectorIxNS0_10empty_typeEEEZNS1_21merge_sort_block_sortIS3_N6thrust23THRUST_200600_302600_NS6detail15normal_iteratorINS9_10device_ptrIxEEEESE_PS5_SF_14custom_greaterIxEEE10hipError_tT0_T1_T2_T3_mRjT4_P12ihipStream_tbNS1_7vsmem_tEEUlT_E_NS1_11comp_targetILNS1_3genE4ELNS1_11target_archE910ELNS1_3gpuE8ELNS1_3repE0EEENS1_30default_config_static_selectorELNS0_4arch9wavefront6targetE1EEEvSK_
	.p2align	8
	.type	_ZN7rocprim17ROCPRIM_400000_NS6detail17trampoline_kernelINS0_14default_configENS1_37merge_sort_block_sort_config_selectorIxNS0_10empty_typeEEEZNS1_21merge_sort_block_sortIS3_N6thrust23THRUST_200600_302600_NS6detail15normal_iteratorINS9_10device_ptrIxEEEESE_PS5_SF_14custom_greaterIxEEE10hipError_tT0_T1_T2_T3_mRjT4_P12ihipStream_tbNS1_7vsmem_tEEUlT_E_NS1_11comp_targetILNS1_3genE4ELNS1_11target_archE910ELNS1_3gpuE8ELNS1_3repE0EEENS1_30default_config_static_selectorELNS0_4arch9wavefront6targetE1EEEvSK_,@function
_ZN7rocprim17ROCPRIM_400000_NS6detail17trampoline_kernelINS0_14default_configENS1_37merge_sort_block_sort_config_selectorIxNS0_10empty_typeEEEZNS1_21merge_sort_block_sortIS3_N6thrust23THRUST_200600_302600_NS6detail15normal_iteratorINS9_10device_ptrIxEEEESE_PS5_SF_14custom_greaterIxEEE10hipError_tT0_T1_T2_T3_mRjT4_P12ihipStream_tbNS1_7vsmem_tEEUlT_E_NS1_11comp_targetILNS1_3genE4ELNS1_11target_archE910ELNS1_3gpuE8ELNS1_3repE0EEENS1_30default_config_static_selectorELNS0_4arch9wavefront6targetE1EEEvSK_: ; @_ZN7rocprim17ROCPRIM_400000_NS6detail17trampoline_kernelINS0_14default_configENS1_37merge_sort_block_sort_config_selectorIxNS0_10empty_typeEEEZNS1_21merge_sort_block_sortIS3_N6thrust23THRUST_200600_302600_NS6detail15normal_iteratorINS9_10device_ptrIxEEEESE_PS5_SF_14custom_greaterIxEEE10hipError_tT0_T1_T2_T3_mRjT4_P12ihipStream_tbNS1_7vsmem_tEEUlT_E_NS1_11comp_targetILNS1_3genE4ELNS1_11target_archE910ELNS1_3gpuE8ELNS1_3repE0EEENS1_30default_config_static_selectorELNS0_4arch9wavefront6targetE1EEEvSK_
; %bb.0:
	s_load_dwordx2 s[12:13], s[4:5], 0x40
	s_load_dword s0, s[4:5], 0x0
	s_add_u32 s10, s4, 64
	s_addc_u32 s11, s5, 0
	s_waitcnt lgkmcnt(0)
	s_mul_i32 s1, s13, s8
	s_add_i32 s1, s1, s7
	s_mul_i32 s1, s1, s12
	s_add_i32 s8, s1, s6
	s_cmp_ge_u32 s8, s0
	s_cbranch_scc1 .LBB3381_154
; %bb.1:
	s_load_dwordx2 s[14:15], s[4:5], 0x8
	s_load_dwordx4 s[0:3], s[4:5], 0x18
	s_mov_b32 s9, 0
	s_lshl_b64 s[4:5], s[8:9], 13
	v_and_b32_e32 v10, 0x3ff, v0
	s_waitcnt lgkmcnt(0)
	s_lshr_b64 s[16:17], s[14:15], 10
	s_add_u32 s7, s0, s4
	s_addc_u32 s13, s1, s5
	s_add_u32 s15, s2, s4
	s_addc_u32 s18, s3, s5
	s_cmp_lg_u64 s[16:17], s[8:9]
	v_bfe_u32 v14, v0, 10, 10
	v_bfe_u32 v15, v0, 20, 10
	v_lshlrev_b32_e32 v12, 3, v10
	v_lshrrev_b32_e32 v17, 2, v10
	v_lshlrev_b32_e32 v13, 2, v10
	v_lshrrev_b32_e32 v16, 3, v10
	s_cbranch_scc0 .LBB3381_85
; %bb.2:
	v_mov_b32_e32 v1, s13
	v_add_co_u32_e32 v0, vcc, s7, v12
	v_addc_co_u32_e32 v1, vcc, 0, v1, vcc
	v_add_co_u32_e32 v2, vcc, 0x1000, v0
	v_addc_co_u32_e32 v3, vcc, 0, v1, vcc
	flat_load_dwordx2 v[4:5], v[0:1]
	flat_load_dwordx2 v[6:7], v[0:1] offset:2048
	flat_load_dwordx2 v[8:9], v[2:3]
	flat_load_dwordx2 v[24:25], v[2:3] offset:2048
	v_and_b32_e32 v0, 0xf8, v17
	v_add_u32_e32 v1, 0x100, v10
	v_add_u32_e32 v2, 0x200, v10
	;; [unrolled: 1-line block ×4, first 2 shown]
	v_lshrrev_b32_e32 v0, 2, v1
	v_lshrrev_b32_e32 v1, 2, v2
	;; [unrolled: 1-line block ×3, first 2 shown]
	v_add_lshl_u32 v19, v16, v13, 3
	v_and_b32_e32 v0, 0x1f8, v0
	v_and_b32_e32 v1, 0x1f8, v1
	;; [unrolled: 1-line block ×3, first 2 shown]
	v_add_u32_e32 v20, v0, v12
	v_add_u32_e32 v21, v1, v12
	;; [unrolled: 1-line block ×3, first 2 shown]
	v_mov_b32_e32 v11, 0
	s_movk_i32 s2, 0x400
	s_waitcnt vmcnt(0) lgkmcnt(0)
	ds_write_b64 v18, v[4:5]
	ds_write_b64 v20, v[6:7] offset:2048
	ds_write_b64 v21, v[8:9] offset:4096
	;; [unrolled: 1-line block ×3, first 2 shown]
	s_waitcnt lgkmcnt(0)
	s_barrier
	ds_read2_b64 v[2:5], v19 offset1:1
	ds_read2_b64 v[6:9], v19 offset0:2 offset1:3
	s_waitcnt lgkmcnt(0)
	s_barrier
	s_load_dword s0, s[10:11], 0xc
	s_waitcnt lgkmcnt(0)
	s_lshr_b32 s3, s0, 16
	s_cmp_lt_u32 s6, s12
	s_cselect_b32 s0, 12, 18
	s_add_u32 s0, s10, s0
	s_addc_u32 s1, s11, 0
	global_load_ushort v0, v11, s[0:1]
	v_mad_u32_u24 v1, v15, s3, v14
	s_waitcnt vmcnt(0)
	v_mul_lo_u32 v0, v1, v0
	v_add_lshl_u32 v23, v0, v10, 2
	v_cmp_gt_u32_e32 vcc, s2, v23
	v_pk_mov_b32 v[0:1], v[2:3], v[2:3] op_sel:[0,1]
	s_and_saveexec_b64 s[0:1], vcc
	s_cbranch_execz .LBB3381_4
; %bb.3:
	v_cmp_gt_i64_e32 vcc, v[2:3], v[4:5]
	v_cndmask_b32_e32 v25, v5, v3, vcc
	v_cndmask_b32_e32 v24, v4, v2, vcc
	;; [unrolled: 1-line block ×4, first 2 shown]
	v_cmp_lt_i64_e32 vcc, v[2:3], v[4:5]
	v_cndmask_b32_e32 v5, v5, v3, vcc
	v_cndmask_b32_e32 v4, v4, v2, vcc
	v_cmp_gt_i64_e32 vcc, v[6:7], v[8:9]
	v_cndmask_b32_e32 v27, v9, v7, vcc
	v_cndmask_b32_e32 v26, v8, v6, vcc
	;; [unrolled: 1-line block ×4, first 2 shown]
	v_cmp_lt_i64_e32 vcc, v[6:7], v[8:9]
	v_cndmask_b32_e32 v1, v9, v7, vcc
	v_cndmask_b32_e32 v0, v8, v6, vcc
	v_cmp_gt_i64_e32 vcc, v[24:25], v[0:1]
	v_cndmask_b32_e32 v30, v3, v25, vcc
	v_cndmask_b32_e32 v31, v2, v24, vcc
	;; [unrolled: 1-line block ×6, first 2 shown]
	v_cmp_lt_i64_e32 vcc, v[24:25], v[0:1]
	v_cndmask_b32_e32 v6, v0, v24, vcc
	v_cndmask_b32_e32 v7, v1, v25, vcc
	v_cmp_lt_i64_e32 vcc, v[0:1], v[4:5]
	v_cndmask_b32_e32 v1, v29, v7, vcc
	v_cndmask_b32_e32 v0, v28, v6, vcc
	;; [unrolled: 1-line block ×8, first 2 shown]
	v_cmp_gt_i64_e32 vcc, v[24:25], v[26:27]
	v_cndmask_b32_e32 v5, v33, v27, vcc
	v_cndmask_b32_e32 v4, v32, v26, vcc
	;; [unrolled: 1-line block ×6, first 2 shown]
	v_cmp_gt_i64_e32 vcc, v[6:7], v[4:5]
	v_cndmask_b32_e32 v5, v29, v5, vcc
	v_cndmask_b32_e32 v4, v28, v4, vcc
	;; [unrolled: 1-line block ×4, first 2 shown]
.LBB3381_4:
	s_or_b64 exec, exec, s[0:1]
	v_mbcnt_lo_u32_b32 v24, -1, 0
	v_mbcnt_hi_u32_b32 v26, -1, v24
	v_and_b32_e32 v23, 0xffffff00, v23
	v_sub_u32_e64 v24, s2, v23 clamp
	v_lshlrev_b32_e32 v23, 3, v23
	v_lshlrev_b32_e32 v25, 5, v26
	v_add_u32_e32 v25, v23, v25
	v_lshlrev_b32_e32 v26, 2, v26
	ds_write_b128 v25, v[2:5]
	ds_write_b128 v25, v[6:9] offset:16
	v_or_b32_e32 v2, 4, v26
	v_min_u32_e32 v28, v24, v2
	v_add_u32_e32 v2, 4, v28
	v_and_b32_e32 v29, 0x1f8, v26
	v_min_u32_e32 v27, v24, v2
	v_and_b32_e32 v2, 4, v26
	v_min_u32_e32 v30, v24, v2
	v_sub_u32_e32 v31, v28, v29
	v_sub_u32_e32 v3, v27, v28
	v_sub_u32_e64 v3, v30, v3 clamp
	v_min_u32_e32 v31, v30, v31
	v_lshl_add_u32 v2, v29, 3, v23
	v_cmp_lt_u32_e32 vcc, v3, v31
	; wave barrier
	s_and_saveexec_b64 s[0:1], vcc
	s_cbranch_execz .LBB3381_8
; %bb.5:
	v_lshlrev_b32_e32 v32, 3, v28
	v_lshlrev_b32_e32 v33, 3, v30
	v_add3_u32 v32, v23, v32, v33
	s_mov_b64 s[2:3], 0
.LBB3381_6:                             ; =>This Inner Loop Header: Depth=1
	v_add_u32_e32 v33, v31, v3
	v_lshrrev_b32_e32 v33, 1, v33
	v_not_b32_e32 v34, v33
	v_lshl_add_u32 v35, v33, 3, v2
	v_lshl_add_u32 v36, v34, 3, v32
	ds_read_b64 v[34:35], v35
	ds_read_b64 v[36:37], v36
	v_add_u32_e32 v38, 1, v33
	s_waitcnt lgkmcnt(0)
	v_cmp_gt_i64_e32 vcc, v[34:35], v[36:37]
	v_cndmask_b32_e32 v31, v31, v33, vcc
	v_cndmask_b32_e32 v3, v38, v3, vcc
	v_cmp_ge_u32_e32 vcc, v3, v31
	s_or_b64 s[2:3], vcc, s[2:3]
	s_andn2_b64 exec, exec, s[2:3]
	s_cbranch_execnz .LBB3381_6
; %bb.7:
	s_or_b64 exec, exec, s[2:3]
.LBB3381_8:
	s_or_b64 exec, exec, s[0:1]
	v_add_u32_e32 v30, v28, v30
	v_add_u32_e32 v29, v3, v29
	v_sub_u32_e32 v30, v30, v3
	v_cmp_le_u32_e32 vcc, v29, v28
	v_cmp_le_u32_e64 s[0:1], v30, v27
	s_or_b64 s[0:1], vcc, s[0:1]
	s_and_saveexec_b64 s[16:17], s[0:1]
	s_cbranch_execz .LBB3381_14
; %bb.9:
	v_cmp_lt_u32_e32 vcc, v29, v28
                                        ; implicit-def: $vgpr0_vgpr1
	s_and_saveexec_b64 s[0:1], vcc
	s_cbranch_execz .LBB3381_11
; %bb.10:
	v_lshl_add_u32 v0, v3, 3, v2
	ds_read_b64 v[0:1], v0
.LBB3381_11:
	s_or_b64 exec, exec, s[0:1]
	v_cmp_ge_u32_e64 s[0:1], v30, v27
	v_cmp_lt_u32_e64 s[2:3], v30, v27
                                        ; implicit-def: $vgpr2_vgpr3
	s_and_saveexec_b64 s[4:5], s[2:3]
	s_cbranch_execz .LBB3381_13
; %bb.12:
	v_lshl_add_u32 v2, v30, 3, v23
	ds_read_b64 v[2:3], v2
.LBB3381_13:
	s_or_b64 exec, exec, s[4:5]
	s_waitcnt lgkmcnt(0)
	v_cmp_le_i64_e64 s[2:3], v[0:1], v[2:3]
	s_and_b64 s[2:3], vcc, s[2:3]
	s_or_b64 vcc, s[0:1], s[2:3]
	v_cndmask_b32_e32 v4, v30, v29, vcc
	v_cndmask_b32_e32 v5, v27, v28, vcc
	v_add_u32_e32 v8, 1, v4
	v_add_u32_e32 v4, -1, v5
	v_min_u32_e32 v4, v8, v4
	v_lshl_add_u32 v4, v4, 3, v23
	ds_read_b64 v[4:5], v4
	v_cndmask_b32_e32 v29, v29, v8, vcc
	v_cndmask_b32_e32 v30, v8, v30, vcc
	v_cmp_lt_u32_e64 s[2:3], v29, v28
	v_cmp_ge_u32_e64 s[0:1], v30, v27
	s_waitcnt lgkmcnt(0)
	v_cndmask_b32_e32 v7, v5, v3, vcc
	v_cndmask_b32_e32 v6, v4, v2, vcc
	;; [unrolled: 1-line block ×4, first 2 shown]
	v_cmp_le_i64_e64 s[4:5], v[4:5], v[6:7]
	s_and_b64 s[2:3], s[2:3], s[4:5]
	s_or_b64 s[0:1], s[0:1], s[2:3]
	v_cndmask_b32_e64 v8, v30, v29, s[0:1]
	v_cndmask_b32_e64 v9, v27, v28, s[0:1]
	v_add_u32_e32 v31, 1, v8
	v_add_u32_e32 v8, -1, v9
	v_min_u32_e32 v8, v31, v8
	v_lshl_add_u32 v8, v8, 3, v23
	ds_read_b64 v[8:9], v8
	v_cndmask_b32_e32 v1, v3, v1, vcc
	v_cndmask_b32_e32 v0, v2, v0, vcc
	v_cndmask_b32_e64 v29, v29, v31, s[0:1]
	v_cndmask_b32_e64 v32, v31, v30, s[0:1]
	s_waitcnt lgkmcnt(0)
	v_cndmask_b32_e64 v3, v9, v7, s[0:1]
	v_cndmask_b32_e64 v2, v8, v6, s[0:1]
	;; [unrolled: 1-line block ×4, first 2 shown]
	v_cmp_lt_u32_e64 s[2:3], v29, v28
	v_cmp_le_i64_e64 s[4:5], v[8:9], v[2:3]
	v_cmp_ge_u32_e32 vcc, v32, v27
	s_and_b64 s[2:3], s[2:3], s[4:5]
	s_or_b64 vcc, vcc, s[2:3]
	v_cndmask_b32_e32 v30, v32, v29, vcc
	v_cndmask_b32_e32 v31, v27, v28, vcc
	v_add_u32_e32 v33, 1, v30
	v_add_u32_e32 v30, -1, v31
	v_min_u32_e32 v30, v33, v30
	v_lshl_add_u32 v30, v30, 3, v23
	ds_read_b64 v[30:31], v30
	v_cndmask_b32_e64 v5, v7, v5, s[0:1]
	v_cndmask_b32_e64 v4, v6, v4, s[0:1]
	v_cndmask_b32_e32 v7, v3, v9, vcc
	v_cndmask_b32_e32 v6, v2, v8, vcc
	s_waitcnt lgkmcnt(0)
	v_cndmask_b32_e32 v9, v9, v31, vcc
	v_cndmask_b32_e32 v8, v8, v30, vcc
	;; [unrolled: 1-line block ×6, first 2 shown]
	v_cmp_lt_u32_e32 vcc, v29, v28
	v_cmp_lt_i64_e64 s[0:1], v[8:9], v[2:3]
	s_and_b64 vcc, vcc, s[0:1]
	v_cndmask_b32_e32 v2, v2, v8, vcc
	v_cndmask_b32_e32 v3, v3, v9, vcc
	v_cmp_lt_u32_e32 vcc, v32, v27
	v_cndmask_b32_e32 v9, v9, v3, vcc
	v_cndmask_b32_e32 v8, v8, v2, vcc
.LBB3381_14:
	s_or_b64 exec, exec, s[16:17]
	v_mov_b32_e32 v2, v4
	v_mov_b32_e32 v3, v5
	v_and_b32_e32 v29, 0x1f0, v26
	; wave barrier
	ds_write_b128 v25, v[0:3]
	ds_write_b128 v25, v[6:9] offset:16
	v_or_b32_e32 v2, 8, v29
	v_min_u32_e32 v28, v24, v2
	v_add_u32_e32 v2, 8, v28
	v_min_u32_e32 v27, v24, v2
	v_and_b32_e32 v2, 12, v26
	v_min_u32_e32 v30, v24, v2
	v_sub_u32_e32 v31, v28, v29
	v_sub_u32_e32 v3, v27, v28
	v_sub_u32_e64 v3, v30, v3 clamp
	v_min_u32_e32 v31, v30, v31
	v_lshl_add_u32 v2, v29, 3, v23
	v_cmp_lt_u32_e32 vcc, v3, v31
	; wave barrier
	s_and_saveexec_b64 s[0:1], vcc
	s_cbranch_execz .LBB3381_18
; %bb.15:
	v_lshlrev_b32_e32 v32, 3, v28
	v_lshlrev_b32_e32 v33, 3, v30
	v_add3_u32 v32, v23, v32, v33
	s_mov_b64 s[2:3], 0
.LBB3381_16:                            ; =>This Inner Loop Header: Depth=1
	v_add_u32_e32 v33, v31, v3
	v_lshrrev_b32_e32 v33, 1, v33
	v_not_b32_e32 v34, v33
	v_lshl_add_u32 v35, v33, 3, v2
	v_lshl_add_u32 v36, v34, 3, v32
	ds_read_b64 v[34:35], v35
	ds_read_b64 v[36:37], v36
	v_add_u32_e32 v38, 1, v33
	s_waitcnt lgkmcnt(0)
	v_cmp_gt_i64_e32 vcc, v[34:35], v[36:37]
	v_cndmask_b32_e32 v31, v31, v33, vcc
	v_cndmask_b32_e32 v3, v38, v3, vcc
	v_cmp_ge_u32_e32 vcc, v3, v31
	s_or_b64 s[2:3], vcc, s[2:3]
	s_andn2_b64 exec, exec, s[2:3]
	s_cbranch_execnz .LBB3381_16
; %bb.17:
	s_or_b64 exec, exec, s[2:3]
.LBB3381_18:
	s_or_b64 exec, exec, s[0:1]
	v_add_u32_e32 v30, v28, v30
	v_add_u32_e32 v29, v3, v29
	v_sub_u32_e32 v30, v30, v3
	v_cmp_le_u32_e32 vcc, v29, v28
	v_cmp_le_u32_e64 s[0:1], v30, v27
	s_or_b64 s[0:1], vcc, s[0:1]
	s_and_saveexec_b64 s[16:17], s[0:1]
	s_cbranch_execz .LBB3381_24
; %bb.19:
	v_cmp_lt_u32_e32 vcc, v29, v28
                                        ; implicit-def: $vgpr0_vgpr1
	s_and_saveexec_b64 s[0:1], vcc
	s_cbranch_execz .LBB3381_21
; %bb.20:
	v_lshl_add_u32 v0, v3, 3, v2
	ds_read_b64 v[0:1], v0
.LBB3381_21:
	s_or_b64 exec, exec, s[0:1]
	v_cmp_ge_u32_e64 s[0:1], v30, v27
	v_cmp_lt_u32_e64 s[2:3], v30, v27
                                        ; implicit-def: $vgpr2_vgpr3
	s_and_saveexec_b64 s[4:5], s[2:3]
	s_cbranch_execz .LBB3381_23
; %bb.22:
	v_lshl_add_u32 v2, v30, 3, v23
	ds_read_b64 v[2:3], v2
.LBB3381_23:
	s_or_b64 exec, exec, s[4:5]
	s_waitcnt lgkmcnt(0)
	v_cmp_le_i64_e64 s[2:3], v[0:1], v[2:3]
	s_and_b64 s[2:3], vcc, s[2:3]
	s_or_b64 vcc, s[0:1], s[2:3]
	v_cndmask_b32_e32 v4, v30, v29, vcc
	v_cndmask_b32_e32 v5, v27, v28, vcc
	v_add_u32_e32 v8, 1, v4
	v_add_u32_e32 v4, -1, v5
	v_min_u32_e32 v4, v8, v4
	v_lshl_add_u32 v4, v4, 3, v23
	ds_read_b64 v[4:5], v4
	v_cndmask_b32_e32 v29, v29, v8, vcc
	v_cndmask_b32_e32 v30, v8, v30, vcc
	v_cmp_lt_u32_e64 s[2:3], v29, v28
	v_cmp_ge_u32_e64 s[0:1], v30, v27
	s_waitcnt lgkmcnt(0)
	v_cndmask_b32_e32 v7, v5, v3, vcc
	v_cndmask_b32_e32 v6, v4, v2, vcc
	v_cndmask_b32_e32 v5, v1, v5, vcc
	v_cndmask_b32_e32 v4, v0, v4, vcc
	v_cmp_le_i64_e64 s[4:5], v[4:5], v[6:7]
	s_and_b64 s[2:3], s[2:3], s[4:5]
	s_or_b64 s[0:1], s[0:1], s[2:3]
	v_cndmask_b32_e64 v8, v30, v29, s[0:1]
	v_cndmask_b32_e64 v9, v27, v28, s[0:1]
	v_add_u32_e32 v31, 1, v8
	v_add_u32_e32 v8, -1, v9
	v_min_u32_e32 v8, v31, v8
	v_lshl_add_u32 v8, v8, 3, v23
	ds_read_b64 v[8:9], v8
	v_cndmask_b32_e32 v1, v3, v1, vcc
	v_cndmask_b32_e32 v0, v2, v0, vcc
	v_cndmask_b32_e64 v29, v29, v31, s[0:1]
	v_cndmask_b32_e64 v32, v31, v30, s[0:1]
	s_waitcnt lgkmcnt(0)
	v_cndmask_b32_e64 v3, v9, v7, s[0:1]
	v_cndmask_b32_e64 v2, v8, v6, s[0:1]
	;; [unrolled: 1-line block ×4, first 2 shown]
	v_cmp_lt_u32_e64 s[2:3], v29, v28
	v_cmp_le_i64_e64 s[4:5], v[8:9], v[2:3]
	v_cmp_ge_u32_e32 vcc, v32, v27
	s_and_b64 s[2:3], s[2:3], s[4:5]
	s_or_b64 vcc, vcc, s[2:3]
	v_cndmask_b32_e32 v30, v32, v29, vcc
	v_cndmask_b32_e32 v31, v27, v28, vcc
	v_add_u32_e32 v33, 1, v30
	v_add_u32_e32 v30, -1, v31
	v_min_u32_e32 v30, v33, v30
	v_lshl_add_u32 v30, v30, 3, v23
	ds_read_b64 v[30:31], v30
	v_cndmask_b32_e64 v5, v7, v5, s[0:1]
	v_cndmask_b32_e64 v4, v6, v4, s[0:1]
	v_cndmask_b32_e32 v7, v3, v9, vcc
	v_cndmask_b32_e32 v6, v2, v8, vcc
	s_waitcnt lgkmcnt(0)
	v_cndmask_b32_e32 v9, v9, v31, vcc
	v_cndmask_b32_e32 v8, v8, v30, vcc
	;; [unrolled: 1-line block ×6, first 2 shown]
	v_cmp_lt_u32_e32 vcc, v29, v28
	v_cmp_lt_i64_e64 s[0:1], v[8:9], v[2:3]
	s_and_b64 vcc, vcc, s[0:1]
	v_cndmask_b32_e32 v2, v2, v8, vcc
	v_cndmask_b32_e32 v3, v3, v9, vcc
	v_cmp_lt_u32_e32 vcc, v32, v27
	v_cndmask_b32_e32 v9, v9, v3, vcc
	v_cndmask_b32_e32 v8, v8, v2, vcc
.LBB3381_24:
	s_or_b64 exec, exec, s[16:17]
	v_mov_b32_e32 v2, v4
	v_mov_b32_e32 v3, v5
	v_and_b32_e32 v29, 0x1e0, v26
	; wave barrier
	ds_write_b128 v25, v[0:3]
	ds_write_b128 v25, v[6:9] offset:16
	v_or_b32_e32 v2, 16, v29
	v_min_u32_e32 v28, v24, v2
	v_add_u32_e32 v2, 16, v28
	v_min_u32_e32 v27, v24, v2
	v_and_b32_e32 v2, 28, v26
	v_min_u32_e32 v30, v24, v2
	v_sub_u32_e32 v31, v28, v29
	v_sub_u32_e32 v3, v27, v28
	v_sub_u32_e64 v3, v30, v3 clamp
	v_min_u32_e32 v31, v30, v31
	v_lshl_add_u32 v2, v29, 3, v23
	v_cmp_lt_u32_e32 vcc, v3, v31
	; wave barrier
	s_and_saveexec_b64 s[0:1], vcc
	s_cbranch_execz .LBB3381_28
; %bb.25:
	v_lshlrev_b32_e32 v32, 3, v28
	v_lshlrev_b32_e32 v33, 3, v30
	v_add3_u32 v32, v23, v32, v33
	s_mov_b64 s[2:3], 0
.LBB3381_26:                            ; =>This Inner Loop Header: Depth=1
	v_add_u32_e32 v33, v31, v3
	v_lshrrev_b32_e32 v33, 1, v33
	v_not_b32_e32 v34, v33
	v_lshl_add_u32 v35, v33, 3, v2
	v_lshl_add_u32 v36, v34, 3, v32
	ds_read_b64 v[34:35], v35
	ds_read_b64 v[36:37], v36
	v_add_u32_e32 v38, 1, v33
	s_waitcnt lgkmcnt(0)
	v_cmp_gt_i64_e32 vcc, v[34:35], v[36:37]
	v_cndmask_b32_e32 v31, v31, v33, vcc
	v_cndmask_b32_e32 v3, v38, v3, vcc
	v_cmp_ge_u32_e32 vcc, v3, v31
	s_or_b64 s[2:3], vcc, s[2:3]
	s_andn2_b64 exec, exec, s[2:3]
	s_cbranch_execnz .LBB3381_26
; %bb.27:
	s_or_b64 exec, exec, s[2:3]
.LBB3381_28:
	s_or_b64 exec, exec, s[0:1]
	v_add_u32_e32 v30, v28, v30
	v_add_u32_e32 v29, v3, v29
	v_sub_u32_e32 v30, v30, v3
	v_cmp_le_u32_e32 vcc, v29, v28
	v_cmp_le_u32_e64 s[0:1], v30, v27
	s_or_b64 s[0:1], vcc, s[0:1]
	s_and_saveexec_b64 s[16:17], s[0:1]
	s_cbranch_execz .LBB3381_34
; %bb.29:
	v_cmp_lt_u32_e32 vcc, v29, v28
                                        ; implicit-def: $vgpr0_vgpr1
	s_and_saveexec_b64 s[0:1], vcc
	s_cbranch_execz .LBB3381_31
; %bb.30:
	v_lshl_add_u32 v0, v3, 3, v2
	ds_read_b64 v[0:1], v0
.LBB3381_31:
	s_or_b64 exec, exec, s[0:1]
	v_cmp_ge_u32_e64 s[0:1], v30, v27
	v_cmp_lt_u32_e64 s[2:3], v30, v27
                                        ; implicit-def: $vgpr2_vgpr3
	s_and_saveexec_b64 s[4:5], s[2:3]
	s_cbranch_execz .LBB3381_33
; %bb.32:
	v_lshl_add_u32 v2, v30, 3, v23
	ds_read_b64 v[2:3], v2
.LBB3381_33:
	s_or_b64 exec, exec, s[4:5]
	s_waitcnt lgkmcnt(0)
	v_cmp_le_i64_e64 s[2:3], v[0:1], v[2:3]
	s_and_b64 s[2:3], vcc, s[2:3]
	s_or_b64 vcc, s[0:1], s[2:3]
	v_cndmask_b32_e32 v4, v30, v29, vcc
	v_cndmask_b32_e32 v5, v27, v28, vcc
	v_add_u32_e32 v8, 1, v4
	v_add_u32_e32 v4, -1, v5
	v_min_u32_e32 v4, v8, v4
	v_lshl_add_u32 v4, v4, 3, v23
	ds_read_b64 v[4:5], v4
	v_cndmask_b32_e32 v29, v29, v8, vcc
	v_cndmask_b32_e32 v30, v8, v30, vcc
	v_cmp_lt_u32_e64 s[2:3], v29, v28
	v_cmp_ge_u32_e64 s[0:1], v30, v27
	s_waitcnt lgkmcnt(0)
	v_cndmask_b32_e32 v7, v5, v3, vcc
	v_cndmask_b32_e32 v6, v4, v2, vcc
	;; [unrolled: 1-line block ×4, first 2 shown]
	v_cmp_le_i64_e64 s[4:5], v[4:5], v[6:7]
	s_and_b64 s[2:3], s[2:3], s[4:5]
	s_or_b64 s[0:1], s[0:1], s[2:3]
	v_cndmask_b32_e64 v8, v30, v29, s[0:1]
	v_cndmask_b32_e64 v9, v27, v28, s[0:1]
	v_add_u32_e32 v31, 1, v8
	v_add_u32_e32 v8, -1, v9
	v_min_u32_e32 v8, v31, v8
	v_lshl_add_u32 v8, v8, 3, v23
	ds_read_b64 v[8:9], v8
	v_cndmask_b32_e32 v1, v3, v1, vcc
	v_cndmask_b32_e32 v0, v2, v0, vcc
	v_cndmask_b32_e64 v29, v29, v31, s[0:1]
	v_cndmask_b32_e64 v32, v31, v30, s[0:1]
	s_waitcnt lgkmcnt(0)
	v_cndmask_b32_e64 v3, v9, v7, s[0:1]
	v_cndmask_b32_e64 v2, v8, v6, s[0:1]
	;; [unrolled: 1-line block ×4, first 2 shown]
	v_cmp_lt_u32_e64 s[2:3], v29, v28
	v_cmp_le_i64_e64 s[4:5], v[8:9], v[2:3]
	v_cmp_ge_u32_e32 vcc, v32, v27
	s_and_b64 s[2:3], s[2:3], s[4:5]
	s_or_b64 vcc, vcc, s[2:3]
	v_cndmask_b32_e32 v30, v32, v29, vcc
	v_cndmask_b32_e32 v31, v27, v28, vcc
	v_add_u32_e32 v33, 1, v30
	v_add_u32_e32 v30, -1, v31
	v_min_u32_e32 v30, v33, v30
	v_lshl_add_u32 v30, v30, 3, v23
	ds_read_b64 v[30:31], v30
	v_cndmask_b32_e64 v5, v7, v5, s[0:1]
	v_cndmask_b32_e64 v4, v6, v4, s[0:1]
	v_cndmask_b32_e32 v7, v3, v9, vcc
	v_cndmask_b32_e32 v6, v2, v8, vcc
	s_waitcnt lgkmcnt(0)
	v_cndmask_b32_e32 v9, v9, v31, vcc
	v_cndmask_b32_e32 v8, v8, v30, vcc
	;; [unrolled: 1-line block ×6, first 2 shown]
	v_cmp_lt_u32_e32 vcc, v29, v28
	v_cmp_lt_i64_e64 s[0:1], v[8:9], v[2:3]
	s_and_b64 vcc, vcc, s[0:1]
	v_cndmask_b32_e32 v2, v2, v8, vcc
	v_cndmask_b32_e32 v3, v3, v9, vcc
	v_cmp_lt_u32_e32 vcc, v32, v27
	v_cndmask_b32_e32 v9, v9, v3, vcc
	v_cndmask_b32_e32 v8, v8, v2, vcc
.LBB3381_34:
	s_or_b64 exec, exec, s[16:17]
	v_mov_b32_e32 v2, v4
	v_mov_b32_e32 v3, v5
	v_and_b32_e32 v28, 0x1c0, v26
	; wave barrier
	ds_write_b128 v25, v[0:3]
	ds_write_b128 v25, v[6:9] offset:16
	v_or_b32_e32 v2, 32, v28
	v_min_u32_e32 v27, v24, v2
	v_add_u32_e32 v2, 32, v27
	v_min_u32_e32 v25, v24, v2
	v_and_b32_e32 v2, 60, v26
	v_min_u32_e32 v26, v24, v2
	v_sub_u32_e32 v24, v27, v28
	v_sub_u32_e32 v3, v25, v27
	v_sub_u32_e64 v3, v26, v3 clamp
	v_min_u32_e32 v24, v26, v24
	v_lshl_add_u32 v2, v28, 3, v23
	v_cmp_lt_u32_e32 vcc, v3, v24
	; wave barrier
	s_and_saveexec_b64 s[0:1], vcc
	s_cbranch_execz .LBB3381_38
; %bb.35:
	v_lshlrev_b32_e32 v29, 3, v27
	v_lshlrev_b32_e32 v30, 3, v26
	v_add3_u32 v29, v23, v29, v30
	s_mov_b64 s[2:3], 0
.LBB3381_36:                            ; =>This Inner Loop Header: Depth=1
	v_add_u32_e32 v30, v24, v3
	v_lshrrev_b32_e32 v34, 1, v30
	v_not_b32_e32 v30, v34
	v_lshl_add_u32 v31, v34, 3, v2
	v_lshl_add_u32 v32, v30, 3, v29
	ds_read_b64 v[30:31], v31
	ds_read_b64 v[32:33], v32
	v_add_u32_e32 v35, 1, v34
	s_waitcnt lgkmcnt(0)
	v_cmp_gt_i64_e32 vcc, v[30:31], v[32:33]
	v_cndmask_b32_e32 v24, v24, v34, vcc
	v_cndmask_b32_e32 v3, v35, v3, vcc
	v_cmp_ge_u32_e32 vcc, v3, v24
	s_or_b64 s[2:3], vcc, s[2:3]
	s_andn2_b64 exec, exec, s[2:3]
	s_cbranch_execnz .LBB3381_36
; %bb.37:
	s_or_b64 exec, exec, s[2:3]
.LBB3381_38:
	s_or_b64 exec, exec, s[0:1]
	v_add_u32_e32 v26, v27, v26
	v_add_u32_e32 v24, v3, v28
	v_sub_u32_e32 v26, v26, v3
	v_cmp_le_u32_e32 vcc, v24, v27
	v_cmp_le_u32_e64 s[0:1], v26, v25
	s_or_b64 s[0:1], vcc, s[0:1]
	s_and_saveexec_b64 s[16:17], s[0:1]
	s_cbranch_execz .LBB3381_44
; %bb.39:
	v_cmp_lt_u32_e32 vcc, v24, v27
                                        ; implicit-def: $vgpr0_vgpr1
	s_and_saveexec_b64 s[0:1], vcc
	s_cbranch_execz .LBB3381_41
; %bb.40:
	v_lshl_add_u32 v0, v3, 3, v2
	ds_read_b64 v[0:1], v0
.LBB3381_41:
	s_or_b64 exec, exec, s[0:1]
	v_cmp_ge_u32_e64 s[0:1], v26, v25
	v_cmp_lt_u32_e64 s[2:3], v26, v25
                                        ; implicit-def: $vgpr2_vgpr3
	s_and_saveexec_b64 s[4:5], s[2:3]
	s_cbranch_execz .LBB3381_43
; %bb.42:
	v_lshl_add_u32 v2, v26, 3, v23
	ds_read_b64 v[2:3], v2
.LBB3381_43:
	s_or_b64 exec, exec, s[4:5]
	s_waitcnt lgkmcnt(0)
	v_cmp_le_i64_e64 s[2:3], v[0:1], v[2:3]
	s_and_b64 s[2:3], vcc, s[2:3]
	s_or_b64 vcc, s[0:1], s[2:3]
	v_cndmask_b32_e32 v4, v26, v24, vcc
	v_cndmask_b32_e32 v5, v25, v27, vcc
	v_add_u32_e32 v8, 1, v4
	v_add_u32_e32 v4, -1, v5
	v_min_u32_e32 v4, v8, v4
	v_lshl_add_u32 v4, v4, 3, v23
	ds_read_b64 v[4:5], v4
	v_cndmask_b32_e32 v24, v24, v8, vcc
	v_cndmask_b32_e32 v26, v8, v26, vcc
	v_cmp_lt_u32_e64 s[2:3], v24, v27
	v_cmp_ge_u32_e64 s[0:1], v26, v25
	s_waitcnt lgkmcnt(0)
	v_cndmask_b32_e32 v7, v5, v3, vcc
	v_cndmask_b32_e32 v6, v4, v2, vcc
	;; [unrolled: 1-line block ×4, first 2 shown]
	v_cmp_le_i64_e64 s[4:5], v[4:5], v[6:7]
	s_and_b64 s[2:3], s[2:3], s[4:5]
	s_or_b64 s[0:1], s[0:1], s[2:3]
	v_cndmask_b32_e64 v8, v26, v24, s[0:1]
	v_cndmask_b32_e64 v9, v25, v27, s[0:1]
	v_add_u32_e32 v28, 1, v8
	v_add_u32_e32 v8, -1, v9
	v_min_u32_e32 v8, v28, v8
	v_lshl_add_u32 v8, v8, 3, v23
	ds_read_b64 v[8:9], v8
	v_cndmask_b32_e32 v1, v3, v1, vcc
	v_cndmask_b32_e32 v0, v2, v0, vcc
	v_cndmask_b32_e64 v24, v24, v28, s[0:1]
	v_cndmask_b32_e64 v26, v28, v26, s[0:1]
	s_waitcnt lgkmcnt(0)
	v_cndmask_b32_e64 v3, v9, v7, s[0:1]
	v_cndmask_b32_e64 v2, v8, v6, s[0:1]
	;; [unrolled: 1-line block ×4, first 2 shown]
	v_cmp_lt_u32_e64 s[2:3], v24, v27
	v_cmp_le_i64_e64 s[4:5], v[8:9], v[2:3]
	v_cmp_ge_u32_e32 vcc, v26, v25
	s_and_b64 s[2:3], s[2:3], s[4:5]
	s_or_b64 vcc, vcc, s[2:3]
	v_cndmask_b32_e32 v28, v26, v24, vcc
	v_cndmask_b32_e32 v29, v25, v27, vcc
	v_add_u32_e32 v30, 1, v28
	v_add_u32_e32 v28, -1, v29
	v_min_u32_e32 v28, v30, v28
	v_lshl_add_u32 v23, v28, 3, v23
	ds_read_b64 v[28:29], v23
	v_cndmask_b32_e64 v5, v7, v5, s[0:1]
	v_cndmask_b32_e64 v4, v6, v4, s[0:1]
	v_cndmask_b32_e32 v7, v3, v9, vcc
	v_cndmask_b32_e32 v6, v2, v8, vcc
	s_waitcnt lgkmcnt(0)
	v_cndmask_b32_e32 v9, v9, v29, vcc
	v_cndmask_b32_e32 v8, v8, v28, vcc
	v_cndmask_b32_e32 v3, v29, v3, vcc
	v_cndmask_b32_e32 v2, v28, v2, vcc
	v_cndmask_b32_e32 v24, v24, v30, vcc
	v_cndmask_b32_e32 v23, v30, v26, vcc
	v_cmp_lt_u32_e32 vcc, v24, v27
	v_cmp_lt_i64_e64 s[0:1], v[8:9], v[2:3]
	s_and_b64 vcc, vcc, s[0:1]
	v_cndmask_b32_e32 v2, v2, v8, vcc
	v_cndmask_b32_e32 v3, v3, v9, vcc
	v_cmp_lt_u32_e32 vcc, v23, v25
	v_cndmask_b32_e32 v9, v9, v3, vcc
	v_cndmask_b32_e32 v8, v8, v2, vcc
.LBB3381_44:
	s_or_b64 exec, exec, s[16:17]
	v_lshlrev_b32_e32 v23, 5, v10
	v_mov_b32_e32 v2, v4
	v_mov_b32_e32 v3, v5
	v_and_b32_e32 v26, 0xf80, v13
	; wave barrier
	s_waitcnt lgkmcnt(0)
	s_barrier
	ds_write_b128 v23, v[0:3]
	ds_write_b128 v23, v[6:9] offset:16
	v_or_b32_e32 v2, 64, v26
	v_min_u32_e32 v25, 0x400, v2
	v_min_u32_e32 v2, 0x3c0, v2
	v_add_u32_e32 v24, 64, v2
	v_and_b32_e32 v27, 0x7c, v13
	v_sub_u32_e32 v28, v25, v26
	v_sub_u32_e32 v3, v24, v25
	v_sub_u32_e64 v3, v27, v3 clamp
	v_min_u32_e32 v28, v27, v28
	v_lshlrev_b32_e32 v2, 3, v26
	v_cmp_lt_u32_e32 vcc, v3, v28
	s_waitcnt lgkmcnt(0)
	s_barrier
	s_and_saveexec_b64 s[0:1], vcc
	s_cbranch_execz .LBB3381_48
; %bb.45:
	v_lshlrev_b32_e32 v29, 3, v27
	v_lshl_add_u32 v29, v25, 3, v29
	s_mov_b64 s[2:3], 0
.LBB3381_46:                            ; =>This Inner Loop Header: Depth=1
	v_add_u32_e32 v30, v28, v3
	v_lshrrev_b32_e32 v34, 1, v30
	v_not_b32_e32 v30, v34
	v_lshl_add_u32 v31, v34, 3, v2
	v_lshl_add_u32 v32, v30, 3, v29
	ds_read_b64 v[30:31], v31
	ds_read_b64 v[32:33], v32
	v_add_u32_e32 v35, 1, v34
	s_waitcnt lgkmcnt(0)
	v_cmp_gt_i64_e32 vcc, v[30:31], v[32:33]
	v_cndmask_b32_e32 v28, v28, v34, vcc
	v_cndmask_b32_e32 v3, v35, v3, vcc
	v_cmp_ge_u32_e32 vcc, v3, v28
	s_or_b64 s[2:3], vcc, s[2:3]
	s_andn2_b64 exec, exec, s[2:3]
	s_cbranch_execnz .LBB3381_46
; %bb.47:
	s_or_b64 exec, exec, s[2:3]
.LBB3381_48:
	s_or_b64 exec, exec, s[0:1]
	v_sub_u32_e32 v27, v27, v3
	v_add_u32_e32 v26, v3, v26
	v_add_u32_e32 v27, v27, v25
	v_cmp_le_u32_e32 vcc, v26, v25
	v_cmp_le_u32_e64 s[0:1], v27, v24
	s_or_b64 s[0:1], vcc, s[0:1]
	s_and_saveexec_b64 s[16:17], s[0:1]
	s_cbranch_execz .LBB3381_54
; %bb.49:
	v_cmp_lt_u32_e32 vcc, v26, v25
                                        ; implicit-def: $vgpr0_vgpr1
	s_and_saveexec_b64 s[0:1], vcc
	s_cbranch_execz .LBB3381_51
; %bb.50:
	v_lshl_add_u32 v0, v3, 3, v2
	ds_read_b64 v[0:1], v0
.LBB3381_51:
	s_or_b64 exec, exec, s[0:1]
	v_cmp_ge_u32_e64 s[0:1], v27, v24
	v_cmp_lt_u32_e64 s[2:3], v27, v24
                                        ; implicit-def: $vgpr2_vgpr3
	s_and_saveexec_b64 s[4:5], s[2:3]
	s_cbranch_execz .LBB3381_53
; %bb.52:
	v_lshlrev_b32_e32 v2, 3, v27
	ds_read_b64 v[2:3], v2
.LBB3381_53:
	s_or_b64 exec, exec, s[4:5]
	s_waitcnt lgkmcnt(0)
	v_cmp_le_i64_e64 s[2:3], v[0:1], v[2:3]
	s_and_b64 s[2:3], vcc, s[2:3]
	s_or_b64 vcc, s[0:1], s[2:3]
	v_cndmask_b32_e32 v4, v27, v26, vcc
	v_cndmask_b32_e32 v5, v24, v25, vcc
	v_add_u32_e32 v8, 1, v4
	v_add_u32_e32 v4, -1, v5
	v_min_u32_e32 v4, v8, v4
	v_lshlrev_b32_e32 v4, 3, v4
	ds_read_b64 v[4:5], v4
	v_cndmask_b32_e32 v26, v26, v8, vcc
	v_cndmask_b32_e32 v27, v8, v27, vcc
	v_cmp_lt_u32_e64 s[2:3], v26, v25
	v_cmp_ge_u32_e64 s[0:1], v27, v24
	s_waitcnt lgkmcnt(0)
	v_cndmask_b32_e32 v7, v5, v3, vcc
	v_cndmask_b32_e32 v6, v4, v2, vcc
	;; [unrolled: 1-line block ×4, first 2 shown]
	v_cmp_le_i64_e64 s[4:5], v[4:5], v[6:7]
	s_and_b64 s[2:3], s[2:3], s[4:5]
	s_or_b64 s[0:1], s[0:1], s[2:3]
	v_cndmask_b32_e64 v8, v27, v26, s[0:1]
	v_cndmask_b32_e64 v9, v24, v25, s[0:1]
	v_add_u32_e32 v28, 1, v8
	v_add_u32_e32 v8, -1, v9
	v_min_u32_e32 v8, v28, v8
	v_lshlrev_b32_e32 v8, 3, v8
	ds_read_b64 v[8:9], v8
	v_cndmask_b32_e32 v1, v3, v1, vcc
	v_cndmask_b32_e32 v0, v2, v0, vcc
	v_cndmask_b32_e64 v29, v28, v27, s[0:1]
	v_cndmask_b32_e64 v28, v26, v28, s[0:1]
	s_waitcnt lgkmcnt(0)
	v_cndmask_b32_e64 v3, v9, v7, s[0:1]
	v_cndmask_b32_e64 v2, v8, v6, s[0:1]
	;; [unrolled: 1-line block ×4, first 2 shown]
	v_cmp_lt_u32_e64 s[2:3], v28, v25
	v_cmp_le_i64_e64 s[4:5], v[8:9], v[2:3]
	v_cmp_ge_u32_e32 vcc, v29, v24
	s_and_b64 s[2:3], s[2:3], s[4:5]
	s_or_b64 vcc, vcc, s[2:3]
	v_cndmask_b32_e32 v26, v29, v28, vcc
	v_cndmask_b32_e32 v27, v24, v25, vcc
	v_add_u32_e32 v30, 1, v26
	v_add_u32_e32 v26, -1, v27
	v_min_u32_e32 v26, v30, v26
	v_lshlrev_b32_e32 v26, 3, v26
	ds_read_b64 v[26:27], v26
	v_cndmask_b32_e64 v5, v7, v5, s[0:1]
	v_cndmask_b32_e64 v4, v6, v4, s[0:1]
	v_cndmask_b32_e32 v7, v3, v9, vcc
	v_cndmask_b32_e32 v6, v2, v8, vcc
	s_waitcnt lgkmcnt(0)
	v_cndmask_b32_e32 v9, v9, v27, vcc
	v_cndmask_b32_e32 v8, v8, v26, vcc
	;; [unrolled: 1-line block ×6, first 2 shown]
	v_cmp_lt_u32_e32 vcc, v26, v25
	v_cmp_lt_i64_e64 s[0:1], v[8:9], v[2:3]
	s_and_b64 vcc, vcc, s[0:1]
	v_cndmask_b32_e32 v2, v2, v8, vcc
	v_cndmask_b32_e32 v3, v3, v9, vcc
	v_cmp_lt_u32_e32 vcc, v29, v24
	v_cndmask_b32_e32 v9, v9, v3, vcc
	v_cndmask_b32_e32 v8, v8, v2, vcc
.LBB3381_54:
	s_or_b64 exec, exec, s[16:17]
	v_mov_b32_e32 v2, v4
	v_mov_b32_e32 v3, v5
	v_and_b32_e32 v26, 0xf00, v13
	s_barrier
	ds_write_b128 v23, v[0:3]
	ds_write_b128 v23, v[6:9] offset:16
	v_or_b32_e32 v2, 0x80, v26
	v_min_u32_e32 v25, 0x400, v2
	v_min_u32_e32 v2, 0x380, v2
	v_add_u32_e32 v24, 0x80, v2
	v_and_b32_e32 v27, 0xfc, v13
	v_sub_u32_e32 v28, v25, v26
	v_sub_u32_e32 v3, v24, v25
	v_sub_u32_e64 v3, v27, v3 clamp
	v_min_u32_e32 v28, v27, v28
	v_lshlrev_b32_e32 v2, 3, v26
	v_cmp_lt_u32_e32 vcc, v3, v28
	s_waitcnt lgkmcnt(0)
	s_barrier
	s_and_saveexec_b64 s[0:1], vcc
	s_cbranch_execz .LBB3381_58
; %bb.55:
	v_lshlrev_b32_e32 v29, 3, v27
	v_lshl_add_u32 v29, v25, 3, v29
	s_mov_b64 s[2:3], 0
.LBB3381_56:                            ; =>This Inner Loop Header: Depth=1
	v_add_u32_e32 v30, v28, v3
	v_lshrrev_b32_e32 v34, 1, v30
	v_not_b32_e32 v30, v34
	v_lshl_add_u32 v31, v34, 3, v2
	v_lshl_add_u32 v32, v30, 3, v29
	ds_read_b64 v[30:31], v31
	ds_read_b64 v[32:33], v32
	v_add_u32_e32 v35, 1, v34
	s_waitcnt lgkmcnt(0)
	v_cmp_gt_i64_e32 vcc, v[30:31], v[32:33]
	v_cndmask_b32_e32 v28, v28, v34, vcc
	v_cndmask_b32_e32 v3, v35, v3, vcc
	v_cmp_ge_u32_e32 vcc, v3, v28
	s_or_b64 s[2:3], vcc, s[2:3]
	s_andn2_b64 exec, exec, s[2:3]
	s_cbranch_execnz .LBB3381_56
; %bb.57:
	s_or_b64 exec, exec, s[2:3]
.LBB3381_58:
	s_or_b64 exec, exec, s[0:1]
	v_sub_u32_e32 v27, v27, v3
	v_add_u32_e32 v26, v3, v26
	v_add_u32_e32 v27, v27, v25
	v_cmp_le_u32_e32 vcc, v26, v25
	v_cmp_le_u32_e64 s[0:1], v27, v24
	s_or_b64 s[0:1], vcc, s[0:1]
	s_and_saveexec_b64 s[16:17], s[0:1]
	s_cbranch_execz .LBB3381_64
; %bb.59:
	v_cmp_lt_u32_e32 vcc, v26, v25
                                        ; implicit-def: $vgpr0_vgpr1
	s_and_saveexec_b64 s[0:1], vcc
	s_cbranch_execz .LBB3381_61
; %bb.60:
	v_lshl_add_u32 v0, v3, 3, v2
	ds_read_b64 v[0:1], v0
.LBB3381_61:
	s_or_b64 exec, exec, s[0:1]
	v_cmp_ge_u32_e64 s[0:1], v27, v24
	v_cmp_lt_u32_e64 s[2:3], v27, v24
                                        ; implicit-def: $vgpr2_vgpr3
	s_and_saveexec_b64 s[4:5], s[2:3]
	s_cbranch_execz .LBB3381_63
; %bb.62:
	v_lshlrev_b32_e32 v2, 3, v27
	ds_read_b64 v[2:3], v2
.LBB3381_63:
	s_or_b64 exec, exec, s[4:5]
	s_waitcnt lgkmcnt(0)
	v_cmp_le_i64_e64 s[2:3], v[0:1], v[2:3]
	s_and_b64 s[2:3], vcc, s[2:3]
	s_or_b64 vcc, s[0:1], s[2:3]
	v_cndmask_b32_e32 v4, v27, v26, vcc
	v_cndmask_b32_e32 v5, v24, v25, vcc
	v_add_u32_e32 v8, 1, v4
	v_add_u32_e32 v4, -1, v5
	v_min_u32_e32 v4, v8, v4
	v_lshlrev_b32_e32 v4, 3, v4
	ds_read_b64 v[4:5], v4
	v_cndmask_b32_e32 v26, v26, v8, vcc
	v_cndmask_b32_e32 v27, v8, v27, vcc
	v_cmp_lt_u32_e64 s[2:3], v26, v25
	v_cmp_ge_u32_e64 s[0:1], v27, v24
	s_waitcnt lgkmcnt(0)
	v_cndmask_b32_e32 v7, v5, v3, vcc
	v_cndmask_b32_e32 v6, v4, v2, vcc
	;; [unrolled: 1-line block ×4, first 2 shown]
	v_cmp_le_i64_e64 s[4:5], v[4:5], v[6:7]
	s_and_b64 s[2:3], s[2:3], s[4:5]
	s_or_b64 s[0:1], s[0:1], s[2:3]
	v_cndmask_b32_e64 v8, v27, v26, s[0:1]
	v_cndmask_b32_e64 v9, v24, v25, s[0:1]
	v_add_u32_e32 v28, 1, v8
	v_add_u32_e32 v8, -1, v9
	v_min_u32_e32 v8, v28, v8
	v_lshlrev_b32_e32 v8, 3, v8
	ds_read_b64 v[8:9], v8
	v_cndmask_b32_e32 v1, v3, v1, vcc
	v_cndmask_b32_e32 v0, v2, v0, vcc
	v_cndmask_b32_e64 v29, v28, v27, s[0:1]
	v_cndmask_b32_e64 v28, v26, v28, s[0:1]
	s_waitcnt lgkmcnt(0)
	v_cndmask_b32_e64 v3, v9, v7, s[0:1]
	v_cndmask_b32_e64 v2, v8, v6, s[0:1]
	;; [unrolled: 1-line block ×4, first 2 shown]
	v_cmp_lt_u32_e64 s[2:3], v28, v25
	v_cmp_le_i64_e64 s[4:5], v[8:9], v[2:3]
	v_cmp_ge_u32_e32 vcc, v29, v24
	s_and_b64 s[2:3], s[2:3], s[4:5]
	s_or_b64 vcc, vcc, s[2:3]
	v_cndmask_b32_e32 v26, v29, v28, vcc
	v_cndmask_b32_e32 v27, v24, v25, vcc
	v_add_u32_e32 v30, 1, v26
	v_add_u32_e32 v26, -1, v27
	v_min_u32_e32 v26, v30, v26
	v_lshlrev_b32_e32 v26, 3, v26
	ds_read_b64 v[26:27], v26
	v_cndmask_b32_e64 v5, v7, v5, s[0:1]
	v_cndmask_b32_e64 v4, v6, v4, s[0:1]
	v_cndmask_b32_e32 v7, v3, v9, vcc
	v_cndmask_b32_e32 v6, v2, v8, vcc
	s_waitcnt lgkmcnt(0)
	v_cndmask_b32_e32 v9, v9, v27, vcc
	v_cndmask_b32_e32 v8, v8, v26, vcc
	;; [unrolled: 1-line block ×6, first 2 shown]
	v_cmp_lt_u32_e32 vcc, v26, v25
	v_cmp_lt_i64_e64 s[0:1], v[8:9], v[2:3]
	s_and_b64 vcc, vcc, s[0:1]
	v_cndmask_b32_e32 v2, v2, v8, vcc
	v_cndmask_b32_e32 v3, v3, v9, vcc
	v_cmp_lt_u32_e32 vcc, v29, v24
	v_cndmask_b32_e32 v9, v9, v3, vcc
	v_cndmask_b32_e32 v8, v8, v2, vcc
.LBB3381_64:
	s_or_b64 exec, exec, s[16:17]
	v_mov_b32_e32 v2, v4
	v_mov_b32_e32 v3, v5
	v_and_b32_e32 v26, 0xe00, v13
	s_barrier
	ds_write_b128 v23, v[0:3]
	ds_write_b128 v23, v[6:9] offset:16
	v_or_b32_e32 v2, 0x100, v26
	v_min_u32_e32 v25, 0x400, v2
	v_min_u32_e32 v2, 0x300, v2
	v_add_u32_e32 v24, 0x100, v2
	v_and_b32_e32 v27, 0x1fc, v13
	v_sub_u32_e32 v28, v25, v26
	v_sub_u32_e32 v3, v24, v25
	v_sub_u32_e64 v3, v27, v3 clamp
	v_min_u32_e32 v28, v27, v28
	v_lshlrev_b32_e32 v2, 3, v26
	v_cmp_lt_u32_e32 vcc, v3, v28
	s_waitcnt lgkmcnt(0)
	s_barrier
	s_and_saveexec_b64 s[0:1], vcc
	s_cbranch_execz .LBB3381_68
; %bb.65:
	v_lshlrev_b32_e32 v29, 3, v27
	v_lshl_add_u32 v29, v25, 3, v29
	s_mov_b64 s[2:3], 0
.LBB3381_66:                            ; =>This Inner Loop Header: Depth=1
	v_add_u32_e32 v30, v28, v3
	v_lshrrev_b32_e32 v34, 1, v30
	v_not_b32_e32 v30, v34
	v_lshl_add_u32 v31, v34, 3, v2
	v_lshl_add_u32 v32, v30, 3, v29
	ds_read_b64 v[30:31], v31
	ds_read_b64 v[32:33], v32
	v_add_u32_e32 v35, 1, v34
	s_waitcnt lgkmcnt(0)
	v_cmp_gt_i64_e32 vcc, v[30:31], v[32:33]
	v_cndmask_b32_e32 v28, v28, v34, vcc
	v_cndmask_b32_e32 v3, v35, v3, vcc
	v_cmp_ge_u32_e32 vcc, v3, v28
	s_or_b64 s[2:3], vcc, s[2:3]
	s_andn2_b64 exec, exec, s[2:3]
	s_cbranch_execnz .LBB3381_66
; %bb.67:
	s_or_b64 exec, exec, s[2:3]
.LBB3381_68:
	s_or_b64 exec, exec, s[0:1]
	v_sub_u32_e32 v27, v27, v3
	v_add_u32_e32 v26, v3, v26
	v_add_u32_e32 v27, v27, v25
	v_cmp_le_u32_e32 vcc, v26, v25
	v_cmp_le_u32_e64 s[0:1], v27, v24
	s_or_b64 s[0:1], vcc, s[0:1]
	s_and_saveexec_b64 s[16:17], s[0:1]
	s_cbranch_execz .LBB3381_74
; %bb.69:
	v_cmp_lt_u32_e32 vcc, v26, v25
                                        ; implicit-def: $vgpr0_vgpr1
	s_and_saveexec_b64 s[0:1], vcc
	s_cbranch_execz .LBB3381_71
; %bb.70:
	v_lshl_add_u32 v0, v3, 3, v2
	ds_read_b64 v[0:1], v0
.LBB3381_71:
	s_or_b64 exec, exec, s[0:1]
	v_cmp_ge_u32_e64 s[0:1], v27, v24
	v_cmp_lt_u32_e64 s[2:3], v27, v24
                                        ; implicit-def: $vgpr2_vgpr3
	s_and_saveexec_b64 s[4:5], s[2:3]
	s_cbranch_execz .LBB3381_73
; %bb.72:
	v_lshlrev_b32_e32 v2, 3, v27
	ds_read_b64 v[2:3], v2
.LBB3381_73:
	s_or_b64 exec, exec, s[4:5]
	s_waitcnt lgkmcnt(0)
	v_cmp_le_i64_e64 s[2:3], v[0:1], v[2:3]
	s_and_b64 s[2:3], vcc, s[2:3]
	s_or_b64 vcc, s[0:1], s[2:3]
	v_cndmask_b32_e32 v4, v27, v26, vcc
	v_cndmask_b32_e32 v5, v24, v25, vcc
	v_add_u32_e32 v8, 1, v4
	v_add_u32_e32 v4, -1, v5
	v_min_u32_e32 v4, v8, v4
	v_lshlrev_b32_e32 v4, 3, v4
	ds_read_b64 v[4:5], v4
	v_cndmask_b32_e32 v26, v26, v8, vcc
	v_cndmask_b32_e32 v27, v8, v27, vcc
	v_cmp_lt_u32_e64 s[2:3], v26, v25
	v_cmp_ge_u32_e64 s[0:1], v27, v24
	s_waitcnt lgkmcnt(0)
	v_cndmask_b32_e32 v7, v5, v3, vcc
	v_cndmask_b32_e32 v6, v4, v2, vcc
	;; [unrolled: 1-line block ×4, first 2 shown]
	v_cmp_le_i64_e64 s[4:5], v[4:5], v[6:7]
	s_and_b64 s[2:3], s[2:3], s[4:5]
	s_or_b64 s[0:1], s[0:1], s[2:3]
	v_cndmask_b32_e64 v8, v27, v26, s[0:1]
	v_cndmask_b32_e64 v9, v24, v25, s[0:1]
	v_add_u32_e32 v28, 1, v8
	v_add_u32_e32 v8, -1, v9
	v_min_u32_e32 v8, v28, v8
	v_lshlrev_b32_e32 v8, 3, v8
	ds_read_b64 v[8:9], v8
	v_cndmask_b32_e32 v1, v3, v1, vcc
	v_cndmask_b32_e32 v0, v2, v0, vcc
	v_cndmask_b32_e64 v29, v28, v27, s[0:1]
	v_cndmask_b32_e64 v28, v26, v28, s[0:1]
	s_waitcnt lgkmcnt(0)
	v_cndmask_b32_e64 v3, v9, v7, s[0:1]
	v_cndmask_b32_e64 v2, v8, v6, s[0:1]
	;; [unrolled: 1-line block ×4, first 2 shown]
	v_cmp_lt_u32_e64 s[2:3], v28, v25
	v_cmp_le_i64_e64 s[4:5], v[8:9], v[2:3]
	v_cmp_ge_u32_e32 vcc, v29, v24
	s_and_b64 s[2:3], s[2:3], s[4:5]
	s_or_b64 vcc, vcc, s[2:3]
	v_cndmask_b32_e32 v26, v29, v28, vcc
	v_cndmask_b32_e32 v27, v24, v25, vcc
	v_add_u32_e32 v30, 1, v26
	v_add_u32_e32 v26, -1, v27
	v_min_u32_e32 v26, v30, v26
	v_lshlrev_b32_e32 v26, 3, v26
	ds_read_b64 v[26:27], v26
	v_cndmask_b32_e64 v5, v7, v5, s[0:1]
	v_cndmask_b32_e64 v4, v6, v4, s[0:1]
	v_cndmask_b32_e32 v7, v3, v9, vcc
	v_cndmask_b32_e32 v6, v2, v8, vcc
	s_waitcnt lgkmcnt(0)
	v_cndmask_b32_e32 v9, v9, v27, vcc
	v_cndmask_b32_e32 v8, v8, v26, vcc
	;; [unrolled: 1-line block ×6, first 2 shown]
	v_cmp_lt_u32_e32 vcc, v26, v25
	v_cmp_lt_i64_e64 s[0:1], v[8:9], v[2:3]
	s_and_b64 vcc, vcc, s[0:1]
	v_cndmask_b32_e32 v2, v2, v8, vcc
	v_cndmask_b32_e32 v3, v3, v9, vcc
	v_cmp_lt_u32_e32 vcc, v29, v24
	v_cndmask_b32_e32 v9, v9, v3, vcc
	v_cndmask_b32_e32 v8, v8, v2, vcc
.LBB3381_74:
	s_or_b64 exec, exec, s[16:17]
	v_mov_b32_e32 v2, v4
	v_mov_b32_e32 v3, v5
	v_and_b32_e32 v24, 0xc00, v13
	s_barrier
	ds_write_b128 v23, v[0:3]
	ds_write_b128 v23, v[6:9] offset:16
	v_or_b32_e32 v2, 0x200, v24
	v_min_u32_e32 v23, 0x400, v2
	v_and_b32_e32 v25, 0x3fc, v13
	v_sub_u32_e32 v26, v23, v24
	v_sub_u32_e32 v3, 0x400, v23
	v_sub_u32_e64 v3, v25, v3 clamp
	v_min_u32_e32 v26, v25, v26
	v_lshlrev_b32_e32 v2, 3, v24
	v_cmp_lt_u32_e32 vcc, v3, v26
	s_waitcnt lgkmcnt(0)
	s_barrier
	s_and_saveexec_b64 s[0:1], vcc
	s_cbranch_execz .LBB3381_78
; %bb.75:
	v_lshlrev_b32_e32 v27, 3, v25
	v_lshl_add_u32 v27, v23, 3, v27
	s_mov_b64 s[2:3], 0
.LBB3381_76:                            ; =>This Inner Loop Header: Depth=1
	v_add_u32_e32 v28, v26, v3
	v_lshrrev_b32_e32 v32, 1, v28
	v_not_b32_e32 v28, v32
	v_lshl_add_u32 v29, v32, 3, v2
	v_lshl_add_u32 v30, v28, 3, v27
	ds_read_b64 v[28:29], v29
	ds_read_b64 v[30:31], v30
	v_add_u32_e32 v33, 1, v32
	s_waitcnt lgkmcnt(0)
	v_cmp_gt_i64_e32 vcc, v[28:29], v[30:31]
	v_cndmask_b32_e32 v26, v26, v32, vcc
	v_cndmask_b32_e32 v3, v33, v3, vcc
	v_cmp_ge_u32_e32 vcc, v3, v26
	s_or_b64 s[2:3], vcc, s[2:3]
	s_andn2_b64 exec, exec, s[2:3]
	s_cbranch_execnz .LBB3381_76
; %bb.77:
	s_or_b64 exec, exec, s[2:3]
.LBB3381_78:
	s_or_b64 exec, exec, s[0:1]
	v_sub_u32_e32 v25, v25, v3
	v_add_u32_e32 v24, v3, v24
	v_add_u32_e32 v25, v25, v23
	s_movk_i32 s0, 0x401
	v_cmp_le_u32_e32 vcc, v24, v23
	v_cmp_gt_u32_e64 s[0:1], s0, v25
	s_or_b64 s[0:1], vcc, s[0:1]
	s_and_saveexec_b64 s[16:17], s[0:1]
	s_cbranch_execz .LBB3381_84
; %bb.79:
	v_cmp_lt_u32_e32 vcc, v24, v23
                                        ; implicit-def: $vgpr0_vgpr1
	s_and_saveexec_b64 s[0:1], vcc
	s_cbranch_execz .LBB3381_81
; %bb.80:
	v_lshl_add_u32 v0, v3, 3, v2
	ds_read_b64 v[0:1], v0
.LBB3381_81:
	s_or_b64 exec, exec, s[0:1]
	s_movk_i32 s20, 0x3ff
	s_movk_i32 s19, 0x400
	v_cmp_lt_u32_e64 s[0:1], s20, v25
	v_cmp_gt_u32_e64 s[2:3], s19, v25
                                        ; implicit-def: $vgpr2_vgpr3
	s_and_saveexec_b64 s[4:5], s[2:3]
	s_cbranch_execz .LBB3381_83
; %bb.82:
	v_lshlrev_b32_e32 v2, 3, v25
	ds_read_b64 v[2:3], v2
.LBB3381_83:
	s_or_b64 exec, exec, s[4:5]
	s_waitcnt lgkmcnt(0)
	v_cmp_le_i64_e64 s[2:3], v[0:1], v[2:3]
	s_and_b64 s[2:3], vcc, s[2:3]
	s_or_b64 vcc, s[0:1], s[2:3]
	v_cndmask_b32_e32 v4, v25, v24, vcc
	v_add_u32_e32 v26, -1, v23
	v_mov_b32_e32 v27, 0x3ff
	v_add_u32_e32 v8, 1, v4
	v_cndmask_b32_e32 v4, v27, v26, vcc
	v_min_u32_e32 v4, v8, v4
	v_lshlrev_b32_e32 v4, 3, v4
	ds_read_b64 v[4:5], v4
	v_cndmask_b32_e32 v24, v24, v8, vcc
	v_cndmask_b32_e32 v25, v8, v25, vcc
	v_cmp_lt_u32_e64 s[2:3], v24, v23
	v_cmp_lt_u32_e64 s[0:1], s20, v25
	s_waitcnt lgkmcnt(0)
	v_cndmask_b32_e32 v7, v5, v3, vcc
	v_cndmask_b32_e32 v6, v4, v2, vcc
	;; [unrolled: 1-line block ×4, first 2 shown]
	v_cmp_le_i64_e64 s[4:5], v[4:5], v[6:7]
	s_and_b64 s[2:3], s[2:3], s[4:5]
	s_or_b64 s[0:1], s[0:1], s[2:3]
	v_cndmask_b32_e64 v8, v25, v24, s[0:1]
	v_add_u32_e32 v28, 1, v8
	v_cndmask_b32_e64 v8, v27, v26, s[0:1]
	v_min_u32_e32 v8, v28, v8
	v_lshlrev_b32_e32 v8, 3, v8
	ds_read_b64 v[8:9], v8
	v_cndmask_b32_e32 v1, v3, v1, vcc
	v_cndmask_b32_e32 v0, v2, v0, vcc
	v_cndmask_b32_e64 v29, v28, v25, s[0:1]
	v_cndmask_b32_e64 v28, v24, v28, s[0:1]
	s_waitcnt lgkmcnt(0)
	v_cndmask_b32_e64 v3, v9, v7, s[0:1]
	v_cndmask_b32_e64 v2, v8, v6, s[0:1]
	;; [unrolled: 1-line block ×4, first 2 shown]
	v_cmp_lt_u32_e64 s[2:3], v28, v23
	v_cmp_le_i64_e64 s[4:5], v[8:9], v[2:3]
	v_cmp_lt_u32_e32 vcc, s20, v29
	s_and_b64 s[2:3], s[2:3], s[4:5]
	s_or_b64 vcc, vcc, s[2:3]
	v_cndmask_b32_e32 v24, v29, v28, vcc
	v_add_u32_e32 v30, 1, v24
	v_cndmask_b32_e32 v24, v27, v26, vcc
	v_min_u32_e32 v24, v30, v24
	v_lshlrev_b32_e32 v24, 3, v24
	ds_read_b64 v[24:25], v24
	v_cndmask_b32_e64 v5, v7, v5, s[0:1]
	v_cndmask_b32_e64 v4, v6, v4, s[0:1]
	v_cndmask_b32_e32 v7, v3, v9, vcc
	v_cndmask_b32_e32 v6, v2, v8, vcc
	s_waitcnt lgkmcnt(0)
	v_cndmask_b32_e32 v9, v9, v25, vcc
	v_cndmask_b32_e32 v8, v8, v24, vcc
	v_cndmask_b32_e32 v3, v25, v3, vcc
	v_cndmask_b32_e32 v2, v24, v2, vcc
	v_cndmask_b32_e32 v24, v28, v30, vcc
	v_cndmask_b32_e32 v26, v30, v29, vcc
	v_cmp_lt_u32_e32 vcc, v24, v23
	v_cmp_lt_i64_e64 s[0:1], v[8:9], v[2:3]
	s_and_b64 vcc, vcc, s[0:1]
	v_cndmask_b32_e32 v2, v2, v8, vcc
	v_cndmask_b32_e32 v3, v3, v9, vcc
	v_cmp_gt_u32_e32 vcc, s19, v26
	v_cndmask_b32_e32 v9, v9, v3, vcc
	v_cndmask_b32_e32 v8, v8, v2, vcc
.LBB3381_84:
	s_or_b64 exec, exec, s[16:17]
	v_mov_b32_e32 v2, v4
	v_mov_b32_e32 v3, v5
	s_barrier
	s_barrier
	ds_write2_b64 v19, v[0:1], v[2:3] offset1:1
	ds_write2_b64 v19, v[6:7], v[8:9] offset0:2 offset1:3
	s_waitcnt lgkmcnt(0)
	s_barrier
	ds_read_b64 v[2:3], v18
	ds_read_b64 v[4:5], v20 offset:2048
	ds_read_b64 v[6:7], v21 offset:4096
	ds_read_b64 v[0:1], v22 offset:6144
	v_mov_b32_e32 v9, s18
	v_add_co_u32_e32 v8, vcc, s15, v12
	v_addc_co_u32_e32 v9, vcc, 0, v9, vcc
	s_waitcnt lgkmcnt(3)
	flat_store_dwordx2 v[8:9], v[2:3]
	s_waitcnt lgkmcnt(0)
	flat_store_dwordx2 v[8:9], v[4:5] offset:2048
	v_add_co_u32_e32 v2, vcc, 0x1000, v8
	v_addc_co_u32_e32 v3, vcc, 0, v9, vcc
	flat_store_dwordx2 v[2:3], v[6:7]
	s_mov_b64 s[16:17], -1
	s_branch .LBB3381_152
.LBB3381_85:
	s_mov_b64 s[16:17], 0
                                        ; implicit-def: $vgpr0_vgpr1
	s_cbranch_execz .LBB3381_152
; %bb.86:
	s_lshl_b64 s[0:1], s[8:9], 10
	s_sub_i32 s14, s14, s0
	v_cmp_gt_u32_e32 vcc, s14, v10
                                        ; implicit-def: $vgpr0_vgpr1_vgpr2_vgpr3_vgpr4_vgpr5_vgpr6_vgpr7
	s_and_saveexec_b64 s[2:3], vcc
	s_cbranch_execz .LBB3381_88
; %bb.87:
	v_mov_b32_e32 v1, s13
	v_add_co_u32_e64 v0, s[0:1], s7, v12
	v_addc_co_u32_e64 v1, s[0:1], 0, v1, s[0:1]
	flat_load_dwordx2 v[0:1], v[0:1]
.LBB3381_88:
	s_or_b64 exec, exec, s[2:3]
	v_add_u32_e32 v9, 0x100, v10
	v_cmp_gt_u32_e64 s[0:1], s14, v9
	s_and_saveexec_b64 s[4:5], s[0:1]
	s_cbranch_execz .LBB3381_90
; %bb.89:
	v_mov_b32_e32 v3, s13
	v_add_co_u32_e64 v2, s[2:3], s7, v12
	v_addc_co_u32_e64 v3, s[2:3], 0, v3, s[2:3]
	flat_load_dwordx2 v[2:3], v[2:3] offset:2048
.LBB3381_90:
	s_or_b64 exec, exec, s[4:5]
	v_add_u32_e32 v11, 0x200, v10
	v_cmp_gt_u32_e64 s[2:3], s14, v11
	s_and_saveexec_b64 s[8:9], s[2:3]
	s_cbranch_execz .LBB3381_92
; %bb.91:
	v_lshlrev_b32_e32 v4, 3, v11
	v_mov_b32_e32 v5, s13
	v_add_co_u32_e64 v4, s[4:5], s7, v4
	v_addc_co_u32_e64 v5, s[4:5], 0, v5, s[4:5]
	flat_load_dwordx2 v[4:5], v[4:5]
.LBB3381_92:
	s_or_b64 exec, exec, s[8:9]
	v_add_u32_e32 v18, 0x300, v10
	v_cmp_gt_u32_e64 s[16:17], s14, v18
	s_and_saveexec_b64 s[8:9], s[16:17]
	s_cbranch_execz .LBB3381_94
; %bb.93:
	v_lshlrev_b32_e32 v6, 3, v18
	v_mov_b32_e32 v7, s13
	v_add_co_u32_e64 v6, s[4:5], s7, v6
	v_addc_co_u32_e64 v7, s[4:5], 0, v7, s[4:5]
	flat_load_dwordx2 v[6:7], v[6:7]
.LBB3381_94:
	s_or_b64 exec, exec, s[8:9]
	v_and_b32_e32 v8, 0xf8, v17
	v_add_u32_e32 v8, v8, v12
	s_waitcnt vmcnt(0) lgkmcnt(0)
	ds_write_b64 v8, v[0:1]
	v_lshrrev_b32_e32 v0, 2, v9
	v_and_b32_e32 v0, 0x1f8, v0
	v_add_u32_e32 v9, v0, v12
	v_lshrrev_b32_e32 v0, 2, v11
	v_and_b32_e32 v0, 0x1f8, v0
	v_add_u32_e32 v11, v0, v12
	;; [unrolled: 3-line block ×3, first 2 shown]
	v_add_lshl_u32 v16, v16, v13, 3
	ds_write_b64 v9, v[2:3] offset:2048
	ds_write_b64 v11, v[4:5] offset:4096
	ds_write_b64 v17, v[6:7] offset:6144
	s_waitcnt lgkmcnt(0)
	s_barrier
	ds_read2_b64 v[0:3], v16 offset1:1
	ds_read2_b64 v[4:7], v16 offset0:2 offset1:3
	s_waitcnt lgkmcnt(0)
	s_barrier
	s_load_dword s4, s[10:11], 0xc
	v_mov_b32_e32 v18, 0
	s_waitcnt lgkmcnt(0)
	s_lshr_b32 s8, s4, 16
	s_cmp_lt_u32 s6, s12
	s_cselect_b32 s4, 12, 18
	s_add_u32 s4, s10, s4
	s_addc_u32 s5, s11, 0
	global_load_ushort v19, v18, s[4:5]
	v_mad_u32_u24 v14, v15, s8, v14
	v_mbcnt_lo_u32_b32 v18, -1, 0
	v_mbcnt_hi_u32_b32 v18, -1, v18
	v_cmp_gt_i64_e64 s[4:5], v[0:1], v[2:3]
	v_cmp_gt_i64_e64 s[6:7], v[4:5], v[6:7]
	v_lshlrev_b32_e32 v20, 5, v18
	v_lshlrev_b32_e32 v18, 2, v18
	v_or_b32_e32 v21, 4, v18
	v_and_b32_e32 v22, 0x1f8, v18
	v_and_b32_e32 v23, 4, v18
	s_waitcnt vmcnt(0)
	v_mul_lo_u32 v14, v14, v19
	v_add_lshl_u32 v14, v14, v10, 2
	v_sub_u32_e64 v15, s14, v14 clamp
	v_cmp_lt_u32_e64 s[8:9], 1, v15
	v_cmp_lt_u32_e64 s[10:11], 3, v15
	v_and_b32_e32 v14, 0xffffff00, v14
	s_and_b64 s[4:5], s[8:9], s[4:5]
	s_and_b64 s[6:7], s[10:11], s[6:7]
	v_cmp_lt_u32_e64 s[12:13], 2, v15
	v_sub_u32_e64 v15, s14, v14 clamp
	v_lshlrev_b32_e32 v14, 3, v14
	v_cndmask_b32_e64 v29, v1, v3, s[4:5]
	v_cndmask_b32_e64 v28, v0, v2, s[4:5]
	;; [unrolled: 1-line block ×6, first 2 shown]
	v_add_u32_e32 v19, v14, v20
	v_min_u32_e32 v20, v15, v21
	v_cmp_gt_i64_e64 s[4:5], v[0:1], v[2:3]
	v_cndmask_b32_e64 v31, v7, v5, s[6:7]
	v_min_u32_e32 v25, v15, v23
	v_cndmask_b32_e64 v30, v6, v4, s[6:7]
	v_add_u32_e32 v4, 4, v20
	v_sub_u32_e32 v5, v20, v22
	s_and_b64 s[4:5], s[12:13], s[4:5]
	v_min_u32_e32 v21, v15, v4
	v_min_u32_e32 v26, v25, v5
	v_cndmask_b32_e64 v5, v3, v1, s[4:5]
	v_cndmask_b32_e64 v4, v2, v0, s[4:5]
	;; [unrolled: 1-line block ×4, first 2 shown]
	v_cmp_gt_i64_e64 s[4:5], v[28:29], v[2:3]
	v_cmp_gt_i64_e64 s[6:7], v[4:5], v[30:31]
	v_sub_u32_e32 v6, v21, v20
	s_and_b64 s[4:5], s[8:9], s[4:5]
	s_and_b64 s[6:7], s[10:11], s[6:7]
	v_sub_u32_e64 v24, v25, v6 clamp
	v_cndmask_b32_e64 v1, v29, v3, s[4:5]
	v_cndmask_b32_e64 v7, v31, v5, s[6:7]
	;; [unrolled: 1-line block ×8, first 2 shown]
	v_cmp_gt_i64_e64 s[4:5], v[28:29], v[4:5]
	s_and_b64 s[4:5], s[12:13], s[4:5]
	v_lshl_add_u32 v23, v22, 3, v14
	v_cndmask_b32_e64 v3, v29, v5, s[4:5]
	v_cndmask_b32_e64 v2, v28, v4, s[4:5]
	v_cndmask_b32_e64 v5, v5, v29, s[4:5]
	v_cndmask_b32_e64 v4, v4, v28, s[4:5]
	v_cmp_lt_u32_e64 s[4:5], v24, v26
	ds_write_b128 v19, v[0:3]
	ds_write_b128 v19, v[4:7] offset:16
	; wave barrier
	s_and_saveexec_b64 s[6:7], s[4:5]
	s_cbranch_execz .LBB3381_98
; %bb.95:
	v_lshlrev_b32_e32 v27, 3, v20
	v_lshlrev_b32_e32 v28, 3, v25
	v_add3_u32 v27, v14, v27, v28
	s_mov_b64 s[8:9], 0
.LBB3381_96:                            ; =>This Inner Loop Header: Depth=1
	v_add_u32_e32 v28, v26, v24
	v_lshrrev_b32_e32 v32, 1, v28
	v_not_b32_e32 v28, v32
	v_lshl_add_u32 v29, v32, 3, v23
	v_lshl_add_u32 v30, v28, 3, v27
	ds_read_b64 v[28:29], v29
	ds_read_b64 v[30:31], v30
	v_add_u32_e32 v33, 1, v32
	s_waitcnt lgkmcnt(0)
	v_cmp_gt_i64_e64 s[4:5], v[28:29], v[30:31]
	v_cndmask_b32_e64 v26, v26, v32, s[4:5]
	v_cndmask_b32_e64 v24, v33, v24, s[4:5]
	v_cmp_ge_u32_e64 s[4:5], v24, v26
	s_or_b64 s[8:9], s[4:5], s[8:9]
	s_andn2_b64 exec, exec, s[8:9]
	s_cbranch_execnz .LBB3381_96
; %bb.97:
	s_or_b64 exec, exec, s[8:9]
.LBB3381_98:
	s_or_b64 exec, exec, s[6:7]
	v_add_u32_e32 v25, v20, v25
	v_add_u32_e32 v22, v24, v22
	v_sub_u32_e32 v25, v25, v24
	v_cmp_le_u32_e64 s[4:5], v22, v20
	v_cmp_le_u32_e64 s[6:7], v25, v21
	s_or_b64 s[4:5], s[4:5], s[6:7]
	s_and_saveexec_b64 s[12:13], s[4:5]
	s_cbranch_execz .LBB3381_104
; %bb.99:
	v_cmp_lt_u32_e64 s[4:5], v22, v20
                                        ; implicit-def: $vgpr0_vgpr1
	s_and_saveexec_b64 s[6:7], s[4:5]
	s_cbranch_execz .LBB3381_101
; %bb.100:
	v_lshl_add_u32 v0, v24, 3, v23
	ds_read_b64 v[0:1], v0
.LBB3381_101:
	s_or_b64 exec, exec, s[6:7]
	v_cmp_ge_u32_e64 s[6:7], v25, v21
	v_cmp_lt_u32_e64 s[8:9], v25, v21
                                        ; implicit-def: $vgpr2_vgpr3
	s_and_saveexec_b64 s[10:11], s[8:9]
	s_cbranch_execz .LBB3381_103
; %bb.102:
	v_lshl_add_u32 v2, v25, 3, v14
	ds_read_b64 v[2:3], v2
.LBB3381_103:
	s_or_b64 exec, exec, s[10:11]
	s_waitcnt lgkmcnt(0)
	v_cmp_le_i64_e64 s[8:9], v[0:1], v[2:3]
	s_and_b64 s[4:5], s[4:5], s[8:9]
	s_or_b64 s[4:5], s[6:7], s[4:5]
	v_cndmask_b32_e64 v4, v25, v22, s[4:5]
	v_cndmask_b32_e64 v5, v21, v20, s[4:5]
	v_add_u32_e32 v23, 1, v4
	v_add_u32_e32 v4, -1, v5
	v_min_u32_e32 v4, v23, v4
	v_lshl_add_u32 v4, v4, 3, v14
	ds_read_b64 v[4:5], v4
	v_cndmask_b32_e64 v27, v22, v23, s[4:5]
	v_cndmask_b32_e64 v26, v23, v25, s[4:5]
	v_cmp_lt_u32_e64 s[8:9], v27, v20
	v_cmp_ge_u32_e64 s[6:7], v26, v21
	s_waitcnt lgkmcnt(0)
	v_cndmask_b32_e64 v7, v5, v3, s[4:5]
	v_cndmask_b32_e64 v6, v4, v2, s[4:5]
	;; [unrolled: 1-line block ×4, first 2 shown]
	v_cmp_le_i64_e64 s[10:11], v[4:5], v[6:7]
	s_and_b64 s[8:9], s[8:9], s[10:11]
	s_or_b64 s[6:7], s[6:7], s[8:9]
	v_cndmask_b32_e64 v22, v26, v27, s[6:7]
	v_cndmask_b32_e64 v23, v21, v20, s[6:7]
	v_add_u32_e32 v28, 1, v22
	v_add_u32_e32 v22, -1, v23
	v_min_u32_e32 v22, v28, v22
	v_lshl_add_u32 v22, v22, 3, v14
	ds_read_b64 v[22:23], v22
	v_cndmask_b32_e64 v29, v28, v26, s[6:7]
	v_cndmask_b32_e64 v28, v27, v28, s[6:7]
	v_cmp_lt_u32_e64 s[8:9], v28, v20
	v_cndmask_b32_e64 v1, v3, v1, s[4:5]
	s_waitcnt lgkmcnt(0)
	v_cndmask_b32_e64 v25, v23, v7, s[6:7]
	v_cndmask_b32_e64 v24, v22, v6, s[6:7]
	;; [unrolled: 1-line block ×4, first 2 shown]
	v_cmp_le_i64_e64 s[10:11], v[22:23], v[24:25]
	v_cndmask_b32_e64 v0, v2, v0, s[4:5]
	v_cmp_ge_u32_e64 s[4:5], v29, v21
	s_and_b64 s[8:9], s[8:9], s[10:11]
	s_or_b64 s[4:5], s[4:5], s[8:9]
	v_cndmask_b32_e64 v2, v29, v28, s[4:5]
	v_cndmask_b32_e64 v3, v21, v20, s[4:5]
	v_add_u32_e32 v30, 1, v2
	v_add_u32_e32 v2, -1, v3
	v_min_u32_e32 v2, v30, v2
	v_lshl_add_u32 v2, v2, 3, v14
	ds_read_b64 v[26:27], v2
	v_cndmask_b32_e64 v3, v7, v5, s[6:7]
	v_cndmask_b32_e64 v2, v6, v4, s[6:7]
	;; [unrolled: 1-line block ×4, first 2 shown]
	s_waitcnt lgkmcnt(0)
	v_cndmask_b32_e64 v7, v23, v27, s[4:5]
	v_cndmask_b32_e64 v6, v22, v26, s[4:5]
	;; [unrolled: 1-line block ×6, first 2 shown]
	v_cmp_lt_u32_e64 s[4:5], v24, v20
	v_cmp_lt_i64_e64 s[6:7], v[6:7], v[22:23]
	s_and_b64 s[4:5], s[4:5], s[6:7]
	v_cndmask_b32_e64 v20, v22, v6, s[4:5]
	v_cndmask_b32_e64 v22, v23, v7, s[4:5]
	v_cmp_lt_u32_e64 s[4:5], v29, v21
	v_cndmask_b32_e64 v7, v7, v22, s[4:5]
	v_cndmask_b32_e64 v6, v6, v20, s[4:5]
.LBB3381_104:
	s_or_b64 exec, exec, s[12:13]
	v_and_b32_e32 v24, 0x1f0, v18
	v_or_b32_e32 v20, 8, v24
	v_min_u32_e32 v21, v15, v20
	v_add_u32_e32 v20, 8, v21
	v_min_u32_e32 v20, v15, v20
	v_and_b32_e32 v22, 12, v18
	v_min_u32_e32 v25, v15, v22
	v_sub_u32_e32 v26, v21, v24
	v_sub_u32_e32 v23, v20, v21
	v_sub_u32_e64 v23, v25, v23 clamp
	v_min_u32_e32 v26, v25, v26
	v_lshl_add_u32 v22, v24, 3, v14
	v_cmp_lt_u32_e64 s[4:5], v23, v26
	; wave barrier
	ds_write_b128 v19, v[0:3]
	ds_write_b128 v19, v[4:7] offset:16
	; wave barrier
	s_and_saveexec_b64 s[6:7], s[4:5]
	s_cbranch_execz .LBB3381_108
; %bb.105:
	v_lshlrev_b32_e32 v27, 3, v21
	v_lshlrev_b32_e32 v28, 3, v25
	v_add3_u32 v27, v14, v27, v28
	s_mov_b64 s[8:9], 0
.LBB3381_106:                           ; =>This Inner Loop Header: Depth=1
	v_add_u32_e32 v28, v26, v23
	v_lshrrev_b32_e32 v32, 1, v28
	v_not_b32_e32 v28, v32
	v_lshl_add_u32 v29, v32, 3, v22
	v_lshl_add_u32 v30, v28, 3, v27
	ds_read_b64 v[28:29], v29
	ds_read_b64 v[30:31], v30
	v_add_u32_e32 v33, 1, v32
	s_waitcnt lgkmcnt(0)
	v_cmp_gt_i64_e64 s[4:5], v[28:29], v[30:31]
	v_cndmask_b32_e64 v26, v26, v32, s[4:5]
	v_cndmask_b32_e64 v23, v33, v23, s[4:5]
	v_cmp_ge_u32_e64 s[4:5], v23, v26
	s_or_b64 s[8:9], s[4:5], s[8:9]
	s_andn2_b64 exec, exec, s[8:9]
	s_cbranch_execnz .LBB3381_106
; %bb.107:
	s_or_b64 exec, exec, s[8:9]
.LBB3381_108:
	s_or_b64 exec, exec, s[6:7]
	v_add_u32_e32 v25, v21, v25
	v_add_u32_e32 v24, v23, v24
	v_sub_u32_e32 v25, v25, v23
	v_cmp_le_u32_e64 s[4:5], v24, v21
	v_cmp_le_u32_e64 s[6:7], v25, v20
	s_or_b64 s[4:5], s[4:5], s[6:7]
	s_and_saveexec_b64 s[12:13], s[4:5]
	s_cbranch_execz .LBB3381_114
; %bb.109:
	v_cmp_lt_u32_e64 s[4:5], v24, v21
                                        ; implicit-def: $vgpr0_vgpr1
	s_and_saveexec_b64 s[6:7], s[4:5]
	s_cbranch_execz .LBB3381_111
; %bb.110:
	v_lshl_add_u32 v0, v23, 3, v22
	ds_read_b64 v[0:1], v0
.LBB3381_111:
	s_or_b64 exec, exec, s[6:7]
	v_cmp_ge_u32_e64 s[6:7], v25, v20
	v_cmp_lt_u32_e64 s[8:9], v25, v20
                                        ; implicit-def: $vgpr2_vgpr3
	s_and_saveexec_b64 s[10:11], s[8:9]
	s_cbranch_execz .LBB3381_113
; %bb.112:
	v_lshl_add_u32 v2, v25, 3, v14
	ds_read_b64 v[2:3], v2
.LBB3381_113:
	s_or_b64 exec, exec, s[10:11]
	s_waitcnt lgkmcnt(0)
	v_cmp_le_i64_e64 s[8:9], v[0:1], v[2:3]
	s_and_b64 s[4:5], s[4:5], s[8:9]
	s_or_b64 s[4:5], s[6:7], s[4:5]
	v_cndmask_b32_e64 v4, v25, v24, s[4:5]
	v_cndmask_b32_e64 v5, v20, v21, s[4:5]
	v_add_u32_e32 v22, 1, v4
	v_add_u32_e32 v4, -1, v5
	v_min_u32_e32 v4, v22, v4
	v_lshl_add_u32 v4, v4, 3, v14
	ds_read_b64 v[4:5], v4
	v_cndmask_b32_e64 v27, v24, v22, s[4:5]
	v_cndmask_b32_e64 v26, v22, v25, s[4:5]
	v_cmp_lt_u32_e64 s[8:9], v27, v21
	v_cmp_ge_u32_e64 s[6:7], v26, v20
	s_waitcnt lgkmcnt(0)
	v_cndmask_b32_e64 v7, v5, v3, s[4:5]
	v_cndmask_b32_e64 v6, v4, v2, s[4:5]
	v_cndmask_b32_e64 v5, v1, v5, s[4:5]
	v_cndmask_b32_e64 v4, v0, v4, s[4:5]
	v_cmp_le_i64_e64 s[10:11], v[4:5], v[6:7]
	s_and_b64 s[8:9], s[8:9], s[10:11]
	s_or_b64 s[6:7], s[6:7], s[8:9]
	v_cndmask_b32_e64 v22, v26, v27, s[6:7]
	v_cndmask_b32_e64 v23, v20, v21, s[6:7]
	v_add_u32_e32 v28, 1, v22
	v_add_u32_e32 v22, -1, v23
	v_min_u32_e32 v22, v28, v22
	v_lshl_add_u32 v22, v22, 3, v14
	ds_read_b64 v[22:23], v22
	v_cndmask_b32_e64 v29, v28, v26, s[6:7]
	v_cndmask_b32_e64 v28, v27, v28, s[6:7]
	v_cmp_lt_u32_e64 s[8:9], v28, v21
	v_cndmask_b32_e64 v1, v3, v1, s[4:5]
	s_waitcnt lgkmcnt(0)
	v_cndmask_b32_e64 v25, v23, v7, s[6:7]
	v_cndmask_b32_e64 v24, v22, v6, s[6:7]
	;; [unrolled: 1-line block ×4, first 2 shown]
	v_cmp_le_i64_e64 s[10:11], v[22:23], v[24:25]
	v_cndmask_b32_e64 v0, v2, v0, s[4:5]
	v_cmp_ge_u32_e64 s[4:5], v29, v20
	s_and_b64 s[8:9], s[8:9], s[10:11]
	s_or_b64 s[4:5], s[4:5], s[8:9]
	v_cndmask_b32_e64 v2, v29, v28, s[4:5]
	v_cndmask_b32_e64 v3, v20, v21, s[4:5]
	v_add_u32_e32 v30, 1, v2
	v_add_u32_e32 v2, -1, v3
	v_min_u32_e32 v2, v30, v2
	v_lshl_add_u32 v2, v2, 3, v14
	ds_read_b64 v[26:27], v2
	v_cndmask_b32_e64 v3, v7, v5, s[6:7]
	v_cndmask_b32_e64 v2, v6, v4, s[6:7]
	;; [unrolled: 1-line block ×4, first 2 shown]
	s_waitcnt lgkmcnt(0)
	v_cndmask_b32_e64 v7, v23, v27, s[4:5]
	v_cndmask_b32_e64 v6, v22, v26, s[4:5]
	;; [unrolled: 1-line block ×6, first 2 shown]
	v_cmp_lt_u32_e64 s[4:5], v24, v21
	v_cmp_lt_i64_e64 s[6:7], v[6:7], v[22:23]
	s_and_b64 s[4:5], s[4:5], s[6:7]
	v_cndmask_b32_e64 v21, v22, v6, s[4:5]
	v_cndmask_b32_e64 v22, v23, v7, s[4:5]
	v_cmp_lt_u32_e64 s[4:5], v29, v20
	v_cndmask_b32_e64 v7, v7, v22, s[4:5]
	v_cndmask_b32_e64 v6, v6, v21, s[4:5]
.LBB3381_114:
	s_or_b64 exec, exec, s[12:13]
	v_and_b32_e32 v24, 0x1e0, v18
	v_or_b32_e32 v20, 16, v24
	v_min_u32_e32 v21, v15, v20
	v_add_u32_e32 v20, 16, v21
	v_min_u32_e32 v20, v15, v20
	v_and_b32_e32 v22, 28, v18
	v_min_u32_e32 v25, v15, v22
	v_sub_u32_e32 v26, v21, v24
	v_sub_u32_e32 v23, v20, v21
	v_sub_u32_e64 v23, v25, v23 clamp
	v_min_u32_e32 v26, v25, v26
	v_lshl_add_u32 v22, v24, 3, v14
	v_cmp_lt_u32_e64 s[4:5], v23, v26
	; wave barrier
	ds_write_b128 v19, v[0:3]
	ds_write_b128 v19, v[4:7] offset:16
	; wave barrier
	s_and_saveexec_b64 s[6:7], s[4:5]
	s_cbranch_execz .LBB3381_118
; %bb.115:
	v_lshlrev_b32_e32 v27, 3, v21
	v_lshlrev_b32_e32 v28, 3, v25
	v_add3_u32 v27, v14, v27, v28
	s_mov_b64 s[8:9], 0
.LBB3381_116:                           ; =>This Inner Loop Header: Depth=1
	v_add_u32_e32 v28, v26, v23
	v_lshrrev_b32_e32 v32, 1, v28
	v_not_b32_e32 v28, v32
	v_lshl_add_u32 v29, v32, 3, v22
	v_lshl_add_u32 v30, v28, 3, v27
	ds_read_b64 v[28:29], v29
	ds_read_b64 v[30:31], v30
	v_add_u32_e32 v33, 1, v32
	s_waitcnt lgkmcnt(0)
	v_cmp_gt_i64_e64 s[4:5], v[28:29], v[30:31]
	v_cndmask_b32_e64 v26, v26, v32, s[4:5]
	v_cndmask_b32_e64 v23, v33, v23, s[4:5]
	v_cmp_ge_u32_e64 s[4:5], v23, v26
	s_or_b64 s[8:9], s[4:5], s[8:9]
	s_andn2_b64 exec, exec, s[8:9]
	s_cbranch_execnz .LBB3381_116
; %bb.117:
	s_or_b64 exec, exec, s[8:9]
.LBB3381_118:
	s_or_b64 exec, exec, s[6:7]
	v_add_u32_e32 v25, v21, v25
	v_add_u32_e32 v24, v23, v24
	v_sub_u32_e32 v25, v25, v23
	v_cmp_le_u32_e64 s[4:5], v24, v21
	v_cmp_le_u32_e64 s[6:7], v25, v20
	s_or_b64 s[4:5], s[4:5], s[6:7]
	s_and_saveexec_b64 s[12:13], s[4:5]
	s_cbranch_execz .LBB3381_124
; %bb.119:
	v_cmp_lt_u32_e64 s[4:5], v24, v21
                                        ; implicit-def: $vgpr0_vgpr1
	s_and_saveexec_b64 s[6:7], s[4:5]
	s_cbranch_execz .LBB3381_121
; %bb.120:
	v_lshl_add_u32 v0, v23, 3, v22
	ds_read_b64 v[0:1], v0
.LBB3381_121:
	s_or_b64 exec, exec, s[6:7]
	v_cmp_ge_u32_e64 s[6:7], v25, v20
	v_cmp_lt_u32_e64 s[8:9], v25, v20
                                        ; implicit-def: $vgpr2_vgpr3
	s_and_saveexec_b64 s[10:11], s[8:9]
	s_cbranch_execz .LBB3381_123
; %bb.122:
	v_lshl_add_u32 v2, v25, 3, v14
	ds_read_b64 v[2:3], v2
.LBB3381_123:
	s_or_b64 exec, exec, s[10:11]
	s_waitcnt lgkmcnt(0)
	v_cmp_le_i64_e64 s[8:9], v[0:1], v[2:3]
	s_and_b64 s[4:5], s[4:5], s[8:9]
	s_or_b64 s[4:5], s[6:7], s[4:5]
	v_cndmask_b32_e64 v4, v25, v24, s[4:5]
	v_cndmask_b32_e64 v5, v20, v21, s[4:5]
	v_add_u32_e32 v22, 1, v4
	v_add_u32_e32 v4, -1, v5
	v_min_u32_e32 v4, v22, v4
	v_lshl_add_u32 v4, v4, 3, v14
	ds_read_b64 v[4:5], v4
	v_cndmask_b32_e64 v27, v24, v22, s[4:5]
	v_cndmask_b32_e64 v26, v22, v25, s[4:5]
	v_cmp_lt_u32_e64 s[8:9], v27, v21
	v_cmp_ge_u32_e64 s[6:7], v26, v20
	s_waitcnt lgkmcnt(0)
	v_cndmask_b32_e64 v7, v5, v3, s[4:5]
	v_cndmask_b32_e64 v6, v4, v2, s[4:5]
	;; [unrolled: 1-line block ×4, first 2 shown]
	v_cmp_le_i64_e64 s[10:11], v[4:5], v[6:7]
	s_and_b64 s[8:9], s[8:9], s[10:11]
	s_or_b64 s[6:7], s[6:7], s[8:9]
	v_cndmask_b32_e64 v22, v26, v27, s[6:7]
	v_cndmask_b32_e64 v23, v20, v21, s[6:7]
	v_add_u32_e32 v28, 1, v22
	v_add_u32_e32 v22, -1, v23
	v_min_u32_e32 v22, v28, v22
	v_lshl_add_u32 v22, v22, 3, v14
	ds_read_b64 v[22:23], v22
	v_cndmask_b32_e64 v29, v28, v26, s[6:7]
	v_cndmask_b32_e64 v28, v27, v28, s[6:7]
	v_cmp_lt_u32_e64 s[8:9], v28, v21
	v_cndmask_b32_e64 v1, v3, v1, s[4:5]
	s_waitcnt lgkmcnt(0)
	v_cndmask_b32_e64 v25, v23, v7, s[6:7]
	v_cndmask_b32_e64 v24, v22, v6, s[6:7]
	;; [unrolled: 1-line block ×4, first 2 shown]
	v_cmp_le_i64_e64 s[10:11], v[22:23], v[24:25]
	v_cndmask_b32_e64 v0, v2, v0, s[4:5]
	v_cmp_ge_u32_e64 s[4:5], v29, v20
	s_and_b64 s[8:9], s[8:9], s[10:11]
	s_or_b64 s[4:5], s[4:5], s[8:9]
	v_cndmask_b32_e64 v2, v29, v28, s[4:5]
	v_cndmask_b32_e64 v3, v20, v21, s[4:5]
	v_add_u32_e32 v30, 1, v2
	v_add_u32_e32 v2, -1, v3
	v_min_u32_e32 v2, v30, v2
	v_lshl_add_u32 v2, v2, 3, v14
	ds_read_b64 v[26:27], v2
	v_cndmask_b32_e64 v3, v7, v5, s[6:7]
	v_cndmask_b32_e64 v2, v6, v4, s[6:7]
	;; [unrolled: 1-line block ×4, first 2 shown]
	s_waitcnt lgkmcnt(0)
	v_cndmask_b32_e64 v7, v23, v27, s[4:5]
	v_cndmask_b32_e64 v6, v22, v26, s[4:5]
	;; [unrolled: 1-line block ×6, first 2 shown]
	v_cmp_lt_u32_e64 s[4:5], v24, v21
	v_cmp_lt_i64_e64 s[6:7], v[6:7], v[22:23]
	s_and_b64 s[4:5], s[4:5], s[6:7]
	v_cndmask_b32_e64 v21, v22, v6, s[4:5]
	v_cndmask_b32_e64 v22, v23, v7, s[4:5]
	v_cmp_lt_u32_e64 s[4:5], v29, v20
	v_cndmask_b32_e64 v7, v7, v22, s[4:5]
	v_cndmask_b32_e64 v6, v6, v21, s[4:5]
.LBB3381_124:
	s_or_b64 exec, exec, s[12:13]
	v_and_b32_e32 v21, 0x1c0, v18
	; wave barrier
	ds_write_b128 v19, v[0:3]
	ds_write_b128 v19, v[4:7] offset:16
	v_or_b32_e32 v19, 32, v21
	v_min_u32_e32 v20, v15, v19
	v_add_u32_e32 v19, 32, v20
	v_min_u32_e32 v19, v15, v19
	v_and_b32_e32 v18, 60, v18
	v_min_u32_e32 v22, v15, v18
	v_sub_u32_e32 v23, v20, v21
	v_sub_u32_e32 v18, v19, v20
	v_sub_u32_e64 v18, v22, v18 clamp
	v_min_u32_e32 v23, v22, v23
	v_lshl_add_u32 v15, v21, 3, v14
	v_cmp_lt_u32_e64 s[4:5], v18, v23
	; wave barrier
	s_and_saveexec_b64 s[6:7], s[4:5]
	s_cbranch_execz .LBB3381_128
; %bb.125:
	v_lshlrev_b32_e32 v24, 3, v20
	v_lshlrev_b32_e32 v25, 3, v22
	v_add3_u32 v24, v14, v24, v25
	s_mov_b64 s[8:9], 0
.LBB3381_126:                           ; =>This Inner Loop Header: Depth=1
	v_add_u32_e32 v25, v23, v18
	v_lshrrev_b32_e32 v25, 1, v25
	v_not_b32_e32 v26, v25
	v_lshl_add_u32 v27, v25, 3, v15
	v_lshl_add_u32 v28, v26, 3, v24
	ds_read_b64 v[26:27], v27
	ds_read_b64 v[28:29], v28
	v_add_u32_e32 v30, 1, v25
	s_waitcnt lgkmcnt(0)
	v_cmp_gt_i64_e64 s[4:5], v[26:27], v[28:29]
	v_cndmask_b32_e64 v23, v23, v25, s[4:5]
	v_cndmask_b32_e64 v18, v30, v18, s[4:5]
	v_cmp_ge_u32_e64 s[4:5], v18, v23
	s_or_b64 s[8:9], s[4:5], s[8:9]
	s_andn2_b64 exec, exec, s[8:9]
	s_cbranch_execnz .LBB3381_126
; %bb.127:
	s_or_b64 exec, exec, s[8:9]
.LBB3381_128:
	s_or_b64 exec, exec, s[6:7]
	v_add_u32_e32 v22, v20, v22
	v_add_u32_e32 v21, v18, v21
	v_sub_u32_e32 v22, v22, v18
	v_cmp_le_u32_e64 s[4:5], v21, v20
	v_cmp_le_u32_e64 s[6:7], v22, v19
	s_or_b64 s[4:5], s[4:5], s[6:7]
	s_and_saveexec_b64 s[12:13], s[4:5]
	s_cbranch_execz .LBB3381_134
; %bb.129:
	v_cmp_lt_u32_e64 s[4:5], v21, v20
                                        ; implicit-def: $vgpr0_vgpr1
	s_and_saveexec_b64 s[6:7], s[4:5]
	s_cbranch_execz .LBB3381_131
; %bb.130:
	v_lshl_add_u32 v0, v18, 3, v15
	ds_read_b64 v[0:1], v0
.LBB3381_131:
	s_or_b64 exec, exec, s[6:7]
	v_cmp_ge_u32_e64 s[6:7], v22, v19
	v_cmp_lt_u32_e64 s[8:9], v22, v19
                                        ; implicit-def: $vgpr2_vgpr3
	s_and_saveexec_b64 s[10:11], s[8:9]
	s_cbranch_execz .LBB3381_133
; %bb.132:
	v_lshl_add_u32 v2, v22, 3, v14
	ds_read_b64 v[2:3], v2
.LBB3381_133:
	s_or_b64 exec, exec, s[10:11]
	s_waitcnt lgkmcnt(0)
	v_cmp_le_i64_e64 s[8:9], v[0:1], v[2:3]
	s_and_b64 s[4:5], s[4:5], s[8:9]
	s_or_b64 s[4:5], s[6:7], s[4:5]
	v_cndmask_b32_e64 v4, v22, v21, s[4:5]
	v_cndmask_b32_e64 v5, v19, v20, s[4:5]
	v_add_u32_e32 v15, 1, v4
	v_add_u32_e32 v4, -1, v5
	v_min_u32_e32 v4, v15, v4
	v_lshl_add_u32 v4, v4, 3, v14
	ds_read_b64 v[4:5], v4
	v_cndmask_b32_e64 v18, v15, v22, s[4:5]
	v_cndmask_b32_e64 v15, v21, v15, s[4:5]
	v_cmp_lt_u32_e64 s[8:9], v15, v20
	v_cmp_ge_u32_e64 s[6:7], v18, v19
	s_waitcnt lgkmcnt(0)
	v_cndmask_b32_e64 v7, v5, v3, s[4:5]
	v_cndmask_b32_e64 v6, v4, v2, s[4:5]
	;; [unrolled: 1-line block ×4, first 2 shown]
	v_cmp_le_i64_e64 s[10:11], v[4:5], v[6:7]
	s_and_b64 s[8:9], s[8:9], s[10:11]
	s_or_b64 s[6:7], s[6:7], s[8:9]
	v_cndmask_b32_e64 v21, v18, v15, s[6:7]
	v_cndmask_b32_e64 v22, v19, v20, s[6:7]
	v_add_u32_e32 v21, 1, v21
	v_add_u32_e32 v22, -1, v22
	v_min_u32_e32 v22, v21, v22
	v_lshl_add_u32 v22, v22, 3, v14
	ds_read_b64 v[22:23], v22
	v_cndmask_b32_e64 v18, v21, v18, s[6:7]
	v_cndmask_b32_e64 v21, v15, v21, s[6:7]
	v_cmp_lt_u32_e64 s[8:9], v21, v20
	v_cndmask_b32_e64 v1, v3, v1, s[4:5]
	s_waitcnt lgkmcnt(0)
	v_cndmask_b32_e64 v25, v23, v7, s[6:7]
	v_cndmask_b32_e64 v24, v22, v6, s[6:7]
	;; [unrolled: 1-line block ×4, first 2 shown]
	v_cmp_le_i64_e64 s[10:11], v[22:23], v[24:25]
	v_cndmask_b32_e64 v0, v2, v0, s[4:5]
	v_cmp_ge_u32_e64 s[4:5], v18, v19
	s_and_b64 s[8:9], s[8:9], s[10:11]
	s_or_b64 s[4:5], s[4:5], s[8:9]
	v_cndmask_b32_e64 v2, v18, v21, s[4:5]
	v_cndmask_b32_e64 v3, v19, v20, s[4:5]
	v_add_u32_e32 v26, 1, v2
	v_add_u32_e32 v2, -1, v3
	v_min_u32_e32 v2, v26, v2
	v_lshl_add_u32 v2, v2, 3, v14
	ds_read_b64 v[14:15], v2
	v_cndmask_b32_e64 v3, v7, v5, s[6:7]
	v_cndmask_b32_e64 v2, v6, v4, s[6:7]
	;; [unrolled: 1-line block ×4, first 2 shown]
	s_waitcnt lgkmcnt(0)
	v_cndmask_b32_e64 v7, v23, v15, s[4:5]
	v_cndmask_b32_e64 v6, v22, v14, s[4:5]
	;; [unrolled: 1-line block ×6, first 2 shown]
	v_cmp_lt_u32_e64 s[4:5], v21, v20
	v_cmp_lt_i64_e64 s[6:7], v[6:7], v[14:15]
	s_and_b64 s[4:5], s[4:5], s[6:7]
	v_cndmask_b32_e64 v14, v14, v6, s[4:5]
	v_cndmask_b32_e64 v15, v15, v7, s[4:5]
	v_cmp_lt_u32_e64 s[4:5], v18, v19
	v_cndmask_b32_e64 v7, v7, v15, s[4:5]
	v_cndmask_b32_e64 v6, v6, v14, s[4:5]
.LBB3381_134:
	s_or_b64 exec, exec, s[12:13]
	s_cmpk_lt_u32 s14, 0x41
	; wave barrier
	s_waitcnt lgkmcnt(0)
	s_barrier
	s_cbranch_scc1 .LBB3381_147
; %bb.135:
	v_lshlrev_b32_e32 v14, 5, v10
	s_mov_b32 s19, 64
	s_branch .LBB3381_138
.LBB3381_136:                           ;   in Loop: Header=BB3381_138 Depth=1
	s_or_b64 exec, exec, s[10:11]
	s_waitcnt lgkmcnt(0)
	v_cmp_le_i64_e64 s[8:9], v[0:1], v[2:3]
	s_and_b64 s[4:5], s[4:5], s[8:9]
	s_or_b64 s[4:5], s[6:7], s[4:5]
	v_cndmask_b32_e64 v4, v22, v21, s[4:5]
	v_cndmask_b32_e64 v5, v15, v18, s[4:5]
	v_add_u32_e32 v19, 1, v4
	v_add_u32_e32 v4, -1, v5
	v_min_u32_e32 v4, v19, v4
	v_lshlrev_b32_e32 v4, 3, v4
	ds_read_b64 v[4:5], v4
	v_cndmask_b32_e64 v24, v19, v22, s[4:5]
	v_cndmask_b32_e64 v19, v21, v19, s[4:5]
	v_cmp_lt_u32_e64 s[8:9], v19, v18
	v_cmp_ge_u32_e64 s[6:7], v24, v15
	s_waitcnt lgkmcnt(0)
	v_cndmask_b32_e64 v7, v5, v3, s[4:5]
	v_cndmask_b32_e64 v6, v4, v2, s[4:5]
	;; [unrolled: 1-line block ×4, first 2 shown]
	v_cmp_le_i64_e64 s[10:11], v[4:5], v[6:7]
	s_and_b64 s[8:9], s[8:9], s[10:11]
	s_or_b64 s[6:7], s[6:7], s[8:9]
	v_cndmask_b32_e64 v20, v24, v19, s[6:7]
	v_cndmask_b32_e64 v21, v15, v18, s[6:7]
	v_add_u32_e32 v25, 1, v20
	v_add_u32_e32 v20, -1, v21
	v_min_u32_e32 v20, v25, v20
	v_lshlrev_b32_e32 v20, 3, v20
	ds_read_b64 v[20:21], v20
	v_cndmask_b32_e64 v19, v19, v25, s[6:7]
	v_cndmask_b32_e64 v26, v25, v24, s[6:7]
	v_cmp_lt_u32_e64 s[8:9], v19, v18
	v_cndmask_b32_e64 v1, v3, v1, s[4:5]
	s_waitcnt lgkmcnt(0)
	v_cndmask_b32_e64 v23, v21, v7, s[6:7]
	v_cndmask_b32_e64 v22, v20, v6, s[6:7]
	v_cndmask_b32_e64 v21, v5, v21, s[6:7]
	v_cndmask_b32_e64 v20, v4, v20, s[6:7]
	v_cmp_le_i64_e64 s[10:11], v[20:21], v[22:23]
	v_cndmask_b32_e64 v0, v2, v0, s[4:5]
	v_cmp_ge_u32_e64 s[4:5], v26, v15
	s_and_b64 s[8:9], s[8:9], s[10:11]
	s_or_b64 s[4:5], s[4:5], s[8:9]
	v_cndmask_b32_e64 v2, v26, v19, s[4:5]
	v_cndmask_b32_e64 v3, v15, v18, s[4:5]
	v_add_u32_e32 v27, 1, v2
	v_add_u32_e32 v2, -1, v3
	v_min_u32_e32 v2, v27, v2
	v_lshlrev_b32_e32 v2, 3, v2
	ds_read_b64 v[24:25], v2
	v_cndmask_b32_e64 v3, v7, v5, s[6:7]
	v_cndmask_b32_e64 v2, v6, v4, s[6:7]
	;; [unrolled: 1-line block ×4, first 2 shown]
	s_waitcnt lgkmcnt(0)
	v_cndmask_b32_e64 v7, v21, v25, s[4:5]
	v_cndmask_b32_e64 v6, v20, v24, s[4:5]
	;; [unrolled: 1-line block ×6, first 2 shown]
	v_cmp_lt_u32_e64 s[4:5], v19, v18
	v_cmp_lt_i64_e64 s[6:7], v[6:7], v[20:21]
	s_and_b64 s[4:5], s[4:5], s[6:7]
	v_cndmask_b32_e64 v18, v20, v6, s[4:5]
	v_cndmask_b32_e64 v19, v21, v7, s[4:5]
	v_cmp_lt_u32_e64 s[4:5], v26, v15
	v_cndmask_b32_e64 v7, v7, v19, s[4:5]
	v_cndmask_b32_e64 v6, v6, v18, s[4:5]
.LBB3381_137:                           ;   in Loop: Header=BB3381_138 Depth=1
	s_or_b64 exec, exec, s[12:13]
	s_cmp_lt_u32 s19, s14
	s_barrier
	s_cbranch_scc0 .LBB3381_147
.LBB3381_138:                           ; =>This Loop Header: Depth=1
                                        ;     Child Loop BB3381_140 Depth 2
	s_mov_b32 s4, s19
	s_lshl_b32 s19, s19, 1
	s_sub_i32 s6, 0, s19
	v_and_b32_e32 v21, s6, v13
	v_add_u32_e32 v15, s4, v21
	v_min_u32_e32 v18, s14, v15
	s_add_i32 s5, s19, -1
	v_add_u32_e32 v15, s4, v18
	v_min_u32_e32 v15, s14, v15
	v_and_b32_e32 v19, s5, v13
	v_min_u32_e32 v22, s14, v19
	v_sub_u32_e32 v23, v18, v21
	v_sub_u32_e32 v20, v15, v18
	v_sub_u32_e64 v20, v22, v20 clamp
	v_min_u32_e32 v23, v22, v23
	v_lshlrev_b32_e32 v19, 3, v21
	v_cmp_lt_u32_e64 s[4:5], v20, v23
	ds_write_b128 v14, v[0:3]
	ds_write_b128 v14, v[4:7] offset:16
	s_waitcnt lgkmcnt(0)
	s_barrier
	s_and_saveexec_b64 s[6:7], s[4:5]
	s_cbranch_execz .LBB3381_142
; %bb.139:                              ;   in Loop: Header=BB3381_138 Depth=1
	v_lshlrev_b32_e32 v24, 3, v22
	v_lshl_add_u32 v24, v18, 3, v24
	s_mov_b64 s[8:9], 0
.LBB3381_140:                           ;   Parent Loop BB3381_138 Depth=1
                                        ; =>  This Inner Loop Header: Depth=2
	v_add_u32_e32 v25, v23, v20
	v_lshrrev_b32_e32 v25, 1, v25
	v_not_b32_e32 v26, v25
	v_lshl_add_u32 v27, v25, 3, v19
	v_lshl_add_u32 v28, v26, 3, v24
	ds_read_b64 v[26:27], v27
	ds_read_b64 v[28:29], v28
	v_add_u32_e32 v30, 1, v25
	s_waitcnt lgkmcnt(0)
	v_cmp_gt_i64_e64 s[4:5], v[26:27], v[28:29]
	v_cndmask_b32_e64 v23, v23, v25, s[4:5]
	v_cndmask_b32_e64 v20, v30, v20, s[4:5]
	v_cmp_ge_u32_e64 s[4:5], v20, v23
	s_or_b64 s[8:9], s[4:5], s[8:9]
	s_andn2_b64 exec, exec, s[8:9]
	s_cbranch_execnz .LBB3381_140
; %bb.141:                              ;   in Loop: Header=BB3381_138 Depth=1
	s_or_b64 exec, exec, s[8:9]
.LBB3381_142:                           ;   in Loop: Header=BB3381_138 Depth=1
	s_or_b64 exec, exec, s[6:7]
	v_sub_u32_e32 v22, v22, v20
	v_add_u32_e32 v21, v20, v21
	v_add_u32_e32 v22, v22, v18
	v_cmp_le_u32_e64 s[4:5], v21, v18
	v_cmp_le_u32_e64 s[6:7], v22, v15
	s_or_b64 s[4:5], s[4:5], s[6:7]
	s_and_saveexec_b64 s[12:13], s[4:5]
	s_cbranch_execz .LBB3381_137
; %bb.143:                              ;   in Loop: Header=BB3381_138 Depth=1
	v_cmp_lt_u32_e64 s[4:5], v21, v18
                                        ; implicit-def: $vgpr0_vgpr1
	s_and_saveexec_b64 s[6:7], s[4:5]
	s_cbranch_execz .LBB3381_145
; %bb.144:                              ;   in Loop: Header=BB3381_138 Depth=1
	v_lshl_add_u32 v0, v20, 3, v19
	ds_read_b64 v[0:1], v0
.LBB3381_145:                           ;   in Loop: Header=BB3381_138 Depth=1
	s_or_b64 exec, exec, s[6:7]
	v_cmp_ge_u32_e64 s[6:7], v22, v15
	v_cmp_lt_u32_e64 s[8:9], v22, v15
                                        ; implicit-def: $vgpr2_vgpr3
	s_and_saveexec_b64 s[10:11], s[8:9]
	s_cbranch_execz .LBB3381_136
; %bb.146:                              ;   in Loop: Header=BB3381_138 Depth=1
	v_lshlrev_b32_e32 v2, 3, v22
	ds_read_b64 v[2:3], v2
	s_branch .LBB3381_136
.LBB3381_147:
	s_barrier
	ds_write2_b64 v16, v[0:1], v[2:3] offset1:1
	ds_write2_b64 v16, v[4:5], v[6:7] offset0:2 offset1:3
	s_waitcnt lgkmcnt(0)
	s_barrier
	ds_read_b64 v[6:7], v9 offset:2048
	ds_read_b64 v[2:3], v11 offset:4096
	;; [unrolled: 1-line block ×3, first 2 shown]
	v_mov_b32_e32 v5, s18
	v_add_co_u32_e64 v4, s[4:5], s15, v12
	v_mov_b32_e32 v11, 0
	v_addc_co_u32_e64 v5, s[4:5], 0, v5, s[4:5]
	s_and_saveexec_b64 s[4:5], vcc
	s_cbranch_execnz .LBB3381_155
; %bb.148:
	s_or_b64 exec, exec, s[4:5]
	s_and_saveexec_b64 s[4:5], s[0:1]
	s_cbranch_execnz .LBB3381_156
.LBB3381_149:
	s_or_b64 exec, exec, s[4:5]
	s_and_saveexec_b64 s[0:1], s[2:3]
	s_cbranch_execz .LBB3381_151
.LBB3381_150:
	v_add_co_u32_e32 v4, vcc, 0x1000, v4
	v_addc_co_u32_e32 v5, vcc, 0, v5, vcc
	s_waitcnt lgkmcnt(0)
	flat_store_dwordx2 v[4:5], v[2:3]
.LBB3381_151:
	s_or_b64 exec, exec, s[0:1]
.LBB3381_152:
	s_and_saveexec_b64 s[0:1], s[16:17]
	s_cbranch_execz .LBB3381_154
; %bb.153:
	s_waitcnt lgkmcnt(0)
	v_lshlrev_b64 v[2:3], 3, v[10:11]
	v_mov_b32_e32 v4, s18
	v_add_co_u32_e32 v2, vcc, s15, v2
	v_addc_co_u32_e32 v3, vcc, v4, v3, vcc
	v_add_co_u32_e32 v2, vcc, 0x1000, v2
	v_addc_co_u32_e32 v3, vcc, 0, v3, vcc
	flat_store_dwordx2 v[2:3], v[0:1] offset:2048
.LBB3381_154:
	s_endpgm
.LBB3381_155:
	ds_read_b64 v[8:9], v8
	s_waitcnt lgkmcnt(0)
	flat_store_dwordx2 v[4:5], v[8:9]
	s_or_b64 exec, exec, s[4:5]
	s_and_saveexec_b64 s[4:5], s[0:1]
	s_cbranch_execz .LBB3381_149
.LBB3381_156:
	s_waitcnt lgkmcnt(0)
	flat_store_dwordx2 v[4:5], v[6:7] offset:2048
	s_or_b64 exec, exec, s[4:5]
	s_and_saveexec_b64 s[0:1], s[2:3]
	s_cbranch_execnz .LBB3381_150
	s_branch .LBB3381_151
	.section	.rodata,"a",@progbits
	.p2align	6, 0x0
	.amdhsa_kernel _ZN7rocprim17ROCPRIM_400000_NS6detail17trampoline_kernelINS0_14default_configENS1_37merge_sort_block_sort_config_selectorIxNS0_10empty_typeEEEZNS1_21merge_sort_block_sortIS3_N6thrust23THRUST_200600_302600_NS6detail15normal_iteratorINS9_10device_ptrIxEEEESE_PS5_SF_14custom_greaterIxEEE10hipError_tT0_T1_T2_T3_mRjT4_P12ihipStream_tbNS1_7vsmem_tEEUlT_E_NS1_11comp_targetILNS1_3genE4ELNS1_11target_archE910ELNS1_3gpuE8ELNS1_3repE0EEENS1_30default_config_static_selectorELNS0_4arch9wavefront6targetE1EEEvSK_
		.amdhsa_group_segment_fixed_size 8448
		.amdhsa_private_segment_fixed_size 0
		.amdhsa_kernarg_size 320
		.amdhsa_user_sgpr_count 6
		.amdhsa_user_sgpr_private_segment_buffer 1
		.amdhsa_user_sgpr_dispatch_ptr 0
		.amdhsa_user_sgpr_queue_ptr 0
		.amdhsa_user_sgpr_kernarg_segment_ptr 1
		.amdhsa_user_sgpr_dispatch_id 0
		.amdhsa_user_sgpr_flat_scratch_init 0
		.amdhsa_user_sgpr_kernarg_preload_length 0
		.amdhsa_user_sgpr_kernarg_preload_offset 0
		.amdhsa_user_sgpr_private_segment_size 0
		.amdhsa_uses_dynamic_stack 0
		.amdhsa_system_sgpr_private_segment_wavefront_offset 0
		.amdhsa_system_sgpr_workgroup_id_x 1
		.amdhsa_system_sgpr_workgroup_id_y 1
		.amdhsa_system_sgpr_workgroup_id_z 1
		.amdhsa_system_sgpr_workgroup_info 0
		.amdhsa_system_vgpr_workitem_id 2
		.amdhsa_next_free_vgpr 39
		.amdhsa_next_free_sgpr 21
		.amdhsa_accum_offset 40
		.amdhsa_reserve_vcc 1
		.amdhsa_reserve_flat_scratch 0
		.amdhsa_float_round_mode_32 0
		.amdhsa_float_round_mode_16_64 0
		.amdhsa_float_denorm_mode_32 3
		.amdhsa_float_denorm_mode_16_64 3
		.amdhsa_dx10_clamp 1
		.amdhsa_ieee_mode 1
		.amdhsa_fp16_overflow 0
		.amdhsa_tg_split 0
		.amdhsa_exception_fp_ieee_invalid_op 0
		.amdhsa_exception_fp_denorm_src 0
		.amdhsa_exception_fp_ieee_div_zero 0
		.amdhsa_exception_fp_ieee_overflow 0
		.amdhsa_exception_fp_ieee_underflow 0
		.amdhsa_exception_fp_ieee_inexact 0
		.amdhsa_exception_int_div_zero 0
	.end_amdhsa_kernel
	.section	.text._ZN7rocprim17ROCPRIM_400000_NS6detail17trampoline_kernelINS0_14default_configENS1_37merge_sort_block_sort_config_selectorIxNS0_10empty_typeEEEZNS1_21merge_sort_block_sortIS3_N6thrust23THRUST_200600_302600_NS6detail15normal_iteratorINS9_10device_ptrIxEEEESE_PS5_SF_14custom_greaterIxEEE10hipError_tT0_T1_T2_T3_mRjT4_P12ihipStream_tbNS1_7vsmem_tEEUlT_E_NS1_11comp_targetILNS1_3genE4ELNS1_11target_archE910ELNS1_3gpuE8ELNS1_3repE0EEENS1_30default_config_static_selectorELNS0_4arch9wavefront6targetE1EEEvSK_,"axG",@progbits,_ZN7rocprim17ROCPRIM_400000_NS6detail17trampoline_kernelINS0_14default_configENS1_37merge_sort_block_sort_config_selectorIxNS0_10empty_typeEEEZNS1_21merge_sort_block_sortIS3_N6thrust23THRUST_200600_302600_NS6detail15normal_iteratorINS9_10device_ptrIxEEEESE_PS5_SF_14custom_greaterIxEEE10hipError_tT0_T1_T2_T3_mRjT4_P12ihipStream_tbNS1_7vsmem_tEEUlT_E_NS1_11comp_targetILNS1_3genE4ELNS1_11target_archE910ELNS1_3gpuE8ELNS1_3repE0EEENS1_30default_config_static_selectorELNS0_4arch9wavefront6targetE1EEEvSK_,comdat
.Lfunc_end3381:
	.size	_ZN7rocprim17ROCPRIM_400000_NS6detail17trampoline_kernelINS0_14default_configENS1_37merge_sort_block_sort_config_selectorIxNS0_10empty_typeEEEZNS1_21merge_sort_block_sortIS3_N6thrust23THRUST_200600_302600_NS6detail15normal_iteratorINS9_10device_ptrIxEEEESE_PS5_SF_14custom_greaterIxEEE10hipError_tT0_T1_T2_T3_mRjT4_P12ihipStream_tbNS1_7vsmem_tEEUlT_E_NS1_11comp_targetILNS1_3genE4ELNS1_11target_archE910ELNS1_3gpuE8ELNS1_3repE0EEENS1_30default_config_static_selectorELNS0_4arch9wavefront6targetE1EEEvSK_, .Lfunc_end3381-_ZN7rocprim17ROCPRIM_400000_NS6detail17trampoline_kernelINS0_14default_configENS1_37merge_sort_block_sort_config_selectorIxNS0_10empty_typeEEEZNS1_21merge_sort_block_sortIS3_N6thrust23THRUST_200600_302600_NS6detail15normal_iteratorINS9_10device_ptrIxEEEESE_PS5_SF_14custom_greaterIxEEE10hipError_tT0_T1_T2_T3_mRjT4_P12ihipStream_tbNS1_7vsmem_tEEUlT_E_NS1_11comp_targetILNS1_3genE4ELNS1_11target_archE910ELNS1_3gpuE8ELNS1_3repE0EEENS1_30default_config_static_selectorELNS0_4arch9wavefront6targetE1EEEvSK_
                                        ; -- End function
	.section	.AMDGPU.csdata,"",@progbits
; Kernel info:
; codeLenInByte = 11560
; NumSgprs: 25
; NumVgprs: 39
; NumAgprs: 0
; TotalNumVgprs: 39
; ScratchSize: 0
; MemoryBound: 0
; FloatMode: 240
; IeeeMode: 1
; LDSByteSize: 8448 bytes/workgroup (compile time only)
; SGPRBlocks: 3
; VGPRBlocks: 4
; NumSGPRsForWavesPerEU: 25
; NumVGPRsForWavesPerEU: 39
; AccumOffset: 40
; Occupancy: 7
; WaveLimiterHint : 1
; COMPUTE_PGM_RSRC2:SCRATCH_EN: 0
; COMPUTE_PGM_RSRC2:USER_SGPR: 6
; COMPUTE_PGM_RSRC2:TRAP_HANDLER: 0
; COMPUTE_PGM_RSRC2:TGID_X_EN: 1
; COMPUTE_PGM_RSRC2:TGID_Y_EN: 1
; COMPUTE_PGM_RSRC2:TGID_Z_EN: 1
; COMPUTE_PGM_RSRC2:TIDIG_COMP_CNT: 2
; COMPUTE_PGM_RSRC3_GFX90A:ACCUM_OFFSET: 9
; COMPUTE_PGM_RSRC3_GFX90A:TG_SPLIT: 0
	.section	.text._ZN7rocprim17ROCPRIM_400000_NS6detail17trampoline_kernelINS0_14default_configENS1_37merge_sort_block_sort_config_selectorIxNS0_10empty_typeEEEZNS1_21merge_sort_block_sortIS3_N6thrust23THRUST_200600_302600_NS6detail15normal_iteratorINS9_10device_ptrIxEEEESE_PS5_SF_14custom_greaterIxEEE10hipError_tT0_T1_T2_T3_mRjT4_P12ihipStream_tbNS1_7vsmem_tEEUlT_E_NS1_11comp_targetILNS1_3genE3ELNS1_11target_archE908ELNS1_3gpuE7ELNS1_3repE0EEENS1_30default_config_static_selectorELNS0_4arch9wavefront6targetE1EEEvSK_,"axG",@progbits,_ZN7rocprim17ROCPRIM_400000_NS6detail17trampoline_kernelINS0_14default_configENS1_37merge_sort_block_sort_config_selectorIxNS0_10empty_typeEEEZNS1_21merge_sort_block_sortIS3_N6thrust23THRUST_200600_302600_NS6detail15normal_iteratorINS9_10device_ptrIxEEEESE_PS5_SF_14custom_greaterIxEEE10hipError_tT0_T1_T2_T3_mRjT4_P12ihipStream_tbNS1_7vsmem_tEEUlT_E_NS1_11comp_targetILNS1_3genE3ELNS1_11target_archE908ELNS1_3gpuE7ELNS1_3repE0EEENS1_30default_config_static_selectorELNS0_4arch9wavefront6targetE1EEEvSK_,comdat
	.protected	_ZN7rocprim17ROCPRIM_400000_NS6detail17trampoline_kernelINS0_14default_configENS1_37merge_sort_block_sort_config_selectorIxNS0_10empty_typeEEEZNS1_21merge_sort_block_sortIS3_N6thrust23THRUST_200600_302600_NS6detail15normal_iteratorINS9_10device_ptrIxEEEESE_PS5_SF_14custom_greaterIxEEE10hipError_tT0_T1_T2_T3_mRjT4_P12ihipStream_tbNS1_7vsmem_tEEUlT_E_NS1_11comp_targetILNS1_3genE3ELNS1_11target_archE908ELNS1_3gpuE7ELNS1_3repE0EEENS1_30default_config_static_selectorELNS0_4arch9wavefront6targetE1EEEvSK_ ; -- Begin function _ZN7rocprim17ROCPRIM_400000_NS6detail17trampoline_kernelINS0_14default_configENS1_37merge_sort_block_sort_config_selectorIxNS0_10empty_typeEEEZNS1_21merge_sort_block_sortIS3_N6thrust23THRUST_200600_302600_NS6detail15normal_iteratorINS9_10device_ptrIxEEEESE_PS5_SF_14custom_greaterIxEEE10hipError_tT0_T1_T2_T3_mRjT4_P12ihipStream_tbNS1_7vsmem_tEEUlT_E_NS1_11comp_targetILNS1_3genE3ELNS1_11target_archE908ELNS1_3gpuE7ELNS1_3repE0EEENS1_30default_config_static_selectorELNS0_4arch9wavefront6targetE1EEEvSK_
	.globl	_ZN7rocprim17ROCPRIM_400000_NS6detail17trampoline_kernelINS0_14default_configENS1_37merge_sort_block_sort_config_selectorIxNS0_10empty_typeEEEZNS1_21merge_sort_block_sortIS3_N6thrust23THRUST_200600_302600_NS6detail15normal_iteratorINS9_10device_ptrIxEEEESE_PS5_SF_14custom_greaterIxEEE10hipError_tT0_T1_T2_T3_mRjT4_P12ihipStream_tbNS1_7vsmem_tEEUlT_E_NS1_11comp_targetILNS1_3genE3ELNS1_11target_archE908ELNS1_3gpuE7ELNS1_3repE0EEENS1_30default_config_static_selectorELNS0_4arch9wavefront6targetE1EEEvSK_
	.p2align	8
	.type	_ZN7rocprim17ROCPRIM_400000_NS6detail17trampoline_kernelINS0_14default_configENS1_37merge_sort_block_sort_config_selectorIxNS0_10empty_typeEEEZNS1_21merge_sort_block_sortIS3_N6thrust23THRUST_200600_302600_NS6detail15normal_iteratorINS9_10device_ptrIxEEEESE_PS5_SF_14custom_greaterIxEEE10hipError_tT0_T1_T2_T3_mRjT4_P12ihipStream_tbNS1_7vsmem_tEEUlT_E_NS1_11comp_targetILNS1_3genE3ELNS1_11target_archE908ELNS1_3gpuE7ELNS1_3repE0EEENS1_30default_config_static_selectorELNS0_4arch9wavefront6targetE1EEEvSK_,@function
_ZN7rocprim17ROCPRIM_400000_NS6detail17trampoline_kernelINS0_14default_configENS1_37merge_sort_block_sort_config_selectorIxNS0_10empty_typeEEEZNS1_21merge_sort_block_sortIS3_N6thrust23THRUST_200600_302600_NS6detail15normal_iteratorINS9_10device_ptrIxEEEESE_PS5_SF_14custom_greaterIxEEE10hipError_tT0_T1_T2_T3_mRjT4_P12ihipStream_tbNS1_7vsmem_tEEUlT_E_NS1_11comp_targetILNS1_3genE3ELNS1_11target_archE908ELNS1_3gpuE7ELNS1_3repE0EEENS1_30default_config_static_selectorELNS0_4arch9wavefront6targetE1EEEvSK_: ; @_ZN7rocprim17ROCPRIM_400000_NS6detail17trampoline_kernelINS0_14default_configENS1_37merge_sort_block_sort_config_selectorIxNS0_10empty_typeEEEZNS1_21merge_sort_block_sortIS3_N6thrust23THRUST_200600_302600_NS6detail15normal_iteratorINS9_10device_ptrIxEEEESE_PS5_SF_14custom_greaterIxEEE10hipError_tT0_T1_T2_T3_mRjT4_P12ihipStream_tbNS1_7vsmem_tEEUlT_E_NS1_11comp_targetILNS1_3genE3ELNS1_11target_archE908ELNS1_3gpuE7ELNS1_3repE0EEENS1_30default_config_static_selectorELNS0_4arch9wavefront6targetE1EEEvSK_
; %bb.0:
	.section	.rodata,"a",@progbits
	.p2align	6, 0x0
	.amdhsa_kernel _ZN7rocprim17ROCPRIM_400000_NS6detail17trampoline_kernelINS0_14default_configENS1_37merge_sort_block_sort_config_selectorIxNS0_10empty_typeEEEZNS1_21merge_sort_block_sortIS3_N6thrust23THRUST_200600_302600_NS6detail15normal_iteratorINS9_10device_ptrIxEEEESE_PS5_SF_14custom_greaterIxEEE10hipError_tT0_T1_T2_T3_mRjT4_P12ihipStream_tbNS1_7vsmem_tEEUlT_E_NS1_11comp_targetILNS1_3genE3ELNS1_11target_archE908ELNS1_3gpuE7ELNS1_3repE0EEENS1_30default_config_static_selectorELNS0_4arch9wavefront6targetE1EEEvSK_
		.amdhsa_group_segment_fixed_size 0
		.amdhsa_private_segment_fixed_size 0
		.amdhsa_kernarg_size 64
		.amdhsa_user_sgpr_count 6
		.amdhsa_user_sgpr_private_segment_buffer 1
		.amdhsa_user_sgpr_dispatch_ptr 0
		.amdhsa_user_sgpr_queue_ptr 0
		.amdhsa_user_sgpr_kernarg_segment_ptr 1
		.amdhsa_user_sgpr_dispatch_id 0
		.amdhsa_user_sgpr_flat_scratch_init 0
		.amdhsa_user_sgpr_kernarg_preload_length 0
		.amdhsa_user_sgpr_kernarg_preload_offset 0
		.amdhsa_user_sgpr_private_segment_size 0
		.amdhsa_uses_dynamic_stack 0
		.amdhsa_system_sgpr_private_segment_wavefront_offset 0
		.amdhsa_system_sgpr_workgroup_id_x 1
		.amdhsa_system_sgpr_workgroup_id_y 0
		.amdhsa_system_sgpr_workgroup_id_z 0
		.amdhsa_system_sgpr_workgroup_info 0
		.amdhsa_system_vgpr_workitem_id 0
		.amdhsa_next_free_vgpr 1
		.amdhsa_next_free_sgpr 0
		.amdhsa_accum_offset 4
		.amdhsa_reserve_vcc 0
		.amdhsa_reserve_flat_scratch 0
		.amdhsa_float_round_mode_32 0
		.amdhsa_float_round_mode_16_64 0
		.amdhsa_float_denorm_mode_32 3
		.amdhsa_float_denorm_mode_16_64 3
		.amdhsa_dx10_clamp 1
		.amdhsa_ieee_mode 1
		.amdhsa_fp16_overflow 0
		.amdhsa_tg_split 0
		.amdhsa_exception_fp_ieee_invalid_op 0
		.amdhsa_exception_fp_denorm_src 0
		.amdhsa_exception_fp_ieee_div_zero 0
		.amdhsa_exception_fp_ieee_overflow 0
		.amdhsa_exception_fp_ieee_underflow 0
		.amdhsa_exception_fp_ieee_inexact 0
		.amdhsa_exception_int_div_zero 0
	.end_amdhsa_kernel
	.section	.text._ZN7rocprim17ROCPRIM_400000_NS6detail17trampoline_kernelINS0_14default_configENS1_37merge_sort_block_sort_config_selectorIxNS0_10empty_typeEEEZNS1_21merge_sort_block_sortIS3_N6thrust23THRUST_200600_302600_NS6detail15normal_iteratorINS9_10device_ptrIxEEEESE_PS5_SF_14custom_greaterIxEEE10hipError_tT0_T1_T2_T3_mRjT4_P12ihipStream_tbNS1_7vsmem_tEEUlT_E_NS1_11comp_targetILNS1_3genE3ELNS1_11target_archE908ELNS1_3gpuE7ELNS1_3repE0EEENS1_30default_config_static_selectorELNS0_4arch9wavefront6targetE1EEEvSK_,"axG",@progbits,_ZN7rocprim17ROCPRIM_400000_NS6detail17trampoline_kernelINS0_14default_configENS1_37merge_sort_block_sort_config_selectorIxNS0_10empty_typeEEEZNS1_21merge_sort_block_sortIS3_N6thrust23THRUST_200600_302600_NS6detail15normal_iteratorINS9_10device_ptrIxEEEESE_PS5_SF_14custom_greaterIxEEE10hipError_tT0_T1_T2_T3_mRjT4_P12ihipStream_tbNS1_7vsmem_tEEUlT_E_NS1_11comp_targetILNS1_3genE3ELNS1_11target_archE908ELNS1_3gpuE7ELNS1_3repE0EEENS1_30default_config_static_selectorELNS0_4arch9wavefront6targetE1EEEvSK_,comdat
.Lfunc_end3382:
	.size	_ZN7rocprim17ROCPRIM_400000_NS6detail17trampoline_kernelINS0_14default_configENS1_37merge_sort_block_sort_config_selectorIxNS0_10empty_typeEEEZNS1_21merge_sort_block_sortIS3_N6thrust23THRUST_200600_302600_NS6detail15normal_iteratorINS9_10device_ptrIxEEEESE_PS5_SF_14custom_greaterIxEEE10hipError_tT0_T1_T2_T3_mRjT4_P12ihipStream_tbNS1_7vsmem_tEEUlT_E_NS1_11comp_targetILNS1_3genE3ELNS1_11target_archE908ELNS1_3gpuE7ELNS1_3repE0EEENS1_30default_config_static_selectorELNS0_4arch9wavefront6targetE1EEEvSK_, .Lfunc_end3382-_ZN7rocprim17ROCPRIM_400000_NS6detail17trampoline_kernelINS0_14default_configENS1_37merge_sort_block_sort_config_selectorIxNS0_10empty_typeEEEZNS1_21merge_sort_block_sortIS3_N6thrust23THRUST_200600_302600_NS6detail15normal_iteratorINS9_10device_ptrIxEEEESE_PS5_SF_14custom_greaterIxEEE10hipError_tT0_T1_T2_T3_mRjT4_P12ihipStream_tbNS1_7vsmem_tEEUlT_E_NS1_11comp_targetILNS1_3genE3ELNS1_11target_archE908ELNS1_3gpuE7ELNS1_3repE0EEENS1_30default_config_static_selectorELNS0_4arch9wavefront6targetE1EEEvSK_
                                        ; -- End function
	.section	.AMDGPU.csdata,"",@progbits
; Kernel info:
; codeLenInByte = 0
; NumSgprs: 4
; NumVgprs: 0
; NumAgprs: 0
; TotalNumVgprs: 0
; ScratchSize: 0
; MemoryBound: 0
; FloatMode: 240
; IeeeMode: 1
; LDSByteSize: 0 bytes/workgroup (compile time only)
; SGPRBlocks: 0
; VGPRBlocks: 0
; NumSGPRsForWavesPerEU: 4
; NumVGPRsForWavesPerEU: 1
; AccumOffset: 4
; Occupancy: 8
; WaveLimiterHint : 0
; COMPUTE_PGM_RSRC2:SCRATCH_EN: 0
; COMPUTE_PGM_RSRC2:USER_SGPR: 6
; COMPUTE_PGM_RSRC2:TRAP_HANDLER: 0
; COMPUTE_PGM_RSRC2:TGID_X_EN: 1
; COMPUTE_PGM_RSRC2:TGID_Y_EN: 0
; COMPUTE_PGM_RSRC2:TGID_Z_EN: 0
; COMPUTE_PGM_RSRC2:TIDIG_COMP_CNT: 0
; COMPUTE_PGM_RSRC3_GFX90A:ACCUM_OFFSET: 0
; COMPUTE_PGM_RSRC3_GFX90A:TG_SPLIT: 0
	.section	.text._ZN7rocprim17ROCPRIM_400000_NS6detail17trampoline_kernelINS0_14default_configENS1_37merge_sort_block_sort_config_selectorIxNS0_10empty_typeEEEZNS1_21merge_sort_block_sortIS3_N6thrust23THRUST_200600_302600_NS6detail15normal_iteratorINS9_10device_ptrIxEEEESE_PS5_SF_14custom_greaterIxEEE10hipError_tT0_T1_T2_T3_mRjT4_P12ihipStream_tbNS1_7vsmem_tEEUlT_E_NS1_11comp_targetILNS1_3genE2ELNS1_11target_archE906ELNS1_3gpuE6ELNS1_3repE0EEENS1_30default_config_static_selectorELNS0_4arch9wavefront6targetE1EEEvSK_,"axG",@progbits,_ZN7rocprim17ROCPRIM_400000_NS6detail17trampoline_kernelINS0_14default_configENS1_37merge_sort_block_sort_config_selectorIxNS0_10empty_typeEEEZNS1_21merge_sort_block_sortIS3_N6thrust23THRUST_200600_302600_NS6detail15normal_iteratorINS9_10device_ptrIxEEEESE_PS5_SF_14custom_greaterIxEEE10hipError_tT0_T1_T2_T3_mRjT4_P12ihipStream_tbNS1_7vsmem_tEEUlT_E_NS1_11comp_targetILNS1_3genE2ELNS1_11target_archE906ELNS1_3gpuE6ELNS1_3repE0EEENS1_30default_config_static_selectorELNS0_4arch9wavefront6targetE1EEEvSK_,comdat
	.protected	_ZN7rocprim17ROCPRIM_400000_NS6detail17trampoline_kernelINS0_14default_configENS1_37merge_sort_block_sort_config_selectorIxNS0_10empty_typeEEEZNS1_21merge_sort_block_sortIS3_N6thrust23THRUST_200600_302600_NS6detail15normal_iteratorINS9_10device_ptrIxEEEESE_PS5_SF_14custom_greaterIxEEE10hipError_tT0_T1_T2_T3_mRjT4_P12ihipStream_tbNS1_7vsmem_tEEUlT_E_NS1_11comp_targetILNS1_3genE2ELNS1_11target_archE906ELNS1_3gpuE6ELNS1_3repE0EEENS1_30default_config_static_selectorELNS0_4arch9wavefront6targetE1EEEvSK_ ; -- Begin function _ZN7rocprim17ROCPRIM_400000_NS6detail17trampoline_kernelINS0_14default_configENS1_37merge_sort_block_sort_config_selectorIxNS0_10empty_typeEEEZNS1_21merge_sort_block_sortIS3_N6thrust23THRUST_200600_302600_NS6detail15normal_iteratorINS9_10device_ptrIxEEEESE_PS5_SF_14custom_greaterIxEEE10hipError_tT0_T1_T2_T3_mRjT4_P12ihipStream_tbNS1_7vsmem_tEEUlT_E_NS1_11comp_targetILNS1_3genE2ELNS1_11target_archE906ELNS1_3gpuE6ELNS1_3repE0EEENS1_30default_config_static_selectorELNS0_4arch9wavefront6targetE1EEEvSK_
	.globl	_ZN7rocprim17ROCPRIM_400000_NS6detail17trampoline_kernelINS0_14default_configENS1_37merge_sort_block_sort_config_selectorIxNS0_10empty_typeEEEZNS1_21merge_sort_block_sortIS3_N6thrust23THRUST_200600_302600_NS6detail15normal_iteratorINS9_10device_ptrIxEEEESE_PS5_SF_14custom_greaterIxEEE10hipError_tT0_T1_T2_T3_mRjT4_P12ihipStream_tbNS1_7vsmem_tEEUlT_E_NS1_11comp_targetILNS1_3genE2ELNS1_11target_archE906ELNS1_3gpuE6ELNS1_3repE0EEENS1_30default_config_static_selectorELNS0_4arch9wavefront6targetE1EEEvSK_
	.p2align	8
	.type	_ZN7rocprim17ROCPRIM_400000_NS6detail17trampoline_kernelINS0_14default_configENS1_37merge_sort_block_sort_config_selectorIxNS0_10empty_typeEEEZNS1_21merge_sort_block_sortIS3_N6thrust23THRUST_200600_302600_NS6detail15normal_iteratorINS9_10device_ptrIxEEEESE_PS5_SF_14custom_greaterIxEEE10hipError_tT0_T1_T2_T3_mRjT4_P12ihipStream_tbNS1_7vsmem_tEEUlT_E_NS1_11comp_targetILNS1_3genE2ELNS1_11target_archE906ELNS1_3gpuE6ELNS1_3repE0EEENS1_30default_config_static_selectorELNS0_4arch9wavefront6targetE1EEEvSK_,@function
_ZN7rocprim17ROCPRIM_400000_NS6detail17trampoline_kernelINS0_14default_configENS1_37merge_sort_block_sort_config_selectorIxNS0_10empty_typeEEEZNS1_21merge_sort_block_sortIS3_N6thrust23THRUST_200600_302600_NS6detail15normal_iteratorINS9_10device_ptrIxEEEESE_PS5_SF_14custom_greaterIxEEE10hipError_tT0_T1_T2_T3_mRjT4_P12ihipStream_tbNS1_7vsmem_tEEUlT_E_NS1_11comp_targetILNS1_3genE2ELNS1_11target_archE906ELNS1_3gpuE6ELNS1_3repE0EEENS1_30default_config_static_selectorELNS0_4arch9wavefront6targetE1EEEvSK_: ; @_ZN7rocprim17ROCPRIM_400000_NS6detail17trampoline_kernelINS0_14default_configENS1_37merge_sort_block_sort_config_selectorIxNS0_10empty_typeEEEZNS1_21merge_sort_block_sortIS3_N6thrust23THRUST_200600_302600_NS6detail15normal_iteratorINS9_10device_ptrIxEEEESE_PS5_SF_14custom_greaterIxEEE10hipError_tT0_T1_T2_T3_mRjT4_P12ihipStream_tbNS1_7vsmem_tEEUlT_E_NS1_11comp_targetILNS1_3genE2ELNS1_11target_archE906ELNS1_3gpuE6ELNS1_3repE0EEENS1_30default_config_static_selectorELNS0_4arch9wavefront6targetE1EEEvSK_
; %bb.0:
	.section	.rodata,"a",@progbits
	.p2align	6, 0x0
	.amdhsa_kernel _ZN7rocprim17ROCPRIM_400000_NS6detail17trampoline_kernelINS0_14default_configENS1_37merge_sort_block_sort_config_selectorIxNS0_10empty_typeEEEZNS1_21merge_sort_block_sortIS3_N6thrust23THRUST_200600_302600_NS6detail15normal_iteratorINS9_10device_ptrIxEEEESE_PS5_SF_14custom_greaterIxEEE10hipError_tT0_T1_T2_T3_mRjT4_P12ihipStream_tbNS1_7vsmem_tEEUlT_E_NS1_11comp_targetILNS1_3genE2ELNS1_11target_archE906ELNS1_3gpuE6ELNS1_3repE0EEENS1_30default_config_static_selectorELNS0_4arch9wavefront6targetE1EEEvSK_
		.amdhsa_group_segment_fixed_size 0
		.amdhsa_private_segment_fixed_size 0
		.amdhsa_kernarg_size 64
		.amdhsa_user_sgpr_count 6
		.amdhsa_user_sgpr_private_segment_buffer 1
		.amdhsa_user_sgpr_dispatch_ptr 0
		.amdhsa_user_sgpr_queue_ptr 0
		.amdhsa_user_sgpr_kernarg_segment_ptr 1
		.amdhsa_user_sgpr_dispatch_id 0
		.amdhsa_user_sgpr_flat_scratch_init 0
		.amdhsa_user_sgpr_kernarg_preload_length 0
		.amdhsa_user_sgpr_kernarg_preload_offset 0
		.amdhsa_user_sgpr_private_segment_size 0
		.amdhsa_uses_dynamic_stack 0
		.amdhsa_system_sgpr_private_segment_wavefront_offset 0
		.amdhsa_system_sgpr_workgroup_id_x 1
		.amdhsa_system_sgpr_workgroup_id_y 0
		.amdhsa_system_sgpr_workgroup_id_z 0
		.amdhsa_system_sgpr_workgroup_info 0
		.amdhsa_system_vgpr_workitem_id 0
		.amdhsa_next_free_vgpr 1
		.amdhsa_next_free_sgpr 0
		.amdhsa_accum_offset 4
		.amdhsa_reserve_vcc 0
		.amdhsa_reserve_flat_scratch 0
		.amdhsa_float_round_mode_32 0
		.amdhsa_float_round_mode_16_64 0
		.amdhsa_float_denorm_mode_32 3
		.amdhsa_float_denorm_mode_16_64 3
		.amdhsa_dx10_clamp 1
		.amdhsa_ieee_mode 1
		.amdhsa_fp16_overflow 0
		.amdhsa_tg_split 0
		.amdhsa_exception_fp_ieee_invalid_op 0
		.amdhsa_exception_fp_denorm_src 0
		.amdhsa_exception_fp_ieee_div_zero 0
		.amdhsa_exception_fp_ieee_overflow 0
		.amdhsa_exception_fp_ieee_underflow 0
		.amdhsa_exception_fp_ieee_inexact 0
		.amdhsa_exception_int_div_zero 0
	.end_amdhsa_kernel
	.section	.text._ZN7rocprim17ROCPRIM_400000_NS6detail17trampoline_kernelINS0_14default_configENS1_37merge_sort_block_sort_config_selectorIxNS0_10empty_typeEEEZNS1_21merge_sort_block_sortIS3_N6thrust23THRUST_200600_302600_NS6detail15normal_iteratorINS9_10device_ptrIxEEEESE_PS5_SF_14custom_greaterIxEEE10hipError_tT0_T1_T2_T3_mRjT4_P12ihipStream_tbNS1_7vsmem_tEEUlT_E_NS1_11comp_targetILNS1_3genE2ELNS1_11target_archE906ELNS1_3gpuE6ELNS1_3repE0EEENS1_30default_config_static_selectorELNS0_4arch9wavefront6targetE1EEEvSK_,"axG",@progbits,_ZN7rocprim17ROCPRIM_400000_NS6detail17trampoline_kernelINS0_14default_configENS1_37merge_sort_block_sort_config_selectorIxNS0_10empty_typeEEEZNS1_21merge_sort_block_sortIS3_N6thrust23THRUST_200600_302600_NS6detail15normal_iteratorINS9_10device_ptrIxEEEESE_PS5_SF_14custom_greaterIxEEE10hipError_tT0_T1_T2_T3_mRjT4_P12ihipStream_tbNS1_7vsmem_tEEUlT_E_NS1_11comp_targetILNS1_3genE2ELNS1_11target_archE906ELNS1_3gpuE6ELNS1_3repE0EEENS1_30default_config_static_selectorELNS0_4arch9wavefront6targetE1EEEvSK_,comdat
.Lfunc_end3383:
	.size	_ZN7rocprim17ROCPRIM_400000_NS6detail17trampoline_kernelINS0_14default_configENS1_37merge_sort_block_sort_config_selectorIxNS0_10empty_typeEEEZNS1_21merge_sort_block_sortIS3_N6thrust23THRUST_200600_302600_NS6detail15normal_iteratorINS9_10device_ptrIxEEEESE_PS5_SF_14custom_greaterIxEEE10hipError_tT0_T1_T2_T3_mRjT4_P12ihipStream_tbNS1_7vsmem_tEEUlT_E_NS1_11comp_targetILNS1_3genE2ELNS1_11target_archE906ELNS1_3gpuE6ELNS1_3repE0EEENS1_30default_config_static_selectorELNS0_4arch9wavefront6targetE1EEEvSK_, .Lfunc_end3383-_ZN7rocprim17ROCPRIM_400000_NS6detail17trampoline_kernelINS0_14default_configENS1_37merge_sort_block_sort_config_selectorIxNS0_10empty_typeEEEZNS1_21merge_sort_block_sortIS3_N6thrust23THRUST_200600_302600_NS6detail15normal_iteratorINS9_10device_ptrIxEEEESE_PS5_SF_14custom_greaterIxEEE10hipError_tT0_T1_T2_T3_mRjT4_P12ihipStream_tbNS1_7vsmem_tEEUlT_E_NS1_11comp_targetILNS1_3genE2ELNS1_11target_archE906ELNS1_3gpuE6ELNS1_3repE0EEENS1_30default_config_static_selectorELNS0_4arch9wavefront6targetE1EEEvSK_
                                        ; -- End function
	.section	.AMDGPU.csdata,"",@progbits
; Kernel info:
; codeLenInByte = 0
; NumSgprs: 4
; NumVgprs: 0
; NumAgprs: 0
; TotalNumVgprs: 0
; ScratchSize: 0
; MemoryBound: 0
; FloatMode: 240
; IeeeMode: 1
; LDSByteSize: 0 bytes/workgroup (compile time only)
; SGPRBlocks: 0
; VGPRBlocks: 0
; NumSGPRsForWavesPerEU: 4
; NumVGPRsForWavesPerEU: 1
; AccumOffset: 4
; Occupancy: 8
; WaveLimiterHint : 0
; COMPUTE_PGM_RSRC2:SCRATCH_EN: 0
; COMPUTE_PGM_RSRC2:USER_SGPR: 6
; COMPUTE_PGM_RSRC2:TRAP_HANDLER: 0
; COMPUTE_PGM_RSRC2:TGID_X_EN: 1
; COMPUTE_PGM_RSRC2:TGID_Y_EN: 0
; COMPUTE_PGM_RSRC2:TGID_Z_EN: 0
; COMPUTE_PGM_RSRC2:TIDIG_COMP_CNT: 0
; COMPUTE_PGM_RSRC3_GFX90A:ACCUM_OFFSET: 0
; COMPUTE_PGM_RSRC3_GFX90A:TG_SPLIT: 0
	.section	.text._ZN7rocprim17ROCPRIM_400000_NS6detail17trampoline_kernelINS0_14default_configENS1_37merge_sort_block_sort_config_selectorIxNS0_10empty_typeEEEZNS1_21merge_sort_block_sortIS3_N6thrust23THRUST_200600_302600_NS6detail15normal_iteratorINS9_10device_ptrIxEEEESE_PS5_SF_14custom_greaterIxEEE10hipError_tT0_T1_T2_T3_mRjT4_P12ihipStream_tbNS1_7vsmem_tEEUlT_E_NS1_11comp_targetILNS1_3genE10ELNS1_11target_archE1201ELNS1_3gpuE5ELNS1_3repE0EEENS1_30default_config_static_selectorELNS0_4arch9wavefront6targetE1EEEvSK_,"axG",@progbits,_ZN7rocprim17ROCPRIM_400000_NS6detail17trampoline_kernelINS0_14default_configENS1_37merge_sort_block_sort_config_selectorIxNS0_10empty_typeEEEZNS1_21merge_sort_block_sortIS3_N6thrust23THRUST_200600_302600_NS6detail15normal_iteratorINS9_10device_ptrIxEEEESE_PS5_SF_14custom_greaterIxEEE10hipError_tT0_T1_T2_T3_mRjT4_P12ihipStream_tbNS1_7vsmem_tEEUlT_E_NS1_11comp_targetILNS1_3genE10ELNS1_11target_archE1201ELNS1_3gpuE5ELNS1_3repE0EEENS1_30default_config_static_selectorELNS0_4arch9wavefront6targetE1EEEvSK_,comdat
	.protected	_ZN7rocprim17ROCPRIM_400000_NS6detail17trampoline_kernelINS0_14default_configENS1_37merge_sort_block_sort_config_selectorIxNS0_10empty_typeEEEZNS1_21merge_sort_block_sortIS3_N6thrust23THRUST_200600_302600_NS6detail15normal_iteratorINS9_10device_ptrIxEEEESE_PS5_SF_14custom_greaterIxEEE10hipError_tT0_T1_T2_T3_mRjT4_P12ihipStream_tbNS1_7vsmem_tEEUlT_E_NS1_11comp_targetILNS1_3genE10ELNS1_11target_archE1201ELNS1_3gpuE5ELNS1_3repE0EEENS1_30default_config_static_selectorELNS0_4arch9wavefront6targetE1EEEvSK_ ; -- Begin function _ZN7rocprim17ROCPRIM_400000_NS6detail17trampoline_kernelINS0_14default_configENS1_37merge_sort_block_sort_config_selectorIxNS0_10empty_typeEEEZNS1_21merge_sort_block_sortIS3_N6thrust23THRUST_200600_302600_NS6detail15normal_iteratorINS9_10device_ptrIxEEEESE_PS5_SF_14custom_greaterIxEEE10hipError_tT0_T1_T2_T3_mRjT4_P12ihipStream_tbNS1_7vsmem_tEEUlT_E_NS1_11comp_targetILNS1_3genE10ELNS1_11target_archE1201ELNS1_3gpuE5ELNS1_3repE0EEENS1_30default_config_static_selectorELNS0_4arch9wavefront6targetE1EEEvSK_
	.globl	_ZN7rocprim17ROCPRIM_400000_NS6detail17trampoline_kernelINS0_14default_configENS1_37merge_sort_block_sort_config_selectorIxNS0_10empty_typeEEEZNS1_21merge_sort_block_sortIS3_N6thrust23THRUST_200600_302600_NS6detail15normal_iteratorINS9_10device_ptrIxEEEESE_PS5_SF_14custom_greaterIxEEE10hipError_tT0_T1_T2_T3_mRjT4_P12ihipStream_tbNS1_7vsmem_tEEUlT_E_NS1_11comp_targetILNS1_3genE10ELNS1_11target_archE1201ELNS1_3gpuE5ELNS1_3repE0EEENS1_30default_config_static_selectorELNS0_4arch9wavefront6targetE1EEEvSK_
	.p2align	8
	.type	_ZN7rocprim17ROCPRIM_400000_NS6detail17trampoline_kernelINS0_14default_configENS1_37merge_sort_block_sort_config_selectorIxNS0_10empty_typeEEEZNS1_21merge_sort_block_sortIS3_N6thrust23THRUST_200600_302600_NS6detail15normal_iteratorINS9_10device_ptrIxEEEESE_PS5_SF_14custom_greaterIxEEE10hipError_tT0_T1_T2_T3_mRjT4_P12ihipStream_tbNS1_7vsmem_tEEUlT_E_NS1_11comp_targetILNS1_3genE10ELNS1_11target_archE1201ELNS1_3gpuE5ELNS1_3repE0EEENS1_30default_config_static_selectorELNS0_4arch9wavefront6targetE1EEEvSK_,@function
_ZN7rocprim17ROCPRIM_400000_NS6detail17trampoline_kernelINS0_14default_configENS1_37merge_sort_block_sort_config_selectorIxNS0_10empty_typeEEEZNS1_21merge_sort_block_sortIS3_N6thrust23THRUST_200600_302600_NS6detail15normal_iteratorINS9_10device_ptrIxEEEESE_PS5_SF_14custom_greaterIxEEE10hipError_tT0_T1_T2_T3_mRjT4_P12ihipStream_tbNS1_7vsmem_tEEUlT_E_NS1_11comp_targetILNS1_3genE10ELNS1_11target_archE1201ELNS1_3gpuE5ELNS1_3repE0EEENS1_30default_config_static_selectorELNS0_4arch9wavefront6targetE1EEEvSK_: ; @_ZN7rocprim17ROCPRIM_400000_NS6detail17trampoline_kernelINS0_14default_configENS1_37merge_sort_block_sort_config_selectorIxNS0_10empty_typeEEEZNS1_21merge_sort_block_sortIS3_N6thrust23THRUST_200600_302600_NS6detail15normal_iteratorINS9_10device_ptrIxEEEESE_PS5_SF_14custom_greaterIxEEE10hipError_tT0_T1_T2_T3_mRjT4_P12ihipStream_tbNS1_7vsmem_tEEUlT_E_NS1_11comp_targetILNS1_3genE10ELNS1_11target_archE1201ELNS1_3gpuE5ELNS1_3repE0EEENS1_30default_config_static_selectorELNS0_4arch9wavefront6targetE1EEEvSK_
; %bb.0:
	.section	.rodata,"a",@progbits
	.p2align	6, 0x0
	.amdhsa_kernel _ZN7rocprim17ROCPRIM_400000_NS6detail17trampoline_kernelINS0_14default_configENS1_37merge_sort_block_sort_config_selectorIxNS0_10empty_typeEEEZNS1_21merge_sort_block_sortIS3_N6thrust23THRUST_200600_302600_NS6detail15normal_iteratorINS9_10device_ptrIxEEEESE_PS5_SF_14custom_greaterIxEEE10hipError_tT0_T1_T2_T3_mRjT4_P12ihipStream_tbNS1_7vsmem_tEEUlT_E_NS1_11comp_targetILNS1_3genE10ELNS1_11target_archE1201ELNS1_3gpuE5ELNS1_3repE0EEENS1_30default_config_static_selectorELNS0_4arch9wavefront6targetE1EEEvSK_
		.amdhsa_group_segment_fixed_size 0
		.amdhsa_private_segment_fixed_size 0
		.amdhsa_kernarg_size 64
		.amdhsa_user_sgpr_count 6
		.amdhsa_user_sgpr_private_segment_buffer 1
		.amdhsa_user_sgpr_dispatch_ptr 0
		.amdhsa_user_sgpr_queue_ptr 0
		.amdhsa_user_sgpr_kernarg_segment_ptr 1
		.amdhsa_user_sgpr_dispatch_id 0
		.amdhsa_user_sgpr_flat_scratch_init 0
		.amdhsa_user_sgpr_kernarg_preload_length 0
		.amdhsa_user_sgpr_kernarg_preload_offset 0
		.amdhsa_user_sgpr_private_segment_size 0
		.amdhsa_uses_dynamic_stack 0
		.amdhsa_system_sgpr_private_segment_wavefront_offset 0
		.amdhsa_system_sgpr_workgroup_id_x 1
		.amdhsa_system_sgpr_workgroup_id_y 0
		.amdhsa_system_sgpr_workgroup_id_z 0
		.amdhsa_system_sgpr_workgroup_info 0
		.amdhsa_system_vgpr_workitem_id 0
		.amdhsa_next_free_vgpr 1
		.amdhsa_next_free_sgpr 0
		.amdhsa_accum_offset 4
		.amdhsa_reserve_vcc 0
		.amdhsa_reserve_flat_scratch 0
		.amdhsa_float_round_mode_32 0
		.amdhsa_float_round_mode_16_64 0
		.amdhsa_float_denorm_mode_32 3
		.amdhsa_float_denorm_mode_16_64 3
		.amdhsa_dx10_clamp 1
		.amdhsa_ieee_mode 1
		.amdhsa_fp16_overflow 0
		.amdhsa_tg_split 0
		.amdhsa_exception_fp_ieee_invalid_op 0
		.amdhsa_exception_fp_denorm_src 0
		.amdhsa_exception_fp_ieee_div_zero 0
		.amdhsa_exception_fp_ieee_overflow 0
		.amdhsa_exception_fp_ieee_underflow 0
		.amdhsa_exception_fp_ieee_inexact 0
		.amdhsa_exception_int_div_zero 0
	.end_amdhsa_kernel
	.section	.text._ZN7rocprim17ROCPRIM_400000_NS6detail17trampoline_kernelINS0_14default_configENS1_37merge_sort_block_sort_config_selectorIxNS0_10empty_typeEEEZNS1_21merge_sort_block_sortIS3_N6thrust23THRUST_200600_302600_NS6detail15normal_iteratorINS9_10device_ptrIxEEEESE_PS5_SF_14custom_greaterIxEEE10hipError_tT0_T1_T2_T3_mRjT4_P12ihipStream_tbNS1_7vsmem_tEEUlT_E_NS1_11comp_targetILNS1_3genE10ELNS1_11target_archE1201ELNS1_3gpuE5ELNS1_3repE0EEENS1_30default_config_static_selectorELNS0_4arch9wavefront6targetE1EEEvSK_,"axG",@progbits,_ZN7rocprim17ROCPRIM_400000_NS6detail17trampoline_kernelINS0_14default_configENS1_37merge_sort_block_sort_config_selectorIxNS0_10empty_typeEEEZNS1_21merge_sort_block_sortIS3_N6thrust23THRUST_200600_302600_NS6detail15normal_iteratorINS9_10device_ptrIxEEEESE_PS5_SF_14custom_greaterIxEEE10hipError_tT0_T1_T2_T3_mRjT4_P12ihipStream_tbNS1_7vsmem_tEEUlT_E_NS1_11comp_targetILNS1_3genE10ELNS1_11target_archE1201ELNS1_3gpuE5ELNS1_3repE0EEENS1_30default_config_static_selectorELNS0_4arch9wavefront6targetE1EEEvSK_,comdat
.Lfunc_end3384:
	.size	_ZN7rocprim17ROCPRIM_400000_NS6detail17trampoline_kernelINS0_14default_configENS1_37merge_sort_block_sort_config_selectorIxNS0_10empty_typeEEEZNS1_21merge_sort_block_sortIS3_N6thrust23THRUST_200600_302600_NS6detail15normal_iteratorINS9_10device_ptrIxEEEESE_PS5_SF_14custom_greaterIxEEE10hipError_tT0_T1_T2_T3_mRjT4_P12ihipStream_tbNS1_7vsmem_tEEUlT_E_NS1_11comp_targetILNS1_3genE10ELNS1_11target_archE1201ELNS1_3gpuE5ELNS1_3repE0EEENS1_30default_config_static_selectorELNS0_4arch9wavefront6targetE1EEEvSK_, .Lfunc_end3384-_ZN7rocprim17ROCPRIM_400000_NS6detail17trampoline_kernelINS0_14default_configENS1_37merge_sort_block_sort_config_selectorIxNS0_10empty_typeEEEZNS1_21merge_sort_block_sortIS3_N6thrust23THRUST_200600_302600_NS6detail15normal_iteratorINS9_10device_ptrIxEEEESE_PS5_SF_14custom_greaterIxEEE10hipError_tT0_T1_T2_T3_mRjT4_P12ihipStream_tbNS1_7vsmem_tEEUlT_E_NS1_11comp_targetILNS1_3genE10ELNS1_11target_archE1201ELNS1_3gpuE5ELNS1_3repE0EEENS1_30default_config_static_selectorELNS0_4arch9wavefront6targetE1EEEvSK_
                                        ; -- End function
	.section	.AMDGPU.csdata,"",@progbits
; Kernel info:
; codeLenInByte = 0
; NumSgprs: 4
; NumVgprs: 0
; NumAgprs: 0
; TotalNumVgprs: 0
; ScratchSize: 0
; MemoryBound: 0
; FloatMode: 240
; IeeeMode: 1
; LDSByteSize: 0 bytes/workgroup (compile time only)
; SGPRBlocks: 0
; VGPRBlocks: 0
; NumSGPRsForWavesPerEU: 4
; NumVGPRsForWavesPerEU: 1
; AccumOffset: 4
; Occupancy: 8
; WaveLimiterHint : 0
; COMPUTE_PGM_RSRC2:SCRATCH_EN: 0
; COMPUTE_PGM_RSRC2:USER_SGPR: 6
; COMPUTE_PGM_RSRC2:TRAP_HANDLER: 0
; COMPUTE_PGM_RSRC2:TGID_X_EN: 1
; COMPUTE_PGM_RSRC2:TGID_Y_EN: 0
; COMPUTE_PGM_RSRC2:TGID_Z_EN: 0
; COMPUTE_PGM_RSRC2:TIDIG_COMP_CNT: 0
; COMPUTE_PGM_RSRC3_GFX90A:ACCUM_OFFSET: 0
; COMPUTE_PGM_RSRC3_GFX90A:TG_SPLIT: 0
	.section	.text._ZN7rocprim17ROCPRIM_400000_NS6detail17trampoline_kernelINS0_14default_configENS1_37merge_sort_block_sort_config_selectorIxNS0_10empty_typeEEEZNS1_21merge_sort_block_sortIS3_N6thrust23THRUST_200600_302600_NS6detail15normal_iteratorINS9_10device_ptrIxEEEESE_PS5_SF_14custom_greaterIxEEE10hipError_tT0_T1_T2_T3_mRjT4_P12ihipStream_tbNS1_7vsmem_tEEUlT_E_NS1_11comp_targetILNS1_3genE10ELNS1_11target_archE1200ELNS1_3gpuE4ELNS1_3repE0EEENS1_30default_config_static_selectorELNS0_4arch9wavefront6targetE1EEEvSK_,"axG",@progbits,_ZN7rocprim17ROCPRIM_400000_NS6detail17trampoline_kernelINS0_14default_configENS1_37merge_sort_block_sort_config_selectorIxNS0_10empty_typeEEEZNS1_21merge_sort_block_sortIS3_N6thrust23THRUST_200600_302600_NS6detail15normal_iteratorINS9_10device_ptrIxEEEESE_PS5_SF_14custom_greaterIxEEE10hipError_tT0_T1_T2_T3_mRjT4_P12ihipStream_tbNS1_7vsmem_tEEUlT_E_NS1_11comp_targetILNS1_3genE10ELNS1_11target_archE1200ELNS1_3gpuE4ELNS1_3repE0EEENS1_30default_config_static_selectorELNS0_4arch9wavefront6targetE1EEEvSK_,comdat
	.protected	_ZN7rocprim17ROCPRIM_400000_NS6detail17trampoline_kernelINS0_14default_configENS1_37merge_sort_block_sort_config_selectorIxNS0_10empty_typeEEEZNS1_21merge_sort_block_sortIS3_N6thrust23THRUST_200600_302600_NS6detail15normal_iteratorINS9_10device_ptrIxEEEESE_PS5_SF_14custom_greaterIxEEE10hipError_tT0_T1_T2_T3_mRjT4_P12ihipStream_tbNS1_7vsmem_tEEUlT_E_NS1_11comp_targetILNS1_3genE10ELNS1_11target_archE1200ELNS1_3gpuE4ELNS1_3repE0EEENS1_30default_config_static_selectorELNS0_4arch9wavefront6targetE1EEEvSK_ ; -- Begin function _ZN7rocprim17ROCPRIM_400000_NS6detail17trampoline_kernelINS0_14default_configENS1_37merge_sort_block_sort_config_selectorIxNS0_10empty_typeEEEZNS1_21merge_sort_block_sortIS3_N6thrust23THRUST_200600_302600_NS6detail15normal_iteratorINS9_10device_ptrIxEEEESE_PS5_SF_14custom_greaterIxEEE10hipError_tT0_T1_T2_T3_mRjT4_P12ihipStream_tbNS1_7vsmem_tEEUlT_E_NS1_11comp_targetILNS1_3genE10ELNS1_11target_archE1200ELNS1_3gpuE4ELNS1_3repE0EEENS1_30default_config_static_selectorELNS0_4arch9wavefront6targetE1EEEvSK_
	.globl	_ZN7rocprim17ROCPRIM_400000_NS6detail17trampoline_kernelINS0_14default_configENS1_37merge_sort_block_sort_config_selectorIxNS0_10empty_typeEEEZNS1_21merge_sort_block_sortIS3_N6thrust23THRUST_200600_302600_NS6detail15normal_iteratorINS9_10device_ptrIxEEEESE_PS5_SF_14custom_greaterIxEEE10hipError_tT0_T1_T2_T3_mRjT4_P12ihipStream_tbNS1_7vsmem_tEEUlT_E_NS1_11comp_targetILNS1_3genE10ELNS1_11target_archE1200ELNS1_3gpuE4ELNS1_3repE0EEENS1_30default_config_static_selectorELNS0_4arch9wavefront6targetE1EEEvSK_
	.p2align	8
	.type	_ZN7rocprim17ROCPRIM_400000_NS6detail17trampoline_kernelINS0_14default_configENS1_37merge_sort_block_sort_config_selectorIxNS0_10empty_typeEEEZNS1_21merge_sort_block_sortIS3_N6thrust23THRUST_200600_302600_NS6detail15normal_iteratorINS9_10device_ptrIxEEEESE_PS5_SF_14custom_greaterIxEEE10hipError_tT0_T1_T2_T3_mRjT4_P12ihipStream_tbNS1_7vsmem_tEEUlT_E_NS1_11comp_targetILNS1_3genE10ELNS1_11target_archE1200ELNS1_3gpuE4ELNS1_3repE0EEENS1_30default_config_static_selectorELNS0_4arch9wavefront6targetE1EEEvSK_,@function
_ZN7rocprim17ROCPRIM_400000_NS6detail17trampoline_kernelINS0_14default_configENS1_37merge_sort_block_sort_config_selectorIxNS0_10empty_typeEEEZNS1_21merge_sort_block_sortIS3_N6thrust23THRUST_200600_302600_NS6detail15normal_iteratorINS9_10device_ptrIxEEEESE_PS5_SF_14custom_greaterIxEEE10hipError_tT0_T1_T2_T3_mRjT4_P12ihipStream_tbNS1_7vsmem_tEEUlT_E_NS1_11comp_targetILNS1_3genE10ELNS1_11target_archE1200ELNS1_3gpuE4ELNS1_3repE0EEENS1_30default_config_static_selectorELNS0_4arch9wavefront6targetE1EEEvSK_: ; @_ZN7rocprim17ROCPRIM_400000_NS6detail17trampoline_kernelINS0_14default_configENS1_37merge_sort_block_sort_config_selectorIxNS0_10empty_typeEEEZNS1_21merge_sort_block_sortIS3_N6thrust23THRUST_200600_302600_NS6detail15normal_iteratorINS9_10device_ptrIxEEEESE_PS5_SF_14custom_greaterIxEEE10hipError_tT0_T1_T2_T3_mRjT4_P12ihipStream_tbNS1_7vsmem_tEEUlT_E_NS1_11comp_targetILNS1_3genE10ELNS1_11target_archE1200ELNS1_3gpuE4ELNS1_3repE0EEENS1_30default_config_static_selectorELNS0_4arch9wavefront6targetE1EEEvSK_
; %bb.0:
	.section	.rodata,"a",@progbits
	.p2align	6, 0x0
	.amdhsa_kernel _ZN7rocprim17ROCPRIM_400000_NS6detail17trampoline_kernelINS0_14default_configENS1_37merge_sort_block_sort_config_selectorIxNS0_10empty_typeEEEZNS1_21merge_sort_block_sortIS3_N6thrust23THRUST_200600_302600_NS6detail15normal_iteratorINS9_10device_ptrIxEEEESE_PS5_SF_14custom_greaterIxEEE10hipError_tT0_T1_T2_T3_mRjT4_P12ihipStream_tbNS1_7vsmem_tEEUlT_E_NS1_11comp_targetILNS1_3genE10ELNS1_11target_archE1200ELNS1_3gpuE4ELNS1_3repE0EEENS1_30default_config_static_selectorELNS0_4arch9wavefront6targetE1EEEvSK_
		.amdhsa_group_segment_fixed_size 0
		.amdhsa_private_segment_fixed_size 0
		.amdhsa_kernarg_size 64
		.amdhsa_user_sgpr_count 6
		.amdhsa_user_sgpr_private_segment_buffer 1
		.amdhsa_user_sgpr_dispatch_ptr 0
		.amdhsa_user_sgpr_queue_ptr 0
		.amdhsa_user_sgpr_kernarg_segment_ptr 1
		.amdhsa_user_sgpr_dispatch_id 0
		.amdhsa_user_sgpr_flat_scratch_init 0
		.amdhsa_user_sgpr_kernarg_preload_length 0
		.amdhsa_user_sgpr_kernarg_preload_offset 0
		.amdhsa_user_sgpr_private_segment_size 0
		.amdhsa_uses_dynamic_stack 0
		.amdhsa_system_sgpr_private_segment_wavefront_offset 0
		.amdhsa_system_sgpr_workgroup_id_x 1
		.amdhsa_system_sgpr_workgroup_id_y 0
		.amdhsa_system_sgpr_workgroup_id_z 0
		.amdhsa_system_sgpr_workgroup_info 0
		.amdhsa_system_vgpr_workitem_id 0
		.amdhsa_next_free_vgpr 1
		.amdhsa_next_free_sgpr 0
		.amdhsa_accum_offset 4
		.amdhsa_reserve_vcc 0
		.amdhsa_reserve_flat_scratch 0
		.amdhsa_float_round_mode_32 0
		.amdhsa_float_round_mode_16_64 0
		.amdhsa_float_denorm_mode_32 3
		.amdhsa_float_denorm_mode_16_64 3
		.amdhsa_dx10_clamp 1
		.amdhsa_ieee_mode 1
		.amdhsa_fp16_overflow 0
		.amdhsa_tg_split 0
		.amdhsa_exception_fp_ieee_invalid_op 0
		.amdhsa_exception_fp_denorm_src 0
		.amdhsa_exception_fp_ieee_div_zero 0
		.amdhsa_exception_fp_ieee_overflow 0
		.amdhsa_exception_fp_ieee_underflow 0
		.amdhsa_exception_fp_ieee_inexact 0
		.amdhsa_exception_int_div_zero 0
	.end_amdhsa_kernel
	.section	.text._ZN7rocprim17ROCPRIM_400000_NS6detail17trampoline_kernelINS0_14default_configENS1_37merge_sort_block_sort_config_selectorIxNS0_10empty_typeEEEZNS1_21merge_sort_block_sortIS3_N6thrust23THRUST_200600_302600_NS6detail15normal_iteratorINS9_10device_ptrIxEEEESE_PS5_SF_14custom_greaterIxEEE10hipError_tT0_T1_T2_T3_mRjT4_P12ihipStream_tbNS1_7vsmem_tEEUlT_E_NS1_11comp_targetILNS1_3genE10ELNS1_11target_archE1200ELNS1_3gpuE4ELNS1_3repE0EEENS1_30default_config_static_selectorELNS0_4arch9wavefront6targetE1EEEvSK_,"axG",@progbits,_ZN7rocprim17ROCPRIM_400000_NS6detail17trampoline_kernelINS0_14default_configENS1_37merge_sort_block_sort_config_selectorIxNS0_10empty_typeEEEZNS1_21merge_sort_block_sortIS3_N6thrust23THRUST_200600_302600_NS6detail15normal_iteratorINS9_10device_ptrIxEEEESE_PS5_SF_14custom_greaterIxEEE10hipError_tT0_T1_T2_T3_mRjT4_P12ihipStream_tbNS1_7vsmem_tEEUlT_E_NS1_11comp_targetILNS1_3genE10ELNS1_11target_archE1200ELNS1_3gpuE4ELNS1_3repE0EEENS1_30default_config_static_selectorELNS0_4arch9wavefront6targetE1EEEvSK_,comdat
.Lfunc_end3385:
	.size	_ZN7rocprim17ROCPRIM_400000_NS6detail17trampoline_kernelINS0_14default_configENS1_37merge_sort_block_sort_config_selectorIxNS0_10empty_typeEEEZNS1_21merge_sort_block_sortIS3_N6thrust23THRUST_200600_302600_NS6detail15normal_iteratorINS9_10device_ptrIxEEEESE_PS5_SF_14custom_greaterIxEEE10hipError_tT0_T1_T2_T3_mRjT4_P12ihipStream_tbNS1_7vsmem_tEEUlT_E_NS1_11comp_targetILNS1_3genE10ELNS1_11target_archE1200ELNS1_3gpuE4ELNS1_3repE0EEENS1_30default_config_static_selectorELNS0_4arch9wavefront6targetE1EEEvSK_, .Lfunc_end3385-_ZN7rocprim17ROCPRIM_400000_NS6detail17trampoline_kernelINS0_14default_configENS1_37merge_sort_block_sort_config_selectorIxNS0_10empty_typeEEEZNS1_21merge_sort_block_sortIS3_N6thrust23THRUST_200600_302600_NS6detail15normal_iteratorINS9_10device_ptrIxEEEESE_PS5_SF_14custom_greaterIxEEE10hipError_tT0_T1_T2_T3_mRjT4_P12ihipStream_tbNS1_7vsmem_tEEUlT_E_NS1_11comp_targetILNS1_3genE10ELNS1_11target_archE1200ELNS1_3gpuE4ELNS1_3repE0EEENS1_30default_config_static_selectorELNS0_4arch9wavefront6targetE1EEEvSK_
                                        ; -- End function
	.section	.AMDGPU.csdata,"",@progbits
; Kernel info:
; codeLenInByte = 0
; NumSgprs: 4
; NumVgprs: 0
; NumAgprs: 0
; TotalNumVgprs: 0
; ScratchSize: 0
; MemoryBound: 0
; FloatMode: 240
; IeeeMode: 1
; LDSByteSize: 0 bytes/workgroup (compile time only)
; SGPRBlocks: 0
; VGPRBlocks: 0
; NumSGPRsForWavesPerEU: 4
; NumVGPRsForWavesPerEU: 1
; AccumOffset: 4
; Occupancy: 8
; WaveLimiterHint : 0
; COMPUTE_PGM_RSRC2:SCRATCH_EN: 0
; COMPUTE_PGM_RSRC2:USER_SGPR: 6
; COMPUTE_PGM_RSRC2:TRAP_HANDLER: 0
; COMPUTE_PGM_RSRC2:TGID_X_EN: 1
; COMPUTE_PGM_RSRC2:TGID_Y_EN: 0
; COMPUTE_PGM_RSRC2:TGID_Z_EN: 0
; COMPUTE_PGM_RSRC2:TIDIG_COMP_CNT: 0
; COMPUTE_PGM_RSRC3_GFX90A:ACCUM_OFFSET: 0
; COMPUTE_PGM_RSRC3_GFX90A:TG_SPLIT: 0
	.section	.text._ZN7rocprim17ROCPRIM_400000_NS6detail17trampoline_kernelINS0_14default_configENS1_37merge_sort_block_sort_config_selectorIxNS0_10empty_typeEEEZNS1_21merge_sort_block_sortIS3_N6thrust23THRUST_200600_302600_NS6detail15normal_iteratorINS9_10device_ptrIxEEEESE_PS5_SF_14custom_greaterIxEEE10hipError_tT0_T1_T2_T3_mRjT4_P12ihipStream_tbNS1_7vsmem_tEEUlT_E_NS1_11comp_targetILNS1_3genE9ELNS1_11target_archE1100ELNS1_3gpuE3ELNS1_3repE0EEENS1_30default_config_static_selectorELNS0_4arch9wavefront6targetE1EEEvSK_,"axG",@progbits,_ZN7rocprim17ROCPRIM_400000_NS6detail17trampoline_kernelINS0_14default_configENS1_37merge_sort_block_sort_config_selectorIxNS0_10empty_typeEEEZNS1_21merge_sort_block_sortIS3_N6thrust23THRUST_200600_302600_NS6detail15normal_iteratorINS9_10device_ptrIxEEEESE_PS5_SF_14custom_greaterIxEEE10hipError_tT0_T1_T2_T3_mRjT4_P12ihipStream_tbNS1_7vsmem_tEEUlT_E_NS1_11comp_targetILNS1_3genE9ELNS1_11target_archE1100ELNS1_3gpuE3ELNS1_3repE0EEENS1_30default_config_static_selectorELNS0_4arch9wavefront6targetE1EEEvSK_,comdat
	.protected	_ZN7rocprim17ROCPRIM_400000_NS6detail17trampoline_kernelINS0_14default_configENS1_37merge_sort_block_sort_config_selectorIxNS0_10empty_typeEEEZNS1_21merge_sort_block_sortIS3_N6thrust23THRUST_200600_302600_NS6detail15normal_iteratorINS9_10device_ptrIxEEEESE_PS5_SF_14custom_greaterIxEEE10hipError_tT0_T1_T2_T3_mRjT4_P12ihipStream_tbNS1_7vsmem_tEEUlT_E_NS1_11comp_targetILNS1_3genE9ELNS1_11target_archE1100ELNS1_3gpuE3ELNS1_3repE0EEENS1_30default_config_static_selectorELNS0_4arch9wavefront6targetE1EEEvSK_ ; -- Begin function _ZN7rocprim17ROCPRIM_400000_NS6detail17trampoline_kernelINS0_14default_configENS1_37merge_sort_block_sort_config_selectorIxNS0_10empty_typeEEEZNS1_21merge_sort_block_sortIS3_N6thrust23THRUST_200600_302600_NS6detail15normal_iteratorINS9_10device_ptrIxEEEESE_PS5_SF_14custom_greaterIxEEE10hipError_tT0_T1_T2_T3_mRjT4_P12ihipStream_tbNS1_7vsmem_tEEUlT_E_NS1_11comp_targetILNS1_3genE9ELNS1_11target_archE1100ELNS1_3gpuE3ELNS1_3repE0EEENS1_30default_config_static_selectorELNS0_4arch9wavefront6targetE1EEEvSK_
	.globl	_ZN7rocprim17ROCPRIM_400000_NS6detail17trampoline_kernelINS0_14default_configENS1_37merge_sort_block_sort_config_selectorIxNS0_10empty_typeEEEZNS1_21merge_sort_block_sortIS3_N6thrust23THRUST_200600_302600_NS6detail15normal_iteratorINS9_10device_ptrIxEEEESE_PS5_SF_14custom_greaterIxEEE10hipError_tT0_T1_T2_T3_mRjT4_P12ihipStream_tbNS1_7vsmem_tEEUlT_E_NS1_11comp_targetILNS1_3genE9ELNS1_11target_archE1100ELNS1_3gpuE3ELNS1_3repE0EEENS1_30default_config_static_selectorELNS0_4arch9wavefront6targetE1EEEvSK_
	.p2align	8
	.type	_ZN7rocprim17ROCPRIM_400000_NS6detail17trampoline_kernelINS0_14default_configENS1_37merge_sort_block_sort_config_selectorIxNS0_10empty_typeEEEZNS1_21merge_sort_block_sortIS3_N6thrust23THRUST_200600_302600_NS6detail15normal_iteratorINS9_10device_ptrIxEEEESE_PS5_SF_14custom_greaterIxEEE10hipError_tT0_T1_T2_T3_mRjT4_P12ihipStream_tbNS1_7vsmem_tEEUlT_E_NS1_11comp_targetILNS1_3genE9ELNS1_11target_archE1100ELNS1_3gpuE3ELNS1_3repE0EEENS1_30default_config_static_selectorELNS0_4arch9wavefront6targetE1EEEvSK_,@function
_ZN7rocprim17ROCPRIM_400000_NS6detail17trampoline_kernelINS0_14default_configENS1_37merge_sort_block_sort_config_selectorIxNS0_10empty_typeEEEZNS1_21merge_sort_block_sortIS3_N6thrust23THRUST_200600_302600_NS6detail15normal_iteratorINS9_10device_ptrIxEEEESE_PS5_SF_14custom_greaterIxEEE10hipError_tT0_T1_T2_T3_mRjT4_P12ihipStream_tbNS1_7vsmem_tEEUlT_E_NS1_11comp_targetILNS1_3genE9ELNS1_11target_archE1100ELNS1_3gpuE3ELNS1_3repE0EEENS1_30default_config_static_selectorELNS0_4arch9wavefront6targetE1EEEvSK_: ; @_ZN7rocprim17ROCPRIM_400000_NS6detail17trampoline_kernelINS0_14default_configENS1_37merge_sort_block_sort_config_selectorIxNS0_10empty_typeEEEZNS1_21merge_sort_block_sortIS3_N6thrust23THRUST_200600_302600_NS6detail15normal_iteratorINS9_10device_ptrIxEEEESE_PS5_SF_14custom_greaterIxEEE10hipError_tT0_T1_T2_T3_mRjT4_P12ihipStream_tbNS1_7vsmem_tEEUlT_E_NS1_11comp_targetILNS1_3genE9ELNS1_11target_archE1100ELNS1_3gpuE3ELNS1_3repE0EEENS1_30default_config_static_selectorELNS0_4arch9wavefront6targetE1EEEvSK_
; %bb.0:
	.section	.rodata,"a",@progbits
	.p2align	6, 0x0
	.amdhsa_kernel _ZN7rocprim17ROCPRIM_400000_NS6detail17trampoline_kernelINS0_14default_configENS1_37merge_sort_block_sort_config_selectorIxNS0_10empty_typeEEEZNS1_21merge_sort_block_sortIS3_N6thrust23THRUST_200600_302600_NS6detail15normal_iteratorINS9_10device_ptrIxEEEESE_PS5_SF_14custom_greaterIxEEE10hipError_tT0_T1_T2_T3_mRjT4_P12ihipStream_tbNS1_7vsmem_tEEUlT_E_NS1_11comp_targetILNS1_3genE9ELNS1_11target_archE1100ELNS1_3gpuE3ELNS1_3repE0EEENS1_30default_config_static_selectorELNS0_4arch9wavefront6targetE1EEEvSK_
		.amdhsa_group_segment_fixed_size 0
		.amdhsa_private_segment_fixed_size 0
		.amdhsa_kernarg_size 64
		.amdhsa_user_sgpr_count 6
		.amdhsa_user_sgpr_private_segment_buffer 1
		.amdhsa_user_sgpr_dispatch_ptr 0
		.amdhsa_user_sgpr_queue_ptr 0
		.amdhsa_user_sgpr_kernarg_segment_ptr 1
		.amdhsa_user_sgpr_dispatch_id 0
		.amdhsa_user_sgpr_flat_scratch_init 0
		.amdhsa_user_sgpr_kernarg_preload_length 0
		.amdhsa_user_sgpr_kernarg_preload_offset 0
		.amdhsa_user_sgpr_private_segment_size 0
		.amdhsa_uses_dynamic_stack 0
		.amdhsa_system_sgpr_private_segment_wavefront_offset 0
		.amdhsa_system_sgpr_workgroup_id_x 1
		.amdhsa_system_sgpr_workgroup_id_y 0
		.amdhsa_system_sgpr_workgroup_id_z 0
		.amdhsa_system_sgpr_workgroup_info 0
		.amdhsa_system_vgpr_workitem_id 0
		.amdhsa_next_free_vgpr 1
		.amdhsa_next_free_sgpr 0
		.amdhsa_accum_offset 4
		.amdhsa_reserve_vcc 0
		.amdhsa_reserve_flat_scratch 0
		.amdhsa_float_round_mode_32 0
		.amdhsa_float_round_mode_16_64 0
		.amdhsa_float_denorm_mode_32 3
		.amdhsa_float_denorm_mode_16_64 3
		.amdhsa_dx10_clamp 1
		.amdhsa_ieee_mode 1
		.amdhsa_fp16_overflow 0
		.amdhsa_tg_split 0
		.amdhsa_exception_fp_ieee_invalid_op 0
		.amdhsa_exception_fp_denorm_src 0
		.amdhsa_exception_fp_ieee_div_zero 0
		.amdhsa_exception_fp_ieee_overflow 0
		.amdhsa_exception_fp_ieee_underflow 0
		.amdhsa_exception_fp_ieee_inexact 0
		.amdhsa_exception_int_div_zero 0
	.end_amdhsa_kernel
	.section	.text._ZN7rocprim17ROCPRIM_400000_NS6detail17trampoline_kernelINS0_14default_configENS1_37merge_sort_block_sort_config_selectorIxNS0_10empty_typeEEEZNS1_21merge_sort_block_sortIS3_N6thrust23THRUST_200600_302600_NS6detail15normal_iteratorINS9_10device_ptrIxEEEESE_PS5_SF_14custom_greaterIxEEE10hipError_tT0_T1_T2_T3_mRjT4_P12ihipStream_tbNS1_7vsmem_tEEUlT_E_NS1_11comp_targetILNS1_3genE9ELNS1_11target_archE1100ELNS1_3gpuE3ELNS1_3repE0EEENS1_30default_config_static_selectorELNS0_4arch9wavefront6targetE1EEEvSK_,"axG",@progbits,_ZN7rocprim17ROCPRIM_400000_NS6detail17trampoline_kernelINS0_14default_configENS1_37merge_sort_block_sort_config_selectorIxNS0_10empty_typeEEEZNS1_21merge_sort_block_sortIS3_N6thrust23THRUST_200600_302600_NS6detail15normal_iteratorINS9_10device_ptrIxEEEESE_PS5_SF_14custom_greaterIxEEE10hipError_tT0_T1_T2_T3_mRjT4_P12ihipStream_tbNS1_7vsmem_tEEUlT_E_NS1_11comp_targetILNS1_3genE9ELNS1_11target_archE1100ELNS1_3gpuE3ELNS1_3repE0EEENS1_30default_config_static_selectorELNS0_4arch9wavefront6targetE1EEEvSK_,comdat
.Lfunc_end3386:
	.size	_ZN7rocprim17ROCPRIM_400000_NS6detail17trampoline_kernelINS0_14default_configENS1_37merge_sort_block_sort_config_selectorIxNS0_10empty_typeEEEZNS1_21merge_sort_block_sortIS3_N6thrust23THRUST_200600_302600_NS6detail15normal_iteratorINS9_10device_ptrIxEEEESE_PS5_SF_14custom_greaterIxEEE10hipError_tT0_T1_T2_T3_mRjT4_P12ihipStream_tbNS1_7vsmem_tEEUlT_E_NS1_11comp_targetILNS1_3genE9ELNS1_11target_archE1100ELNS1_3gpuE3ELNS1_3repE0EEENS1_30default_config_static_selectorELNS0_4arch9wavefront6targetE1EEEvSK_, .Lfunc_end3386-_ZN7rocprim17ROCPRIM_400000_NS6detail17trampoline_kernelINS0_14default_configENS1_37merge_sort_block_sort_config_selectorIxNS0_10empty_typeEEEZNS1_21merge_sort_block_sortIS3_N6thrust23THRUST_200600_302600_NS6detail15normal_iteratorINS9_10device_ptrIxEEEESE_PS5_SF_14custom_greaterIxEEE10hipError_tT0_T1_T2_T3_mRjT4_P12ihipStream_tbNS1_7vsmem_tEEUlT_E_NS1_11comp_targetILNS1_3genE9ELNS1_11target_archE1100ELNS1_3gpuE3ELNS1_3repE0EEENS1_30default_config_static_selectorELNS0_4arch9wavefront6targetE1EEEvSK_
                                        ; -- End function
	.section	.AMDGPU.csdata,"",@progbits
; Kernel info:
; codeLenInByte = 0
; NumSgprs: 4
; NumVgprs: 0
; NumAgprs: 0
; TotalNumVgprs: 0
; ScratchSize: 0
; MemoryBound: 0
; FloatMode: 240
; IeeeMode: 1
; LDSByteSize: 0 bytes/workgroup (compile time only)
; SGPRBlocks: 0
; VGPRBlocks: 0
; NumSGPRsForWavesPerEU: 4
; NumVGPRsForWavesPerEU: 1
; AccumOffset: 4
; Occupancy: 8
; WaveLimiterHint : 0
; COMPUTE_PGM_RSRC2:SCRATCH_EN: 0
; COMPUTE_PGM_RSRC2:USER_SGPR: 6
; COMPUTE_PGM_RSRC2:TRAP_HANDLER: 0
; COMPUTE_PGM_RSRC2:TGID_X_EN: 1
; COMPUTE_PGM_RSRC2:TGID_Y_EN: 0
; COMPUTE_PGM_RSRC2:TGID_Z_EN: 0
; COMPUTE_PGM_RSRC2:TIDIG_COMP_CNT: 0
; COMPUTE_PGM_RSRC3_GFX90A:ACCUM_OFFSET: 0
; COMPUTE_PGM_RSRC3_GFX90A:TG_SPLIT: 0
	.section	.text._ZN7rocprim17ROCPRIM_400000_NS6detail17trampoline_kernelINS0_14default_configENS1_37merge_sort_block_sort_config_selectorIxNS0_10empty_typeEEEZNS1_21merge_sort_block_sortIS3_N6thrust23THRUST_200600_302600_NS6detail15normal_iteratorINS9_10device_ptrIxEEEESE_PS5_SF_14custom_greaterIxEEE10hipError_tT0_T1_T2_T3_mRjT4_P12ihipStream_tbNS1_7vsmem_tEEUlT_E_NS1_11comp_targetILNS1_3genE8ELNS1_11target_archE1030ELNS1_3gpuE2ELNS1_3repE0EEENS1_30default_config_static_selectorELNS0_4arch9wavefront6targetE1EEEvSK_,"axG",@progbits,_ZN7rocprim17ROCPRIM_400000_NS6detail17trampoline_kernelINS0_14default_configENS1_37merge_sort_block_sort_config_selectorIxNS0_10empty_typeEEEZNS1_21merge_sort_block_sortIS3_N6thrust23THRUST_200600_302600_NS6detail15normal_iteratorINS9_10device_ptrIxEEEESE_PS5_SF_14custom_greaterIxEEE10hipError_tT0_T1_T2_T3_mRjT4_P12ihipStream_tbNS1_7vsmem_tEEUlT_E_NS1_11comp_targetILNS1_3genE8ELNS1_11target_archE1030ELNS1_3gpuE2ELNS1_3repE0EEENS1_30default_config_static_selectorELNS0_4arch9wavefront6targetE1EEEvSK_,comdat
	.protected	_ZN7rocprim17ROCPRIM_400000_NS6detail17trampoline_kernelINS0_14default_configENS1_37merge_sort_block_sort_config_selectorIxNS0_10empty_typeEEEZNS1_21merge_sort_block_sortIS3_N6thrust23THRUST_200600_302600_NS6detail15normal_iteratorINS9_10device_ptrIxEEEESE_PS5_SF_14custom_greaterIxEEE10hipError_tT0_T1_T2_T3_mRjT4_P12ihipStream_tbNS1_7vsmem_tEEUlT_E_NS1_11comp_targetILNS1_3genE8ELNS1_11target_archE1030ELNS1_3gpuE2ELNS1_3repE0EEENS1_30default_config_static_selectorELNS0_4arch9wavefront6targetE1EEEvSK_ ; -- Begin function _ZN7rocprim17ROCPRIM_400000_NS6detail17trampoline_kernelINS0_14default_configENS1_37merge_sort_block_sort_config_selectorIxNS0_10empty_typeEEEZNS1_21merge_sort_block_sortIS3_N6thrust23THRUST_200600_302600_NS6detail15normal_iteratorINS9_10device_ptrIxEEEESE_PS5_SF_14custom_greaterIxEEE10hipError_tT0_T1_T2_T3_mRjT4_P12ihipStream_tbNS1_7vsmem_tEEUlT_E_NS1_11comp_targetILNS1_3genE8ELNS1_11target_archE1030ELNS1_3gpuE2ELNS1_3repE0EEENS1_30default_config_static_selectorELNS0_4arch9wavefront6targetE1EEEvSK_
	.globl	_ZN7rocprim17ROCPRIM_400000_NS6detail17trampoline_kernelINS0_14default_configENS1_37merge_sort_block_sort_config_selectorIxNS0_10empty_typeEEEZNS1_21merge_sort_block_sortIS3_N6thrust23THRUST_200600_302600_NS6detail15normal_iteratorINS9_10device_ptrIxEEEESE_PS5_SF_14custom_greaterIxEEE10hipError_tT0_T1_T2_T3_mRjT4_P12ihipStream_tbNS1_7vsmem_tEEUlT_E_NS1_11comp_targetILNS1_3genE8ELNS1_11target_archE1030ELNS1_3gpuE2ELNS1_3repE0EEENS1_30default_config_static_selectorELNS0_4arch9wavefront6targetE1EEEvSK_
	.p2align	8
	.type	_ZN7rocprim17ROCPRIM_400000_NS6detail17trampoline_kernelINS0_14default_configENS1_37merge_sort_block_sort_config_selectorIxNS0_10empty_typeEEEZNS1_21merge_sort_block_sortIS3_N6thrust23THRUST_200600_302600_NS6detail15normal_iteratorINS9_10device_ptrIxEEEESE_PS5_SF_14custom_greaterIxEEE10hipError_tT0_T1_T2_T3_mRjT4_P12ihipStream_tbNS1_7vsmem_tEEUlT_E_NS1_11comp_targetILNS1_3genE8ELNS1_11target_archE1030ELNS1_3gpuE2ELNS1_3repE0EEENS1_30default_config_static_selectorELNS0_4arch9wavefront6targetE1EEEvSK_,@function
_ZN7rocprim17ROCPRIM_400000_NS6detail17trampoline_kernelINS0_14default_configENS1_37merge_sort_block_sort_config_selectorIxNS0_10empty_typeEEEZNS1_21merge_sort_block_sortIS3_N6thrust23THRUST_200600_302600_NS6detail15normal_iteratorINS9_10device_ptrIxEEEESE_PS5_SF_14custom_greaterIxEEE10hipError_tT0_T1_T2_T3_mRjT4_P12ihipStream_tbNS1_7vsmem_tEEUlT_E_NS1_11comp_targetILNS1_3genE8ELNS1_11target_archE1030ELNS1_3gpuE2ELNS1_3repE0EEENS1_30default_config_static_selectorELNS0_4arch9wavefront6targetE1EEEvSK_: ; @_ZN7rocprim17ROCPRIM_400000_NS6detail17trampoline_kernelINS0_14default_configENS1_37merge_sort_block_sort_config_selectorIxNS0_10empty_typeEEEZNS1_21merge_sort_block_sortIS3_N6thrust23THRUST_200600_302600_NS6detail15normal_iteratorINS9_10device_ptrIxEEEESE_PS5_SF_14custom_greaterIxEEE10hipError_tT0_T1_T2_T3_mRjT4_P12ihipStream_tbNS1_7vsmem_tEEUlT_E_NS1_11comp_targetILNS1_3genE8ELNS1_11target_archE1030ELNS1_3gpuE2ELNS1_3repE0EEENS1_30default_config_static_selectorELNS0_4arch9wavefront6targetE1EEEvSK_
; %bb.0:
	.section	.rodata,"a",@progbits
	.p2align	6, 0x0
	.amdhsa_kernel _ZN7rocprim17ROCPRIM_400000_NS6detail17trampoline_kernelINS0_14default_configENS1_37merge_sort_block_sort_config_selectorIxNS0_10empty_typeEEEZNS1_21merge_sort_block_sortIS3_N6thrust23THRUST_200600_302600_NS6detail15normal_iteratorINS9_10device_ptrIxEEEESE_PS5_SF_14custom_greaterIxEEE10hipError_tT0_T1_T2_T3_mRjT4_P12ihipStream_tbNS1_7vsmem_tEEUlT_E_NS1_11comp_targetILNS1_3genE8ELNS1_11target_archE1030ELNS1_3gpuE2ELNS1_3repE0EEENS1_30default_config_static_selectorELNS0_4arch9wavefront6targetE1EEEvSK_
		.amdhsa_group_segment_fixed_size 0
		.amdhsa_private_segment_fixed_size 0
		.amdhsa_kernarg_size 64
		.amdhsa_user_sgpr_count 6
		.amdhsa_user_sgpr_private_segment_buffer 1
		.amdhsa_user_sgpr_dispatch_ptr 0
		.amdhsa_user_sgpr_queue_ptr 0
		.amdhsa_user_sgpr_kernarg_segment_ptr 1
		.amdhsa_user_sgpr_dispatch_id 0
		.amdhsa_user_sgpr_flat_scratch_init 0
		.amdhsa_user_sgpr_kernarg_preload_length 0
		.amdhsa_user_sgpr_kernarg_preload_offset 0
		.amdhsa_user_sgpr_private_segment_size 0
		.amdhsa_uses_dynamic_stack 0
		.amdhsa_system_sgpr_private_segment_wavefront_offset 0
		.amdhsa_system_sgpr_workgroup_id_x 1
		.amdhsa_system_sgpr_workgroup_id_y 0
		.amdhsa_system_sgpr_workgroup_id_z 0
		.amdhsa_system_sgpr_workgroup_info 0
		.amdhsa_system_vgpr_workitem_id 0
		.amdhsa_next_free_vgpr 1
		.amdhsa_next_free_sgpr 0
		.amdhsa_accum_offset 4
		.amdhsa_reserve_vcc 0
		.amdhsa_reserve_flat_scratch 0
		.amdhsa_float_round_mode_32 0
		.amdhsa_float_round_mode_16_64 0
		.amdhsa_float_denorm_mode_32 3
		.amdhsa_float_denorm_mode_16_64 3
		.amdhsa_dx10_clamp 1
		.amdhsa_ieee_mode 1
		.amdhsa_fp16_overflow 0
		.amdhsa_tg_split 0
		.amdhsa_exception_fp_ieee_invalid_op 0
		.amdhsa_exception_fp_denorm_src 0
		.amdhsa_exception_fp_ieee_div_zero 0
		.amdhsa_exception_fp_ieee_overflow 0
		.amdhsa_exception_fp_ieee_underflow 0
		.amdhsa_exception_fp_ieee_inexact 0
		.amdhsa_exception_int_div_zero 0
	.end_amdhsa_kernel
	.section	.text._ZN7rocprim17ROCPRIM_400000_NS6detail17trampoline_kernelINS0_14default_configENS1_37merge_sort_block_sort_config_selectorIxNS0_10empty_typeEEEZNS1_21merge_sort_block_sortIS3_N6thrust23THRUST_200600_302600_NS6detail15normal_iteratorINS9_10device_ptrIxEEEESE_PS5_SF_14custom_greaterIxEEE10hipError_tT0_T1_T2_T3_mRjT4_P12ihipStream_tbNS1_7vsmem_tEEUlT_E_NS1_11comp_targetILNS1_3genE8ELNS1_11target_archE1030ELNS1_3gpuE2ELNS1_3repE0EEENS1_30default_config_static_selectorELNS0_4arch9wavefront6targetE1EEEvSK_,"axG",@progbits,_ZN7rocprim17ROCPRIM_400000_NS6detail17trampoline_kernelINS0_14default_configENS1_37merge_sort_block_sort_config_selectorIxNS0_10empty_typeEEEZNS1_21merge_sort_block_sortIS3_N6thrust23THRUST_200600_302600_NS6detail15normal_iteratorINS9_10device_ptrIxEEEESE_PS5_SF_14custom_greaterIxEEE10hipError_tT0_T1_T2_T3_mRjT4_P12ihipStream_tbNS1_7vsmem_tEEUlT_E_NS1_11comp_targetILNS1_3genE8ELNS1_11target_archE1030ELNS1_3gpuE2ELNS1_3repE0EEENS1_30default_config_static_selectorELNS0_4arch9wavefront6targetE1EEEvSK_,comdat
.Lfunc_end3387:
	.size	_ZN7rocprim17ROCPRIM_400000_NS6detail17trampoline_kernelINS0_14default_configENS1_37merge_sort_block_sort_config_selectorIxNS0_10empty_typeEEEZNS1_21merge_sort_block_sortIS3_N6thrust23THRUST_200600_302600_NS6detail15normal_iteratorINS9_10device_ptrIxEEEESE_PS5_SF_14custom_greaterIxEEE10hipError_tT0_T1_T2_T3_mRjT4_P12ihipStream_tbNS1_7vsmem_tEEUlT_E_NS1_11comp_targetILNS1_3genE8ELNS1_11target_archE1030ELNS1_3gpuE2ELNS1_3repE0EEENS1_30default_config_static_selectorELNS0_4arch9wavefront6targetE1EEEvSK_, .Lfunc_end3387-_ZN7rocprim17ROCPRIM_400000_NS6detail17trampoline_kernelINS0_14default_configENS1_37merge_sort_block_sort_config_selectorIxNS0_10empty_typeEEEZNS1_21merge_sort_block_sortIS3_N6thrust23THRUST_200600_302600_NS6detail15normal_iteratorINS9_10device_ptrIxEEEESE_PS5_SF_14custom_greaterIxEEE10hipError_tT0_T1_T2_T3_mRjT4_P12ihipStream_tbNS1_7vsmem_tEEUlT_E_NS1_11comp_targetILNS1_3genE8ELNS1_11target_archE1030ELNS1_3gpuE2ELNS1_3repE0EEENS1_30default_config_static_selectorELNS0_4arch9wavefront6targetE1EEEvSK_
                                        ; -- End function
	.section	.AMDGPU.csdata,"",@progbits
; Kernel info:
; codeLenInByte = 0
; NumSgprs: 4
; NumVgprs: 0
; NumAgprs: 0
; TotalNumVgprs: 0
; ScratchSize: 0
; MemoryBound: 0
; FloatMode: 240
; IeeeMode: 1
; LDSByteSize: 0 bytes/workgroup (compile time only)
; SGPRBlocks: 0
; VGPRBlocks: 0
; NumSGPRsForWavesPerEU: 4
; NumVGPRsForWavesPerEU: 1
; AccumOffset: 4
; Occupancy: 8
; WaveLimiterHint : 0
; COMPUTE_PGM_RSRC2:SCRATCH_EN: 0
; COMPUTE_PGM_RSRC2:USER_SGPR: 6
; COMPUTE_PGM_RSRC2:TRAP_HANDLER: 0
; COMPUTE_PGM_RSRC2:TGID_X_EN: 1
; COMPUTE_PGM_RSRC2:TGID_Y_EN: 0
; COMPUTE_PGM_RSRC2:TGID_Z_EN: 0
; COMPUTE_PGM_RSRC2:TIDIG_COMP_CNT: 0
; COMPUTE_PGM_RSRC3_GFX90A:ACCUM_OFFSET: 0
; COMPUTE_PGM_RSRC3_GFX90A:TG_SPLIT: 0
	.section	.text._ZN7rocprim17ROCPRIM_400000_NS6detail17trampoline_kernelINS0_14default_configENS1_38merge_sort_block_merge_config_selectorIxNS0_10empty_typeEEEZZNS1_27merge_sort_block_merge_implIS3_N6thrust23THRUST_200600_302600_NS6detail15normal_iteratorINS9_10device_ptrIxEEEEPS5_m14custom_greaterIxEEE10hipError_tT0_T1_T2_jT3_P12ihipStream_tbPNSt15iterator_traitsISJ_E10value_typeEPNSP_ISK_E10value_typeEPSL_NS1_7vsmem_tEENKUlT_SJ_SK_SL_E_clIPxSE_SF_SF_EESI_SY_SJ_SK_SL_EUlSY_E_NS1_11comp_targetILNS1_3genE0ELNS1_11target_archE4294967295ELNS1_3gpuE0ELNS1_3repE0EEENS1_48merge_mergepath_partition_config_static_selectorELNS0_4arch9wavefront6targetE1EEEvSK_,"axG",@progbits,_ZN7rocprim17ROCPRIM_400000_NS6detail17trampoline_kernelINS0_14default_configENS1_38merge_sort_block_merge_config_selectorIxNS0_10empty_typeEEEZZNS1_27merge_sort_block_merge_implIS3_N6thrust23THRUST_200600_302600_NS6detail15normal_iteratorINS9_10device_ptrIxEEEEPS5_m14custom_greaterIxEEE10hipError_tT0_T1_T2_jT3_P12ihipStream_tbPNSt15iterator_traitsISJ_E10value_typeEPNSP_ISK_E10value_typeEPSL_NS1_7vsmem_tEENKUlT_SJ_SK_SL_E_clIPxSE_SF_SF_EESI_SY_SJ_SK_SL_EUlSY_E_NS1_11comp_targetILNS1_3genE0ELNS1_11target_archE4294967295ELNS1_3gpuE0ELNS1_3repE0EEENS1_48merge_mergepath_partition_config_static_selectorELNS0_4arch9wavefront6targetE1EEEvSK_,comdat
	.protected	_ZN7rocprim17ROCPRIM_400000_NS6detail17trampoline_kernelINS0_14default_configENS1_38merge_sort_block_merge_config_selectorIxNS0_10empty_typeEEEZZNS1_27merge_sort_block_merge_implIS3_N6thrust23THRUST_200600_302600_NS6detail15normal_iteratorINS9_10device_ptrIxEEEEPS5_m14custom_greaterIxEEE10hipError_tT0_T1_T2_jT3_P12ihipStream_tbPNSt15iterator_traitsISJ_E10value_typeEPNSP_ISK_E10value_typeEPSL_NS1_7vsmem_tEENKUlT_SJ_SK_SL_E_clIPxSE_SF_SF_EESI_SY_SJ_SK_SL_EUlSY_E_NS1_11comp_targetILNS1_3genE0ELNS1_11target_archE4294967295ELNS1_3gpuE0ELNS1_3repE0EEENS1_48merge_mergepath_partition_config_static_selectorELNS0_4arch9wavefront6targetE1EEEvSK_ ; -- Begin function _ZN7rocprim17ROCPRIM_400000_NS6detail17trampoline_kernelINS0_14default_configENS1_38merge_sort_block_merge_config_selectorIxNS0_10empty_typeEEEZZNS1_27merge_sort_block_merge_implIS3_N6thrust23THRUST_200600_302600_NS6detail15normal_iteratorINS9_10device_ptrIxEEEEPS5_m14custom_greaterIxEEE10hipError_tT0_T1_T2_jT3_P12ihipStream_tbPNSt15iterator_traitsISJ_E10value_typeEPNSP_ISK_E10value_typeEPSL_NS1_7vsmem_tEENKUlT_SJ_SK_SL_E_clIPxSE_SF_SF_EESI_SY_SJ_SK_SL_EUlSY_E_NS1_11comp_targetILNS1_3genE0ELNS1_11target_archE4294967295ELNS1_3gpuE0ELNS1_3repE0EEENS1_48merge_mergepath_partition_config_static_selectorELNS0_4arch9wavefront6targetE1EEEvSK_
	.globl	_ZN7rocprim17ROCPRIM_400000_NS6detail17trampoline_kernelINS0_14default_configENS1_38merge_sort_block_merge_config_selectorIxNS0_10empty_typeEEEZZNS1_27merge_sort_block_merge_implIS3_N6thrust23THRUST_200600_302600_NS6detail15normal_iteratorINS9_10device_ptrIxEEEEPS5_m14custom_greaterIxEEE10hipError_tT0_T1_T2_jT3_P12ihipStream_tbPNSt15iterator_traitsISJ_E10value_typeEPNSP_ISK_E10value_typeEPSL_NS1_7vsmem_tEENKUlT_SJ_SK_SL_E_clIPxSE_SF_SF_EESI_SY_SJ_SK_SL_EUlSY_E_NS1_11comp_targetILNS1_3genE0ELNS1_11target_archE4294967295ELNS1_3gpuE0ELNS1_3repE0EEENS1_48merge_mergepath_partition_config_static_selectorELNS0_4arch9wavefront6targetE1EEEvSK_
	.p2align	8
	.type	_ZN7rocprim17ROCPRIM_400000_NS6detail17trampoline_kernelINS0_14default_configENS1_38merge_sort_block_merge_config_selectorIxNS0_10empty_typeEEEZZNS1_27merge_sort_block_merge_implIS3_N6thrust23THRUST_200600_302600_NS6detail15normal_iteratorINS9_10device_ptrIxEEEEPS5_m14custom_greaterIxEEE10hipError_tT0_T1_T2_jT3_P12ihipStream_tbPNSt15iterator_traitsISJ_E10value_typeEPNSP_ISK_E10value_typeEPSL_NS1_7vsmem_tEENKUlT_SJ_SK_SL_E_clIPxSE_SF_SF_EESI_SY_SJ_SK_SL_EUlSY_E_NS1_11comp_targetILNS1_3genE0ELNS1_11target_archE4294967295ELNS1_3gpuE0ELNS1_3repE0EEENS1_48merge_mergepath_partition_config_static_selectorELNS0_4arch9wavefront6targetE1EEEvSK_,@function
_ZN7rocprim17ROCPRIM_400000_NS6detail17trampoline_kernelINS0_14default_configENS1_38merge_sort_block_merge_config_selectorIxNS0_10empty_typeEEEZZNS1_27merge_sort_block_merge_implIS3_N6thrust23THRUST_200600_302600_NS6detail15normal_iteratorINS9_10device_ptrIxEEEEPS5_m14custom_greaterIxEEE10hipError_tT0_T1_T2_jT3_P12ihipStream_tbPNSt15iterator_traitsISJ_E10value_typeEPNSP_ISK_E10value_typeEPSL_NS1_7vsmem_tEENKUlT_SJ_SK_SL_E_clIPxSE_SF_SF_EESI_SY_SJ_SK_SL_EUlSY_E_NS1_11comp_targetILNS1_3genE0ELNS1_11target_archE4294967295ELNS1_3gpuE0ELNS1_3repE0EEENS1_48merge_mergepath_partition_config_static_selectorELNS0_4arch9wavefront6targetE1EEEvSK_: ; @_ZN7rocprim17ROCPRIM_400000_NS6detail17trampoline_kernelINS0_14default_configENS1_38merge_sort_block_merge_config_selectorIxNS0_10empty_typeEEEZZNS1_27merge_sort_block_merge_implIS3_N6thrust23THRUST_200600_302600_NS6detail15normal_iteratorINS9_10device_ptrIxEEEEPS5_m14custom_greaterIxEEE10hipError_tT0_T1_T2_jT3_P12ihipStream_tbPNSt15iterator_traitsISJ_E10value_typeEPNSP_ISK_E10value_typeEPSL_NS1_7vsmem_tEENKUlT_SJ_SK_SL_E_clIPxSE_SF_SF_EESI_SY_SJ_SK_SL_EUlSY_E_NS1_11comp_targetILNS1_3genE0ELNS1_11target_archE4294967295ELNS1_3gpuE0ELNS1_3repE0EEENS1_48merge_mergepath_partition_config_static_selectorELNS0_4arch9wavefront6targetE1EEEvSK_
; %bb.0:
	.section	.rodata,"a",@progbits
	.p2align	6, 0x0
	.amdhsa_kernel _ZN7rocprim17ROCPRIM_400000_NS6detail17trampoline_kernelINS0_14default_configENS1_38merge_sort_block_merge_config_selectorIxNS0_10empty_typeEEEZZNS1_27merge_sort_block_merge_implIS3_N6thrust23THRUST_200600_302600_NS6detail15normal_iteratorINS9_10device_ptrIxEEEEPS5_m14custom_greaterIxEEE10hipError_tT0_T1_T2_jT3_P12ihipStream_tbPNSt15iterator_traitsISJ_E10value_typeEPNSP_ISK_E10value_typeEPSL_NS1_7vsmem_tEENKUlT_SJ_SK_SL_E_clIPxSE_SF_SF_EESI_SY_SJ_SK_SL_EUlSY_E_NS1_11comp_targetILNS1_3genE0ELNS1_11target_archE4294967295ELNS1_3gpuE0ELNS1_3repE0EEENS1_48merge_mergepath_partition_config_static_selectorELNS0_4arch9wavefront6targetE1EEEvSK_
		.amdhsa_group_segment_fixed_size 0
		.amdhsa_private_segment_fixed_size 0
		.amdhsa_kernarg_size 48
		.amdhsa_user_sgpr_count 6
		.amdhsa_user_sgpr_private_segment_buffer 1
		.amdhsa_user_sgpr_dispatch_ptr 0
		.amdhsa_user_sgpr_queue_ptr 0
		.amdhsa_user_sgpr_kernarg_segment_ptr 1
		.amdhsa_user_sgpr_dispatch_id 0
		.amdhsa_user_sgpr_flat_scratch_init 0
		.amdhsa_user_sgpr_kernarg_preload_length 0
		.amdhsa_user_sgpr_kernarg_preload_offset 0
		.amdhsa_user_sgpr_private_segment_size 0
		.amdhsa_uses_dynamic_stack 0
		.amdhsa_system_sgpr_private_segment_wavefront_offset 0
		.amdhsa_system_sgpr_workgroup_id_x 1
		.amdhsa_system_sgpr_workgroup_id_y 0
		.amdhsa_system_sgpr_workgroup_id_z 0
		.amdhsa_system_sgpr_workgroup_info 0
		.amdhsa_system_vgpr_workitem_id 0
		.amdhsa_next_free_vgpr 1
		.amdhsa_next_free_sgpr 0
		.amdhsa_accum_offset 4
		.amdhsa_reserve_vcc 0
		.amdhsa_reserve_flat_scratch 0
		.amdhsa_float_round_mode_32 0
		.amdhsa_float_round_mode_16_64 0
		.amdhsa_float_denorm_mode_32 3
		.amdhsa_float_denorm_mode_16_64 3
		.amdhsa_dx10_clamp 1
		.amdhsa_ieee_mode 1
		.amdhsa_fp16_overflow 0
		.amdhsa_tg_split 0
		.amdhsa_exception_fp_ieee_invalid_op 0
		.amdhsa_exception_fp_denorm_src 0
		.amdhsa_exception_fp_ieee_div_zero 0
		.amdhsa_exception_fp_ieee_overflow 0
		.amdhsa_exception_fp_ieee_underflow 0
		.amdhsa_exception_fp_ieee_inexact 0
		.amdhsa_exception_int_div_zero 0
	.end_amdhsa_kernel
	.section	.text._ZN7rocprim17ROCPRIM_400000_NS6detail17trampoline_kernelINS0_14default_configENS1_38merge_sort_block_merge_config_selectorIxNS0_10empty_typeEEEZZNS1_27merge_sort_block_merge_implIS3_N6thrust23THRUST_200600_302600_NS6detail15normal_iteratorINS9_10device_ptrIxEEEEPS5_m14custom_greaterIxEEE10hipError_tT0_T1_T2_jT3_P12ihipStream_tbPNSt15iterator_traitsISJ_E10value_typeEPNSP_ISK_E10value_typeEPSL_NS1_7vsmem_tEENKUlT_SJ_SK_SL_E_clIPxSE_SF_SF_EESI_SY_SJ_SK_SL_EUlSY_E_NS1_11comp_targetILNS1_3genE0ELNS1_11target_archE4294967295ELNS1_3gpuE0ELNS1_3repE0EEENS1_48merge_mergepath_partition_config_static_selectorELNS0_4arch9wavefront6targetE1EEEvSK_,"axG",@progbits,_ZN7rocprim17ROCPRIM_400000_NS6detail17trampoline_kernelINS0_14default_configENS1_38merge_sort_block_merge_config_selectorIxNS0_10empty_typeEEEZZNS1_27merge_sort_block_merge_implIS3_N6thrust23THRUST_200600_302600_NS6detail15normal_iteratorINS9_10device_ptrIxEEEEPS5_m14custom_greaterIxEEE10hipError_tT0_T1_T2_jT3_P12ihipStream_tbPNSt15iterator_traitsISJ_E10value_typeEPNSP_ISK_E10value_typeEPSL_NS1_7vsmem_tEENKUlT_SJ_SK_SL_E_clIPxSE_SF_SF_EESI_SY_SJ_SK_SL_EUlSY_E_NS1_11comp_targetILNS1_3genE0ELNS1_11target_archE4294967295ELNS1_3gpuE0ELNS1_3repE0EEENS1_48merge_mergepath_partition_config_static_selectorELNS0_4arch9wavefront6targetE1EEEvSK_,comdat
.Lfunc_end3388:
	.size	_ZN7rocprim17ROCPRIM_400000_NS6detail17trampoline_kernelINS0_14default_configENS1_38merge_sort_block_merge_config_selectorIxNS0_10empty_typeEEEZZNS1_27merge_sort_block_merge_implIS3_N6thrust23THRUST_200600_302600_NS6detail15normal_iteratorINS9_10device_ptrIxEEEEPS5_m14custom_greaterIxEEE10hipError_tT0_T1_T2_jT3_P12ihipStream_tbPNSt15iterator_traitsISJ_E10value_typeEPNSP_ISK_E10value_typeEPSL_NS1_7vsmem_tEENKUlT_SJ_SK_SL_E_clIPxSE_SF_SF_EESI_SY_SJ_SK_SL_EUlSY_E_NS1_11comp_targetILNS1_3genE0ELNS1_11target_archE4294967295ELNS1_3gpuE0ELNS1_3repE0EEENS1_48merge_mergepath_partition_config_static_selectorELNS0_4arch9wavefront6targetE1EEEvSK_, .Lfunc_end3388-_ZN7rocprim17ROCPRIM_400000_NS6detail17trampoline_kernelINS0_14default_configENS1_38merge_sort_block_merge_config_selectorIxNS0_10empty_typeEEEZZNS1_27merge_sort_block_merge_implIS3_N6thrust23THRUST_200600_302600_NS6detail15normal_iteratorINS9_10device_ptrIxEEEEPS5_m14custom_greaterIxEEE10hipError_tT0_T1_T2_jT3_P12ihipStream_tbPNSt15iterator_traitsISJ_E10value_typeEPNSP_ISK_E10value_typeEPSL_NS1_7vsmem_tEENKUlT_SJ_SK_SL_E_clIPxSE_SF_SF_EESI_SY_SJ_SK_SL_EUlSY_E_NS1_11comp_targetILNS1_3genE0ELNS1_11target_archE4294967295ELNS1_3gpuE0ELNS1_3repE0EEENS1_48merge_mergepath_partition_config_static_selectorELNS0_4arch9wavefront6targetE1EEEvSK_
                                        ; -- End function
	.section	.AMDGPU.csdata,"",@progbits
; Kernel info:
; codeLenInByte = 0
; NumSgprs: 4
; NumVgprs: 0
; NumAgprs: 0
; TotalNumVgprs: 0
; ScratchSize: 0
; MemoryBound: 0
; FloatMode: 240
; IeeeMode: 1
; LDSByteSize: 0 bytes/workgroup (compile time only)
; SGPRBlocks: 0
; VGPRBlocks: 0
; NumSGPRsForWavesPerEU: 4
; NumVGPRsForWavesPerEU: 1
; AccumOffset: 4
; Occupancy: 8
; WaveLimiterHint : 0
; COMPUTE_PGM_RSRC2:SCRATCH_EN: 0
; COMPUTE_PGM_RSRC2:USER_SGPR: 6
; COMPUTE_PGM_RSRC2:TRAP_HANDLER: 0
; COMPUTE_PGM_RSRC2:TGID_X_EN: 1
; COMPUTE_PGM_RSRC2:TGID_Y_EN: 0
; COMPUTE_PGM_RSRC2:TGID_Z_EN: 0
; COMPUTE_PGM_RSRC2:TIDIG_COMP_CNT: 0
; COMPUTE_PGM_RSRC3_GFX90A:ACCUM_OFFSET: 0
; COMPUTE_PGM_RSRC3_GFX90A:TG_SPLIT: 0
	.section	.text._ZN7rocprim17ROCPRIM_400000_NS6detail17trampoline_kernelINS0_14default_configENS1_38merge_sort_block_merge_config_selectorIxNS0_10empty_typeEEEZZNS1_27merge_sort_block_merge_implIS3_N6thrust23THRUST_200600_302600_NS6detail15normal_iteratorINS9_10device_ptrIxEEEEPS5_m14custom_greaterIxEEE10hipError_tT0_T1_T2_jT3_P12ihipStream_tbPNSt15iterator_traitsISJ_E10value_typeEPNSP_ISK_E10value_typeEPSL_NS1_7vsmem_tEENKUlT_SJ_SK_SL_E_clIPxSE_SF_SF_EESI_SY_SJ_SK_SL_EUlSY_E_NS1_11comp_targetILNS1_3genE10ELNS1_11target_archE1201ELNS1_3gpuE5ELNS1_3repE0EEENS1_48merge_mergepath_partition_config_static_selectorELNS0_4arch9wavefront6targetE1EEEvSK_,"axG",@progbits,_ZN7rocprim17ROCPRIM_400000_NS6detail17trampoline_kernelINS0_14default_configENS1_38merge_sort_block_merge_config_selectorIxNS0_10empty_typeEEEZZNS1_27merge_sort_block_merge_implIS3_N6thrust23THRUST_200600_302600_NS6detail15normal_iteratorINS9_10device_ptrIxEEEEPS5_m14custom_greaterIxEEE10hipError_tT0_T1_T2_jT3_P12ihipStream_tbPNSt15iterator_traitsISJ_E10value_typeEPNSP_ISK_E10value_typeEPSL_NS1_7vsmem_tEENKUlT_SJ_SK_SL_E_clIPxSE_SF_SF_EESI_SY_SJ_SK_SL_EUlSY_E_NS1_11comp_targetILNS1_3genE10ELNS1_11target_archE1201ELNS1_3gpuE5ELNS1_3repE0EEENS1_48merge_mergepath_partition_config_static_selectorELNS0_4arch9wavefront6targetE1EEEvSK_,comdat
	.protected	_ZN7rocprim17ROCPRIM_400000_NS6detail17trampoline_kernelINS0_14default_configENS1_38merge_sort_block_merge_config_selectorIxNS0_10empty_typeEEEZZNS1_27merge_sort_block_merge_implIS3_N6thrust23THRUST_200600_302600_NS6detail15normal_iteratorINS9_10device_ptrIxEEEEPS5_m14custom_greaterIxEEE10hipError_tT0_T1_T2_jT3_P12ihipStream_tbPNSt15iterator_traitsISJ_E10value_typeEPNSP_ISK_E10value_typeEPSL_NS1_7vsmem_tEENKUlT_SJ_SK_SL_E_clIPxSE_SF_SF_EESI_SY_SJ_SK_SL_EUlSY_E_NS1_11comp_targetILNS1_3genE10ELNS1_11target_archE1201ELNS1_3gpuE5ELNS1_3repE0EEENS1_48merge_mergepath_partition_config_static_selectorELNS0_4arch9wavefront6targetE1EEEvSK_ ; -- Begin function _ZN7rocprim17ROCPRIM_400000_NS6detail17trampoline_kernelINS0_14default_configENS1_38merge_sort_block_merge_config_selectorIxNS0_10empty_typeEEEZZNS1_27merge_sort_block_merge_implIS3_N6thrust23THRUST_200600_302600_NS6detail15normal_iteratorINS9_10device_ptrIxEEEEPS5_m14custom_greaterIxEEE10hipError_tT0_T1_T2_jT3_P12ihipStream_tbPNSt15iterator_traitsISJ_E10value_typeEPNSP_ISK_E10value_typeEPSL_NS1_7vsmem_tEENKUlT_SJ_SK_SL_E_clIPxSE_SF_SF_EESI_SY_SJ_SK_SL_EUlSY_E_NS1_11comp_targetILNS1_3genE10ELNS1_11target_archE1201ELNS1_3gpuE5ELNS1_3repE0EEENS1_48merge_mergepath_partition_config_static_selectorELNS0_4arch9wavefront6targetE1EEEvSK_
	.globl	_ZN7rocprim17ROCPRIM_400000_NS6detail17trampoline_kernelINS0_14default_configENS1_38merge_sort_block_merge_config_selectorIxNS0_10empty_typeEEEZZNS1_27merge_sort_block_merge_implIS3_N6thrust23THRUST_200600_302600_NS6detail15normal_iteratorINS9_10device_ptrIxEEEEPS5_m14custom_greaterIxEEE10hipError_tT0_T1_T2_jT3_P12ihipStream_tbPNSt15iterator_traitsISJ_E10value_typeEPNSP_ISK_E10value_typeEPSL_NS1_7vsmem_tEENKUlT_SJ_SK_SL_E_clIPxSE_SF_SF_EESI_SY_SJ_SK_SL_EUlSY_E_NS1_11comp_targetILNS1_3genE10ELNS1_11target_archE1201ELNS1_3gpuE5ELNS1_3repE0EEENS1_48merge_mergepath_partition_config_static_selectorELNS0_4arch9wavefront6targetE1EEEvSK_
	.p2align	8
	.type	_ZN7rocprim17ROCPRIM_400000_NS6detail17trampoline_kernelINS0_14default_configENS1_38merge_sort_block_merge_config_selectorIxNS0_10empty_typeEEEZZNS1_27merge_sort_block_merge_implIS3_N6thrust23THRUST_200600_302600_NS6detail15normal_iteratorINS9_10device_ptrIxEEEEPS5_m14custom_greaterIxEEE10hipError_tT0_T1_T2_jT3_P12ihipStream_tbPNSt15iterator_traitsISJ_E10value_typeEPNSP_ISK_E10value_typeEPSL_NS1_7vsmem_tEENKUlT_SJ_SK_SL_E_clIPxSE_SF_SF_EESI_SY_SJ_SK_SL_EUlSY_E_NS1_11comp_targetILNS1_3genE10ELNS1_11target_archE1201ELNS1_3gpuE5ELNS1_3repE0EEENS1_48merge_mergepath_partition_config_static_selectorELNS0_4arch9wavefront6targetE1EEEvSK_,@function
_ZN7rocprim17ROCPRIM_400000_NS6detail17trampoline_kernelINS0_14default_configENS1_38merge_sort_block_merge_config_selectorIxNS0_10empty_typeEEEZZNS1_27merge_sort_block_merge_implIS3_N6thrust23THRUST_200600_302600_NS6detail15normal_iteratorINS9_10device_ptrIxEEEEPS5_m14custom_greaterIxEEE10hipError_tT0_T1_T2_jT3_P12ihipStream_tbPNSt15iterator_traitsISJ_E10value_typeEPNSP_ISK_E10value_typeEPSL_NS1_7vsmem_tEENKUlT_SJ_SK_SL_E_clIPxSE_SF_SF_EESI_SY_SJ_SK_SL_EUlSY_E_NS1_11comp_targetILNS1_3genE10ELNS1_11target_archE1201ELNS1_3gpuE5ELNS1_3repE0EEENS1_48merge_mergepath_partition_config_static_selectorELNS0_4arch9wavefront6targetE1EEEvSK_: ; @_ZN7rocprim17ROCPRIM_400000_NS6detail17trampoline_kernelINS0_14default_configENS1_38merge_sort_block_merge_config_selectorIxNS0_10empty_typeEEEZZNS1_27merge_sort_block_merge_implIS3_N6thrust23THRUST_200600_302600_NS6detail15normal_iteratorINS9_10device_ptrIxEEEEPS5_m14custom_greaterIxEEE10hipError_tT0_T1_T2_jT3_P12ihipStream_tbPNSt15iterator_traitsISJ_E10value_typeEPNSP_ISK_E10value_typeEPSL_NS1_7vsmem_tEENKUlT_SJ_SK_SL_E_clIPxSE_SF_SF_EESI_SY_SJ_SK_SL_EUlSY_E_NS1_11comp_targetILNS1_3genE10ELNS1_11target_archE1201ELNS1_3gpuE5ELNS1_3repE0EEENS1_48merge_mergepath_partition_config_static_selectorELNS0_4arch9wavefront6targetE1EEEvSK_
; %bb.0:
	.section	.rodata,"a",@progbits
	.p2align	6, 0x0
	.amdhsa_kernel _ZN7rocprim17ROCPRIM_400000_NS6detail17trampoline_kernelINS0_14default_configENS1_38merge_sort_block_merge_config_selectorIxNS0_10empty_typeEEEZZNS1_27merge_sort_block_merge_implIS3_N6thrust23THRUST_200600_302600_NS6detail15normal_iteratorINS9_10device_ptrIxEEEEPS5_m14custom_greaterIxEEE10hipError_tT0_T1_T2_jT3_P12ihipStream_tbPNSt15iterator_traitsISJ_E10value_typeEPNSP_ISK_E10value_typeEPSL_NS1_7vsmem_tEENKUlT_SJ_SK_SL_E_clIPxSE_SF_SF_EESI_SY_SJ_SK_SL_EUlSY_E_NS1_11comp_targetILNS1_3genE10ELNS1_11target_archE1201ELNS1_3gpuE5ELNS1_3repE0EEENS1_48merge_mergepath_partition_config_static_selectorELNS0_4arch9wavefront6targetE1EEEvSK_
		.amdhsa_group_segment_fixed_size 0
		.amdhsa_private_segment_fixed_size 0
		.amdhsa_kernarg_size 48
		.amdhsa_user_sgpr_count 6
		.amdhsa_user_sgpr_private_segment_buffer 1
		.amdhsa_user_sgpr_dispatch_ptr 0
		.amdhsa_user_sgpr_queue_ptr 0
		.amdhsa_user_sgpr_kernarg_segment_ptr 1
		.amdhsa_user_sgpr_dispatch_id 0
		.amdhsa_user_sgpr_flat_scratch_init 0
		.amdhsa_user_sgpr_kernarg_preload_length 0
		.amdhsa_user_sgpr_kernarg_preload_offset 0
		.amdhsa_user_sgpr_private_segment_size 0
		.amdhsa_uses_dynamic_stack 0
		.amdhsa_system_sgpr_private_segment_wavefront_offset 0
		.amdhsa_system_sgpr_workgroup_id_x 1
		.amdhsa_system_sgpr_workgroup_id_y 0
		.amdhsa_system_sgpr_workgroup_id_z 0
		.amdhsa_system_sgpr_workgroup_info 0
		.amdhsa_system_vgpr_workitem_id 0
		.amdhsa_next_free_vgpr 1
		.amdhsa_next_free_sgpr 0
		.amdhsa_accum_offset 4
		.amdhsa_reserve_vcc 0
		.amdhsa_reserve_flat_scratch 0
		.amdhsa_float_round_mode_32 0
		.amdhsa_float_round_mode_16_64 0
		.amdhsa_float_denorm_mode_32 3
		.amdhsa_float_denorm_mode_16_64 3
		.amdhsa_dx10_clamp 1
		.amdhsa_ieee_mode 1
		.amdhsa_fp16_overflow 0
		.amdhsa_tg_split 0
		.amdhsa_exception_fp_ieee_invalid_op 0
		.amdhsa_exception_fp_denorm_src 0
		.amdhsa_exception_fp_ieee_div_zero 0
		.amdhsa_exception_fp_ieee_overflow 0
		.amdhsa_exception_fp_ieee_underflow 0
		.amdhsa_exception_fp_ieee_inexact 0
		.amdhsa_exception_int_div_zero 0
	.end_amdhsa_kernel
	.section	.text._ZN7rocprim17ROCPRIM_400000_NS6detail17trampoline_kernelINS0_14default_configENS1_38merge_sort_block_merge_config_selectorIxNS0_10empty_typeEEEZZNS1_27merge_sort_block_merge_implIS3_N6thrust23THRUST_200600_302600_NS6detail15normal_iteratorINS9_10device_ptrIxEEEEPS5_m14custom_greaterIxEEE10hipError_tT0_T1_T2_jT3_P12ihipStream_tbPNSt15iterator_traitsISJ_E10value_typeEPNSP_ISK_E10value_typeEPSL_NS1_7vsmem_tEENKUlT_SJ_SK_SL_E_clIPxSE_SF_SF_EESI_SY_SJ_SK_SL_EUlSY_E_NS1_11comp_targetILNS1_3genE10ELNS1_11target_archE1201ELNS1_3gpuE5ELNS1_3repE0EEENS1_48merge_mergepath_partition_config_static_selectorELNS0_4arch9wavefront6targetE1EEEvSK_,"axG",@progbits,_ZN7rocprim17ROCPRIM_400000_NS6detail17trampoline_kernelINS0_14default_configENS1_38merge_sort_block_merge_config_selectorIxNS0_10empty_typeEEEZZNS1_27merge_sort_block_merge_implIS3_N6thrust23THRUST_200600_302600_NS6detail15normal_iteratorINS9_10device_ptrIxEEEEPS5_m14custom_greaterIxEEE10hipError_tT0_T1_T2_jT3_P12ihipStream_tbPNSt15iterator_traitsISJ_E10value_typeEPNSP_ISK_E10value_typeEPSL_NS1_7vsmem_tEENKUlT_SJ_SK_SL_E_clIPxSE_SF_SF_EESI_SY_SJ_SK_SL_EUlSY_E_NS1_11comp_targetILNS1_3genE10ELNS1_11target_archE1201ELNS1_3gpuE5ELNS1_3repE0EEENS1_48merge_mergepath_partition_config_static_selectorELNS0_4arch9wavefront6targetE1EEEvSK_,comdat
.Lfunc_end3389:
	.size	_ZN7rocprim17ROCPRIM_400000_NS6detail17trampoline_kernelINS0_14default_configENS1_38merge_sort_block_merge_config_selectorIxNS0_10empty_typeEEEZZNS1_27merge_sort_block_merge_implIS3_N6thrust23THRUST_200600_302600_NS6detail15normal_iteratorINS9_10device_ptrIxEEEEPS5_m14custom_greaterIxEEE10hipError_tT0_T1_T2_jT3_P12ihipStream_tbPNSt15iterator_traitsISJ_E10value_typeEPNSP_ISK_E10value_typeEPSL_NS1_7vsmem_tEENKUlT_SJ_SK_SL_E_clIPxSE_SF_SF_EESI_SY_SJ_SK_SL_EUlSY_E_NS1_11comp_targetILNS1_3genE10ELNS1_11target_archE1201ELNS1_3gpuE5ELNS1_3repE0EEENS1_48merge_mergepath_partition_config_static_selectorELNS0_4arch9wavefront6targetE1EEEvSK_, .Lfunc_end3389-_ZN7rocprim17ROCPRIM_400000_NS6detail17trampoline_kernelINS0_14default_configENS1_38merge_sort_block_merge_config_selectorIxNS0_10empty_typeEEEZZNS1_27merge_sort_block_merge_implIS3_N6thrust23THRUST_200600_302600_NS6detail15normal_iteratorINS9_10device_ptrIxEEEEPS5_m14custom_greaterIxEEE10hipError_tT0_T1_T2_jT3_P12ihipStream_tbPNSt15iterator_traitsISJ_E10value_typeEPNSP_ISK_E10value_typeEPSL_NS1_7vsmem_tEENKUlT_SJ_SK_SL_E_clIPxSE_SF_SF_EESI_SY_SJ_SK_SL_EUlSY_E_NS1_11comp_targetILNS1_3genE10ELNS1_11target_archE1201ELNS1_3gpuE5ELNS1_3repE0EEENS1_48merge_mergepath_partition_config_static_selectorELNS0_4arch9wavefront6targetE1EEEvSK_
                                        ; -- End function
	.section	.AMDGPU.csdata,"",@progbits
; Kernel info:
; codeLenInByte = 0
; NumSgprs: 4
; NumVgprs: 0
; NumAgprs: 0
; TotalNumVgprs: 0
; ScratchSize: 0
; MemoryBound: 0
; FloatMode: 240
; IeeeMode: 1
; LDSByteSize: 0 bytes/workgroup (compile time only)
; SGPRBlocks: 0
; VGPRBlocks: 0
; NumSGPRsForWavesPerEU: 4
; NumVGPRsForWavesPerEU: 1
; AccumOffset: 4
; Occupancy: 8
; WaveLimiterHint : 0
; COMPUTE_PGM_RSRC2:SCRATCH_EN: 0
; COMPUTE_PGM_RSRC2:USER_SGPR: 6
; COMPUTE_PGM_RSRC2:TRAP_HANDLER: 0
; COMPUTE_PGM_RSRC2:TGID_X_EN: 1
; COMPUTE_PGM_RSRC2:TGID_Y_EN: 0
; COMPUTE_PGM_RSRC2:TGID_Z_EN: 0
; COMPUTE_PGM_RSRC2:TIDIG_COMP_CNT: 0
; COMPUTE_PGM_RSRC3_GFX90A:ACCUM_OFFSET: 0
; COMPUTE_PGM_RSRC3_GFX90A:TG_SPLIT: 0
	.section	.text._ZN7rocprim17ROCPRIM_400000_NS6detail17trampoline_kernelINS0_14default_configENS1_38merge_sort_block_merge_config_selectorIxNS0_10empty_typeEEEZZNS1_27merge_sort_block_merge_implIS3_N6thrust23THRUST_200600_302600_NS6detail15normal_iteratorINS9_10device_ptrIxEEEEPS5_m14custom_greaterIxEEE10hipError_tT0_T1_T2_jT3_P12ihipStream_tbPNSt15iterator_traitsISJ_E10value_typeEPNSP_ISK_E10value_typeEPSL_NS1_7vsmem_tEENKUlT_SJ_SK_SL_E_clIPxSE_SF_SF_EESI_SY_SJ_SK_SL_EUlSY_E_NS1_11comp_targetILNS1_3genE5ELNS1_11target_archE942ELNS1_3gpuE9ELNS1_3repE0EEENS1_48merge_mergepath_partition_config_static_selectorELNS0_4arch9wavefront6targetE1EEEvSK_,"axG",@progbits,_ZN7rocprim17ROCPRIM_400000_NS6detail17trampoline_kernelINS0_14default_configENS1_38merge_sort_block_merge_config_selectorIxNS0_10empty_typeEEEZZNS1_27merge_sort_block_merge_implIS3_N6thrust23THRUST_200600_302600_NS6detail15normal_iteratorINS9_10device_ptrIxEEEEPS5_m14custom_greaterIxEEE10hipError_tT0_T1_T2_jT3_P12ihipStream_tbPNSt15iterator_traitsISJ_E10value_typeEPNSP_ISK_E10value_typeEPSL_NS1_7vsmem_tEENKUlT_SJ_SK_SL_E_clIPxSE_SF_SF_EESI_SY_SJ_SK_SL_EUlSY_E_NS1_11comp_targetILNS1_3genE5ELNS1_11target_archE942ELNS1_3gpuE9ELNS1_3repE0EEENS1_48merge_mergepath_partition_config_static_selectorELNS0_4arch9wavefront6targetE1EEEvSK_,comdat
	.protected	_ZN7rocprim17ROCPRIM_400000_NS6detail17trampoline_kernelINS0_14default_configENS1_38merge_sort_block_merge_config_selectorIxNS0_10empty_typeEEEZZNS1_27merge_sort_block_merge_implIS3_N6thrust23THRUST_200600_302600_NS6detail15normal_iteratorINS9_10device_ptrIxEEEEPS5_m14custom_greaterIxEEE10hipError_tT0_T1_T2_jT3_P12ihipStream_tbPNSt15iterator_traitsISJ_E10value_typeEPNSP_ISK_E10value_typeEPSL_NS1_7vsmem_tEENKUlT_SJ_SK_SL_E_clIPxSE_SF_SF_EESI_SY_SJ_SK_SL_EUlSY_E_NS1_11comp_targetILNS1_3genE5ELNS1_11target_archE942ELNS1_3gpuE9ELNS1_3repE0EEENS1_48merge_mergepath_partition_config_static_selectorELNS0_4arch9wavefront6targetE1EEEvSK_ ; -- Begin function _ZN7rocprim17ROCPRIM_400000_NS6detail17trampoline_kernelINS0_14default_configENS1_38merge_sort_block_merge_config_selectorIxNS0_10empty_typeEEEZZNS1_27merge_sort_block_merge_implIS3_N6thrust23THRUST_200600_302600_NS6detail15normal_iteratorINS9_10device_ptrIxEEEEPS5_m14custom_greaterIxEEE10hipError_tT0_T1_T2_jT3_P12ihipStream_tbPNSt15iterator_traitsISJ_E10value_typeEPNSP_ISK_E10value_typeEPSL_NS1_7vsmem_tEENKUlT_SJ_SK_SL_E_clIPxSE_SF_SF_EESI_SY_SJ_SK_SL_EUlSY_E_NS1_11comp_targetILNS1_3genE5ELNS1_11target_archE942ELNS1_3gpuE9ELNS1_3repE0EEENS1_48merge_mergepath_partition_config_static_selectorELNS0_4arch9wavefront6targetE1EEEvSK_
	.globl	_ZN7rocprim17ROCPRIM_400000_NS6detail17trampoline_kernelINS0_14default_configENS1_38merge_sort_block_merge_config_selectorIxNS0_10empty_typeEEEZZNS1_27merge_sort_block_merge_implIS3_N6thrust23THRUST_200600_302600_NS6detail15normal_iteratorINS9_10device_ptrIxEEEEPS5_m14custom_greaterIxEEE10hipError_tT0_T1_T2_jT3_P12ihipStream_tbPNSt15iterator_traitsISJ_E10value_typeEPNSP_ISK_E10value_typeEPSL_NS1_7vsmem_tEENKUlT_SJ_SK_SL_E_clIPxSE_SF_SF_EESI_SY_SJ_SK_SL_EUlSY_E_NS1_11comp_targetILNS1_3genE5ELNS1_11target_archE942ELNS1_3gpuE9ELNS1_3repE0EEENS1_48merge_mergepath_partition_config_static_selectorELNS0_4arch9wavefront6targetE1EEEvSK_
	.p2align	8
	.type	_ZN7rocprim17ROCPRIM_400000_NS6detail17trampoline_kernelINS0_14default_configENS1_38merge_sort_block_merge_config_selectorIxNS0_10empty_typeEEEZZNS1_27merge_sort_block_merge_implIS3_N6thrust23THRUST_200600_302600_NS6detail15normal_iteratorINS9_10device_ptrIxEEEEPS5_m14custom_greaterIxEEE10hipError_tT0_T1_T2_jT3_P12ihipStream_tbPNSt15iterator_traitsISJ_E10value_typeEPNSP_ISK_E10value_typeEPSL_NS1_7vsmem_tEENKUlT_SJ_SK_SL_E_clIPxSE_SF_SF_EESI_SY_SJ_SK_SL_EUlSY_E_NS1_11comp_targetILNS1_3genE5ELNS1_11target_archE942ELNS1_3gpuE9ELNS1_3repE0EEENS1_48merge_mergepath_partition_config_static_selectorELNS0_4arch9wavefront6targetE1EEEvSK_,@function
_ZN7rocprim17ROCPRIM_400000_NS6detail17trampoline_kernelINS0_14default_configENS1_38merge_sort_block_merge_config_selectorIxNS0_10empty_typeEEEZZNS1_27merge_sort_block_merge_implIS3_N6thrust23THRUST_200600_302600_NS6detail15normal_iteratorINS9_10device_ptrIxEEEEPS5_m14custom_greaterIxEEE10hipError_tT0_T1_T2_jT3_P12ihipStream_tbPNSt15iterator_traitsISJ_E10value_typeEPNSP_ISK_E10value_typeEPSL_NS1_7vsmem_tEENKUlT_SJ_SK_SL_E_clIPxSE_SF_SF_EESI_SY_SJ_SK_SL_EUlSY_E_NS1_11comp_targetILNS1_3genE5ELNS1_11target_archE942ELNS1_3gpuE9ELNS1_3repE0EEENS1_48merge_mergepath_partition_config_static_selectorELNS0_4arch9wavefront6targetE1EEEvSK_: ; @_ZN7rocprim17ROCPRIM_400000_NS6detail17trampoline_kernelINS0_14default_configENS1_38merge_sort_block_merge_config_selectorIxNS0_10empty_typeEEEZZNS1_27merge_sort_block_merge_implIS3_N6thrust23THRUST_200600_302600_NS6detail15normal_iteratorINS9_10device_ptrIxEEEEPS5_m14custom_greaterIxEEE10hipError_tT0_T1_T2_jT3_P12ihipStream_tbPNSt15iterator_traitsISJ_E10value_typeEPNSP_ISK_E10value_typeEPSL_NS1_7vsmem_tEENKUlT_SJ_SK_SL_E_clIPxSE_SF_SF_EESI_SY_SJ_SK_SL_EUlSY_E_NS1_11comp_targetILNS1_3genE5ELNS1_11target_archE942ELNS1_3gpuE9ELNS1_3repE0EEENS1_48merge_mergepath_partition_config_static_selectorELNS0_4arch9wavefront6targetE1EEEvSK_
; %bb.0:
	.section	.rodata,"a",@progbits
	.p2align	6, 0x0
	.amdhsa_kernel _ZN7rocprim17ROCPRIM_400000_NS6detail17trampoline_kernelINS0_14default_configENS1_38merge_sort_block_merge_config_selectorIxNS0_10empty_typeEEEZZNS1_27merge_sort_block_merge_implIS3_N6thrust23THRUST_200600_302600_NS6detail15normal_iteratorINS9_10device_ptrIxEEEEPS5_m14custom_greaterIxEEE10hipError_tT0_T1_T2_jT3_P12ihipStream_tbPNSt15iterator_traitsISJ_E10value_typeEPNSP_ISK_E10value_typeEPSL_NS1_7vsmem_tEENKUlT_SJ_SK_SL_E_clIPxSE_SF_SF_EESI_SY_SJ_SK_SL_EUlSY_E_NS1_11comp_targetILNS1_3genE5ELNS1_11target_archE942ELNS1_3gpuE9ELNS1_3repE0EEENS1_48merge_mergepath_partition_config_static_selectorELNS0_4arch9wavefront6targetE1EEEvSK_
		.amdhsa_group_segment_fixed_size 0
		.amdhsa_private_segment_fixed_size 0
		.amdhsa_kernarg_size 48
		.amdhsa_user_sgpr_count 6
		.amdhsa_user_sgpr_private_segment_buffer 1
		.amdhsa_user_sgpr_dispatch_ptr 0
		.amdhsa_user_sgpr_queue_ptr 0
		.amdhsa_user_sgpr_kernarg_segment_ptr 1
		.amdhsa_user_sgpr_dispatch_id 0
		.amdhsa_user_sgpr_flat_scratch_init 0
		.amdhsa_user_sgpr_kernarg_preload_length 0
		.amdhsa_user_sgpr_kernarg_preload_offset 0
		.amdhsa_user_sgpr_private_segment_size 0
		.amdhsa_uses_dynamic_stack 0
		.amdhsa_system_sgpr_private_segment_wavefront_offset 0
		.amdhsa_system_sgpr_workgroup_id_x 1
		.amdhsa_system_sgpr_workgroup_id_y 0
		.amdhsa_system_sgpr_workgroup_id_z 0
		.amdhsa_system_sgpr_workgroup_info 0
		.amdhsa_system_vgpr_workitem_id 0
		.amdhsa_next_free_vgpr 1
		.amdhsa_next_free_sgpr 0
		.amdhsa_accum_offset 4
		.amdhsa_reserve_vcc 0
		.amdhsa_reserve_flat_scratch 0
		.amdhsa_float_round_mode_32 0
		.amdhsa_float_round_mode_16_64 0
		.amdhsa_float_denorm_mode_32 3
		.amdhsa_float_denorm_mode_16_64 3
		.amdhsa_dx10_clamp 1
		.amdhsa_ieee_mode 1
		.amdhsa_fp16_overflow 0
		.amdhsa_tg_split 0
		.amdhsa_exception_fp_ieee_invalid_op 0
		.amdhsa_exception_fp_denorm_src 0
		.amdhsa_exception_fp_ieee_div_zero 0
		.amdhsa_exception_fp_ieee_overflow 0
		.amdhsa_exception_fp_ieee_underflow 0
		.amdhsa_exception_fp_ieee_inexact 0
		.amdhsa_exception_int_div_zero 0
	.end_amdhsa_kernel
	.section	.text._ZN7rocprim17ROCPRIM_400000_NS6detail17trampoline_kernelINS0_14default_configENS1_38merge_sort_block_merge_config_selectorIxNS0_10empty_typeEEEZZNS1_27merge_sort_block_merge_implIS3_N6thrust23THRUST_200600_302600_NS6detail15normal_iteratorINS9_10device_ptrIxEEEEPS5_m14custom_greaterIxEEE10hipError_tT0_T1_T2_jT3_P12ihipStream_tbPNSt15iterator_traitsISJ_E10value_typeEPNSP_ISK_E10value_typeEPSL_NS1_7vsmem_tEENKUlT_SJ_SK_SL_E_clIPxSE_SF_SF_EESI_SY_SJ_SK_SL_EUlSY_E_NS1_11comp_targetILNS1_3genE5ELNS1_11target_archE942ELNS1_3gpuE9ELNS1_3repE0EEENS1_48merge_mergepath_partition_config_static_selectorELNS0_4arch9wavefront6targetE1EEEvSK_,"axG",@progbits,_ZN7rocprim17ROCPRIM_400000_NS6detail17trampoline_kernelINS0_14default_configENS1_38merge_sort_block_merge_config_selectorIxNS0_10empty_typeEEEZZNS1_27merge_sort_block_merge_implIS3_N6thrust23THRUST_200600_302600_NS6detail15normal_iteratorINS9_10device_ptrIxEEEEPS5_m14custom_greaterIxEEE10hipError_tT0_T1_T2_jT3_P12ihipStream_tbPNSt15iterator_traitsISJ_E10value_typeEPNSP_ISK_E10value_typeEPSL_NS1_7vsmem_tEENKUlT_SJ_SK_SL_E_clIPxSE_SF_SF_EESI_SY_SJ_SK_SL_EUlSY_E_NS1_11comp_targetILNS1_3genE5ELNS1_11target_archE942ELNS1_3gpuE9ELNS1_3repE0EEENS1_48merge_mergepath_partition_config_static_selectorELNS0_4arch9wavefront6targetE1EEEvSK_,comdat
.Lfunc_end3390:
	.size	_ZN7rocprim17ROCPRIM_400000_NS6detail17trampoline_kernelINS0_14default_configENS1_38merge_sort_block_merge_config_selectorIxNS0_10empty_typeEEEZZNS1_27merge_sort_block_merge_implIS3_N6thrust23THRUST_200600_302600_NS6detail15normal_iteratorINS9_10device_ptrIxEEEEPS5_m14custom_greaterIxEEE10hipError_tT0_T1_T2_jT3_P12ihipStream_tbPNSt15iterator_traitsISJ_E10value_typeEPNSP_ISK_E10value_typeEPSL_NS1_7vsmem_tEENKUlT_SJ_SK_SL_E_clIPxSE_SF_SF_EESI_SY_SJ_SK_SL_EUlSY_E_NS1_11comp_targetILNS1_3genE5ELNS1_11target_archE942ELNS1_3gpuE9ELNS1_3repE0EEENS1_48merge_mergepath_partition_config_static_selectorELNS0_4arch9wavefront6targetE1EEEvSK_, .Lfunc_end3390-_ZN7rocprim17ROCPRIM_400000_NS6detail17trampoline_kernelINS0_14default_configENS1_38merge_sort_block_merge_config_selectorIxNS0_10empty_typeEEEZZNS1_27merge_sort_block_merge_implIS3_N6thrust23THRUST_200600_302600_NS6detail15normal_iteratorINS9_10device_ptrIxEEEEPS5_m14custom_greaterIxEEE10hipError_tT0_T1_T2_jT3_P12ihipStream_tbPNSt15iterator_traitsISJ_E10value_typeEPNSP_ISK_E10value_typeEPSL_NS1_7vsmem_tEENKUlT_SJ_SK_SL_E_clIPxSE_SF_SF_EESI_SY_SJ_SK_SL_EUlSY_E_NS1_11comp_targetILNS1_3genE5ELNS1_11target_archE942ELNS1_3gpuE9ELNS1_3repE0EEENS1_48merge_mergepath_partition_config_static_selectorELNS0_4arch9wavefront6targetE1EEEvSK_
                                        ; -- End function
	.section	.AMDGPU.csdata,"",@progbits
; Kernel info:
; codeLenInByte = 0
; NumSgprs: 4
; NumVgprs: 0
; NumAgprs: 0
; TotalNumVgprs: 0
; ScratchSize: 0
; MemoryBound: 0
; FloatMode: 240
; IeeeMode: 1
; LDSByteSize: 0 bytes/workgroup (compile time only)
; SGPRBlocks: 0
; VGPRBlocks: 0
; NumSGPRsForWavesPerEU: 4
; NumVGPRsForWavesPerEU: 1
; AccumOffset: 4
; Occupancy: 8
; WaveLimiterHint : 0
; COMPUTE_PGM_RSRC2:SCRATCH_EN: 0
; COMPUTE_PGM_RSRC2:USER_SGPR: 6
; COMPUTE_PGM_RSRC2:TRAP_HANDLER: 0
; COMPUTE_PGM_RSRC2:TGID_X_EN: 1
; COMPUTE_PGM_RSRC2:TGID_Y_EN: 0
; COMPUTE_PGM_RSRC2:TGID_Z_EN: 0
; COMPUTE_PGM_RSRC2:TIDIG_COMP_CNT: 0
; COMPUTE_PGM_RSRC3_GFX90A:ACCUM_OFFSET: 0
; COMPUTE_PGM_RSRC3_GFX90A:TG_SPLIT: 0
	.section	.text._ZN7rocprim17ROCPRIM_400000_NS6detail17trampoline_kernelINS0_14default_configENS1_38merge_sort_block_merge_config_selectorIxNS0_10empty_typeEEEZZNS1_27merge_sort_block_merge_implIS3_N6thrust23THRUST_200600_302600_NS6detail15normal_iteratorINS9_10device_ptrIxEEEEPS5_m14custom_greaterIxEEE10hipError_tT0_T1_T2_jT3_P12ihipStream_tbPNSt15iterator_traitsISJ_E10value_typeEPNSP_ISK_E10value_typeEPSL_NS1_7vsmem_tEENKUlT_SJ_SK_SL_E_clIPxSE_SF_SF_EESI_SY_SJ_SK_SL_EUlSY_E_NS1_11comp_targetILNS1_3genE4ELNS1_11target_archE910ELNS1_3gpuE8ELNS1_3repE0EEENS1_48merge_mergepath_partition_config_static_selectorELNS0_4arch9wavefront6targetE1EEEvSK_,"axG",@progbits,_ZN7rocprim17ROCPRIM_400000_NS6detail17trampoline_kernelINS0_14default_configENS1_38merge_sort_block_merge_config_selectorIxNS0_10empty_typeEEEZZNS1_27merge_sort_block_merge_implIS3_N6thrust23THRUST_200600_302600_NS6detail15normal_iteratorINS9_10device_ptrIxEEEEPS5_m14custom_greaterIxEEE10hipError_tT0_T1_T2_jT3_P12ihipStream_tbPNSt15iterator_traitsISJ_E10value_typeEPNSP_ISK_E10value_typeEPSL_NS1_7vsmem_tEENKUlT_SJ_SK_SL_E_clIPxSE_SF_SF_EESI_SY_SJ_SK_SL_EUlSY_E_NS1_11comp_targetILNS1_3genE4ELNS1_11target_archE910ELNS1_3gpuE8ELNS1_3repE0EEENS1_48merge_mergepath_partition_config_static_selectorELNS0_4arch9wavefront6targetE1EEEvSK_,comdat
	.protected	_ZN7rocprim17ROCPRIM_400000_NS6detail17trampoline_kernelINS0_14default_configENS1_38merge_sort_block_merge_config_selectorIxNS0_10empty_typeEEEZZNS1_27merge_sort_block_merge_implIS3_N6thrust23THRUST_200600_302600_NS6detail15normal_iteratorINS9_10device_ptrIxEEEEPS5_m14custom_greaterIxEEE10hipError_tT0_T1_T2_jT3_P12ihipStream_tbPNSt15iterator_traitsISJ_E10value_typeEPNSP_ISK_E10value_typeEPSL_NS1_7vsmem_tEENKUlT_SJ_SK_SL_E_clIPxSE_SF_SF_EESI_SY_SJ_SK_SL_EUlSY_E_NS1_11comp_targetILNS1_3genE4ELNS1_11target_archE910ELNS1_3gpuE8ELNS1_3repE0EEENS1_48merge_mergepath_partition_config_static_selectorELNS0_4arch9wavefront6targetE1EEEvSK_ ; -- Begin function _ZN7rocprim17ROCPRIM_400000_NS6detail17trampoline_kernelINS0_14default_configENS1_38merge_sort_block_merge_config_selectorIxNS0_10empty_typeEEEZZNS1_27merge_sort_block_merge_implIS3_N6thrust23THRUST_200600_302600_NS6detail15normal_iteratorINS9_10device_ptrIxEEEEPS5_m14custom_greaterIxEEE10hipError_tT0_T1_T2_jT3_P12ihipStream_tbPNSt15iterator_traitsISJ_E10value_typeEPNSP_ISK_E10value_typeEPSL_NS1_7vsmem_tEENKUlT_SJ_SK_SL_E_clIPxSE_SF_SF_EESI_SY_SJ_SK_SL_EUlSY_E_NS1_11comp_targetILNS1_3genE4ELNS1_11target_archE910ELNS1_3gpuE8ELNS1_3repE0EEENS1_48merge_mergepath_partition_config_static_selectorELNS0_4arch9wavefront6targetE1EEEvSK_
	.globl	_ZN7rocprim17ROCPRIM_400000_NS6detail17trampoline_kernelINS0_14default_configENS1_38merge_sort_block_merge_config_selectorIxNS0_10empty_typeEEEZZNS1_27merge_sort_block_merge_implIS3_N6thrust23THRUST_200600_302600_NS6detail15normal_iteratorINS9_10device_ptrIxEEEEPS5_m14custom_greaterIxEEE10hipError_tT0_T1_T2_jT3_P12ihipStream_tbPNSt15iterator_traitsISJ_E10value_typeEPNSP_ISK_E10value_typeEPSL_NS1_7vsmem_tEENKUlT_SJ_SK_SL_E_clIPxSE_SF_SF_EESI_SY_SJ_SK_SL_EUlSY_E_NS1_11comp_targetILNS1_3genE4ELNS1_11target_archE910ELNS1_3gpuE8ELNS1_3repE0EEENS1_48merge_mergepath_partition_config_static_selectorELNS0_4arch9wavefront6targetE1EEEvSK_
	.p2align	8
	.type	_ZN7rocprim17ROCPRIM_400000_NS6detail17trampoline_kernelINS0_14default_configENS1_38merge_sort_block_merge_config_selectorIxNS0_10empty_typeEEEZZNS1_27merge_sort_block_merge_implIS3_N6thrust23THRUST_200600_302600_NS6detail15normal_iteratorINS9_10device_ptrIxEEEEPS5_m14custom_greaterIxEEE10hipError_tT0_T1_T2_jT3_P12ihipStream_tbPNSt15iterator_traitsISJ_E10value_typeEPNSP_ISK_E10value_typeEPSL_NS1_7vsmem_tEENKUlT_SJ_SK_SL_E_clIPxSE_SF_SF_EESI_SY_SJ_SK_SL_EUlSY_E_NS1_11comp_targetILNS1_3genE4ELNS1_11target_archE910ELNS1_3gpuE8ELNS1_3repE0EEENS1_48merge_mergepath_partition_config_static_selectorELNS0_4arch9wavefront6targetE1EEEvSK_,@function
_ZN7rocprim17ROCPRIM_400000_NS6detail17trampoline_kernelINS0_14default_configENS1_38merge_sort_block_merge_config_selectorIxNS0_10empty_typeEEEZZNS1_27merge_sort_block_merge_implIS3_N6thrust23THRUST_200600_302600_NS6detail15normal_iteratorINS9_10device_ptrIxEEEEPS5_m14custom_greaterIxEEE10hipError_tT0_T1_T2_jT3_P12ihipStream_tbPNSt15iterator_traitsISJ_E10value_typeEPNSP_ISK_E10value_typeEPSL_NS1_7vsmem_tEENKUlT_SJ_SK_SL_E_clIPxSE_SF_SF_EESI_SY_SJ_SK_SL_EUlSY_E_NS1_11comp_targetILNS1_3genE4ELNS1_11target_archE910ELNS1_3gpuE8ELNS1_3repE0EEENS1_48merge_mergepath_partition_config_static_selectorELNS0_4arch9wavefront6targetE1EEEvSK_: ; @_ZN7rocprim17ROCPRIM_400000_NS6detail17trampoline_kernelINS0_14default_configENS1_38merge_sort_block_merge_config_selectorIxNS0_10empty_typeEEEZZNS1_27merge_sort_block_merge_implIS3_N6thrust23THRUST_200600_302600_NS6detail15normal_iteratorINS9_10device_ptrIxEEEEPS5_m14custom_greaterIxEEE10hipError_tT0_T1_T2_jT3_P12ihipStream_tbPNSt15iterator_traitsISJ_E10value_typeEPNSP_ISK_E10value_typeEPSL_NS1_7vsmem_tEENKUlT_SJ_SK_SL_E_clIPxSE_SF_SF_EESI_SY_SJ_SK_SL_EUlSY_E_NS1_11comp_targetILNS1_3genE4ELNS1_11target_archE910ELNS1_3gpuE8ELNS1_3repE0EEENS1_48merge_mergepath_partition_config_static_selectorELNS0_4arch9wavefront6targetE1EEEvSK_
; %bb.0:
	s_load_dword s0, s[4:5], 0x0
	v_lshl_or_b32 v0, s6, 7, v0
	s_waitcnt lgkmcnt(0)
	v_cmp_gt_u32_e32 vcc, s0, v0
	s_and_saveexec_b64 s[0:1], vcc
	s_cbranch_execz .LBB3391_6
; %bb.1:
	s_load_dwordx4 s[0:3], s[4:5], 0x8
	s_load_dwordx2 s[6:7], s[4:5], 0x28
	v_mov_b32_e32 v5, 0
	s_waitcnt lgkmcnt(0)
	v_mov_b32_e32 v1, s0
	v_alignbit_b32 v1, s1, v1, 9
	v_and_b32_e32 v1, -2, v1
	v_add_u32_e32 v2, -1, v1
	v_sub_u32_e32 v1, 0, v1
	v_and_b32_e32 v4, v0, v1
	v_lshlrev_b64 v[8:9], 10, v[4:5]
	v_mov_b32_e32 v1, s3
	v_cmp_lt_u64_e32 vcc, s[2:3], v[8:9]
	v_mov_b32_e32 v4, s2
	v_and_b32_e32 v6, v2, v0
	v_cndmask_b32_e32 v3, v9, v1, vcc
	v_cndmask_b32_e32 v2, v8, v4, vcc
	v_mov_b32_e32 v7, s1
	v_add_co_u32_e32 v8, vcc, s0, v8
	v_addc_co_u32_e32 v9, vcc, v9, v7, vcc
	v_cmp_lt_u64_e32 vcc, s[2:3], v[8:9]
	v_cndmask_b32_e32 v8, v8, v4, vcc
	v_cndmask_b32_e32 v9, v9, v1, vcc
	v_add_co_u32_e32 v10, vcc, s0, v8
	v_addc_co_u32_e32 v11, vcc, v9, v7, vcc
	v_cmp_lt_u64_e32 vcc, s[2:3], v[10:11]
	v_cndmask_b32_e32 v12, v10, v4, vcc
	v_cndmask_b32_e32 v1, v11, v1, vcc
	v_sub_co_u32_e32 v10, vcc, v12, v2
	v_mov_b32_e32 v7, v5
	v_subb_co_u32_e32 v11, vcc, v1, v3, vcc
	v_lshlrev_b64 v[4:5], 10, v[6:7]
	v_cmp_lt_u64_e32 vcc, v[10:11], v[4:5]
	v_cndmask_b32_e32 v11, v5, v11, vcc
	v_cndmask_b32_e32 v10, v4, v10, vcc
	v_sub_co_u32_e32 v6, vcc, v8, v2
	v_subb_co_u32_e32 v7, vcc, v9, v3, vcc
	v_sub_co_u32_e32 v4, vcc, v8, v12
	v_subb_co_u32_e32 v1, vcc, v9, v1, vcc
	v_add_co_u32_e32 v4, vcc, v10, v4
	v_addc_co_u32_e32 v5, vcc, v11, v1, vcc
	v_cmp_gt_u64_e32 vcc, v[4:5], v[10:11]
	v_cndmask_b32_e64 v5, v5, 0, vcc
	v_cndmask_b32_e64 v4, v4, 0, vcc
	v_cmp_lt_u64_e32 vcc, v[10:11], v[6:7]
	v_cndmask_b32_e32 v7, v7, v11, vcc
	v_cndmask_b32_e32 v6, v6, v10, vcc
	v_cmp_lt_u64_e32 vcc, v[4:5], v[6:7]
	s_and_saveexec_b64 s[0:1], vcc
	s_cbranch_execz .LBB3391_5
; %bb.2:
	s_load_dwordx2 s[2:3], s[4:5], 0x18
	v_lshlrev_b64 v[12:13], 3, v[2:3]
	v_lshlrev_b64 v[8:9], 3, v[8:9]
	s_waitcnt lgkmcnt(0)
	v_mov_b32_e32 v14, s3
	v_add_co_u32_e32 v1, vcc, s2, v12
	v_addc_co_u32_e32 v12, vcc, v14, v13, vcc
	v_add_co_u32_e32 v13, vcc, s2, v8
	v_addc_co_u32_e32 v14, vcc, v14, v9, vcc
	v_lshlrev_b64 v[8:9], 3, v[10:11]
	v_add_co_u32_e32 v8, vcc, v13, v8
	v_addc_co_u32_e32 v9, vcc, v14, v9, vcc
	s_mov_b64 s[2:3], 0
.LBB3391_3:                             ; =>This Inner Loop Header: Depth=1
	v_add_co_u32_e32 v10, vcc, v6, v4
	v_addc_co_u32_e32 v11, vcc, v7, v5, vcc
	v_lshrrev_b64 v[10:11], 1, v[10:11]
	v_lshlrev_b64 v[16:17], 3, v[10:11]
	v_not_b32_e32 v15, v11
	v_not_b32_e32 v14, v10
	v_add_co_u32_e32 v16, vcc, v1, v16
	v_addc_co_u32_e32 v17, vcc, v12, v17, vcc
	v_lshlrev_b64 v[14:15], 3, v[14:15]
	v_add_co_u32_e32 v14, vcc, v8, v14
	v_addc_co_u32_e32 v15, vcc, v9, v15, vcc
	global_load_dwordx2 v[18:19], v[16:17], off
	global_load_dwordx2 v[20:21], v[14:15], off
	v_add_co_u32_e32 v13, vcc, 1, v10
	v_addc_co_u32_e32 v14, vcc, 0, v11, vcc
	s_waitcnt vmcnt(0)
	v_cmp_gt_i64_e32 vcc, v[18:19], v[20:21]
	v_cndmask_b32_e32 v7, v7, v11, vcc
	v_cndmask_b32_e32 v6, v6, v10, vcc
	;; [unrolled: 1-line block ×4, first 2 shown]
	v_cmp_ge_u64_e32 vcc, v[4:5], v[6:7]
	s_or_b64 s[2:3], vcc, s[2:3]
	s_andn2_b64 exec, exec, s[2:3]
	s_cbranch_execnz .LBB3391_3
; %bb.4:
	s_or_b64 exec, exec, s[2:3]
.LBB3391_5:
	s_or_b64 exec, exec, s[0:1]
	v_add_co_u32_e32 v2, vcc, v4, v2
	v_mov_b32_e32 v1, 0
	v_addc_co_u32_e32 v3, vcc, v5, v3, vcc
	v_lshlrev_b64 v[0:1], 3, v[0:1]
	v_mov_b32_e32 v4, s7
	v_add_co_u32_e32 v0, vcc, s6, v0
	v_addc_co_u32_e32 v1, vcc, v4, v1, vcc
	global_store_dwordx2 v[0:1], v[2:3], off
.LBB3391_6:
	s_endpgm
	.section	.rodata,"a",@progbits
	.p2align	6, 0x0
	.amdhsa_kernel _ZN7rocprim17ROCPRIM_400000_NS6detail17trampoline_kernelINS0_14default_configENS1_38merge_sort_block_merge_config_selectorIxNS0_10empty_typeEEEZZNS1_27merge_sort_block_merge_implIS3_N6thrust23THRUST_200600_302600_NS6detail15normal_iteratorINS9_10device_ptrIxEEEEPS5_m14custom_greaterIxEEE10hipError_tT0_T1_T2_jT3_P12ihipStream_tbPNSt15iterator_traitsISJ_E10value_typeEPNSP_ISK_E10value_typeEPSL_NS1_7vsmem_tEENKUlT_SJ_SK_SL_E_clIPxSE_SF_SF_EESI_SY_SJ_SK_SL_EUlSY_E_NS1_11comp_targetILNS1_3genE4ELNS1_11target_archE910ELNS1_3gpuE8ELNS1_3repE0EEENS1_48merge_mergepath_partition_config_static_selectorELNS0_4arch9wavefront6targetE1EEEvSK_
		.amdhsa_group_segment_fixed_size 0
		.amdhsa_private_segment_fixed_size 0
		.amdhsa_kernarg_size 48
		.amdhsa_user_sgpr_count 6
		.amdhsa_user_sgpr_private_segment_buffer 1
		.amdhsa_user_sgpr_dispatch_ptr 0
		.amdhsa_user_sgpr_queue_ptr 0
		.amdhsa_user_sgpr_kernarg_segment_ptr 1
		.amdhsa_user_sgpr_dispatch_id 0
		.amdhsa_user_sgpr_flat_scratch_init 0
		.amdhsa_user_sgpr_kernarg_preload_length 0
		.amdhsa_user_sgpr_kernarg_preload_offset 0
		.amdhsa_user_sgpr_private_segment_size 0
		.amdhsa_uses_dynamic_stack 0
		.amdhsa_system_sgpr_private_segment_wavefront_offset 0
		.amdhsa_system_sgpr_workgroup_id_x 1
		.amdhsa_system_sgpr_workgroup_id_y 0
		.amdhsa_system_sgpr_workgroup_id_z 0
		.amdhsa_system_sgpr_workgroup_info 0
		.amdhsa_system_vgpr_workitem_id 0
		.amdhsa_next_free_vgpr 22
		.amdhsa_next_free_sgpr 8
		.amdhsa_accum_offset 24
		.amdhsa_reserve_vcc 1
		.amdhsa_reserve_flat_scratch 0
		.amdhsa_float_round_mode_32 0
		.amdhsa_float_round_mode_16_64 0
		.amdhsa_float_denorm_mode_32 3
		.amdhsa_float_denorm_mode_16_64 3
		.amdhsa_dx10_clamp 1
		.amdhsa_ieee_mode 1
		.amdhsa_fp16_overflow 0
		.amdhsa_tg_split 0
		.amdhsa_exception_fp_ieee_invalid_op 0
		.amdhsa_exception_fp_denorm_src 0
		.amdhsa_exception_fp_ieee_div_zero 0
		.amdhsa_exception_fp_ieee_overflow 0
		.amdhsa_exception_fp_ieee_underflow 0
		.amdhsa_exception_fp_ieee_inexact 0
		.amdhsa_exception_int_div_zero 0
	.end_amdhsa_kernel
	.section	.text._ZN7rocprim17ROCPRIM_400000_NS6detail17trampoline_kernelINS0_14default_configENS1_38merge_sort_block_merge_config_selectorIxNS0_10empty_typeEEEZZNS1_27merge_sort_block_merge_implIS3_N6thrust23THRUST_200600_302600_NS6detail15normal_iteratorINS9_10device_ptrIxEEEEPS5_m14custom_greaterIxEEE10hipError_tT0_T1_T2_jT3_P12ihipStream_tbPNSt15iterator_traitsISJ_E10value_typeEPNSP_ISK_E10value_typeEPSL_NS1_7vsmem_tEENKUlT_SJ_SK_SL_E_clIPxSE_SF_SF_EESI_SY_SJ_SK_SL_EUlSY_E_NS1_11comp_targetILNS1_3genE4ELNS1_11target_archE910ELNS1_3gpuE8ELNS1_3repE0EEENS1_48merge_mergepath_partition_config_static_selectorELNS0_4arch9wavefront6targetE1EEEvSK_,"axG",@progbits,_ZN7rocprim17ROCPRIM_400000_NS6detail17trampoline_kernelINS0_14default_configENS1_38merge_sort_block_merge_config_selectorIxNS0_10empty_typeEEEZZNS1_27merge_sort_block_merge_implIS3_N6thrust23THRUST_200600_302600_NS6detail15normal_iteratorINS9_10device_ptrIxEEEEPS5_m14custom_greaterIxEEE10hipError_tT0_T1_T2_jT3_P12ihipStream_tbPNSt15iterator_traitsISJ_E10value_typeEPNSP_ISK_E10value_typeEPSL_NS1_7vsmem_tEENKUlT_SJ_SK_SL_E_clIPxSE_SF_SF_EESI_SY_SJ_SK_SL_EUlSY_E_NS1_11comp_targetILNS1_3genE4ELNS1_11target_archE910ELNS1_3gpuE8ELNS1_3repE0EEENS1_48merge_mergepath_partition_config_static_selectorELNS0_4arch9wavefront6targetE1EEEvSK_,comdat
.Lfunc_end3391:
	.size	_ZN7rocprim17ROCPRIM_400000_NS6detail17trampoline_kernelINS0_14default_configENS1_38merge_sort_block_merge_config_selectorIxNS0_10empty_typeEEEZZNS1_27merge_sort_block_merge_implIS3_N6thrust23THRUST_200600_302600_NS6detail15normal_iteratorINS9_10device_ptrIxEEEEPS5_m14custom_greaterIxEEE10hipError_tT0_T1_T2_jT3_P12ihipStream_tbPNSt15iterator_traitsISJ_E10value_typeEPNSP_ISK_E10value_typeEPSL_NS1_7vsmem_tEENKUlT_SJ_SK_SL_E_clIPxSE_SF_SF_EESI_SY_SJ_SK_SL_EUlSY_E_NS1_11comp_targetILNS1_3genE4ELNS1_11target_archE910ELNS1_3gpuE8ELNS1_3repE0EEENS1_48merge_mergepath_partition_config_static_selectorELNS0_4arch9wavefront6targetE1EEEvSK_, .Lfunc_end3391-_ZN7rocprim17ROCPRIM_400000_NS6detail17trampoline_kernelINS0_14default_configENS1_38merge_sort_block_merge_config_selectorIxNS0_10empty_typeEEEZZNS1_27merge_sort_block_merge_implIS3_N6thrust23THRUST_200600_302600_NS6detail15normal_iteratorINS9_10device_ptrIxEEEEPS5_m14custom_greaterIxEEE10hipError_tT0_T1_T2_jT3_P12ihipStream_tbPNSt15iterator_traitsISJ_E10value_typeEPNSP_ISK_E10value_typeEPSL_NS1_7vsmem_tEENKUlT_SJ_SK_SL_E_clIPxSE_SF_SF_EESI_SY_SJ_SK_SL_EUlSY_E_NS1_11comp_targetILNS1_3genE4ELNS1_11target_archE910ELNS1_3gpuE8ELNS1_3repE0EEENS1_48merge_mergepath_partition_config_static_selectorELNS0_4arch9wavefront6targetE1EEEvSK_
                                        ; -- End function
	.section	.AMDGPU.csdata,"",@progbits
; Kernel info:
; codeLenInByte = 500
; NumSgprs: 12
; NumVgprs: 22
; NumAgprs: 0
; TotalNumVgprs: 22
; ScratchSize: 0
; MemoryBound: 0
; FloatMode: 240
; IeeeMode: 1
; LDSByteSize: 0 bytes/workgroup (compile time only)
; SGPRBlocks: 1
; VGPRBlocks: 2
; NumSGPRsForWavesPerEU: 12
; NumVGPRsForWavesPerEU: 22
; AccumOffset: 24
; Occupancy: 8
; WaveLimiterHint : 0
; COMPUTE_PGM_RSRC2:SCRATCH_EN: 0
; COMPUTE_PGM_RSRC2:USER_SGPR: 6
; COMPUTE_PGM_RSRC2:TRAP_HANDLER: 0
; COMPUTE_PGM_RSRC2:TGID_X_EN: 1
; COMPUTE_PGM_RSRC2:TGID_Y_EN: 0
; COMPUTE_PGM_RSRC2:TGID_Z_EN: 0
; COMPUTE_PGM_RSRC2:TIDIG_COMP_CNT: 0
; COMPUTE_PGM_RSRC3_GFX90A:ACCUM_OFFSET: 5
; COMPUTE_PGM_RSRC3_GFX90A:TG_SPLIT: 0
	.section	.text._ZN7rocprim17ROCPRIM_400000_NS6detail17trampoline_kernelINS0_14default_configENS1_38merge_sort_block_merge_config_selectorIxNS0_10empty_typeEEEZZNS1_27merge_sort_block_merge_implIS3_N6thrust23THRUST_200600_302600_NS6detail15normal_iteratorINS9_10device_ptrIxEEEEPS5_m14custom_greaterIxEEE10hipError_tT0_T1_T2_jT3_P12ihipStream_tbPNSt15iterator_traitsISJ_E10value_typeEPNSP_ISK_E10value_typeEPSL_NS1_7vsmem_tEENKUlT_SJ_SK_SL_E_clIPxSE_SF_SF_EESI_SY_SJ_SK_SL_EUlSY_E_NS1_11comp_targetILNS1_3genE3ELNS1_11target_archE908ELNS1_3gpuE7ELNS1_3repE0EEENS1_48merge_mergepath_partition_config_static_selectorELNS0_4arch9wavefront6targetE1EEEvSK_,"axG",@progbits,_ZN7rocprim17ROCPRIM_400000_NS6detail17trampoline_kernelINS0_14default_configENS1_38merge_sort_block_merge_config_selectorIxNS0_10empty_typeEEEZZNS1_27merge_sort_block_merge_implIS3_N6thrust23THRUST_200600_302600_NS6detail15normal_iteratorINS9_10device_ptrIxEEEEPS5_m14custom_greaterIxEEE10hipError_tT0_T1_T2_jT3_P12ihipStream_tbPNSt15iterator_traitsISJ_E10value_typeEPNSP_ISK_E10value_typeEPSL_NS1_7vsmem_tEENKUlT_SJ_SK_SL_E_clIPxSE_SF_SF_EESI_SY_SJ_SK_SL_EUlSY_E_NS1_11comp_targetILNS1_3genE3ELNS1_11target_archE908ELNS1_3gpuE7ELNS1_3repE0EEENS1_48merge_mergepath_partition_config_static_selectorELNS0_4arch9wavefront6targetE1EEEvSK_,comdat
	.protected	_ZN7rocprim17ROCPRIM_400000_NS6detail17trampoline_kernelINS0_14default_configENS1_38merge_sort_block_merge_config_selectorIxNS0_10empty_typeEEEZZNS1_27merge_sort_block_merge_implIS3_N6thrust23THRUST_200600_302600_NS6detail15normal_iteratorINS9_10device_ptrIxEEEEPS5_m14custom_greaterIxEEE10hipError_tT0_T1_T2_jT3_P12ihipStream_tbPNSt15iterator_traitsISJ_E10value_typeEPNSP_ISK_E10value_typeEPSL_NS1_7vsmem_tEENKUlT_SJ_SK_SL_E_clIPxSE_SF_SF_EESI_SY_SJ_SK_SL_EUlSY_E_NS1_11comp_targetILNS1_3genE3ELNS1_11target_archE908ELNS1_3gpuE7ELNS1_3repE0EEENS1_48merge_mergepath_partition_config_static_selectorELNS0_4arch9wavefront6targetE1EEEvSK_ ; -- Begin function _ZN7rocprim17ROCPRIM_400000_NS6detail17trampoline_kernelINS0_14default_configENS1_38merge_sort_block_merge_config_selectorIxNS0_10empty_typeEEEZZNS1_27merge_sort_block_merge_implIS3_N6thrust23THRUST_200600_302600_NS6detail15normal_iteratorINS9_10device_ptrIxEEEEPS5_m14custom_greaterIxEEE10hipError_tT0_T1_T2_jT3_P12ihipStream_tbPNSt15iterator_traitsISJ_E10value_typeEPNSP_ISK_E10value_typeEPSL_NS1_7vsmem_tEENKUlT_SJ_SK_SL_E_clIPxSE_SF_SF_EESI_SY_SJ_SK_SL_EUlSY_E_NS1_11comp_targetILNS1_3genE3ELNS1_11target_archE908ELNS1_3gpuE7ELNS1_3repE0EEENS1_48merge_mergepath_partition_config_static_selectorELNS0_4arch9wavefront6targetE1EEEvSK_
	.globl	_ZN7rocprim17ROCPRIM_400000_NS6detail17trampoline_kernelINS0_14default_configENS1_38merge_sort_block_merge_config_selectorIxNS0_10empty_typeEEEZZNS1_27merge_sort_block_merge_implIS3_N6thrust23THRUST_200600_302600_NS6detail15normal_iteratorINS9_10device_ptrIxEEEEPS5_m14custom_greaterIxEEE10hipError_tT0_T1_T2_jT3_P12ihipStream_tbPNSt15iterator_traitsISJ_E10value_typeEPNSP_ISK_E10value_typeEPSL_NS1_7vsmem_tEENKUlT_SJ_SK_SL_E_clIPxSE_SF_SF_EESI_SY_SJ_SK_SL_EUlSY_E_NS1_11comp_targetILNS1_3genE3ELNS1_11target_archE908ELNS1_3gpuE7ELNS1_3repE0EEENS1_48merge_mergepath_partition_config_static_selectorELNS0_4arch9wavefront6targetE1EEEvSK_
	.p2align	8
	.type	_ZN7rocprim17ROCPRIM_400000_NS6detail17trampoline_kernelINS0_14default_configENS1_38merge_sort_block_merge_config_selectorIxNS0_10empty_typeEEEZZNS1_27merge_sort_block_merge_implIS3_N6thrust23THRUST_200600_302600_NS6detail15normal_iteratorINS9_10device_ptrIxEEEEPS5_m14custom_greaterIxEEE10hipError_tT0_T1_T2_jT3_P12ihipStream_tbPNSt15iterator_traitsISJ_E10value_typeEPNSP_ISK_E10value_typeEPSL_NS1_7vsmem_tEENKUlT_SJ_SK_SL_E_clIPxSE_SF_SF_EESI_SY_SJ_SK_SL_EUlSY_E_NS1_11comp_targetILNS1_3genE3ELNS1_11target_archE908ELNS1_3gpuE7ELNS1_3repE0EEENS1_48merge_mergepath_partition_config_static_selectorELNS0_4arch9wavefront6targetE1EEEvSK_,@function
_ZN7rocprim17ROCPRIM_400000_NS6detail17trampoline_kernelINS0_14default_configENS1_38merge_sort_block_merge_config_selectorIxNS0_10empty_typeEEEZZNS1_27merge_sort_block_merge_implIS3_N6thrust23THRUST_200600_302600_NS6detail15normal_iteratorINS9_10device_ptrIxEEEEPS5_m14custom_greaterIxEEE10hipError_tT0_T1_T2_jT3_P12ihipStream_tbPNSt15iterator_traitsISJ_E10value_typeEPNSP_ISK_E10value_typeEPSL_NS1_7vsmem_tEENKUlT_SJ_SK_SL_E_clIPxSE_SF_SF_EESI_SY_SJ_SK_SL_EUlSY_E_NS1_11comp_targetILNS1_3genE3ELNS1_11target_archE908ELNS1_3gpuE7ELNS1_3repE0EEENS1_48merge_mergepath_partition_config_static_selectorELNS0_4arch9wavefront6targetE1EEEvSK_: ; @_ZN7rocprim17ROCPRIM_400000_NS6detail17trampoline_kernelINS0_14default_configENS1_38merge_sort_block_merge_config_selectorIxNS0_10empty_typeEEEZZNS1_27merge_sort_block_merge_implIS3_N6thrust23THRUST_200600_302600_NS6detail15normal_iteratorINS9_10device_ptrIxEEEEPS5_m14custom_greaterIxEEE10hipError_tT0_T1_T2_jT3_P12ihipStream_tbPNSt15iterator_traitsISJ_E10value_typeEPNSP_ISK_E10value_typeEPSL_NS1_7vsmem_tEENKUlT_SJ_SK_SL_E_clIPxSE_SF_SF_EESI_SY_SJ_SK_SL_EUlSY_E_NS1_11comp_targetILNS1_3genE3ELNS1_11target_archE908ELNS1_3gpuE7ELNS1_3repE0EEENS1_48merge_mergepath_partition_config_static_selectorELNS0_4arch9wavefront6targetE1EEEvSK_
; %bb.0:
	.section	.rodata,"a",@progbits
	.p2align	6, 0x0
	.amdhsa_kernel _ZN7rocprim17ROCPRIM_400000_NS6detail17trampoline_kernelINS0_14default_configENS1_38merge_sort_block_merge_config_selectorIxNS0_10empty_typeEEEZZNS1_27merge_sort_block_merge_implIS3_N6thrust23THRUST_200600_302600_NS6detail15normal_iteratorINS9_10device_ptrIxEEEEPS5_m14custom_greaterIxEEE10hipError_tT0_T1_T2_jT3_P12ihipStream_tbPNSt15iterator_traitsISJ_E10value_typeEPNSP_ISK_E10value_typeEPSL_NS1_7vsmem_tEENKUlT_SJ_SK_SL_E_clIPxSE_SF_SF_EESI_SY_SJ_SK_SL_EUlSY_E_NS1_11comp_targetILNS1_3genE3ELNS1_11target_archE908ELNS1_3gpuE7ELNS1_3repE0EEENS1_48merge_mergepath_partition_config_static_selectorELNS0_4arch9wavefront6targetE1EEEvSK_
		.amdhsa_group_segment_fixed_size 0
		.amdhsa_private_segment_fixed_size 0
		.amdhsa_kernarg_size 48
		.amdhsa_user_sgpr_count 6
		.amdhsa_user_sgpr_private_segment_buffer 1
		.amdhsa_user_sgpr_dispatch_ptr 0
		.amdhsa_user_sgpr_queue_ptr 0
		.amdhsa_user_sgpr_kernarg_segment_ptr 1
		.amdhsa_user_sgpr_dispatch_id 0
		.amdhsa_user_sgpr_flat_scratch_init 0
		.amdhsa_user_sgpr_kernarg_preload_length 0
		.amdhsa_user_sgpr_kernarg_preload_offset 0
		.amdhsa_user_sgpr_private_segment_size 0
		.amdhsa_uses_dynamic_stack 0
		.amdhsa_system_sgpr_private_segment_wavefront_offset 0
		.amdhsa_system_sgpr_workgroup_id_x 1
		.amdhsa_system_sgpr_workgroup_id_y 0
		.amdhsa_system_sgpr_workgroup_id_z 0
		.amdhsa_system_sgpr_workgroup_info 0
		.amdhsa_system_vgpr_workitem_id 0
		.amdhsa_next_free_vgpr 1
		.amdhsa_next_free_sgpr 0
		.amdhsa_accum_offset 4
		.amdhsa_reserve_vcc 0
		.amdhsa_reserve_flat_scratch 0
		.amdhsa_float_round_mode_32 0
		.amdhsa_float_round_mode_16_64 0
		.amdhsa_float_denorm_mode_32 3
		.amdhsa_float_denorm_mode_16_64 3
		.amdhsa_dx10_clamp 1
		.amdhsa_ieee_mode 1
		.amdhsa_fp16_overflow 0
		.amdhsa_tg_split 0
		.amdhsa_exception_fp_ieee_invalid_op 0
		.amdhsa_exception_fp_denorm_src 0
		.amdhsa_exception_fp_ieee_div_zero 0
		.amdhsa_exception_fp_ieee_overflow 0
		.amdhsa_exception_fp_ieee_underflow 0
		.amdhsa_exception_fp_ieee_inexact 0
		.amdhsa_exception_int_div_zero 0
	.end_amdhsa_kernel
	.section	.text._ZN7rocprim17ROCPRIM_400000_NS6detail17trampoline_kernelINS0_14default_configENS1_38merge_sort_block_merge_config_selectorIxNS0_10empty_typeEEEZZNS1_27merge_sort_block_merge_implIS3_N6thrust23THRUST_200600_302600_NS6detail15normal_iteratorINS9_10device_ptrIxEEEEPS5_m14custom_greaterIxEEE10hipError_tT0_T1_T2_jT3_P12ihipStream_tbPNSt15iterator_traitsISJ_E10value_typeEPNSP_ISK_E10value_typeEPSL_NS1_7vsmem_tEENKUlT_SJ_SK_SL_E_clIPxSE_SF_SF_EESI_SY_SJ_SK_SL_EUlSY_E_NS1_11comp_targetILNS1_3genE3ELNS1_11target_archE908ELNS1_3gpuE7ELNS1_3repE0EEENS1_48merge_mergepath_partition_config_static_selectorELNS0_4arch9wavefront6targetE1EEEvSK_,"axG",@progbits,_ZN7rocprim17ROCPRIM_400000_NS6detail17trampoline_kernelINS0_14default_configENS1_38merge_sort_block_merge_config_selectorIxNS0_10empty_typeEEEZZNS1_27merge_sort_block_merge_implIS3_N6thrust23THRUST_200600_302600_NS6detail15normal_iteratorINS9_10device_ptrIxEEEEPS5_m14custom_greaterIxEEE10hipError_tT0_T1_T2_jT3_P12ihipStream_tbPNSt15iterator_traitsISJ_E10value_typeEPNSP_ISK_E10value_typeEPSL_NS1_7vsmem_tEENKUlT_SJ_SK_SL_E_clIPxSE_SF_SF_EESI_SY_SJ_SK_SL_EUlSY_E_NS1_11comp_targetILNS1_3genE3ELNS1_11target_archE908ELNS1_3gpuE7ELNS1_3repE0EEENS1_48merge_mergepath_partition_config_static_selectorELNS0_4arch9wavefront6targetE1EEEvSK_,comdat
.Lfunc_end3392:
	.size	_ZN7rocprim17ROCPRIM_400000_NS6detail17trampoline_kernelINS0_14default_configENS1_38merge_sort_block_merge_config_selectorIxNS0_10empty_typeEEEZZNS1_27merge_sort_block_merge_implIS3_N6thrust23THRUST_200600_302600_NS6detail15normal_iteratorINS9_10device_ptrIxEEEEPS5_m14custom_greaterIxEEE10hipError_tT0_T1_T2_jT3_P12ihipStream_tbPNSt15iterator_traitsISJ_E10value_typeEPNSP_ISK_E10value_typeEPSL_NS1_7vsmem_tEENKUlT_SJ_SK_SL_E_clIPxSE_SF_SF_EESI_SY_SJ_SK_SL_EUlSY_E_NS1_11comp_targetILNS1_3genE3ELNS1_11target_archE908ELNS1_3gpuE7ELNS1_3repE0EEENS1_48merge_mergepath_partition_config_static_selectorELNS0_4arch9wavefront6targetE1EEEvSK_, .Lfunc_end3392-_ZN7rocprim17ROCPRIM_400000_NS6detail17trampoline_kernelINS0_14default_configENS1_38merge_sort_block_merge_config_selectorIxNS0_10empty_typeEEEZZNS1_27merge_sort_block_merge_implIS3_N6thrust23THRUST_200600_302600_NS6detail15normal_iteratorINS9_10device_ptrIxEEEEPS5_m14custom_greaterIxEEE10hipError_tT0_T1_T2_jT3_P12ihipStream_tbPNSt15iterator_traitsISJ_E10value_typeEPNSP_ISK_E10value_typeEPSL_NS1_7vsmem_tEENKUlT_SJ_SK_SL_E_clIPxSE_SF_SF_EESI_SY_SJ_SK_SL_EUlSY_E_NS1_11comp_targetILNS1_3genE3ELNS1_11target_archE908ELNS1_3gpuE7ELNS1_3repE0EEENS1_48merge_mergepath_partition_config_static_selectorELNS0_4arch9wavefront6targetE1EEEvSK_
                                        ; -- End function
	.section	.AMDGPU.csdata,"",@progbits
; Kernel info:
; codeLenInByte = 0
; NumSgprs: 4
; NumVgprs: 0
; NumAgprs: 0
; TotalNumVgprs: 0
; ScratchSize: 0
; MemoryBound: 0
; FloatMode: 240
; IeeeMode: 1
; LDSByteSize: 0 bytes/workgroup (compile time only)
; SGPRBlocks: 0
; VGPRBlocks: 0
; NumSGPRsForWavesPerEU: 4
; NumVGPRsForWavesPerEU: 1
; AccumOffset: 4
; Occupancy: 8
; WaveLimiterHint : 0
; COMPUTE_PGM_RSRC2:SCRATCH_EN: 0
; COMPUTE_PGM_RSRC2:USER_SGPR: 6
; COMPUTE_PGM_RSRC2:TRAP_HANDLER: 0
; COMPUTE_PGM_RSRC2:TGID_X_EN: 1
; COMPUTE_PGM_RSRC2:TGID_Y_EN: 0
; COMPUTE_PGM_RSRC2:TGID_Z_EN: 0
; COMPUTE_PGM_RSRC2:TIDIG_COMP_CNT: 0
; COMPUTE_PGM_RSRC3_GFX90A:ACCUM_OFFSET: 0
; COMPUTE_PGM_RSRC3_GFX90A:TG_SPLIT: 0
	.section	.text._ZN7rocprim17ROCPRIM_400000_NS6detail17trampoline_kernelINS0_14default_configENS1_38merge_sort_block_merge_config_selectorIxNS0_10empty_typeEEEZZNS1_27merge_sort_block_merge_implIS3_N6thrust23THRUST_200600_302600_NS6detail15normal_iteratorINS9_10device_ptrIxEEEEPS5_m14custom_greaterIxEEE10hipError_tT0_T1_T2_jT3_P12ihipStream_tbPNSt15iterator_traitsISJ_E10value_typeEPNSP_ISK_E10value_typeEPSL_NS1_7vsmem_tEENKUlT_SJ_SK_SL_E_clIPxSE_SF_SF_EESI_SY_SJ_SK_SL_EUlSY_E_NS1_11comp_targetILNS1_3genE2ELNS1_11target_archE906ELNS1_3gpuE6ELNS1_3repE0EEENS1_48merge_mergepath_partition_config_static_selectorELNS0_4arch9wavefront6targetE1EEEvSK_,"axG",@progbits,_ZN7rocprim17ROCPRIM_400000_NS6detail17trampoline_kernelINS0_14default_configENS1_38merge_sort_block_merge_config_selectorIxNS0_10empty_typeEEEZZNS1_27merge_sort_block_merge_implIS3_N6thrust23THRUST_200600_302600_NS6detail15normal_iteratorINS9_10device_ptrIxEEEEPS5_m14custom_greaterIxEEE10hipError_tT0_T1_T2_jT3_P12ihipStream_tbPNSt15iterator_traitsISJ_E10value_typeEPNSP_ISK_E10value_typeEPSL_NS1_7vsmem_tEENKUlT_SJ_SK_SL_E_clIPxSE_SF_SF_EESI_SY_SJ_SK_SL_EUlSY_E_NS1_11comp_targetILNS1_3genE2ELNS1_11target_archE906ELNS1_3gpuE6ELNS1_3repE0EEENS1_48merge_mergepath_partition_config_static_selectorELNS0_4arch9wavefront6targetE1EEEvSK_,comdat
	.protected	_ZN7rocprim17ROCPRIM_400000_NS6detail17trampoline_kernelINS0_14default_configENS1_38merge_sort_block_merge_config_selectorIxNS0_10empty_typeEEEZZNS1_27merge_sort_block_merge_implIS3_N6thrust23THRUST_200600_302600_NS6detail15normal_iteratorINS9_10device_ptrIxEEEEPS5_m14custom_greaterIxEEE10hipError_tT0_T1_T2_jT3_P12ihipStream_tbPNSt15iterator_traitsISJ_E10value_typeEPNSP_ISK_E10value_typeEPSL_NS1_7vsmem_tEENKUlT_SJ_SK_SL_E_clIPxSE_SF_SF_EESI_SY_SJ_SK_SL_EUlSY_E_NS1_11comp_targetILNS1_3genE2ELNS1_11target_archE906ELNS1_3gpuE6ELNS1_3repE0EEENS1_48merge_mergepath_partition_config_static_selectorELNS0_4arch9wavefront6targetE1EEEvSK_ ; -- Begin function _ZN7rocprim17ROCPRIM_400000_NS6detail17trampoline_kernelINS0_14default_configENS1_38merge_sort_block_merge_config_selectorIxNS0_10empty_typeEEEZZNS1_27merge_sort_block_merge_implIS3_N6thrust23THRUST_200600_302600_NS6detail15normal_iteratorINS9_10device_ptrIxEEEEPS5_m14custom_greaterIxEEE10hipError_tT0_T1_T2_jT3_P12ihipStream_tbPNSt15iterator_traitsISJ_E10value_typeEPNSP_ISK_E10value_typeEPSL_NS1_7vsmem_tEENKUlT_SJ_SK_SL_E_clIPxSE_SF_SF_EESI_SY_SJ_SK_SL_EUlSY_E_NS1_11comp_targetILNS1_3genE2ELNS1_11target_archE906ELNS1_3gpuE6ELNS1_3repE0EEENS1_48merge_mergepath_partition_config_static_selectorELNS0_4arch9wavefront6targetE1EEEvSK_
	.globl	_ZN7rocprim17ROCPRIM_400000_NS6detail17trampoline_kernelINS0_14default_configENS1_38merge_sort_block_merge_config_selectorIxNS0_10empty_typeEEEZZNS1_27merge_sort_block_merge_implIS3_N6thrust23THRUST_200600_302600_NS6detail15normal_iteratorINS9_10device_ptrIxEEEEPS5_m14custom_greaterIxEEE10hipError_tT0_T1_T2_jT3_P12ihipStream_tbPNSt15iterator_traitsISJ_E10value_typeEPNSP_ISK_E10value_typeEPSL_NS1_7vsmem_tEENKUlT_SJ_SK_SL_E_clIPxSE_SF_SF_EESI_SY_SJ_SK_SL_EUlSY_E_NS1_11comp_targetILNS1_3genE2ELNS1_11target_archE906ELNS1_3gpuE6ELNS1_3repE0EEENS1_48merge_mergepath_partition_config_static_selectorELNS0_4arch9wavefront6targetE1EEEvSK_
	.p2align	8
	.type	_ZN7rocprim17ROCPRIM_400000_NS6detail17trampoline_kernelINS0_14default_configENS1_38merge_sort_block_merge_config_selectorIxNS0_10empty_typeEEEZZNS1_27merge_sort_block_merge_implIS3_N6thrust23THRUST_200600_302600_NS6detail15normal_iteratorINS9_10device_ptrIxEEEEPS5_m14custom_greaterIxEEE10hipError_tT0_T1_T2_jT3_P12ihipStream_tbPNSt15iterator_traitsISJ_E10value_typeEPNSP_ISK_E10value_typeEPSL_NS1_7vsmem_tEENKUlT_SJ_SK_SL_E_clIPxSE_SF_SF_EESI_SY_SJ_SK_SL_EUlSY_E_NS1_11comp_targetILNS1_3genE2ELNS1_11target_archE906ELNS1_3gpuE6ELNS1_3repE0EEENS1_48merge_mergepath_partition_config_static_selectorELNS0_4arch9wavefront6targetE1EEEvSK_,@function
_ZN7rocprim17ROCPRIM_400000_NS6detail17trampoline_kernelINS0_14default_configENS1_38merge_sort_block_merge_config_selectorIxNS0_10empty_typeEEEZZNS1_27merge_sort_block_merge_implIS3_N6thrust23THRUST_200600_302600_NS6detail15normal_iteratorINS9_10device_ptrIxEEEEPS5_m14custom_greaterIxEEE10hipError_tT0_T1_T2_jT3_P12ihipStream_tbPNSt15iterator_traitsISJ_E10value_typeEPNSP_ISK_E10value_typeEPSL_NS1_7vsmem_tEENKUlT_SJ_SK_SL_E_clIPxSE_SF_SF_EESI_SY_SJ_SK_SL_EUlSY_E_NS1_11comp_targetILNS1_3genE2ELNS1_11target_archE906ELNS1_3gpuE6ELNS1_3repE0EEENS1_48merge_mergepath_partition_config_static_selectorELNS0_4arch9wavefront6targetE1EEEvSK_: ; @_ZN7rocprim17ROCPRIM_400000_NS6detail17trampoline_kernelINS0_14default_configENS1_38merge_sort_block_merge_config_selectorIxNS0_10empty_typeEEEZZNS1_27merge_sort_block_merge_implIS3_N6thrust23THRUST_200600_302600_NS6detail15normal_iteratorINS9_10device_ptrIxEEEEPS5_m14custom_greaterIxEEE10hipError_tT0_T1_T2_jT3_P12ihipStream_tbPNSt15iterator_traitsISJ_E10value_typeEPNSP_ISK_E10value_typeEPSL_NS1_7vsmem_tEENKUlT_SJ_SK_SL_E_clIPxSE_SF_SF_EESI_SY_SJ_SK_SL_EUlSY_E_NS1_11comp_targetILNS1_3genE2ELNS1_11target_archE906ELNS1_3gpuE6ELNS1_3repE0EEENS1_48merge_mergepath_partition_config_static_selectorELNS0_4arch9wavefront6targetE1EEEvSK_
; %bb.0:
	.section	.rodata,"a",@progbits
	.p2align	6, 0x0
	.amdhsa_kernel _ZN7rocprim17ROCPRIM_400000_NS6detail17trampoline_kernelINS0_14default_configENS1_38merge_sort_block_merge_config_selectorIxNS0_10empty_typeEEEZZNS1_27merge_sort_block_merge_implIS3_N6thrust23THRUST_200600_302600_NS6detail15normal_iteratorINS9_10device_ptrIxEEEEPS5_m14custom_greaterIxEEE10hipError_tT0_T1_T2_jT3_P12ihipStream_tbPNSt15iterator_traitsISJ_E10value_typeEPNSP_ISK_E10value_typeEPSL_NS1_7vsmem_tEENKUlT_SJ_SK_SL_E_clIPxSE_SF_SF_EESI_SY_SJ_SK_SL_EUlSY_E_NS1_11comp_targetILNS1_3genE2ELNS1_11target_archE906ELNS1_3gpuE6ELNS1_3repE0EEENS1_48merge_mergepath_partition_config_static_selectorELNS0_4arch9wavefront6targetE1EEEvSK_
		.amdhsa_group_segment_fixed_size 0
		.amdhsa_private_segment_fixed_size 0
		.amdhsa_kernarg_size 48
		.amdhsa_user_sgpr_count 6
		.amdhsa_user_sgpr_private_segment_buffer 1
		.amdhsa_user_sgpr_dispatch_ptr 0
		.amdhsa_user_sgpr_queue_ptr 0
		.amdhsa_user_sgpr_kernarg_segment_ptr 1
		.amdhsa_user_sgpr_dispatch_id 0
		.amdhsa_user_sgpr_flat_scratch_init 0
		.amdhsa_user_sgpr_kernarg_preload_length 0
		.amdhsa_user_sgpr_kernarg_preload_offset 0
		.amdhsa_user_sgpr_private_segment_size 0
		.amdhsa_uses_dynamic_stack 0
		.amdhsa_system_sgpr_private_segment_wavefront_offset 0
		.amdhsa_system_sgpr_workgroup_id_x 1
		.amdhsa_system_sgpr_workgroup_id_y 0
		.amdhsa_system_sgpr_workgroup_id_z 0
		.amdhsa_system_sgpr_workgroup_info 0
		.amdhsa_system_vgpr_workitem_id 0
		.amdhsa_next_free_vgpr 1
		.amdhsa_next_free_sgpr 0
		.amdhsa_accum_offset 4
		.amdhsa_reserve_vcc 0
		.amdhsa_reserve_flat_scratch 0
		.amdhsa_float_round_mode_32 0
		.amdhsa_float_round_mode_16_64 0
		.amdhsa_float_denorm_mode_32 3
		.amdhsa_float_denorm_mode_16_64 3
		.amdhsa_dx10_clamp 1
		.amdhsa_ieee_mode 1
		.amdhsa_fp16_overflow 0
		.amdhsa_tg_split 0
		.amdhsa_exception_fp_ieee_invalid_op 0
		.amdhsa_exception_fp_denorm_src 0
		.amdhsa_exception_fp_ieee_div_zero 0
		.amdhsa_exception_fp_ieee_overflow 0
		.amdhsa_exception_fp_ieee_underflow 0
		.amdhsa_exception_fp_ieee_inexact 0
		.amdhsa_exception_int_div_zero 0
	.end_amdhsa_kernel
	.section	.text._ZN7rocprim17ROCPRIM_400000_NS6detail17trampoline_kernelINS0_14default_configENS1_38merge_sort_block_merge_config_selectorIxNS0_10empty_typeEEEZZNS1_27merge_sort_block_merge_implIS3_N6thrust23THRUST_200600_302600_NS6detail15normal_iteratorINS9_10device_ptrIxEEEEPS5_m14custom_greaterIxEEE10hipError_tT0_T1_T2_jT3_P12ihipStream_tbPNSt15iterator_traitsISJ_E10value_typeEPNSP_ISK_E10value_typeEPSL_NS1_7vsmem_tEENKUlT_SJ_SK_SL_E_clIPxSE_SF_SF_EESI_SY_SJ_SK_SL_EUlSY_E_NS1_11comp_targetILNS1_3genE2ELNS1_11target_archE906ELNS1_3gpuE6ELNS1_3repE0EEENS1_48merge_mergepath_partition_config_static_selectorELNS0_4arch9wavefront6targetE1EEEvSK_,"axG",@progbits,_ZN7rocprim17ROCPRIM_400000_NS6detail17trampoline_kernelINS0_14default_configENS1_38merge_sort_block_merge_config_selectorIxNS0_10empty_typeEEEZZNS1_27merge_sort_block_merge_implIS3_N6thrust23THRUST_200600_302600_NS6detail15normal_iteratorINS9_10device_ptrIxEEEEPS5_m14custom_greaterIxEEE10hipError_tT0_T1_T2_jT3_P12ihipStream_tbPNSt15iterator_traitsISJ_E10value_typeEPNSP_ISK_E10value_typeEPSL_NS1_7vsmem_tEENKUlT_SJ_SK_SL_E_clIPxSE_SF_SF_EESI_SY_SJ_SK_SL_EUlSY_E_NS1_11comp_targetILNS1_3genE2ELNS1_11target_archE906ELNS1_3gpuE6ELNS1_3repE0EEENS1_48merge_mergepath_partition_config_static_selectorELNS0_4arch9wavefront6targetE1EEEvSK_,comdat
.Lfunc_end3393:
	.size	_ZN7rocprim17ROCPRIM_400000_NS6detail17trampoline_kernelINS0_14default_configENS1_38merge_sort_block_merge_config_selectorIxNS0_10empty_typeEEEZZNS1_27merge_sort_block_merge_implIS3_N6thrust23THRUST_200600_302600_NS6detail15normal_iteratorINS9_10device_ptrIxEEEEPS5_m14custom_greaterIxEEE10hipError_tT0_T1_T2_jT3_P12ihipStream_tbPNSt15iterator_traitsISJ_E10value_typeEPNSP_ISK_E10value_typeEPSL_NS1_7vsmem_tEENKUlT_SJ_SK_SL_E_clIPxSE_SF_SF_EESI_SY_SJ_SK_SL_EUlSY_E_NS1_11comp_targetILNS1_3genE2ELNS1_11target_archE906ELNS1_3gpuE6ELNS1_3repE0EEENS1_48merge_mergepath_partition_config_static_selectorELNS0_4arch9wavefront6targetE1EEEvSK_, .Lfunc_end3393-_ZN7rocprim17ROCPRIM_400000_NS6detail17trampoline_kernelINS0_14default_configENS1_38merge_sort_block_merge_config_selectorIxNS0_10empty_typeEEEZZNS1_27merge_sort_block_merge_implIS3_N6thrust23THRUST_200600_302600_NS6detail15normal_iteratorINS9_10device_ptrIxEEEEPS5_m14custom_greaterIxEEE10hipError_tT0_T1_T2_jT3_P12ihipStream_tbPNSt15iterator_traitsISJ_E10value_typeEPNSP_ISK_E10value_typeEPSL_NS1_7vsmem_tEENKUlT_SJ_SK_SL_E_clIPxSE_SF_SF_EESI_SY_SJ_SK_SL_EUlSY_E_NS1_11comp_targetILNS1_3genE2ELNS1_11target_archE906ELNS1_3gpuE6ELNS1_3repE0EEENS1_48merge_mergepath_partition_config_static_selectorELNS0_4arch9wavefront6targetE1EEEvSK_
                                        ; -- End function
	.section	.AMDGPU.csdata,"",@progbits
; Kernel info:
; codeLenInByte = 0
; NumSgprs: 4
; NumVgprs: 0
; NumAgprs: 0
; TotalNumVgprs: 0
; ScratchSize: 0
; MemoryBound: 0
; FloatMode: 240
; IeeeMode: 1
; LDSByteSize: 0 bytes/workgroup (compile time only)
; SGPRBlocks: 0
; VGPRBlocks: 0
; NumSGPRsForWavesPerEU: 4
; NumVGPRsForWavesPerEU: 1
; AccumOffset: 4
; Occupancy: 8
; WaveLimiterHint : 0
; COMPUTE_PGM_RSRC2:SCRATCH_EN: 0
; COMPUTE_PGM_RSRC2:USER_SGPR: 6
; COMPUTE_PGM_RSRC2:TRAP_HANDLER: 0
; COMPUTE_PGM_RSRC2:TGID_X_EN: 1
; COMPUTE_PGM_RSRC2:TGID_Y_EN: 0
; COMPUTE_PGM_RSRC2:TGID_Z_EN: 0
; COMPUTE_PGM_RSRC2:TIDIG_COMP_CNT: 0
; COMPUTE_PGM_RSRC3_GFX90A:ACCUM_OFFSET: 0
; COMPUTE_PGM_RSRC3_GFX90A:TG_SPLIT: 0
	.section	.text._ZN7rocprim17ROCPRIM_400000_NS6detail17trampoline_kernelINS0_14default_configENS1_38merge_sort_block_merge_config_selectorIxNS0_10empty_typeEEEZZNS1_27merge_sort_block_merge_implIS3_N6thrust23THRUST_200600_302600_NS6detail15normal_iteratorINS9_10device_ptrIxEEEEPS5_m14custom_greaterIxEEE10hipError_tT0_T1_T2_jT3_P12ihipStream_tbPNSt15iterator_traitsISJ_E10value_typeEPNSP_ISK_E10value_typeEPSL_NS1_7vsmem_tEENKUlT_SJ_SK_SL_E_clIPxSE_SF_SF_EESI_SY_SJ_SK_SL_EUlSY_E_NS1_11comp_targetILNS1_3genE9ELNS1_11target_archE1100ELNS1_3gpuE3ELNS1_3repE0EEENS1_48merge_mergepath_partition_config_static_selectorELNS0_4arch9wavefront6targetE1EEEvSK_,"axG",@progbits,_ZN7rocprim17ROCPRIM_400000_NS6detail17trampoline_kernelINS0_14default_configENS1_38merge_sort_block_merge_config_selectorIxNS0_10empty_typeEEEZZNS1_27merge_sort_block_merge_implIS3_N6thrust23THRUST_200600_302600_NS6detail15normal_iteratorINS9_10device_ptrIxEEEEPS5_m14custom_greaterIxEEE10hipError_tT0_T1_T2_jT3_P12ihipStream_tbPNSt15iterator_traitsISJ_E10value_typeEPNSP_ISK_E10value_typeEPSL_NS1_7vsmem_tEENKUlT_SJ_SK_SL_E_clIPxSE_SF_SF_EESI_SY_SJ_SK_SL_EUlSY_E_NS1_11comp_targetILNS1_3genE9ELNS1_11target_archE1100ELNS1_3gpuE3ELNS1_3repE0EEENS1_48merge_mergepath_partition_config_static_selectorELNS0_4arch9wavefront6targetE1EEEvSK_,comdat
	.protected	_ZN7rocprim17ROCPRIM_400000_NS6detail17trampoline_kernelINS0_14default_configENS1_38merge_sort_block_merge_config_selectorIxNS0_10empty_typeEEEZZNS1_27merge_sort_block_merge_implIS3_N6thrust23THRUST_200600_302600_NS6detail15normal_iteratorINS9_10device_ptrIxEEEEPS5_m14custom_greaterIxEEE10hipError_tT0_T1_T2_jT3_P12ihipStream_tbPNSt15iterator_traitsISJ_E10value_typeEPNSP_ISK_E10value_typeEPSL_NS1_7vsmem_tEENKUlT_SJ_SK_SL_E_clIPxSE_SF_SF_EESI_SY_SJ_SK_SL_EUlSY_E_NS1_11comp_targetILNS1_3genE9ELNS1_11target_archE1100ELNS1_3gpuE3ELNS1_3repE0EEENS1_48merge_mergepath_partition_config_static_selectorELNS0_4arch9wavefront6targetE1EEEvSK_ ; -- Begin function _ZN7rocprim17ROCPRIM_400000_NS6detail17trampoline_kernelINS0_14default_configENS1_38merge_sort_block_merge_config_selectorIxNS0_10empty_typeEEEZZNS1_27merge_sort_block_merge_implIS3_N6thrust23THRUST_200600_302600_NS6detail15normal_iteratorINS9_10device_ptrIxEEEEPS5_m14custom_greaterIxEEE10hipError_tT0_T1_T2_jT3_P12ihipStream_tbPNSt15iterator_traitsISJ_E10value_typeEPNSP_ISK_E10value_typeEPSL_NS1_7vsmem_tEENKUlT_SJ_SK_SL_E_clIPxSE_SF_SF_EESI_SY_SJ_SK_SL_EUlSY_E_NS1_11comp_targetILNS1_3genE9ELNS1_11target_archE1100ELNS1_3gpuE3ELNS1_3repE0EEENS1_48merge_mergepath_partition_config_static_selectorELNS0_4arch9wavefront6targetE1EEEvSK_
	.globl	_ZN7rocprim17ROCPRIM_400000_NS6detail17trampoline_kernelINS0_14default_configENS1_38merge_sort_block_merge_config_selectorIxNS0_10empty_typeEEEZZNS1_27merge_sort_block_merge_implIS3_N6thrust23THRUST_200600_302600_NS6detail15normal_iteratorINS9_10device_ptrIxEEEEPS5_m14custom_greaterIxEEE10hipError_tT0_T1_T2_jT3_P12ihipStream_tbPNSt15iterator_traitsISJ_E10value_typeEPNSP_ISK_E10value_typeEPSL_NS1_7vsmem_tEENKUlT_SJ_SK_SL_E_clIPxSE_SF_SF_EESI_SY_SJ_SK_SL_EUlSY_E_NS1_11comp_targetILNS1_3genE9ELNS1_11target_archE1100ELNS1_3gpuE3ELNS1_3repE0EEENS1_48merge_mergepath_partition_config_static_selectorELNS0_4arch9wavefront6targetE1EEEvSK_
	.p2align	8
	.type	_ZN7rocprim17ROCPRIM_400000_NS6detail17trampoline_kernelINS0_14default_configENS1_38merge_sort_block_merge_config_selectorIxNS0_10empty_typeEEEZZNS1_27merge_sort_block_merge_implIS3_N6thrust23THRUST_200600_302600_NS6detail15normal_iteratorINS9_10device_ptrIxEEEEPS5_m14custom_greaterIxEEE10hipError_tT0_T1_T2_jT3_P12ihipStream_tbPNSt15iterator_traitsISJ_E10value_typeEPNSP_ISK_E10value_typeEPSL_NS1_7vsmem_tEENKUlT_SJ_SK_SL_E_clIPxSE_SF_SF_EESI_SY_SJ_SK_SL_EUlSY_E_NS1_11comp_targetILNS1_3genE9ELNS1_11target_archE1100ELNS1_3gpuE3ELNS1_3repE0EEENS1_48merge_mergepath_partition_config_static_selectorELNS0_4arch9wavefront6targetE1EEEvSK_,@function
_ZN7rocprim17ROCPRIM_400000_NS6detail17trampoline_kernelINS0_14default_configENS1_38merge_sort_block_merge_config_selectorIxNS0_10empty_typeEEEZZNS1_27merge_sort_block_merge_implIS3_N6thrust23THRUST_200600_302600_NS6detail15normal_iteratorINS9_10device_ptrIxEEEEPS5_m14custom_greaterIxEEE10hipError_tT0_T1_T2_jT3_P12ihipStream_tbPNSt15iterator_traitsISJ_E10value_typeEPNSP_ISK_E10value_typeEPSL_NS1_7vsmem_tEENKUlT_SJ_SK_SL_E_clIPxSE_SF_SF_EESI_SY_SJ_SK_SL_EUlSY_E_NS1_11comp_targetILNS1_3genE9ELNS1_11target_archE1100ELNS1_3gpuE3ELNS1_3repE0EEENS1_48merge_mergepath_partition_config_static_selectorELNS0_4arch9wavefront6targetE1EEEvSK_: ; @_ZN7rocprim17ROCPRIM_400000_NS6detail17trampoline_kernelINS0_14default_configENS1_38merge_sort_block_merge_config_selectorIxNS0_10empty_typeEEEZZNS1_27merge_sort_block_merge_implIS3_N6thrust23THRUST_200600_302600_NS6detail15normal_iteratorINS9_10device_ptrIxEEEEPS5_m14custom_greaterIxEEE10hipError_tT0_T1_T2_jT3_P12ihipStream_tbPNSt15iterator_traitsISJ_E10value_typeEPNSP_ISK_E10value_typeEPSL_NS1_7vsmem_tEENKUlT_SJ_SK_SL_E_clIPxSE_SF_SF_EESI_SY_SJ_SK_SL_EUlSY_E_NS1_11comp_targetILNS1_3genE9ELNS1_11target_archE1100ELNS1_3gpuE3ELNS1_3repE0EEENS1_48merge_mergepath_partition_config_static_selectorELNS0_4arch9wavefront6targetE1EEEvSK_
; %bb.0:
	.section	.rodata,"a",@progbits
	.p2align	6, 0x0
	.amdhsa_kernel _ZN7rocprim17ROCPRIM_400000_NS6detail17trampoline_kernelINS0_14default_configENS1_38merge_sort_block_merge_config_selectorIxNS0_10empty_typeEEEZZNS1_27merge_sort_block_merge_implIS3_N6thrust23THRUST_200600_302600_NS6detail15normal_iteratorINS9_10device_ptrIxEEEEPS5_m14custom_greaterIxEEE10hipError_tT0_T1_T2_jT3_P12ihipStream_tbPNSt15iterator_traitsISJ_E10value_typeEPNSP_ISK_E10value_typeEPSL_NS1_7vsmem_tEENKUlT_SJ_SK_SL_E_clIPxSE_SF_SF_EESI_SY_SJ_SK_SL_EUlSY_E_NS1_11comp_targetILNS1_3genE9ELNS1_11target_archE1100ELNS1_3gpuE3ELNS1_3repE0EEENS1_48merge_mergepath_partition_config_static_selectorELNS0_4arch9wavefront6targetE1EEEvSK_
		.amdhsa_group_segment_fixed_size 0
		.amdhsa_private_segment_fixed_size 0
		.amdhsa_kernarg_size 48
		.amdhsa_user_sgpr_count 6
		.amdhsa_user_sgpr_private_segment_buffer 1
		.amdhsa_user_sgpr_dispatch_ptr 0
		.amdhsa_user_sgpr_queue_ptr 0
		.amdhsa_user_sgpr_kernarg_segment_ptr 1
		.amdhsa_user_sgpr_dispatch_id 0
		.amdhsa_user_sgpr_flat_scratch_init 0
		.amdhsa_user_sgpr_kernarg_preload_length 0
		.amdhsa_user_sgpr_kernarg_preload_offset 0
		.amdhsa_user_sgpr_private_segment_size 0
		.amdhsa_uses_dynamic_stack 0
		.amdhsa_system_sgpr_private_segment_wavefront_offset 0
		.amdhsa_system_sgpr_workgroup_id_x 1
		.amdhsa_system_sgpr_workgroup_id_y 0
		.amdhsa_system_sgpr_workgroup_id_z 0
		.amdhsa_system_sgpr_workgroup_info 0
		.amdhsa_system_vgpr_workitem_id 0
		.amdhsa_next_free_vgpr 1
		.amdhsa_next_free_sgpr 0
		.amdhsa_accum_offset 4
		.amdhsa_reserve_vcc 0
		.amdhsa_reserve_flat_scratch 0
		.amdhsa_float_round_mode_32 0
		.amdhsa_float_round_mode_16_64 0
		.amdhsa_float_denorm_mode_32 3
		.amdhsa_float_denorm_mode_16_64 3
		.amdhsa_dx10_clamp 1
		.amdhsa_ieee_mode 1
		.amdhsa_fp16_overflow 0
		.amdhsa_tg_split 0
		.amdhsa_exception_fp_ieee_invalid_op 0
		.amdhsa_exception_fp_denorm_src 0
		.amdhsa_exception_fp_ieee_div_zero 0
		.amdhsa_exception_fp_ieee_overflow 0
		.amdhsa_exception_fp_ieee_underflow 0
		.amdhsa_exception_fp_ieee_inexact 0
		.amdhsa_exception_int_div_zero 0
	.end_amdhsa_kernel
	.section	.text._ZN7rocprim17ROCPRIM_400000_NS6detail17trampoline_kernelINS0_14default_configENS1_38merge_sort_block_merge_config_selectorIxNS0_10empty_typeEEEZZNS1_27merge_sort_block_merge_implIS3_N6thrust23THRUST_200600_302600_NS6detail15normal_iteratorINS9_10device_ptrIxEEEEPS5_m14custom_greaterIxEEE10hipError_tT0_T1_T2_jT3_P12ihipStream_tbPNSt15iterator_traitsISJ_E10value_typeEPNSP_ISK_E10value_typeEPSL_NS1_7vsmem_tEENKUlT_SJ_SK_SL_E_clIPxSE_SF_SF_EESI_SY_SJ_SK_SL_EUlSY_E_NS1_11comp_targetILNS1_3genE9ELNS1_11target_archE1100ELNS1_3gpuE3ELNS1_3repE0EEENS1_48merge_mergepath_partition_config_static_selectorELNS0_4arch9wavefront6targetE1EEEvSK_,"axG",@progbits,_ZN7rocprim17ROCPRIM_400000_NS6detail17trampoline_kernelINS0_14default_configENS1_38merge_sort_block_merge_config_selectorIxNS0_10empty_typeEEEZZNS1_27merge_sort_block_merge_implIS3_N6thrust23THRUST_200600_302600_NS6detail15normal_iteratorINS9_10device_ptrIxEEEEPS5_m14custom_greaterIxEEE10hipError_tT0_T1_T2_jT3_P12ihipStream_tbPNSt15iterator_traitsISJ_E10value_typeEPNSP_ISK_E10value_typeEPSL_NS1_7vsmem_tEENKUlT_SJ_SK_SL_E_clIPxSE_SF_SF_EESI_SY_SJ_SK_SL_EUlSY_E_NS1_11comp_targetILNS1_3genE9ELNS1_11target_archE1100ELNS1_3gpuE3ELNS1_3repE0EEENS1_48merge_mergepath_partition_config_static_selectorELNS0_4arch9wavefront6targetE1EEEvSK_,comdat
.Lfunc_end3394:
	.size	_ZN7rocprim17ROCPRIM_400000_NS6detail17trampoline_kernelINS0_14default_configENS1_38merge_sort_block_merge_config_selectorIxNS0_10empty_typeEEEZZNS1_27merge_sort_block_merge_implIS3_N6thrust23THRUST_200600_302600_NS6detail15normal_iteratorINS9_10device_ptrIxEEEEPS5_m14custom_greaterIxEEE10hipError_tT0_T1_T2_jT3_P12ihipStream_tbPNSt15iterator_traitsISJ_E10value_typeEPNSP_ISK_E10value_typeEPSL_NS1_7vsmem_tEENKUlT_SJ_SK_SL_E_clIPxSE_SF_SF_EESI_SY_SJ_SK_SL_EUlSY_E_NS1_11comp_targetILNS1_3genE9ELNS1_11target_archE1100ELNS1_3gpuE3ELNS1_3repE0EEENS1_48merge_mergepath_partition_config_static_selectorELNS0_4arch9wavefront6targetE1EEEvSK_, .Lfunc_end3394-_ZN7rocprim17ROCPRIM_400000_NS6detail17trampoline_kernelINS0_14default_configENS1_38merge_sort_block_merge_config_selectorIxNS0_10empty_typeEEEZZNS1_27merge_sort_block_merge_implIS3_N6thrust23THRUST_200600_302600_NS6detail15normal_iteratorINS9_10device_ptrIxEEEEPS5_m14custom_greaterIxEEE10hipError_tT0_T1_T2_jT3_P12ihipStream_tbPNSt15iterator_traitsISJ_E10value_typeEPNSP_ISK_E10value_typeEPSL_NS1_7vsmem_tEENKUlT_SJ_SK_SL_E_clIPxSE_SF_SF_EESI_SY_SJ_SK_SL_EUlSY_E_NS1_11comp_targetILNS1_3genE9ELNS1_11target_archE1100ELNS1_3gpuE3ELNS1_3repE0EEENS1_48merge_mergepath_partition_config_static_selectorELNS0_4arch9wavefront6targetE1EEEvSK_
                                        ; -- End function
	.section	.AMDGPU.csdata,"",@progbits
; Kernel info:
; codeLenInByte = 0
; NumSgprs: 4
; NumVgprs: 0
; NumAgprs: 0
; TotalNumVgprs: 0
; ScratchSize: 0
; MemoryBound: 0
; FloatMode: 240
; IeeeMode: 1
; LDSByteSize: 0 bytes/workgroup (compile time only)
; SGPRBlocks: 0
; VGPRBlocks: 0
; NumSGPRsForWavesPerEU: 4
; NumVGPRsForWavesPerEU: 1
; AccumOffset: 4
; Occupancy: 8
; WaveLimiterHint : 0
; COMPUTE_PGM_RSRC2:SCRATCH_EN: 0
; COMPUTE_PGM_RSRC2:USER_SGPR: 6
; COMPUTE_PGM_RSRC2:TRAP_HANDLER: 0
; COMPUTE_PGM_RSRC2:TGID_X_EN: 1
; COMPUTE_PGM_RSRC2:TGID_Y_EN: 0
; COMPUTE_PGM_RSRC2:TGID_Z_EN: 0
; COMPUTE_PGM_RSRC2:TIDIG_COMP_CNT: 0
; COMPUTE_PGM_RSRC3_GFX90A:ACCUM_OFFSET: 0
; COMPUTE_PGM_RSRC3_GFX90A:TG_SPLIT: 0
	.section	.text._ZN7rocprim17ROCPRIM_400000_NS6detail17trampoline_kernelINS0_14default_configENS1_38merge_sort_block_merge_config_selectorIxNS0_10empty_typeEEEZZNS1_27merge_sort_block_merge_implIS3_N6thrust23THRUST_200600_302600_NS6detail15normal_iteratorINS9_10device_ptrIxEEEEPS5_m14custom_greaterIxEEE10hipError_tT0_T1_T2_jT3_P12ihipStream_tbPNSt15iterator_traitsISJ_E10value_typeEPNSP_ISK_E10value_typeEPSL_NS1_7vsmem_tEENKUlT_SJ_SK_SL_E_clIPxSE_SF_SF_EESI_SY_SJ_SK_SL_EUlSY_E_NS1_11comp_targetILNS1_3genE8ELNS1_11target_archE1030ELNS1_3gpuE2ELNS1_3repE0EEENS1_48merge_mergepath_partition_config_static_selectorELNS0_4arch9wavefront6targetE1EEEvSK_,"axG",@progbits,_ZN7rocprim17ROCPRIM_400000_NS6detail17trampoline_kernelINS0_14default_configENS1_38merge_sort_block_merge_config_selectorIxNS0_10empty_typeEEEZZNS1_27merge_sort_block_merge_implIS3_N6thrust23THRUST_200600_302600_NS6detail15normal_iteratorINS9_10device_ptrIxEEEEPS5_m14custom_greaterIxEEE10hipError_tT0_T1_T2_jT3_P12ihipStream_tbPNSt15iterator_traitsISJ_E10value_typeEPNSP_ISK_E10value_typeEPSL_NS1_7vsmem_tEENKUlT_SJ_SK_SL_E_clIPxSE_SF_SF_EESI_SY_SJ_SK_SL_EUlSY_E_NS1_11comp_targetILNS1_3genE8ELNS1_11target_archE1030ELNS1_3gpuE2ELNS1_3repE0EEENS1_48merge_mergepath_partition_config_static_selectorELNS0_4arch9wavefront6targetE1EEEvSK_,comdat
	.protected	_ZN7rocprim17ROCPRIM_400000_NS6detail17trampoline_kernelINS0_14default_configENS1_38merge_sort_block_merge_config_selectorIxNS0_10empty_typeEEEZZNS1_27merge_sort_block_merge_implIS3_N6thrust23THRUST_200600_302600_NS6detail15normal_iteratorINS9_10device_ptrIxEEEEPS5_m14custom_greaterIxEEE10hipError_tT0_T1_T2_jT3_P12ihipStream_tbPNSt15iterator_traitsISJ_E10value_typeEPNSP_ISK_E10value_typeEPSL_NS1_7vsmem_tEENKUlT_SJ_SK_SL_E_clIPxSE_SF_SF_EESI_SY_SJ_SK_SL_EUlSY_E_NS1_11comp_targetILNS1_3genE8ELNS1_11target_archE1030ELNS1_3gpuE2ELNS1_3repE0EEENS1_48merge_mergepath_partition_config_static_selectorELNS0_4arch9wavefront6targetE1EEEvSK_ ; -- Begin function _ZN7rocprim17ROCPRIM_400000_NS6detail17trampoline_kernelINS0_14default_configENS1_38merge_sort_block_merge_config_selectorIxNS0_10empty_typeEEEZZNS1_27merge_sort_block_merge_implIS3_N6thrust23THRUST_200600_302600_NS6detail15normal_iteratorINS9_10device_ptrIxEEEEPS5_m14custom_greaterIxEEE10hipError_tT0_T1_T2_jT3_P12ihipStream_tbPNSt15iterator_traitsISJ_E10value_typeEPNSP_ISK_E10value_typeEPSL_NS1_7vsmem_tEENKUlT_SJ_SK_SL_E_clIPxSE_SF_SF_EESI_SY_SJ_SK_SL_EUlSY_E_NS1_11comp_targetILNS1_3genE8ELNS1_11target_archE1030ELNS1_3gpuE2ELNS1_3repE0EEENS1_48merge_mergepath_partition_config_static_selectorELNS0_4arch9wavefront6targetE1EEEvSK_
	.globl	_ZN7rocprim17ROCPRIM_400000_NS6detail17trampoline_kernelINS0_14default_configENS1_38merge_sort_block_merge_config_selectorIxNS0_10empty_typeEEEZZNS1_27merge_sort_block_merge_implIS3_N6thrust23THRUST_200600_302600_NS6detail15normal_iteratorINS9_10device_ptrIxEEEEPS5_m14custom_greaterIxEEE10hipError_tT0_T1_T2_jT3_P12ihipStream_tbPNSt15iterator_traitsISJ_E10value_typeEPNSP_ISK_E10value_typeEPSL_NS1_7vsmem_tEENKUlT_SJ_SK_SL_E_clIPxSE_SF_SF_EESI_SY_SJ_SK_SL_EUlSY_E_NS1_11comp_targetILNS1_3genE8ELNS1_11target_archE1030ELNS1_3gpuE2ELNS1_3repE0EEENS1_48merge_mergepath_partition_config_static_selectorELNS0_4arch9wavefront6targetE1EEEvSK_
	.p2align	8
	.type	_ZN7rocprim17ROCPRIM_400000_NS6detail17trampoline_kernelINS0_14default_configENS1_38merge_sort_block_merge_config_selectorIxNS0_10empty_typeEEEZZNS1_27merge_sort_block_merge_implIS3_N6thrust23THRUST_200600_302600_NS6detail15normal_iteratorINS9_10device_ptrIxEEEEPS5_m14custom_greaterIxEEE10hipError_tT0_T1_T2_jT3_P12ihipStream_tbPNSt15iterator_traitsISJ_E10value_typeEPNSP_ISK_E10value_typeEPSL_NS1_7vsmem_tEENKUlT_SJ_SK_SL_E_clIPxSE_SF_SF_EESI_SY_SJ_SK_SL_EUlSY_E_NS1_11comp_targetILNS1_3genE8ELNS1_11target_archE1030ELNS1_3gpuE2ELNS1_3repE0EEENS1_48merge_mergepath_partition_config_static_selectorELNS0_4arch9wavefront6targetE1EEEvSK_,@function
_ZN7rocprim17ROCPRIM_400000_NS6detail17trampoline_kernelINS0_14default_configENS1_38merge_sort_block_merge_config_selectorIxNS0_10empty_typeEEEZZNS1_27merge_sort_block_merge_implIS3_N6thrust23THRUST_200600_302600_NS6detail15normal_iteratorINS9_10device_ptrIxEEEEPS5_m14custom_greaterIxEEE10hipError_tT0_T1_T2_jT3_P12ihipStream_tbPNSt15iterator_traitsISJ_E10value_typeEPNSP_ISK_E10value_typeEPSL_NS1_7vsmem_tEENKUlT_SJ_SK_SL_E_clIPxSE_SF_SF_EESI_SY_SJ_SK_SL_EUlSY_E_NS1_11comp_targetILNS1_3genE8ELNS1_11target_archE1030ELNS1_3gpuE2ELNS1_3repE0EEENS1_48merge_mergepath_partition_config_static_selectorELNS0_4arch9wavefront6targetE1EEEvSK_: ; @_ZN7rocprim17ROCPRIM_400000_NS6detail17trampoline_kernelINS0_14default_configENS1_38merge_sort_block_merge_config_selectorIxNS0_10empty_typeEEEZZNS1_27merge_sort_block_merge_implIS3_N6thrust23THRUST_200600_302600_NS6detail15normal_iteratorINS9_10device_ptrIxEEEEPS5_m14custom_greaterIxEEE10hipError_tT0_T1_T2_jT3_P12ihipStream_tbPNSt15iterator_traitsISJ_E10value_typeEPNSP_ISK_E10value_typeEPSL_NS1_7vsmem_tEENKUlT_SJ_SK_SL_E_clIPxSE_SF_SF_EESI_SY_SJ_SK_SL_EUlSY_E_NS1_11comp_targetILNS1_3genE8ELNS1_11target_archE1030ELNS1_3gpuE2ELNS1_3repE0EEENS1_48merge_mergepath_partition_config_static_selectorELNS0_4arch9wavefront6targetE1EEEvSK_
; %bb.0:
	.section	.rodata,"a",@progbits
	.p2align	6, 0x0
	.amdhsa_kernel _ZN7rocprim17ROCPRIM_400000_NS6detail17trampoline_kernelINS0_14default_configENS1_38merge_sort_block_merge_config_selectorIxNS0_10empty_typeEEEZZNS1_27merge_sort_block_merge_implIS3_N6thrust23THRUST_200600_302600_NS6detail15normal_iteratorINS9_10device_ptrIxEEEEPS5_m14custom_greaterIxEEE10hipError_tT0_T1_T2_jT3_P12ihipStream_tbPNSt15iterator_traitsISJ_E10value_typeEPNSP_ISK_E10value_typeEPSL_NS1_7vsmem_tEENKUlT_SJ_SK_SL_E_clIPxSE_SF_SF_EESI_SY_SJ_SK_SL_EUlSY_E_NS1_11comp_targetILNS1_3genE8ELNS1_11target_archE1030ELNS1_3gpuE2ELNS1_3repE0EEENS1_48merge_mergepath_partition_config_static_selectorELNS0_4arch9wavefront6targetE1EEEvSK_
		.amdhsa_group_segment_fixed_size 0
		.amdhsa_private_segment_fixed_size 0
		.amdhsa_kernarg_size 48
		.amdhsa_user_sgpr_count 6
		.amdhsa_user_sgpr_private_segment_buffer 1
		.amdhsa_user_sgpr_dispatch_ptr 0
		.amdhsa_user_sgpr_queue_ptr 0
		.amdhsa_user_sgpr_kernarg_segment_ptr 1
		.amdhsa_user_sgpr_dispatch_id 0
		.amdhsa_user_sgpr_flat_scratch_init 0
		.amdhsa_user_sgpr_kernarg_preload_length 0
		.amdhsa_user_sgpr_kernarg_preload_offset 0
		.amdhsa_user_sgpr_private_segment_size 0
		.amdhsa_uses_dynamic_stack 0
		.amdhsa_system_sgpr_private_segment_wavefront_offset 0
		.amdhsa_system_sgpr_workgroup_id_x 1
		.amdhsa_system_sgpr_workgroup_id_y 0
		.amdhsa_system_sgpr_workgroup_id_z 0
		.amdhsa_system_sgpr_workgroup_info 0
		.amdhsa_system_vgpr_workitem_id 0
		.amdhsa_next_free_vgpr 1
		.amdhsa_next_free_sgpr 0
		.amdhsa_accum_offset 4
		.amdhsa_reserve_vcc 0
		.amdhsa_reserve_flat_scratch 0
		.amdhsa_float_round_mode_32 0
		.amdhsa_float_round_mode_16_64 0
		.amdhsa_float_denorm_mode_32 3
		.amdhsa_float_denorm_mode_16_64 3
		.amdhsa_dx10_clamp 1
		.amdhsa_ieee_mode 1
		.amdhsa_fp16_overflow 0
		.amdhsa_tg_split 0
		.amdhsa_exception_fp_ieee_invalid_op 0
		.amdhsa_exception_fp_denorm_src 0
		.amdhsa_exception_fp_ieee_div_zero 0
		.amdhsa_exception_fp_ieee_overflow 0
		.amdhsa_exception_fp_ieee_underflow 0
		.amdhsa_exception_fp_ieee_inexact 0
		.amdhsa_exception_int_div_zero 0
	.end_amdhsa_kernel
	.section	.text._ZN7rocprim17ROCPRIM_400000_NS6detail17trampoline_kernelINS0_14default_configENS1_38merge_sort_block_merge_config_selectorIxNS0_10empty_typeEEEZZNS1_27merge_sort_block_merge_implIS3_N6thrust23THRUST_200600_302600_NS6detail15normal_iteratorINS9_10device_ptrIxEEEEPS5_m14custom_greaterIxEEE10hipError_tT0_T1_T2_jT3_P12ihipStream_tbPNSt15iterator_traitsISJ_E10value_typeEPNSP_ISK_E10value_typeEPSL_NS1_7vsmem_tEENKUlT_SJ_SK_SL_E_clIPxSE_SF_SF_EESI_SY_SJ_SK_SL_EUlSY_E_NS1_11comp_targetILNS1_3genE8ELNS1_11target_archE1030ELNS1_3gpuE2ELNS1_3repE0EEENS1_48merge_mergepath_partition_config_static_selectorELNS0_4arch9wavefront6targetE1EEEvSK_,"axG",@progbits,_ZN7rocprim17ROCPRIM_400000_NS6detail17trampoline_kernelINS0_14default_configENS1_38merge_sort_block_merge_config_selectorIxNS0_10empty_typeEEEZZNS1_27merge_sort_block_merge_implIS3_N6thrust23THRUST_200600_302600_NS6detail15normal_iteratorINS9_10device_ptrIxEEEEPS5_m14custom_greaterIxEEE10hipError_tT0_T1_T2_jT3_P12ihipStream_tbPNSt15iterator_traitsISJ_E10value_typeEPNSP_ISK_E10value_typeEPSL_NS1_7vsmem_tEENKUlT_SJ_SK_SL_E_clIPxSE_SF_SF_EESI_SY_SJ_SK_SL_EUlSY_E_NS1_11comp_targetILNS1_3genE8ELNS1_11target_archE1030ELNS1_3gpuE2ELNS1_3repE0EEENS1_48merge_mergepath_partition_config_static_selectorELNS0_4arch9wavefront6targetE1EEEvSK_,comdat
.Lfunc_end3395:
	.size	_ZN7rocprim17ROCPRIM_400000_NS6detail17trampoline_kernelINS0_14default_configENS1_38merge_sort_block_merge_config_selectorIxNS0_10empty_typeEEEZZNS1_27merge_sort_block_merge_implIS3_N6thrust23THRUST_200600_302600_NS6detail15normal_iteratorINS9_10device_ptrIxEEEEPS5_m14custom_greaterIxEEE10hipError_tT0_T1_T2_jT3_P12ihipStream_tbPNSt15iterator_traitsISJ_E10value_typeEPNSP_ISK_E10value_typeEPSL_NS1_7vsmem_tEENKUlT_SJ_SK_SL_E_clIPxSE_SF_SF_EESI_SY_SJ_SK_SL_EUlSY_E_NS1_11comp_targetILNS1_3genE8ELNS1_11target_archE1030ELNS1_3gpuE2ELNS1_3repE0EEENS1_48merge_mergepath_partition_config_static_selectorELNS0_4arch9wavefront6targetE1EEEvSK_, .Lfunc_end3395-_ZN7rocprim17ROCPRIM_400000_NS6detail17trampoline_kernelINS0_14default_configENS1_38merge_sort_block_merge_config_selectorIxNS0_10empty_typeEEEZZNS1_27merge_sort_block_merge_implIS3_N6thrust23THRUST_200600_302600_NS6detail15normal_iteratorINS9_10device_ptrIxEEEEPS5_m14custom_greaterIxEEE10hipError_tT0_T1_T2_jT3_P12ihipStream_tbPNSt15iterator_traitsISJ_E10value_typeEPNSP_ISK_E10value_typeEPSL_NS1_7vsmem_tEENKUlT_SJ_SK_SL_E_clIPxSE_SF_SF_EESI_SY_SJ_SK_SL_EUlSY_E_NS1_11comp_targetILNS1_3genE8ELNS1_11target_archE1030ELNS1_3gpuE2ELNS1_3repE0EEENS1_48merge_mergepath_partition_config_static_selectorELNS0_4arch9wavefront6targetE1EEEvSK_
                                        ; -- End function
	.section	.AMDGPU.csdata,"",@progbits
; Kernel info:
; codeLenInByte = 0
; NumSgprs: 4
; NumVgprs: 0
; NumAgprs: 0
; TotalNumVgprs: 0
; ScratchSize: 0
; MemoryBound: 0
; FloatMode: 240
; IeeeMode: 1
; LDSByteSize: 0 bytes/workgroup (compile time only)
; SGPRBlocks: 0
; VGPRBlocks: 0
; NumSGPRsForWavesPerEU: 4
; NumVGPRsForWavesPerEU: 1
; AccumOffset: 4
; Occupancy: 8
; WaveLimiterHint : 0
; COMPUTE_PGM_RSRC2:SCRATCH_EN: 0
; COMPUTE_PGM_RSRC2:USER_SGPR: 6
; COMPUTE_PGM_RSRC2:TRAP_HANDLER: 0
; COMPUTE_PGM_RSRC2:TGID_X_EN: 1
; COMPUTE_PGM_RSRC2:TGID_Y_EN: 0
; COMPUTE_PGM_RSRC2:TGID_Z_EN: 0
; COMPUTE_PGM_RSRC2:TIDIG_COMP_CNT: 0
; COMPUTE_PGM_RSRC3_GFX90A:ACCUM_OFFSET: 0
; COMPUTE_PGM_RSRC3_GFX90A:TG_SPLIT: 0
	.section	.text._ZN7rocprim17ROCPRIM_400000_NS6detail17trampoline_kernelINS0_14default_configENS1_38merge_sort_block_merge_config_selectorIxNS0_10empty_typeEEEZZNS1_27merge_sort_block_merge_implIS3_N6thrust23THRUST_200600_302600_NS6detail15normal_iteratorINS9_10device_ptrIxEEEEPS5_m14custom_greaterIxEEE10hipError_tT0_T1_T2_jT3_P12ihipStream_tbPNSt15iterator_traitsISJ_E10value_typeEPNSP_ISK_E10value_typeEPSL_NS1_7vsmem_tEENKUlT_SJ_SK_SL_E_clIPxSE_SF_SF_EESI_SY_SJ_SK_SL_EUlSY_E0_NS1_11comp_targetILNS1_3genE0ELNS1_11target_archE4294967295ELNS1_3gpuE0ELNS1_3repE0EEENS1_38merge_mergepath_config_static_selectorELNS0_4arch9wavefront6targetE1EEEvSK_,"axG",@progbits,_ZN7rocprim17ROCPRIM_400000_NS6detail17trampoline_kernelINS0_14default_configENS1_38merge_sort_block_merge_config_selectorIxNS0_10empty_typeEEEZZNS1_27merge_sort_block_merge_implIS3_N6thrust23THRUST_200600_302600_NS6detail15normal_iteratorINS9_10device_ptrIxEEEEPS5_m14custom_greaterIxEEE10hipError_tT0_T1_T2_jT3_P12ihipStream_tbPNSt15iterator_traitsISJ_E10value_typeEPNSP_ISK_E10value_typeEPSL_NS1_7vsmem_tEENKUlT_SJ_SK_SL_E_clIPxSE_SF_SF_EESI_SY_SJ_SK_SL_EUlSY_E0_NS1_11comp_targetILNS1_3genE0ELNS1_11target_archE4294967295ELNS1_3gpuE0ELNS1_3repE0EEENS1_38merge_mergepath_config_static_selectorELNS0_4arch9wavefront6targetE1EEEvSK_,comdat
	.protected	_ZN7rocprim17ROCPRIM_400000_NS6detail17trampoline_kernelINS0_14default_configENS1_38merge_sort_block_merge_config_selectorIxNS0_10empty_typeEEEZZNS1_27merge_sort_block_merge_implIS3_N6thrust23THRUST_200600_302600_NS6detail15normal_iteratorINS9_10device_ptrIxEEEEPS5_m14custom_greaterIxEEE10hipError_tT0_T1_T2_jT3_P12ihipStream_tbPNSt15iterator_traitsISJ_E10value_typeEPNSP_ISK_E10value_typeEPSL_NS1_7vsmem_tEENKUlT_SJ_SK_SL_E_clIPxSE_SF_SF_EESI_SY_SJ_SK_SL_EUlSY_E0_NS1_11comp_targetILNS1_3genE0ELNS1_11target_archE4294967295ELNS1_3gpuE0ELNS1_3repE0EEENS1_38merge_mergepath_config_static_selectorELNS0_4arch9wavefront6targetE1EEEvSK_ ; -- Begin function _ZN7rocprim17ROCPRIM_400000_NS6detail17trampoline_kernelINS0_14default_configENS1_38merge_sort_block_merge_config_selectorIxNS0_10empty_typeEEEZZNS1_27merge_sort_block_merge_implIS3_N6thrust23THRUST_200600_302600_NS6detail15normal_iteratorINS9_10device_ptrIxEEEEPS5_m14custom_greaterIxEEE10hipError_tT0_T1_T2_jT3_P12ihipStream_tbPNSt15iterator_traitsISJ_E10value_typeEPNSP_ISK_E10value_typeEPSL_NS1_7vsmem_tEENKUlT_SJ_SK_SL_E_clIPxSE_SF_SF_EESI_SY_SJ_SK_SL_EUlSY_E0_NS1_11comp_targetILNS1_3genE0ELNS1_11target_archE4294967295ELNS1_3gpuE0ELNS1_3repE0EEENS1_38merge_mergepath_config_static_selectorELNS0_4arch9wavefront6targetE1EEEvSK_
	.globl	_ZN7rocprim17ROCPRIM_400000_NS6detail17trampoline_kernelINS0_14default_configENS1_38merge_sort_block_merge_config_selectorIxNS0_10empty_typeEEEZZNS1_27merge_sort_block_merge_implIS3_N6thrust23THRUST_200600_302600_NS6detail15normal_iteratorINS9_10device_ptrIxEEEEPS5_m14custom_greaterIxEEE10hipError_tT0_T1_T2_jT3_P12ihipStream_tbPNSt15iterator_traitsISJ_E10value_typeEPNSP_ISK_E10value_typeEPSL_NS1_7vsmem_tEENKUlT_SJ_SK_SL_E_clIPxSE_SF_SF_EESI_SY_SJ_SK_SL_EUlSY_E0_NS1_11comp_targetILNS1_3genE0ELNS1_11target_archE4294967295ELNS1_3gpuE0ELNS1_3repE0EEENS1_38merge_mergepath_config_static_selectorELNS0_4arch9wavefront6targetE1EEEvSK_
	.p2align	8
	.type	_ZN7rocprim17ROCPRIM_400000_NS6detail17trampoline_kernelINS0_14default_configENS1_38merge_sort_block_merge_config_selectorIxNS0_10empty_typeEEEZZNS1_27merge_sort_block_merge_implIS3_N6thrust23THRUST_200600_302600_NS6detail15normal_iteratorINS9_10device_ptrIxEEEEPS5_m14custom_greaterIxEEE10hipError_tT0_T1_T2_jT3_P12ihipStream_tbPNSt15iterator_traitsISJ_E10value_typeEPNSP_ISK_E10value_typeEPSL_NS1_7vsmem_tEENKUlT_SJ_SK_SL_E_clIPxSE_SF_SF_EESI_SY_SJ_SK_SL_EUlSY_E0_NS1_11comp_targetILNS1_3genE0ELNS1_11target_archE4294967295ELNS1_3gpuE0ELNS1_3repE0EEENS1_38merge_mergepath_config_static_selectorELNS0_4arch9wavefront6targetE1EEEvSK_,@function
_ZN7rocprim17ROCPRIM_400000_NS6detail17trampoline_kernelINS0_14default_configENS1_38merge_sort_block_merge_config_selectorIxNS0_10empty_typeEEEZZNS1_27merge_sort_block_merge_implIS3_N6thrust23THRUST_200600_302600_NS6detail15normal_iteratorINS9_10device_ptrIxEEEEPS5_m14custom_greaterIxEEE10hipError_tT0_T1_T2_jT3_P12ihipStream_tbPNSt15iterator_traitsISJ_E10value_typeEPNSP_ISK_E10value_typeEPSL_NS1_7vsmem_tEENKUlT_SJ_SK_SL_E_clIPxSE_SF_SF_EESI_SY_SJ_SK_SL_EUlSY_E0_NS1_11comp_targetILNS1_3genE0ELNS1_11target_archE4294967295ELNS1_3gpuE0ELNS1_3repE0EEENS1_38merge_mergepath_config_static_selectorELNS0_4arch9wavefront6targetE1EEEvSK_: ; @_ZN7rocprim17ROCPRIM_400000_NS6detail17trampoline_kernelINS0_14default_configENS1_38merge_sort_block_merge_config_selectorIxNS0_10empty_typeEEEZZNS1_27merge_sort_block_merge_implIS3_N6thrust23THRUST_200600_302600_NS6detail15normal_iteratorINS9_10device_ptrIxEEEEPS5_m14custom_greaterIxEEE10hipError_tT0_T1_T2_jT3_P12ihipStream_tbPNSt15iterator_traitsISJ_E10value_typeEPNSP_ISK_E10value_typeEPSL_NS1_7vsmem_tEENKUlT_SJ_SK_SL_E_clIPxSE_SF_SF_EESI_SY_SJ_SK_SL_EUlSY_E0_NS1_11comp_targetILNS1_3genE0ELNS1_11target_archE4294967295ELNS1_3gpuE0ELNS1_3repE0EEENS1_38merge_mergepath_config_static_selectorELNS0_4arch9wavefront6targetE1EEEvSK_
; %bb.0:
	.section	.rodata,"a",@progbits
	.p2align	6, 0x0
	.amdhsa_kernel _ZN7rocprim17ROCPRIM_400000_NS6detail17trampoline_kernelINS0_14default_configENS1_38merge_sort_block_merge_config_selectorIxNS0_10empty_typeEEEZZNS1_27merge_sort_block_merge_implIS3_N6thrust23THRUST_200600_302600_NS6detail15normal_iteratorINS9_10device_ptrIxEEEEPS5_m14custom_greaterIxEEE10hipError_tT0_T1_T2_jT3_P12ihipStream_tbPNSt15iterator_traitsISJ_E10value_typeEPNSP_ISK_E10value_typeEPSL_NS1_7vsmem_tEENKUlT_SJ_SK_SL_E_clIPxSE_SF_SF_EESI_SY_SJ_SK_SL_EUlSY_E0_NS1_11comp_targetILNS1_3genE0ELNS1_11target_archE4294967295ELNS1_3gpuE0ELNS1_3repE0EEENS1_38merge_mergepath_config_static_selectorELNS0_4arch9wavefront6targetE1EEEvSK_
		.amdhsa_group_segment_fixed_size 0
		.amdhsa_private_segment_fixed_size 0
		.amdhsa_kernarg_size 72
		.amdhsa_user_sgpr_count 6
		.amdhsa_user_sgpr_private_segment_buffer 1
		.amdhsa_user_sgpr_dispatch_ptr 0
		.amdhsa_user_sgpr_queue_ptr 0
		.amdhsa_user_sgpr_kernarg_segment_ptr 1
		.amdhsa_user_sgpr_dispatch_id 0
		.amdhsa_user_sgpr_flat_scratch_init 0
		.amdhsa_user_sgpr_kernarg_preload_length 0
		.amdhsa_user_sgpr_kernarg_preload_offset 0
		.amdhsa_user_sgpr_private_segment_size 0
		.amdhsa_uses_dynamic_stack 0
		.amdhsa_system_sgpr_private_segment_wavefront_offset 0
		.amdhsa_system_sgpr_workgroup_id_x 1
		.amdhsa_system_sgpr_workgroup_id_y 0
		.amdhsa_system_sgpr_workgroup_id_z 0
		.amdhsa_system_sgpr_workgroup_info 0
		.amdhsa_system_vgpr_workitem_id 0
		.amdhsa_next_free_vgpr 1
		.amdhsa_next_free_sgpr 0
		.amdhsa_accum_offset 4
		.amdhsa_reserve_vcc 0
		.amdhsa_reserve_flat_scratch 0
		.amdhsa_float_round_mode_32 0
		.amdhsa_float_round_mode_16_64 0
		.amdhsa_float_denorm_mode_32 3
		.amdhsa_float_denorm_mode_16_64 3
		.amdhsa_dx10_clamp 1
		.amdhsa_ieee_mode 1
		.amdhsa_fp16_overflow 0
		.amdhsa_tg_split 0
		.amdhsa_exception_fp_ieee_invalid_op 0
		.amdhsa_exception_fp_denorm_src 0
		.amdhsa_exception_fp_ieee_div_zero 0
		.amdhsa_exception_fp_ieee_overflow 0
		.amdhsa_exception_fp_ieee_underflow 0
		.amdhsa_exception_fp_ieee_inexact 0
		.amdhsa_exception_int_div_zero 0
	.end_amdhsa_kernel
	.section	.text._ZN7rocprim17ROCPRIM_400000_NS6detail17trampoline_kernelINS0_14default_configENS1_38merge_sort_block_merge_config_selectorIxNS0_10empty_typeEEEZZNS1_27merge_sort_block_merge_implIS3_N6thrust23THRUST_200600_302600_NS6detail15normal_iteratorINS9_10device_ptrIxEEEEPS5_m14custom_greaterIxEEE10hipError_tT0_T1_T2_jT3_P12ihipStream_tbPNSt15iterator_traitsISJ_E10value_typeEPNSP_ISK_E10value_typeEPSL_NS1_7vsmem_tEENKUlT_SJ_SK_SL_E_clIPxSE_SF_SF_EESI_SY_SJ_SK_SL_EUlSY_E0_NS1_11comp_targetILNS1_3genE0ELNS1_11target_archE4294967295ELNS1_3gpuE0ELNS1_3repE0EEENS1_38merge_mergepath_config_static_selectorELNS0_4arch9wavefront6targetE1EEEvSK_,"axG",@progbits,_ZN7rocprim17ROCPRIM_400000_NS6detail17trampoline_kernelINS0_14default_configENS1_38merge_sort_block_merge_config_selectorIxNS0_10empty_typeEEEZZNS1_27merge_sort_block_merge_implIS3_N6thrust23THRUST_200600_302600_NS6detail15normal_iteratorINS9_10device_ptrIxEEEEPS5_m14custom_greaterIxEEE10hipError_tT0_T1_T2_jT3_P12ihipStream_tbPNSt15iterator_traitsISJ_E10value_typeEPNSP_ISK_E10value_typeEPSL_NS1_7vsmem_tEENKUlT_SJ_SK_SL_E_clIPxSE_SF_SF_EESI_SY_SJ_SK_SL_EUlSY_E0_NS1_11comp_targetILNS1_3genE0ELNS1_11target_archE4294967295ELNS1_3gpuE0ELNS1_3repE0EEENS1_38merge_mergepath_config_static_selectorELNS0_4arch9wavefront6targetE1EEEvSK_,comdat
.Lfunc_end3396:
	.size	_ZN7rocprim17ROCPRIM_400000_NS6detail17trampoline_kernelINS0_14default_configENS1_38merge_sort_block_merge_config_selectorIxNS0_10empty_typeEEEZZNS1_27merge_sort_block_merge_implIS3_N6thrust23THRUST_200600_302600_NS6detail15normal_iteratorINS9_10device_ptrIxEEEEPS5_m14custom_greaterIxEEE10hipError_tT0_T1_T2_jT3_P12ihipStream_tbPNSt15iterator_traitsISJ_E10value_typeEPNSP_ISK_E10value_typeEPSL_NS1_7vsmem_tEENKUlT_SJ_SK_SL_E_clIPxSE_SF_SF_EESI_SY_SJ_SK_SL_EUlSY_E0_NS1_11comp_targetILNS1_3genE0ELNS1_11target_archE4294967295ELNS1_3gpuE0ELNS1_3repE0EEENS1_38merge_mergepath_config_static_selectorELNS0_4arch9wavefront6targetE1EEEvSK_, .Lfunc_end3396-_ZN7rocprim17ROCPRIM_400000_NS6detail17trampoline_kernelINS0_14default_configENS1_38merge_sort_block_merge_config_selectorIxNS0_10empty_typeEEEZZNS1_27merge_sort_block_merge_implIS3_N6thrust23THRUST_200600_302600_NS6detail15normal_iteratorINS9_10device_ptrIxEEEEPS5_m14custom_greaterIxEEE10hipError_tT0_T1_T2_jT3_P12ihipStream_tbPNSt15iterator_traitsISJ_E10value_typeEPNSP_ISK_E10value_typeEPSL_NS1_7vsmem_tEENKUlT_SJ_SK_SL_E_clIPxSE_SF_SF_EESI_SY_SJ_SK_SL_EUlSY_E0_NS1_11comp_targetILNS1_3genE0ELNS1_11target_archE4294967295ELNS1_3gpuE0ELNS1_3repE0EEENS1_38merge_mergepath_config_static_selectorELNS0_4arch9wavefront6targetE1EEEvSK_
                                        ; -- End function
	.section	.AMDGPU.csdata,"",@progbits
; Kernel info:
; codeLenInByte = 0
; NumSgprs: 4
; NumVgprs: 0
; NumAgprs: 0
; TotalNumVgprs: 0
; ScratchSize: 0
; MemoryBound: 0
; FloatMode: 240
; IeeeMode: 1
; LDSByteSize: 0 bytes/workgroup (compile time only)
; SGPRBlocks: 0
; VGPRBlocks: 0
; NumSGPRsForWavesPerEU: 4
; NumVGPRsForWavesPerEU: 1
; AccumOffset: 4
; Occupancy: 8
; WaveLimiterHint : 0
; COMPUTE_PGM_RSRC2:SCRATCH_EN: 0
; COMPUTE_PGM_RSRC2:USER_SGPR: 6
; COMPUTE_PGM_RSRC2:TRAP_HANDLER: 0
; COMPUTE_PGM_RSRC2:TGID_X_EN: 1
; COMPUTE_PGM_RSRC2:TGID_Y_EN: 0
; COMPUTE_PGM_RSRC2:TGID_Z_EN: 0
; COMPUTE_PGM_RSRC2:TIDIG_COMP_CNT: 0
; COMPUTE_PGM_RSRC3_GFX90A:ACCUM_OFFSET: 0
; COMPUTE_PGM_RSRC3_GFX90A:TG_SPLIT: 0
	.section	.text._ZN7rocprim17ROCPRIM_400000_NS6detail17trampoline_kernelINS0_14default_configENS1_38merge_sort_block_merge_config_selectorIxNS0_10empty_typeEEEZZNS1_27merge_sort_block_merge_implIS3_N6thrust23THRUST_200600_302600_NS6detail15normal_iteratorINS9_10device_ptrIxEEEEPS5_m14custom_greaterIxEEE10hipError_tT0_T1_T2_jT3_P12ihipStream_tbPNSt15iterator_traitsISJ_E10value_typeEPNSP_ISK_E10value_typeEPSL_NS1_7vsmem_tEENKUlT_SJ_SK_SL_E_clIPxSE_SF_SF_EESI_SY_SJ_SK_SL_EUlSY_E0_NS1_11comp_targetILNS1_3genE10ELNS1_11target_archE1201ELNS1_3gpuE5ELNS1_3repE0EEENS1_38merge_mergepath_config_static_selectorELNS0_4arch9wavefront6targetE1EEEvSK_,"axG",@progbits,_ZN7rocprim17ROCPRIM_400000_NS6detail17trampoline_kernelINS0_14default_configENS1_38merge_sort_block_merge_config_selectorIxNS0_10empty_typeEEEZZNS1_27merge_sort_block_merge_implIS3_N6thrust23THRUST_200600_302600_NS6detail15normal_iteratorINS9_10device_ptrIxEEEEPS5_m14custom_greaterIxEEE10hipError_tT0_T1_T2_jT3_P12ihipStream_tbPNSt15iterator_traitsISJ_E10value_typeEPNSP_ISK_E10value_typeEPSL_NS1_7vsmem_tEENKUlT_SJ_SK_SL_E_clIPxSE_SF_SF_EESI_SY_SJ_SK_SL_EUlSY_E0_NS1_11comp_targetILNS1_3genE10ELNS1_11target_archE1201ELNS1_3gpuE5ELNS1_3repE0EEENS1_38merge_mergepath_config_static_selectorELNS0_4arch9wavefront6targetE1EEEvSK_,comdat
	.protected	_ZN7rocprim17ROCPRIM_400000_NS6detail17trampoline_kernelINS0_14default_configENS1_38merge_sort_block_merge_config_selectorIxNS0_10empty_typeEEEZZNS1_27merge_sort_block_merge_implIS3_N6thrust23THRUST_200600_302600_NS6detail15normal_iteratorINS9_10device_ptrIxEEEEPS5_m14custom_greaterIxEEE10hipError_tT0_T1_T2_jT3_P12ihipStream_tbPNSt15iterator_traitsISJ_E10value_typeEPNSP_ISK_E10value_typeEPSL_NS1_7vsmem_tEENKUlT_SJ_SK_SL_E_clIPxSE_SF_SF_EESI_SY_SJ_SK_SL_EUlSY_E0_NS1_11comp_targetILNS1_3genE10ELNS1_11target_archE1201ELNS1_3gpuE5ELNS1_3repE0EEENS1_38merge_mergepath_config_static_selectorELNS0_4arch9wavefront6targetE1EEEvSK_ ; -- Begin function _ZN7rocprim17ROCPRIM_400000_NS6detail17trampoline_kernelINS0_14default_configENS1_38merge_sort_block_merge_config_selectorIxNS0_10empty_typeEEEZZNS1_27merge_sort_block_merge_implIS3_N6thrust23THRUST_200600_302600_NS6detail15normal_iteratorINS9_10device_ptrIxEEEEPS5_m14custom_greaterIxEEE10hipError_tT0_T1_T2_jT3_P12ihipStream_tbPNSt15iterator_traitsISJ_E10value_typeEPNSP_ISK_E10value_typeEPSL_NS1_7vsmem_tEENKUlT_SJ_SK_SL_E_clIPxSE_SF_SF_EESI_SY_SJ_SK_SL_EUlSY_E0_NS1_11comp_targetILNS1_3genE10ELNS1_11target_archE1201ELNS1_3gpuE5ELNS1_3repE0EEENS1_38merge_mergepath_config_static_selectorELNS0_4arch9wavefront6targetE1EEEvSK_
	.globl	_ZN7rocprim17ROCPRIM_400000_NS6detail17trampoline_kernelINS0_14default_configENS1_38merge_sort_block_merge_config_selectorIxNS0_10empty_typeEEEZZNS1_27merge_sort_block_merge_implIS3_N6thrust23THRUST_200600_302600_NS6detail15normal_iteratorINS9_10device_ptrIxEEEEPS5_m14custom_greaterIxEEE10hipError_tT0_T1_T2_jT3_P12ihipStream_tbPNSt15iterator_traitsISJ_E10value_typeEPNSP_ISK_E10value_typeEPSL_NS1_7vsmem_tEENKUlT_SJ_SK_SL_E_clIPxSE_SF_SF_EESI_SY_SJ_SK_SL_EUlSY_E0_NS1_11comp_targetILNS1_3genE10ELNS1_11target_archE1201ELNS1_3gpuE5ELNS1_3repE0EEENS1_38merge_mergepath_config_static_selectorELNS0_4arch9wavefront6targetE1EEEvSK_
	.p2align	8
	.type	_ZN7rocprim17ROCPRIM_400000_NS6detail17trampoline_kernelINS0_14default_configENS1_38merge_sort_block_merge_config_selectorIxNS0_10empty_typeEEEZZNS1_27merge_sort_block_merge_implIS3_N6thrust23THRUST_200600_302600_NS6detail15normal_iteratorINS9_10device_ptrIxEEEEPS5_m14custom_greaterIxEEE10hipError_tT0_T1_T2_jT3_P12ihipStream_tbPNSt15iterator_traitsISJ_E10value_typeEPNSP_ISK_E10value_typeEPSL_NS1_7vsmem_tEENKUlT_SJ_SK_SL_E_clIPxSE_SF_SF_EESI_SY_SJ_SK_SL_EUlSY_E0_NS1_11comp_targetILNS1_3genE10ELNS1_11target_archE1201ELNS1_3gpuE5ELNS1_3repE0EEENS1_38merge_mergepath_config_static_selectorELNS0_4arch9wavefront6targetE1EEEvSK_,@function
_ZN7rocprim17ROCPRIM_400000_NS6detail17trampoline_kernelINS0_14default_configENS1_38merge_sort_block_merge_config_selectorIxNS0_10empty_typeEEEZZNS1_27merge_sort_block_merge_implIS3_N6thrust23THRUST_200600_302600_NS6detail15normal_iteratorINS9_10device_ptrIxEEEEPS5_m14custom_greaterIxEEE10hipError_tT0_T1_T2_jT3_P12ihipStream_tbPNSt15iterator_traitsISJ_E10value_typeEPNSP_ISK_E10value_typeEPSL_NS1_7vsmem_tEENKUlT_SJ_SK_SL_E_clIPxSE_SF_SF_EESI_SY_SJ_SK_SL_EUlSY_E0_NS1_11comp_targetILNS1_3genE10ELNS1_11target_archE1201ELNS1_3gpuE5ELNS1_3repE0EEENS1_38merge_mergepath_config_static_selectorELNS0_4arch9wavefront6targetE1EEEvSK_: ; @_ZN7rocprim17ROCPRIM_400000_NS6detail17trampoline_kernelINS0_14default_configENS1_38merge_sort_block_merge_config_selectorIxNS0_10empty_typeEEEZZNS1_27merge_sort_block_merge_implIS3_N6thrust23THRUST_200600_302600_NS6detail15normal_iteratorINS9_10device_ptrIxEEEEPS5_m14custom_greaterIxEEE10hipError_tT0_T1_T2_jT3_P12ihipStream_tbPNSt15iterator_traitsISJ_E10value_typeEPNSP_ISK_E10value_typeEPSL_NS1_7vsmem_tEENKUlT_SJ_SK_SL_E_clIPxSE_SF_SF_EESI_SY_SJ_SK_SL_EUlSY_E0_NS1_11comp_targetILNS1_3genE10ELNS1_11target_archE1201ELNS1_3gpuE5ELNS1_3repE0EEENS1_38merge_mergepath_config_static_selectorELNS0_4arch9wavefront6targetE1EEEvSK_
; %bb.0:
	.section	.rodata,"a",@progbits
	.p2align	6, 0x0
	.amdhsa_kernel _ZN7rocprim17ROCPRIM_400000_NS6detail17trampoline_kernelINS0_14default_configENS1_38merge_sort_block_merge_config_selectorIxNS0_10empty_typeEEEZZNS1_27merge_sort_block_merge_implIS3_N6thrust23THRUST_200600_302600_NS6detail15normal_iteratorINS9_10device_ptrIxEEEEPS5_m14custom_greaterIxEEE10hipError_tT0_T1_T2_jT3_P12ihipStream_tbPNSt15iterator_traitsISJ_E10value_typeEPNSP_ISK_E10value_typeEPSL_NS1_7vsmem_tEENKUlT_SJ_SK_SL_E_clIPxSE_SF_SF_EESI_SY_SJ_SK_SL_EUlSY_E0_NS1_11comp_targetILNS1_3genE10ELNS1_11target_archE1201ELNS1_3gpuE5ELNS1_3repE0EEENS1_38merge_mergepath_config_static_selectorELNS0_4arch9wavefront6targetE1EEEvSK_
		.amdhsa_group_segment_fixed_size 0
		.amdhsa_private_segment_fixed_size 0
		.amdhsa_kernarg_size 72
		.amdhsa_user_sgpr_count 6
		.amdhsa_user_sgpr_private_segment_buffer 1
		.amdhsa_user_sgpr_dispatch_ptr 0
		.amdhsa_user_sgpr_queue_ptr 0
		.amdhsa_user_sgpr_kernarg_segment_ptr 1
		.amdhsa_user_sgpr_dispatch_id 0
		.amdhsa_user_sgpr_flat_scratch_init 0
		.amdhsa_user_sgpr_kernarg_preload_length 0
		.amdhsa_user_sgpr_kernarg_preload_offset 0
		.amdhsa_user_sgpr_private_segment_size 0
		.amdhsa_uses_dynamic_stack 0
		.amdhsa_system_sgpr_private_segment_wavefront_offset 0
		.amdhsa_system_sgpr_workgroup_id_x 1
		.amdhsa_system_sgpr_workgroup_id_y 0
		.amdhsa_system_sgpr_workgroup_id_z 0
		.amdhsa_system_sgpr_workgroup_info 0
		.amdhsa_system_vgpr_workitem_id 0
		.amdhsa_next_free_vgpr 1
		.amdhsa_next_free_sgpr 0
		.amdhsa_accum_offset 4
		.amdhsa_reserve_vcc 0
		.amdhsa_reserve_flat_scratch 0
		.amdhsa_float_round_mode_32 0
		.amdhsa_float_round_mode_16_64 0
		.amdhsa_float_denorm_mode_32 3
		.amdhsa_float_denorm_mode_16_64 3
		.amdhsa_dx10_clamp 1
		.amdhsa_ieee_mode 1
		.amdhsa_fp16_overflow 0
		.amdhsa_tg_split 0
		.amdhsa_exception_fp_ieee_invalid_op 0
		.amdhsa_exception_fp_denorm_src 0
		.amdhsa_exception_fp_ieee_div_zero 0
		.amdhsa_exception_fp_ieee_overflow 0
		.amdhsa_exception_fp_ieee_underflow 0
		.amdhsa_exception_fp_ieee_inexact 0
		.amdhsa_exception_int_div_zero 0
	.end_amdhsa_kernel
	.section	.text._ZN7rocprim17ROCPRIM_400000_NS6detail17trampoline_kernelINS0_14default_configENS1_38merge_sort_block_merge_config_selectorIxNS0_10empty_typeEEEZZNS1_27merge_sort_block_merge_implIS3_N6thrust23THRUST_200600_302600_NS6detail15normal_iteratorINS9_10device_ptrIxEEEEPS5_m14custom_greaterIxEEE10hipError_tT0_T1_T2_jT3_P12ihipStream_tbPNSt15iterator_traitsISJ_E10value_typeEPNSP_ISK_E10value_typeEPSL_NS1_7vsmem_tEENKUlT_SJ_SK_SL_E_clIPxSE_SF_SF_EESI_SY_SJ_SK_SL_EUlSY_E0_NS1_11comp_targetILNS1_3genE10ELNS1_11target_archE1201ELNS1_3gpuE5ELNS1_3repE0EEENS1_38merge_mergepath_config_static_selectorELNS0_4arch9wavefront6targetE1EEEvSK_,"axG",@progbits,_ZN7rocprim17ROCPRIM_400000_NS6detail17trampoline_kernelINS0_14default_configENS1_38merge_sort_block_merge_config_selectorIxNS0_10empty_typeEEEZZNS1_27merge_sort_block_merge_implIS3_N6thrust23THRUST_200600_302600_NS6detail15normal_iteratorINS9_10device_ptrIxEEEEPS5_m14custom_greaterIxEEE10hipError_tT0_T1_T2_jT3_P12ihipStream_tbPNSt15iterator_traitsISJ_E10value_typeEPNSP_ISK_E10value_typeEPSL_NS1_7vsmem_tEENKUlT_SJ_SK_SL_E_clIPxSE_SF_SF_EESI_SY_SJ_SK_SL_EUlSY_E0_NS1_11comp_targetILNS1_3genE10ELNS1_11target_archE1201ELNS1_3gpuE5ELNS1_3repE0EEENS1_38merge_mergepath_config_static_selectorELNS0_4arch9wavefront6targetE1EEEvSK_,comdat
.Lfunc_end3397:
	.size	_ZN7rocprim17ROCPRIM_400000_NS6detail17trampoline_kernelINS0_14default_configENS1_38merge_sort_block_merge_config_selectorIxNS0_10empty_typeEEEZZNS1_27merge_sort_block_merge_implIS3_N6thrust23THRUST_200600_302600_NS6detail15normal_iteratorINS9_10device_ptrIxEEEEPS5_m14custom_greaterIxEEE10hipError_tT0_T1_T2_jT3_P12ihipStream_tbPNSt15iterator_traitsISJ_E10value_typeEPNSP_ISK_E10value_typeEPSL_NS1_7vsmem_tEENKUlT_SJ_SK_SL_E_clIPxSE_SF_SF_EESI_SY_SJ_SK_SL_EUlSY_E0_NS1_11comp_targetILNS1_3genE10ELNS1_11target_archE1201ELNS1_3gpuE5ELNS1_3repE0EEENS1_38merge_mergepath_config_static_selectorELNS0_4arch9wavefront6targetE1EEEvSK_, .Lfunc_end3397-_ZN7rocprim17ROCPRIM_400000_NS6detail17trampoline_kernelINS0_14default_configENS1_38merge_sort_block_merge_config_selectorIxNS0_10empty_typeEEEZZNS1_27merge_sort_block_merge_implIS3_N6thrust23THRUST_200600_302600_NS6detail15normal_iteratorINS9_10device_ptrIxEEEEPS5_m14custom_greaterIxEEE10hipError_tT0_T1_T2_jT3_P12ihipStream_tbPNSt15iterator_traitsISJ_E10value_typeEPNSP_ISK_E10value_typeEPSL_NS1_7vsmem_tEENKUlT_SJ_SK_SL_E_clIPxSE_SF_SF_EESI_SY_SJ_SK_SL_EUlSY_E0_NS1_11comp_targetILNS1_3genE10ELNS1_11target_archE1201ELNS1_3gpuE5ELNS1_3repE0EEENS1_38merge_mergepath_config_static_selectorELNS0_4arch9wavefront6targetE1EEEvSK_
                                        ; -- End function
	.section	.AMDGPU.csdata,"",@progbits
; Kernel info:
; codeLenInByte = 0
; NumSgprs: 4
; NumVgprs: 0
; NumAgprs: 0
; TotalNumVgprs: 0
; ScratchSize: 0
; MemoryBound: 0
; FloatMode: 240
; IeeeMode: 1
; LDSByteSize: 0 bytes/workgroup (compile time only)
; SGPRBlocks: 0
; VGPRBlocks: 0
; NumSGPRsForWavesPerEU: 4
; NumVGPRsForWavesPerEU: 1
; AccumOffset: 4
; Occupancy: 8
; WaveLimiterHint : 0
; COMPUTE_PGM_RSRC2:SCRATCH_EN: 0
; COMPUTE_PGM_RSRC2:USER_SGPR: 6
; COMPUTE_PGM_RSRC2:TRAP_HANDLER: 0
; COMPUTE_PGM_RSRC2:TGID_X_EN: 1
; COMPUTE_PGM_RSRC2:TGID_Y_EN: 0
; COMPUTE_PGM_RSRC2:TGID_Z_EN: 0
; COMPUTE_PGM_RSRC2:TIDIG_COMP_CNT: 0
; COMPUTE_PGM_RSRC3_GFX90A:ACCUM_OFFSET: 0
; COMPUTE_PGM_RSRC3_GFX90A:TG_SPLIT: 0
	.section	.text._ZN7rocprim17ROCPRIM_400000_NS6detail17trampoline_kernelINS0_14default_configENS1_38merge_sort_block_merge_config_selectorIxNS0_10empty_typeEEEZZNS1_27merge_sort_block_merge_implIS3_N6thrust23THRUST_200600_302600_NS6detail15normal_iteratorINS9_10device_ptrIxEEEEPS5_m14custom_greaterIxEEE10hipError_tT0_T1_T2_jT3_P12ihipStream_tbPNSt15iterator_traitsISJ_E10value_typeEPNSP_ISK_E10value_typeEPSL_NS1_7vsmem_tEENKUlT_SJ_SK_SL_E_clIPxSE_SF_SF_EESI_SY_SJ_SK_SL_EUlSY_E0_NS1_11comp_targetILNS1_3genE5ELNS1_11target_archE942ELNS1_3gpuE9ELNS1_3repE0EEENS1_38merge_mergepath_config_static_selectorELNS0_4arch9wavefront6targetE1EEEvSK_,"axG",@progbits,_ZN7rocprim17ROCPRIM_400000_NS6detail17trampoline_kernelINS0_14default_configENS1_38merge_sort_block_merge_config_selectorIxNS0_10empty_typeEEEZZNS1_27merge_sort_block_merge_implIS3_N6thrust23THRUST_200600_302600_NS6detail15normal_iteratorINS9_10device_ptrIxEEEEPS5_m14custom_greaterIxEEE10hipError_tT0_T1_T2_jT3_P12ihipStream_tbPNSt15iterator_traitsISJ_E10value_typeEPNSP_ISK_E10value_typeEPSL_NS1_7vsmem_tEENKUlT_SJ_SK_SL_E_clIPxSE_SF_SF_EESI_SY_SJ_SK_SL_EUlSY_E0_NS1_11comp_targetILNS1_3genE5ELNS1_11target_archE942ELNS1_3gpuE9ELNS1_3repE0EEENS1_38merge_mergepath_config_static_selectorELNS0_4arch9wavefront6targetE1EEEvSK_,comdat
	.protected	_ZN7rocprim17ROCPRIM_400000_NS6detail17trampoline_kernelINS0_14default_configENS1_38merge_sort_block_merge_config_selectorIxNS0_10empty_typeEEEZZNS1_27merge_sort_block_merge_implIS3_N6thrust23THRUST_200600_302600_NS6detail15normal_iteratorINS9_10device_ptrIxEEEEPS5_m14custom_greaterIxEEE10hipError_tT0_T1_T2_jT3_P12ihipStream_tbPNSt15iterator_traitsISJ_E10value_typeEPNSP_ISK_E10value_typeEPSL_NS1_7vsmem_tEENKUlT_SJ_SK_SL_E_clIPxSE_SF_SF_EESI_SY_SJ_SK_SL_EUlSY_E0_NS1_11comp_targetILNS1_3genE5ELNS1_11target_archE942ELNS1_3gpuE9ELNS1_3repE0EEENS1_38merge_mergepath_config_static_selectorELNS0_4arch9wavefront6targetE1EEEvSK_ ; -- Begin function _ZN7rocprim17ROCPRIM_400000_NS6detail17trampoline_kernelINS0_14default_configENS1_38merge_sort_block_merge_config_selectorIxNS0_10empty_typeEEEZZNS1_27merge_sort_block_merge_implIS3_N6thrust23THRUST_200600_302600_NS6detail15normal_iteratorINS9_10device_ptrIxEEEEPS5_m14custom_greaterIxEEE10hipError_tT0_T1_T2_jT3_P12ihipStream_tbPNSt15iterator_traitsISJ_E10value_typeEPNSP_ISK_E10value_typeEPSL_NS1_7vsmem_tEENKUlT_SJ_SK_SL_E_clIPxSE_SF_SF_EESI_SY_SJ_SK_SL_EUlSY_E0_NS1_11comp_targetILNS1_3genE5ELNS1_11target_archE942ELNS1_3gpuE9ELNS1_3repE0EEENS1_38merge_mergepath_config_static_selectorELNS0_4arch9wavefront6targetE1EEEvSK_
	.globl	_ZN7rocprim17ROCPRIM_400000_NS6detail17trampoline_kernelINS0_14default_configENS1_38merge_sort_block_merge_config_selectorIxNS0_10empty_typeEEEZZNS1_27merge_sort_block_merge_implIS3_N6thrust23THRUST_200600_302600_NS6detail15normal_iteratorINS9_10device_ptrIxEEEEPS5_m14custom_greaterIxEEE10hipError_tT0_T1_T2_jT3_P12ihipStream_tbPNSt15iterator_traitsISJ_E10value_typeEPNSP_ISK_E10value_typeEPSL_NS1_7vsmem_tEENKUlT_SJ_SK_SL_E_clIPxSE_SF_SF_EESI_SY_SJ_SK_SL_EUlSY_E0_NS1_11comp_targetILNS1_3genE5ELNS1_11target_archE942ELNS1_3gpuE9ELNS1_3repE0EEENS1_38merge_mergepath_config_static_selectorELNS0_4arch9wavefront6targetE1EEEvSK_
	.p2align	8
	.type	_ZN7rocprim17ROCPRIM_400000_NS6detail17trampoline_kernelINS0_14default_configENS1_38merge_sort_block_merge_config_selectorIxNS0_10empty_typeEEEZZNS1_27merge_sort_block_merge_implIS3_N6thrust23THRUST_200600_302600_NS6detail15normal_iteratorINS9_10device_ptrIxEEEEPS5_m14custom_greaterIxEEE10hipError_tT0_T1_T2_jT3_P12ihipStream_tbPNSt15iterator_traitsISJ_E10value_typeEPNSP_ISK_E10value_typeEPSL_NS1_7vsmem_tEENKUlT_SJ_SK_SL_E_clIPxSE_SF_SF_EESI_SY_SJ_SK_SL_EUlSY_E0_NS1_11comp_targetILNS1_3genE5ELNS1_11target_archE942ELNS1_3gpuE9ELNS1_3repE0EEENS1_38merge_mergepath_config_static_selectorELNS0_4arch9wavefront6targetE1EEEvSK_,@function
_ZN7rocprim17ROCPRIM_400000_NS6detail17trampoline_kernelINS0_14default_configENS1_38merge_sort_block_merge_config_selectorIxNS0_10empty_typeEEEZZNS1_27merge_sort_block_merge_implIS3_N6thrust23THRUST_200600_302600_NS6detail15normal_iteratorINS9_10device_ptrIxEEEEPS5_m14custom_greaterIxEEE10hipError_tT0_T1_T2_jT3_P12ihipStream_tbPNSt15iterator_traitsISJ_E10value_typeEPNSP_ISK_E10value_typeEPSL_NS1_7vsmem_tEENKUlT_SJ_SK_SL_E_clIPxSE_SF_SF_EESI_SY_SJ_SK_SL_EUlSY_E0_NS1_11comp_targetILNS1_3genE5ELNS1_11target_archE942ELNS1_3gpuE9ELNS1_3repE0EEENS1_38merge_mergepath_config_static_selectorELNS0_4arch9wavefront6targetE1EEEvSK_: ; @_ZN7rocprim17ROCPRIM_400000_NS6detail17trampoline_kernelINS0_14default_configENS1_38merge_sort_block_merge_config_selectorIxNS0_10empty_typeEEEZZNS1_27merge_sort_block_merge_implIS3_N6thrust23THRUST_200600_302600_NS6detail15normal_iteratorINS9_10device_ptrIxEEEEPS5_m14custom_greaterIxEEE10hipError_tT0_T1_T2_jT3_P12ihipStream_tbPNSt15iterator_traitsISJ_E10value_typeEPNSP_ISK_E10value_typeEPSL_NS1_7vsmem_tEENKUlT_SJ_SK_SL_E_clIPxSE_SF_SF_EESI_SY_SJ_SK_SL_EUlSY_E0_NS1_11comp_targetILNS1_3genE5ELNS1_11target_archE942ELNS1_3gpuE9ELNS1_3repE0EEENS1_38merge_mergepath_config_static_selectorELNS0_4arch9wavefront6targetE1EEEvSK_
; %bb.0:
	.section	.rodata,"a",@progbits
	.p2align	6, 0x0
	.amdhsa_kernel _ZN7rocprim17ROCPRIM_400000_NS6detail17trampoline_kernelINS0_14default_configENS1_38merge_sort_block_merge_config_selectorIxNS0_10empty_typeEEEZZNS1_27merge_sort_block_merge_implIS3_N6thrust23THRUST_200600_302600_NS6detail15normal_iteratorINS9_10device_ptrIxEEEEPS5_m14custom_greaterIxEEE10hipError_tT0_T1_T2_jT3_P12ihipStream_tbPNSt15iterator_traitsISJ_E10value_typeEPNSP_ISK_E10value_typeEPSL_NS1_7vsmem_tEENKUlT_SJ_SK_SL_E_clIPxSE_SF_SF_EESI_SY_SJ_SK_SL_EUlSY_E0_NS1_11comp_targetILNS1_3genE5ELNS1_11target_archE942ELNS1_3gpuE9ELNS1_3repE0EEENS1_38merge_mergepath_config_static_selectorELNS0_4arch9wavefront6targetE1EEEvSK_
		.amdhsa_group_segment_fixed_size 0
		.amdhsa_private_segment_fixed_size 0
		.amdhsa_kernarg_size 72
		.amdhsa_user_sgpr_count 6
		.amdhsa_user_sgpr_private_segment_buffer 1
		.amdhsa_user_sgpr_dispatch_ptr 0
		.amdhsa_user_sgpr_queue_ptr 0
		.amdhsa_user_sgpr_kernarg_segment_ptr 1
		.amdhsa_user_sgpr_dispatch_id 0
		.amdhsa_user_sgpr_flat_scratch_init 0
		.amdhsa_user_sgpr_kernarg_preload_length 0
		.amdhsa_user_sgpr_kernarg_preload_offset 0
		.amdhsa_user_sgpr_private_segment_size 0
		.amdhsa_uses_dynamic_stack 0
		.amdhsa_system_sgpr_private_segment_wavefront_offset 0
		.amdhsa_system_sgpr_workgroup_id_x 1
		.amdhsa_system_sgpr_workgroup_id_y 0
		.amdhsa_system_sgpr_workgroup_id_z 0
		.amdhsa_system_sgpr_workgroup_info 0
		.amdhsa_system_vgpr_workitem_id 0
		.amdhsa_next_free_vgpr 1
		.amdhsa_next_free_sgpr 0
		.amdhsa_accum_offset 4
		.amdhsa_reserve_vcc 0
		.amdhsa_reserve_flat_scratch 0
		.amdhsa_float_round_mode_32 0
		.amdhsa_float_round_mode_16_64 0
		.amdhsa_float_denorm_mode_32 3
		.amdhsa_float_denorm_mode_16_64 3
		.amdhsa_dx10_clamp 1
		.amdhsa_ieee_mode 1
		.amdhsa_fp16_overflow 0
		.amdhsa_tg_split 0
		.amdhsa_exception_fp_ieee_invalid_op 0
		.amdhsa_exception_fp_denorm_src 0
		.amdhsa_exception_fp_ieee_div_zero 0
		.amdhsa_exception_fp_ieee_overflow 0
		.amdhsa_exception_fp_ieee_underflow 0
		.amdhsa_exception_fp_ieee_inexact 0
		.amdhsa_exception_int_div_zero 0
	.end_amdhsa_kernel
	.section	.text._ZN7rocprim17ROCPRIM_400000_NS6detail17trampoline_kernelINS0_14default_configENS1_38merge_sort_block_merge_config_selectorIxNS0_10empty_typeEEEZZNS1_27merge_sort_block_merge_implIS3_N6thrust23THRUST_200600_302600_NS6detail15normal_iteratorINS9_10device_ptrIxEEEEPS5_m14custom_greaterIxEEE10hipError_tT0_T1_T2_jT3_P12ihipStream_tbPNSt15iterator_traitsISJ_E10value_typeEPNSP_ISK_E10value_typeEPSL_NS1_7vsmem_tEENKUlT_SJ_SK_SL_E_clIPxSE_SF_SF_EESI_SY_SJ_SK_SL_EUlSY_E0_NS1_11comp_targetILNS1_3genE5ELNS1_11target_archE942ELNS1_3gpuE9ELNS1_3repE0EEENS1_38merge_mergepath_config_static_selectorELNS0_4arch9wavefront6targetE1EEEvSK_,"axG",@progbits,_ZN7rocprim17ROCPRIM_400000_NS6detail17trampoline_kernelINS0_14default_configENS1_38merge_sort_block_merge_config_selectorIxNS0_10empty_typeEEEZZNS1_27merge_sort_block_merge_implIS3_N6thrust23THRUST_200600_302600_NS6detail15normal_iteratorINS9_10device_ptrIxEEEEPS5_m14custom_greaterIxEEE10hipError_tT0_T1_T2_jT3_P12ihipStream_tbPNSt15iterator_traitsISJ_E10value_typeEPNSP_ISK_E10value_typeEPSL_NS1_7vsmem_tEENKUlT_SJ_SK_SL_E_clIPxSE_SF_SF_EESI_SY_SJ_SK_SL_EUlSY_E0_NS1_11comp_targetILNS1_3genE5ELNS1_11target_archE942ELNS1_3gpuE9ELNS1_3repE0EEENS1_38merge_mergepath_config_static_selectorELNS0_4arch9wavefront6targetE1EEEvSK_,comdat
.Lfunc_end3398:
	.size	_ZN7rocprim17ROCPRIM_400000_NS6detail17trampoline_kernelINS0_14default_configENS1_38merge_sort_block_merge_config_selectorIxNS0_10empty_typeEEEZZNS1_27merge_sort_block_merge_implIS3_N6thrust23THRUST_200600_302600_NS6detail15normal_iteratorINS9_10device_ptrIxEEEEPS5_m14custom_greaterIxEEE10hipError_tT0_T1_T2_jT3_P12ihipStream_tbPNSt15iterator_traitsISJ_E10value_typeEPNSP_ISK_E10value_typeEPSL_NS1_7vsmem_tEENKUlT_SJ_SK_SL_E_clIPxSE_SF_SF_EESI_SY_SJ_SK_SL_EUlSY_E0_NS1_11comp_targetILNS1_3genE5ELNS1_11target_archE942ELNS1_3gpuE9ELNS1_3repE0EEENS1_38merge_mergepath_config_static_selectorELNS0_4arch9wavefront6targetE1EEEvSK_, .Lfunc_end3398-_ZN7rocprim17ROCPRIM_400000_NS6detail17trampoline_kernelINS0_14default_configENS1_38merge_sort_block_merge_config_selectorIxNS0_10empty_typeEEEZZNS1_27merge_sort_block_merge_implIS3_N6thrust23THRUST_200600_302600_NS6detail15normal_iteratorINS9_10device_ptrIxEEEEPS5_m14custom_greaterIxEEE10hipError_tT0_T1_T2_jT3_P12ihipStream_tbPNSt15iterator_traitsISJ_E10value_typeEPNSP_ISK_E10value_typeEPSL_NS1_7vsmem_tEENKUlT_SJ_SK_SL_E_clIPxSE_SF_SF_EESI_SY_SJ_SK_SL_EUlSY_E0_NS1_11comp_targetILNS1_3genE5ELNS1_11target_archE942ELNS1_3gpuE9ELNS1_3repE0EEENS1_38merge_mergepath_config_static_selectorELNS0_4arch9wavefront6targetE1EEEvSK_
                                        ; -- End function
	.section	.AMDGPU.csdata,"",@progbits
; Kernel info:
; codeLenInByte = 0
; NumSgprs: 4
; NumVgprs: 0
; NumAgprs: 0
; TotalNumVgprs: 0
; ScratchSize: 0
; MemoryBound: 0
; FloatMode: 240
; IeeeMode: 1
; LDSByteSize: 0 bytes/workgroup (compile time only)
; SGPRBlocks: 0
; VGPRBlocks: 0
; NumSGPRsForWavesPerEU: 4
; NumVGPRsForWavesPerEU: 1
; AccumOffset: 4
; Occupancy: 8
; WaveLimiterHint : 0
; COMPUTE_PGM_RSRC2:SCRATCH_EN: 0
; COMPUTE_PGM_RSRC2:USER_SGPR: 6
; COMPUTE_PGM_RSRC2:TRAP_HANDLER: 0
; COMPUTE_PGM_RSRC2:TGID_X_EN: 1
; COMPUTE_PGM_RSRC2:TGID_Y_EN: 0
; COMPUTE_PGM_RSRC2:TGID_Z_EN: 0
; COMPUTE_PGM_RSRC2:TIDIG_COMP_CNT: 0
; COMPUTE_PGM_RSRC3_GFX90A:ACCUM_OFFSET: 0
; COMPUTE_PGM_RSRC3_GFX90A:TG_SPLIT: 0
	.section	.text._ZN7rocprim17ROCPRIM_400000_NS6detail17trampoline_kernelINS0_14default_configENS1_38merge_sort_block_merge_config_selectorIxNS0_10empty_typeEEEZZNS1_27merge_sort_block_merge_implIS3_N6thrust23THRUST_200600_302600_NS6detail15normal_iteratorINS9_10device_ptrIxEEEEPS5_m14custom_greaterIxEEE10hipError_tT0_T1_T2_jT3_P12ihipStream_tbPNSt15iterator_traitsISJ_E10value_typeEPNSP_ISK_E10value_typeEPSL_NS1_7vsmem_tEENKUlT_SJ_SK_SL_E_clIPxSE_SF_SF_EESI_SY_SJ_SK_SL_EUlSY_E0_NS1_11comp_targetILNS1_3genE4ELNS1_11target_archE910ELNS1_3gpuE8ELNS1_3repE0EEENS1_38merge_mergepath_config_static_selectorELNS0_4arch9wavefront6targetE1EEEvSK_,"axG",@progbits,_ZN7rocprim17ROCPRIM_400000_NS6detail17trampoline_kernelINS0_14default_configENS1_38merge_sort_block_merge_config_selectorIxNS0_10empty_typeEEEZZNS1_27merge_sort_block_merge_implIS3_N6thrust23THRUST_200600_302600_NS6detail15normal_iteratorINS9_10device_ptrIxEEEEPS5_m14custom_greaterIxEEE10hipError_tT0_T1_T2_jT3_P12ihipStream_tbPNSt15iterator_traitsISJ_E10value_typeEPNSP_ISK_E10value_typeEPSL_NS1_7vsmem_tEENKUlT_SJ_SK_SL_E_clIPxSE_SF_SF_EESI_SY_SJ_SK_SL_EUlSY_E0_NS1_11comp_targetILNS1_3genE4ELNS1_11target_archE910ELNS1_3gpuE8ELNS1_3repE0EEENS1_38merge_mergepath_config_static_selectorELNS0_4arch9wavefront6targetE1EEEvSK_,comdat
	.protected	_ZN7rocprim17ROCPRIM_400000_NS6detail17trampoline_kernelINS0_14default_configENS1_38merge_sort_block_merge_config_selectorIxNS0_10empty_typeEEEZZNS1_27merge_sort_block_merge_implIS3_N6thrust23THRUST_200600_302600_NS6detail15normal_iteratorINS9_10device_ptrIxEEEEPS5_m14custom_greaterIxEEE10hipError_tT0_T1_T2_jT3_P12ihipStream_tbPNSt15iterator_traitsISJ_E10value_typeEPNSP_ISK_E10value_typeEPSL_NS1_7vsmem_tEENKUlT_SJ_SK_SL_E_clIPxSE_SF_SF_EESI_SY_SJ_SK_SL_EUlSY_E0_NS1_11comp_targetILNS1_3genE4ELNS1_11target_archE910ELNS1_3gpuE8ELNS1_3repE0EEENS1_38merge_mergepath_config_static_selectorELNS0_4arch9wavefront6targetE1EEEvSK_ ; -- Begin function _ZN7rocprim17ROCPRIM_400000_NS6detail17trampoline_kernelINS0_14default_configENS1_38merge_sort_block_merge_config_selectorIxNS0_10empty_typeEEEZZNS1_27merge_sort_block_merge_implIS3_N6thrust23THRUST_200600_302600_NS6detail15normal_iteratorINS9_10device_ptrIxEEEEPS5_m14custom_greaterIxEEE10hipError_tT0_T1_T2_jT3_P12ihipStream_tbPNSt15iterator_traitsISJ_E10value_typeEPNSP_ISK_E10value_typeEPSL_NS1_7vsmem_tEENKUlT_SJ_SK_SL_E_clIPxSE_SF_SF_EESI_SY_SJ_SK_SL_EUlSY_E0_NS1_11comp_targetILNS1_3genE4ELNS1_11target_archE910ELNS1_3gpuE8ELNS1_3repE0EEENS1_38merge_mergepath_config_static_selectorELNS0_4arch9wavefront6targetE1EEEvSK_
	.globl	_ZN7rocprim17ROCPRIM_400000_NS6detail17trampoline_kernelINS0_14default_configENS1_38merge_sort_block_merge_config_selectorIxNS0_10empty_typeEEEZZNS1_27merge_sort_block_merge_implIS3_N6thrust23THRUST_200600_302600_NS6detail15normal_iteratorINS9_10device_ptrIxEEEEPS5_m14custom_greaterIxEEE10hipError_tT0_T1_T2_jT3_P12ihipStream_tbPNSt15iterator_traitsISJ_E10value_typeEPNSP_ISK_E10value_typeEPSL_NS1_7vsmem_tEENKUlT_SJ_SK_SL_E_clIPxSE_SF_SF_EESI_SY_SJ_SK_SL_EUlSY_E0_NS1_11comp_targetILNS1_3genE4ELNS1_11target_archE910ELNS1_3gpuE8ELNS1_3repE0EEENS1_38merge_mergepath_config_static_selectorELNS0_4arch9wavefront6targetE1EEEvSK_
	.p2align	8
	.type	_ZN7rocprim17ROCPRIM_400000_NS6detail17trampoline_kernelINS0_14default_configENS1_38merge_sort_block_merge_config_selectorIxNS0_10empty_typeEEEZZNS1_27merge_sort_block_merge_implIS3_N6thrust23THRUST_200600_302600_NS6detail15normal_iteratorINS9_10device_ptrIxEEEEPS5_m14custom_greaterIxEEE10hipError_tT0_T1_T2_jT3_P12ihipStream_tbPNSt15iterator_traitsISJ_E10value_typeEPNSP_ISK_E10value_typeEPSL_NS1_7vsmem_tEENKUlT_SJ_SK_SL_E_clIPxSE_SF_SF_EESI_SY_SJ_SK_SL_EUlSY_E0_NS1_11comp_targetILNS1_3genE4ELNS1_11target_archE910ELNS1_3gpuE8ELNS1_3repE0EEENS1_38merge_mergepath_config_static_selectorELNS0_4arch9wavefront6targetE1EEEvSK_,@function
_ZN7rocprim17ROCPRIM_400000_NS6detail17trampoline_kernelINS0_14default_configENS1_38merge_sort_block_merge_config_selectorIxNS0_10empty_typeEEEZZNS1_27merge_sort_block_merge_implIS3_N6thrust23THRUST_200600_302600_NS6detail15normal_iteratorINS9_10device_ptrIxEEEEPS5_m14custom_greaterIxEEE10hipError_tT0_T1_T2_jT3_P12ihipStream_tbPNSt15iterator_traitsISJ_E10value_typeEPNSP_ISK_E10value_typeEPSL_NS1_7vsmem_tEENKUlT_SJ_SK_SL_E_clIPxSE_SF_SF_EESI_SY_SJ_SK_SL_EUlSY_E0_NS1_11comp_targetILNS1_3genE4ELNS1_11target_archE910ELNS1_3gpuE8ELNS1_3repE0EEENS1_38merge_mergepath_config_static_selectorELNS0_4arch9wavefront6targetE1EEEvSK_: ; @_ZN7rocprim17ROCPRIM_400000_NS6detail17trampoline_kernelINS0_14default_configENS1_38merge_sort_block_merge_config_selectorIxNS0_10empty_typeEEEZZNS1_27merge_sort_block_merge_implIS3_N6thrust23THRUST_200600_302600_NS6detail15normal_iteratorINS9_10device_ptrIxEEEEPS5_m14custom_greaterIxEEE10hipError_tT0_T1_T2_jT3_P12ihipStream_tbPNSt15iterator_traitsISJ_E10value_typeEPNSP_ISK_E10value_typeEPSL_NS1_7vsmem_tEENKUlT_SJ_SK_SL_E_clIPxSE_SF_SF_EESI_SY_SJ_SK_SL_EUlSY_E0_NS1_11comp_targetILNS1_3genE4ELNS1_11target_archE910ELNS1_3gpuE8ELNS1_3repE0EEENS1_38merge_mergepath_config_static_selectorELNS0_4arch9wavefront6targetE1EEEvSK_
; %bb.0:
	s_load_dwordx2 s[22:23], s[4:5], 0x48
	s_load_dword s0, s[4:5], 0x38
	s_add_u32 s18, s4, 0x48
	s_addc_u32 s19, s5, 0
	s_waitcnt lgkmcnt(0)
	s_mul_i32 s1, s23, s8
	s_add_i32 s1, s1, s7
	s_mul_i32 s1, s1, s22
	s_add_i32 s20, s1, s6
	s_cmp_ge_u32 s20, s0
	s_cbranch_scc1 .LBB3399_33
; %bb.1:
	s_load_dwordx2 s[0:1], s[4:5], 0x40
	s_load_dwordx4 s[12:15], s[4:5], 0x8
	s_load_dwordx4 s[8:11], s[4:5], 0x28
	s_mov_b32 s21, 0
	s_lshl_b64 s[2:3], s[20:21], 3
	s_waitcnt lgkmcnt(0)
	s_add_u32 s0, s0, s2
	s_addc_u32 s1, s1, s3
	v_mov_b32_e32 v1, s10
	v_alignbit_b32 v1, s11, v1, 9
	v_readfirstlane_b32 s4, v1
	s_and_b32 s4, s4, -2
	s_sub_i32 s30, 0, s4
	s_and_b32 s24, s20, s30
	s_mov_b32 s25, s21
	s_lshl_b64 s[4:5], s[24:25], 10
	s_lshl_b64 s[16:17], s[20:21], 10
	s_sub_u32 s7, s16, s4
	s_load_dwordx4 s[0:3], s[0:1], 0x0
	s_subb_u32 s23, s17, s5
	s_lshl_b64 s[24:25], s[24:25], 11
	s_add_u32 s24, s24, s10
	s_addc_u32 s25, s25, s11
	s_add_u32 s7, s24, s7
	s_addc_u32 s23, s25, s23
	s_waitcnt lgkmcnt(0)
	s_sub_u32 s26, s7, s2
	s_subb_u32 s3, s23, s3
	s_add_u32 s26, s26, 0x400
	s_addc_u32 s27, s3, 0
	v_pk_mov_b32 v[2:3], s[26:27], s[26:27] op_sel:[0,1]
	v_cmp_lt_u64_e32 vcc, s[8:9], v[2:3]
	s_and_b64 s[28:29], vcc, exec
	s_cselect_b32 s3, s8, s26
	s_or_b32 s26, s20, s30
	s_cmp_lg_u32 s26, -1
	s_cbranch_scc1 .LBB3399_3
; %bb.2:
	s_sub_u32 s4, s24, s4
	s_subb_u32 s5, s25, s5
	v_pk_mov_b32 v[2:3], s[4:5], s[4:5] op_sel:[0,1]
	v_cmp_lt_u64_e32 vcc, s[8:9], v[2:3]
	s_and_b64 s[2:3], vcc, exec
	s_cselect_b32 s2, s8, s4
	s_add_u32 s4, s4, s10
	s_addc_u32 s5, s5, s11
	v_pk_mov_b32 v[2:3], s[4:5], s[4:5] op_sel:[0,1]
	v_cmp_lt_u64_e32 vcc, s[8:9], v[2:3]
	s_and_b64 s[10:11], vcc, exec
	s_cselect_b32 s3, s8, s4
.LBB3399_3:
	s_lshr_b64 s[26:27], s[8:9], 10
	s_cmp_lg_u64 s[26:27], s[20:21]
	s_cselect_b64 s[10:11], -1, 0
	s_sub_u32 s4, s7, s0
	s_subb_u32 s5, s23, s1
	v_pk_mov_b32 v[2:3], s[4:5], s[4:5] op_sel:[0,1]
	v_cmp_lt_u64_e32 vcc, s[8:9], v[2:3]
	s_and_b64 s[24:25], vcc, exec
	s_cselect_b32 s28, s8, s4
	s_cselect_b32 s29, s9, s5
	s_sub_i32 s9, s2, s0
	s_sub_i32 s4, s3, s28
	s_lshl_b64 s[0:1], s[0:1], 3
	s_add_u32 s23, s12, s0
	s_addc_u32 s24, s13, s1
	s_lshl_b64 s[0:1], s[28:29], 3
	s_add_u32 s5, s12, s0
	s_addc_u32 s7, s13, s1
	s_cmp_lt_u32 s6, s22
	v_mov_b32_e32 v9, 0
	s_cselect_b32 s0, 12, 18
	global_load_dword v1, v9, s[18:19] offset:14
	s_add_u32 s0, s18, s0
	s_addc_u32 s1, s19, 0
	global_load_ushort v2, v9, s[0:1]
	s_cmp_eq_u64 s[26:27], s[20:21]
	s_waitcnt vmcnt(1)
	v_lshrrev_b32_e32 v3, 16, v1
	v_and_b32_e32 v1, 0xffff, v1
	v_mul_lo_u32 v1, v1, v3
	s_waitcnt vmcnt(0)
	v_mul_lo_u32 v14, v1, v2
	v_add_u32_e32 v12, v14, v0
	v_lshlrev_b32_e32 v1, 3, v0
	v_add_u32_e32 v10, v12, v14
	s_cbranch_scc1 .LBB3399_5
; %bb.4:
	v_mov_b32_e32 v2, s24
	v_add_co_u32_e32 v4, vcc, s23, v1
	v_subrev_u32_e32 v8, s9, v0
	v_addc_co_u32_e32 v5, vcc, 0, v2, vcc
	v_lshlrev_b64 v[2:3], 3, v[8:9]
	v_mov_b32_e32 v6, s7
	v_add_co_u32_e32 v2, vcc, s5, v2
	v_addc_co_u32_e32 v3, vcc, v6, v3, vcc
	v_cmp_gt_u32_e32 vcc, s9, v0
	v_mov_b32_e32 v13, v9
	v_cndmask_b32_e32 v3, v3, v5, vcc
	v_cndmask_b32_e32 v2, v2, v4, vcc
	v_lshlrev_b64 v[4:5], 3, v[12:13]
	v_mov_b32_e32 v6, s24
	v_add_co_u32_e32 v7, vcc, s23, v4
	v_subrev_u32_e32 v8, s9, v12
	v_addc_co_u32_e32 v6, vcc, v6, v5, vcc
	v_lshlrev_b64 v[4:5], 3, v[8:9]
	v_mov_b32_e32 v8, s7
	v_add_co_u32_e32 v4, vcc, s5, v4
	v_addc_co_u32_e32 v5, vcc, v8, v5, vcc
	v_cmp_gt_u32_e32 vcc, s9, v12
	v_mov_b32_e32 v11, v9
	v_cndmask_b32_e32 v5, v5, v6, vcc
	v_cndmask_b32_e32 v4, v4, v7, vcc
	v_lshlrev_b64 v[6:7], 3, v[10:11]
	v_mov_b32_e32 v8, s24
	v_add_co_u32_e32 v11, vcc, s23, v6
	v_addc_co_u32_e32 v13, vcc, v8, v7, vcc
	v_subrev_u32_e32 v8, s9, v10
	v_lshlrev_b64 v[6:7], 3, v[8:9]
	v_mov_b32_e32 v8, s7
	v_add_co_u32_e32 v6, vcc, s5, v6
	v_addc_co_u32_e32 v7, vcc, v8, v7, vcc
	v_add_u32_e32 v8, v10, v14
	v_cmp_gt_u32_e32 vcc, s9, v10
	v_lshlrev_b64 v[16:17], 3, v[8:9]
	v_cndmask_b32_e32 v7, v7, v13, vcc
	v_cndmask_b32_e32 v6, v6, v11, vcc
	v_mov_b32_e32 v11, s24
	v_add_co_u32_e32 v13, vcc, s23, v16
	v_addc_co_u32_e32 v11, vcc, v11, v17, vcc
	v_cmp_gt_u32_e32 vcc, s9, v8
	v_subrev_u32_e32 v8, s9, v8
	v_lshlrev_b64 v[8:9], 3, v[8:9]
	v_mov_b32_e32 v15, s7
	v_add_co_u32_e64 v8, s[0:1], s5, v8
	v_addc_co_u32_e64 v9, s[0:1], v15, v9, s[0:1]
	v_cndmask_b32_e32 v9, v9, v11, vcc
	v_cndmask_b32_e32 v8, v8, v13, vcc
	global_load_dwordx2 v[2:3], v[2:3], off
	s_add_i32 s12, s9, s4
	global_load_dwordx2 v[4:5], v[4:5], off
	s_nop 0
	global_load_dwordx2 v[6:7], v[6:7], off
	s_nop 0
	global_load_dwordx2 v[8:9], v[8:9], off
	s_cbranch_execz .LBB3399_6
	s_branch .LBB3399_13
.LBB3399_5:
                                        ; implicit-def: $vgpr2_vgpr3_vgpr4_vgpr5_vgpr6_vgpr7_vgpr8_vgpr9
                                        ; implicit-def: $sgpr12
.LBB3399_6:
	s_add_i32 s12, s9, s4
	v_cmp_gt_u32_e32 vcc, s12, v0
                                        ; implicit-def: $vgpr2_vgpr3_vgpr4_vgpr5_vgpr6_vgpr7_vgpr8_vgpr9
	s_and_saveexec_b64 s[0:1], vcc
	s_cbranch_execnz .LBB3399_34
; %bb.7:
	s_or_b64 exec, exec, s[0:1]
	v_cmp_gt_u32_e32 vcc, s12, v12
	s_and_saveexec_b64 s[2:3], vcc
	s_cbranch_execnz .LBB3399_35
.LBB3399_8:
	s_or_b64 exec, exec, s[2:3]
	v_cmp_gt_u32_e32 vcc, s12, v10
	s_and_saveexec_b64 s[0:1], vcc
	s_cbranch_execz .LBB3399_10
.LBB3399_9:
	v_mov_b32_e32 v11, 0
	s_waitcnt vmcnt(1)
	v_lshlrev_b64 v[6:7], 3, v[10:11]
	v_mov_b32_e32 v12, s24
	v_add_co_u32_e32 v13, vcc, s23, v6
	v_addc_co_u32_e32 v12, vcc, v12, v7, vcc
	v_subrev_u32_e32 v6, s9, v10
	v_mov_b32_e32 v7, v11
	v_lshlrev_b64 v[6:7], 3, v[6:7]
	v_mov_b32_e32 v11, s7
	v_add_co_u32_e32 v6, vcc, s5, v6
	v_addc_co_u32_e32 v7, vcc, v11, v7, vcc
	v_cmp_gt_u32_e32 vcc, s9, v10
	v_cndmask_b32_e32 v7, v7, v12, vcc
	v_cndmask_b32_e32 v6, v6, v13, vcc
	global_load_dwordx2 v[6:7], v[6:7], off
.LBB3399_10:
	s_or_b64 exec, exec, s[0:1]
	v_add_u32_e32 v10, v10, v14
	v_cmp_gt_u32_e32 vcc, s12, v10
	s_and_saveexec_b64 s[2:3], vcc
	s_cbranch_execz .LBB3399_12
; %bb.11:
	v_mov_b32_e32 v11, 0
	s_waitcnt vmcnt(0)
	v_lshlrev_b64 v[8:9], 3, v[10:11]
	v_mov_b32_e32 v12, s24
	v_add_co_u32_e32 v13, vcc, s23, v8
	v_addc_co_u32_e32 v12, vcc, v12, v9, vcc
	v_cmp_gt_u32_e32 vcc, s9, v10
	v_subrev_u32_e32 v10, s9, v10
	v_lshlrev_b64 v[8:9], 3, v[10:11]
	v_mov_b32_e32 v10, s7
	v_add_co_u32_e64 v8, s[0:1], s5, v8
	v_addc_co_u32_e64 v9, s[0:1], v10, v9, s[0:1]
	v_cndmask_b32_e32 v9, v9, v12, vcc
	v_cndmask_b32_e32 v8, v8, v13, vcc
	global_load_dwordx2 v[8:9], v[8:9], off
.LBB3399_12:
	s_or_b64 exec, exec, s[2:3]
.LBB3399_13:
	v_lshlrev_b32_e32 v10, 2, v0
	v_min_u32_e32 v12, s12, v10
	v_sub_u32_e64 v11, v12, s4 clamp
	v_min_u32_e32 v13, s9, v12
	v_cmp_lt_u32_e32 vcc, v11, v13
	s_waitcnt vmcnt(0)
	ds_write2st64_b64 v1, v[2:3], v[4:5] offset1:4
	ds_write2st64_b64 v1, v[6:7], v[8:9] offset0:8 offset1:12
	s_waitcnt lgkmcnt(0)
	s_barrier
	s_and_saveexec_b64 s[0:1], vcc
	s_cbranch_execz .LBB3399_17
; %bb.14:
	v_lshlrev_b32_e32 v14, 3, v12
	v_lshl_add_u32 v14, s9, 3, v14
	s_mov_b64 s[2:3], 0
.LBB3399_15:                            ; =>This Inner Loop Header: Depth=1
	v_add_u32_e32 v15, v13, v11
	v_lshrrev_b32_e32 v15, 1, v15
	v_not_b32_e32 v16, v15
	v_lshlrev_b32_e32 v17, 3, v15
	v_lshl_add_u32 v18, v16, 3, v14
	ds_read_b64 v[16:17], v17
	ds_read_b64 v[18:19], v18
	v_add_u32_e32 v20, 1, v15
	s_waitcnt lgkmcnt(0)
	v_cmp_gt_i64_e32 vcc, v[16:17], v[18:19]
	v_cndmask_b32_e32 v13, v13, v15, vcc
	v_cndmask_b32_e32 v11, v20, v11, vcc
	v_cmp_ge_u32_e32 vcc, v11, v13
	s_or_b64 s[2:3], vcc, s[2:3]
	s_andn2_b64 exec, exec, s[2:3]
	s_cbranch_execnz .LBB3399_15
; %bb.16:
	s_or_b64 exec, exec, s[2:3]
.LBB3399_17:
	s_or_b64 exec, exec, s[0:1]
	v_sub_u32_e32 v12, v12, v11
	v_add_u32_e32 v12, s9, v12
	v_cmp_ge_u32_e32 vcc, s9, v11
	v_cmp_ge_u32_e64 s[0:1], s12, v12
	s_or_b64 s[0:1], vcc, s[0:1]
	s_and_saveexec_b64 s[6:7], s[0:1]
	s_cbranch_execz .LBB3399_23
; %bb.18:
	v_cmp_gt_u32_e32 vcc, s9, v11
                                        ; implicit-def: $vgpr2_vgpr3
	s_and_saveexec_b64 s[0:1], vcc
	s_cbranch_execz .LBB3399_20
; %bb.19:
	v_lshlrev_b32_e32 v2, 3, v11
	ds_read_b64 v[2:3], v2
.LBB3399_20:
	s_or_b64 exec, exec, s[0:1]
	v_cmp_le_u32_e64 s[0:1], s12, v12
	v_cmp_gt_u32_e64 s[2:3], s12, v12
                                        ; implicit-def: $vgpr4_vgpr5
	s_and_saveexec_b64 s[4:5], s[2:3]
	s_cbranch_execz .LBB3399_22
; %bb.21:
	v_lshlrev_b32_e32 v4, 3, v12
	ds_read_b64 v[4:5], v4
.LBB3399_22:
	s_or_b64 exec, exec, s[4:5]
	s_waitcnt lgkmcnt(0)
	v_cmp_le_i64_e64 s[2:3], v[2:3], v[4:5]
	s_and_b64 s[2:3], vcc, s[2:3]
	s_or_b64 vcc, s[0:1], s[2:3]
	v_mov_b32_e32 v16, s12
	v_mov_b32_e32 v17, s9
	v_cndmask_b32_e32 v6, v12, v11, vcc
	v_cndmask_b32_e32 v7, v16, v17, vcc
	v_add_u32_e32 v13, 1, v6
	v_add_u32_e32 v6, -1, v7
	v_min_u32_e32 v6, v13, v6
	v_lshlrev_b32_e32 v6, 3, v6
	ds_read_b64 v[6:7], v6
	v_cndmask_b32_e32 v11, v11, v13, vcc
	v_cndmask_b32_e32 v18, v13, v12, vcc
	v_cmp_gt_u32_e64 s[2:3], s9, v11
	v_cmp_le_u32_e64 s[0:1], s12, v18
	s_waitcnt lgkmcnt(0)
	v_cndmask_b32_e32 v9, v7, v5, vcc
	v_cndmask_b32_e32 v8, v6, v4, vcc
	;; [unrolled: 1-line block ×4, first 2 shown]
	v_cmp_le_i64_e64 s[4:5], v[6:7], v[8:9]
	s_and_b64 s[2:3], s[2:3], s[4:5]
	s_or_b64 s[0:1], s[0:1], s[2:3]
	v_cndmask_b32_e64 v12, v18, v11, s[0:1]
	v_cndmask_b32_e64 v13, v16, v17, s[0:1]
	v_add_u32_e32 v19, 1, v12
	v_add_u32_e32 v12, -1, v13
	v_min_u32_e32 v12, v19, v12
	v_lshlrev_b32_e32 v12, 3, v12
	ds_read_b64 v[12:13], v12
	v_cndmask_b32_e64 v11, v11, v19, s[0:1]
	v_cndmask_b32_e64 v18, v19, v18, s[0:1]
	v_cmp_gt_u32_e64 s[2:3], s9, v11
	v_cndmask_b32_e32 v3, v5, v3, vcc
	s_waitcnt lgkmcnt(0)
	v_cndmask_b32_e64 v15, v13, v9, s[0:1]
	v_cndmask_b32_e64 v14, v12, v8, s[0:1]
	;; [unrolled: 1-line block ×4, first 2 shown]
	v_cmp_le_i64_e64 s[4:5], v[12:13], v[14:15]
	v_cndmask_b32_e32 v2, v4, v2, vcc
	v_cmp_le_u32_e32 vcc, s12, v18
	s_and_b64 s[2:3], s[2:3], s[4:5]
	s_or_b64 vcc, vcc, s[2:3]
	v_cndmask_b32_e32 v4, v18, v11, vcc
	v_cndmask_b32_e32 v5, v16, v17, vcc
	v_add_u32_e32 v19, 1, v4
	v_add_u32_e32 v4, -1, v5
	v_min_u32_e32 v4, v19, v4
	v_lshlrev_b32_e32 v4, 3, v4
	ds_read_b64 v[16:17], v4
	v_cndmask_b32_e64 v5, v9, v7, s[0:1]
	v_cndmask_b32_e64 v4, v8, v6, s[0:1]
	v_cndmask_b32_e32 v7, v15, v13, vcc
	v_cndmask_b32_e32 v6, v14, v12, vcc
	s_waitcnt lgkmcnt(0)
	v_cndmask_b32_e32 v9, v17, v15, vcc
	v_cndmask_b32_e32 v8, v16, v14, vcc
	;; [unrolled: 1-line block ×6, first 2 shown]
	v_cmp_gt_u32_e64 s[0:1], s9, v11
	v_cmp_le_i64_e64 s[2:3], v[12:13], v[8:9]
	v_cmp_le_u32_e32 vcc, s12, v14
	s_and_b64 s[0:1], s[0:1], s[2:3]
	s_or_b64 vcc, vcc, s[0:1]
	v_cndmask_b32_e32 v9, v9, v13, vcc
	v_cndmask_b32_e32 v8, v8, v12, vcc
.LBB3399_23:
	s_or_b64 exec, exec, s[6:7]
	v_and_b32_e32 v11, 0xf8, v0
	v_lshl_add_u32 v10, v10, 3, v11
	s_barrier
	s_barrier
	ds_write2_b64 v10, v[2:3], v[4:5] offset1:1
	ds_write2_b64 v10, v[6:7], v[8:9] offset0:2 offset1:3
	v_lshrrev_b32_e32 v2, 2, v0
	v_and_b32_e32 v2, 56, v2
	v_or_b32_e32 v12, 0x100, v0
	v_add_u32_e32 v13, v1, v2
	v_lshrrev_b32_e32 v2, 2, v12
	v_and_b32_e32 v2, 0x78, v2
	v_or_b32_e32 v11, 0x200, v0
	v_add_u32_e32 v6, v1, v2
	v_lshrrev_b32_e32 v2, 2, v11
	s_lshl_b64 s[0:1], s[16:17], 3
	v_and_b32_e32 v2, 0xb8, v2
	v_or_b32_e32 v10, 0x300, v0
	s_add_u32 s0, s14, s0
	v_add_u32_e32 v7, v1, v2
	v_lshrrev_b32_e32 v2, 2, v10
	s_addc_u32 s1, s15, s1
	v_and_b32_e32 v2, 0xf8, v2
	v_add_u32_e32 v14, v1, v2
	v_mov_b32_e32 v3, s1
	v_add_co_u32_e32 v2, vcc, s0, v1
	v_addc_co_u32_e32 v3, vcc, 0, v3, vcc
	s_and_b64 vcc, exec, s[10:11]
	s_waitcnt lgkmcnt(0)
	s_cbranch_vccz .LBB3399_25
; %bb.24:
	s_barrier
	ds_read_b64 v[8:9], v13
	ds_read_b64 v[16:17], v6 offset:2048
	ds_read_b64 v[18:19], v7 offset:4096
	;; [unrolled: 1-line block ×3, first 2 shown]
	s_waitcnt lgkmcnt(3)
	global_store_dwordx2 v[2:3], v[8:9], off
	s_waitcnt lgkmcnt(2)
	global_store_dwordx2 v[2:3], v[16:17], off offset:2048
	v_add_co_u32_e32 v8, vcc, 0x1000, v2
	v_addc_co_u32_e32 v9, vcc, 0, v3, vcc
	s_waitcnt lgkmcnt(1)
	global_store_dwordx2 v[8:9], v[18:19], off
	s_mov_b64 s[0:1], -1
	s_cbranch_execz .LBB3399_26
	s_branch .LBB3399_31
.LBB3399_25:
	s_mov_b64 s[0:1], 0
                                        ; implicit-def: $vgpr4_vgpr5
.LBB3399_26:
	s_barrier
	s_waitcnt lgkmcnt(0)
	ds_read_b64 v[8:9], v6 offset:2048
	ds_read_b64 v[6:7], v7 offset:4096
	;; [unrolled: 1-line block ×3, first 2 shown]
	s_sub_i32 s2, s8, s16
	v_cmp_gt_u32_e32 vcc, s2, v0
	s_and_saveexec_b64 s[0:1], vcc
	s_cbranch_execnz .LBB3399_36
; %bb.27:
	s_or_b64 exec, exec, s[0:1]
	v_cmp_gt_u32_e32 vcc, s2, v12
	s_and_saveexec_b64 s[0:1], vcc
	s_cbranch_execnz .LBB3399_37
.LBB3399_28:
	s_or_b64 exec, exec, s[0:1]
	v_cmp_gt_u32_e32 vcc, s2, v11
	s_and_saveexec_b64 s[0:1], vcc
	s_cbranch_execz .LBB3399_30
.LBB3399_29:
	v_add_co_u32_e32 v0, vcc, 0x1000, v2
	v_addc_co_u32_e32 v1, vcc, 0, v3, vcc
	s_waitcnt lgkmcnt(1)
	global_store_dwordx2 v[0:1], v[6:7], off
.LBB3399_30:
	s_or_b64 exec, exec, s[0:1]
	v_cmp_gt_u32_e64 s[0:1], s2, v10
.LBB3399_31:
	s_and_saveexec_b64 s[2:3], s[0:1]
	s_cbranch_execz .LBB3399_33
; %bb.32:
	v_add_co_u32_e32 v0, vcc, 0x1000, v2
	v_addc_co_u32_e32 v1, vcc, 0, v3, vcc
	s_waitcnt lgkmcnt(0)
	global_store_dwordx2 v[0:1], v[4:5], off offset:2048
.LBB3399_33:
	s_endpgm
.LBB3399_34:
	s_waitcnt vmcnt(3)
	v_mov_b32_e32 v2, s24
	s_waitcnt vmcnt(2)
	v_add_co_u32_e32 v4, vcc, s23, v1
	v_mov_b32_e32 v3, 0
	v_addc_co_u32_e32 v5, vcc, 0, v2, vcc
	v_subrev_u32_e32 v2, s9, v0
	v_lshlrev_b64 v[2:3], 3, v[2:3]
	s_waitcnt vmcnt(1)
	v_mov_b32_e32 v6, s7
	v_add_co_u32_e32 v2, vcc, s5, v2
	v_addc_co_u32_e32 v3, vcc, v6, v3, vcc
	v_cmp_gt_u32_e32 vcc, s9, v0
	v_cndmask_b32_e32 v3, v3, v5, vcc
	v_cndmask_b32_e32 v2, v2, v4, vcc
	global_load_dwordx2 v[2:3], v[2:3], off
	s_or_b64 exec, exec, s[0:1]
	v_cmp_gt_u32_e32 vcc, s12, v12
	s_and_saveexec_b64 s[2:3], vcc
	s_cbranch_execz .LBB3399_8
.LBB3399_35:
	v_mov_b32_e32 v13, 0
	s_waitcnt vmcnt(2)
	v_lshlrev_b64 v[4:5], 3, v[12:13]
	v_mov_b32_e32 v11, s24
	v_add_co_u32_e32 v15, vcc, s23, v4
	v_addc_co_u32_e32 v11, vcc, v11, v5, vcc
	v_cmp_gt_u32_e32 vcc, s9, v12
	v_subrev_u32_e32 v12, s9, v12
	v_lshlrev_b64 v[4:5], 3, v[12:13]
	v_mov_b32_e32 v12, s7
	v_add_co_u32_e64 v4, s[0:1], s5, v4
	v_addc_co_u32_e64 v5, s[0:1], v12, v5, s[0:1]
	v_cndmask_b32_e32 v5, v5, v11, vcc
	v_cndmask_b32_e32 v4, v4, v15, vcc
	global_load_dwordx2 v[4:5], v[4:5], off
	s_or_b64 exec, exec, s[2:3]
	v_cmp_gt_u32_e32 vcc, s12, v10
	s_and_saveexec_b64 s[0:1], vcc
	s_cbranch_execnz .LBB3399_9
	s_branch .LBB3399_10
.LBB3399_36:
	ds_read_b64 v[0:1], v13
	s_waitcnt lgkmcnt(0)
	global_store_dwordx2 v[2:3], v[0:1], off
	s_or_b64 exec, exec, s[0:1]
	v_cmp_gt_u32_e32 vcc, s2, v12
	s_and_saveexec_b64 s[0:1], vcc
	s_cbranch_execz .LBB3399_28
.LBB3399_37:
	s_waitcnt lgkmcnt(2)
	global_store_dwordx2 v[2:3], v[8:9], off offset:2048
	s_or_b64 exec, exec, s[0:1]
	v_cmp_gt_u32_e32 vcc, s2, v11
	s_and_saveexec_b64 s[0:1], vcc
	s_cbranch_execnz .LBB3399_29
	s_branch .LBB3399_30
	.section	.rodata,"a",@progbits
	.p2align	6, 0x0
	.amdhsa_kernel _ZN7rocprim17ROCPRIM_400000_NS6detail17trampoline_kernelINS0_14default_configENS1_38merge_sort_block_merge_config_selectorIxNS0_10empty_typeEEEZZNS1_27merge_sort_block_merge_implIS3_N6thrust23THRUST_200600_302600_NS6detail15normal_iteratorINS9_10device_ptrIxEEEEPS5_m14custom_greaterIxEEE10hipError_tT0_T1_T2_jT3_P12ihipStream_tbPNSt15iterator_traitsISJ_E10value_typeEPNSP_ISK_E10value_typeEPSL_NS1_7vsmem_tEENKUlT_SJ_SK_SL_E_clIPxSE_SF_SF_EESI_SY_SJ_SK_SL_EUlSY_E0_NS1_11comp_targetILNS1_3genE4ELNS1_11target_archE910ELNS1_3gpuE8ELNS1_3repE0EEENS1_38merge_mergepath_config_static_selectorELNS0_4arch9wavefront6targetE1EEEvSK_
		.amdhsa_group_segment_fixed_size 8448
		.amdhsa_private_segment_fixed_size 0
		.amdhsa_kernarg_size 328
		.amdhsa_user_sgpr_count 6
		.amdhsa_user_sgpr_private_segment_buffer 1
		.amdhsa_user_sgpr_dispatch_ptr 0
		.amdhsa_user_sgpr_queue_ptr 0
		.amdhsa_user_sgpr_kernarg_segment_ptr 1
		.amdhsa_user_sgpr_dispatch_id 0
		.amdhsa_user_sgpr_flat_scratch_init 0
		.amdhsa_user_sgpr_kernarg_preload_length 0
		.amdhsa_user_sgpr_kernarg_preload_offset 0
		.amdhsa_user_sgpr_private_segment_size 0
		.amdhsa_uses_dynamic_stack 0
		.amdhsa_system_sgpr_private_segment_wavefront_offset 0
		.amdhsa_system_sgpr_workgroup_id_x 1
		.amdhsa_system_sgpr_workgroup_id_y 1
		.amdhsa_system_sgpr_workgroup_id_z 1
		.amdhsa_system_sgpr_workgroup_info 0
		.amdhsa_system_vgpr_workitem_id 0
		.amdhsa_next_free_vgpr 21
		.amdhsa_next_free_sgpr 31
		.amdhsa_accum_offset 24
		.amdhsa_reserve_vcc 1
		.amdhsa_reserve_flat_scratch 0
		.amdhsa_float_round_mode_32 0
		.amdhsa_float_round_mode_16_64 0
		.amdhsa_float_denorm_mode_32 3
		.amdhsa_float_denorm_mode_16_64 3
		.amdhsa_dx10_clamp 1
		.amdhsa_ieee_mode 1
		.amdhsa_fp16_overflow 0
		.amdhsa_tg_split 0
		.amdhsa_exception_fp_ieee_invalid_op 0
		.amdhsa_exception_fp_denorm_src 0
		.amdhsa_exception_fp_ieee_div_zero 0
		.amdhsa_exception_fp_ieee_overflow 0
		.amdhsa_exception_fp_ieee_underflow 0
		.amdhsa_exception_fp_ieee_inexact 0
		.amdhsa_exception_int_div_zero 0
	.end_amdhsa_kernel
	.section	.text._ZN7rocprim17ROCPRIM_400000_NS6detail17trampoline_kernelINS0_14default_configENS1_38merge_sort_block_merge_config_selectorIxNS0_10empty_typeEEEZZNS1_27merge_sort_block_merge_implIS3_N6thrust23THRUST_200600_302600_NS6detail15normal_iteratorINS9_10device_ptrIxEEEEPS5_m14custom_greaterIxEEE10hipError_tT0_T1_T2_jT3_P12ihipStream_tbPNSt15iterator_traitsISJ_E10value_typeEPNSP_ISK_E10value_typeEPSL_NS1_7vsmem_tEENKUlT_SJ_SK_SL_E_clIPxSE_SF_SF_EESI_SY_SJ_SK_SL_EUlSY_E0_NS1_11comp_targetILNS1_3genE4ELNS1_11target_archE910ELNS1_3gpuE8ELNS1_3repE0EEENS1_38merge_mergepath_config_static_selectorELNS0_4arch9wavefront6targetE1EEEvSK_,"axG",@progbits,_ZN7rocprim17ROCPRIM_400000_NS6detail17trampoline_kernelINS0_14default_configENS1_38merge_sort_block_merge_config_selectorIxNS0_10empty_typeEEEZZNS1_27merge_sort_block_merge_implIS3_N6thrust23THRUST_200600_302600_NS6detail15normal_iteratorINS9_10device_ptrIxEEEEPS5_m14custom_greaterIxEEE10hipError_tT0_T1_T2_jT3_P12ihipStream_tbPNSt15iterator_traitsISJ_E10value_typeEPNSP_ISK_E10value_typeEPSL_NS1_7vsmem_tEENKUlT_SJ_SK_SL_E_clIPxSE_SF_SF_EESI_SY_SJ_SK_SL_EUlSY_E0_NS1_11comp_targetILNS1_3genE4ELNS1_11target_archE910ELNS1_3gpuE8ELNS1_3repE0EEENS1_38merge_mergepath_config_static_selectorELNS0_4arch9wavefront6targetE1EEEvSK_,comdat
.Lfunc_end3399:
	.size	_ZN7rocprim17ROCPRIM_400000_NS6detail17trampoline_kernelINS0_14default_configENS1_38merge_sort_block_merge_config_selectorIxNS0_10empty_typeEEEZZNS1_27merge_sort_block_merge_implIS3_N6thrust23THRUST_200600_302600_NS6detail15normal_iteratorINS9_10device_ptrIxEEEEPS5_m14custom_greaterIxEEE10hipError_tT0_T1_T2_jT3_P12ihipStream_tbPNSt15iterator_traitsISJ_E10value_typeEPNSP_ISK_E10value_typeEPSL_NS1_7vsmem_tEENKUlT_SJ_SK_SL_E_clIPxSE_SF_SF_EESI_SY_SJ_SK_SL_EUlSY_E0_NS1_11comp_targetILNS1_3genE4ELNS1_11target_archE910ELNS1_3gpuE8ELNS1_3repE0EEENS1_38merge_mergepath_config_static_selectorELNS0_4arch9wavefront6targetE1EEEvSK_, .Lfunc_end3399-_ZN7rocprim17ROCPRIM_400000_NS6detail17trampoline_kernelINS0_14default_configENS1_38merge_sort_block_merge_config_selectorIxNS0_10empty_typeEEEZZNS1_27merge_sort_block_merge_implIS3_N6thrust23THRUST_200600_302600_NS6detail15normal_iteratorINS9_10device_ptrIxEEEEPS5_m14custom_greaterIxEEE10hipError_tT0_T1_T2_jT3_P12ihipStream_tbPNSt15iterator_traitsISJ_E10value_typeEPNSP_ISK_E10value_typeEPSL_NS1_7vsmem_tEENKUlT_SJ_SK_SL_E_clIPxSE_SF_SF_EESI_SY_SJ_SK_SL_EUlSY_E0_NS1_11comp_targetILNS1_3genE4ELNS1_11target_archE910ELNS1_3gpuE8ELNS1_3repE0EEENS1_38merge_mergepath_config_static_selectorELNS0_4arch9wavefront6targetE1EEEvSK_
                                        ; -- End function
	.section	.AMDGPU.csdata,"",@progbits
; Kernel info:
; codeLenInByte = 2272
; NumSgprs: 35
; NumVgprs: 21
; NumAgprs: 0
; TotalNumVgprs: 21
; ScratchSize: 0
; MemoryBound: 0
; FloatMode: 240
; IeeeMode: 1
; LDSByteSize: 8448 bytes/workgroup (compile time only)
; SGPRBlocks: 4
; VGPRBlocks: 2
; NumSGPRsForWavesPerEU: 35
; NumVGPRsForWavesPerEU: 21
; AccumOffset: 24
; Occupancy: 7
; WaveLimiterHint : 1
; COMPUTE_PGM_RSRC2:SCRATCH_EN: 0
; COMPUTE_PGM_RSRC2:USER_SGPR: 6
; COMPUTE_PGM_RSRC2:TRAP_HANDLER: 0
; COMPUTE_PGM_RSRC2:TGID_X_EN: 1
; COMPUTE_PGM_RSRC2:TGID_Y_EN: 1
; COMPUTE_PGM_RSRC2:TGID_Z_EN: 1
; COMPUTE_PGM_RSRC2:TIDIG_COMP_CNT: 0
; COMPUTE_PGM_RSRC3_GFX90A:ACCUM_OFFSET: 5
; COMPUTE_PGM_RSRC3_GFX90A:TG_SPLIT: 0
	.section	.text._ZN7rocprim17ROCPRIM_400000_NS6detail17trampoline_kernelINS0_14default_configENS1_38merge_sort_block_merge_config_selectorIxNS0_10empty_typeEEEZZNS1_27merge_sort_block_merge_implIS3_N6thrust23THRUST_200600_302600_NS6detail15normal_iteratorINS9_10device_ptrIxEEEEPS5_m14custom_greaterIxEEE10hipError_tT0_T1_T2_jT3_P12ihipStream_tbPNSt15iterator_traitsISJ_E10value_typeEPNSP_ISK_E10value_typeEPSL_NS1_7vsmem_tEENKUlT_SJ_SK_SL_E_clIPxSE_SF_SF_EESI_SY_SJ_SK_SL_EUlSY_E0_NS1_11comp_targetILNS1_3genE3ELNS1_11target_archE908ELNS1_3gpuE7ELNS1_3repE0EEENS1_38merge_mergepath_config_static_selectorELNS0_4arch9wavefront6targetE1EEEvSK_,"axG",@progbits,_ZN7rocprim17ROCPRIM_400000_NS6detail17trampoline_kernelINS0_14default_configENS1_38merge_sort_block_merge_config_selectorIxNS0_10empty_typeEEEZZNS1_27merge_sort_block_merge_implIS3_N6thrust23THRUST_200600_302600_NS6detail15normal_iteratorINS9_10device_ptrIxEEEEPS5_m14custom_greaterIxEEE10hipError_tT0_T1_T2_jT3_P12ihipStream_tbPNSt15iterator_traitsISJ_E10value_typeEPNSP_ISK_E10value_typeEPSL_NS1_7vsmem_tEENKUlT_SJ_SK_SL_E_clIPxSE_SF_SF_EESI_SY_SJ_SK_SL_EUlSY_E0_NS1_11comp_targetILNS1_3genE3ELNS1_11target_archE908ELNS1_3gpuE7ELNS1_3repE0EEENS1_38merge_mergepath_config_static_selectorELNS0_4arch9wavefront6targetE1EEEvSK_,comdat
	.protected	_ZN7rocprim17ROCPRIM_400000_NS6detail17trampoline_kernelINS0_14default_configENS1_38merge_sort_block_merge_config_selectorIxNS0_10empty_typeEEEZZNS1_27merge_sort_block_merge_implIS3_N6thrust23THRUST_200600_302600_NS6detail15normal_iteratorINS9_10device_ptrIxEEEEPS5_m14custom_greaterIxEEE10hipError_tT0_T1_T2_jT3_P12ihipStream_tbPNSt15iterator_traitsISJ_E10value_typeEPNSP_ISK_E10value_typeEPSL_NS1_7vsmem_tEENKUlT_SJ_SK_SL_E_clIPxSE_SF_SF_EESI_SY_SJ_SK_SL_EUlSY_E0_NS1_11comp_targetILNS1_3genE3ELNS1_11target_archE908ELNS1_3gpuE7ELNS1_3repE0EEENS1_38merge_mergepath_config_static_selectorELNS0_4arch9wavefront6targetE1EEEvSK_ ; -- Begin function _ZN7rocprim17ROCPRIM_400000_NS6detail17trampoline_kernelINS0_14default_configENS1_38merge_sort_block_merge_config_selectorIxNS0_10empty_typeEEEZZNS1_27merge_sort_block_merge_implIS3_N6thrust23THRUST_200600_302600_NS6detail15normal_iteratorINS9_10device_ptrIxEEEEPS5_m14custom_greaterIxEEE10hipError_tT0_T1_T2_jT3_P12ihipStream_tbPNSt15iterator_traitsISJ_E10value_typeEPNSP_ISK_E10value_typeEPSL_NS1_7vsmem_tEENKUlT_SJ_SK_SL_E_clIPxSE_SF_SF_EESI_SY_SJ_SK_SL_EUlSY_E0_NS1_11comp_targetILNS1_3genE3ELNS1_11target_archE908ELNS1_3gpuE7ELNS1_3repE0EEENS1_38merge_mergepath_config_static_selectorELNS0_4arch9wavefront6targetE1EEEvSK_
	.globl	_ZN7rocprim17ROCPRIM_400000_NS6detail17trampoline_kernelINS0_14default_configENS1_38merge_sort_block_merge_config_selectorIxNS0_10empty_typeEEEZZNS1_27merge_sort_block_merge_implIS3_N6thrust23THRUST_200600_302600_NS6detail15normal_iteratorINS9_10device_ptrIxEEEEPS5_m14custom_greaterIxEEE10hipError_tT0_T1_T2_jT3_P12ihipStream_tbPNSt15iterator_traitsISJ_E10value_typeEPNSP_ISK_E10value_typeEPSL_NS1_7vsmem_tEENKUlT_SJ_SK_SL_E_clIPxSE_SF_SF_EESI_SY_SJ_SK_SL_EUlSY_E0_NS1_11comp_targetILNS1_3genE3ELNS1_11target_archE908ELNS1_3gpuE7ELNS1_3repE0EEENS1_38merge_mergepath_config_static_selectorELNS0_4arch9wavefront6targetE1EEEvSK_
	.p2align	8
	.type	_ZN7rocprim17ROCPRIM_400000_NS6detail17trampoline_kernelINS0_14default_configENS1_38merge_sort_block_merge_config_selectorIxNS0_10empty_typeEEEZZNS1_27merge_sort_block_merge_implIS3_N6thrust23THRUST_200600_302600_NS6detail15normal_iteratorINS9_10device_ptrIxEEEEPS5_m14custom_greaterIxEEE10hipError_tT0_T1_T2_jT3_P12ihipStream_tbPNSt15iterator_traitsISJ_E10value_typeEPNSP_ISK_E10value_typeEPSL_NS1_7vsmem_tEENKUlT_SJ_SK_SL_E_clIPxSE_SF_SF_EESI_SY_SJ_SK_SL_EUlSY_E0_NS1_11comp_targetILNS1_3genE3ELNS1_11target_archE908ELNS1_3gpuE7ELNS1_3repE0EEENS1_38merge_mergepath_config_static_selectorELNS0_4arch9wavefront6targetE1EEEvSK_,@function
_ZN7rocprim17ROCPRIM_400000_NS6detail17trampoline_kernelINS0_14default_configENS1_38merge_sort_block_merge_config_selectorIxNS0_10empty_typeEEEZZNS1_27merge_sort_block_merge_implIS3_N6thrust23THRUST_200600_302600_NS6detail15normal_iteratorINS9_10device_ptrIxEEEEPS5_m14custom_greaterIxEEE10hipError_tT0_T1_T2_jT3_P12ihipStream_tbPNSt15iterator_traitsISJ_E10value_typeEPNSP_ISK_E10value_typeEPSL_NS1_7vsmem_tEENKUlT_SJ_SK_SL_E_clIPxSE_SF_SF_EESI_SY_SJ_SK_SL_EUlSY_E0_NS1_11comp_targetILNS1_3genE3ELNS1_11target_archE908ELNS1_3gpuE7ELNS1_3repE0EEENS1_38merge_mergepath_config_static_selectorELNS0_4arch9wavefront6targetE1EEEvSK_: ; @_ZN7rocprim17ROCPRIM_400000_NS6detail17trampoline_kernelINS0_14default_configENS1_38merge_sort_block_merge_config_selectorIxNS0_10empty_typeEEEZZNS1_27merge_sort_block_merge_implIS3_N6thrust23THRUST_200600_302600_NS6detail15normal_iteratorINS9_10device_ptrIxEEEEPS5_m14custom_greaterIxEEE10hipError_tT0_T1_T2_jT3_P12ihipStream_tbPNSt15iterator_traitsISJ_E10value_typeEPNSP_ISK_E10value_typeEPSL_NS1_7vsmem_tEENKUlT_SJ_SK_SL_E_clIPxSE_SF_SF_EESI_SY_SJ_SK_SL_EUlSY_E0_NS1_11comp_targetILNS1_3genE3ELNS1_11target_archE908ELNS1_3gpuE7ELNS1_3repE0EEENS1_38merge_mergepath_config_static_selectorELNS0_4arch9wavefront6targetE1EEEvSK_
; %bb.0:
	.section	.rodata,"a",@progbits
	.p2align	6, 0x0
	.amdhsa_kernel _ZN7rocprim17ROCPRIM_400000_NS6detail17trampoline_kernelINS0_14default_configENS1_38merge_sort_block_merge_config_selectorIxNS0_10empty_typeEEEZZNS1_27merge_sort_block_merge_implIS3_N6thrust23THRUST_200600_302600_NS6detail15normal_iteratorINS9_10device_ptrIxEEEEPS5_m14custom_greaterIxEEE10hipError_tT0_T1_T2_jT3_P12ihipStream_tbPNSt15iterator_traitsISJ_E10value_typeEPNSP_ISK_E10value_typeEPSL_NS1_7vsmem_tEENKUlT_SJ_SK_SL_E_clIPxSE_SF_SF_EESI_SY_SJ_SK_SL_EUlSY_E0_NS1_11comp_targetILNS1_3genE3ELNS1_11target_archE908ELNS1_3gpuE7ELNS1_3repE0EEENS1_38merge_mergepath_config_static_selectorELNS0_4arch9wavefront6targetE1EEEvSK_
		.amdhsa_group_segment_fixed_size 0
		.amdhsa_private_segment_fixed_size 0
		.amdhsa_kernarg_size 72
		.amdhsa_user_sgpr_count 6
		.amdhsa_user_sgpr_private_segment_buffer 1
		.amdhsa_user_sgpr_dispatch_ptr 0
		.amdhsa_user_sgpr_queue_ptr 0
		.amdhsa_user_sgpr_kernarg_segment_ptr 1
		.amdhsa_user_sgpr_dispatch_id 0
		.amdhsa_user_sgpr_flat_scratch_init 0
		.amdhsa_user_sgpr_kernarg_preload_length 0
		.amdhsa_user_sgpr_kernarg_preload_offset 0
		.amdhsa_user_sgpr_private_segment_size 0
		.amdhsa_uses_dynamic_stack 0
		.amdhsa_system_sgpr_private_segment_wavefront_offset 0
		.amdhsa_system_sgpr_workgroup_id_x 1
		.amdhsa_system_sgpr_workgroup_id_y 0
		.amdhsa_system_sgpr_workgroup_id_z 0
		.amdhsa_system_sgpr_workgroup_info 0
		.amdhsa_system_vgpr_workitem_id 0
		.amdhsa_next_free_vgpr 1
		.amdhsa_next_free_sgpr 0
		.amdhsa_accum_offset 4
		.amdhsa_reserve_vcc 0
		.amdhsa_reserve_flat_scratch 0
		.amdhsa_float_round_mode_32 0
		.amdhsa_float_round_mode_16_64 0
		.amdhsa_float_denorm_mode_32 3
		.amdhsa_float_denorm_mode_16_64 3
		.amdhsa_dx10_clamp 1
		.amdhsa_ieee_mode 1
		.amdhsa_fp16_overflow 0
		.amdhsa_tg_split 0
		.amdhsa_exception_fp_ieee_invalid_op 0
		.amdhsa_exception_fp_denorm_src 0
		.amdhsa_exception_fp_ieee_div_zero 0
		.amdhsa_exception_fp_ieee_overflow 0
		.amdhsa_exception_fp_ieee_underflow 0
		.amdhsa_exception_fp_ieee_inexact 0
		.amdhsa_exception_int_div_zero 0
	.end_amdhsa_kernel
	.section	.text._ZN7rocprim17ROCPRIM_400000_NS6detail17trampoline_kernelINS0_14default_configENS1_38merge_sort_block_merge_config_selectorIxNS0_10empty_typeEEEZZNS1_27merge_sort_block_merge_implIS3_N6thrust23THRUST_200600_302600_NS6detail15normal_iteratorINS9_10device_ptrIxEEEEPS5_m14custom_greaterIxEEE10hipError_tT0_T1_T2_jT3_P12ihipStream_tbPNSt15iterator_traitsISJ_E10value_typeEPNSP_ISK_E10value_typeEPSL_NS1_7vsmem_tEENKUlT_SJ_SK_SL_E_clIPxSE_SF_SF_EESI_SY_SJ_SK_SL_EUlSY_E0_NS1_11comp_targetILNS1_3genE3ELNS1_11target_archE908ELNS1_3gpuE7ELNS1_3repE0EEENS1_38merge_mergepath_config_static_selectorELNS0_4arch9wavefront6targetE1EEEvSK_,"axG",@progbits,_ZN7rocprim17ROCPRIM_400000_NS6detail17trampoline_kernelINS0_14default_configENS1_38merge_sort_block_merge_config_selectorIxNS0_10empty_typeEEEZZNS1_27merge_sort_block_merge_implIS3_N6thrust23THRUST_200600_302600_NS6detail15normal_iteratorINS9_10device_ptrIxEEEEPS5_m14custom_greaterIxEEE10hipError_tT0_T1_T2_jT3_P12ihipStream_tbPNSt15iterator_traitsISJ_E10value_typeEPNSP_ISK_E10value_typeEPSL_NS1_7vsmem_tEENKUlT_SJ_SK_SL_E_clIPxSE_SF_SF_EESI_SY_SJ_SK_SL_EUlSY_E0_NS1_11comp_targetILNS1_3genE3ELNS1_11target_archE908ELNS1_3gpuE7ELNS1_3repE0EEENS1_38merge_mergepath_config_static_selectorELNS0_4arch9wavefront6targetE1EEEvSK_,comdat
.Lfunc_end3400:
	.size	_ZN7rocprim17ROCPRIM_400000_NS6detail17trampoline_kernelINS0_14default_configENS1_38merge_sort_block_merge_config_selectorIxNS0_10empty_typeEEEZZNS1_27merge_sort_block_merge_implIS3_N6thrust23THRUST_200600_302600_NS6detail15normal_iteratorINS9_10device_ptrIxEEEEPS5_m14custom_greaterIxEEE10hipError_tT0_T1_T2_jT3_P12ihipStream_tbPNSt15iterator_traitsISJ_E10value_typeEPNSP_ISK_E10value_typeEPSL_NS1_7vsmem_tEENKUlT_SJ_SK_SL_E_clIPxSE_SF_SF_EESI_SY_SJ_SK_SL_EUlSY_E0_NS1_11comp_targetILNS1_3genE3ELNS1_11target_archE908ELNS1_3gpuE7ELNS1_3repE0EEENS1_38merge_mergepath_config_static_selectorELNS0_4arch9wavefront6targetE1EEEvSK_, .Lfunc_end3400-_ZN7rocprim17ROCPRIM_400000_NS6detail17trampoline_kernelINS0_14default_configENS1_38merge_sort_block_merge_config_selectorIxNS0_10empty_typeEEEZZNS1_27merge_sort_block_merge_implIS3_N6thrust23THRUST_200600_302600_NS6detail15normal_iteratorINS9_10device_ptrIxEEEEPS5_m14custom_greaterIxEEE10hipError_tT0_T1_T2_jT3_P12ihipStream_tbPNSt15iterator_traitsISJ_E10value_typeEPNSP_ISK_E10value_typeEPSL_NS1_7vsmem_tEENKUlT_SJ_SK_SL_E_clIPxSE_SF_SF_EESI_SY_SJ_SK_SL_EUlSY_E0_NS1_11comp_targetILNS1_3genE3ELNS1_11target_archE908ELNS1_3gpuE7ELNS1_3repE0EEENS1_38merge_mergepath_config_static_selectorELNS0_4arch9wavefront6targetE1EEEvSK_
                                        ; -- End function
	.section	.AMDGPU.csdata,"",@progbits
; Kernel info:
; codeLenInByte = 0
; NumSgprs: 4
; NumVgprs: 0
; NumAgprs: 0
; TotalNumVgprs: 0
; ScratchSize: 0
; MemoryBound: 0
; FloatMode: 240
; IeeeMode: 1
; LDSByteSize: 0 bytes/workgroup (compile time only)
; SGPRBlocks: 0
; VGPRBlocks: 0
; NumSGPRsForWavesPerEU: 4
; NumVGPRsForWavesPerEU: 1
; AccumOffset: 4
; Occupancy: 8
; WaveLimiterHint : 0
; COMPUTE_PGM_RSRC2:SCRATCH_EN: 0
; COMPUTE_PGM_RSRC2:USER_SGPR: 6
; COMPUTE_PGM_RSRC2:TRAP_HANDLER: 0
; COMPUTE_PGM_RSRC2:TGID_X_EN: 1
; COMPUTE_PGM_RSRC2:TGID_Y_EN: 0
; COMPUTE_PGM_RSRC2:TGID_Z_EN: 0
; COMPUTE_PGM_RSRC2:TIDIG_COMP_CNT: 0
; COMPUTE_PGM_RSRC3_GFX90A:ACCUM_OFFSET: 0
; COMPUTE_PGM_RSRC3_GFX90A:TG_SPLIT: 0
	.section	.text._ZN7rocprim17ROCPRIM_400000_NS6detail17trampoline_kernelINS0_14default_configENS1_38merge_sort_block_merge_config_selectorIxNS0_10empty_typeEEEZZNS1_27merge_sort_block_merge_implIS3_N6thrust23THRUST_200600_302600_NS6detail15normal_iteratorINS9_10device_ptrIxEEEEPS5_m14custom_greaterIxEEE10hipError_tT0_T1_T2_jT3_P12ihipStream_tbPNSt15iterator_traitsISJ_E10value_typeEPNSP_ISK_E10value_typeEPSL_NS1_7vsmem_tEENKUlT_SJ_SK_SL_E_clIPxSE_SF_SF_EESI_SY_SJ_SK_SL_EUlSY_E0_NS1_11comp_targetILNS1_3genE2ELNS1_11target_archE906ELNS1_3gpuE6ELNS1_3repE0EEENS1_38merge_mergepath_config_static_selectorELNS0_4arch9wavefront6targetE1EEEvSK_,"axG",@progbits,_ZN7rocprim17ROCPRIM_400000_NS6detail17trampoline_kernelINS0_14default_configENS1_38merge_sort_block_merge_config_selectorIxNS0_10empty_typeEEEZZNS1_27merge_sort_block_merge_implIS3_N6thrust23THRUST_200600_302600_NS6detail15normal_iteratorINS9_10device_ptrIxEEEEPS5_m14custom_greaterIxEEE10hipError_tT0_T1_T2_jT3_P12ihipStream_tbPNSt15iterator_traitsISJ_E10value_typeEPNSP_ISK_E10value_typeEPSL_NS1_7vsmem_tEENKUlT_SJ_SK_SL_E_clIPxSE_SF_SF_EESI_SY_SJ_SK_SL_EUlSY_E0_NS1_11comp_targetILNS1_3genE2ELNS1_11target_archE906ELNS1_3gpuE6ELNS1_3repE0EEENS1_38merge_mergepath_config_static_selectorELNS0_4arch9wavefront6targetE1EEEvSK_,comdat
	.protected	_ZN7rocprim17ROCPRIM_400000_NS6detail17trampoline_kernelINS0_14default_configENS1_38merge_sort_block_merge_config_selectorIxNS0_10empty_typeEEEZZNS1_27merge_sort_block_merge_implIS3_N6thrust23THRUST_200600_302600_NS6detail15normal_iteratorINS9_10device_ptrIxEEEEPS5_m14custom_greaterIxEEE10hipError_tT0_T1_T2_jT3_P12ihipStream_tbPNSt15iterator_traitsISJ_E10value_typeEPNSP_ISK_E10value_typeEPSL_NS1_7vsmem_tEENKUlT_SJ_SK_SL_E_clIPxSE_SF_SF_EESI_SY_SJ_SK_SL_EUlSY_E0_NS1_11comp_targetILNS1_3genE2ELNS1_11target_archE906ELNS1_3gpuE6ELNS1_3repE0EEENS1_38merge_mergepath_config_static_selectorELNS0_4arch9wavefront6targetE1EEEvSK_ ; -- Begin function _ZN7rocprim17ROCPRIM_400000_NS6detail17trampoline_kernelINS0_14default_configENS1_38merge_sort_block_merge_config_selectorIxNS0_10empty_typeEEEZZNS1_27merge_sort_block_merge_implIS3_N6thrust23THRUST_200600_302600_NS6detail15normal_iteratorINS9_10device_ptrIxEEEEPS5_m14custom_greaterIxEEE10hipError_tT0_T1_T2_jT3_P12ihipStream_tbPNSt15iterator_traitsISJ_E10value_typeEPNSP_ISK_E10value_typeEPSL_NS1_7vsmem_tEENKUlT_SJ_SK_SL_E_clIPxSE_SF_SF_EESI_SY_SJ_SK_SL_EUlSY_E0_NS1_11comp_targetILNS1_3genE2ELNS1_11target_archE906ELNS1_3gpuE6ELNS1_3repE0EEENS1_38merge_mergepath_config_static_selectorELNS0_4arch9wavefront6targetE1EEEvSK_
	.globl	_ZN7rocprim17ROCPRIM_400000_NS6detail17trampoline_kernelINS0_14default_configENS1_38merge_sort_block_merge_config_selectorIxNS0_10empty_typeEEEZZNS1_27merge_sort_block_merge_implIS3_N6thrust23THRUST_200600_302600_NS6detail15normal_iteratorINS9_10device_ptrIxEEEEPS5_m14custom_greaterIxEEE10hipError_tT0_T1_T2_jT3_P12ihipStream_tbPNSt15iterator_traitsISJ_E10value_typeEPNSP_ISK_E10value_typeEPSL_NS1_7vsmem_tEENKUlT_SJ_SK_SL_E_clIPxSE_SF_SF_EESI_SY_SJ_SK_SL_EUlSY_E0_NS1_11comp_targetILNS1_3genE2ELNS1_11target_archE906ELNS1_3gpuE6ELNS1_3repE0EEENS1_38merge_mergepath_config_static_selectorELNS0_4arch9wavefront6targetE1EEEvSK_
	.p2align	8
	.type	_ZN7rocprim17ROCPRIM_400000_NS6detail17trampoline_kernelINS0_14default_configENS1_38merge_sort_block_merge_config_selectorIxNS0_10empty_typeEEEZZNS1_27merge_sort_block_merge_implIS3_N6thrust23THRUST_200600_302600_NS6detail15normal_iteratorINS9_10device_ptrIxEEEEPS5_m14custom_greaterIxEEE10hipError_tT0_T1_T2_jT3_P12ihipStream_tbPNSt15iterator_traitsISJ_E10value_typeEPNSP_ISK_E10value_typeEPSL_NS1_7vsmem_tEENKUlT_SJ_SK_SL_E_clIPxSE_SF_SF_EESI_SY_SJ_SK_SL_EUlSY_E0_NS1_11comp_targetILNS1_3genE2ELNS1_11target_archE906ELNS1_3gpuE6ELNS1_3repE0EEENS1_38merge_mergepath_config_static_selectorELNS0_4arch9wavefront6targetE1EEEvSK_,@function
_ZN7rocprim17ROCPRIM_400000_NS6detail17trampoline_kernelINS0_14default_configENS1_38merge_sort_block_merge_config_selectorIxNS0_10empty_typeEEEZZNS1_27merge_sort_block_merge_implIS3_N6thrust23THRUST_200600_302600_NS6detail15normal_iteratorINS9_10device_ptrIxEEEEPS5_m14custom_greaterIxEEE10hipError_tT0_T1_T2_jT3_P12ihipStream_tbPNSt15iterator_traitsISJ_E10value_typeEPNSP_ISK_E10value_typeEPSL_NS1_7vsmem_tEENKUlT_SJ_SK_SL_E_clIPxSE_SF_SF_EESI_SY_SJ_SK_SL_EUlSY_E0_NS1_11comp_targetILNS1_3genE2ELNS1_11target_archE906ELNS1_3gpuE6ELNS1_3repE0EEENS1_38merge_mergepath_config_static_selectorELNS0_4arch9wavefront6targetE1EEEvSK_: ; @_ZN7rocprim17ROCPRIM_400000_NS6detail17trampoline_kernelINS0_14default_configENS1_38merge_sort_block_merge_config_selectorIxNS0_10empty_typeEEEZZNS1_27merge_sort_block_merge_implIS3_N6thrust23THRUST_200600_302600_NS6detail15normal_iteratorINS9_10device_ptrIxEEEEPS5_m14custom_greaterIxEEE10hipError_tT0_T1_T2_jT3_P12ihipStream_tbPNSt15iterator_traitsISJ_E10value_typeEPNSP_ISK_E10value_typeEPSL_NS1_7vsmem_tEENKUlT_SJ_SK_SL_E_clIPxSE_SF_SF_EESI_SY_SJ_SK_SL_EUlSY_E0_NS1_11comp_targetILNS1_3genE2ELNS1_11target_archE906ELNS1_3gpuE6ELNS1_3repE0EEENS1_38merge_mergepath_config_static_selectorELNS0_4arch9wavefront6targetE1EEEvSK_
; %bb.0:
	.section	.rodata,"a",@progbits
	.p2align	6, 0x0
	.amdhsa_kernel _ZN7rocprim17ROCPRIM_400000_NS6detail17trampoline_kernelINS0_14default_configENS1_38merge_sort_block_merge_config_selectorIxNS0_10empty_typeEEEZZNS1_27merge_sort_block_merge_implIS3_N6thrust23THRUST_200600_302600_NS6detail15normal_iteratorINS9_10device_ptrIxEEEEPS5_m14custom_greaterIxEEE10hipError_tT0_T1_T2_jT3_P12ihipStream_tbPNSt15iterator_traitsISJ_E10value_typeEPNSP_ISK_E10value_typeEPSL_NS1_7vsmem_tEENKUlT_SJ_SK_SL_E_clIPxSE_SF_SF_EESI_SY_SJ_SK_SL_EUlSY_E0_NS1_11comp_targetILNS1_3genE2ELNS1_11target_archE906ELNS1_3gpuE6ELNS1_3repE0EEENS1_38merge_mergepath_config_static_selectorELNS0_4arch9wavefront6targetE1EEEvSK_
		.amdhsa_group_segment_fixed_size 0
		.amdhsa_private_segment_fixed_size 0
		.amdhsa_kernarg_size 72
		.amdhsa_user_sgpr_count 6
		.amdhsa_user_sgpr_private_segment_buffer 1
		.amdhsa_user_sgpr_dispatch_ptr 0
		.amdhsa_user_sgpr_queue_ptr 0
		.amdhsa_user_sgpr_kernarg_segment_ptr 1
		.amdhsa_user_sgpr_dispatch_id 0
		.amdhsa_user_sgpr_flat_scratch_init 0
		.amdhsa_user_sgpr_kernarg_preload_length 0
		.amdhsa_user_sgpr_kernarg_preload_offset 0
		.amdhsa_user_sgpr_private_segment_size 0
		.amdhsa_uses_dynamic_stack 0
		.amdhsa_system_sgpr_private_segment_wavefront_offset 0
		.amdhsa_system_sgpr_workgroup_id_x 1
		.amdhsa_system_sgpr_workgroup_id_y 0
		.amdhsa_system_sgpr_workgroup_id_z 0
		.amdhsa_system_sgpr_workgroup_info 0
		.amdhsa_system_vgpr_workitem_id 0
		.amdhsa_next_free_vgpr 1
		.amdhsa_next_free_sgpr 0
		.amdhsa_accum_offset 4
		.amdhsa_reserve_vcc 0
		.amdhsa_reserve_flat_scratch 0
		.amdhsa_float_round_mode_32 0
		.amdhsa_float_round_mode_16_64 0
		.amdhsa_float_denorm_mode_32 3
		.amdhsa_float_denorm_mode_16_64 3
		.amdhsa_dx10_clamp 1
		.amdhsa_ieee_mode 1
		.amdhsa_fp16_overflow 0
		.amdhsa_tg_split 0
		.amdhsa_exception_fp_ieee_invalid_op 0
		.amdhsa_exception_fp_denorm_src 0
		.amdhsa_exception_fp_ieee_div_zero 0
		.amdhsa_exception_fp_ieee_overflow 0
		.amdhsa_exception_fp_ieee_underflow 0
		.amdhsa_exception_fp_ieee_inexact 0
		.amdhsa_exception_int_div_zero 0
	.end_amdhsa_kernel
	.section	.text._ZN7rocprim17ROCPRIM_400000_NS6detail17trampoline_kernelINS0_14default_configENS1_38merge_sort_block_merge_config_selectorIxNS0_10empty_typeEEEZZNS1_27merge_sort_block_merge_implIS3_N6thrust23THRUST_200600_302600_NS6detail15normal_iteratorINS9_10device_ptrIxEEEEPS5_m14custom_greaterIxEEE10hipError_tT0_T1_T2_jT3_P12ihipStream_tbPNSt15iterator_traitsISJ_E10value_typeEPNSP_ISK_E10value_typeEPSL_NS1_7vsmem_tEENKUlT_SJ_SK_SL_E_clIPxSE_SF_SF_EESI_SY_SJ_SK_SL_EUlSY_E0_NS1_11comp_targetILNS1_3genE2ELNS1_11target_archE906ELNS1_3gpuE6ELNS1_3repE0EEENS1_38merge_mergepath_config_static_selectorELNS0_4arch9wavefront6targetE1EEEvSK_,"axG",@progbits,_ZN7rocprim17ROCPRIM_400000_NS6detail17trampoline_kernelINS0_14default_configENS1_38merge_sort_block_merge_config_selectorIxNS0_10empty_typeEEEZZNS1_27merge_sort_block_merge_implIS3_N6thrust23THRUST_200600_302600_NS6detail15normal_iteratorINS9_10device_ptrIxEEEEPS5_m14custom_greaterIxEEE10hipError_tT0_T1_T2_jT3_P12ihipStream_tbPNSt15iterator_traitsISJ_E10value_typeEPNSP_ISK_E10value_typeEPSL_NS1_7vsmem_tEENKUlT_SJ_SK_SL_E_clIPxSE_SF_SF_EESI_SY_SJ_SK_SL_EUlSY_E0_NS1_11comp_targetILNS1_3genE2ELNS1_11target_archE906ELNS1_3gpuE6ELNS1_3repE0EEENS1_38merge_mergepath_config_static_selectorELNS0_4arch9wavefront6targetE1EEEvSK_,comdat
.Lfunc_end3401:
	.size	_ZN7rocprim17ROCPRIM_400000_NS6detail17trampoline_kernelINS0_14default_configENS1_38merge_sort_block_merge_config_selectorIxNS0_10empty_typeEEEZZNS1_27merge_sort_block_merge_implIS3_N6thrust23THRUST_200600_302600_NS6detail15normal_iteratorINS9_10device_ptrIxEEEEPS5_m14custom_greaterIxEEE10hipError_tT0_T1_T2_jT3_P12ihipStream_tbPNSt15iterator_traitsISJ_E10value_typeEPNSP_ISK_E10value_typeEPSL_NS1_7vsmem_tEENKUlT_SJ_SK_SL_E_clIPxSE_SF_SF_EESI_SY_SJ_SK_SL_EUlSY_E0_NS1_11comp_targetILNS1_3genE2ELNS1_11target_archE906ELNS1_3gpuE6ELNS1_3repE0EEENS1_38merge_mergepath_config_static_selectorELNS0_4arch9wavefront6targetE1EEEvSK_, .Lfunc_end3401-_ZN7rocprim17ROCPRIM_400000_NS6detail17trampoline_kernelINS0_14default_configENS1_38merge_sort_block_merge_config_selectorIxNS0_10empty_typeEEEZZNS1_27merge_sort_block_merge_implIS3_N6thrust23THRUST_200600_302600_NS6detail15normal_iteratorINS9_10device_ptrIxEEEEPS5_m14custom_greaterIxEEE10hipError_tT0_T1_T2_jT3_P12ihipStream_tbPNSt15iterator_traitsISJ_E10value_typeEPNSP_ISK_E10value_typeEPSL_NS1_7vsmem_tEENKUlT_SJ_SK_SL_E_clIPxSE_SF_SF_EESI_SY_SJ_SK_SL_EUlSY_E0_NS1_11comp_targetILNS1_3genE2ELNS1_11target_archE906ELNS1_3gpuE6ELNS1_3repE0EEENS1_38merge_mergepath_config_static_selectorELNS0_4arch9wavefront6targetE1EEEvSK_
                                        ; -- End function
	.section	.AMDGPU.csdata,"",@progbits
; Kernel info:
; codeLenInByte = 0
; NumSgprs: 4
; NumVgprs: 0
; NumAgprs: 0
; TotalNumVgprs: 0
; ScratchSize: 0
; MemoryBound: 0
; FloatMode: 240
; IeeeMode: 1
; LDSByteSize: 0 bytes/workgroup (compile time only)
; SGPRBlocks: 0
; VGPRBlocks: 0
; NumSGPRsForWavesPerEU: 4
; NumVGPRsForWavesPerEU: 1
; AccumOffset: 4
; Occupancy: 8
; WaveLimiterHint : 0
; COMPUTE_PGM_RSRC2:SCRATCH_EN: 0
; COMPUTE_PGM_RSRC2:USER_SGPR: 6
; COMPUTE_PGM_RSRC2:TRAP_HANDLER: 0
; COMPUTE_PGM_RSRC2:TGID_X_EN: 1
; COMPUTE_PGM_RSRC2:TGID_Y_EN: 0
; COMPUTE_PGM_RSRC2:TGID_Z_EN: 0
; COMPUTE_PGM_RSRC2:TIDIG_COMP_CNT: 0
; COMPUTE_PGM_RSRC3_GFX90A:ACCUM_OFFSET: 0
; COMPUTE_PGM_RSRC3_GFX90A:TG_SPLIT: 0
	.section	.text._ZN7rocprim17ROCPRIM_400000_NS6detail17trampoline_kernelINS0_14default_configENS1_38merge_sort_block_merge_config_selectorIxNS0_10empty_typeEEEZZNS1_27merge_sort_block_merge_implIS3_N6thrust23THRUST_200600_302600_NS6detail15normal_iteratorINS9_10device_ptrIxEEEEPS5_m14custom_greaterIxEEE10hipError_tT0_T1_T2_jT3_P12ihipStream_tbPNSt15iterator_traitsISJ_E10value_typeEPNSP_ISK_E10value_typeEPSL_NS1_7vsmem_tEENKUlT_SJ_SK_SL_E_clIPxSE_SF_SF_EESI_SY_SJ_SK_SL_EUlSY_E0_NS1_11comp_targetILNS1_3genE9ELNS1_11target_archE1100ELNS1_3gpuE3ELNS1_3repE0EEENS1_38merge_mergepath_config_static_selectorELNS0_4arch9wavefront6targetE1EEEvSK_,"axG",@progbits,_ZN7rocprim17ROCPRIM_400000_NS6detail17trampoline_kernelINS0_14default_configENS1_38merge_sort_block_merge_config_selectorIxNS0_10empty_typeEEEZZNS1_27merge_sort_block_merge_implIS3_N6thrust23THRUST_200600_302600_NS6detail15normal_iteratorINS9_10device_ptrIxEEEEPS5_m14custom_greaterIxEEE10hipError_tT0_T1_T2_jT3_P12ihipStream_tbPNSt15iterator_traitsISJ_E10value_typeEPNSP_ISK_E10value_typeEPSL_NS1_7vsmem_tEENKUlT_SJ_SK_SL_E_clIPxSE_SF_SF_EESI_SY_SJ_SK_SL_EUlSY_E0_NS1_11comp_targetILNS1_3genE9ELNS1_11target_archE1100ELNS1_3gpuE3ELNS1_3repE0EEENS1_38merge_mergepath_config_static_selectorELNS0_4arch9wavefront6targetE1EEEvSK_,comdat
	.protected	_ZN7rocprim17ROCPRIM_400000_NS6detail17trampoline_kernelINS0_14default_configENS1_38merge_sort_block_merge_config_selectorIxNS0_10empty_typeEEEZZNS1_27merge_sort_block_merge_implIS3_N6thrust23THRUST_200600_302600_NS6detail15normal_iteratorINS9_10device_ptrIxEEEEPS5_m14custom_greaterIxEEE10hipError_tT0_T1_T2_jT3_P12ihipStream_tbPNSt15iterator_traitsISJ_E10value_typeEPNSP_ISK_E10value_typeEPSL_NS1_7vsmem_tEENKUlT_SJ_SK_SL_E_clIPxSE_SF_SF_EESI_SY_SJ_SK_SL_EUlSY_E0_NS1_11comp_targetILNS1_3genE9ELNS1_11target_archE1100ELNS1_3gpuE3ELNS1_3repE0EEENS1_38merge_mergepath_config_static_selectorELNS0_4arch9wavefront6targetE1EEEvSK_ ; -- Begin function _ZN7rocprim17ROCPRIM_400000_NS6detail17trampoline_kernelINS0_14default_configENS1_38merge_sort_block_merge_config_selectorIxNS0_10empty_typeEEEZZNS1_27merge_sort_block_merge_implIS3_N6thrust23THRUST_200600_302600_NS6detail15normal_iteratorINS9_10device_ptrIxEEEEPS5_m14custom_greaterIxEEE10hipError_tT0_T1_T2_jT3_P12ihipStream_tbPNSt15iterator_traitsISJ_E10value_typeEPNSP_ISK_E10value_typeEPSL_NS1_7vsmem_tEENKUlT_SJ_SK_SL_E_clIPxSE_SF_SF_EESI_SY_SJ_SK_SL_EUlSY_E0_NS1_11comp_targetILNS1_3genE9ELNS1_11target_archE1100ELNS1_3gpuE3ELNS1_3repE0EEENS1_38merge_mergepath_config_static_selectorELNS0_4arch9wavefront6targetE1EEEvSK_
	.globl	_ZN7rocprim17ROCPRIM_400000_NS6detail17trampoline_kernelINS0_14default_configENS1_38merge_sort_block_merge_config_selectorIxNS0_10empty_typeEEEZZNS1_27merge_sort_block_merge_implIS3_N6thrust23THRUST_200600_302600_NS6detail15normal_iteratorINS9_10device_ptrIxEEEEPS5_m14custom_greaterIxEEE10hipError_tT0_T1_T2_jT3_P12ihipStream_tbPNSt15iterator_traitsISJ_E10value_typeEPNSP_ISK_E10value_typeEPSL_NS1_7vsmem_tEENKUlT_SJ_SK_SL_E_clIPxSE_SF_SF_EESI_SY_SJ_SK_SL_EUlSY_E0_NS1_11comp_targetILNS1_3genE9ELNS1_11target_archE1100ELNS1_3gpuE3ELNS1_3repE0EEENS1_38merge_mergepath_config_static_selectorELNS0_4arch9wavefront6targetE1EEEvSK_
	.p2align	8
	.type	_ZN7rocprim17ROCPRIM_400000_NS6detail17trampoline_kernelINS0_14default_configENS1_38merge_sort_block_merge_config_selectorIxNS0_10empty_typeEEEZZNS1_27merge_sort_block_merge_implIS3_N6thrust23THRUST_200600_302600_NS6detail15normal_iteratorINS9_10device_ptrIxEEEEPS5_m14custom_greaterIxEEE10hipError_tT0_T1_T2_jT3_P12ihipStream_tbPNSt15iterator_traitsISJ_E10value_typeEPNSP_ISK_E10value_typeEPSL_NS1_7vsmem_tEENKUlT_SJ_SK_SL_E_clIPxSE_SF_SF_EESI_SY_SJ_SK_SL_EUlSY_E0_NS1_11comp_targetILNS1_3genE9ELNS1_11target_archE1100ELNS1_3gpuE3ELNS1_3repE0EEENS1_38merge_mergepath_config_static_selectorELNS0_4arch9wavefront6targetE1EEEvSK_,@function
_ZN7rocprim17ROCPRIM_400000_NS6detail17trampoline_kernelINS0_14default_configENS1_38merge_sort_block_merge_config_selectorIxNS0_10empty_typeEEEZZNS1_27merge_sort_block_merge_implIS3_N6thrust23THRUST_200600_302600_NS6detail15normal_iteratorINS9_10device_ptrIxEEEEPS5_m14custom_greaterIxEEE10hipError_tT0_T1_T2_jT3_P12ihipStream_tbPNSt15iterator_traitsISJ_E10value_typeEPNSP_ISK_E10value_typeEPSL_NS1_7vsmem_tEENKUlT_SJ_SK_SL_E_clIPxSE_SF_SF_EESI_SY_SJ_SK_SL_EUlSY_E0_NS1_11comp_targetILNS1_3genE9ELNS1_11target_archE1100ELNS1_3gpuE3ELNS1_3repE0EEENS1_38merge_mergepath_config_static_selectorELNS0_4arch9wavefront6targetE1EEEvSK_: ; @_ZN7rocprim17ROCPRIM_400000_NS6detail17trampoline_kernelINS0_14default_configENS1_38merge_sort_block_merge_config_selectorIxNS0_10empty_typeEEEZZNS1_27merge_sort_block_merge_implIS3_N6thrust23THRUST_200600_302600_NS6detail15normal_iteratorINS9_10device_ptrIxEEEEPS5_m14custom_greaterIxEEE10hipError_tT0_T1_T2_jT3_P12ihipStream_tbPNSt15iterator_traitsISJ_E10value_typeEPNSP_ISK_E10value_typeEPSL_NS1_7vsmem_tEENKUlT_SJ_SK_SL_E_clIPxSE_SF_SF_EESI_SY_SJ_SK_SL_EUlSY_E0_NS1_11comp_targetILNS1_3genE9ELNS1_11target_archE1100ELNS1_3gpuE3ELNS1_3repE0EEENS1_38merge_mergepath_config_static_selectorELNS0_4arch9wavefront6targetE1EEEvSK_
; %bb.0:
	.section	.rodata,"a",@progbits
	.p2align	6, 0x0
	.amdhsa_kernel _ZN7rocprim17ROCPRIM_400000_NS6detail17trampoline_kernelINS0_14default_configENS1_38merge_sort_block_merge_config_selectorIxNS0_10empty_typeEEEZZNS1_27merge_sort_block_merge_implIS3_N6thrust23THRUST_200600_302600_NS6detail15normal_iteratorINS9_10device_ptrIxEEEEPS5_m14custom_greaterIxEEE10hipError_tT0_T1_T2_jT3_P12ihipStream_tbPNSt15iterator_traitsISJ_E10value_typeEPNSP_ISK_E10value_typeEPSL_NS1_7vsmem_tEENKUlT_SJ_SK_SL_E_clIPxSE_SF_SF_EESI_SY_SJ_SK_SL_EUlSY_E0_NS1_11comp_targetILNS1_3genE9ELNS1_11target_archE1100ELNS1_3gpuE3ELNS1_3repE0EEENS1_38merge_mergepath_config_static_selectorELNS0_4arch9wavefront6targetE1EEEvSK_
		.amdhsa_group_segment_fixed_size 0
		.amdhsa_private_segment_fixed_size 0
		.amdhsa_kernarg_size 72
		.amdhsa_user_sgpr_count 6
		.amdhsa_user_sgpr_private_segment_buffer 1
		.amdhsa_user_sgpr_dispatch_ptr 0
		.amdhsa_user_sgpr_queue_ptr 0
		.amdhsa_user_sgpr_kernarg_segment_ptr 1
		.amdhsa_user_sgpr_dispatch_id 0
		.amdhsa_user_sgpr_flat_scratch_init 0
		.amdhsa_user_sgpr_kernarg_preload_length 0
		.amdhsa_user_sgpr_kernarg_preload_offset 0
		.amdhsa_user_sgpr_private_segment_size 0
		.amdhsa_uses_dynamic_stack 0
		.amdhsa_system_sgpr_private_segment_wavefront_offset 0
		.amdhsa_system_sgpr_workgroup_id_x 1
		.amdhsa_system_sgpr_workgroup_id_y 0
		.amdhsa_system_sgpr_workgroup_id_z 0
		.amdhsa_system_sgpr_workgroup_info 0
		.amdhsa_system_vgpr_workitem_id 0
		.amdhsa_next_free_vgpr 1
		.amdhsa_next_free_sgpr 0
		.amdhsa_accum_offset 4
		.amdhsa_reserve_vcc 0
		.amdhsa_reserve_flat_scratch 0
		.amdhsa_float_round_mode_32 0
		.amdhsa_float_round_mode_16_64 0
		.amdhsa_float_denorm_mode_32 3
		.amdhsa_float_denorm_mode_16_64 3
		.amdhsa_dx10_clamp 1
		.amdhsa_ieee_mode 1
		.amdhsa_fp16_overflow 0
		.amdhsa_tg_split 0
		.amdhsa_exception_fp_ieee_invalid_op 0
		.amdhsa_exception_fp_denorm_src 0
		.amdhsa_exception_fp_ieee_div_zero 0
		.amdhsa_exception_fp_ieee_overflow 0
		.amdhsa_exception_fp_ieee_underflow 0
		.amdhsa_exception_fp_ieee_inexact 0
		.amdhsa_exception_int_div_zero 0
	.end_amdhsa_kernel
	.section	.text._ZN7rocprim17ROCPRIM_400000_NS6detail17trampoline_kernelINS0_14default_configENS1_38merge_sort_block_merge_config_selectorIxNS0_10empty_typeEEEZZNS1_27merge_sort_block_merge_implIS3_N6thrust23THRUST_200600_302600_NS6detail15normal_iteratorINS9_10device_ptrIxEEEEPS5_m14custom_greaterIxEEE10hipError_tT0_T1_T2_jT3_P12ihipStream_tbPNSt15iterator_traitsISJ_E10value_typeEPNSP_ISK_E10value_typeEPSL_NS1_7vsmem_tEENKUlT_SJ_SK_SL_E_clIPxSE_SF_SF_EESI_SY_SJ_SK_SL_EUlSY_E0_NS1_11comp_targetILNS1_3genE9ELNS1_11target_archE1100ELNS1_3gpuE3ELNS1_3repE0EEENS1_38merge_mergepath_config_static_selectorELNS0_4arch9wavefront6targetE1EEEvSK_,"axG",@progbits,_ZN7rocprim17ROCPRIM_400000_NS6detail17trampoline_kernelINS0_14default_configENS1_38merge_sort_block_merge_config_selectorIxNS0_10empty_typeEEEZZNS1_27merge_sort_block_merge_implIS3_N6thrust23THRUST_200600_302600_NS6detail15normal_iteratorINS9_10device_ptrIxEEEEPS5_m14custom_greaterIxEEE10hipError_tT0_T1_T2_jT3_P12ihipStream_tbPNSt15iterator_traitsISJ_E10value_typeEPNSP_ISK_E10value_typeEPSL_NS1_7vsmem_tEENKUlT_SJ_SK_SL_E_clIPxSE_SF_SF_EESI_SY_SJ_SK_SL_EUlSY_E0_NS1_11comp_targetILNS1_3genE9ELNS1_11target_archE1100ELNS1_3gpuE3ELNS1_3repE0EEENS1_38merge_mergepath_config_static_selectorELNS0_4arch9wavefront6targetE1EEEvSK_,comdat
.Lfunc_end3402:
	.size	_ZN7rocprim17ROCPRIM_400000_NS6detail17trampoline_kernelINS0_14default_configENS1_38merge_sort_block_merge_config_selectorIxNS0_10empty_typeEEEZZNS1_27merge_sort_block_merge_implIS3_N6thrust23THRUST_200600_302600_NS6detail15normal_iteratorINS9_10device_ptrIxEEEEPS5_m14custom_greaterIxEEE10hipError_tT0_T1_T2_jT3_P12ihipStream_tbPNSt15iterator_traitsISJ_E10value_typeEPNSP_ISK_E10value_typeEPSL_NS1_7vsmem_tEENKUlT_SJ_SK_SL_E_clIPxSE_SF_SF_EESI_SY_SJ_SK_SL_EUlSY_E0_NS1_11comp_targetILNS1_3genE9ELNS1_11target_archE1100ELNS1_3gpuE3ELNS1_3repE0EEENS1_38merge_mergepath_config_static_selectorELNS0_4arch9wavefront6targetE1EEEvSK_, .Lfunc_end3402-_ZN7rocprim17ROCPRIM_400000_NS6detail17trampoline_kernelINS0_14default_configENS1_38merge_sort_block_merge_config_selectorIxNS0_10empty_typeEEEZZNS1_27merge_sort_block_merge_implIS3_N6thrust23THRUST_200600_302600_NS6detail15normal_iteratorINS9_10device_ptrIxEEEEPS5_m14custom_greaterIxEEE10hipError_tT0_T1_T2_jT3_P12ihipStream_tbPNSt15iterator_traitsISJ_E10value_typeEPNSP_ISK_E10value_typeEPSL_NS1_7vsmem_tEENKUlT_SJ_SK_SL_E_clIPxSE_SF_SF_EESI_SY_SJ_SK_SL_EUlSY_E0_NS1_11comp_targetILNS1_3genE9ELNS1_11target_archE1100ELNS1_3gpuE3ELNS1_3repE0EEENS1_38merge_mergepath_config_static_selectorELNS0_4arch9wavefront6targetE1EEEvSK_
                                        ; -- End function
	.section	.AMDGPU.csdata,"",@progbits
; Kernel info:
; codeLenInByte = 0
; NumSgprs: 4
; NumVgprs: 0
; NumAgprs: 0
; TotalNumVgprs: 0
; ScratchSize: 0
; MemoryBound: 0
; FloatMode: 240
; IeeeMode: 1
; LDSByteSize: 0 bytes/workgroup (compile time only)
; SGPRBlocks: 0
; VGPRBlocks: 0
; NumSGPRsForWavesPerEU: 4
; NumVGPRsForWavesPerEU: 1
; AccumOffset: 4
; Occupancy: 8
; WaveLimiterHint : 0
; COMPUTE_PGM_RSRC2:SCRATCH_EN: 0
; COMPUTE_PGM_RSRC2:USER_SGPR: 6
; COMPUTE_PGM_RSRC2:TRAP_HANDLER: 0
; COMPUTE_PGM_RSRC2:TGID_X_EN: 1
; COMPUTE_PGM_RSRC2:TGID_Y_EN: 0
; COMPUTE_PGM_RSRC2:TGID_Z_EN: 0
; COMPUTE_PGM_RSRC2:TIDIG_COMP_CNT: 0
; COMPUTE_PGM_RSRC3_GFX90A:ACCUM_OFFSET: 0
; COMPUTE_PGM_RSRC3_GFX90A:TG_SPLIT: 0
	.section	.text._ZN7rocprim17ROCPRIM_400000_NS6detail17trampoline_kernelINS0_14default_configENS1_38merge_sort_block_merge_config_selectorIxNS0_10empty_typeEEEZZNS1_27merge_sort_block_merge_implIS3_N6thrust23THRUST_200600_302600_NS6detail15normal_iteratorINS9_10device_ptrIxEEEEPS5_m14custom_greaterIxEEE10hipError_tT0_T1_T2_jT3_P12ihipStream_tbPNSt15iterator_traitsISJ_E10value_typeEPNSP_ISK_E10value_typeEPSL_NS1_7vsmem_tEENKUlT_SJ_SK_SL_E_clIPxSE_SF_SF_EESI_SY_SJ_SK_SL_EUlSY_E0_NS1_11comp_targetILNS1_3genE8ELNS1_11target_archE1030ELNS1_3gpuE2ELNS1_3repE0EEENS1_38merge_mergepath_config_static_selectorELNS0_4arch9wavefront6targetE1EEEvSK_,"axG",@progbits,_ZN7rocprim17ROCPRIM_400000_NS6detail17trampoline_kernelINS0_14default_configENS1_38merge_sort_block_merge_config_selectorIxNS0_10empty_typeEEEZZNS1_27merge_sort_block_merge_implIS3_N6thrust23THRUST_200600_302600_NS6detail15normal_iteratorINS9_10device_ptrIxEEEEPS5_m14custom_greaterIxEEE10hipError_tT0_T1_T2_jT3_P12ihipStream_tbPNSt15iterator_traitsISJ_E10value_typeEPNSP_ISK_E10value_typeEPSL_NS1_7vsmem_tEENKUlT_SJ_SK_SL_E_clIPxSE_SF_SF_EESI_SY_SJ_SK_SL_EUlSY_E0_NS1_11comp_targetILNS1_3genE8ELNS1_11target_archE1030ELNS1_3gpuE2ELNS1_3repE0EEENS1_38merge_mergepath_config_static_selectorELNS0_4arch9wavefront6targetE1EEEvSK_,comdat
	.protected	_ZN7rocprim17ROCPRIM_400000_NS6detail17trampoline_kernelINS0_14default_configENS1_38merge_sort_block_merge_config_selectorIxNS0_10empty_typeEEEZZNS1_27merge_sort_block_merge_implIS3_N6thrust23THRUST_200600_302600_NS6detail15normal_iteratorINS9_10device_ptrIxEEEEPS5_m14custom_greaterIxEEE10hipError_tT0_T1_T2_jT3_P12ihipStream_tbPNSt15iterator_traitsISJ_E10value_typeEPNSP_ISK_E10value_typeEPSL_NS1_7vsmem_tEENKUlT_SJ_SK_SL_E_clIPxSE_SF_SF_EESI_SY_SJ_SK_SL_EUlSY_E0_NS1_11comp_targetILNS1_3genE8ELNS1_11target_archE1030ELNS1_3gpuE2ELNS1_3repE0EEENS1_38merge_mergepath_config_static_selectorELNS0_4arch9wavefront6targetE1EEEvSK_ ; -- Begin function _ZN7rocprim17ROCPRIM_400000_NS6detail17trampoline_kernelINS0_14default_configENS1_38merge_sort_block_merge_config_selectorIxNS0_10empty_typeEEEZZNS1_27merge_sort_block_merge_implIS3_N6thrust23THRUST_200600_302600_NS6detail15normal_iteratorINS9_10device_ptrIxEEEEPS5_m14custom_greaterIxEEE10hipError_tT0_T1_T2_jT3_P12ihipStream_tbPNSt15iterator_traitsISJ_E10value_typeEPNSP_ISK_E10value_typeEPSL_NS1_7vsmem_tEENKUlT_SJ_SK_SL_E_clIPxSE_SF_SF_EESI_SY_SJ_SK_SL_EUlSY_E0_NS1_11comp_targetILNS1_3genE8ELNS1_11target_archE1030ELNS1_3gpuE2ELNS1_3repE0EEENS1_38merge_mergepath_config_static_selectorELNS0_4arch9wavefront6targetE1EEEvSK_
	.globl	_ZN7rocprim17ROCPRIM_400000_NS6detail17trampoline_kernelINS0_14default_configENS1_38merge_sort_block_merge_config_selectorIxNS0_10empty_typeEEEZZNS1_27merge_sort_block_merge_implIS3_N6thrust23THRUST_200600_302600_NS6detail15normal_iteratorINS9_10device_ptrIxEEEEPS5_m14custom_greaterIxEEE10hipError_tT0_T1_T2_jT3_P12ihipStream_tbPNSt15iterator_traitsISJ_E10value_typeEPNSP_ISK_E10value_typeEPSL_NS1_7vsmem_tEENKUlT_SJ_SK_SL_E_clIPxSE_SF_SF_EESI_SY_SJ_SK_SL_EUlSY_E0_NS1_11comp_targetILNS1_3genE8ELNS1_11target_archE1030ELNS1_3gpuE2ELNS1_3repE0EEENS1_38merge_mergepath_config_static_selectorELNS0_4arch9wavefront6targetE1EEEvSK_
	.p2align	8
	.type	_ZN7rocprim17ROCPRIM_400000_NS6detail17trampoline_kernelINS0_14default_configENS1_38merge_sort_block_merge_config_selectorIxNS0_10empty_typeEEEZZNS1_27merge_sort_block_merge_implIS3_N6thrust23THRUST_200600_302600_NS6detail15normal_iteratorINS9_10device_ptrIxEEEEPS5_m14custom_greaterIxEEE10hipError_tT0_T1_T2_jT3_P12ihipStream_tbPNSt15iterator_traitsISJ_E10value_typeEPNSP_ISK_E10value_typeEPSL_NS1_7vsmem_tEENKUlT_SJ_SK_SL_E_clIPxSE_SF_SF_EESI_SY_SJ_SK_SL_EUlSY_E0_NS1_11comp_targetILNS1_3genE8ELNS1_11target_archE1030ELNS1_3gpuE2ELNS1_3repE0EEENS1_38merge_mergepath_config_static_selectorELNS0_4arch9wavefront6targetE1EEEvSK_,@function
_ZN7rocprim17ROCPRIM_400000_NS6detail17trampoline_kernelINS0_14default_configENS1_38merge_sort_block_merge_config_selectorIxNS0_10empty_typeEEEZZNS1_27merge_sort_block_merge_implIS3_N6thrust23THRUST_200600_302600_NS6detail15normal_iteratorINS9_10device_ptrIxEEEEPS5_m14custom_greaterIxEEE10hipError_tT0_T1_T2_jT3_P12ihipStream_tbPNSt15iterator_traitsISJ_E10value_typeEPNSP_ISK_E10value_typeEPSL_NS1_7vsmem_tEENKUlT_SJ_SK_SL_E_clIPxSE_SF_SF_EESI_SY_SJ_SK_SL_EUlSY_E0_NS1_11comp_targetILNS1_3genE8ELNS1_11target_archE1030ELNS1_3gpuE2ELNS1_3repE0EEENS1_38merge_mergepath_config_static_selectorELNS0_4arch9wavefront6targetE1EEEvSK_: ; @_ZN7rocprim17ROCPRIM_400000_NS6detail17trampoline_kernelINS0_14default_configENS1_38merge_sort_block_merge_config_selectorIxNS0_10empty_typeEEEZZNS1_27merge_sort_block_merge_implIS3_N6thrust23THRUST_200600_302600_NS6detail15normal_iteratorINS9_10device_ptrIxEEEEPS5_m14custom_greaterIxEEE10hipError_tT0_T1_T2_jT3_P12ihipStream_tbPNSt15iterator_traitsISJ_E10value_typeEPNSP_ISK_E10value_typeEPSL_NS1_7vsmem_tEENKUlT_SJ_SK_SL_E_clIPxSE_SF_SF_EESI_SY_SJ_SK_SL_EUlSY_E0_NS1_11comp_targetILNS1_3genE8ELNS1_11target_archE1030ELNS1_3gpuE2ELNS1_3repE0EEENS1_38merge_mergepath_config_static_selectorELNS0_4arch9wavefront6targetE1EEEvSK_
; %bb.0:
	.section	.rodata,"a",@progbits
	.p2align	6, 0x0
	.amdhsa_kernel _ZN7rocprim17ROCPRIM_400000_NS6detail17trampoline_kernelINS0_14default_configENS1_38merge_sort_block_merge_config_selectorIxNS0_10empty_typeEEEZZNS1_27merge_sort_block_merge_implIS3_N6thrust23THRUST_200600_302600_NS6detail15normal_iteratorINS9_10device_ptrIxEEEEPS5_m14custom_greaterIxEEE10hipError_tT0_T1_T2_jT3_P12ihipStream_tbPNSt15iterator_traitsISJ_E10value_typeEPNSP_ISK_E10value_typeEPSL_NS1_7vsmem_tEENKUlT_SJ_SK_SL_E_clIPxSE_SF_SF_EESI_SY_SJ_SK_SL_EUlSY_E0_NS1_11comp_targetILNS1_3genE8ELNS1_11target_archE1030ELNS1_3gpuE2ELNS1_3repE0EEENS1_38merge_mergepath_config_static_selectorELNS0_4arch9wavefront6targetE1EEEvSK_
		.amdhsa_group_segment_fixed_size 0
		.amdhsa_private_segment_fixed_size 0
		.amdhsa_kernarg_size 72
		.amdhsa_user_sgpr_count 6
		.amdhsa_user_sgpr_private_segment_buffer 1
		.amdhsa_user_sgpr_dispatch_ptr 0
		.amdhsa_user_sgpr_queue_ptr 0
		.amdhsa_user_sgpr_kernarg_segment_ptr 1
		.amdhsa_user_sgpr_dispatch_id 0
		.amdhsa_user_sgpr_flat_scratch_init 0
		.amdhsa_user_sgpr_kernarg_preload_length 0
		.amdhsa_user_sgpr_kernarg_preload_offset 0
		.amdhsa_user_sgpr_private_segment_size 0
		.amdhsa_uses_dynamic_stack 0
		.amdhsa_system_sgpr_private_segment_wavefront_offset 0
		.amdhsa_system_sgpr_workgroup_id_x 1
		.amdhsa_system_sgpr_workgroup_id_y 0
		.amdhsa_system_sgpr_workgroup_id_z 0
		.amdhsa_system_sgpr_workgroup_info 0
		.amdhsa_system_vgpr_workitem_id 0
		.amdhsa_next_free_vgpr 1
		.amdhsa_next_free_sgpr 0
		.amdhsa_accum_offset 4
		.amdhsa_reserve_vcc 0
		.amdhsa_reserve_flat_scratch 0
		.amdhsa_float_round_mode_32 0
		.amdhsa_float_round_mode_16_64 0
		.amdhsa_float_denorm_mode_32 3
		.amdhsa_float_denorm_mode_16_64 3
		.amdhsa_dx10_clamp 1
		.amdhsa_ieee_mode 1
		.amdhsa_fp16_overflow 0
		.amdhsa_tg_split 0
		.amdhsa_exception_fp_ieee_invalid_op 0
		.amdhsa_exception_fp_denorm_src 0
		.amdhsa_exception_fp_ieee_div_zero 0
		.amdhsa_exception_fp_ieee_overflow 0
		.amdhsa_exception_fp_ieee_underflow 0
		.amdhsa_exception_fp_ieee_inexact 0
		.amdhsa_exception_int_div_zero 0
	.end_amdhsa_kernel
	.section	.text._ZN7rocprim17ROCPRIM_400000_NS6detail17trampoline_kernelINS0_14default_configENS1_38merge_sort_block_merge_config_selectorIxNS0_10empty_typeEEEZZNS1_27merge_sort_block_merge_implIS3_N6thrust23THRUST_200600_302600_NS6detail15normal_iteratorINS9_10device_ptrIxEEEEPS5_m14custom_greaterIxEEE10hipError_tT0_T1_T2_jT3_P12ihipStream_tbPNSt15iterator_traitsISJ_E10value_typeEPNSP_ISK_E10value_typeEPSL_NS1_7vsmem_tEENKUlT_SJ_SK_SL_E_clIPxSE_SF_SF_EESI_SY_SJ_SK_SL_EUlSY_E0_NS1_11comp_targetILNS1_3genE8ELNS1_11target_archE1030ELNS1_3gpuE2ELNS1_3repE0EEENS1_38merge_mergepath_config_static_selectorELNS0_4arch9wavefront6targetE1EEEvSK_,"axG",@progbits,_ZN7rocprim17ROCPRIM_400000_NS6detail17trampoline_kernelINS0_14default_configENS1_38merge_sort_block_merge_config_selectorIxNS0_10empty_typeEEEZZNS1_27merge_sort_block_merge_implIS3_N6thrust23THRUST_200600_302600_NS6detail15normal_iteratorINS9_10device_ptrIxEEEEPS5_m14custom_greaterIxEEE10hipError_tT0_T1_T2_jT3_P12ihipStream_tbPNSt15iterator_traitsISJ_E10value_typeEPNSP_ISK_E10value_typeEPSL_NS1_7vsmem_tEENKUlT_SJ_SK_SL_E_clIPxSE_SF_SF_EESI_SY_SJ_SK_SL_EUlSY_E0_NS1_11comp_targetILNS1_3genE8ELNS1_11target_archE1030ELNS1_3gpuE2ELNS1_3repE0EEENS1_38merge_mergepath_config_static_selectorELNS0_4arch9wavefront6targetE1EEEvSK_,comdat
.Lfunc_end3403:
	.size	_ZN7rocprim17ROCPRIM_400000_NS6detail17trampoline_kernelINS0_14default_configENS1_38merge_sort_block_merge_config_selectorIxNS0_10empty_typeEEEZZNS1_27merge_sort_block_merge_implIS3_N6thrust23THRUST_200600_302600_NS6detail15normal_iteratorINS9_10device_ptrIxEEEEPS5_m14custom_greaterIxEEE10hipError_tT0_T1_T2_jT3_P12ihipStream_tbPNSt15iterator_traitsISJ_E10value_typeEPNSP_ISK_E10value_typeEPSL_NS1_7vsmem_tEENKUlT_SJ_SK_SL_E_clIPxSE_SF_SF_EESI_SY_SJ_SK_SL_EUlSY_E0_NS1_11comp_targetILNS1_3genE8ELNS1_11target_archE1030ELNS1_3gpuE2ELNS1_3repE0EEENS1_38merge_mergepath_config_static_selectorELNS0_4arch9wavefront6targetE1EEEvSK_, .Lfunc_end3403-_ZN7rocprim17ROCPRIM_400000_NS6detail17trampoline_kernelINS0_14default_configENS1_38merge_sort_block_merge_config_selectorIxNS0_10empty_typeEEEZZNS1_27merge_sort_block_merge_implIS3_N6thrust23THRUST_200600_302600_NS6detail15normal_iteratorINS9_10device_ptrIxEEEEPS5_m14custom_greaterIxEEE10hipError_tT0_T1_T2_jT3_P12ihipStream_tbPNSt15iterator_traitsISJ_E10value_typeEPNSP_ISK_E10value_typeEPSL_NS1_7vsmem_tEENKUlT_SJ_SK_SL_E_clIPxSE_SF_SF_EESI_SY_SJ_SK_SL_EUlSY_E0_NS1_11comp_targetILNS1_3genE8ELNS1_11target_archE1030ELNS1_3gpuE2ELNS1_3repE0EEENS1_38merge_mergepath_config_static_selectorELNS0_4arch9wavefront6targetE1EEEvSK_
                                        ; -- End function
	.section	.AMDGPU.csdata,"",@progbits
; Kernel info:
; codeLenInByte = 0
; NumSgprs: 4
; NumVgprs: 0
; NumAgprs: 0
; TotalNumVgprs: 0
; ScratchSize: 0
; MemoryBound: 0
; FloatMode: 240
; IeeeMode: 1
; LDSByteSize: 0 bytes/workgroup (compile time only)
; SGPRBlocks: 0
; VGPRBlocks: 0
; NumSGPRsForWavesPerEU: 4
; NumVGPRsForWavesPerEU: 1
; AccumOffset: 4
; Occupancy: 8
; WaveLimiterHint : 0
; COMPUTE_PGM_RSRC2:SCRATCH_EN: 0
; COMPUTE_PGM_RSRC2:USER_SGPR: 6
; COMPUTE_PGM_RSRC2:TRAP_HANDLER: 0
; COMPUTE_PGM_RSRC2:TGID_X_EN: 1
; COMPUTE_PGM_RSRC2:TGID_Y_EN: 0
; COMPUTE_PGM_RSRC2:TGID_Z_EN: 0
; COMPUTE_PGM_RSRC2:TIDIG_COMP_CNT: 0
; COMPUTE_PGM_RSRC3_GFX90A:ACCUM_OFFSET: 0
; COMPUTE_PGM_RSRC3_GFX90A:TG_SPLIT: 0
	.section	.text._ZN7rocprim17ROCPRIM_400000_NS6detail17trampoline_kernelINS0_14default_configENS1_38merge_sort_block_merge_config_selectorIxNS0_10empty_typeEEEZZNS1_27merge_sort_block_merge_implIS3_N6thrust23THRUST_200600_302600_NS6detail15normal_iteratorINS9_10device_ptrIxEEEEPS5_m14custom_greaterIxEEE10hipError_tT0_T1_T2_jT3_P12ihipStream_tbPNSt15iterator_traitsISJ_E10value_typeEPNSP_ISK_E10value_typeEPSL_NS1_7vsmem_tEENKUlT_SJ_SK_SL_E_clIPxSE_SF_SF_EESI_SY_SJ_SK_SL_EUlSY_E1_NS1_11comp_targetILNS1_3genE0ELNS1_11target_archE4294967295ELNS1_3gpuE0ELNS1_3repE0EEENS1_36merge_oddeven_config_static_selectorELNS0_4arch9wavefront6targetE1EEEvSK_,"axG",@progbits,_ZN7rocprim17ROCPRIM_400000_NS6detail17trampoline_kernelINS0_14default_configENS1_38merge_sort_block_merge_config_selectorIxNS0_10empty_typeEEEZZNS1_27merge_sort_block_merge_implIS3_N6thrust23THRUST_200600_302600_NS6detail15normal_iteratorINS9_10device_ptrIxEEEEPS5_m14custom_greaterIxEEE10hipError_tT0_T1_T2_jT3_P12ihipStream_tbPNSt15iterator_traitsISJ_E10value_typeEPNSP_ISK_E10value_typeEPSL_NS1_7vsmem_tEENKUlT_SJ_SK_SL_E_clIPxSE_SF_SF_EESI_SY_SJ_SK_SL_EUlSY_E1_NS1_11comp_targetILNS1_3genE0ELNS1_11target_archE4294967295ELNS1_3gpuE0ELNS1_3repE0EEENS1_36merge_oddeven_config_static_selectorELNS0_4arch9wavefront6targetE1EEEvSK_,comdat
	.protected	_ZN7rocprim17ROCPRIM_400000_NS6detail17trampoline_kernelINS0_14default_configENS1_38merge_sort_block_merge_config_selectorIxNS0_10empty_typeEEEZZNS1_27merge_sort_block_merge_implIS3_N6thrust23THRUST_200600_302600_NS6detail15normal_iteratorINS9_10device_ptrIxEEEEPS5_m14custom_greaterIxEEE10hipError_tT0_T1_T2_jT3_P12ihipStream_tbPNSt15iterator_traitsISJ_E10value_typeEPNSP_ISK_E10value_typeEPSL_NS1_7vsmem_tEENKUlT_SJ_SK_SL_E_clIPxSE_SF_SF_EESI_SY_SJ_SK_SL_EUlSY_E1_NS1_11comp_targetILNS1_3genE0ELNS1_11target_archE4294967295ELNS1_3gpuE0ELNS1_3repE0EEENS1_36merge_oddeven_config_static_selectorELNS0_4arch9wavefront6targetE1EEEvSK_ ; -- Begin function _ZN7rocprim17ROCPRIM_400000_NS6detail17trampoline_kernelINS0_14default_configENS1_38merge_sort_block_merge_config_selectorIxNS0_10empty_typeEEEZZNS1_27merge_sort_block_merge_implIS3_N6thrust23THRUST_200600_302600_NS6detail15normal_iteratorINS9_10device_ptrIxEEEEPS5_m14custom_greaterIxEEE10hipError_tT0_T1_T2_jT3_P12ihipStream_tbPNSt15iterator_traitsISJ_E10value_typeEPNSP_ISK_E10value_typeEPSL_NS1_7vsmem_tEENKUlT_SJ_SK_SL_E_clIPxSE_SF_SF_EESI_SY_SJ_SK_SL_EUlSY_E1_NS1_11comp_targetILNS1_3genE0ELNS1_11target_archE4294967295ELNS1_3gpuE0ELNS1_3repE0EEENS1_36merge_oddeven_config_static_selectorELNS0_4arch9wavefront6targetE1EEEvSK_
	.globl	_ZN7rocprim17ROCPRIM_400000_NS6detail17trampoline_kernelINS0_14default_configENS1_38merge_sort_block_merge_config_selectorIxNS0_10empty_typeEEEZZNS1_27merge_sort_block_merge_implIS3_N6thrust23THRUST_200600_302600_NS6detail15normal_iteratorINS9_10device_ptrIxEEEEPS5_m14custom_greaterIxEEE10hipError_tT0_T1_T2_jT3_P12ihipStream_tbPNSt15iterator_traitsISJ_E10value_typeEPNSP_ISK_E10value_typeEPSL_NS1_7vsmem_tEENKUlT_SJ_SK_SL_E_clIPxSE_SF_SF_EESI_SY_SJ_SK_SL_EUlSY_E1_NS1_11comp_targetILNS1_3genE0ELNS1_11target_archE4294967295ELNS1_3gpuE0ELNS1_3repE0EEENS1_36merge_oddeven_config_static_selectorELNS0_4arch9wavefront6targetE1EEEvSK_
	.p2align	8
	.type	_ZN7rocprim17ROCPRIM_400000_NS6detail17trampoline_kernelINS0_14default_configENS1_38merge_sort_block_merge_config_selectorIxNS0_10empty_typeEEEZZNS1_27merge_sort_block_merge_implIS3_N6thrust23THRUST_200600_302600_NS6detail15normal_iteratorINS9_10device_ptrIxEEEEPS5_m14custom_greaterIxEEE10hipError_tT0_T1_T2_jT3_P12ihipStream_tbPNSt15iterator_traitsISJ_E10value_typeEPNSP_ISK_E10value_typeEPSL_NS1_7vsmem_tEENKUlT_SJ_SK_SL_E_clIPxSE_SF_SF_EESI_SY_SJ_SK_SL_EUlSY_E1_NS1_11comp_targetILNS1_3genE0ELNS1_11target_archE4294967295ELNS1_3gpuE0ELNS1_3repE0EEENS1_36merge_oddeven_config_static_selectorELNS0_4arch9wavefront6targetE1EEEvSK_,@function
_ZN7rocprim17ROCPRIM_400000_NS6detail17trampoline_kernelINS0_14default_configENS1_38merge_sort_block_merge_config_selectorIxNS0_10empty_typeEEEZZNS1_27merge_sort_block_merge_implIS3_N6thrust23THRUST_200600_302600_NS6detail15normal_iteratorINS9_10device_ptrIxEEEEPS5_m14custom_greaterIxEEE10hipError_tT0_T1_T2_jT3_P12ihipStream_tbPNSt15iterator_traitsISJ_E10value_typeEPNSP_ISK_E10value_typeEPSL_NS1_7vsmem_tEENKUlT_SJ_SK_SL_E_clIPxSE_SF_SF_EESI_SY_SJ_SK_SL_EUlSY_E1_NS1_11comp_targetILNS1_3genE0ELNS1_11target_archE4294967295ELNS1_3gpuE0ELNS1_3repE0EEENS1_36merge_oddeven_config_static_selectorELNS0_4arch9wavefront6targetE1EEEvSK_: ; @_ZN7rocprim17ROCPRIM_400000_NS6detail17trampoline_kernelINS0_14default_configENS1_38merge_sort_block_merge_config_selectorIxNS0_10empty_typeEEEZZNS1_27merge_sort_block_merge_implIS3_N6thrust23THRUST_200600_302600_NS6detail15normal_iteratorINS9_10device_ptrIxEEEEPS5_m14custom_greaterIxEEE10hipError_tT0_T1_T2_jT3_P12ihipStream_tbPNSt15iterator_traitsISJ_E10value_typeEPNSP_ISK_E10value_typeEPSL_NS1_7vsmem_tEENKUlT_SJ_SK_SL_E_clIPxSE_SF_SF_EESI_SY_SJ_SK_SL_EUlSY_E1_NS1_11comp_targetILNS1_3genE0ELNS1_11target_archE4294967295ELNS1_3gpuE0ELNS1_3repE0EEENS1_36merge_oddeven_config_static_selectorELNS0_4arch9wavefront6targetE1EEEvSK_
; %bb.0:
	.section	.rodata,"a",@progbits
	.p2align	6, 0x0
	.amdhsa_kernel _ZN7rocprim17ROCPRIM_400000_NS6detail17trampoline_kernelINS0_14default_configENS1_38merge_sort_block_merge_config_selectorIxNS0_10empty_typeEEEZZNS1_27merge_sort_block_merge_implIS3_N6thrust23THRUST_200600_302600_NS6detail15normal_iteratorINS9_10device_ptrIxEEEEPS5_m14custom_greaterIxEEE10hipError_tT0_T1_T2_jT3_P12ihipStream_tbPNSt15iterator_traitsISJ_E10value_typeEPNSP_ISK_E10value_typeEPSL_NS1_7vsmem_tEENKUlT_SJ_SK_SL_E_clIPxSE_SF_SF_EESI_SY_SJ_SK_SL_EUlSY_E1_NS1_11comp_targetILNS1_3genE0ELNS1_11target_archE4294967295ELNS1_3gpuE0ELNS1_3repE0EEENS1_36merge_oddeven_config_static_selectorELNS0_4arch9wavefront6targetE1EEEvSK_
		.amdhsa_group_segment_fixed_size 0
		.amdhsa_private_segment_fixed_size 0
		.amdhsa_kernarg_size 56
		.amdhsa_user_sgpr_count 6
		.amdhsa_user_sgpr_private_segment_buffer 1
		.amdhsa_user_sgpr_dispatch_ptr 0
		.amdhsa_user_sgpr_queue_ptr 0
		.amdhsa_user_sgpr_kernarg_segment_ptr 1
		.amdhsa_user_sgpr_dispatch_id 0
		.amdhsa_user_sgpr_flat_scratch_init 0
		.amdhsa_user_sgpr_kernarg_preload_length 0
		.amdhsa_user_sgpr_kernarg_preload_offset 0
		.amdhsa_user_sgpr_private_segment_size 0
		.amdhsa_uses_dynamic_stack 0
		.amdhsa_system_sgpr_private_segment_wavefront_offset 0
		.amdhsa_system_sgpr_workgroup_id_x 1
		.amdhsa_system_sgpr_workgroup_id_y 0
		.amdhsa_system_sgpr_workgroup_id_z 0
		.amdhsa_system_sgpr_workgroup_info 0
		.amdhsa_system_vgpr_workitem_id 0
		.amdhsa_next_free_vgpr 1
		.amdhsa_next_free_sgpr 0
		.amdhsa_accum_offset 4
		.amdhsa_reserve_vcc 0
		.amdhsa_reserve_flat_scratch 0
		.amdhsa_float_round_mode_32 0
		.amdhsa_float_round_mode_16_64 0
		.amdhsa_float_denorm_mode_32 3
		.amdhsa_float_denorm_mode_16_64 3
		.amdhsa_dx10_clamp 1
		.amdhsa_ieee_mode 1
		.amdhsa_fp16_overflow 0
		.amdhsa_tg_split 0
		.amdhsa_exception_fp_ieee_invalid_op 0
		.amdhsa_exception_fp_denorm_src 0
		.amdhsa_exception_fp_ieee_div_zero 0
		.amdhsa_exception_fp_ieee_overflow 0
		.amdhsa_exception_fp_ieee_underflow 0
		.amdhsa_exception_fp_ieee_inexact 0
		.amdhsa_exception_int_div_zero 0
	.end_amdhsa_kernel
	.section	.text._ZN7rocprim17ROCPRIM_400000_NS6detail17trampoline_kernelINS0_14default_configENS1_38merge_sort_block_merge_config_selectorIxNS0_10empty_typeEEEZZNS1_27merge_sort_block_merge_implIS3_N6thrust23THRUST_200600_302600_NS6detail15normal_iteratorINS9_10device_ptrIxEEEEPS5_m14custom_greaterIxEEE10hipError_tT0_T1_T2_jT3_P12ihipStream_tbPNSt15iterator_traitsISJ_E10value_typeEPNSP_ISK_E10value_typeEPSL_NS1_7vsmem_tEENKUlT_SJ_SK_SL_E_clIPxSE_SF_SF_EESI_SY_SJ_SK_SL_EUlSY_E1_NS1_11comp_targetILNS1_3genE0ELNS1_11target_archE4294967295ELNS1_3gpuE0ELNS1_3repE0EEENS1_36merge_oddeven_config_static_selectorELNS0_4arch9wavefront6targetE1EEEvSK_,"axG",@progbits,_ZN7rocprim17ROCPRIM_400000_NS6detail17trampoline_kernelINS0_14default_configENS1_38merge_sort_block_merge_config_selectorIxNS0_10empty_typeEEEZZNS1_27merge_sort_block_merge_implIS3_N6thrust23THRUST_200600_302600_NS6detail15normal_iteratorINS9_10device_ptrIxEEEEPS5_m14custom_greaterIxEEE10hipError_tT0_T1_T2_jT3_P12ihipStream_tbPNSt15iterator_traitsISJ_E10value_typeEPNSP_ISK_E10value_typeEPSL_NS1_7vsmem_tEENKUlT_SJ_SK_SL_E_clIPxSE_SF_SF_EESI_SY_SJ_SK_SL_EUlSY_E1_NS1_11comp_targetILNS1_3genE0ELNS1_11target_archE4294967295ELNS1_3gpuE0ELNS1_3repE0EEENS1_36merge_oddeven_config_static_selectorELNS0_4arch9wavefront6targetE1EEEvSK_,comdat
.Lfunc_end3404:
	.size	_ZN7rocprim17ROCPRIM_400000_NS6detail17trampoline_kernelINS0_14default_configENS1_38merge_sort_block_merge_config_selectorIxNS0_10empty_typeEEEZZNS1_27merge_sort_block_merge_implIS3_N6thrust23THRUST_200600_302600_NS6detail15normal_iteratorINS9_10device_ptrIxEEEEPS5_m14custom_greaterIxEEE10hipError_tT0_T1_T2_jT3_P12ihipStream_tbPNSt15iterator_traitsISJ_E10value_typeEPNSP_ISK_E10value_typeEPSL_NS1_7vsmem_tEENKUlT_SJ_SK_SL_E_clIPxSE_SF_SF_EESI_SY_SJ_SK_SL_EUlSY_E1_NS1_11comp_targetILNS1_3genE0ELNS1_11target_archE4294967295ELNS1_3gpuE0ELNS1_3repE0EEENS1_36merge_oddeven_config_static_selectorELNS0_4arch9wavefront6targetE1EEEvSK_, .Lfunc_end3404-_ZN7rocprim17ROCPRIM_400000_NS6detail17trampoline_kernelINS0_14default_configENS1_38merge_sort_block_merge_config_selectorIxNS0_10empty_typeEEEZZNS1_27merge_sort_block_merge_implIS3_N6thrust23THRUST_200600_302600_NS6detail15normal_iteratorINS9_10device_ptrIxEEEEPS5_m14custom_greaterIxEEE10hipError_tT0_T1_T2_jT3_P12ihipStream_tbPNSt15iterator_traitsISJ_E10value_typeEPNSP_ISK_E10value_typeEPSL_NS1_7vsmem_tEENKUlT_SJ_SK_SL_E_clIPxSE_SF_SF_EESI_SY_SJ_SK_SL_EUlSY_E1_NS1_11comp_targetILNS1_3genE0ELNS1_11target_archE4294967295ELNS1_3gpuE0ELNS1_3repE0EEENS1_36merge_oddeven_config_static_selectorELNS0_4arch9wavefront6targetE1EEEvSK_
                                        ; -- End function
	.section	.AMDGPU.csdata,"",@progbits
; Kernel info:
; codeLenInByte = 0
; NumSgprs: 4
; NumVgprs: 0
; NumAgprs: 0
; TotalNumVgprs: 0
; ScratchSize: 0
; MemoryBound: 0
; FloatMode: 240
; IeeeMode: 1
; LDSByteSize: 0 bytes/workgroup (compile time only)
; SGPRBlocks: 0
; VGPRBlocks: 0
; NumSGPRsForWavesPerEU: 4
; NumVGPRsForWavesPerEU: 1
; AccumOffset: 4
; Occupancy: 8
; WaveLimiterHint : 0
; COMPUTE_PGM_RSRC2:SCRATCH_EN: 0
; COMPUTE_PGM_RSRC2:USER_SGPR: 6
; COMPUTE_PGM_RSRC2:TRAP_HANDLER: 0
; COMPUTE_PGM_RSRC2:TGID_X_EN: 1
; COMPUTE_PGM_RSRC2:TGID_Y_EN: 0
; COMPUTE_PGM_RSRC2:TGID_Z_EN: 0
; COMPUTE_PGM_RSRC2:TIDIG_COMP_CNT: 0
; COMPUTE_PGM_RSRC3_GFX90A:ACCUM_OFFSET: 0
; COMPUTE_PGM_RSRC3_GFX90A:TG_SPLIT: 0
	.section	.text._ZN7rocprim17ROCPRIM_400000_NS6detail17trampoline_kernelINS0_14default_configENS1_38merge_sort_block_merge_config_selectorIxNS0_10empty_typeEEEZZNS1_27merge_sort_block_merge_implIS3_N6thrust23THRUST_200600_302600_NS6detail15normal_iteratorINS9_10device_ptrIxEEEEPS5_m14custom_greaterIxEEE10hipError_tT0_T1_T2_jT3_P12ihipStream_tbPNSt15iterator_traitsISJ_E10value_typeEPNSP_ISK_E10value_typeEPSL_NS1_7vsmem_tEENKUlT_SJ_SK_SL_E_clIPxSE_SF_SF_EESI_SY_SJ_SK_SL_EUlSY_E1_NS1_11comp_targetILNS1_3genE10ELNS1_11target_archE1201ELNS1_3gpuE5ELNS1_3repE0EEENS1_36merge_oddeven_config_static_selectorELNS0_4arch9wavefront6targetE1EEEvSK_,"axG",@progbits,_ZN7rocprim17ROCPRIM_400000_NS6detail17trampoline_kernelINS0_14default_configENS1_38merge_sort_block_merge_config_selectorIxNS0_10empty_typeEEEZZNS1_27merge_sort_block_merge_implIS3_N6thrust23THRUST_200600_302600_NS6detail15normal_iteratorINS9_10device_ptrIxEEEEPS5_m14custom_greaterIxEEE10hipError_tT0_T1_T2_jT3_P12ihipStream_tbPNSt15iterator_traitsISJ_E10value_typeEPNSP_ISK_E10value_typeEPSL_NS1_7vsmem_tEENKUlT_SJ_SK_SL_E_clIPxSE_SF_SF_EESI_SY_SJ_SK_SL_EUlSY_E1_NS1_11comp_targetILNS1_3genE10ELNS1_11target_archE1201ELNS1_3gpuE5ELNS1_3repE0EEENS1_36merge_oddeven_config_static_selectorELNS0_4arch9wavefront6targetE1EEEvSK_,comdat
	.protected	_ZN7rocprim17ROCPRIM_400000_NS6detail17trampoline_kernelINS0_14default_configENS1_38merge_sort_block_merge_config_selectorIxNS0_10empty_typeEEEZZNS1_27merge_sort_block_merge_implIS3_N6thrust23THRUST_200600_302600_NS6detail15normal_iteratorINS9_10device_ptrIxEEEEPS5_m14custom_greaterIxEEE10hipError_tT0_T1_T2_jT3_P12ihipStream_tbPNSt15iterator_traitsISJ_E10value_typeEPNSP_ISK_E10value_typeEPSL_NS1_7vsmem_tEENKUlT_SJ_SK_SL_E_clIPxSE_SF_SF_EESI_SY_SJ_SK_SL_EUlSY_E1_NS1_11comp_targetILNS1_3genE10ELNS1_11target_archE1201ELNS1_3gpuE5ELNS1_3repE0EEENS1_36merge_oddeven_config_static_selectorELNS0_4arch9wavefront6targetE1EEEvSK_ ; -- Begin function _ZN7rocprim17ROCPRIM_400000_NS6detail17trampoline_kernelINS0_14default_configENS1_38merge_sort_block_merge_config_selectorIxNS0_10empty_typeEEEZZNS1_27merge_sort_block_merge_implIS3_N6thrust23THRUST_200600_302600_NS6detail15normal_iteratorINS9_10device_ptrIxEEEEPS5_m14custom_greaterIxEEE10hipError_tT0_T1_T2_jT3_P12ihipStream_tbPNSt15iterator_traitsISJ_E10value_typeEPNSP_ISK_E10value_typeEPSL_NS1_7vsmem_tEENKUlT_SJ_SK_SL_E_clIPxSE_SF_SF_EESI_SY_SJ_SK_SL_EUlSY_E1_NS1_11comp_targetILNS1_3genE10ELNS1_11target_archE1201ELNS1_3gpuE5ELNS1_3repE0EEENS1_36merge_oddeven_config_static_selectorELNS0_4arch9wavefront6targetE1EEEvSK_
	.globl	_ZN7rocprim17ROCPRIM_400000_NS6detail17trampoline_kernelINS0_14default_configENS1_38merge_sort_block_merge_config_selectorIxNS0_10empty_typeEEEZZNS1_27merge_sort_block_merge_implIS3_N6thrust23THRUST_200600_302600_NS6detail15normal_iteratorINS9_10device_ptrIxEEEEPS5_m14custom_greaterIxEEE10hipError_tT0_T1_T2_jT3_P12ihipStream_tbPNSt15iterator_traitsISJ_E10value_typeEPNSP_ISK_E10value_typeEPSL_NS1_7vsmem_tEENKUlT_SJ_SK_SL_E_clIPxSE_SF_SF_EESI_SY_SJ_SK_SL_EUlSY_E1_NS1_11comp_targetILNS1_3genE10ELNS1_11target_archE1201ELNS1_3gpuE5ELNS1_3repE0EEENS1_36merge_oddeven_config_static_selectorELNS0_4arch9wavefront6targetE1EEEvSK_
	.p2align	8
	.type	_ZN7rocprim17ROCPRIM_400000_NS6detail17trampoline_kernelINS0_14default_configENS1_38merge_sort_block_merge_config_selectorIxNS0_10empty_typeEEEZZNS1_27merge_sort_block_merge_implIS3_N6thrust23THRUST_200600_302600_NS6detail15normal_iteratorINS9_10device_ptrIxEEEEPS5_m14custom_greaterIxEEE10hipError_tT0_T1_T2_jT3_P12ihipStream_tbPNSt15iterator_traitsISJ_E10value_typeEPNSP_ISK_E10value_typeEPSL_NS1_7vsmem_tEENKUlT_SJ_SK_SL_E_clIPxSE_SF_SF_EESI_SY_SJ_SK_SL_EUlSY_E1_NS1_11comp_targetILNS1_3genE10ELNS1_11target_archE1201ELNS1_3gpuE5ELNS1_3repE0EEENS1_36merge_oddeven_config_static_selectorELNS0_4arch9wavefront6targetE1EEEvSK_,@function
_ZN7rocprim17ROCPRIM_400000_NS6detail17trampoline_kernelINS0_14default_configENS1_38merge_sort_block_merge_config_selectorIxNS0_10empty_typeEEEZZNS1_27merge_sort_block_merge_implIS3_N6thrust23THRUST_200600_302600_NS6detail15normal_iteratorINS9_10device_ptrIxEEEEPS5_m14custom_greaterIxEEE10hipError_tT0_T1_T2_jT3_P12ihipStream_tbPNSt15iterator_traitsISJ_E10value_typeEPNSP_ISK_E10value_typeEPSL_NS1_7vsmem_tEENKUlT_SJ_SK_SL_E_clIPxSE_SF_SF_EESI_SY_SJ_SK_SL_EUlSY_E1_NS1_11comp_targetILNS1_3genE10ELNS1_11target_archE1201ELNS1_3gpuE5ELNS1_3repE0EEENS1_36merge_oddeven_config_static_selectorELNS0_4arch9wavefront6targetE1EEEvSK_: ; @_ZN7rocprim17ROCPRIM_400000_NS6detail17trampoline_kernelINS0_14default_configENS1_38merge_sort_block_merge_config_selectorIxNS0_10empty_typeEEEZZNS1_27merge_sort_block_merge_implIS3_N6thrust23THRUST_200600_302600_NS6detail15normal_iteratorINS9_10device_ptrIxEEEEPS5_m14custom_greaterIxEEE10hipError_tT0_T1_T2_jT3_P12ihipStream_tbPNSt15iterator_traitsISJ_E10value_typeEPNSP_ISK_E10value_typeEPSL_NS1_7vsmem_tEENKUlT_SJ_SK_SL_E_clIPxSE_SF_SF_EESI_SY_SJ_SK_SL_EUlSY_E1_NS1_11comp_targetILNS1_3genE10ELNS1_11target_archE1201ELNS1_3gpuE5ELNS1_3repE0EEENS1_36merge_oddeven_config_static_selectorELNS0_4arch9wavefront6targetE1EEEvSK_
; %bb.0:
	.section	.rodata,"a",@progbits
	.p2align	6, 0x0
	.amdhsa_kernel _ZN7rocprim17ROCPRIM_400000_NS6detail17trampoline_kernelINS0_14default_configENS1_38merge_sort_block_merge_config_selectorIxNS0_10empty_typeEEEZZNS1_27merge_sort_block_merge_implIS3_N6thrust23THRUST_200600_302600_NS6detail15normal_iteratorINS9_10device_ptrIxEEEEPS5_m14custom_greaterIxEEE10hipError_tT0_T1_T2_jT3_P12ihipStream_tbPNSt15iterator_traitsISJ_E10value_typeEPNSP_ISK_E10value_typeEPSL_NS1_7vsmem_tEENKUlT_SJ_SK_SL_E_clIPxSE_SF_SF_EESI_SY_SJ_SK_SL_EUlSY_E1_NS1_11comp_targetILNS1_3genE10ELNS1_11target_archE1201ELNS1_3gpuE5ELNS1_3repE0EEENS1_36merge_oddeven_config_static_selectorELNS0_4arch9wavefront6targetE1EEEvSK_
		.amdhsa_group_segment_fixed_size 0
		.amdhsa_private_segment_fixed_size 0
		.amdhsa_kernarg_size 56
		.amdhsa_user_sgpr_count 6
		.amdhsa_user_sgpr_private_segment_buffer 1
		.amdhsa_user_sgpr_dispatch_ptr 0
		.amdhsa_user_sgpr_queue_ptr 0
		.amdhsa_user_sgpr_kernarg_segment_ptr 1
		.amdhsa_user_sgpr_dispatch_id 0
		.amdhsa_user_sgpr_flat_scratch_init 0
		.amdhsa_user_sgpr_kernarg_preload_length 0
		.amdhsa_user_sgpr_kernarg_preload_offset 0
		.amdhsa_user_sgpr_private_segment_size 0
		.amdhsa_uses_dynamic_stack 0
		.amdhsa_system_sgpr_private_segment_wavefront_offset 0
		.amdhsa_system_sgpr_workgroup_id_x 1
		.amdhsa_system_sgpr_workgroup_id_y 0
		.amdhsa_system_sgpr_workgroup_id_z 0
		.amdhsa_system_sgpr_workgroup_info 0
		.amdhsa_system_vgpr_workitem_id 0
		.amdhsa_next_free_vgpr 1
		.amdhsa_next_free_sgpr 0
		.amdhsa_accum_offset 4
		.amdhsa_reserve_vcc 0
		.amdhsa_reserve_flat_scratch 0
		.amdhsa_float_round_mode_32 0
		.amdhsa_float_round_mode_16_64 0
		.amdhsa_float_denorm_mode_32 3
		.amdhsa_float_denorm_mode_16_64 3
		.amdhsa_dx10_clamp 1
		.amdhsa_ieee_mode 1
		.amdhsa_fp16_overflow 0
		.amdhsa_tg_split 0
		.amdhsa_exception_fp_ieee_invalid_op 0
		.amdhsa_exception_fp_denorm_src 0
		.amdhsa_exception_fp_ieee_div_zero 0
		.amdhsa_exception_fp_ieee_overflow 0
		.amdhsa_exception_fp_ieee_underflow 0
		.amdhsa_exception_fp_ieee_inexact 0
		.amdhsa_exception_int_div_zero 0
	.end_amdhsa_kernel
	.section	.text._ZN7rocprim17ROCPRIM_400000_NS6detail17trampoline_kernelINS0_14default_configENS1_38merge_sort_block_merge_config_selectorIxNS0_10empty_typeEEEZZNS1_27merge_sort_block_merge_implIS3_N6thrust23THRUST_200600_302600_NS6detail15normal_iteratorINS9_10device_ptrIxEEEEPS5_m14custom_greaterIxEEE10hipError_tT0_T1_T2_jT3_P12ihipStream_tbPNSt15iterator_traitsISJ_E10value_typeEPNSP_ISK_E10value_typeEPSL_NS1_7vsmem_tEENKUlT_SJ_SK_SL_E_clIPxSE_SF_SF_EESI_SY_SJ_SK_SL_EUlSY_E1_NS1_11comp_targetILNS1_3genE10ELNS1_11target_archE1201ELNS1_3gpuE5ELNS1_3repE0EEENS1_36merge_oddeven_config_static_selectorELNS0_4arch9wavefront6targetE1EEEvSK_,"axG",@progbits,_ZN7rocprim17ROCPRIM_400000_NS6detail17trampoline_kernelINS0_14default_configENS1_38merge_sort_block_merge_config_selectorIxNS0_10empty_typeEEEZZNS1_27merge_sort_block_merge_implIS3_N6thrust23THRUST_200600_302600_NS6detail15normal_iteratorINS9_10device_ptrIxEEEEPS5_m14custom_greaterIxEEE10hipError_tT0_T1_T2_jT3_P12ihipStream_tbPNSt15iterator_traitsISJ_E10value_typeEPNSP_ISK_E10value_typeEPSL_NS1_7vsmem_tEENKUlT_SJ_SK_SL_E_clIPxSE_SF_SF_EESI_SY_SJ_SK_SL_EUlSY_E1_NS1_11comp_targetILNS1_3genE10ELNS1_11target_archE1201ELNS1_3gpuE5ELNS1_3repE0EEENS1_36merge_oddeven_config_static_selectorELNS0_4arch9wavefront6targetE1EEEvSK_,comdat
.Lfunc_end3405:
	.size	_ZN7rocprim17ROCPRIM_400000_NS6detail17trampoline_kernelINS0_14default_configENS1_38merge_sort_block_merge_config_selectorIxNS0_10empty_typeEEEZZNS1_27merge_sort_block_merge_implIS3_N6thrust23THRUST_200600_302600_NS6detail15normal_iteratorINS9_10device_ptrIxEEEEPS5_m14custom_greaterIxEEE10hipError_tT0_T1_T2_jT3_P12ihipStream_tbPNSt15iterator_traitsISJ_E10value_typeEPNSP_ISK_E10value_typeEPSL_NS1_7vsmem_tEENKUlT_SJ_SK_SL_E_clIPxSE_SF_SF_EESI_SY_SJ_SK_SL_EUlSY_E1_NS1_11comp_targetILNS1_3genE10ELNS1_11target_archE1201ELNS1_3gpuE5ELNS1_3repE0EEENS1_36merge_oddeven_config_static_selectorELNS0_4arch9wavefront6targetE1EEEvSK_, .Lfunc_end3405-_ZN7rocprim17ROCPRIM_400000_NS6detail17trampoline_kernelINS0_14default_configENS1_38merge_sort_block_merge_config_selectorIxNS0_10empty_typeEEEZZNS1_27merge_sort_block_merge_implIS3_N6thrust23THRUST_200600_302600_NS6detail15normal_iteratorINS9_10device_ptrIxEEEEPS5_m14custom_greaterIxEEE10hipError_tT0_T1_T2_jT3_P12ihipStream_tbPNSt15iterator_traitsISJ_E10value_typeEPNSP_ISK_E10value_typeEPSL_NS1_7vsmem_tEENKUlT_SJ_SK_SL_E_clIPxSE_SF_SF_EESI_SY_SJ_SK_SL_EUlSY_E1_NS1_11comp_targetILNS1_3genE10ELNS1_11target_archE1201ELNS1_3gpuE5ELNS1_3repE0EEENS1_36merge_oddeven_config_static_selectorELNS0_4arch9wavefront6targetE1EEEvSK_
                                        ; -- End function
	.section	.AMDGPU.csdata,"",@progbits
; Kernel info:
; codeLenInByte = 0
; NumSgprs: 4
; NumVgprs: 0
; NumAgprs: 0
; TotalNumVgprs: 0
; ScratchSize: 0
; MemoryBound: 0
; FloatMode: 240
; IeeeMode: 1
; LDSByteSize: 0 bytes/workgroup (compile time only)
; SGPRBlocks: 0
; VGPRBlocks: 0
; NumSGPRsForWavesPerEU: 4
; NumVGPRsForWavesPerEU: 1
; AccumOffset: 4
; Occupancy: 8
; WaveLimiterHint : 0
; COMPUTE_PGM_RSRC2:SCRATCH_EN: 0
; COMPUTE_PGM_RSRC2:USER_SGPR: 6
; COMPUTE_PGM_RSRC2:TRAP_HANDLER: 0
; COMPUTE_PGM_RSRC2:TGID_X_EN: 1
; COMPUTE_PGM_RSRC2:TGID_Y_EN: 0
; COMPUTE_PGM_RSRC2:TGID_Z_EN: 0
; COMPUTE_PGM_RSRC2:TIDIG_COMP_CNT: 0
; COMPUTE_PGM_RSRC3_GFX90A:ACCUM_OFFSET: 0
; COMPUTE_PGM_RSRC3_GFX90A:TG_SPLIT: 0
	.section	.text._ZN7rocprim17ROCPRIM_400000_NS6detail17trampoline_kernelINS0_14default_configENS1_38merge_sort_block_merge_config_selectorIxNS0_10empty_typeEEEZZNS1_27merge_sort_block_merge_implIS3_N6thrust23THRUST_200600_302600_NS6detail15normal_iteratorINS9_10device_ptrIxEEEEPS5_m14custom_greaterIxEEE10hipError_tT0_T1_T2_jT3_P12ihipStream_tbPNSt15iterator_traitsISJ_E10value_typeEPNSP_ISK_E10value_typeEPSL_NS1_7vsmem_tEENKUlT_SJ_SK_SL_E_clIPxSE_SF_SF_EESI_SY_SJ_SK_SL_EUlSY_E1_NS1_11comp_targetILNS1_3genE5ELNS1_11target_archE942ELNS1_3gpuE9ELNS1_3repE0EEENS1_36merge_oddeven_config_static_selectorELNS0_4arch9wavefront6targetE1EEEvSK_,"axG",@progbits,_ZN7rocprim17ROCPRIM_400000_NS6detail17trampoline_kernelINS0_14default_configENS1_38merge_sort_block_merge_config_selectorIxNS0_10empty_typeEEEZZNS1_27merge_sort_block_merge_implIS3_N6thrust23THRUST_200600_302600_NS6detail15normal_iteratorINS9_10device_ptrIxEEEEPS5_m14custom_greaterIxEEE10hipError_tT0_T1_T2_jT3_P12ihipStream_tbPNSt15iterator_traitsISJ_E10value_typeEPNSP_ISK_E10value_typeEPSL_NS1_7vsmem_tEENKUlT_SJ_SK_SL_E_clIPxSE_SF_SF_EESI_SY_SJ_SK_SL_EUlSY_E1_NS1_11comp_targetILNS1_3genE5ELNS1_11target_archE942ELNS1_3gpuE9ELNS1_3repE0EEENS1_36merge_oddeven_config_static_selectorELNS0_4arch9wavefront6targetE1EEEvSK_,comdat
	.protected	_ZN7rocprim17ROCPRIM_400000_NS6detail17trampoline_kernelINS0_14default_configENS1_38merge_sort_block_merge_config_selectorIxNS0_10empty_typeEEEZZNS1_27merge_sort_block_merge_implIS3_N6thrust23THRUST_200600_302600_NS6detail15normal_iteratorINS9_10device_ptrIxEEEEPS5_m14custom_greaterIxEEE10hipError_tT0_T1_T2_jT3_P12ihipStream_tbPNSt15iterator_traitsISJ_E10value_typeEPNSP_ISK_E10value_typeEPSL_NS1_7vsmem_tEENKUlT_SJ_SK_SL_E_clIPxSE_SF_SF_EESI_SY_SJ_SK_SL_EUlSY_E1_NS1_11comp_targetILNS1_3genE5ELNS1_11target_archE942ELNS1_3gpuE9ELNS1_3repE0EEENS1_36merge_oddeven_config_static_selectorELNS0_4arch9wavefront6targetE1EEEvSK_ ; -- Begin function _ZN7rocprim17ROCPRIM_400000_NS6detail17trampoline_kernelINS0_14default_configENS1_38merge_sort_block_merge_config_selectorIxNS0_10empty_typeEEEZZNS1_27merge_sort_block_merge_implIS3_N6thrust23THRUST_200600_302600_NS6detail15normal_iteratorINS9_10device_ptrIxEEEEPS5_m14custom_greaterIxEEE10hipError_tT0_T1_T2_jT3_P12ihipStream_tbPNSt15iterator_traitsISJ_E10value_typeEPNSP_ISK_E10value_typeEPSL_NS1_7vsmem_tEENKUlT_SJ_SK_SL_E_clIPxSE_SF_SF_EESI_SY_SJ_SK_SL_EUlSY_E1_NS1_11comp_targetILNS1_3genE5ELNS1_11target_archE942ELNS1_3gpuE9ELNS1_3repE0EEENS1_36merge_oddeven_config_static_selectorELNS0_4arch9wavefront6targetE1EEEvSK_
	.globl	_ZN7rocprim17ROCPRIM_400000_NS6detail17trampoline_kernelINS0_14default_configENS1_38merge_sort_block_merge_config_selectorIxNS0_10empty_typeEEEZZNS1_27merge_sort_block_merge_implIS3_N6thrust23THRUST_200600_302600_NS6detail15normal_iteratorINS9_10device_ptrIxEEEEPS5_m14custom_greaterIxEEE10hipError_tT0_T1_T2_jT3_P12ihipStream_tbPNSt15iterator_traitsISJ_E10value_typeEPNSP_ISK_E10value_typeEPSL_NS1_7vsmem_tEENKUlT_SJ_SK_SL_E_clIPxSE_SF_SF_EESI_SY_SJ_SK_SL_EUlSY_E1_NS1_11comp_targetILNS1_3genE5ELNS1_11target_archE942ELNS1_3gpuE9ELNS1_3repE0EEENS1_36merge_oddeven_config_static_selectorELNS0_4arch9wavefront6targetE1EEEvSK_
	.p2align	8
	.type	_ZN7rocprim17ROCPRIM_400000_NS6detail17trampoline_kernelINS0_14default_configENS1_38merge_sort_block_merge_config_selectorIxNS0_10empty_typeEEEZZNS1_27merge_sort_block_merge_implIS3_N6thrust23THRUST_200600_302600_NS6detail15normal_iteratorINS9_10device_ptrIxEEEEPS5_m14custom_greaterIxEEE10hipError_tT0_T1_T2_jT3_P12ihipStream_tbPNSt15iterator_traitsISJ_E10value_typeEPNSP_ISK_E10value_typeEPSL_NS1_7vsmem_tEENKUlT_SJ_SK_SL_E_clIPxSE_SF_SF_EESI_SY_SJ_SK_SL_EUlSY_E1_NS1_11comp_targetILNS1_3genE5ELNS1_11target_archE942ELNS1_3gpuE9ELNS1_3repE0EEENS1_36merge_oddeven_config_static_selectorELNS0_4arch9wavefront6targetE1EEEvSK_,@function
_ZN7rocprim17ROCPRIM_400000_NS6detail17trampoline_kernelINS0_14default_configENS1_38merge_sort_block_merge_config_selectorIxNS0_10empty_typeEEEZZNS1_27merge_sort_block_merge_implIS3_N6thrust23THRUST_200600_302600_NS6detail15normal_iteratorINS9_10device_ptrIxEEEEPS5_m14custom_greaterIxEEE10hipError_tT0_T1_T2_jT3_P12ihipStream_tbPNSt15iterator_traitsISJ_E10value_typeEPNSP_ISK_E10value_typeEPSL_NS1_7vsmem_tEENKUlT_SJ_SK_SL_E_clIPxSE_SF_SF_EESI_SY_SJ_SK_SL_EUlSY_E1_NS1_11comp_targetILNS1_3genE5ELNS1_11target_archE942ELNS1_3gpuE9ELNS1_3repE0EEENS1_36merge_oddeven_config_static_selectorELNS0_4arch9wavefront6targetE1EEEvSK_: ; @_ZN7rocprim17ROCPRIM_400000_NS6detail17trampoline_kernelINS0_14default_configENS1_38merge_sort_block_merge_config_selectorIxNS0_10empty_typeEEEZZNS1_27merge_sort_block_merge_implIS3_N6thrust23THRUST_200600_302600_NS6detail15normal_iteratorINS9_10device_ptrIxEEEEPS5_m14custom_greaterIxEEE10hipError_tT0_T1_T2_jT3_P12ihipStream_tbPNSt15iterator_traitsISJ_E10value_typeEPNSP_ISK_E10value_typeEPSL_NS1_7vsmem_tEENKUlT_SJ_SK_SL_E_clIPxSE_SF_SF_EESI_SY_SJ_SK_SL_EUlSY_E1_NS1_11comp_targetILNS1_3genE5ELNS1_11target_archE942ELNS1_3gpuE9ELNS1_3repE0EEENS1_36merge_oddeven_config_static_selectorELNS0_4arch9wavefront6targetE1EEEvSK_
; %bb.0:
	.section	.rodata,"a",@progbits
	.p2align	6, 0x0
	.amdhsa_kernel _ZN7rocprim17ROCPRIM_400000_NS6detail17trampoline_kernelINS0_14default_configENS1_38merge_sort_block_merge_config_selectorIxNS0_10empty_typeEEEZZNS1_27merge_sort_block_merge_implIS3_N6thrust23THRUST_200600_302600_NS6detail15normal_iteratorINS9_10device_ptrIxEEEEPS5_m14custom_greaterIxEEE10hipError_tT0_T1_T2_jT3_P12ihipStream_tbPNSt15iterator_traitsISJ_E10value_typeEPNSP_ISK_E10value_typeEPSL_NS1_7vsmem_tEENKUlT_SJ_SK_SL_E_clIPxSE_SF_SF_EESI_SY_SJ_SK_SL_EUlSY_E1_NS1_11comp_targetILNS1_3genE5ELNS1_11target_archE942ELNS1_3gpuE9ELNS1_3repE0EEENS1_36merge_oddeven_config_static_selectorELNS0_4arch9wavefront6targetE1EEEvSK_
		.amdhsa_group_segment_fixed_size 0
		.amdhsa_private_segment_fixed_size 0
		.amdhsa_kernarg_size 56
		.amdhsa_user_sgpr_count 6
		.amdhsa_user_sgpr_private_segment_buffer 1
		.amdhsa_user_sgpr_dispatch_ptr 0
		.amdhsa_user_sgpr_queue_ptr 0
		.amdhsa_user_sgpr_kernarg_segment_ptr 1
		.amdhsa_user_sgpr_dispatch_id 0
		.amdhsa_user_sgpr_flat_scratch_init 0
		.amdhsa_user_sgpr_kernarg_preload_length 0
		.amdhsa_user_sgpr_kernarg_preload_offset 0
		.amdhsa_user_sgpr_private_segment_size 0
		.amdhsa_uses_dynamic_stack 0
		.amdhsa_system_sgpr_private_segment_wavefront_offset 0
		.amdhsa_system_sgpr_workgroup_id_x 1
		.amdhsa_system_sgpr_workgroup_id_y 0
		.amdhsa_system_sgpr_workgroup_id_z 0
		.amdhsa_system_sgpr_workgroup_info 0
		.amdhsa_system_vgpr_workitem_id 0
		.amdhsa_next_free_vgpr 1
		.amdhsa_next_free_sgpr 0
		.amdhsa_accum_offset 4
		.amdhsa_reserve_vcc 0
		.amdhsa_reserve_flat_scratch 0
		.amdhsa_float_round_mode_32 0
		.amdhsa_float_round_mode_16_64 0
		.amdhsa_float_denorm_mode_32 3
		.amdhsa_float_denorm_mode_16_64 3
		.amdhsa_dx10_clamp 1
		.amdhsa_ieee_mode 1
		.amdhsa_fp16_overflow 0
		.amdhsa_tg_split 0
		.amdhsa_exception_fp_ieee_invalid_op 0
		.amdhsa_exception_fp_denorm_src 0
		.amdhsa_exception_fp_ieee_div_zero 0
		.amdhsa_exception_fp_ieee_overflow 0
		.amdhsa_exception_fp_ieee_underflow 0
		.amdhsa_exception_fp_ieee_inexact 0
		.amdhsa_exception_int_div_zero 0
	.end_amdhsa_kernel
	.section	.text._ZN7rocprim17ROCPRIM_400000_NS6detail17trampoline_kernelINS0_14default_configENS1_38merge_sort_block_merge_config_selectorIxNS0_10empty_typeEEEZZNS1_27merge_sort_block_merge_implIS3_N6thrust23THRUST_200600_302600_NS6detail15normal_iteratorINS9_10device_ptrIxEEEEPS5_m14custom_greaterIxEEE10hipError_tT0_T1_T2_jT3_P12ihipStream_tbPNSt15iterator_traitsISJ_E10value_typeEPNSP_ISK_E10value_typeEPSL_NS1_7vsmem_tEENKUlT_SJ_SK_SL_E_clIPxSE_SF_SF_EESI_SY_SJ_SK_SL_EUlSY_E1_NS1_11comp_targetILNS1_3genE5ELNS1_11target_archE942ELNS1_3gpuE9ELNS1_3repE0EEENS1_36merge_oddeven_config_static_selectorELNS0_4arch9wavefront6targetE1EEEvSK_,"axG",@progbits,_ZN7rocprim17ROCPRIM_400000_NS6detail17trampoline_kernelINS0_14default_configENS1_38merge_sort_block_merge_config_selectorIxNS0_10empty_typeEEEZZNS1_27merge_sort_block_merge_implIS3_N6thrust23THRUST_200600_302600_NS6detail15normal_iteratorINS9_10device_ptrIxEEEEPS5_m14custom_greaterIxEEE10hipError_tT0_T1_T2_jT3_P12ihipStream_tbPNSt15iterator_traitsISJ_E10value_typeEPNSP_ISK_E10value_typeEPSL_NS1_7vsmem_tEENKUlT_SJ_SK_SL_E_clIPxSE_SF_SF_EESI_SY_SJ_SK_SL_EUlSY_E1_NS1_11comp_targetILNS1_3genE5ELNS1_11target_archE942ELNS1_3gpuE9ELNS1_3repE0EEENS1_36merge_oddeven_config_static_selectorELNS0_4arch9wavefront6targetE1EEEvSK_,comdat
.Lfunc_end3406:
	.size	_ZN7rocprim17ROCPRIM_400000_NS6detail17trampoline_kernelINS0_14default_configENS1_38merge_sort_block_merge_config_selectorIxNS0_10empty_typeEEEZZNS1_27merge_sort_block_merge_implIS3_N6thrust23THRUST_200600_302600_NS6detail15normal_iteratorINS9_10device_ptrIxEEEEPS5_m14custom_greaterIxEEE10hipError_tT0_T1_T2_jT3_P12ihipStream_tbPNSt15iterator_traitsISJ_E10value_typeEPNSP_ISK_E10value_typeEPSL_NS1_7vsmem_tEENKUlT_SJ_SK_SL_E_clIPxSE_SF_SF_EESI_SY_SJ_SK_SL_EUlSY_E1_NS1_11comp_targetILNS1_3genE5ELNS1_11target_archE942ELNS1_3gpuE9ELNS1_3repE0EEENS1_36merge_oddeven_config_static_selectorELNS0_4arch9wavefront6targetE1EEEvSK_, .Lfunc_end3406-_ZN7rocprim17ROCPRIM_400000_NS6detail17trampoline_kernelINS0_14default_configENS1_38merge_sort_block_merge_config_selectorIxNS0_10empty_typeEEEZZNS1_27merge_sort_block_merge_implIS3_N6thrust23THRUST_200600_302600_NS6detail15normal_iteratorINS9_10device_ptrIxEEEEPS5_m14custom_greaterIxEEE10hipError_tT0_T1_T2_jT3_P12ihipStream_tbPNSt15iterator_traitsISJ_E10value_typeEPNSP_ISK_E10value_typeEPSL_NS1_7vsmem_tEENKUlT_SJ_SK_SL_E_clIPxSE_SF_SF_EESI_SY_SJ_SK_SL_EUlSY_E1_NS1_11comp_targetILNS1_3genE5ELNS1_11target_archE942ELNS1_3gpuE9ELNS1_3repE0EEENS1_36merge_oddeven_config_static_selectorELNS0_4arch9wavefront6targetE1EEEvSK_
                                        ; -- End function
	.section	.AMDGPU.csdata,"",@progbits
; Kernel info:
; codeLenInByte = 0
; NumSgprs: 4
; NumVgprs: 0
; NumAgprs: 0
; TotalNumVgprs: 0
; ScratchSize: 0
; MemoryBound: 0
; FloatMode: 240
; IeeeMode: 1
; LDSByteSize: 0 bytes/workgroup (compile time only)
; SGPRBlocks: 0
; VGPRBlocks: 0
; NumSGPRsForWavesPerEU: 4
; NumVGPRsForWavesPerEU: 1
; AccumOffset: 4
; Occupancy: 8
; WaveLimiterHint : 0
; COMPUTE_PGM_RSRC2:SCRATCH_EN: 0
; COMPUTE_PGM_RSRC2:USER_SGPR: 6
; COMPUTE_PGM_RSRC2:TRAP_HANDLER: 0
; COMPUTE_PGM_RSRC2:TGID_X_EN: 1
; COMPUTE_PGM_RSRC2:TGID_Y_EN: 0
; COMPUTE_PGM_RSRC2:TGID_Z_EN: 0
; COMPUTE_PGM_RSRC2:TIDIG_COMP_CNT: 0
; COMPUTE_PGM_RSRC3_GFX90A:ACCUM_OFFSET: 0
; COMPUTE_PGM_RSRC3_GFX90A:TG_SPLIT: 0
	.section	.text._ZN7rocprim17ROCPRIM_400000_NS6detail17trampoline_kernelINS0_14default_configENS1_38merge_sort_block_merge_config_selectorIxNS0_10empty_typeEEEZZNS1_27merge_sort_block_merge_implIS3_N6thrust23THRUST_200600_302600_NS6detail15normal_iteratorINS9_10device_ptrIxEEEEPS5_m14custom_greaterIxEEE10hipError_tT0_T1_T2_jT3_P12ihipStream_tbPNSt15iterator_traitsISJ_E10value_typeEPNSP_ISK_E10value_typeEPSL_NS1_7vsmem_tEENKUlT_SJ_SK_SL_E_clIPxSE_SF_SF_EESI_SY_SJ_SK_SL_EUlSY_E1_NS1_11comp_targetILNS1_3genE4ELNS1_11target_archE910ELNS1_3gpuE8ELNS1_3repE0EEENS1_36merge_oddeven_config_static_selectorELNS0_4arch9wavefront6targetE1EEEvSK_,"axG",@progbits,_ZN7rocprim17ROCPRIM_400000_NS6detail17trampoline_kernelINS0_14default_configENS1_38merge_sort_block_merge_config_selectorIxNS0_10empty_typeEEEZZNS1_27merge_sort_block_merge_implIS3_N6thrust23THRUST_200600_302600_NS6detail15normal_iteratorINS9_10device_ptrIxEEEEPS5_m14custom_greaterIxEEE10hipError_tT0_T1_T2_jT3_P12ihipStream_tbPNSt15iterator_traitsISJ_E10value_typeEPNSP_ISK_E10value_typeEPSL_NS1_7vsmem_tEENKUlT_SJ_SK_SL_E_clIPxSE_SF_SF_EESI_SY_SJ_SK_SL_EUlSY_E1_NS1_11comp_targetILNS1_3genE4ELNS1_11target_archE910ELNS1_3gpuE8ELNS1_3repE0EEENS1_36merge_oddeven_config_static_selectorELNS0_4arch9wavefront6targetE1EEEvSK_,comdat
	.protected	_ZN7rocprim17ROCPRIM_400000_NS6detail17trampoline_kernelINS0_14default_configENS1_38merge_sort_block_merge_config_selectorIxNS0_10empty_typeEEEZZNS1_27merge_sort_block_merge_implIS3_N6thrust23THRUST_200600_302600_NS6detail15normal_iteratorINS9_10device_ptrIxEEEEPS5_m14custom_greaterIxEEE10hipError_tT0_T1_T2_jT3_P12ihipStream_tbPNSt15iterator_traitsISJ_E10value_typeEPNSP_ISK_E10value_typeEPSL_NS1_7vsmem_tEENKUlT_SJ_SK_SL_E_clIPxSE_SF_SF_EESI_SY_SJ_SK_SL_EUlSY_E1_NS1_11comp_targetILNS1_3genE4ELNS1_11target_archE910ELNS1_3gpuE8ELNS1_3repE0EEENS1_36merge_oddeven_config_static_selectorELNS0_4arch9wavefront6targetE1EEEvSK_ ; -- Begin function _ZN7rocprim17ROCPRIM_400000_NS6detail17trampoline_kernelINS0_14default_configENS1_38merge_sort_block_merge_config_selectorIxNS0_10empty_typeEEEZZNS1_27merge_sort_block_merge_implIS3_N6thrust23THRUST_200600_302600_NS6detail15normal_iteratorINS9_10device_ptrIxEEEEPS5_m14custom_greaterIxEEE10hipError_tT0_T1_T2_jT3_P12ihipStream_tbPNSt15iterator_traitsISJ_E10value_typeEPNSP_ISK_E10value_typeEPSL_NS1_7vsmem_tEENKUlT_SJ_SK_SL_E_clIPxSE_SF_SF_EESI_SY_SJ_SK_SL_EUlSY_E1_NS1_11comp_targetILNS1_3genE4ELNS1_11target_archE910ELNS1_3gpuE8ELNS1_3repE0EEENS1_36merge_oddeven_config_static_selectorELNS0_4arch9wavefront6targetE1EEEvSK_
	.globl	_ZN7rocprim17ROCPRIM_400000_NS6detail17trampoline_kernelINS0_14default_configENS1_38merge_sort_block_merge_config_selectorIxNS0_10empty_typeEEEZZNS1_27merge_sort_block_merge_implIS3_N6thrust23THRUST_200600_302600_NS6detail15normal_iteratorINS9_10device_ptrIxEEEEPS5_m14custom_greaterIxEEE10hipError_tT0_T1_T2_jT3_P12ihipStream_tbPNSt15iterator_traitsISJ_E10value_typeEPNSP_ISK_E10value_typeEPSL_NS1_7vsmem_tEENKUlT_SJ_SK_SL_E_clIPxSE_SF_SF_EESI_SY_SJ_SK_SL_EUlSY_E1_NS1_11comp_targetILNS1_3genE4ELNS1_11target_archE910ELNS1_3gpuE8ELNS1_3repE0EEENS1_36merge_oddeven_config_static_selectorELNS0_4arch9wavefront6targetE1EEEvSK_
	.p2align	8
	.type	_ZN7rocprim17ROCPRIM_400000_NS6detail17trampoline_kernelINS0_14default_configENS1_38merge_sort_block_merge_config_selectorIxNS0_10empty_typeEEEZZNS1_27merge_sort_block_merge_implIS3_N6thrust23THRUST_200600_302600_NS6detail15normal_iteratorINS9_10device_ptrIxEEEEPS5_m14custom_greaterIxEEE10hipError_tT0_T1_T2_jT3_P12ihipStream_tbPNSt15iterator_traitsISJ_E10value_typeEPNSP_ISK_E10value_typeEPSL_NS1_7vsmem_tEENKUlT_SJ_SK_SL_E_clIPxSE_SF_SF_EESI_SY_SJ_SK_SL_EUlSY_E1_NS1_11comp_targetILNS1_3genE4ELNS1_11target_archE910ELNS1_3gpuE8ELNS1_3repE0EEENS1_36merge_oddeven_config_static_selectorELNS0_4arch9wavefront6targetE1EEEvSK_,@function
_ZN7rocprim17ROCPRIM_400000_NS6detail17trampoline_kernelINS0_14default_configENS1_38merge_sort_block_merge_config_selectorIxNS0_10empty_typeEEEZZNS1_27merge_sort_block_merge_implIS3_N6thrust23THRUST_200600_302600_NS6detail15normal_iteratorINS9_10device_ptrIxEEEEPS5_m14custom_greaterIxEEE10hipError_tT0_T1_T2_jT3_P12ihipStream_tbPNSt15iterator_traitsISJ_E10value_typeEPNSP_ISK_E10value_typeEPSL_NS1_7vsmem_tEENKUlT_SJ_SK_SL_E_clIPxSE_SF_SF_EESI_SY_SJ_SK_SL_EUlSY_E1_NS1_11comp_targetILNS1_3genE4ELNS1_11target_archE910ELNS1_3gpuE8ELNS1_3repE0EEENS1_36merge_oddeven_config_static_selectorELNS0_4arch9wavefront6targetE1EEEvSK_: ; @_ZN7rocprim17ROCPRIM_400000_NS6detail17trampoline_kernelINS0_14default_configENS1_38merge_sort_block_merge_config_selectorIxNS0_10empty_typeEEEZZNS1_27merge_sort_block_merge_implIS3_N6thrust23THRUST_200600_302600_NS6detail15normal_iteratorINS9_10device_ptrIxEEEEPS5_m14custom_greaterIxEEE10hipError_tT0_T1_T2_jT3_P12ihipStream_tbPNSt15iterator_traitsISJ_E10value_typeEPNSP_ISK_E10value_typeEPSL_NS1_7vsmem_tEENKUlT_SJ_SK_SL_E_clIPxSE_SF_SF_EESI_SY_SJ_SK_SL_EUlSY_E1_NS1_11comp_targetILNS1_3genE4ELNS1_11target_archE910ELNS1_3gpuE8ELNS1_3repE0EEENS1_36merge_oddeven_config_static_selectorELNS0_4arch9wavefront6targetE1EEEvSK_
; %bb.0:
	s_load_dword s18, s[4:5], 0x20
	s_waitcnt lgkmcnt(0)
	s_lshr_b32 s0, s18, 8
	s_cmp_lg_u32 s6, s0
	s_cselect_b64 s[14:15], -1, 0
	s_cmp_eq_u32 s6, s0
	s_cselect_b64 s[12:13], -1, 0
	s_lshl_b32 s16, s6, 8
	s_sub_i32 s0, s18, s16
	v_cmp_gt_u32_e64 s[2:3], s0, v0
	s_or_b64 s[0:1], s[14:15], s[2:3]
	s_and_saveexec_b64 s[8:9], s[0:1]
	s_cbranch_execz .LBB3407_20
; %bb.1:
	s_load_dwordx4 s[8:11], s[4:5], 0x0
	s_load_dword s19, s[4:5], 0x28
	s_mov_b32 s17, 0
	s_lshl_b64 s[0:1], s[16:17], 3
	v_lshlrev_b32_e32 v1, 3, v0
	s_waitcnt lgkmcnt(0)
	s_add_u32 s0, s8, s0
	s_addc_u32 s1, s9, s1
	global_load_dwordx2 v[2:3], v1, s[0:1]
	s_lshr_b32 s0, s19, 8
	s_sub_i32 s1, 0, s0
	s_and_b32 s1, s6, s1
	s_and_b32 s0, s1, s0
	s_lshl_b32 s20, s1, 8
	s_sub_i32 s6, 0, s19
	s_cmp_eq_u32 s0, 0
	s_cselect_b64 s[0:1], -1, 0
	s_and_b64 s[4:5], s[0:1], exec
	s_cselect_b32 s17, s19, s6
	s_add_i32 s17, s17, s20
	s_cmp_lt_u32 s17, s18
	v_add_u32_e32 v0, s16, v0
	s_cbranch_scc1 .LBB3407_3
; %bb.2:
	v_cmp_gt_u32_e32 vcc, s18, v0
	s_or_b64 s[4:5], vcc, s[14:15]
	s_and_b64 s[4:5], s[4:5], exec
	s_cbranch_execz .LBB3407_4
	s_branch .LBB3407_18
.LBB3407_3:
	s_mov_b64 s[4:5], 0
.LBB3407_4:
	s_min_u32 s14, s17, s18
	s_add_i32 s6, s14, s19
	s_min_u32 s15, s6, s18
	s_min_u32 s6, s20, s14
	s_add_i32 s20, s20, s14
	v_subrev_u32_e32 v0, s20, v0
	v_add_u32_e32 v4, s6, v0
	s_and_b64 vcc, exec, s[12:13]
	s_cbranch_vccz .LBB3407_12
; %bb.5:
                                        ; implicit-def: $vgpr0
	s_and_saveexec_b64 s[6:7], s[2:3]
	s_cbranch_execz .LBB3407_11
; %bb.6:
	s_cmp_ge_u32 s17, s15
	v_mov_b32_e32 v5, s14
	s_cbranch_scc1 .LBB3407_10
; %bb.7:
	s_mov_b64 s[2:3], 0
	v_mov_b32_e32 v6, s15
	v_mov_b32_e32 v5, s14
	;; [unrolled: 1-line block ×4, first 2 shown]
.LBB3407_8:                             ; =>This Inner Loop Header: Depth=1
	v_add_u32_e32 v0, v5, v6
	v_lshrrev_b32_e32 v0, 1, v0
	v_lshlrev_b64 v[8:9], 3, v[0:1]
	v_add_co_u32_e32 v8, vcc, s8, v8
	v_addc_co_u32_e32 v9, vcc, v7, v9, vcc
	global_load_dwordx2 v[8:9], v[8:9], off
	v_add_u32_e32 v10, 1, v0
	s_waitcnt vmcnt(0)
	v_cmp_gt_i64_e32 vcc, v[2:3], v[8:9]
	v_cndmask_b32_e64 v11, 0, 1, vcc
	v_cmp_le_i64_e32 vcc, v[8:9], v[2:3]
	v_cndmask_b32_e64 v8, 0, 1, vcc
	v_cndmask_b32_e64 v8, v8, v11, s[0:1]
	v_and_b32_e32 v8, 1, v8
	v_cmp_eq_u32_e32 vcc, 1, v8
	v_cndmask_b32_e32 v6, v0, v6, vcc
	v_cndmask_b32_e32 v5, v5, v10, vcc
	v_cmp_ge_u32_e32 vcc, v5, v6
	s_or_b64 s[2:3], vcc, s[2:3]
	s_andn2_b64 exec, exec, s[2:3]
	s_cbranch_execnz .LBB3407_8
; %bb.9:
	s_or_b64 exec, exec, s[2:3]
.LBB3407_10:
	v_add_u32_e32 v0, v5, v4
	s_or_b64 s[4:5], s[4:5], exec
.LBB3407_11:
	s_or_b64 exec, exec, s[6:7]
	s_branch .LBB3407_18
.LBB3407_12:
                                        ; implicit-def: $vgpr0
	s_cbranch_execz .LBB3407_18
; %bb.13:
	s_cmp_ge_u32 s17, s15
	v_mov_b32_e32 v5, s14
	s_cbranch_scc1 .LBB3407_17
; %bb.14:
	s_mov_b64 s[2:3], 0
	v_mov_b32_e32 v6, s15
	v_mov_b32_e32 v5, s14
	;; [unrolled: 1-line block ×4, first 2 shown]
.LBB3407_15:                            ; =>This Inner Loop Header: Depth=1
	v_add_u32_e32 v0, v5, v6
	v_lshrrev_b32_e32 v0, 1, v0
	v_lshlrev_b64 v[8:9], 3, v[0:1]
	v_add_co_u32_e32 v8, vcc, s8, v8
	v_addc_co_u32_e32 v9, vcc, v7, v9, vcc
	global_load_dwordx2 v[8:9], v[8:9], off
	v_add_u32_e32 v10, 1, v0
	s_waitcnt vmcnt(0)
	v_cmp_gt_i64_e32 vcc, v[2:3], v[8:9]
	v_cndmask_b32_e64 v11, 0, 1, vcc
	v_cmp_le_i64_e32 vcc, v[8:9], v[2:3]
	v_cndmask_b32_e64 v8, 0, 1, vcc
	v_cndmask_b32_e64 v8, v8, v11, s[0:1]
	v_and_b32_e32 v8, 1, v8
	v_cmp_eq_u32_e32 vcc, 1, v8
	v_cndmask_b32_e32 v6, v0, v6, vcc
	v_cndmask_b32_e32 v5, v5, v10, vcc
	v_cmp_ge_u32_e32 vcc, v5, v6
	s_or_b64 s[2:3], vcc, s[2:3]
	s_andn2_b64 exec, exec, s[2:3]
	s_cbranch_execnz .LBB3407_15
; %bb.16:
	s_or_b64 exec, exec, s[2:3]
.LBB3407_17:
	v_add_u32_e32 v0, v5, v4
	s_mov_b64 s[4:5], -1
.LBB3407_18:
	s_and_b64 exec, exec, s[4:5]
	s_cbranch_execz .LBB3407_20
; %bb.19:
	v_mov_b32_e32 v1, 0
	v_lshlrev_b64 v[0:1], 3, v[0:1]
	v_mov_b32_e32 v4, s11
	v_add_co_u32_e32 v0, vcc, s10, v0
	v_addc_co_u32_e32 v1, vcc, v4, v1, vcc
	s_waitcnt vmcnt(0)
	global_store_dwordx2 v[0:1], v[2:3], off
.LBB3407_20:
	s_endpgm
	.section	.rodata,"a",@progbits
	.p2align	6, 0x0
	.amdhsa_kernel _ZN7rocprim17ROCPRIM_400000_NS6detail17trampoline_kernelINS0_14default_configENS1_38merge_sort_block_merge_config_selectorIxNS0_10empty_typeEEEZZNS1_27merge_sort_block_merge_implIS3_N6thrust23THRUST_200600_302600_NS6detail15normal_iteratorINS9_10device_ptrIxEEEEPS5_m14custom_greaterIxEEE10hipError_tT0_T1_T2_jT3_P12ihipStream_tbPNSt15iterator_traitsISJ_E10value_typeEPNSP_ISK_E10value_typeEPSL_NS1_7vsmem_tEENKUlT_SJ_SK_SL_E_clIPxSE_SF_SF_EESI_SY_SJ_SK_SL_EUlSY_E1_NS1_11comp_targetILNS1_3genE4ELNS1_11target_archE910ELNS1_3gpuE8ELNS1_3repE0EEENS1_36merge_oddeven_config_static_selectorELNS0_4arch9wavefront6targetE1EEEvSK_
		.amdhsa_group_segment_fixed_size 0
		.amdhsa_private_segment_fixed_size 0
		.amdhsa_kernarg_size 56
		.amdhsa_user_sgpr_count 6
		.amdhsa_user_sgpr_private_segment_buffer 1
		.amdhsa_user_sgpr_dispatch_ptr 0
		.amdhsa_user_sgpr_queue_ptr 0
		.amdhsa_user_sgpr_kernarg_segment_ptr 1
		.amdhsa_user_sgpr_dispatch_id 0
		.amdhsa_user_sgpr_flat_scratch_init 0
		.amdhsa_user_sgpr_kernarg_preload_length 0
		.amdhsa_user_sgpr_kernarg_preload_offset 0
		.amdhsa_user_sgpr_private_segment_size 0
		.amdhsa_uses_dynamic_stack 0
		.amdhsa_system_sgpr_private_segment_wavefront_offset 0
		.amdhsa_system_sgpr_workgroup_id_x 1
		.amdhsa_system_sgpr_workgroup_id_y 0
		.amdhsa_system_sgpr_workgroup_id_z 0
		.amdhsa_system_sgpr_workgroup_info 0
		.amdhsa_system_vgpr_workitem_id 0
		.amdhsa_next_free_vgpr 12
		.amdhsa_next_free_sgpr 21
		.amdhsa_accum_offset 12
		.amdhsa_reserve_vcc 1
		.amdhsa_reserve_flat_scratch 0
		.amdhsa_float_round_mode_32 0
		.amdhsa_float_round_mode_16_64 0
		.amdhsa_float_denorm_mode_32 3
		.amdhsa_float_denorm_mode_16_64 3
		.amdhsa_dx10_clamp 1
		.amdhsa_ieee_mode 1
		.amdhsa_fp16_overflow 0
		.amdhsa_tg_split 0
		.amdhsa_exception_fp_ieee_invalid_op 0
		.amdhsa_exception_fp_denorm_src 0
		.amdhsa_exception_fp_ieee_div_zero 0
		.amdhsa_exception_fp_ieee_overflow 0
		.amdhsa_exception_fp_ieee_underflow 0
		.amdhsa_exception_fp_ieee_inexact 0
		.amdhsa_exception_int_div_zero 0
	.end_amdhsa_kernel
	.section	.text._ZN7rocprim17ROCPRIM_400000_NS6detail17trampoline_kernelINS0_14default_configENS1_38merge_sort_block_merge_config_selectorIxNS0_10empty_typeEEEZZNS1_27merge_sort_block_merge_implIS3_N6thrust23THRUST_200600_302600_NS6detail15normal_iteratorINS9_10device_ptrIxEEEEPS5_m14custom_greaterIxEEE10hipError_tT0_T1_T2_jT3_P12ihipStream_tbPNSt15iterator_traitsISJ_E10value_typeEPNSP_ISK_E10value_typeEPSL_NS1_7vsmem_tEENKUlT_SJ_SK_SL_E_clIPxSE_SF_SF_EESI_SY_SJ_SK_SL_EUlSY_E1_NS1_11comp_targetILNS1_3genE4ELNS1_11target_archE910ELNS1_3gpuE8ELNS1_3repE0EEENS1_36merge_oddeven_config_static_selectorELNS0_4arch9wavefront6targetE1EEEvSK_,"axG",@progbits,_ZN7rocprim17ROCPRIM_400000_NS6detail17trampoline_kernelINS0_14default_configENS1_38merge_sort_block_merge_config_selectorIxNS0_10empty_typeEEEZZNS1_27merge_sort_block_merge_implIS3_N6thrust23THRUST_200600_302600_NS6detail15normal_iteratorINS9_10device_ptrIxEEEEPS5_m14custom_greaterIxEEE10hipError_tT0_T1_T2_jT3_P12ihipStream_tbPNSt15iterator_traitsISJ_E10value_typeEPNSP_ISK_E10value_typeEPSL_NS1_7vsmem_tEENKUlT_SJ_SK_SL_E_clIPxSE_SF_SF_EESI_SY_SJ_SK_SL_EUlSY_E1_NS1_11comp_targetILNS1_3genE4ELNS1_11target_archE910ELNS1_3gpuE8ELNS1_3repE0EEENS1_36merge_oddeven_config_static_selectorELNS0_4arch9wavefront6targetE1EEEvSK_,comdat
.Lfunc_end3407:
	.size	_ZN7rocprim17ROCPRIM_400000_NS6detail17trampoline_kernelINS0_14default_configENS1_38merge_sort_block_merge_config_selectorIxNS0_10empty_typeEEEZZNS1_27merge_sort_block_merge_implIS3_N6thrust23THRUST_200600_302600_NS6detail15normal_iteratorINS9_10device_ptrIxEEEEPS5_m14custom_greaterIxEEE10hipError_tT0_T1_T2_jT3_P12ihipStream_tbPNSt15iterator_traitsISJ_E10value_typeEPNSP_ISK_E10value_typeEPSL_NS1_7vsmem_tEENKUlT_SJ_SK_SL_E_clIPxSE_SF_SF_EESI_SY_SJ_SK_SL_EUlSY_E1_NS1_11comp_targetILNS1_3genE4ELNS1_11target_archE910ELNS1_3gpuE8ELNS1_3repE0EEENS1_36merge_oddeven_config_static_selectorELNS0_4arch9wavefront6targetE1EEEvSK_, .Lfunc_end3407-_ZN7rocprim17ROCPRIM_400000_NS6detail17trampoline_kernelINS0_14default_configENS1_38merge_sort_block_merge_config_selectorIxNS0_10empty_typeEEEZZNS1_27merge_sort_block_merge_implIS3_N6thrust23THRUST_200600_302600_NS6detail15normal_iteratorINS9_10device_ptrIxEEEEPS5_m14custom_greaterIxEEE10hipError_tT0_T1_T2_jT3_P12ihipStream_tbPNSt15iterator_traitsISJ_E10value_typeEPNSP_ISK_E10value_typeEPSL_NS1_7vsmem_tEENKUlT_SJ_SK_SL_E_clIPxSE_SF_SF_EESI_SY_SJ_SK_SL_EUlSY_E1_NS1_11comp_targetILNS1_3genE4ELNS1_11target_archE910ELNS1_3gpuE8ELNS1_3repE0EEENS1_36merge_oddeven_config_static_selectorELNS0_4arch9wavefront6targetE1EEEvSK_
                                        ; -- End function
	.section	.AMDGPU.csdata,"",@progbits
; Kernel info:
; codeLenInByte = 588
; NumSgprs: 25
; NumVgprs: 12
; NumAgprs: 0
; TotalNumVgprs: 12
; ScratchSize: 0
; MemoryBound: 0
; FloatMode: 240
; IeeeMode: 1
; LDSByteSize: 0 bytes/workgroup (compile time only)
; SGPRBlocks: 3
; VGPRBlocks: 1
; NumSGPRsForWavesPerEU: 25
; NumVGPRsForWavesPerEU: 12
; AccumOffset: 12
; Occupancy: 8
; WaveLimiterHint : 0
; COMPUTE_PGM_RSRC2:SCRATCH_EN: 0
; COMPUTE_PGM_RSRC2:USER_SGPR: 6
; COMPUTE_PGM_RSRC2:TRAP_HANDLER: 0
; COMPUTE_PGM_RSRC2:TGID_X_EN: 1
; COMPUTE_PGM_RSRC2:TGID_Y_EN: 0
; COMPUTE_PGM_RSRC2:TGID_Z_EN: 0
; COMPUTE_PGM_RSRC2:TIDIG_COMP_CNT: 0
; COMPUTE_PGM_RSRC3_GFX90A:ACCUM_OFFSET: 2
; COMPUTE_PGM_RSRC3_GFX90A:TG_SPLIT: 0
	.section	.text._ZN7rocprim17ROCPRIM_400000_NS6detail17trampoline_kernelINS0_14default_configENS1_38merge_sort_block_merge_config_selectorIxNS0_10empty_typeEEEZZNS1_27merge_sort_block_merge_implIS3_N6thrust23THRUST_200600_302600_NS6detail15normal_iteratorINS9_10device_ptrIxEEEEPS5_m14custom_greaterIxEEE10hipError_tT0_T1_T2_jT3_P12ihipStream_tbPNSt15iterator_traitsISJ_E10value_typeEPNSP_ISK_E10value_typeEPSL_NS1_7vsmem_tEENKUlT_SJ_SK_SL_E_clIPxSE_SF_SF_EESI_SY_SJ_SK_SL_EUlSY_E1_NS1_11comp_targetILNS1_3genE3ELNS1_11target_archE908ELNS1_3gpuE7ELNS1_3repE0EEENS1_36merge_oddeven_config_static_selectorELNS0_4arch9wavefront6targetE1EEEvSK_,"axG",@progbits,_ZN7rocprim17ROCPRIM_400000_NS6detail17trampoline_kernelINS0_14default_configENS1_38merge_sort_block_merge_config_selectorIxNS0_10empty_typeEEEZZNS1_27merge_sort_block_merge_implIS3_N6thrust23THRUST_200600_302600_NS6detail15normal_iteratorINS9_10device_ptrIxEEEEPS5_m14custom_greaterIxEEE10hipError_tT0_T1_T2_jT3_P12ihipStream_tbPNSt15iterator_traitsISJ_E10value_typeEPNSP_ISK_E10value_typeEPSL_NS1_7vsmem_tEENKUlT_SJ_SK_SL_E_clIPxSE_SF_SF_EESI_SY_SJ_SK_SL_EUlSY_E1_NS1_11comp_targetILNS1_3genE3ELNS1_11target_archE908ELNS1_3gpuE7ELNS1_3repE0EEENS1_36merge_oddeven_config_static_selectorELNS0_4arch9wavefront6targetE1EEEvSK_,comdat
	.protected	_ZN7rocprim17ROCPRIM_400000_NS6detail17trampoline_kernelINS0_14default_configENS1_38merge_sort_block_merge_config_selectorIxNS0_10empty_typeEEEZZNS1_27merge_sort_block_merge_implIS3_N6thrust23THRUST_200600_302600_NS6detail15normal_iteratorINS9_10device_ptrIxEEEEPS5_m14custom_greaterIxEEE10hipError_tT0_T1_T2_jT3_P12ihipStream_tbPNSt15iterator_traitsISJ_E10value_typeEPNSP_ISK_E10value_typeEPSL_NS1_7vsmem_tEENKUlT_SJ_SK_SL_E_clIPxSE_SF_SF_EESI_SY_SJ_SK_SL_EUlSY_E1_NS1_11comp_targetILNS1_3genE3ELNS1_11target_archE908ELNS1_3gpuE7ELNS1_3repE0EEENS1_36merge_oddeven_config_static_selectorELNS0_4arch9wavefront6targetE1EEEvSK_ ; -- Begin function _ZN7rocprim17ROCPRIM_400000_NS6detail17trampoline_kernelINS0_14default_configENS1_38merge_sort_block_merge_config_selectorIxNS0_10empty_typeEEEZZNS1_27merge_sort_block_merge_implIS3_N6thrust23THRUST_200600_302600_NS6detail15normal_iteratorINS9_10device_ptrIxEEEEPS5_m14custom_greaterIxEEE10hipError_tT0_T1_T2_jT3_P12ihipStream_tbPNSt15iterator_traitsISJ_E10value_typeEPNSP_ISK_E10value_typeEPSL_NS1_7vsmem_tEENKUlT_SJ_SK_SL_E_clIPxSE_SF_SF_EESI_SY_SJ_SK_SL_EUlSY_E1_NS1_11comp_targetILNS1_3genE3ELNS1_11target_archE908ELNS1_3gpuE7ELNS1_3repE0EEENS1_36merge_oddeven_config_static_selectorELNS0_4arch9wavefront6targetE1EEEvSK_
	.globl	_ZN7rocprim17ROCPRIM_400000_NS6detail17trampoline_kernelINS0_14default_configENS1_38merge_sort_block_merge_config_selectorIxNS0_10empty_typeEEEZZNS1_27merge_sort_block_merge_implIS3_N6thrust23THRUST_200600_302600_NS6detail15normal_iteratorINS9_10device_ptrIxEEEEPS5_m14custom_greaterIxEEE10hipError_tT0_T1_T2_jT3_P12ihipStream_tbPNSt15iterator_traitsISJ_E10value_typeEPNSP_ISK_E10value_typeEPSL_NS1_7vsmem_tEENKUlT_SJ_SK_SL_E_clIPxSE_SF_SF_EESI_SY_SJ_SK_SL_EUlSY_E1_NS1_11comp_targetILNS1_3genE3ELNS1_11target_archE908ELNS1_3gpuE7ELNS1_3repE0EEENS1_36merge_oddeven_config_static_selectorELNS0_4arch9wavefront6targetE1EEEvSK_
	.p2align	8
	.type	_ZN7rocprim17ROCPRIM_400000_NS6detail17trampoline_kernelINS0_14default_configENS1_38merge_sort_block_merge_config_selectorIxNS0_10empty_typeEEEZZNS1_27merge_sort_block_merge_implIS3_N6thrust23THRUST_200600_302600_NS6detail15normal_iteratorINS9_10device_ptrIxEEEEPS5_m14custom_greaterIxEEE10hipError_tT0_T1_T2_jT3_P12ihipStream_tbPNSt15iterator_traitsISJ_E10value_typeEPNSP_ISK_E10value_typeEPSL_NS1_7vsmem_tEENKUlT_SJ_SK_SL_E_clIPxSE_SF_SF_EESI_SY_SJ_SK_SL_EUlSY_E1_NS1_11comp_targetILNS1_3genE3ELNS1_11target_archE908ELNS1_3gpuE7ELNS1_3repE0EEENS1_36merge_oddeven_config_static_selectorELNS0_4arch9wavefront6targetE1EEEvSK_,@function
_ZN7rocprim17ROCPRIM_400000_NS6detail17trampoline_kernelINS0_14default_configENS1_38merge_sort_block_merge_config_selectorIxNS0_10empty_typeEEEZZNS1_27merge_sort_block_merge_implIS3_N6thrust23THRUST_200600_302600_NS6detail15normal_iteratorINS9_10device_ptrIxEEEEPS5_m14custom_greaterIxEEE10hipError_tT0_T1_T2_jT3_P12ihipStream_tbPNSt15iterator_traitsISJ_E10value_typeEPNSP_ISK_E10value_typeEPSL_NS1_7vsmem_tEENKUlT_SJ_SK_SL_E_clIPxSE_SF_SF_EESI_SY_SJ_SK_SL_EUlSY_E1_NS1_11comp_targetILNS1_3genE3ELNS1_11target_archE908ELNS1_3gpuE7ELNS1_3repE0EEENS1_36merge_oddeven_config_static_selectorELNS0_4arch9wavefront6targetE1EEEvSK_: ; @_ZN7rocprim17ROCPRIM_400000_NS6detail17trampoline_kernelINS0_14default_configENS1_38merge_sort_block_merge_config_selectorIxNS0_10empty_typeEEEZZNS1_27merge_sort_block_merge_implIS3_N6thrust23THRUST_200600_302600_NS6detail15normal_iteratorINS9_10device_ptrIxEEEEPS5_m14custom_greaterIxEEE10hipError_tT0_T1_T2_jT3_P12ihipStream_tbPNSt15iterator_traitsISJ_E10value_typeEPNSP_ISK_E10value_typeEPSL_NS1_7vsmem_tEENKUlT_SJ_SK_SL_E_clIPxSE_SF_SF_EESI_SY_SJ_SK_SL_EUlSY_E1_NS1_11comp_targetILNS1_3genE3ELNS1_11target_archE908ELNS1_3gpuE7ELNS1_3repE0EEENS1_36merge_oddeven_config_static_selectorELNS0_4arch9wavefront6targetE1EEEvSK_
; %bb.0:
	.section	.rodata,"a",@progbits
	.p2align	6, 0x0
	.amdhsa_kernel _ZN7rocprim17ROCPRIM_400000_NS6detail17trampoline_kernelINS0_14default_configENS1_38merge_sort_block_merge_config_selectorIxNS0_10empty_typeEEEZZNS1_27merge_sort_block_merge_implIS3_N6thrust23THRUST_200600_302600_NS6detail15normal_iteratorINS9_10device_ptrIxEEEEPS5_m14custom_greaterIxEEE10hipError_tT0_T1_T2_jT3_P12ihipStream_tbPNSt15iterator_traitsISJ_E10value_typeEPNSP_ISK_E10value_typeEPSL_NS1_7vsmem_tEENKUlT_SJ_SK_SL_E_clIPxSE_SF_SF_EESI_SY_SJ_SK_SL_EUlSY_E1_NS1_11comp_targetILNS1_3genE3ELNS1_11target_archE908ELNS1_3gpuE7ELNS1_3repE0EEENS1_36merge_oddeven_config_static_selectorELNS0_4arch9wavefront6targetE1EEEvSK_
		.amdhsa_group_segment_fixed_size 0
		.amdhsa_private_segment_fixed_size 0
		.amdhsa_kernarg_size 56
		.amdhsa_user_sgpr_count 6
		.amdhsa_user_sgpr_private_segment_buffer 1
		.amdhsa_user_sgpr_dispatch_ptr 0
		.amdhsa_user_sgpr_queue_ptr 0
		.amdhsa_user_sgpr_kernarg_segment_ptr 1
		.amdhsa_user_sgpr_dispatch_id 0
		.amdhsa_user_sgpr_flat_scratch_init 0
		.amdhsa_user_sgpr_kernarg_preload_length 0
		.amdhsa_user_sgpr_kernarg_preload_offset 0
		.amdhsa_user_sgpr_private_segment_size 0
		.amdhsa_uses_dynamic_stack 0
		.amdhsa_system_sgpr_private_segment_wavefront_offset 0
		.amdhsa_system_sgpr_workgroup_id_x 1
		.amdhsa_system_sgpr_workgroup_id_y 0
		.amdhsa_system_sgpr_workgroup_id_z 0
		.amdhsa_system_sgpr_workgroup_info 0
		.amdhsa_system_vgpr_workitem_id 0
		.amdhsa_next_free_vgpr 1
		.amdhsa_next_free_sgpr 0
		.amdhsa_accum_offset 4
		.amdhsa_reserve_vcc 0
		.amdhsa_reserve_flat_scratch 0
		.amdhsa_float_round_mode_32 0
		.amdhsa_float_round_mode_16_64 0
		.amdhsa_float_denorm_mode_32 3
		.amdhsa_float_denorm_mode_16_64 3
		.amdhsa_dx10_clamp 1
		.amdhsa_ieee_mode 1
		.amdhsa_fp16_overflow 0
		.amdhsa_tg_split 0
		.amdhsa_exception_fp_ieee_invalid_op 0
		.amdhsa_exception_fp_denorm_src 0
		.amdhsa_exception_fp_ieee_div_zero 0
		.amdhsa_exception_fp_ieee_overflow 0
		.amdhsa_exception_fp_ieee_underflow 0
		.amdhsa_exception_fp_ieee_inexact 0
		.amdhsa_exception_int_div_zero 0
	.end_amdhsa_kernel
	.section	.text._ZN7rocprim17ROCPRIM_400000_NS6detail17trampoline_kernelINS0_14default_configENS1_38merge_sort_block_merge_config_selectorIxNS0_10empty_typeEEEZZNS1_27merge_sort_block_merge_implIS3_N6thrust23THRUST_200600_302600_NS6detail15normal_iteratorINS9_10device_ptrIxEEEEPS5_m14custom_greaterIxEEE10hipError_tT0_T1_T2_jT3_P12ihipStream_tbPNSt15iterator_traitsISJ_E10value_typeEPNSP_ISK_E10value_typeEPSL_NS1_7vsmem_tEENKUlT_SJ_SK_SL_E_clIPxSE_SF_SF_EESI_SY_SJ_SK_SL_EUlSY_E1_NS1_11comp_targetILNS1_3genE3ELNS1_11target_archE908ELNS1_3gpuE7ELNS1_3repE0EEENS1_36merge_oddeven_config_static_selectorELNS0_4arch9wavefront6targetE1EEEvSK_,"axG",@progbits,_ZN7rocprim17ROCPRIM_400000_NS6detail17trampoline_kernelINS0_14default_configENS1_38merge_sort_block_merge_config_selectorIxNS0_10empty_typeEEEZZNS1_27merge_sort_block_merge_implIS3_N6thrust23THRUST_200600_302600_NS6detail15normal_iteratorINS9_10device_ptrIxEEEEPS5_m14custom_greaterIxEEE10hipError_tT0_T1_T2_jT3_P12ihipStream_tbPNSt15iterator_traitsISJ_E10value_typeEPNSP_ISK_E10value_typeEPSL_NS1_7vsmem_tEENKUlT_SJ_SK_SL_E_clIPxSE_SF_SF_EESI_SY_SJ_SK_SL_EUlSY_E1_NS1_11comp_targetILNS1_3genE3ELNS1_11target_archE908ELNS1_3gpuE7ELNS1_3repE0EEENS1_36merge_oddeven_config_static_selectorELNS0_4arch9wavefront6targetE1EEEvSK_,comdat
.Lfunc_end3408:
	.size	_ZN7rocprim17ROCPRIM_400000_NS6detail17trampoline_kernelINS0_14default_configENS1_38merge_sort_block_merge_config_selectorIxNS0_10empty_typeEEEZZNS1_27merge_sort_block_merge_implIS3_N6thrust23THRUST_200600_302600_NS6detail15normal_iteratorINS9_10device_ptrIxEEEEPS5_m14custom_greaterIxEEE10hipError_tT0_T1_T2_jT3_P12ihipStream_tbPNSt15iterator_traitsISJ_E10value_typeEPNSP_ISK_E10value_typeEPSL_NS1_7vsmem_tEENKUlT_SJ_SK_SL_E_clIPxSE_SF_SF_EESI_SY_SJ_SK_SL_EUlSY_E1_NS1_11comp_targetILNS1_3genE3ELNS1_11target_archE908ELNS1_3gpuE7ELNS1_3repE0EEENS1_36merge_oddeven_config_static_selectorELNS0_4arch9wavefront6targetE1EEEvSK_, .Lfunc_end3408-_ZN7rocprim17ROCPRIM_400000_NS6detail17trampoline_kernelINS0_14default_configENS1_38merge_sort_block_merge_config_selectorIxNS0_10empty_typeEEEZZNS1_27merge_sort_block_merge_implIS3_N6thrust23THRUST_200600_302600_NS6detail15normal_iteratorINS9_10device_ptrIxEEEEPS5_m14custom_greaterIxEEE10hipError_tT0_T1_T2_jT3_P12ihipStream_tbPNSt15iterator_traitsISJ_E10value_typeEPNSP_ISK_E10value_typeEPSL_NS1_7vsmem_tEENKUlT_SJ_SK_SL_E_clIPxSE_SF_SF_EESI_SY_SJ_SK_SL_EUlSY_E1_NS1_11comp_targetILNS1_3genE3ELNS1_11target_archE908ELNS1_3gpuE7ELNS1_3repE0EEENS1_36merge_oddeven_config_static_selectorELNS0_4arch9wavefront6targetE1EEEvSK_
                                        ; -- End function
	.section	.AMDGPU.csdata,"",@progbits
; Kernel info:
; codeLenInByte = 0
; NumSgprs: 4
; NumVgprs: 0
; NumAgprs: 0
; TotalNumVgprs: 0
; ScratchSize: 0
; MemoryBound: 0
; FloatMode: 240
; IeeeMode: 1
; LDSByteSize: 0 bytes/workgroup (compile time only)
; SGPRBlocks: 0
; VGPRBlocks: 0
; NumSGPRsForWavesPerEU: 4
; NumVGPRsForWavesPerEU: 1
; AccumOffset: 4
; Occupancy: 8
; WaveLimiterHint : 0
; COMPUTE_PGM_RSRC2:SCRATCH_EN: 0
; COMPUTE_PGM_RSRC2:USER_SGPR: 6
; COMPUTE_PGM_RSRC2:TRAP_HANDLER: 0
; COMPUTE_PGM_RSRC2:TGID_X_EN: 1
; COMPUTE_PGM_RSRC2:TGID_Y_EN: 0
; COMPUTE_PGM_RSRC2:TGID_Z_EN: 0
; COMPUTE_PGM_RSRC2:TIDIG_COMP_CNT: 0
; COMPUTE_PGM_RSRC3_GFX90A:ACCUM_OFFSET: 0
; COMPUTE_PGM_RSRC3_GFX90A:TG_SPLIT: 0
	.section	.text._ZN7rocprim17ROCPRIM_400000_NS6detail17trampoline_kernelINS0_14default_configENS1_38merge_sort_block_merge_config_selectorIxNS0_10empty_typeEEEZZNS1_27merge_sort_block_merge_implIS3_N6thrust23THRUST_200600_302600_NS6detail15normal_iteratorINS9_10device_ptrIxEEEEPS5_m14custom_greaterIxEEE10hipError_tT0_T1_T2_jT3_P12ihipStream_tbPNSt15iterator_traitsISJ_E10value_typeEPNSP_ISK_E10value_typeEPSL_NS1_7vsmem_tEENKUlT_SJ_SK_SL_E_clIPxSE_SF_SF_EESI_SY_SJ_SK_SL_EUlSY_E1_NS1_11comp_targetILNS1_3genE2ELNS1_11target_archE906ELNS1_3gpuE6ELNS1_3repE0EEENS1_36merge_oddeven_config_static_selectorELNS0_4arch9wavefront6targetE1EEEvSK_,"axG",@progbits,_ZN7rocprim17ROCPRIM_400000_NS6detail17trampoline_kernelINS0_14default_configENS1_38merge_sort_block_merge_config_selectorIxNS0_10empty_typeEEEZZNS1_27merge_sort_block_merge_implIS3_N6thrust23THRUST_200600_302600_NS6detail15normal_iteratorINS9_10device_ptrIxEEEEPS5_m14custom_greaterIxEEE10hipError_tT0_T1_T2_jT3_P12ihipStream_tbPNSt15iterator_traitsISJ_E10value_typeEPNSP_ISK_E10value_typeEPSL_NS1_7vsmem_tEENKUlT_SJ_SK_SL_E_clIPxSE_SF_SF_EESI_SY_SJ_SK_SL_EUlSY_E1_NS1_11comp_targetILNS1_3genE2ELNS1_11target_archE906ELNS1_3gpuE6ELNS1_3repE0EEENS1_36merge_oddeven_config_static_selectorELNS0_4arch9wavefront6targetE1EEEvSK_,comdat
	.protected	_ZN7rocprim17ROCPRIM_400000_NS6detail17trampoline_kernelINS0_14default_configENS1_38merge_sort_block_merge_config_selectorIxNS0_10empty_typeEEEZZNS1_27merge_sort_block_merge_implIS3_N6thrust23THRUST_200600_302600_NS6detail15normal_iteratorINS9_10device_ptrIxEEEEPS5_m14custom_greaterIxEEE10hipError_tT0_T1_T2_jT3_P12ihipStream_tbPNSt15iterator_traitsISJ_E10value_typeEPNSP_ISK_E10value_typeEPSL_NS1_7vsmem_tEENKUlT_SJ_SK_SL_E_clIPxSE_SF_SF_EESI_SY_SJ_SK_SL_EUlSY_E1_NS1_11comp_targetILNS1_3genE2ELNS1_11target_archE906ELNS1_3gpuE6ELNS1_3repE0EEENS1_36merge_oddeven_config_static_selectorELNS0_4arch9wavefront6targetE1EEEvSK_ ; -- Begin function _ZN7rocprim17ROCPRIM_400000_NS6detail17trampoline_kernelINS0_14default_configENS1_38merge_sort_block_merge_config_selectorIxNS0_10empty_typeEEEZZNS1_27merge_sort_block_merge_implIS3_N6thrust23THRUST_200600_302600_NS6detail15normal_iteratorINS9_10device_ptrIxEEEEPS5_m14custom_greaterIxEEE10hipError_tT0_T1_T2_jT3_P12ihipStream_tbPNSt15iterator_traitsISJ_E10value_typeEPNSP_ISK_E10value_typeEPSL_NS1_7vsmem_tEENKUlT_SJ_SK_SL_E_clIPxSE_SF_SF_EESI_SY_SJ_SK_SL_EUlSY_E1_NS1_11comp_targetILNS1_3genE2ELNS1_11target_archE906ELNS1_3gpuE6ELNS1_3repE0EEENS1_36merge_oddeven_config_static_selectorELNS0_4arch9wavefront6targetE1EEEvSK_
	.globl	_ZN7rocprim17ROCPRIM_400000_NS6detail17trampoline_kernelINS0_14default_configENS1_38merge_sort_block_merge_config_selectorIxNS0_10empty_typeEEEZZNS1_27merge_sort_block_merge_implIS3_N6thrust23THRUST_200600_302600_NS6detail15normal_iteratorINS9_10device_ptrIxEEEEPS5_m14custom_greaterIxEEE10hipError_tT0_T1_T2_jT3_P12ihipStream_tbPNSt15iterator_traitsISJ_E10value_typeEPNSP_ISK_E10value_typeEPSL_NS1_7vsmem_tEENKUlT_SJ_SK_SL_E_clIPxSE_SF_SF_EESI_SY_SJ_SK_SL_EUlSY_E1_NS1_11comp_targetILNS1_3genE2ELNS1_11target_archE906ELNS1_3gpuE6ELNS1_3repE0EEENS1_36merge_oddeven_config_static_selectorELNS0_4arch9wavefront6targetE1EEEvSK_
	.p2align	8
	.type	_ZN7rocprim17ROCPRIM_400000_NS6detail17trampoline_kernelINS0_14default_configENS1_38merge_sort_block_merge_config_selectorIxNS0_10empty_typeEEEZZNS1_27merge_sort_block_merge_implIS3_N6thrust23THRUST_200600_302600_NS6detail15normal_iteratorINS9_10device_ptrIxEEEEPS5_m14custom_greaterIxEEE10hipError_tT0_T1_T2_jT3_P12ihipStream_tbPNSt15iterator_traitsISJ_E10value_typeEPNSP_ISK_E10value_typeEPSL_NS1_7vsmem_tEENKUlT_SJ_SK_SL_E_clIPxSE_SF_SF_EESI_SY_SJ_SK_SL_EUlSY_E1_NS1_11comp_targetILNS1_3genE2ELNS1_11target_archE906ELNS1_3gpuE6ELNS1_3repE0EEENS1_36merge_oddeven_config_static_selectorELNS0_4arch9wavefront6targetE1EEEvSK_,@function
_ZN7rocprim17ROCPRIM_400000_NS6detail17trampoline_kernelINS0_14default_configENS1_38merge_sort_block_merge_config_selectorIxNS0_10empty_typeEEEZZNS1_27merge_sort_block_merge_implIS3_N6thrust23THRUST_200600_302600_NS6detail15normal_iteratorINS9_10device_ptrIxEEEEPS5_m14custom_greaterIxEEE10hipError_tT0_T1_T2_jT3_P12ihipStream_tbPNSt15iterator_traitsISJ_E10value_typeEPNSP_ISK_E10value_typeEPSL_NS1_7vsmem_tEENKUlT_SJ_SK_SL_E_clIPxSE_SF_SF_EESI_SY_SJ_SK_SL_EUlSY_E1_NS1_11comp_targetILNS1_3genE2ELNS1_11target_archE906ELNS1_3gpuE6ELNS1_3repE0EEENS1_36merge_oddeven_config_static_selectorELNS0_4arch9wavefront6targetE1EEEvSK_: ; @_ZN7rocprim17ROCPRIM_400000_NS6detail17trampoline_kernelINS0_14default_configENS1_38merge_sort_block_merge_config_selectorIxNS0_10empty_typeEEEZZNS1_27merge_sort_block_merge_implIS3_N6thrust23THRUST_200600_302600_NS6detail15normal_iteratorINS9_10device_ptrIxEEEEPS5_m14custom_greaterIxEEE10hipError_tT0_T1_T2_jT3_P12ihipStream_tbPNSt15iterator_traitsISJ_E10value_typeEPNSP_ISK_E10value_typeEPSL_NS1_7vsmem_tEENKUlT_SJ_SK_SL_E_clIPxSE_SF_SF_EESI_SY_SJ_SK_SL_EUlSY_E1_NS1_11comp_targetILNS1_3genE2ELNS1_11target_archE906ELNS1_3gpuE6ELNS1_3repE0EEENS1_36merge_oddeven_config_static_selectorELNS0_4arch9wavefront6targetE1EEEvSK_
; %bb.0:
	.section	.rodata,"a",@progbits
	.p2align	6, 0x0
	.amdhsa_kernel _ZN7rocprim17ROCPRIM_400000_NS6detail17trampoline_kernelINS0_14default_configENS1_38merge_sort_block_merge_config_selectorIxNS0_10empty_typeEEEZZNS1_27merge_sort_block_merge_implIS3_N6thrust23THRUST_200600_302600_NS6detail15normal_iteratorINS9_10device_ptrIxEEEEPS5_m14custom_greaterIxEEE10hipError_tT0_T1_T2_jT3_P12ihipStream_tbPNSt15iterator_traitsISJ_E10value_typeEPNSP_ISK_E10value_typeEPSL_NS1_7vsmem_tEENKUlT_SJ_SK_SL_E_clIPxSE_SF_SF_EESI_SY_SJ_SK_SL_EUlSY_E1_NS1_11comp_targetILNS1_3genE2ELNS1_11target_archE906ELNS1_3gpuE6ELNS1_3repE0EEENS1_36merge_oddeven_config_static_selectorELNS0_4arch9wavefront6targetE1EEEvSK_
		.amdhsa_group_segment_fixed_size 0
		.amdhsa_private_segment_fixed_size 0
		.amdhsa_kernarg_size 56
		.amdhsa_user_sgpr_count 6
		.amdhsa_user_sgpr_private_segment_buffer 1
		.amdhsa_user_sgpr_dispatch_ptr 0
		.amdhsa_user_sgpr_queue_ptr 0
		.amdhsa_user_sgpr_kernarg_segment_ptr 1
		.amdhsa_user_sgpr_dispatch_id 0
		.amdhsa_user_sgpr_flat_scratch_init 0
		.amdhsa_user_sgpr_kernarg_preload_length 0
		.amdhsa_user_sgpr_kernarg_preload_offset 0
		.amdhsa_user_sgpr_private_segment_size 0
		.amdhsa_uses_dynamic_stack 0
		.amdhsa_system_sgpr_private_segment_wavefront_offset 0
		.amdhsa_system_sgpr_workgroup_id_x 1
		.amdhsa_system_sgpr_workgroup_id_y 0
		.amdhsa_system_sgpr_workgroup_id_z 0
		.amdhsa_system_sgpr_workgroup_info 0
		.amdhsa_system_vgpr_workitem_id 0
		.amdhsa_next_free_vgpr 1
		.amdhsa_next_free_sgpr 0
		.amdhsa_accum_offset 4
		.amdhsa_reserve_vcc 0
		.amdhsa_reserve_flat_scratch 0
		.amdhsa_float_round_mode_32 0
		.amdhsa_float_round_mode_16_64 0
		.amdhsa_float_denorm_mode_32 3
		.amdhsa_float_denorm_mode_16_64 3
		.amdhsa_dx10_clamp 1
		.amdhsa_ieee_mode 1
		.amdhsa_fp16_overflow 0
		.amdhsa_tg_split 0
		.amdhsa_exception_fp_ieee_invalid_op 0
		.amdhsa_exception_fp_denorm_src 0
		.amdhsa_exception_fp_ieee_div_zero 0
		.amdhsa_exception_fp_ieee_overflow 0
		.amdhsa_exception_fp_ieee_underflow 0
		.amdhsa_exception_fp_ieee_inexact 0
		.amdhsa_exception_int_div_zero 0
	.end_amdhsa_kernel
	.section	.text._ZN7rocprim17ROCPRIM_400000_NS6detail17trampoline_kernelINS0_14default_configENS1_38merge_sort_block_merge_config_selectorIxNS0_10empty_typeEEEZZNS1_27merge_sort_block_merge_implIS3_N6thrust23THRUST_200600_302600_NS6detail15normal_iteratorINS9_10device_ptrIxEEEEPS5_m14custom_greaterIxEEE10hipError_tT0_T1_T2_jT3_P12ihipStream_tbPNSt15iterator_traitsISJ_E10value_typeEPNSP_ISK_E10value_typeEPSL_NS1_7vsmem_tEENKUlT_SJ_SK_SL_E_clIPxSE_SF_SF_EESI_SY_SJ_SK_SL_EUlSY_E1_NS1_11comp_targetILNS1_3genE2ELNS1_11target_archE906ELNS1_3gpuE6ELNS1_3repE0EEENS1_36merge_oddeven_config_static_selectorELNS0_4arch9wavefront6targetE1EEEvSK_,"axG",@progbits,_ZN7rocprim17ROCPRIM_400000_NS6detail17trampoline_kernelINS0_14default_configENS1_38merge_sort_block_merge_config_selectorIxNS0_10empty_typeEEEZZNS1_27merge_sort_block_merge_implIS3_N6thrust23THRUST_200600_302600_NS6detail15normal_iteratorINS9_10device_ptrIxEEEEPS5_m14custom_greaterIxEEE10hipError_tT0_T1_T2_jT3_P12ihipStream_tbPNSt15iterator_traitsISJ_E10value_typeEPNSP_ISK_E10value_typeEPSL_NS1_7vsmem_tEENKUlT_SJ_SK_SL_E_clIPxSE_SF_SF_EESI_SY_SJ_SK_SL_EUlSY_E1_NS1_11comp_targetILNS1_3genE2ELNS1_11target_archE906ELNS1_3gpuE6ELNS1_3repE0EEENS1_36merge_oddeven_config_static_selectorELNS0_4arch9wavefront6targetE1EEEvSK_,comdat
.Lfunc_end3409:
	.size	_ZN7rocprim17ROCPRIM_400000_NS6detail17trampoline_kernelINS0_14default_configENS1_38merge_sort_block_merge_config_selectorIxNS0_10empty_typeEEEZZNS1_27merge_sort_block_merge_implIS3_N6thrust23THRUST_200600_302600_NS6detail15normal_iteratorINS9_10device_ptrIxEEEEPS5_m14custom_greaterIxEEE10hipError_tT0_T1_T2_jT3_P12ihipStream_tbPNSt15iterator_traitsISJ_E10value_typeEPNSP_ISK_E10value_typeEPSL_NS1_7vsmem_tEENKUlT_SJ_SK_SL_E_clIPxSE_SF_SF_EESI_SY_SJ_SK_SL_EUlSY_E1_NS1_11comp_targetILNS1_3genE2ELNS1_11target_archE906ELNS1_3gpuE6ELNS1_3repE0EEENS1_36merge_oddeven_config_static_selectorELNS0_4arch9wavefront6targetE1EEEvSK_, .Lfunc_end3409-_ZN7rocprim17ROCPRIM_400000_NS6detail17trampoline_kernelINS0_14default_configENS1_38merge_sort_block_merge_config_selectorIxNS0_10empty_typeEEEZZNS1_27merge_sort_block_merge_implIS3_N6thrust23THRUST_200600_302600_NS6detail15normal_iteratorINS9_10device_ptrIxEEEEPS5_m14custom_greaterIxEEE10hipError_tT0_T1_T2_jT3_P12ihipStream_tbPNSt15iterator_traitsISJ_E10value_typeEPNSP_ISK_E10value_typeEPSL_NS1_7vsmem_tEENKUlT_SJ_SK_SL_E_clIPxSE_SF_SF_EESI_SY_SJ_SK_SL_EUlSY_E1_NS1_11comp_targetILNS1_3genE2ELNS1_11target_archE906ELNS1_3gpuE6ELNS1_3repE0EEENS1_36merge_oddeven_config_static_selectorELNS0_4arch9wavefront6targetE1EEEvSK_
                                        ; -- End function
	.section	.AMDGPU.csdata,"",@progbits
; Kernel info:
; codeLenInByte = 0
; NumSgprs: 4
; NumVgprs: 0
; NumAgprs: 0
; TotalNumVgprs: 0
; ScratchSize: 0
; MemoryBound: 0
; FloatMode: 240
; IeeeMode: 1
; LDSByteSize: 0 bytes/workgroup (compile time only)
; SGPRBlocks: 0
; VGPRBlocks: 0
; NumSGPRsForWavesPerEU: 4
; NumVGPRsForWavesPerEU: 1
; AccumOffset: 4
; Occupancy: 8
; WaveLimiterHint : 0
; COMPUTE_PGM_RSRC2:SCRATCH_EN: 0
; COMPUTE_PGM_RSRC2:USER_SGPR: 6
; COMPUTE_PGM_RSRC2:TRAP_HANDLER: 0
; COMPUTE_PGM_RSRC2:TGID_X_EN: 1
; COMPUTE_PGM_RSRC2:TGID_Y_EN: 0
; COMPUTE_PGM_RSRC2:TGID_Z_EN: 0
; COMPUTE_PGM_RSRC2:TIDIG_COMP_CNT: 0
; COMPUTE_PGM_RSRC3_GFX90A:ACCUM_OFFSET: 0
; COMPUTE_PGM_RSRC3_GFX90A:TG_SPLIT: 0
	.section	.text._ZN7rocprim17ROCPRIM_400000_NS6detail17trampoline_kernelINS0_14default_configENS1_38merge_sort_block_merge_config_selectorIxNS0_10empty_typeEEEZZNS1_27merge_sort_block_merge_implIS3_N6thrust23THRUST_200600_302600_NS6detail15normal_iteratorINS9_10device_ptrIxEEEEPS5_m14custom_greaterIxEEE10hipError_tT0_T1_T2_jT3_P12ihipStream_tbPNSt15iterator_traitsISJ_E10value_typeEPNSP_ISK_E10value_typeEPSL_NS1_7vsmem_tEENKUlT_SJ_SK_SL_E_clIPxSE_SF_SF_EESI_SY_SJ_SK_SL_EUlSY_E1_NS1_11comp_targetILNS1_3genE9ELNS1_11target_archE1100ELNS1_3gpuE3ELNS1_3repE0EEENS1_36merge_oddeven_config_static_selectorELNS0_4arch9wavefront6targetE1EEEvSK_,"axG",@progbits,_ZN7rocprim17ROCPRIM_400000_NS6detail17trampoline_kernelINS0_14default_configENS1_38merge_sort_block_merge_config_selectorIxNS0_10empty_typeEEEZZNS1_27merge_sort_block_merge_implIS3_N6thrust23THRUST_200600_302600_NS6detail15normal_iteratorINS9_10device_ptrIxEEEEPS5_m14custom_greaterIxEEE10hipError_tT0_T1_T2_jT3_P12ihipStream_tbPNSt15iterator_traitsISJ_E10value_typeEPNSP_ISK_E10value_typeEPSL_NS1_7vsmem_tEENKUlT_SJ_SK_SL_E_clIPxSE_SF_SF_EESI_SY_SJ_SK_SL_EUlSY_E1_NS1_11comp_targetILNS1_3genE9ELNS1_11target_archE1100ELNS1_3gpuE3ELNS1_3repE0EEENS1_36merge_oddeven_config_static_selectorELNS0_4arch9wavefront6targetE1EEEvSK_,comdat
	.protected	_ZN7rocprim17ROCPRIM_400000_NS6detail17trampoline_kernelINS0_14default_configENS1_38merge_sort_block_merge_config_selectorIxNS0_10empty_typeEEEZZNS1_27merge_sort_block_merge_implIS3_N6thrust23THRUST_200600_302600_NS6detail15normal_iteratorINS9_10device_ptrIxEEEEPS5_m14custom_greaterIxEEE10hipError_tT0_T1_T2_jT3_P12ihipStream_tbPNSt15iterator_traitsISJ_E10value_typeEPNSP_ISK_E10value_typeEPSL_NS1_7vsmem_tEENKUlT_SJ_SK_SL_E_clIPxSE_SF_SF_EESI_SY_SJ_SK_SL_EUlSY_E1_NS1_11comp_targetILNS1_3genE9ELNS1_11target_archE1100ELNS1_3gpuE3ELNS1_3repE0EEENS1_36merge_oddeven_config_static_selectorELNS0_4arch9wavefront6targetE1EEEvSK_ ; -- Begin function _ZN7rocprim17ROCPRIM_400000_NS6detail17trampoline_kernelINS0_14default_configENS1_38merge_sort_block_merge_config_selectorIxNS0_10empty_typeEEEZZNS1_27merge_sort_block_merge_implIS3_N6thrust23THRUST_200600_302600_NS6detail15normal_iteratorINS9_10device_ptrIxEEEEPS5_m14custom_greaterIxEEE10hipError_tT0_T1_T2_jT3_P12ihipStream_tbPNSt15iterator_traitsISJ_E10value_typeEPNSP_ISK_E10value_typeEPSL_NS1_7vsmem_tEENKUlT_SJ_SK_SL_E_clIPxSE_SF_SF_EESI_SY_SJ_SK_SL_EUlSY_E1_NS1_11comp_targetILNS1_3genE9ELNS1_11target_archE1100ELNS1_3gpuE3ELNS1_3repE0EEENS1_36merge_oddeven_config_static_selectorELNS0_4arch9wavefront6targetE1EEEvSK_
	.globl	_ZN7rocprim17ROCPRIM_400000_NS6detail17trampoline_kernelINS0_14default_configENS1_38merge_sort_block_merge_config_selectorIxNS0_10empty_typeEEEZZNS1_27merge_sort_block_merge_implIS3_N6thrust23THRUST_200600_302600_NS6detail15normal_iteratorINS9_10device_ptrIxEEEEPS5_m14custom_greaterIxEEE10hipError_tT0_T1_T2_jT3_P12ihipStream_tbPNSt15iterator_traitsISJ_E10value_typeEPNSP_ISK_E10value_typeEPSL_NS1_7vsmem_tEENKUlT_SJ_SK_SL_E_clIPxSE_SF_SF_EESI_SY_SJ_SK_SL_EUlSY_E1_NS1_11comp_targetILNS1_3genE9ELNS1_11target_archE1100ELNS1_3gpuE3ELNS1_3repE0EEENS1_36merge_oddeven_config_static_selectorELNS0_4arch9wavefront6targetE1EEEvSK_
	.p2align	8
	.type	_ZN7rocprim17ROCPRIM_400000_NS6detail17trampoline_kernelINS0_14default_configENS1_38merge_sort_block_merge_config_selectorIxNS0_10empty_typeEEEZZNS1_27merge_sort_block_merge_implIS3_N6thrust23THRUST_200600_302600_NS6detail15normal_iteratorINS9_10device_ptrIxEEEEPS5_m14custom_greaterIxEEE10hipError_tT0_T1_T2_jT3_P12ihipStream_tbPNSt15iterator_traitsISJ_E10value_typeEPNSP_ISK_E10value_typeEPSL_NS1_7vsmem_tEENKUlT_SJ_SK_SL_E_clIPxSE_SF_SF_EESI_SY_SJ_SK_SL_EUlSY_E1_NS1_11comp_targetILNS1_3genE9ELNS1_11target_archE1100ELNS1_3gpuE3ELNS1_3repE0EEENS1_36merge_oddeven_config_static_selectorELNS0_4arch9wavefront6targetE1EEEvSK_,@function
_ZN7rocprim17ROCPRIM_400000_NS6detail17trampoline_kernelINS0_14default_configENS1_38merge_sort_block_merge_config_selectorIxNS0_10empty_typeEEEZZNS1_27merge_sort_block_merge_implIS3_N6thrust23THRUST_200600_302600_NS6detail15normal_iteratorINS9_10device_ptrIxEEEEPS5_m14custom_greaterIxEEE10hipError_tT0_T1_T2_jT3_P12ihipStream_tbPNSt15iterator_traitsISJ_E10value_typeEPNSP_ISK_E10value_typeEPSL_NS1_7vsmem_tEENKUlT_SJ_SK_SL_E_clIPxSE_SF_SF_EESI_SY_SJ_SK_SL_EUlSY_E1_NS1_11comp_targetILNS1_3genE9ELNS1_11target_archE1100ELNS1_3gpuE3ELNS1_3repE0EEENS1_36merge_oddeven_config_static_selectorELNS0_4arch9wavefront6targetE1EEEvSK_: ; @_ZN7rocprim17ROCPRIM_400000_NS6detail17trampoline_kernelINS0_14default_configENS1_38merge_sort_block_merge_config_selectorIxNS0_10empty_typeEEEZZNS1_27merge_sort_block_merge_implIS3_N6thrust23THRUST_200600_302600_NS6detail15normal_iteratorINS9_10device_ptrIxEEEEPS5_m14custom_greaterIxEEE10hipError_tT0_T1_T2_jT3_P12ihipStream_tbPNSt15iterator_traitsISJ_E10value_typeEPNSP_ISK_E10value_typeEPSL_NS1_7vsmem_tEENKUlT_SJ_SK_SL_E_clIPxSE_SF_SF_EESI_SY_SJ_SK_SL_EUlSY_E1_NS1_11comp_targetILNS1_3genE9ELNS1_11target_archE1100ELNS1_3gpuE3ELNS1_3repE0EEENS1_36merge_oddeven_config_static_selectorELNS0_4arch9wavefront6targetE1EEEvSK_
; %bb.0:
	.section	.rodata,"a",@progbits
	.p2align	6, 0x0
	.amdhsa_kernel _ZN7rocprim17ROCPRIM_400000_NS6detail17trampoline_kernelINS0_14default_configENS1_38merge_sort_block_merge_config_selectorIxNS0_10empty_typeEEEZZNS1_27merge_sort_block_merge_implIS3_N6thrust23THRUST_200600_302600_NS6detail15normal_iteratorINS9_10device_ptrIxEEEEPS5_m14custom_greaterIxEEE10hipError_tT0_T1_T2_jT3_P12ihipStream_tbPNSt15iterator_traitsISJ_E10value_typeEPNSP_ISK_E10value_typeEPSL_NS1_7vsmem_tEENKUlT_SJ_SK_SL_E_clIPxSE_SF_SF_EESI_SY_SJ_SK_SL_EUlSY_E1_NS1_11comp_targetILNS1_3genE9ELNS1_11target_archE1100ELNS1_3gpuE3ELNS1_3repE0EEENS1_36merge_oddeven_config_static_selectorELNS0_4arch9wavefront6targetE1EEEvSK_
		.amdhsa_group_segment_fixed_size 0
		.amdhsa_private_segment_fixed_size 0
		.amdhsa_kernarg_size 56
		.amdhsa_user_sgpr_count 6
		.amdhsa_user_sgpr_private_segment_buffer 1
		.amdhsa_user_sgpr_dispatch_ptr 0
		.amdhsa_user_sgpr_queue_ptr 0
		.amdhsa_user_sgpr_kernarg_segment_ptr 1
		.amdhsa_user_sgpr_dispatch_id 0
		.amdhsa_user_sgpr_flat_scratch_init 0
		.amdhsa_user_sgpr_kernarg_preload_length 0
		.amdhsa_user_sgpr_kernarg_preload_offset 0
		.amdhsa_user_sgpr_private_segment_size 0
		.amdhsa_uses_dynamic_stack 0
		.amdhsa_system_sgpr_private_segment_wavefront_offset 0
		.amdhsa_system_sgpr_workgroup_id_x 1
		.amdhsa_system_sgpr_workgroup_id_y 0
		.amdhsa_system_sgpr_workgroup_id_z 0
		.amdhsa_system_sgpr_workgroup_info 0
		.amdhsa_system_vgpr_workitem_id 0
		.amdhsa_next_free_vgpr 1
		.amdhsa_next_free_sgpr 0
		.amdhsa_accum_offset 4
		.amdhsa_reserve_vcc 0
		.amdhsa_reserve_flat_scratch 0
		.amdhsa_float_round_mode_32 0
		.amdhsa_float_round_mode_16_64 0
		.amdhsa_float_denorm_mode_32 3
		.amdhsa_float_denorm_mode_16_64 3
		.amdhsa_dx10_clamp 1
		.amdhsa_ieee_mode 1
		.amdhsa_fp16_overflow 0
		.amdhsa_tg_split 0
		.amdhsa_exception_fp_ieee_invalid_op 0
		.amdhsa_exception_fp_denorm_src 0
		.amdhsa_exception_fp_ieee_div_zero 0
		.amdhsa_exception_fp_ieee_overflow 0
		.amdhsa_exception_fp_ieee_underflow 0
		.amdhsa_exception_fp_ieee_inexact 0
		.amdhsa_exception_int_div_zero 0
	.end_amdhsa_kernel
	.section	.text._ZN7rocprim17ROCPRIM_400000_NS6detail17trampoline_kernelINS0_14default_configENS1_38merge_sort_block_merge_config_selectorIxNS0_10empty_typeEEEZZNS1_27merge_sort_block_merge_implIS3_N6thrust23THRUST_200600_302600_NS6detail15normal_iteratorINS9_10device_ptrIxEEEEPS5_m14custom_greaterIxEEE10hipError_tT0_T1_T2_jT3_P12ihipStream_tbPNSt15iterator_traitsISJ_E10value_typeEPNSP_ISK_E10value_typeEPSL_NS1_7vsmem_tEENKUlT_SJ_SK_SL_E_clIPxSE_SF_SF_EESI_SY_SJ_SK_SL_EUlSY_E1_NS1_11comp_targetILNS1_3genE9ELNS1_11target_archE1100ELNS1_3gpuE3ELNS1_3repE0EEENS1_36merge_oddeven_config_static_selectorELNS0_4arch9wavefront6targetE1EEEvSK_,"axG",@progbits,_ZN7rocprim17ROCPRIM_400000_NS6detail17trampoline_kernelINS0_14default_configENS1_38merge_sort_block_merge_config_selectorIxNS0_10empty_typeEEEZZNS1_27merge_sort_block_merge_implIS3_N6thrust23THRUST_200600_302600_NS6detail15normal_iteratorINS9_10device_ptrIxEEEEPS5_m14custom_greaterIxEEE10hipError_tT0_T1_T2_jT3_P12ihipStream_tbPNSt15iterator_traitsISJ_E10value_typeEPNSP_ISK_E10value_typeEPSL_NS1_7vsmem_tEENKUlT_SJ_SK_SL_E_clIPxSE_SF_SF_EESI_SY_SJ_SK_SL_EUlSY_E1_NS1_11comp_targetILNS1_3genE9ELNS1_11target_archE1100ELNS1_3gpuE3ELNS1_3repE0EEENS1_36merge_oddeven_config_static_selectorELNS0_4arch9wavefront6targetE1EEEvSK_,comdat
.Lfunc_end3410:
	.size	_ZN7rocprim17ROCPRIM_400000_NS6detail17trampoline_kernelINS0_14default_configENS1_38merge_sort_block_merge_config_selectorIxNS0_10empty_typeEEEZZNS1_27merge_sort_block_merge_implIS3_N6thrust23THRUST_200600_302600_NS6detail15normal_iteratorINS9_10device_ptrIxEEEEPS5_m14custom_greaterIxEEE10hipError_tT0_T1_T2_jT3_P12ihipStream_tbPNSt15iterator_traitsISJ_E10value_typeEPNSP_ISK_E10value_typeEPSL_NS1_7vsmem_tEENKUlT_SJ_SK_SL_E_clIPxSE_SF_SF_EESI_SY_SJ_SK_SL_EUlSY_E1_NS1_11comp_targetILNS1_3genE9ELNS1_11target_archE1100ELNS1_3gpuE3ELNS1_3repE0EEENS1_36merge_oddeven_config_static_selectorELNS0_4arch9wavefront6targetE1EEEvSK_, .Lfunc_end3410-_ZN7rocprim17ROCPRIM_400000_NS6detail17trampoline_kernelINS0_14default_configENS1_38merge_sort_block_merge_config_selectorIxNS0_10empty_typeEEEZZNS1_27merge_sort_block_merge_implIS3_N6thrust23THRUST_200600_302600_NS6detail15normal_iteratorINS9_10device_ptrIxEEEEPS5_m14custom_greaterIxEEE10hipError_tT0_T1_T2_jT3_P12ihipStream_tbPNSt15iterator_traitsISJ_E10value_typeEPNSP_ISK_E10value_typeEPSL_NS1_7vsmem_tEENKUlT_SJ_SK_SL_E_clIPxSE_SF_SF_EESI_SY_SJ_SK_SL_EUlSY_E1_NS1_11comp_targetILNS1_3genE9ELNS1_11target_archE1100ELNS1_3gpuE3ELNS1_3repE0EEENS1_36merge_oddeven_config_static_selectorELNS0_4arch9wavefront6targetE1EEEvSK_
                                        ; -- End function
	.section	.AMDGPU.csdata,"",@progbits
; Kernel info:
; codeLenInByte = 0
; NumSgprs: 4
; NumVgprs: 0
; NumAgprs: 0
; TotalNumVgprs: 0
; ScratchSize: 0
; MemoryBound: 0
; FloatMode: 240
; IeeeMode: 1
; LDSByteSize: 0 bytes/workgroup (compile time only)
; SGPRBlocks: 0
; VGPRBlocks: 0
; NumSGPRsForWavesPerEU: 4
; NumVGPRsForWavesPerEU: 1
; AccumOffset: 4
; Occupancy: 8
; WaveLimiterHint : 0
; COMPUTE_PGM_RSRC2:SCRATCH_EN: 0
; COMPUTE_PGM_RSRC2:USER_SGPR: 6
; COMPUTE_PGM_RSRC2:TRAP_HANDLER: 0
; COMPUTE_PGM_RSRC2:TGID_X_EN: 1
; COMPUTE_PGM_RSRC2:TGID_Y_EN: 0
; COMPUTE_PGM_RSRC2:TGID_Z_EN: 0
; COMPUTE_PGM_RSRC2:TIDIG_COMP_CNT: 0
; COMPUTE_PGM_RSRC3_GFX90A:ACCUM_OFFSET: 0
; COMPUTE_PGM_RSRC3_GFX90A:TG_SPLIT: 0
	.section	.text._ZN7rocprim17ROCPRIM_400000_NS6detail17trampoline_kernelINS0_14default_configENS1_38merge_sort_block_merge_config_selectorIxNS0_10empty_typeEEEZZNS1_27merge_sort_block_merge_implIS3_N6thrust23THRUST_200600_302600_NS6detail15normal_iteratorINS9_10device_ptrIxEEEEPS5_m14custom_greaterIxEEE10hipError_tT0_T1_T2_jT3_P12ihipStream_tbPNSt15iterator_traitsISJ_E10value_typeEPNSP_ISK_E10value_typeEPSL_NS1_7vsmem_tEENKUlT_SJ_SK_SL_E_clIPxSE_SF_SF_EESI_SY_SJ_SK_SL_EUlSY_E1_NS1_11comp_targetILNS1_3genE8ELNS1_11target_archE1030ELNS1_3gpuE2ELNS1_3repE0EEENS1_36merge_oddeven_config_static_selectorELNS0_4arch9wavefront6targetE1EEEvSK_,"axG",@progbits,_ZN7rocprim17ROCPRIM_400000_NS6detail17trampoline_kernelINS0_14default_configENS1_38merge_sort_block_merge_config_selectorIxNS0_10empty_typeEEEZZNS1_27merge_sort_block_merge_implIS3_N6thrust23THRUST_200600_302600_NS6detail15normal_iteratorINS9_10device_ptrIxEEEEPS5_m14custom_greaterIxEEE10hipError_tT0_T1_T2_jT3_P12ihipStream_tbPNSt15iterator_traitsISJ_E10value_typeEPNSP_ISK_E10value_typeEPSL_NS1_7vsmem_tEENKUlT_SJ_SK_SL_E_clIPxSE_SF_SF_EESI_SY_SJ_SK_SL_EUlSY_E1_NS1_11comp_targetILNS1_3genE8ELNS1_11target_archE1030ELNS1_3gpuE2ELNS1_3repE0EEENS1_36merge_oddeven_config_static_selectorELNS0_4arch9wavefront6targetE1EEEvSK_,comdat
	.protected	_ZN7rocprim17ROCPRIM_400000_NS6detail17trampoline_kernelINS0_14default_configENS1_38merge_sort_block_merge_config_selectorIxNS0_10empty_typeEEEZZNS1_27merge_sort_block_merge_implIS3_N6thrust23THRUST_200600_302600_NS6detail15normal_iteratorINS9_10device_ptrIxEEEEPS5_m14custom_greaterIxEEE10hipError_tT0_T1_T2_jT3_P12ihipStream_tbPNSt15iterator_traitsISJ_E10value_typeEPNSP_ISK_E10value_typeEPSL_NS1_7vsmem_tEENKUlT_SJ_SK_SL_E_clIPxSE_SF_SF_EESI_SY_SJ_SK_SL_EUlSY_E1_NS1_11comp_targetILNS1_3genE8ELNS1_11target_archE1030ELNS1_3gpuE2ELNS1_3repE0EEENS1_36merge_oddeven_config_static_selectorELNS0_4arch9wavefront6targetE1EEEvSK_ ; -- Begin function _ZN7rocprim17ROCPRIM_400000_NS6detail17trampoline_kernelINS0_14default_configENS1_38merge_sort_block_merge_config_selectorIxNS0_10empty_typeEEEZZNS1_27merge_sort_block_merge_implIS3_N6thrust23THRUST_200600_302600_NS6detail15normal_iteratorINS9_10device_ptrIxEEEEPS5_m14custom_greaterIxEEE10hipError_tT0_T1_T2_jT3_P12ihipStream_tbPNSt15iterator_traitsISJ_E10value_typeEPNSP_ISK_E10value_typeEPSL_NS1_7vsmem_tEENKUlT_SJ_SK_SL_E_clIPxSE_SF_SF_EESI_SY_SJ_SK_SL_EUlSY_E1_NS1_11comp_targetILNS1_3genE8ELNS1_11target_archE1030ELNS1_3gpuE2ELNS1_3repE0EEENS1_36merge_oddeven_config_static_selectorELNS0_4arch9wavefront6targetE1EEEvSK_
	.globl	_ZN7rocprim17ROCPRIM_400000_NS6detail17trampoline_kernelINS0_14default_configENS1_38merge_sort_block_merge_config_selectorIxNS0_10empty_typeEEEZZNS1_27merge_sort_block_merge_implIS3_N6thrust23THRUST_200600_302600_NS6detail15normal_iteratorINS9_10device_ptrIxEEEEPS5_m14custom_greaterIxEEE10hipError_tT0_T1_T2_jT3_P12ihipStream_tbPNSt15iterator_traitsISJ_E10value_typeEPNSP_ISK_E10value_typeEPSL_NS1_7vsmem_tEENKUlT_SJ_SK_SL_E_clIPxSE_SF_SF_EESI_SY_SJ_SK_SL_EUlSY_E1_NS1_11comp_targetILNS1_3genE8ELNS1_11target_archE1030ELNS1_3gpuE2ELNS1_3repE0EEENS1_36merge_oddeven_config_static_selectorELNS0_4arch9wavefront6targetE1EEEvSK_
	.p2align	8
	.type	_ZN7rocprim17ROCPRIM_400000_NS6detail17trampoline_kernelINS0_14default_configENS1_38merge_sort_block_merge_config_selectorIxNS0_10empty_typeEEEZZNS1_27merge_sort_block_merge_implIS3_N6thrust23THRUST_200600_302600_NS6detail15normal_iteratorINS9_10device_ptrIxEEEEPS5_m14custom_greaterIxEEE10hipError_tT0_T1_T2_jT3_P12ihipStream_tbPNSt15iterator_traitsISJ_E10value_typeEPNSP_ISK_E10value_typeEPSL_NS1_7vsmem_tEENKUlT_SJ_SK_SL_E_clIPxSE_SF_SF_EESI_SY_SJ_SK_SL_EUlSY_E1_NS1_11comp_targetILNS1_3genE8ELNS1_11target_archE1030ELNS1_3gpuE2ELNS1_3repE0EEENS1_36merge_oddeven_config_static_selectorELNS0_4arch9wavefront6targetE1EEEvSK_,@function
_ZN7rocprim17ROCPRIM_400000_NS6detail17trampoline_kernelINS0_14default_configENS1_38merge_sort_block_merge_config_selectorIxNS0_10empty_typeEEEZZNS1_27merge_sort_block_merge_implIS3_N6thrust23THRUST_200600_302600_NS6detail15normal_iteratorINS9_10device_ptrIxEEEEPS5_m14custom_greaterIxEEE10hipError_tT0_T1_T2_jT3_P12ihipStream_tbPNSt15iterator_traitsISJ_E10value_typeEPNSP_ISK_E10value_typeEPSL_NS1_7vsmem_tEENKUlT_SJ_SK_SL_E_clIPxSE_SF_SF_EESI_SY_SJ_SK_SL_EUlSY_E1_NS1_11comp_targetILNS1_3genE8ELNS1_11target_archE1030ELNS1_3gpuE2ELNS1_3repE0EEENS1_36merge_oddeven_config_static_selectorELNS0_4arch9wavefront6targetE1EEEvSK_: ; @_ZN7rocprim17ROCPRIM_400000_NS6detail17trampoline_kernelINS0_14default_configENS1_38merge_sort_block_merge_config_selectorIxNS0_10empty_typeEEEZZNS1_27merge_sort_block_merge_implIS3_N6thrust23THRUST_200600_302600_NS6detail15normal_iteratorINS9_10device_ptrIxEEEEPS5_m14custom_greaterIxEEE10hipError_tT0_T1_T2_jT3_P12ihipStream_tbPNSt15iterator_traitsISJ_E10value_typeEPNSP_ISK_E10value_typeEPSL_NS1_7vsmem_tEENKUlT_SJ_SK_SL_E_clIPxSE_SF_SF_EESI_SY_SJ_SK_SL_EUlSY_E1_NS1_11comp_targetILNS1_3genE8ELNS1_11target_archE1030ELNS1_3gpuE2ELNS1_3repE0EEENS1_36merge_oddeven_config_static_selectorELNS0_4arch9wavefront6targetE1EEEvSK_
; %bb.0:
	.section	.rodata,"a",@progbits
	.p2align	6, 0x0
	.amdhsa_kernel _ZN7rocprim17ROCPRIM_400000_NS6detail17trampoline_kernelINS0_14default_configENS1_38merge_sort_block_merge_config_selectorIxNS0_10empty_typeEEEZZNS1_27merge_sort_block_merge_implIS3_N6thrust23THRUST_200600_302600_NS6detail15normal_iteratorINS9_10device_ptrIxEEEEPS5_m14custom_greaterIxEEE10hipError_tT0_T1_T2_jT3_P12ihipStream_tbPNSt15iterator_traitsISJ_E10value_typeEPNSP_ISK_E10value_typeEPSL_NS1_7vsmem_tEENKUlT_SJ_SK_SL_E_clIPxSE_SF_SF_EESI_SY_SJ_SK_SL_EUlSY_E1_NS1_11comp_targetILNS1_3genE8ELNS1_11target_archE1030ELNS1_3gpuE2ELNS1_3repE0EEENS1_36merge_oddeven_config_static_selectorELNS0_4arch9wavefront6targetE1EEEvSK_
		.amdhsa_group_segment_fixed_size 0
		.amdhsa_private_segment_fixed_size 0
		.amdhsa_kernarg_size 56
		.amdhsa_user_sgpr_count 6
		.amdhsa_user_sgpr_private_segment_buffer 1
		.amdhsa_user_sgpr_dispatch_ptr 0
		.amdhsa_user_sgpr_queue_ptr 0
		.amdhsa_user_sgpr_kernarg_segment_ptr 1
		.amdhsa_user_sgpr_dispatch_id 0
		.amdhsa_user_sgpr_flat_scratch_init 0
		.amdhsa_user_sgpr_kernarg_preload_length 0
		.amdhsa_user_sgpr_kernarg_preload_offset 0
		.amdhsa_user_sgpr_private_segment_size 0
		.amdhsa_uses_dynamic_stack 0
		.amdhsa_system_sgpr_private_segment_wavefront_offset 0
		.amdhsa_system_sgpr_workgroup_id_x 1
		.amdhsa_system_sgpr_workgroup_id_y 0
		.amdhsa_system_sgpr_workgroup_id_z 0
		.amdhsa_system_sgpr_workgroup_info 0
		.amdhsa_system_vgpr_workitem_id 0
		.amdhsa_next_free_vgpr 1
		.amdhsa_next_free_sgpr 0
		.amdhsa_accum_offset 4
		.amdhsa_reserve_vcc 0
		.amdhsa_reserve_flat_scratch 0
		.amdhsa_float_round_mode_32 0
		.amdhsa_float_round_mode_16_64 0
		.amdhsa_float_denorm_mode_32 3
		.amdhsa_float_denorm_mode_16_64 3
		.amdhsa_dx10_clamp 1
		.amdhsa_ieee_mode 1
		.amdhsa_fp16_overflow 0
		.amdhsa_tg_split 0
		.amdhsa_exception_fp_ieee_invalid_op 0
		.amdhsa_exception_fp_denorm_src 0
		.amdhsa_exception_fp_ieee_div_zero 0
		.amdhsa_exception_fp_ieee_overflow 0
		.amdhsa_exception_fp_ieee_underflow 0
		.amdhsa_exception_fp_ieee_inexact 0
		.amdhsa_exception_int_div_zero 0
	.end_amdhsa_kernel
	.section	.text._ZN7rocprim17ROCPRIM_400000_NS6detail17trampoline_kernelINS0_14default_configENS1_38merge_sort_block_merge_config_selectorIxNS0_10empty_typeEEEZZNS1_27merge_sort_block_merge_implIS3_N6thrust23THRUST_200600_302600_NS6detail15normal_iteratorINS9_10device_ptrIxEEEEPS5_m14custom_greaterIxEEE10hipError_tT0_T1_T2_jT3_P12ihipStream_tbPNSt15iterator_traitsISJ_E10value_typeEPNSP_ISK_E10value_typeEPSL_NS1_7vsmem_tEENKUlT_SJ_SK_SL_E_clIPxSE_SF_SF_EESI_SY_SJ_SK_SL_EUlSY_E1_NS1_11comp_targetILNS1_3genE8ELNS1_11target_archE1030ELNS1_3gpuE2ELNS1_3repE0EEENS1_36merge_oddeven_config_static_selectorELNS0_4arch9wavefront6targetE1EEEvSK_,"axG",@progbits,_ZN7rocprim17ROCPRIM_400000_NS6detail17trampoline_kernelINS0_14default_configENS1_38merge_sort_block_merge_config_selectorIxNS0_10empty_typeEEEZZNS1_27merge_sort_block_merge_implIS3_N6thrust23THRUST_200600_302600_NS6detail15normal_iteratorINS9_10device_ptrIxEEEEPS5_m14custom_greaterIxEEE10hipError_tT0_T1_T2_jT3_P12ihipStream_tbPNSt15iterator_traitsISJ_E10value_typeEPNSP_ISK_E10value_typeEPSL_NS1_7vsmem_tEENKUlT_SJ_SK_SL_E_clIPxSE_SF_SF_EESI_SY_SJ_SK_SL_EUlSY_E1_NS1_11comp_targetILNS1_3genE8ELNS1_11target_archE1030ELNS1_3gpuE2ELNS1_3repE0EEENS1_36merge_oddeven_config_static_selectorELNS0_4arch9wavefront6targetE1EEEvSK_,comdat
.Lfunc_end3411:
	.size	_ZN7rocprim17ROCPRIM_400000_NS6detail17trampoline_kernelINS0_14default_configENS1_38merge_sort_block_merge_config_selectorIxNS0_10empty_typeEEEZZNS1_27merge_sort_block_merge_implIS3_N6thrust23THRUST_200600_302600_NS6detail15normal_iteratorINS9_10device_ptrIxEEEEPS5_m14custom_greaterIxEEE10hipError_tT0_T1_T2_jT3_P12ihipStream_tbPNSt15iterator_traitsISJ_E10value_typeEPNSP_ISK_E10value_typeEPSL_NS1_7vsmem_tEENKUlT_SJ_SK_SL_E_clIPxSE_SF_SF_EESI_SY_SJ_SK_SL_EUlSY_E1_NS1_11comp_targetILNS1_3genE8ELNS1_11target_archE1030ELNS1_3gpuE2ELNS1_3repE0EEENS1_36merge_oddeven_config_static_selectorELNS0_4arch9wavefront6targetE1EEEvSK_, .Lfunc_end3411-_ZN7rocprim17ROCPRIM_400000_NS6detail17trampoline_kernelINS0_14default_configENS1_38merge_sort_block_merge_config_selectorIxNS0_10empty_typeEEEZZNS1_27merge_sort_block_merge_implIS3_N6thrust23THRUST_200600_302600_NS6detail15normal_iteratorINS9_10device_ptrIxEEEEPS5_m14custom_greaterIxEEE10hipError_tT0_T1_T2_jT3_P12ihipStream_tbPNSt15iterator_traitsISJ_E10value_typeEPNSP_ISK_E10value_typeEPSL_NS1_7vsmem_tEENKUlT_SJ_SK_SL_E_clIPxSE_SF_SF_EESI_SY_SJ_SK_SL_EUlSY_E1_NS1_11comp_targetILNS1_3genE8ELNS1_11target_archE1030ELNS1_3gpuE2ELNS1_3repE0EEENS1_36merge_oddeven_config_static_selectorELNS0_4arch9wavefront6targetE1EEEvSK_
                                        ; -- End function
	.section	.AMDGPU.csdata,"",@progbits
; Kernel info:
; codeLenInByte = 0
; NumSgprs: 4
; NumVgprs: 0
; NumAgprs: 0
; TotalNumVgprs: 0
; ScratchSize: 0
; MemoryBound: 0
; FloatMode: 240
; IeeeMode: 1
; LDSByteSize: 0 bytes/workgroup (compile time only)
; SGPRBlocks: 0
; VGPRBlocks: 0
; NumSGPRsForWavesPerEU: 4
; NumVGPRsForWavesPerEU: 1
; AccumOffset: 4
; Occupancy: 8
; WaveLimiterHint : 0
; COMPUTE_PGM_RSRC2:SCRATCH_EN: 0
; COMPUTE_PGM_RSRC2:USER_SGPR: 6
; COMPUTE_PGM_RSRC2:TRAP_HANDLER: 0
; COMPUTE_PGM_RSRC2:TGID_X_EN: 1
; COMPUTE_PGM_RSRC2:TGID_Y_EN: 0
; COMPUTE_PGM_RSRC2:TGID_Z_EN: 0
; COMPUTE_PGM_RSRC2:TIDIG_COMP_CNT: 0
; COMPUTE_PGM_RSRC3_GFX90A:ACCUM_OFFSET: 0
; COMPUTE_PGM_RSRC3_GFX90A:TG_SPLIT: 0
	.section	.text._ZN7rocprim17ROCPRIM_400000_NS6detail17trampoline_kernelINS0_14default_configENS1_38merge_sort_block_merge_config_selectorIxNS0_10empty_typeEEEZZNS1_27merge_sort_block_merge_implIS3_N6thrust23THRUST_200600_302600_NS6detail15normal_iteratorINS9_10device_ptrIxEEEEPS5_m14custom_greaterIxEEE10hipError_tT0_T1_T2_jT3_P12ihipStream_tbPNSt15iterator_traitsISJ_E10value_typeEPNSP_ISK_E10value_typeEPSL_NS1_7vsmem_tEENKUlT_SJ_SK_SL_E_clISE_PxSF_SF_EESI_SY_SJ_SK_SL_EUlSY_E_NS1_11comp_targetILNS1_3genE0ELNS1_11target_archE4294967295ELNS1_3gpuE0ELNS1_3repE0EEENS1_48merge_mergepath_partition_config_static_selectorELNS0_4arch9wavefront6targetE1EEEvSK_,"axG",@progbits,_ZN7rocprim17ROCPRIM_400000_NS6detail17trampoline_kernelINS0_14default_configENS1_38merge_sort_block_merge_config_selectorIxNS0_10empty_typeEEEZZNS1_27merge_sort_block_merge_implIS3_N6thrust23THRUST_200600_302600_NS6detail15normal_iteratorINS9_10device_ptrIxEEEEPS5_m14custom_greaterIxEEE10hipError_tT0_T1_T2_jT3_P12ihipStream_tbPNSt15iterator_traitsISJ_E10value_typeEPNSP_ISK_E10value_typeEPSL_NS1_7vsmem_tEENKUlT_SJ_SK_SL_E_clISE_PxSF_SF_EESI_SY_SJ_SK_SL_EUlSY_E_NS1_11comp_targetILNS1_3genE0ELNS1_11target_archE4294967295ELNS1_3gpuE0ELNS1_3repE0EEENS1_48merge_mergepath_partition_config_static_selectorELNS0_4arch9wavefront6targetE1EEEvSK_,comdat
	.protected	_ZN7rocprim17ROCPRIM_400000_NS6detail17trampoline_kernelINS0_14default_configENS1_38merge_sort_block_merge_config_selectorIxNS0_10empty_typeEEEZZNS1_27merge_sort_block_merge_implIS3_N6thrust23THRUST_200600_302600_NS6detail15normal_iteratorINS9_10device_ptrIxEEEEPS5_m14custom_greaterIxEEE10hipError_tT0_T1_T2_jT3_P12ihipStream_tbPNSt15iterator_traitsISJ_E10value_typeEPNSP_ISK_E10value_typeEPSL_NS1_7vsmem_tEENKUlT_SJ_SK_SL_E_clISE_PxSF_SF_EESI_SY_SJ_SK_SL_EUlSY_E_NS1_11comp_targetILNS1_3genE0ELNS1_11target_archE4294967295ELNS1_3gpuE0ELNS1_3repE0EEENS1_48merge_mergepath_partition_config_static_selectorELNS0_4arch9wavefront6targetE1EEEvSK_ ; -- Begin function _ZN7rocprim17ROCPRIM_400000_NS6detail17trampoline_kernelINS0_14default_configENS1_38merge_sort_block_merge_config_selectorIxNS0_10empty_typeEEEZZNS1_27merge_sort_block_merge_implIS3_N6thrust23THRUST_200600_302600_NS6detail15normal_iteratorINS9_10device_ptrIxEEEEPS5_m14custom_greaterIxEEE10hipError_tT0_T1_T2_jT3_P12ihipStream_tbPNSt15iterator_traitsISJ_E10value_typeEPNSP_ISK_E10value_typeEPSL_NS1_7vsmem_tEENKUlT_SJ_SK_SL_E_clISE_PxSF_SF_EESI_SY_SJ_SK_SL_EUlSY_E_NS1_11comp_targetILNS1_3genE0ELNS1_11target_archE4294967295ELNS1_3gpuE0ELNS1_3repE0EEENS1_48merge_mergepath_partition_config_static_selectorELNS0_4arch9wavefront6targetE1EEEvSK_
	.globl	_ZN7rocprim17ROCPRIM_400000_NS6detail17trampoline_kernelINS0_14default_configENS1_38merge_sort_block_merge_config_selectorIxNS0_10empty_typeEEEZZNS1_27merge_sort_block_merge_implIS3_N6thrust23THRUST_200600_302600_NS6detail15normal_iteratorINS9_10device_ptrIxEEEEPS5_m14custom_greaterIxEEE10hipError_tT0_T1_T2_jT3_P12ihipStream_tbPNSt15iterator_traitsISJ_E10value_typeEPNSP_ISK_E10value_typeEPSL_NS1_7vsmem_tEENKUlT_SJ_SK_SL_E_clISE_PxSF_SF_EESI_SY_SJ_SK_SL_EUlSY_E_NS1_11comp_targetILNS1_3genE0ELNS1_11target_archE4294967295ELNS1_3gpuE0ELNS1_3repE0EEENS1_48merge_mergepath_partition_config_static_selectorELNS0_4arch9wavefront6targetE1EEEvSK_
	.p2align	8
	.type	_ZN7rocprim17ROCPRIM_400000_NS6detail17trampoline_kernelINS0_14default_configENS1_38merge_sort_block_merge_config_selectorIxNS0_10empty_typeEEEZZNS1_27merge_sort_block_merge_implIS3_N6thrust23THRUST_200600_302600_NS6detail15normal_iteratorINS9_10device_ptrIxEEEEPS5_m14custom_greaterIxEEE10hipError_tT0_T1_T2_jT3_P12ihipStream_tbPNSt15iterator_traitsISJ_E10value_typeEPNSP_ISK_E10value_typeEPSL_NS1_7vsmem_tEENKUlT_SJ_SK_SL_E_clISE_PxSF_SF_EESI_SY_SJ_SK_SL_EUlSY_E_NS1_11comp_targetILNS1_3genE0ELNS1_11target_archE4294967295ELNS1_3gpuE0ELNS1_3repE0EEENS1_48merge_mergepath_partition_config_static_selectorELNS0_4arch9wavefront6targetE1EEEvSK_,@function
_ZN7rocprim17ROCPRIM_400000_NS6detail17trampoline_kernelINS0_14default_configENS1_38merge_sort_block_merge_config_selectorIxNS0_10empty_typeEEEZZNS1_27merge_sort_block_merge_implIS3_N6thrust23THRUST_200600_302600_NS6detail15normal_iteratorINS9_10device_ptrIxEEEEPS5_m14custom_greaterIxEEE10hipError_tT0_T1_T2_jT3_P12ihipStream_tbPNSt15iterator_traitsISJ_E10value_typeEPNSP_ISK_E10value_typeEPSL_NS1_7vsmem_tEENKUlT_SJ_SK_SL_E_clISE_PxSF_SF_EESI_SY_SJ_SK_SL_EUlSY_E_NS1_11comp_targetILNS1_3genE0ELNS1_11target_archE4294967295ELNS1_3gpuE0ELNS1_3repE0EEENS1_48merge_mergepath_partition_config_static_selectorELNS0_4arch9wavefront6targetE1EEEvSK_: ; @_ZN7rocprim17ROCPRIM_400000_NS6detail17trampoline_kernelINS0_14default_configENS1_38merge_sort_block_merge_config_selectorIxNS0_10empty_typeEEEZZNS1_27merge_sort_block_merge_implIS3_N6thrust23THRUST_200600_302600_NS6detail15normal_iteratorINS9_10device_ptrIxEEEEPS5_m14custom_greaterIxEEE10hipError_tT0_T1_T2_jT3_P12ihipStream_tbPNSt15iterator_traitsISJ_E10value_typeEPNSP_ISK_E10value_typeEPSL_NS1_7vsmem_tEENKUlT_SJ_SK_SL_E_clISE_PxSF_SF_EESI_SY_SJ_SK_SL_EUlSY_E_NS1_11comp_targetILNS1_3genE0ELNS1_11target_archE4294967295ELNS1_3gpuE0ELNS1_3repE0EEENS1_48merge_mergepath_partition_config_static_selectorELNS0_4arch9wavefront6targetE1EEEvSK_
; %bb.0:
	.section	.rodata,"a",@progbits
	.p2align	6, 0x0
	.amdhsa_kernel _ZN7rocprim17ROCPRIM_400000_NS6detail17trampoline_kernelINS0_14default_configENS1_38merge_sort_block_merge_config_selectorIxNS0_10empty_typeEEEZZNS1_27merge_sort_block_merge_implIS3_N6thrust23THRUST_200600_302600_NS6detail15normal_iteratorINS9_10device_ptrIxEEEEPS5_m14custom_greaterIxEEE10hipError_tT0_T1_T2_jT3_P12ihipStream_tbPNSt15iterator_traitsISJ_E10value_typeEPNSP_ISK_E10value_typeEPSL_NS1_7vsmem_tEENKUlT_SJ_SK_SL_E_clISE_PxSF_SF_EESI_SY_SJ_SK_SL_EUlSY_E_NS1_11comp_targetILNS1_3genE0ELNS1_11target_archE4294967295ELNS1_3gpuE0ELNS1_3repE0EEENS1_48merge_mergepath_partition_config_static_selectorELNS0_4arch9wavefront6targetE1EEEvSK_
		.amdhsa_group_segment_fixed_size 0
		.amdhsa_private_segment_fixed_size 0
		.amdhsa_kernarg_size 48
		.amdhsa_user_sgpr_count 6
		.amdhsa_user_sgpr_private_segment_buffer 1
		.amdhsa_user_sgpr_dispatch_ptr 0
		.amdhsa_user_sgpr_queue_ptr 0
		.amdhsa_user_sgpr_kernarg_segment_ptr 1
		.amdhsa_user_sgpr_dispatch_id 0
		.amdhsa_user_sgpr_flat_scratch_init 0
		.amdhsa_user_sgpr_kernarg_preload_length 0
		.amdhsa_user_sgpr_kernarg_preload_offset 0
		.amdhsa_user_sgpr_private_segment_size 0
		.amdhsa_uses_dynamic_stack 0
		.amdhsa_system_sgpr_private_segment_wavefront_offset 0
		.amdhsa_system_sgpr_workgroup_id_x 1
		.amdhsa_system_sgpr_workgroup_id_y 0
		.amdhsa_system_sgpr_workgroup_id_z 0
		.amdhsa_system_sgpr_workgroup_info 0
		.amdhsa_system_vgpr_workitem_id 0
		.amdhsa_next_free_vgpr 1
		.amdhsa_next_free_sgpr 0
		.amdhsa_accum_offset 4
		.amdhsa_reserve_vcc 0
		.amdhsa_reserve_flat_scratch 0
		.amdhsa_float_round_mode_32 0
		.amdhsa_float_round_mode_16_64 0
		.amdhsa_float_denorm_mode_32 3
		.amdhsa_float_denorm_mode_16_64 3
		.amdhsa_dx10_clamp 1
		.amdhsa_ieee_mode 1
		.amdhsa_fp16_overflow 0
		.amdhsa_tg_split 0
		.amdhsa_exception_fp_ieee_invalid_op 0
		.amdhsa_exception_fp_denorm_src 0
		.amdhsa_exception_fp_ieee_div_zero 0
		.amdhsa_exception_fp_ieee_overflow 0
		.amdhsa_exception_fp_ieee_underflow 0
		.amdhsa_exception_fp_ieee_inexact 0
		.amdhsa_exception_int_div_zero 0
	.end_amdhsa_kernel
	.section	.text._ZN7rocprim17ROCPRIM_400000_NS6detail17trampoline_kernelINS0_14default_configENS1_38merge_sort_block_merge_config_selectorIxNS0_10empty_typeEEEZZNS1_27merge_sort_block_merge_implIS3_N6thrust23THRUST_200600_302600_NS6detail15normal_iteratorINS9_10device_ptrIxEEEEPS5_m14custom_greaterIxEEE10hipError_tT0_T1_T2_jT3_P12ihipStream_tbPNSt15iterator_traitsISJ_E10value_typeEPNSP_ISK_E10value_typeEPSL_NS1_7vsmem_tEENKUlT_SJ_SK_SL_E_clISE_PxSF_SF_EESI_SY_SJ_SK_SL_EUlSY_E_NS1_11comp_targetILNS1_3genE0ELNS1_11target_archE4294967295ELNS1_3gpuE0ELNS1_3repE0EEENS1_48merge_mergepath_partition_config_static_selectorELNS0_4arch9wavefront6targetE1EEEvSK_,"axG",@progbits,_ZN7rocprim17ROCPRIM_400000_NS6detail17trampoline_kernelINS0_14default_configENS1_38merge_sort_block_merge_config_selectorIxNS0_10empty_typeEEEZZNS1_27merge_sort_block_merge_implIS3_N6thrust23THRUST_200600_302600_NS6detail15normal_iteratorINS9_10device_ptrIxEEEEPS5_m14custom_greaterIxEEE10hipError_tT0_T1_T2_jT3_P12ihipStream_tbPNSt15iterator_traitsISJ_E10value_typeEPNSP_ISK_E10value_typeEPSL_NS1_7vsmem_tEENKUlT_SJ_SK_SL_E_clISE_PxSF_SF_EESI_SY_SJ_SK_SL_EUlSY_E_NS1_11comp_targetILNS1_3genE0ELNS1_11target_archE4294967295ELNS1_3gpuE0ELNS1_3repE0EEENS1_48merge_mergepath_partition_config_static_selectorELNS0_4arch9wavefront6targetE1EEEvSK_,comdat
.Lfunc_end3412:
	.size	_ZN7rocprim17ROCPRIM_400000_NS6detail17trampoline_kernelINS0_14default_configENS1_38merge_sort_block_merge_config_selectorIxNS0_10empty_typeEEEZZNS1_27merge_sort_block_merge_implIS3_N6thrust23THRUST_200600_302600_NS6detail15normal_iteratorINS9_10device_ptrIxEEEEPS5_m14custom_greaterIxEEE10hipError_tT0_T1_T2_jT3_P12ihipStream_tbPNSt15iterator_traitsISJ_E10value_typeEPNSP_ISK_E10value_typeEPSL_NS1_7vsmem_tEENKUlT_SJ_SK_SL_E_clISE_PxSF_SF_EESI_SY_SJ_SK_SL_EUlSY_E_NS1_11comp_targetILNS1_3genE0ELNS1_11target_archE4294967295ELNS1_3gpuE0ELNS1_3repE0EEENS1_48merge_mergepath_partition_config_static_selectorELNS0_4arch9wavefront6targetE1EEEvSK_, .Lfunc_end3412-_ZN7rocprim17ROCPRIM_400000_NS6detail17trampoline_kernelINS0_14default_configENS1_38merge_sort_block_merge_config_selectorIxNS0_10empty_typeEEEZZNS1_27merge_sort_block_merge_implIS3_N6thrust23THRUST_200600_302600_NS6detail15normal_iteratorINS9_10device_ptrIxEEEEPS5_m14custom_greaterIxEEE10hipError_tT0_T1_T2_jT3_P12ihipStream_tbPNSt15iterator_traitsISJ_E10value_typeEPNSP_ISK_E10value_typeEPSL_NS1_7vsmem_tEENKUlT_SJ_SK_SL_E_clISE_PxSF_SF_EESI_SY_SJ_SK_SL_EUlSY_E_NS1_11comp_targetILNS1_3genE0ELNS1_11target_archE4294967295ELNS1_3gpuE0ELNS1_3repE0EEENS1_48merge_mergepath_partition_config_static_selectorELNS0_4arch9wavefront6targetE1EEEvSK_
                                        ; -- End function
	.section	.AMDGPU.csdata,"",@progbits
; Kernel info:
; codeLenInByte = 0
; NumSgprs: 4
; NumVgprs: 0
; NumAgprs: 0
; TotalNumVgprs: 0
; ScratchSize: 0
; MemoryBound: 0
; FloatMode: 240
; IeeeMode: 1
; LDSByteSize: 0 bytes/workgroup (compile time only)
; SGPRBlocks: 0
; VGPRBlocks: 0
; NumSGPRsForWavesPerEU: 4
; NumVGPRsForWavesPerEU: 1
; AccumOffset: 4
; Occupancy: 8
; WaveLimiterHint : 0
; COMPUTE_PGM_RSRC2:SCRATCH_EN: 0
; COMPUTE_PGM_RSRC2:USER_SGPR: 6
; COMPUTE_PGM_RSRC2:TRAP_HANDLER: 0
; COMPUTE_PGM_RSRC2:TGID_X_EN: 1
; COMPUTE_PGM_RSRC2:TGID_Y_EN: 0
; COMPUTE_PGM_RSRC2:TGID_Z_EN: 0
; COMPUTE_PGM_RSRC2:TIDIG_COMP_CNT: 0
; COMPUTE_PGM_RSRC3_GFX90A:ACCUM_OFFSET: 0
; COMPUTE_PGM_RSRC3_GFX90A:TG_SPLIT: 0
	.section	.text._ZN7rocprim17ROCPRIM_400000_NS6detail17trampoline_kernelINS0_14default_configENS1_38merge_sort_block_merge_config_selectorIxNS0_10empty_typeEEEZZNS1_27merge_sort_block_merge_implIS3_N6thrust23THRUST_200600_302600_NS6detail15normal_iteratorINS9_10device_ptrIxEEEEPS5_m14custom_greaterIxEEE10hipError_tT0_T1_T2_jT3_P12ihipStream_tbPNSt15iterator_traitsISJ_E10value_typeEPNSP_ISK_E10value_typeEPSL_NS1_7vsmem_tEENKUlT_SJ_SK_SL_E_clISE_PxSF_SF_EESI_SY_SJ_SK_SL_EUlSY_E_NS1_11comp_targetILNS1_3genE10ELNS1_11target_archE1201ELNS1_3gpuE5ELNS1_3repE0EEENS1_48merge_mergepath_partition_config_static_selectorELNS0_4arch9wavefront6targetE1EEEvSK_,"axG",@progbits,_ZN7rocprim17ROCPRIM_400000_NS6detail17trampoline_kernelINS0_14default_configENS1_38merge_sort_block_merge_config_selectorIxNS0_10empty_typeEEEZZNS1_27merge_sort_block_merge_implIS3_N6thrust23THRUST_200600_302600_NS6detail15normal_iteratorINS9_10device_ptrIxEEEEPS5_m14custom_greaterIxEEE10hipError_tT0_T1_T2_jT3_P12ihipStream_tbPNSt15iterator_traitsISJ_E10value_typeEPNSP_ISK_E10value_typeEPSL_NS1_7vsmem_tEENKUlT_SJ_SK_SL_E_clISE_PxSF_SF_EESI_SY_SJ_SK_SL_EUlSY_E_NS1_11comp_targetILNS1_3genE10ELNS1_11target_archE1201ELNS1_3gpuE5ELNS1_3repE0EEENS1_48merge_mergepath_partition_config_static_selectorELNS0_4arch9wavefront6targetE1EEEvSK_,comdat
	.protected	_ZN7rocprim17ROCPRIM_400000_NS6detail17trampoline_kernelINS0_14default_configENS1_38merge_sort_block_merge_config_selectorIxNS0_10empty_typeEEEZZNS1_27merge_sort_block_merge_implIS3_N6thrust23THRUST_200600_302600_NS6detail15normal_iteratorINS9_10device_ptrIxEEEEPS5_m14custom_greaterIxEEE10hipError_tT0_T1_T2_jT3_P12ihipStream_tbPNSt15iterator_traitsISJ_E10value_typeEPNSP_ISK_E10value_typeEPSL_NS1_7vsmem_tEENKUlT_SJ_SK_SL_E_clISE_PxSF_SF_EESI_SY_SJ_SK_SL_EUlSY_E_NS1_11comp_targetILNS1_3genE10ELNS1_11target_archE1201ELNS1_3gpuE5ELNS1_3repE0EEENS1_48merge_mergepath_partition_config_static_selectorELNS0_4arch9wavefront6targetE1EEEvSK_ ; -- Begin function _ZN7rocprim17ROCPRIM_400000_NS6detail17trampoline_kernelINS0_14default_configENS1_38merge_sort_block_merge_config_selectorIxNS0_10empty_typeEEEZZNS1_27merge_sort_block_merge_implIS3_N6thrust23THRUST_200600_302600_NS6detail15normal_iteratorINS9_10device_ptrIxEEEEPS5_m14custom_greaterIxEEE10hipError_tT0_T1_T2_jT3_P12ihipStream_tbPNSt15iterator_traitsISJ_E10value_typeEPNSP_ISK_E10value_typeEPSL_NS1_7vsmem_tEENKUlT_SJ_SK_SL_E_clISE_PxSF_SF_EESI_SY_SJ_SK_SL_EUlSY_E_NS1_11comp_targetILNS1_3genE10ELNS1_11target_archE1201ELNS1_3gpuE5ELNS1_3repE0EEENS1_48merge_mergepath_partition_config_static_selectorELNS0_4arch9wavefront6targetE1EEEvSK_
	.globl	_ZN7rocprim17ROCPRIM_400000_NS6detail17trampoline_kernelINS0_14default_configENS1_38merge_sort_block_merge_config_selectorIxNS0_10empty_typeEEEZZNS1_27merge_sort_block_merge_implIS3_N6thrust23THRUST_200600_302600_NS6detail15normal_iteratorINS9_10device_ptrIxEEEEPS5_m14custom_greaterIxEEE10hipError_tT0_T1_T2_jT3_P12ihipStream_tbPNSt15iterator_traitsISJ_E10value_typeEPNSP_ISK_E10value_typeEPSL_NS1_7vsmem_tEENKUlT_SJ_SK_SL_E_clISE_PxSF_SF_EESI_SY_SJ_SK_SL_EUlSY_E_NS1_11comp_targetILNS1_3genE10ELNS1_11target_archE1201ELNS1_3gpuE5ELNS1_3repE0EEENS1_48merge_mergepath_partition_config_static_selectorELNS0_4arch9wavefront6targetE1EEEvSK_
	.p2align	8
	.type	_ZN7rocprim17ROCPRIM_400000_NS6detail17trampoline_kernelINS0_14default_configENS1_38merge_sort_block_merge_config_selectorIxNS0_10empty_typeEEEZZNS1_27merge_sort_block_merge_implIS3_N6thrust23THRUST_200600_302600_NS6detail15normal_iteratorINS9_10device_ptrIxEEEEPS5_m14custom_greaterIxEEE10hipError_tT0_T1_T2_jT3_P12ihipStream_tbPNSt15iterator_traitsISJ_E10value_typeEPNSP_ISK_E10value_typeEPSL_NS1_7vsmem_tEENKUlT_SJ_SK_SL_E_clISE_PxSF_SF_EESI_SY_SJ_SK_SL_EUlSY_E_NS1_11comp_targetILNS1_3genE10ELNS1_11target_archE1201ELNS1_3gpuE5ELNS1_3repE0EEENS1_48merge_mergepath_partition_config_static_selectorELNS0_4arch9wavefront6targetE1EEEvSK_,@function
_ZN7rocprim17ROCPRIM_400000_NS6detail17trampoline_kernelINS0_14default_configENS1_38merge_sort_block_merge_config_selectorIxNS0_10empty_typeEEEZZNS1_27merge_sort_block_merge_implIS3_N6thrust23THRUST_200600_302600_NS6detail15normal_iteratorINS9_10device_ptrIxEEEEPS5_m14custom_greaterIxEEE10hipError_tT0_T1_T2_jT3_P12ihipStream_tbPNSt15iterator_traitsISJ_E10value_typeEPNSP_ISK_E10value_typeEPSL_NS1_7vsmem_tEENKUlT_SJ_SK_SL_E_clISE_PxSF_SF_EESI_SY_SJ_SK_SL_EUlSY_E_NS1_11comp_targetILNS1_3genE10ELNS1_11target_archE1201ELNS1_3gpuE5ELNS1_3repE0EEENS1_48merge_mergepath_partition_config_static_selectorELNS0_4arch9wavefront6targetE1EEEvSK_: ; @_ZN7rocprim17ROCPRIM_400000_NS6detail17trampoline_kernelINS0_14default_configENS1_38merge_sort_block_merge_config_selectorIxNS0_10empty_typeEEEZZNS1_27merge_sort_block_merge_implIS3_N6thrust23THRUST_200600_302600_NS6detail15normal_iteratorINS9_10device_ptrIxEEEEPS5_m14custom_greaterIxEEE10hipError_tT0_T1_T2_jT3_P12ihipStream_tbPNSt15iterator_traitsISJ_E10value_typeEPNSP_ISK_E10value_typeEPSL_NS1_7vsmem_tEENKUlT_SJ_SK_SL_E_clISE_PxSF_SF_EESI_SY_SJ_SK_SL_EUlSY_E_NS1_11comp_targetILNS1_3genE10ELNS1_11target_archE1201ELNS1_3gpuE5ELNS1_3repE0EEENS1_48merge_mergepath_partition_config_static_selectorELNS0_4arch9wavefront6targetE1EEEvSK_
; %bb.0:
	.section	.rodata,"a",@progbits
	.p2align	6, 0x0
	.amdhsa_kernel _ZN7rocprim17ROCPRIM_400000_NS6detail17trampoline_kernelINS0_14default_configENS1_38merge_sort_block_merge_config_selectorIxNS0_10empty_typeEEEZZNS1_27merge_sort_block_merge_implIS3_N6thrust23THRUST_200600_302600_NS6detail15normal_iteratorINS9_10device_ptrIxEEEEPS5_m14custom_greaterIxEEE10hipError_tT0_T1_T2_jT3_P12ihipStream_tbPNSt15iterator_traitsISJ_E10value_typeEPNSP_ISK_E10value_typeEPSL_NS1_7vsmem_tEENKUlT_SJ_SK_SL_E_clISE_PxSF_SF_EESI_SY_SJ_SK_SL_EUlSY_E_NS1_11comp_targetILNS1_3genE10ELNS1_11target_archE1201ELNS1_3gpuE5ELNS1_3repE0EEENS1_48merge_mergepath_partition_config_static_selectorELNS0_4arch9wavefront6targetE1EEEvSK_
		.amdhsa_group_segment_fixed_size 0
		.amdhsa_private_segment_fixed_size 0
		.amdhsa_kernarg_size 48
		.amdhsa_user_sgpr_count 6
		.amdhsa_user_sgpr_private_segment_buffer 1
		.amdhsa_user_sgpr_dispatch_ptr 0
		.amdhsa_user_sgpr_queue_ptr 0
		.amdhsa_user_sgpr_kernarg_segment_ptr 1
		.amdhsa_user_sgpr_dispatch_id 0
		.amdhsa_user_sgpr_flat_scratch_init 0
		.amdhsa_user_sgpr_kernarg_preload_length 0
		.amdhsa_user_sgpr_kernarg_preload_offset 0
		.amdhsa_user_sgpr_private_segment_size 0
		.amdhsa_uses_dynamic_stack 0
		.amdhsa_system_sgpr_private_segment_wavefront_offset 0
		.amdhsa_system_sgpr_workgroup_id_x 1
		.amdhsa_system_sgpr_workgroup_id_y 0
		.amdhsa_system_sgpr_workgroup_id_z 0
		.amdhsa_system_sgpr_workgroup_info 0
		.amdhsa_system_vgpr_workitem_id 0
		.amdhsa_next_free_vgpr 1
		.amdhsa_next_free_sgpr 0
		.amdhsa_accum_offset 4
		.amdhsa_reserve_vcc 0
		.amdhsa_reserve_flat_scratch 0
		.amdhsa_float_round_mode_32 0
		.amdhsa_float_round_mode_16_64 0
		.amdhsa_float_denorm_mode_32 3
		.amdhsa_float_denorm_mode_16_64 3
		.amdhsa_dx10_clamp 1
		.amdhsa_ieee_mode 1
		.amdhsa_fp16_overflow 0
		.amdhsa_tg_split 0
		.amdhsa_exception_fp_ieee_invalid_op 0
		.amdhsa_exception_fp_denorm_src 0
		.amdhsa_exception_fp_ieee_div_zero 0
		.amdhsa_exception_fp_ieee_overflow 0
		.amdhsa_exception_fp_ieee_underflow 0
		.amdhsa_exception_fp_ieee_inexact 0
		.amdhsa_exception_int_div_zero 0
	.end_amdhsa_kernel
	.section	.text._ZN7rocprim17ROCPRIM_400000_NS6detail17trampoline_kernelINS0_14default_configENS1_38merge_sort_block_merge_config_selectorIxNS0_10empty_typeEEEZZNS1_27merge_sort_block_merge_implIS3_N6thrust23THRUST_200600_302600_NS6detail15normal_iteratorINS9_10device_ptrIxEEEEPS5_m14custom_greaterIxEEE10hipError_tT0_T1_T2_jT3_P12ihipStream_tbPNSt15iterator_traitsISJ_E10value_typeEPNSP_ISK_E10value_typeEPSL_NS1_7vsmem_tEENKUlT_SJ_SK_SL_E_clISE_PxSF_SF_EESI_SY_SJ_SK_SL_EUlSY_E_NS1_11comp_targetILNS1_3genE10ELNS1_11target_archE1201ELNS1_3gpuE5ELNS1_3repE0EEENS1_48merge_mergepath_partition_config_static_selectorELNS0_4arch9wavefront6targetE1EEEvSK_,"axG",@progbits,_ZN7rocprim17ROCPRIM_400000_NS6detail17trampoline_kernelINS0_14default_configENS1_38merge_sort_block_merge_config_selectorIxNS0_10empty_typeEEEZZNS1_27merge_sort_block_merge_implIS3_N6thrust23THRUST_200600_302600_NS6detail15normal_iteratorINS9_10device_ptrIxEEEEPS5_m14custom_greaterIxEEE10hipError_tT0_T1_T2_jT3_P12ihipStream_tbPNSt15iterator_traitsISJ_E10value_typeEPNSP_ISK_E10value_typeEPSL_NS1_7vsmem_tEENKUlT_SJ_SK_SL_E_clISE_PxSF_SF_EESI_SY_SJ_SK_SL_EUlSY_E_NS1_11comp_targetILNS1_3genE10ELNS1_11target_archE1201ELNS1_3gpuE5ELNS1_3repE0EEENS1_48merge_mergepath_partition_config_static_selectorELNS0_4arch9wavefront6targetE1EEEvSK_,comdat
.Lfunc_end3413:
	.size	_ZN7rocprim17ROCPRIM_400000_NS6detail17trampoline_kernelINS0_14default_configENS1_38merge_sort_block_merge_config_selectorIxNS0_10empty_typeEEEZZNS1_27merge_sort_block_merge_implIS3_N6thrust23THRUST_200600_302600_NS6detail15normal_iteratorINS9_10device_ptrIxEEEEPS5_m14custom_greaterIxEEE10hipError_tT0_T1_T2_jT3_P12ihipStream_tbPNSt15iterator_traitsISJ_E10value_typeEPNSP_ISK_E10value_typeEPSL_NS1_7vsmem_tEENKUlT_SJ_SK_SL_E_clISE_PxSF_SF_EESI_SY_SJ_SK_SL_EUlSY_E_NS1_11comp_targetILNS1_3genE10ELNS1_11target_archE1201ELNS1_3gpuE5ELNS1_3repE0EEENS1_48merge_mergepath_partition_config_static_selectorELNS0_4arch9wavefront6targetE1EEEvSK_, .Lfunc_end3413-_ZN7rocprim17ROCPRIM_400000_NS6detail17trampoline_kernelINS0_14default_configENS1_38merge_sort_block_merge_config_selectorIxNS0_10empty_typeEEEZZNS1_27merge_sort_block_merge_implIS3_N6thrust23THRUST_200600_302600_NS6detail15normal_iteratorINS9_10device_ptrIxEEEEPS5_m14custom_greaterIxEEE10hipError_tT0_T1_T2_jT3_P12ihipStream_tbPNSt15iterator_traitsISJ_E10value_typeEPNSP_ISK_E10value_typeEPSL_NS1_7vsmem_tEENKUlT_SJ_SK_SL_E_clISE_PxSF_SF_EESI_SY_SJ_SK_SL_EUlSY_E_NS1_11comp_targetILNS1_3genE10ELNS1_11target_archE1201ELNS1_3gpuE5ELNS1_3repE0EEENS1_48merge_mergepath_partition_config_static_selectorELNS0_4arch9wavefront6targetE1EEEvSK_
                                        ; -- End function
	.section	.AMDGPU.csdata,"",@progbits
; Kernel info:
; codeLenInByte = 0
; NumSgprs: 4
; NumVgprs: 0
; NumAgprs: 0
; TotalNumVgprs: 0
; ScratchSize: 0
; MemoryBound: 0
; FloatMode: 240
; IeeeMode: 1
; LDSByteSize: 0 bytes/workgroup (compile time only)
; SGPRBlocks: 0
; VGPRBlocks: 0
; NumSGPRsForWavesPerEU: 4
; NumVGPRsForWavesPerEU: 1
; AccumOffset: 4
; Occupancy: 8
; WaveLimiterHint : 0
; COMPUTE_PGM_RSRC2:SCRATCH_EN: 0
; COMPUTE_PGM_RSRC2:USER_SGPR: 6
; COMPUTE_PGM_RSRC2:TRAP_HANDLER: 0
; COMPUTE_PGM_RSRC2:TGID_X_EN: 1
; COMPUTE_PGM_RSRC2:TGID_Y_EN: 0
; COMPUTE_PGM_RSRC2:TGID_Z_EN: 0
; COMPUTE_PGM_RSRC2:TIDIG_COMP_CNT: 0
; COMPUTE_PGM_RSRC3_GFX90A:ACCUM_OFFSET: 0
; COMPUTE_PGM_RSRC3_GFX90A:TG_SPLIT: 0
	.section	.text._ZN7rocprim17ROCPRIM_400000_NS6detail17trampoline_kernelINS0_14default_configENS1_38merge_sort_block_merge_config_selectorIxNS0_10empty_typeEEEZZNS1_27merge_sort_block_merge_implIS3_N6thrust23THRUST_200600_302600_NS6detail15normal_iteratorINS9_10device_ptrIxEEEEPS5_m14custom_greaterIxEEE10hipError_tT0_T1_T2_jT3_P12ihipStream_tbPNSt15iterator_traitsISJ_E10value_typeEPNSP_ISK_E10value_typeEPSL_NS1_7vsmem_tEENKUlT_SJ_SK_SL_E_clISE_PxSF_SF_EESI_SY_SJ_SK_SL_EUlSY_E_NS1_11comp_targetILNS1_3genE5ELNS1_11target_archE942ELNS1_3gpuE9ELNS1_3repE0EEENS1_48merge_mergepath_partition_config_static_selectorELNS0_4arch9wavefront6targetE1EEEvSK_,"axG",@progbits,_ZN7rocprim17ROCPRIM_400000_NS6detail17trampoline_kernelINS0_14default_configENS1_38merge_sort_block_merge_config_selectorIxNS0_10empty_typeEEEZZNS1_27merge_sort_block_merge_implIS3_N6thrust23THRUST_200600_302600_NS6detail15normal_iteratorINS9_10device_ptrIxEEEEPS5_m14custom_greaterIxEEE10hipError_tT0_T1_T2_jT3_P12ihipStream_tbPNSt15iterator_traitsISJ_E10value_typeEPNSP_ISK_E10value_typeEPSL_NS1_7vsmem_tEENKUlT_SJ_SK_SL_E_clISE_PxSF_SF_EESI_SY_SJ_SK_SL_EUlSY_E_NS1_11comp_targetILNS1_3genE5ELNS1_11target_archE942ELNS1_3gpuE9ELNS1_3repE0EEENS1_48merge_mergepath_partition_config_static_selectorELNS0_4arch9wavefront6targetE1EEEvSK_,comdat
	.protected	_ZN7rocprim17ROCPRIM_400000_NS6detail17trampoline_kernelINS0_14default_configENS1_38merge_sort_block_merge_config_selectorIxNS0_10empty_typeEEEZZNS1_27merge_sort_block_merge_implIS3_N6thrust23THRUST_200600_302600_NS6detail15normal_iteratorINS9_10device_ptrIxEEEEPS5_m14custom_greaterIxEEE10hipError_tT0_T1_T2_jT3_P12ihipStream_tbPNSt15iterator_traitsISJ_E10value_typeEPNSP_ISK_E10value_typeEPSL_NS1_7vsmem_tEENKUlT_SJ_SK_SL_E_clISE_PxSF_SF_EESI_SY_SJ_SK_SL_EUlSY_E_NS1_11comp_targetILNS1_3genE5ELNS1_11target_archE942ELNS1_3gpuE9ELNS1_3repE0EEENS1_48merge_mergepath_partition_config_static_selectorELNS0_4arch9wavefront6targetE1EEEvSK_ ; -- Begin function _ZN7rocprim17ROCPRIM_400000_NS6detail17trampoline_kernelINS0_14default_configENS1_38merge_sort_block_merge_config_selectorIxNS0_10empty_typeEEEZZNS1_27merge_sort_block_merge_implIS3_N6thrust23THRUST_200600_302600_NS6detail15normal_iteratorINS9_10device_ptrIxEEEEPS5_m14custom_greaterIxEEE10hipError_tT0_T1_T2_jT3_P12ihipStream_tbPNSt15iterator_traitsISJ_E10value_typeEPNSP_ISK_E10value_typeEPSL_NS1_7vsmem_tEENKUlT_SJ_SK_SL_E_clISE_PxSF_SF_EESI_SY_SJ_SK_SL_EUlSY_E_NS1_11comp_targetILNS1_3genE5ELNS1_11target_archE942ELNS1_3gpuE9ELNS1_3repE0EEENS1_48merge_mergepath_partition_config_static_selectorELNS0_4arch9wavefront6targetE1EEEvSK_
	.globl	_ZN7rocprim17ROCPRIM_400000_NS6detail17trampoline_kernelINS0_14default_configENS1_38merge_sort_block_merge_config_selectorIxNS0_10empty_typeEEEZZNS1_27merge_sort_block_merge_implIS3_N6thrust23THRUST_200600_302600_NS6detail15normal_iteratorINS9_10device_ptrIxEEEEPS5_m14custom_greaterIxEEE10hipError_tT0_T1_T2_jT3_P12ihipStream_tbPNSt15iterator_traitsISJ_E10value_typeEPNSP_ISK_E10value_typeEPSL_NS1_7vsmem_tEENKUlT_SJ_SK_SL_E_clISE_PxSF_SF_EESI_SY_SJ_SK_SL_EUlSY_E_NS1_11comp_targetILNS1_3genE5ELNS1_11target_archE942ELNS1_3gpuE9ELNS1_3repE0EEENS1_48merge_mergepath_partition_config_static_selectorELNS0_4arch9wavefront6targetE1EEEvSK_
	.p2align	8
	.type	_ZN7rocprim17ROCPRIM_400000_NS6detail17trampoline_kernelINS0_14default_configENS1_38merge_sort_block_merge_config_selectorIxNS0_10empty_typeEEEZZNS1_27merge_sort_block_merge_implIS3_N6thrust23THRUST_200600_302600_NS6detail15normal_iteratorINS9_10device_ptrIxEEEEPS5_m14custom_greaterIxEEE10hipError_tT0_T1_T2_jT3_P12ihipStream_tbPNSt15iterator_traitsISJ_E10value_typeEPNSP_ISK_E10value_typeEPSL_NS1_7vsmem_tEENKUlT_SJ_SK_SL_E_clISE_PxSF_SF_EESI_SY_SJ_SK_SL_EUlSY_E_NS1_11comp_targetILNS1_3genE5ELNS1_11target_archE942ELNS1_3gpuE9ELNS1_3repE0EEENS1_48merge_mergepath_partition_config_static_selectorELNS0_4arch9wavefront6targetE1EEEvSK_,@function
_ZN7rocprim17ROCPRIM_400000_NS6detail17trampoline_kernelINS0_14default_configENS1_38merge_sort_block_merge_config_selectorIxNS0_10empty_typeEEEZZNS1_27merge_sort_block_merge_implIS3_N6thrust23THRUST_200600_302600_NS6detail15normal_iteratorINS9_10device_ptrIxEEEEPS5_m14custom_greaterIxEEE10hipError_tT0_T1_T2_jT3_P12ihipStream_tbPNSt15iterator_traitsISJ_E10value_typeEPNSP_ISK_E10value_typeEPSL_NS1_7vsmem_tEENKUlT_SJ_SK_SL_E_clISE_PxSF_SF_EESI_SY_SJ_SK_SL_EUlSY_E_NS1_11comp_targetILNS1_3genE5ELNS1_11target_archE942ELNS1_3gpuE9ELNS1_3repE0EEENS1_48merge_mergepath_partition_config_static_selectorELNS0_4arch9wavefront6targetE1EEEvSK_: ; @_ZN7rocprim17ROCPRIM_400000_NS6detail17trampoline_kernelINS0_14default_configENS1_38merge_sort_block_merge_config_selectorIxNS0_10empty_typeEEEZZNS1_27merge_sort_block_merge_implIS3_N6thrust23THRUST_200600_302600_NS6detail15normal_iteratorINS9_10device_ptrIxEEEEPS5_m14custom_greaterIxEEE10hipError_tT0_T1_T2_jT3_P12ihipStream_tbPNSt15iterator_traitsISJ_E10value_typeEPNSP_ISK_E10value_typeEPSL_NS1_7vsmem_tEENKUlT_SJ_SK_SL_E_clISE_PxSF_SF_EESI_SY_SJ_SK_SL_EUlSY_E_NS1_11comp_targetILNS1_3genE5ELNS1_11target_archE942ELNS1_3gpuE9ELNS1_3repE0EEENS1_48merge_mergepath_partition_config_static_selectorELNS0_4arch9wavefront6targetE1EEEvSK_
; %bb.0:
	.section	.rodata,"a",@progbits
	.p2align	6, 0x0
	.amdhsa_kernel _ZN7rocprim17ROCPRIM_400000_NS6detail17trampoline_kernelINS0_14default_configENS1_38merge_sort_block_merge_config_selectorIxNS0_10empty_typeEEEZZNS1_27merge_sort_block_merge_implIS3_N6thrust23THRUST_200600_302600_NS6detail15normal_iteratorINS9_10device_ptrIxEEEEPS5_m14custom_greaterIxEEE10hipError_tT0_T1_T2_jT3_P12ihipStream_tbPNSt15iterator_traitsISJ_E10value_typeEPNSP_ISK_E10value_typeEPSL_NS1_7vsmem_tEENKUlT_SJ_SK_SL_E_clISE_PxSF_SF_EESI_SY_SJ_SK_SL_EUlSY_E_NS1_11comp_targetILNS1_3genE5ELNS1_11target_archE942ELNS1_3gpuE9ELNS1_3repE0EEENS1_48merge_mergepath_partition_config_static_selectorELNS0_4arch9wavefront6targetE1EEEvSK_
		.amdhsa_group_segment_fixed_size 0
		.amdhsa_private_segment_fixed_size 0
		.amdhsa_kernarg_size 48
		.amdhsa_user_sgpr_count 6
		.amdhsa_user_sgpr_private_segment_buffer 1
		.amdhsa_user_sgpr_dispatch_ptr 0
		.amdhsa_user_sgpr_queue_ptr 0
		.amdhsa_user_sgpr_kernarg_segment_ptr 1
		.amdhsa_user_sgpr_dispatch_id 0
		.amdhsa_user_sgpr_flat_scratch_init 0
		.amdhsa_user_sgpr_kernarg_preload_length 0
		.amdhsa_user_sgpr_kernarg_preload_offset 0
		.amdhsa_user_sgpr_private_segment_size 0
		.amdhsa_uses_dynamic_stack 0
		.amdhsa_system_sgpr_private_segment_wavefront_offset 0
		.amdhsa_system_sgpr_workgroup_id_x 1
		.amdhsa_system_sgpr_workgroup_id_y 0
		.amdhsa_system_sgpr_workgroup_id_z 0
		.amdhsa_system_sgpr_workgroup_info 0
		.amdhsa_system_vgpr_workitem_id 0
		.amdhsa_next_free_vgpr 1
		.amdhsa_next_free_sgpr 0
		.amdhsa_accum_offset 4
		.amdhsa_reserve_vcc 0
		.amdhsa_reserve_flat_scratch 0
		.amdhsa_float_round_mode_32 0
		.amdhsa_float_round_mode_16_64 0
		.amdhsa_float_denorm_mode_32 3
		.amdhsa_float_denorm_mode_16_64 3
		.amdhsa_dx10_clamp 1
		.amdhsa_ieee_mode 1
		.amdhsa_fp16_overflow 0
		.amdhsa_tg_split 0
		.amdhsa_exception_fp_ieee_invalid_op 0
		.amdhsa_exception_fp_denorm_src 0
		.amdhsa_exception_fp_ieee_div_zero 0
		.amdhsa_exception_fp_ieee_overflow 0
		.amdhsa_exception_fp_ieee_underflow 0
		.amdhsa_exception_fp_ieee_inexact 0
		.amdhsa_exception_int_div_zero 0
	.end_amdhsa_kernel
	.section	.text._ZN7rocprim17ROCPRIM_400000_NS6detail17trampoline_kernelINS0_14default_configENS1_38merge_sort_block_merge_config_selectorIxNS0_10empty_typeEEEZZNS1_27merge_sort_block_merge_implIS3_N6thrust23THRUST_200600_302600_NS6detail15normal_iteratorINS9_10device_ptrIxEEEEPS5_m14custom_greaterIxEEE10hipError_tT0_T1_T2_jT3_P12ihipStream_tbPNSt15iterator_traitsISJ_E10value_typeEPNSP_ISK_E10value_typeEPSL_NS1_7vsmem_tEENKUlT_SJ_SK_SL_E_clISE_PxSF_SF_EESI_SY_SJ_SK_SL_EUlSY_E_NS1_11comp_targetILNS1_3genE5ELNS1_11target_archE942ELNS1_3gpuE9ELNS1_3repE0EEENS1_48merge_mergepath_partition_config_static_selectorELNS0_4arch9wavefront6targetE1EEEvSK_,"axG",@progbits,_ZN7rocprim17ROCPRIM_400000_NS6detail17trampoline_kernelINS0_14default_configENS1_38merge_sort_block_merge_config_selectorIxNS0_10empty_typeEEEZZNS1_27merge_sort_block_merge_implIS3_N6thrust23THRUST_200600_302600_NS6detail15normal_iteratorINS9_10device_ptrIxEEEEPS5_m14custom_greaterIxEEE10hipError_tT0_T1_T2_jT3_P12ihipStream_tbPNSt15iterator_traitsISJ_E10value_typeEPNSP_ISK_E10value_typeEPSL_NS1_7vsmem_tEENKUlT_SJ_SK_SL_E_clISE_PxSF_SF_EESI_SY_SJ_SK_SL_EUlSY_E_NS1_11comp_targetILNS1_3genE5ELNS1_11target_archE942ELNS1_3gpuE9ELNS1_3repE0EEENS1_48merge_mergepath_partition_config_static_selectorELNS0_4arch9wavefront6targetE1EEEvSK_,comdat
.Lfunc_end3414:
	.size	_ZN7rocprim17ROCPRIM_400000_NS6detail17trampoline_kernelINS0_14default_configENS1_38merge_sort_block_merge_config_selectorIxNS0_10empty_typeEEEZZNS1_27merge_sort_block_merge_implIS3_N6thrust23THRUST_200600_302600_NS6detail15normal_iteratorINS9_10device_ptrIxEEEEPS5_m14custom_greaterIxEEE10hipError_tT0_T1_T2_jT3_P12ihipStream_tbPNSt15iterator_traitsISJ_E10value_typeEPNSP_ISK_E10value_typeEPSL_NS1_7vsmem_tEENKUlT_SJ_SK_SL_E_clISE_PxSF_SF_EESI_SY_SJ_SK_SL_EUlSY_E_NS1_11comp_targetILNS1_3genE5ELNS1_11target_archE942ELNS1_3gpuE9ELNS1_3repE0EEENS1_48merge_mergepath_partition_config_static_selectorELNS0_4arch9wavefront6targetE1EEEvSK_, .Lfunc_end3414-_ZN7rocprim17ROCPRIM_400000_NS6detail17trampoline_kernelINS0_14default_configENS1_38merge_sort_block_merge_config_selectorIxNS0_10empty_typeEEEZZNS1_27merge_sort_block_merge_implIS3_N6thrust23THRUST_200600_302600_NS6detail15normal_iteratorINS9_10device_ptrIxEEEEPS5_m14custom_greaterIxEEE10hipError_tT0_T1_T2_jT3_P12ihipStream_tbPNSt15iterator_traitsISJ_E10value_typeEPNSP_ISK_E10value_typeEPSL_NS1_7vsmem_tEENKUlT_SJ_SK_SL_E_clISE_PxSF_SF_EESI_SY_SJ_SK_SL_EUlSY_E_NS1_11comp_targetILNS1_3genE5ELNS1_11target_archE942ELNS1_3gpuE9ELNS1_3repE0EEENS1_48merge_mergepath_partition_config_static_selectorELNS0_4arch9wavefront6targetE1EEEvSK_
                                        ; -- End function
	.section	.AMDGPU.csdata,"",@progbits
; Kernel info:
; codeLenInByte = 0
; NumSgprs: 4
; NumVgprs: 0
; NumAgprs: 0
; TotalNumVgprs: 0
; ScratchSize: 0
; MemoryBound: 0
; FloatMode: 240
; IeeeMode: 1
; LDSByteSize: 0 bytes/workgroup (compile time only)
; SGPRBlocks: 0
; VGPRBlocks: 0
; NumSGPRsForWavesPerEU: 4
; NumVGPRsForWavesPerEU: 1
; AccumOffset: 4
; Occupancy: 8
; WaveLimiterHint : 0
; COMPUTE_PGM_RSRC2:SCRATCH_EN: 0
; COMPUTE_PGM_RSRC2:USER_SGPR: 6
; COMPUTE_PGM_RSRC2:TRAP_HANDLER: 0
; COMPUTE_PGM_RSRC2:TGID_X_EN: 1
; COMPUTE_PGM_RSRC2:TGID_Y_EN: 0
; COMPUTE_PGM_RSRC2:TGID_Z_EN: 0
; COMPUTE_PGM_RSRC2:TIDIG_COMP_CNT: 0
; COMPUTE_PGM_RSRC3_GFX90A:ACCUM_OFFSET: 0
; COMPUTE_PGM_RSRC3_GFX90A:TG_SPLIT: 0
	.section	.text._ZN7rocprim17ROCPRIM_400000_NS6detail17trampoline_kernelINS0_14default_configENS1_38merge_sort_block_merge_config_selectorIxNS0_10empty_typeEEEZZNS1_27merge_sort_block_merge_implIS3_N6thrust23THRUST_200600_302600_NS6detail15normal_iteratorINS9_10device_ptrIxEEEEPS5_m14custom_greaterIxEEE10hipError_tT0_T1_T2_jT3_P12ihipStream_tbPNSt15iterator_traitsISJ_E10value_typeEPNSP_ISK_E10value_typeEPSL_NS1_7vsmem_tEENKUlT_SJ_SK_SL_E_clISE_PxSF_SF_EESI_SY_SJ_SK_SL_EUlSY_E_NS1_11comp_targetILNS1_3genE4ELNS1_11target_archE910ELNS1_3gpuE8ELNS1_3repE0EEENS1_48merge_mergepath_partition_config_static_selectorELNS0_4arch9wavefront6targetE1EEEvSK_,"axG",@progbits,_ZN7rocprim17ROCPRIM_400000_NS6detail17trampoline_kernelINS0_14default_configENS1_38merge_sort_block_merge_config_selectorIxNS0_10empty_typeEEEZZNS1_27merge_sort_block_merge_implIS3_N6thrust23THRUST_200600_302600_NS6detail15normal_iteratorINS9_10device_ptrIxEEEEPS5_m14custom_greaterIxEEE10hipError_tT0_T1_T2_jT3_P12ihipStream_tbPNSt15iterator_traitsISJ_E10value_typeEPNSP_ISK_E10value_typeEPSL_NS1_7vsmem_tEENKUlT_SJ_SK_SL_E_clISE_PxSF_SF_EESI_SY_SJ_SK_SL_EUlSY_E_NS1_11comp_targetILNS1_3genE4ELNS1_11target_archE910ELNS1_3gpuE8ELNS1_3repE0EEENS1_48merge_mergepath_partition_config_static_selectorELNS0_4arch9wavefront6targetE1EEEvSK_,comdat
	.protected	_ZN7rocprim17ROCPRIM_400000_NS6detail17trampoline_kernelINS0_14default_configENS1_38merge_sort_block_merge_config_selectorIxNS0_10empty_typeEEEZZNS1_27merge_sort_block_merge_implIS3_N6thrust23THRUST_200600_302600_NS6detail15normal_iteratorINS9_10device_ptrIxEEEEPS5_m14custom_greaterIxEEE10hipError_tT0_T1_T2_jT3_P12ihipStream_tbPNSt15iterator_traitsISJ_E10value_typeEPNSP_ISK_E10value_typeEPSL_NS1_7vsmem_tEENKUlT_SJ_SK_SL_E_clISE_PxSF_SF_EESI_SY_SJ_SK_SL_EUlSY_E_NS1_11comp_targetILNS1_3genE4ELNS1_11target_archE910ELNS1_3gpuE8ELNS1_3repE0EEENS1_48merge_mergepath_partition_config_static_selectorELNS0_4arch9wavefront6targetE1EEEvSK_ ; -- Begin function _ZN7rocprim17ROCPRIM_400000_NS6detail17trampoline_kernelINS0_14default_configENS1_38merge_sort_block_merge_config_selectorIxNS0_10empty_typeEEEZZNS1_27merge_sort_block_merge_implIS3_N6thrust23THRUST_200600_302600_NS6detail15normal_iteratorINS9_10device_ptrIxEEEEPS5_m14custom_greaterIxEEE10hipError_tT0_T1_T2_jT3_P12ihipStream_tbPNSt15iterator_traitsISJ_E10value_typeEPNSP_ISK_E10value_typeEPSL_NS1_7vsmem_tEENKUlT_SJ_SK_SL_E_clISE_PxSF_SF_EESI_SY_SJ_SK_SL_EUlSY_E_NS1_11comp_targetILNS1_3genE4ELNS1_11target_archE910ELNS1_3gpuE8ELNS1_3repE0EEENS1_48merge_mergepath_partition_config_static_selectorELNS0_4arch9wavefront6targetE1EEEvSK_
	.globl	_ZN7rocprim17ROCPRIM_400000_NS6detail17trampoline_kernelINS0_14default_configENS1_38merge_sort_block_merge_config_selectorIxNS0_10empty_typeEEEZZNS1_27merge_sort_block_merge_implIS3_N6thrust23THRUST_200600_302600_NS6detail15normal_iteratorINS9_10device_ptrIxEEEEPS5_m14custom_greaterIxEEE10hipError_tT0_T1_T2_jT3_P12ihipStream_tbPNSt15iterator_traitsISJ_E10value_typeEPNSP_ISK_E10value_typeEPSL_NS1_7vsmem_tEENKUlT_SJ_SK_SL_E_clISE_PxSF_SF_EESI_SY_SJ_SK_SL_EUlSY_E_NS1_11comp_targetILNS1_3genE4ELNS1_11target_archE910ELNS1_3gpuE8ELNS1_3repE0EEENS1_48merge_mergepath_partition_config_static_selectorELNS0_4arch9wavefront6targetE1EEEvSK_
	.p2align	8
	.type	_ZN7rocprim17ROCPRIM_400000_NS6detail17trampoline_kernelINS0_14default_configENS1_38merge_sort_block_merge_config_selectorIxNS0_10empty_typeEEEZZNS1_27merge_sort_block_merge_implIS3_N6thrust23THRUST_200600_302600_NS6detail15normal_iteratorINS9_10device_ptrIxEEEEPS5_m14custom_greaterIxEEE10hipError_tT0_T1_T2_jT3_P12ihipStream_tbPNSt15iterator_traitsISJ_E10value_typeEPNSP_ISK_E10value_typeEPSL_NS1_7vsmem_tEENKUlT_SJ_SK_SL_E_clISE_PxSF_SF_EESI_SY_SJ_SK_SL_EUlSY_E_NS1_11comp_targetILNS1_3genE4ELNS1_11target_archE910ELNS1_3gpuE8ELNS1_3repE0EEENS1_48merge_mergepath_partition_config_static_selectorELNS0_4arch9wavefront6targetE1EEEvSK_,@function
_ZN7rocprim17ROCPRIM_400000_NS6detail17trampoline_kernelINS0_14default_configENS1_38merge_sort_block_merge_config_selectorIxNS0_10empty_typeEEEZZNS1_27merge_sort_block_merge_implIS3_N6thrust23THRUST_200600_302600_NS6detail15normal_iteratorINS9_10device_ptrIxEEEEPS5_m14custom_greaterIxEEE10hipError_tT0_T1_T2_jT3_P12ihipStream_tbPNSt15iterator_traitsISJ_E10value_typeEPNSP_ISK_E10value_typeEPSL_NS1_7vsmem_tEENKUlT_SJ_SK_SL_E_clISE_PxSF_SF_EESI_SY_SJ_SK_SL_EUlSY_E_NS1_11comp_targetILNS1_3genE4ELNS1_11target_archE910ELNS1_3gpuE8ELNS1_3repE0EEENS1_48merge_mergepath_partition_config_static_selectorELNS0_4arch9wavefront6targetE1EEEvSK_: ; @_ZN7rocprim17ROCPRIM_400000_NS6detail17trampoline_kernelINS0_14default_configENS1_38merge_sort_block_merge_config_selectorIxNS0_10empty_typeEEEZZNS1_27merge_sort_block_merge_implIS3_N6thrust23THRUST_200600_302600_NS6detail15normal_iteratorINS9_10device_ptrIxEEEEPS5_m14custom_greaterIxEEE10hipError_tT0_T1_T2_jT3_P12ihipStream_tbPNSt15iterator_traitsISJ_E10value_typeEPNSP_ISK_E10value_typeEPSL_NS1_7vsmem_tEENKUlT_SJ_SK_SL_E_clISE_PxSF_SF_EESI_SY_SJ_SK_SL_EUlSY_E_NS1_11comp_targetILNS1_3genE4ELNS1_11target_archE910ELNS1_3gpuE8ELNS1_3repE0EEENS1_48merge_mergepath_partition_config_static_selectorELNS0_4arch9wavefront6targetE1EEEvSK_
; %bb.0:
	s_load_dword s0, s[4:5], 0x0
	v_lshl_or_b32 v0, s6, 7, v0
	s_waitcnt lgkmcnt(0)
	v_cmp_gt_u32_e32 vcc, s0, v0
	s_and_saveexec_b64 s[0:1], vcc
	s_cbranch_execz .LBB3415_6
; %bb.1:
	s_load_dwordx4 s[0:3], s[4:5], 0x8
	s_load_dwordx2 s[6:7], s[4:5], 0x28
	v_mov_b32_e32 v5, 0
	s_waitcnt lgkmcnt(0)
	v_mov_b32_e32 v1, s0
	v_alignbit_b32 v1, s1, v1, 9
	v_and_b32_e32 v1, -2, v1
	v_add_u32_e32 v2, -1, v1
	v_sub_u32_e32 v1, 0, v1
	v_and_b32_e32 v4, v0, v1
	v_lshlrev_b64 v[8:9], 10, v[4:5]
	v_mov_b32_e32 v1, s3
	v_cmp_lt_u64_e32 vcc, s[2:3], v[8:9]
	v_mov_b32_e32 v4, s2
	v_and_b32_e32 v6, v2, v0
	v_cndmask_b32_e32 v3, v9, v1, vcc
	v_cndmask_b32_e32 v2, v8, v4, vcc
	v_mov_b32_e32 v7, s1
	v_add_co_u32_e32 v8, vcc, s0, v8
	v_addc_co_u32_e32 v9, vcc, v9, v7, vcc
	v_cmp_lt_u64_e32 vcc, s[2:3], v[8:9]
	v_cndmask_b32_e32 v8, v8, v4, vcc
	v_cndmask_b32_e32 v9, v9, v1, vcc
	v_add_co_u32_e32 v10, vcc, s0, v8
	v_addc_co_u32_e32 v11, vcc, v9, v7, vcc
	v_cmp_lt_u64_e32 vcc, s[2:3], v[10:11]
	v_cndmask_b32_e32 v12, v10, v4, vcc
	v_cndmask_b32_e32 v1, v11, v1, vcc
	v_sub_co_u32_e32 v10, vcc, v12, v2
	v_mov_b32_e32 v7, v5
	v_subb_co_u32_e32 v11, vcc, v1, v3, vcc
	v_lshlrev_b64 v[4:5], 10, v[6:7]
	v_cmp_lt_u64_e32 vcc, v[10:11], v[4:5]
	v_cndmask_b32_e32 v11, v5, v11, vcc
	v_cndmask_b32_e32 v10, v4, v10, vcc
	v_sub_co_u32_e32 v6, vcc, v8, v2
	v_subb_co_u32_e32 v7, vcc, v9, v3, vcc
	v_sub_co_u32_e32 v4, vcc, v8, v12
	v_subb_co_u32_e32 v1, vcc, v9, v1, vcc
	v_add_co_u32_e32 v4, vcc, v10, v4
	v_addc_co_u32_e32 v5, vcc, v11, v1, vcc
	v_cmp_gt_u64_e32 vcc, v[4:5], v[10:11]
	v_cndmask_b32_e64 v5, v5, 0, vcc
	v_cndmask_b32_e64 v4, v4, 0, vcc
	v_cmp_lt_u64_e32 vcc, v[10:11], v[6:7]
	v_cndmask_b32_e32 v7, v7, v11, vcc
	v_cndmask_b32_e32 v6, v6, v10, vcc
	v_cmp_lt_u64_e32 vcc, v[4:5], v[6:7]
	s_and_saveexec_b64 s[0:1], vcc
	s_cbranch_execz .LBB3415_5
; %bb.2:
	s_load_dwordx2 s[2:3], s[4:5], 0x18
	v_lshlrev_b64 v[12:13], 3, v[2:3]
	v_lshlrev_b64 v[8:9], 3, v[8:9]
	s_waitcnt lgkmcnt(0)
	v_mov_b32_e32 v14, s3
	v_add_co_u32_e32 v1, vcc, s2, v12
	v_addc_co_u32_e32 v12, vcc, v14, v13, vcc
	v_add_co_u32_e32 v13, vcc, s2, v8
	v_addc_co_u32_e32 v14, vcc, v14, v9, vcc
	v_lshlrev_b64 v[8:9], 3, v[10:11]
	v_add_co_u32_e32 v8, vcc, v13, v8
	v_addc_co_u32_e32 v9, vcc, v14, v9, vcc
	s_mov_b64 s[2:3], 0
.LBB3415_3:                             ; =>This Inner Loop Header: Depth=1
	v_add_co_u32_e32 v10, vcc, v6, v4
	v_addc_co_u32_e32 v11, vcc, v7, v5, vcc
	v_lshrrev_b64 v[10:11], 1, v[10:11]
	v_lshlrev_b64 v[16:17], 3, v[10:11]
	v_not_b32_e32 v15, v11
	v_not_b32_e32 v14, v10
	v_add_co_u32_e32 v16, vcc, v1, v16
	v_addc_co_u32_e32 v17, vcc, v12, v17, vcc
	v_lshlrev_b64 v[14:15], 3, v[14:15]
	v_add_co_u32_e32 v14, vcc, v8, v14
	v_addc_co_u32_e32 v15, vcc, v9, v15, vcc
	flat_load_dwordx2 v[18:19], v[16:17]
	flat_load_dwordx2 v[20:21], v[14:15]
	v_add_co_u32_e32 v13, vcc, 1, v10
	v_addc_co_u32_e32 v14, vcc, 0, v11, vcc
	s_waitcnt vmcnt(0) lgkmcnt(0)
	v_cmp_gt_i64_e32 vcc, v[18:19], v[20:21]
	v_cndmask_b32_e32 v7, v7, v11, vcc
	v_cndmask_b32_e32 v6, v6, v10, vcc
	;; [unrolled: 1-line block ×4, first 2 shown]
	v_cmp_ge_u64_e32 vcc, v[4:5], v[6:7]
	s_or_b64 s[2:3], vcc, s[2:3]
	s_andn2_b64 exec, exec, s[2:3]
	s_cbranch_execnz .LBB3415_3
; %bb.4:
	s_or_b64 exec, exec, s[2:3]
.LBB3415_5:
	s_or_b64 exec, exec, s[0:1]
	v_add_co_u32_e32 v2, vcc, v4, v2
	v_mov_b32_e32 v1, 0
	v_addc_co_u32_e32 v3, vcc, v5, v3, vcc
	v_lshlrev_b64 v[0:1], 3, v[0:1]
	v_mov_b32_e32 v4, s7
	v_add_co_u32_e32 v0, vcc, s6, v0
	v_addc_co_u32_e32 v1, vcc, v4, v1, vcc
	global_store_dwordx2 v[0:1], v[2:3], off
.LBB3415_6:
	s_endpgm
	.section	.rodata,"a",@progbits
	.p2align	6, 0x0
	.amdhsa_kernel _ZN7rocprim17ROCPRIM_400000_NS6detail17trampoline_kernelINS0_14default_configENS1_38merge_sort_block_merge_config_selectorIxNS0_10empty_typeEEEZZNS1_27merge_sort_block_merge_implIS3_N6thrust23THRUST_200600_302600_NS6detail15normal_iteratorINS9_10device_ptrIxEEEEPS5_m14custom_greaterIxEEE10hipError_tT0_T1_T2_jT3_P12ihipStream_tbPNSt15iterator_traitsISJ_E10value_typeEPNSP_ISK_E10value_typeEPSL_NS1_7vsmem_tEENKUlT_SJ_SK_SL_E_clISE_PxSF_SF_EESI_SY_SJ_SK_SL_EUlSY_E_NS1_11comp_targetILNS1_3genE4ELNS1_11target_archE910ELNS1_3gpuE8ELNS1_3repE0EEENS1_48merge_mergepath_partition_config_static_selectorELNS0_4arch9wavefront6targetE1EEEvSK_
		.amdhsa_group_segment_fixed_size 0
		.amdhsa_private_segment_fixed_size 0
		.amdhsa_kernarg_size 48
		.amdhsa_user_sgpr_count 6
		.amdhsa_user_sgpr_private_segment_buffer 1
		.amdhsa_user_sgpr_dispatch_ptr 0
		.amdhsa_user_sgpr_queue_ptr 0
		.amdhsa_user_sgpr_kernarg_segment_ptr 1
		.amdhsa_user_sgpr_dispatch_id 0
		.amdhsa_user_sgpr_flat_scratch_init 0
		.amdhsa_user_sgpr_kernarg_preload_length 0
		.amdhsa_user_sgpr_kernarg_preload_offset 0
		.amdhsa_user_sgpr_private_segment_size 0
		.amdhsa_uses_dynamic_stack 0
		.amdhsa_system_sgpr_private_segment_wavefront_offset 0
		.amdhsa_system_sgpr_workgroup_id_x 1
		.amdhsa_system_sgpr_workgroup_id_y 0
		.amdhsa_system_sgpr_workgroup_id_z 0
		.amdhsa_system_sgpr_workgroup_info 0
		.amdhsa_system_vgpr_workitem_id 0
		.amdhsa_next_free_vgpr 22
		.amdhsa_next_free_sgpr 8
		.amdhsa_accum_offset 24
		.amdhsa_reserve_vcc 1
		.amdhsa_reserve_flat_scratch 0
		.amdhsa_float_round_mode_32 0
		.amdhsa_float_round_mode_16_64 0
		.amdhsa_float_denorm_mode_32 3
		.amdhsa_float_denorm_mode_16_64 3
		.amdhsa_dx10_clamp 1
		.amdhsa_ieee_mode 1
		.amdhsa_fp16_overflow 0
		.amdhsa_tg_split 0
		.amdhsa_exception_fp_ieee_invalid_op 0
		.amdhsa_exception_fp_denorm_src 0
		.amdhsa_exception_fp_ieee_div_zero 0
		.amdhsa_exception_fp_ieee_overflow 0
		.amdhsa_exception_fp_ieee_underflow 0
		.amdhsa_exception_fp_ieee_inexact 0
		.amdhsa_exception_int_div_zero 0
	.end_amdhsa_kernel
	.section	.text._ZN7rocprim17ROCPRIM_400000_NS6detail17trampoline_kernelINS0_14default_configENS1_38merge_sort_block_merge_config_selectorIxNS0_10empty_typeEEEZZNS1_27merge_sort_block_merge_implIS3_N6thrust23THRUST_200600_302600_NS6detail15normal_iteratorINS9_10device_ptrIxEEEEPS5_m14custom_greaterIxEEE10hipError_tT0_T1_T2_jT3_P12ihipStream_tbPNSt15iterator_traitsISJ_E10value_typeEPNSP_ISK_E10value_typeEPSL_NS1_7vsmem_tEENKUlT_SJ_SK_SL_E_clISE_PxSF_SF_EESI_SY_SJ_SK_SL_EUlSY_E_NS1_11comp_targetILNS1_3genE4ELNS1_11target_archE910ELNS1_3gpuE8ELNS1_3repE0EEENS1_48merge_mergepath_partition_config_static_selectorELNS0_4arch9wavefront6targetE1EEEvSK_,"axG",@progbits,_ZN7rocprim17ROCPRIM_400000_NS6detail17trampoline_kernelINS0_14default_configENS1_38merge_sort_block_merge_config_selectorIxNS0_10empty_typeEEEZZNS1_27merge_sort_block_merge_implIS3_N6thrust23THRUST_200600_302600_NS6detail15normal_iteratorINS9_10device_ptrIxEEEEPS5_m14custom_greaterIxEEE10hipError_tT0_T1_T2_jT3_P12ihipStream_tbPNSt15iterator_traitsISJ_E10value_typeEPNSP_ISK_E10value_typeEPSL_NS1_7vsmem_tEENKUlT_SJ_SK_SL_E_clISE_PxSF_SF_EESI_SY_SJ_SK_SL_EUlSY_E_NS1_11comp_targetILNS1_3genE4ELNS1_11target_archE910ELNS1_3gpuE8ELNS1_3repE0EEENS1_48merge_mergepath_partition_config_static_selectorELNS0_4arch9wavefront6targetE1EEEvSK_,comdat
.Lfunc_end3415:
	.size	_ZN7rocprim17ROCPRIM_400000_NS6detail17trampoline_kernelINS0_14default_configENS1_38merge_sort_block_merge_config_selectorIxNS0_10empty_typeEEEZZNS1_27merge_sort_block_merge_implIS3_N6thrust23THRUST_200600_302600_NS6detail15normal_iteratorINS9_10device_ptrIxEEEEPS5_m14custom_greaterIxEEE10hipError_tT0_T1_T2_jT3_P12ihipStream_tbPNSt15iterator_traitsISJ_E10value_typeEPNSP_ISK_E10value_typeEPSL_NS1_7vsmem_tEENKUlT_SJ_SK_SL_E_clISE_PxSF_SF_EESI_SY_SJ_SK_SL_EUlSY_E_NS1_11comp_targetILNS1_3genE4ELNS1_11target_archE910ELNS1_3gpuE8ELNS1_3repE0EEENS1_48merge_mergepath_partition_config_static_selectorELNS0_4arch9wavefront6targetE1EEEvSK_, .Lfunc_end3415-_ZN7rocprim17ROCPRIM_400000_NS6detail17trampoline_kernelINS0_14default_configENS1_38merge_sort_block_merge_config_selectorIxNS0_10empty_typeEEEZZNS1_27merge_sort_block_merge_implIS3_N6thrust23THRUST_200600_302600_NS6detail15normal_iteratorINS9_10device_ptrIxEEEEPS5_m14custom_greaterIxEEE10hipError_tT0_T1_T2_jT3_P12ihipStream_tbPNSt15iterator_traitsISJ_E10value_typeEPNSP_ISK_E10value_typeEPSL_NS1_7vsmem_tEENKUlT_SJ_SK_SL_E_clISE_PxSF_SF_EESI_SY_SJ_SK_SL_EUlSY_E_NS1_11comp_targetILNS1_3genE4ELNS1_11target_archE910ELNS1_3gpuE8ELNS1_3repE0EEENS1_48merge_mergepath_partition_config_static_selectorELNS0_4arch9wavefront6targetE1EEEvSK_
                                        ; -- End function
	.section	.AMDGPU.csdata,"",@progbits
; Kernel info:
; codeLenInByte = 500
; NumSgprs: 12
; NumVgprs: 22
; NumAgprs: 0
; TotalNumVgprs: 22
; ScratchSize: 0
; MemoryBound: 0
; FloatMode: 240
; IeeeMode: 1
; LDSByteSize: 0 bytes/workgroup (compile time only)
; SGPRBlocks: 1
; VGPRBlocks: 2
; NumSGPRsForWavesPerEU: 12
; NumVGPRsForWavesPerEU: 22
; AccumOffset: 24
; Occupancy: 8
; WaveLimiterHint : 0
; COMPUTE_PGM_RSRC2:SCRATCH_EN: 0
; COMPUTE_PGM_RSRC2:USER_SGPR: 6
; COMPUTE_PGM_RSRC2:TRAP_HANDLER: 0
; COMPUTE_PGM_RSRC2:TGID_X_EN: 1
; COMPUTE_PGM_RSRC2:TGID_Y_EN: 0
; COMPUTE_PGM_RSRC2:TGID_Z_EN: 0
; COMPUTE_PGM_RSRC2:TIDIG_COMP_CNT: 0
; COMPUTE_PGM_RSRC3_GFX90A:ACCUM_OFFSET: 5
; COMPUTE_PGM_RSRC3_GFX90A:TG_SPLIT: 0
	.section	.text._ZN7rocprim17ROCPRIM_400000_NS6detail17trampoline_kernelINS0_14default_configENS1_38merge_sort_block_merge_config_selectorIxNS0_10empty_typeEEEZZNS1_27merge_sort_block_merge_implIS3_N6thrust23THRUST_200600_302600_NS6detail15normal_iteratorINS9_10device_ptrIxEEEEPS5_m14custom_greaterIxEEE10hipError_tT0_T1_T2_jT3_P12ihipStream_tbPNSt15iterator_traitsISJ_E10value_typeEPNSP_ISK_E10value_typeEPSL_NS1_7vsmem_tEENKUlT_SJ_SK_SL_E_clISE_PxSF_SF_EESI_SY_SJ_SK_SL_EUlSY_E_NS1_11comp_targetILNS1_3genE3ELNS1_11target_archE908ELNS1_3gpuE7ELNS1_3repE0EEENS1_48merge_mergepath_partition_config_static_selectorELNS0_4arch9wavefront6targetE1EEEvSK_,"axG",@progbits,_ZN7rocprim17ROCPRIM_400000_NS6detail17trampoline_kernelINS0_14default_configENS1_38merge_sort_block_merge_config_selectorIxNS0_10empty_typeEEEZZNS1_27merge_sort_block_merge_implIS3_N6thrust23THRUST_200600_302600_NS6detail15normal_iteratorINS9_10device_ptrIxEEEEPS5_m14custom_greaterIxEEE10hipError_tT0_T1_T2_jT3_P12ihipStream_tbPNSt15iterator_traitsISJ_E10value_typeEPNSP_ISK_E10value_typeEPSL_NS1_7vsmem_tEENKUlT_SJ_SK_SL_E_clISE_PxSF_SF_EESI_SY_SJ_SK_SL_EUlSY_E_NS1_11comp_targetILNS1_3genE3ELNS1_11target_archE908ELNS1_3gpuE7ELNS1_3repE0EEENS1_48merge_mergepath_partition_config_static_selectorELNS0_4arch9wavefront6targetE1EEEvSK_,comdat
	.protected	_ZN7rocprim17ROCPRIM_400000_NS6detail17trampoline_kernelINS0_14default_configENS1_38merge_sort_block_merge_config_selectorIxNS0_10empty_typeEEEZZNS1_27merge_sort_block_merge_implIS3_N6thrust23THRUST_200600_302600_NS6detail15normal_iteratorINS9_10device_ptrIxEEEEPS5_m14custom_greaterIxEEE10hipError_tT0_T1_T2_jT3_P12ihipStream_tbPNSt15iterator_traitsISJ_E10value_typeEPNSP_ISK_E10value_typeEPSL_NS1_7vsmem_tEENKUlT_SJ_SK_SL_E_clISE_PxSF_SF_EESI_SY_SJ_SK_SL_EUlSY_E_NS1_11comp_targetILNS1_3genE3ELNS1_11target_archE908ELNS1_3gpuE7ELNS1_3repE0EEENS1_48merge_mergepath_partition_config_static_selectorELNS0_4arch9wavefront6targetE1EEEvSK_ ; -- Begin function _ZN7rocprim17ROCPRIM_400000_NS6detail17trampoline_kernelINS0_14default_configENS1_38merge_sort_block_merge_config_selectorIxNS0_10empty_typeEEEZZNS1_27merge_sort_block_merge_implIS3_N6thrust23THRUST_200600_302600_NS6detail15normal_iteratorINS9_10device_ptrIxEEEEPS5_m14custom_greaterIxEEE10hipError_tT0_T1_T2_jT3_P12ihipStream_tbPNSt15iterator_traitsISJ_E10value_typeEPNSP_ISK_E10value_typeEPSL_NS1_7vsmem_tEENKUlT_SJ_SK_SL_E_clISE_PxSF_SF_EESI_SY_SJ_SK_SL_EUlSY_E_NS1_11comp_targetILNS1_3genE3ELNS1_11target_archE908ELNS1_3gpuE7ELNS1_3repE0EEENS1_48merge_mergepath_partition_config_static_selectorELNS0_4arch9wavefront6targetE1EEEvSK_
	.globl	_ZN7rocprim17ROCPRIM_400000_NS6detail17trampoline_kernelINS0_14default_configENS1_38merge_sort_block_merge_config_selectorIxNS0_10empty_typeEEEZZNS1_27merge_sort_block_merge_implIS3_N6thrust23THRUST_200600_302600_NS6detail15normal_iteratorINS9_10device_ptrIxEEEEPS5_m14custom_greaterIxEEE10hipError_tT0_T1_T2_jT3_P12ihipStream_tbPNSt15iterator_traitsISJ_E10value_typeEPNSP_ISK_E10value_typeEPSL_NS1_7vsmem_tEENKUlT_SJ_SK_SL_E_clISE_PxSF_SF_EESI_SY_SJ_SK_SL_EUlSY_E_NS1_11comp_targetILNS1_3genE3ELNS1_11target_archE908ELNS1_3gpuE7ELNS1_3repE0EEENS1_48merge_mergepath_partition_config_static_selectorELNS0_4arch9wavefront6targetE1EEEvSK_
	.p2align	8
	.type	_ZN7rocprim17ROCPRIM_400000_NS6detail17trampoline_kernelINS0_14default_configENS1_38merge_sort_block_merge_config_selectorIxNS0_10empty_typeEEEZZNS1_27merge_sort_block_merge_implIS3_N6thrust23THRUST_200600_302600_NS6detail15normal_iteratorINS9_10device_ptrIxEEEEPS5_m14custom_greaterIxEEE10hipError_tT0_T1_T2_jT3_P12ihipStream_tbPNSt15iterator_traitsISJ_E10value_typeEPNSP_ISK_E10value_typeEPSL_NS1_7vsmem_tEENKUlT_SJ_SK_SL_E_clISE_PxSF_SF_EESI_SY_SJ_SK_SL_EUlSY_E_NS1_11comp_targetILNS1_3genE3ELNS1_11target_archE908ELNS1_3gpuE7ELNS1_3repE0EEENS1_48merge_mergepath_partition_config_static_selectorELNS0_4arch9wavefront6targetE1EEEvSK_,@function
_ZN7rocprim17ROCPRIM_400000_NS6detail17trampoline_kernelINS0_14default_configENS1_38merge_sort_block_merge_config_selectorIxNS0_10empty_typeEEEZZNS1_27merge_sort_block_merge_implIS3_N6thrust23THRUST_200600_302600_NS6detail15normal_iteratorINS9_10device_ptrIxEEEEPS5_m14custom_greaterIxEEE10hipError_tT0_T1_T2_jT3_P12ihipStream_tbPNSt15iterator_traitsISJ_E10value_typeEPNSP_ISK_E10value_typeEPSL_NS1_7vsmem_tEENKUlT_SJ_SK_SL_E_clISE_PxSF_SF_EESI_SY_SJ_SK_SL_EUlSY_E_NS1_11comp_targetILNS1_3genE3ELNS1_11target_archE908ELNS1_3gpuE7ELNS1_3repE0EEENS1_48merge_mergepath_partition_config_static_selectorELNS0_4arch9wavefront6targetE1EEEvSK_: ; @_ZN7rocprim17ROCPRIM_400000_NS6detail17trampoline_kernelINS0_14default_configENS1_38merge_sort_block_merge_config_selectorIxNS0_10empty_typeEEEZZNS1_27merge_sort_block_merge_implIS3_N6thrust23THRUST_200600_302600_NS6detail15normal_iteratorINS9_10device_ptrIxEEEEPS5_m14custom_greaterIxEEE10hipError_tT0_T1_T2_jT3_P12ihipStream_tbPNSt15iterator_traitsISJ_E10value_typeEPNSP_ISK_E10value_typeEPSL_NS1_7vsmem_tEENKUlT_SJ_SK_SL_E_clISE_PxSF_SF_EESI_SY_SJ_SK_SL_EUlSY_E_NS1_11comp_targetILNS1_3genE3ELNS1_11target_archE908ELNS1_3gpuE7ELNS1_3repE0EEENS1_48merge_mergepath_partition_config_static_selectorELNS0_4arch9wavefront6targetE1EEEvSK_
; %bb.0:
	.section	.rodata,"a",@progbits
	.p2align	6, 0x0
	.amdhsa_kernel _ZN7rocprim17ROCPRIM_400000_NS6detail17trampoline_kernelINS0_14default_configENS1_38merge_sort_block_merge_config_selectorIxNS0_10empty_typeEEEZZNS1_27merge_sort_block_merge_implIS3_N6thrust23THRUST_200600_302600_NS6detail15normal_iteratorINS9_10device_ptrIxEEEEPS5_m14custom_greaterIxEEE10hipError_tT0_T1_T2_jT3_P12ihipStream_tbPNSt15iterator_traitsISJ_E10value_typeEPNSP_ISK_E10value_typeEPSL_NS1_7vsmem_tEENKUlT_SJ_SK_SL_E_clISE_PxSF_SF_EESI_SY_SJ_SK_SL_EUlSY_E_NS1_11comp_targetILNS1_3genE3ELNS1_11target_archE908ELNS1_3gpuE7ELNS1_3repE0EEENS1_48merge_mergepath_partition_config_static_selectorELNS0_4arch9wavefront6targetE1EEEvSK_
		.amdhsa_group_segment_fixed_size 0
		.amdhsa_private_segment_fixed_size 0
		.amdhsa_kernarg_size 48
		.amdhsa_user_sgpr_count 6
		.amdhsa_user_sgpr_private_segment_buffer 1
		.amdhsa_user_sgpr_dispatch_ptr 0
		.amdhsa_user_sgpr_queue_ptr 0
		.amdhsa_user_sgpr_kernarg_segment_ptr 1
		.amdhsa_user_sgpr_dispatch_id 0
		.amdhsa_user_sgpr_flat_scratch_init 0
		.amdhsa_user_sgpr_kernarg_preload_length 0
		.amdhsa_user_sgpr_kernarg_preload_offset 0
		.amdhsa_user_sgpr_private_segment_size 0
		.amdhsa_uses_dynamic_stack 0
		.amdhsa_system_sgpr_private_segment_wavefront_offset 0
		.amdhsa_system_sgpr_workgroup_id_x 1
		.amdhsa_system_sgpr_workgroup_id_y 0
		.amdhsa_system_sgpr_workgroup_id_z 0
		.amdhsa_system_sgpr_workgroup_info 0
		.amdhsa_system_vgpr_workitem_id 0
		.amdhsa_next_free_vgpr 1
		.amdhsa_next_free_sgpr 0
		.amdhsa_accum_offset 4
		.amdhsa_reserve_vcc 0
		.amdhsa_reserve_flat_scratch 0
		.amdhsa_float_round_mode_32 0
		.amdhsa_float_round_mode_16_64 0
		.amdhsa_float_denorm_mode_32 3
		.amdhsa_float_denorm_mode_16_64 3
		.amdhsa_dx10_clamp 1
		.amdhsa_ieee_mode 1
		.amdhsa_fp16_overflow 0
		.amdhsa_tg_split 0
		.amdhsa_exception_fp_ieee_invalid_op 0
		.amdhsa_exception_fp_denorm_src 0
		.amdhsa_exception_fp_ieee_div_zero 0
		.amdhsa_exception_fp_ieee_overflow 0
		.amdhsa_exception_fp_ieee_underflow 0
		.amdhsa_exception_fp_ieee_inexact 0
		.amdhsa_exception_int_div_zero 0
	.end_amdhsa_kernel
	.section	.text._ZN7rocprim17ROCPRIM_400000_NS6detail17trampoline_kernelINS0_14default_configENS1_38merge_sort_block_merge_config_selectorIxNS0_10empty_typeEEEZZNS1_27merge_sort_block_merge_implIS3_N6thrust23THRUST_200600_302600_NS6detail15normal_iteratorINS9_10device_ptrIxEEEEPS5_m14custom_greaterIxEEE10hipError_tT0_T1_T2_jT3_P12ihipStream_tbPNSt15iterator_traitsISJ_E10value_typeEPNSP_ISK_E10value_typeEPSL_NS1_7vsmem_tEENKUlT_SJ_SK_SL_E_clISE_PxSF_SF_EESI_SY_SJ_SK_SL_EUlSY_E_NS1_11comp_targetILNS1_3genE3ELNS1_11target_archE908ELNS1_3gpuE7ELNS1_3repE0EEENS1_48merge_mergepath_partition_config_static_selectorELNS0_4arch9wavefront6targetE1EEEvSK_,"axG",@progbits,_ZN7rocprim17ROCPRIM_400000_NS6detail17trampoline_kernelINS0_14default_configENS1_38merge_sort_block_merge_config_selectorIxNS0_10empty_typeEEEZZNS1_27merge_sort_block_merge_implIS3_N6thrust23THRUST_200600_302600_NS6detail15normal_iteratorINS9_10device_ptrIxEEEEPS5_m14custom_greaterIxEEE10hipError_tT0_T1_T2_jT3_P12ihipStream_tbPNSt15iterator_traitsISJ_E10value_typeEPNSP_ISK_E10value_typeEPSL_NS1_7vsmem_tEENKUlT_SJ_SK_SL_E_clISE_PxSF_SF_EESI_SY_SJ_SK_SL_EUlSY_E_NS1_11comp_targetILNS1_3genE3ELNS1_11target_archE908ELNS1_3gpuE7ELNS1_3repE0EEENS1_48merge_mergepath_partition_config_static_selectorELNS0_4arch9wavefront6targetE1EEEvSK_,comdat
.Lfunc_end3416:
	.size	_ZN7rocprim17ROCPRIM_400000_NS6detail17trampoline_kernelINS0_14default_configENS1_38merge_sort_block_merge_config_selectorIxNS0_10empty_typeEEEZZNS1_27merge_sort_block_merge_implIS3_N6thrust23THRUST_200600_302600_NS6detail15normal_iteratorINS9_10device_ptrIxEEEEPS5_m14custom_greaterIxEEE10hipError_tT0_T1_T2_jT3_P12ihipStream_tbPNSt15iterator_traitsISJ_E10value_typeEPNSP_ISK_E10value_typeEPSL_NS1_7vsmem_tEENKUlT_SJ_SK_SL_E_clISE_PxSF_SF_EESI_SY_SJ_SK_SL_EUlSY_E_NS1_11comp_targetILNS1_3genE3ELNS1_11target_archE908ELNS1_3gpuE7ELNS1_3repE0EEENS1_48merge_mergepath_partition_config_static_selectorELNS0_4arch9wavefront6targetE1EEEvSK_, .Lfunc_end3416-_ZN7rocprim17ROCPRIM_400000_NS6detail17trampoline_kernelINS0_14default_configENS1_38merge_sort_block_merge_config_selectorIxNS0_10empty_typeEEEZZNS1_27merge_sort_block_merge_implIS3_N6thrust23THRUST_200600_302600_NS6detail15normal_iteratorINS9_10device_ptrIxEEEEPS5_m14custom_greaterIxEEE10hipError_tT0_T1_T2_jT3_P12ihipStream_tbPNSt15iterator_traitsISJ_E10value_typeEPNSP_ISK_E10value_typeEPSL_NS1_7vsmem_tEENKUlT_SJ_SK_SL_E_clISE_PxSF_SF_EESI_SY_SJ_SK_SL_EUlSY_E_NS1_11comp_targetILNS1_3genE3ELNS1_11target_archE908ELNS1_3gpuE7ELNS1_3repE0EEENS1_48merge_mergepath_partition_config_static_selectorELNS0_4arch9wavefront6targetE1EEEvSK_
                                        ; -- End function
	.section	.AMDGPU.csdata,"",@progbits
; Kernel info:
; codeLenInByte = 0
; NumSgprs: 4
; NumVgprs: 0
; NumAgprs: 0
; TotalNumVgprs: 0
; ScratchSize: 0
; MemoryBound: 0
; FloatMode: 240
; IeeeMode: 1
; LDSByteSize: 0 bytes/workgroup (compile time only)
; SGPRBlocks: 0
; VGPRBlocks: 0
; NumSGPRsForWavesPerEU: 4
; NumVGPRsForWavesPerEU: 1
; AccumOffset: 4
; Occupancy: 8
; WaveLimiterHint : 0
; COMPUTE_PGM_RSRC2:SCRATCH_EN: 0
; COMPUTE_PGM_RSRC2:USER_SGPR: 6
; COMPUTE_PGM_RSRC2:TRAP_HANDLER: 0
; COMPUTE_PGM_RSRC2:TGID_X_EN: 1
; COMPUTE_PGM_RSRC2:TGID_Y_EN: 0
; COMPUTE_PGM_RSRC2:TGID_Z_EN: 0
; COMPUTE_PGM_RSRC2:TIDIG_COMP_CNT: 0
; COMPUTE_PGM_RSRC3_GFX90A:ACCUM_OFFSET: 0
; COMPUTE_PGM_RSRC3_GFX90A:TG_SPLIT: 0
	.section	.text._ZN7rocprim17ROCPRIM_400000_NS6detail17trampoline_kernelINS0_14default_configENS1_38merge_sort_block_merge_config_selectorIxNS0_10empty_typeEEEZZNS1_27merge_sort_block_merge_implIS3_N6thrust23THRUST_200600_302600_NS6detail15normal_iteratorINS9_10device_ptrIxEEEEPS5_m14custom_greaterIxEEE10hipError_tT0_T1_T2_jT3_P12ihipStream_tbPNSt15iterator_traitsISJ_E10value_typeEPNSP_ISK_E10value_typeEPSL_NS1_7vsmem_tEENKUlT_SJ_SK_SL_E_clISE_PxSF_SF_EESI_SY_SJ_SK_SL_EUlSY_E_NS1_11comp_targetILNS1_3genE2ELNS1_11target_archE906ELNS1_3gpuE6ELNS1_3repE0EEENS1_48merge_mergepath_partition_config_static_selectorELNS0_4arch9wavefront6targetE1EEEvSK_,"axG",@progbits,_ZN7rocprim17ROCPRIM_400000_NS6detail17trampoline_kernelINS0_14default_configENS1_38merge_sort_block_merge_config_selectorIxNS0_10empty_typeEEEZZNS1_27merge_sort_block_merge_implIS3_N6thrust23THRUST_200600_302600_NS6detail15normal_iteratorINS9_10device_ptrIxEEEEPS5_m14custom_greaterIxEEE10hipError_tT0_T1_T2_jT3_P12ihipStream_tbPNSt15iterator_traitsISJ_E10value_typeEPNSP_ISK_E10value_typeEPSL_NS1_7vsmem_tEENKUlT_SJ_SK_SL_E_clISE_PxSF_SF_EESI_SY_SJ_SK_SL_EUlSY_E_NS1_11comp_targetILNS1_3genE2ELNS1_11target_archE906ELNS1_3gpuE6ELNS1_3repE0EEENS1_48merge_mergepath_partition_config_static_selectorELNS0_4arch9wavefront6targetE1EEEvSK_,comdat
	.protected	_ZN7rocprim17ROCPRIM_400000_NS6detail17trampoline_kernelINS0_14default_configENS1_38merge_sort_block_merge_config_selectorIxNS0_10empty_typeEEEZZNS1_27merge_sort_block_merge_implIS3_N6thrust23THRUST_200600_302600_NS6detail15normal_iteratorINS9_10device_ptrIxEEEEPS5_m14custom_greaterIxEEE10hipError_tT0_T1_T2_jT3_P12ihipStream_tbPNSt15iterator_traitsISJ_E10value_typeEPNSP_ISK_E10value_typeEPSL_NS1_7vsmem_tEENKUlT_SJ_SK_SL_E_clISE_PxSF_SF_EESI_SY_SJ_SK_SL_EUlSY_E_NS1_11comp_targetILNS1_3genE2ELNS1_11target_archE906ELNS1_3gpuE6ELNS1_3repE0EEENS1_48merge_mergepath_partition_config_static_selectorELNS0_4arch9wavefront6targetE1EEEvSK_ ; -- Begin function _ZN7rocprim17ROCPRIM_400000_NS6detail17trampoline_kernelINS0_14default_configENS1_38merge_sort_block_merge_config_selectorIxNS0_10empty_typeEEEZZNS1_27merge_sort_block_merge_implIS3_N6thrust23THRUST_200600_302600_NS6detail15normal_iteratorINS9_10device_ptrIxEEEEPS5_m14custom_greaterIxEEE10hipError_tT0_T1_T2_jT3_P12ihipStream_tbPNSt15iterator_traitsISJ_E10value_typeEPNSP_ISK_E10value_typeEPSL_NS1_7vsmem_tEENKUlT_SJ_SK_SL_E_clISE_PxSF_SF_EESI_SY_SJ_SK_SL_EUlSY_E_NS1_11comp_targetILNS1_3genE2ELNS1_11target_archE906ELNS1_3gpuE6ELNS1_3repE0EEENS1_48merge_mergepath_partition_config_static_selectorELNS0_4arch9wavefront6targetE1EEEvSK_
	.globl	_ZN7rocprim17ROCPRIM_400000_NS6detail17trampoline_kernelINS0_14default_configENS1_38merge_sort_block_merge_config_selectorIxNS0_10empty_typeEEEZZNS1_27merge_sort_block_merge_implIS3_N6thrust23THRUST_200600_302600_NS6detail15normal_iteratorINS9_10device_ptrIxEEEEPS5_m14custom_greaterIxEEE10hipError_tT0_T1_T2_jT3_P12ihipStream_tbPNSt15iterator_traitsISJ_E10value_typeEPNSP_ISK_E10value_typeEPSL_NS1_7vsmem_tEENKUlT_SJ_SK_SL_E_clISE_PxSF_SF_EESI_SY_SJ_SK_SL_EUlSY_E_NS1_11comp_targetILNS1_3genE2ELNS1_11target_archE906ELNS1_3gpuE6ELNS1_3repE0EEENS1_48merge_mergepath_partition_config_static_selectorELNS0_4arch9wavefront6targetE1EEEvSK_
	.p2align	8
	.type	_ZN7rocprim17ROCPRIM_400000_NS6detail17trampoline_kernelINS0_14default_configENS1_38merge_sort_block_merge_config_selectorIxNS0_10empty_typeEEEZZNS1_27merge_sort_block_merge_implIS3_N6thrust23THRUST_200600_302600_NS6detail15normal_iteratorINS9_10device_ptrIxEEEEPS5_m14custom_greaterIxEEE10hipError_tT0_T1_T2_jT3_P12ihipStream_tbPNSt15iterator_traitsISJ_E10value_typeEPNSP_ISK_E10value_typeEPSL_NS1_7vsmem_tEENKUlT_SJ_SK_SL_E_clISE_PxSF_SF_EESI_SY_SJ_SK_SL_EUlSY_E_NS1_11comp_targetILNS1_3genE2ELNS1_11target_archE906ELNS1_3gpuE6ELNS1_3repE0EEENS1_48merge_mergepath_partition_config_static_selectorELNS0_4arch9wavefront6targetE1EEEvSK_,@function
_ZN7rocprim17ROCPRIM_400000_NS6detail17trampoline_kernelINS0_14default_configENS1_38merge_sort_block_merge_config_selectorIxNS0_10empty_typeEEEZZNS1_27merge_sort_block_merge_implIS3_N6thrust23THRUST_200600_302600_NS6detail15normal_iteratorINS9_10device_ptrIxEEEEPS5_m14custom_greaterIxEEE10hipError_tT0_T1_T2_jT3_P12ihipStream_tbPNSt15iterator_traitsISJ_E10value_typeEPNSP_ISK_E10value_typeEPSL_NS1_7vsmem_tEENKUlT_SJ_SK_SL_E_clISE_PxSF_SF_EESI_SY_SJ_SK_SL_EUlSY_E_NS1_11comp_targetILNS1_3genE2ELNS1_11target_archE906ELNS1_3gpuE6ELNS1_3repE0EEENS1_48merge_mergepath_partition_config_static_selectorELNS0_4arch9wavefront6targetE1EEEvSK_: ; @_ZN7rocprim17ROCPRIM_400000_NS6detail17trampoline_kernelINS0_14default_configENS1_38merge_sort_block_merge_config_selectorIxNS0_10empty_typeEEEZZNS1_27merge_sort_block_merge_implIS3_N6thrust23THRUST_200600_302600_NS6detail15normal_iteratorINS9_10device_ptrIxEEEEPS5_m14custom_greaterIxEEE10hipError_tT0_T1_T2_jT3_P12ihipStream_tbPNSt15iterator_traitsISJ_E10value_typeEPNSP_ISK_E10value_typeEPSL_NS1_7vsmem_tEENKUlT_SJ_SK_SL_E_clISE_PxSF_SF_EESI_SY_SJ_SK_SL_EUlSY_E_NS1_11comp_targetILNS1_3genE2ELNS1_11target_archE906ELNS1_3gpuE6ELNS1_3repE0EEENS1_48merge_mergepath_partition_config_static_selectorELNS0_4arch9wavefront6targetE1EEEvSK_
; %bb.0:
	.section	.rodata,"a",@progbits
	.p2align	6, 0x0
	.amdhsa_kernel _ZN7rocprim17ROCPRIM_400000_NS6detail17trampoline_kernelINS0_14default_configENS1_38merge_sort_block_merge_config_selectorIxNS0_10empty_typeEEEZZNS1_27merge_sort_block_merge_implIS3_N6thrust23THRUST_200600_302600_NS6detail15normal_iteratorINS9_10device_ptrIxEEEEPS5_m14custom_greaterIxEEE10hipError_tT0_T1_T2_jT3_P12ihipStream_tbPNSt15iterator_traitsISJ_E10value_typeEPNSP_ISK_E10value_typeEPSL_NS1_7vsmem_tEENKUlT_SJ_SK_SL_E_clISE_PxSF_SF_EESI_SY_SJ_SK_SL_EUlSY_E_NS1_11comp_targetILNS1_3genE2ELNS1_11target_archE906ELNS1_3gpuE6ELNS1_3repE0EEENS1_48merge_mergepath_partition_config_static_selectorELNS0_4arch9wavefront6targetE1EEEvSK_
		.amdhsa_group_segment_fixed_size 0
		.amdhsa_private_segment_fixed_size 0
		.amdhsa_kernarg_size 48
		.amdhsa_user_sgpr_count 6
		.amdhsa_user_sgpr_private_segment_buffer 1
		.amdhsa_user_sgpr_dispatch_ptr 0
		.amdhsa_user_sgpr_queue_ptr 0
		.amdhsa_user_sgpr_kernarg_segment_ptr 1
		.amdhsa_user_sgpr_dispatch_id 0
		.amdhsa_user_sgpr_flat_scratch_init 0
		.amdhsa_user_sgpr_kernarg_preload_length 0
		.amdhsa_user_sgpr_kernarg_preload_offset 0
		.amdhsa_user_sgpr_private_segment_size 0
		.amdhsa_uses_dynamic_stack 0
		.amdhsa_system_sgpr_private_segment_wavefront_offset 0
		.amdhsa_system_sgpr_workgroup_id_x 1
		.amdhsa_system_sgpr_workgroup_id_y 0
		.amdhsa_system_sgpr_workgroup_id_z 0
		.amdhsa_system_sgpr_workgroup_info 0
		.amdhsa_system_vgpr_workitem_id 0
		.amdhsa_next_free_vgpr 1
		.amdhsa_next_free_sgpr 0
		.amdhsa_accum_offset 4
		.amdhsa_reserve_vcc 0
		.amdhsa_reserve_flat_scratch 0
		.amdhsa_float_round_mode_32 0
		.amdhsa_float_round_mode_16_64 0
		.amdhsa_float_denorm_mode_32 3
		.amdhsa_float_denorm_mode_16_64 3
		.amdhsa_dx10_clamp 1
		.amdhsa_ieee_mode 1
		.amdhsa_fp16_overflow 0
		.amdhsa_tg_split 0
		.amdhsa_exception_fp_ieee_invalid_op 0
		.amdhsa_exception_fp_denorm_src 0
		.amdhsa_exception_fp_ieee_div_zero 0
		.amdhsa_exception_fp_ieee_overflow 0
		.amdhsa_exception_fp_ieee_underflow 0
		.amdhsa_exception_fp_ieee_inexact 0
		.amdhsa_exception_int_div_zero 0
	.end_amdhsa_kernel
	.section	.text._ZN7rocprim17ROCPRIM_400000_NS6detail17trampoline_kernelINS0_14default_configENS1_38merge_sort_block_merge_config_selectorIxNS0_10empty_typeEEEZZNS1_27merge_sort_block_merge_implIS3_N6thrust23THRUST_200600_302600_NS6detail15normal_iteratorINS9_10device_ptrIxEEEEPS5_m14custom_greaterIxEEE10hipError_tT0_T1_T2_jT3_P12ihipStream_tbPNSt15iterator_traitsISJ_E10value_typeEPNSP_ISK_E10value_typeEPSL_NS1_7vsmem_tEENKUlT_SJ_SK_SL_E_clISE_PxSF_SF_EESI_SY_SJ_SK_SL_EUlSY_E_NS1_11comp_targetILNS1_3genE2ELNS1_11target_archE906ELNS1_3gpuE6ELNS1_3repE0EEENS1_48merge_mergepath_partition_config_static_selectorELNS0_4arch9wavefront6targetE1EEEvSK_,"axG",@progbits,_ZN7rocprim17ROCPRIM_400000_NS6detail17trampoline_kernelINS0_14default_configENS1_38merge_sort_block_merge_config_selectorIxNS0_10empty_typeEEEZZNS1_27merge_sort_block_merge_implIS3_N6thrust23THRUST_200600_302600_NS6detail15normal_iteratorINS9_10device_ptrIxEEEEPS5_m14custom_greaterIxEEE10hipError_tT0_T1_T2_jT3_P12ihipStream_tbPNSt15iterator_traitsISJ_E10value_typeEPNSP_ISK_E10value_typeEPSL_NS1_7vsmem_tEENKUlT_SJ_SK_SL_E_clISE_PxSF_SF_EESI_SY_SJ_SK_SL_EUlSY_E_NS1_11comp_targetILNS1_3genE2ELNS1_11target_archE906ELNS1_3gpuE6ELNS1_3repE0EEENS1_48merge_mergepath_partition_config_static_selectorELNS0_4arch9wavefront6targetE1EEEvSK_,comdat
.Lfunc_end3417:
	.size	_ZN7rocprim17ROCPRIM_400000_NS6detail17trampoline_kernelINS0_14default_configENS1_38merge_sort_block_merge_config_selectorIxNS0_10empty_typeEEEZZNS1_27merge_sort_block_merge_implIS3_N6thrust23THRUST_200600_302600_NS6detail15normal_iteratorINS9_10device_ptrIxEEEEPS5_m14custom_greaterIxEEE10hipError_tT0_T1_T2_jT3_P12ihipStream_tbPNSt15iterator_traitsISJ_E10value_typeEPNSP_ISK_E10value_typeEPSL_NS1_7vsmem_tEENKUlT_SJ_SK_SL_E_clISE_PxSF_SF_EESI_SY_SJ_SK_SL_EUlSY_E_NS1_11comp_targetILNS1_3genE2ELNS1_11target_archE906ELNS1_3gpuE6ELNS1_3repE0EEENS1_48merge_mergepath_partition_config_static_selectorELNS0_4arch9wavefront6targetE1EEEvSK_, .Lfunc_end3417-_ZN7rocprim17ROCPRIM_400000_NS6detail17trampoline_kernelINS0_14default_configENS1_38merge_sort_block_merge_config_selectorIxNS0_10empty_typeEEEZZNS1_27merge_sort_block_merge_implIS3_N6thrust23THRUST_200600_302600_NS6detail15normal_iteratorINS9_10device_ptrIxEEEEPS5_m14custom_greaterIxEEE10hipError_tT0_T1_T2_jT3_P12ihipStream_tbPNSt15iterator_traitsISJ_E10value_typeEPNSP_ISK_E10value_typeEPSL_NS1_7vsmem_tEENKUlT_SJ_SK_SL_E_clISE_PxSF_SF_EESI_SY_SJ_SK_SL_EUlSY_E_NS1_11comp_targetILNS1_3genE2ELNS1_11target_archE906ELNS1_3gpuE6ELNS1_3repE0EEENS1_48merge_mergepath_partition_config_static_selectorELNS0_4arch9wavefront6targetE1EEEvSK_
                                        ; -- End function
	.section	.AMDGPU.csdata,"",@progbits
; Kernel info:
; codeLenInByte = 0
; NumSgprs: 4
; NumVgprs: 0
; NumAgprs: 0
; TotalNumVgprs: 0
; ScratchSize: 0
; MemoryBound: 0
; FloatMode: 240
; IeeeMode: 1
; LDSByteSize: 0 bytes/workgroup (compile time only)
; SGPRBlocks: 0
; VGPRBlocks: 0
; NumSGPRsForWavesPerEU: 4
; NumVGPRsForWavesPerEU: 1
; AccumOffset: 4
; Occupancy: 8
; WaveLimiterHint : 0
; COMPUTE_PGM_RSRC2:SCRATCH_EN: 0
; COMPUTE_PGM_RSRC2:USER_SGPR: 6
; COMPUTE_PGM_RSRC2:TRAP_HANDLER: 0
; COMPUTE_PGM_RSRC2:TGID_X_EN: 1
; COMPUTE_PGM_RSRC2:TGID_Y_EN: 0
; COMPUTE_PGM_RSRC2:TGID_Z_EN: 0
; COMPUTE_PGM_RSRC2:TIDIG_COMP_CNT: 0
; COMPUTE_PGM_RSRC3_GFX90A:ACCUM_OFFSET: 0
; COMPUTE_PGM_RSRC3_GFX90A:TG_SPLIT: 0
	.section	.text._ZN7rocprim17ROCPRIM_400000_NS6detail17trampoline_kernelINS0_14default_configENS1_38merge_sort_block_merge_config_selectorIxNS0_10empty_typeEEEZZNS1_27merge_sort_block_merge_implIS3_N6thrust23THRUST_200600_302600_NS6detail15normal_iteratorINS9_10device_ptrIxEEEEPS5_m14custom_greaterIxEEE10hipError_tT0_T1_T2_jT3_P12ihipStream_tbPNSt15iterator_traitsISJ_E10value_typeEPNSP_ISK_E10value_typeEPSL_NS1_7vsmem_tEENKUlT_SJ_SK_SL_E_clISE_PxSF_SF_EESI_SY_SJ_SK_SL_EUlSY_E_NS1_11comp_targetILNS1_3genE9ELNS1_11target_archE1100ELNS1_3gpuE3ELNS1_3repE0EEENS1_48merge_mergepath_partition_config_static_selectorELNS0_4arch9wavefront6targetE1EEEvSK_,"axG",@progbits,_ZN7rocprim17ROCPRIM_400000_NS6detail17trampoline_kernelINS0_14default_configENS1_38merge_sort_block_merge_config_selectorIxNS0_10empty_typeEEEZZNS1_27merge_sort_block_merge_implIS3_N6thrust23THRUST_200600_302600_NS6detail15normal_iteratorINS9_10device_ptrIxEEEEPS5_m14custom_greaterIxEEE10hipError_tT0_T1_T2_jT3_P12ihipStream_tbPNSt15iterator_traitsISJ_E10value_typeEPNSP_ISK_E10value_typeEPSL_NS1_7vsmem_tEENKUlT_SJ_SK_SL_E_clISE_PxSF_SF_EESI_SY_SJ_SK_SL_EUlSY_E_NS1_11comp_targetILNS1_3genE9ELNS1_11target_archE1100ELNS1_3gpuE3ELNS1_3repE0EEENS1_48merge_mergepath_partition_config_static_selectorELNS0_4arch9wavefront6targetE1EEEvSK_,comdat
	.protected	_ZN7rocprim17ROCPRIM_400000_NS6detail17trampoline_kernelINS0_14default_configENS1_38merge_sort_block_merge_config_selectorIxNS0_10empty_typeEEEZZNS1_27merge_sort_block_merge_implIS3_N6thrust23THRUST_200600_302600_NS6detail15normal_iteratorINS9_10device_ptrIxEEEEPS5_m14custom_greaterIxEEE10hipError_tT0_T1_T2_jT3_P12ihipStream_tbPNSt15iterator_traitsISJ_E10value_typeEPNSP_ISK_E10value_typeEPSL_NS1_7vsmem_tEENKUlT_SJ_SK_SL_E_clISE_PxSF_SF_EESI_SY_SJ_SK_SL_EUlSY_E_NS1_11comp_targetILNS1_3genE9ELNS1_11target_archE1100ELNS1_3gpuE3ELNS1_3repE0EEENS1_48merge_mergepath_partition_config_static_selectorELNS0_4arch9wavefront6targetE1EEEvSK_ ; -- Begin function _ZN7rocprim17ROCPRIM_400000_NS6detail17trampoline_kernelINS0_14default_configENS1_38merge_sort_block_merge_config_selectorIxNS0_10empty_typeEEEZZNS1_27merge_sort_block_merge_implIS3_N6thrust23THRUST_200600_302600_NS6detail15normal_iteratorINS9_10device_ptrIxEEEEPS5_m14custom_greaterIxEEE10hipError_tT0_T1_T2_jT3_P12ihipStream_tbPNSt15iterator_traitsISJ_E10value_typeEPNSP_ISK_E10value_typeEPSL_NS1_7vsmem_tEENKUlT_SJ_SK_SL_E_clISE_PxSF_SF_EESI_SY_SJ_SK_SL_EUlSY_E_NS1_11comp_targetILNS1_3genE9ELNS1_11target_archE1100ELNS1_3gpuE3ELNS1_3repE0EEENS1_48merge_mergepath_partition_config_static_selectorELNS0_4arch9wavefront6targetE1EEEvSK_
	.globl	_ZN7rocprim17ROCPRIM_400000_NS6detail17trampoline_kernelINS0_14default_configENS1_38merge_sort_block_merge_config_selectorIxNS0_10empty_typeEEEZZNS1_27merge_sort_block_merge_implIS3_N6thrust23THRUST_200600_302600_NS6detail15normal_iteratorINS9_10device_ptrIxEEEEPS5_m14custom_greaterIxEEE10hipError_tT0_T1_T2_jT3_P12ihipStream_tbPNSt15iterator_traitsISJ_E10value_typeEPNSP_ISK_E10value_typeEPSL_NS1_7vsmem_tEENKUlT_SJ_SK_SL_E_clISE_PxSF_SF_EESI_SY_SJ_SK_SL_EUlSY_E_NS1_11comp_targetILNS1_3genE9ELNS1_11target_archE1100ELNS1_3gpuE3ELNS1_3repE0EEENS1_48merge_mergepath_partition_config_static_selectorELNS0_4arch9wavefront6targetE1EEEvSK_
	.p2align	8
	.type	_ZN7rocprim17ROCPRIM_400000_NS6detail17trampoline_kernelINS0_14default_configENS1_38merge_sort_block_merge_config_selectorIxNS0_10empty_typeEEEZZNS1_27merge_sort_block_merge_implIS3_N6thrust23THRUST_200600_302600_NS6detail15normal_iteratorINS9_10device_ptrIxEEEEPS5_m14custom_greaterIxEEE10hipError_tT0_T1_T2_jT3_P12ihipStream_tbPNSt15iterator_traitsISJ_E10value_typeEPNSP_ISK_E10value_typeEPSL_NS1_7vsmem_tEENKUlT_SJ_SK_SL_E_clISE_PxSF_SF_EESI_SY_SJ_SK_SL_EUlSY_E_NS1_11comp_targetILNS1_3genE9ELNS1_11target_archE1100ELNS1_3gpuE3ELNS1_3repE0EEENS1_48merge_mergepath_partition_config_static_selectorELNS0_4arch9wavefront6targetE1EEEvSK_,@function
_ZN7rocprim17ROCPRIM_400000_NS6detail17trampoline_kernelINS0_14default_configENS1_38merge_sort_block_merge_config_selectorIxNS0_10empty_typeEEEZZNS1_27merge_sort_block_merge_implIS3_N6thrust23THRUST_200600_302600_NS6detail15normal_iteratorINS9_10device_ptrIxEEEEPS5_m14custom_greaterIxEEE10hipError_tT0_T1_T2_jT3_P12ihipStream_tbPNSt15iterator_traitsISJ_E10value_typeEPNSP_ISK_E10value_typeEPSL_NS1_7vsmem_tEENKUlT_SJ_SK_SL_E_clISE_PxSF_SF_EESI_SY_SJ_SK_SL_EUlSY_E_NS1_11comp_targetILNS1_3genE9ELNS1_11target_archE1100ELNS1_3gpuE3ELNS1_3repE0EEENS1_48merge_mergepath_partition_config_static_selectorELNS0_4arch9wavefront6targetE1EEEvSK_: ; @_ZN7rocprim17ROCPRIM_400000_NS6detail17trampoline_kernelINS0_14default_configENS1_38merge_sort_block_merge_config_selectorIxNS0_10empty_typeEEEZZNS1_27merge_sort_block_merge_implIS3_N6thrust23THRUST_200600_302600_NS6detail15normal_iteratorINS9_10device_ptrIxEEEEPS5_m14custom_greaterIxEEE10hipError_tT0_T1_T2_jT3_P12ihipStream_tbPNSt15iterator_traitsISJ_E10value_typeEPNSP_ISK_E10value_typeEPSL_NS1_7vsmem_tEENKUlT_SJ_SK_SL_E_clISE_PxSF_SF_EESI_SY_SJ_SK_SL_EUlSY_E_NS1_11comp_targetILNS1_3genE9ELNS1_11target_archE1100ELNS1_3gpuE3ELNS1_3repE0EEENS1_48merge_mergepath_partition_config_static_selectorELNS0_4arch9wavefront6targetE1EEEvSK_
; %bb.0:
	.section	.rodata,"a",@progbits
	.p2align	6, 0x0
	.amdhsa_kernel _ZN7rocprim17ROCPRIM_400000_NS6detail17trampoline_kernelINS0_14default_configENS1_38merge_sort_block_merge_config_selectorIxNS0_10empty_typeEEEZZNS1_27merge_sort_block_merge_implIS3_N6thrust23THRUST_200600_302600_NS6detail15normal_iteratorINS9_10device_ptrIxEEEEPS5_m14custom_greaterIxEEE10hipError_tT0_T1_T2_jT3_P12ihipStream_tbPNSt15iterator_traitsISJ_E10value_typeEPNSP_ISK_E10value_typeEPSL_NS1_7vsmem_tEENKUlT_SJ_SK_SL_E_clISE_PxSF_SF_EESI_SY_SJ_SK_SL_EUlSY_E_NS1_11comp_targetILNS1_3genE9ELNS1_11target_archE1100ELNS1_3gpuE3ELNS1_3repE0EEENS1_48merge_mergepath_partition_config_static_selectorELNS0_4arch9wavefront6targetE1EEEvSK_
		.amdhsa_group_segment_fixed_size 0
		.amdhsa_private_segment_fixed_size 0
		.amdhsa_kernarg_size 48
		.amdhsa_user_sgpr_count 6
		.amdhsa_user_sgpr_private_segment_buffer 1
		.amdhsa_user_sgpr_dispatch_ptr 0
		.amdhsa_user_sgpr_queue_ptr 0
		.amdhsa_user_sgpr_kernarg_segment_ptr 1
		.amdhsa_user_sgpr_dispatch_id 0
		.amdhsa_user_sgpr_flat_scratch_init 0
		.amdhsa_user_sgpr_kernarg_preload_length 0
		.amdhsa_user_sgpr_kernarg_preload_offset 0
		.amdhsa_user_sgpr_private_segment_size 0
		.amdhsa_uses_dynamic_stack 0
		.amdhsa_system_sgpr_private_segment_wavefront_offset 0
		.amdhsa_system_sgpr_workgroup_id_x 1
		.amdhsa_system_sgpr_workgroup_id_y 0
		.amdhsa_system_sgpr_workgroup_id_z 0
		.amdhsa_system_sgpr_workgroup_info 0
		.amdhsa_system_vgpr_workitem_id 0
		.amdhsa_next_free_vgpr 1
		.amdhsa_next_free_sgpr 0
		.amdhsa_accum_offset 4
		.amdhsa_reserve_vcc 0
		.amdhsa_reserve_flat_scratch 0
		.amdhsa_float_round_mode_32 0
		.amdhsa_float_round_mode_16_64 0
		.amdhsa_float_denorm_mode_32 3
		.amdhsa_float_denorm_mode_16_64 3
		.amdhsa_dx10_clamp 1
		.amdhsa_ieee_mode 1
		.amdhsa_fp16_overflow 0
		.amdhsa_tg_split 0
		.amdhsa_exception_fp_ieee_invalid_op 0
		.amdhsa_exception_fp_denorm_src 0
		.amdhsa_exception_fp_ieee_div_zero 0
		.amdhsa_exception_fp_ieee_overflow 0
		.amdhsa_exception_fp_ieee_underflow 0
		.amdhsa_exception_fp_ieee_inexact 0
		.amdhsa_exception_int_div_zero 0
	.end_amdhsa_kernel
	.section	.text._ZN7rocprim17ROCPRIM_400000_NS6detail17trampoline_kernelINS0_14default_configENS1_38merge_sort_block_merge_config_selectorIxNS0_10empty_typeEEEZZNS1_27merge_sort_block_merge_implIS3_N6thrust23THRUST_200600_302600_NS6detail15normal_iteratorINS9_10device_ptrIxEEEEPS5_m14custom_greaterIxEEE10hipError_tT0_T1_T2_jT3_P12ihipStream_tbPNSt15iterator_traitsISJ_E10value_typeEPNSP_ISK_E10value_typeEPSL_NS1_7vsmem_tEENKUlT_SJ_SK_SL_E_clISE_PxSF_SF_EESI_SY_SJ_SK_SL_EUlSY_E_NS1_11comp_targetILNS1_3genE9ELNS1_11target_archE1100ELNS1_3gpuE3ELNS1_3repE0EEENS1_48merge_mergepath_partition_config_static_selectorELNS0_4arch9wavefront6targetE1EEEvSK_,"axG",@progbits,_ZN7rocprim17ROCPRIM_400000_NS6detail17trampoline_kernelINS0_14default_configENS1_38merge_sort_block_merge_config_selectorIxNS0_10empty_typeEEEZZNS1_27merge_sort_block_merge_implIS3_N6thrust23THRUST_200600_302600_NS6detail15normal_iteratorINS9_10device_ptrIxEEEEPS5_m14custom_greaterIxEEE10hipError_tT0_T1_T2_jT3_P12ihipStream_tbPNSt15iterator_traitsISJ_E10value_typeEPNSP_ISK_E10value_typeEPSL_NS1_7vsmem_tEENKUlT_SJ_SK_SL_E_clISE_PxSF_SF_EESI_SY_SJ_SK_SL_EUlSY_E_NS1_11comp_targetILNS1_3genE9ELNS1_11target_archE1100ELNS1_3gpuE3ELNS1_3repE0EEENS1_48merge_mergepath_partition_config_static_selectorELNS0_4arch9wavefront6targetE1EEEvSK_,comdat
.Lfunc_end3418:
	.size	_ZN7rocprim17ROCPRIM_400000_NS6detail17trampoline_kernelINS0_14default_configENS1_38merge_sort_block_merge_config_selectorIxNS0_10empty_typeEEEZZNS1_27merge_sort_block_merge_implIS3_N6thrust23THRUST_200600_302600_NS6detail15normal_iteratorINS9_10device_ptrIxEEEEPS5_m14custom_greaterIxEEE10hipError_tT0_T1_T2_jT3_P12ihipStream_tbPNSt15iterator_traitsISJ_E10value_typeEPNSP_ISK_E10value_typeEPSL_NS1_7vsmem_tEENKUlT_SJ_SK_SL_E_clISE_PxSF_SF_EESI_SY_SJ_SK_SL_EUlSY_E_NS1_11comp_targetILNS1_3genE9ELNS1_11target_archE1100ELNS1_3gpuE3ELNS1_3repE0EEENS1_48merge_mergepath_partition_config_static_selectorELNS0_4arch9wavefront6targetE1EEEvSK_, .Lfunc_end3418-_ZN7rocprim17ROCPRIM_400000_NS6detail17trampoline_kernelINS0_14default_configENS1_38merge_sort_block_merge_config_selectorIxNS0_10empty_typeEEEZZNS1_27merge_sort_block_merge_implIS3_N6thrust23THRUST_200600_302600_NS6detail15normal_iteratorINS9_10device_ptrIxEEEEPS5_m14custom_greaterIxEEE10hipError_tT0_T1_T2_jT3_P12ihipStream_tbPNSt15iterator_traitsISJ_E10value_typeEPNSP_ISK_E10value_typeEPSL_NS1_7vsmem_tEENKUlT_SJ_SK_SL_E_clISE_PxSF_SF_EESI_SY_SJ_SK_SL_EUlSY_E_NS1_11comp_targetILNS1_3genE9ELNS1_11target_archE1100ELNS1_3gpuE3ELNS1_3repE0EEENS1_48merge_mergepath_partition_config_static_selectorELNS0_4arch9wavefront6targetE1EEEvSK_
                                        ; -- End function
	.section	.AMDGPU.csdata,"",@progbits
; Kernel info:
; codeLenInByte = 0
; NumSgprs: 4
; NumVgprs: 0
; NumAgprs: 0
; TotalNumVgprs: 0
; ScratchSize: 0
; MemoryBound: 0
; FloatMode: 240
; IeeeMode: 1
; LDSByteSize: 0 bytes/workgroup (compile time only)
; SGPRBlocks: 0
; VGPRBlocks: 0
; NumSGPRsForWavesPerEU: 4
; NumVGPRsForWavesPerEU: 1
; AccumOffset: 4
; Occupancy: 8
; WaveLimiterHint : 0
; COMPUTE_PGM_RSRC2:SCRATCH_EN: 0
; COMPUTE_PGM_RSRC2:USER_SGPR: 6
; COMPUTE_PGM_RSRC2:TRAP_HANDLER: 0
; COMPUTE_PGM_RSRC2:TGID_X_EN: 1
; COMPUTE_PGM_RSRC2:TGID_Y_EN: 0
; COMPUTE_PGM_RSRC2:TGID_Z_EN: 0
; COMPUTE_PGM_RSRC2:TIDIG_COMP_CNT: 0
; COMPUTE_PGM_RSRC3_GFX90A:ACCUM_OFFSET: 0
; COMPUTE_PGM_RSRC3_GFX90A:TG_SPLIT: 0
	.section	.text._ZN7rocprim17ROCPRIM_400000_NS6detail17trampoline_kernelINS0_14default_configENS1_38merge_sort_block_merge_config_selectorIxNS0_10empty_typeEEEZZNS1_27merge_sort_block_merge_implIS3_N6thrust23THRUST_200600_302600_NS6detail15normal_iteratorINS9_10device_ptrIxEEEEPS5_m14custom_greaterIxEEE10hipError_tT0_T1_T2_jT3_P12ihipStream_tbPNSt15iterator_traitsISJ_E10value_typeEPNSP_ISK_E10value_typeEPSL_NS1_7vsmem_tEENKUlT_SJ_SK_SL_E_clISE_PxSF_SF_EESI_SY_SJ_SK_SL_EUlSY_E_NS1_11comp_targetILNS1_3genE8ELNS1_11target_archE1030ELNS1_3gpuE2ELNS1_3repE0EEENS1_48merge_mergepath_partition_config_static_selectorELNS0_4arch9wavefront6targetE1EEEvSK_,"axG",@progbits,_ZN7rocprim17ROCPRIM_400000_NS6detail17trampoline_kernelINS0_14default_configENS1_38merge_sort_block_merge_config_selectorIxNS0_10empty_typeEEEZZNS1_27merge_sort_block_merge_implIS3_N6thrust23THRUST_200600_302600_NS6detail15normal_iteratorINS9_10device_ptrIxEEEEPS5_m14custom_greaterIxEEE10hipError_tT0_T1_T2_jT3_P12ihipStream_tbPNSt15iterator_traitsISJ_E10value_typeEPNSP_ISK_E10value_typeEPSL_NS1_7vsmem_tEENKUlT_SJ_SK_SL_E_clISE_PxSF_SF_EESI_SY_SJ_SK_SL_EUlSY_E_NS1_11comp_targetILNS1_3genE8ELNS1_11target_archE1030ELNS1_3gpuE2ELNS1_3repE0EEENS1_48merge_mergepath_partition_config_static_selectorELNS0_4arch9wavefront6targetE1EEEvSK_,comdat
	.protected	_ZN7rocprim17ROCPRIM_400000_NS6detail17trampoline_kernelINS0_14default_configENS1_38merge_sort_block_merge_config_selectorIxNS0_10empty_typeEEEZZNS1_27merge_sort_block_merge_implIS3_N6thrust23THRUST_200600_302600_NS6detail15normal_iteratorINS9_10device_ptrIxEEEEPS5_m14custom_greaterIxEEE10hipError_tT0_T1_T2_jT3_P12ihipStream_tbPNSt15iterator_traitsISJ_E10value_typeEPNSP_ISK_E10value_typeEPSL_NS1_7vsmem_tEENKUlT_SJ_SK_SL_E_clISE_PxSF_SF_EESI_SY_SJ_SK_SL_EUlSY_E_NS1_11comp_targetILNS1_3genE8ELNS1_11target_archE1030ELNS1_3gpuE2ELNS1_3repE0EEENS1_48merge_mergepath_partition_config_static_selectorELNS0_4arch9wavefront6targetE1EEEvSK_ ; -- Begin function _ZN7rocprim17ROCPRIM_400000_NS6detail17trampoline_kernelINS0_14default_configENS1_38merge_sort_block_merge_config_selectorIxNS0_10empty_typeEEEZZNS1_27merge_sort_block_merge_implIS3_N6thrust23THRUST_200600_302600_NS6detail15normal_iteratorINS9_10device_ptrIxEEEEPS5_m14custom_greaterIxEEE10hipError_tT0_T1_T2_jT3_P12ihipStream_tbPNSt15iterator_traitsISJ_E10value_typeEPNSP_ISK_E10value_typeEPSL_NS1_7vsmem_tEENKUlT_SJ_SK_SL_E_clISE_PxSF_SF_EESI_SY_SJ_SK_SL_EUlSY_E_NS1_11comp_targetILNS1_3genE8ELNS1_11target_archE1030ELNS1_3gpuE2ELNS1_3repE0EEENS1_48merge_mergepath_partition_config_static_selectorELNS0_4arch9wavefront6targetE1EEEvSK_
	.globl	_ZN7rocprim17ROCPRIM_400000_NS6detail17trampoline_kernelINS0_14default_configENS1_38merge_sort_block_merge_config_selectorIxNS0_10empty_typeEEEZZNS1_27merge_sort_block_merge_implIS3_N6thrust23THRUST_200600_302600_NS6detail15normal_iteratorINS9_10device_ptrIxEEEEPS5_m14custom_greaterIxEEE10hipError_tT0_T1_T2_jT3_P12ihipStream_tbPNSt15iterator_traitsISJ_E10value_typeEPNSP_ISK_E10value_typeEPSL_NS1_7vsmem_tEENKUlT_SJ_SK_SL_E_clISE_PxSF_SF_EESI_SY_SJ_SK_SL_EUlSY_E_NS1_11comp_targetILNS1_3genE8ELNS1_11target_archE1030ELNS1_3gpuE2ELNS1_3repE0EEENS1_48merge_mergepath_partition_config_static_selectorELNS0_4arch9wavefront6targetE1EEEvSK_
	.p2align	8
	.type	_ZN7rocprim17ROCPRIM_400000_NS6detail17trampoline_kernelINS0_14default_configENS1_38merge_sort_block_merge_config_selectorIxNS0_10empty_typeEEEZZNS1_27merge_sort_block_merge_implIS3_N6thrust23THRUST_200600_302600_NS6detail15normal_iteratorINS9_10device_ptrIxEEEEPS5_m14custom_greaterIxEEE10hipError_tT0_T1_T2_jT3_P12ihipStream_tbPNSt15iterator_traitsISJ_E10value_typeEPNSP_ISK_E10value_typeEPSL_NS1_7vsmem_tEENKUlT_SJ_SK_SL_E_clISE_PxSF_SF_EESI_SY_SJ_SK_SL_EUlSY_E_NS1_11comp_targetILNS1_3genE8ELNS1_11target_archE1030ELNS1_3gpuE2ELNS1_3repE0EEENS1_48merge_mergepath_partition_config_static_selectorELNS0_4arch9wavefront6targetE1EEEvSK_,@function
_ZN7rocprim17ROCPRIM_400000_NS6detail17trampoline_kernelINS0_14default_configENS1_38merge_sort_block_merge_config_selectorIxNS0_10empty_typeEEEZZNS1_27merge_sort_block_merge_implIS3_N6thrust23THRUST_200600_302600_NS6detail15normal_iteratorINS9_10device_ptrIxEEEEPS5_m14custom_greaterIxEEE10hipError_tT0_T1_T2_jT3_P12ihipStream_tbPNSt15iterator_traitsISJ_E10value_typeEPNSP_ISK_E10value_typeEPSL_NS1_7vsmem_tEENKUlT_SJ_SK_SL_E_clISE_PxSF_SF_EESI_SY_SJ_SK_SL_EUlSY_E_NS1_11comp_targetILNS1_3genE8ELNS1_11target_archE1030ELNS1_3gpuE2ELNS1_3repE0EEENS1_48merge_mergepath_partition_config_static_selectorELNS0_4arch9wavefront6targetE1EEEvSK_: ; @_ZN7rocprim17ROCPRIM_400000_NS6detail17trampoline_kernelINS0_14default_configENS1_38merge_sort_block_merge_config_selectorIxNS0_10empty_typeEEEZZNS1_27merge_sort_block_merge_implIS3_N6thrust23THRUST_200600_302600_NS6detail15normal_iteratorINS9_10device_ptrIxEEEEPS5_m14custom_greaterIxEEE10hipError_tT0_T1_T2_jT3_P12ihipStream_tbPNSt15iterator_traitsISJ_E10value_typeEPNSP_ISK_E10value_typeEPSL_NS1_7vsmem_tEENKUlT_SJ_SK_SL_E_clISE_PxSF_SF_EESI_SY_SJ_SK_SL_EUlSY_E_NS1_11comp_targetILNS1_3genE8ELNS1_11target_archE1030ELNS1_3gpuE2ELNS1_3repE0EEENS1_48merge_mergepath_partition_config_static_selectorELNS0_4arch9wavefront6targetE1EEEvSK_
; %bb.0:
	.section	.rodata,"a",@progbits
	.p2align	6, 0x0
	.amdhsa_kernel _ZN7rocprim17ROCPRIM_400000_NS6detail17trampoline_kernelINS0_14default_configENS1_38merge_sort_block_merge_config_selectorIxNS0_10empty_typeEEEZZNS1_27merge_sort_block_merge_implIS3_N6thrust23THRUST_200600_302600_NS6detail15normal_iteratorINS9_10device_ptrIxEEEEPS5_m14custom_greaterIxEEE10hipError_tT0_T1_T2_jT3_P12ihipStream_tbPNSt15iterator_traitsISJ_E10value_typeEPNSP_ISK_E10value_typeEPSL_NS1_7vsmem_tEENKUlT_SJ_SK_SL_E_clISE_PxSF_SF_EESI_SY_SJ_SK_SL_EUlSY_E_NS1_11comp_targetILNS1_3genE8ELNS1_11target_archE1030ELNS1_3gpuE2ELNS1_3repE0EEENS1_48merge_mergepath_partition_config_static_selectorELNS0_4arch9wavefront6targetE1EEEvSK_
		.amdhsa_group_segment_fixed_size 0
		.amdhsa_private_segment_fixed_size 0
		.amdhsa_kernarg_size 48
		.amdhsa_user_sgpr_count 6
		.amdhsa_user_sgpr_private_segment_buffer 1
		.amdhsa_user_sgpr_dispatch_ptr 0
		.amdhsa_user_sgpr_queue_ptr 0
		.amdhsa_user_sgpr_kernarg_segment_ptr 1
		.amdhsa_user_sgpr_dispatch_id 0
		.amdhsa_user_sgpr_flat_scratch_init 0
		.amdhsa_user_sgpr_kernarg_preload_length 0
		.amdhsa_user_sgpr_kernarg_preload_offset 0
		.amdhsa_user_sgpr_private_segment_size 0
		.amdhsa_uses_dynamic_stack 0
		.amdhsa_system_sgpr_private_segment_wavefront_offset 0
		.amdhsa_system_sgpr_workgroup_id_x 1
		.amdhsa_system_sgpr_workgroup_id_y 0
		.amdhsa_system_sgpr_workgroup_id_z 0
		.amdhsa_system_sgpr_workgroup_info 0
		.amdhsa_system_vgpr_workitem_id 0
		.amdhsa_next_free_vgpr 1
		.amdhsa_next_free_sgpr 0
		.amdhsa_accum_offset 4
		.amdhsa_reserve_vcc 0
		.amdhsa_reserve_flat_scratch 0
		.amdhsa_float_round_mode_32 0
		.amdhsa_float_round_mode_16_64 0
		.amdhsa_float_denorm_mode_32 3
		.amdhsa_float_denorm_mode_16_64 3
		.amdhsa_dx10_clamp 1
		.amdhsa_ieee_mode 1
		.amdhsa_fp16_overflow 0
		.amdhsa_tg_split 0
		.amdhsa_exception_fp_ieee_invalid_op 0
		.amdhsa_exception_fp_denorm_src 0
		.amdhsa_exception_fp_ieee_div_zero 0
		.amdhsa_exception_fp_ieee_overflow 0
		.amdhsa_exception_fp_ieee_underflow 0
		.amdhsa_exception_fp_ieee_inexact 0
		.amdhsa_exception_int_div_zero 0
	.end_amdhsa_kernel
	.section	.text._ZN7rocprim17ROCPRIM_400000_NS6detail17trampoline_kernelINS0_14default_configENS1_38merge_sort_block_merge_config_selectorIxNS0_10empty_typeEEEZZNS1_27merge_sort_block_merge_implIS3_N6thrust23THRUST_200600_302600_NS6detail15normal_iteratorINS9_10device_ptrIxEEEEPS5_m14custom_greaterIxEEE10hipError_tT0_T1_T2_jT3_P12ihipStream_tbPNSt15iterator_traitsISJ_E10value_typeEPNSP_ISK_E10value_typeEPSL_NS1_7vsmem_tEENKUlT_SJ_SK_SL_E_clISE_PxSF_SF_EESI_SY_SJ_SK_SL_EUlSY_E_NS1_11comp_targetILNS1_3genE8ELNS1_11target_archE1030ELNS1_3gpuE2ELNS1_3repE0EEENS1_48merge_mergepath_partition_config_static_selectorELNS0_4arch9wavefront6targetE1EEEvSK_,"axG",@progbits,_ZN7rocprim17ROCPRIM_400000_NS6detail17trampoline_kernelINS0_14default_configENS1_38merge_sort_block_merge_config_selectorIxNS0_10empty_typeEEEZZNS1_27merge_sort_block_merge_implIS3_N6thrust23THRUST_200600_302600_NS6detail15normal_iteratorINS9_10device_ptrIxEEEEPS5_m14custom_greaterIxEEE10hipError_tT0_T1_T2_jT3_P12ihipStream_tbPNSt15iterator_traitsISJ_E10value_typeEPNSP_ISK_E10value_typeEPSL_NS1_7vsmem_tEENKUlT_SJ_SK_SL_E_clISE_PxSF_SF_EESI_SY_SJ_SK_SL_EUlSY_E_NS1_11comp_targetILNS1_3genE8ELNS1_11target_archE1030ELNS1_3gpuE2ELNS1_3repE0EEENS1_48merge_mergepath_partition_config_static_selectorELNS0_4arch9wavefront6targetE1EEEvSK_,comdat
.Lfunc_end3419:
	.size	_ZN7rocprim17ROCPRIM_400000_NS6detail17trampoline_kernelINS0_14default_configENS1_38merge_sort_block_merge_config_selectorIxNS0_10empty_typeEEEZZNS1_27merge_sort_block_merge_implIS3_N6thrust23THRUST_200600_302600_NS6detail15normal_iteratorINS9_10device_ptrIxEEEEPS5_m14custom_greaterIxEEE10hipError_tT0_T1_T2_jT3_P12ihipStream_tbPNSt15iterator_traitsISJ_E10value_typeEPNSP_ISK_E10value_typeEPSL_NS1_7vsmem_tEENKUlT_SJ_SK_SL_E_clISE_PxSF_SF_EESI_SY_SJ_SK_SL_EUlSY_E_NS1_11comp_targetILNS1_3genE8ELNS1_11target_archE1030ELNS1_3gpuE2ELNS1_3repE0EEENS1_48merge_mergepath_partition_config_static_selectorELNS0_4arch9wavefront6targetE1EEEvSK_, .Lfunc_end3419-_ZN7rocprim17ROCPRIM_400000_NS6detail17trampoline_kernelINS0_14default_configENS1_38merge_sort_block_merge_config_selectorIxNS0_10empty_typeEEEZZNS1_27merge_sort_block_merge_implIS3_N6thrust23THRUST_200600_302600_NS6detail15normal_iteratorINS9_10device_ptrIxEEEEPS5_m14custom_greaterIxEEE10hipError_tT0_T1_T2_jT3_P12ihipStream_tbPNSt15iterator_traitsISJ_E10value_typeEPNSP_ISK_E10value_typeEPSL_NS1_7vsmem_tEENKUlT_SJ_SK_SL_E_clISE_PxSF_SF_EESI_SY_SJ_SK_SL_EUlSY_E_NS1_11comp_targetILNS1_3genE8ELNS1_11target_archE1030ELNS1_3gpuE2ELNS1_3repE0EEENS1_48merge_mergepath_partition_config_static_selectorELNS0_4arch9wavefront6targetE1EEEvSK_
                                        ; -- End function
	.section	.AMDGPU.csdata,"",@progbits
; Kernel info:
; codeLenInByte = 0
; NumSgprs: 4
; NumVgprs: 0
; NumAgprs: 0
; TotalNumVgprs: 0
; ScratchSize: 0
; MemoryBound: 0
; FloatMode: 240
; IeeeMode: 1
; LDSByteSize: 0 bytes/workgroup (compile time only)
; SGPRBlocks: 0
; VGPRBlocks: 0
; NumSGPRsForWavesPerEU: 4
; NumVGPRsForWavesPerEU: 1
; AccumOffset: 4
; Occupancy: 8
; WaveLimiterHint : 0
; COMPUTE_PGM_RSRC2:SCRATCH_EN: 0
; COMPUTE_PGM_RSRC2:USER_SGPR: 6
; COMPUTE_PGM_RSRC2:TRAP_HANDLER: 0
; COMPUTE_PGM_RSRC2:TGID_X_EN: 1
; COMPUTE_PGM_RSRC2:TGID_Y_EN: 0
; COMPUTE_PGM_RSRC2:TGID_Z_EN: 0
; COMPUTE_PGM_RSRC2:TIDIG_COMP_CNT: 0
; COMPUTE_PGM_RSRC3_GFX90A:ACCUM_OFFSET: 0
; COMPUTE_PGM_RSRC3_GFX90A:TG_SPLIT: 0
	.section	.text._ZN7rocprim17ROCPRIM_400000_NS6detail17trampoline_kernelINS0_14default_configENS1_38merge_sort_block_merge_config_selectorIxNS0_10empty_typeEEEZZNS1_27merge_sort_block_merge_implIS3_N6thrust23THRUST_200600_302600_NS6detail15normal_iteratorINS9_10device_ptrIxEEEEPS5_m14custom_greaterIxEEE10hipError_tT0_T1_T2_jT3_P12ihipStream_tbPNSt15iterator_traitsISJ_E10value_typeEPNSP_ISK_E10value_typeEPSL_NS1_7vsmem_tEENKUlT_SJ_SK_SL_E_clISE_PxSF_SF_EESI_SY_SJ_SK_SL_EUlSY_E0_NS1_11comp_targetILNS1_3genE0ELNS1_11target_archE4294967295ELNS1_3gpuE0ELNS1_3repE0EEENS1_38merge_mergepath_config_static_selectorELNS0_4arch9wavefront6targetE1EEEvSK_,"axG",@progbits,_ZN7rocprim17ROCPRIM_400000_NS6detail17trampoline_kernelINS0_14default_configENS1_38merge_sort_block_merge_config_selectorIxNS0_10empty_typeEEEZZNS1_27merge_sort_block_merge_implIS3_N6thrust23THRUST_200600_302600_NS6detail15normal_iteratorINS9_10device_ptrIxEEEEPS5_m14custom_greaterIxEEE10hipError_tT0_T1_T2_jT3_P12ihipStream_tbPNSt15iterator_traitsISJ_E10value_typeEPNSP_ISK_E10value_typeEPSL_NS1_7vsmem_tEENKUlT_SJ_SK_SL_E_clISE_PxSF_SF_EESI_SY_SJ_SK_SL_EUlSY_E0_NS1_11comp_targetILNS1_3genE0ELNS1_11target_archE4294967295ELNS1_3gpuE0ELNS1_3repE0EEENS1_38merge_mergepath_config_static_selectorELNS0_4arch9wavefront6targetE1EEEvSK_,comdat
	.protected	_ZN7rocprim17ROCPRIM_400000_NS6detail17trampoline_kernelINS0_14default_configENS1_38merge_sort_block_merge_config_selectorIxNS0_10empty_typeEEEZZNS1_27merge_sort_block_merge_implIS3_N6thrust23THRUST_200600_302600_NS6detail15normal_iteratorINS9_10device_ptrIxEEEEPS5_m14custom_greaterIxEEE10hipError_tT0_T1_T2_jT3_P12ihipStream_tbPNSt15iterator_traitsISJ_E10value_typeEPNSP_ISK_E10value_typeEPSL_NS1_7vsmem_tEENKUlT_SJ_SK_SL_E_clISE_PxSF_SF_EESI_SY_SJ_SK_SL_EUlSY_E0_NS1_11comp_targetILNS1_3genE0ELNS1_11target_archE4294967295ELNS1_3gpuE0ELNS1_3repE0EEENS1_38merge_mergepath_config_static_selectorELNS0_4arch9wavefront6targetE1EEEvSK_ ; -- Begin function _ZN7rocprim17ROCPRIM_400000_NS6detail17trampoline_kernelINS0_14default_configENS1_38merge_sort_block_merge_config_selectorIxNS0_10empty_typeEEEZZNS1_27merge_sort_block_merge_implIS3_N6thrust23THRUST_200600_302600_NS6detail15normal_iteratorINS9_10device_ptrIxEEEEPS5_m14custom_greaterIxEEE10hipError_tT0_T1_T2_jT3_P12ihipStream_tbPNSt15iterator_traitsISJ_E10value_typeEPNSP_ISK_E10value_typeEPSL_NS1_7vsmem_tEENKUlT_SJ_SK_SL_E_clISE_PxSF_SF_EESI_SY_SJ_SK_SL_EUlSY_E0_NS1_11comp_targetILNS1_3genE0ELNS1_11target_archE4294967295ELNS1_3gpuE0ELNS1_3repE0EEENS1_38merge_mergepath_config_static_selectorELNS0_4arch9wavefront6targetE1EEEvSK_
	.globl	_ZN7rocprim17ROCPRIM_400000_NS6detail17trampoline_kernelINS0_14default_configENS1_38merge_sort_block_merge_config_selectorIxNS0_10empty_typeEEEZZNS1_27merge_sort_block_merge_implIS3_N6thrust23THRUST_200600_302600_NS6detail15normal_iteratorINS9_10device_ptrIxEEEEPS5_m14custom_greaterIxEEE10hipError_tT0_T1_T2_jT3_P12ihipStream_tbPNSt15iterator_traitsISJ_E10value_typeEPNSP_ISK_E10value_typeEPSL_NS1_7vsmem_tEENKUlT_SJ_SK_SL_E_clISE_PxSF_SF_EESI_SY_SJ_SK_SL_EUlSY_E0_NS1_11comp_targetILNS1_3genE0ELNS1_11target_archE4294967295ELNS1_3gpuE0ELNS1_3repE0EEENS1_38merge_mergepath_config_static_selectorELNS0_4arch9wavefront6targetE1EEEvSK_
	.p2align	8
	.type	_ZN7rocprim17ROCPRIM_400000_NS6detail17trampoline_kernelINS0_14default_configENS1_38merge_sort_block_merge_config_selectorIxNS0_10empty_typeEEEZZNS1_27merge_sort_block_merge_implIS3_N6thrust23THRUST_200600_302600_NS6detail15normal_iteratorINS9_10device_ptrIxEEEEPS5_m14custom_greaterIxEEE10hipError_tT0_T1_T2_jT3_P12ihipStream_tbPNSt15iterator_traitsISJ_E10value_typeEPNSP_ISK_E10value_typeEPSL_NS1_7vsmem_tEENKUlT_SJ_SK_SL_E_clISE_PxSF_SF_EESI_SY_SJ_SK_SL_EUlSY_E0_NS1_11comp_targetILNS1_3genE0ELNS1_11target_archE4294967295ELNS1_3gpuE0ELNS1_3repE0EEENS1_38merge_mergepath_config_static_selectorELNS0_4arch9wavefront6targetE1EEEvSK_,@function
_ZN7rocprim17ROCPRIM_400000_NS6detail17trampoline_kernelINS0_14default_configENS1_38merge_sort_block_merge_config_selectorIxNS0_10empty_typeEEEZZNS1_27merge_sort_block_merge_implIS3_N6thrust23THRUST_200600_302600_NS6detail15normal_iteratorINS9_10device_ptrIxEEEEPS5_m14custom_greaterIxEEE10hipError_tT0_T1_T2_jT3_P12ihipStream_tbPNSt15iterator_traitsISJ_E10value_typeEPNSP_ISK_E10value_typeEPSL_NS1_7vsmem_tEENKUlT_SJ_SK_SL_E_clISE_PxSF_SF_EESI_SY_SJ_SK_SL_EUlSY_E0_NS1_11comp_targetILNS1_3genE0ELNS1_11target_archE4294967295ELNS1_3gpuE0ELNS1_3repE0EEENS1_38merge_mergepath_config_static_selectorELNS0_4arch9wavefront6targetE1EEEvSK_: ; @_ZN7rocprim17ROCPRIM_400000_NS6detail17trampoline_kernelINS0_14default_configENS1_38merge_sort_block_merge_config_selectorIxNS0_10empty_typeEEEZZNS1_27merge_sort_block_merge_implIS3_N6thrust23THRUST_200600_302600_NS6detail15normal_iteratorINS9_10device_ptrIxEEEEPS5_m14custom_greaterIxEEE10hipError_tT0_T1_T2_jT3_P12ihipStream_tbPNSt15iterator_traitsISJ_E10value_typeEPNSP_ISK_E10value_typeEPSL_NS1_7vsmem_tEENKUlT_SJ_SK_SL_E_clISE_PxSF_SF_EESI_SY_SJ_SK_SL_EUlSY_E0_NS1_11comp_targetILNS1_3genE0ELNS1_11target_archE4294967295ELNS1_3gpuE0ELNS1_3repE0EEENS1_38merge_mergepath_config_static_selectorELNS0_4arch9wavefront6targetE1EEEvSK_
; %bb.0:
	.section	.rodata,"a",@progbits
	.p2align	6, 0x0
	.amdhsa_kernel _ZN7rocprim17ROCPRIM_400000_NS6detail17trampoline_kernelINS0_14default_configENS1_38merge_sort_block_merge_config_selectorIxNS0_10empty_typeEEEZZNS1_27merge_sort_block_merge_implIS3_N6thrust23THRUST_200600_302600_NS6detail15normal_iteratorINS9_10device_ptrIxEEEEPS5_m14custom_greaterIxEEE10hipError_tT0_T1_T2_jT3_P12ihipStream_tbPNSt15iterator_traitsISJ_E10value_typeEPNSP_ISK_E10value_typeEPSL_NS1_7vsmem_tEENKUlT_SJ_SK_SL_E_clISE_PxSF_SF_EESI_SY_SJ_SK_SL_EUlSY_E0_NS1_11comp_targetILNS1_3genE0ELNS1_11target_archE4294967295ELNS1_3gpuE0ELNS1_3repE0EEENS1_38merge_mergepath_config_static_selectorELNS0_4arch9wavefront6targetE1EEEvSK_
		.amdhsa_group_segment_fixed_size 0
		.amdhsa_private_segment_fixed_size 0
		.amdhsa_kernarg_size 72
		.amdhsa_user_sgpr_count 6
		.amdhsa_user_sgpr_private_segment_buffer 1
		.amdhsa_user_sgpr_dispatch_ptr 0
		.amdhsa_user_sgpr_queue_ptr 0
		.amdhsa_user_sgpr_kernarg_segment_ptr 1
		.amdhsa_user_sgpr_dispatch_id 0
		.amdhsa_user_sgpr_flat_scratch_init 0
		.amdhsa_user_sgpr_kernarg_preload_length 0
		.amdhsa_user_sgpr_kernarg_preload_offset 0
		.amdhsa_user_sgpr_private_segment_size 0
		.amdhsa_uses_dynamic_stack 0
		.amdhsa_system_sgpr_private_segment_wavefront_offset 0
		.amdhsa_system_sgpr_workgroup_id_x 1
		.amdhsa_system_sgpr_workgroup_id_y 0
		.amdhsa_system_sgpr_workgroup_id_z 0
		.amdhsa_system_sgpr_workgroup_info 0
		.amdhsa_system_vgpr_workitem_id 0
		.amdhsa_next_free_vgpr 1
		.amdhsa_next_free_sgpr 0
		.amdhsa_accum_offset 4
		.amdhsa_reserve_vcc 0
		.amdhsa_reserve_flat_scratch 0
		.amdhsa_float_round_mode_32 0
		.amdhsa_float_round_mode_16_64 0
		.amdhsa_float_denorm_mode_32 3
		.amdhsa_float_denorm_mode_16_64 3
		.amdhsa_dx10_clamp 1
		.amdhsa_ieee_mode 1
		.amdhsa_fp16_overflow 0
		.amdhsa_tg_split 0
		.amdhsa_exception_fp_ieee_invalid_op 0
		.amdhsa_exception_fp_denorm_src 0
		.amdhsa_exception_fp_ieee_div_zero 0
		.amdhsa_exception_fp_ieee_overflow 0
		.amdhsa_exception_fp_ieee_underflow 0
		.amdhsa_exception_fp_ieee_inexact 0
		.amdhsa_exception_int_div_zero 0
	.end_amdhsa_kernel
	.section	.text._ZN7rocprim17ROCPRIM_400000_NS6detail17trampoline_kernelINS0_14default_configENS1_38merge_sort_block_merge_config_selectorIxNS0_10empty_typeEEEZZNS1_27merge_sort_block_merge_implIS3_N6thrust23THRUST_200600_302600_NS6detail15normal_iteratorINS9_10device_ptrIxEEEEPS5_m14custom_greaterIxEEE10hipError_tT0_T1_T2_jT3_P12ihipStream_tbPNSt15iterator_traitsISJ_E10value_typeEPNSP_ISK_E10value_typeEPSL_NS1_7vsmem_tEENKUlT_SJ_SK_SL_E_clISE_PxSF_SF_EESI_SY_SJ_SK_SL_EUlSY_E0_NS1_11comp_targetILNS1_3genE0ELNS1_11target_archE4294967295ELNS1_3gpuE0ELNS1_3repE0EEENS1_38merge_mergepath_config_static_selectorELNS0_4arch9wavefront6targetE1EEEvSK_,"axG",@progbits,_ZN7rocprim17ROCPRIM_400000_NS6detail17trampoline_kernelINS0_14default_configENS1_38merge_sort_block_merge_config_selectorIxNS0_10empty_typeEEEZZNS1_27merge_sort_block_merge_implIS3_N6thrust23THRUST_200600_302600_NS6detail15normal_iteratorINS9_10device_ptrIxEEEEPS5_m14custom_greaterIxEEE10hipError_tT0_T1_T2_jT3_P12ihipStream_tbPNSt15iterator_traitsISJ_E10value_typeEPNSP_ISK_E10value_typeEPSL_NS1_7vsmem_tEENKUlT_SJ_SK_SL_E_clISE_PxSF_SF_EESI_SY_SJ_SK_SL_EUlSY_E0_NS1_11comp_targetILNS1_3genE0ELNS1_11target_archE4294967295ELNS1_3gpuE0ELNS1_3repE0EEENS1_38merge_mergepath_config_static_selectorELNS0_4arch9wavefront6targetE1EEEvSK_,comdat
.Lfunc_end3420:
	.size	_ZN7rocprim17ROCPRIM_400000_NS6detail17trampoline_kernelINS0_14default_configENS1_38merge_sort_block_merge_config_selectorIxNS0_10empty_typeEEEZZNS1_27merge_sort_block_merge_implIS3_N6thrust23THRUST_200600_302600_NS6detail15normal_iteratorINS9_10device_ptrIxEEEEPS5_m14custom_greaterIxEEE10hipError_tT0_T1_T2_jT3_P12ihipStream_tbPNSt15iterator_traitsISJ_E10value_typeEPNSP_ISK_E10value_typeEPSL_NS1_7vsmem_tEENKUlT_SJ_SK_SL_E_clISE_PxSF_SF_EESI_SY_SJ_SK_SL_EUlSY_E0_NS1_11comp_targetILNS1_3genE0ELNS1_11target_archE4294967295ELNS1_3gpuE0ELNS1_3repE0EEENS1_38merge_mergepath_config_static_selectorELNS0_4arch9wavefront6targetE1EEEvSK_, .Lfunc_end3420-_ZN7rocprim17ROCPRIM_400000_NS6detail17trampoline_kernelINS0_14default_configENS1_38merge_sort_block_merge_config_selectorIxNS0_10empty_typeEEEZZNS1_27merge_sort_block_merge_implIS3_N6thrust23THRUST_200600_302600_NS6detail15normal_iteratorINS9_10device_ptrIxEEEEPS5_m14custom_greaterIxEEE10hipError_tT0_T1_T2_jT3_P12ihipStream_tbPNSt15iterator_traitsISJ_E10value_typeEPNSP_ISK_E10value_typeEPSL_NS1_7vsmem_tEENKUlT_SJ_SK_SL_E_clISE_PxSF_SF_EESI_SY_SJ_SK_SL_EUlSY_E0_NS1_11comp_targetILNS1_3genE0ELNS1_11target_archE4294967295ELNS1_3gpuE0ELNS1_3repE0EEENS1_38merge_mergepath_config_static_selectorELNS0_4arch9wavefront6targetE1EEEvSK_
                                        ; -- End function
	.section	.AMDGPU.csdata,"",@progbits
; Kernel info:
; codeLenInByte = 0
; NumSgprs: 4
; NumVgprs: 0
; NumAgprs: 0
; TotalNumVgprs: 0
; ScratchSize: 0
; MemoryBound: 0
; FloatMode: 240
; IeeeMode: 1
; LDSByteSize: 0 bytes/workgroup (compile time only)
; SGPRBlocks: 0
; VGPRBlocks: 0
; NumSGPRsForWavesPerEU: 4
; NumVGPRsForWavesPerEU: 1
; AccumOffset: 4
; Occupancy: 8
; WaveLimiterHint : 0
; COMPUTE_PGM_RSRC2:SCRATCH_EN: 0
; COMPUTE_PGM_RSRC2:USER_SGPR: 6
; COMPUTE_PGM_RSRC2:TRAP_HANDLER: 0
; COMPUTE_PGM_RSRC2:TGID_X_EN: 1
; COMPUTE_PGM_RSRC2:TGID_Y_EN: 0
; COMPUTE_PGM_RSRC2:TGID_Z_EN: 0
; COMPUTE_PGM_RSRC2:TIDIG_COMP_CNT: 0
; COMPUTE_PGM_RSRC3_GFX90A:ACCUM_OFFSET: 0
; COMPUTE_PGM_RSRC3_GFX90A:TG_SPLIT: 0
	.section	.text._ZN7rocprim17ROCPRIM_400000_NS6detail17trampoline_kernelINS0_14default_configENS1_38merge_sort_block_merge_config_selectorIxNS0_10empty_typeEEEZZNS1_27merge_sort_block_merge_implIS3_N6thrust23THRUST_200600_302600_NS6detail15normal_iteratorINS9_10device_ptrIxEEEEPS5_m14custom_greaterIxEEE10hipError_tT0_T1_T2_jT3_P12ihipStream_tbPNSt15iterator_traitsISJ_E10value_typeEPNSP_ISK_E10value_typeEPSL_NS1_7vsmem_tEENKUlT_SJ_SK_SL_E_clISE_PxSF_SF_EESI_SY_SJ_SK_SL_EUlSY_E0_NS1_11comp_targetILNS1_3genE10ELNS1_11target_archE1201ELNS1_3gpuE5ELNS1_3repE0EEENS1_38merge_mergepath_config_static_selectorELNS0_4arch9wavefront6targetE1EEEvSK_,"axG",@progbits,_ZN7rocprim17ROCPRIM_400000_NS6detail17trampoline_kernelINS0_14default_configENS1_38merge_sort_block_merge_config_selectorIxNS0_10empty_typeEEEZZNS1_27merge_sort_block_merge_implIS3_N6thrust23THRUST_200600_302600_NS6detail15normal_iteratorINS9_10device_ptrIxEEEEPS5_m14custom_greaterIxEEE10hipError_tT0_T1_T2_jT3_P12ihipStream_tbPNSt15iterator_traitsISJ_E10value_typeEPNSP_ISK_E10value_typeEPSL_NS1_7vsmem_tEENKUlT_SJ_SK_SL_E_clISE_PxSF_SF_EESI_SY_SJ_SK_SL_EUlSY_E0_NS1_11comp_targetILNS1_3genE10ELNS1_11target_archE1201ELNS1_3gpuE5ELNS1_3repE0EEENS1_38merge_mergepath_config_static_selectorELNS0_4arch9wavefront6targetE1EEEvSK_,comdat
	.protected	_ZN7rocprim17ROCPRIM_400000_NS6detail17trampoline_kernelINS0_14default_configENS1_38merge_sort_block_merge_config_selectorIxNS0_10empty_typeEEEZZNS1_27merge_sort_block_merge_implIS3_N6thrust23THRUST_200600_302600_NS6detail15normal_iteratorINS9_10device_ptrIxEEEEPS5_m14custom_greaterIxEEE10hipError_tT0_T1_T2_jT3_P12ihipStream_tbPNSt15iterator_traitsISJ_E10value_typeEPNSP_ISK_E10value_typeEPSL_NS1_7vsmem_tEENKUlT_SJ_SK_SL_E_clISE_PxSF_SF_EESI_SY_SJ_SK_SL_EUlSY_E0_NS1_11comp_targetILNS1_3genE10ELNS1_11target_archE1201ELNS1_3gpuE5ELNS1_3repE0EEENS1_38merge_mergepath_config_static_selectorELNS0_4arch9wavefront6targetE1EEEvSK_ ; -- Begin function _ZN7rocprim17ROCPRIM_400000_NS6detail17trampoline_kernelINS0_14default_configENS1_38merge_sort_block_merge_config_selectorIxNS0_10empty_typeEEEZZNS1_27merge_sort_block_merge_implIS3_N6thrust23THRUST_200600_302600_NS6detail15normal_iteratorINS9_10device_ptrIxEEEEPS5_m14custom_greaterIxEEE10hipError_tT0_T1_T2_jT3_P12ihipStream_tbPNSt15iterator_traitsISJ_E10value_typeEPNSP_ISK_E10value_typeEPSL_NS1_7vsmem_tEENKUlT_SJ_SK_SL_E_clISE_PxSF_SF_EESI_SY_SJ_SK_SL_EUlSY_E0_NS1_11comp_targetILNS1_3genE10ELNS1_11target_archE1201ELNS1_3gpuE5ELNS1_3repE0EEENS1_38merge_mergepath_config_static_selectorELNS0_4arch9wavefront6targetE1EEEvSK_
	.globl	_ZN7rocprim17ROCPRIM_400000_NS6detail17trampoline_kernelINS0_14default_configENS1_38merge_sort_block_merge_config_selectorIxNS0_10empty_typeEEEZZNS1_27merge_sort_block_merge_implIS3_N6thrust23THRUST_200600_302600_NS6detail15normal_iteratorINS9_10device_ptrIxEEEEPS5_m14custom_greaterIxEEE10hipError_tT0_T1_T2_jT3_P12ihipStream_tbPNSt15iterator_traitsISJ_E10value_typeEPNSP_ISK_E10value_typeEPSL_NS1_7vsmem_tEENKUlT_SJ_SK_SL_E_clISE_PxSF_SF_EESI_SY_SJ_SK_SL_EUlSY_E0_NS1_11comp_targetILNS1_3genE10ELNS1_11target_archE1201ELNS1_3gpuE5ELNS1_3repE0EEENS1_38merge_mergepath_config_static_selectorELNS0_4arch9wavefront6targetE1EEEvSK_
	.p2align	8
	.type	_ZN7rocprim17ROCPRIM_400000_NS6detail17trampoline_kernelINS0_14default_configENS1_38merge_sort_block_merge_config_selectorIxNS0_10empty_typeEEEZZNS1_27merge_sort_block_merge_implIS3_N6thrust23THRUST_200600_302600_NS6detail15normal_iteratorINS9_10device_ptrIxEEEEPS5_m14custom_greaterIxEEE10hipError_tT0_T1_T2_jT3_P12ihipStream_tbPNSt15iterator_traitsISJ_E10value_typeEPNSP_ISK_E10value_typeEPSL_NS1_7vsmem_tEENKUlT_SJ_SK_SL_E_clISE_PxSF_SF_EESI_SY_SJ_SK_SL_EUlSY_E0_NS1_11comp_targetILNS1_3genE10ELNS1_11target_archE1201ELNS1_3gpuE5ELNS1_3repE0EEENS1_38merge_mergepath_config_static_selectorELNS0_4arch9wavefront6targetE1EEEvSK_,@function
_ZN7rocprim17ROCPRIM_400000_NS6detail17trampoline_kernelINS0_14default_configENS1_38merge_sort_block_merge_config_selectorIxNS0_10empty_typeEEEZZNS1_27merge_sort_block_merge_implIS3_N6thrust23THRUST_200600_302600_NS6detail15normal_iteratorINS9_10device_ptrIxEEEEPS5_m14custom_greaterIxEEE10hipError_tT0_T1_T2_jT3_P12ihipStream_tbPNSt15iterator_traitsISJ_E10value_typeEPNSP_ISK_E10value_typeEPSL_NS1_7vsmem_tEENKUlT_SJ_SK_SL_E_clISE_PxSF_SF_EESI_SY_SJ_SK_SL_EUlSY_E0_NS1_11comp_targetILNS1_3genE10ELNS1_11target_archE1201ELNS1_3gpuE5ELNS1_3repE0EEENS1_38merge_mergepath_config_static_selectorELNS0_4arch9wavefront6targetE1EEEvSK_: ; @_ZN7rocprim17ROCPRIM_400000_NS6detail17trampoline_kernelINS0_14default_configENS1_38merge_sort_block_merge_config_selectorIxNS0_10empty_typeEEEZZNS1_27merge_sort_block_merge_implIS3_N6thrust23THRUST_200600_302600_NS6detail15normal_iteratorINS9_10device_ptrIxEEEEPS5_m14custom_greaterIxEEE10hipError_tT0_T1_T2_jT3_P12ihipStream_tbPNSt15iterator_traitsISJ_E10value_typeEPNSP_ISK_E10value_typeEPSL_NS1_7vsmem_tEENKUlT_SJ_SK_SL_E_clISE_PxSF_SF_EESI_SY_SJ_SK_SL_EUlSY_E0_NS1_11comp_targetILNS1_3genE10ELNS1_11target_archE1201ELNS1_3gpuE5ELNS1_3repE0EEENS1_38merge_mergepath_config_static_selectorELNS0_4arch9wavefront6targetE1EEEvSK_
; %bb.0:
	.section	.rodata,"a",@progbits
	.p2align	6, 0x0
	.amdhsa_kernel _ZN7rocprim17ROCPRIM_400000_NS6detail17trampoline_kernelINS0_14default_configENS1_38merge_sort_block_merge_config_selectorIxNS0_10empty_typeEEEZZNS1_27merge_sort_block_merge_implIS3_N6thrust23THRUST_200600_302600_NS6detail15normal_iteratorINS9_10device_ptrIxEEEEPS5_m14custom_greaterIxEEE10hipError_tT0_T1_T2_jT3_P12ihipStream_tbPNSt15iterator_traitsISJ_E10value_typeEPNSP_ISK_E10value_typeEPSL_NS1_7vsmem_tEENKUlT_SJ_SK_SL_E_clISE_PxSF_SF_EESI_SY_SJ_SK_SL_EUlSY_E0_NS1_11comp_targetILNS1_3genE10ELNS1_11target_archE1201ELNS1_3gpuE5ELNS1_3repE0EEENS1_38merge_mergepath_config_static_selectorELNS0_4arch9wavefront6targetE1EEEvSK_
		.amdhsa_group_segment_fixed_size 0
		.amdhsa_private_segment_fixed_size 0
		.amdhsa_kernarg_size 72
		.amdhsa_user_sgpr_count 6
		.amdhsa_user_sgpr_private_segment_buffer 1
		.amdhsa_user_sgpr_dispatch_ptr 0
		.amdhsa_user_sgpr_queue_ptr 0
		.amdhsa_user_sgpr_kernarg_segment_ptr 1
		.amdhsa_user_sgpr_dispatch_id 0
		.amdhsa_user_sgpr_flat_scratch_init 0
		.amdhsa_user_sgpr_kernarg_preload_length 0
		.amdhsa_user_sgpr_kernarg_preload_offset 0
		.amdhsa_user_sgpr_private_segment_size 0
		.amdhsa_uses_dynamic_stack 0
		.amdhsa_system_sgpr_private_segment_wavefront_offset 0
		.amdhsa_system_sgpr_workgroup_id_x 1
		.amdhsa_system_sgpr_workgroup_id_y 0
		.amdhsa_system_sgpr_workgroup_id_z 0
		.amdhsa_system_sgpr_workgroup_info 0
		.amdhsa_system_vgpr_workitem_id 0
		.amdhsa_next_free_vgpr 1
		.amdhsa_next_free_sgpr 0
		.amdhsa_accum_offset 4
		.amdhsa_reserve_vcc 0
		.amdhsa_reserve_flat_scratch 0
		.amdhsa_float_round_mode_32 0
		.amdhsa_float_round_mode_16_64 0
		.amdhsa_float_denorm_mode_32 3
		.amdhsa_float_denorm_mode_16_64 3
		.amdhsa_dx10_clamp 1
		.amdhsa_ieee_mode 1
		.amdhsa_fp16_overflow 0
		.amdhsa_tg_split 0
		.amdhsa_exception_fp_ieee_invalid_op 0
		.amdhsa_exception_fp_denorm_src 0
		.amdhsa_exception_fp_ieee_div_zero 0
		.amdhsa_exception_fp_ieee_overflow 0
		.amdhsa_exception_fp_ieee_underflow 0
		.amdhsa_exception_fp_ieee_inexact 0
		.amdhsa_exception_int_div_zero 0
	.end_amdhsa_kernel
	.section	.text._ZN7rocprim17ROCPRIM_400000_NS6detail17trampoline_kernelINS0_14default_configENS1_38merge_sort_block_merge_config_selectorIxNS0_10empty_typeEEEZZNS1_27merge_sort_block_merge_implIS3_N6thrust23THRUST_200600_302600_NS6detail15normal_iteratorINS9_10device_ptrIxEEEEPS5_m14custom_greaterIxEEE10hipError_tT0_T1_T2_jT3_P12ihipStream_tbPNSt15iterator_traitsISJ_E10value_typeEPNSP_ISK_E10value_typeEPSL_NS1_7vsmem_tEENKUlT_SJ_SK_SL_E_clISE_PxSF_SF_EESI_SY_SJ_SK_SL_EUlSY_E0_NS1_11comp_targetILNS1_3genE10ELNS1_11target_archE1201ELNS1_3gpuE5ELNS1_3repE0EEENS1_38merge_mergepath_config_static_selectorELNS0_4arch9wavefront6targetE1EEEvSK_,"axG",@progbits,_ZN7rocprim17ROCPRIM_400000_NS6detail17trampoline_kernelINS0_14default_configENS1_38merge_sort_block_merge_config_selectorIxNS0_10empty_typeEEEZZNS1_27merge_sort_block_merge_implIS3_N6thrust23THRUST_200600_302600_NS6detail15normal_iteratorINS9_10device_ptrIxEEEEPS5_m14custom_greaterIxEEE10hipError_tT0_T1_T2_jT3_P12ihipStream_tbPNSt15iterator_traitsISJ_E10value_typeEPNSP_ISK_E10value_typeEPSL_NS1_7vsmem_tEENKUlT_SJ_SK_SL_E_clISE_PxSF_SF_EESI_SY_SJ_SK_SL_EUlSY_E0_NS1_11comp_targetILNS1_3genE10ELNS1_11target_archE1201ELNS1_3gpuE5ELNS1_3repE0EEENS1_38merge_mergepath_config_static_selectorELNS0_4arch9wavefront6targetE1EEEvSK_,comdat
.Lfunc_end3421:
	.size	_ZN7rocprim17ROCPRIM_400000_NS6detail17trampoline_kernelINS0_14default_configENS1_38merge_sort_block_merge_config_selectorIxNS0_10empty_typeEEEZZNS1_27merge_sort_block_merge_implIS3_N6thrust23THRUST_200600_302600_NS6detail15normal_iteratorINS9_10device_ptrIxEEEEPS5_m14custom_greaterIxEEE10hipError_tT0_T1_T2_jT3_P12ihipStream_tbPNSt15iterator_traitsISJ_E10value_typeEPNSP_ISK_E10value_typeEPSL_NS1_7vsmem_tEENKUlT_SJ_SK_SL_E_clISE_PxSF_SF_EESI_SY_SJ_SK_SL_EUlSY_E0_NS1_11comp_targetILNS1_3genE10ELNS1_11target_archE1201ELNS1_3gpuE5ELNS1_3repE0EEENS1_38merge_mergepath_config_static_selectorELNS0_4arch9wavefront6targetE1EEEvSK_, .Lfunc_end3421-_ZN7rocprim17ROCPRIM_400000_NS6detail17trampoline_kernelINS0_14default_configENS1_38merge_sort_block_merge_config_selectorIxNS0_10empty_typeEEEZZNS1_27merge_sort_block_merge_implIS3_N6thrust23THRUST_200600_302600_NS6detail15normal_iteratorINS9_10device_ptrIxEEEEPS5_m14custom_greaterIxEEE10hipError_tT0_T1_T2_jT3_P12ihipStream_tbPNSt15iterator_traitsISJ_E10value_typeEPNSP_ISK_E10value_typeEPSL_NS1_7vsmem_tEENKUlT_SJ_SK_SL_E_clISE_PxSF_SF_EESI_SY_SJ_SK_SL_EUlSY_E0_NS1_11comp_targetILNS1_3genE10ELNS1_11target_archE1201ELNS1_3gpuE5ELNS1_3repE0EEENS1_38merge_mergepath_config_static_selectorELNS0_4arch9wavefront6targetE1EEEvSK_
                                        ; -- End function
	.section	.AMDGPU.csdata,"",@progbits
; Kernel info:
; codeLenInByte = 0
; NumSgprs: 4
; NumVgprs: 0
; NumAgprs: 0
; TotalNumVgprs: 0
; ScratchSize: 0
; MemoryBound: 0
; FloatMode: 240
; IeeeMode: 1
; LDSByteSize: 0 bytes/workgroup (compile time only)
; SGPRBlocks: 0
; VGPRBlocks: 0
; NumSGPRsForWavesPerEU: 4
; NumVGPRsForWavesPerEU: 1
; AccumOffset: 4
; Occupancy: 8
; WaveLimiterHint : 0
; COMPUTE_PGM_RSRC2:SCRATCH_EN: 0
; COMPUTE_PGM_RSRC2:USER_SGPR: 6
; COMPUTE_PGM_RSRC2:TRAP_HANDLER: 0
; COMPUTE_PGM_RSRC2:TGID_X_EN: 1
; COMPUTE_PGM_RSRC2:TGID_Y_EN: 0
; COMPUTE_PGM_RSRC2:TGID_Z_EN: 0
; COMPUTE_PGM_RSRC2:TIDIG_COMP_CNT: 0
; COMPUTE_PGM_RSRC3_GFX90A:ACCUM_OFFSET: 0
; COMPUTE_PGM_RSRC3_GFX90A:TG_SPLIT: 0
	.section	.text._ZN7rocprim17ROCPRIM_400000_NS6detail17trampoline_kernelINS0_14default_configENS1_38merge_sort_block_merge_config_selectorIxNS0_10empty_typeEEEZZNS1_27merge_sort_block_merge_implIS3_N6thrust23THRUST_200600_302600_NS6detail15normal_iteratorINS9_10device_ptrIxEEEEPS5_m14custom_greaterIxEEE10hipError_tT0_T1_T2_jT3_P12ihipStream_tbPNSt15iterator_traitsISJ_E10value_typeEPNSP_ISK_E10value_typeEPSL_NS1_7vsmem_tEENKUlT_SJ_SK_SL_E_clISE_PxSF_SF_EESI_SY_SJ_SK_SL_EUlSY_E0_NS1_11comp_targetILNS1_3genE5ELNS1_11target_archE942ELNS1_3gpuE9ELNS1_3repE0EEENS1_38merge_mergepath_config_static_selectorELNS0_4arch9wavefront6targetE1EEEvSK_,"axG",@progbits,_ZN7rocprim17ROCPRIM_400000_NS6detail17trampoline_kernelINS0_14default_configENS1_38merge_sort_block_merge_config_selectorIxNS0_10empty_typeEEEZZNS1_27merge_sort_block_merge_implIS3_N6thrust23THRUST_200600_302600_NS6detail15normal_iteratorINS9_10device_ptrIxEEEEPS5_m14custom_greaterIxEEE10hipError_tT0_T1_T2_jT3_P12ihipStream_tbPNSt15iterator_traitsISJ_E10value_typeEPNSP_ISK_E10value_typeEPSL_NS1_7vsmem_tEENKUlT_SJ_SK_SL_E_clISE_PxSF_SF_EESI_SY_SJ_SK_SL_EUlSY_E0_NS1_11comp_targetILNS1_3genE5ELNS1_11target_archE942ELNS1_3gpuE9ELNS1_3repE0EEENS1_38merge_mergepath_config_static_selectorELNS0_4arch9wavefront6targetE1EEEvSK_,comdat
	.protected	_ZN7rocprim17ROCPRIM_400000_NS6detail17trampoline_kernelINS0_14default_configENS1_38merge_sort_block_merge_config_selectorIxNS0_10empty_typeEEEZZNS1_27merge_sort_block_merge_implIS3_N6thrust23THRUST_200600_302600_NS6detail15normal_iteratorINS9_10device_ptrIxEEEEPS5_m14custom_greaterIxEEE10hipError_tT0_T1_T2_jT3_P12ihipStream_tbPNSt15iterator_traitsISJ_E10value_typeEPNSP_ISK_E10value_typeEPSL_NS1_7vsmem_tEENKUlT_SJ_SK_SL_E_clISE_PxSF_SF_EESI_SY_SJ_SK_SL_EUlSY_E0_NS1_11comp_targetILNS1_3genE5ELNS1_11target_archE942ELNS1_3gpuE9ELNS1_3repE0EEENS1_38merge_mergepath_config_static_selectorELNS0_4arch9wavefront6targetE1EEEvSK_ ; -- Begin function _ZN7rocprim17ROCPRIM_400000_NS6detail17trampoline_kernelINS0_14default_configENS1_38merge_sort_block_merge_config_selectorIxNS0_10empty_typeEEEZZNS1_27merge_sort_block_merge_implIS3_N6thrust23THRUST_200600_302600_NS6detail15normal_iteratorINS9_10device_ptrIxEEEEPS5_m14custom_greaterIxEEE10hipError_tT0_T1_T2_jT3_P12ihipStream_tbPNSt15iterator_traitsISJ_E10value_typeEPNSP_ISK_E10value_typeEPSL_NS1_7vsmem_tEENKUlT_SJ_SK_SL_E_clISE_PxSF_SF_EESI_SY_SJ_SK_SL_EUlSY_E0_NS1_11comp_targetILNS1_3genE5ELNS1_11target_archE942ELNS1_3gpuE9ELNS1_3repE0EEENS1_38merge_mergepath_config_static_selectorELNS0_4arch9wavefront6targetE1EEEvSK_
	.globl	_ZN7rocprim17ROCPRIM_400000_NS6detail17trampoline_kernelINS0_14default_configENS1_38merge_sort_block_merge_config_selectorIxNS0_10empty_typeEEEZZNS1_27merge_sort_block_merge_implIS3_N6thrust23THRUST_200600_302600_NS6detail15normal_iteratorINS9_10device_ptrIxEEEEPS5_m14custom_greaterIxEEE10hipError_tT0_T1_T2_jT3_P12ihipStream_tbPNSt15iterator_traitsISJ_E10value_typeEPNSP_ISK_E10value_typeEPSL_NS1_7vsmem_tEENKUlT_SJ_SK_SL_E_clISE_PxSF_SF_EESI_SY_SJ_SK_SL_EUlSY_E0_NS1_11comp_targetILNS1_3genE5ELNS1_11target_archE942ELNS1_3gpuE9ELNS1_3repE0EEENS1_38merge_mergepath_config_static_selectorELNS0_4arch9wavefront6targetE1EEEvSK_
	.p2align	8
	.type	_ZN7rocprim17ROCPRIM_400000_NS6detail17trampoline_kernelINS0_14default_configENS1_38merge_sort_block_merge_config_selectorIxNS0_10empty_typeEEEZZNS1_27merge_sort_block_merge_implIS3_N6thrust23THRUST_200600_302600_NS6detail15normal_iteratorINS9_10device_ptrIxEEEEPS5_m14custom_greaterIxEEE10hipError_tT0_T1_T2_jT3_P12ihipStream_tbPNSt15iterator_traitsISJ_E10value_typeEPNSP_ISK_E10value_typeEPSL_NS1_7vsmem_tEENKUlT_SJ_SK_SL_E_clISE_PxSF_SF_EESI_SY_SJ_SK_SL_EUlSY_E0_NS1_11comp_targetILNS1_3genE5ELNS1_11target_archE942ELNS1_3gpuE9ELNS1_3repE0EEENS1_38merge_mergepath_config_static_selectorELNS0_4arch9wavefront6targetE1EEEvSK_,@function
_ZN7rocprim17ROCPRIM_400000_NS6detail17trampoline_kernelINS0_14default_configENS1_38merge_sort_block_merge_config_selectorIxNS0_10empty_typeEEEZZNS1_27merge_sort_block_merge_implIS3_N6thrust23THRUST_200600_302600_NS6detail15normal_iteratorINS9_10device_ptrIxEEEEPS5_m14custom_greaterIxEEE10hipError_tT0_T1_T2_jT3_P12ihipStream_tbPNSt15iterator_traitsISJ_E10value_typeEPNSP_ISK_E10value_typeEPSL_NS1_7vsmem_tEENKUlT_SJ_SK_SL_E_clISE_PxSF_SF_EESI_SY_SJ_SK_SL_EUlSY_E0_NS1_11comp_targetILNS1_3genE5ELNS1_11target_archE942ELNS1_3gpuE9ELNS1_3repE0EEENS1_38merge_mergepath_config_static_selectorELNS0_4arch9wavefront6targetE1EEEvSK_: ; @_ZN7rocprim17ROCPRIM_400000_NS6detail17trampoline_kernelINS0_14default_configENS1_38merge_sort_block_merge_config_selectorIxNS0_10empty_typeEEEZZNS1_27merge_sort_block_merge_implIS3_N6thrust23THRUST_200600_302600_NS6detail15normal_iteratorINS9_10device_ptrIxEEEEPS5_m14custom_greaterIxEEE10hipError_tT0_T1_T2_jT3_P12ihipStream_tbPNSt15iterator_traitsISJ_E10value_typeEPNSP_ISK_E10value_typeEPSL_NS1_7vsmem_tEENKUlT_SJ_SK_SL_E_clISE_PxSF_SF_EESI_SY_SJ_SK_SL_EUlSY_E0_NS1_11comp_targetILNS1_3genE5ELNS1_11target_archE942ELNS1_3gpuE9ELNS1_3repE0EEENS1_38merge_mergepath_config_static_selectorELNS0_4arch9wavefront6targetE1EEEvSK_
; %bb.0:
	.section	.rodata,"a",@progbits
	.p2align	6, 0x0
	.amdhsa_kernel _ZN7rocprim17ROCPRIM_400000_NS6detail17trampoline_kernelINS0_14default_configENS1_38merge_sort_block_merge_config_selectorIxNS0_10empty_typeEEEZZNS1_27merge_sort_block_merge_implIS3_N6thrust23THRUST_200600_302600_NS6detail15normal_iteratorINS9_10device_ptrIxEEEEPS5_m14custom_greaterIxEEE10hipError_tT0_T1_T2_jT3_P12ihipStream_tbPNSt15iterator_traitsISJ_E10value_typeEPNSP_ISK_E10value_typeEPSL_NS1_7vsmem_tEENKUlT_SJ_SK_SL_E_clISE_PxSF_SF_EESI_SY_SJ_SK_SL_EUlSY_E0_NS1_11comp_targetILNS1_3genE5ELNS1_11target_archE942ELNS1_3gpuE9ELNS1_3repE0EEENS1_38merge_mergepath_config_static_selectorELNS0_4arch9wavefront6targetE1EEEvSK_
		.amdhsa_group_segment_fixed_size 0
		.amdhsa_private_segment_fixed_size 0
		.amdhsa_kernarg_size 72
		.amdhsa_user_sgpr_count 6
		.amdhsa_user_sgpr_private_segment_buffer 1
		.amdhsa_user_sgpr_dispatch_ptr 0
		.amdhsa_user_sgpr_queue_ptr 0
		.amdhsa_user_sgpr_kernarg_segment_ptr 1
		.amdhsa_user_sgpr_dispatch_id 0
		.amdhsa_user_sgpr_flat_scratch_init 0
		.amdhsa_user_sgpr_kernarg_preload_length 0
		.amdhsa_user_sgpr_kernarg_preload_offset 0
		.amdhsa_user_sgpr_private_segment_size 0
		.amdhsa_uses_dynamic_stack 0
		.amdhsa_system_sgpr_private_segment_wavefront_offset 0
		.amdhsa_system_sgpr_workgroup_id_x 1
		.amdhsa_system_sgpr_workgroup_id_y 0
		.amdhsa_system_sgpr_workgroup_id_z 0
		.amdhsa_system_sgpr_workgroup_info 0
		.amdhsa_system_vgpr_workitem_id 0
		.amdhsa_next_free_vgpr 1
		.amdhsa_next_free_sgpr 0
		.amdhsa_accum_offset 4
		.amdhsa_reserve_vcc 0
		.amdhsa_reserve_flat_scratch 0
		.amdhsa_float_round_mode_32 0
		.amdhsa_float_round_mode_16_64 0
		.amdhsa_float_denorm_mode_32 3
		.amdhsa_float_denorm_mode_16_64 3
		.amdhsa_dx10_clamp 1
		.amdhsa_ieee_mode 1
		.amdhsa_fp16_overflow 0
		.amdhsa_tg_split 0
		.amdhsa_exception_fp_ieee_invalid_op 0
		.amdhsa_exception_fp_denorm_src 0
		.amdhsa_exception_fp_ieee_div_zero 0
		.amdhsa_exception_fp_ieee_overflow 0
		.amdhsa_exception_fp_ieee_underflow 0
		.amdhsa_exception_fp_ieee_inexact 0
		.amdhsa_exception_int_div_zero 0
	.end_amdhsa_kernel
	.section	.text._ZN7rocprim17ROCPRIM_400000_NS6detail17trampoline_kernelINS0_14default_configENS1_38merge_sort_block_merge_config_selectorIxNS0_10empty_typeEEEZZNS1_27merge_sort_block_merge_implIS3_N6thrust23THRUST_200600_302600_NS6detail15normal_iteratorINS9_10device_ptrIxEEEEPS5_m14custom_greaterIxEEE10hipError_tT0_T1_T2_jT3_P12ihipStream_tbPNSt15iterator_traitsISJ_E10value_typeEPNSP_ISK_E10value_typeEPSL_NS1_7vsmem_tEENKUlT_SJ_SK_SL_E_clISE_PxSF_SF_EESI_SY_SJ_SK_SL_EUlSY_E0_NS1_11comp_targetILNS1_3genE5ELNS1_11target_archE942ELNS1_3gpuE9ELNS1_3repE0EEENS1_38merge_mergepath_config_static_selectorELNS0_4arch9wavefront6targetE1EEEvSK_,"axG",@progbits,_ZN7rocprim17ROCPRIM_400000_NS6detail17trampoline_kernelINS0_14default_configENS1_38merge_sort_block_merge_config_selectorIxNS0_10empty_typeEEEZZNS1_27merge_sort_block_merge_implIS3_N6thrust23THRUST_200600_302600_NS6detail15normal_iteratorINS9_10device_ptrIxEEEEPS5_m14custom_greaterIxEEE10hipError_tT0_T1_T2_jT3_P12ihipStream_tbPNSt15iterator_traitsISJ_E10value_typeEPNSP_ISK_E10value_typeEPSL_NS1_7vsmem_tEENKUlT_SJ_SK_SL_E_clISE_PxSF_SF_EESI_SY_SJ_SK_SL_EUlSY_E0_NS1_11comp_targetILNS1_3genE5ELNS1_11target_archE942ELNS1_3gpuE9ELNS1_3repE0EEENS1_38merge_mergepath_config_static_selectorELNS0_4arch9wavefront6targetE1EEEvSK_,comdat
.Lfunc_end3422:
	.size	_ZN7rocprim17ROCPRIM_400000_NS6detail17trampoline_kernelINS0_14default_configENS1_38merge_sort_block_merge_config_selectorIxNS0_10empty_typeEEEZZNS1_27merge_sort_block_merge_implIS3_N6thrust23THRUST_200600_302600_NS6detail15normal_iteratorINS9_10device_ptrIxEEEEPS5_m14custom_greaterIxEEE10hipError_tT0_T1_T2_jT3_P12ihipStream_tbPNSt15iterator_traitsISJ_E10value_typeEPNSP_ISK_E10value_typeEPSL_NS1_7vsmem_tEENKUlT_SJ_SK_SL_E_clISE_PxSF_SF_EESI_SY_SJ_SK_SL_EUlSY_E0_NS1_11comp_targetILNS1_3genE5ELNS1_11target_archE942ELNS1_3gpuE9ELNS1_3repE0EEENS1_38merge_mergepath_config_static_selectorELNS0_4arch9wavefront6targetE1EEEvSK_, .Lfunc_end3422-_ZN7rocprim17ROCPRIM_400000_NS6detail17trampoline_kernelINS0_14default_configENS1_38merge_sort_block_merge_config_selectorIxNS0_10empty_typeEEEZZNS1_27merge_sort_block_merge_implIS3_N6thrust23THRUST_200600_302600_NS6detail15normal_iteratorINS9_10device_ptrIxEEEEPS5_m14custom_greaterIxEEE10hipError_tT0_T1_T2_jT3_P12ihipStream_tbPNSt15iterator_traitsISJ_E10value_typeEPNSP_ISK_E10value_typeEPSL_NS1_7vsmem_tEENKUlT_SJ_SK_SL_E_clISE_PxSF_SF_EESI_SY_SJ_SK_SL_EUlSY_E0_NS1_11comp_targetILNS1_3genE5ELNS1_11target_archE942ELNS1_3gpuE9ELNS1_3repE0EEENS1_38merge_mergepath_config_static_selectorELNS0_4arch9wavefront6targetE1EEEvSK_
                                        ; -- End function
	.section	.AMDGPU.csdata,"",@progbits
; Kernel info:
; codeLenInByte = 0
; NumSgprs: 4
; NumVgprs: 0
; NumAgprs: 0
; TotalNumVgprs: 0
; ScratchSize: 0
; MemoryBound: 0
; FloatMode: 240
; IeeeMode: 1
; LDSByteSize: 0 bytes/workgroup (compile time only)
; SGPRBlocks: 0
; VGPRBlocks: 0
; NumSGPRsForWavesPerEU: 4
; NumVGPRsForWavesPerEU: 1
; AccumOffset: 4
; Occupancy: 8
; WaveLimiterHint : 0
; COMPUTE_PGM_RSRC2:SCRATCH_EN: 0
; COMPUTE_PGM_RSRC2:USER_SGPR: 6
; COMPUTE_PGM_RSRC2:TRAP_HANDLER: 0
; COMPUTE_PGM_RSRC2:TGID_X_EN: 1
; COMPUTE_PGM_RSRC2:TGID_Y_EN: 0
; COMPUTE_PGM_RSRC2:TGID_Z_EN: 0
; COMPUTE_PGM_RSRC2:TIDIG_COMP_CNT: 0
; COMPUTE_PGM_RSRC3_GFX90A:ACCUM_OFFSET: 0
; COMPUTE_PGM_RSRC3_GFX90A:TG_SPLIT: 0
	.section	.text._ZN7rocprim17ROCPRIM_400000_NS6detail17trampoline_kernelINS0_14default_configENS1_38merge_sort_block_merge_config_selectorIxNS0_10empty_typeEEEZZNS1_27merge_sort_block_merge_implIS3_N6thrust23THRUST_200600_302600_NS6detail15normal_iteratorINS9_10device_ptrIxEEEEPS5_m14custom_greaterIxEEE10hipError_tT0_T1_T2_jT3_P12ihipStream_tbPNSt15iterator_traitsISJ_E10value_typeEPNSP_ISK_E10value_typeEPSL_NS1_7vsmem_tEENKUlT_SJ_SK_SL_E_clISE_PxSF_SF_EESI_SY_SJ_SK_SL_EUlSY_E0_NS1_11comp_targetILNS1_3genE4ELNS1_11target_archE910ELNS1_3gpuE8ELNS1_3repE0EEENS1_38merge_mergepath_config_static_selectorELNS0_4arch9wavefront6targetE1EEEvSK_,"axG",@progbits,_ZN7rocprim17ROCPRIM_400000_NS6detail17trampoline_kernelINS0_14default_configENS1_38merge_sort_block_merge_config_selectorIxNS0_10empty_typeEEEZZNS1_27merge_sort_block_merge_implIS3_N6thrust23THRUST_200600_302600_NS6detail15normal_iteratorINS9_10device_ptrIxEEEEPS5_m14custom_greaterIxEEE10hipError_tT0_T1_T2_jT3_P12ihipStream_tbPNSt15iterator_traitsISJ_E10value_typeEPNSP_ISK_E10value_typeEPSL_NS1_7vsmem_tEENKUlT_SJ_SK_SL_E_clISE_PxSF_SF_EESI_SY_SJ_SK_SL_EUlSY_E0_NS1_11comp_targetILNS1_3genE4ELNS1_11target_archE910ELNS1_3gpuE8ELNS1_3repE0EEENS1_38merge_mergepath_config_static_selectorELNS0_4arch9wavefront6targetE1EEEvSK_,comdat
	.protected	_ZN7rocprim17ROCPRIM_400000_NS6detail17trampoline_kernelINS0_14default_configENS1_38merge_sort_block_merge_config_selectorIxNS0_10empty_typeEEEZZNS1_27merge_sort_block_merge_implIS3_N6thrust23THRUST_200600_302600_NS6detail15normal_iteratorINS9_10device_ptrIxEEEEPS5_m14custom_greaterIxEEE10hipError_tT0_T1_T2_jT3_P12ihipStream_tbPNSt15iterator_traitsISJ_E10value_typeEPNSP_ISK_E10value_typeEPSL_NS1_7vsmem_tEENKUlT_SJ_SK_SL_E_clISE_PxSF_SF_EESI_SY_SJ_SK_SL_EUlSY_E0_NS1_11comp_targetILNS1_3genE4ELNS1_11target_archE910ELNS1_3gpuE8ELNS1_3repE0EEENS1_38merge_mergepath_config_static_selectorELNS0_4arch9wavefront6targetE1EEEvSK_ ; -- Begin function _ZN7rocprim17ROCPRIM_400000_NS6detail17trampoline_kernelINS0_14default_configENS1_38merge_sort_block_merge_config_selectorIxNS0_10empty_typeEEEZZNS1_27merge_sort_block_merge_implIS3_N6thrust23THRUST_200600_302600_NS6detail15normal_iteratorINS9_10device_ptrIxEEEEPS5_m14custom_greaterIxEEE10hipError_tT0_T1_T2_jT3_P12ihipStream_tbPNSt15iterator_traitsISJ_E10value_typeEPNSP_ISK_E10value_typeEPSL_NS1_7vsmem_tEENKUlT_SJ_SK_SL_E_clISE_PxSF_SF_EESI_SY_SJ_SK_SL_EUlSY_E0_NS1_11comp_targetILNS1_3genE4ELNS1_11target_archE910ELNS1_3gpuE8ELNS1_3repE0EEENS1_38merge_mergepath_config_static_selectorELNS0_4arch9wavefront6targetE1EEEvSK_
	.globl	_ZN7rocprim17ROCPRIM_400000_NS6detail17trampoline_kernelINS0_14default_configENS1_38merge_sort_block_merge_config_selectorIxNS0_10empty_typeEEEZZNS1_27merge_sort_block_merge_implIS3_N6thrust23THRUST_200600_302600_NS6detail15normal_iteratorINS9_10device_ptrIxEEEEPS5_m14custom_greaterIxEEE10hipError_tT0_T1_T2_jT3_P12ihipStream_tbPNSt15iterator_traitsISJ_E10value_typeEPNSP_ISK_E10value_typeEPSL_NS1_7vsmem_tEENKUlT_SJ_SK_SL_E_clISE_PxSF_SF_EESI_SY_SJ_SK_SL_EUlSY_E0_NS1_11comp_targetILNS1_3genE4ELNS1_11target_archE910ELNS1_3gpuE8ELNS1_3repE0EEENS1_38merge_mergepath_config_static_selectorELNS0_4arch9wavefront6targetE1EEEvSK_
	.p2align	8
	.type	_ZN7rocprim17ROCPRIM_400000_NS6detail17trampoline_kernelINS0_14default_configENS1_38merge_sort_block_merge_config_selectorIxNS0_10empty_typeEEEZZNS1_27merge_sort_block_merge_implIS3_N6thrust23THRUST_200600_302600_NS6detail15normal_iteratorINS9_10device_ptrIxEEEEPS5_m14custom_greaterIxEEE10hipError_tT0_T1_T2_jT3_P12ihipStream_tbPNSt15iterator_traitsISJ_E10value_typeEPNSP_ISK_E10value_typeEPSL_NS1_7vsmem_tEENKUlT_SJ_SK_SL_E_clISE_PxSF_SF_EESI_SY_SJ_SK_SL_EUlSY_E0_NS1_11comp_targetILNS1_3genE4ELNS1_11target_archE910ELNS1_3gpuE8ELNS1_3repE0EEENS1_38merge_mergepath_config_static_selectorELNS0_4arch9wavefront6targetE1EEEvSK_,@function
_ZN7rocprim17ROCPRIM_400000_NS6detail17trampoline_kernelINS0_14default_configENS1_38merge_sort_block_merge_config_selectorIxNS0_10empty_typeEEEZZNS1_27merge_sort_block_merge_implIS3_N6thrust23THRUST_200600_302600_NS6detail15normal_iteratorINS9_10device_ptrIxEEEEPS5_m14custom_greaterIxEEE10hipError_tT0_T1_T2_jT3_P12ihipStream_tbPNSt15iterator_traitsISJ_E10value_typeEPNSP_ISK_E10value_typeEPSL_NS1_7vsmem_tEENKUlT_SJ_SK_SL_E_clISE_PxSF_SF_EESI_SY_SJ_SK_SL_EUlSY_E0_NS1_11comp_targetILNS1_3genE4ELNS1_11target_archE910ELNS1_3gpuE8ELNS1_3repE0EEENS1_38merge_mergepath_config_static_selectorELNS0_4arch9wavefront6targetE1EEEvSK_: ; @_ZN7rocprim17ROCPRIM_400000_NS6detail17trampoline_kernelINS0_14default_configENS1_38merge_sort_block_merge_config_selectorIxNS0_10empty_typeEEEZZNS1_27merge_sort_block_merge_implIS3_N6thrust23THRUST_200600_302600_NS6detail15normal_iteratorINS9_10device_ptrIxEEEEPS5_m14custom_greaterIxEEE10hipError_tT0_T1_T2_jT3_P12ihipStream_tbPNSt15iterator_traitsISJ_E10value_typeEPNSP_ISK_E10value_typeEPSL_NS1_7vsmem_tEENKUlT_SJ_SK_SL_E_clISE_PxSF_SF_EESI_SY_SJ_SK_SL_EUlSY_E0_NS1_11comp_targetILNS1_3genE4ELNS1_11target_archE910ELNS1_3gpuE8ELNS1_3repE0EEENS1_38merge_mergepath_config_static_selectorELNS0_4arch9wavefront6targetE1EEEvSK_
; %bb.0:
	s_load_dwordx2 s[22:23], s[4:5], 0x48
	s_load_dword s0, s[4:5], 0x38
	s_add_u32 s18, s4, 0x48
	s_addc_u32 s19, s5, 0
	s_waitcnt lgkmcnt(0)
	s_mul_i32 s1, s23, s8
	s_add_i32 s1, s1, s7
	s_mul_i32 s1, s1, s22
	s_add_i32 s20, s1, s6
	s_cmp_ge_u32 s20, s0
	s_cbranch_scc1 .LBB3423_33
; %bb.1:
	s_load_dwordx2 s[0:1], s[4:5], 0x40
	s_load_dwordx4 s[12:15], s[4:5], 0x8
	s_load_dwordx4 s[8:11], s[4:5], 0x28
	s_mov_b32 s21, 0
	s_lshl_b64 s[2:3], s[20:21], 3
	s_waitcnt lgkmcnt(0)
	s_add_u32 s0, s0, s2
	s_addc_u32 s1, s1, s3
	v_mov_b32_e32 v1, s10
	v_alignbit_b32 v1, s11, v1, 9
	v_readfirstlane_b32 s4, v1
	s_and_b32 s4, s4, -2
	s_sub_i32 s30, 0, s4
	s_and_b32 s24, s20, s30
	s_mov_b32 s25, s21
	s_lshl_b64 s[4:5], s[24:25], 10
	s_lshl_b64 s[16:17], s[20:21], 10
	s_sub_u32 s7, s16, s4
	s_load_dwordx4 s[0:3], s[0:1], 0x0
	s_subb_u32 s23, s17, s5
	s_lshl_b64 s[24:25], s[24:25], 11
	s_add_u32 s24, s24, s10
	s_addc_u32 s25, s25, s11
	s_add_u32 s7, s24, s7
	s_addc_u32 s23, s25, s23
	s_waitcnt lgkmcnt(0)
	s_sub_u32 s26, s7, s2
	s_subb_u32 s3, s23, s3
	s_add_u32 s26, s26, 0x400
	s_addc_u32 s27, s3, 0
	v_pk_mov_b32 v[2:3], s[26:27], s[26:27] op_sel:[0,1]
	v_cmp_lt_u64_e32 vcc, s[8:9], v[2:3]
	s_and_b64 s[28:29], vcc, exec
	s_cselect_b32 s3, s8, s26
	s_or_b32 s26, s20, s30
	s_cmp_lg_u32 s26, -1
	s_cbranch_scc1 .LBB3423_3
; %bb.2:
	s_sub_u32 s4, s24, s4
	s_subb_u32 s5, s25, s5
	v_pk_mov_b32 v[2:3], s[4:5], s[4:5] op_sel:[0,1]
	v_cmp_lt_u64_e32 vcc, s[8:9], v[2:3]
	s_and_b64 s[2:3], vcc, exec
	s_cselect_b32 s2, s8, s4
	s_add_u32 s4, s4, s10
	s_addc_u32 s5, s5, s11
	v_pk_mov_b32 v[2:3], s[4:5], s[4:5] op_sel:[0,1]
	v_cmp_lt_u64_e32 vcc, s[8:9], v[2:3]
	s_and_b64 s[10:11], vcc, exec
	s_cselect_b32 s3, s8, s4
.LBB3423_3:
	s_lshr_b64 s[24:25], s[8:9], 10
	s_cmp_lg_u64 s[24:25], s[20:21]
	s_cselect_b64 s[10:11], -1, 0
	s_sub_u32 s4, s7, s0
	s_subb_u32 s5, s23, s1
	v_pk_mov_b32 v[2:3], s[4:5], s[4:5] op_sel:[0,1]
	v_cmp_lt_u64_e32 vcc, s[8:9], v[2:3]
	s_and_b64 s[26:27], vcc, exec
	s_cselect_b32 s26, s8, s4
	s_cselect_b32 s27, s9, s5
	s_sub_i32 s9, s2, s0
	s_sub_i32 s4, s3, s26
	s_lshl_b64 s[0:1], s[0:1], 3
	s_add_u32 s5, s12, s0
	s_addc_u32 s7, s13, s1
	s_lshl_b64 s[0:1], s[26:27], 3
	s_add_u32 s12, s12, s0
	s_addc_u32 s13, s13, s1
	s_cmp_lt_u32 s6, s22
	v_mov_b32_e32 v7, 0
	s_cselect_b32 s0, 12, 18
	global_load_dword v1, v7, s[18:19] offset:14
	s_add_u32 s0, s18, s0
	s_addc_u32 s1, s19, 0
	global_load_ushort v2, v7, s[0:1]
	s_cmp_eq_u64 s[24:25], s[20:21]
	s_waitcnt vmcnt(1)
	v_lshrrev_b32_e32 v3, 16, v1
	v_and_b32_e32 v1, 0xffff, v1
	v_mul_lo_u32 v1, v1, v3
	s_waitcnt vmcnt(0)
	v_mul_lo_u32 v15, v1, v2
	v_add_u32_e32 v12, v15, v0
	v_lshlrev_b32_e32 v1, 3, v0
	v_add_u32_e32 v10, v12, v15
	s_cbranch_scc1 .LBB3423_5
; %bb.4:
	v_subrev_u32_e32 v6, s9, v0
	v_lshlrev_b64 v[2:3], 3, v[6:7]
	v_mov_b32_e32 v4, s13
	v_add_co_u32_e32 v2, vcc, s12, v2
	v_addc_co_u32_e32 v3, vcc, v4, v3, vcc
	v_mov_b32_e32 v4, s7
	v_add_co_u32_e32 v5, vcc, s5, v1
	v_addc_co_u32_e32 v4, vcc, 0, v4, vcc
	v_cmp_gt_u32_e32 vcc, s9, v0
	v_subrev_u32_e32 v6, s9, v12
	v_cndmask_b32_e32 v3, v3, v4, vcc
	v_cndmask_b32_e32 v2, v2, v5, vcc
	v_lshlrev_b64 v[4:5], 3, v[6:7]
	v_mov_b32_e32 v6, s13
	v_add_co_u32_e32 v8, vcc, s12, v4
	v_mov_b32_e32 v13, v7
	v_addc_co_u32_e32 v6, vcc, v6, v5, vcc
	v_lshlrev_b64 v[4:5], 3, v[12:13]
	v_mov_b32_e32 v9, s7
	v_add_co_u32_e32 v4, vcc, s5, v4
	v_addc_co_u32_e32 v5, vcc, v9, v5, vcc
	v_cmp_gt_u32_e32 vcc, s9, v12
	v_cndmask_b32_e32 v5, v6, v5, vcc
	v_subrev_u32_e32 v6, s9, v10
	v_cndmask_b32_e32 v4, v8, v4, vcc
	v_lshlrev_b64 v[8:9], 3, v[6:7]
	v_mov_b32_e32 v6, s13
	v_add_co_u32_e32 v8, vcc, s12, v8
	v_mov_b32_e32 v11, v7
	v_addc_co_u32_e32 v9, vcc, v6, v9, vcc
	v_lshlrev_b64 v[6:7], 3, v[10:11]
	v_mov_b32_e32 v11, s7
	v_add_co_u32_e32 v6, vcc, s5, v6
	v_addc_co_u32_e32 v7, vcc, v11, v7, vcc
	v_cmp_gt_u32_e32 vcc, s9, v10
	v_cndmask_b32_e32 v7, v9, v7, vcc
	v_cndmask_b32_e32 v6, v8, v6, vcc
	global_load_dwordx2 v[2:3], v[2:3], off
	v_add_u32_e32 v14, v10, v15
	global_load_dwordx2 v[4:5], v[4:5], off
	s_add_i32 s6, s9, s4
	global_load_dwordx2 v[6:7], v[6:7], off
	s_mov_b64 s[0:1], -1
	s_cbranch_execz .LBB3423_6
	s_branch .LBB3423_11
.LBB3423_5:
	s_mov_b64 s[0:1], 0
                                        ; implicit-def: $vgpr14
                                        ; implicit-def: $vgpr2_vgpr3_vgpr4_vgpr5_vgpr6_vgpr7_vgpr8_vgpr9
                                        ; implicit-def: $sgpr6
.LBB3423_6:
	s_add_i32 s6, s9, s4
	v_cmp_gt_u32_e32 vcc, s6, v0
                                        ; implicit-def: $vgpr2_vgpr3_vgpr4_vgpr5_vgpr6_vgpr7_vgpr8_vgpr9
	s_and_saveexec_b64 s[0:1], vcc
	s_cbranch_execnz .LBB3423_34
; %bb.7:
	s_or_b64 exec, exec, s[0:1]
	v_cmp_gt_u32_e32 vcc, s6, v12
	s_and_saveexec_b64 s[2:3], vcc
	s_cbranch_execnz .LBB3423_35
.LBB3423_8:
	s_or_b64 exec, exec, s[2:3]
	v_cmp_gt_u32_e32 vcc, s6, v10
	s_and_saveexec_b64 s[0:1], vcc
	s_cbranch_execz .LBB3423_10
.LBB3423_9:
	v_mov_b32_e32 v11, 0
	s_waitcnt vmcnt(0)
	v_lshlrev_b64 v[6:7], 3, v[10:11]
	v_mov_b32_e32 v12, s7
	v_add_co_u32_e32 v13, vcc, s5, v6
	v_addc_co_u32_e32 v12, vcc, v12, v7, vcc
	v_subrev_u32_e32 v6, s9, v10
	v_mov_b32_e32 v7, v11
	v_lshlrev_b64 v[6:7], 3, v[6:7]
	v_mov_b32_e32 v11, s13
	v_add_co_u32_e32 v6, vcc, s12, v6
	v_addc_co_u32_e32 v7, vcc, v11, v7, vcc
	v_cmp_gt_u32_e32 vcc, s9, v10
	v_cndmask_b32_e32 v7, v7, v12, vcc
	v_cndmask_b32_e32 v6, v6, v13, vcc
	global_load_dwordx2 v[6:7], v[6:7], off
.LBB3423_10:
	s_or_b64 exec, exec, s[0:1]
	v_add_u32_e32 v14, v10, v15
	v_cmp_gt_u32_e64 s[0:1], s6, v14
.LBB3423_11:
	v_mov_b32_e32 v10, s6
	s_and_saveexec_b64 s[2:3], s[0:1]
	s_cbranch_execz .LBB3423_13
; %bb.12:
	v_subrev_u32_e32 v8, s9, v14
	v_mov_b32_e32 v9, 0
	v_lshlrev_b64 v[10:11], 3, v[8:9]
	v_mov_b32_e32 v8, s13
	v_add_co_u32_e32 v10, vcc, s12, v10
	v_mov_b32_e32 v15, v9
	v_addc_co_u32_e32 v11, vcc, v8, v11, vcc
	v_lshlrev_b64 v[8:9], 3, v[14:15]
	v_mov_b32_e32 v12, s7
	v_add_co_u32_e32 v8, vcc, s5, v8
	v_addc_co_u32_e32 v9, vcc, v12, v9, vcc
	v_cmp_gt_u32_e32 vcc, s9, v14
	v_cndmask_b32_e32 v9, v11, v9, vcc
	v_cndmask_b32_e32 v8, v10, v8, vcc
	global_load_dwordx2 v[8:9], v[8:9], off
	v_mov_b32_e32 v10, s6
.LBB3423_13:
	s_or_b64 exec, exec, s[2:3]
	v_lshlrev_b32_e32 v11, 2, v0
	v_min_u32_e32 v13, v10, v11
	v_sub_u32_e64 v12, v13, s4 clamp
	v_min_u32_e32 v14, s9, v13
	v_cmp_lt_u32_e32 vcc, v12, v14
	s_waitcnt vmcnt(0)
	ds_write2st64_b64 v1, v[2:3], v[4:5] offset1:4
	ds_write2st64_b64 v1, v[6:7], v[8:9] offset0:8 offset1:12
	s_waitcnt lgkmcnt(0)
	s_barrier
	s_and_saveexec_b64 s[0:1], vcc
	s_cbranch_execz .LBB3423_17
; %bb.14:
	v_lshlrev_b32_e32 v15, 3, v13
	v_lshl_add_u32 v15, s9, 3, v15
	s_mov_b64 s[2:3], 0
.LBB3423_15:                            ; =>This Inner Loop Header: Depth=1
	v_add_u32_e32 v16, v14, v12
	v_lshrrev_b32_e32 v20, 1, v16
	v_not_b32_e32 v16, v20
	v_lshlrev_b32_e32 v17, 3, v20
	v_lshl_add_u32 v18, v16, 3, v15
	ds_read_b64 v[16:17], v17
	ds_read_b64 v[18:19], v18
	v_add_u32_e32 v21, 1, v20
	s_waitcnt lgkmcnt(0)
	v_cmp_gt_i64_e32 vcc, v[16:17], v[18:19]
	v_cndmask_b32_e32 v14, v14, v20, vcc
	v_cndmask_b32_e32 v12, v21, v12, vcc
	v_cmp_ge_u32_e32 vcc, v12, v14
	s_or_b64 s[2:3], vcc, s[2:3]
	s_andn2_b64 exec, exec, s[2:3]
	s_cbranch_execnz .LBB3423_15
; %bb.16:
	s_or_b64 exec, exec, s[2:3]
.LBB3423_17:
	s_or_b64 exec, exec, s[0:1]
	v_sub_u32_e32 v13, v13, v12
	v_add_u32_e32 v13, s9, v13
	v_cmp_ge_u32_e32 vcc, s9, v12
	v_cmp_le_u32_e64 s[0:1], v13, v10
	s_or_b64 s[0:1], vcc, s[0:1]
	s_and_saveexec_b64 s[6:7], s[0:1]
	s_cbranch_execz .LBB3423_23
; %bb.18:
	v_cmp_gt_u32_e32 vcc, s9, v12
                                        ; implicit-def: $vgpr2_vgpr3
	s_and_saveexec_b64 s[0:1], vcc
	s_cbranch_execz .LBB3423_20
; %bb.19:
	v_lshlrev_b32_e32 v2, 3, v12
	ds_read_b64 v[2:3], v2
.LBB3423_20:
	s_or_b64 exec, exec, s[0:1]
	v_cmp_ge_u32_e64 s[0:1], v13, v10
	v_cmp_lt_u32_e64 s[2:3], v13, v10
                                        ; implicit-def: $vgpr4_vgpr5
	s_and_saveexec_b64 s[4:5], s[2:3]
	s_cbranch_execz .LBB3423_22
; %bb.21:
	v_lshlrev_b32_e32 v4, 3, v13
	ds_read_b64 v[4:5], v4
.LBB3423_22:
	s_or_b64 exec, exec, s[4:5]
	s_waitcnt lgkmcnt(0)
	v_cmp_le_i64_e64 s[2:3], v[2:3], v[4:5]
	s_and_b64 s[2:3], vcc, s[2:3]
	s_or_b64 vcc, s[0:1], s[2:3]
	v_mov_b32_e32 v16, s9
	v_cndmask_b32_e32 v6, v13, v12, vcc
	v_cndmask_b32_e32 v7, v10, v16, vcc
	v_add_u32_e32 v14, 1, v6
	v_add_u32_e32 v6, -1, v7
	v_min_u32_e32 v6, v14, v6
	v_lshlrev_b32_e32 v6, 3, v6
	ds_read_b64 v[6:7], v6
	v_cndmask_b32_e32 v18, v12, v14, vcc
	v_cndmask_b32_e32 v17, v14, v13, vcc
	v_cmp_gt_u32_e64 s[2:3], s9, v18
	v_cmp_ge_u32_e64 s[0:1], v17, v10
	s_waitcnt lgkmcnt(0)
	v_cndmask_b32_e32 v9, v7, v5, vcc
	v_cndmask_b32_e32 v8, v6, v4, vcc
	;; [unrolled: 1-line block ×4, first 2 shown]
	v_cmp_le_i64_e64 s[4:5], v[6:7], v[8:9]
	s_and_b64 s[2:3], s[2:3], s[4:5]
	s_or_b64 s[0:1], s[0:1], s[2:3]
	v_cndmask_b32_e64 v12, v17, v18, s[0:1]
	v_cndmask_b32_e64 v13, v10, v16, s[0:1]
	v_add_u32_e32 v19, 1, v12
	v_add_u32_e32 v12, -1, v13
	v_min_u32_e32 v12, v19, v12
	v_lshlrev_b32_e32 v12, 3, v12
	ds_read_b64 v[12:13], v12
	v_cndmask_b32_e64 v18, v18, v19, s[0:1]
	v_cndmask_b32_e64 v20, v19, v17, s[0:1]
	v_cmp_gt_u32_e64 s[2:3], s9, v18
	v_cndmask_b32_e32 v3, v5, v3, vcc
	s_waitcnt lgkmcnt(0)
	v_cndmask_b32_e64 v15, v13, v9, s[0:1]
	v_cndmask_b32_e64 v14, v12, v8, s[0:1]
	;; [unrolled: 1-line block ×4, first 2 shown]
	v_cmp_le_i64_e64 s[4:5], v[12:13], v[14:15]
	v_cndmask_b32_e32 v2, v4, v2, vcc
	v_cmp_ge_u32_e32 vcc, v20, v10
	s_and_b64 s[2:3], s[2:3], s[4:5]
	s_or_b64 vcc, vcc, s[2:3]
	v_cndmask_b32_e32 v4, v20, v18, vcc
	v_cndmask_b32_e32 v5, v10, v16, vcc
	v_add_u32_e32 v19, 1, v4
	v_add_u32_e32 v4, -1, v5
	v_min_u32_e32 v4, v19, v4
	v_lshlrev_b32_e32 v4, 3, v4
	ds_read_b64 v[16:17], v4
	v_cndmask_b32_e64 v5, v9, v7, s[0:1]
	v_cndmask_b32_e64 v4, v8, v6, s[0:1]
	v_cndmask_b32_e32 v7, v15, v13, vcc
	v_cndmask_b32_e32 v6, v14, v12, vcc
	s_waitcnt lgkmcnt(0)
	v_cndmask_b32_e32 v9, v17, v15, vcc
	v_cndmask_b32_e32 v8, v16, v14, vcc
	;; [unrolled: 1-line block ×6, first 2 shown]
	v_cmp_gt_u32_e64 s[0:1], s9, v15
	v_cmp_le_i64_e64 s[2:3], v[12:13], v[8:9]
	v_cmp_ge_u32_e32 vcc, v14, v10
	s_and_b64 s[0:1], s[0:1], s[2:3]
	s_or_b64 vcc, vcc, s[0:1]
	v_cndmask_b32_e32 v9, v9, v13, vcc
	v_cndmask_b32_e32 v8, v8, v12, vcc
.LBB3423_23:
	s_or_b64 exec, exec, s[6:7]
	v_and_b32_e32 v10, 0xf8, v0
	v_lshl_add_u32 v10, v11, 3, v10
	s_barrier
	s_barrier
	ds_write2_b64 v10, v[2:3], v[4:5] offset1:1
	ds_write2_b64 v10, v[6:7], v[8:9] offset0:2 offset1:3
	v_lshrrev_b32_e32 v2, 2, v0
	v_and_b32_e32 v2, 56, v2
	v_or_b32_e32 v12, 0x100, v0
	v_add_u32_e32 v13, v1, v2
	v_lshrrev_b32_e32 v2, 2, v12
	v_and_b32_e32 v2, 0x78, v2
	v_or_b32_e32 v11, 0x200, v0
	v_add_u32_e32 v6, v1, v2
	v_lshrrev_b32_e32 v2, 2, v11
	s_lshl_b64 s[0:1], s[16:17], 3
	v_and_b32_e32 v2, 0xb8, v2
	v_or_b32_e32 v10, 0x300, v0
	s_add_u32 s0, s14, s0
	v_add_u32_e32 v7, v1, v2
	v_lshrrev_b32_e32 v2, 2, v10
	s_addc_u32 s1, s15, s1
	v_and_b32_e32 v2, 0xf8, v2
	v_add_u32_e32 v14, v1, v2
	v_mov_b32_e32 v3, s1
	v_add_co_u32_e32 v2, vcc, s0, v1
	v_addc_co_u32_e32 v3, vcc, 0, v3, vcc
	s_and_b64 vcc, exec, s[10:11]
	s_waitcnt lgkmcnt(0)
	s_cbranch_vccz .LBB3423_25
; %bb.24:
	s_barrier
	ds_read_b64 v[8:9], v13
	ds_read_b64 v[16:17], v6 offset:2048
	ds_read_b64 v[18:19], v7 offset:4096
	;; [unrolled: 1-line block ×3, first 2 shown]
	s_waitcnt lgkmcnt(3)
	global_store_dwordx2 v[2:3], v[8:9], off
	s_waitcnt lgkmcnt(2)
	global_store_dwordx2 v[2:3], v[16:17], off offset:2048
	v_add_co_u32_e32 v8, vcc, 0x1000, v2
	v_addc_co_u32_e32 v9, vcc, 0, v3, vcc
	s_waitcnt lgkmcnt(1)
	global_store_dwordx2 v[8:9], v[18:19], off
	s_mov_b64 s[0:1], -1
	s_cbranch_execz .LBB3423_26
	s_branch .LBB3423_31
.LBB3423_25:
	s_mov_b64 s[0:1], 0
                                        ; implicit-def: $vgpr4_vgpr5
.LBB3423_26:
	s_barrier
	s_waitcnt lgkmcnt(0)
	ds_read_b64 v[8:9], v6 offset:2048
	ds_read_b64 v[6:7], v7 offset:4096
	ds_read_b64 v[4:5], v14 offset:6144
	s_sub_i32 s2, s8, s16
	v_cmp_gt_u32_e32 vcc, s2, v0
	s_and_saveexec_b64 s[0:1], vcc
	s_cbranch_execnz .LBB3423_36
; %bb.27:
	s_or_b64 exec, exec, s[0:1]
	v_cmp_gt_u32_e32 vcc, s2, v12
	s_and_saveexec_b64 s[0:1], vcc
	s_cbranch_execnz .LBB3423_37
.LBB3423_28:
	s_or_b64 exec, exec, s[0:1]
	v_cmp_gt_u32_e32 vcc, s2, v11
	s_and_saveexec_b64 s[0:1], vcc
	s_cbranch_execz .LBB3423_30
.LBB3423_29:
	v_add_co_u32_e32 v0, vcc, 0x1000, v2
	v_addc_co_u32_e32 v1, vcc, 0, v3, vcc
	s_waitcnt lgkmcnt(1)
	global_store_dwordx2 v[0:1], v[6:7], off
.LBB3423_30:
	s_or_b64 exec, exec, s[0:1]
	v_cmp_gt_u32_e64 s[0:1], s2, v10
.LBB3423_31:
	s_and_saveexec_b64 s[2:3], s[0:1]
	s_cbranch_execz .LBB3423_33
; %bb.32:
	v_add_co_u32_e32 v0, vcc, 0x1000, v2
	v_addc_co_u32_e32 v1, vcc, 0, v3, vcc
	s_waitcnt lgkmcnt(0)
	global_store_dwordx2 v[0:1], v[4:5], off offset:2048
.LBB3423_33:
	s_endpgm
.LBB3423_34:
	s_waitcnt vmcnt(2)
	v_mov_b32_e32 v2, s7
	s_waitcnt vmcnt(1)
	v_add_co_u32_e32 v4, vcc, s5, v1
	v_mov_b32_e32 v3, 0
	v_addc_co_u32_e32 v5, vcc, 0, v2, vcc
	v_subrev_u32_e32 v2, s9, v0
	v_lshlrev_b64 v[2:3], 3, v[2:3]
	s_waitcnt vmcnt(0)
	v_mov_b32_e32 v6, s13
	v_add_co_u32_e32 v2, vcc, s12, v2
	v_addc_co_u32_e32 v3, vcc, v6, v3, vcc
	v_cmp_gt_u32_e32 vcc, s9, v0
	v_cndmask_b32_e32 v3, v3, v5, vcc
	v_cndmask_b32_e32 v2, v2, v4, vcc
	global_load_dwordx2 v[2:3], v[2:3], off
	s_or_b64 exec, exec, s[0:1]
	v_cmp_gt_u32_e32 vcc, s6, v12
	s_and_saveexec_b64 s[2:3], vcc
	s_cbranch_execz .LBB3423_8
.LBB3423_35:
	v_mov_b32_e32 v13, 0
	s_waitcnt vmcnt(1)
	v_lshlrev_b64 v[4:5], 3, v[12:13]
	v_mov_b32_e32 v11, s7
	v_add_co_u32_e32 v14, vcc, s5, v4
	v_addc_co_u32_e32 v11, vcc, v11, v5, vcc
	v_cmp_gt_u32_e32 vcc, s9, v12
	v_subrev_u32_e32 v12, s9, v12
	v_lshlrev_b64 v[4:5], 3, v[12:13]
	v_mov_b32_e32 v12, s13
	v_add_co_u32_e64 v4, s[0:1], s12, v4
	v_addc_co_u32_e64 v5, s[0:1], v12, v5, s[0:1]
	v_cndmask_b32_e32 v5, v5, v11, vcc
	v_cndmask_b32_e32 v4, v4, v14, vcc
	global_load_dwordx2 v[4:5], v[4:5], off
	s_or_b64 exec, exec, s[2:3]
	v_cmp_gt_u32_e32 vcc, s6, v10
	s_and_saveexec_b64 s[0:1], vcc
	s_cbranch_execnz .LBB3423_9
	s_branch .LBB3423_10
.LBB3423_36:
	ds_read_b64 v[0:1], v13
	s_waitcnt lgkmcnt(0)
	global_store_dwordx2 v[2:3], v[0:1], off
	s_or_b64 exec, exec, s[0:1]
	v_cmp_gt_u32_e32 vcc, s2, v12
	s_and_saveexec_b64 s[0:1], vcc
	s_cbranch_execz .LBB3423_28
.LBB3423_37:
	s_waitcnt lgkmcnt(2)
	global_store_dwordx2 v[2:3], v[8:9], off offset:2048
	s_or_b64 exec, exec, s[0:1]
	v_cmp_gt_u32_e32 vcc, s2, v11
	s_and_saveexec_b64 s[0:1], vcc
	s_cbranch_execnz .LBB3423_29
	s_branch .LBB3423_30
	.section	.rodata,"a",@progbits
	.p2align	6, 0x0
	.amdhsa_kernel _ZN7rocprim17ROCPRIM_400000_NS6detail17trampoline_kernelINS0_14default_configENS1_38merge_sort_block_merge_config_selectorIxNS0_10empty_typeEEEZZNS1_27merge_sort_block_merge_implIS3_N6thrust23THRUST_200600_302600_NS6detail15normal_iteratorINS9_10device_ptrIxEEEEPS5_m14custom_greaterIxEEE10hipError_tT0_T1_T2_jT3_P12ihipStream_tbPNSt15iterator_traitsISJ_E10value_typeEPNSP_ISK_E10value_typeEPSL_NS1_7vsmem_tEENKUlT_SJ_SK_SL_E_clISE_PxSF_SF_EESI_SY_SJ_SK_SL_EUlSY_E0_NS1_11comp_targetILNS1_3genE4ELNS1_11target_archE910ELNS1_3gpuE8ELNS1_3repE0EEENS1_38merge_mergepath_config_static_selectorELNS0_4arch9wavefront6targetE1EEEvSK_
		.amdhsa_group_segment_fixed_size 8448
		.amdhsa_private_segment_fixed_size 0
		.amdhsa_kernarg_size 328
		.amdhsa_user_sgpr_count 6
		.amdhsa_user_sgpr_private_segment_buffer 1
		.amdhsa_user_sgpr_dispatch_ptr 0
		.amdhsa_user_sgpr_queue_ptr 0
		.amdhsa_user_sgpr_kernarg_segment_ptr 1
		.amdhsa_user_sgpr_dispatch_id 0
		.amdhsa_user_sgpr_flat_scratch_init 0
		.amdhsa_user_sgpr_kernarg_preload_length 0
		.amdhsa_user_sgpr_kernarg_preload_offset 0
		.amdhsa_user_sgpr_private_segment_size 0
		.amdhsa_uses_dynamic_stack 0
		.amdhsa_system_sgpr_private_segment_wavefront_offset 0
		.amdhsa_system_sgpr_workgroup_id_x 1
		.amdhsa_system_sgpr_workgroup_id_y 1
		.amdhsa_system_sgpr_workgroup_id_z 1
		.amdhsa_system_sgpr_workgroup_info 0
		.amdhsa_system_vgpr_workitem_id 0
		.amdhsa_next_free_vgpr 22
		.amdhsa_next_free_sgpr 31
		.amdhsa_accum_offset 24
		.amdhsa_reserve_vcc 1
		.amdhsa_reserve_flat_scratch 0
		.amdhsa_float_round_mode_32 0
		.amdhsa_float_round_mode_16_64 0
		.amdhsa_float_denorm_mode_32 3
		.amdhsa_float_denorm_mode_16_64 3
		.amdhsa_dx10_clamp 1
		.amdhsa_ieee_mode 1
		.amdhsa_fp16_overflow 0
		.amdhsa_tg_split 0
		.amdhsa_exception_fp_ieee_invalid_op 0
		.amdhsa_exception_fp_denorm_src 0
		.amdhsa_exception_fp_ieee_div_zero 0
		.amdhsa_exception_fp_ieee_overflow 0
		.amdhsa_exception_fp_ieee_underflow 0
		.amdhsa_exception_fp_ieee_inexact 0
		.amdhsa_exception_int_div_zero 0
	.end_amdhsa_kernel
	.section	.text._ZN7rocprim17ROCPRIM_400000_NS6detail17trampoline_kernelINS0_14default_configENS1_38merge_sort_block_merge_config_selectorIxNS0_10empty_typeEEEZZNS1_27merge_sort_block_merge_implIS3_N6thrust23THRUST_200600_302600_NS6detail15normal_iteratorINS9_10device_ptrIxEEEEPS5_m14custom_greaterIxEEE10hipError_tT0_T1_T2_jT3_P12ihipStream_tbPNSt15iterator_traitsISJ_E10value_typeEPNSP_ISK_E10value_typeEPSL_NS1_7vsmem_tEENKUlT_SJ_SK_SL_E_clISE_PxSF_SF_EESI_SY_SJ_SK_SL_EUlSY_E0_NS1_11comp_targetILNS1_3genE4ELNS1_11target_archE910ELNS1_3gpuE8ELNS1_3repE0EEENS1_38merge_mergepath_config_static_selectorELNS0_4arch9wavefront6targetE1EEEvSK_,"axG",@progbits,_ZN7rocprim17ROCPRIM_400000_NS6detail17trampoline_kernelINS0_14default_configENS1_38merge_sort_block_merge_config_selectorIxNS0_10empty_typeEEEZZNS1_27merge_sort_block_merge_implIS3_N6thrust23THRUST_200600_302600_NS6detail15normal_iteratorINS9_10device_ptrIxEEEEPS5_m14custom_greaterIxEEE10hipError_tT0_T1_T2_jT3_P12ihipStream_tbPNSt15iterator_traitsISJ_E10value_typeEPNSP_ISK_E10value_typeEPSL_NS1_7vsmem_tEENKUlT_SJ_SK_SL_E_clISE_PxSF_SF_EESI_SY_SJ_SK_SL_EUlSY_E0_NS1_11comp_targetILNS1_3genE4ELNS1_11target_archE910ELNS1_3gpuE8ELNS1_3repE0EEENS1_38merge_mergepath_config_static_selectorELNS0_4arch9wavefront6targetE1EEEvSK_,comdat
.Lfunc_end3423:
	.size	_ZN7rocprim17ROCPRIM_400000_NS6detail17trampoline_kernelINS0_14default_configENS1_38merge_sort_block_merge_config_selectorIxNS0_10empty_typeEEEZZNS1_27merge_sort_block_merge_implIS3_N6thrust23THRUST_200600_302600_NS6detail15normal_iteratorINS9_10device_ptrIxEEEEPS5_m14custom_greaterIxEEE10hipError_tT0_T1_T2_jT3_P12ihipStream_tbPNSt15iterator_traitsISJ_E10value_typeEPNSP_ISK_E10value_typeEPSL_NS1_7vsmem_tEENKUlT_SJ_SK_SL_E_clISE_PxSF_SF_EESI_SY_SJ_SK_SL_EUlSY_E0_NS1_11comp_targetILNS1_3genE4ELNS1_11target_archE910ELNS1_3gpuE8ELNS1_3repE0EEENS1_38merge_mergepath_config_static_selectorELNS0_4arch9wavefront6targetE1EEEvSK_, .Lfunc_end3423-_ZN7rocprim17ROCPRIM_400000_NS6detail17trampoline_kernelINS0_14default_configENS1_38merge_sort_block_merge_config_selectorIxNS0_10empty_typeEEEZZNS1_27merge_sort_block_merge_implIS3_N6thrust23THRUST_200600_302600_NS6detail15normal_iteratorINS9_10device_ptrIxEEEEPS5_m14custom_greaterIxEEE10hipError_tT0_T1_T2_jT3_P12ihipStream_tbPNSt15iterator_traitsISJ_E10value_typeEPNSP_ISK_E10value_typeEPSL_NS1_7vsmem_tEENKUlT_SJ_SK_SL_E_clISE_PxSF_SF_EESI_SY_SJ_SK_SL_EUlSY_E0_NS1_11comp_targetILNS1_3genE4ELNS1_11target_archE910ELNS1_3gpuE8ELNS1_3repE0EEENS1_38merge_mergepath_config_static_selectorELNS0_4arch9wavefront6targetE1EEEvSK_
                                        ; -- End function
	.section	.AMDGPU.csdata,"",@progbits
; Kernel info:
; codeLenInByte = 2200
; NumSgprs: 35
; NumVgprs: 22
; NumAgprs: 0
; TotalNumVgprs: 22
; ScratchSize: 0
; MemoryBound: 0
; FloatMode: 240
; IeeeMode: 1
; LDSByteSize: 8448 bytes/workgroup (compile time only)
; SGPRBlocks: 4
; VGPRBlocks: 2
; NumSGPRsForWavesPerEU: 35
; NumVGPRsForWavesPerEU: 22
; AccumOffset: 24
; Occupancy: 7
; WaveLimiterHint : 1
; COMPUTE_PGM_RSRC2:SCRATCH_EN: 0
; COMPUTE_PGM_RSRC2:USER_SGPR: 6
; COMPUTE_PGM_RSRC2:TRAP_HANDLER: 0
; COMPUTE_PGM_RSRC2:TGID_X_EN: 1
; COMPUTE_PGM_RSRC2:TGID_Y_EN: 1
; COMPUTE_PGM_RSRC2:TGID_Z_EN: 1
; COMPUTE_PGM_RSRC2:TIDIG_COMP_CNT: 0
; COMPUTE_PGM_RSRC3_GFX90A:ACCUM_OFFSET: 5
; COMPUTE_PGM_RSRC3_GFX90A:TG_SPLIT: 0
	.section	.text._ZN7rocprim17ROCPRIM_400000_NS6detail17trampoline_kernelINS0_14default_configENS1_38merge_sort_block_merge_config_selectorIxNS0_10empty_typeEEEZZNS1_27merge_sort_block_merge_implIS3_N6thrust23THRUST_200600_302600_NS6detail15normal_iteratorINS9_10device_ptrIxEEEEPS5_m14custom_greaterIxEEE10hipError_tT0_T1_T2_jT3_P12ihipStream_tbPNSt15iterator_traitsISJ_E10value_typeEPNSP_ISK_E10value_typeEPSL_NS1_7vsmem_tEENKUlT_SJ_SK_SL_E_clISE_PxSF_SF_EESI_SY_SJ_SK_SL_EUlSY_E0_NS1_11comp_targetILNS1_3genE3ELNS1_11target_archE908ELNS1_3gpuE7ELNS1_3repE0EEENS1_38merge_mergepath_config_static_selectorELNS0_4arch9wavefront6targetE1EEEvSK_,"axG",@progbits,_ZN7rocprim17ROCPRIM_400000_NS6detail17trampoline_kernelINS0_14default_configENS1_38merge_sort_block_merge_config_selectorIxNS0_10empty_typeEEEZZNS1_27merge_sort_block_merge_implIS3_N6thrust23THRUST_200600_302600_NS6detail15normal_iteratorINS9_10device_ptrIxEEEEPS5_m14custom_greaterIxEEE10hipError_tT0_T1_T2_jT3_P12ihipStream_tbPNSt15iterator_traitsISJ_E10value_typeEPNSP_ISK_E10value_typeEPSL_NS1_7vsmem_tEENKUlT_SJ_SK_SL_E_clISE_PxSF_SF_EESI_SY_SJ_SK_SL_EUlSY_E0_NS1_11comp_targetILNS1_3genE3ELNS1_11target_archE908ELNS1_3gpuE7ELNS1_3repE0EEENS1_38merge_mergepath_config_static_selectorELNS0_4arch9wavefront6targetE1EEEvSK_,comdat
	.protected	_ZN7rocprim17ROCPRIM_400000_NS6detail17trampoline_kernelINS0_14default_configENS1_38merge_sort_block_merge_config_selectorIxNS0_10empty_typeEEEZZNS1_27merge_sort_block_merge_implIS3_N6thrust23THRUST_200600_302600_NS6detail15normal_iteratorINS9_10device_ptrIxEEEEPS5_m14custom_greaterIxEEE10hipError_tT0_T1_T2_jT3_P12ihipStream_tbPNSt15iterator_traitsISJ_E10value_typeEPNSP_ISK_E10value_typeEPSL_NS1_7vsmem_tEENKUlT_SJ_SK_SL_E_clISE_PxSF_SF_EESI_SY_SJ_SK_SL_EUlSY_E0_NS1_11comp_targetILNS1_3genE3ELNS1_11target_archE908ELNS1_3gpuE7ELNS1_3repE0EEENS1_38merge_mergepath_config_static_selectorELNS0_4arch9wavefront6targetE1EEEvSK_ ; -- Begin function _ZN7rocprim17ROCPRIM_400000_NS6detail17trampoline_kernelINS0_14default_configENS1_38merge_sort_block_merge_config_selectorIxNS0_10empty_typeEEEZZNS1_27merge_sort_block_merge_implIS3_N6thrust23THRUST_200600_302600_NS6detail15normal_iteratorINS9_10device_ptrIxEEEEPS5_m14custom_greaterIxEEE10hipError_tT0_T1_T2_jT3_P12ihipStream_tbPNSt15iterator_traitsISJ_E10value_typeEPNSP_ISK_E10value_typeEPSL_NS1_7vsmem_tEENKUlT_SJ_SK_SL_E_clISE_PxSF_SF_EESI_SY_SJ_SK_SL_EUlSY_E0_NS1_11comp_targetILNS1_3genE3ELNS1_11target_archE908ELNS1_3gpuE7ELNS1_3repE0EEENS1_38merge_mergepath_config_static_selectorELNS0_4arch9wavefront6targetE1EEEvSK_
	.globl	_ZN7rocprim17ROCPRIM_400000_NS6detail17trampoline_kernelINS0_14default_configENS1_38merge_sort_block_merge_config_selectorIxNS0_10empty_typeEEEZZNS1_27merge_sort_block_merge_implIS3_N6thrust23THRUST_200600_302600_NS6detail15normal_iteratorINS9_10device_ptrIxEEEEPS5_m14custom_greaterIxEEE10hipError_tT0_T1_T2_jT3_P12ihipStream_tbPNSt15iterator_traitsISJ_E10value_typeEPNSP_ISK_E10value_typeEPSL_NS1_7vsmem_tEENKUlT_SJ_SK_SL_E_clISE_PxSF_SF_EESI_SY_SJ_SK_SL_EUlSY_E0_NS1_11comp_targetILNS1_3genE3ELNS1_11target_archE908ELNS1_3gpuE7ELNS1_3repE0EEENS1_38merge_mergepath_config_static_selectorELNS0_4arch9wavefront6targetE1EEEvSK_
	.p2align	8
	.type	_ZN7rocprim17ROCPRIM_400000_NS6detail17trampoline_kernelINS0_14default_configENS1_38merge_sort_block_merge_config_selectorIxNS0_10empty_typeEEEZZNS1_27merge_sort_block_merge_implIS3_N6thrust23THRUST_200600_302600_NS6detail15normal_iteratorINS9_10device_ptrIxEEEEPS5_m14custom_greaterIxEEE10hipError_tT0_T1_T2_jT3_P12ihipStream_tbPNSt15iterator_traitsISJ_E10value_typeEPNSP_ISK_E10value_typeEPSL_NS1_7vsmem_tEENKUlT_SJ_SK_SL_E_clISE_PxSF_SF_EESI_SY_SJ_SK_SL_EUlSY_E0_NS1_11comp_targetILNS1_3genE3ELNS1_11target_archE908ELNS1_3gpuE7ELNS1_3repE0EEENS1_38merge_mergepath_config_static_selectorELNS0_4arch9wavefront6targetE1EEEvSK_,@function
_ZN7rocprim17ROCPRIM_400000_NS6detail17trampoline_kernelINS0_14default_configENS1_38merge_sort_block_merge_config_selectorIxNS0_10empty_typeEEEZZNS1_27merge_sort_block_merge_implIS3_N6thrust23THRUST_200600_302600_NS6detail15normal_iteratorINS9_10device_ptrIxEEEEPS5_m14custom_greaterIxEEE10hipError_tT0_T1_T2_jT3_P12ihipStream_tbPNSt15iterator_traitsISJ_E10value_typeEPNSP_ISK_E10value_typeEPSL_NS1_7vsmem_tEENKUlT_SJ_SK_SL_E_clISE_PxSF_SF_EESI_SY_SJ_SK_SL_EUlSY_E0_NS1_11comp_targetILNS1_3genE3ELNS1_11target_archE908ELNS1_3gpuE7ELNS1_3repE0EEENS1_38merge_mergepath_config_static_selectorELNS0_4arch9wavefront6targetE1EEEvSK_: ; @_ZN7rocprim17ROCPRIM_400000_NS6detail17trampoline_kernelINS0_14default_configENS1_38merge_sort_block_merge_config_selectorIxNS0_10empty_typeEEEZZNS1_27merge_sort_block_merge_implIS3_N6thrust23THRUST_200600_302600_NS6detail15normal_iteratorINS9_10device_ptrIxEEEEPS5_m14custom_greaterIxEEE10hipError_tT0_T1_T2_jT3_P12ihipStream_tbPNSt15iterator_traitsISJ_E10value_typeEPNSP_ISK_E10value_typeEPSL_NS1_7vsmem_tEENKUlT_SJ_SK_SL_E_clISE_PxSF_SF_EESI_SY_SJ_SK_SL_EUlSY_E0_NS1_11comp_targetILNS1_3genE3ELNS1_11target_archE908ELNS1_3gpuE7ELNS1_3repE0EEENS1_38merge_mergepath_config_static_selectorELNS0_4arch9wavefront6targetE1EEEvSK_
; %bb.0:
	.section	.rodata,"a",@progbits
	.p2align	6, 0x0
	.amdhsa_kernel _ZN7rocprim17ROCPRIM_400000_NS6detail17trampoline_kernelINS0_14default_configENS1_38merge_sort_block_merge_config_selectorIxNS0_10empty_typeEEEZZNS1_27merge_sort_block_merge_implIS3_N6thrust23THRUST_200600_302600_NS6detail15normal_iteratorINS9_10device_ptrIxEEEEPS5_m14custom_greaterIxEEE10hipError_tT0_T1_T2_jT3_P12ihipStream_tbPNSt15iterator_traitsISJ_E10value_typeEPNSP_ISK_E10value_typeEPSL_NS1_7vsmem_tEENKUlT_SJ_SK_SL_E_clISE_PxSF_SF_EESI_SY_SJ_SK_SL_EUlSY_E0_NS1_11comp_targetILNS1_3genE3ELNS1_11target_archE908ELNS1_3gpuE7ELNS1_3repE0EEENS1_38merge_mergepath_config_static_selectorELNS0_4arch9wavefront6targetE1EEEvSK_
		.amdhsa_group_segment_fixed_size 0
		.amdhsa_private_segment_fixed_size 0
		.amdhsa_kernarg_size 72
		.amdhsa_user_sgpr_count 6
		.amdhsa_user_sgpr_private_segment_buffer 1
		.amdhsa_user_sgpr_dispatch_ptr 0
		.amdhsa_user_sgpr_queue_ptr 0
		.amdhsa_user_sgpr_kernarg_segment_ptr 1
		.amdhsa_user_sgpr_dispatch_id 0
		.amdhsa_user_sgpr_flat_scratch_init 0
		.amdhsa_user_sgpr_kernarg_preload_length 0
		.amdhsa_user_sgpr_kernarg_preload_offset 0
		.amdhsa_user_sgpr_private_segment_size 0
		.amdhsa_uses_dynamic_stack 0
		.amdhsa_system_sgpr_private_segment_wavefront_offset 0
		.amdhsa_system_sgpr_workgroup_id_x 1
		.amdhsa_system_sgpr_workgroup_id_y 0
		.amdhsa_system_sgpr_workgroup_id_z 0
		.amdhsa_system_sgpr_workgroup_info 0
		.amdhsa_system_vgpr_workitem_id 0
		.amdhsa_next_free_vgpr 1
		.amdhsa_next_free_sgpr 0
		.amdhsa_accum_offset 4
		.amdhsa_reserve_vcc 0
		.amdhsa_reserve_flat_scratch 0
		.amdhsa_float_round_mode_32 0
		.amdhsa_float_round_mode_16_64 0
		.amdhsa_float_denorm_mode_32 3
		.amdhsa_float_denorm_mode_16_64 3
		.amdhsa_dx10_clamp 1
		.amdhsa_ieee_mode 1
		.amdhsa_fp16_overflow 0
		.amdhsa_tg_split 0
		.amdhsa_exception_fp_ieee_invalid_op 0
		.amdhsa_exception_fp_denorm_src 0
		.amdhsa_exception_fp_ieee_div_zero 0
		.amdhsa_exception_fp_ieee_overflow 0
		.amdhsa_exception_fp_ieee_underflow 0
		.amdhsa_exception_fp_ieee_inexact 0
		.amdhsa_exception_int_div_zero 0
	.end_amdhsa_kernel
	.section	.text._ZN7rocprim17ROCPRIM_400000_NS6detail17trampoline_kernelINS0_14default_configENS1_38merge_sort_block_merge_config_selectorIxNS0_10empty_typeEEEZZNS1_27merge_sort_block_merge_implIS3_N6thrust23THRUST_200600_302600_NS6detail15normal_iteratorINS9_10device_ptrIxEEEEPS5_m14custom_greaterIxEEE10hipError_tT0_T1_T2_jT3_P12ihipStream_tbPNSt15iterator_traitsISJ_E10value_typeEPNSP_ISK_E10value_typeEPSL_NS1_7vsmem_tEENKUlT_SJ_SK_SL_E_clISE_PxSF_SF_EESI_SY_SJ_SK_SL_EUlSY_E0_NS1_11comp_targetILNS1_3genE3ELNS1_11target_archE908ELNS1_3gpuE7ELNS1_3repE0EEENS1_38merge_mergepath_config_static_selectorELNS0_4arch9wavefront6targetE1EEEvSK_,"axG",@progbits,_ZN7rocprim17ROCPRIM_400000_NS6detail17trampoline_kernelINS0_14default_configENS1_38merge_sort_block_merge_config_selectorIxNS0_10empty_typeEEEZZNS1_27merge_sort_block_merge_implIS3_N6thrust23THRUST_200600_302600_NS6detail15normal_iteratorINS9_10device_ptrIxEEEEPS5_m14custom_greaterIxEEE10hipError_tT0_T1_T2_jT3_P12ihipStream_tbPNSt15iterator_traitsISJ_E10value_typeEPNSP_ISK_E10value_typeEPSL_NS1_7vsmem_tEENKUlT_SJ_SK_SL_E_clISE_PxSF_SF_EESI_SY_SJ_SK_SL_EUlSY_E0_NS1_11comp_targetILNS1_3genE3ELNS1_11target_archE908ELNS1_3gpuE7ELNS1_3repE0EEENS1_38merge_mergepath_config_static_selectorELNS0_4arch9wavefront6targetE1EEEvSK_,comdat
.Lfunc_end3424:
	.size	_ZN7rocprim17ROCPRIM_400000_NS6detail17trampoline_kernelINS0_14default_configENS1_38merge_sort_block_merge_config_selectorIxNS0_10empty_typeEEEZZNS1_27merge_sort_block_merge_implIS3_N6thrust23THRUST_200600_302600_NS6detail15normal_iteratorINS9_10device_ptrIxEEEEPS5_m14custom_greaterIxEEE10hipError_tT0_T1_T2_jT3_P12ihipStream_tbPNSt15iterator_traitsISJ_E10value_typeEPNSP_ISK_E10value_typeEPSL_NS1_7vsmem_tEENKUlT_SJ_SK_SL_E_clISE_PxSF_SF_EESI_SY_SJ_SK_SL_EUlSY_E0_NS1_11comp_targetILNS1_3genE3ELNS1_11target_archE908ELNS1_3gpuE7ELNS1_3repE0EEENS1_38merge_mergepath_config_static_selectorELNS0_4arch9wavefront6targetE1EEEvSK_, .Lfunc_end3424-_ZN7rocprim17ROCPRIM_400000_NS6detail17trampoline_kernelINS0_14default_configENS1_38merge_sort_block_merge_config_selectorIxNS0_10empty_typeEEEZZNS1_27merge_sort_block_merge_implIS3_N6thrust23THRUST_200600_302600_NS6detail15normal_iteratorINS9_10device_ptrIxEEEEPS5_m14custom_greaterIxEEE10hipError_tT0_T1_T2_jT3_P12ihipStream_tbPNSt15iterator_traitsISJ_E10value_typeEPNSP_ISK_E10value_typeEPSL_NS1_7vsmem_tEENKUlT_SJ_SK_SL_E_clISE_PxSF_SF_EESI_SY_SJ_SK_SL_EUlSY_E0_NS1_11comp_targetILNS1_3genE3ELNS1_11target_archE908ELNS1_3gpuE7ELNS1_3repE0EEENS1_38merge_mergepath_config_static_selectorELNS0_4arch9wavefront6targetE1EEEvSK_
                                        ; -- End function
	.section	.AMDGPU.csdata,"",@progbits
; Kernel info:
; codeLenInByte = 0
; NumSgprs: 4
; NumVgprs: 0
; NumAgprs: 0
; TotalNumVgprs: 0
; ScratchSize: 0
; MemoryBound: 0
; FloatMode: 240
; IeeeMode: 1
; LDSByteSize: 0 bytes/workgroup (compile time only)
; SGPRBlocks: 0
; VGPRBlocks: 0
; NumSGPRsForWavesPerEU: 4
; NumVGPRsForWavesPerEU: 1
; AccumOffset: 4
; Occupancy: 8
; WaveLimiterHint : 0
; COMPUTE_PGM_RSRC2:SCRATCH_EN: 0
; COMPUTE_PGM_RSRC2:USER_SGPR: 6
; COMPUTE_PGM_RSRC2:TRAP_HANDLER: 0
; COMPUTE_PGM_RSRC2:TGID_X_EN: 1
; COMPUTE_PGM_RSRC2:TGID_Y_EN: 0
; COMPUTE_PGM_RSRC2:TGID_Z_EN: 0
; COMPUTE_PGM_RSRC2:TIDIG_COMP_CNT: 0
; COMPUTE_PGM_RSRC3_GFX90A:ACCUM_OFFSET: 0
; COMPUTE_PGM_RSRC3_GFX90A:TG_SPLIT: 0
	.section	.text._ZN7rocprim17ROCPRIM_400000_NS6detail17trampoline_kernelINS0_14default_configENS1_38merge_sort_block_merge_config_selectorIxNS0_10empty_typeEEEZZNS1_27merge_sort_block_merge_implIS3_N6thrust23THRUST_200600_302600_NS6detail15normal_iteratorINS9_10device_ptrIxEEEEPS5_m14custom_greaterIxEEE10hipError_tT0_T1_T2_jT3_P12ihipStream_tbPNSt15iterator_traitsISJ_E10value_typeEPNSP_ISK_E10value_typeEPSL_NS1_7vsmem_tEENKUlT_SJ_SK_SL_E_clISE_PxSF_SF_EESI_SY_SJ_SK_SL_EUlSY_E0_NS1_11comp_targetILNS1_3genE2ELNS1_11target_archE906ELNS1_3gpuE6ELNS1_3repE0EEENS1_38merge_mergepath_config_static_selectorELNS0_4arch9wavefront6targetE1EEEvSK_,"axG",@progbits,_ZN7rocprim17ROCPRIM_400000_NS6detail17trampoline_kernelINS0_14default_configENS1_38merge_sort_block_merge_config_selectorIxNS0_10empty_typeEEEZZNS1_27merge_sort_block_merge_implIS3_N6thrust23THRUST_200600_302600_NS6detail15normal_iteratorINS9_10device_ptrIxEEEEPS5_m14custom_greaterIxEEE10hipError_tT0_T1_T2_jT3_P12ihipStream_tbPNSt15iterator_traitsISJ_E10value_typeEPNSP_ISK_E10value_typeEPSL_NS1_7vsmem_tEENKUlT_SJ_SK_SL_E_clISE_PxSF_SF_EESI_SY_SJ_SK_SL_EUlSY_E0_NS1_11comp_targetILNS1_3genE2ELNS1_11target_archE906ELNS1_3gpuE6ELNS1_3repE0EEENS1_38merge_mergepath_config_static_selectorELNS0_4arch9wavefront6targetE1EEEvSK_,comdat
	.protected	_ZN7rocprim17ROCPRIM_400000_NS6detail17trampoline_kernelINS0_14default_configENS1_38merge_sort_block_merge_config_selectorIxNS0_10empty_typeEEEZZNS1_27merge_sort_block_merge_implIS3_N6thrust23THRUST_200600_302600_NS6detail15normal_iteratorINS9_10device_ptrIxEEEEPS5_m14custom_greaterIxEEE10hipError_tT0_T1_T2_jT3_P12ihipStream_tbPNSt15iterator_traitsISJ_E10value_typeEPNSP_ISK_E10value_typeEPSL_NS1_7vsmem_tEENKUlT_SJ_SK_SL_E_clISE_PxSF_SF_EESI_SY_SJ_SK_SL_EUlSY_E0_NS1_11comp_targetILNS1_3genE2ELNS1_11target_archE906ELNS1_3gpuE6ELNS1_3repE0EEENS1_38merge_mergepath_config_static_selectorELNS0_4arch9wavefront6targetE1EEEvSK_ ; -- Begin function _ZN7rocprim17ROCPRIM_400000_NS6detail17trampoline_kernelINS0_14default_configENS1_38merge_sort_block_merge_config_selectorIxNS0_10empty_typeEEEZZNS1_27merge_sort_block_merge_implIS3_N6thrust23THRUST_200600_302600_NS6detail15normal_iteratorINS9_10device_ptrIxEEEEPS5_m14custom_greaterIxEEE10hipError_tT0_T1_T2_jT3_P12ihipStream_tbPNSt15iterator_traitsISJ_E10value_typeEPNSP_ISK_E10value_typeEPSL_NS1_7vsmem_tEENKUlT_SJ_SK_SL_E_clISE_PxSF_SF_EESI_SY_SJ_SK_SL_EUlSY_E0_NS1_11comp_targetILNS1_3genE2ELNS1_11target_archE906ELNS1_3gpuE6ELNS1_3repE0EEENS1_38merge_mergepath_config_static_selectorELNS0_4arch9wavefront6targetE1EEEvSK_
	.globl	_ZN7rocprim17ROCPRIM_400000_NS6detail17trampoline_kernelINS0_14default_configENS1_38merge_sort_block_merge_config_selectorIxNS0_10empty_typeEEEZZNS1_27merge_sort_block_merge_implIS3_N6thrust23THRUST_200600_302600_NS6detail15normal_iteratorINS9_10device_ptrIxEEEEPS5_m14custom_greaterIxEEE10hipError_tT0_T1_T2_jT3_P12ihipStream_tbPNSt15iterator_traitsISJ_E10value_typeEPNSP_ISK_E10value_typeEPSL_NS1_7vsmem_tEENKUlT_SJ_SK_SL_E_clISE_PxSF_SF_EESI_SY_SJ_SK_SL_EUlSY_E0_NS1_11comp_targetILNS1_3genE2ELNS1_11target_archE906ELNS1_3gpuE6ELNS1_3repE0EEENS1_38merge_mergepath_config_static_selectorELNS0_4arch9wavefront6targetE1EEEvSK_
	.p2align	8
	.type	_ZN7rocprim17ROCPRIM_400000_NS6detail17trampoline_kernelINS0_14default_configENS1_38merge_sort_block_merge_config_selectorIxNS0_10empty_typeEEEZZNS1_27merge_sort_block_merge_implIS3_N6thrust23THRUST_200600_302600_NS6detail15normal_iteratorINS9_10device_ptrIxEEEEPS5_m14custom_greaterIxEEE10hipError_tT0_T1_T2_jT3_P12ihipStream_tbPNSt15iterator_traitsISJ_E10value_typeEPNSP_ISK_E10value_typeEPSL_NS1_7vsmem_tEENKUlT_SJ_SK_SL_E_clISE_PxSF_SF_EESI_SY_SJ_SK_SL_EUlSY_E0_NS1_11comp_targetILNS1_3genE2ELNS1_11target_archE906ELNS1_3gpuE6ELNS1_3repE0EEENS1_38merge_mergepath_config_static_selectorELNS0_4arch9wavefront6targetE1EEEvSK_,@function
_ZN7rocprim17ROCPRIM_400000_NS6detail17trampoline_kernelINS0_14default_configENS1_38merge_sort_block_merge_config_selectorIxNS0_10empty_typeEEEZZNS1_27merge_sort_block_merge_implIS3_N6thrust23THRUST_200600_302600_NS6detail15normal_iteratorINS9_10device_ptrIxEEEEPS5_m14custom_greaterIxEEE10hipError_tT0_T1_T2_jT3_P12ihipStream_tbPNSt15iterator_traitsISJ_E10value_typeEPNSP_ISK_E10value_typeEPSL_NS1_7vsmem_tEENKUlT_SJ_SK_SL_E_clISE_PxSF_SF_EESI_SY_SJ_SK_SL_EUlSY_E0_NS1_11comp_targetILNS1_3genE2ELNS1_11target_archE906ELNS1_3gpuE6ELNS1_3repE0EEENS1_38merge_mergepath_config_static_selectorELNS0_4arch9wavefront6targetE1EEEvSK_: ; @_ZN7rocprim17ROCPRIM_400000_NS6detail17trampoline_kernelINS0_14default_configENS1_38merge_sort_block_merge_config_selectorIxNS0_10empty_typeEEEZZNS1_27merge_sort_block_merge_implIS3_N6thrust23THRUST_200600_302600_NS6detail15normal_iteratorINS9_10device_ptrIxEEEEPS5_m14custom_greaterIxEEE10hipError_tT0_T1_T2_jT3_P12ihipStream_tbPNSt15iterator_traitsISJ_E10value_typeEPNSP_ISK_E10value_typeEPSL_NS1_7vsmem_tEENKUlT_SJ_SK_SL_E_clISE_PxSF_SF_EESI_SY_SJ_SK_SL_EUlSY_E0_NS1_11comp_targetILNS1_3genE2ELNS1_11target_archE906ELNS1_3gpuE6ELNS1_3repE0EEENS1_38merge_mergepath_config_static_selectorELNS0_4arch9wavefront6targetE1EEEvSK_
; %bb.0:
	.section	.rodata,"a",@progbits
	.p2align	6, 0x0
	.amdhsa_kernel _ZN7rocprim17ROCPRIM_400000_NS6detail17trampoline_kernelINS0_14default_configENS1_38merge_sort_block_merge_config_selectorIxNS0_10empty_typeEEEZZNS1_27merge_sort_block_merge_implIS3_N6thrust23THRUST_200600_302600_NS6detail15normal_iteratorINS9_10device_ptrIxEEEEPS5_m14custom_greaterIxEEE10hipError_tT0_T1_T2_jT3_P12ihipStream_tbPNSt15iterator_traitsISJ_E10value_typeEPNSP_ISK_E10value_typeEPSL_NS1_7vsmem_tEENKUlT_SJ_SK_SL_E_clISE_PxSF_SF_EESI_SY_SJ_SK_SL_EUlSY_E0_NS1_11comp_targetILNS1_3genE2ELNS1_11target_archE906ELNS1_3gpuE6ELNS1_3repE0EEENS1_38merge_mergepath_config_static_selectorELNS0_4arch9wavefront6targetE1EEEvSK_
		.amdhsa_group_segment_fixed_size 0
		.amdhsa_private_segment_fixed_size 0
		.amdhsa_kernarg_size 72
		.amdhsa_user_sgpr_count 6
		.amdhsa_user_sgpr_private_segment_buffer 1
		.amdhsa_user_sgpr_dispatch_ptr 0
		.amdhsa_user_sgpr_queue_ptr 0
		.amdhsa_user_sgpr_kernarg_segment_ptr 1
		.amdhsa_user_sgpr_dispatch_id 0
		.amdhsa_user_sgpr_flat_scratch_init 0
		.amdhsa_user_sgpr_kernarg_preload_length 0
		.amdhsa_user_sgpr_kernarg_preload_offset 0
		.amdhsa_user_sgpr_private_segment_size 0
		.amdhsa_uses_dynamic_stack 0
		.amdhsa_system_sgpr_private_segment_wavefront_offset 0
		.amdhsa_system_sgpr_workgroup_id_x 1
		.amdhsa_system_sgpr_workgroup_id_y 0
		.amdhsa_system_sgpr_workgroup_id_z 0
		.amdhsa_system_sgpr_workgroup_info 0
		.amdhsa_system_vgpr_workitem_id 0
		.amdhsa_next_free_vgpr 1
		.amdhsa_next_free_sgpr 0
		.amdhsa_accum_offset 4
		.amdhsa_reserve_vcc 0
		.amdhsa_reserve_flat_scratch 0
		.amdhsa_float_round_mode_32 0
		.amdhsa_float_round_mode_16_64 0
		.amdhsa_float_denorm_mode_32 3
		.amdhsa_float_denorm_mode_16_64 3
		.amdhsa_dx10_clamp 1
		.amdhsa_ieee_mode 1
		.amdhsa_fp16_overflow 0
		.amdhsa_tg_split 0
		.amdhsa_exception_fp_ieee_invalid_op 0
		.amdhsa_exception_fp_denorm_src 0
		.amdhsa_exception_fp_ieee_div_zero 0
		.amdhsa_exception_fp_ieee_overflow 0
		.amdhsa_exception_fp_ieee_underflow 0
		.amdhsa_exception_fp_ieee_inexact 0
		.amdhsa_exception_int_div_zero 0
	.end_amdhsa_kernel
	.section	.text._ZN7rocprim17ROCPRIM_400000_NS6detail17trampoline_kernelINS0_14default_configENS1_38merge_sort_block_merge_config_selectorIxNS0_10empty_typeEEEZZNS1_27merge_sort_block_merge_implIS3_N6thrust23THRUST_200600_302600_NS6detail15normal_iteratorINS9_10device_ptrIxEEEEPS5_m14custom_greaterIxEEE10hipError_tT0_T1_T2_jT3_P12ihipStream_tbPNSt15iterator_traitsISJ_E10value_typeEPNSP_ISK_E10value_typeEPSL_NS1_7vsmem_tEENKUlT_SJ_SK_SL_E_clISE_PxSF_SF_EESI_SY_SJ_SK_SL_EUlSY_E0_NS1_11comp_targetILNS1_3genE2ELNS1_11target_archE906ELNS1_3gpuE6ELNS1_3repE0EEENS1_38merge_mergepath_config_static_selectorELNS0_4arch9wavefront6targetE1EEEvSK_,"axG",@progbits,_ZN7rocprim17ROCPRIM_400000_NS6detail17trampoline_kernelINS0_14default_configENS1_38merge_sort_block_merge_config_selectorIxNS0_10empty_typeEEEZZNS1_27merge_sort_block_merge_implIS3_N6thrust23THRUST_200600_302600_NS6detail15normal_iteratorINS9_10device_ptrIxEEEEPS5_m14custom_greaterIxEEE10hipError_tT0_T1_T2_jT3_P12ihipStream_tbPNSt15iterator_traitsISJ_E10value_typeEPNSP_ISK_E10value_typeEPSL_NS1_7vsmem_tEENKUlT_SJ_SK_SL_E_clISE_PxSF_SF_EESI_SY_SJ_SK_SL_EUlSY_E0_NS1_11comp_targetILNS1_3genE2ELNS1_11target_archE906ELNS1_3gpuE6ELNS1_3repE0EEENS1_38merge_mergepath_config_static_selectorELNS0_4arch9wavefront6targetE1EEEvSK_,comdat
.Lfunc_end3425:
	.size	_ZN7rocprim17ROCPRIM_400000_NS6detail17trampoline_kernelINS0_14default_configENS1_38merge_sort_block_merge_config_selectorIxNS0_10empty_typeEEEZZNS1_27merge_sort_block_merge_implIS3_N6thrust23THRUST_200600_302600_NS6detail15normal_iteratorINS9_10device_ptrIxEEEEPS5_m14custom_greaterIxEEE10hipError_tT0_T1_T2_jT3_P12ihipStream_tbPNSt15iterator_traitsISJ_E10value_typeEPNSP_ISK_E10value_typeEPSL_NS1_7vsmem_tEENKUlT_SJ_SK_SL_E_clISE_PxSF_SF_EESI_SY_SJ_SK_SL_EUlSY_E0_NS1_11comp_targetILNS1_3genE2ELNS1_11target_archE906ELNS1_3gpuE6ELNS1_3repE0EEENS1_38merge_mergepath_config_static_selectorELNS0_4arch9wavefront6targetE1EEEvSK_, .Lfunc_end3425-_ZN7rocprim17ROCPRIM_400000_NS6detail17trampoline_kernelINS0_14default_configENS1_38merge_sort_block_merge_config_selectorIxNS0_10empty_typeEEEZZNS1_27merge_sort_block_merge_implIS3_N6thrust23THRUST_200600_302600_NS6detail15normal_iteratorINS9_10device_ptrIxEEEEPS5_m14custom_greaterIxEEE10hipError_tT0_T1_T2_jT3_P12ihipStream_tbPNSt15iterator_traitsISJ_E10value_typeEPNSP_ISK_E10value_typeEPSL_NS1_7vsmem_tEENKUlT_SJ_SK_SL_E_clISE_PxSF_SF_EESI_SY_SJ_SK_SL_EUlSY_E0_NS1_11comp_targetILNS1_3genE2ELNS1_11target_archE906ELNS1_3gpuE6ELNS1_3repE0EEENS1_38merge_mergepath_config_static_selectorELNS0_4arch9wavefront6targetE1EEEvSK_
                                        ; -- End function
	.section	.AMDGPU.csdata,"",@progbits
; Kernel info:
; codeLenInByte = 0
; NumSgprs: 4
; NumVgprs: 0
; NumAgprs: 0
; TotalNumVgprs: 0
; ScratchSize: 0
; MemoryBound: 0
; FloatMode: 240
; IeeeMode: 1
; LDSByteSize: 0 bytes/workgroup (compile time only)
; SGPRBlocks: 0
; VGPRBlocks: 0
; NumSGPRsForWavesPerEU: 4
; NumVGPRsForWavesPerEU: 1
; AccumOffset: 4
; Occupancy: 8
; WaveLimiterHint : 0
; COMPUTE_PGM_RSRC2:SCRATCH_EN: 0
; COMPUTE_PGM_RSRC2:USER_SGPR: 6
; COMPUTE_PGM_RSRC2:TRAP_HANDLER: 0
; COMPUTE_PGM_RSRC2:TGID_X_EN: 1
; COMPUTE_PGM_RSRC2:TGID_Y_EN: 0
; COMPUTE_PGM_RSRC2:TGID_Z_EN: 0
; COMPUTE_PGM_RSRC2:TIDIG_COMP_CNT: 0
; COMPUTE_PGM_RSRC3_GFX90A:ACCUM_OFFSET: 0
; COMPUTE_PGM_RSRC3_GFX90A:TG_SPLIT: 0
	.section	.text._ZN7rocprim17ROCPRIM_400000_NS6detail17trampoline_kernelINS0_14default_configENS1_38merge_sort_block_merge_config_selectorIxNS0_10empty_typeEEEZZNS1_27merge_sort_block_merge_implIS3_N6thrust23THRUST_200600_302600_NS6detail15normal_iteratorINS9_10device_ptrIxEEEEPS5_m14custom_greaterIxEEE10hipError_tT0_T1_T2_jT3_P12ihipStream_tbPNSt15iterator_traitsISJ_E10value_typeEPNSP_ISK_E10value_typeEPSL_NS1_7vsmem_tEENKUlT_SJ_SK_SL_E_clISE_PxSF_SF_EESI_SY_SJ_SK_SL_EUlSY_E0_NS1_11comp_targetILNS1_3genE9ELNS1_11target_archE1100ELNS1_3gpuE3ELNS1_3repE0EEENS1_38merge_mergepath_config_static_selectorELNS0_4arch9wavefront6targetE1EEEvSK_,"axG",@progbits,_ZN7rocprim17ROCPRIM_400000_NS6detail17trampoline_kernelINS0_14default_configENS1_38merge_sort_block_merge_config_selectorIxNS0_10empty_typeEEEZZNS1_27merge_sort_block_merge_implIS3_N6thrust23THRUST_200600_302600_NS6detail15normal_iteratorINS9_10device_ptrIxEEEEPS5_m14custom_greaterIxEEE10hipError_tT0_T1_T2_jT3_P12ihipStream_tbPNSt15iterator_traitsISJ_E10value_typeEPNSP_ISK_E10value_typeEPSL_NS1_7vsmem_tEENKUlT_SJ_SK_SL_E_clISE_PxSF_SF_EESI_SY_SJ_SK_SL_EUlSY_E0_NS1_11comp_targetILNS1_3genE9ELNS1_11target_archE1100ELNS1_3gpuE3ELNS1_3repE0EEENS1_38merge_mergepath_config_static_selectorELNS0_4arch9wavefront6targetE1EEEvSK_,comdat
	.protected	_ZN7rocprim17ROCPRIM_400000_NS6detail17trampoline_kernelINS0_14default_configENS1_38merge_sort_block_merge_config_selectorIxNS0_10empty_typeEEEZZNS1_27merge_sort_block_merge_implIS3_N6thrust23THRUST_200600_302600_NS6detail15normal_iteratorINS9_10device_ptrIxEEEEPS5_m14custom_greaterIxEEE10hipError_tT0_T1_T2_jT3_P12ihipStream_tbPNSt15iterator_traitsISJ_E10value_typeEPNSP_ISK_E10value_typeEPSL_NS1_7vsmem_tEENKUlT_SJ_SK_SL_E_clISE_PxSF_SF_EESI_SY_SJ_SK_SL_EUlSY_E0_NS1_11comp_targetILNS1_3genE9ELNS1_11target_archE1100ELNS1_3gpuE3ELNS1_3repE0EEENS1_38merge_mergepath_config_static_selectorELNS0_4arch9wavefront6targetE1EEEvSK_ ; -- Begin function _ZN7rocprim17ROCPRIM_400000_NS6detail17trampoline_kernelINS0_14default_configENS1_38merge_sort_block_merge_config_selectorIxNS0_10empty_typeEEEZZNS1_27merge_sort_block_merge_implIS3_N6thrust23THRUST_200600_302600_NS6detail15normal_iteratorINS9_10device_ptrIxEEEEPS5_m14custom_greaterIxEEE10hipError_tT0_T1_T2_jT3_P12ihipStream_tbPNSt15iterator_traitsISJ_E10value_typeEPNSP_ISK_E10value_typeEPSL_NS1_7vsmem_tEENKUlT_SJ_SK_SL_E_clISE_PxSF_SF_EESI_SY_SJ_SK_SL_EUlSY_E0_NS1_11comp_targetILNS1_3genE9ELNS1_11target_archE1100ELNS1_3gpuE3ELNS1_3repE0EEENS1_38merge_mergepath_config_static_selectorELNS0_4arch9wavefront6targetE1EEEvSK_
	.globl	_ZN7rocprim17ROCPRIM_400000_NS6detail17trampoline_kernelINS0_14default_configENS1_38merge_sort_block_merge_config_selectorIxNS0_10empty_typeEEEZZNS1_27merge_sort_block_merge_implIS3_N6thrust23THRUST_200600_302600_NS6detail15normal_iteratorINS9_10device_ptrIxEEEEPS5_m14custom_greaterIxEEE10hipError_tT0_T1_T2_jT3_P12ihipStream_tbPNSt15iterator_traitsISJ_E10value_typeEPNSP_ISK_E10value_typeEPSL_NS1_7vsmem_tEENKUlT_SJ_SK_SL_E_clISE_PxSF_SF_EESI_SY_SJ_SK_SL_EUlSY_E0_NS1_11comp_targetILNS1_3genE9ELNS1_11target_archE1100ELNS1_3gpuE3ELNS1_3repE0EEENS1_38merge_mergepath_config_static_selectorELNS0_4arch9wavefront6targetE1EEEvSK_
	.p2align	8
	.type	_ZN7rocprim17ROCPRIM_400000_NS6detail17trampoline_kernelINS0_14default_configENS1_38merge_sort_block_merge_config_selectorIxNS0_10empty_typeEEEZZNS1_27merge_sort_block_merge_implIS3_N6thrust23THRUST_200600_302600_NS6detail15normal_iteratorINS9_10device_ptrIxEEEEPS5_m14custom_greaterIxEEE10hipError_tT0_T1_T2_jT3_P12ihipStream_tbPNSt15iterator_traitsISJ_E10value_typeEPNSP_ISK_E10value_typeEPSL_NS1_7vsmem_tEENKUlT_SJ_SK_SL_E_clISE_PxSF_SF_EESI_SY_SJ_SK_SL_EUlSY_E0_NS1_11comp_targetILNS1_3genE9ELNS1_11target_archE1100ELNS1_3gpuE3ELNS1_3repE0EEENS1_38merge_mergepath_config_static_selectorELNS0_4arch9wavefront6targetE1EEEvSK_,@function
_ZN7rocprim17ROCPRIM_400000_NS6detail17trampoline_kernelINS0_14default_configENS1_38merge_sort_block_merge_config_selectorIxNS0_10empty_typeEEEZZNS1_27merge_sort_block_merge_implIS3_N6thrust23THRUST_200600_302600_NS6detail15normal_iteratorINS9_10device_ptrIxEEEEPS5_m14custom_greaterIxEEE10hipError_tT0_T1_T2_jT3_P12ihipStream_tbPNSt15iterator_traitsISJ_E10value_typeEPNSP_ISK_E10value_typeEPSL_NS1_7vsmem_tEENKUlT_SJ_SK_SL_E_clISE_PxSF_SF_EESI_SY_SJ_SK_SL_EUlSY_E0_NS1_11comp_targetILNS1_3genE9ELNS1_11target_archE1100ELNS1_3gpuE3ELNS1_3repE0EEENS1_38merge_mergepath_config_static_selectorELNS0_4arch9wavefront6targetE1EEEvSK_: ; @_ZN7rocprim17ROCPRIM_400000_NS6detail17trampoline_kernelINS0_14default_configENS1_38merge_sort_block_merge_config_selectorIxNS0_10empty_typeEEEZZNS1_27merge_sort_block_merge_implIS3_N6thrust23THRUST_200600_302600_NS6detail15normal_iteratorINS9_10device_ptrIxEEEEPS5_m14custom_greaterIxEEE10hipError_tT0_T1_T2_jT3_P12ihipStream_tbPNSt15iterator_traitsISJ_E10value_typeEPNSP_ISK_E10value_typeEPSL_NS1_7vsmem_tEENKUlT_SJ_SK_SL_E_clISE_PxSF_SF_EESI_SY_SJ_SK_SL_EUlSY_E0_NS1_11comp_targetILNS1_3genE9ELNS1_11target_archE1100ELNS1_3gpuE3ELNS1_3repE0EEENS1_38merge_mergepath_config_static_selectorELNS0_4arch9wavefront6targetE1EEEvSK_
; %bb.0:
	.section	.rodata,"a",@progbits
	.p2align	6, 0x0
	.amdhsa_kernel _ZN7rocprim17ROCPRIM_400000_NS6detail17trampoline_kernelINS0_14default_configENS1_38merge_sort_block_merge_config_selectorIxNS0_10empty_typeEEEZZNS1_27merge_sort_block_merge_implIS3_N6thrust23THRUST_200600_302600_NS6detail15normal_iteratorINS9_10device_ptrIxEEEEPS5_m14custom_greaterIxEEE10hipError_tT0_T1_T2_jT3_P12ihipStream_tbPNSt15iterator_traitsISJ_E10value_typeEPNSP_ISK_E10value_typeEPSL_NS1_7vsmem_tEENKUlT_SJ_SK_SL_E_clISE_PxSF_SF_EESI_SY_SJ_SK_SL_EUlSY_E0_NS1_11comp_targetILNS1_3genE9ELNS1_11target_archE1100ELNS1_3gpuE3ELNS1_3repE0EEENS1_38merge_mergepath_config_static_selectorELNS0_4arch9wavefront6targetE1EEEvSK_
		.amdhsa_group_segment_fixed_size 0
		.amdhsa_private_segment_fixed_size 0
		.amdhsa_kernarg_size 72
		.amdhsa_user_sgpr_count 6
		.amdhsa_user_sgpr_private_segment_buffer 1
		.amdhsa_user_sgpr_dispatch_ptr 0
		.amdhsa_user_sgpr_queue_ptr 0
		.amdhsa_user_sgpr_kernarg_segment_ptr 1
		.amdhsa_user_sgpr_dispatch_id 0
		.amdhsa_user_sgpr_flat_scratch_init 0
		.amdhsa_user_sgpr_kernarg_preload_length 0
		.amdhsa_user_sgpr_kernarg_preload_offset 0
		.amdhsa_user_sgpr_private_segment_size 0
		.amdhsa_uses_dynamic_stack 0
		.amdhsa_system_sgpr_private_segment_wavefront_offset 0
		.amdhsa_system_sgpr_workgroup_id_x 1
		.amdhsa_system_sgpr_workgroup_id_y 0
		.amdhsa_system_sgpr_workgroup_id_z 0
		.amdhsa_system_sgpr_workgroup_info 0
		.amdhsa_system_vgpr_workitem_id 0
		.amdhsa_next_free_vgpr 1
		.amdhsa_next_free_sgpr 0
		.amdhsa_accum_offset 4
		.amdhsa_reserve_vcc 0
		.amdhsa_reserve_flat_scratch 0
		.amdhsa_float_round_mode_32 0
		.amdhsa_float_round_mode_16_64 0
		.amdhsa_float_denorm_mode_32 3
		.amdhsa_float_denorm_mode_16_64 3
		.amdhsa_dx10_clamp 1
		.amdhsa_ieee_mode 1
		.amdhsa_fp16_overflow 0
		.amdhsa_tg_split 0
		.amdhsa_exception_fp_ieee_invalid_op 0
		.amdhsa_exception_fp_denorm_src 0
		.amdhsa_exception_fp_ieee_div_zero 0
		.amdhsa_exception_fp_ieee_overflow 0
		.amdhsa_exception_fp_ieee_underflow 0
		.amdhsa_exception_fp_ieee_inexact 0
		.amdhsa_exception_int_div_zero 0
	.end_amdhsa_kernel
	.section	.text._ZN7rocprim17ROCPRIM_400000_NS6detail17trampoline_kernelINS0_14default_configENS1_38merge_sort_block_merge_config_selectorIxNS0_10empty_typeEEEZZNS1_27merge_sort_block_merge_implIS3_N6thrust23THRUST_200600_302600_NS6detail15normal_iteratorINS9_10device_ptrIxEEEEPS5_m14custom_greaterIxEEE10hipError_tT0_T1_T2_jT3_P12ihipStream_tbPNSt15iterator_traitsISJ_E10value_typeEPNSP_ISK_E10value_typeEPSL_NS1_7vsmem_tEENKUlT_SJ_SK_SL_E_clISE_PxSF_SF_EESI_SY_SJ_SK_SL_EUlSY_E0_NS1_11comp_targetILNS1_3genE9ELNS1_11target_archE1100ELNS1_3gpuE3ELNS1_3repE0EEENS1_38merge_mergepath_config_static_selectorELNS0_4arch9wavefront6targetE1EEEvSK_,"axG",@progbits,_ZN7rocprim17ROCPRIM_400000_NS6detail17trampoline_kernelINS0_14default_configENS1_38merge_sort_block_merge_config_selectorIxNS0_10empty_typeEEEZZNS1_27merge_sort_block_merge_implIS3_N6thrust23THRUST_200600_302600_NS6detail15normal_iteratorINS9_10device_ptrIxEEEEPS5_m14custom_greaterIxEEE10hipError_tT0_T1_T2_jT3_P12ihipStream_tbPNSt15iterator_traitsISJ_E10value_typeEPNSP_ISK_E10value_typeEPSL_NS1_7vsmem_tEENKUlT_SJ_SK_SL_E_clISE_PxSF_SF_EESI_SY_SJ_SK_SL_EUlSY_E0_NS1_11comp_targetILNS1_3genE9ELNS1_11target_archE1100ELNS1_3gpuE3ELNS1_3repE0EEENS1_38merge_mergepath_config_static_selectorELNS0_4arch9wavefront6targetE1EEEvSK_,comdat
.Lfunc_end3426:
	.size	_ZN7rocprim17ROCPRIM_400000_NS6detail17trampoline_kernelINS0_14default_configENS1_38merge_sort_block_merge_config_selectorIxNS0_10empty_typeEEEZZNS1_27merge_sort_block_merge_implIS3_N6thrust23THRUST_200600_302600_NS6detail15normal_iteratorINS9_10device_ptrIxEEEEPS5_m14custom_greaterIxEEE10hipError_tT0_T1_T2_jT3_P12ihipStream_tbPNSt15iterator_traitsISJ_E10value_typeEPNSP_ISK_E10value_typeEPSL_NS1_7vsmem_tEENKUlT_SJ_SK_SL_E_clISE_PxSF_SF_EESI_SY_SJ_SK_SL_EUlSY_E0_NS1_11comp_targetILNS1_3genE9ELNS1_11target_archE1100ELNS1_3gpuE3ELNS1_3repE0EEENS1_38merge_mergepath_config_static_selectorELNS0_4arch9wavefront6targetE1EEEvSK_, .Lfunc_end3426-_ZN7rocprim17ROCPRIM_400000_NS6detail17trampoline_kernelINS0_14default_configENS1_38merge_sort_block_merge_config_selectorIxNS0_10empty_typeEEEZZNS1_27merge_sort_block_merge_implIS3_N6thrust23THRUST_200600_302600_NS6detail15normal_iteratorINS9_10device_ptrIxEEEEPS5_m14custom_greaterIxEEE10hipError_tT0_T1_T2_jT3_P12ihipStream_tbPNSt15iterator_traitsISJ_E10value_typeEPNSP_ISK_E10value_typeEPSL_NS1_7vsmem_tEENKUlT_SJ_SK_SL_E_clISE_PxSF_SF_EESI_SY_SJ_SK_SL_EUlSY_E0_NS1_11comp_targetILNS1_3genE9ELNS1_11target_archE1100ELNS1_3gpuE3ELNS1_3repE0EEENS1_38merge_mergepath_config_static_selectorELNS0_4arch9wavefront6targetE1EEEvSK_
                                        ; -- End function
	.section	.AMDGPU.csdata,"",@progbits
; Kernel info:
; codeLenInByte = 0
; NumSgprs: 4
; NumVgprs: 0
; NumAgprs: 0
; TotalNumVgprs: 0
; ScratchSize: 0
; MemoryBound: 0
; FloatMode: 240
; IeeeMode: 1
; LDSByteSize: 0 bytes/workgroup (compile time only)
; SGPRBlocks: 0
; VGPRBlocks: 0
; NumSGPRsForWavesPerEU: 4
; NumVGPRsForWavesPerEU: 1
; AccumOffset: 4
; Occupancy: 8
; WaveLimiterHint : 0
; COMPUTE_PGM_RSRC2:SCRATCH_EN: 0
; COMPUTE_PGM_RSRC2:USER_SGPR: 6
; COMPUTE_PGM_RSRC2:TRAP_HANDLER: 0
; COMPUTE_PGM_RSRC2:TGID_X_EN: 1
; COMPUTE_PGM_RSRC2:TGID_Y_EN: 0
; COMPUTE_PGM_RSRC2:TGID_Z_EN: 0
; COMPUTE_PGM_RSRC2:TIDIG_COMP_CNT: 0
; COMPUTE_PGM_RSRC3_GFX90A:ACCUM_OFFSET: 0
; COMPUTE_PGM_RSRC3_GFX90A:TG_SPLIT: 0
	.section	.text._ZN7rocprim17ROCPRIM_400000_NS6detail17trampoline_kernelINS0_14default_configENS1_38merge_sort_block_merge_config_selectorIxNS0_10empty_typeEEEZZNS1_27merge_sort_block_merge_implIS3_N6thrust23THRUST_200600_302600_NS6detail15normal_iteratorINS9_10device_ptrIxEEEEPS5_m14custom_greaterIxEEE10hipError_tT0_T1_T2_jT3_P12ihipStream_tbPNSt15iterator_traitsISJ_E10value_typeEPNSP_ISK_E10value_typeEPSL_NS1_7vsmem_tEENKUlT_SJ_SK_SL_E_clISE_PxSF_SF_EESI_SY_SJ_SK_SL_EUlSY_E0_NS1_11comp_targetILNS1_3genE8ELNS1_11target_archE1030ELNS1_3gpuE2ELNS1_3repE0EEENS1_38merge_mergepath_config_static_selectorELNS0_4arch9wavefront6targetE1EEEvSK_,"axG",@progbits,_ZN7rocprim17ROCPRIM_400000_NS6detail17trampoline_kernelINS0_14default_configENS1_38merge_sort_block_merge_config_selectorIxNS0_10empty_typeEEEZZNS1_27merge_sort_block_merge_implIS3_N6thrust23THRUST_200600_302600_NS6detail15normal_iteratorINS9_10device_ptrIxEEEEPS5_m14custom_greaterIxEEE10hipError_tT0_T1_T2_jT3_P12ihipStream_tbPNSt15iterator_traitsISJ_E10value_typeEPNSP_ISK_E10value_typeEPSL_NS1_7vsmem_tEENKUlT_SJ_SK_SL_E_clISE_PxSF_SF_EESI_SY_SJ_SK_SL_EUlSY_E0_NS1_11comp_targetILNS1_3genE8ELNS1_11target_archE1030ELNS1_3gpuE2ELNS1_3repE0EEENS1_38merge_mergepath_config_static_selectorELNS0_4arch9wavefront6targetE1EEEvSK_,comdat
	.protected	_ZN7rocprim17ROCPRIM_400000_NS6detail17trampoline_kernelINS0_14default_configENS1_38merge_sort_block_merge_config_selectorIxNS0_10empty_typeEEEZZNS1_27merge_sort_block_merge_implIS3_N6thrust23THRUST_200600_302600_NS6detail15normal_iteratorINS9_10device_ptrIxEEEEPS5_m14custom_greaterIxEEE10hipError_tT0_T1_T2_jT3_P12ihipStream_tbPNSt15iterator_traitsISJ_E10value_typeEPNSP_ISK_E10value_typeEPSL_NS1_7vsmem_tEENKUlT_SJ_SK_SL_E_clISE_PxSF_SF_EESI_SY_SJ_SK_SL_EUlSY_E0_NS1_11comp_targetILNS1_3genE8ELNS1_11target_archE1030ELNS1_3gpuE2ELNS1_3repE0EEENS1_38merge_mergepath_config_static_selectorELNS0_4arch9wavefront6targetE1EEEvSK_ ; -- Begin function _ZN7rocprim17ROCPRIM_400000_NS6detail17trampoline_kernelINS0_14default_configENS1_38merge_sort_block_merge_config_selectorIxNS0_10empty_typeEEEZZNS1_27merge_sort_block_merge_implIS3_N6thrust23THRUST_200600_302600_NS6detail15normal_iteratorINS9_10device_ptrIxEEEEPS5_m14custom_greaterIxEEE10hipError_tT0_T1_T2_jT3_P12ihipStream_tbPNSt15iterator_traitsISJ_E10value_typeEPNSP_ISK_E10value_typeEPSL_NS1_7vsmem_tEENKUlT_SJ_SK_SL_E_clISE_PxSF_SF_EESI_SY_SJ_SK_SL_EUlSY_E0_NS1_11comp_targetILNS1_3genE8ELNS1_11target_archE1030ELNS1_3gpuE2ELNS1_3repE0EEENS1_38merge_mergepath_config_static_selectorELNS0_4arch9wavefront6targetE1EEEvSK_
	.globl	_ZN7rocprim17ROCPRIM_400000_NS6detail17trampoline_kernelINS0_14default_configENS1_38merge_sort_block_merge_config_selectorIxNS0_10empty_typeEEEZZNS1_27merge_sort_block_merge_implIS3_N6thrust23THRUST_200600_302600_NS6detail15normal_iteratorINS9_10device_ptrIxEEEEPS5_m14custom_greaterIxEEE10hipError_tT0_T1_T2_jT3_P12ihipStream_tbPNSt15iterator_traitsISJ_E10value_typeEPNSP_ISK_E10value_typeEPSL_NS1_7vsmem_tEENKUlT_SJ_SK_SL_E_clISE_PxSF_SF_EESI_SY_SJ_SK_SL_EUlSY_E0_NS1_11comp_targetILNS1_3genE8ELNS1_11target_archE1030ELNS1_3gpuE2ELNS1_3repE0EEENS1_38merge_mergepath_config_static_selectorELNS0_4arch9wavefront6targetE1EEEvSK_
	.p2align	8
	.type	_ZN7rocprim17ROCPRIM_400000_NS6detail17trampoline_kernelINS0_14default_configENS1_38merge_sort_block_merge_config_selectorIxNS0_10empty_typeEEEZZNS1_27merge_sort_block_merge_implIS3_N6thrust23THRUST_200600_302600_NS6detail15normal_iteratorINS9_10device_ptrIxEEEEPS5_m14custom_greaterIxEEE10hipError_tT0_T1_T2_jT3_P12ihipStream_tbPNSt15iterator_traitsISJ_E10value_typeEPNSP_ISK_E10value_typeEPSL_NS1_7vsmem_tEENKUlT_SJ_SK_SL_E_clISE_PxSF_SF_EESI_SY_SJ_SK_SL_EUlSY_E0_NS1_11comp_targetILNS1_3genE8ELNS1_11target_archE1030ELNS1_3gpuE2ELNS1_3repE0EEENS1_38merge_mergepath_config_static_selectorELNS0_4arch9wavefront6targetE1EEEvSK_,@function
_ZN7rocprim17ROCPRIM_400000_NS6detail17trampoline_kernelINS0_14default_configENS1_38merge_sort_block_merge_config_selectorIxNS0_10empty_typeEEEZZNS1_27merge_sort_block_merge_implIS3_N6thrust23THRUST_200600_302600_NS6detail15normal_iteratorINS9_10device_ptrIxEEEEPS5_m14custom_greaterIxEEE10hipError_tT0_T1_T2_jT3_P12ihipStream_tbPNSt15iterator_traitsISJ_E10value_typeEPNSP_ISK_E10value_typeEPSL_NS1_7vsmem_tEENKUlT_SJ_SK_SL_E_clISE_PxSF_SF_EESI_SY_SJ_SK_SL_EUlSY_E0_NS1_11comp_targetILNS1_3genE8ELNS1_11target_archE1030ELNS1_3gpuE2ELNS1_3repE0EEENS1_38merge_mergepath_config_static_selectorELNS0_4arch9wavefront6targetE1EEEvSK_: ; @_ZN7rocprim17ROCPRIM_400000_NS6detail17trampoline_kernelINS0_14default_configENS1_38merge_sort_block_merge_config_selectorIxNS0_10empty_typeEEEZZNS1_27merge_sort_block_merge_implIS3_N6thrust23THRUST_200600_302600_NS6detail15normal_iteratorINS9_10device_ptrIxEEEEPS5_m14custom_greaterIxEEE10hipError_tT0_T1_T2_jT3_P12ihipStream_tbPNSt15iterator_traitsISJ_E10value_typeEPNSP_ISK_E10value_typeEPSL_NS1_7vsmem_tEENKUlT_SJ_SK_SL_E_clISE_PxSF_SF_EESI_SY_SJ_SK_SL_EUlSY_E0_NS1_11comp_targetILNS1_3genE8ELNS1_11target_archE1030ELNS1_3gpuE2ELNS1_3repE0EEENS1_38merge_mergepath_config_static_selectorELNS0_4arch9wavefront6targetE1EEEvSK_
; %bb.0:
	.section	.rodata,"a",@progbits
	.p2align	6, 0x0
	.amdhsa_kernel _ZN7rocprim17ROCPRIM_400000_NS6detail17trampoline_kernelINS0_14default_configENS1_38merge_sort_block_merge_config_selectorIxNS0_10empty_typeEEEZZNS1_27merge_sort_block_merge_implIS3_N6thrust23THRUST_200600_302600_NS6detail15normal_iteratorINS9_10device_ptrIxEEEEPS5_m14custom_greaterIxEEE10hipError_tT0_T1_T2_jT3_P12ihipStream_tbPNSt15iterator_traitsISJ_E10value_typeEPNSP_ISK_E10value_typeEPSL_NS1_7vsmem_tEENKUlT_SJ_SK_SL_E_clISE_PxSF_SF_EESI_SY_SJ_SK_SL_EUlSY_E0_NS1_11comp_targetILNS1_3genE8ELNS1_11target_archE1030ELNS1_3gpuE2ELNS1_3repE0EEENS1_38merge_mergepath_config_static_selectorELNS0_4arch9wavefront6targetE1EEEvSK_
		.amdhsa_group_segment_fixed_size 0
		.amdhsa_private_segment_fixed_size 0
		.amdhsa_kernarg_size 72
		.amdhsa_user_sgpr_count 6
		.amdhsa_user_sgpr_private_segment_buffer 1
		.amdhsa_user_sgpr_dispatch_ptr 0
		.amdhsa_user_sgpr_queue_ptr 0
		.amdhsa_user_sgpr_kernarg_segment_ptr 1
		.amdhsa_user_sgpr_dispatch_id 0
		.amdhsa_user_sgpr_flat_scratch_init 0
		.amdhsa_user_sgpr_kernarg_preload_length 0
		.amdhsa_user_sgpr_kernarg_preload_offset 0
		.amdhsa_user_sgpr_private_segment_size 0
		.amdhsa_uses_dynamic_stack 0
		.amdhsa_system_sgpr_private_segment_wavefront_offset 0
		.amdhsa_system_sgpr_workgroup_id_x 1
		.amdhsa_system_sgpr_workgroup_id_y 0
		.amdhsa_system_sgpr_workgroup_id_z 0
		.amdhsa_system_sgpr_workgroup_info 0
		.amdhsa_system_vgpr_workitem_id 0
		.amdhsa_next_free_vgpr 1
		.amdhsa_next_free_sgpr 0
		.amdhsa_accum_offset 4
		.amdhsa_reserve_vcc 0
		.amdhsa_reserve_flat_scratch 0
		.amdhsa_float_round_mode_32 0
		.amdhsa_float_round_mode_16_64 0
		.amdhsa_float_denorm_mode_32 3
		.amdhsa_float_denorm_mode_16_64 3
		.amdhsa_dx10_clamp 1
		.amdhsa_ieee_mode 1
		.amdhsa_fp16_overflow 0
		.amdhsa_tg_split 0
		.amdhsa_exception_fp_ieee_invalid_op 0
		.amdhsa_exception_fp_denorm_src 0
		.amdhsa_exception_fp_ieee_div_zero 0
		.amdhsa_exception_fp_ieee_overflow 0
		.amdhsa_exception_fp_ieee_underflow 0
		.amdhsa_exception_fp_ieee_inexact 0
		.amdhsa_exception_int_div_zero 0
	.end_amdhsa_kernel
	.section	.text._ZN7rocprim17ROCPRIM_400000_NS6detail17trampoline_kernelINS0_14default_configENS1_38merge_sort_block_merge_config_selectorIxNS0_10empty_typeEEEZZNS1_27merge_sort_block_merge_implIS3_N6thrust23THRUST_200600_302600_NS6detail15normal_iteratorINS9_10device_ptrIxEEEEPS5_m14custom_greaterIxEEE10hipError_tT0_T1_T2_jT3_P12ihipStream_tbPNSt15iterator_traitsISJ_E10value_typeEPNSP_ISK_E10value_typeEPSL_NS1_7vsmem_tEENKUlT_SJ_SK_SL_E_clISE_PxSF_SF_EESI_SY_SJ_SK_SL_EUlSY_E0_NS1_11comp_targetILNS1_3genE8ELNS1_11target_archE1030ELNS1_3gpuE2ELNS1_3repE0EEENS1_38merge_mergepath_config_static_selectorELNS0_4arch9wavefront6targetE1EEEvSK_,"axG",@progbits,_ZN7rocprim17ROCPRIM_400000_NS6detail17trampoline_kernelINS0_14default_configENS1_38merge_sort_block_merge_config_selectorIxNS0_10empty_typeEEEZZNS1_27merge_sort_block_merge_implIS3_N6thrust23THRUST_200600_302600_NS6detail15normal_iteratorINS9_10device_ptrIxEEEEPS5_m14custom_greaterIxEEE10hipError_tT0_T1_T2_jT3_P12ihipStream_tbPNSt15iterator_traitsISJ_E10value_typeEPNSP_ISK_E10value_typeEPSL_NS1_7vsmem_tEENKUlT_SJ_SK_SL_E_clISE_PxSF_SF_EESI_SY_SJ_SK_SL_EUlSY_E0_NS1_11comp_targetILNS1_3genE8ELNS1_11target_archE1030ELNS1_3gpuE2ELNS1_3repE0EEENS1_38merge_mergepath_config_static_selectorELNS0_4arch9wavefront6targetE1EEEvSK_,comdat
.Lfunc_end3427:
	.size	_ZN7rocprim17ROCPRIM_400000_NS6detail17trampoline_kernelINS0_14default_configENS1_38merge_sort_block_merge_config_selectorIxNS0_10empty_typeEEEZZNS1_27merge_sort_block_merge_implIS3_N6thrust23THRUST_200600_302600_NS6detail15normal_iteratorINS9_10device_ptrIxEEEEPS5_m14custom_greaterIxEEE10hipError_tT0_T1_T2_jT3_P12ihipStream_tbPNSt15iterator_traitsISJ_E10value_typeEPNSP_ISK_E10value_typeEPSL_NS1_7vsmem_tEENKUlT_SJ_SK_SL_E_clISE_PxSF_SF_EESI_SY_SJ_SK_SL_EUlSY_E0_NS1_11comp_targetILNS1_3genE8ELNS1_11target_archE1030ELNS1_3gpuE2ELNS1_3repE0EEENS1_38merge_mergepath_config_static_selectorELNS0_4arch9wavefront6targetE1EEEvSK_, .Lfunc_end3427-_ZN7rocprim17ROCPRIM_400000_NS6detail17trampoline_kernelINS0_14default_configENS1_38merge_sort_block_merge_config_selectorIxNS0_10empty_typeEEEZZNS1_27merge_sort_block_merge_implIS3_N6thrust23THRUST_200600_302600_NS6detail15normal_iteratorINS9_10device_ptrIxEEEEPS5_m14custom_greaterIxEEE10hipError_tT0_T1_T2_jT3_P12ihipStream_tbPNSt15iterator_traitsISJ_E10value_typeEPNSP_ISK_E10value_typeEPSL_NS1_7vsmem_tEENKUlT_SJ_SK_SL_E_clISE_PxSF_SF_EESI_SY_SJ_SK_SL_EUlSY_E0_NS1_11comp_targetILNS1_3genE8ELNS1_11target_archE1030ELNS1_3gpuE2ELNS1_3repE0EEENS1_38merge_mergepath_config_static_selectorELNS0_4arch9wavefront6targetE1EEEvSK_
                                        ; -- End function
	.section	.AMDGPU.csdata,"",@progbits
; Kernel info:
; codeLenInByte = 0
; NumSgprs: 4
; NumVgprs: 0
; NumAgprs: 0
; TotalNumVgprs: 0
; ScratchSize: 0
; MemoryBound: 0
; FloatMode: 240
; IeeeMode: 1
; LDSByteSize: 0 bytes/workgroup (compile time only)
; SGPRBlocks: 0
; VGPRBlocks: 0
; NumSGPRsForWavesPerEU: 4
; NumVGPRsForWavesPerEU: 1
; AccumOffset: 4
; Occupancy: 8
; WaveLimiterHint : 0
; COMPUTE_PGM_RSRC2:SCRATCH_EN: 0
; COMPUTE_PGM_RSRC2:USER_SGPR: 6
; COMPUTE_PGM_RSRC2:TRAP_HANDLER: 0
; COMPUTE_PGM_RSRC2:TGID_X_EN: 1
; COMPUTE_PGM_RSRC2:TGID_Y_EN: 0
; COMPUTE_PGM_RSRC2:TGID_Z_EN: 0
; COMPUTE_PGM_RSRC2:TIDIG_COMP_CNT: 0
; COMPUTE_PGM_RSRC3_GFX90A:ACCUM_OFFSET: 0
; COMPUTE_PGM_RSRC3_GFX90A:TG_SPLIT: 0
	.section	.text._ZN7rocprim17ROCPRIM_400000_NS6detail17trampoline_kernelINS0_14default_configENS1_38merge_sort_block_merge_config_selectorIxNS0_10empty_typeEEEZZNS1_27merge_sort_block_merge_implIS3_N6thrust23THRUST_200600_302600_NS6detail15normal_iteratorINS9_10device_ptrIxEEEEPS5_m14custom_greaterIxEEE10hipError_tT0_T1_T2_jT3_P12ihipStream_tbPNSt15iterator_traitsISJ_E10value_typeEPNSP_ISK_E10value_typeEPSL_NS1_7vsmem_tEENKUlT_SJ_SK_SL_E_clISE_PxSF_SF_EESI_SY_SJ_SK_SL_EUlSY_E1_NS1_11comp_targetILNS1_3genE0ELNS1_11target_archE4294967295ELNS1_3gpuE0ELNS1_3repE0EEENS1_36merge_oddeven_config_static_selectorELNS0_4arch9wavefront6targetE1EEEvSK_,"axG",@progbits,_ZN7rocprim17ROCPRIM_400000_NS6detail17trampoline_kernelINS0_14default_configENS1_38merge_sort_block_merge_config_selectorIxNS0_10empty_typeEEEZZNS1_27merge_sort_block_merge_implIS3_N6thrust23THRUST_200600_302600_NS6detail15normal_iteratorINS9_10device_ptrIxEEEEPS5_m14custom_greaterIxEEE10hipError_tT0_T1_T2_jT3_P12ihipStream_tbPNSt15iterator_traitsISJ_E10value_typeEPNSP_ISK_E10value_typeEPSL_NS1_7vsmem_tEENKUlT_SJ_SK_SL_E_clISE_PxSF_SF_EESI_SY_SJ_SK_SL_EUlSY_E1_NS1_11comp_targetILNS1_3genE0ELNS1_11target_archE4294967295ELNS1_3gpuE0ELNS1_3repE0EEENS1_36merge_oddeven_config_static_selectorELNS0_4arch9wavefront6targetE1EEEvSK_,comdat
	.protected	_ZN7rocprim17ROCPRIM_400000_NS6detail17trampoline_kernelINS0_14default_configENS1_38merge_sort_block_merge_config_selectorIxNS0_10empty_typeEEEZZNS1_27merge_sort_block_merge_implIS3_N6thrust23THRUST_200600_302600_NS6detail15normal_iteratorINS9_10device_ptrIxEEEEPS5_m14custom_greaterIxEEE10hipError_tT0_T1_T2_jT3_P12ihipStream_tbPNSt15iterator_traitsISJ_E10value_typeEPNSP_ISK_E10value_typeEPSL_NS1_7vsmem_tEENKUlT_SJ_SK_SL_E_clISE_PxSF_SF_EESI_SY_SJ_SK_SL_EUlSY_E1_NS1_11comp_targetILNS1_3genE0ELNS1_11target_archE4294967295ELNS1_3gpuE0ELNS1_3repE0EEENS1_36merge_oddeven_config_static_selectorELNS0_4arch9wavefront6targetE1EEEvSK_ ; -- Begin function _ZN7rocprim17ROCPRIM_400000_NS6detail17trampoline_kernelINS0_14default_configENS1_38merge_sort_block_merge_config_selectorIxNS0_10empty_typeEEEZZNS1_27merge_sort_block_merge_implIS3_N6thrust23THRUST_200600_302600_NS6detail15normal_iteratorINS9_10device_ptrIxEEEEPS5_m14custom_greaterIxEEE10hipError_tT0_T1_T2_jT3_P12ihipStream_tbPNSt15iterator_traitsISJ_E10value_typeEPNSP_ISK_E10value_typeEPSL_NS1_7vsmem_tEENKUlT_SJ_SK_SL_E_clISE_PxSF_SF_EESI_SY_SJ_SK_SL_EUlSY_E1_NS1_11comp_targetILNS1_3genE0ELNS1_11target_archE4294967295ELNS1_3gpuE0ELNS1_3repE0EEENS1_36merge_oddeven_config_static_selectorELNS0_4arch9wavefront6targetE1EEEvSK_
	.globl	_ZN7rocprim17ROCPRIM_400000_NS6detail17trampoline_kernelINS0_14default_configENS1_38merge_sort_block_merge_config_selectorIxNS0_10empty_typeEEEZZNS1_27merge_sort_block_merge_implIS3_N6thrust23THRUST_200600_302600_NS6detail15normal_iteratorINS9_10device_ptrIxEEEEPS5_m14custom_greaterIxEEE10hipError_tT0_T1_T2_jT3_P12ihipStream_tbPNSt15iterator_traitsISJ_E10value_typeEPNSP_ISK_E10value_typeEPSL_NS1_7vsmem_tEENKUlT_SJ_SK_SL_E_clISE_PxSF_SF_EESI_SY_SJ_SK_SL_EUlSY_E1_NS1_11comp_targetILNS1_3genE0ELNS1_11target_archE4294967295ELNS1_3gpuE0ELNS1_3repE0EEENS1_36merge_oddeven_config_static_selectorELNS0_4arch9wavefront6targetE1EEEvSK_
	.p2align	8
	.type	_ZN7rocprim17ROCPRIM_400000_NS6detail17trampoline_kernelINS0_14default_configENS1_38merge_sort_block_merge_config_selectorIxNS0_10empty_typeEEEZZNS1_27merge_sort_block_merge_implIS3_N6thrust23THRUST_200600_302600_NS6detail15normal_iteratorINS9_10device_ptrIxEEEEPS5_m14custom_greaterIxEEE10hipError_tT0_T1_T2_jT3_P12ihipStream_tbPNSt15iterator_traitsISJ_E10value_typeEPNSP_ISK_E10value_typeEPSL_NS1_7vsmem_tEENKUlT_SJ_SK_SL_E_clISE_PxSF_SF_EESI_SY_SJ_SK_SL_EUlSY_E1_NS1_11comp_targetILNS1_3genE0ELNS1_11target_archE4294967295ELNS1_3gpuE0ELNS1_3repE0EEENS1_36merge_oddeven_config_static_selectorELNS0_4arch9wavefront6targetE1EEEvSK_,@function
_ZN7rocprim17ROCPRIM_400000_NS6detail17trampoline_kernelINS0_14default_configENS1_38merge_sort_block_merge_config_selectorIxNS0_10empty_typeEEEZZNS1_27merge_sort_block_merge_implIS3_N6thrust23THRUST_200600_302600_NS6detail15normal_iteratorINS9_10device_ptrIxEEEEPS5_m14custom_greaterIxEEE10hipError_tT0_T1_T2_jT3_P12ihipStream_tbPNSt15iterator_traitsISJ_E10value_typeEPNSP_ISK_E10value_typeEPSL_NS1_7vsmem_tEENKUlT_SJ_SK_SL_E_clISE_PxSF_SF_EESI_SY_SJ_SK_SL_EUlSY_E1_NS1_11comp_targetILNS1_3genE0ELNS1_11target_archE4294967295ELNS1_3gpuE0ELNS1_3repE0EEENS1_36merge_oddeven_config_static_selectorELNS0_4arch9wavefront6targetE1EEEvSK_: ; @_ZN7rocprim17ROCPRIM_400000_NS6detail17trampoline_kernelINS0_14default_configENS1_38merge_sort_block_merge_config_selectorIxNS0_10empty_typeEEEZZNS1_27merge_sort_block_merge_implIS3_N6thrust23THRUST_200600_302600_NS6detail15normal_iteratorINS9_10device_ptrIxEEEEPS5_m14custom_greaterIxEEE10hipError_tT0_T1_T2_jT3_P12ihipStream_tbPNSt15iterator_traitsISJ_E10value_typeEPNSP_ISK_E10value_typeEPSL_NS1_7vsmem_tEENKUlT_SJ_SK_SL_E_clISE_PxSF_SF_EESI_SY_SJ_SK_SL_EUlSY_E1_NS1_11comp_targetILNS1_3genE0ELNS1_11target_archE4294967295ELNS1_3gpuE0ELNS1_3repE0EEENS1_36merge_oddeven_config_static_selectorELNS0_4arch9wavefront6targetE1EEEvSK_
; %bb.0:
	.section	.rodata,"a",@progbits
	.p2align	6, 0x0
	.amdhsa_kernel _ZN7rocprim17ROCPRIM_400000_NS6detail17trampoline_kernelINS0_14default_configENS1_38merge_sort_block_merge_config_selectorIxNS0_10empty_typeEEEZZNS1_27merge_sort_block_merge_implIS3_N6thrust23THRUST_200600_302600_NS6detail15normal_iteratorINS9_10device_ptrIxEEEEPS5_m14custom_greaterIxEEE10hipError_tT0_T1_T2_jT3_P12ihipStream_tbPNSt15iterator_traitsISJ_E10value_typeEPNSP_ISK_E10value_typeEPSL_NS1_7vsmem_tEENKUlT_SJ_SK_SL_E_clISE_PxSF_SF_EESI_SY_SJ_SK_SL_EUlSY_E1_NS1_11comp_targetILNS1_3genE0ELNS1_11target_archE4294967295ELNS1_3gpuE0ELNS1_3repE0EEENS1_36merge_oddeven_config_static_selectorELNS0_4arch9wavefront6targetE1EEEvSK_
		.amdhsa_group_segment_fixed_size 0
		.amdhsa_private_segment_fixed_size 0
		.amdhsa_kernarg_size 56
		.amdhsa_user_sgpr_count 6
		.amdhsa_user_sgpr_private_segment_buffer 1
		.amdhsa_user_sgpr_dispatch_ptr 0
		.amdhsa_user_sgpr_queue_ptr 0
		.amdhsa_user_sgpr_kernarg_segment_ptr 1
		.amdhsa_user_sgpr_dispatch_id 0
		.amdhsa_user_sgpr_flat_scratch_init 0
		.amdhsa_user_sgpr_kernarg_preload_length 0
		.amdhsa_user_sgpr_kernarg_preload_offset 0
		.amdhsa_user_sgpr_private_segment_size 0
		.amdhsa_uses_dynamic_stack 0
		.amdhsa_system_sgpr_private_segment_wavefront_offset 0
		.amdhsa_system_sgpr_workgroup_id_x 1
		.amdhsa_system_sgpr_workgroup_id_y 0
		.amdhsa_system_sgpr_workgroup_id_z 0
		.amdhsa_system_sgpr_workgroup_info 0
		.amdhsa_system_vgpr_workitem_id 0
		.amdhsa_next_free_vgpr 1
		.amdhsa_next_free_sgpr 0
		.amdhsa_accum_offset 4
		.amdhsa_reserve_vcc 0
		.amdhsa_reserve_flat_scratch 0
		.amdhsa_float_round_mode_32 0
		.amdhsa_float_round_mode_16_64 0
		.amdhsa_float_denorm_mode_32 3
		.amdhsa_float_denorm_mode_16_64 3
		.amdhsa_dx10_clamp 1
		.amdhsa_ieee_mode 1
		.amdhsa_fp16_overflow 0
		.amdhsa_tg_split 0
		.amdhsa_exception_fp_ieee_invalid_op 0
		.amdhsa_exception_fp_denorm_src 0
		.amdhsa_exception_fp_ieee_div_zero 0
		.amdhsa_exception_fp_ieee_overflow 0
		.amdhsa_exception_fp_ieee_underflow 0
		.amdhsa_exception_fp_ieee_inexact 0
		.amdhsa_exception_int_div_zero 0
	.end_amdhsa_kernel
	.section	.text._ZN7rocprim17ROCPRIM_400000_NS6detail17trampoline_kernelINS0_14default_configENS1_38merge_sort_block_merge_config_selectorIxNS0_10empty_typeEEEZZNS1_27merge_sort_block_merge_implIS3_N6thrust23THRUST_200600_302600_NS6detail15normal_iteratorINS9_10device_ptrIxEEEEPS5_m14custom_greaterIxEEE10hipError_tT0_T1_T2_jT3_P12ihipStream_tbPNSt15iterator_traitsISJ_E10value_typeEPNSP_ISK_E10value_typeEPSL_NS1_7vsmem_tEENKUlT_SJ_SK_SL_E_clISE_PxSF_SF_EESI_SY_SJ_SK_SL_EUlSY_E1_NS1_11comp_targetILNS1_3genE0ELNS1_11target_archE4294967295ELNS1_3gpuE0ELNS1_3repE0EEENS1_36merge_oddeven_config_static_selectorELNS0_4arch9wavefront6targetE1EEEvSK_,"axG",@progbits,_ZN7rocprim17ROCPRIM_400000_NS6detail17trampoline_kernelINS0_14default_configENS1_38merge_sort_block_merge_config_selectorIxNS0_10empty_typeEEEZZNS1_27merge_sort_block_merge_implIS3_N6thrust23THRUST_200600_302600_NS6detail15normal_iteratorINS9_10device_ptrIxEEEEPS5_m14custom_greaterIxEEE10hipError_tT0_T1_T2_jT3_P12ihipStream_tbPNSt15iterator_traitsISJ_E10value_typeEPNSP_ISK_E10value_typeEPSL_NS1_7vsmem_tEENKUlT_SJ_SK_SL_E_clISE_PxSF_SF_EESI_SY_SJ_SK_SL_EUlSY_E1_NS1_11comp_targetILNS1_3genE0ELNS1_11target_archE4294967295ELNS1_3gpuE0ELNS1_3repE0EEENS1_36merge_oddeven_config_static_selectorELNS0_4arch9wavefront6targetE1EEEvSK_,comdat
.Lfunc_end3428:
	.size	_ZN7rocprim17ROCPRIM_400000_NS6detail17trampoline_kernelINS0_14default_configENS1_38merge_sort_block_merge_config_selectorIxNS0_10empty_typeEEEZZNS1_27merge_sort_block_merge_implIS3_N6thrust23THRUST_200600_302600_NS6detail15normal_iteratorINS9_10device_ptrIxEEEEPS5_m14custom_greaterIxEEE10hipError_tT0_T1_T2_jT3_P12ihipStream_tbPNSt15iterator_traitsISJ_E10value_typeEPNSP_ISK_E10value_typeEPSL_NS1_7vsmem_tEENKUlT_SJ_SK_SL_E_clISE_PxSF_SF_EESI_SY_SJ_SK_SL_EUlSY_E1_NS1_11comp_targetILNS1_3genE0ELNS1_11target_archE4294967295ELNS1_3gpuE0ELNS1_3repE0EEENS1_36merge_oddeven_config_static_selectorELNS0_4arch9wavefront6targetE1EEEvSK_, .Lfunc_end3428-_ZN7rocprim17ROCPRIM_400000_NS6detail17trampoline_kernelINS0_14default_configENS1_38merge_sort_block_merge_config_selectorIxNS0_10empty_typeEEEZZNS1_27merge_sort_block_merge_implIS3_N6thrust23THRUST_200600_302600_NS6detail15normal_iteratorINS9_10device_ptrIxEEEEPS5_m14custom_greaterIxEEE10hipError_tT0_T1_T2_jT3_P12ihipStream_tbPNSt15iterator_traitsISJ_E10value_typeEPNSP_ISK_E10value_typeEPSL_NS1_7vsmem_tEENKUlT_SJ_SK_SL_E_clISE_PxSF_SF_EESI_SY_SJ_SK_SL_EUlSY_E1_NS1_11comp_targetILNS1_3genE0ELNS1_11target_archE4294967295ELNS1_3gpuE0ELNS1_3repE0EEENS1_36merge_oddeven_config_static_selectorELNS0_4arch9wavefront6targetE1EEEvSK_
                                        ; -- End function
	.section	.AMDGPU.csdata,"",@progbits
; Kernel info:
; codeLenInByte = 0
; NumSgprs: 4
; NumVgprs: 0
; NumAgprs: 0
; TotalNumVgprs: 0
; ScratchSize: 0
; MemoryBound: 0
; FloatMode: 240
; IeeeMode: 1
; LDSByteSize: 0 bytes/workgroup (compile time only)
; SGPRBlocks: 0
; VGPRBlocks: 0
; NumSGPRsForWavesPerEU: 4
; NumVGPRsForWavesPerEU: 1
; AccumOffset: 4
; Occupancy: 8
; WaveLimiterHint : 0
; COMPUTE_PGM_RSRC2:SCRATCH_EN: 0
; COMPUTE_PGM_RSRC2:USER_SGPR: 6
; COMPUTE_PGM_RSRC2:TRAP_HANDLER: 0
; COMPUTE_PGM_RSRC2:TGID_X_EN: 1
; COMPUTE_PGM_RSRC2:TGID_Y_EN: 0
; COMPUTE_PGM_RSRC2:TGID_Z_EN: 0
; COMPUTE_PGM_RSRC2:TIDIG_COMP_CNT: 0
; COMPUTE_PGM_RSRC3_GFX90A:ACCUM_OFFSET: 0
; COMPUTE_PGM_RSRC3_GFX90A:TG_SPLIT: 0
	.section	.text._ZN7rocprim17ROCPRIM_400000_NS6detail17trampoline_kernelINS0_14default_configENS1_38merge_sort_block_merge_config_selectorIxNS0_10empty_typeEEEZZNS1_27merge_sort_block_merge_implIS3_N6thrust23THRUST_200600_302600_NS6detail15normal_iteratorINS9_10device_ptrIxEEEEPS5_m14custom_greaterIxEEE10hipError_tT0_T1_T2_jT3_P12ihipStream_tbPNSt15iterator_traitsISJ_E10value_typeEPNSP_ISK_E10value_typeEPSL_NS1_7vsmem_tEENKUlT_SJ_SK_SL_E_clISE_PxSF_SF_EESI_SY_SJ_SK_SL_EUlSY_E1_NS1_11comp_targetILNS1_3genE10ELNS1_11target_archE1201ELNS1_3gpuE5ELNS1_3repE0EEENS1_36merge_oddeven_config_static_selectorELNS0_4arch9wavefront6targetE1EEEvSK_,"axG",@progbits,_ZN7rocprim17ROCPRIM_400000_NS6detail17trampoline_kernelINS0_14default_configENS1_38merge_sort_block_merge_config_selectorIxNS0_10empty_typeEEEZZNS1_27merge_sort_block_merge_implIS3_N6thrust23THRUST_200600_302600_NS6detail15normal_iteratorINS9_10device_ptrIxEEEEPS5_m14custom_greaterIxEEE10hipError_tT0_T1_T2_jT3_P12ihipStream_tbPNSt15iterator_traitsISJ_E10value_typeEPNSP_ISK_E10value_typeEPSL_NS1_7vsmem_tEENKUlT_SJ_SK_SL_E_clISE_PxSF_SF_EESI_SY_SJ_SK_SL_EUlSY_E1_NS1_11comp_targetILNS1_3genE10ELNS1_11target_archE1201ELNS1_3gpuE5ELNS1_3repE0EEENS1_36merge_oddeven_config_static_selectorELNS0_4arch9wavefront6targetE1EEEvSK_,comdat
	.protected	_ZN7rocprim17ROCPRIM_400000_NS6detail17trampoline_kernelINS0_14default_configENS1_38merge_sort_block_merge_config_selectorIxNS0_10empty_typeEEEZZNS1_27merge_sort_block_merge_implIS3_N6thrust23THRUST_200600_302600_NS6detail15normal_iteratorINS9_10device_ptrIxEEEEPS5_m14custom_greaterIxEEE10hipError_tT0_T1_T2_jT3_P12ihipStream_tbPNSt15iterator_traitsISJ_E10value_typeEPNSP_ISK_E10value_typeEPSL_NS1_7vsmem_tEENKUlT_SJ_SK_SL_E_clISE_PxSF_SF_EESI_SY_SJ_SK_SL_EUlSY_E1_NS1_11comp_targetILNS1_3genE10ELNS1_11target_archE1201ELNS1_3gpuE5ELNS1_3repE0EEENS1_36merge_oddeven_config_static_selectorELNS0_4arch9wavefront6targetE1EEEvSK_ ; -- Begin function _ZN7rocprim17ROCPRIM_400000_NS6detail17trampoline_kernelINS0_14default_configENS1_38merge_sort_block_merge_config_selectorIxNS0_10empty_typeEEEZZNS1_27merge_sort_block_merge_implIS3_N6thrust23THRUST_200600_302600_NS6detail15normal_iteratorINS9_10device_ptrIxEEEEPS5_m14custom_greaterIxEEE10hipError_tT0_T1_T2_jT3_P12ihipStream_tbPNSt15iterator_traitsISJ_E10value_typeEPNSP_ISK_E10value_typeEPSL_NS1_7vsmem_tEENKUlT_SJ_SK_SL_E_clISE_PxSF_SF_EESI_SY_SJ_SK_SL_EUlSY_E1_NS1_11comp_targetILNS1_3genE10ELNS1_11target_archE1201ELNS1_3gpuE5ELNS1_3repE0EEENS1_36merge_oddeven_config_static_selectorELNS0_4arch9wavefront6targetE1EEEvSK_
	.globl	_ZN7rocprim17ROCPRIM_400000_NS6detail17trampoline_kernelINS0_14default_configENS1_38merge_sort_block_merge_config_selectorIxNS0_10empty_typeEEEZZNS1_27merge_sort_block_merge_implIS3_N6thrust23THRUST_200600_302600_NS6detail15normal_iteratorINS9_10device_ptrIxEEEEPS5_m14custom_greaterIxEEE10hipError_tT0_T1_T2_jT3_P12ihipStream_tbPNSt15iterator_traitsISJ_E10value_typeEPNSP_ISK_E10value_typeEPSL_NS1_7vsmem_tEENKUlT_SJ_SK_SL_E_clISE_PxSF_SF_EESI_SY_SJ_SK_SL_EUlSY_E1_NS1_11comp_targetILNS1_3genE10ELNS1_11target_archE1201ELNS1_3gpuE5ELNS1_3repE0EEENS1_36merge_oddeven_config_static_selectorELNS0_4arch9wavefront6targetE1EEEvSK_
	.p2align	8
	.type	_ZN7rocprim17ROCPRIM_400000_NS6detail17trampoline_kernelINS0_14default_configENS1_38merge_sort_block_merge_config_selectorIxNS0_10empty_typeEEEZZNS1_27merge_sort_block_merge_implIS3_N6thrust23THRUST_200600_302600_NS6detail15normal_iteratorINS9_10device_ptrIxEEEEPS5_m14custom_greaterIxEEE10hipError_tT0_T1_T2_jT3_P12ihipStream_tbPNSt15iterator_traitsISJ_E10value_typeEPNSP_ISK_E10value_typeEPSL_NS1_7vsmem_tEENKUlT_SJ_SK_SL_E_clISE_PxSF_SF_EESI_SY_SJ_SK_SL_EUlSY_E1_NS1_11comp_targetILNS1_3genE10ELNS1_11target_archE1201ELNS1_3gpuE5ELNS1_3repE0EEENS1_36merge_oddeven_config_static_selectorELNS0_4arch9wavefront6targetE1EEEvSK_,@function
_ZN7rocprim17ROCPRIM_400000_NS6detail17trampoline_kernelINS0_14default_configENS1_38merge_sort_block_merge_config_selectorIxNS0_10empty_typeEEEZZNS1_27merge_sort_block_merge_implIS3_N6thrust23THRUST_200600_302600_NS6detail15normal_iteratorINS9_10device_ptrIxEEEEPS5_m14custom_greaterIxEEE10hipError_tT0_T1_T2_jT3_P12ihipStream_tbPNSt15iterator_traitsISJ_E10value_typeEPNSP_ISK_E10value_typeEPSL_NS1_7vsmem_tEENKUlT_SJ_SK_SL_E_clISE_PxSF_SF_EESI_SY_SJ_SK_SL_EUlSY_E1_NS1_11comp_targetILNS1_3genE10ELNS1_11target_archE1201ELNS1_3gpuE5ELNS1_3repE0EEENS1_36merge_oddeven_config_static_selectorELNS0_4arch9wavefront6targetE1EEEvSK_: ; @_ZN7rocprim17ROCPRIM_400000_NS6detail17trampoline_kernelINS0_14default_configENS1_38merge_sort_block_merge_config_selectorIxNS0_10empty_typeEEEZZNS1_27merge_sort_block_merge_implIS3_N6thrust23THRUST_200600_302600_NS6detail15normal_iteratorINS9_10device_ptrIxEEEEPS5_m14custom_greaterIxEEE10hipError_tT0_T1_T2_jT3_P12ihipStream_tbPNSt15iterator_traitsISJ_E10value_typeEPNSP_ISK_E10value_typeEPSL_NS1_7vsmem_tEENKUlT_SJ_SK_SL_E_clISE_PxSF_SF_EESI_SY_SJ_SK_SL_EUlSY_E1_NS1_11comp_targetILNS1_3genE10ELNS1_11target_archE1201ELNS1_3gpuE5ELNS1_3repE0EEENS1_36merge_oddeven_config_static_selectorELNS0_4arch9wavefront6targetE1EEEvSK_
; %bb.0:
	.section	.rodata,"a",@progbits
	.p2align	6, 0x0
	.amdhsa_kernel _ZN7rocprim17ROCPRIM_400000_NS6detail17trampoline_kernelINS0_14default_configENS1_38merge_sort_block_merge_config_selectorIxNS0_10empty_typeEEEZZNS1_27merge_sort_block_merge_implIS3_N6thrust23THRUST_200600_302600_NS6detail15normal_iteratorINS9_10device_ptrIxEEEEPS5_m14custom_greaterIxEEE10hipError_tT0_T1_T2_jT3_P12ihipStream_tbPNSt15iterator_traitsISJ_E10value_typeEPNSP_ISK_E10value_typeEPSL_NS1_7vsmem_tEENKUlT_SJ_SK_SL_E_clISE_PxSF_SF_EESI_SY_SJ_SK_SL_EUlSY_E1_NS1_11comp_targetILNS1_3genE10ELNS1_11target_archE1201ELNS1_3gpuE5ELNS1_3repE0EEENS1_36merge_oddeven_config_static_selectorELNS0_4arch9wavefront6targetE1EEEvSK_
		.amdhsa_group_segment_fixed_size 0
		.amdhsa_private_segment_fixed_size 0
		.amdhsa_kernarg_size 56
		.amdhsa_user_sgpr_count 6
		.amdhsa_user_sgpr_private_segment_buffer 1
		.amdhsa_user_sgpr_dispatch_ptr 0
		.amdhsa_user_sgpr_queue_ptr 0
		.amdhsa_user_sgpr_kernarg_segment_ptr 1
		.amdhsa_user_sgpr_dispatch_id 0
		.amdhsa_user_sgpr_flat_scratch_init 0
		.amdhsa_user_sgpr_kernarg_preload_length 0
		.amdhsa_user_sgpr_kernarg_preload_offset 0
		.amdhsa_user_sgpr_private_segment_size 0
		.amdhsa_uses_dynamic_stack 0
		.amdhsa_system_sgpr_private_segment_wavefront_offset 0
		.amdhsa_system_sgpr_workgroup_id_x 1
		.amdhsa_system_sgpr_workgroup_id_y 0
		.amdhsa_system_sgpr_workgroup_id_z 0
		.amdhsa_system_sgpr_workgroup_info 0
		.amdhsa_system_vgpr_workitem_id 0
		.amdhsa_next_free_vgpr 1
		.amdhsa_next_free_sgpr 0
		.amdhsa_accum_offset 4
		.amdhsa_reserve_vcc 0
		.amdhsa_reserve_flat_scratch 0
		.amdhsa_float_round_mode_32 0
		.amdhsa_float_round_mode_16_64 0
		.amdhsa_float_denorm_mode_32 3
		.amdhsa_float_denorm_mode_16_64 3
		.amdhsa_dx10_clamp 1
		.amdhsa_ieee_mode 1
		.amdhsa_fp16_overflow 0
		.amdhsa_tg_split 0
		.amdhsa_exception_fp_ieee_invalid_op 0
		.amdhsa_exception_fp_denorm_src 0
		.amdhsa_exception_fp_ieee_div_zero 0
		.amdhsa_exception_fp_ieee_overflow 0
		.amdhsa_exception_fp_ieee_underflow 0
		.amdhsa_exception_fp_ieee_inexact 0
		.amdhsa_exception_int_div_zero 0
	.end_amdhsa_kernel
	.section	.text._ZN7rocprim17ROCPRIM_400000_NS6detail17trampoline_kernelINS0_14default_configENS1_38merge_sort_block_merge_config_selectorIxNS0_10empty_typeEEEZZNS1_27merge_sort_block_merge_implIS3_N6thrust23THRUST_200600_302600_NS6detail15normal_iteratorINS9_10device_ptrIxEEEEPS5_m14custom_greaterIxEEE10hipError_tT0_T1_T2_jT3_P12ihipStream_tbPNSt15iterator_traitsISJ_E10value_typeEPNSP_ISK_E10value_typeEPSL_NS1_7vsmem_tEENKUlT_SJ_SK_SL_E_clISE_PxSF_SF_EESI_SY_SJ_SK_SL_EUlSY_E1_NS1_11comp_targetILNS1_3genE10ELNS1_11target_archE1201ELNS1_3gpuE5ELNS1_3repE0EEENS1_36merge_oddeven_config_static_selectorELNS0_4arch9wavefront6targetE1EEEvSK_,"axG",@progbits,_ZN7rocprim17ROCPRIM_400000_NS6detail17trampoline_kernelINS0_14default_configENS1_38merge_sort_block_merge_config_selectorIxNS0_10empty_typeEEEZZNS1_27merge_sort_block_merge_implIS3_N6thrust23THRUST_200600_302600_NS6detail15normal_iteratorINS9_10device_ptrIxEEEEPS5_m14custom_greaterIxEEE10hipError_tT0_T1_T2_jT3_P12ihipStream_tbPNSt15iterator_traitsISJ_E10value_typeEPNSP_ISK_E10value_typeEPSL_NS1_7vsmem_tEENKUlT_SJ_SK_SL_E_clISE_PxSF_SF_EESI_SY_SJ_SK_SL_EUlSY_E1_NS1_11comp_targetILNS1_3genE10ELNS1_11target_archE1201ELNS1_3gpuE5ELNS1_3repE0EEENS1_36merge_oddeven_config_static_selectorELNS0_4arch9wavefront6targetE1EEEvSK_,comdat
.Lfunc_end3429:
	.size	_ZN7rocprim17ROCPRIM_400000_NS6detail17trampoline_kernelINS0_14default_configENS1_38merge_sort_block_merge_config_selectorIxNS0_10empty_typeEEEZZNS1_27merge_sort_block_merge_implIS3_N6thrust23THRUST_200600_302600_NS6detail15normal_iteratorINS9_10device_ptrIxEEEEPS5_m14custom_greaterIxEEE10hipError_tT0_T1_T2_jT3_P12ihipStream_tbPNSt15iterator_traitsISJ_E10value_typeEPNSP_ISK_E10value_typeEPSL_NS1_7vsmem_tEENKUlT_SJ_SK_SL_E_clISE_PxSF_SF_EESI_SY_SJ_SK_SL_EUlSY_E1_NS1_11comp_targetILNS1_3genE10ELNS1_11target_archE1201ELNS1_3gpuE5ELNS1_3repE0EEENS1_36merge_oddeven_config_static_selectorELNS0_4arch9wavefront6targetE1EEEvSK_, .Lfunc_end3429-_ZN7rocprim17ROCPRIM_400000_NS6detail17trampoline_kernelINS0_14default_configENS1_38merge_sort_block_merge_config_selectorIxNS0_10empty_typeEEEZZNS1_27merge_sort_block_merge_implIS3_N6thrust23THRUST_200600_302600_NS6detail15normal_iteratorINS9_10device_ptrIxEEEEPS5_m14custom_greaterIxEEE10hipError_tT0_T1_T2_jT3_P12ihipStream_tbPNSt15iterator_traitsISJ_E10value_typeEPNSP_ISK_E10value_typeEPSL_NS1_7vsmem_tEENKUlT_SJ_SK_SL_E_clISE_PxSF_SF_EESI_SY_SJ_SK_SL_EUlSY_E1_NS1_11comp_targetILNS1_3genE10ELNS1_11target_archE1201ELNS1_3gpuE5ELNS1_3repE0EEENS1_36merge_oddeven_config_static_selectorELNS0_4arch9wavefront6targetE1EEEvSK_
                                        ; -- End function
	.section	.AMDGPU.csdata,"",@progbits
; Kernel info:
; codeLenInByte = 0
; NumSgprs: 4
; NumVgprs: 0
; NumAgprs: 0
; TotalNumVgprs: 0
; ScratchSize: 0
; MemoryBound: 0
; FloatMode: 240
; IeeeMode: 1
; LDSByteSize: 0 bytes/workgroup (compile time only)
; SGPRBlocks: 0
; VGPRBlocks: 0
; NumSGPRsForWavesPerEU: 4
; NumVGPRsForWavesPerEU: 1
; AccumOffset: 4
; Occupancy: 8
; WaveLimiterHint : 0
; COMPUTE_PGM_RSRC2:SCRATCH_EN: 0
; COMPUTE_PGM_RSRC2:USER_SGPR: 6
; COMPUTE_PGM_RSRC2:TRAP_HANDLER: 0
; COMPUTE_PGM_RSRC2:TGID_X_EN: 1
; COMPUTE_PGM_RSRC2:TGID_Y_EN: 0
; COMPUTE_PGM_RSRC2:TGID_Z_EN: 0
; COMPUTE_PGM_RSRC2:TIDIG_COMP_CNT: 0
; COMPUTE_PGM_RSRC3_GFX90A:ACCUM_OFFSET: 0
; COMPUTE_PGM_RSRC3_GFX90A:TG_SPLIT: 0
	.section	.text._ZN7rocprim17ROCPRIM_400000_NS6detail17trampoline_kernelINS0_14default_configENS1_38merge_sort_block_merge_config_selectorIxNS0_10empty_typeEEEZZNS1_27merge_sort_block_merge_implIS3_N6thrust23THRUST_200600_302600_NS6detail15normal_iteratorINS9_10device_ptrIxEEEEPS5_m14custom_greaterIxEEE10hipError_tT0_T1_T2_jT3_P12ihipStream_tbPNSt15iterator_traitsISJ_E10value_typeEPNSP_ISK_E10value_typeEPSL_NS1_7vsmem_tEENKUlT_SJ_SK_SL_E_clISE_PxSF_SF_EESI_SY_SJ_SK_SL_EUlSY_E1_NS1_11comp_targetILNS1_3genE5ELNS1_11target_archE942ELNS1_3gpuE9ELNS1_3repE0EEENS1_36merge_oddeven_config_static_selectorELNS0_4arch9wavefront6targetE1EEEvSK_,"axG",@progbits,_ZN7rocprim17ROCPRIM_400000_NS6detail17trampoline_kernelINS0_14default_configENS1_38merge_sort_block_merge_config_selectorIxNS0_10empty_typeEEEZZNS1_27merge_sort_block_merge_implIS3_N6thrust23THRUST_200600_302600_NS6detail15normal_iteratorINS9_10device_ptrIxEEEEPS5_m14custom_greaterIxEEE10hipError_tT0_T1_T2_jT3_P12ihipStream_tbPNSt15iterator_traitsISJ_E10value_typeEPNSP_ISK_E10value_typeEPSL_NS1_7vsmem_tEENKUlT_SJ_SK_SL_E_clISE_PxSF_SF_EESI_SY_SJ_SK_SL_EUlSY_E1_NS1_11comp_targetILNS1_3genE5ELNS1_11target_archE942ELNS1_3gpuE9ELNS1_3repE0EEENS1_36merge_oddeven_config_static_selectorELNS0_4arch9wavefront6targetE1EEEvSK_,comdat
	.protected	_ZN7rocprim17ROCPRIM_400000_NS6detail17trampoline_kernelINS0_14default_configENS1_38merge_sort_block_merge_config_selectorIxNS0_10empty_typeEEEZZNS1_27merge_sort_block_merge_implIS3_N6thrust23THRUST_200600_302600_NS6detail15normal_iteratorINS9_10device_ptrIxEEEEPS5_m14custom_greaterIxEEE10hipError_tT0_T1_T2_jT3_P12ihipStream_tbPNSt15iterator_traitsISJ_E10value_typeEPNSP_ISK_E10value_typeEPSL_NS1_7vsmem_tEENKUlT_SJ_SK_SL_E_clISE_PxSF_SF_EESI_SY_SJ_SK_SL_EUlSY_E1_NS1_11comp_targetILNS1_3genE5ELNS1_11target_archE942ELNS1_3gpuE9ELNS1_3repE0EEENS1_36merge_oddeven_config_static_selectorELNS0_4arch9wavefront6targetE1EEEvSK_ ; -- Begin function _ZN7rocprim17ROCPRIM_400000_NS6detail17trampoline_kernelINS0_14default_configENS1_38merge_sort_block_merge_config_selectorIxNS0_10empty_typeEEEZZNS1_27merge_sort_block_merge_implIS3_N6thrust23THRUST_200600_302600_NS6detail15normal_iteratorINS9_10device_ptrIxEEEEPS5_m14custom_greaterIxEEE10hipError_tT0_T1_T2_jT3_P12ihipStream_tbPNSt15iterator_traitsISJ_E10value_typeEPNSP_ISK_E10value_typeEPSL_NS1_7vsmem_tEENKUlT_SJ_SK_SL_E_clISE_PxSF_SF_EESI_SY_SJ_SK_SL_EUlSY_E1_NS1_11comp_targetILNS1_3genE5ELNS1_11target_archE942ELNS1_3gpuE9ELNS1_3repE0EEENS1_36merge_oddeven_config_static_selectorELNS0_4arch9wavefront6targetE1EEEvSK_
	.globl	_ZN7rocprim17ROCPRIM_400000_NS6detail17trampoline_kernelINS0_14default_configENS1_38merge_sort_block_merge_config_selectorIxNS0_10empty_typeEEEZZNS1_27merge_sort_block_merge_implIS3_N6thrust23THRUST_200600_302600_NS6detail15normal_iteratorINS9_10device_ptrIxEEEEPS5_m14custom_greaterIxEEE10hipError_tT0_T1_T2_jT3_P12ihipStream_tbPNSt15iterator_traitsISJ_E10value_typeEPNSP_ISK_E10value_typeEPSL_NS1_7vsmem_tEENKUlT_SJ_SK_SL_E_clISE_PxSF_SF_EESI_SY_SJ_SK_SL_EUlSY_E1_NS1_11comp_targetILNS1_3genE5ELNS1_11target_archE942ELNS1_3gpuE9ELNS1_3repE0EEENS1_36merge_oddeven_config_static_selectorELNS0_4arch9wavefront6targetE1EEEvSK_
	.p2align	8
	.type	_ZN7rocprim17ROCPRIM_400000_NS6detail17trampoline_kernelINS0_14default_configENS1_38merge_sort_block_merge_config_selectorIxNS0_10empty_typeEEEZZNS1_27merge_sort_block_merge_implIS3_N6thrust23THRUST_200600_302600_NS6detail15normal_iteratorINS9_10device_ptrIxEEEEPS5_m14custom_greaterIxEEE10hipError_tT0_T1_T2_jT3_P12ihipStream_tbPNSt15iterator_traitsISJ_E10value_typeEPNSP_ISK_E10value_typeEPSL_NS1_7vsmem_tEENKUlT_SJ_SK_SL_E_clISE_PxSF_SF_EESI_SY_SJ_SK_SL_EUlSY_E1_NS1_11comp_targetILNS1_3genE5ELNS1_11target_archE942ELNS1_3gpuE9ELNS1_3repE0EEENS1_36merge_oddeven_config_static_selectorELNS0_4arch9wavefront6targetE1EEEvSK_,@function
_ZN7rocprim17ROCPRIM_400000_NS6detail17trampoline_kernelINS0_14default_configENS1_38merge_sort_block_merge_config_selectorIxNS0_10empty_typeEEEZZNS1_27merge_sort_block_merge_implIS3_N6thrust23THRUST_200600_302600_NS6detail15normal_iteratorINS9_10device_ptrIxEEEEPS5_m14custom_greaterIxEEE10hipError_tT0_T1_T2_jT3_P12ihipStream_tbPNSt15iterator_traitsISJ_E10value_typeEPNSP_ISK_E10value_typeEPSL_NS1_7vsmem_tEENKUlT_SJ_SK_SL_E_clISE_PxSF_SF_EESI_SY_SJ_SK_SL_EUlSY_E1_NS1_11comp_targetILNS1_3genE5ELNS1_11target_archE942ELNS1_3gpuE9ELNS1_3repE0EEENS1_36merge_oddeven_config_static_selectorELNS0_4arch9wavefront6targetE1EEEvSK_: ; @_ZN7rocprim17ROCPRIM_400000_NS6detail17trampoline_kernelINS0_14default_configENS1_38merge_sort_block_merge_config_selectorIxNS0_10empty_typeEEEZZNS1_27merge_sort_block_merge_implIS3_N6thrust23THRUST_200600_302600_NS6detail15normal_iteratorINS9_10device_ptrIxEEEEPS5_m14custom_greaterIxEEE10hipError_tT0_T1_T2_jT3_P12ihipStream_tbPNSt15iterator_traitsISJ_E10value_typeEPNSP_ISK_E10value_typeEPSL_NS1_7vsmem_tEENKUlT_SJ_SK_SL_E_clISE_PxSF_SF_EESI_SY_SJ_SK_SL_EUlSY_E1_NS1_11comp_targetILNS1_3genE5ELNS1_11target_archE942ELNS1_3gpuE9ELNS1_3repE0EEENS1_36merge_oddeven_config_static_selectorELNS0_4arch9wavefront6targetE1EEEvSK_
; %bb.0:
	.section	.rodata,"a",@progbits
	.p2align	6, 0x0
	.amdhsa_kernel _ZN7rocprim17ROCPRIM_400000_NS6detail17trampoline_kernelINS0_14default_configENS1_38merge_sort_block_merge_config_selectorIxNS0_10empty_typeEEEZZNS1_27merge_sort_block_merge_implIS3_N6thrust23THRUST_200600_302600_NS6detail15normal_iteratorINS9_10device_ptrIxEEEEPS5_m14custom_greaterIxEEE10hipError_tT0_T1_T2_jT3_P12ihipStream_tbPNSt15iterator_traitsISJ_E10value_typeEPNSP_ISK_E10value_typeEPSL_NS1_7vsmem_tEENKUlT_SJ_SK_SL_E_clISE_PxSF_SF_EESI_SY_SJ_SK_SL_EUlSY_E1_NS1_11comp_targetILNS1_3genE5ELNS1_11target_archE942ELNS1_3gpuE9ELNS1_3repE0EEENS1_36merge_oddeven_config_static_selectorELNS0_4arch9wavefront6targetE1EEEvSK_
		.amdhsa_group_segment_fixed_size 0
		.amdhsa_private_segment_fixed_size 0
		.amdhsa_kernarg_size 56
		.amdhsa_user_sgpr_count 6
		.amdhsa_user_sgpr_private_segment_buffer 1
		.amdhsa_user_sgpr_dispatch_ptr 0
		.amdhsa_user_sgpr_queue_ptr 0
		.amdhsa_user_sgpr_kernarg_segment_ptr 1
		.amdhsa_user_sgpr_dispatch_id 0
		.amdhsa_user_sgpr_flat_scratch_init 0
		.amdhsa_user_sgpr_kernarg_preload_length 0
		.amdhsa_user_sgpr_kernarg_preload_offset 0
		.amdhsa_user_sgpr_private_segment_size 0
		.amdhsa_uses_dynamic_stack 0
		.amdhsa_system_sgpr_private_segment_wavefront_offset 0
		.amdhsa_system_sgpr_workgroup_id_x 1
		.amdhsa_system_sgpr_workgroup_id_y 0
		.amdhsa_system_sgpr_workgroup_id_z 0
		.amdhsa_system_sgpr_workgroup_info 0
		.amdhsa_system_vgpr_workitem_id 0
		.amdhsa_next_free_vgpr 1
		.amdhsa_next_free_sgpr 0
		.amdhsa_accum_offset 4
		.amdhsa_reserve_vcc 0
		.amdhsa_reserve_flat_scratch 0
		.amdhsa_float_round_mode_32 0
		.amdhsa_float_round_mode_16_64 0
		.amdhsa_float_denorm_mode_32 3
		.amdhsa_float_denorm_mode_16_64 3
		.amdhsa_dx10_clamp 1
		.amdhsa_ieee_mode 1
		.amdhsa_fp16_overflow 0
		.amdhsa_tg_split 0
		.amdhsa_exception_fp_ieee_invalid_op 0
		.amdhsa_exception_fp_denorm_src 0
		.amdhsa_exception_fp_ieee_div_zero 0
		.amdhsa_exception_fp_ieee_overflow 0
		.amdhsa_exception_fp_ieee_underflow 0
		.amdhsa_exception_fp_ieee_inexact 0
		.amdhsa_exception_int_div_zero 0
	.end_amdhsa_kernel
	.section	.text._ZN7rocprim17ROCPRIM_400000_NS6detail17trampoline_kernelINS0_14default_configENS1_38merge_sort_block_merge_config_selectorIxNS0_10empty_typeEEEZZNS1_27merge_sort_block_merge_implIS3_N6thrust23THRUST_200600_302600_NS6detail15normal_iteratorINS9_10device_ptrIxEEEEPS5_m14custom_greaterIxEEE10hipError_tT0_T1_T2_jT3_P12ihipStream_tbPNSt15iterator_traitsISJ_E10value_typeEPNSP_ISK_E10value_typeEPSL_NS1_7vsmem_tEENKUlT_SJ_SK_SL_E_clISE_PxSF_SF_EESI_SY_SJ_SK_SL_EUlSY_E1_NS1_11comp_targetILNS1_3genE5ELNS1_11target_archE942ELNS1_3gpuE9ELNS1_3repE0EEENS1_36merge_oddeven_config_static_selectorELNS0_4arch9wavefront6targetE1EEEvSK_,"axG",@progbits,_ZN7rocprim17ROCPRIM_400000_NS6detail17trampoline_kernelINS0_14default_configENS1_38merge_sort_block_merge_config_selectorIxNS0_10empty_typeEEEZZNS1_27merge_sort_block_merge_implIS3_N6thrust23THRUST_200600_302600_NS6detail15normal_iteratorINS9_10device_ptrIxEEEEPS5_m14custom_greaterIxEEE10hipError_tT0_T1_T2_jT3_P12ihipStream_tbPNSt15iterator_traitsISJ_E10value_typeEPNSP_ISK_E10value_typeEPSL_NS1_7vsmem_tEENKUlT_SJ_SK_SL_E_clISE_PxSF_SF_EESI_SY_SJ_SK_SL_EUlSY_E1_NS1_11comp_targetILNS1_3genE5ELNS1_11target_archE942ELNS1_3gpuE9ELNS1_3repE0EEENS1_36merge_oddeven_config_static_selectorELNS0_4arch9wavefront6targetE1EEEvSK_,comdat
.Lfunc_end3430:
	.size	_ZN7rocprim17ROCPRIM_400000_NS6detail17trampoline_kernelINS0_14default_configENS1_38merge_sort_block_merge_config_selectorIxNS0_10empty_typeEEEZZNS1_27merge_sort_block_merge_implIS3_N6thrust23THRUST_200600_302600_NS6detail15normal_iteratorINS9_10device_ptrIxEEEEPS5_m14custom_greaterIxEEE10hipError_tT0_T1_T2_jT3_P12ihipStream_tbPNSt15iterator_traitsISJ_E10value_typeEPNSP_ISK_E10value_typeEPSL_NS1_7vsmem_tEENKUlT_SJ_SK_SL_E_clISE_PxSF_SF_EESI_SY_SJ_SK_SL_EUlSY_E1_NS1_11comp_targetILNS1_3genE5ELNS1_11target_archE942ELNS1_3gpuE9ELNS1_3repE0EEENS1_36merge_oddeven_config_static_selectorELNS0_4arch9wavefront6targetE1EEEvSK_, .Lfunc_end3430-_ZN7rocprim17ROCPRIM_400000_NS6detail17trampoline_kernelINS0_14default_configENS1_38merge_sort_block_merge_config_selectorIxNS0_10empty_typeEEEZZNS1_27merge_sort_block_merge_implIS3_N6thrust23THRUST_200600_302600_NS6detail15normal_iteratorINS9_10device_ptrIxEEEEPS5_m14custom_greaterIxEEE10hipError_tT0_T1_T2_jT3_P12ihipStream_tbPNSt15iterator_traitsISJ_E10value_typeEPNSP_ISK_E10value_typeEPSL_NS1_7vsmem_tEENKUlT_SJ_SK_SL_E_clISE_PxSF_SF_EESI_SY_SJ_SK_SL_EUlSY_E1_NS1_11comp_targetILNS1_3genE5ELNS1_11target_archE942ELNS1_3gpuE9ELNS1_3repE0EEENS1_36merge_oddeven_config_static_selectorELNS0_4arch9wavefront6targetE1EEEvSK_
                                        ; -- End function
	.section	.AMDGPU.csdata,"",@progbits
; Kernel info:
; codeLenInByte = 0
; NumSgprs: 4
; NumVgprs: 0
; NumAgprs: 0
; TotalNumVgprs: 0
; ScratchSize: 0
; MemoryBound: 0
; FloatMode: 240
; IeeeMode: 1
; LDSByteSize: 0 bytes/workgroup (compile time only)
; SGPRBlocks: 0
; VGPRBlocks: 0
; NumSGPRsForWavesPerEU: 4
; NumVGPRsForWavesPerEU: 1
; AccumOffset: 4
; Occupancy: 8
; WaveLimiterHint : 0
; COMPUTE_PGM_RSRC2:SCRATCH_EN: 0
; COMPUTE_PGM_RSRC2:USER_SGPR: 6
; COMPUTE_PGM_RSRC2:TRAP_HANDLER: 0
; COMPUTE_PGM_RSRC2:TGID_X_EN: 1
; COMPUTE_PGM_RSRC2:TGID_Y_EN: 0
; COMPUTE_PGM_RSRC2:TGID_Z_EN: 0
; COMPUTE_PGM_RSRC2:TIDIG_COMP_CNT: 0
; COMPUTE_PGM_RSRC3_GFX90A:ACCUM_OFFSET: 0
; COMPUTE_PGM_RSRC3_GFX90A:TG_SPLIT: 0
	.section	.text._ZN7rocprim17ROCPRIM_400000_NS6detail17trampoline_kernelINS0_14default_configENS1_38merge_sort_block_merge_config_selectorIxNS0_10empty_typeEEEZZNS1_27merge_sort_block_merge_implIS3_N6thrust23THRUST_200600_302600_NS6detail15normal_iteratorINS9_10device_ptrIxEEEEPS5_m14custom_greaterIxEEE10hipError_tT0_T1_T2_jT3_P12ihipStream_tbPNSt15iterator_traitsISJ_E10value_typeEPNSP_ISK_E10value_typeEPSL_NS1_7vsmem_tEENKUlT_SJ_SK_SL_E_clISE_PxSF_SF_EESI_SY_SJ_SK_SL_EUlSY_E1_NS1_11comp_targetILNS1_3genE4ELNS1_11target_archE910ELNS1_3gpuE8ELNS1_3repE0EEENS1_36merge_oddeven_config_static_selectorELNS0_4arch9wavefront6targetE1EEEvSK_,"axG",@progbits,_ZN7rocprim17ROCPRIM_400000_NS6detail17trampoline_kernelINS0_14default_configENS1_38merge_sort_block_merge_config_selectorIxNS0_10empty_typeEEEZZNS1_27merge_sort_block_merge_implIS3_N6thrust23THRUST_200600_302600_NS6detail15normal_iteratorINS9_10device_ptrIxEEEEPS5_m14custom_greaterIxEEE10hipError_tT0_T1_T2_jT3_P12ihipStream_tbPNSt15iterator_traitsISJ_E10value_typeEPNSP_ISK_E10value_typeEPSL_NS1_7vsmem_tEENKUlT_SJ_SK_SL_E_clISE_PxSF_SF_EESI_SY_SJ_SK_SL_EUlSY_E1_NS1_11comp_targetILNS1_3genE4ELNS1_11target_archE910ELNS1_3gpuE8ELNS1_3repE0EEENS1_36merge_oddeven_config_static_selectorELNS0_4arch9wavefront6targetE1EEEvSK_,comdat
	.protected	_ZN7rocprim17ROCPRIM_400000_NS6detail17trampoline_kernelINS0_14default_configENS1_38merge_sort_block_merge_config_selectorIxNS0_10empty_typeEEEZZNS1_27merge_sort_block_merge_implIS3_N6thrust23THRUST_200600_302600_NS6detail15normal_iteratorINS9_10device_ptrIxEEEEPS5_m14custom_greaterIxEEE10hipError_tT0_T1_T2_jT3_P12ihipStream_tbPNSt15iterator_traitsISJ_E10value_typeEPNSP_ISK_E10value_typeEPSL_NS1_7vsmem_tEENKUlT_SJ_SK_SL_E_clISE_PxSF_SF_EESI_SY_SJ_SK_SL_EUlSY_E1_NS1_11comp_targetILNS1_3genE4ELNS1_11target_archE910ELNS1_3gpuE8ELNS1_3repE0EEENS1_36merge_oddeven_config_static_selectorELNS0_4arch9wavefront6targetE1EEEvSK_ ; -- Begin function _ZN7rocprim17ROCPRIM_400000_NS6detail17trampoline_kernelINS0_14default_configENS1_38merge_sort_block_merge_config_selectorIxNS0_10empty_typeEEEZZNS1_27merge_sort_block_merge_implIS3_N6thrust23THRUST_200600_302600_NS6detail15normal_iteratorINS9_10device_ptrIxEEEEPS5_m14custom_greaterIxEEE10hipError_tT0_T1_T2_jT3_P12ihipStream_tbPNSt15iterator_traitsISJ_E10value_typeEPNSP_ISK_E10value_typeEPSL_NS1_7vsmem_tEENKUlT_SJ_SK_SL_E_clISE_PxSF_SF_EESI_SY_SJ_SK_SL_EUlSY_E1_NS1_11comp_targetILNS1_3genE4ELNS1_11target_archE910ELNS1_3gpuE8ELNS1_3repE0EEENS1_36merge_oddeven_config_static_selectorELNS0_4arch9wavefront6targetE1EEEvSK_
	.globl	_ZN7rocprim17ROCPRIM_400000_NS6detail17trampoline_kernelINS0_14default_configENS1_38merge_sort_block_merge_config_selectorIxNS0_10empty_typeEEEZZNS1_27merge_sort_block_merge_implIS3_N6thrust23THRUST_200600_302600_NS6detail15normal_iteratorINS9_10device_ptrIxEEEEPS5_m14custom_greaterIxEEE10hipError_tT0_T1_T2_jT3_P12ihipStream_tbPNSt15iterator_traitsISJ_E10value_typeEPNSP_ISK_E10value_typeEPSL_NS1_7vsmem_tEENKUlT_SJ_SK_SL_E_clISE_PxSF_SF_EESI_SY_SJ_SK_SL_EUlSY_E1_NS1_11comp_targetILNS1_3genE4ELNS1_11target_archE910ELNS1_3gpuE8ELNS1_3repE0EEENS1_36merge_oddeven_config_static_selectorELNS0_4arch9wavefront6targetE1EEEvSK_
	.p2align	8
	.type	_ZN7rocprim17ROCPRIM_400000_NS6detail17trampoline_kernelINS0_14default_configENS1_38merge_sort_block_merge_config_selectorIxNS0_10empty_typeEEEZZNS1_27merge_sort_block_merge_implIS3_N6thrust23THRUST_200600_302600_NS6detail15normal_iteratorINS9_10device_ptrIxEEEEPS5_m14custom_greaterIxEEE10hipError_tT0_T1_T2_jT3_P12ihipStream_tbPNSt15iterator_traitsISJ_E10value_typeEPNSP_ISK_E10value_typeEPSL_NS1_7vsmem_tEENKUlT_SJ_SK_SL_E_clISE_PxSF_SF_EESI_SY_SJ_SK_SL_EUlSY_E1_NS1_11comp_targetILNS1_3genE4ELNS1_11target_archE910ELNS1_3gpuE8ELNS1_3repE0EEENS1_36merge_oddeven_config_static_selectorELNS0_4arch9wavefront6targetE1EEEvSK_,@function
_ZN7rocprim17ROCPRIM_400000_NS6detail17trampoline_kernelINS0_14default_configENS1_38merge_sort_block_merge_config_selectorIxNS0_10empty_typeEEEZZNS1_27merge_sort_block_merge_implIS3_N6thrust23THRUST_200600_302600_NS6detail15normal_iteratorINS9_10device_ptrIxEEEEPS5_m14custom_greaterIxEEE10hipError_tT0_T1_T2_jT3_P12ihipStream_tbPNSt15iterator_traitsISJ_E10value_typeEPNSP_ISK_E10value_typeEPSL_NS1_7vsmem_tEENKUlT_SJ_SK_SL_E_clISE_PxSF_SF_EESI_SY_SJ_SK_SL_EUlSY_E1_NS1_11comp_targetILNS1_3genE4ELNS1_11target_archE910ELNS1_3gpuE8ELNS1_3repE0EEENS1_36merge_oddeven_config_static_selectorELNS0_4arch9wavefront6targetE1EEEvSK_: ; @_ZN7rocprim17ROCPRIM_400000_NS6detail17trampoline_kernelINS0_14default_configENS1_38merge_sort_block_merge_config_selectorIxNS0_10empty_typeEEEZZNS1_27merge_sort_block_merge_implIS3_N6thrust23THRUST_200600_302600_NS6detail15normal_iteratorINS9_10device_ptrIxEEEEPS5_m14custom_greaterIxEEE10hipError_tT0_T1_T2_jT3_P12ihipStream_tbPNSt15iterator_traitsISJ_E10value_typeEPNSP_ISK_E10value_typeEPSL_NS1_7vsmem_tEENKUlT_SJ_SK_SL_E_clISE_PxSF_SF_EESI_SY_SJ_SK_SL_EUlSY_E1_NS1_11comp_targetILNS1_3genE4ELNS1_11target_archE910ELNS1_3gpuE8ELNS1_3repE0EEENS1_36merge_oddeven_config_static_selectorELNS0_4arch9wavefront6targetE1EEEvSK_
; %bb.0:
	s_load_dword s18, s[4:5], 0x20
	s_waitcnt lgkmcnt(0)
	s_lshr_b32 s0, s18, 8
	s_cmp_lg_u32 s6, s0
	s_cselect_b64 s[14:15], -1, 0
	s_cmp_eq_u32 s6, s0
	s_cselect_b64 s[12:13], -1, 0
	s_lshl_b32 s16, s6, 8
	s_sub_i32 s0, s18, s16
	v_cmp_gt_u32_e64 s[2:3], s0, v0
	s_or_b64 s[0:1], s[14:15], s[2:3]
	s_and_saveexec_b64 s[8:9], s[0:1]
	s_cbranch_execz .LBB3431_20
; %bb.1:
	s_load_dwordx4 s[8:11], s[4:5], 0x0
	s_load_dword s19, s[4:5], 0x28
	s_mov_b32 s17, 0
	s_lshl_b64 s[0:1], s[16:17], 3
	v_lshlrev_b32_e32 v1, 3, v0
	s_waitcnt lgkmcnt(0)
	s_add_u32 s0, s8, s0
	s_addc_u32 s1, s9, s1
	global_load_dwordx2 v[2:3], v1, s[0:1]
	s_lshr_b32 s0, s19, 8
	s_sub_i32 s1, 0, s0
	s_and_b32 s1, s6, s1
	s_and_b32 s0, s1, s0
	s_lshl_b32 s20, s1, 8
	s_sub_i32 s6, 0, s19
	s_cmp_eq_u32 s0, 0
	s_cselect_b64 s[0:1], -1, 0
	s_and_b64 s[4:5], s[0:1], exec
	s_cselect_b32 s17, s19, s6
	s_add_i32 s17, s17, s20
	s_cmp_lt_u32 s17, s18
	v_add_u32_e32 v0, s16, v0
	s_cbranch_scc1 .LBB3431_3
; %bb.2:
	v_cmp_gt_u32_e32 vcc, s18, v0
	s_or_b64 s[4:5], vcc, s[14:15]
	s_and_b64 s[4:5], s[4:5], exec
	s_cbranch_execz .LBB3431_4
	s_branch .LBB3431_18
.LBB3431_3:
	s_mov_b64 s[4:5], 0
.LBB3431_4:
	s_min_u32 s14, s17, s18
	s_add_i32 s6, s14, s19
	s_min_u32 s15, s6, s18
	s_min_u32 s6, s20, s14
	s_add_i32 s20, s20, s14
	v_subrev_u32_e32 v0, s20, v0
	v_add_u32_e32 v4, s6, v0
	s_and_b64 vcc, exec, s[12:13]
	s_cbranch_vccz .LBB3431_12
; %bb.5:
                                        ; implicit-def: $vgpr0
	s_and_saveexec_b64 s[6:7], s[2:3]
	s_cbranch_execz .LBB3431_11
; %bb.6:
	s_cmp_ge_u32 s17, s15
	v_mov_b32_e32 v5, s14
	s_cbranch_scc1 .LBB3431_10
; %bb.7:
	s_mov_b64 s[2:3], 0
	v_mov_b32_e32 v6, s15
	v_mov_b32_e32 v5, s14
	;; [unrolled: 1-line block ×4, first 2 shown]
.LBB3431_8:                             ; =>This Inner Loop Header: Depth=1
	v_add_u32_e32 v0, v5, v6
	v_lshrrev_b32_e32 v0, 1, v0
	v_lshlrev_b64 v[8:9], 3, v[0:1]
	v_add_co_u32_e32 v8, vcc, s8, v8
	v_addc_co_u32_e32 v9, vcc, v7, v9, vcc
	global_load_dwordx2 v[8:9], v[8:9], off
	v_add_u32_e32 v10, 1, v0
	s_waitcnt vmcnt(0)
	v_cmp_gt_i64_e32 vcc, v[2:3], v[8:9]
	v_cndmask_b32_e64 v11, 0, 1, vcc
	v_cmp_le_i64_e32 vcc, v[8:9], v[2:3]
	v_cndmask_b32_e64 v8, 0, 1, vcc
	v_cndmask_b32_e64 v8, v8, v11, s[0:1]
	v_and_b32_e32 v8, 1, v8
	v_cmp_eq_u32_e32 vcc, 1, v8
	v_cndmask_b32_e32 v6, v0, v6, vcc
	v_cndmask_b32_e32 v5, v5, v10, vcc
	v_cmp_ge_u32_e32 vcc, v5, v6
	s_or_b64 s[2:3], vcc, s[2:3]
	s_andn2_b64 exec, exec, s[2:3]
	s_cbranch_execnz .LBB3431_8
; %bb.9:
	s_or_b64 exec, exec, s[2:3]
.LBB3431_10:
	v_add_u32_e32 v0, v5, v4
	s_or_b64 s[4:5], s[4:5], exec
.LBB3431_11:
	s_or_b64 exec, exec, s[6:7]
	s_branch .LBB3431_18
.LBB3431_12:
                                        ; implicit-def: $vgpr0
	s_cbranch_execz .LBB3431_18
; %bb.13:
	s_cmp_ge_u32 s17, s15
	v_mov_b32_e32 v5, s14
	s_cbranch_scc1 .LBB3431_17
; %bb.14:
	s_mov_b64 s[2:3], 0
	v_mov_b32_e32 v6, s15
	v_mov_b32_e32 v5, s14
	;; [unrolled: 1-line block ×4, first 2 shown]
.LBB3431_15:                            ; =>This Inner Loop Header: Depth=1
	v_add_u32_e32 v0, v5, v6
	v_lshrrev_b32_e32 v0, 1, v0
	v_lshlrev_b64 v[8:9], 3, v[0:1]
	v_add_co_u32_e32 v8, vcc, s8, v8
	v_addc_co_u32_e32 v9, vcc, v7, v9, vcc
	global_load_dwordx2 v[8:9], v[8:9], off
	v_add_u32_e32 v10, 1, v0
	s_waitcnt vmcnt(0)
	v_cmp_gt_i64_e32 vcc, v[2:3], v[8:9]
	v_cndmask_b32_e64 v11, 0, 1, vcc
	v_cmp_le_i64_e32 vcc, v[8:9], v[2:3]
	v_cndmask_b32_e64 v8, 0, 1, vcc
	v_cndmask_b32_e64 v8, v8, v11, s[0:1]
	v_and_b32_e32 v8, 1, v8
	v_cmp_eq_u32_e32 vcc, 1, v8
	v_cndmask_b32_e32 v6, v0, v6, vcc
	v_cndmask_b32_e32 v5, v5, v10, vcc
	v_cmp_ge_u32_e32 vcc, v5, v6
	s_or_b64 s[2:3], vcc, s[2:3]
	s_andn2_b64 exec, exec, s[2:3]
	s_cbranch_execnz .LBB3431_15
; %bb.16:
	s_or_b64 exec, exec, s[2:3]
.LBB3431_17:
	v_add_u32_e32 v0, v5, v4
	s_mov_b64 s[4:5], -1
.LBB3431_18:
	s_and_b64 exec, exec, s[4:5]
	s_cbranch_execz .LBB3431_20
; %bb.19:
	v_mov_b32_e32 v1, 0
	v_lshlrev_b64 v[0:1], 3, v[0:1]
	v_mov_b32_e32 v4, s11
	v_add_co_u32_e32 v0, vcc, s10, v0
	v_addc_co_u32_e32 v1, vcc, v4, v1, vcc
	s_waitcnt vmcnt(0)
	global_store_dwordx2 v[0:1], v[2:3], off
.LBB3431_20:
	s_endpgm
	.section	.rodata,"a",@progbits
	.p2align	6, 0x0
	.amdhsa_kernel _ZN7rocprim17ROCPRIM_400000_NS6detail17trampoline_kernelINS0_14default_configENS1_38merge_sort_block_merge_config_selectorIxNS0_10empty_typeEEEZZNS1_27merge_sort_block_merge_implIS3_N6thrust23THRUST_200600_302600_NS6detail15normal_iteratorINS9_10device_ptrIxEEEEPS5_m14custom_greaterIxEEE10hipError_tT0_T1_T2_jT3_P12ihipStream_tbPNSt15iterator_traitsISJ_E10value_typeEPNSP_ISK_E10value_typeEPSL_NS1_7vsmem_tEENKUlT_SJ_SK_SL_E_clISE_PxSF_SF_EESI_SY_SJ_SK_SL_EUlSY_E1_NS1_11comp_targetILNS1_3genE4ELNS1_11target_archE910ELNS1_3gpuE8ELNS1_3repE0EEENS1_36merge_oddeven_config_static_selectorELNS0_4arch9wavefront6targetE1EEEvSK_
		.amdhsa_group_segment_fixed_size 0
		.amdhsa_private_segment_fixed_size 0
		.amdhsa_kernarg_size 56
		.amdhsa_user_sgpr_count 6
		.amdhsa_user_sgpr_private_segment_buffer 1
		.amdhsa_user_sgpr_dispatch_ptr 0
		.amdhsa_user_sgpr_queue_ptr 0
		.amdhsa_user_sgpr_kernarg_segment_ptr 1
		.amdhsa_user_sgpr_dispatch_id 0
		.amdhsa_user_sgpr_flat_scratch_init 0
		.amdhsa_user_sgpr_kernarg_preload_length 0
		.amdhsa_user_sgpr_kernarg_preload_offset 0
		.amdhsa_user_sgpr_private_segment_size 0
		.amdhsa_uses_dynamic_stack 0
		.amdhsa_system_sgpr_private_segment_wavefront_offset 0
		.amdhsa_system_sgpr_workgroup_id_x 1
		.amdhsa_system_sgpr_workgroup_id_y 0
		.amdhsa_system_sgpr_workgroup_id_z 0
		.amdhsa_system_sgpr_workgroup_info 0
		.amdhsa_system_vgpr_workitem_id 0
		.amdhsa_next_free_vgpr 12
		.amdhsa_next_free_sgpr 21
		.amdhsa_accum_offset 12
		.amdhsa_reserve_vcc 1
		.amdhsa_reserve_flat_scratch 0
		.amdhsa_float_round_mode_32 0
		.amdhsa_float_round_mode_16_64 0
		.amdhsa_float_denorm_mode_32 3
		.amdhsa_float_denorm_mode_16_64 3
		.amdhsa_dx10_clamp 1
		.amdhsa_ieee_mode 1
		.amdhsa_fp16_overflow 0
		.amdhsa_tg_split 0
		.amdhsa_exception_fp_ieee_invalid_op 0
		.amdhsa_exception_fp_denorm_src 0
		.amdhsa_exception_fp_ieee_div_zero 0
		.amdhsa_exception_fp_ieee_overflow 0
		.amdhsa_exception_fp_ieee_underflow 0
		.amdhsa_exception_fp_ieee_inexact 0
		.amdhsa_exception_int_div_zero 0
	.end_amdhsa_kernel
	.section	.text._ZN7rocprim17ROCPRIM_400000_NS6detail17trampoline_kernelINS0_14default_configENS1_38merge_sort_block_merge_config_selectorIxNS0_10empty_typeEEEZZNS1_27merge_sort_block_merge_implIS3_N6thrust23THRUST_200600_302600_NS6detail15normal_iteratorINS9_10device_ptrIxEEEEPS5_m14custom_greaterIxEEE10hipError_tT0_T1_T2_jT3_P12ihipStream_tbPNSt15iterator_traitsISJ_E10value_typeEPNSP_ISK_E10value_typeEPSL_NS1_7vsmem_tEENKUlT_SJ_SK_SL_E_clISE_PxSF_SF_EESI_SY_SJ_SK_SL_EUlSY_E1_NS1_11comp_targetILNS1_3genE4ELNS1_11target_archE910ELNS1_3gpuE8ELNS1_3repE0EEENS1_36merge_oddeven_config_static_selectorELNS0_4arch9wavefront6targetE1EEEvSK_,"axG",@progbits,_ZN7rocprim17ROCPRIM_400000_NS6detail17trampoline_kernelINS0_14default_configENS1_38merge_sort_block_merge_config_selectorIxNS0_10empty_typeEEEZZNS1_27merge_sort_block_merge_implIS3_N6thrust23THRUST_200600_302600_NS6detail15normal_iteratorINS9_10device_ptrIxEEEEPS5_m14custom_greaterIxEEE10hipError_tT0_T1_T2_jT3_P12ihipStream_tbPNSt15iterator_traitsISJ_E10value_typeEPNSP_ISK_E10value_typeEPSL_NS1_7vsmem_tEENKUlT_SJ_SK_SL_E_clISE_PxSF_SF_EESI_SY_SJ_SK_SL_EUlSY_E1_NS1_11comp_targetILNS1_3genE4ELNS1_11target_archE910ELNS1_3gpuE8ELNS1_3repE0EEENS1_36merge_oddeven_config_static_selectorELNS0_4arch9wavefront6targetE1EEEvSK_,comdat
.Lfunc_end3431:
	.size	_ZN7rocprim17ROCPRIM_400000_NS6detail17trampoline_kernelINS0_14default_configENS1_38merge_sort_block_merge_config_selectorIxNS0_10empty_typeEEEZZNS1_27merge_sort_block_merge_implIS3_N6thrust23THRUST_200600_302600_NS6detail15normal_iteratorINS9_10device_ptrIxEEEEPS5_m14custom_greaterIxEEE10hipError_tT0_T1_T2_jT3_P12ihipStream_tbPNSt15iterator_traitsISJ_E10value_typeEPNSP_ISK_E10value_typeEPSL_NS1_7vsmem_tEENKUlT_SJ_SK_SL_E_clISE_PxSF_SF_EESI_SY_SJ_SK_SL_EUlSY_E1_NS1_11comp_targetILNS1_3genE4ELNS1_11target_archE910ELNS1_3gpuE8ELNS1_3repE0EEENS1_36merge_oddeven_config_static_selectorELNS0_4arch9wavefront6targetE1EEEvSK_, .Lfunc_end3431-_ZN7rocprim17ROCPRIM_400000_NS6detail17trampoline_kernelINS0_14default_configENS1_38merge_sort_block_merge_config_selectorIxNS0_10empty_typeEEEZZNS1_27merge_sort_block_merge_implIS3_N6thrust23THRUST_200600_302600_NS6detail15normal_iteratorINS9_10device_ptrIxEEEEPS5_m14custom_greaterIxEEE10hipError_tT0_T1_T2_jT3_P12ihipStream_tbPNSt15iterator_traitsISJ_E10value_typeEPNSP_ISK_E10value_typeEPSL_NS1_7vsmem_tEENKUlT_SJ_SK_SL_E_clISE_PxSF_SF_EESI_SY_SJ_SK_SL_EUlSY_E1_NS1_11comp_targetILNS1_3genE4ELNS1_11target_archE910ELNS1_3gpuE8ELNS1_3repE0EEENS1_36merge_oddeven_config_static_selectorELNS0_4arch9wavefront6targetE1EEEvSK_
                                        ; -- End function
	.section	.AMDGPU.csdata,"",@progbits
; Kernel info:
; codeLenInByte = 588
; NumSgprs: 25
; NumVgprs: 12
; NumAgprs: 0
; TotalNumVgprs: 12
; ScratchSize: 0
; MemoryBound: 0
; FloatMode: 240
; IeeeMode: 1
; LDSByteSize: 0 bytes/workgroup (compile time only)
; SGPRBlocks: 3
; VGPRBlocks: 1
; NumSGPRsForWavesPerEU: 25
; NumVGPRsForWavesPerEU: 12
; AccumOffset: 12
; Occupancy: 8
; WaveLimiterHint : 0
; COMPUTE_PGM_RSRC2:SCRATCH_EN: 0
; COMPUTE_PGM_RSRC2:USER_SGPR: 6
; COMPUTE_PGM_RSRC2:TRAP_HANDLER: 0
; COMPUTE_PGM_RSRC2:TGID_X_EN: 1
; COMPUTE_PGM_RSRC2:TGID_Y_EN: 0
; COMPUTE_PGM_RSRC2:TGID_Z_EN: 0
; COMPUTE_PGM_RSRC2:TIDIG_COMP_CNT: 0
; COMPUTE_PGM_RSRC3_GFX90A:ACCUM_OFFSET: 2
; COMPUTE_PGM_RSRC3_GFX90A:TG_SPLIT: 0
	.section	.text._ZN7rocprim17ROCPRIM_400000_NS6detail17trampoline_kernelINS0_14default_configENS1_38merge_sort_block_merge_config_selectorIxNS0_10empty_typeEEEZZNS1_27merge_sort_block_merge_implIS3_N6thrust23THRUST_200600_302600_NS6detail15normal_iteratorINS9_10device_ptrIxEEEEPS5_m14custom_greaterIxEEE10hipError_tT0_T1_T2_jT3_P12ihipStream_tbPNSt15iterator_traitsISJ_E10value_typeEPNSP_ISK_E10value_typeEPSL_NS1_7vsmem_tEENKUlT_SJ_SK_SL_E_clISE_PxSF_SF_EESI_SY_SJ_SK_SL_EUlSY_E1_NS1_11comp_targetILNS1_3genE3ELNS1_11target_archE908ELNS1_3gpuE7ELNS1_3repE0EEENS1_36merge_oddeven_config_static_selectorELNS0_4arch9wavefront6targetE1EEEvSK_,"axG",@progbits,_ZN7rocprim17ROCPRIM_400000_NS6detail17trampoline_kernelINS0_14default_configENS1_38merge_sort_block_merge_config_selectorIxNS0_10empty_typeEEEZZNS1_27merge_sort_block_merge_implIS3_N6thrust23THRUST_200600_302600_NS6detail15normal_iteratorINS9_10device_ptrIxEEEEPS5_m14custom_greaterIxEEE10hipError_tT0_T1_T2_jT3_P12ihipStream_tbPNSt15iterator_traitsISJ_E10value_typeEPNSP_ISK_E10value_typeEPSL_NS1_7vsmem_tEENKUlT_SJ_SK_SL_E_clISE_PxSF_SF_EESI_SY_SJ_SK_SL_EUlSY_E1_NS1_11comp_targetILNS1_3genE3ELNS1_11target_archE908ELNS1_3gpuE7ELNS1_3repE0EEENS1_36merge_oddeven_config_static_selectorELNS0_4arch9wavefront6targetE1EEEvSK_,comdat
	.protected	_ZN7rocprim17ROCPRIM_400000_NS6detail17trampoline_kernelINS0_14default_configENS1_38merge_sort_block_merge_config_selectorIxNS0_10empty_typeEEEZZNS1_27merge_sort_block_merge_implIS3_N6thrust23THRUST_200600_302600_NS6detail15normal_iteratorINS9_10device_ptrIxEEEEPS5_m14custom_greaterIxEEE10hipError_tT0_T1_T2_jT3_P12ihipStream_tbPNSt15iterator_traitsISJ_E10value_typeEPNSP_ISK_E10value_typeEPSL_NS1_7vsmem_tEENKUlT_SJ_SK_SL_E_clISE_PxSF_SF_EESI_SY_SJ_SK_SL_EUlSY_E1_NS1_11comp_targetILNS1_3genE3ELNS1_11target_archE908ELNS1_3gpuE7ELNS1_3repE0EEENS1_36merge_oddeven_config_static_selectorELNS0_4arch9wavefront6targetE1EEEvSK_ ; -- Begin function _ZN7rocprim17ROCPRIM_400000_NS6detail17trampoline_kernelINS0_14default_configENS1_38merge_sort_block_merge_config_selectorIxNS0_10empty_typeEEEZZNS1_27merge_sort_block_merge_implIS3_N6thrust23THRUST_200600_302600_NS6detail15normal_iteratorINS9_10device_ptrIxEEEEPS5_m14custom_greaterIxEEE10hipError_tT0_T1_T2_jT3_P12ihipStream_tbPNSt15iterator_traitsISJ_E10value_typeEPNSP_ISK_E10value_typeEPSL_NS1_7vsmem_tEENKUlT_SJ_SK_SL_E_clISE_PxSF_SF_EESI_SY_SJ_SK_SL_EUlSY_E1_NS1_11comp_targetILNS1_3genE3ELNS1_11target_archE908ELNS1_3gpuE7ELNS1_3repE0EEENS1_36merge_oddeven_config_static_selectorELNS0_4arch9wavefront6targetE1EEEvSK_
	.globl	_ZN7rocprim17ROCPRIM_400000_NS6detail17trampoline_kernelINS0_14default_configENS1_38merge_sort_block_merge_config_selectorIxNS0_10empty_typeEEEZZNS1_27merge_sort_block_merge_implIS3_N6thrust23THRUST_200600_302600_NS6detail15normal_iteratorINS9_10device_ptrIxEEEEPS5_m14custom_greaterIxEEE10hipError_tT0_T1_T2_jT3_P12ihipStream_tbPNSt15iterator_traitsISJ_E10value_typeEPNSP_ISK_E10value_typeEPSL_NS1_7vsmem_tEENKUlT_SJ_SK_SL_E_clISE_PxSF_SF_EESI_SY_SJ_SK_SL_EUlSY_E1_NS1_11comp_targetILNS1_3genE3ELNS1_11target_archE908ELNS1_3gpuE7ELNS1_3repE0EEENS1_36merge_oddeven_config_static_selectorELNS0_4arch9wavefront6targetE1EEEvSK_
	.p2align	8
	.type	_ZN7rocprim17ROCPRIM_400000_NS6detail17trampoline_kernelINS0_14default_configENS1_38merge_sort_block_merge_config_selectorIxNS0_10empty_typeEEEZZNS1_27merge_sort_block_merge_implIS3_N6thrust23THRUST_200600_302600_NS6detail15normal_iteratorINS9_10device_ptrIxEEEEPS5_m14custom_greaterIxEEE10hipError_tT0_T1_T2_jT3_P12ihipStream_tbPNSt15iterator_traitsISJ_E10value_typeEPNSP_ISK_E10value_typeEPSL_NS1_7vsmem_tEENKUlT_SJ_SK_SL_E_clISE_PxSF_SF_EESI_SY_SJ_SK_SL_EUlSY_E1_NS1_11comp_targetILNS1_3genE3ELNS1_11target_archE908ELNS1_3gpuE7ELNS1_3repE0EEENS1_36merge_oddeven_config_static_selectorELNS0_4arch9wavefront6targetE1EEEvSK_,@function
_ZN7rocprim17ROCPRIM_400000_NS6detail17trampoline_kernelINS0_14default_configENS1_38merge_sort_block_merge_config_selectorIxNS0_10empty_typeEEEZZNS1_27merge_sort_block_merge_implIS3_N6thrust23THRUST_200600_302600_NS6detail15normal_iteratorINS9_10device_ptrIxEEEEPS5_m14custom_greaterIxEEE10hipError_tT0_T1_T2_jT3_P12ihipStream_tbPNSt15iterator_traitsISJ_E10value_typeEPNSP_ISK_E10value_typeEPSL_NS1_7vsmem_tEENKUlT_SJ_SK_SL_E_clISE_PxSF_SF_EESI_SY_SJ_SK_SL_EUlSY_E1_NS1_11comp_targetILNS1_3genE3ELNS1_11target_archE908ELNS1_3gpuE7ELNS1_3repE0EEENS1_36merge_oddeven_config_static_selectorELNS0_4arch9wavefront6targetE1EEEvSK_: ; @_ZN7rocprim17ROCPRIM_400000_NS6detail17trampoline_kernelINS0_14default_configENS1_38merge_sort_block_merge_config_selectorIxNS0_10empty_typeEEEZZNS1_27merge_sort_block_merge_implIS3_N6thrust23THRUST_200600_302600_NS6detail15normal_iteratorINS9_10device_ptrIxEEEEPS5_m14custom_greaterIxEEE10hipError_tT0_T1_T2_jT3_P12ihipStream_tbPNSt15iterator_traitsISJ_E10value_typeEPNSP_ISK_E10value_typeEPSL_NS1_7vsmem_tEENKUlT_SJ_SK_SL_E_clISE_PxSF_SF_EESI_SY_SJ_SK_SL_EUlSY_E1_NS1_11comp_targetILNS1_3genE3ELNS1_11target_archE908ELNS1_3gpuE7ELNS1_3repE0EEENS1_36merge_oddeven_config_static_selectorELNS0_4arch9wavefront6targetE1EEEvSK_
; %bb.0:
	.section	.rodata,"a",@progbits
	.p2align	6, 0x0
	.amdhsa_kernel _ZN7rocprim17ROCPRIM_400000_NS6detail17trampoline_kernelINS0_14default_configENS1_38merge_sort_block_merge_config_selectorIxNS0_10empty_typeEEEZZNS1_27merge_sort_block_merge_implIS3_N6thrust23THRUST_200600_302600_NS6detail15normal_iteratorINS9_10device_ptrIxEEEEPS5_m14custom_greaterIxEEE10hipError_tT0_T1_T2_jT3_P12ihipStream_tbPNSt15iterator_traitsISJ_E10value_typeEPNSP_ISK_E10value_typeEPSL_NS1_7vsmem_tEENKUlT_SJ_SK_SL_E_clISE_PxSF_SF_EESI_SY_SJ_SK_SL_EUlSY_E1_NS1_11comp_targetILNS1_3genE3ELNS1_11target_archE908ELNS1_3gpuE7ELNS1_3repE0EEENS1_36merge_oddeven_config_static_selectorELNS0_4arch9wavefront6targetE1EEEvSK_
		.amdhsa_group_segment_fixed_size 0
		.amdhsa_private_segment_fixed_size 0
		.amdhsa_kernarg_size 56
		.amdhsa_user_sgpr_count 6
		.amdhsa_user_sgpr_private_segment_buffer 1
		.amdhsa_user_sgpr_dispatch_ptr 0
		.amdhsa_user_sgpr_queue_ptr 0
		.amdhsa_user_sgpr_kernarg_segment_ptr 1
		.amdhsa_user_sgpr_dispatch_id 0
		.amdhsa_user_sgpr_flat_scratch_init 0
		.amdhsa_user_sgpr_kernarg_preload_length 0
		.amdhsa_user_sgpr_kernarg_preload_offset 0
		.amdhsa_user_sgpr_private_segment_size 0
		.amdhsa_uses_dynamic_stack 0
		.amdhsa_system_sgpr_private_segment_wavefront_offset 0
		.amdhsa_system_sgpr_workgroup_id_x 1
		.amdhsa_system_sgpr_workgroup_id_y 0
		.amdhsa_system_sgpr_workgroup_id_z 0
		.amdhsa_system_sgpr_workgroup_info 0
		.amdhsa_system_vgpr_workitem_id 0
		.amdhsa_next_free_vgpr 1
		.amdhsa_next_free_sgpr 0
		.amdhsa_accum_offset 4
		.amdhsa_reserve_vcc 0
		.amdhsa_reserve_flat_scratch 0
		.amdhsa_float_round_mode_32 0
		.amdhsa_float_round_mode_16_64 0
		.amdhsa_float_denorm_mode_32 3
		.amdhsa_float_denorm_mode_16_64 3
		.amdhsa_dx10_clamp 1
		.amdhsa_ieee_mode 1
		.amdhsa_fp16_overflow 0
		.amdhsa_tg_split 0
		.amdhsa_exception_fp_ieee_invalid_op 0
		.amdhsa_exception_fp_denorm_src 0
		.amdhsa_exception_fp_ieee_div_zero 0
		.amdhsa_exception_fp_ieee_overflow 0
		.amdhsa_exception_fp_ieee_underflow 0
		.amdhsa_exception_fp_ieee_inexact 0
		.amdhsa_exception_int_div_zero 0
	.end_amdhsa_kernel
	.section	.text._ZN7rocprim17ROCPRIM_400000_NS6detail17trampoline_kernelINS0_14default_configENS1_38merge_sort_block_merge_config_selectorIxNS0_10empty_typeEEEZZNS1_27merge_sort_block_merge_implIS3_N6thrust23THRUST_200600_302600_NS6detail15normal_iteratorINS9_10device_ptrIxEEEEPS5_m14custom_greaterIxEEE10hipError_tT0_T1_T2_jT3_P12ihipStream_tbPNSt15iterator_traitsISJ_E10value_typeEPNSP_ISK_E10value_typeEPSL_NS1_7vsmem_tEENKUlT_SJ_SK_SL_E_clISE_PxSF_SF_EESI_SY_SJ_SK_SL_EUlSY_E1_NS1_11comp_targetILNS1_3genE3ELNS1_11target_archE908ELNS1_3gpuE7ELNS1_3repE0EEENS1_36merge_oddeven_config_static_selectorELNS0_4arch9wavefront6targetE1EEEvSK_,"axG",@progbits,_ZN7rocprim17ROCPRIM_400000_NS6detail17trampoline_kernelINS0_14default_configENS1_38merge_sort_block_merge_config_selectorIxNS0_10empty_typeEEEZZNS1_27merge_sort_block_merge_implIS3_N6thrust23THRUST_200600_302600_NS6detail15normal_iteratorINS9_10device_ptrIxEEEEPS5_m14custom_greaterIxEEE10hipError_tT0_T1_T2_jT3_P12ihipStream_tbPNSt15iterator_traitsISJ_E10value_typeEPNSP_ISK_E10value_typeEPSL_NS1_7vsmem_tEENKUlT_SJ_SK_SL_E_clISE_PxSF_SF_EESI_SY_SJ_SK_SL_EUlSY_E1_NS1_11comp_targetILNS1_3genE3ELNS1_11target_archE908ELNS1_3gpuE7ELNS1_3repE0EEENS1_36merge_oddeven_config_static_selectorELNS0_4arch9wavefront6targetE1EEEvSK_,comdat
.Lfunc_end3432:
	.size	_ZN7rocprim17ROCPRIM_400000_NS6detail17trampoline_kernelINS0_14default_configENS1_38merge_sort_block_merge_config_selectorIxNS0_10empty_typeEEEZZNS1_27merge_sort_block_merge_implIS3_N6thrust23THRUST_200600_302600_NS6detail15normal_iteratorINS9_10device_ptrIxEEEEPS5_m14custom_greaterIxEEE10hipError_tT0_T1_T2_jT3_P12ihipStream_tbPNSt15iterator_traitsISJ_E10value_typeEPNSP_ISK_E10value_typeEPSL_NS1_7vsmem_tEENKUlT_SJ_SK_SL_E_clISE_PxSF_SF_EESI_SY_SJ_SK_SL_EUlSY_E1_NS1_11comp_targetILNS1_3genE3ELNS1_11target_archE908ELNS1_3gpuE7ELNS1_3repE0EEENS1_36merge_oddeven_config_static_selectorELNS0_4arch9wavefront6targetE1EEEvSK_, .Lfunc_end3432-_ZN7rocprim17ROCPRIM_400000_NS6detail17trampoline_kernelINS0_14default_configENS1_38merge_sort_block_merge_config_selectorIxNS0_10empty_typeEEEZZNS1_27merge_sort_block_merge_implIS3_N6thrust23THRUST_200600_302600_NS6detail15normal_iteratorINS9_10device_ptrIxEEEEPS5_m14custom_greaterIxEEE10hipError_tT0_T1_T2_jT3_P12ihipStream_tbPNSt15iterator_traitsISJ_E10value_typeEPNSP_ISK_E10value_typeEPSL_NS1_7vsmem_tEENKUlT_SJ_SK_SL_E_clISE_PxSF_SF_EESI_SY_SJ_SK_SL_EUlSY_E1_NS1_11comp_targetILNS1_3genE3ELNS1_11target_archE908ELNS1_3gpuE7ELNS1_3repE0EEENS1_36merge_oddeven_config_static_selectorELNS0_4arch9wavefront6targetE1EEEvSK_
                                        ; -- End function
	.section	.AMDGPU.csdata,"",@progbits
; Kernel info:
; codeLenInByte = 0
; NumSgprs: 4
; NumVgprs: 0
; NumAgprs: 0
; TotalNumVgprs: 0
; ScratchSize: 0
; MemoryBound: 0
; FloatMode: 240
; IeeeMode: 1
; LDSByteSize: 0 bytes/workgroup (compile time only)
; SGPRBlocks: 0
; VGPRBlocks: 0
; NumSGPRsForWavesPerEU: 4
; NumVGPRsForWavesPerEU: 1
; AccumOffset: 4
; Occupancy: 8
; WaveLimiterHint : 0
; COMPUTE_PGM_RSRC2:SCRATCH_EN: 0
; COMPUTE_PGM_RSRC2:USER_SGPR: 6
; COMPUTE_PGM_RSRC2:TRAP_HANDLER: 0
; COMPUTE_PGM_RSRC2:TGID_X_EN: 1
; COMPUTE_PGM_RSRC2:TGID_Y_EN: 0
; COMPUTE_PGM_RSRC2:TGID_Z_EN: 0
; COMPUTE_PGM_RSRC2:TIDIG_COMP_CNT: 0
; COMPUTE_PGM_RSRC3_GFX90A:ACCUM_OFFSET: 0
; COMPUTE_PGM_RSRC3_GFX90A:TG_SPLIT: 0
	.section	.text._ZN7rocprim17ROCPRIM_400000_NS6detail17trampoline_kernelINS0_14default_configENS1_38merge_sort_block_merge_config_selectorIxNS0_10empty_typeEEEZZNS1_27merge_sort_block_merge_implIS3_N6thrust23THRUST_200600_302600_NS6detail15normal_iteratorINS9_10device_ptrIxEEEEPS5_m14custom_greaterIxEEE10hipError_tT0_T1_T2_jT3_P12ihipStream_tbPNSt15iterator_traitsISJ_E10value_typeEPNSP_ISK_E10value_typeEPSL_NS1_7vsmem_tEENKUlT_SJ_SK_SL_E_clISE_PxSF_SF_EESI_SY_SJ_SK_SL_EUlSY_E1_NS1_11comp_targetILNS1_3genE2ELNS1_11target_archE906ELNS1_3gpuE6ELNS1_3repE0EEENS1_36merge_oddeven_config_static_selectorELNS0_4arch9wavefront6targetE1EEEvSK_,"axG",@progbits,_ZN7rocprim17ROCPRIM_400000_NS6detail17trampoline_kernelINS0_14default_configENS1_38merge_sort_block_merge_config_selectorIxNS0_10empty_typeEEEZZNS1_27merge_sort_block_merge_implIS3_N6thrust23THRUST_200600_302600_NS6detail15normal_iteratorINS9_10device_ptrIxEEEEPS5_m14custom_greaterIxEEE10hipError_tT0_T1_T2_jT3_P12ihipStream_tbPNSt15iterator_traitsISJ_E10value_typeEPNSP_ISK_E10value_typeEPSL_NS1_7vsmem_tEENKUlT_SJ_SK_SL_E_clISE_PxSF_SF_EESI_SY_SJ_SK_SL_EUlSY_E1_NS1_11comp_targetILNS1_3genE2ELNS1_11target_archE906ELNS1_3gpuE6ELNS1_3repE0EEENS1_36merge_oddeven_config_static_selectorELNS0_4arch9wavefront6targetE1EEEvSK_,comdat
	.protected	_ZN7rocprim17ROCPRIM_400000_NS6detail17trampoline_kernelINS0_14default_configENS1_38merge_sort_block_merge_config_selectorIxNS0_10empty_typeEEEZZNS1_27merge_sort_block_merge_implIS3_N6thrust23THRUST_200600_302600_NS6detail15normal_iteratorINS9_10device_ptrIxEEEEPS5_m14custom_greaterIxEEE10hipError_tT0_T1_T2_jT3_P12ihipStream_tbPNSt15iterator_traitsISJ_E10value_typeEPNSP_ISK_E10value_typeEPSL_NS1_7vsmem_tEENKUlT_SJ_SK_SL_E_clISE_PxSF_SF_EESI_SY_SJ_SK_SL_EUlSY_E1_NS1_11comp_targetILNS1_3genE2ELNS1_11target_archE906ELNS1_3gpuE6ELNS1_3repE0EEENS1_36merge_oddeven_config_static_selectorELNS0_4arch9wavefront6targetE1EEEvSK_ ; -- Begin function _ZN7rocprim17ROCPRIM_400000_NS6detail17trampoline_kernelINS0_14default_configENS1_38merge_sort_block_merge_config_selectorIxNS0_10empty_typeEEEZZNS1_27merge_sort_block_merge_implIS3_N6thrust23THRUST_200600_302600_NS6detail15normal_iteratorINS9_10device_ptrIxEEEEPS5_m14custom_greaterIxEEE10hipError_tT0_T1_T2_jT3_P12ihipStream_tbPNSt15iterator_traitsISJ_E10value_typeEPNSP_ISK_E10value_typeEPSL_NS1_7vsmem_tEENKUlT_SJ_SK_SL_E_clISE_PxSF_SF_EESI_SY_SJ_SK_SL_EUlSY_E1_NS1_11comp_targetILNS1_3genE2ELNS1_11target_archE906ELNS1_3gpuE6ELNS1_3repE0EEENS1_36merge_oddeven_config_static_selectorELNS0_4arch9wavefront6targetE1EEEvSK_
	.globl	_ZN7rocprim17ROCPRIM_400000_NS6detail17trampoline_kernelINS0_14default_configENS1_38merge_sort_block_merge_config_selectorIxNS0_10empty_typeEEEZZNS1_27merge_sort_block_merge_implIS3_N6thrust23THRUST_200600_302600_NS6detail15normal_iteratorINS9_10device_ptrIxEEEEPS5_m14custom_greaterIxEEE10hipError_tT0_T1_T2_jT3_P12ihipStream_tbPNSt15iterator_traitsISJ_E10value_typeEPNSP_ISK_E10value_typeEPSL_NS1_7vsmem_tEENKUlT_SJ_SK_SL_E_clISE_PxSF_SF_EESI_SY_SJ_SK_SL_EUlSY_E1_NS1_11comp_targetILNS1_3genE2ELNS1_11target_archE906ELNS1_3gpuE6ELNS1_3repE0EEENS1_36merge_oddeven_config_static_selectorELNS0_4arch9wavefront6targetE1EEEvSK_
	.p2align	8
	.type	_ZN7rocprim17ROCPRIM_400000_NS6detail17trampoline_kernelINS0_14default_configENS1_38merge_sort_block_merge_config_selectorIxNS0_10empty_typeEEEZZNS1_27merge_sort_block_merge_implIS3_N6thrust23THRUST_200600_302600_NS6detail15normal_iteratorINS9_10device_ptrIxEEEEPS5_m14custom_greaterIxEEE10hipError_tT0_T1_T2_jT3_P12ihipStream_tbPNSt15iterator_traitsISJ_E10value_typeEPNSP_ISK_E10value_typeEPSL_NS1_7vsmem_tEENKUlT_SJ_SK_SL_E_clISE_PxSF_SF_EESI_SY_SJ_SK_SL_EUlSY_E1_NS1_11comp_targetILNS1_3genE2ELNS1_11target_archE906ELNS1_3gpuE6ELNS1_3repE0EEENS1_36merge_oddeven_config_static_selectorELNS0_4arch9wavefront6targetE1EEEvSK_,@function
_ZN7rocprim17ROCPRIM_400000_NS6detail17trampoline_kernelINS0_14default_configENS1_38merge_sort_block_merge_config_selectorIxNS0_10empty_typeEEEZZNS1_27merge_sort_block_merge_implIS3_N6thrust23THRUST_200600_302600_NS6detail15normal_iteratorINS9_10device_ptrIxEEEEPS5_m14custom_greaterIxEEE10hipError_tT0_T1_T2_jT3_P12ihipStream_tbPNSt15iterator_traitsISJ_E10value_typeEPNSP_ISK_E10value_typeEPSL_NS1_7vsmem_tEENKUlT_SJ_SK_SL_E_clISE_PxSF_SF_EESI_SY_SJ_SK_SL_EUlSY_E1_NS1_11comp_targetILNS1_3genE2ELNS1_11target_archE906ELNS1_3gpuE6ELNS1_3repE0EEENS1_36merge_oddeven_config_static_selectorELNS0_4arch9wavefront6targetE1EEEvSK_: ; @_ZN7rocprim17ROCPRIM_400000_NS6detail17trampoline_kernelINS0_14default_configENS1_38merge_sort_block_merge_config_selectorIxNS0_10empty_typeEEEZZNS1_27merge_sort_block_merge_implIS3_N6thrust23THRUST_200600_302600_NS6detail15normal_iteratorINS9_10device_ptrIxEEEEPS5_m14custom_greaterIxEEE10hipError_tT0_T1_T2_jT3_P12ihipStream_tbPNSt15iterator_traitsISJ_E10value_typeEPNSP_ISK_E10value_typeEPSL_NS1_7vsmem_tEENKUlT_SJ_SK_SL_E_clISE_PxSF_SF_EESI_SY_SJ_SK_SL_EUlSY_E1_NS1_11comp_targetILNS1_3genE2ELNS1_11target_archE906ELNS1_3gpuE6ELNS1_3repE0EEENS1_36merge_oddeven_config_static_selectorELNS0_4arch9wavefront6targetE1EEEvSK_
; %bb.0:
	.section	.rodata,"a",@progbits
	.p2align	6, 0x0
	.amdhsa_kernel _ZN7rocprim17ROCPRIM_400000_NS6detail17trampoline_kernelINS0_14default_configENS1_38merge_sort_block_merge_config_selectorIxNS0_10empty_typeEEEZZNS1_27merge_sort_block_merge_implIS3_N6thrust23THRUST_200600_302600_NS6detail15normal_iteratorINS9_10device_ptrIxEEEEPS5_m14custom_greaterIxEEE10hipError_tT0_T1_T2_jT3_P12ihipStream_tbPNSt15iterator_traitsISJ_E10value_typeEPNSP_ISK_E10value_typeEPSL_NS1_7vsmem_tEENKUlT_SJ_SK_SL_E_clISE_PxSF_SF_EESI_SY_SJ_SK_SL_EUlSY_E1_NS1_11comp_targetILNS1_3genE2ELNS1_11target_archE906ELNS1_3gpuE6ELNS1_3repE0EEENS1_36merge_oddeven_config_static_selectorELNS0_4arch9wavefront6targetE1EEEvSK_
		.amdhsa_group_segment_fixed_size 0
		.amdhsa_private_segment_fixed_size 0
		.amdhsa_kernarg_size 56
		.amdhsa_user_sgpr_count 6
		.amdhsa_user_sgpr_private_segment_buffer 1
		.amdhsa_user_sgpr_dispatch_ptr 0
		.amdhsa_user_sgpr_queue_ptr 0
		.amdhsa_user_sgpr_kernarg_segment_ptr 1
		.amdhsa_user_sgpr_dispatch_id 0
		.amdhsa_user_sgpr_flat_scratch_init 0
		.amdhsa_user_sgpr_kernarg_preload_length 0
		.amdhsa_user_sgpr_kernarg_preload_offset 0
		.amdhsa_user_sgpr_private_segment_size 0
		.amdhsa_uses_dynamic_stack 0
		.amdhsa_system_sgpr_private_segment_wavefront_offset 0
		.amdhsa_system_sgpr_workgroup_id_x 1
		.amdhsa_system_sgpr_workgroup_id_y 0
		.amdhsa_system_sgpr_workgroup_id_z 0
		.amdhsa_system_sgpr_workgroup_info 0
		.amdhsa_system_vgpr_workitem_id 0
		.amdhsa_next_free_vgpr 1
		.amdhsa_next_free_sgpr 0
		.amdhsa_accum_offset 4
		.amdhsa_reserve_vcc 0
		.amdhsa_reserve_flat_scratch 0
		.amdhsa_float_round_mode_32 0
		.amdhsa_float_round_mode_16_64 0
		.amdhsa_float_denorm_mode_32 3
		.amdhsa_float_denorm_mode_16_64 3
		.amdhsa_dx10_clamp 1
		.amdhsa_ieee_mode 1
		.amdhsa_fp16_overflow 0
		.amdhsa_tg_split 0
		.amdhsa_exception_fp_ieee_invalid_op 0
		.amdhsa_exception_fp_denorm_src 0
		.amdhsa_exception_fp_ieee_div_zero 0
		.amdhsa_exception_fp_ieee_overflow 0
		.amdhsa_exception_fp_ieee_underflow 0
		.amdhsa_exception_fp_ieee_inexact 0
		.amdhsa_exception_int_div_zero 0
	.end_amdhsa_kernel
	.section	.text._ZN7rocprim17ROCPRIM_400000_NS6detail17trampoline_kernelINS0_14default_configENS1_38merge_sort_block_merge_config_selectorIxNS0_10empty_typeEEEZZNS1_27merge_sort_block_merge_implIS3_N6thrust23THRUST_200600_302600_NS6detail15normal_iteratorINS9_10device_ptrIxEEEEPS5_m14custom_greaterIxEEE10hipError_tT0_T1_T2_jT3_P12ihipStream_tbPNSt15iterator_traitsISJ_E10value_typeEPNSP_ISK_E10value_typeEPSL_NS1_7vsmem_tEENKUlT_SJ_SK_SL_E_clISE_PxSF_SF_EESI_SY_SJ_SK_SL_EUlSY_E1_NS1_11comp_targetILNS1_3genE2ELNS1_11target_archE906ELNS1_3gpuE6ELNS1_3repE0EEENS1_36merge_oddeven_config_static_selectorELNS0_4arch9wavefront6targetE1EEEvSK_,"axG",@progbits,_ZN7rocprim17ROCPRIM_400000_NS6detail17trampoline_kernelINS0_14default_configENS1_38merge_sort_block_merge_config_selectorIxNS0_10empty_typeEEEZZNS1_27merge_sort_block_merge_implIS3_N6thrust23THRUST_200600_302600_NS6detail15normal_iteratorINS9_10device_ptrIxEEEEPS5_m14custom_greaterIxEEE10hipError_tT0_T1_T2_jT3_P12ihipStream_tbPNSt15iterator_traitsISJ_E10value_typeEPNSP_ISK_E10value_typeEPSL_NS1_7vsmem_tEENKUlT_SJ_SK_SL_E_clISE_PxSF_SF_EESI_SY_SJ_SK_SL_EUlSY_E1_NS1_11comp_targetILNS1_3genE2ELNS1_11target_archE906ELNS1_3gpuE6ELNS1_3repE0EEENS1_36merge_oddeven_config_static_selectorELNS0_4arch9wavefront6targetE1EEEvSK_,comdat
.Lfunc_end3433:
	.size	_ZN7rocprim17ROCPRIM_400000_NS6detail17trampoline_kernelINS0_14default_configENS1_38merge_sort_block_merge_config_selectorIxNS0_10empty_typeEEEZZNS1_27merge_sort_block_merge_implIS3_N6thrust23THRUST_200600_302600_NS6detail15normal_iteratorINS9_10device_ptrIxEEEEPS5_m14custom_greaterIxEEE10hipError_tT0_T1_T2_jT3_P12ihipStream_tbPNSt15iterator_traitsISJ_E10value_typeEPNSP_ISK_E10value_typeEPSL_NS1_7vsmem_tEENKUlT_SJ_SK_SL_E_clISE_PxSF_SF_EESI_SY_SJ_SK_SL_EUlSY_E1_NS1_11comp_targetILNS1_3genE2ELNS1_11target_archE906ELNS1_3gpuE6ELNS1_3repE0EEENS1_36merge_oddeven_config_static_selectorELNS0_4arch9wavefront6targetE1EEEvSK_, .Lfunc_end3433-_ZN7rocprim17ROCPRIM_400000_NS6detail17trampoline_kernelINS0_14default_configENS1_38merge_sort_block_merge_config_selectorIxNS0_10empty_typeEEEZZNS1_27merge_sort_block_merge_implIS3_N6thrust23THRUST_200600_302600_NS6detail15normal_iteratorINS9_10device_ptrIxEEEEPS5_m14custom_greaterIxEEE10hipError_tT0_T1_T2_jT3_P12ihipStream_tbPNSt15iterator_traitsISJ_E10value_typeEPNSP_ISK_E10value_typeEPSL_NS1_7vsmem_tEENKUlT_SJ_SK_SL_E_clISE_PxSF_SF_EESI_SY_SJ_SK_SL_EUlSY_E1_NS1_11comp_targetILNS1_3genE2ELNS1_11target_archE906ELNS1_3gpuE6ELNS1_3repE0EEENS1_36merge_oddeven_config_static_selectorELNS0_4arch9wavefront6targetE1EEEvSK_
                                        ; -- End function
	.section	.AMDGPU.csdata,"",@progbits
; Kernel info:
; codeLenInByte = 0
; NumSgprs: 4
; NumVgprs: 0
; NumAgprs: 0
; TotalNumVgprs: 0
; ScratchSize: 0
; MemoryBound: 0
; FloatMode: 240
; IeeeMode: 1
; LDSByteSize: 0 bytes/workgroup (compile time only)
; SGPRBlocks: 0
; VGPRBlocks: 0
; NumSGPRsForWavesPerEU: 4
; NumVGPRsForWavesPerEU: 1
; AccumOffset: 4
; Occupancy: 8
; WaveLimiterHint : 0
; COMPUTE_PGM_RSRC2:SCRATCH_EN: 0
; COMPUTE_PGM_RSRC2:USER_SGPR: 6
; COMPUTE_PGM_RSRC2:TRAP_HANDLER: 0
; COMPUTE_PGM_RSRC2:TGID_X_EN: 1
; COMPUTE_PGM_RSRC2:TGID_Y_EN: 0
; COMPUTE_PGM_RSRC2:TGID_Z_EN: 0
; COMPUTE_PGM_RSRC2:TIDIG_COMP_CNT: 0
; COMPUTE_PGM_RSRC3_GFX90A:ACCUM_OFFSET: 0
; COMPUTE_PGM_RSRC3_GFX90A:TG_SPLIT: 0
	.section	.text._ZN7rocprim17ROCPRIM_400000_NS6detail17trampoline_kernelINS0_14default_configENS1_38merge_sort_block_merge_config_selectorIxNS0_10empty_typeEEEZZNS1_27merge_sort_block_merge_implIS3_N6thrust23THRUST_200600_302600_NS6detail15normal_iteratorINS9_10device_ptrIxEEEEPS5_m14custom_greaterIxEEE10hipError_tT0_T1_T2_jT3_P12ihipStream_tbPNSt15iterator_traitsISJ_E10value_typeEPNSP_ISK_E10value_typeEPSL_NS1_7vsmem_tEENKUlT_SJ_SK_SL_E_clISE_PxSF_SF_EESI_SY_SJ_SK_SL_EUlSY_E1_NS1_11comp_targetILNS1_3genE9ELNS1_11target_archE1100ELNS1_3gpuE3ELNS1_3repE0EEENS1_36merge_oddeven_config_static_selectorELNS0_4arch9wavefront6targetE1EEEvSK_,"axG",@progbits,_ZN7rocprim17ROCPRIM_400000_NS6detail17trampoline_kernelINS0_14default_configENS1_38merge_sort_block_merge_config_selectorIxNS0_10empty_typeEEEZZNS1_27merge_sort_block_merge_implIS3_N6thrust23THRUST_200600_302600_NS6detail15normal_iteratorINS9_10device_ptrIxEEEEPS5_m14custom_greaterIxEEE10hipError_tT0_T1_T2_jT3_P12ihipStream_tbPNSt15iterator_traitsISJ_E10value_typeEPNSP_ISK_E10value_typeEPSL_NS1_7vsmem_tEENKUlT_SJ_SK_SL_E_clISE_PxSF_SF_EESI_SY_SJ_SK_SL_EUlSY_E1_NS1_11comp_targetILNS1_3genE9ELNS1_11target_archE1100ELNS1_3gpuE3ELNS1_3repE0EEENS1_36merge_oddeven_config_static_selectorELNS0_4arch9wavefront6targetE1EEEvSK_,comdat
	.protected	_ZN7rocprim17ROCPRIM_400000_NS6detail17trampoline_kernelINS0_14default_configENS1_38merge_sort_block_merge_config_selectorIxNS0_10empty_typeEEEZZNS1_27merge_sort_block_merge_implIS3_N6thrust23THRUST_200600_302600_NS6detail15normal_iteratorINS9_10device_ptrIxEEEEPS5_m14custom_greaterIxEEE10hipError_tT0_T1_T2_jT3_P12ihipStream_tbPNSt15iterator_traitsISJ_E10value_typeEPNSP_ISK_E10value_typeEPSL_NS1_7vsmem_tEENKUlT_SJ_SK_SL_E_clISE_PxSF_SF_EESI_SY_SJ_SK_SL_EUlSY_E1_NS1_11comp_targetILNS1_3genE9ELNS1_11target_archE1100ELNS1_3gpuE3ELNS1_3repE0EEENS1_36merge_oddeven_config_static_selectorELNS0_4arch9wavefront6targetE1EEEvSK_ ; -- Begin function _ZN7rocprim17ROCPRIM_400000_NS6detail17trampoline_kernelINS0_14default_configENS1_38merge_sort_block_merge_config_selectorIxNS0_10empty_typeEEEZZNS1_27merge_sort_block_merge_implIS3_N6thrust23THRUST_200600_302600_NS6detail15normal_iteratorINS9_10device_ptrIxEEEEPS5_m14custom_greaterIxEEE10hipError_tT0_T1_T2_jT3_P12ihipStream_tbPNSt15iterator_traitsISJ_E10value_typeEPNSP_ISK_E10value_typeEPSL_NS1_7vsmem_tEENKUlT_SJ_SK_SL_E_clISE_PxSF_SF_EESI_SY_SJ_SK_SL_EUlSY_E1_NS1_11comp_targetILNS1_3genE9ELNS1_11target_archE1100ELNS1_3gpuE3ELNS1_3repE0EEENS1_36merge_oddeven_config_static_selectorELNS0_4arch9wavefront6targetE1EEEvSK_
	.globl	_ZN7rocprim17ROCPRIM_400000_NS6detail17trampoline_kernelINS0_14default_configENS1_38merge_sort_block_merge_config_selectorIxNS0_10empty_typeEEEZZNS1_27merge_sort_block_merge_implIS3_N6thrust23THRUST_200600_302600_NS6detail15normal_iteratorINS9_10device_ptrIxEEEEPS5_m14custom_greaterIxEEE10hipError_tT0_T1_T2_jT3_P12ihipStream_tbPNSt15iterator_traitsISJ_E10value_typeEPNSP_ISK_E10value_typeEPSL_NS1_7vsmem_tEENKUlT_SJ_SK_SL_E_clISE_PxSF_SF_EESI_SY_SJ_SK_SL_EUlSY_E1_NS1_11comp_targetILNS1_3genE9ELNS1_11target_archE1100ELNS1_3gpuE3ELNS1_3repE0EEENS1_36merge_oddeven_config_static_selectorELNS0_4arch9wavefront6targetE1EEEvSK_
	.p2align	8
	.type	_ZN7rocprim17ROCPRIM_400000_NS6detail17trampoline_kernelINS0_14default_configENS1_38merge_sort_block_merge_config_selectorIxNS0_10empty_typeEEEZZNS1_27merge_sort_block_merge_implIS3_N6thrust23THRUST_200600_302600_NS6detail15normal_iteratorINS9_10device_ptrIxEEEEPS5_m14custom_greaterIxEEE10hipError_tT0_T1_T2_jT3_P12ihipStream_tbPNSt15iterator_traitsISJ_E10value_typeEPNSP_ISK_E10value_typeEPSL_NS1_7vsmem_tEENKUlT_SJ_SK_SL_E_clISE_PxSF_SF_EESI_SY_SJ_SK_SL_EUlSY_E1_NS1_11comp_targetILNS1_3genE9ELNS1_11target_archE1100ELNS1_3gpuE3ELNS1_3repE0EEENS1_36merge_oddeven_config_static_selectorELNS0_4arch9wavefront6targetE1EEEvSK_,@function
_ZN7rocprim17ROCPRIM_400000_NS6detail17trampoline_kernelINS0_14default_configENS1_38merge_sort_block_merge_config_selectorIxNS0_10empty_typeEEEZZNS1_27merge_sort_block_merge_implIS3_N6thrust23THRUST_200600_302600_NS6detail15normal_iteratorINS9_10device_ptrIxEEEEPS5_m14custom_greaterIxEEE10hipError_tT0_T1_T2_jT3_P12ihipStream_tbPNSt15iterator_traitsISJ_E10value_typeEPNSP_ISK_E10value_typeEPSL_NS1_7vsmem_tEENKUlT_SJ_SK_SL_E_clISE_PxSF_SF_EESI_SY_SJ_SK_SL_EUlSY_E1_NS1_11comp_targetILNS1_3genE9ELNS1_11target_archE1100ELNS1_3gpuE3ELNS1_3repE0EEENS1_36merge_oddeven_config_static_selectorELNS0_4arch9wavefront6targetE1EEEvSK_: ; @_ZN7rocprim17ROCPRIM_400000_NS6detail17trampoline_kernelINS0_14default_configENS1_38merge_sort_block_merge_config_selectorIxNS0_10empty_typeEEEZZNS1_27merge_sort_block_merge_implIS3_N6thrust23THRUST_200600_302600_NS6detail15normal_iteratorINS9_10device_ptrIxEEEEPS5_m14custom_greaterIxEEE10hipError_tT0_T1_T2_jT3_P12ihipStream_tbPNSt15iterator_traitsISJ_E10value_typeEPNSP_ISK_E10value_typeEPSL_NS1_7vsmem_tEENKUlT_SJ_SK_SL_E_clISE_PxSF_SF_EESI_SY_SJ_SK_SL_EUlSY_E1_NS1_11comp_targetILNS1_3genE9ELNS1_11target_archE1100ELNS1_3gpuE3ELNS1_3repE0EEENS1_36merge_oddeven_config_static_selectorELNS0_4arch9wavefront6targetE1EEEvSK_
; %bb.0:
	.section	.rodata,"a",@progbits
	.p2align	6, 0x0
	.amdhsa_kernel _ZN7rocprim17ROCPRIM_400000_NS6detail17trampoline_kernelINS0_14default_configENS1_38merge_sort_block_merge_config_selectorIxNS0_10empty_typeEEEZZNS1_27merge_sort_block_merge_implIS3_N6thrust23THRUST_200600_302600_NS6detail15normal_iteratorINS9_10device_ptrIxEEEEPS5_m14custom_greaterIxEEE10hipError_tT0_T1_T2_jT3_P12ihipStream_tbPNSt15iterator_traitsISJ_E10value_typeEPNSP_ISK_E10value_typeEPSL_NS1_7vsmem_tEENKUlT_SJ_SK_SL_E_clISE_PxSF_SF_EESI_SY_SJ_SK_SL_EUlSY_E1_NS1_11comp_targetILNS1_3genE9ELNS1_11target_archE1100ELNS1_3gpuE3ELNS1_3repE0EEENS1_36merge_oddeven_config_static_selectorELNS0_4arch9wavefront6targetE1EEEvSK_
		.amdhsa_group_segment_fixed_size 0
		.amdhsa_private_segment_fixed_size 0
		.amdhsa_kernarg_size 56
		.amdhsa_user_sgpr_count 6
		.amdhsa_user_sgpr_private_segment_buffer 1
		.amdhsa_user_sgpr_dispatch_ptr 0
		.amdhsa_user_sgpr_queue_ptr 0
		.amdhsa_user_sgpr_kernarg_segment_ptr 1
		.amdhsa_user_sgpr_dispatch_id 0
		.amdhsa_user_sgpr_flat_scratch_init 0
		.amdhsa_user_sgpr_kernarg_preload_length 0
		.amdhsa_user_sgpr_kernarg_preload_offset 0
		.amdhsa_user_sgpr_private_segment_size 0
		.amdhsa_uses_dynamic_stack 0
		.amdhsa_system_sgpr_private_segment_wavefront_offset 0
		.amdhsa_system_sgpr_workgroup_id_x 1
		.amdhsa_system_sgpr_workgroup_id_y 0
		.amdhsa_system_sgpr_workgroup_id_z 0
		.amdhsa_system_sgpr_workgroup_info 0
		.amdhsa_system_vgpr_workitem_id 0
		.amdhsa_next_free_vgpr 1
		.amdhsa_next_free_sgpr 0
		.amdhsa_accum_offset 4
		.amdhsa_reserve_vcc 0
		.amdhsa_reserve_flat_scratch 0
		.amdhsa_float_round_mode_32 0
		.amdhsa_float_round_mode_16_64 0
		.amdhsa_float_denorm_mode_32 3
		.amdhsa_float_denorm_mode_16_64 3
		.amdhsa_dx10_clamp 1
		.amdhsa_ieee_mode 1
		.amdhsa_fp16_overflow 0
		.amdhsa_tg_split 0
		.amdhsa_exception_fp_ieee_invalid_op 0
		.amdhsa_exception_fp_denorm_src 0
		.amdhsa_exception_fp_ieee_div_zero 0
		.amdhsa_exception_fp_ieee_overflow 0
		.amdhsa_exception_fp_ieee_underflow 0
		.amdhsa_exception_fp_ieee_inexact 0
		.amdhsa_exception_int_div_zero 0
	.end_amdhsa_kernel
	.section	.text._ZN7rocprim17ROCPRIM_400000_NS6detail17trampoline_kernelINS0_14default_configENS1_38merge_sort_block_merge_config_selectorIxNS0_10empty_typeEEEZZNS1_27merge_sort_block_merge_implIS3_N6thrust23THRUST_200600_302600_NS6detail15normal_iteratorINS9_10device_ptrIxEEEEPS5_m14custom_greaterIxEEE10hipError_tT0_T1_T2_jT3_P12ihipStream_tbPNSt15iterator_traitsISJ_E10value_typeEPNSP_ISK_E10value_typeEPSL_NS1_7vsmem_tEENKUlT_SJ_SK_SL_E_clISE_PxSF_SF_EESI_SY_SJ_SK_SL_EUlSY_E1_NS1_11comp_targetILNS1_3genE9ELNS1_11target_archE1100ELNS1_3gpuE3ELNS1_3repE0EEENS1_36merge_oddeven_config_static_selectorELNS0_4arch9wavefront6targetE1EEEvSK_,"axG",@progbits,_ZN7rocprim17ROCPRIM_400000_NS6detail17trampoline_kernelINS0_14default_configENS1_38merge_sort_block_merge_config_selectorIxNS0_10empty_typeEEEZZNS1_27merge_sort_block_merge_implIS3_N6thrust23THRUST_200600_302600_NS6detail15normal_iteratorINS9_10device_ptrIxEEEEPS5_m14custom_greaterIxEEE10hipError_tT0_T1_T2_jT3_P12ihipStream_tbPNSt15iterator_traitsISJ_E10value_typeEPNSP_ISK_E10value_typeEPSL_NS1_7vsmem_tEENKUlT_SJ_SK_SL_E_clISE_PxSF_SF_EESI_SY_SJ_SK_SL_EUlSY_E1_NS1_11comp_targetILNS1_3genE9ELNS1_11target_archE1100ELNS1_3gpuE3ELNS1_3repE0EEENS1_36merge_oddeven_config_static_selectorELNS0_4arch9wavefront6targetE1EEEvSK_,comdat
.Lfunc_end3434:
	.size	_ZN7rocprim17ROCPRIM_400000_NS6detail17trampoline_kernelINS0_14default_configENS1_38merge_sort_block_merge_config_selectorIxNS0_10empty_typeEEEZZNS1_27merge_sort_block_merge_implIS3_N6thrust23THRUST_200600_302600_NS6detail15normal_iteratorINS9_10device_ptrIxEEEEPS5_m14custom_greaterIxEEE10hipError_tT0_T1_T2_jT3_P12ihipStream_tbPNSt15iterator_traitsISJ_E10value_typeEPNSP_ISK_E10value_typeEPSL_NS1_7vsmem_tEENKUlT_SJ_SK_SL_E_clISE_PxSF_SF_EESI_SY_SJ_SK_SL_EUlSY_E1_NS1_11comp_targetILNS1_3genE9ELNS1_11target_archE1100ELNS1_3gpuE3ELNS1_3repE0EEENS1_36merge_oddeven_config_static_selectorELNS0_4arch9wavefront6targetE1EEEvSK_, .Lfunc_end3434-_ZN7rocprim17ROCPRIM_400000_NS6detail17trampoline_kernelINS0_14default_configENS1_38merge_sort_block_merge_config_selectorIxNS0_10empty_typeEEEZZNS1_27merge_sort_block_merge_implIS3_N6thrust23THRUST_200600_302600_NS6detail15normal_iteratorINS9_10device_ptrIxEEEEPS5_m14custom_greaterIxEEE10hipError_tT0_T1_T2_jT3_P12ihipStream_tbPNSt15iterator_traitsISJ_E10value_typeEPNSP_ISK_E10value_typeEPSL_NS1_7vsmem_tEENKUlT_SJ_SK_SL_E_clISE_PxSF_SF_EESI_SY_SJ_SK_SL_EUlSY_E1_NS1_11comp_targetILNS1_3genE9ELNS1_11target_archE1100ELNS1_3gpuE3ELNS1_3repE0EEENS1_36merge_oddeven_config_static_selectorELNS0_4arch9wavefront6targetE1EEEvSK_
                                        ; -- End function
	.section	.AMDGPU.csdata,"",@progbits
; Kernel info:
; codeLenInByte = 0
; NumSgprs: 4
; NumVgprs: 0
; NumAgprs: 0
; TotalNumVgprs: 0
; ScratchSize: 0
; MemoryBound: 0
; FloatMode: 240
; IeeeMode: 1
; LDSByteSize: 0 bytes/workgroup (compile time only)
; SGPRBlocks: 0
; VGPRBlocks: 0
; NumSGPRsForWavesPerEU: 4
; NumVGPRsForWavesPerEU: 1
; AccumOffset: 4
; Occupancy: 8
; WaveLimiterHint : 0
; COMPUTE_PGM_RSRC2:SCRATCH_EN: 0
; COMPUTE_PGM_RSRC2:USER_SGPR: 6
; COMPUTE_PGM_RSRC2:TRAP_HANDLER: 0
; COMPUTE_PGM_RSRC2:TGID_X_EN: 1
; COMPUTE_PGM_RSRC2:TGID_Y_EN: 0
; COMPUTE_PGM_RSRC2:TGID_Z_EN: 0
; COMPUTE_PGM_RSRC2:TIDIG_COMP_CNT: 0
; COMPUTE_PGM_RSRC3_GFX90A:ACCUM_OFFSET: 0
; COMPUTE_PGM_RSRC3_GFX90A:TG_SPLIT: 0
	.section	.text._ZN7rocprim17ROCPRIM_400000_NS6detail17trampoline_kernelINS0_14default_configENS1_38merge_sort_block_merge_config_selectorIxNS0_10empty_typeEEEZZNS1_27merge_sort_block_merge_implIS3_N6thrust23THRUST_200600_302600_NS6detail15normal_iteratorINS9_10device_ptrIxEEEEPS5_m14custom_greaterIxEEE10hipError_tT0_T1_T2_jT3_P12ihipStream_tbPNSt15iterator_traitsISJ_E10value_typeEPNSP_ISK_E10value_typeEPSL_NS1_7vsmem_tEENKUlT_SJ_SK_SL_E_clISE_PxSF_SF_EESI_SY_SJ_SK_SL_EUlSY_E1_NS1_11comp_targetILNS1_3genE8ELNS1_11target_archE1030ELNS1_3gpuE2ELNS1_3repE0EEENS1_36merge_oddeven_config_static_selectorELNS0_4arch9wavefront6targetE1EEEvSK_,"axG",@progbits,_ZN7rocprim17ROCPRIM_400000_NS6detail17trampoline_kernelINS0_14default_configENS1_38merge_sort_block_merge_config_selectorIxNS0_10empty_typeEEEZZNS1_27merge_sort_block_merge_implIS3_N6thrust23THRUST_200600_302600_NS6detail15normal_iteratorINS9_10device_ptrIxEEEEPS5_m14custom_greaterIxEEE10hipError_tT0_T1_T2_jT3_P12ihipStream_tbPNSt15iterator_traitsISJ_E10value_typeEPNSP_ISK_E10value_typeEPSL_NS1_7vsmem_tEENKUlT_SJ_SK_SL_E_clISE_PxSF_SF_EESI_SY_SJ_SK_SL_EUlSY_E1_NS1_11comp_targetILNS1_3genE8ELNS1_11target_archE1030ELNS1_3gpuE2ELNS1_3repE0EEENS1_36merge_oddeven_config_static_selectorELNS0_4arch9wavefront6targetE1EEEvSK_,comdat
	.protected	_ZN7rocprim17ROCPRIM_400000_NS6detail17trampoline_kernelINS0_14default_configENS1_38merge_sort_block_merge_config_selectorIxNS0_10empty_typeEEEZZNS1_27merge_sort_block_merge_implIS3_N6thrust23THRUST_200600_302600_NS6detail15normal_iteratorINS9_10device_ptrIxEEEEPS5_m14custom_greaterIxEEE10hipError_tT0_T1_T2_jT3_P12ihipStream_tbPNSt15iterator_traitsISJ_E10value_typeEPNSP_ISK_E10value_typeEPSL_NS1_7vsmem_tEENKUlT_SJ_SK_SL_E_clISE_PxSF_SF_EESI_SY_SJ_SK_SL_EUlSY_E1_NS1_11comp_targetILNS1_3genE8ELNS1_11target_archE1030ELNS1_3gpuE2ELNS1_3repE0EEENS1_36merge_oddeven_config_static_selectorELNS0_4arch9wavefront6targetE1EEEvSK_ ; -- Begin function _ZN7rocprim17ROCPRIM_400000_NS6detail17trampoline_kernelINS0_14default_configENS1_38merge_sort_block_merge_config_selectorIxNS0_10empty_typeEEEZZNS1_27merge_sort_block_merge_implIS3_N6thrust23THRUST_200600_302600_NS6detail15normal_iteratorINS9_10device_ptrIxEEEEPS5_m14custom_greaterIxEEE10hipError_tT0_T1_T2_jT3_P12ihipStream_tbPNSt15iterator_traitsISJ_E10value_typeEPNSP_ISK_E10value_typeEPSL_NS1_7vsmem_tEENKUlT_SJ_SK_SL_E_clISE_PxSF_SF_EESI_SY_SJ_SK_SL_EUlSY_E1_NS1_11comp_targetILNS1_3genE8ELNS1_11target_archE1030ELNS1_3gpuE2ELNS1_3repE0EEENS1_36merge_oddeven_config_static_selectorELNS0_4arch9wavefront6targetE1EEEvSK_
	.globl	_ZN7rocprim17ROCPRIM_400000_NS6detail17trampoline_kernelINS0_14default_configENS1_38merge_sort_block_merge_config_selectorIxNS0_10empty_typeEEEZZNS1_27merge_sort_block_merge_implIS3_N6thrust23THRUST_200600_302600_NS6detail15normal_iteratorINS9_10device_ptrIxEEEEPS5_m14custom_greaterIxEEE10hipError_tT0_T1_T2_jT3_P12ihipStream_tbPNSt15iterator_traitsISJ_E10value_typeEPNSP_ISK_E10value_typeEPSL_NS1_7vsmem_tEENKUlT_SJ_SK_SL_E_clISE_PxSF_SF_EESI_SY_SJ_SK_SL_EUlSY_E1_NS1_11comp_targetILNS1_3genE8ELNS1_11target_archE1030ELNS1_3gpuE2ELNS1_3repE0EEENS1_36merge_oddeven_config_static_selectorELNS0_4arch9wavefront6targetE1EEEvSK_
	.p2align	8
	.type	_ZN7rocprim17ROCPRIM_400000_NS6detail17trampoline_kernelINS0_14default_configENS1_38merge_sort_block_merge_config_selectorIxNS0_10empty_typeEEEZZNS1_27merge_sort_block_merge_implIS3_N6thrust23THRUST_200600_302600_NS6detail15normal_iteratorINS9_10device_ptrIxEEEEPS5_m14custom_greaterIxEEE10hipError_tT0_T1_T2_jT3_P12ihipStream_tbPNSt15iterator_traitsISJ_E10value_typeEPNSP_ISK_E10value_typeEPSL_NS1_7vsmem_tEENKUlT_SJ_SK_SL_E_clISE_PxSF_SF_EESI_SY_SJ_SK_SL_EUlSY_E1_NS1_11comp_targetILNS1_3genE8ELNS1_11target_archE1030ELNS1_3gpuE2ELNS1_3repE0EEENS1_36merge_oddeven_config_static_selectorELNS0_4arch9wavefront6targetE1EEEvSK_,@function
_ZN7rocprim17ROCPRIM_400000_NS6detail17trampoline_kernelINS0_14default_configENS1_38merge_sort_block_merge_config_selectorIxNS0_10empty_typeEEEZZNS1_27merge_sort_block_merge_implIS3_N6thrust23THRUST_200600_302600_NS6detail15normal_iteratorINS9_10device_ptrIxEEEEPS5_m14custom_greaterIxEEE10hipError_tT0_T1_T2_jT3_P12ihipStream_tbPNSt15iterator_traitsISJ_E10value_typeEPNSP_ISK_E10value_typeEPSL_NS1_7vsmem_tEENKUlT_SJ_SK_SL_E_clISE_PxSF_SF_EESI_SY_SJ_SK_SL_EUlSY_E1_NS1_11comp_targetILNS1_3genE8ELNS1_11target_archE1030ELNS1_3gpuE2ELNS1_3repE0EEENS1_36merge_oddeven_config_static_selectorELNS0_4arch9wavefront6targetE1EEEvSK_: ; @_ZN7rocprim17ROCPRIM_400000_NS6detail17trampoline_kernelINS0_14default_configENS1_38merge_sort_block_merge_config_selectorIxNS0_10empty_typeEEEZZNS1_27merge_sort_block_merge_implIS3_N6thrust23THRUST_200600_302600_NS6detail15normal_iteratorINS9_10device_ptrIxEEEEPS5_m14custom_greaterIxEEE10hipError_tT0_T1_T2_jT3_P12ihipStream_tbPNSt15iterator_traitsISJ_E10value_typeEPNSP_ISK_E10value_typeEPSL_NS1_7vsmem_tEENKUlT_SJ_SK_SL_E_clISE_PxSF_SF_EESI_SY_SJ_SK_SL_EUlSY_E1_NS1_11comp_targetILNS1_3genE8ELNS1_11target_archE1030ELNS1_3gpuE2ELNS1_3repE0EEENS1_36merge_oddeven_config_static_selectorELNS0_4arch9wavefront6targetE1EEEvSK_
; %bb.0:
	.section	.rodata,"a",@progbits
	.p2align	6, 0x0
	.amdhsa_kernel _ZN7rocprim17ROCPRIM_400000_NS6detail17trampoline_kernelINS0_14default_configENS1_38merge_sort_block_merge_config_selectorIxNS0_10empty_typeEEEZZNS1_27merge_sort_block_merge_implIS3_N6thrust23THRUST_200600_302600_NS6detail15normal_iteratorINS9_10device_ptrIxEEEEPS5_m14custom_greaterIxEEE10hipError_tT0_T1_T2_jT3_P12ihipStream_tbPNSt15iterator_traitsISJ_E10value_typeEPNSP_ISK_E10value_typeEPSL_NS1_7vsmem_tEENKUlT_SJ_SK_SL_E_clISE_PxSF_SF_EESI_SY_SJ_SK_SL_EUlSY_E1_NS1_11comp_targetILNS1_3genE8ELNS1_11target_archE1030ELNS1_3gpuE2ELNS1_3repE0EEENS1_36merge_oddeven_config_static_selectorELNS0_4arch9wavefront6targetE1EEEvSK_
		.amdhsa_group_segment_fixed_size 0
		.amdhsa_private_segment_fixed_size 0
		.amdhsa_kernarg_size 56
		.amdhsa_user_sgpr_count 6
		.amdhsa_user_sgpr_private_segment_buffer 1
		.amdhsa_user_sgpr_dispatch_ptr 0
		.amdhsa_user_sgpr_queue_ptr 0
		.amdhsa_user_sgpr_kernarg_segment_ptr 1
		.amdhsa_user_sgpr_dispatch_id 0
		.amdhsa_user_sgpr_flat_scratch_init 0
		.amdhsa_user_sgpr_kernarg_preload_length 0
		.amdhsa_user_sgpr_kernarg_preload_offset 0
		.amdhsa_user_sgpr_private_segment_size 0
		.amdhsa_uses_dynamic_stack 0
		.amdhsa_system_sgpr_private_segment_wavefront_offset 0
		.amdhsa_system_sgpr_workgroup_id_x 1
		.amdhsa_system_sgpr_workgroup_id_y 0
		.amdhsa_system_sgpr_workgroup_id_z 0
		.amdhsa_system_sgpr_workgroup_info 0
		.amdhsa_system_vgpr_workitem_id 0
		.amdhsa_next_free_vgpr 1
		.amdhsa_next_free_sgpr 0
		.amdhsa_accum_offset 4
		.amdhsa_reserve_vcc 0
		.amdhsa_reserve_flat_scratch 0
		.amdhsa_float_round_mode_32 0
		.amdhsa_float_round_mode_16_64 0
		.amdhsa_float_denorm_mode_32 3
		.amdhsa_float_denorm_mode_16_64 3
		.amdhsa_dx10_clamp 1
		.amdhsa_ieee_mode 1
		.amdhsa_fp16_overflow 0
		.amdhsa_tg_split 0
		.amdhsa_exception_fp_ieee_invalid_op 0
		.amdhsa_exception_fp_denorm_src 0
		.amdhsa_exception_fp_ieee_div_zero 0
		.amdhsa_exception_fp_ieee_overflow 0
		.amdhsa_exception_fp_ieee_underflow 0
		.amdhsa_exception_fp_ieee_inexact 0
		.amdhsa_exception_int_div_zero 0
	.end_amdhsa_kernel
	.section	.text._ZN7rocprim17ROCPRIM_400000_NS6detail17trampoline_kernelINS0_14default_configENS1_38merge_sort_block_merge_config_selectorIxNS0_10empty_typeEEEZZNS1_27merge_sort_block_merge_implIS3_N6thrust23THRUST_200600_302600_NS6detail15normal_iteratorINS9_10device_ptrIxEEEEPS5_m14custom_greaterIxEEE10hipError_tT0_T1_T2_jT3_P12ihipStream_tbPNSt15iterator_traitsISJ_E10value_typeEPNSP_ISK_E10value_typeEPSL_NS1_7vsmem_tEENKUlT_SJ_SK_SL_E_clISE_PxSF_SF_EESI_SY_SJ_SK_SL_EUlSY_E1_NS1_11comp_targetILNS1_3genE8ELNS1_11target_archE1030ELNS1_3gpuE2ELNS1_3repE0EEENS1_36merge_oddeven_config_static_selectorELNS0_4arch9wavefront6targetE1EEEvSK_,"axG",@progbits,_ZN7rocprim17ROCPRIM_400000_NS6detail17trampoline_kernelINS0_14default_configENS1_38merge_sort_block_merge_config_selectorIxNS0_10empty_typeEEEZZNS1_27merge_sort_block_merge_implIS3_N6thrust23THRUST_200600_302600_NS6detail15normal_iteratorINS9_10device_ptrIxEEEEPS5_m14custom_greaterIxEEE10hipError_tT0_T1_T2_jT3_P12ihipStream_tbPNSt15iterator_traitsISJ_E10value_typeEPNSP_ISK_E10value_typeEPSL_NS1_7vsmem_tEENKUlT_SJ_SK_SL_E_clISE_PxSF_SF_EESI_SY_SJ_SK_SL_EUlSY_E1_NS1_11comp_targetILNS1_3genE8ELNS1_11target_archE1030ELNS1_3gpuE2ELNS1_3repE0EEENS1_36merge_oddeven_config_static_selectorELNS0_4arch9wavefront6targetE1EEEvSK_,comdat
.Lfunc_end3435:
	.size	_ZN7rocprim17ROCPRIM_400000_NS6detail17trampoline_kernelINS0_14default_configENS1_38merge_sort_block_merge_config_selectorIxNS0_10empty_typeEEEZZNS1_27merge_sort_block_merge_implIS3_N6thrust23THRUST_200600_302600_NS6detail15normal_iteratorINS9_10device_ptrIxEEEEPS5_m14custom_greaterIxEEE10hipError_tT0_T1_T2_jT3_P12ihipStream_tbPNSt15iterator_traitsISJ_E10value_typeEPNSP_ISK_E10value_typeEPSL_NS1_7vsmem_tEENKUlT_SJ_SK_SL_E_clISE_PxSF_SF_EESI_SY_SJ_SK_SL_EUlSY_E1_NS1_11comp_targetILNS1_3genE8ELNS1_11target_archE1030ELNS1_3gpuE2ELNS1_3repE0EEENS1_36merge_oddeven_config_static_selectorELNS0_4arch9wavefront6targetE1EEEvSK_, .Lfunc_end3435-_ZN7rocprim17ROCPRIM_400000_NS6detail17trampoline_kernelINS0_14default_configENS1_38merge_sort_block_merge_config_selectorIxNS0_10empty_typeEEEZZNS1_27merge_sort_block_merge_implIS3_N6thrust23THRUST_200600_302600_NS6detail15normal_iteratorINS9_10device_ptrIxEEEEPS5_m14custom_greaterIxEEE10hipError_tT0_T1_T2_jT3_P12ihipStream_tbPNSt15iterator_traitsISJ_E10value_typeEPNSP_ISK_E10value_typeEPSL_NS1_7vsmem_tEENKUlT_SJ_SK_SL_E_clISE_PxSF_SF_EESI_SY_SJ_SK_SL_EUlSY_E1_NS1_11comp_targetILNS1_3genE8ELNS1_11target_archE1030ELNS1_3gpuE2ELNS1_3repE0EEENS1_36merge_oddeven_config_static_selectorELNS0_4arch9wavefront6targetE1EEEvSK_
                                        ; -- End function
	.section	.AMDGPU.csdata,"",@progbits
; Kernel info:
; codeLenInByte = 0
; NumSgprs: 4
; NumVgprs: 0
; NumAgprs: 0
; TotalNumVgprs: 0
; ScratchSize: 0
; MemoryBound: 0
; FloatMode: 240
; IeeeMode: 1
; LDSByteSize: 0 bytes/workgroup (compile time only)
; SGPRBlocks: 0
; VGPRBlocks: 0
; NumSGPRsForWavesPerEU: 4
; NumVGPRsForWavesPerEU: 1
; AccumOffset: 4
; Occupancy: 8
; WaveLimiterHint : 0
; COMPUTE_PGM_RSRC2:SCRATCH_EN: 0
; COMPUTE_PGM_RSRC2:USER_SGPR: 6
; COMPUTE_PGM_RSRC2:TRAP_HANDLER: 0
; COMPUTE_PGM_RSRC2:TGID_X_EN: 1
; COMPUTE_PGM_RSRC2:TGID_Y_EN: 0
; COMPUTE_PGM_RSRC2:TGID_Z_EN: 0
; COMPUTE_PGM_RSRC2:TIDIG_COMP_CNT: 0
; COMPUTE_PGM_RSRC3_GFX90A:ACCUM_OFFSET: 0
; COMPUTE_PGM_RSRC3_GFX90A:TG_SPLIT: 0
	.section	.text._ZN7rocprim17ROCPRIM_400000_NS6detail17trampoline_kernelINS0_14default_configENS1_25transform_config_selectorIxLb0EEEZNS1_14transform_implILb0ES3_S5_PxN6thrust23THRUST_200600_302600_NS6detail15normal_iteratorINS9_10device_ptrIxEEEENS0_8identityIxEEEE10hipError_tT2_T3_mT4_P12ihipStream_tbEUlT_E_NS1_11comp_targetILNS1_3genE0ELNS1_11target_archE4294967295ELNS1_3gpuE0ELNS1_3repE0EEENS1_30default_config_static_selectorELNS0_4arch9wavefront6targetE1EEEvT1_,"axG",@progbits,_ZN7rocprim17ROCPRIM_400000_NS6detail17trampoline_kernelINS0_14default_configENS1_25transform_config_selectorIxLb0EEEZNS1_14transform_implILb0ES3_S5_PxN6thrust23THRUST_200600_302600_NS6detail15normal_iteratorINS9_10device_ptrIxEEEENS0_8identityIxEEEE10hipError_tT2_T3_mT4_P12ihipStream_tbEUlT_E_NS1_11comp_targetILNS1_3genE0ELNS1_11target_archE4294967295ELNS1_3gpuE0ELNS1_3repE0EEENS1_30default_config_static_selectorELNS0_4arch9wavefront6targetE1EEEvT1_,comdat
	.protected	_ZN7rocprim17ROCPRIM_400000_NS6detail17trampoline_kernelINS0_14default_configENS1_25transform_config_selectorIxLb0EEEZNS1_14transform_implILb0ES3_S5_PxN6thrust23THRUST_200600_302600_NS6detail15normal_iteratorINS9_10device_ptrIxEEEENS0_8identityIxEEEE10hipError_tT2_T3_mT4_P12ihipStream_tbEUlT_E_NS1_11comp_targetILNS1_3genE0ELNS1_11target_archE4294967295ELNS1_3gpuE0ELNS1_3repE0EEENS1_30default_config_static_selectorELNS0_4arch9wavefront6targetE1EEEvT1_ ; -- Begin function _ZN7rocprim17ROCPRIM_400000_NS6detail17trampoline_kernelINS0_14default_configENS1_25transform_config_selectorIxLb0EEEZNS1_14transform_implILb0ES3_S5_PxN6thrust23THRUST_200600_302600_NS6detail15normal_iteratorINS9_10device_ptrIxEEEENS0_8identityIxEEEE10hipError_tT2_T3_mT4_P12ihipStream_tbEUlT_E_NS1_11comp_targetILNS1_3genE0ELNS1_11target_archE4294967295ELNS1_3gpuE0ELNS1_3repE0EEENS1_30default_config_static_selectorELNS0_4arch9wavefront6targetE1EEEvT1_
	.globl	_ZN7rocprim17ROCPRIM_400000_NS6detail17trampoline_kernelINS0_14default_configENS1_25transform_config_selectorIxLb0EEEZNS1_14transform_implILb0ES3_S5_PxN6thrust23THRUST_200600_302600_NS6detail15normal_iteratorINS9_10device_ptrIxEEEENS0_8identityIxEEEE10hipError_tT2_T3_mT4_P12ihipStream_tbEUlT_E_NS1_11comp_targetILNS1_3genE0ELNS1_11target_archE4294967295ELNS1_3gpuE0ELNS1_3repE0EEENS1_30default_config_static_selectorELNS0_4arch9wavefront6targetE1EEEvT1_
	.p2align	8
	.type	_ZN7rocprim17ROCPRIM_400000_NS6detail17trampoline_kernelINS0_14default_configENS1_25transform_config_selectorIxLb0EEEZNS1_14transform_implILb0ES3_S5_PxN6thrust23THRUST_200600_302600_NS6detail15normal_iteratorINS9_10device_ptrIxEEEENS0_8identityIxEEEE10hipError_tT2_T3_mT4_P12ihipStream_tbEUlT_E_NS1_11comp_targetILNS1_3genE0ELNS1_11target_archE4294967295ELNS1_3gpuE0ELNS1_3repE0EEENS1_30default_config_static_selectorELNS0_4arch9wavefront6targetE1EEEvT1_,@function
_ZN7rocprim17ROCPRIM_400000_NS6detail17trampoline_kernelINS0_14default_configENS1_25transform_config_selectorIxLb0EEEZNS1_14transform_implILb0ES3_S5_PxN6thrust23THRUST_200600_302600_NS6detail15normal_iteratorINS9_10device_ptrIxEEEENS0_8identityIxEEEE10hipError_tT2_T3_mT4_P12ihipStream_tbEUlT_E_NS1_11comp_targetILNS1_3genE0ELNS1_11target_archE4294967295ELNS1_3gpuE0ELNS1_3repE0EEENS1_30default_config_static_selectorELNS0_4arch9wavefront6targetE1EEEvT1_: ; @_ZN7rocprim17ROCPRIM_400000_NS6detail17trampoline_kernelINS0_14default_configENS1_25transform_config_selectorIxLb0EEEZNS1_14transform_implILb0ES3_S5_PxN6thrust23THRUST_200600_302600_NS6detail15normal_iteratorINS9_10device_ptrIxEEEENS0_8identityIxEEEE10hipError_tT2_T3_mT4_P12ihipStream_tbEUlT_E_NS1_11comp_targetILNS1_3genE0ELNS1_11target_archE4294967295ELNS1_3gpuE0ELNS1_3repE0EEENS1_30default_config_static_selectorELNS0_4arch9wavefront6targetE1EEEvT1_
; %bb.0:
	.section	.rodata,"a",@progbits
	.p2align	6, 0x0
	.amdhsa_kernel _ZN7rocprim17ROCPRIM_400000_NS6detail17trampoline_kernelINS0_14default_configENS1_25transform_config_selectorIxLb0EEEZNS1_14transform_implILb0ES3_S5_PxN6thrust23THRUST_200600_302600_NS6detail15normal_iteratorINS9_10device_ptrIxEEEENS0_8identityIxEEEE10hipError_tT2_T3_mT4_P12ihipStream_tbEUlT_E_NS1_11comp_targetILNS1_3genE0ELNS1_11target_archE4294967295ELNS1_3gpuE0ELNS1_3repE0EEENS1_30default_config_static_selectorELNS0_4arch9wavefront6targetE1EEEvT1_
		.amdhsa_group_segment_fixed_size 0
		.amdhsa_private_segment_fixed_size 0
		.amdhsa_kernarg_size 40
		.amdhsa_user_sgpr_count 6
		.amdhsa_user_sgpr_private_segment_buffer 1
		.amdhsa_user_sgpr_dispatch_ptr 0
		.amdhsa_user_sgpr_queue_ptr 0
		.amdhsa_user_sgpr_kernarg_segment_ptr 1
		.amdhsa_user_sgpr_dispatch_id 0
		.amdhsa_user_sgpr_flat_scratch_init 0
		.amdhsa_user_sgpr_kernarg_preload_length 0
		.amdhsa_user_sgpr_kernarg_preload_offset 0
		.amdhsa_user_sgpr_private_segment_size 0
		.amdhsa_uses_dynamic_stack 0
		.amdhsa_system_sgpr_private_segment_wavefront_offset 0
		.amdhsa_system_sgpr_workgroup_id_x 1
		.amdhsa_system_sgpr_workgroup_id_y 0
		.amdhsa_system_sgpr_workgroup_id_z 0
		.amdhsa_system_sgpr_workgroup_info 0
		.amdhsa_system_vgpr_workitem_id 0
		.amdhsa_next_free_vgpr 1
		.amdhsa_next_free_sgpr 0
		.amdhsa_accum_offset 4
		.amdhsa_reserve_vcc 0
		.amdhsa_reserve_flat_scratch 0
		.amdhsa_float_round_mode_32 0
		.amdhsa_float_round_mode_16_64 0
		.amdhsa_float_denorm_mode_32 3
		.amdhsa_float_denorm_mode_16_64 3
		.amdhsa_dx10_clamp 1
		.amdhsa_ieee_mode 1
		.amdhsa_fp16_overflow 0
		.amdhsa_tg_split 0
		.amdhsa_exception_fp_ieee_invalid_op 0
		.amdhsa_exception_fp_denorm_src 0
		.amdhsa_exception_fp_ieee_div_zero 0
		.amdhsa_exception_fp_ieee_overflow 0
		.amdhsa_exception_fp_ieee_underflow 0
		.amdhsa_exception_fp_ieee_inexact 0
		.amdhsa_exception_int_div_zero 0
	.end_amdhsa_kernel
	.section	.text._ZN7rocprim17ROCPRIM_400000_NS6detail17trampoline_kernelINS0_14default_configENS1_25transform_config_selectorIxLb0EEEZNS1_14transform_implILb0ES3_S5_PxN6thrust23THRUST_200600_302600_NS6detail15normal_iteratorINS9_10device_ptrIxEEEENS0_8identityIxEEEE10hipError_tT2_T3_mT4_P12ihipStream_tbEUlT_E_NS1_11comp_targetILNS1_3genE0ELNS1_11target_archE4294967295ELNS1_3gpuE0ELNS1_3repE0EEENS1_30default_config_static_selectorELNS0_4arch9wavefront6targetE1EEEvT1_,"axG",@progbits,_ZN7rocprim17ROCPRIM_400000_NS6detail17trampoline_kernelINS0_14default_configENS1_25transform_config_selectorIxLb0EEEZNS1_14transform_implILb0ES3_S5_PxN6thrust23THRUST_200600_302600_NS6detail15normal_iteratorINS9_10device_ptrIxEEEENS0_8identityIxEEEE10hipError_tT2_T3_mT4_P12ihipStream_tbEUlT_E_NS1_11comp_targetILNS1_3genE0ELNS1_11target_archE4294967295ELNS1_3gpuE0ELNS1_3repE0EEENS1_30default_config_static_selectorELNS0_4arch9wavefront6targetE1EEEvT1_,comdat
.Lfunc_end3436:
	.size	_ZN7rocprim17ROCPRIM_400000_NS6detail17trampoline_kernelINS0_14default_configENS1_25transform_config_selectorIxLb0EEEZNS1_14transform_implILb0ES3_S5_PxN6thrust23THRUST_200600_302600_NS6detail15normal_iteratorINS9_10device_ptrIxEEEENS0_8identityIxEEEE10hipError_tT2_T3_mT4_P12ihipStream_tbEUlT_E_NS1_11comp_targetILNS1_3genE0ELNS1_11target_archE4294967295ELNS1_3gpuE0ELNS1_3repE0EEENS1_30default_config_static_selectorELNS0_4arch9wavefront6targetE1EEEvT1_, .Lfunc_end3436-_ZN7rocprim17ROCPRIM_400000_NS6detail17trampoline_kernelINS0_14default_configENS1_25transform_config_selectorIxLb0EEEZNS1_14transform_implILb0ES3_S5_PxN6thrust23THRUST_200600_302600_NS6detail15normal_iteratorINS9_10device_ptrIxEEEENS0_8identityIxEEEE10hipError_tT2_T3_mT4_P12ihipStream_tbEUlT_E_NS1_11comp_targetILNS1_3genE0ELNS1_11target_archE4294967295ELNS1_3gpuE0ELNS1_3repE0EEENS1_30default_config_static_selectorELNS0_4arch9wavefront6targetE1EEEvT1_
                                        ; -- End function
	.section	.AMDGPU.csdata,"",@progbits
; Kernel info:
; codeLenInByte = 0
; NumSgprs: 4
; NumVgprs: 0
; NumAgprs: 0
; TotalNumVgprs: 0
; ScratchSize: 0
; MemoryBound: 0
; FloatMode: 240
; IeeeMode: 1
; LDSByteSize: 0 bytes/workgroup (compile time only)
; SGPRBlocks: 0
; VGPRBlocks: 0
; NumSGPRsForWavesPerEU: 4
; NumVGPRsForWavesPerEU: 1
; AccumOffset: 4
; Occupancy: 8
; WaveLimiterHint : 0
; COMPUTE_PGM_RSRC2:SCRATCH_EN: 0
; COMPUTE_PGM_RSRC2:USER_SGPR: 6
; COMPUTE_PGM_RSRC2:TRAP_HANDLER: 0
; COMPUTE_PGM_RSRC2:TGID_X_EN: 1
; COMPUTE_PGM_RSRC2:TGID_Y_EN: 0
; COMPUTE_PGM_RSRC2:TGID_Z_EN: 0
; COMPUTE_PGM_RSRC2:TIDIG_COMP_CNT: 0
; COMPUTE_PGM_RSRC3_GFX90A:ACCUM_OFFSET: 0
; COMPUTE_PGM_RSRC3_GFX90A:TG_SPLIT: 0
	.section	.text._ZN7rocprim17ROCPRIM_400000_NS6detail17trampoline_kernelINS0_14default_configENS1_25transform_config_selectorIxLb0EEEZNS1_14transform_implILb0ES3_S5_PxN6thrust23THRUST_200600_302600_NS6detail15normal_iteratorINS9_10device_ptrIxEEEENS0_8identityIxEEEE10hipError_tT2_T3_mT4_P12ihipStream_tbEUlT_E_NS1_11comp_targetILNS1_3genE5ELNS1_11target_archE942ELNS1_3gpuE9ELNS1_3repE0EEENS1_30default_config_static_selectorELNS0_4arch9wavefront6targetE1EEEvT1_,"axG",@progbits,_ZN7rocprim17ROCPRIM_400000_NS6detail17trampoline_kernelINS0_14default_configENS1_25transform_config_selectorIxLb0EEEZNS1_14transform_implILb0ES3_S5_PxN6thrust23THRUST_200600_302600_NS6detail15normal_iteratorINS9_10device_ptrIxEEEENS0_8identityIxEEEE10hipError_tT2_T3_mT4_P12ihipStream_tbEUlT_E_NS1_11comp_targetILNS1_3genE5ELNS1_11target_archE942ELNS1_3gpuE9ELNS1_3repE0EEENS1_30default_config_static_selectorELNS0_4arch9wavefront6targetE1EEEvT1_,comdat
	.protected	_ZN7rocprim17ROCPRIM_400000_NS6detail17trampoline_kernelINS0_14default_configENS1_25transform_config_selectorIxLb0EEEZNS1_14transform_implILb0ES3_S5_PxN6thrust23THRUST_200600_302600_NS6detail15normal_iteratorINS9_10device_ptrIxEEEENS0_8identityIxEEEE10hipError_tT2_T3_mT4_P12ihipStream_tbEUlT_E_NS1_11comp_targetILNS1_3genE5ELNS1_11target_archE942ELNS1_3gpuE9ELNS1_3repE0EEENS1_30default_config_static_selectorELNS0_4arch9wavefront6targetE1EEEvT1_ ; -- Begin function _ZN7rocprim17ROCPRIM_400000_NS6detail17trampoline_kernelINS0_14default_configENS1_25transform_config_selectorIxLb0EEEZNS1_14transform_implILb0ES3_S5_PxN6thrust23THRUST_200600_302600_NS6detail15normal_iteratorINS9_10device_ptrIxEEEENS0_8identityIxEEEE10hipError_tT2_T3_mT4_P12ihipStream_tbEUlT_E_NS1_11comp_targetILNS1_3genE5ELNS1_11target_archE942ELNS1_3gpuE9ELNS1_3repE0EEENS1_30default_config_static_selectorELNS0_4arch9wavefront6targetE1EEEvT1_
	.globl	_ZN7rocprim17ROCPRIM_400000_NS6detail17trampoline_kernelINS0_14default_configENS1_25transform_config_selectorIxLb0EEEZNS1_14transform_implILb0ES3_S5_PxN6thrust23THRUST_200600_302600_NS6detail15normal_iteratorINS9_10device_ptrIxEEEENS0_8identityIxEEEE10hipError_tT2_T3_mT4_P12ihipStream_tbEUlT_E_NS1_11comp_targetILNS1_3genE5ELNS1_11target_archE942ELNS1_3gpuE9ELNS1_3repE0EEENS1_30default_config_static_selectorELNS0_4arch9wavefront6targetE1EEEvT1_
	.p2align	8
	.type	_ZN7rocprim17ROCPRIM_400000_NS6detail17trampoline_kernelINS0_14default_configENS1_25transform_config_selectorIxLb0EEEZNS1_14transform_implILb0ES3_S5_PxN6thrust23THRUST_200600_302600_NS6detail15normal_iteratorINS9_10device_ptrIxEEEENS0_8identityIxEEEE10hipError_tT2_T3_mT4_P12ihipStream_tbEUlT_E_NS1_11comp_targetILNS1_3genE5ELNS1_11target_archE942ELNS1_3gpuE9ELNS1_3repE0EEENS1_30default_config_static_selectorELNS0_4arch9wavefront6targetE1EEEvT1_,@function
_ZN7rocprim17ROCPRIM_400000_NS6detail17trampoline_kernelINS0_14default_configENS1_25transform_config_selectorIxLb0EEEZNS1_14transform_implILb0ES3_S5_PxN6thrust23THRUST_200600_302600_NS6detail15normal_iteratorINS9_10device_ptrIxEEEENS0_8identityIxEEEE10hipError_tT2_T3_mT4_P12ihipStream_tbEUlT_E_NS1_11comp_targetILNS1_3genE5ELNS1_11target_archE942ELNS1_3gpuE9ELNS1_3repE0EEENS1_30default_config_static_selectorELNS0_4arch9wavefront6targetE1EEEvT1_: ; @_ZN7rocprim17ROCPRIM_400000_NS6detail17trampoline_kernelINS0_14default_configENS1_25transform_config_selectorIxLb0EEEZNS1_14transform_implILb0ES3_S5_PxN6thrust23THRUST_200600_302600_NS6detail15normal_iteratorINS9_10device_ptrIxEEEENS0_8identityIxEEEE10hipError_tT2_T3_mT4_P12ihipStream_tbEUlT_E_NS1_11comp_targetILNS1_3genE5ELNS1_11target_archE942ELNS1_3gpuE9ELNS1_3repE0EEENS1_30default_config_static_selectorELNS0_4arch9wavefront6targetE1EEEvT1_
; %bb.0:
	.section	.rodata,"a",@progbits
	.p2align	6, 0x0
	.amdhsa_kernel _ZN7rocprim17ROCPRIM_400000_NS6detail17trampoline_kernelINS0_14default_configENS1_25transform_config_selectorIxLb0EEEZNS1_14transform_implILb0ES3_S5_PxN6thrust23THRUST_200600_302600_NS6detail15normal_iteratorINS9_10device_ptrIxEEEENS0_8identityIxEEEE10hipError_tT2_T3_mT4_P12ihipStream_tbEUlT_E_NS1_11comp_targetILNS1_3genE5ELNS1_11target_archE942ELNS1_3gpuE9ELNS1_3repE0EEENS1_30default_config_static_selectorELNS0_4arch9wavefront6targetE1EEEvT1_
		.amdhsa_group_segment_fixed_size 0
		.amdhsa_private_segment_fixed_size 0
		.amdhsa_kernarg_size 40
		.amdhsa_user_sgpr_count 6
		.amdhsa_user_sgpr_private_segment_buffer 1
		.amdhsa_user_sgpr_dispatch_ptr 0
		.amdhsa_user_sgpr_queue_ptr 0
		.amdhsa_user_sgpr_kernarg_segment_ptr 1
		.amdhsa_user_sgpr_dispatch_id 0
		.amdhsa_user_sgpr_flat_scratch_init 0
		.amdhsa_user_sgpr_kernarg_preload_length 0
		.amdhsa_user_sgpr_kernarg_preload_offset 0
		.amdhsa_user_sgpr_private_segment_size 0
		.amdhsa_uses_dynamic_stack 0
		.amdhsa_system_sgpr_private_segment_wavefront_offset 0
		.amdhsa_system_sgpr_workgroup_id_x 1
		.amdhsa_system_sgpr_workgroup_id_y 0
		.amdhsa_system_sgpr_workgroup_id_z 0
		.amdhsa_system_sgpr_workgroup_info 0
		.amdhsa_system_vgpr_workitem_id 0
		.amdhsa_next_free_vgpr 1
		.amdhsa_next_free_sgpr 0
		.amdhsa_accum_offset 4
		.amdhsa_reserve_vcc 0
		.amdhsa_reserve_flat_scratch 0
		.amdhsa_float_round_mode_32 0
		.amdhsa_float_round_mode_16_64 0
		.amdhsa_float_denorm_mode_32 3
		.amdhsa_float_denorm_mode_16_64 3
		.amdhsa_dx10_clamp 1
		.amdhsa_ieee_mode 1
		.amdhsa_fp16_overflow 0
		.amdhsa_tg_split 0
		.amdhsa_exception_fp_ieee_invalid_op 0
		.amdhsa_exception_fp_denorm_src 0
		.amdhsa_exception_fp_ieee_div_zero 0
		.amdhsa_exception_fp_ieee_overflow 0
		.amdhsa_exception_fp_ieee_underflow 0
		.amdhsa_exception_fp_ieee_inexact 0
		.amdhsa_exception_int_div_zero 0
	.end_amdhsa_kernel
	.section	.text._ZN7rocprim17ROCPRIM_400000_NS6detail17trampoline_kernelINS0_14default_configENS1_25transform_config_selectorIxLb0EEEZNS1_14transform_implILb0ES3_S5_PxN6thrust23THRUST_200600_302600_NS6detail15normal_iteratorINS9_10device_ptrIxEEEENS0_8identityIxEEEE10hipError_tT2_T3_mT4_P12ihipStream_tbEUlT_E_NS1_11comp_targetILNS1_3genE5ELNS1_11target_archE942ELNS1_3gpuE9ELNS1_3repE0EEENS1_30default_config_static_selectorELNS0_4arch9wavefront6targetE1EEEvT1_,"axG",@progbits,_ZN7rocprim17ROCPRIM_400000_NS6detail17trampoline_kernelINS0_14default_configENS1_25transform_config_selectorIxLb0EEEZNS1_14transform_implILb0ES3_S5_PxN6thrust23THRUST_200600_302600_NS6detail15normal_iteratorINS9_10device_ptrIxEEEENS0_8identityIxEEEE10hipError_tT2_T3_mT4_P12ihipStream_tbEUlT_E_NS1_11comp_targetILNS1_3genE5ELNS1_11target_archE942ELNS1_3gpuE9ELNS1_3repE0EEENS1_30default_config_static_selectorELNS0_4arch9wavefront6targetE1EEEvT1_,comdat
.Lfunc_end3437:
	.size	_ZN7rocprim17ROCPRIM_400000_NS6detail17trampoline_kernelINS0_14default_configENS1_25transform_config_selectorIxLb0EEEZNS1_14transform_implILb0ES3_S5_PxN6thrust23THRUST_200600_302600_NS6detail15normal_iteratorINS9_10device_ptrIxEEEENS0_8identityIxEEEE10hipError_tT2_T3_mT4_P12ihipStream_tbEUlT_E_NS1_11comp_targetILNS1_3genE5ELNS1_11target_archE942ELNS1_3gpuE9ELNS1_3repE0EEENS1_30default_config_static_selectorELNS0_4arch9wavefront6targetE1EEEvT1_, .Lfunc_end3437-_ZN7rocprim17ROCPRIM_400000_NS6detail17trampoline_kernelINS0_14default_configENS1_25transform_config_selectorIxLb0EEEZNS1_14transform_implILb0ES3_S5_PxN6thrust23THRUST_200600_302600_NS6detail15normal_iteratorINS9_10device_ptrIxEEEENS0_8identityIxEEEE10hipError_tT2_T3_mT4_P12ihipStream_tbEUlT_E_NS1_11comp_targetILNS1_3genE5ELNS1_11target_archE942ELNS1_3gpuE9ELNS1_3repE0EEENS1_30default_config_static_selectorELNS0_4arch9wavefront6targetE1EEEvT1_
                                        ; -- End function
	.section	.AMDGPU.csdata,"",@progbits
; Kernel info:
; codeLenInByte = 0
; NumSgprs: 4
; NumVgprs: 0
; NumAgprs: 0
; TotalNumVgprs: 0
; ScratchSize: 0
; MemoryBound: 0
; FloatMode: 240
; IeeeMode: 1
; LDSByteSize: 0 bytes/workgroup (compile time only)
; SGPRBlocks: 0
; VGPRBlocks: 0
; NumSGPRsForWavesPerEU: 4
; NumVGPRsForWavesPerEU: 1
; AccumOffset: 4
; Occupancy: 8
; WaveLimiterHint : 0
; COMPUTE_PGM_RSRC2:SCRATCH_EN: 0
; COMPUTE_PGM_RSRC2:USER_SGPR: 6
; COMPUTE_PGM_RSRC2:TRAP_HANDLER: 0
; COMPUTE_PGM_RSRC2:TGID_X_EN: 1
; COMPUTE_PGM_RSRC2:TGID_Y_EN: 0
; COMPUTE_PGM_RSRC2:TGID_Z_EN: 0
; COMPUTE_PGM_RSRC2:TIDIG_COMP_CNT: 0
; COMPUTE_PGM_RSRC3_GFX90A:ACCUM_OFFSET: 0
; COMPUTE_PGM_RSRC3_GFX90A:TG_SPLIT: 0
	.section	.text._ZN7rocprim17ROCPRIM_400000_NS6detail17trampoline_kernelINS0_14default_configENS1_25transform_config_selectorIxLb0EEEZNS1_14transform_implILb0ES3_S5_PxN6thrust23THRUST_200600_302600_NS6detail15normal_iteratorINS9_10device_ptrIxEEEENS0_8identityIxEEEE10hipError_tT2_T3_mT4_P12ihipStream_tbEUlT_E_NS1_11comp_targetILNS1_3genE4ELNS1_11target_archE910ELNS1_3gpuE8ELNS1_3repE0EEENS1_30default_config_static_selectorELNS0_4arch9wavefront6targetE1EEEvT1_,"axG",@progbits,_ZN7rocprim17ROCPRIM_400000_NS6detail17trampoline_kernelINS0_14default_configENS1_25transform_config_selectorIxLb0EEEZNS1_14transform_implILb0ES3_S5_PxN6thrust23THRUST_200600_302600_NS6detail15normal_iteratorINS9_10device_ptrIxEEEENS0_8identityIxEEEE10hipError_tT2_T3_mT4_P12ihipStream_tbEUlT_E_NS1_11comp_targetILNS1_3genE4ELNS1_11target_archE910ELNS1_3gpuE8ELNS1_3repE0EEENS1_30default_config_static_selectorELNS0_4arch9wavefront6targetE1EEEvT1_,comdat
	.protected	_ZN7rocprim17ROCPRIM_400000_NS6detail17trampoline_kernelINS0_14default_configENS1_25transform_config_selectorIxLb0EEEZNS1_14transform_implILb0ES3_S5_PxN6thrust23THRUST_200600_302600_NS6detail15normal_iteratorINS9_10device_ptrIxEEEENS0_8identityIxEEEE10hipError_tT2_T3_mT4_P12ihipStream_tbEUlT_E_NS1_11comp_targetILNS1_3genE4ELNS1_11target_archE910ELNS1_3gpuE8ELNS1_3repE0EEENS1_30default_config_static_selectorELNS0_4arch9wavefront6targetE1EEEvT1_ ; -- Begin function _ZN7rocprim17ROCPRIM_400000_NS6detail17trampoline_kernelINS0_14default_configENS1_25transform_config_selectorIxLb0EEEZNS1_14transform_implILb0ES3_S5_PxN6thrust23THRUST_200600_302600_NS6detail15normal_iteratorINS9_10device_ptrIxEEEENS0_8identityIxEEEE10hipError_tT2_T3_mT4_P12ihipStream_tbEUlT_E_NS1_11comp_targetILNS1_3genE4ELNS1_11target_archE910ELNS1_3gpuE8ELNS1_3repE0EEENS1_30default_config_static_selectorELNS0_4arch9wavefront6targetE1EEEvT1_
	.globl	_ZN7rocprim17ROCPRIM_400000_NS6detail17trampoline_kernelINS0_14default_configENS1_25transform_config_selectorIxLb0EEEZNS1_14transform_implILb0ES3_S5_PxN6thrust23THRUST_200600_302600_NS6detail15normal_iteratorINS9_10device_ptrIxEEEENS0_8identityIxEEEE10hipError_tT2_T3_mT4_P12ihipStream_tbEUlT_E_NS1_11comp_targetILNS1_3genE4ELNS1_11target_archE910ELNS1_3gpuE8ELNS1_3repE0EEENS1_30default_config_static_selectorELNS0_4arch9wavefront6targetE1EEEvT1_
	.p2align	8
	.type	_ZN7rocprim17ROCPRIM_400000_NS6detail17trampoline_kernelINS0_14default_configENS1_25transform_config_selectorIxLb0EEEZNS1_14transform_implILb0ES3_S5_PxN6thrust23THRUST_200600_302600_NS6detail15normal_iteratorINS9_10device_ptrIxEEEENS0_8identityIxEEEE10hipError_tT2_T3_mT4_P12ihipStream_tbEUlT_E_NS1_11comp_targetILNS1_3genE4ELNS1_11target_archE910ELNS1_3gpuE8ELNS1_3repE0EEENS1_30default_config_static_selectorELNS0_4arch9wavefront6targetE1EEEvT1_,@function
_ZN7rocprim17ROCPRIM_400000_NS6detail17trampoline_kernelINS0_14default_configENS1_25transform_config_selectorIxLb0EEEZNS1_14transform_implILb0ES3_S5_PxN6thrust23THRUST_200600_302600_NS6detail15normal_iteratorINS9_10device_ptrIxEEEENS0_8identityIxEEEE10hipError_tT2_T3_mT4_P12ihipStream_tbEUlT_E_NS1_11comp_targetILNS1_3genE4ELNS1_11target_archE910ELNS1_3gpuE8ELNS1_3repE0EEENS1_30default_config_static_selectorELNS0_4arch9wavefront6targetE1EEEvT1_: ; @_ZN7rocprim17ROCPRIM_400000_NS6detail17trampoline_kernelINS0_14default_configENS1_25transform_config_selectorIxLb0EEEZNS1_14transform_implILb0ES3_S5_PxN6thrust23THRUST_200600_302600_NS6detail15normal_iteratorINS9_10device_ptrIxEEEENS0_8identityIxEEEE10hipError_tT2_T3_mT4_P12ihipStream_tbEUlT_E_NS1_11comp_targetILNS1_3genE4ELNS1_11target_archE910ELNS1_3gpuE8ELNS1_3repE0EEENS1_30default_config_static_selectorELNS0_4arch9wavefront6targetE1EEEvT1_
; %bb.0:
	s_load_dwordx8 s[8:15], s[4:5], 0x0
	s_load_dword s2, s[4:5], 0x28
	v_lshlrev_b32_e32 v8, 3, v0
	s_waitcnt lgkmcnt(0)
	s_lshl_b64 s[0:1], s[10:11], 3
	s_add_u32 s3, s8, s0
	s_addc_u32 s4, s9, s1
	s_add_u32 s7, s14, s0
	s_addc_u32 s13, s15, s1
	s_lshl_b32 s0, s6, 9
	s_mov_b32 s1, 0
	s_add_i32 s2, s2, -1
	s_lshl_b64 s[8:9], s[0:1], 3
	s_add_u32 s10, s3, s8
	s_addc_u32 s11, s4, s9
	s_cmp_lg_u32 s6, s2
	s_cbranch_scc0 .LBB3438_2
; %bb.1:
	global_load_dwordx2 v[2:3], v8, s[10:11]
	global_load_dwordx2 v[4:5], v8, s[10:11] offset:2048
	s_add_u32 s1, s7, s8
	s_addc_u32 s4, s13, s9
	v_mov_b32_e32 v1, s4
	v_add_co_u32_e32 v6, vcc, s1, v8
	v_addc_co_u32_e32 v7, vcc, 0, v1, vcc
	s_mov_b64 s[4:5], -1
	s_waitcnt vmcnt(1)
	flat_store_dwordx2 v[6:7], v[2:3]
	s_cbranch_execz .LBB3438_3
	s_branch .LBB3438_14
.LBB3438_2:
	s_mov_b64 s[4:5], 0
                                        ; implicit-def: $vgpr4_vgpr5
                                        ; implicit-def: $vgpr6_vgpr7
.LBB3438_3:
	s_sub_i32 s2, s12, s0
	v_cmp_gt_u32_e32 vcc, s2, v0
                                        ; implicit-def: $vgpr2_vgpr3_vgpr4_vgpr5
	s_and_saveexec_b64 s[0:1], vcc
	s_cbranch_execz .LBB3438_5
; %bb.4:
	global_load_dwordx2 v[2:3], v8, s[10:11]
.LBB3438_5:
	s_or_b64 exec, exec, s[0:1]
	v_or_b32_e32 v1, 0x100, v0
	v_cmp_gt_u32_e64 s[0:1], s2, v1
	v_cmp_le_u32_e64 s[2:3], s2, v1
	s_and_saveexec_b64 s[14:15], s[2:3]
	s_xor_b64 s[2:3], exec, s[14:15]
; %bb.6:
	v_mov_b32_e32 v1, 0
                                        ; implicit-def: $vgpr8
; %bb.7:
	s_andn2_saveexec_b64 s[2:3], s[2:3]
	s_cbranch_execz .LBB3438_9
; %bb.8:
	global_load_dwordx2 v[4:5], v8, s[10:11] offset:2048
	v_mov_b32_e32 v1, 0
.LBB3438_9:
	s_or_b64 exec, exec, s[2:3]
	s_add_u32 s2, s7, s8
	s_addc_u32 s3, s13, s9
	v_lshlrev_b64 v[0:1], 3, v[0:1]
	v_mov_b32_e32 v7, s3
	v_add_co_u32_e64 v6, s[2:3], s2, v0
	v_addc_co_u32_e64 v7, s[2:3], v7, v1, s[2:3]
	s_and_saveexec_b64 s[2:3], vcc
	s_cbranch_execz .LBB3438_11
; %bb.10:
	s_waitcnt vmcnt(0)
	flat_store_dwordx2 v[6:7], v[2:3]
.LBB3438_11:
	s_or_b64 exec, exec, s[2:3]
	s_and_saveexec_b64 s[2:3], s[0:1]
; %bb.12:
	s_or_b64 s[4:5], s[4:5], exec
; %bb.13:
	s_or_b64 exec, exec, s[2:3]
.LBB3438_14:
	s_and_saveexec_b64 s[0:1], s[4:5]
	s_cbranch_execnz .LBB3438_16
; %bb.15:
	s_endpgm
.LBB3438_16:
	s_waitcnt vmcnt(0)
	flat_store_dwordx2 v[6:7], v[4:5] offset:2048
	s_endpgm
	.section	.rodata,"a",@progbits
	.p2align	6, 0x0
	.amdhsa_kernel _ZN7rocprim17ROCPRIM_400000_NS6detail17trampoline_kernelINS0_14default_configENS1_25transform_config_selectorIxLb0EEEZNS1_14transform_implILb0ES3_S5_PxN6thrust23THRUST_200600_302600_NS6detail15normal_iteratorINS9_10device_ptrIxEEEENS0_8identityIxEEEE10hipError_tT2_T3_mT4_P12ihipStream_tbEUlT_E_NS1_11comp_targetILNS1_3genE4ELNS1_11target_archE910ELNS1_3gpuE8ELNS1_3repE0EEENS1_30default_config_static_selectorELNS0_4arch9wavefront6targetE1EEEvT1_
		.amdhsa_group_segment_fixed_size 0
		.amdhsa_private_segment_fixed_size 0
		.amdhsa_kernarg_size 296
		.amdhsa_user_sgpr_count 6
		.amdhsa_user_sgpr_private_segment_buffer 1
		.amdhsa_user_sgpr_dispatch_ptr 0
		.amdhsa_user_sgpr_queue_ptr 0
		.amdhsa_user_sgpr_kernarg_segment_ptr 1
		.amdhsa_user_sgpr_dispatch_id 0
		.amdhsa_user_sgpr_flat_scratch_init 0
		.amdhsa_user_sgpr_kernarg_preload_length 0
		.amdhsa_user_sgpr_kernarg_preload_offset 0
		.amdhsa_user_sgpr_private_segment_size 0
		.amdhsa_uses_dynamic_stack 0
		.amdhsa_system_sgpr_private_segment_wavefront_offset 0
		.amdhsa_system_sgpr_workgroup_id_x 1
		.amdhsa_system_sgpr_workgroup_id_y 0
		.amdhsa_system_sgpr_workgroup_id_z 0
		.amdhsa_system_sgpr_workgroup_info 0
		.amdhsa_system_vgpr_workitem_id 0
		.amdhsa_next_free_vgpr 9
		.amdhsa_next_free_sgpr 16
		.amdhsa_accum_offset 12
		.amdhsa_reserve_vcc 1
		.amdhsa_reserve_flat_scratch 0
		.amdhsa_float_round_mode_32 0
		.amdhsa_float_round_mode_16_64 0
		.amdhsa_float_denorm_mode_32 3
		.amdhsa_float_denorm_mode_16_64 3
		.amdhsa_dx10_clamp 1
		.amdhsa_ieee_mode 1
		.amdhsa_fp16_overflow 0
		.amdhsa_tg_split 0
		.amdhsa_exception_fp_ieee_invalid_op 0
		.amdhsa_exception_fp_denorm_src 0
		.amdhsa_exception_fp_ieee_div_zero 0
		.amdhsa_exception_fp_ieee_overflow 0
		.amdhsa_exception_fp_ieee_underflow 0
		.amdhsa_exception_fp_ieee_inexact 0
		.amdhsa_exception_int_div_zero 0
	.end_amdhsa_kernel
	.section	.text._ZN7rocprim17ROCPRIM_400000_NS6detail17trampoline_kernelINS0_14default_configENS1_25transform_config_selectorIxLb0EEEZNS1_14transform_implILb0ES3_S5_PxN6thrust23THRUST_200600_302600_NS6detail15normal_iteratorINS9_10device_ptrIxEEEENS0_8identityIxEEEE10hipError_tT2_T3_mT4_P12ihipStream_tbEUlT_E_NS1_11comp_targetILNS1_3genE4ELNS1_11target_archE910ELNS1_3gpuE8ELNS1_3repE0EEENS1_30default_config_static_selectorELNS0_4arch9wavefront6targetE1EEEvT1_,"axG",@progbits,_ZN7rocprim17ROCPRIM_400000_NS6detail17trampoline_kernelINS0_14default_configENS1_25transform_config_selectorIxLb0EEEZNS1_14transform_implILb0ES3_S5_PxN6thrust23THRUST_200600_302600_NS6detail15normal_iteratorINS9_10device_ptrIxEEEENS0_8identityIxEEEE10hipError_tT2_T3_mT4_P12ihipStream_tbEUlT_E_NS1_11comp_targetILNS1_3genE4ELNS1_11target_archE910ELNS1_3gpuE8ELNS1_3repE0EEENS1_30default_config_static_selectorELNS0_4arch9wavefront6targetE1EEEvT1_,comdat
.Lfunc_end3438:
	.size	_ZN7rocprim17ROCPRIM_400000_NS6detail17trampoline_kernelINS0_14default_configENS1_25transform_config_selectorIxLb0EEEZNS1_14transform_implILb0ES3_S5_PxN6thrust23THRUST_200600_302600_NS6detail15normal_iteratorINS9_10device_ptrIxEEEENS0_8identityIxEEEE10hipError_tT2_T3_mT4_P12ihipStream_tbEUlT_E_NS1_11comp_targetILNS1_3genE4ELNS1_11target_archE910ELNS1_3gpuE8ELNS1_3repE0EEENS1_30default_config_static_selectorELNS0_4arch9wavefront6targetE1EEEvT1_, .Lfunc_end3438-_ZN7rocprim17ROCPRIM_400000_NS6detail17trampoline_kernelINS0_14default_configENS1_25transform_config_selectorIxLb0EEEZNS1_14transform_implILb0ES3_S5_PxN6thrust23THRUST_200600_302600_NS6detail15normal_iteratorINS9_10device_ptrIxEEEENS0_8identityIxEEEE10hipError_tT2_T3_mT4_P12ihipStream_tbEUlT_E_NS1_11comp_targetILNS1_3genE4ELNS1_11target_archE910ELNS1_3gpuE8ELNS1_3repE0EEENS1_30default_config_static_selectorELNS0_4arch9wavefront6targetE1EEEvT1_
                                        ; -- End function
	.section	.AMDGPU.csdata,"",@progbits
; Kernel info:
; codeLenInByte = 328
; NumSgprs: 20
; NumVgprs: 9
; NumAgprs: 0
; TotalNumVgprs: 9
; ScratchSize: 0
; MemoryBound: 0
; FloatMode: 240
; IeeeMode: 1
; LDSByteSize: 0 bytes/workgroup (compile time only)
; SGPRBlocks: 2
; VGPRBlocks: 1
; NumSGPRsForWavesPerEU: 20
; NumVGPRsForWavesPerEU: 9
; AccumOffset: 12
; Occupancy: 8
; WaveLimiterHint : 1
; COMPUTE_PGM_RSRC2:SCRATCH_EN: 0
; COMPUTE_PGM_RSRC2:USER_SGPR: 6
; COMPUTE_PGM_RSRC2:TRAP_HANDLER: 0
; COMPUTE_PGM_RSRC2:TGID_X_EN: 1
; COMPUTE_PGM_RSRC2:TGID_Y_EN: 0
; COMPUTE_PGM_RSRC2:TGID_Z_EN: 0
; COMPUTE_PGM_RSRC2:TIDIG_COMP_CNT: 0
; COMPUTE_PGM_RSRC3_GFX90A:ACCUM_OFFSET: 2
; COMPUTE_PGM_RSRC3_GFX90A:TG_SPLIT: 0
	.section	.text._ZN7rocprim17ROCPRIM_400000_NS6detail17trampoline_kernelINS0_14default_configENS1_25transform_config_selectorIxLb0EEEZNS1_14transform_implILb0ES3_S5_PxN6thrust23THRUST_200600_302600_NS6detail15normal_iteratorINS9_10device_ptrIxEEEENS0_8identityIxEEEE10hipError_tT2_T3_mT4_P12ihipStream_tbEUlT_E_NS1_11comp_targetILNS1_3genE3ELNS1_11target_archE908ELNS1_3gpuE7ELNS1_3repE0EEENS1_30default_config_static_selectorELNS0_4arch9wavefront6targetE1EEEvT1_,"axG",@progbits,_ZN7rocprim17ROCPRIM_400000_NS6detail17trampoline_kernelINS0_14default_configENS1_25transform_config_selectorIxLb0EEEZNS1_14transform_implILb0ES3_S5_PxN6thrust23THRUST_200600_302600_NS6detail15normal_iteratorINS9_10device_ptrIxEEEENS0_8identityIxEEEE10hipError_tT2_T3_mT4_P12ihipStream_tbEUlT_E_NS1_11comp_targetILNS1_3genE3ELNS1_11target_archE908ELNS1_3gpuE7ELNS1_3repE0EEENS1_30default_config_static_selectorELNS0_4arch9wavefront6targetE1EEEvT1_,comdat
	.protected	_ZN7rocprim17ROCPRIM_400000_NS6detail17trampoline_kernelINS0_14default_configENS1_25transform_config_selectorIxLb0EEEZNS1_14transform_implILb0ES3_S5_PxN6thrust23THRUST_200600_302600_NS6detail15normal_iteratorINS9_10device_ptrIxEEEENS0_8identityIxEEEE10hipError_tT2_T3_mT4_P12ihipStream_tbEUlT_E_NS1_11comp_targetILNS1_3genE3ELNS1_11target_archE908ELNS1_3gpuE7ELNS1_3repE0EEENS1_30default_config_static_selectorELNS0_4arch9wavefront6targetE1EEEvT1_ ; -- Begin function _ZN7rocprim17ROCPRIM_400000_NS6detail17trampoline_kernelINS0_14default_configENS1_25transform_config_selectorIxLb0EEEZNS1_14transform_implILb0ES3_S5_PxN6thrust23THRUST_200600_302600_NS6detail15normal_iteratorINS9_10device_ptrIxEEEENS0_8identityIxEEEE10hipError_tT2_T3_mT4_P12ihipStream_tbEUlT_E_NS1_11comp_targetILNS1_3genE3ELNS1_11target_archE908ELNS1_3gpuE7ELNS1_3repE0EEENS1_30default_config_static_selectorELNS0_4arch9wavefront6targetE1EEEvT1_
	.globl	_ZN7rocprim17ROCPRIM_400000_NS6detail17trampoline_kernelINS0_14default_configENS1_25transform_config_selectorIxLb0EEEZNS1_14transform_implILb0ES3_S5_PxN6thrust23THRUST_200600_302600_NS6detail15normal_iteratorINS9_10device_ptrIxEEEENS0_8identityIxEEEE10hipError_tT2_T3_mT4_P12ihipStream_tbEUlT_E_NS1_11comp_targetILNS1_3genE3ELNS1_11target_archE908ELNS1_3gpuE7ELNS1_3repE0EEENS1_30default_config_static_selectorELNS0_4arch9wavefront6targetE1EEEvT1_
	.p2align	8
	.type	_ZN7rocprim17ROCPRIM_400000_NS6detail17trampoline_kernelINS0_14default_configENS1_25transform_config_selectorIxLb0EEEZNS1_14transform_implILb0ES3_S5_PxN6thrust23THRUST_200600_302600_NS6detail15normal_iteratorINS9_10device_ptrIxEEEENS0_8identityIxEEEE10hipError_tT2_T3_mT4_P12ihipStream_tbEUlT_E_NS1_11comp_targetILNS1_3genE3ELNS1_11target_archE908ELNS1_3gpuE7ELNS1_3repE0EEENS1_30default_config_static_selectorELNS0_4arch9wavefront6targetE1EEEvT1_,@function
_ZN7rocprim17ROCPRIM_400000_NS6detail17trampoline_kernelINS0_14default_configENS1_25transform_config_selectorIxLb0EEEZNS1_14transform_implILb0ES3_S5_PxN6thrust23THRUST_200600_302600_NS6detail15normal_iteratorINS9_10device_ptrIxEEEENS0_8identityIxEEEE10hipError_tT2_T3_mT4_P12ihipStream_tbEUlT_E_NS1_11comp_targetILNS1_3genE3ELNS1_11target_archE908ELNS1_3gpuE7ELNS1_3repE0EEENS1_30default_config_static_selectorELNS0_4arch9wavefront6targetE1EEEvT1_: ; @_ZN7rocprim17ROCPRIM_400000_NS6detail17trampoline_kernelINS0_14default_configENS1_25transform_config_selectorIxLb0EEEZNS1_14transform_implILb0ES3_S5_PxN6thrust23THRUST_200600_302600_NS6detail15normal_iteratorINS9_10device_ptrIxEEEENS0_8identityIxEEEE10hipError_tT2_T3_mT4_P12ihipStream_tbEUlT_E_NS1_11comp_targetILNS1_3genE3ELNS1_11target_archE908ELNS1_3gpuE7ELNS1_3repE0EEENS1_30default_config_static_selectorELNS0_4arch9wavefront6targetE1EEEvT1_
; %bb.0:
	.section	.rodata,"a",@progbits
	.p2align	6, 0x0
	.amdhsa_kernel _ZN7rocprim17ROCPRIM_400000_NS6detail17trampoline_kernelINS0_14default_configENS1_25transform_config_selectorIxLb0EEEZNS1_14transform_implILb0ES3_S5_PxN6thrust23THRUST_200600_302600_NS6detail15normal_iteratorINS9_10device_ptrIxEEEENS0_8identityIxEEEE10hipError_tT2_T3_mT4_P12ihipStream_tbEUlT_E_NS1_11comp_targetILNS1_3genE3ELNS1_11target_archE908ELNS1_3gpuE7ELNS1_3repE0EEENS1_30default_config_static_selectorELNS0_4arch9wavefront6targetE1EEEvT1_
		.amdhsa_group_segment_fixed_size 0
		.amdhsa_private_segment_fixed_size 0
		.amdhsa_kernarg_size 40
		.amdhsa_user_sgpr_count 6
		.amdhsa_user_sgpr_private_segment_buffer 1
		.amdhsa_user_sgpr_dispatch_ptr 0
		.amdhsa_user_sgpr_queue_ptr 0
		.amdhsa_user_sgpr_kernarg_segment_ptr 1
		.amdhsa_user_sgpr_dispatch_id 0
		.amdhsa_user_sgpr_flat_scratch_init 0
		.amdhsa_user_sgpr_kernarg_preload_length 0
		.amdhsa_user_sgpr_kernarg_preload_offset 0
		.amdhsa_user_sgpr_private_segment_size 0
		.amdhsa_uses_dynamic_stack 0
		.amdhsa_system_sgpr_private_segment_wavefront_offset 0
		.amdhsa_system_sgpr_workgroup_id_x 1
		.amdhsa_system_sgpr_workgroup_id_y 0
		.amdhsa_system_sgpr_workgroup_id_z 0
		.amdhsa_system_sgpr_workgroup_info 0
		.amdhsa_system_vgpr_workitem_id 0
		.amdhsa_next_free_vgpr 1
		.amdhsa_next_free_sgpr 0
		.amdhsa_accum_offset 4
		.amdhsa_reserve_vcc 0
		.amdhsa_reserve_flat_scratch 0
		.amdhsa_float_round_mode_32 0
		.amdhsa_float_round_mode_16_64 0
		.amdhsa_float_denorm_mode_32 3
		.amdhsa_float_denorm_mode_16_64 3
		.amdhsa_dx10_clamp 1
		.amdhsa_ieee_mode 1
		.amdhsa_fp16_overflow 0
		.amdhsa_tg_split 0
		.amdhsa_exception_fp_ieee_invalid_op 0
		.amdhsa_exception_fp_denorm_src 0
		.amdhsa_exception_fp_ieee_div_zero 0
		.amdhsa_exception_fp_ieee_overflow 0
		.amdhsa_exception_fp_ieee_underflow 0
		.amdhsa_exception_fp_ieee_inexact 0
		.amdhsa_exception_int_div_zero 0
	.end_amdhsa_kernel
	.section	.text._ZN7rocprim17ROCPRIM_400000_NS6detail17trampoline_kernelINS0_14default_configENS1_25transform_config_selectorIxLb0EEEZNS1_14transform_implILb0ES3_S5_PxN6thrust23THRUST_200600_302600_NS6detail15normal_iteratorINS9_10device_ptrIxEEEENS0_8identityIxEEEE10hipError_tT2_T3_mT4_P12ihipStream_tbEUlT_E_NS1_11comp_targetILNS1_3genE3ELNS1_11target_archE908ELNS1_3gpuE7ELNS1_3repE0EEENS1_30default_config_static_selectorELNS0_4arch9wavefront6targetE1EEEvT1_,"axG",@progbits,_ZN7rocprim17ROCPRIM_400000_NS6detail17trampoline_kernelINS0_14default_configENS1_25transform_config_selectorIxLb0EEEZNS1_14transform_implILb0ES3_S5_PxN6thrust23THRUST_200600_302600_NS6detail15normal_iteratorINS9_10device_ptrIxEEEENS0_8identityIxEEEE10hipError_tT2_T3_mT4_P12ihipStream_tbEUlT_E_NS1_11comp_targetILNS1_3genE3ELNS1_11target_archE908ELNS1_3gpuE7ELNS1_3repE0EEENS1_30default_config_static_selectorELNS0_4arch9wavefront6targetE1EEEvT1_,comdat
.Lfunc_end3439:
	.size	_ZN7rocprim17ROCPRIM_400000_NS6detail17trampoline_kernelINS0_14default_configENS1_25transform_config_selectorIxLb0EEEZNS1_14transform_implILb0ES3_S5_PxN6thrust23THRUST_200600_302600_NS6detail15normal_iteratorINS9_10device_ptrIxEEEENS0_8identityIxEEEE10hipError_tT2_T3_mT4_P12ihipStream_tbEUlT_E_NS1_11comp_targetILNS1_3genE3ELNS1_11target_archE908ELNS1_3gpuE7ELNS1_3repE0EEENS1_30default_config_static_selectorELNS0_4arch9wavefront6targetE1EEEvT1_, .Lfunc_end3439-_ZN7rocprim17ROCPRIM_400000_NS6detail17trampoline_kernelINS0_14default_configENS1_25transform_config_selectorIxLb0EEEZNS1_14transform_implILb0ES3_S5_PxN6thrust23THRUST_200600_302600_NS6detail15normal_iteratorINS9_10device_ptrIxEEEENS0_8identityIxEEEE10hipError_tT2_T3_mT4_P12ihipStream_tbEUlT_E_NS1_11comp_targetILNS1_3genE3ELNS1_11target_archE908ELNS1_3gpuE7ELNS1_3repE0EEENS1_30default_config_static_selectorELNS0_4arch9wavefront6targetE1EEEvT1_
                                        ; -- End function
	.section	.AMDGPU.csdata,"",@progbits
; Kernel info:
; codeLenInByte = 0
; NumSgprs: 4
; NumVgprs: 0
; NumAgprs: 0
; TotalNumVgprs: 0
; ScratchSize: 0
; MemoryBound: 0
; FloatMode: 240
; IeeeMode: 1
; LDSByteSize: 0 bytes/workgroup (compile time only)
; SGPRBlocks: 0
; VGPRBlocks: 0
; NumSGPRsForWavesPerEU: 4
; NumVGPRsForWavesPerEU: 1
; AccumOffset: 4
; Occupancy: 8
; WaveLimiterHint : 0
; COMPUTE_PGM_RSRC2:SCRATCH_EN: 0
; COMPUTE_PGM_RSRC2:USER_SGPR: 6
; COMPUTE_PGM_RSRC2:TRAP_HANDLER: 0
; COMPUTE_PGM_RSRC2:TGID_X_EN: 1
; COMPUTE_PGM_RSRC2:TGID_Y_EN: 0
; COMPUTE_PGM_RSRC2:TGID_Z_EN: 0
; COMPUTE_PGM_RSRC2:TIDIG_COMP_CNT: 0
; COMPUTE_PGM_RSRC3_GFX90A:ACCUM_OFFSET: 0
; COMPUTE_PGM_RSRC3_GFX90A:TG_SPLIT: 0
	.section	.text._ZN7rocprim17ROCPRIM_400000_NS6detail17trampoline_kernelINS0_14default_configENS1_25transform_config_selectorIxLb0EEEZNS1_14transform_implILb0ES3_S5_PxN6thrust23THRUST_200600_302600_NS6detail15normal_iteratorINS9_10device_ptrIxEEEENS0_8identityIxEEEE10hipError_tT2_T3_mT4_P12ihipStream_tbEUlT_E_NS1_11comp_targetILNS1_3genE2ELNS1_11target_archE906ELNS1_3gpuE6ELNS1_3repE0EEENS1_30default_config_static_selectorELNS0_4arch9wavefront6targetE1EEEvT1_,"axG",@progbits,_ZN7rocprim17ROCPRIM_400000_NS6detail17trampoline_kernelINS0_14default_configENS1_25transform_config_selectorIxLb0EEEZNS1_14transform_implILb0ES3_S5_PxN6thrust23THRUST_200600_302600_NS6detail15normal_iteratorINS9_10device_ptrIxEEEENS0_8identityIxEEEE10hipError_tT2_T3_mT4_P12ihipStream_tbEUlT_E_NS1_11comp_targetILNS1_3genE2ELNS1_11target_archE906ELNS1_3gpuE6ELNS1_3repE0EEENS1_30default_config_static_selectorELNS0_4arch9wavefront6targetE1EEEvT1_,comdat
	.protected	_ZN7rocprim17ROCPRIM_400000_NS6detail17trampoline_kernelINS0_14default_configENS1_25transform_config_selectorIxLb0EEEZNS1_14transform_implILb0ES3_S5_PxN6thrust23THRUST_200600_302600_NS6detail15normal_iteratorINS9_10device_ptrIxEEEENS0_8identityIxEEEE10hipError_tT2_T3_mT4_P12ihipStream_tbEUlT_E_NS1_11comp_targetILNS1_3genE2ELNS1_11target_archE906ELNS1_3gpuE6ELNS1_3repE0EEENS1_30default_config_static_selectorELNS0_4arch9wavefront6targetE1EEEvT1_ ; -- Begin function _ZN7rocprim17ROCPRIM_400000_NS6detail17trampoline_kernelINS0_14default_configENS1_25transform_config_selectorIxLb0EEEZNS1_14transform_implILb0ES3_S5_PxN6thrust23THRUST_200600_302600_NS6detail15normal_iteratorINS9_10device_ptrIxEEEENS0_8identityIxEEEE10hipError_tT2_T3_mT4_P12ihipStream_tbEUlT_E_NS1_11comp_targetILNS1_3genE2ELNS1_11target_archE906ELNS1_3gpuE6ELNS1_3repE0EEENS1_30default_config_static_selectorELNS0_4arch9wavefront6targetE1EEEvT1_
	.globl	_ZN7rocprim17ROCPRIM_400000_NS6detail17trampoline_kernelINS0_14default_configENS1_25transform_config_selectorIxLb0EEEZNS1_14transform_implILb0ES3_S5_PxN6thrust23THRUST_200600_302600_NS6detail15normal_iteratorINS9_10device_ptrIxEEEENS0_8identityIxEEEE10hipError_tT2_T3_mT4_P12ihipStream_tbEUlT_E_NS1_11comp_targetILNS1_3genE2ELNS1_11target_archE906ELNS1_3gpuE6ELNS1_3repE0EEENS1_30default_config_static_selectorELNS0_4arch9wavefront6targetE1EEEvT1_
	.p2align	8
	.type	_ZN7rocprim17ROCPRIM_400000_NS6detail17trampoline_kernelINS0_14default_configENS1_25transform_config_selectorIxLb0EEEZNS1_14transform_implILb0ES3_S5_PxN6thrust23THRUST_200600_302600_NS6detail15normal_iteratorINS9_10device_ptrIxEEEENS0_8identityIxEEEE10hipError_tT2_T3_mT4_P12ihipStream_tbEUlT_E_NS1_11comp_targetILNS1_3genE2ELNS1_11target_archE906ELNS1_3gpuE6ELNS1_3repE0EEENS1_30default_config_static_selectorELNS0_4arch9wavefront6targetE1EEEvT1_,@function
_ZN7rocprim17ROCPRIM_400000_NS6detail17trampoline_kernelINS0_14default_configENS1_25transform_config_selectorIxLb0EEEZNS1_14transform_implILb0ES3_S5_PxN6thrust23THRUST_200600_302600_NS6detail15normal_iteratorINS9_10device_ptrIxEEEENS0_8identityIxEEEE10hipError_tT2_T3_mT4_P12ihipStream_tbEUlT_E_NS1_11comp_targetILNS1_3genE2ELNS1_11target_archE906ELNS1_3gpuE6ELNS1_3repE0EEENS1_30default_config_static_selectorELNS0_4arch9wavefront6targetE1EEEvT1_: ; @_ZN7rocprim17ROCPRIM_400000_NS6detail17trampoline_kernelINS0_14default_configENS1_25transform_config_selectorIxLb0EEEZNS1_14transform_implILb0ES3_S5_PxN6thrust23THRUST_200600_302600_NS6detail15normal_iteratorINS9_10device_ptrIxEEEENS0_8identityIxEEEE10hipError_tT2_T3_mT4_P12ihipStream_tbEUlT_E_NS1_11comp_targetILNS1_3genE2ELNS1_11target_archE906ELNS1_3gpuE6ELNS1_3repE0EEENS1_30default_config_static_selectorELNS0_4arch9wavefront6targetE1EEEvT1_
; %bb.0:
	.section	.rodata,"a",@progbits
	.p2align	6, 0x0
	.amdhsa_kernel _ZN7rocprim17ROCPRIM_400000_NS6detail17trampoline_kernelINS0_14default_configENS1_25transform_config_selectorIxLb0EEEZNS1_14transform_implILb0ES3_S5_PxN6thrust23THRUST_200600_302600_NS6detail15normal_iteratorINS9_10device_ptrIxEEEENS0_8identityIxEEEE10hipError_tT2_T3_mT4_P12ihipStream_tbEUlT_E_NS1_11comp_targetILNS1_3genE2ELNS1_11target_archE906ELNS1_3gpuE6ELNS1_3repE0EEENS1_30default_config_static_selectorELNS0_4arch9wavefront6targetE1EEEvT1_
		.amdhsa_group_segment_fixed_size 0
		.amdhsa_private_segment_fixed_size 0
		.amdhsa_kernarg_size 40
		.amdhsa_user_sgpr_count 6
		.amdhsa_user_sgpr_private_segment_buffer 1
		.amdhsa_user_sgpr_dispatch_ptr 0
		.amdhsa_user_sgpr_queue_ptr 0
		.amdhsa_user_sgpr_kernarg_segment_ptr 1
		.amdhsa_user_sgpr_dispatch_id 0
		.amdhsa_user_sgpr_flat_scratch_init 0
		.amdhsa_user_sgpr_kernarg_preload_length 0
		.amdhsa_user_sgpr_kernarg_preload_offset 0
		.amdhsa_user_sgpr_private_segment_size 0
		.amdhsa_uses_dynamic_stack 0
		.amdhsa_system_sgpr_private_segment_wavefront_offset 0
		.amdhsa_system_sgpr_workgroup_id_x 1
		.amdhsa_system_sgpr_workgroup_id_y 0
		.amdhsa_system_sgpr_workgroup_id_z 0
		.amdhsa_system_sgpr_workgroup_info 0
		.amdhsa_system_vgpr_workitem_id 0
		.amdhsa_next_free_vgpr 1
		.amdhsa_next_free_sgpr 0
		.amdhsa_accum_offset 4
		.amdhsa_reserve_vcc 0
		.amdhsa_reserve_flat_scratch 0
		.amdhsa_float_round_mode_32 0
		.amdhsa_float_round_mode_16_64 0
		.amdhsa_float_denorm_mode_32 3
		.amdhsa_float_denorm_mode_16_64 3
		.amdhsa_dx10_clamp 1
		.amdhsa_ieee_mode 1
		.amdhsa_fp16_overflow 0
		.amdhsa_tg_split 0
		.amdhsa_exception_fp_ieee_invalid_op 0
		.amdhsa_exception_fp_denorm_src 0
		.amdhsa_exception_fp_ieee_div_zero 0
		.amdhsa_exception_fp_ieee_overflow 0
		.amdhsa_exception_fp_ieee_underflow 0
		.amdhsa_exception_fp_ieee_inexact 0
		.amdhsa_exception_int_div_zero 0
	.end_amdhsa_kernel
	.section	.text._ZN7rocprim17ROCPRIM_400000_NS6detail17trampoline_kernelINS0_14default_configENS1_25transform_config_selectorIxLb0EEEZNS1_14transform_implILb0ES3_S5_PxN6thrust23THRUST_200600_302600_NS6detail15normal_iteratorINS9_10device_ptrIxEEEENS0_8identityIxEEEE10hipError_tT2_T3_mT4_P12ihipStream_tbEUlT_E_NS1_11comp_targetILNS1_3genE2ELNS1_11target_archE906ELNS1_3gpuE6ELNS1_3repE0EEENS1_30default_config_static_selectorELNS0_4arch9wavefront6targetE1EEEvT1_,"axG",@progbits,_ZN7rocprim17ROCPRIM_400000_NS6detail17trampoline_kernelINS0_14default_configENS1_25transform_config_selectorIxLb0EEEZNS1_14transform_implILb0ES3_S5_PxN6thrust23THRUST_200600_302600_NS6detail15normal_iteratorINS9_10device_ptrIxEEEENS0_8identityIxEEEE10hipError_tT2_T3_mT4_P12ihipStream_tbEUlT_E_NS1_11comp_targetILNS1_3genE2ELNS1_11target_archE906ELNS1_3gpuE6ELNS1_3repE0EEENS1_30default_config_static_selectorELNS0_4arch9wavefront6targetE1EEEvT1_,comdat
.Lfunc_end3440:
	.size	_ZN7rocprim17ROCPRIM_400000_NS6detail17trampoline_kernelINS0_14default_configENS1_25transform_config_selectorIxLb0EEEZNS1_14transform_implILb0ES3_S5_PxN6thrust23THRUST_200600_302600_NS6detail15normal_iteratorINS9_10device_ptrIxEEEENS0_8identityIxEEEE10hipError_tT2_T3_mT4_P12ihipStream_tbEUlT_E_NS1_11comp_targetILNS1_3genE2ELNS1_11target_archE906ELNS1_3gpuE6ELNS1_3repE0EEENS1_30default_config_static_selectorELNS0_4arch9wavefront6targetE1EEEvT1_, .Lfunc_end3440-_ZN7rocprim17ROCPRIM_400000_NS6detail17trampoline_kernelINS0_14default_configENS1_25transform_config_selectorIxLb0EEEZNS1_14transform_implILb0ES3_S5_PxN6thrust23THRUST_200600_302600_NS6detail15normal_iteratorINS9_10device_ptrIxEEEENS0_8identityIxEEEE10hipError_tT2_T3_mT4_P12ihipStream_tbEUlT_E_NS1_11comp_targetILNS1_3genE2ELNS1_11target_archE906ELNS1_3gpuE6ELNS1_3repE0EEENS1_30default_config_static_selectorELNS0_4arch9wavefront6targetE1EEEvT1_
                                        ; -- End function
	.section	.AMDGPU.csdata,"",@progbits
; Kernel info:
; codeLenInByte = 0
; NumSgprs: 4
; NumVgprs: 0
; NumAgprs: 0
; TotalNumVgprs: 0
; ScratchSize: 0
; MemoryBound: 0
; FloatMode: 240
; IeeeMode: 1
; LDSByteSize: 0 bytes/workgroup (compile time only)
; SGPRBlocks: 0
; VGPRBlocks: 0
; NumSGPRsForWavesPerEU: 4
; NumVGPRsForWavesPerEU: 1
; AccumOffset: 4
; Occupancy: 8
; WaveLimiterHint : 0
; COMPUTE_PGM_RSRC2:SCRATCH_EN: 0
; COMPUTE_PGM_RSRC2:USER_SGPR: 6
; COMPUTE_PGM_RSRC2:TRAP_HANDLER: 0
; COMPUTE_PGM_RSRC2:TGID_X_EN: 1
; COMPUTE_PGM_RSRC2:TGID_Y_EN: 0
; COMPUTE_PGM_RSRC2:TGID_Z_EN: 0
; COMPUTE_PGM_RSRC2:TIDIG_COMP_CNT: 0
; COMPUTE_PGM_RSRC3_GFX90A:ACCUM_OFFSET: 0
; COMPUTE_PGM_RSRC3_GFX90A:TG_SPLIT: 0
	.section	.text._ZN7rocprim17ROCPRIM_400000_NS6detail17trampoline_kernelINS0_14default_configENS1_25transform_config_selectorIxLb0EEEZNS1_14transform_implILb0ES3_S5_PxN6thrust23THRUST_200600_302600_NS6detail15normal_iteratorINS9_10device_ptrIxEEEENS0_8identityIxEEEE10hipError_tT2_T3_mT4_P12ihipStream_tbEUlT_E_NS1_11comp_targetILNS1_3genE10ELNS1_11target_archE1201ELNS1_3gpuE5ELNS1_3repE0EEENS1_30default_config_static_selectorELNS0_4arch9wavefront6targetE1EEEvT1_,"axG",@progbits,_ZN7rocprim17ROCPRIM_400000_NS6detail17trampoline_kernelINS0_14default_configENS1_25transform_config_selectorIxLb0EEEZNS1_14transform_implILb0ES3_S5_PxN6thrust23THRUST_200600_302600_NS6detail15normal_iteratorINS9_10device_ptrIxEEEENS0_8identityIxEEEE10hipError_tT2_T3_mT4_P12ihipStream_tbEUlT_E_NS1_11comp_targetILNS1_3genE10ELNS1_11target_archE1201ELNS1_3gpuE5ELNS1_3repE0EEENS1_30default_config_static_selectorELNS0_4arch9wavefront6targetE1EEEvT1_,comdat
	.protected	_ZN7rocprim17ROCPRIM_400000_NS6detail17trampoline_kernelINS0_14default_configENS1_25transform_config_selectorIxLb0EEEZNS1_14transform_implILb0ES3_S5_PxN6thrust23THRUST_200600_302600_NS6detail15normal_iteratorINS9_10device_ptrIxEEEENS0_8identityIxEEEE10hipError_tT2_T3_mT4_P12ihipStream_tbEUlT_E_NS1_11comp_targetILNS1_3genE10ELNS1_11target_archE1201ELNS1_3gpuE5ELNS1_3repE0EEENS1_30default_config_static_selectorELNS0_4arch9wavefront6targetE1EEEvT1_ ; -- Begin function _ZN7rocprim17ROCPRIM_400000_NS6detail17trampoline_kernelINS0_14default_configENS1_25transform_config_selectorIxLb0EEEZNS1_14transform_implILb0ES3_S5_PxN6thrust23THRUST_200600_302600_NS6detail15normal_iteratorINS9_10device_ptrIxEEEENS0_8identityIxEEEE10hipError_tT2_T3_mT4_P12ihipStream_tbEUlT_E_NS1_11comp_targetILNS1_3genE10ELNS1_11target_archE1201ELNS1_3gpuE5ELNS1_3repE0EEENS1_30default_config_static_selectorELNS0_4arch9wavefront6targetE1EEEvT1_
	.globl	_ZN7rocprim17ROCPRIM_400000_NS6detail17trampoline_kernelINS0_14default_configENS1_25transform_config_selectorIxLb0EEEZNS1_14transform_implILb0ES3_S5_PxN6thrust23THRUST_200600_302600_NS6detail15normal_iteratorINS9_10device_ptrIxEEEENS0_8identityIxEEEE10hipError_tT2_T3_mT4_P12ihipStream_tbEUlT_E_NS1_11comp_targetILNS1_3genE10ELNS1_11target_archE1201ELNS1_3gpuE5ELNS1_3repE0EEENS1_30default_config_static_selectorELNS0_4arch9wavefront6targetE1EEEvT1_
	.p2align	8
	.type	_ZN7rocprim17ROCPRIM_400000_NS6detail17trampoline_kernelINS0_14default_configENS1_25transform_config_selectorIxLb0EEEZNS1_14transform_implILb0ES3_S5_PxN6thrust23THRUST_200600_302600_NS6detail15normal_iteratorINS9_10device_ptrIxEEEENS0_8identityIxEEEE10hipError_tT2_T3_mT4_P12ihipStream_tbEUlT_E_NS1_11comp_targetILNS1_3genE10ELNS1_11target_archE1201ELNS1_3gpuE5ELNS1_3repE0EEENS1_30default_config_static_selectorELNS0_4arch9wavefront6targetE1EEEvT1_,@function
_ZN7rocprim17ROCPRIM_400000_NS6detail17trampoline_kernelINS0_14default_configENS1_25transform_config_selectorIxLb0EEEZNS1_14transform_implILb0ES3_S5_PxN6thrust23THRUST_200600_302600_NS6detail15normal_iteratorINS9_10device_ptrIxEEEENS0_8identityIxEEEE10hipError_tT2_T3_mT4_P12ihipStream_tbEUlT_E_NS1_11comp_targetILNS1_3genE10ELNS1_11target_archE1201ELNS1_3gpuE5ELNS1_3repE0EEENS1_30default_config_static_selectorELNS0_4arch9wavefront6targetE1EEEvT1_: ; @_ZN7rocprim17ROCPRIM_400000_NS6detail17trampoline_kernelINS0_14default_configENS1_25transform_config_selectorIxLb0EEEZNS1_14transform_implILb0ES3_S5_PxN6thrust23THRUST_200600_302600_NS6detail15normal_iteratorINS9_10device_ptrIxEEEENS0_8identityIxEEEE10hipError_tT2_T3_mT4_P12ihipStream_tbEUlT_E_NS1_11comp_targetILNS1_3genE10ELNS1_11target_archE1201ELNS1_3gpuE5ELNS1_3repE0EEENS1_30default_config_static_selectorELNS0_4arch9wavefront6targetE1EEEvT1_
; %bb.0:
	.section	.rodata,"a",@progbits
	.p2align	6, 0x0
	.amdhsa_kernel _ZN7rocprim17ROCPRIM_400000_NS6detail17trampoline_kernelINS0_14default_configENS1_25transform_config_selectorIxLb0EEEZNS1_14transform_implILb0ES3_S5_PxN6thrust23THRUST_200600_302600_NS6detail15normal_iteratorINS9_10device_ptrIxEEEENS0_8identityIxEEEE10hipError_tT2_T3_mT4_P12ihipStream_tbEUlT_E_NS1_11comp_targetILNS1_3genE10ELNS1_11target_archE1201ELNS1_3gpuE5ELNS1_3repE0EEENS1_30default_config_static_selectorELNS0_4arch9wavefront6targetE1EEEvT1_
		.amdhsa_group_segment_fixed_size 0
		.amdhsa_private_segment_fixed_size 0
		.amdhsa_kernarg_size 40
		.amdhsa_user_sgpr_count 6
		.amdhsa_user_sgpr_private_segment_buffer 1
		.amdhsa_user_sgpr_dispatch_ptr 0
		.amdhsa_user_sgpr_queue_ptr 0
		.amdhsa_user_sgpr_kernarg_segment_ptr 1
		.amdhsa_user_sgpr_dispatch_id 0
		.amdhsa_user_sgpr_flat_scratch_init 0
		.amdhsa_user_sgpr_kernarg_preload_length 0
		.amdhsa_user_sgpr_kernarg_preload_offset 0
		.amdhsa_user_sgpr_private_segment_size 0
		.amdhsa_uses_dynamic_stack 0
		.amdhsa_system_sgpr_private_segment_wavefront_offset 0
		.amdhsa_system_sgpr_workgroup_id_x 1
		.amdhsa_system_sgpr_workgroup_id_y 0
		.amdhsa_system_sgpr_workgroup_id_z 0
		.amdhsa_system_sgpr_workgroup_info 0
		.amdhsa_system_vgpr_workitem_id 0
		.amdhsa_next_free_vgpr 1
		.amdhsa_next_free_sgpr 0
		.amdhsa_accum_offset 4
		.amdhsa_reserve_vcc 0
		.amdhsa_reserve_flat_scratch 0
		.amdhsa_float_round_mode_32 0
		.amdhsa_float_round_mode_16_64 0
		.amdhsa_float_denorm_mode_32 3
		.amdhsa_float_denorm_mode_16_64 3
		.amdhsa_dx10_clamp 1
		.amdhsa_ieee_mode 1
		.amdhsa_fp16_overflow 0
		.amdhsa_tg_split 0
		.amdhsa_exception_fp_ieee_invalid_op 0
		.amdhsa_exception_fp_denorm_src 0
		.amdhsa_exception_fp_ieee_div_zero 0
		.amdhsa_exception_fp_ieee_overflow 0
		.amdhsa_exception_fp_ieee_underflow 0
		.amdhsa_exception_fp_ieee_inexact 0
		.amdhsa_exception_int_div_zero 0
	.end_amdhsa_kernel
	.section	.text._ZN7rocprim17ROCPRIM_400000_NS6detail17trampoline_kernelINS0_14default_configENS1_25transform_config_selectorIxLb0EEEZNS1_14transform_implILb0ES3_S5_PxN6thrust23THRUST_200600_302600_NS6detail15normal_iteratorINS9_10device_ptrIxEEEENS0_8identityIxEEEE10hipError_tT2_T3_mT4_P12ihipStream_tbEUlT_E_NS1_11comp_targetILNS1_3genE10ELNS1_11target_archE1201ELNS1_3gpuE5ELNS1_3repE0EEENS1_30default_config_static_selectorELNS0_4arch9wavefront6targetE1EEEvT1_,"axG",@progbits,_ZN7rocprim17ROCPRIM_400000_NS6detail17trampoline_kernelINS0_14default_configENS1_25transform_config_selectorIxLb0EEEZNS1_14transform_implILb0ES3_S5_PxN6thrust23THRUST_200600_302600_NS6detail15normal_iteratorINS9_10device_ptrIxEEEENS0_8identityIxEEEE10hipError_tT2_T3_mT4_P12ihipStream_tbEUlT_E_NS1_11comp_targetILNS1_3genE10ELNS1_11target_archE1201ELNS1_3gpuE5ELNS1_3repE0EEENS1_30default_config_static_selectorELNS0_4arch9wavefront6targetE1EEEvT1_,comdat
.Lfunc_end3441:
	.size	_ZN7rocprim17ROCPRIM_400000_NS6detail17trampoline_kernelINS0_14default_configENS1_25transform_config_selectorIxLb0EEEZNS1_14transform_implILb0ES3_S5_PxN6thrust23THRUST_200600_302600_NS6detail15normal_iteratorINS9_10device_ptrIxEEEENS0_8identityIxEEEE10hipError_tT2_T3_mT4_P12ihipStream_tbEUlT_E_NS1_11comp_targetILNS1_3genE10ELNS1_11target_archE1201ELNS1_3gpuE5ELNS1_3repE0EEENS1_30default_config_static_selectorELNS0_4arch9wavefront6targetE1EEEvT1_, .Lfunc_end3441-_ZN7rocprim17ROCPRIM_400000_NS6detail17trampoline_kernelINS0_14default_configENS1_25transform_config_selectorIxLb0EEEZNS1_14transform_implILb0ES3_S5_PxN6thrust23THRUST_200600_302600_NS6detail15normal_iteratorINS9_10device_ptrIxEEEENS0_8identityIxEEEE10hipError_tT2_T3_mT4_P12ihipStream_tbEUlT_E_NS1_11comp_targetILNS1_3genE10ELNS1_11target_archE1201ELNS1_3gpuE5ELNS1_3repE0EEENS1_30default_config_static_selectorELNS0_4arch9wavefront6targetE1EEEvT1_
                                        ; -- End function
	.section	.AMDGPU.csdata,"",@progbits
; Kernel info:
; codeLenInByte = 0
; NumSgprs: 4
; NumVgprs: 0
; NumAgprs: 0
; TotalNumVgprs: 0
; ScratchSize: 0
; MemoryBound: 0
; FloatMode: 240
; IeeeMode: 1
; LDSByteSize: 0 bytes/workgroup (compile time only)
; SGPRBlocks: 0
; VGPRBlocks: 0
; NumSGPRsForWavesPerEU: 4
; NumVGPRsForWavesPerEU: 1
; AccumOffset: 4
; Occupancy: 8
; WaveLimiterHint : 0
; COMPUTE_PGM_RSRC2:SCRATCH_EN: 0
; COMPUTE_PGM_RSRC2:USER_SGPR: 6
; COMPUTE_PGM_RSRC2:TRAP_HANDLER: 0
; COMPUTE_PGM_RSRC2:TGID_X_EN: 1
; COMPUTE_PGM_RSRC2:TGID_Y_EN: 0
; COMPUTE_PGM_RSRC2:TGID_Z_EN: 0
; COMPUTE_PGM_RSRC2:TIDIG_COMP_CNT: 0
; COMPUTE_PGM_RSRC3_GFX90A:ACCUM_OFFSET: 0
; COMPUTE_PGM_RSRC3_GFX90A:TG_SPLIT: 0
	.section	.text._ZN7rocprim17ROCPRIM_400000_NS6detail17trampoline_kernelINS0_14default_configENS1_25transform_config_selectorIxLb0EEEZNS1_14transform_implILb0ES3_S5_PxN6thrust23THRUST_200600_302600_NS6detail15normal_iteratorINS9_10device_ptrIxEEEENS0_8identityIxEEEE10hipError_tT2_T3_mT4_P12ihipStream_tbEUlT_E_NS1_11comp_targetILNS1_3genE10ELNS1_11target_archE1200ELNS1_3gpuE4ELNS1_3repE0EEENS1_30default_config_static_selectorELNS0_4arch9wavefront6targetE1EEEvT1_,"axG",@progbits,_ZN7rocprim17ROCPRIM_400000_NS6detail17trampoline_kernelINS0_14default_configENS1_25transform_config_selectorIxLb0EEEZNS1_14transform_implILb0ES3_S5_PxN6thrust23THRUST_200600_302600_NS6detail15normal_iteratorINS9_10device_ptrIxEEEENS0_8identityIxEEEE10hipError_tT2_T3_mT4_P12ihipStream_tbEUlT_E_NS1_11comp_targetILNS1_3genE10ELNS1_11target_archE1200ELNS1_3gpuE4ELNS1_3repE0EEENS1_30default_config_static_selectorELNS0_4arch9wavefront6targetE1EEEvT1_,comdat
	.protected	_ZN7rocprim17ROCPRIM_400000_NS6detail17trampoline_kernelINS0_14default_configENS1_25transform_config_selectorIxLb0EEEZNS1_14transform_implILb0ES3_S5_PxN6thrust23THRUST_200600_302600_NS6detail15normal_iteratorINS9_10device_ptrIxEEEENS0_8identityIxEEEE10hipError_tT2_T3_mT4_P12ihipStream_tbEUlT_E_NS1_11comp_targetILNS1_3genE10ELNS1_11target_archE1200ELNS1_3gpuE4ELNS1_3repE0EEENS1_30default_config_static_selectorELNS0_4arch9wavefront6targetE1EEEvT1_ ; -- Begin function _ZN7rocprim17ROCPRIM_400000_NS6detail17trampoline_kernelINS0_14default_configENS1_25transform_config_selectorIxLb0EEEZNS1_14transform_implILb0ES3_S5_PxN6thrust23THRUST_200600_302600_NS6detail15normal_iteratorINS9_10device_ptrIxEEEENS0_8identityIxEEEE10hipError_tT2_T3_mT4_P12ihipStream_tbEUlT_E_NS1_11comp_targetILNS1_3genE10ELNS1_11target_archE1200ELNS1_3gpuE4ELNS1_3repE0EEENS1_30default_config_static_selectorELNS0_4arch9wavefront6targetE1EEEvT1_
	.globl	_ZN7rocprim17ROCPRIM_400000_NS6detail17trampoline_kernelINS0_14default_configENS1_25transform_config_selectorIxLb0EEEZNS1_14transform_implILb0ES3_S5_PxN6thrust23THRUST_200600_302600_NS6detail15normal_iteratorINS9_10device_ptrIxEEEENS0_8identityIxEEEE10hipError_tT2_T3_mT4_P12ihipStream_tbEUlT_E_NS1_11comp_targetILNS1_3genE10ELNS1_11target_archE1200ELNS1_3gpuE4ELNS1_3repE0EEENS1_30default_config_static_selectorELNS0_4arch9wavefront6targetE1EEEvT1_
	.p2align	8
	.type	_ZN7rocprim17ROCPRIM_400000_NS6detail17trampoline_kernelINS0_14default_configENS1_25transform_config_selectorIxLb0EEEZNS1_14transform_implILb0ES3_S5_PxN6thrust23THRUST_200600_302600_NS6detail15normal_iteratorINS9_10device_ptrIxEEEENS0_8identityIxEEEE10hipError_tT2_T3_mT4_P12ihipStream_tbEUlT_E_NS1_11comp_targetILNS1_3genE10ELNS1_11target_archE1200ELNS1_3gpuE4ELNS1_3repE0EEENS1_30default_config_static_selectorELNS0_4arch9wavefront6targetE1EEEvT1_,@function
_ZN7rocprim17ROCPRIM_400000_NS6detail17trampoline_kernelINS0_14default_configENS1_25transform_config_selectorIxLb0EEEZNS1_14transform_implILb0ES3_S5_PxN6thrust23THRUST_200600_302600_NS6detail15normal_iteratorINS9_10device_ptrIxEEEENS0_8identityIxEEEE10hipError_tT2_T3_mT4_P12ihipStream_tbEUlT_E_NS1_11comp_targetILNS1_3genE10ELNS1_11target_archE1200ELNS1_3gpuE4ELNS1_3repE0EEENS1_30default_config_static_selectorELNS0_4arch9wavefront6targetE1EEEvT1_: ; @_ZN7rocprim17ROCPRIM_400000_NS6detail17trampoline_kernelINS0_14default_configENS1_25transform_config_selectorIxLb0EEEZNS1_14transform_implILb0ES3_S5_PxN6thrust23THRUST_200600_302600_NS6detail15normal_iteratorINS9_10device_ptrIxEEEENS0_8identityIxEEEE10hipError_tT2_T3_mT4_P12ihipStream_tbEUlT_E_NS1_11comp_targetILNS1_3genE10ELNS1_11target_archE1200ELNS1_3gpuE4ELNS1_3repE0EEENS1_30default_config_static_selectorELNS0_4arch9wavefront6targetE1EEEvT1_
; %bb.0:
	.section	.rodata,"a",@progbits
	.p2align	6, 0x0
	.amdhsa_kernel _ZN7rocprim17ROCPRIM_400000_NS6detail17trampoline_kernelINS0_14default_configENS1_25transform_config_selectorIxLb0EEEZNS1_14transform_implILb0ES3_S5_PxN6thrust23THRUST_200600_302600_NS6detail15normal_iteratorINS9_10device_ptrIxEEEENS0_8identityIxEEEE10hipError_tT2_T3_mT4_P12ihipStream_tbEUlT_E_NS1_11comp_targetILNS1_3genE10ELNS1_11target_archE1200ELNS1_3gpuE4ELNS1_3repE0EEENS1_30default_config_static_selectorELNS0_4arch9wavefront6targetE1EEEvT1_
		.amdhsa_group_segment_fixed_size 0
		.amdhsa_private_segment_fixed_size 0
		.amdhsa_kernarg_size 40
		.amdhsa_user_sgpr_count 6
		.amdhsa_user_sgpr_private_segment_buffer 1
		.amdhsa_user_sgpr_dispatch_ptr 0
		.amdhsa_user_sgpr_queue_ptr 0
		.amdhsa_user_sgpr_kernarg_segment_ptr 1
		.amdhsa_user_sgpr_dispatch_id 0
		.amdhsa_user_sgpr_flat_scratch_init 0
		.amdhsa_user_sgpr_kernarg_preload_length 0
		.amdhsa_user_sgpr_kernarg_preload_offset 0
		.amdhsa_user_sgpr_private_segment_size 0
		.amdhsa_uses_dynamic_stack 0
		.amdhsa_system_sgpr_private_segment_wavefront_offset 0
		.amdhsa_system_sgpr_workgroup_id_x 1
		.amdhsa_system_sgpr_workgroup_id_y 0
		.amdhsa_system_sgpr_workgroup_id_z 0
		.amdhsa_system_sgpr_workgroup_info 0
		.amdhsa_system_vgpr_workitem_id 0
		.amdhsa_next_free_vgpr 1
		.amdhsa_next_free_sgpr 0
		.amdhsa_accum_offset 4
		.amdhsa_reserve_vcc 0
		.amdhsa_reserve_flat_scratch 0
		.amdhsa_float_round_mode_32 0
		.amdhsa_float_round_mode_16_64 0
		.amdhsa_float_denorm_mode_32 3
		.amdhsa_float_denorm_mode_16_64 3
		.amdhsa_dx10_clamp 1
		.amdhsa_ieee_mode 1
		.amdhsa_fp16_overflow 0
		.amdhsa_tg_split 0
		.amdhsa_exception_fp_ieee_invalid_op 0
		.amdhsa_exception_fp_denorm_src 0
		.amdhsa_exception_fp_ieee_div_zero 0
		.amdhsa_exception_fp_ieee_overflow 0
		.amdhsa_exception_fp_ieee_underflow 0
		.amdhsa_exception_fp_ieee_inexact 0
		.amdhsa_exception_int_div_zero 0
	.end_amdhsa_kernel
	.section	.text._ZN7rocprim17ROCPRIM_400000_NS6detail17trampoline_kernelINS0_14default_configENS1_25transform_config_selectorIxLb0EEEZNS1_14transform_implILb0ES3_S5_PxN6thrust23THRUST_200600_302600_NS6detail15normal_iteratorINS9_10device_ptrIxEEEENS0_8identityIxEEEE10hipError_tT2_T3_mT4_P12ihipStream_tbEUlT_E_NS1_11comp_targetILNS1_3genE10ELNS1_11target_archE1200ELNS1_3gpuE4ELNS1_3repE0EEENS1_30default_config_static_selectorELNS0_4arch9wavefront6targetE1EEEvT1_,"axG",@progbits,_ZN7rocprim17ROCPRIM_400000_NS6detail17trampoline_kernelINS0_14default_configENS1_25transform_config_selectorIxLb0EEEZNS1_14transform_implILb0ES3_S5_PxN6thrust23THRUST_200600_302600_NS6detail15normal_iteratorINS9_10device_ptrIxEEEENS0_8identityIxEEEE10hipError_tT2_T3_mT4_P12ihipStream_tbEUlT_E_NS1_11comp_targetILNS1_3genE10ELNS1_11target_archE1200ELNS1_3gpuE4ELNS1_3repE0EEENS1_30default_config_static_selectorELNS0_4arch9wavefront6targetE1EEEvT1_,comdat
.Lfunc_end3442:
	.size	_ZN7rocprim17ROCPRIM_400000_NS6detail17trampoline_kernelINS0_14default_configENS1_25transform_config_selectorIxLb0EEEZNS1_14transform_implILb0ES3_S5_PxN6thrust23THRUST_200600_302600_NS6detail15normal_iteratorINS9_10device_ptrIxEEEENS0_8identityIxEEEE10hipError_tT2_T3_mT4_P12ihipStream_tbEUlT_E_NS1_11comp_targetILNS1_3genE10ELNS1_11target_archE1200ELNS1_3gpuE4ELNS1_3repE0EEENS1_30default_config_static_selectorELNS0_4arch9wavefront6targetE1EEEvT1_, .Lfunc_end3442-_ZN7rocprim17ROCPRIM_400000_NS6detail17trampoline_kernelINS0_14default_configENS1_25transform_config_selectorIxLb0EEEZNS1_14transform_implILb0ES3_S5_PxN6thrust23THRUST_200600_302600_NS6detail15normal_iteratorINS9_10device_ptrIxEEEENS0_8identityIxEEEE10hipError_tT2_T3_mT4_P12ihipStream_tbEUlT_E_NS1_11comp_targetILNS1_3genE10ELNS1_11target_archE1200ELNS1_3gpuE4ELNS1_3repE0EEENS1_30default_config_static_selectorELNS0_4arch9wavefront6targetE1EEEvT1_
                                        ; -- End function
	.section	.AMDGPU.csdata,"",@progbits
; Kernel info:
; codeLenInByte = 0
; NumSgprs: 4
; NumVgprs: 0
; NumAgprs: 0
; TotalNumVgprs: 0
; ScratchSize: 0
; MemoryBound: 0
; FloatMode: 240
; IeeeMode: 1
; LDSByteSize: 0 bytes/workgroup (compile time only)
; SGPRBlocks: 0
; VGPRBlocks: 0
; NumSGPRsForWavesPerEU: 4
; NumVGPRsForWavesPerEU: 1
; AccumOffset: 4
; Occupancy: 8
; WaveLimiterHint : 0
; COMPUTE_PGM_RSRC2:SCRATCH_EN: 0
; COMPUTE_PGM_RSRC2:USER_SGPR: 6
; COMPUTE_PGM_RSRC2:TRAP_HANDLER: 0
; COMPUTE_PGM_RSRC2:TGID_X_EN: 1
; COMPUTE_PGM_RSRC2:TGID_Y_EN: 0
; COMPUTE_PGM_RSRC2:TGID_Z_EN: 0
; COMPUTE_PGM_RSRC2:TIDIG_COMP_CNT: 0
; COMPUTE_PGM_RSRC3_GFX90A:ACCUM_OFFSET: 0
; COMPUTE_PGM_RSRC3_GFX90A:TG_SPLIT: 0
	.section	.text._ZN7rocprim17ROCPRIM_400000_NS6detail17trampoline_kernelINS0_14default_configENS1_25transform_config_selectorIxLb0EEEZNS1_14transform_implILb0ES3_S5_PxN6thrust23THRUST_200600_302600_NS6detail15normal_iteratorINS9_10device_ptrIxEEEENS0_8identityIxEEEE10hipError_tT2_T3_mT4_P12ihipStream_tbEUlT_E_NS1_11comp_targetILNS1_3genE9ELNS1_11target_archE1100ELNS1_3gpuE3ELNS1_3repE0EEENS1_30default_config_static_selectorELNS0_4arch9wavefront6targetE1EEEvT1_,"axG",@progbits,_ZN7rocprim17ROCPRIM_400000_NS6detail17trampoline_kernelINS0_14default_configENS1_25transform_config_selectorIxLb0EEEZNS1_14transform_implILb0ES3_S5_PxN6thrust23THRUST_200600_302600_NS6detail15normal_iteratorINS9_10device_ptrIxEEEENS0_8identityIxEEEE10hipError_tT2_T3_mT4_P12ihipStream_tbEUlT_E_NS1_11comp_targetILNS1_3genE9ELNS1_11target_archE1100ELNS1_3gpuE3ELNS1_3repE0EEENS1_30default_config_static_selectorELNS0_4arch9wavefront6targetE1EEEvT1_,comdat
	.protected	_ZN7rocprim17ROCPRIM_400000_NS6detail17trampoline_kernelINS0_14default_configENS1_25transform_config_selectorIxLb0EEEZNS1_14transform_implILb0ES3_S5_PxN6thrust23THRUST_200600_302600_NS6detail15normal_iteratorINS9_10device_ptrIxEEEENS0_8identityIxEEEE10hipError_tT2_T3_mT4_P12ihipStream_tbEUlT_E_NS1_11comp_targetILNS1_3genE9ELNS1_11target_archE1100ELNS1_3gpuE3ELNS1_3repE0EEENS1_30default_config_static_selectorELNS0_4arch9wavefront6targetE1EEEvT1_ ; -- Begin function _ZN7rocprim17ROCPRIM_400000_NS6detail17trampoline_kernelINS0_14default_configENS1_25transform_config_selectorIxLb0EEEZNS1_14transform_implILb0ES3_S5_PxN6thrust23THRUST_200600_302600_NS6detail15normal_iteratorINS9_10device_ptrIxEEEENS0_8identityIxEEEE10hipError_tT2_T3_mT4_P12ihipStream_tbEUlT_E_NS1_11comp_targetILNS1_3genE9ELNS1_11target_archE1100ELNS1_3gpuE3ELNS1_3repE0EEENS1_30default_config_static_selectorELNS0_4arch9wavefront6targetE1EEEvT1_
	.globl	_ZN7rocprim17ROCPRIM_400000_NS6detail17trampoline_kernelINS0_14default_configENS1_25transform_config_selectorIxLb0EEEZNS1_14transform_implILb0ES3_S5_PxN6thrust23THRUST_200600_302600_NS6detail15normal_iteratorINS9_10device_ptrIxEEEENS0_8identityIxEEEE10hipError_tT2_T3_mT4_P12ihipStream_tbEUlT_E_NS1_11comp_targetILNS1_3genE9ELNS1_11target_archE1100ELNS1_3gpuE3ELNS1_3repE0EEENS1_30default_config_static_selectorELNS0_4arch9wavefront6targetE1EEEvT1_
	.p2align	8
	.type	_ZN7rocprim17ROCPRIM_400000_NS6detail17trampoline_kernelINS0_14default_configENS1_25transform_config_selectorIxLb0EEEZNS1_14transform_implILb0ES3_S5_PxN6thrust23THRUST_200600_302600_NS6detail15normal_iteratorINS9_10device_ptrIxEEEENS0_8identityIxEEEE10hipError_tT2_T3_mT4_P12ihipStream_tbEUlT_E_NS1_11comp_targetILNS1_3genE9ELNS1_11target_archE1100ELNS1_3gpuE3ELNS1_3repE0EEENS1_30default_config_static_selectorELNS0_4arch9wavefront6targetE1EEEvT1_,@function
_ZN7rocprim17ROCPRIM_400000_NS6detail17trampoline_kernelINS0_14default_configENS1_25transform_config_selectorIxLb0EEEZNS1_14transform_implILb0ES3_S5_PxN6thrust23THRUST_200600_302600_NS6detail15normal_iteratorINS9_10device_ptrIxEEEENS0_8identityIxEEEE10hipError_tT2_T3_mT4_P12ihipStream_tbEUlT_E_NS1_11comp_targetILNS1_3genE9ELNS1_11target_archE1100ELNS1_3gpuE3ELNS1_3repE0EEENS1_30default_config_static_selectorELNS0_4arch9wavefront6targetE1EEEvT1_: ; @_ZN7rocprim17ROCPRIM_400000_NS6detail17trampoline_kernelINS0_14default_configENS1_25transform_config_selectorIxLb0EEEZNS1_14transform_implILb0ES3_S5_PxN6thrust23THRUST_200600_302600_NS6detail15normal_iteratorINS9_10device_ptrIxEEEENS0_8identityIxEEEE10hipError_tT2_T3_mT4_P12ihipStream_tbEUlT_E_NS1_11comp_targetILNS1_3genE9ELNS1_11target_archE1100ELNS1_3gpuE3ELNS1_3repE0EEENS1_30default_config_static_selectorELNS0_4arch9wavefront6targetE1EEEvT1_
; %bb.0:
	.section	.rodata,"a",@progbits
	.p2align	6, 0x0
	.amdhsa_kernel _ZN7rocprim17ROCPRIM_400000_NS6detail17trampoline_kernelINS0_14default_configENS1_25transform_config_selectorIxLb0EEEZNS1_14transform_implILb0ES3_S5_PxN6thrust23THRUST_200600_302600_NS6detail15normal_iteratorINS9_10device_ptrIxEEEENS0_8identityIxEEEE10hipError_tT2_T3_mT4_P12ihipStream_tbEUlT_E_NS1_11comp_targetILNS1_3genE9ELNS1_11target_archE1100ELNS1_3gpuE3ELNS1_3repE0EEENS1_30default_config_static_selectorELNS0_4arch9wavefront6targetE1EEEvT1_
		.amdhsa_group_segment_fixed_size 0
		.amdhsa_private_segment_fixed_size 0
		.amdhsa_kernarg_size 40
		.amdhsa_user_sgpr_count 6
		.amdhsa_user_sgpr_private_segment_buffer 1
		.amdhsa_user_sgpr_dispatch_ptr 0
		.amdhsa_user_sgpr_queue_ptr 0
		.amdhsa_user_sgpr_kernarg_segment_ptr 1
		.amdhsa_user_sgpr_dispatch_id 0
		.amdhsa_user_sgpr_flat_scratch_init 0
		.amdhsa_user_sgpr_kernarg_preload_length 0
		.amdhsa_user_sgpr_kernarg_preload_offset 0
		.amdhsa_user_sgpr_private_segment_size 0
		.amdhsa_uses_dynamic_stack 0
		.amdhsa_system_sgpr_private_segment_wavefront_offset 0
		.amdhsa_system_sgpr_workgroup_id_x 1
		.amdhsa_system_sgpr_workgroup_id_y 0
		.amdhsa_system_sgpr_workgroup_id_z 0
		.amdhsa_system_sgpr_workgroup_info 0
		.amdhsa_system_vgpr_workitem_id 0
		.amdhsa_next_free_vgpr 1
		.amdhsa_next_free_sgpr 0
		.amdhsa_accum_offset 4
		.amdhsa_reserve_vcc 0
		.amdhsa_reserve_flat_scratch 0
		.amdhsa_float_round_mode_32 0
		.amdhsa_float_round_mode_16_64 0
		.amdhsa_float_denorm_mode_32 3
		.amdhsa_float_denorm_mode_16_64 3
		.amdhsa_dx10_clamp 1
		.amdhsa_ieee_mode 1
		.amdhsa_fp16_overflow 0
		.amdhsa_tg_split 0
		.amdhsa_exception_fp_ieee_invalid_op 0
		.amdhsa_exception_fp_denorm_src 0
		.amdhsa_exception_fp_ieee_div_zero 0
		.amdhsa_exception_fp_ieee_overflow 0
		.amdhsa_exception_fp_ieee_underflow 0
		.amdhsa_exception_fp_ieee_inexact 0
		.amdhsa_exception_int_div_zero 0
	.end_amdhsa_kernel
	.section	.text._ZN7rocprim17ROCPRIM_400000_NS6detail17trampoline_kernelINS0_14default_configENS1_25transform_config_selectorIxLb0EEEZNS1_14transform_implILb0ES3_S5_PxN6thrust23THRUST_200600_302600_NS6detail15normal_iteratorINS9_10device_ptrIxEEEENS0_8identityIxEEEE10hipError_tT2_T3_mT4_P12ihipStream_tbEUlT_E_NS1_11comp_targetILNS1_3genE9ELNS1_11target_archE1100ELNS1_3gpuE3ELNS1_3repE0EEENS1_30default_config_static_selectorELNS0_4arch9wavefront6targetE1EEEvT1_,"axG",@progbits,_ZN7rocprim17ROCPRIM_400000_NS6detail17trampoline_kernelINS0_14default_configENS1_25transform_config_selectorIxLb0EEEZNS1_14transform_implILb0ES3_S5_PxN6thrust23THRUST_200600_302600_NS6detail15normal_iteratorINS9_10device_ptrIxEEEENS0_8identityIxEEEE10hipError_tT2_T3_mT4_P12ihipStream_tbEUlT_E_NS1_11comp_targetILNS1_3genE9ELNS1_11target_archE1100ELNS1_3gpuE3ELNS1_3repE0EEENS1_30default_config_static_selectorELNS0_4arch9wavefront6targetE1EEEvT1_,comdat
.Lfunc_end3443:
	.size	_ZN7rocprim17ROCPRIM_400000_NS6detail17trampoline_kernelINS0_14default_configENS1_25transform_config_selectorIxLb0EEEZNS1_14transform_implILb0ES3_S5_PxN6thrust23THRUST_200600_302600_NS6detail15normal_iteratorINS9_10device_ptrIxEEEENS0_8identityIxEEEE10hipError_tT2_T3_mT4_P12ihipStream_tbEUlT_E_NS1_11comp_targetILNS1_3genE9ELNS1_11target_archE1100ELNS1_3gpuE3ELNS1_3repE0EEENS1_30default_config_static_selectorELNS0_4arch9wavefront6targetE1EEEvT1_, .Lfunc_end3443-_ZN7rocprim17ROCPRIM_400000_NS6detail17trampoline_kernelINS0_14default_configENS1_25transform_config_selectorIxLb0EEEZNS1_14transform_implILb0ES3_S5_PxN6thrust23THRUST_200600_302600_NS6detail15normal_iteratorINS9_10device_ptrIxEEEENS0_8identityIxEEEE10hipError_tT2_T3_mT4_P12ihipStream_tbEUlT_E_NS1_11comp_targetILNS1_3genE9ELNS1_11target_archE1100ELNS1_3gpuE3ELNS1_3repE0EEENS1_30default_config_static_selectorELNS0_4arch9wavefront6targetE1EEEvT1_
                                        ; -- End function
	.section	.AMDGPU.csdata,"",@progbits
; Kernel info:
; codeLenInByte = 0
; NumSgprs: 4
; NumVgprs: 0
; NumAgprs: 0
; TotalNumVgprs: 0
; ScratchSize: 0
; MemoryBound: 0
; FloatMode: 240
; IeeeMode: 1
; LDSByteSize: 0 bytes/workgroup (compile time only)
; SGPRBlocks: 0
; VGPRBlocks: 0
; NumSGPRsForWavesPerEU: 4
; NumVGPRsForWavesPerEU: 1
; AccumOffset: 4
; Occupancy: 8
; WaveLimiterHint : 0
; COMPUTE_PGM_RSRC2:SCRATCH_EN: 0
; COMPUTE_PGM_RSRC2:USER_SGPR: 6
; COMPUTE_PGM_RSRC2:TRAP_HANDLER: 0
; COMPUTE_PGM_RSRC2:TGID_X_EN: 1
; COMPUTE_PGM_RSRC2:TGID_Y_EN: 0
; COMPUTE_PGM_RSRC2:TGID_Z_EN: 0
; COMPUTE_PGM_RSRC2:TIDIG_COMP_CNT: 0
; COMPUTE_PGM_RSRC3_GFX90A:ACCUM_OFFSET: 0
; COMPUTE_PGM_RSRC3_GFX90A:TG_SPLIT: 0
	.section	.text._ZN7rocprim17ROCPRIM_400000_NS6detail17trampoline_kernelINS0_14default_configENS1_25transform_config_selectorIxLb0EEEZNS1_14transform_implILb0ES3_S5_PxN6thrust23THRUST_200600_302600_NS6detail15normal_iteratorINS9_10device_ptrIxEEEENS0_8identityIxEEEE10hipError_tT2_T3_mT4_P12ihipStream_tbEUlT_E_NS1_11comp_targetILNS1_3genE8ELNS1_11target_archE1030ELNS1_3gpuE2ELNS1_3repE0EEENS1_30default_config_static_selectorELNS0_4arch9wavefront6targetE1EEEvT1_,"axG",@progbits,_ZN7rocprim17ROCPRIM_400000_NS6detail17trampoline_kernelINS0_14default_configENS1_25transform_config_selectorIxLb0EEEZNS1_14transform_implILb0ES3_S5_PxN6thrust23THRUST_200600_302600_NS6detail15normal_iteratorINS9_10device_ptrIxEEEENS0_8identityIxEEEE10hipError_tT2_T3_mT4_P12ihipStream_tbEUlT_E_NS1_11comp_targetILNS1_3genE8ELNS1_11target_archE1030ELNS1_3gpuE2ELNS1_3repE0EEENS1_30default_config_static_selectorELNS0_4arch9wavefront6targetE1EEEvT1_,comdat
	.protected	_ZN7rocprim17ROCPRIM_400000_NS6detail17trampoline_kernelINS0_14default_configENS1_25transform_config_selectorIxLb0EEEZNS1_14transform_implILb0ES3_S5_PxN6thrust23THRUST_200600_302600_NS6detail15normal_iteratorINS9_10device_ptrIxEEEENS0_8identityIxEEEE10hipError_tT2_T3_mT4_P12ihipStream_tbEUlT_E_NS1_11comp_targetILNS1_3genE8ELNS1_11target_archE1030ELNS1_3gpuE2ELNS1_3repE0EEENS1_30default_config_static_selectorELNS0_4arch9wavefront6targetE1EEEvT1_ ; -- Begin function _ZN7rocprim17ROCPRIM_400000_NS6detail17trampoline_kernelINS0_14default_configENS1_25transform_config_selectorIxLb0EEEZNS1_14transform_implILb0ES3_S5_PxN6thrust23THRUST_200600_302600_NS6detail15normal_iteratorINS9_10device_ptrIxEEEENS0_8identityIxEEEE10hipError_tT2_T3_mT4_P12ihipStream_tbEUlT_E_NS1_11comp_targetILNS1_3genE8ELNS1_11target_archE1030ELNS1_3gpuE2ELNS1_3repE0EEENS1_30default_config_static_selectorELNS0_4arch9wavefront6targetE1EEEvT1_
	.globl	_ZN7rocprim17ROCPRIM_400000_NS6detail17trampoline_kernelINS0_14default_configENS1_25transform_config_selectorIxLb0EEEZNS1_14transform_implILb0ES3_S5_PxN6thrust23THRUST_200600_302600_NS6detail15normal_iteratorINS9_10device_ptrIxEEEENS0_8identityIxEEEE10hipError_tT2_T3_mT4_P12ihipStream_tbEUlT_E_NS1_11comp_targetILNS1_3genE8ELNS1_11target_archE1030ELNS1_3gpuE2ELNS1_3repE0EEENS1_30default_config_static_selectorELNS0_4arch9wavefront6targetE1EEEvT1_
	.p2align	8
	.type	_ZN7rocprim17ROCPRIM_400000_NS6detail17trampoline_kernelINS0_14default_configENS1_25transform_config_selectorIxLb0EEEZNS1_14transform_implILb0ES3_S5_PxN6thrust23THRUST_200600_302600_NS6detail15normal_iteratorINS9_10device_ptrIxEEEENS0_8identityIxEEEE10hipError_tT2_T3_mT4_P12ihipStream_tbEUlT_E_NS1_11comp_targetILNS1_3genE8ELNS1_11target_archE1030ELNS1_3gpuE2ELNS1_3repE0EEENS1_30default_config_static_selectorELNS0_4arch9wavefront6targetE1EEEvT1_,@function
_ZN7rocprim17ROCPRIM_400000_NS6detail17trampoline_kernelINS0_14default_configENS1_25transform_config_selectorIxLb0EEEZNS1_14transform_implILb0ES3_S5_PxN6thrust23THRUST_200600_302600_NS6detail15normal_iteratorINS9_10device_ptrIxEEEENS0_8identityIxEEEE10hipError_tT2_T3_mT4_P12ihipStream_tbEUlT_E_NS1_11comp_targetILNS1_3genE8ELNS1_11target_archE1030ELNS1_3gpuE2ELNS1_3repE0EEENS1_30default_config_static_selectorELNS0_4arch9wavefront6targetE1EEEvT1_: ; @_ZN7rocprim17ROCPRIM_400000_NS6detail17trampoline_kernelINS0_14default_configENS1_25transform_config_selectorIxLb0EEEZNS1_14transform_implILb0ES3_S5_PxN6thrust23THRUST_200600_302600_NS6detail15normal_iteratorINS9_10device_ptrIxEEEENS0_8identityIxEEEE10hipError_tT2_T3_mT4_P12ihipStream_tbEUlT_E_NS1_11comp_targetILNS1_3genE8ELNS1_11target_archE1030ELNS1_3gpuE2ELNS1_3repE0EEENS1_30default_config_static_selectorELNS0_4arch9wavefront6targetE1EEEvT1_
; %bb.0:
	.section	.rodata,"a",@progbits
	.p2align	6, 0x0
	.amdhsa_kernel _ZN7rocprim17ROCPRIM_400000_NS6detail17trampoline_kernelINS0_14default_configENS1_25transform_config_selectorIxLb0EEEZNS1_14transform_implILb0ES3_S5_PxN6thrust23THRUST_200600_302600_NS6detail15normal_iteratorINS9_10device_ptrIxEEEENS0_8identityIxEEEE10hipError_tT2_T3_mT4_P12ihipStream_tbEUlT_E_NS1_11comp_targetILNS1_3genE8ELNS1_11target_archE1030ELNS1_3gpuE2ELNS1_3repE0EEENS1_30default_config_static_selectorELNS0_4arch9wavefront6targetE1EEEvT1_
		.amdhsa_group_segment_fixed_size 0
		.amdhsa_private_segment_fixed_size 0
		.amdhsa_kernarg_size 40
		.amdhsa_user_sgpr_count 6
		.amdhsa_user_sgpr_private_segment_buffer 1
		.amdhsa_user_sgpr_dispatch_ptr 0
		.amdhsa_user_sgpr_queue_ptr 0
		.amdhsa_user_sgpr_kernarg_segment_ptr 1
		.amdhsa_user_sgpr_dispatch_id 0
		.amdhsa_user_sgpr_flat_scratch_init 0
		.amdhsa_user_sgpr_kernarg_preload_length 0
		.amdhsa_user_sgpr_kernarg_preload_offset 0
		.amdhsa_user_sgpr_private_segment_size 0
		.amdhsa_uses_dynamic_stack 0
		.amdhsa_system_sgpr_private_segment_wavefront_offset 0
		.amdhsa_system_sgpr_workgroup_id_x 1
		.amdhsa_system_sgpr_workgroup_id_y 0
		.amdhsa_system_sgpr_workgroup_id_z 0
		.amdhsa_system_sgpr_workgroup_info 0
		.amdhsa_system_vgpr_workitem_id 0
		.amdhsa_next_free_vgpr 1
		.amdhsa_next_free_sgpr 0
		.amdhsa_accum_offset 4
		.amdhsa_reserve_vcc 0
		.amdhsa_reserve_flat_scratch 0
		.amdhsa_float_round_mode_32 0
		.amdhsa_float_round_mode_16_64 0
		.amdhsa_float_denorm_mode_32 3
		.amdhsa_float_denorm_mode_16_64 3
		.amdhsa_dx10_clamp 1
		.amdhsa_ieee_mode 1
		.amdhsa_fp16_overflow 0
		.amdhsa_tg_split 0
		.amdhsa_exception_fp_ieee_invalid_op 0
		.amdhsa_exception_fp_denorm_src 0
		.amdhsa_exception_fp_ieee_div_zero 0
		.amdhsa_exception_fp_ieee_overflow 0
		.amdhsa_exception_fp_ieee_underflow 0
		.amdhsa_exception_fp_ieee_inexact 0
		.amdhsa_exception_int_div_zero 0
	.end_amdhsa_kernel
	.section	.text._ZN7rocprim17ROCPRIM_400000_NS6detail17trampoline_kernelINS0_14default_configENS1_25transform_config_selectorIxLb0EEEZNS1_14transform_implILb0ES3_S5_PxN6thrust23THRUST_200600_302600_NS6detail15normal_iteratorINS9_10device_ptrIxEEEENS0_8identityIxEEEE10hipError_tT2_T3_mT4_P12ihipStream_tbEUlT_E_NS1_11comp_targetILNS1_3genE8ELNS1_11target_archE1030ELNS1_3gpuE2ELNS1_3repE0EEENS1_30default_config_static_selectorELNS0_4arch9wavefront6targetE1EEEvT1_,"axG",@progbits,_ZN7rocprim17ROCPRIM_400000_NS6detail17trampoline_kernelINS0_14default_configENS1_25transform_config_selectorIxLb0EEEZNS1_14transform_implILb0ES3_S5_PxN6thrust23THRUST_200600_302600_NS6detail15normal_iteratorINS9_10device_ptrIxEEEENS0_8identityIxEEEE10hipError_tT2_T3_mT4_P12ihipStream_tbEUlT_E_NS1_11comp_targetILNS1_3genE8ELNS1_11target_archE1030ELNS1_3gpuE2ELNS1_3repE0EEENS1_30default_config_static_selectorELNS0_4arch9wavefront6targetE1EEEvT1_,comdat
.Lfunc_end3444:
	.size	_ZN7rocprim17ROCPRIM_400000_NS6detail17trampoline_kernelINS0_14default_configENS1_25transform_config_selectorIxLb0EEEZNS1_14transform_implILb0ES3_S5_PxN6thrust23THRUST_200600_302600_NS6detail15normal_iteratorINS9_10device_ptrIxEEEENS0_8identityIxEEEE10hipError_tT2_T3_mT4_P12ihipStream_tbEUlT_E_NS1_11comp_targetILNS1_3genE8ELNS1_11target_archE1030ELNS1_3gpuE2ELNS1_3repE0EEENS1_30default_config_static_selectorELNS0_4arch9wavefront6targetE1EEEvT1_, .Lfunc_end3444-_ZN7rocprim17ROCPRIM_400000_NS6detail17trampoline_kernelINS0_14default_configENS1_25transform_config_selectorIxLb0EEEZNS1_14transform_implILb0ES3_S5_PxN6thrust23THRUST_200600_302600_NS6detail15normal_iteratorINS9_10device_ptrIxEEEENS0_8identityIxEEEE10hipError_tT2_T3_mT4_P12ihipStream_tbEUlT_E_NS1_11comp_targetILNS1_3genE8ELNS1_11target_archE1030ELNS1_3gpuE2ELNS1_3repE0EEENS1_30default_config_static_selectorELNS0_4arch9wavefront6targetE1EEEvT1_
                                        ; -- End function
	.section	.AMDGPU.csdata,"",@progbits
; Kernel info:
; codeLenInByte = 0
; NumSgprs: 4
; NumVgprs: 0
; NumAgprs: 0
; TotalNumVgprs: 0
; ScratchSize: 0
; MemoryBound: 0
; FloatMode: 240
; IeeeMode: 1
; LDSByteSize: 0 bytes/workgroup (compile time only)
; SGPRBlocks: 0
; VGPRBlocks: 0
; NumSGPRsForWavesPerEU: 4
; NumVGPRsForWavesPerEU: 1
; AccumOffset: 4
; Occupancy: 8
; WaveLimiterHint : 0
; COMPUTE_PGM_RSRC2:SCRATCH_EN: 0
; COMPUTE_PGM_RSRC2:USER_SGPR: 6
; COMPUTE_PGM_RSRC2:TRAP_HANDLER: 0
; COMPUTE_PGM_RSRC2:TGID_X_EN: 1
; COMPUTE_PGM_RSRC2:TGID_Y_EN: 0
; COMPUTE_PGM_RSRC2:TGID_Z_EN: 0
; COMPUTE_PGM_RSRC2:TIDIG_COMP_CNT: 0
; COMPUTE_PGM_RSRC3_GFX90A:ACCUM_OFFSET: 0
; COMPUTE_PGM_RSRC3_GFX90A:TG_SPLIT: 0
	.section	.text._ZN7rocprim17ROCPRIM_400000_NS6detail44device_merge_sort_compile_time_verifier_archINS1_11comp_targetILNS1_3genE0ELNS1_11target_archE4294967295ELNS1_3gpuE0ELNS1_3repE0EEES8_NS0_14default_configES9_NS1_37merge_sort_block_sort_config_selectorIyNS0_10empty_typeEEENS1_38merge_sort_block_merge_config_selectorIySB_EEEEvv,"axG",@progbits,_ZN7rocprim17ROCPRIM_400000_NS6detail44device_merge_sort_compile_time_verifier_archINS1_11comp_targetILNS1_3genE0ELNS1_11target_archE4294967295ELNS1_3gpuE0ELNS1_3repE0EEES8_NS0_14default_configES9_NS1_37merge_sort_block_sort_config_selectorIyNS0_10empty_typeEEENS1_38merge_sort_block_merge_config_selectorIySB_EEEEvv,comdat
	.protected	_ZN7rocprim17ROCPRIM_400000_NS6detail44device_merge_sort_compile_time_verifier_archINS1_11comp_targetILNS1_3genE0ELNS1_11target_archE4294967295ELNS1_3gpuE0ELNS1_3repE0EEES8_NS0_14default_configES9_NS1_37merge_sort_block_sort_config_selectorIyNS0_10empty_typeEEENS1_38merge_sort_block_merge_config_selectorIySB_EEEEvv ; -- Begin function _ZN7rocprim17ROCPRIM_400000_NS6detail44device_merge_sort_compile_time_verifier_archINS1_11comp_targetILNS1_3genE0ELNS1_11target_archE4294967295ELNS1_3gpuE0ELNS1_3repE0EEES8_NS0_14default_configES9_NS1_37merge_sort_block_sort_config_selectorIyNS0_10empty_typeEEENS1_38merge_sort_block_merge_config_selectorIySB_EEEEvv
	.globl	_ZN7rocprim17ROCPRIM_400000_NS6detail44device_merge_sort_compile_time_verifier_archINS1_11comp_targetILNS1_3genE0ELNS1_11target_archE4294967295ELNS1_3gpuE0ELNS1_3repE0EEES8_NS0_14default_configES9_NS1_37merge_sort_block_sort_config_selectorIyNS0_10empty_typeEEENS1_38merge_sort_block_merge_config_selectorIySB_EEEEvv
	.p2align	8
	.type	_ZN7rocprim17ROCPRIM_400000_NS6detail44device_merge_sort_compile_time_verifier_archINS1_11comp_targetILNS1_3genE0ELNS1_11target_archE4294967295ELNS1_3gpuE0ELNS1_3repE0EEES8_NS0_14default_configES9_NS1_37merge_sort_block_sort_config_selectorIyNS0_10empty_typeEEENS1_38merge_sort_block_merge_config_selectorIySB_EEEEvv,@function
_ZN7rocprim17ROCPRIM_400000_NS6detail44device_merge_sort_compile_time_verifier_archINS1_11comp_targetILNS1_3genE0ELNS1_11target_archE4294967295ELNS1_3gpuE0ELNS1_3repE0EEES8_NS0_14default_configES9_NS1_37merge_sort_block_sort_config_selectorIyNS0_10empty_typeEEENS1_38merge_sort_block_merge_config_selectorIySB_EEEEvv: ; @_ZN7rocprim17ROCPRIM_400000_NS6detail44device_merge_sort_compile_time_verifier_archINS1_11comp_targetILNS1_3genE0ELNS1_11target_archE4294967295ELNS1_3gpuE0ELNS1_3repE0EEES8_NS0_14default_configES9_NS1_37merge_sort_block_sort_config_selectorIyNS0_10empty_typeEEENS1_38merge_sort_block_merge_config_selectorIySB_EEEEvv
; %bb.0:
	s_endpgm
	.section	.rodata,"a",@progbits
	.p2align	6, 0x0
	.amdhsa_kernel _ZN7rocprim17ROCPRIM_400000_NS6detail44device_merge_sort_compile_time_verifier_archINS1_11comp_targetILNS1_3genE0ELNS1_11target_archE4294967295ELNS1_3gpuE0ELNS1_3repE0EEES8_NS0_14default_configES9_NS1_37merge_sort_block_sort_config_selectorIyNS0_10empty_typeEEENS1_38merge_sort_block_merge_config_selectorIySB_EEEEvv
		.amdhsa_group_segment_fixed_size 0
		.amdhsa_private_segment_fixed_size 0
		.amdhsa_kernarg_size 0
		.amdhsa_user_sgpr_count 4
		.amdhsa_user_sgpr_private_segment_buffer 1
		.amdhsa_user_sgpr_dispatch_ptr 0
		.amdhsa_user_sgpr_queue_ptr 0
		.amdhsa_user_sgpr_kernarg_segment_ptr 0
		.amdhsa_user_sgpr_dispatch_id 0
		.amdhsa_user_sgpr_flat_scratch_init 0
		.amdhsa_user_sgpr_kernarg_preload_length 0
		.amdhsa_user_sgpr_kernarg_preload_offset 0
		.amdhsa_user_sgpr_private_segment_size 0
		.amdhsa_uses_dynamic_stack 0
		.amdhsa_system_sgpr_private_segment_wavefront_offset 0
		.amdhsa_system_sgpr_workgroup_id_x 1
		.amdhsa_system_sgpr_workgroup_id_y 0
		.amdhsa_system_sgpr_workgroup_id_z 0
		.amdhsa_system_sgpr_workgroup_info 0
		.amdhsa_system_vgpr_workitem_id 0
		.amdhsa_next_free_vgpr 1
		.amdhsa_next_free_sgpr 0
		.amdhsa_accum_offset 4
		.amdhsa_reserve_vcc 0
		.amdhsa_reserve_flat_scratch 0
		.amdhsa_float_round_mode_32 0
		.amdhsa_float_round_mode_16_64 0
		.amdhsa_float_denorm_mode_32 3
		.amdhsa_float_denorm_mode_16_64 3
		.amdhsa_dx10_clamp 1
		.amdhsa_ieee_mode 1
		.amdhsa_fp16_overflow 0
		.amdhsa_tg_split 0
		.amdhsa_exception_fp_ieee_invalid_op 0
		.amdhsa_exception_fp_denorm_src 0
		.amdhsa_exception_fp_ieee_div_zero 0
		.amdhsa_exception_fp_ieee_overflow 0
		.amdhsa_exception_fp_ieee_underflow 0
		.amdhsa_exception_fp_ieee_inexact 0
		.amdhsa_exception_int_div_zero 0
	.end_amdhsa_kernel
	.section	.text._ZN7rocprim17ROCPRIM_400000_NS6detail44device_merge_sort_compile_time_verifier_archINS1_11comp_targetILNS1_3genE0ELNS1_11target_archE4294967295ELNS1_3gpuE0ELNS1_3repE0EEES8_NS0_14default_configES9_NS1_37merge_sort_block_sort_config_selectorIyNS0_10empty_typeEEENS1_38merge_sort_block_merge_config_selectorIySB_EEEEvv,"axG",@progbits,_ZN7rocprim17ROCPRIM_400000_NS6detail44device_merge_sort_compile_time_verifier_archINS1_11comp_targetILNS1_3genE0ELNS1_11target_archE4294967295ELNS1_3gpuE0ELNS1_3repE0EEES8_NS0_14default_configES9_NS1_37merge_sort_block_sort_config_selectorIyNS0_10empty_typeEEENS1_38merge_sort_block_merge_config_selectorIySB_EEEEvv,comdat
.Lfunc_end3445:
	.size	_ZN7rocprim17ROCPRIM_400000_NS6detail44device_merge_sort_compile_time_verifier_archINS1_11comp_targetILNS1_3genE0ELNS1_11target_archE4294967295ELNS1_3gpuE0ELNS1_3repE0EEES8_NS0_14default_configES9_NS1_37merge_sort_block_sort_config_selectorIyNS0_10empty_typeEEENS1_38merge_sort_block_merge_config_selectorIySB_EEEEvv, .Lfunc_end3445-_ZN7rocprim17ROCPRIM_400000_NS6detail44device_merge_sort_compile_time_verifier_archINS1_11comp_targetILNS1_3genE0ELNS1_11target_archE4294967295ELNS1_3gpuE0ELNS1_3repE0EEES8_NS0_14default_configES9_NS1_37merge_sort_block_sort_config_selectorIyNS0_10empty_typeEEENS1_38merge_sort_block_merge_config_selectorIySB_EEEEvv
                                        ; -- End function
	.section	.AMDGPU.csdata,"",@progbits
; Kernel info:
; codeLenInByte = 4
; NumSgprs: 4
; NumVgprs: 0
; NumAgprs: 0
; TotalNumVgprs: 0
; ScratchSize: 0
; MemoryBound: 0
; FloatMode: 240
; IeeeMode: 1
; LDSByteSize: 0 bytes/workgroup (compile time only)
; SGPRBlocks: 0
; VGPRBlocks: 0
; NumSGPRsForWavesPerEU: 4
; NumVGPRsForWavesPerEU: 1
; AccumOffset: 4
; Occupancy: 8
; WaveLimiterHint : 0
; COMPUTE_PGM_RSRC2:SCRATCH_EN: 0
; COMPUTE_PGM_RSRC2:USER_SGPR: 4
; COMPUTE_PGM_RSRC2:TRAP_HANDLER: 0
; COMPUTE_PGM_RSRC2:TGID_X_EN: 1
; COMPUTE_PGM_RSRC2:TGID_Y_EN: 0
; COMPUTE_PGM_RSRC2:TGID_Z_EN: 0
; COMPUTE_PGM_RSRC2:TIDIG_COMP_CNT: 0
; COMPUTE_PGM_RSRC3_GFX90A:ACCUM_OFFSET: 0
; COMPUTE_PGM_RSRC3_GFX90A:TG_SPLIT: 0
	.section	.text._ZN7rocprim17ROCPRIM_400000_NS6detail44device_merge_sort_compile_time_verifier_archINS1_11comp_targetILNS1_3genE5ELNS1_11target_archE942ELNS1_3gpuE9ELNS1_3repE0EEES8_NS0_14default_configES9_NS1_37merge_sort_block_sort_config_selectorIyNS0_10empty_typeEEENS1_38merge_sort_block_merge_config_selectorIySB_EEEEvv,"axG",@progbits,_ZN7rocprim17ROCPRIM_400000_NS6detail44device_merge_sort_compile_time_verifier_archINS1_11comp_targetILNS1_3genE5ELNS1_11target_archE942ELNS1_3gpuE9ELNS1_3repE0EEES8_NS0_14default_configES9_NS1_37merge_sort_block_sort_config_selectorIyNS0_10empty_typeEEENS1_38merge_sort_block_merge_config_selectorIySB_EEEEvv,comdat
	.protected	_ZN7rocprim17ROCPRIM_400000_NS6detail44device_merge_sort_compile_time_verifier_archINS1_11comp_targetILNS1_3genE5ELNS1_11target_archE942ELNS1_3gpuE9ELNS1_3repE0EEES8_NS0_14default_configES9_NS1_37merge_sort_block_sort_config_selectorIyNS0_10empty_typeEEENS1_38merge_sort_block_merge_config_selectorIySB_EEEEvv ; -- Begin function _ZN7rocprim17ROCPRIM_400000_NS6detail44device_merge_sort_compile_time_verifier_archINS1_11comp_targetILNS1_3genE5ELNS1_11target_archE942ELNS1_3gpuE9ELNS1_3repE0EEES8_NS0_14default_configES9_NS1_37merge_sort_block_sort_config_selectorIyNS0_10empty_typeEEENS1_38merge_sort_block_merge_config_selectorIySB_EEEEvv
	.globl	_ZN7rocprim17ROCPRIM_400000_NS6detail44device_merge_sort_compile_time_verifier_archINS1_11comp_targetILNS1_3genE5ELNS1_11target_archE942ELNS1_3gpuE9ELNS1_3repE0EEES8_NS0_14default_configES9_NS1_37merge_sort_block_sort_config_selectorIyNS0_10empty_typeEEENS1_38merge_sort_block_merge_config_selectorIySB_EEEEvv
	.p2align	8
	.type	_ZN7rocprim17ROCPRIM_400000_NS6detail44device_merge_sort_compile_time_verifier_archINS1_11comp_targetILNS1_3genE5ELNS1_11target_archE942ELNS1_3gpuE9ELNS1_3repE0EEES8_NS0_14default_configES9_NS1_37merge_sort_block_sort_config_selectorIyNS0_10empty_typeEEENS1_38merge_sort_block_merge_config_selectorIySB_EEEEvv,@function
_ZN7rocprim17ROCPRIM_400000_NS6detail44device_merge_sort_compile_time_verifier_archINS1_11comp_targetILNS1_3genE5ELNS1_11target_archE942ELNS1_3gpuE9ELNS1_3repE0EEES8_NS0_14default_configES9_NS1_37merge_sort_block_sort_config_selectorIyNS0_10empty_typeEEENS1_38merge_sort_block_merge_config_selectorIySB_EEEEvv: ; @_ZN7rocprim17ROCPRIM_400000_NS6detail44device_merge_sort_compile_time_verifier_archINS1_11comp_targetILNS1_3genE5ELNS1_11target_archE942ELNS1_3gpuE9ELNS1_3repE0EEES8_NS0_14default_configES9_NS1_37merge_sort_block_sort_config_selectorIyNS0_10empty_typeEEENS1_38merge_sort_block_merge_config_selectorIySB_EEEEvv
; %bb.0:
	s_endpgm
	.section	.rodata,"a",@progbits
	.p2align	6, 0x0
	.amdhsa_kernel _ZN7rocprim17ROCPRIM_400000_NS6detail44device_merge_sort_compile_time_verifier_archINS1_11comp_targetILNS1_3genE5ELNS1_11target_archE942ELNS1_3gpuE9ELNS1_3repE0EEES8_NS0_14default_configES9_NS1_37merge_sort_block_sort_config_selectorIyNS0_10empty_typeEEENS1_38merge_sort_block_merge_config_selectorIySB_EEEEvv
		.amdhsa_group_segment_fixed_size 0
		.amdhsa_private_segment_fixed_size 0
		.amdhsa_kernarg_size 0
		.amdhsa_user_sgpr_count 4
		.amdhsa_user_sgpr_private_segment_buffer 1
		.amdhsa_user_sgpr_dispatch_ptr 0
		.amdhsa_user_sgpr_queue_ptr 0
		.amdhsa_user_sgpr_kernarg_segment_ptr 0
		.amdhsa_user_sgpr_dispatch_id 0
		.amdhsa_user_sgpr_flat_scratch_init 0
		.amdhsa_user_sgpr_kernarg_preload_length 0
		.amdhsa_user_sgpr_kernarg_preload_offset 0
		.amdhsa_user_sgpr_private_segment_size 0
		.amdhsa_uses_dynamic_stack 0
		.amdhsa_system_sgpr_private_segment_wavefront_offset 0
		.amdhsa_system_sgpr_workgroup_id_x 1
		.amdhsa_system_sgpr_workgroup_id_y 0
		.amdhsa_system_sgpr_workgroup_id_z 0
		.amdhsa_system_sgpr_workgroup_info 0
		.amdhsa_system_vgpr_workitem_id 0
		.amdhsa_next_free_vgpr 1
		.amdhsa_next_free_sgpr 0
		.amdhsa_accum_offset 4
		.amdhsa_reserve_vcc 0
		.amdhsa_reserve_flat_scratch 0
		.amdhsa_float_round_mode_32 0
		.amdhsa_float_round_mode_16_64 0
		.amdhsa_float_denorm_mode_32 3
		.amdhsa_float_denorm_mode_16_64 3
		.amdhsa_dx10_clamp 1
		.amdhsa_ieee_mode 1
		.amdhsa_fp16_overflow 0
		.amdhsa_tg_split 0
		.amdhsa_exception_fp_ieee_invalid_op 0
		.amdhsa_exception_fp_denorm_src 0
		.amdhsa_exception_fp_ieee_div_zero 0
		.amdhsa_exception_fp_ieee_overflow 0
		.amdhsa_exception_fp_ieee_underflow 0
		.amdhsa_exception_fp_ieee_inexact 0
		.amdhsa_exception_int_div_zero 0
	.end_amdhsa_kernel
	.section	.text._ZN7rocprim17ROCPRIM_400000_NS6detail44device_merge_sort_compile_time_verifier_archINS1_11comp_targetILNS1_3genE5ELNS1_11target_archE942ELNS1_3gpuE9ELNS1_3repE0EEES8_NS0_14default_configES9_NS1_37merge_sort_block_sort_config_selectorIyNS0_10empty_typeEEENS1_38merge_sort_block_merge_config_selectorIySB_EEEEvv,"axG",@progbits,_ZN7rocprim17ROCPRIM_400000_NS6detail44device_merge_sort_compile_time_verifier_archINS1_11comp_targetILNS1_3genE5ELNS1_11target_archE942ELNS1_3gpuE9ELNS1_3repE0EEES8_NS0_14default_configES9_NS1_37merge_sort_block_sort_config_selectorIyNS0_10empty_typeEEENS1_38merge_sort_block_merge_config_selectorIySB_EEEEvv,comdat
.Lfunc_end3446:
	.size	_ZN7rocprim17ROCPRIM_400000_NS6detail44device_merge_sort_compile_time_verifier_archINS1_11comp_targetILNS1_3genE5ELNS1_11target_archE942ELNS1_3gpuE9ELNS1_3repE0EEES8_NS0_14default_configES9_NS1_37merge_sort_block_sort_config_selectorIyNS0_10empty_typeEEENS1_38merge_sort_block_merge_config_selectorIySB_EEEEvv, .Lfunc_end3446-_ZN7rocprim17ROCPRIM_400000_NS6detail44device_merge_sort_compile_time_verifier_archINS1_11comp_targetILNS1_3genE5ELNS1_11target_archE942ELNS1_3gpuE9ELNS1_3repE0EEES8_NS0_14default_configES9_NS1_37merge_sort_block_sort_config_selectorIyNS0_10empty_typeEEENS1_38merge_sort_block_merge_config_selectorIySB_EEEEvv
                                        ; -- End function
	.section	.AMDGPU.csdata,"",@progbits
; Kernel info:
; codeLenInByte = 4
; NumSgprs: 4
; NumVgprs: 0
; NumAgprs: 0
; TotalNumVgprs: 0
; ScratchSize: 0
; MemoryBound: 0
; FloatMode: 240
; IeeeMode: 1
; LDSByteSize: 0 bytes/workgroup (compile time only)
; SGPRBlocks: 0
; VGPRBlocks: 0
; NumSGPRsForWavesPerEU: 4
; NumVGPRsForWavesPerEU: 1
; AccumOffset: 4
; Occupancy: 8
; WaveLimiterHint : 0
; COMPUTE_PGM_RSRC2:SCRATCH_EN: 0
; COMPUTE_PGM_RSRC2:USER_SGPR: 4
; COMPUTE_PGM_RSRC2:TRAP_HANDLER: 0
; COMPUTE_PGM_RSRC2:TGID_X_EN: 1
; COMPUTE_PGM_RSRC2:TGID_Y_EN: 0
; COMPUTE_PGM_RSRC2:TGID_Z_EN: 0
; COMPUTE_PGM_RSRC2:TIDIG_COMP_CNT: 0
; COMPUTE_PGM_RSRC3_GFX90A:ACCUM_OFFSET: 0
; COMPUTE_PGM_RSRC3_GFX90A:TG_SPLIT: 0
	.section	.text._ZN7rocprim17ROCPRIM_400000_NS6detail44device_merge_sort_compile_time_verifier_archINS1_11comp_targetILNS1_3genE4ELNS1_11target_archE910ELNS1_3gpuE8ELNS1_3repE0EEES8_NS0_14default_configES9_NS1_37merge_sort_block_sort_config_selectorIyNS0_10empty_typeEEENS1_38merge_sort_block_merge_config_selectorIySB_EEEEvv,"axG",@progbits,_ZN7rocprim17ROCPRIM_400000_NS6detail44device_merge_sort_compile_time_verifier_archINS1_11comp_targetILNS1_3genE4ELNS1_11target_archE910ELNS1_3gpuE8ELNS1_3repE0EEES8_NS0_14default_configES9_NS1_37merge_sort_block_sort_config_selectorIyNS0_10empty_typeEEENS1_38merge_sort_block_merge_config_selectorIySB_EEEEvv,comdat
	.protected	_ZN7rocprim17ROCPRIM_400000_NS6detail44device_merge_sort_compile_time_verifier_archINS1_11comp_targetILNS1_3genE4ELNS1_11target_archE910ELNS1_3gpuE8ELNS1_3repE0EEES8_NS0_14default_configES9_NS1_37merge_sort_block_sort_config_selectorIyNS0_10empty_typeEEENS1_38merge_sort_block_merge_config_selectorIySB_EEEEvv ; -- Begin function _ZN7rocprim17ROCPRIM_400000_NS6detail44device_merge_sort_compile_time_verifier_archINS1_11comp_targetILNS1_3genE4ELNS1_11target_archE910ELNS1_3gpuE8ELNS1_3repE0EEES8_NS0_14default_configES9_NS1_37merge_sort_block_sort_config_selectorIyNS0_10empty_typeEEENS1_38merge_sort_block_merge_config_selectorIySB_EEEEvv
	.globl	_ZN7rocprim17ROCPRIM_400000_NS6detail44device_merge_sort_compile_time_verifier_archINS1_11comp_targetILNS1_3genE4ELNS1_11target_archE910ELNS1_3gpuE8ELNS1_3repE0EEES8_NS0_14default_configES9_NS1_37merge_sort_block_sort_config_selectorIyNS0_10empty_typeEEENS1_38merge_sort_block_merge_config_selectorIySB_EEEEvv
	.p2align	8
	.type	_ZN7rocprim17ROCPRIM_400000_NS6detail44device_merge_sort_compile_time_verifier_archINS1_11comp_targetILNS1_3genE4ELNS1_11target_archE910ELNS1_3gpuE8ELNS1_3repE0EEES8_NS0_14default_configES9_NS1_37merge_sort_block_sort_config_selectorIyNS0_10empty_typeEEENS1_38merge_sort_block_merge_config_selectorIySB_EEEEvv,@function
_ZN7rocprim17ROCPRIM_400000_NS6detail44device_merge_sort_compile_time_verifier_archINS1_11comp_targetILNS1_3genE4ELNS1_11target_archE910ELNS1_3gpuE8ELNS1_3repE0EEES8_NS0_14default_configES9_NS1_37merge_sort_block_sort_config_selectorIyNS0_10empty_typeEEENS1_38merge_sort_block_merge_config_selectorIySB_EEEEvv: ; @_ZN7rocprim17ROCPRIM_400000_NS6detail44device_merge_sort_compile_time_verifier_archINS1_11comp_targetILNS1_3genE4ELNS1_11target_archE910ELNS1_3gpuE8ELNS1_3repE0EEES8_NS0_14default_configES9_NS1_37merge_sort_block_sort_config_selectorIyNS0_10empty_typeEEENS1_38merge_sort_block_merge_config_selectorIySB_EEEEvv
; %bb.0:
	s_endpgm
	.section	.rodata,"a",@progbits
	.p2align	6, 0x0
	.amdhsa_kernel _ZN7rocprim17ROCPRIM_400000_NS6detail44device_merge_sort_compile_time_verifier_archINS1_11comp_targetILNS1_3genE4ELNS1_11target_archE910ELNS1_3gpuE8ELNS1_3repE0EEES8_NS0_14default_configES9_NS1_37merge_sort_block_sort_config_selectorIyNS0_10empty_typeEEENS1_38merge_sort_block_merge_config_selectorIySB_EEEEvv
		.amdhsa_group_segment_fixed_size 0
		.amdhsa_private_segment_fixed_size 0
		.amdhsa_kernarg_size 0
		.amdhsa_user_sgpr_count 4
		.amdhsa_user_sgpr_private_segment_buffer 1
		.amdhsa_user_sgpr_dispatch_ptr 0
		.amdhsa_user_sgpr_queue_ptr 0
		.amdhsa_user_sgpr_kernarg_segment_ptr 0
		.amdhsa_user_sgpr_dispatch_id 0
		.amdhsa_user_sgpr_flat_scratch_init 0
		.amdhsa_user_sgpr_kernarg_preload_length 0
		.amdhsa_user_sgpr_kernarg_preload_offset 0
		.amdhsa_user_sgpr_private_segment_size 0
		.amdhsa_uses_dynamic_stack 0
		.amdhsa_system_sgpr_private_segment_wavefront_offset 0
		.amdhsa_system_sgpr_workgroup_id_x 1
		.amdhsa_system_sgpr_workgroup_id_y 0
		.amdhsa_system_sgpr_workgroup_id_z 0
		.amdhsa_system_sgpr_workgroup_info 0
		.amdhsa_system_vgpr_workitem_id 0
		.amdhsa_next_free_vgpr 1
		.amdhsa_next_free_sgpr 0
		.amdhsa_accum_offset 4
		.amdhsa_reserve_vcc 0
		.amdhsa_reserve_flat_scratch 0
		.amdhsa_float_round_mode_32 0
		.amdhsa_float_round_mode_16_64 0
		.amdhsa_float_denorm_mode_32 3
		.amdhsa_float_denorm_mode_16_64 3
		.amdhsa_dx10_clamp 1
		.amdhsa_ieee_mode 1
		.amdhsa_fp16_overflow 0
		.amdhsa_tg_split 0
		.amdhsa_exception_fp_ieee_invalid_op 0
		.amdhsa_exception_fp_denorm_src 0
		.amdhsa_exception_fp_ieee_div_zero 0
		.amdhsa_exception_fp_ieee_overflow 0
		.amdhsa_exception_fp_ieee_underflow 0
		.amdhsa_exception_fp_ieee_inexact 0
		.amdhsa_exception_int_div_zero 0
	.end_amdhsa_kernel
	.section	.text._ZN7rocprim17ROCPRIM_400000_NS6detail44device_merge_sort_compile_time_verifier_archINS1_11comp_targetILNS1_3genE4ELNS1_11target_archE910ELNS1_3gpuE8ELNS1_3repE0EEES8_NS0_14default_configES9_NS1_37merge_sort_block_sort_config_selectorIyNS0_10empty_typeEEENS1_38merge_sort_block_merge_config_selectorIySB_EEEEvv,"axG",@progbits,_ZN7rocprim17ROCPRIM_400000_NS6detail44device_merge_sort_compile_time_verifier_archINS1_11comp_targetILNS1_3genE4ELNS1_11target_archE910ELNS1_3gpuE8ELNS1_3repE0EEES8_NS0_14default_configES9_NS1_37merge_sort_block_sort_config_selectorIyNS0_10empty_typeEEENS1_38merge_sort_block_merge_config_selectorIySB_EEEEvv,comdat
.Lfunc_end3447:
	.size	_ZN7rocprim17ROCPRIM_400000_NS6detail44device_merge_sort_compile_time_verifier_archINS1_11comp_targetILNS1_3genE4ELNS1_11target_archE910ELNS1_3gpuE8ELNS1_3repE0EEES8_NS0_14default_configES9_NS1_37merge_sort_block_sort_config_selectorIyNS0_10empty_typeEEENS1_38merge_sort_block_merge_config_selectorIySB_EEEEvv, .Lfunc_end3447-_ZN7rocprim17ROCPRIM_400000_NS6detail44device_merge_sort_compile_time_verifier_archINS1_11comp_targetILNS1_3genE4ELNS1_11target_archE910ELNS1_3gpuE8ELNS1_3repE0EEES8_NS0_14default_configES9_NS1_37merge_sort_block_sort_config_selectorIyNS0_10empty_typeEEENS1_38merge_sort_block_merge_config_selectorIySB_EEEEvv
                                        ; -- End function
	.section	.AMDGPU.csdata,"",@progbits
; Kernel info:
; codeLenInByte = 4
; NumSgprs: 4
; NumVgprs: 0
; NumAgprs: 0
; TotalNumVgprs: 0
; ScratchSize: 0
; MemoryBound: 0
; FloatMode: 240
; IeeeMode: 1
; LDSByteSize: 0 bytes/workgroup (compile time only)
; SGPRBlocks: 0
; VGPRBlocks: 0
; NumSGPRsForWavesPerEU: 4
; NumVGPRsForWavesPerEU: 1
; AccumOffset: 4
; Occupancy: 8
; WaveLimiterHint : 0
; COMPUTE_PGM_RSRC2:SCRATCH_EN: 0
; COMPUTE_PGM_RSRC2:USER_SGPR: 4
; COMPUTE_PGM_RSRC2:TRAP_HANDLER: 0
; COMPUTE_PGM_RSRC2:TGID_X_EN: 1
; COMPUTE_PGM_RSRC2:TGID_Y_EN: 0
; COMPUTE_PGM_RSRC2:TGID_Z_EN: 0
; COMPUTE_PGM_RSRC2:TIDIG_COMP_CNT: 0
; COMPUTE_PGM_RSRC3_GFX90A:ACCUM_OFFSET: 0
; COMPUTE_PGM_RSRC3_GFX90A:TG_SPLIT: 0
	.section	.text._ZN7rocprim17ROCPRIM_400000_NS6detail44device_merge_sort_compile_time_verifier_archINS1_11comp_targetILNS1_3genE3ELNS1_11target_archE908ELNS1_3gpuE7ELNS1_3repE0EEES8_NS0_14default_configES9_NS1_37merge_sort_block_sort_config_selectorIyNS0_10empty_typeEEENS1_38merge_sort_block_merge_config_selectorIySB_EEEEvv,"axG",@progbits,_ZN7rocprim17ROCPRIM_400000_NS6detail44device_merge_sort_compile_time_verifier_archINS1_11comp_targetILNS1_3genE3ELNS1_11target_archE908ELNS1_3gpuE7ELNS1_3repE0EEES8_NS0_14default_configES9_NS1_37merge_sort_block_sort_config_selectorIyNS0_10empty_typeEEENS1_38merge_sort_block_merge_config_selectorIySB_EEEEvv,comdat
	.protected	_ZN7rocprim17ROCPRIM_400000_NS6detail44device_merge_sort_compile_time_verifier_archINS1_11comp_targetILNS1_3genE3ELNS1_11target_archE908ELNS1_3gpuE7ELNS1_3repE0EEES8_NS0_14default_configES9_NS1_37merge_sort_block_sort_config_selectorIyNS0_10empty_typeEEENS1_38merge_sort_block_merge_config_selectorIySB_EEEEvv ; -- Begin function _ZN7rocprim17ROCPRIM_400000_NS6detail44device_merge_sort_compile_time_verifier_archINS1_11comp_targetILNS1_3genE3ELNS1_11target_archE908ELNS1_3gpuE7ELNS1_3repE0EEES8_NS0_14default_configES9_NS1_37merge_sort_block_sort_config_selectorIyNS0_10empty_typeEEENS1_38merge_sort_block_merge_config_selectorIySB_EEEEvv
	.globl	_ZN7rocprim17ROCPRIM_400000_NS6detail44device_merge_sort_compile_time_verifier_archINS1_11comp_targetILNS1_3genE3ELNS1_11target_archE908ELNS1_3gpuE7ELNS1_3repE0EEES8_NS0_14default_configES9_NS1_37merge_sort_block_sort_config_selectorIyNS0_10empty_typeEEENS1_38merge_sort_block_merge_config_selectorIySB_EEEEvv
	.p2align	8
	.type	_ZN7rocprim17ROCPRIM_400000_NS6detail44device_merge_sort_compile_time_verifier_archINS1_11comp_targetILNS1_3genE3ELNS1_11target_archE908ELNS1_3gpuE7ELNS1_3repE0EEES8_NS0_14default_configES9_NS1_37merge_sort_block_sort_config_selectorIyNS0_10empty_typeEEENS1_38merge_sort_block_merge_config_selectorIySB_EEEEvv,@function
_ZN7rocprim17ROCPRIM_400000_NS6detail44device_merge_sort_compile_time_verifier_archINS1_11comp_targetILNS1_3genE3ELNS1_11target_archE908ELNS1_3gpuE7ELNS1_3repE0EEES8_NS0_14default_configES9_NS1_37merge_sort_block_sort_config_selectorIyNS0_10empty_typeEEENS1_38merge_sort_block_merge_config_selectorIySB_EEEEvv: ; @_ZN7rocprim17ROCPRIM_400000_NS6detail44device_merge_sort_compile_time_verifier_archINS1_11comp_targetILNS1_3genE3ELNS1_11target_archE908ELNS1_3gpuE7ELNS1_3repE0EEES8_NS0_14default_configES9_NS1_37merge_sort_block_sort_config_selectorIyNS0_10empty_typeEEENS1_38merge_sort_block_merge_config_selectorIySB_EEEEvv
; %bb.0:
	s_endpgm
	.section	.rodata,"a",@progbits
	.p2align	6, 0x0
	.amdhsa_kernel _ZN7rocprim17ROCPRIM_400000_NS6detail44device_merge_sort_compile_time_verifier_archINS1_11comp_targetILNS1_3genE3ELNS1_11target_archE908ELNS1_3gpuE7ELNS1_3repE0EEES8_NS0_14default_configES9_NS1_37merge_sort_block_sort_config_selectorIyNS0_10empty_typeEEENS1_38merge_sort_block_merge_config_selectorIySB_EEEEvv
		.amdhsa_group_segment_fixed_size 0
		.amdhsa_private_segment_fixed_size 0
		.amdhsa_kernarg_size 0
		.amdhsa_user_sgpr_count 4
		.amdhsa_user_sgpr_private_segment_buffer 1
		.amdhsa_user_sgpr_dispatch_ptr 0
		.amdhsa_user_sgpr_queue_ptr 0
		.amdhsa_user_sgpr_kernarg_segment_ptr 0
		.amdhsa_user_sgpr_dispatch_id 0
		.amdhsa_user_sgpr_flat_scratch_init 0
		.amdhsa_user_sgpr_kernarg_preload_length 0
		.amdhsa_user_sgpr_kernarg_preload_offset 0
		.amdhsa_user_sgpr_private_segment_size 0
		.amdhsa_uses_dynamic_stack 0
		.amdhsa_system_sgpr_private_segment_wavefront_offset 0
		.amdhsa_system_sgpr_workgroup_id_x 1
		.amdhsa_system_sgpr_workgroup_id_y 0
		.amdhsa_system_sgpr_workgroup_id_z 0
		.amdhsa_system_sgpr_workgroup_info 0
		.amdhsa_system_vgpr_workitem_id 0
		.amdhsa_next_free_vgpr 1
		.amdhsa_next_free_sgpr 0
		.amdhsa_accum_offset 4
		.amdhsa_reserve_vcc 0
		.amdhsa_reserve_flat_scratch 0
		.amdhsa_float_round_mode_32 0
		.amdhsa_float_round_mode_16_64 0
		.amdhsa_float_denorm_mode_32 3
		.amdhsa_float_denorm_mode_16_64 3
		.amdhsa_dx10_clamp 1
		.amdhsa_ieee_mode 1
		.amdhsa_fp16_overflow 0
		.amdhsa_tg_split 0
		.amdhsa_exception_fp_ieee_invalid_op 0
		.amdhsa_exception_fp_denorm_src 0
		.amdhsa_exception_fp_ieee_div_zero 0
		.amdhsa_exception_fp_ieee_overflow 0
		.amdhsa_exception_fp_ieee_underflow 0
		.amdhsa_exception_fp_ieee_inexact 0
		.amdhsa_exception_int_div_zero 0
	.end_amdhsa_kernel
	.section	.text._ZN7rocprim17ROCPRIM_400000_NS6detail44device_merge_sort_compile_time_verifier_archINS1_11comp_targetILNS1_3genE3ELNS1_11target_archE908ELNS1_3gpuE7ELNS1_3repE0EEES8_NS0_14default_configES9_NS1_37merge_sort_block_sort_config_selectorIyNS0_10empty_typeEEENS1_38merge_sort_block_merge_config_selectorIySB_EEEEvv,"axG",@progbits,_ZN7rocprim17ROCPRIM_400000_NS6detail44device_merge_sort_compile_time_verifier_archINS1_11comp_targetILNS1_3genE3ELNS1_11target_archE908ELNS1_3gpuE7ELNS1_3repE0EEES8_NS0_14default_configES9_NS1_37merge_sort_block_sort_config_selectorIyNS0_10empty_typeEEENS1_38merge_sort_block_merge_config_selectorIySB_EEEEvv,comdat
.Lfunc_end3448:
	.size	_ZN7rocprim17ROCPRIM_400000_NS6detail44device_merge_sort_compile_time_verifier_archINS1_11comp_targetILNS1_3genE3ELNS1_11target_archE908ELNS1_3gpuE7ELNS1_3repE0EEES8_NS0_14default_configES9_NS1_37merge_sort_block_sort_config_selectorIyNS0_10empty_typeEEENS1_38merge_sort_block_merge_config_selectorIySB_EEEEvv, .Lfunc_end3448-_ZN7rocprim17ROCPRIM_400000_NS6detail44device_merge_sort_compile_time_verifier_archINS1_11comp_targetILNS1_3genE3ELNS1_11target_archE908ELNS1_3gpuE7ELNS1_3repE0EEES8_NS0_14default_configES9_NS1_37merge_sort_block_sort_config_selectorIyNS0_10empty_typeEEENS1_38merge_sort_block_merge_config_selectorIySB_EEEEvv
                                        ; -- End function
	.section	.AMDGPU.csdata,"",@progbits
; Kernel info:
; codeLenInByte = 4
; NumSgprs: 4
; NumVgprs: 0
; NumAgprs: 0
; TotalNumVgprs: 0
; ScratchSize: 0
; MemoryBound: 0
; FloatMode: 240
; IeeeMode: 1
; LDSByteSize: 0 bytes/workgroup (compile time only)
; SGPRBlocks: 0
; VGPRBlocks: 0
; NumSGPRsForWavesPerEU: 4
; NumVGPRsForWavesPerEU: 1
; AccumOffset: 4
; Occupancy: 8
; WaveLimiterHint : 0
; COMPUTE_PGM_RSRC2:SCRATCH_EN: 0
; COMPUTE_PGM_RSRC2:USER_SGPR: 4
; COMPUTE_PGM_RSRC2:TRAP_HANDLER: 0
; COMPUTE_PGM_RSRC2:TGID_X_EN: 1
; COMPUTE_PGM_RSRC2:TGID_Y_EN: 0
; COMPUTE_PGM_RSRC2:TGID_Z_EN: 0
; COMPUTE_PGM_RSRC2:TIDIG_COMP_CNT: 0
; COMPUTE_PGM_RSRC3_GFX90A:ACCUM_OFFSET: 0
; COMPUTE_PGM_RSRC3_GFX90A:TG_SPLIT: 0
	.section	.text._ZN7rocprim17ROCPRIM_400000_NS6detail44device_merge_sort_compile_time_verifier_archINS1_11comp_targetILNS1_3genE2ELNS1_11target_archE906ELNS1_3gpuE6ELNS1_3repE0EEES8_NS0_14default_configES9_NS1_37merge_sort_block_sort_config_selectorIyNS0_10empty_typeEEENS1_38merge_sort_block_merge_config_selectorIySB_EEEEvv,"axG",@progbits,_ZN7rocprim17ROCPRIM_400000_NS6detail44device_merge_sort_compile_time_verifier_archINS1_11comp_targetILNS1_3genE2ELNS1_11target_archE906ELNS1_3gpuE6ELNS1_3repE0EEES8_NS0_14default_configES9_NS1_37merge_sort_block_sort_config_selectorIyNS0_10empty_typeEEENS1_38merge_sort_block_merge_config_selectorIySB_EEEEvv,comdat
	.protected	_ZN7rocprim17ROCPRIM_400000_NS6detail44device_merge_sort_compile_time_verifier_archINS1_11comp_targetILNS1_3genE2ELNS1_11target_archE906ELNS1_3gpuE6ELNS1_3repE0EEES8_NS0_14default_configES9_NS1_37merge_sort_block_sort_config_selectorIyNS0_10empty_typeEEENS1_38merge_sort_block_merge_config_selectorIySB_EEEEvv ; -- Begin function _ZN7rocprim17ROCPRIM_400000_NS6detail44device_merge_sort_compile_time_verifier_archINS1_11comp_targetILNS1_3genE2ELNS1_11target_archE906ELNS1_3gpuE6ELNS1_3repE0EEES8_NS0_14default_configES9_NS1_37merge_sort_block_sort_config_selectorIyNS0_10empty_typeEEENS1_38merge_sort_block_merge_config_selectorIySB_EEEEvv
	.globl	_ZN7rocprim17ROCPRIM_400000_NS6detail44device_merge_sort_compile_time_verifier_archINS1_11comp_targetILNS1_3genE2ELNS1_11target_archE906ELNS1_3gpuE6ELNS1_3repE0EEES8_NS0_14default_configES9_NS1_37merge_sort_block_sort_config_selectorIyNS0_10empty_typeEEENS1_38merge_sort_block_merge_config_selectorIySB_EEEEvv
	.p2align	8
	.type	_ZN7rocprim17ROCPRIM_400000_NS6detail44device_merge_sort_compile_time_verifier_archINS1_11comp_targetILNS1_3genE2ELNS1_11target_archE906ELNS1_3gpuE6ELNS1_3repE0EEES8_NS0_14default_configES9_NS1_37merge_sort_block_sort_config_selectorIyNS0_10empty_typeEEENS1_38merge_sort_block_merge_config_selectorIySB_EEEEvv,@function
_ZN7rocprim17ROCPRIM_400000_NS6detail44device_merge_sort_compile_time_verifier_archINS1_11comp_targetILNS1_3genE2ELNS1_11target_archE906ELNS1_3gpuE6ELNS1_3repE0EEES8_NS0_14default_configES9_NS1_37merge_sort_block_sort_config_selectorIyNS0_10empty_typeEEENS1_38merge_sort_block_merge_config_selectorIySB_EEEEvv: ; @_ZN7rocprim17ROCPRIM_400000_NS6detail44device_merge_sort_compile_time_verifier_archINS1_11comp_targetILNS1_3genE2ELNS1_11target_archE906ELNS1_3gpuE6ELNS1_3repE0EEES8_NS0_14default_configES9_NS1_37merge_sort_block_sort_config_selectorIyNS0_10empty_typeEEENS1_38merge_sort_block_merge_config_selectorIySB_EEEEvv
; %bb.0:
	s_endpgm
	.section	.rodata,"a",@progbits
	.p2align	6, 0x0
	.amdhsa_kernel _ZN7rocprim17ROCPRIM_400000_NS6detail44device_merge_sort_compile_time_verifier_archINS1_11comp_targetILNS1_3genE2ELNS1_11target_archE906ELNS1_3gpuE6ELNS1_3repE0EEES8_NS0_14default_configES9_NS1_37merge_sort_block_sort_config_selectorIyNS0_10empty_typeEEENS1_38merge_sort_block_merge_config_selectorIySB_EEEEvv
		.amdhsa_group_segment_fixed_size 0
		.amdhsa_private_segment_fixed_size 0
		.amdhsa_kernarg_size 0
		.amdhsa_user_sgpr_count 4
		.amdhsa_user_sgpr_private_segment_buffer 1
		.amdhsa_user_sgpr_dispatch_ptr 0
		.amdhsa_user_sgpr_queue_ptr 0
		.amdhsa_user_sgpr_kernarg_segment_ptr 0
		.amdhsa_user_sgpr_dispatch_id 0
		.amdhsa_user_sgpr_flat_scratch_init 0
		.amdhsa_user_sgpr_kernarg_preload_length 0
		.amdhsa_user_sgpr_kernarg_preload_offset 0
		.amdhsa_user_sgpr_private_segment_size 0
		.amdhsa_uses_dynamic_stack 0
		.amdhsa_system_sgpr_private_segment_wavefront_offset 0
		.amdhsa_system_sgpr_workgroup_id_x 1
		.amdhsa_system_sgpr_workgroup_id_y 0
		.amdhsa_system_sgpr_workgroup_id_z 0
		.amdhsa_system_sgpr_workgroup_info 0
		.amdhsa_system_vgpr_workitem_id 0
		.amdhsa_next_free_vgpr 1
		.amdhsa_next_free_sgpr 0
		.amdhsa_accum_offset 4
		.amdhsa_reserve_vcc 0
		.amdhsa_reserve_flat_scratch 0
		.amdhsa_float_round_mode_32 0
		.amdhsa_float_round_mode_16_64 0
		.amdhsa_float_denorm_mode_32 3
		.amdhsa_float_denorm_mode_16_64 3
		.amdhsa_dx10_clamp 1
		.amdhsa_ieee_mode 1
		.amdhsa_fp16_overflow 0
		.amdhsa_tg_split 0
		.amdhsa_exception_fp_ieee_invalid_op 0
		.amdhsa_exception_fp_denorm_src 0
		.amdhsa_exception_fp_ieee_div_zero 0
		.amdhsa_exception_fp_ieee_overflow 0
		.amdhsa_exception_fp_ieee_underflow 0
		.amdhsa_exception_fp_ieee_inexact 0
		.amdhsa_exception_int_div_zero 0
	.end_amdhsa_kernel
	.section	.text._ZN7rocprim17ROCPRIM_400000_NS6detail44device_merge_sort_compile_time_verifier_archINS1_11comp_targetILNS1_3genE2ELNS1_11target_archE906ELNS1_3gpuE6ELNS1_3repE0EEES8_NS0_14default_configES9_NS1_37merge_sort_block_sort_config_selectorIyNS0_10empty_typeEEENS1_38merge_sort_block_merge_config_selectorIySB_EEEEvv,"axG",@progbits,_ZN7rocprim17ROCPRIM_400000_NS6detail44device_merge_sort_compile_time_verifier_archINS1_11comp_targetILNS1_3genE2ELNS1_11target_archE906ELNS1_3gpuE6ELNS1_3repE0EEES8_NS0_14default_configES9_NS1_37merge_sort_block_sort_config_selectorIyNS0_10empty_typeEEENS1_38merge_sort_block_merge_config_selectorIySB_EEEEvv,comdat
.Lfunc_end3449:
	.size	_ZN7rocprim17ROCPRIM_400000_NS6detail44device_merge_sort_compile_time_verifier_archINS1_11comp_targetILNS1_3genE2ELNS1_11target_archE906ELNS1_3gpuE6ELNS1_3repE0EEES8_NS0_14default_configES9_NS1_37merge_sort_block_sort_config_selectorIyNS0_10empty_typeEEENS1_38merge_sort_block_merge_config_selectorIySB_EEEEvv, .Lfunc_end3449-_ZN7rocprim17ROCPRIM_400000_NS6detail44device_merge_sort_compile_time_verifier_archINS1_11comp_targetILNS1_3genE2ELNS1_11target_archE906ELNS1_3gpuE6ELNS1_3repE0EEES8_NS0_14default_configES9_NS1_37merge_sort_block_sort_config_selectorIyNS0_10empty_typeEEENS1_38merge_sort_block_merge_config_selectorIySB_EEEEvv
                                        ; -- End function
	.section	.AMDGPU.csdata,"",@progbits
; Kernel info:
; codeLenInByte = 4
; NumSgprs: 4
; NumVgprs: 0
; NumAgprs: 0
; TotalNumVgprs: 0
; ScratchSize: 0
; MemoryBound: 0
; FloatMode: 240
; IeeeMode: 1
; LDSByteSize: 0 bytes/workgroup (compile time only)
; SGPRBlocks: 0
; VGPRBlocks: 0
; NumSGPRsForWavesPerEU: 4
; NumVGPRsForWavesPerEU: 1
; AccumOffset: 4
; Occupancy: 8
; WaveLimiterHint : 0
; COMPUTE_PGM_RSRC2:SCRATCH_EN: 0
; COMPUTE_PGM_RSRC2:USER_SGPR: 4
; COMPUTE_PGM_RSRC2:TRAP_HANDLER: 0
; COMPUTE_PGM_RSRC2:TGID_X_EN: 1
; COMPUTE_PGM_RSRC2:TGID_Y_EN: 0
; COMPUTE_PGM_RSRC2:TGID_Z_EN: 0
; COMPUTE_PGM_RSRC2:TIDIG_COMP_CNT: 0
; COMPUTE_PGM_RSRC3_GFX90A:ACCUM_OFFSET: 0
; COMPUTE_PGM_RSRC3_GFX90A:TG_SPLIT: 0
	.section	.text._ZN7rocprim17ROCPRIM_400000_NS6detail44device_merge_sort_compile_time_verifier_archINS1_11comp_targetILNS1_3genE10ELNS1_11target_archE1201ELNS1_3gpuE5ELNS1_3repE0EEES8_NS0_14default_configES9_NS1_37merge_sort_block_sort_config_selectorIyNS0_10empty_typeEEENS1_38merge_sort_block_merge_config_selectorIySB_EEEEvv,"axG",@progbits,_ZN7rocprim17ROCPRIM_400000_NS6detail44device_merge_sort_compile_time_verifier_archINS1_11comp_targetILNS1_3genE10ELNS1_11target_archE1201ELNS1_3gpuE5ELNS1_3repE0EEES8_NS0_14default_configES9_NS1_37merge_sort_block_sort_config_selectorIyNS0_10empty_typeEEENS1_38merge_sort_block_merge_config_selectorIySB_EEEEvv,comdat
	.protected	_ZN7rocprim17ROCPRIM_400000_NS6detail44device_merge_sort_compile_time_verifier_archINS1_11comp_targetILNS1_3genE10ELNS1_11target_archE1201ELNS1_3gpuE5ELNS1_3repE0EEES8_NS0_14default_configES9_NS1_37merge_sort_block_sort_config_selectorIyNS0_10empty_typeEEENS1_38merge_sort_block_merge_config_selectorIySB_EEEEvv ; -- Begin function _ZN7rocprim17ROCPRIM_400000_NS6detail44device_merge_sort_compile_time_verifier_archINS1_11comp_targetILNS1_3genE10ELNS1_11target_archE1201ELNS1_3gpuE5ELNS1_3repE0EEES8_NS0_14default_configES9_NS1_37merge_sort_block_sort_config_selectorIyNS0_10empty_typeEEENS1_38merge_sort_block_merge_config_selectorIySB_EEEEvv
	.globl	_ZN7rocprim17ROCPRIM_400000_NS6detail44device_merge_sort_compile_time_verifier_archINS1_11comp_targetILNS1_3genE10ELNS1_11target_archE1201ELNS1_3gpuE5ELNS1_3repE0EEES8_NS0_14default_configES9_NS1_37merge_sort_block_sort_config_selectorIyNS0_10empty_typeEEENS1_38merge_sort_block_merge_config_selectorIySB_EEEEvv
	.p2align	8
	.type	_ZN7rocprim17ROCPRIM_400000_NS6detail44device_merge_sort_compile_time_verifier_archINS1_11comp_targetILNS1_3genE10ELNS1_11target_archE1201ELNS1_3gpuE5ELNS1_3repE0EEES8_NS0_14default_configES9_NS1_37merge_sort_block_sort_config_selectorIyNS0_10empty_typeEEENS1_38merge_sort_block_merge_config_selectorIySB_EEEEvv,@function
_ZN7rocprim17ROCPRIM_400000_NS6detail44device_merge_sort_compile_time_verifier_archINS1_11comp_targetILNS1_3genE10ELNS1_11target_archE1201ELNS1_3gpuE5ELNS1_3repE0EEES8_NS0_14default_configES9_NS1_37merge_sort_block_sort_config_selectorIyNS0_10empty_typeEEENS1_38merge_sort_block_merge_config_selectorIySB_EEEEvv: ; @_ZN7rocprim17ROCPRIM_400000_NS6detail44device_merge_sort_compile_time_verifier_archINS1_11comp_targetILNS1_3genE10ELNS1_11target_archE1201ELNS1_3gpuE5ELNS1_3repE0EEES8_NS0_14default_configES9_NS1_37merge_sort_block_sort_config_selectorIyNS0_10empty_typeEEENS1_38merge_sort_block_merge_config_selectorIySB_EEEEvv
; %bb.0:
	s_endpgm
	.section	.rodata,"a",@progbits
	.p2align	6, 0x0
	.amdhsa_kernel _ZN7rocprim17ROCPRIM_400000_NS6detail44device_merge_sort_compile_time_verifier_archINS1_11comp_targetILNS1_3genE10ELNS1_11target_archE1201ELNS1_3gpuE5ELNS1_3repE0EEES8_NS0_14default_configES9_NS1_37merge_sort_block_sort_config_selectorIyNS0_10empty_typeEEENS1_38merge_sort_block_merge_config_selectorIySB_EEEEvv
		.amdhsa_group_segment_fixed_size 0
		.amdhsa_private_segment_fixed_size 0
		.amdhsa_kernarg_size 0
		.amdhsa_user_sgpr_count 4
		.amdhsa_user_sgpr_private_segment_buffer 1
		.amdhsa_user_sgpr_dispatch_ptr 0
		.amdhsa_user_sgpr_queue_ptr 0
		.amdhsa_user_sgpr_kernarg_segment_ptr 0
		.amdhsa_user_sgpr_dispatch_id 0
		.amdhsa_user_sgpr_flat_scratch_init 0
		.amdhsa_user_sgpr_kernarg_preload_length 0
		.amdhsa_user_sgpr_kernarg_preload_offset 0
		.amdhsa_user_sgpr_private_segment_size 0
		.amdhsa_uses_dynamic_stack 0
		.amdhsa_system_sgpr_private_segment_wavefront_offset 0
		.amdhsa_system_sgpr_workgroup_id_x 1
		.amdhsa_system_sgpr_workgroup_id_y 0
		.amdhsa_system_sgpr_workgroup_id_z 0
		.amdhsa_system_sgpr_workgroup_info 0
		.amdhsa_system_vgpr_workitem_id 0
		.amdhsa_next_free_vgpr 1
		.amdhsa_next_free_sgpr 0
		.amdhsa_accum_offset 4
		.amdhsa_reserve_vcc 0
		.amdhsa_reserve_flat_scratch 0
		.amdhsa_float_round_mode_32 0
		.amdhsa_float_round_mode_16_64 0
		.amdhsa_float_denorm_mode_32 3
		.amdhsa_float_denorm_mode_16_64 3
		.amdhsa_dx10_clamp 1
		.amdhsa_ieee_mode 1
		.amdhsa_fp16_overflow 0
		.amdhsa_tg_split 0
		.amdhsa_exception_fp_ieee_invalid_op 0
		.amdhsa_exception_fp_denorm_src 0
		.amdhsa_exception_fp_ieee_div_zero 0
		.amdhsa_exception_fp_ieee_overflow 0
		.amdhsa_exception_fp_ieee_underflow 0
		.amdhsa_exception_fp_ieee_inexact 0
		.amdhsa_exception_int_div_zero 0
	.end_amdhsa_kernel
	.section	.text._ZN7rocprim17ROCPRIM_400000_NS6detail44device_merge_sort_compile_time_verifier_archINS1_11comp_targetILNS1_3genE10ELNS1_11target_archE1201ELNS1_3gpuE5ELNS1_3repE0EEES8_NS0_14default_configES9_NS1_37merge_sort_block_sort_config_selectorIyNS0_10empty_typeEEENS1_38merge_sort_block_merge_config_selectorIySB_EEEEvv,"axG",@progbits,_ZN7rocprim17ROCPRIM_400000_NS6detail44device_merge_sort_compile_time_verifier_archINS1_11comp_targetILNS1_3genE10ELNS1_11target_archE1201ELNS1_3gpuE5ELNS1_3repE0EEES8_NS0_14default_configES9_NS1_37merge_sort_block_sort_config_selectorIyNS0_10empty_typeEEENS1_38merge_sort_block_merge_config_selectorIySB_EEEEvv,comdat
.Lfunc_end3450:
	.size	_ZN7rocprim17ROCPRIM_400000_NS6detail44device_merge_sort_compile_time_verifier_archINS1_11comp_targetILNS1_3genE10ELNS1_11target_archE1201ELNS1_3gpuE5ELNS1_3repE0EEES8_NS0_14default_configES9_NS1_37merge_sort_block_sort_config_selectorIyNS0_10empty_typeEEENS1_38merge_sort_block_merge_config_selectorIySB_EEEEvv, .Lfunc_end3450-_ZN7rocprim17ROCPRIM_400000_NS6detail44device_merge_sort_compile_time_verifier_archINS1_11comp_targetILNS1_3genE10ELNS1_11target_archE1201ELNS1_3gpuE5ELNS1_3repE0EEES8_NS0_14default_configES9_NS1_37merge_sort_block_sort_config_selectorIyNS0_10empty_typeEEENS1_38merge_sort_block_merge_config_selectorIySB_EEEEvv
                                        ; -- End function
	.section	.AMDGPU.csdata,"",@progbits
; Kernel info:
; codeLenInByte = 4
; NumSgprs: 4
; NumVgprs: 0
; NumAgprs: 0
; TotalNumVgprs: 0
; ScratchSize: 0
; MemoryBound: 0
; FloatMode: 240
; IeeeMode: 1
; LDSByteSize: 0 bytes/workgroup (compile time only)
; SGPRBlocks: 0
; VGPRBlocks: 0
; NumSGPRsForWavesPerEU: 4
; NumVGPRsForWavesPerEU: 1
; AccumOffset: 4
; Occupancy: 8
; WaveLimiterHint : 0
; COMPUTE_PGM_RSRC2:SCRATCH_EN: 0
; COMPUTE_PGM_RSRC2:USER_SGPR: 4
; COMPUTE_PGM_RSRC2:TRAP_HANDLER: 0
; COMPUTE_PGM_RSRC2:TGID_X_EN: 1
; COMPUTE_PGM_RSRC2:TGID_Y_EN: 0
; COMPUTE_PGM_RSRC2:TGID_Z_EN: 0
; COMPUTE_PGM_RSRC2:TIDIG_COMP_CNT: 0
; COMPUTE_PGM_RSRC3_GFX90A:ACCUM_OFFSET: 0
; COMPUTE_PGM_RSRC3_GFX90A:TG_SPLIT: 0
	.section	.text._ZN7rocprim17ROCPRIM_400000_NS6detail44device_merge_sort_compile_time_verifier_archINS1_11comp_targetILNS1_3genE10ELNS1_11target_archE1200ELNS1_3gpuE4ELNS1_3repE0EEENS3_ILS4_10ELS5_1201ELS6_5ELS7_0EEENS0_14default_configESA_NS1_37merge_sort_block_sort_config_selectorIyNS0_10empty_typeEEENS1_38merge_sort_block_merge_config_selectorIySC_EEEEvv,"axG",@progbits,_ZN7rocprim17ROCPRIM_400000_NS6detail44device_merge_sort_compile_time_verifier_archINS1_11comp_targetILNS1_3genE10ELNS1_11target_archE1200ELNS1_3gpuE4ELNS1_3repE0EEENS3_ILS4_10ELS5_1201ELS6_5ELS7_0EEENS0_14default_configESA_NS1_37merge_sort_block_sort_config_selectorIyNS0_10empty_typeEEENS1_38merge_sort_block_merge_config_selectorIySC_EEEEvv,comdat
	.protected	_ZN7rocprim17ROCPRIM_400000_NS6detail44device_merge_sort_compile_time_verifier_archINS1_11comp_targetILNS1_3genE10ELNS1_11target_archE1200ELNS1_3gpuE4ELNS1_3repE0EEENS3_ILS4_10ELS5_1201ELS6_5ELS7_0EEENS0_14default_configESA_NS1_37merge_sort_block_sort_config_selectorIyNS0_10empty_typeEEENS1_38merge_sort_block_merge_config_selectorIySC_EEEEvv ; -- Begin function _ZN7rocprim17ROCPRIM_400000_NS6detail44device_merge_sort_compile_time_verifier_archINS1_11comp_targetILNS1_3genE10ELNS1_11target_archE1200ELNS1_3gpuE4ELNS1_3repE0EEENS3_ILS4_10ELS5_1201ELS6_5ELS7_0EEENS0_14default_configESA_NS1_37merge_sort_block_sort_config_selectorIyNS0_10empty_typeEEENS1_38merge_sort_block_merge_config_selectorIySC_EEEEvv
	.globl	_ZN7rocprim17ROCPRIM_400000_NS6detail44device_merge_sort_compile_time_verifier_archINS1_11comp_targetILNS1_3genE10ELNS1_11target_archE1200ELNS1_3gpuE4ELNS1_3repE0EEENS3_ILS4_10ELS5_1201ELS6_5ELS7_0EEENS0_14default_configESA_NS1_37merge_sort_block_sort_config_selectorIyNS0_10empty_typeEEENS1_38merge_sort_block_merge_config_selectorIySC_EEEEvv
	.p2align	8
	.type	_ZN7rocprim17ROCPRIM_400000_NS6detail44device_merge_sort_compile_time_verifier_archINS1_11comp_targetILNS1_3genE10ELNS1_11target_archE1200ELNS1_3gpuE4ELNS1_3repE0EEENS3_ILS4_10ELS5_1201ELS6_5ELS7_0EEENS0_14default_configESA_NS1_37merge_sort_block_sort_config_selectorIyNS0_10empty_typeEEENS1_38merge_sort_block_merge_config_selectorIySC_EEEEvv,@function
_ZN7rocprim17ROCPRIM_400000_NS6detail44device_merge_sort_compile_time_verifier_archINS1_11comp_targetILNS1_3genE10ELNS1_11target_archE1200ELNS1_3gpuE4ELNS1_3repE0EEENS3_ILS4_10ELS5_1201ELS6_5ELS7_0EEENS0_14default_configESA_NS1_37merge_sort_block_sort_config_selectorIyNS0_10empty_typeEEENS1_38merge_sort_block_merge_config_selectorIySC_EEEEvv: ; @_ZN7rocprim17ROCPRIM_400000_NS6detail44device_merge_sort_compile_time_verifier_archINS1_11comp_targetILNS1_3genE10ELNS1_11target_archE1200ELNS1_3gpuE4ELNS1_3repE0EEENS3_ILS4_10ELS5_1201ELS6_5ELS7_0EEENS0_14default_configESA_NS1_37merge_sort_block_sort_config_selectorIyNS0_10empty_typeEEENS1_38merge_sort_block_merge_config_selectorIySC_EEEEvv
; %bb.0:
	s_endpgm
	.section	.rodata,"a",@progbits
	.p2align	6, 0x0
	.amdhsa_kernel _ZN7rocprim17ROCPRIM_400000_NS6detail44device_merge_sort_compile_time_verifier_archINS1_11comp_targetILNS1_3genE10ELNS1_11target_archE1200ELNS1_3gpuE4ELNS1_3repE0EEENS3_ILS4_10ELS5_1201ELS6_5ELS7_0EEENS0_14default_configESA_NS1_37merge_sort_block_sort_config_selectorIyNS0_10empty_typeEEENS1_38merge_sort_block_merge_config_selectorIySC_EEEEvv
		.amdhsa_group_segment_fixed_size 0
		.amdhsa_private_segment_fixed_size 0
		.amdhsa_kernarg_size 0
		.amdhsa_user_sgpr_count 4
		.amdhsa_user_sgpr_private_segment_buffer 1
		.amdhsa_user_sgpr_dispatch_ptr 0
		.amdhsa_user_sgpr_queue_ptr 0
		.amdhsa_user_sgpr_kernarg_segment_ptr 0
		.amdhsa_user_sgpr_dispatch_id 0
		.amdhsa_user_sgpr_flat_scratch_init 0
		.amdhsa_user_sgpr_kernarg_preload_length 0
		.amdhsa_user_sgpr_kernarg_preload_offset 0
		.amdhsa_user_sgpr_private_segment_size 0
		.amdhsa_uses_dynamic_stack 0
		.amdhsa_system_sgpr_private_segment_wavefront_offset 0
		.amdhsa_system_sgpr_workgroup_id_x 1
		.amdhsa_system_sgpr_workgroup_id_y 0
		.amdhsa_system_sgpr_workgroup_id_z 0
		.amdhsa_system_sgpr_workgroup_info 0
		.amdhsa_system_vgpr_workitem_id 0
		.amdhsa_next_free_vgpr 1
		.amdhsa_next_free_sgpr 0
		.amdhsa_accum_offset 4
		.amdhsa_reserve_vcc 0
		.amdhsa_reserve_flat_scratch 0
		.amdhsa_float_round_mode_32 0
		.amdhsa_float_round_mode_16_64 0
		.amdhsa_float_denorm_mode_32 3
		.amdhsa_float_denorm_mode_16_64 3
		.amdhsa_dx10_clamp 1
		.amdhsa_ieee_mode 1
		.amdhsa_fp16_overflow 0
		.amdhsa_tg_split 0
		.amdhsa_exception_fp_ieee_invalid_op 0
		.amdhsa_exception_fp_denorm_src 0
		.amdhsa_exception_fp_ieee_div_zero 0
		.amdhsa_exception_fp_ieee_overflow 0
		.amdhsa_exception_fp_ieee_underflow 0
		.amdhsa_exception_fp_ieee_inexact 0
		.amdhsa_exception_int_div_zero 0
	.end_amdhsa_kernel
	.section	.text._ZN7rocprim17ROCPRIM_400000_NS6detail44device_merge_sort_compile_time_verifier_archINS1_11comp_targetILNS1_3genE10ELNS1_11target_archE1200ELNS1_3gpuE4ELNS1_3repE0EEENS3_ILS4_10ELS5_1201ELS6_5ELS7_0EEENS0_14default_configESA_NS1_37merge_sort_block_sort_config_selectorIyNS0_10empty_typeEEENS1_38merge_sort_block_merge_config_selectorIySC_EEEEvv,"axG",@progbits,_ZN7rocprim17ROCPRIM_400000_NS6detail44device_merge_sort_compile_time_verifier_archINS1_11comp_targetILNS1_3genE10ELNS1_11target_archE1200ELNS1_3gpuE4ELNS1_3repE0EEENS3_ILS4_10ELS5_1201ELS6_5ELS7_0EEENS0_14default_configESA_NS1_37merge_sort_block_sort_config_selectorIyNS0_10empty_typeEEENS1_38merge_sort_block_merge_config_selectorIySC_EEEEvv,comdat
.Lfunc_end3451:
	.size	_ZN7rocprim17ROCPRIM_400000_NS6detail44device_merge_sort_compile_time_verifier_archINS1_11comp_targetILNS1_3genE10ELNS1_11target_archE1200ELNS1_3gpuE4ELNS1_3repE0EEENS3_ILS4_10ELS5_1201ELS6_5ELS7_0EEENS0_14default_configESA_NS1_37merge_sort_block_sort_config_selectorIyNS0_10empty_typeEEENS1_38merge_sort_block_merge_config_selectorIySC_EEEEvv, .Lfunc_end3451-_ZN7rocprim17ROCPRIM_400000_NS6detail44device_merge_sort_compile_time_verifier_archINS1_11comp_targetILNS1_3genE10ELNS1_11target_archE1200ELNS1_3gpuE4ELNS1_3repE0EEENS3_ILS4_10ELS5_1201ELS6_5ELS7_0EEENS0_14default_configESA_NS1_37merge_sort_block_sort_config_selectorIyNS0_10empty_typeEEENS1_38merge_sort_block_merge_config_selectorIySC_EEEEvv
                                        ; -- End function
	.section	.AMDGPU.csdata,"",@progbits
; Kernel info:
; codeLenInByte = 4
; NumSgprs: 4
; NumVgprs: 0
; NumAgprs: 0
; TotalNumVgprs: 0
; ScratchSize: 0
; MemoryBound: 0
; FloatMode: 240
; IeeeMode: 1
; LDSByteSize: 0 bytes/workgroup (compile time only)
; SGPRBlocks: 0
; VGPRBlocks: 0
; NumSGPRsForWavesPerEU: 4
; NumVGPRsForWavesPerEU: 1
; AccumOffset: 4
; Occupancy: 8
; WaveLimiterHint : 0
; COMPUTE_PGM_RSRC2:SCRATCH_EN: 0
; COMPUTE_PGM_RSRC2:USER_SGPR: 4
; COMPUTE_PGM_RSRC2:TRAP_HANDLER: 0
; COMPUTE_PGM_RSRC2:TGID_X_EN: 1
; COMPUTE_PGM_RSRC2:TGID_Y_EN: 0
; COMPUTE_PGM_RSRC2:TGID_Z_EN: 0
; COMPUTE_PGM_RSRC2:TIDIG_COMP_CNT: 0
; COMPUTE_PGM_RSRC3_GFX90A:ACCUM_OFFSET: 0
; COMPUTE_PGM_RSRC3_GFX90A:TG_SPLIT: 0
	.section	.text._ZN7rocprim17ROCPRIM_400000_NS6detail44device_merge_sort_compile_time_verifier_archINS1_11comp_targetILNS1_3genE9ELNS1_11target_archE1100ELNS1_3gpuE3ELNS1_3repE0EEES8_NS0_14default_configES9_NS1_37merge_sort_block_sort_config_selectorIyNS0_10empty_typeEEENS1_38merge_sort_block_merge_config_selectorIySB_EEEEvv,"axG",@progbits,_ZN7rocprim17ROCPRIM_400000_NS6detail44device_merge_sort_compile_time_verifier_archINS1_11comp_targetILNS1_3genE9ELNS1_11target_archE1100ELNS1_3gpuE3ELNS1_3repE0EEES8_NS0_14default_configES9_NS1_37merge_sort_block_sort_config_selectorIyNS0_10empty_typeEEENS1_38merge_sort_block_merge_config_selectorIySB_EEEEvv,comdat
	.protected	_ZN7rocprim17ROCPRIM_400000_NS6detail44device_merge_sort_compile_time_verifier_archINS1_11comp_targetILNS1_3genE9ELNS1_11target_archE1100ELNS1_3gpuE3ELNS1_3repE0EEES8_NS0_14default_configES9_NS1_37merge_sort_block_sort_config_selectorIyNS0_10empty_typeEEENS1_38merge_sort_block_merge_config_selectorIySB_EEEEvv ; -- Begin function _ZN7rocprim17ROCPRIM_400000_NS6detail44device_merge_sort_compile_time_verifier_archINS1_11comp_targetILNS1_3genE9ELNS1_11target_archE1100ELNS1_3gpuE3ELNS1_3repE0EEES8_NS0_14default_configES9_NS1_37merge_sort_block_sort_config_selectorIyNS0_10empty_typeEEENS1_38merge_sort_block_merge_config_selectorIySB_EEEEvv
	.globl	_ZN7rocprim17ROCPRIM_400000_NS6detail44device_merge_sort_compile_time_verifier_archINS1_11comp_targetILNS1_3genE9ELNS1_11target_archE1100ELNS1_3gpuE3ELNS1_3repE0EEES8_NS0_14default_configES9_NS1_37merge_sort_block_sort_config_selectorIyNS0_10empty_typeEEENS1_38merge_sort_block_merge_config_selectorIySB_EEEEvv
	.p2align	8
	.type	_ZN7rocprim17ROCPRIM_400000_NS6detail44device_merge_sort_compile_time_verifier_archINS1_11comp_targetILNS1_3genE9ELNS1_11target_archE1100ELNS1_3gpuE3ELNS1_3repE0EEES8_NS0_14default_configES9_NS1_37merge_sort_block_sort_config_selectorIyNS0_10empty_typeEEENS1_38merge_sort_block_merge_config_selectorIySB_EEEEvv,@function
_ZN7rocprim17ROCPRIM_400000_NS6detail44device_merge_sort_compile_time_verifier_archINS1_11comp_targetILNS1_3genE9ELNS1_11target_archE1100ELNS1_3gpuE3ELNS1_3repE0EEES8_NS0_14default_configES9_NS1_37merge_sort_block_sort_config_selectorIyNS0_10empty_typeEEENS1_38merge_sort_block_merge_config_selectorIySB_EEEEvv: ; @_ZN7rocprim17ROCPRIM_400000_NS6detail44device_merge_sort_compile_time_verifier_archINS1_11comp_targetILNS1_3genE9ELNS1_11target_archE1100ELNS1_3gpuE3ELNS1_3repE0EEES8_NS0_14default_configES9_NS1_37merge_sort_block_sort_config_selectorIyNS0_10empty_typeEEENS1_38merge_sort_block_merge_config_selectorIySB_EEEEvv
; %bb.0:
	s_endpgm
	.section	.rodata,"a",@progbits
	.p2align	6, 0x0
	.amdhsa_kernel _ZN7rocprim17ROCPRIM_400000_NS6detail44device_merge_sort_compile_time_verifier_archINS1_11comp_targetILNS1_3genE9ELNS1_11target_archE1100ELNS1_3gpuE3ELNS1_3repE0EEES8_NS0_14default_configES9_NS1_37merge_sort_block_sort_config_selectorIyNS0_10empty_typeEEENS1_38merge_sort_block_merge_config_selectorIySB_EEEEvv
		.amdhsa_group_segment_fixed_size 0
		.amdhsa_private_segment_fixed_size 0
		.amdhsa_kernarg_size 0
		.amdhsa_user_sgpr_count 4
		.amdhsa_user_sgpr_private_segment_buffer 1
		.amdhsa_user_sgpr_dispatch_ptr 0
		.amdhsa_user_sgpr_queue_ptr 0
		.amdhsa_user_sgpr_kernarg_segment_ptr 0
		.amdhsa_user_sgpr_dispatch_id 0
		.amdhsa_user_sgpr_flat_scratch_init 0
		.amdhsa_user_sgpr_kernarg_preload_length 0
		.amdhsa_user_sgpr_kernarg_preload_offset 0
		.amdhsa_user_sgpr_private_segment_size 0
		.amdhsa_uses_dynamic_stack 0
		.amdhsa_system_sgpr_private_segment_wavefront_offset 0
		.amdhsa_system_sgpr_workgroup_id_x 1
		.amdhsa_system_sgpr_workgroup_id_y 0
		.amdhsa_system_sgpr_workgroup_id_z 0
		.amdhsa_system_sgpr_workgroup_info 0
		.amdhsa_system_vgpr_workitem_id 0
		.amdhsa_next_free_vgpr 1
		.amdhsa_next_free_sgpr 0
		.amdhsa_accum_offset 4
		.amdhsa_reserve_vcc 0
		.amdhsa_reserve_flat_scratch 0
		.amdhsa_float_round_mode_32 0
		.amdhsa_float_round_mode_16_64 0
		.amdhsa_float_denorm_mode_32 3
		.amdhsa_float_denorm_mode_16_64 3
		.amdhsa_dx10_clamp 1
		.amdhsa_ieee_mode 1
		.amdhsa_fp16_overflow 0
		.amdhsa_tg_split 0
		.amdhsa_exception_fp_ieee_invalid_op 0
		.amdhsa_exception_fp_denorm_src 0
		.amdhsa_exception_fp_ieee_div_zero 0
		.amdhsa_exception_fp_ieee_overflow 0
		.amdhsa_exception_fp_ieee_underflow 0
		.amdhsa_exception_fp_ieee_inexact 0
		.amdhsa_exception_int_div_zero 0
	.end_amdhsa_kernel
	.section	.text._ZN7rocprim17ROCPRIM_400000_NS6detail44device_merge_sort_compile_time_verifier_archINS1_11comp_targetILNS1_3genE9ELNS1_11target_archE1100ELNS1_3gpuE3ELNS1_3repE0EEES8_NS0_14default_configES9_NS1_37merge_sort_block_sort_config_selectorIyNS0_10empty_typeEEENS1_38merge_sort_block_merge_config_selectorIySB_EEEEvv,"axG",@progbits,_ZN7rocprim17ROCPRIM_400000_NS6detail44device_merge_sort_compile_time_verifier_archINS1_11comp_targetILNS1_3genE9ELNS1_11target_archE1100ELNS1_3gpuE3ELNS1_3repE0EEES8_NS0_14default_configES9_NS1_37merge_sort_block_sort_config_selectorIyNS0_10empty_typeEEENS1_38merge_sort_block_merge_config_selectorIySB_EEEEvv,comdat
.Lfunc_end3452:
	.size	_ZN7rocprim17ROCPRIM_400000_NS6detail44device_merge_sort_compile_time_verifier_archINS1_11comp_targetILNS1_3genE9ELNS1_11target_archE1100ELNS1_3gpuE3ELNS1_3repE0EEES8_NS0_14default_configES9_NS1_37merge_sort_block_sort_config_selectorIyNS0_10empty_typeEEENS1_38merge_sort_block_merge_config_selectorIySB_EEEEvv, .Lfunc_end3452-_ZN7rocprim17ROCPRIM_400000_NS6detail44device_merge_sort_compile_time_verifier_archINS1_11comp_targetILNS1_3genE9ELNS1_11target_archE1100ELNS1_3gpuE3ELNS1_3repE0EEES8_NS0_14default_configES9_NS1_37merge_sort_block_sort_config_selectorIyNS0_10empty_typeEEENS1_38merge_sort_block_merge_config_selectorIySB_EEEEvv
                                        ; -- End function
	.section	.AMDGPU.csdata,"",@progbits
; Kernel info:
; codeLenInByte = 4
; NumSgprs: 4
; NumVgprs: 0
; NumAgprs: 0
; TotalNumVgprs: 0
; ScratchSize: 0
; MemoryBound: 0
; FloatMode: 240
; IeeeMode: 1
; LDSByteSize: 0 bytes/workgroup (compile time only)
; SGPRBlocks: 0
; VGPRBlocks: 0
; NumSGPRsForWavesPerEU: 4
; NumVGPRsForWavesPerEU: 1
; AccumOffset: 4
; Occupancy: 8
; WaveLimiterHint : 0
; COMPUTE_PGM_RSRC2:SCRATCH_EN: 0
; COMPUTE_PGM_RSRC2:USER_SGPR: 4
; COMPUTE_PGM_RSRC2:TRAP_HANDLER: 0
; COMPUTE_PGM_RSRC2:TGID_X_EN: 1
; COMPUTE_PGM_RSRC2:TGID_Y_EN: 0
; COMPUTE_PGM_RSRC2:TGID_Z_EN: 0
; COMPUTE_PGM_RSRC2:TIDIG_COMP_CNT: 0
; COMPUTE_PGM_RSRC3_GFX90A:ACCUM_OFFSET: 0
; COMPUTE_PGM_RSRC3_GFX90A:TG_SPLIT: 0
	.section	.text._ZN7rocprim17ROCPRIM_400000_NS6detail44device_merge_sort_compile_time_verifier_archINS1_11comp_targetILNS1_3genE8ELNS1_11target_archE1030ELNS1_3gpuE2ELNS1_3repE0EEES8_NS0_14default_configES9_NS1_37merge_sort_block_sort_config_selectorIyNS0_10empty_typeEEENS1_38merge_sort_block_merge_config_selectorIySB_EEEEvv,"axG",@progbits,_ZN7rocprim17ROCPRIM_400000_NS6detail44device_merge_sort_compile_time_verifier_archINS1_11comp_targetILNS1_3genE8ELNS1_11target_archE1030ELNS1_3gpuE2ELNS1_3repE0EEES8_NS0_14default_configES9_NS1_37merge_sort_block_sort_config_selectorIyNS0_10empty_typeEEENS1_38merge_sort_block_merge_config_selectorIySB_EEEEvv,comdat
	.protected	_ZN7rocprim17ROCPRIM_400000_NS6detail44device_merge_sort_compile_time_verifier_archINS1_11comp_targetILNS1_3genE8ELNS1_11target_archE1030ELNS1_3gpuE2ELNS1_3repE0EEES8_NS0_14default_configES9_NS1_37merge_sort_block_sort_config_selectorIyNS0_10empty_typeEEENS1_38merge_sort_block_merge_config_selectorIySB_EEEEvv ; -- Begin function _ZN7rocprim17ROCPRIM_400000_NS6detail44device_merge_sort_compile_time_verifier_archINS1_11comp_targetILNS1_3genE8ELNS1_11target_archE1030ELNS1_3gpuE2ELNS1_3repE0EEES8_NS0_14default_configES9_NS1_37merge_sort_block_sort_config_selectorIyNS0_10empty_typeEEENS1_38merge_sort_block_merge_config_selectorIySB_EEEEvv
	.globl	_ZN7rocprim17ROCPRIM_400000_NS6detail44device_merge_sort_compile_time_verifier_archINS1_11comp_targetILNS1_3genE8ELNS1_11target_archE1030ELNS1_3gpuE2ELNS1_3repE0EEES8_NS0_14default_configES9_NS1_37merge_sort_block_sort_config_selectorIyNS0_10empty_typeEEENS1_38merge_sort_block_merge_config_selectorIySB_EEEEvv
	.p2align	8
	.type	_ZN7rocprim17ROCPRIM_400000_NS6detail44device_merge_sort_compile_time_verifier_archINS1_11comp_targetILNS1_3genE8ELNS1_11target_archE1030ELNS1_3gpuE2ELNS1_3repE0EEES8_NS0_14default_configES9_NS1_37merge_sort_block_sort_config_selectorIyNS0_10empty_typeEEENS1_38merge_sort_block_merge_config_selectorIySB_EEEEvv,@function
_ZN7rocprim17ROCPRIM_400000_NS6detail44device_merge_sort_compile_time_verifier_archINS1_11comp_targetILNS1_3genE8ELNS1_11target_archE1030ELNS1_3gpuE2ELNS1_3repE0EEES8_NS0_14default_configES9_NS1_37merge_sort_block_sort_config_selectorIyNS0_10empty_typeEEENS1_38merge_sort_block_merge_config_selectorIySB_EEEEvv: ; @_ZN7rocprim17ROCPRIM_400000_NS6detail44device_merge_sort_compile_time_verifier_archINS1_11comp_targetILNS1_3genE8ELNS1_11target_archE1030ELNS1_3gpuE2ELNS1_3repE0EEES8_NS0_14default_configES9_NS1_37merge_sort_block_sort_config_selectorIyNS0_10empty_typeEEENS1_38merge_sort_block_merge_config_selectorIySB_EEEEvv
; %bb.0:
	s_endpgm
	.section	.rodata,"a",@progbits
	.p2align	6, 0x0
	.amdhsa_kernel _ZN7rocprim17ROCPRIM_400000_NS6detail44device_merge_sort_compile_time_verifier_archINS1_11comp_targetILNS1_3genE8ELNS1_11target_archE1030ELNS1_3gpuE2ELNS1_3repE0EEES8_NS0_14default_configES9_NS1_37merge_sort_block_sort_config_selectorIyNS0_10empty_typeEEENS1_38merge_sort_block_merge_config_selectorIySB_EEEEvv
		.amdhsa_group_segment_fixed_size 0
		.amdhsa_private_segment_fixed_size 0
		.amdhsa_kernarg_size 0
		.amdhsa_user_sgpr_count 4
		.amdhsa_user_sgpr_private_segment_buffer 1
		.amdhsa_user_sgpr_dispatch_ptr 0
		.amdhsa_user_sgpr_queue_ptr 0
		.amdhsa_user_sgpr_kernarg_segment_ptr 0
		.amdhsa_user_sgpr_dispatch_id 0
		.amdhsa_user_sgpr_flat_scratch_init 0
		.amdhsa_user_sgpr_kernarg_preload_length 0
		.amdhsa_user_sgpr_kernarg_preload_offset 0
		.amdhsa_user_sgpr_private_segment_size 0
		.amdhsa_uses_dynamic_stack 0
		.amdhsa_system_sgpr_private_segment_wavefront_offset 0
		.amdhsa_system_sgpr_workgroup_id_x 1
		.amdhsa_system_sgpr_workgroup_id_y 0
		.amdhsa_system_sgpr_workgroup_id_z 0
		.amdhsa_system_sgpr_workgroup_info 0
		.amdhsa_system_vgpr_workitem_id 0
		.amdhsa_next_free_vgpr 1
		.amdhsa_next_free_sgpr 0
		.amdhsa_accum_offset 4
		.amdhsa_reserve_vcc 0
		.amdhsa_reserve_flat_scratch 0
		.amdhsa_float_round_mode_32 0
		.amdhsa_float_round_mode_16_64 0
		.amdhsa_float_denorm_mode_32 3
		.amdhsa_float_denorm_mode_16_64 3
		.amdhsa_dx10_clamp 1
		.amdhsa_ieee_mode 1
		.amdhsa_fp16_overflow 0
		.amdhsa_tg_split 0
		.amdhsa_exception_fp_ieee_invalid_op 0
		.amdhsa_exception_fp_denorm_src 0
		.amdhsa_exception_fp_ieee_div_zero 0
		.amdhsa_exception_fp_ieee_overflow 0
		.amdhsa_exception_fp_ieee_underflow 0
		.amdhsa_exception_fp_ieee_inexact 0
		.amdhsa_exception_int_div_zero 0
	.end_amdhsa_kernel
	.section	.text._ZN7rocprim17ROCPRIM_400000_NS6detail44device_merge_sort_compile_time_verifier_archINS1_11comp_targetILNS1_3genE8ELNS1_11target_archE1030ELNS1_3gpuE2ELNS1_3repE0EEES8_NS0_14default_configES9_NS1_37merge_sort_block_sort_config_selectorIyNS0_10empty_typeEEENS1_38merge_sort_block_merge_config_selectorIySB_EEEEvv,"axG",@progbits,_ZN7rocprim17ROCPRIM_400000_NS6detail44device_merge_sort_compile_time_verifier_archINS1_11comp_targetILNS1_3genE8ELNS1_11target_archE1030ELNS1_3gpuE2ELNS1_3repE0EEES8_NS0_14default_configES9_NS1_37merge_sort_block_sort_config_selectorIyNS0_10empty_typeEEENS1_38merge_sort_block_merge_config_selectorIySB_EEEEvv,comdat
.Lfunc_end3453:
	.size	_ZN7rocprim17ROCPRIM_400000_NS6detail44device_merge_sort_compile_time_verifier_archINS1_11comp_targetILNS1_3genE8ELNS1_11target_archE1030ELNS1_3gpuE2ELNS1_3repE0EEES8_NS0_14default_configES9_NS1_37merge_sort_block_sort_config_selectorIyNS0_10empty_typeEEENS1_38merge_sort_block_merge_config_selectorIySB_EEEEvv, .Lfunc_end3453-_ZN7rocprim17ROCPRIM_400000_NS6detail44device_merge_sort_compile_time_verifier_archINS1_11comp_targetILNS1_3genE8ELNS1_11target_archE1030ELNS1_3gpuE2ELNS1_3repE0EEES8_NS0_14default_configES9_NS1_37merge_sort_block_sort_config_selectorIyNS0_10empty_typeEEENS1_38merge_sort_block_merge_config_selectorIySB_EEEEvv
                                        ; -- End function
	.section	.AMDGPU.csdata,"",@progbits
; Kernel info:
; codeLenInByte = 4
; NumSgprs: 4
; NumVgprs: 0
; NumAgprs: 0
; TotalNumVgprs: 0
; ScratchSize: 0
; MemoryBound: 0
; FloatMode: 240
; IeeeMode: 1
; LDSByteSize: 0 bytes/workgroup (compile time only)
; SGPRBlocks: 0
; VGPRBlocks: 0
; NumSGPRsForWavesPerEU: 4
; NumVGPRsForWavesPerEU: 1
; AccumOffset: 4
; Occupancy: 8
; WaveLimiterHint : 0
; COMPUTE_PGM_RSRC2:SCRATCH_EN: 0
; COMPUTE_PGM_RSRC2:USER_SGPR: 4
; COMPUTE_PGM_RSRC2:TRAP_HANDLER: 0
; COMPUTE_PGM_RSRC2:TGID_X_EN: 1
; COMPUTE_PGM_RSRC2:TGID_Y_EN: 0
; COMPUTE_PGM_RSRC2:TGID_Z_EN: 0
; COMPUTE_PGM_RSRC2:TIDIG_COMP_CNT: 0
; COMPUTE_PGM_RSRC3_GFX90A:ACCUM_OFFSET: 0
; COMPUTE_PGM_RSRC3_GFX90A:TG_SPLIT: 0
	.section	.text._ZN7rocprim17ROCPRIM_400000_NS6detail17trampoline_kernelINS0_14default_configENS1_37merge_sort_block_sort_config_selectorIyNS0_10empty_typeEEEZNS1_21merge_sort_block_sortIS3_N6thrust23THRUST_200600_302600_NS6detail15normal_iteratorINS9_10device_ptrIyEEEESE_PS5_SF_14custom_greaterIyEEE10hipError_tT0_T1_T2_T3_mRjT4_P12ihipStream_tbNS1_7vsmem_tEEUlT_E_NS1_11comp_targetILNS1_3genE0ELNS1_11target_archE4294967295ELNS1_3gpuE0ELNS1_3repE0EEENS1_30default_config_static_selectorELNS0_4arch9wavefront6targetE1EEEvSK_,"axG",@progbits,_ZN7rocprim17ROCPRIM_400000_NS6detail17trampoline_kernelINS0_14default_configENS1_37merge_sort_block_sort_config_selectorIyNS0_10empty_typeEEEZNS1_21merge_sort_block_sortIS3_N6thrust23THRUST_200600_302600_NS6detail15normal_iteratorINS9_10device_ptrIyEEEESE_PS5_SF_14custom_greaterIyEEE10hipError_tT0_T1_T2_T3_mRjT4_P12ihipStream_tbNS1_7vsmem_tEEUlT_E_NS1_11comp_targetILNS1_3genE0ELNS1_11target_archE4294967295ELNS1_3gpuE0ELNS1_3repE0EEENS1_30default_config_static_selectorELNS0_4arch9wavefront6targetE1EEEvSK_,comdat
	.protected	_ZN7rocprim17ROCPRIM_400000_NS6detail17trampoline_kernelINS0_14default_configENS1_37merge_sort_block_sort_config_selectorIyNS0_10empty_typeEEEZNS1_21merge_sort_block_sortIS3_N6thrust23THRUST_200600_302600_NS6detail15normal_iteratorINS9_10device_ptrIyEEEESE_PS5_SF_14custom_greaterIyEEE10hipError_tT0_T1_T2_T3_mRjT4_P12ihipStream_tbNS1_7vsmem_tEEUlT_E_NS1_11comp_targetILNS1_3genE0ELNS1_11target_archE4294967295ELNS1_3gpuE0ELNS1_3repE0EEENS1_30default_config_static_selectorELNS0_4arch9wavefront6targetE1EEEvSK_ ; -- Begin function _ZN7rocprim17ROCPRIM_400000_NS6detail17trampoline_kernelINS0_14default_configENS1_37merge_sort_block_sort_config_selectorIyNS0_10empty_typeEEEZNS1_21merge_sort_block_sortIS3_N6thrust23THRUST_200600_302600_NS6detail15normal_iteratorINS9_10device_ptrIyEEEESE_PS5_SF_14custom_greaterIyEEE10hipError_tT0_T1_T2_T3_mRjT4_P12ihipStream_tbNS1_7vsmem_tEEUlT_E_NS1_11comp_targetILNS1_3genE0ELNS1_11target_archE4294967295ELNS1_3gpuE0ELNS1_3repE0EEENS1_30default_config_static_selectorELNS0_4arch9wavefront6targetE1EEEvSK_
	.globl	_ZN7rocprim17ROCPRIM_400000_NS6detail17trampoline_kernelINS0_14default_configENS1_37merge_sort_block_sort_config_selectorIyNS0_10empty_typeEEEZNS1_21merge_sort_block_sortIS3_N6thrust23THRUST_200600_302600_NS6detail15normal_iteratorINS9_10device_ptrIyEEEESE_PS5_SF_14custom_greaterIyEEE10hipError_tT0_T1_T2_T3_mRjT4_P12ihipStream_tbNS1_7vsmem_tEEUlT_E_NS1_11comp_targetILNS1_3genE0ELNS1_11target_archE4294967295ELNS1_3gpuE0ELNS1_3repE0EEENS1_30default_config_static_selectorELNS0_4arch9wavefront6targetE1EEEvSK_
	.p2align	8
	.type	_ZN7rocprim17ROCPRIM_400000_NS6detail17trampoline_kernelINS0_14default_configENS1_37merge_sort_block_sort_config_selectorIyNS0_10empty_typeEEEZNS1_21merge_sort_block_sortIS3_N6thrust23THRUST_200600_302600_NS6detail15normal_iteratorINS9_10device_ptrIyEEEESE_PS5_SF_14custom_greaterIyEEE10hipError_tT0_T1_T2_T3_mRjT4_P12ihipStream_tbNS1_7vsmem_tEEUlT_E_NS1_11comp_targetILNS1_3genE0ELNS1_11target_archE4294967295ELNS1_3gpuE0ELNS1_3repE0EEENS1_30default_config_static_selectorELNS0_4arch9wavefront6targetE1EEEvSK_,@function
_ZN7rocprim17ROCPRIM_400000_NS6detail17trampoline_kernelINS0_14default_configENS1_37merge_sort_block_sort_config_selectorIyNS0_10empty_typeEEEZNS1_21merge_sort_block_sortIS3_N6thrust23THRUST_200600_302600_NS6detail15normal_iteratorINS9_10device_ptrIyEEEESE_PS5_SF_14custom_greaterIyEEE10hipError_tT0_T1_T2_T3_mRjT4_P12ihipStream_tbNS1_7vsmem_tEEUlT_E_NS1_11comp_targetILNS1_3genE0ELNS1_11target_archE4294967295ELNS1_3gpuE0ELNS1_3repE0EEENS1_30default_config_static_selectorELNS0_4arch9wavefront6targetE1EEEvSK_: ; @_ZN7rocprim17ROCPRIM_400000_NS6detail17trampoline_kernelINS0_14default_configENS1_37merge_sort_block_sort_config_selectorIyNS0_10empty_typeEEEZNS1_21merge_sort_block_sortIS3_N6thrust23THRUST_200600_302600_NS6detail15normal_iteratorINS9_10device_ptrIyEEEESE_PS5_SF_14custom_greaterIyEEE10hipError_tT0_T1_T2_T3_mRjT4_P12ihipStream_tbNS1_7vsmem_tEEUlT_E_NS1_11comp_targetILNS1_3genE0ELNS1_11target_archE4294967295ELNS1_3gpuE0ELNS1_3repE0EEENS1_30default_config_static_selectorELNS0_4arch9wavefront6targetE1EEEvSK_
; %bb.0:
	.section	.rodata,"a",@progbits
	.p2align	6, 0x0
	.amdhsa_kernel _ZN7rocprim17ROCPRIM_400000_NS6detail17trampoline_kernelINS0_14default_configENS1_37merge_sort_block_sort_config_selectorIyNS0_10empty_typeEEEZNS1_21merge_sort_block_sortIS3_N6thrust23THRUST_200600_302600_NS6detail15normal_iteratorINS9_10device_ptrIyEEEESE_PS5_SF_14custom_greaterIyEEE10hipError_tT0_T1_T2_T3_mRjT4_P12ihipStream_tbNS1_7vsmem_tEEUlT_E_NS1_11comp_targetILNS1_3genE0ELNS1_11target_archE4294967295ELNS1_3gpuE0ELNS1_3repE0EEENS1_30default_config_static_selectorELNS0_4arch9wavefront6targetE1EEEvSK_
		.amdhsa_group_segment_fixed_size 0
		.amdhsa_private_segment_fixed_size 0
		.amdhsa_kernarg_size 64
		.amdhsa_user_sgpr_count 6
		.amdhsa_user_sgpr_private_segment_buffer 1
		.amdhsa_user_sgpr_dispatch_ptr 0
		.amdhsa_user_sgpr_queue_ptr 0
		.amdhsa_user_sgpr_kernarg_segment_ptr 1
		.amdhsa_user_sgpr_dispatch_id 0
		.amdhsa_user_sgpr_flat_scratch_init 0
		.amdhsa_user_sgpr_kernarg_preload_length 0
		.amdhsa_user_sgpr_kernarg_preload_offset 0
		.amdhsa_user_sgpr_private_segment_size 0
		.amdhsa_uses_dynamic_stack 0
		.amdhsa_system_sgpr_private_segment_wavefront_offset 0
		.amdhsa_system_sgpr_workgroup_id_x 1
		.amdhsa_system_sgpr_workgroup_id_y 0
		.amdhsa_system_sgpr_workgroup_id_z 0
		.amdhsa_system_sgpr_workgroup_info 0
		.amdhsa_system_vgpr_workitem_id 0
		.amdhsa_next_free_vgpr 1
		.amdhsa_next_free_sgpr 0
		.amdhsa_accum_offset 4
		.amdhsa_reserve_vcc 0
		.amdhsa_reserve_flat_scratch 0
		.amdhsa_float_round_mode_32 0
		.amdhsa_float_round_mode_16_64 0
		.amdhsa_float_denorm_mode_32 3
		.amdhsa_float_denorm_mode_16_64 3
		.amdhsa_dx10_clamp 1
		.amdhsa_ieee_mode 1
		.amdhsa_fp16_overflow 0
		.amdhsa_tg_split 0
		.amdhsa_exception_fp_ieee_invalid_op 0
		.amdhsa_exception_fp_denorm_src 0
		.amdhsa_exception_fp_ieee_div_zero 0
		.amdhsa_exception_fp_ieee_overflow 0
		.amdhsa_exception_fp_ieee_underflow 0
		.amdhsa_exception_fp_ieee_inexact 0
		.amdhsa_exception_int_div_zero 0
	.end_amdhsa_kernel
	.section	.text._ZN7rocprim17ROCPRIM_400000_NS6detail17trampoline_kernelINS0_14default_configENS1_37merge_sort_block_sort_config_selectorIyNS0_10empty_typeEEEZNS1_21merge_sort_block_sortIS3_N6thrust23THRUST_200600_302600_NS6detail15normal_iteratorINS9_10device_ptrIyEEEESE_PS5_SF_14custom_greaterIyEEE10hipError_tT0_T1_T2_T3_mRjT4_P12ihipStream_tbNS1_7vsmem_tEEUlT_E_NS1_11comp_targetILNS1_3genE0ELNS1_11target_archE4294967295ELNS1_3gpuE0ELNS1_3repE0EEENS1_30default_config_static_selectorELNS0_4arch9wavefront6targetE1EEEvSK_,"axG",@progbits,_ZN7rocprim17ROCPRIM_400000_NS6detail17trampoline_kernelINS0_14default_configENS1_37merge_sort_block_sort_config_selectorIyNS0_10empty_typeEEEZNS1_21merge_sort_block_sortIS3_N6thrust23THRUST_200600_302600_NS6detail15normal_iteratorINS9_10device_ptrIyEEEESE_PS5_SF_14custom_greaterIyEEE10hipError_tT0_T1_T2_T3_mRjT4_P12ihipStream_tbNS1_7vsmem_tEEUlT_E_NS1_11comp_targetILNS1_3genE0ELNS1_11target_archE4294967295ELNS1_3gpuE0ELNS1_3repE0EEENS1_30default_config_static_selectorELNS0_4arch9wavefront6targetE1EEEvSK_,comdat
.Lfunc_end3454:
	.size	_ZN7rocprim17ROCPRIM_400000_NS6detail17trampoline_kernelINS0_14default_configENS1_37merge_sort_block_sort_config_selectorIyNS0_10empty_typeEEEZNS1_21merge_sort_block_sortIS3_N6thrust23THRUST_200600_302600_NS6detail15normal_iteratorINS9_10device_ptrIyEEEESE_PS5_SF_14custom_greaterIyEEE10hipError_tT0_T1_T2_T3_mRjT4_P12ihipStream_tbNS1_7vsmem_tEEUlT_E_NS1_11comp_targetILNS1_3genE0ELNS1_11target_archE4294967295ELNS1_3gpuE0ELNS1_3repE0EEENS1_30default_config_static_selectorELNS0_4arch9wavefront6targetE1EEEvSK_, .Lfunc_end3454-_ZN7rocprim17ROCPRIM_400000_NS6detail17trampoline_kernelINS0_14default_configENS1_37merge_sort_block_sort_config_selectorIyNS0_10empty_typeEEEZNS1_21merge_sort_block_sortIS3_N6thrust23THRUST_200600_302600_NS6detail15normal_iteratorINS9_10device_ptrIyEEEESE_PS5_SF_14custom_greaterIyEEE10hipError_tT0_T1_T2_T3_mRjT4_P12ihipStream_tbNS1_7vsmem_tEEUlT_E_NS1_11comp_targetILNS1_3genE0ELNS1_11target_archE4294967295ELNS1_3gpuE0ELNS1_3repE0EEENS1_30default_config_static_selectorELNS0_4arch9wavefront6targetE1EEEvSK_
                                        ; -- End function
	.section	.AMDGPU.csdata,"",@progbits
; Kernel info:
; codeLenInByte = 0
; NumSgprs: 4
; NumVgprs: 0
; NumAgprs: 0
; TotalNumVgprs: 0
; ScratchSize: 0
; MemoryBound: 0
; FloatMode: 240
; IeeeMode: 1
; LDSByteSize: 0 bytes/workgroup (compile time only)
; SGPRBlocks: 0
; VGPRBlocks: 0
; NumSGPRsForWavesPerEU: 4
; NumVGPRsForWavesPerEU: 1
; AccumOffset: 4
; Occupancy: 8
; WaveLimiterHint : 0
; COMPUTE_PGM_RSRC2:SCRATCH_EN: 0
; COMPUTE_PGM_RSRC2:USER_SGPR: 6
; COMPUTE_PGM_RSRC2:TRAP_HANDLER: 0
; COMPUTE_PGM_RSRC2:TGID_X_EN: 1
; COMPUTE_PGM_RSRC2:TGID_Y_EN: 0
; COMPUTE_PGM_RSRC2:TGID_Z_EN: 0
; COMPUTE_PGM_RSRC2:TIDIG_COMP_CNT: 0
; COMPUTE_PGM_RSRC3_GFX90A:ACCUM_OFFSET: 0
; COMPUTE_PGM_RSRC3_GFX90A:TG_SPLIT: 0
	.section	.text._ZN7rocprim17ROCPRIM_400000_NS6detail17trampoline_kernelINS0_14default_configENS1_37merge_sort_block_sort_config_selectorIyNS0_10empty_typeEEEZNS1_21merge_sort_block_sortIS3_N6thrust23THRUST_200600_302600_NS6detail15normal_iteratorINS9_10device_ptrIyEEEESE_PS5_SF_14custom_greaterIyEEE10hipError_tT0_T1_T2_T3_mRjT4_P12ihipStream_tbNS1_7vsmem_tEEUlT_E_NS1_11comp_targetILNS1_3genE5ELNS1_11target_archE942ELNS1_3gpuE9ELNS1_3repE0EEENS1_30default_config_static_selectorELNS0_4arch9wavefront6targetE1EEEvSK_,"axG",@progbits,_ZN7rocprim17ROCPRIM_400000_NS6detail17trampoline_kernelINS0_14default_configENS1_37merge_sort_block_sort_config_selectorIyNS0_10empty_typeEEEZNS1_21merge_sort_block_sortIS3_N6thrust23THRUST_200600_302600_NS6detail15normal_iteratorINS9_10device_ptrIyEEEESE_PS5_SF_14custom_greaterIyEEE10hipError_tT0_T1_T2_T3_mRjT4_P12ihipStream_tbNS1_7vsmem_tEEUlT_E_NS1_11comp_targetILNS1_3genE5ELNS1_11target_archE942ELNS1_3gpuE9ELNS1_3repE0EEENS1_30default_config_static_selectorELNS0_4arch9wavefront6targetE1EEEvSK_,comdat
	.protected	_ZN7rocprim17ROCPRIM_400000_NS6detail17trampoline_kernelINS0_14default_configENS1_37merge_sort_block_sort_config_selectorIyNS0_10empty_typeEEEZNS1_21merge_sort_block_sortIS3_N6thrust23THRUST_200600_302600_NS6detail15normal_iteratorINS9_10device_ptrIyEEEESE_PS5_SF_14custom_greaterIyEEE10hipError_tT0_T1_T2_T3_mRjT4_P12ihipStream_tbNS1_7vsmem_tEEUlT_E_NS1_11comp_targetILNS1_3genE5ELNS1_11target_archE942ELNS1_3gpuE9ELNS1_3repE0EEENS1_30default_config_static_selectorELNS0_4arch9wavefront6targetE1EEEvSK_ ; -- Begin function _ZN7rocprim17ROCPRIM_400000_NS6detail17trampoline_kernelINS0_14default_configENS1_37merge_sort_block_sort_config_selectorIyNS0_10empty_typeEEEZNS1_21merge_sort_block_sortIS3_N6thrust23THRUST_200600_302600_NS6detail15normal_iteratorINS9_10device_ptrIyEEEESE_PS5_SF_14custom_greaterIyEEE10hipError_tT0_T1_T2_T3_mRjT4_P12ihipStream_tbNS1_7vsmem_tEEUlT_E_NS1_11comp_targetILNS1_3genE5ELNS1_11target_archE942ELNS1_3gpuE9ELNS1_3repE0EEENS1_30default_config_static_selectorELNS0_4arch9wavefront6targetE1EEEvSK_
	.globl	_ZN7rocprim17ROCPRIM_400000_NS6detail17trampoline_kernelINS0_14default_configENS1_37merge_sort_block_sort_config_selectorIyNS0_10empty_typeEEEZNS1_21merge_sort_block_sortIS3_N6thrust23THRUST_200600_302600_NS6detail15normal_iteratorINS9_10device_ptrIyEEEESE_PS5_SF_14custom_greaterIyEEE10hipError_tT0_T1_T2_T3_mRjT4_P12ihipStream_tbNS1_7vsmem_tEEUlT_E_NS1_11comp_targetILNS1_3genE5ELNS1_11target_archE942ELNS1_3gpuE9ELNS1_3repE0EEENS1_30default_config_static_selectorELNS0_4arch9wavefront6targetE1EEEvSK_
	.p2align	8
	.type	_ZN7rocprim17ROCPRIM_400000_NS6detail17trampoline_kernelINS0_14default_configENS1_37merge_sort_block_sort_config_selectorIyNS0_10empty_typeEEEZNS1_21merge_sort_block_sortIS3_N6thrust23THRUST_200600_302600_NS6detail15normal_iteratorINS9_10device_ptrIyEEEESE_PS5_SF_14custom_greaterIyEEE10hipError_tT0_T1_T2_T3_mRjT4_P12ihipStream_tbNS1_7vsmem_tEEUlT_E_NS1_11comp_targetILNS1_3genE5ELNS1_11target_archE942ELNS1_3gpuE9ELNS1_3repE0EEENS1_30default_config_static_selectorELNS0_4arch9wavefront6targetE1EEEvSK_,@function
_ZN7rocprim17ROCPRIM_400000_NS6detail17trampoline_kernelINS0_14default_configENS1_37merge_sort_block_sort_config_selectorIyNS0_10empty_typeEEEZNS1_21merge_sort_block_sortIS3_N6thrust23THRUST_200600_302600_NS6detail15normal_iteratorINS9_10device_ptrIyEEEESE_PS5_SF_14custom_greaterIyEEE10hipError_tT0_T1_T2_T3_mRjT4_P12ihipStream_tbNS1_7vsmem_tEEUlT_E_NS1_11comp_targetILNS1_3genE5ELNS1_11target_archE942ELNS1_3gpuE9ELNS1_3repE0EEENS1_30default_config_static_selectorELNS0_4arch9wavefront6targetE1EEEvSK_: ; @_ZN7rocprim17ROCPRIM_400000_NS6detail17trampoline_kernelINS0_14default_configENS1_37merge_sort_block_sort_config_selectorIyNS0_10empty_typeEEEZNS1_21merge_sort_block_sortIS3_N6thrust23THRUST_200600_302600_NS6detail15normal_iteratorINS9_10device_ptrIyEEEESE_PS5_SF_14custom_greaterIyEEE10hipError_tT0_T1_T2_T3_mRjT4_P12ihipStream_tbNS1_7vsmem_tEEUlT_E_NS1_11comp_targetILNS1_3genE5ELNS1_11target_archE942ELNS1_3gpuE9ELNS1_3repE0EEENS1_30default_config_static_selectorELNS0_4arch9wavefront6targetE1EEEvSK_
; %bb.0:
	.section	.rodata,"a",@progbits
	.p2align	6, 0x0
	.amdhsa_kernel _ZN7rocprim17ROCPRIM_400000_NS6detail17trampoline_kernelINS0_14default_configENS1_37merge_sort_block_sort_config_selectorIyNS0_10empty_typeEEEZNS1_21merge_sort_block_sortIS3_N6thrust23THRUST_200600_302600_NS6detail15normal_iteratorINS9_10device_ptrIyEEEESE_PS5_SF_14custom_greaterIyEEE10hipError_tT0_T1_T2_T3_mRjT4_P12ihipStream_tbNS1_7vsmem_tEEUlT_E_NS1_11comp_targetILNS1_3genE5ELNS1_11target_archE942ELNS1_3gpuE9ELNS1_3repE0EEENS1_30default_config_static_selectorELNS0_4arch9wavefront6targetE1EEEvSK_
		.amdhsa_group_segment_fixed_size 0
		.amdhsa_private_segment_fixed_size 0
		.amdhsa_kernarg_size 64
		.amdhsa_user_sgpr_count 6
		.amdhsa_user_sgpr_private_segment_buffer 1
		.amdhsa_user_sgpr_dispatch_ptr 0
		.amdhsa_user_sgpr_queue_ptr 0
		.amdhsa_user_sgpr_kernarg_segment_ptr 1
		.amdhsa_user_sgpr_dispatch_id 0
		.amdhsa_user_sgpr_flat_scratch_init 0
		.amdhsa_user_sgpr_kernarg_preload_length 0
		.amdhsa_user_sgpr_kernarg_preload_offset 0
		.amdhsa_user_sgpr_private_segment_size 0
		.amdhsa_uses_dynamic_stack 0
		.amdhsa_system_sgpr_private_segment_wavefront_offset 0
		.amdhsa_system_sgpr_workgroup_id_x 1
		.amdhsa_system_sgpr_workgroup_id_y 0
		.amdhsa_system_sgpr_workgroup_id_z 0
		.amdhsa_system_sgpr_workgroup_info 0
		.amdhsa_system_vgpr_workitem_id 0
		.amdhsa_next_free_vgpr 1
		.amdhsa_next_free_sgpr 0
		.amdhsa_accum_offset 4
		.amdhsa_reserve_vcc 0
		.amdhsa_reserve_flat_scratch 0
		.amdhsa_float_round_mode_32 0
		.amdhsa_float_round_mode_16_64 0
		.amdhsa_float_denorm_mode_32 3
		.amdhsa_float_denorm_mode_16_64 3
		.amdhsa_dx10_clamp 1
		.amdhsa_ieee_mode 1
		.amdhsa_fp16_overflow 0
		.amdhsa_tg_split 0
		.amdhsa_exception_fp_ieee_invalid_op 0
		.amdhsa_exception_fp_denorm_src 0
		.amdhsa_exception_fp_ieee_div_zero 0
		.amdhsa_exception_fp_ieee_overflow 0
		.amdhsa_exception_fp_ieee_underflow 0
		.amdhsa_exception_fp_ieee_inexact 0
		.amdhsa_exception_int_div_zero 0
	.end_amdhsa_kernel
	.section	.text._ZN7rocprim17ROCPRIM_400000_NS6detail17trampoline_kernelINS0_14default_configENS1_37merge_sort_block_sort_config_selectorIyNS0_10empty_typeEEEZNS1_21merge_sort_block_sortIS3_N6thrust23THRUST_200600_302600_NS6detail15normal_iteratorINS9_10device_ptrIyEEEESE_PS5_SF_14custom_greaterIyEEE10hipError_tT0_T1_T2_T3_mRjT4_P12ihipStream_tbNS1_7vsmem_tEEUlT_E_NS1_11comp_targetILNS1_3genE5ELNS1_11target_archE942ELNS1_3gpuE9ELNS1_3repE0EEENS1_30default_config_static_selectorELNS0_4arch9wavefront6targetE1EEEvSK_,"axG",@progbits,_ZN7rocprim17ROCPRIM_400000_NS6detail17trampoline_kernelINS0_14default_configENS1_37merge_sort_block_sort_config_selectorIyNS0_10empty_typeEEEZNS1_21merge_sort_block_sortIS3_N6thrust23THRUST_200600_302600_NS6detail15normal_iteratorINS9_10device_ptrIyEEEESE_PS5_SF_14custom_greaterIyEEE10hipError_tT0_T1_T2_T3_mRjT4_P12ihipStream_tbNS1_7vsmem_tEEUlT_E_NS1_11comp_targetILNS1_3genE5ELNS1_11target_archE942ELNS1_3gpuE9ELNS1_3repE0EEENS1_30default_config_static_selectorELNS0_4arch9wavefront6targetE1EEEvSK_,comdat
.Lfunc_end3455:
	.size	_ZN7rocprim17ROCPRIM_400000_NS6detail17trampoline_kernelINS0_14default_configENS1_37merge_sort_block_sort_config_selectorIyNS0_10empty_typeEEEZNS1_21merge_sort_block_sortIS3_N6thrust23THRUST_200600_302600_NS6detail15normal_iteratorINS9_10device_ptrIyEEEESE_PS5_SF_14custom_greaterIyEEE10hipError_tT0_T1_T2_T3_mRjT4_P12ihipStream_tbNS1_7vsmem_tEEUlT_E_NS1_11comp_targetILNS1_3genE5ELNS1_11target_archE942ELNS1_3gpuE9ELNS1_3repE0EEENS1_30default_config_static_selectorELNS0_4arch9wavefront6targetE1EEEvSK_, .Lfunc_end3455-_ZN7rocprim17ROCPRIM_400000_NS6detail17trampoline_kernelINS0_14default_configENS1_37merge_sort_block_sort_config_selectorIyNS0_10empty_typeEEEZNS1_21merge_sort_block_sortIS3_N6thrust23THRUST_200600_302600_NS6detail15normal_iteratorINS9_10device_ptrIyEEEESE_PS5_SF_14custom_greaterIyEEE10hipError_tT0_T1_T2_T3_mRjT4_P12ihipStream_tbNS1_7vsmem_tEEUlT_E_NS1_11comp_targetILNS1_3genE5ELNS1_11target_archE942ELNS1_3gpuE9ELNS1_3repE0EEENS1_30default_config_static_selectorELNS0_4arch9wavefront6targetE1EEEvSK_
                                        ; -- End function
	.section	.AMDGPU.csdata,"",@progbits
; Kernel info:
; codeLenInByte = 0
; NumSgprs: 4
; NumVgprs: 0
; NumAgprs: 0
; TotalNumVgprs: 0
; ScratchSize: 0
; MemoryBound: 0
; FloatMode: 240
; IeeeMode: 1
; LDSByteSize: 0 bytes/workgroup (compile time only)
; SGPRBlocks: 0
; VGPRBlocks: 0
; NumSGPRsForWavesPerEU: 4
; NumVGPRsForWavesPerEU: 1
; AccumOffset: 4
; Occupancy: 8
; WaveLimiterHint : 0
; COMPUTE_PGM_RSRC2:SCRATCH_EN: 0
; COMPUTE_PGM_RSRC2:USER_SGPR: 6
; COMPUTE_PGM_RSRC2:TRAP_HANDLER: 0
; COMPUTE_PGM_RSRC2:TGID_X_EN: 1
; COMPUTE_PGM_RSRC2:TGID_Y_EN: 0
; COMPUTE_PGM_RSRC2:TGID_Z_EN: 0
; COMPUTE_PGM_RSRC2:TIDIG_COMP_CNT: 0
; COMPUTE_PGM_RSRC3_GFX90A:ACCUM_OFFSET: 0
; COMPUTE_PGM_RSRC3_GFX90A:TG_SPLIT: 0
	.section	.text._ZN7rocprim17ROCPRIM_400000_NS6detail17trampoline_kernelINS0_14default_configENS1_37merge_sort_block_sort_config_selectorIyNS0_10empty_typeEEEZNS1_21merge_sort_block_sortIS3_N6thrust23THRUST_200600_302600_NS6detail15normal_iteratorINS9_10device_ptrIyEEEESE_PS5_SF_14custom_greaterIyEEE10hipError_tT0_T1_T2_T3_mRjT4_P12ihipStream_tbNS1_7vsmem_tEEUlT_E_NS1_11comp_targetILNS1_3genE4ELNS1_11target_archE910ELNS1_3gpuE8ELNS1_3repE0EEENS1_30default_config_static_selectorELNS0_4arch9wavefront6targetE1EEEvSK_,"axG",@progbits,_ZN7rocprim17ROCPRIM_400000_NS6detail17trampoline_kernelINS0_14default_configENS1_37merge_sort_block_sort_config_selectorIyNS0_10empty_typeEEEZNS1_21merge_sort_block_sortIS3_N6thrust23THRUST_200600_302600_NS6detail15normal_iteratorINS9_10device_ptrIyEEEESE_PS5_SF_14custom_greaterIyEEE10hipError_tT0_T1_T2_T3_mRjT4_P12ihipStream_tbNS1_7vsmem_tEEUlT_E_NS1_11comp_targetILNS1_3genE4ELNS1_11target_archE910ELNS1_3gpuE8ELNS1_3repE0EEENS1_30default_config_static_selectorELNS0_4arch9wavefront6targetE1EEEvSK_,comdat
	.protected	_ZN7rocprim17ROCPRIM_400000_NS6detail17trampoline_kernelINS0_14default_configENS1_37merge_sort_block_sort_config_selectorIyNS0_10empty_typeEEEZNS1_21merge_sort_block_sortIS3_N6thrust23THRUST_200600_302600_NS6detail15normal_iteratorINS9_10device_ptrIyEEEESE_PS5_SF_14custom_greaterIyEEE10hipError_tT0_T1_T2_T3_mRjT4_P12ihipStream_tbNS1_7vsmem_tEEUlT_E_NS1_11comp_targetILNS1_3genE4ELNS1_11target_archE910ELNS1_3gpuE8ELNS1_3repE0EEENS1_30default_config_static_selectorELNS0_4arch9wavefront6targetE1EEEvSK_ ; -- Begin function _ZN7rocprim17ROCPRIM_400000_NS6detail17trampoline_kernelINS0_14default_configENS1_37merge_sort_block_sort_config_selectorIyNS0_10empty_typeEEEZNS1_21merge_sort_block_sortIS3_N6thrust23THRUST_200600_302600_NS6detail15normal_iteratorINS9_10device_ptrIyEEEESE_PS5_SF_14custom_greaterIyEEE10hipError_tT0_T1_T2_T3_mRjT4_P12ihipStream_tbNS1_7vsmem_tEEUlT_E_NS1_11comp_targetILNS1_3genE4ELNS1_11target_archE910ELNS1_3gpuE8ELNS1_3repE0EEENS1_30default_config_static_selectorELNS0_4arch9wavefront6targetE1EEEvSK_
	.globl	_ZN7rocprim17ROCPRIM_400000_NS6detail17trampoline_kernelINS0_14default_configENS1_37merge_sort_block_sort_config_selectorIyNS0_10empty_typeEEEZNS1_21merge_sort_block_sortIS3_N6thrust23THRUST_200600_302600_NS6detail15normal_iteratorINS9_10device_ptrIyEEEESE_PS5_SF_14custom_greaterIyEEE10hipError_tT0_T1_T2_T3_mRjT4_P12ihipStream_tbNS1_7vsmem_tEEUlT_E_NS1_11comp_targetILNS1_3genE4ELNS1_11target_archE910ELNS1_3gpuE8ELNS1_3repE0EEENS1_30default_config_static_selectorELNS0_4arch9wavefront6targetE1EEEvSK_
	.p2align	8
	.type	_ZN7rocprim17ROCPRIM_400000_NS6detail17trampoline_kernelINS0_14default_configENS1_37merge_sort_block_sort_config_selectorIyNS0_10empty_typeEEEZNS1_21merge_sort_block_sortIS3_N6thrust23THRUST_200600_302600_NS6detail15normal_iteratorINS9_10device_ptrIyEEEESE_PS5_SF_14custom_greaterIyEEE10hipError_tT0_T1_T2_T3_mRjT4_P12ihipStream_tbNS1_7vsmem_tEEUlT_E_NS1_11comp_targetILNS1_3genE4ELNS1_11target_archE910ELNS1_3gpuE8ELNS1_3repE0EEENS1_30default_config_static_selectorELNS0_4arch9wavefront6targetE1EEEvSK_,@function
_ZN7rocprim17ROCPRIM_400000_NS6detail17trampoline_kernelINS0_14default_configENS1_37merge_sort_block_sort_config_selectorIyNS0_10empty_typeEEEZNS1_21merge_sort_block_sortIS3_N6thrust23THRUST_200600_302600_NS6detail15normal_iteratorINS9_10device_ptrIyEEEESE_PS5_SF_14custom_greaterIyEEE10hipError_tT0_T1_T2_T3_mRjT4_P12ihipStream_tbNS1_7vsmem_tEEUlT_E_NS1_11comp_targetILNS1_3genE4ELNS1_11target_archE910ELNS1_3gpuE8ELNS1_3repE0EEENS1_30default_config_static_selectorELNS0_4arch9wavefront6targetE1EEEvSK_: ; @_ZN7rocprim17ROCPRIM_400000_NS6detail17trampoline_kernelINS0_14default_configENS1_37merge_sort_block_sort_config_selectorIyNS0_10empty_typeEEEZNS1_21merge_sort_block_sortIS3_N6thrust23THRUST_200600_302600_NS6detail15normal_iteratorINS9_10device_ptrIyEEEESE_PS5_SF_14custom_greaterIyEEE10hipError_tT0_T1_T2_T3_mRjT4_P12ihipStream_tbNS1_7vsmem_tEEUlT_E_NS1_11comp_targetILNS1_3genE4ELNS1_11target_archE910ELNS1_3gpuE8ELNS1_3repE0EEENS1_30default_config_static_selectorELNS0_4arch9wavefront6targetE1EEEvSK_
; %bb.0:
	s_load_dwordx2 s[12:13], s[4:5], 0x40
	s_load_dword s0, s[4:5], 0x0
	s_add_u32 s10, s4, 64
	s_addc_u32 s11, s5, 0
	s_waitcnt lgkmcnt(0)
	s_mul_i32 s1, s13, s8
	s_add_i32 s1, s1, s7
	s_mul_i32 s1, s1, s12
	s_add_i32 s8, s1, s6
	s_cmp_ge_u32 s8, s0
	s_cbranch_scc1 .LBB3456_154
; %bb.1:
	s_load_dwordx2 s[14:15], s[4:5], 0x8
	s_load_dwordx4 s[0:3], s[4:5], 0x18
	s_mov_b32 s9, 0
	s_lshl_b64 s[4:5], s[8:9], 13
	v_and_b32_e32 v10, 0x3ff, v0
	s_waitcnt lgkmcnt(0)
	s_lshr_b64 s[16:17], s[14:15], 10
	s_add_u32 s7, s0, s4
	s_addc_u32 s13, s1, s5
	s_add_u32 s15, s2, s4
	s_addc_u32 s18, s3, s5
	s_cmp_lg_u64 s[16:17], s[8:9]
	v_bfe_u32 v14, v0, 10, 10
	v_bfe_u32 v15, v0, 20, 10
	v_lshlrev_b32_e32 v12, 3, v10
	v_lshrrev_b32_e32 v17, 2, v10
	v_lshlrev_b32_e32 v13, 2, v10
	v_lshrrev_b32_e32 v16, 3, v10
	s_cbranch_scc0 .LBB3456_85
; %bb.2:
	v_mov_b32_e32 v1, s13
	v_add_co_u32_e32 v0, vcc, s7, v12
	v_addc_co_u32_e32 v1, vcc, 0, v1, vcc
	v_add_co_u32_e32 v2, vcc, 0x1000, v0
	v_addc_co_u32_e32 v3, vcc, 0, v1, vcc
	flat_load_dwordx2 v[4:5], v[0:1]
	flat_load_dwordx2 v[6:7], v[0:1] offset:2048
	flat_load_dwordx2 v[8:9], v[2:3]
	flat_load_dwordx2 v[24:25], v[2:3] offset:2048
	v_and_b32_e32 v0, 0xf8, v17
	v_add_u32_e32 v1, 0x100, v10
	v_add_u32_e32 v2, 0x200, v10
	;; [unrolled: 1-line block ×4, first 2 shown]
	v_lshrrev_b32_e32 v0, 2, v1
	v_lshrrev_b32_e32 v1, 2, v2
	;; [unrolled: 1-line block ×3, first 2 shown]
	v_add_lshl_u32 v19, v16, v13, 3
	v_and_b32_e32 v0, 0x1f8, v0
	v_and_b32_e32 v1, 0x1f8, v1
	;; [unrolled: 1-line block ×3, first 2 shown]
	v_add_u32_e32 v20, v0, v12
	v_add_u32_e32 v21, v1, v12
	;; [unrolled: 1-line block ×3, first 2 shown]
	v_mov_b32_e32 v11, 0
	s_movk_i32 s2, 0x400
	s_waitcnt vmcnt(0) lgkmcnt(0)
	ds_write_b64 v18, v[4:5]
	ds_write_b64 v20, v[6:7] offset:2048
	ds_write_b64 v21, v[8:9] offset:4096
	;; [unrolled: 1-line block ×3, first 2 shown]
	s_waitcnt lgkmcnt(0)
	s_barrier
	ds_read2_b64 v[2:5], v19 offset1:1
	ds_read2_b64 v[6:9], v19 offset0:2 offset1:3
	s_waitcnt lgkmcnt(0)
	s_barrier
	s_load_dword s0, s[10:11], 0xc
	s_waitcnt lgkmcnt(0)
	s_lshr_b32 s3, s0, 16
	s_cmp_lt_u32 s6, s12
	s_cselect_b32 s0, 12, 18
	s_add_u32 s0, s10, s0
	s_addc_u32 s1, s11, 0
	global_load_ushort v0, v11, s[0:1]
	v_mad_u32_u24 v1, v15, s3, v14
	s_waitcnt vmcnt(0)
	v_mul_lo_u32 v0, v1, v0
	v_add_lshl_u32 v23, v0, v10, 2
	v_cmp_gt_u32_e32 vcc, s2, v23
	v_pk_mov_b32 v[0:1], v[2:3], v[2:3] op_sel:[0,1]
	s_and_saveexec_b64 s[0:1], vcc
	s_cbranch_execz .LBB3456_4
; %bb.3:
	v_cmp_gt_u64_e32 vcc, v[2:3], v[4:5]
	v_cndmask_b32_e32 v25, v5, v3, vcc
	v_cndmask_b32_e32 v24, v4, v2, vcc
	;; [unrolled: 1-line block ×4, first 2 shown]
	v_cmp_lt_u64_e32 vcc, v[2:3], v[4:5]
	v_cndmask_b32_e32 v5, v5, v3, vcc
	v_cndmask_b32_e32 v4, v4, v2, vcc
	v_cmp_gt_u64_e32 vcc, v[6:7], v[8:9]
	v_cndmask_b32_e32 v27, v9, v7, vcc
	v_cndmask_b32_e32 v26, v8, v6, vcc
	;; [unrolled: 1-line block ×4, first 2 shown]
	v_cmp_lt_u64_e32 vcc, v[6:7], v[8:9]
	v_cndmask_b32_e32 v1, v9, v7, vcc
	v_cndmask_b32_e32 v0, v8, v6, vcc
	v_cmp_gt_u64_e32 vcc, v[24:25], v[0:1]
	v_cndmask_b32_e32 v30, v3, v25, vcc
	v_cndmask_b32_e32 v31, v2, v24, vcc
	;; [unrolled: 1-line block ×6, first 2 shown]
	v_cmp_lt_u64_e32 vcc, v[24:25], v[0:1]
	v_cndmask_b32_e32 v6, v0, v24, vcc
	v_cndmask_b32_e32 v7, v1, v25, vcc
	v_cmp_lt_u64_e32 vcc, v[0:1], v[4:5]
	v_cndmask_b32_e32 v1, v29, v7, vcc
	v_cndmask_b32_e32 v0, v28, v6, vcc
	;; [unrolled: 1-line block ×8, first 2 shown]
	v_cmp_gt_u64_e32 vcc, v[24:25], v[26:27]
	v_cndmask_b32_e32 v5, v33, v27, vcc
	v_cndmask_b32_e32 v4, v32, v26, vcc
	;; [unrolled: 1-line block ×6, first 2 shown]
	v_cmp_gt_u64_e32 vcc, v[6:7], v[4:5]
	v_cndmask_b32_e32 v5, v29, v5, vcc
	v_cndmask_b32_e32 v4, v28, v4, vcc
	;; [unrolled: 1-line block ×4, first 2 shown]
.LBB3456_4:
	s_or_b64 exec, exec, s[0:1]
	v_mbcnt_lo_u32_b32 v24, -1, 0
	v_mbcnt_hi_u32_b32 v26, -1, v24
	v_and_b32_e32 v23, 0xffffff00, v23
	v_sub_u32_e64 v24, s2, v23 clamp
	v_lshlrev_b32_e32 v23, 3, v23
	v_lshlrev_b32_e32 v25, 5, v26
	v_add_u32_e32 v25, v23, v25
	v_lshlrev_b32_e32 v26, 2, v26
	ds_write_b128 v25, v[2:5]
	ds_write_b128 v25, v[6:9] offset:16
	v_or_b32_e32 v2, 4, v26
	v_min_u32_e32 v28, v24, v2
	v_add_u32_e32 v2, 4, v28
	v_and_b32_e32 v29, 0x1f8, v26
	v_min_u32_e32 v27, v24, v2
	v_and_b32_e32 v2, 4, v26
	v_min_u32_e32 v30, v24, v2
	v_sub_u32_e32 v31, v28, v29
	v_sub_u32_e32 v3, v27, v28
	v_sub_u32_e64 v3, v30, v3 clamp
	v_min_u32_e32 v31, v30, v31
	v_lshl_add_u32 v2, v29, 3, v23
	v_cmp_lt_u32_e32 vcc, v3, v31
	; wave barrier
	s_and_saveexec_b64 s[0:1], vcc
	s_cbranch_execz .LBB3456_8
; %bb.5:
	v_lshlrev_b32_e32 v32, 3, v28
	v_lshlrev_b32_e32 v33, 3, v30
	v_add3_u32 v32, v23, v32, v33
	s_mov_b64 s[2:3], 0
.LBB3456_6:                             ; =>This Inner Loop Header: Depth=1
	v_add_u32_e32 v33, v31, v3
	v_lshrrev_b32_e32 v33, 1, v33
	v_not_b32_e32 v34, v33
	v_lshl_add_u32 v35, v33, 3, v2
	v_lshl_add_u32 v36, v34, 3, v32
	ds_read_b64 v[34:35], v35
	ds_read_b64 v[36:37], v36
	v_add_u32_e32 v38, 1, v33
	s_waitcnt lgkmcnt(0)
	v_cmp_gt_u64_e32 vcc, v[34:35], v[36:37]
	v_cndmask_b32_e32 v31, v31, v33, vcc
	v_cndmask_b32_e32 v3, v38, v3, vcc
	v_cmp_ge_u32_e32 vcc, v3, v31
	s_or_b64 s[2:3], vcc, s[2:3]
	s_andn2_b64 exec, exec, s[2:3]
	s_cbranch_execnz .LBB3456_6
; %bb.7:
	s_or_b64 exec, exec, s[2:3]
.LBB3456_8:
	s_or_b64 exec, exec, s[0:1]
	v_add_u32_e32 v30, v28, v30
	v_add_u32_e32 v29, v3, v29
	v_sub_u32_e32 v30, v30, v3
	v_cmp_le_u32_e32 vcc, v29, v28
	v_cmp_le_u32_e64 s[0:1], v30, v27
	s_or_b64 s[0:1], vcc, s[0:1]
	s_and_saveexec_b64 s[16:17], s[0:1]
	s_cbranch_execz .LBB3456_14
; %bb.9:
	v_cmp_lt_u32_e32 vcc, v29, v28
                                        ; implicit-def: $vgpr0_vgpr1
	s_and_saveexec_b64 s[0:1], vcc
	s_cbranch_execz .LBB3456_11
; %bb.10:
	v_lshl_add_u32 v0, v3, 3, v2
	ds_read_b64 v[0:1], v0
.LBB3456_11:
	s_or_b64 exec, exec, s[0:1]
	v_cmp_ge_u32_e64 s[0:1], v30, v27
	v_cmp_lt_u32_e64 s[2:3], v30, v27
                                        ; implicit-def: $vgpr2_vgpr3
	s_and_saveexec_b64 s[4:5], s[2:3]
	s_cbranch_execz .LBB3456_13
; %bb.12:
	v_lshl_add_u32 v2, v30, 3, v23
	ds_read_b64 v[2:3], v2
.LBB3456_13:
	s_or_b64 exec, exec, s[4:5]
	s_waitcnt lgkmcnt(0)
	v_cmp_le_u64_e64 s[2:3], v[0:1], v[2:3]
	s_and_b64 s[2:3], vcc, s[2:3]
	s_or_b64 vcc, s[0:1], s[2:3]
	v_cndmask_b32_e32 v4, v30, v29, vcc
	v_cndmask_b32_e32 v5, v27, v28, vcc
	v_add_u32_e32 v8, 1, v4
	v_add_u32_e32 v4, -1, v5
	v_min_u32_e32 v4, v8, v4
	v_lshl_add_u32 v4, v4, 3, v23
	ds_read_b64 v[4:5], v4
	v_cndmask_b32_e32 v29, v29, v8, vcc
	v_cndmask_b32_e32 v30, v8, v30, vcc
	v_cmp_lt_u32_e64 s[2:3], v29, v28
	v_cmp_ge_u32_e64 s[0:1], v30, v27
	s_waitcnt lgkmcnt(0)
	v_cndmask_b32_e32 v7, v5, v3, vcc
	v_cndmask_b32_e32 v6, v4, v2, vcc
	v_cndmask_b32_e32 v5, v1, v5, vcc
	v_cndmask_b32_e32 v4, v0, v4, vcc
	v_cmp_le_u64_e64 s[4:5], v[4:5], v[6:7]
	s_and_b64 s[2:3], s[2:3], s[4:5]
	s_or_b64 s[0:1], s[0:1], s[2:3]
	v_cndmask_b32_e64 v8, v30, v29, s[0:1]
	v_cndmask_b32_e64 v9, v27, v28, s[0:1]
	v_add_u32_e32 v31, 1, v8
	v_add_u32_e32 v8, -1, v9
	v_min_u32_e32 v8, v31, v8
	v_lshl_add_u32 v8, v8, 3, v23
	ds_read_b64 v[8:9], v8
	v_cndmask_b32_e32 v1, v3, v1, vcc
	v_cndmask_b32_e32 v0, v2, v0, vcc
	v_cndmask_b32_e64 v29, v29, v31, s[0:1]
	v_cndmask_b32_e64 v32, v31, v30, s[0:1]
	s_waitcnt lgkmcnt(0)
	v_cndmask_b32_e64 v3, v9, v7, s[0:1]
	v_cndmask_b32_e64 v2, v8, v6, s[0:1]
	;; [unrolled: 1-line block ×4, first 2 shown]
	v_cmp_lt_u32_e64 s[2:3], v29, v28
	v_cmp_le_u64_e64 s[4:5], v[8:9], v[2:3]
	v_cmp_ge_u32_e32 vcc, v32, v27
	s_and_b64 s[2:3], s[2:3], s[4:5]
	s_or_b64 vcc, vcc, s[2:3]
	v_cndmask_b32_e32 v30, v32, v29, vcc
	v_cndmask_b32_e32 v31, v27, v28, vcc
	v_add_u32_e32 v33, 1, v30
	v_add_u32_e32 v30, -1, v31
	v_min_u32_e32 v30, v33, v30
	v_lshl_add_u32 v30, v30, 3, v23
	ds_read_b64 v[30:31], v30
	v_cndmask_b32_e64 v5, v7, v5, s[0:1]
	v_cndmask_b32_e64 v4, v6, v4, s[0:1]
	v_cndmask_b32_e32 v7, v3, v9, vcc
	v_cndmask_b32_e32 v6, v2, v8, vcc
	s_waitcnt lgkmcnt(0)
	v_cndmask_b32_e32 v9, v9, v31, vcc
	v_cndmask_b32_e32 v8, v8, v30, vcc
	;; [unrolled: 1-line block ×6, first 2 shown]
	v_cmp_lt_u32_e32 vcc, v29, v28
	v_cmp_lt_u64_e64 s[0:1], v[8:9], v[2:3]
	s_and_b64 vcc, vcc, s[0:1]
	v_cndmask_b32_e32 v2, v2, v8, vcc
	v_cndmask_b32_e32 v3, v3, v9, vcc
	v_cmp_lt_u32_e32 vcc, v32, v27
	v_cndmask_b32_e32 v9, v9, v3, vcc
	v_cndmask_b32_e32 v8, v8, v2, vcc
.LBB3456_14:
	s_or_b64 exec, exec, s[16:17]
	v_mov_b32_e32 v2, v4
	v_mov_b32_e32 v3, v5
	v_and_b32_e32 v29, 0x1f0, v26
	; wave barrier
	ds_write_b128 v25, v[0:3]
	ds_write_b128 v25, v[6:9] offset:16
	v_or_b32_e32 v2, 8, v29
	v_min_u32_e32 v28, v24, v2
	v_add_u32_e32 v2, 8, v28
	v_min_u32_e32 v27, v24, v2
	v_and_b32_e32 v2, 12, v26
	v_min_u32_e32 v30, v24, v2
	v_sub_u32_e32 v31, v28, v29
	v_sub_u32_e32 v3, v27, v28
	v_sub_u32_e64 v3, v30, v3 clamp
	v_min_u32_e32 v31, v30, v31
	v_lshl_add_u32 v2, v29, 3, v23
	v_cmp_lt_u32_e32 vcc, v3, v31
	; wave barrier
	s_and_saveexec_b64 s[0:1], vcc
	s_cbranch_execz .LBB3456_18
; %bb.15:
	v_lshlrev_b32_e32 v32, 3, v28
	v_lshlrev_b32_e32 v33, 3, v30
	v_add3_u32 v32, v23, v32, v33
	s_mov_b64 s[2:3], 0
.LBB3456_16:                            ; =>This Inner Loop Header: Depth=1
	v_add_u32_e32 v33, v31, v3
	v_lshrrev_b32_e32 v33, 1, v33
	v_not_b32_e32 v34, v33
	v_lshl_add_u32 v35, v33, 3, v2
	v_lshl_add_u32 v36, v34, 3, v32
	ds_read_b64 v[34:35], v35
	ds_read_b64 v[36:37], v36
	v_add_u32_e32 v38, 1, v33
	s_waitcnt lgkmcnt(0)
	v_cmp_gt_u64_e32 vcc, v[34:35], v[36:37]
	v_cndmask_b32_e32 v31, v31, v33, vcc
	v_cndmask_b32_e32 v3, v38, v3, vcc
	v_cmp_ge_u32_e32 vcc, v3, v31
	s_or_b64 s[2:3], vcc, s[2:3]
	s_andn2_b64 exec, exec, s[2:3]
	s_cbranch_execnz .LBB3456_16
; %bb.17:
	s_or_b64 exec, exec, s[2:3]
.LBB3456_18:
	s_or_b64 exec, exec, s[0:1]
	v_add_u32_e32 v30, v28, v30
	v_add_u32_e32 v29, v3, v29
	v_sub_u32_e32 v30, v30, v3
	v_cmp_le_u32_e32 vcc, v29, v28
	v_cmp_le_u32_e64 s[0:1], v30, v27
	s_or_b64 s[0:1], vcc, s[0:1]
	s_and_saveexec_b64 s[16:17], s[0:1]
	s_cbranch_execz .LBB3456_24
; %bb.19:
	v_cmp_lt_u32_e32 vcc, v29, v28
                                        ; implicit-def: $vgpr0_vgpr1
	s_and_saveexec_b64 s[0:1], vcc
	s_cbranch_execz .LBB3456_21
; %bb.20:
	v_lshl_add_u32 v0, v3, 3, v2
	ds_read_b64 v[0:1], v0
.LBB3456_21:
	s_or_b64 exec, exec, s[0:1]
	v_cmp_ge_u32_e64 s[0:1], v30, v27
	v_cmp_lt_u32_e64 s[2:3], v30, v27
                                        ; implicit-def: $vgpr2_vgpr3
	s_and_saveexec_b64 s[4:5], s[2:3]
	s_cbranch_execz .LBB3456_23
; %bb.22:
	v_lshl_add_u32 v2, v30, 3, v23
	ds_read_b64 v[2:3], v2
.LBB3456_23:
	s_or_b64 exec, exec, s[4:5]
	s_waitcnt lgkmcnt(0)
	v_cmp_le_u64_e64 s[2:3], v[0:1], v[2:3]
	s_and_b64 s[2:3], vcc, s[2:3]
	s_or_b64 vcc, s[0:1], s[2:3]
	v_cndmask_b32_e32 v4, v30, v29, vcc
	v_cndmask_b32_e32 v5, v27, v28, vcc
	v_add_u32_e32 v8, 1, v4
	v_add_u32_e32 v4, -1, v5
	v_min_u32_e32 v4, v8, v4
	v_lshl_add_u32 v4, v4, 3, v23
	ds_read_b64 v[4:5], v4
	v_cndmask_b32_e32 v29, v29, v8, vcc
	v_cndmask_b32_e32 v30, v8, v30, vcc
	v_cmp_lt_u32_e64 s[2:3], v29, v28
	v_cmp_ge_u32_e64 s[0:1], v30, v27
	s_waitcnt lgkmcnt(0)
	v_cndmask_b32_e32 v7, v5, v3, vcc
	v_cndmask_b32_e32 v6, v4, v2, vcc
	v_cndmask_b32_e32 v5, v1, v5, vcc
	v_cndmask_b32_e32 v4, v0, v4, vcc
	v_cmp_le_u64_e64 s[4:5], v[4:5], v[6:7]
	s_and_b64 s[2:3], s[2:3], s[4:5]
	s_or_b64 s[0:1], s[0:1], s[2:3]
	v_cndmask_b32_e64 v8, v30, v29, s[0:1]
	v_cndmask_b32_e64 v9, v27, v28, s[0:1]
	v_add_u32_e32 v31, 1, v8
	v_add_u32_e32 v8, -1, v9
	v_min_u32_e32 v8, v31, v8
	v_lshl_add_u32 v8, v8, 3, v23
	ds_read_b64 v[8:9], v8
	v_cndmask_b32_e32 v1, v3, v1, vcc
	v_cndmask_b32_e32 v0, v2, v0, vcc
	v_cndmask_b32_e64 v29, v29, v31, s[0:1]
	v_cndmask_b32_e64 v32, v31, v30, s[0:1]
	s_waitcnt lgkmcnt(0)
	v_cndmask_b32_e64 v3, v9, v7, s[0:1]
	v_cndmask_b32_e64 v2, v8, v6, s[0:1]
	;; [unrolled: 1-line block ×4, first 2 shown]
	v_cmp_lt_u32_e64 s[2:3], v29, v28
	v_cmp_le_u64_e64 s[4:5], v[8:9], v[2:3]
	v_cmp_ge_u32_e32 vcc, v32, v27
	s_and_b64 s[2:3], s[2:3], s[4:5]
	s_or_b64 vcc, vcc, s[2:3]
	v_cndmask_b32_e32 v30, v32, v29, vcc
	v_cndmask_b32_e32 v31, v27, v28, vcc
	v_add_u32_e32 v33, 1, v30
	v_add_u32_e32 v30, -1, v31
	v_min_u32_e32 v30, v33, v30
	v_lshl_add_u32 v30, v30, 3, v23
	ds_read_b64 v[30:31], v30
	v_cndmask_b32_e64 v5, v7, v5, s[0:1]
	v_cndmask_b32_e64 v4, v6, v4, s[0:1]
	v_cndmask_b32_e32 v7, v3, v9, vcc
	v_cndmask_b32_e32 v6, v2, v8, vcc
	s_waitcnt lgkmcnt(0)
	v_cndmask_b32_e32 v9, v9, v31, vcc
	v_cndmask_b32_e32 v8, v8, v30, vcc
	;; [unrolled: 1-line block ×6, first 2 shown]
	v_cmp_lt_u32_e32 vcc, v29, v28
	v_cmp_lt_u64_e64 s[0:1], v[8:9], v[2:3]
	s_and_b64 vcc, vcc, s[0:1]
	v_cndmask_b32_e32 v2, v2, v8, vcc
	v_cndmask_b32_e32 v3, v3, v9, vcc
	v_cmp_lt_u32_e32 vcc, v32, v27
	v_cndmask_b32_e32 v9, v9, v3, vcc
	v_cndmask_b32_e32 v8, v8, v2, vcc
.LBB3456_24:
	s_or_b64 exec, exec, s[16:17]
	v_mov_b32_e32 v2, v4
	v_mov_b32_e32 v3, v5
	v_and_b32_e32 v29, 0x1e0, v26
	; wave barrier
	ds_write_b128 v25, v[0:3]
	ds_write_b128 v25, v[6:9] offset:16
	v_or_b32_e32 v2, 16, v29
	v_min_u32_e32 v28, v24, v2
	v_add_u32_e32 v2, 16, v28
	v_min_u32_e32 v27, v24, v2
	v_and_b32_e32 v2, 28, v26
	v_min_u32_e32 v30, v24, v2
	v_sub_u32_e32 v31, v28, v29
	v_sub_u32_e32 v3, v27, v28
	v_sub_u32_e64 v3, v30, v3 clamp
	v_min_u32_e32 v31, v30, v31
	v_lshl_add_u32 v2, v29, 3, v23
	v_cmp_lt_u32_e32 vcc, v3, v31
	; wave barrier
	s_and_saveexec_b64 s[0:1], vcc
	s_cbranch_execz .LBB3456_28
; %bb.25:
	v_lshlrev_b32_e32 v32, 3, v28
	v_lshlrev_b32_e32 v33, 3, v30
	v_add3_u32 v32, v23, v32, v33
	s_mov_b64 s[2:3], 0
.LBB3456_26:                            ; =>This Inner Loop Header: Depth=1
	v_add_u32_e32 v33, v31, v3
	v_lshrrev_b32_e32 v33, 1, v33
	v_not_b32_e32 v34, v33
	v_lshl_add_u32 v35, v33, 3, v2
	v_lshl_add_u32 v36, v34, 3, v32
	ds_read_b64 v[34:35], v35
	ds_read_b64 v[36:37], v36
	v_add_u32_e32 v38, 1, v33
	s_waitcnt lgkmcnt(0)
	v_cmp_gt_u64_e32 vcc, v[34:35], v[36:37]
	v_cndmask_b32_e32 v31, v31, v33, vcc
	v_cndmask_b32_e32 v3, v38, v3, vcc
	v_cmp_ge_u32_e32 vcc, v3, v31
	s_or_b64 s[2:3], vcc, s[2:3]
	s_andn2_b64 exec, exec, s[2:3]
	s_cbranch_execnz .LBB3456_26
; %bb.27:
	s_or_b64 exec, exec, s[2:3]
.LBB3456_28:
	s_or_b64 exec, exec, s[0:1]
	v_add_u32_e32 v30, v28, v30
	v_add_u32_e32 v29, v3, v29
	v_sub_u32_e32 v30, v30, v3
	v_cmp_le_u32_e32 vcc, v29, v28
	v_cmp_le_u32_e64 s[0:1], v30, v27
	s_or_b64 s[0:1], vcc, s[0:1]
	s_and_saveexec_b64 s[16:17], s[0:1]
	s_cbranch_execz .LBB3456_34
; %bb.29:
	v_cmp_lt_u32_e32 vcc, v29, v28
                                        ; implicit-def: $vgpr0_vgpr1
	s_and_saveexec_b64 s[0:1], vcc
	s_cbranch_execz .LBB3456_31
; %bb.30:
	v_lshl_add_u32 v0, v3, 3, v2
	ds_read_b64 v[0:1], v0
.LBB3456_31:
	s_or_b64 exec, exec, s[0:1]
	v_cmp_ge_u32_e64 s[0:1], v30, v27
	v_cmp_lt_u32_e64 s[2:3], v30, v27
                                        ; implicit-def: $vgpr2_vgpr3
	s_and_saveexec_b64 s[4:5], s[2:3]
	s_cbranch_execz .LBB3456_33
; %bb.32:
	v_lshl_add_u32 v2, v30, 3, v23
	ds_read_b64 v[2:3], v2
.LBB3456_33:
	s_or_b64 exec, exec, s[4:5]
	s_waitcnt lgkmcnt(0)
	v_cmp_le_u64_e64 s[2:3], v[0:1], v[2:3]
	s_and_b64 s[2:3], vcc, s[2:3]
	s_or_b64 vcc, s[0:1], s[2:3]
	v_cndmask_b32_e32 v4, v30, v29, vcc
	v_cndmask_b32_e32 v5, v27, v28, vcc
	v_add_u32_e32 v8, 1, v4
	v_add_u32_e32 v4, -1, v5
	v_min_u32_e32 v4, v8, v4
	v_lshl_add_u32 v4, v4, 3, v23
	ds_read_b64 v[4:5], v4
	v_cndmask_b32_e32 v29, v29, v8, vcc
	v_cndmask_b32_e32 v30, v8, v30, vcc
	v_cmp_lt_u32_e64 s[2:3], v29, v28
	v_cmp_ge_u32_e64 s[0:1], v30, v27
	s_waitcnt lgkmcnt(0)
	v_cndmask_b32_e32 v7, v5, v3, vcc
	v_cndmask_b32_e32 v6, v4, v2, vcc
	;; [unrolled: 1-line block ×4, first 2 shown]
	v_cmp_le_u64_e64 s[4:5], v[4:5], v[6:7]
	s_and_b64 s[2:3], s[2:3], s[4:5]
	s_or_b64 s[0:1], s[0:1], s[2:3]
	v_cndmask_b32_e64 v8, v30, v29, s[0:1]
	v_cndmask_b32_e64 v9, v27, v28, s[0:1]
	v_add_u32_e32 v31, 1, v8
	v_add_u32_e32 v8, -1, v9
	v_min_u32_e32 v8, v31, v8
	v_lshl_add_u32 v8, v8, 3, v23
	ds_read_b64 v[8:9], v8
	v_cndmask_b32_e32 v1, v3, v1, vcc
	v_cndmask_b32_e32 v0, v2, v0, vcc
	v_cndmask_b32_e64 v29, v29, v31, s[0:1]
	v_cndmask_b32_e64 v32, v31, v30, s[0:1]
	s_waitcnt lgkmcnt(0)
	v_cndmask_b32_e64 v3, v9, v7, s[0:1]
	v_cndmask_b32_e64 v2, v8, v6, s[0:1]
	;; [unrolled: 1-line block ×4, first 2 shown]
	v_cmp_lt_u32_e64 s[2:3], v29, v28
	v_cmp_le_u64_e64 s[4:5], v[8:9], v[2:3]
	v_cmp_ge_u32_e32 vcc, v32, v27
	s_and_b64 s[2:3], s[2:3], s[4:5]
	s_or_b64 vcc, vcc, s[2:3]
	v_cndmask_b32_e32 v30, v32, v29, vcc
	v_cndmask_b32_e32 v31, v27, v28, vcc
	v_add_u32_e32 v33, 1, v30
	v_add_u32_e32 v30, -1, v31
	v_min_u32_e32 v30, v33, v30
	v_lshl_add_u32 v30, v30, 3, v23
	ds_read_b64 v[30:31], v30
	v_cndmask_b32_e64 v5, v7, v5, s[0:1]
	v_cndmask_b32_e64 v4, v6, v4, s[0:1]
	v_cndmask_b32_e32 v7, v3, v9, vcc
	v_cndmask_b32_e32 v6, v2, v8, vcc
	s_waitcnt lgkmcnt(0)
	v_cndmask_b32_e32 v9, v9, v31, vcc
	v_cndmask_b32_e32 v8, v8, v30, vcc
	;; [unrolled: 1-line block ×6, first 2 shown]
	v_cmp_lt_u32_e32 vcc, v29, v28
	v_cmp_lt_u64_e64 s[0:1], v[8:9], v[2:3]
	s_and_b64 vcc, vcc, s[0:1]
	v_cndmask_b32_e32 v2, v2, v8, vcc
	v_cndmask_b32_e32 v3, v3, v9, vcc
	v_cmp_lt_u32_e32 vcc, v32, v27
	v_cndmask_b32_e32 v9, v9, v3, vcc
	v_cndmask_b32_e32 v8, v8, v2, vcc
.LBB3456_34:
	s_or_b64 exec, exec, s[16:17]
	v_mov_b32_e32 v2, v4
	v_mov_b32_e32 v3, v5
	v_and_b32_e32 v28, 0x1c0, v26
	; wave barrier
	ds_write_b128 v25, v[0:3]
	ds_write_b128 v25, v[6:9] offset:16
	v_or_b32_e32 v2, 32, v28
	v_min_u32_e32 v27, v24, v2
	v_add_u32_e32 v2, 32, v27
	v_min_u32_e32 v25, v24, v2
	v_and_b32_e32 v2, 60, v26
	v_min_u32_e32 v26, v24, v2
	v_sub_u32_e32 v24, v27, v28
	v_sub_u32_e32 v3, v25, v27
	v_sub_u32_e64 v3, v26, v3 clamp
	v_min_u32_e32 v24, v26, v24
	v_lshl_add_u32 v2, v28, 3, v23
	v_cmp_lt_u32_e32 vcc, v3, v24
	; wave barrier
	s_and_saveexec_b64 s[0:1], vcc
	s_cbranch_execz .LBB3456_38
; %bb.35:
	v_lshlrev_b32_e32 v29, 3, v27
	v_lshlrev_b32_e32 v30, 3, v26
	v_add3_u32 v29, v23, v29, v30
	s_mov_b64 s[2:3], 0
.LBB3456_36:                            ; =>This Inner Loop Header: Depth=1
	v_add_u32_e32 v30, v24, v3
	v_lshrrev_b32_e32 v34, 1, v30
	v_not_b32_e32 v30, v34
	v_lshl_add_u32 v31, v34, 3, v2
	v_lshl_add_u32 v32, v30, 3, v29
	ds_read_b64 v[30:31], v31
	ds_read_b64 v[32:33], v32
	v_add_u32_e32 v35, 1, v34
	s_waitcnt lgkmcnt(0)
	v_cmp_gt_u64_e32 vcc, v[30:31], v[32:33]
	v_cndmask_b32_e32 v24, v24, v34, vcc
	v_cndmask_b32_e32 v3, v35, v3, vcc
	v_cmp_ge_u32_e32 vcc, v3, v24
	s_or_b64 s[2:3], vcc, s[2:3]
	s_andn2_b64 exec, exec, s[2:3]
	s_cbranch_execnz .LBB3456_36
; %bb.37:
	s_or_b64 exec, exec, s[2:3]
.LBB3456_38:
	s_or_b64 exec, exec, s[0:1]
	v_add_u32_e32 v26, v27, v26
	v_add_u32_e32 v24, v3, v28
	v_sub_u32_e32 v26, v26, v3
	v_cmp_le_u32_e32 vcc, v24, v27
	v_cmp_le_u32_e64 s[0:1], v26, v25
	s_or_b64 s[0:1], vcc, s[0:1]
	s_and_saveexec_b64 s[16:17], s[0:1]
	s_cbranch_execz .LBB3456_44
; %bb.39:
	v_cmp_lt_u32_e32 vcc, v24, v27
                                        ; implicit-def: $vgpr0_vgpr1
	s_and_saveexec_b64 s[0:1], vcc
	s_cbranch_execz .LBB3456_41
; %bb.40:
	v_lshl_add_u32 v0, v3, 3, v2
	ds_read_b64 v[0:1], v0
.LBB3456_41:
	s_or_b64 exec, exec, s[0:1]
	v_cmp_ge_u32_e64 s[0:1], v26, v25
	v_cmp_lt_u32_e64 s[2:3], v26, v25
                                        ; implicit-def: $vgpr2_vgpr3
	s_and_saveexec_b64 s[4:5], s[2:3]
	s_cbranch_execz .LBB3456_43
; %bb.42:
	v_lshl_add_u32 v2, v26, 3, v23
	ds_read_b64 v[2:3], v2
.LBB3456_43:
	s_or_b64 exec, exec, s[4:5]
	s_waitcnt lgkmcnt(0)
	v_cmp_le_u64_e64 s[2:3], v[0:1], v[2:3]
	s_and_b64 s[2:3], vcc, s[2:3]
	s_or_b64 vcc, s[0:1], s[2:3]
	v_cndmask_b32_e32 v4, v26, v24, vcc
	v_cndmask_b32_e32 v5, v25, v27, vcc
	v_add_u32_e32 v8, 1, v4
	v_add_u32_e32 v4, -1, v5
	v_min_u32_e32 v4, v8, v4
	v_lshl_add_u32 v4, v4, 3, v23
	ds_read_b64 v[4:5], v4
	v_cndmask_b32_e32 v24, v24, v8, vcc
	v_cndmask_b32_e32 v26, v8, v26, vcc
	v_cmp_lt_u32_e64 s[2:3], v24, v27
	v_cmp_ge_u32_e64 s[0:1], v26, v25
	s_waitcnt lgkmcnt(0)
	v_cndmask_b32_e32 v7, v5, v3, vcc
	v_cndmask_b32_e32 v6, v4, v2, vcc
	;; [unrolled: 1-line block ×4, first 2 shown]
	v_cmp_le_u64_e64 s[4:5], v[4:5], v[6:7]
	s_and_b64 s[2:3], s[2:3], s[4:5]
	s_or_b64 s[0:1], s[0:1], s[2:3]
	v_cndmask_b32_e64 v8, v26, v24, s[0:1]
	v_cndmask_b32_e64 v9, v25, v27, s[0:1]
	v_add_u32_e32 v28, 1, v8
	v_add_u32_e32 v8, -1, v9
	v_min_u32_e32 v8, v28, v8
	v_lshl_add_u32 v8, v8, 3, v23
	ds_read_b64 v[8:9], v8
	v_cndmask_b32_e32 v1, v3, v1, vcc
	v_cndmask_b32_e32 v0, v2, v0, vcc
	v_cndmask_b32_e64 v24, v24, v28, s[0:1]
	v_cndmask_b32_e64 v26, v28, v26, s[0:1]
	s_waitcnt lgkmcnt(0)
	v_cndmask_b32_e64 v3, v9, v7, s[0:1]
	v_cndmask_b32_e64 v2, v8, v6, s[0:1]
	;; [unrolled: 1-line block ×4, first 2 shown]
	v_cmp_lt_u32_e64 s[2:3], v24, v27
	v_cmp_le_u64_e64 s[4:5], v[8:9], v[2:3]
	v_cmp_ge_u32_e32 vcc, v26, v25
	s_and_b64 s[2:3], s[2:3], s[4:5]
	s_or_b64 vcc, vcc, s[2:3]
	v_cndmask_b32_e32 v28, v26, v24, vcc
	v_cndmask_b32_e32 v29, v25, v27, vcc
	v_add_u32_e32 v30, 1, v28
	v_add_u32_e32 v28, -1, v29
	v_min_u32_e32 v28, v30, v28
	v_lshl_add_u32 v23, v28, 3, v23
	ds_read_b64 v[28:29], v23
	v_cndmask_b32_e64 v5, v7, v5, s[0:1]
	v_cndmask_b32_e64 v4, v6, v4, s[0:1]
	v_cndmask_b32_e32 v7, v3, v9, vcc
	v_cndmask_b32_e32 v6, v2, v8, vcc
	s_waitcnt lgkmcnt(0)
	v_cndmask_b32_e32 v9, v9, v29, vcc
	v_cndmask_b32_e32 v8, v8, v28, vcc
	;; [unrolled: 1-line block ×6, first 2 shown]
	v_cmp_lt_u32_e32 vcc, v24, v27
	v_cmp_lt_u64_e64 s[0:1], v[8:9], v[2:3]
	s_and_b64 vcc, vcc, s[0:1]
	v_cndmask_b32_e32 v2, v2, v8, vcc
	v_cndmask_b32_e32 v3, v3, v9, vcc
	v_cmp_lt_u32_e32 vcc, v23, v25
	v_cndmask_b32_e32 v9, v9, v3, vcc
	v_cndmask_b32_e32 v8, v8, v2, vcc
.LBB3456_44:
	s_or_b64 exec, exec, s[16:17]
	v_lshlrev_b32_e32 v23, 5, v10
	v_mov_b32_e32 v2, v4
	v_mov_b32_e32 v3, v5
	v_and_b32_e32 v26, 0xf80, v13
	; wave barrier
	s_waitcnt lgkmcnt(0)
	s_barrier
	ds_write_b128 v23, v[0:3]
	ds_write_b128 v23, v[6:9] offset:16
	v_or_b32_e32 v2, 64, v26
	v_min_u32_e32 v25, 0x400, v2
	v_min_u32_e32 v2, 0x3c0, v2
	v_add_u32_e32 v24, 64, v2
	v_and_b32_e32 v27, 0x7c, v13
	v_sub_u32_e32 v28, v25, v26
	v_sub_u32_e32 v3, v24, v25
	v_sub_u32_e64 v3, v27, v3 clamp
	v_min_u32_e32 v28, v27, v28
	v_lshlrev_b32_e32 v2, 3, v26
	v_cmp_lt_u32_e32 vcc, v3, v28
	s_waitcnt lgkmcnt(0)
	s_barrier
	s_and_saveexec_b64 s[0:1], vcc
	s_cbranch_execz .LBB3456_48
; %bb.45:
	v_lshlrev_b32_e32 v29, 3, v27
	v_lshl_add_u32 v29, v25, 3, v29
	s_mov_b64 s[2:3], 0
.LBB3456_46:                            ; =>This Inner Loop Header: Depth=1
	v_add_u32_e32 v30, v28, v3
	v_lshrrev_b32_e32 v34, 1, v30
	v_not_b32_e32 v30, v34
	v_lshl_add_u32 v31, v34, 3, v2
	v_lshl_add_u32 v32, v30, 3, v29
	ds_read_b64 v[30:31], v31
	ds_read_b64 v[32:33], v32
	v_add_u32_e32 v35, 1, v34
	s_waitcnt lgkmcnt(0)
	v_cmp_gt_u64_e32 vcc, v[30:31], v[32:33]
	v_cndmask_b32_e32 v28, v28, v34, vcc
	v_cndmask_b32_e32 v3, v35, v3, vcc
	v_cmp_ge_u32_e32 vcc, v3, v28
	s_or_b64 s[2:3], vcc, s[2:3]
	s_andn2_b64 exec, exec, s[2:3]
	s_cbranch_execnz .LBB3456_46
; %bb.47:
	s_or_b64 exec, exec, s[2:3]
.LBB3456_48:
	s_or_b64 exec, exec, s[0:1]
	v_sub_u32_e32 v27, v27, v3
	v_add_u32_e32 v26, v3, v26
	v_add_u32_e32 v27, v27, v25
	v_cmp_le_u32_e32 vcc, v26, v25
	v_cmp_le_u32_e64 s[0:1], v27, v24
	s_or_b64 s[0:1], vcc, s[0:1]
	s_and_saveexec_b64 s[16:17], s[0:1]
	s_cbranch_execz .LBB3456_54
; %bb.49:
	v_cmp_lt_u32_e32 vcc, v26, v25
                                        ; implicit-def: $vgpr0_vgpr1
	s_and_saveexec_b64 s[0:1], vcc
	s_cbranch_execz .LBB3456_51
; %bb.50:
	v_lshl_add_u32 v0, v3, 3, v2
	ds_read_b64 v[0:1], v0
.LBB3456_51:
	s_or_b64 exec, exec, s[0:1]
	v_cmp_ge_u32_e64 s[0:1], v27, v24
	v_cmp_lt_u32_e64 s[2:3], v27, v24
                                        ; implicit-def: $vgpr2_vgpr3
	s_and_saveexec_b64 s[4:5], s[2:3]
	s_cbranch_execz .LBB3456_53
; %bb.52:
	v_lshlrev_b32_e32 v2, 3, v27
	ds_read_b64 v[2:3], v2
.LBB3456_53:
	s_or_b64 exec, exec, s[4:5]
	s_waitcnt lgkmcnt(0)
	v_cmp_le_u64_e64 s[2:3], v[0:1], v[2:3]
	s_and_b64 s[2:3], vcc, s[2:3]
	s_or_b64 vcc, s[0:1], s[2:3]
	v_cndmask_b32_e32 v4, v27, v26, vcc
	v_cndmask_b32_e32 v5, v24, v25, vcc
	v_add_u32_e32 v8, 1, v4
	v_add_u32_e32 v4, -1, v5
	v_min_u32_e32 v4, v8, v4
	v_lshlrev_b32_e32 v4, 3, v4
	ds_read_b64 v[4:5], v4
	v_cndmask_b32_e32 v26, v26, v8, vcc
	v_cndmask_b32_e32 v27, v8, v27, vcc
	v_cmp_lt_u32_e64 s[2:3], v26, v25
	v_cmp_ge_u32_e64 s[0:1], v27, v24
	s_waitcnt lgkmcnt(0)
	v_cndmask_b32_e32 v7, v5, v3, vcc
	v_cndmask_b32_e32 v6, v4, v2, vcc
	;; [unrolled: 1-line block ×4, first 2 shown]
	v_cmp_le_u64_e64 s[4:5], v[4:5], v[6:7]
	s_and_b64 s[2:3], s[2:3], s[4:5]
	s_or_b64 s[0:1], s[0:1], s[2:3]
	v_cndmask_b32_e64 v8, v27, v26, s[0:1]
	v_cndmask_b32_e64 v9, v24, v25, s[0:1]
	v_add_u32_e32 v28, 1, v8
	v_add_u32_e32 v8, -1, v9
	v_min_u32_e32 v8, v28, v8
	v_lshlrev_b32_e32 v8, 3, v8
	ds_read_b64 v[8:9], v8
	v_cndmask_b32_e32 v1, v3, v1, vcc
	v_cndmask_b32_e32 v0, v2, v0, vcc
	v_cndmask_b32_e64 v29, v28, v27, s[0:1]
	v_cndmask_b32_e64 v28, v26, v28, s[0:1]
	s_waitcnt lgkmcnt(0)
	v_cndmask_b32_e64 v3, v9, v7, s[0:1]
	v_cndmask_b32_e64 v2, v8, v6, s[0:1]
	;; [unrolled: 1-line block ×4, first 2 shown]
	v_cmp_lt_u32_e64 s[2:3], v28, v25
	v_cmp_le_u64_e64 s[4:5], v[8:9], v[2:3]
	v_cmp_ge_u32_e32 vcc, v29, v24
	s_and_b64 s[2:3], s[2:3], s[4:5]
	s_or_b64 vcc, vcc, s[2:3]
	v_cndmask_b32_e32 v26, v29, v28, vcc
	v_cndmask_b32_e32 v27, v24, v25, vcc
	v_add_u32_e32 v30, 1, v26
	v_add_u32_e32 v26, -1, v27
	v_min_u32_e32 v26, v30, v26
	v_lshlrev_b32_e32 v26, 3, v26
	ds_read_b64 v[26:27], v26
	v_cndmask_b32_e64 v5, v7, v5, s[0:1]
	v_cndmask_b32_e64 v4, v6, v4, s[0:1]
	v_cndmask_b32_e32 v7, v3, v9, vcc
	v_cndmask_b32_e32 v6, v2, v8, vcc
	s_waitcnt lgkmcnt(0)
	v_cndmask_b32_e32 v9, v9, v27, vcc
	v_cndmask_b32_e32 v8, v8, v26, vcc
	;; [unrolled: 1-line block ×6, first 2 shown]
	v_cmp_lt_u32_e32 vcc, v26, v25
	v_cmp_lt_u64_e64 s[0:1], v[8:9], v[2:3]
	s_and_b64 vcc, vcc, s[0:1]
	v_cndmask_b32_e32 v2, v2, v8, vcc
	v_cndmask_b32_e32 v3, v3, v9, vcc
	v_cmp_lt_u32_e32 vcc, v29, v24
	v_cndmask_b32_e32 v9, v9, v3, vcc
	v_cndmask_b32_e32 v8, v8, v2, vcc
.LBB3456_54:
	s_or_b64 exec, exec, s[16:17]
	v_mov_b32_e32 v2, v4
	v_mov_b32_e32 v3, v5
	v_and_b32_e32 v26, 0xf00, v13
	s_barrier
	ds_write_b128 v23, v[0:3]
	ds_write_b128 v23, v[6:9] offset:16
	v_or_b32_e32 v2, 0x80, v26
	v_min_u32_e32 v25, 0x400, v2
	v_min_u32_e32 v2, 0x380, v2
	v_add_u32_e32 v24, 0x80, v2
	v_and_b32_e32 v27, 0xfc, v13
	v_sub_u32_e32 v28, v25, v26
	v_sub_u32_e32 v3, v24, v25
	v_sub_u32_e64 v3, v27, v3 clamp
	v_min_u32_e32 v28, v27, v28
	v_lshlrev_b32_e32 v2, 3, v26
	v_cmp_lt_u32_e32 vcc, v3, v28
	s_waitcnt lgkmcnt(0)
	s_barrier
	s_and_saveexec_b64 s[0:1], vcc
	s_cbranch_execz .LBB3456_58
; %bb.55:
	v_lshlrev_b32_e32 v29, 3, v27
	v_lshl_add_u32 v29, v25, 3, v29
	s_mov_b64 s[2:3], 0
.LBB3456_56:                            ; =>This Inner Loop Header: Depth=1
	v_add_u32_e32 v30, v28, v3
	v_lshrrev_b32_e32 v34, 1, v30
	v_not_b32_e32 v30, v34
	v_lshl_add_u32 v31, v34, 3, v2
	v_lshl_add_u32 v32, v30, 3, v29
	ds_read_b64 v[30:31], v31
	ds_read_b64 v[32:33], v32
	v_add_u32_e32 v35, 1, v34
	s_waitcnt lgkmcnt(0)
	v_cmp_gt_u64_e32 vcc, v[30:31], v[32:33]
	v_cndmask_b32_e32 v28, v28, v34, vcc
	v_cndmask_b32_e32 v3, v35, v3, vcc
	v_cmp_ge_u32_e32 vcc, v3, v28
	s_or_b64 s[2:3], vcc, s[2:3]
	s_andn2_b64 exec, exec, s[2:3]
	s_cbranch_execnz .LBB3456_56
; %bb.57:
	s_or_b64 exec, exec, s[2:3]
.LBB3456_58:
	s_or_b64 exec, exec, s[0:1]
	v_sub_u32_e32 v27, v27, v3
	v_add_u32_e32 v26, v3, v26
	v_add_u32_e32 v27, v27, v25
	v_cmp_le_u32_e32 vcc, v26, v25
	v_cmp_le_u32_e64 s[0:1], v27, v24
	s_or_b64 s[0:1], vcc, s[0:1]
	s_and_saveexec_b64 s[16:17], s[0:1]
	s_cbranch_execz .LBB3456_64
; %bb.59:
	v_cmp_lt_u32_e32 vcc, v26, v25
                                        ; implicit-def: $vgpr0_vgpr1
	s_and_saveexec_b64 s[0:1], vcc
	s_cbranch_execz .LBB3456_61
; %bb.60:
	v_lshl_add_u32 v0, v3, 3, v2
	ds_read_b64 v[0:1], v0
.LBB3456_61:
	s_or_b64 exec, exec, s[0:1]
	v_cmp_ge_u32_e64 s[0:1], v27, v24
	v_cmp_lt_u32_e64 s[2:3], v27, v24
                                        ; implicit-def: $vgpr2_vgpr3
	s_and_saveexec_b64 s[4:5], s[2:3]
	s_cbranch_execz .LBB3456_63
; %bb.62:
	v_lshlrev_b32_e32 v2, 3, v27
	ds_read_b64 v[2:3], v2
.LBB3456_63:
	s_or_b64 exec, exec, s[4:5]
	s_waitcnt lgkmcnt(0)
	v_cmp_le_u64_e64 s[2:3], v[0:1], v[2:3]
	s_and_b64 s[2:3], vcc, s[2:3]
	s_or_b64 vcc, s[0:1], s[2:3]
	v_cndmask_b32_e32 v4, v27, v26, vcc
	v_cndmask_b32_e32 v5, v24, v25, vcc
	v_add_u32_e32 v8, 1, v4
	v_add_u32_e32 v4, -1, v5
	v_min_u32_e32 v4, v8, v4
	v_lshlrev_b32_e32 v4, 3, v4
	ds_read_b64 v[4:5], v4
	v_cndmask_b32_e32 v26, v26, v8, vcc
	v_cndmask_b32_e32 v27, v8, v27, vcc
	v_cmp_lt_u32_e64 s[2:3], v26, v25
	v_cmp_ge_u32_e64 s[0:1], v27, v24
	s_waitcnt lgkmcnt(0)
	v_cndmask_b32_e32 v7, v5, v3, vcc
	v_cndmask_b32_e32 v6, v4, v2, vcc
	;; [unrolled: 1-line block ×4, first 2 shown]
	v_cmp_le_u64_e64 s[4:5], v[4:5], v[6:7]
	s_and_b64 s[2:3], s[2:3], s[4:5]
	s_or_b64 s[0:1], s[0:1], s[2:3]
	v_cndmask_b32_e64 v8, v27, v26, s[0:1]
	v_cndmask_b32_e64 v9, v24, v25, s[0:1]
	v_add_u32_e32 v28, 1, v8
	v_add_u32_e32 v8, -1, v9
	v_min_u32_e32 v8, v28, v8
	v_lshlrev_b32_e32 v8, 3, v8
	ds_read_b64 v[8:9], v8
	v_cndmask_b32_e32 v1, v3, v1, vcc
	v_cndmask_b32_e32 v0, v2, v0, vcc
	v_cndmask_b32_e64 v29, v28, v27, s[0:1]
	v_cndmask_b32_e64 v28, v26, v28, s[0:1]
	s_waitcnt lgkmcnt(0)
	v_cndmask_b32_e64 v3, v9, v7, s[0:1]
	v_cndmask_b32_e64 v2, v8, v6, s[0:1]
	;; [unrolled: 1-line block ×4, first 2 shown]
	v_cmp_lt_u32_e64 s[2:3], v28, v25
	v_cmp_le_u64_e64 s[4:5], v[8:9], v[2:3]
	v_cmp_ge_u32_e32 vcc, v29, v24
	s_and_b64 s[2:3], s[2:3], s[4:5]
	s_or_b64 vcc, vcc, s[2:3]
	v_cndmask_b32_e32 v26, v29, v28, vcc
	v_cndmask_b32_e32 v27, v24, v25, vcc
	v_add_u32_e32 v30, 1, v26
	v_add_u32_e32 v26, -1, v27
	v_min_u32_e32 v26, v30, v26
	v_lshlrev_b32_e32 v26, 3, v26
	ds_read_b64 v[26:27], v26
	v_cndmask_b32_e64 v5, v7, v5, s[0:1]
	v_cndmask_b32_e64 v4, v6, v4, s[0:1]
	v_cndmask_b32_e32 v7, v3, v9, vcc
	v_cndmask_b32_e32 v6, v2, v8, vcc
	s_waitcnt lgkmcnt(0)
	v_cndmask_b32_e32 v9, v9, v27, vcc
	v_cndmask_b32_e32 v8, v8, v26, vcc
	;; [unrolled: 1-line block ×6, first 2 shown]
	v_cmp_lt_u32_e32 vcc, v26, v25
	v_cmp_lt_u64_e64 s[0:1], v[8:9], v[2:3]
	s_and_b64 vcc, vcc, s[0:1]
	v_cndmask_b32_e32 v2, v2, v8, vcc
	v_cndmask_b32_e32 v3, v3, v9, vcc
	v_cmp_lt_u32_e32 vcc, v29, v24
	v_cndmask_b32_e32 v9, v9, v3, vcc
	v_cndmask_b32_e32 v8, v8, v2, vcc
.LBB3456_64:
	s_or_b64 exec, exec, s[16:17]
	v_mov_b32_e32 v2, v4
	v_mov_b32_e32 v3, v5
	v_and_b32_e32 v26, 0xe00, v13
	s_barrier
	ds_write_b128 v23, v[0:3]
	ds_write_b128 v23, v[6:9] offset:16
	v_or_b32_e32 v2, 0x100, v26
	v_min_u32_e32 v25, 0x400, v2
	v_min_u32_e32 v2, 0x300, v2
	v_add_u32_e32 v24, 0x100, v2
	v_and_b32_e32 v27, 0x1fc, v13
	v_sub_u32_e32 v28, v25, v26
	v_sub_u32_e32 v3, v24, v25
	v_sub_u32_e64 v3, v27, v3 clamp
	v_min_u32_e32 v28, v27, v28
	v_lshlrev_b32_e32 v2, 3, v26
	v_cmp_lt_u32_e32 vcc, v3, v28
	s_waitcnt lgkmcnt(0)
	s_barrier
	s_and_saveexec_b64 s[0:1], vcc
	s_cbranch_execz .LBB3456_68
; %bb.65:
	v_lshlrev_b32_e32 v29, 3, v27
	v_lshl_add_u32 v29, v25, 3, v29
	s_mov_b64 s[2:3], 0
.LBB3456_66:                            ; =>This Inner Loop Header: Depth=1
	v_add_u32_e32 v30, v28, v3
	v_lshrrev_b32_e32 v34, 1, v30
	v_not_b32_e32 v30, v34
	v_lshl_add_u32 v31, v34, 3, v2
	v_lshl_add_u32 v32, v30, 3, v29
	ds_read_b64 v[30:31], v31
	ds_read_b64 v[32:33], v32
	v_add_u32_e32 v35, 1, v34
	s_waitcnt lgkmcnt(0)
	v_cmp_gt_u64_e32 vcc, v[30:31], v[32:33]
	v_cndmask_b32_e32 v28, v28, v34, vcc
	v_cndmask_b32_e32 v3, v35, v3, vcc
	v_cmp_ge_u32_e32 vcc, v3, v28
	s_or_b64 s[2:3], vcc, s[2:3]
	s_andn2_b64 exec, exec, s[2:3]
	s_cbranch_execnz .LBB3456_66
; %bb.67:
	s_or_b64 exec, exec, s[2:3]
.LBB3456_68:
	s_or_b64 exec, exec, s[0:1]
	v_sub_u32_e32 v27, v27, v3
	v_add_u32_e32 v26, v3, v26
	v_add_u32_e32 v27, v27, v25
	v_cmp_le_u32_e32 vcc, v26, v25
	v_cmp_le_u32_e64 s[0:1], v27, v24
	s_or_b64 s[0:1], vcc, s[0:1]
	s_and_saveexec_b64 s[16:17], s[0:1]
	s_cbranch_execz .LBB3456_74
; %bb.69:
	v_cmp_lt_u32_e32 vcc, v26, v25
                                        ; implicit-def: $vgpr0_vgpr1
	s_and_saveexec_b64 s[0:1], vcc
	s_cbranch_execz .LBB3456_71
; %bb.70:
	v_lshl_add_u32 v0, v3, 3, v2
	ds_read_b64 v[0:1], v0
.LBB3456_71:
	s_or_b64 exec, exec, s[0:1]
	v_cmp_ge_u32_e64 s[0:1], v27, v24
	v_cmp_lt_u32_e64 s[2:3], v27, v24
                                        ; implicit-def: $vgpr2_vgpr3
	s_and_saveexec_b64 s[4:5], s[2:3]
	s_cbranch_execz .LBB3456_73
; %bb.72:
	v_lshlrev_b32_e32 v2, 3, v27
	ds_read_b64 v[2:3], v2
.LBB3456_73:
	s_or_b64 exec, exec, s[4:5]
	s_waitcnt lgkmcnt(0)
	v_cmp_le_u64_e64 s[2:3], v[0:1], v[2:3]
	s_and_b64 s[2:3], vcc, s[2:3]
	s_or_b64 vcc, s[0:1], s[2:3]
	v_cndmask_b32_e32 v4, v27, v26, vcc
	v_cndmask_b32_e32 v5, v24, v25, vcc
	v_add_u32_e32 v8, 1, v4
	v_add_u32_e32 v4, -1, v5
	v_min_u32_e32 v4, v8, v4
	v_lshlrev_b32_e32 v4, 3, v4
	ds_read_b64 v[4:5], v4
	v_cndmask_b32_e32 v26, v26, v8, vcc
	v_cndmask_b32_e32 v27, v8, v27, vcc
	v_cmp_lt_u32_e64 s[2:3], v26, v25
	v_cmp_ge_u32_e64 s[0:1], v27, v24
	s_waitcnt lgkmcnt(0)
	v_cndmask_b32_e32 v7, v5, v3, vcc
	v_cndmask_b32_e32 v6, v4, v2, vcc
	;; [unrolled: 1-line block ×4, first 2 shown]
	v_cmp_le_u64_e64 s[4:5], v[4:5], v[6:7]
	s_and_b64 s[2:3], s[2:3], s[4:5]
	s_or_b64 s[0:1], s[0:1], s[2:3]
	v_cndmask_b32_e64 v8, v27, v26, s[0:1]
	v_cndmask_b32_e64 v9, v24, v25, s[0:1]
	v_add_u32_e32 v28, 1, v8
	v_add_u32_e32 v8, -1, v9
	v_min_u32_e32 v8, v28, v8
	v_lshlrev_b32_e32 v8, 3, v8
	ds_read_b64 v[8:9], v8
	v_cndmask_b32_e32 v1, v3, v1, vcc
	v_cndmask_b32_e32 v0, v2, v0, vcc
	v_cndmask_b32_e64 v29, v28, v27, s[0:1]
	v_cndmask_b32_e64 v28, v26, v28, s[0:1]
	s_waitcnt lgkmcnt(0)
	v_cndmask_b32_e64 v3, v9, v7, s[0:1]
	v_cndmask_b32_e64 v2, v8, v6, s[0:1]
	;; [unrolled: 1-line block ×4, first 2 shown]
	v_cmp_lt_u32_e64 s[2:3], v28, v25
	v_cmp_le_u64_e64 s[4:5], v[8:9], v[2:3]
	v_cmp_ge_u32_e32 vcc, v29, v24
	s_and_b64 s[2:3], s[2:3], s[4:5]
	s_or_b64 vcc, vcc, s[2:3]
	v_cndmask_b32_e32 v26, v29, v28, vcc
	v_cndmask_b32_e32 v27, v24, v25, vcc
	v_add_u32_e32 v30, 1, v26
	v_add_u32_e32 v26, -1, v27
	v_min_u32_e32 v26, v30, v26
	v_lshlrev_b32_e32 v26, 3, v26
	ds_read_b64 v[26:27], v26
	v_cndmask_b32_e64 v5, v7, v5, s[0:1]
	v_cndmask_b32_e64 v4, v6, v4, s[0:1]
	v_cndmask_b32_e32 v7, v3, v9, vcc
	v_cndmask_b32_e32 v6, v2, v8, vcc
	s_waitcnt lgkmcnt(0)
	v_cndmask_b32_e32 v9, v9, v27, vcc
	v_cndmask_b32_e32 v8, v8, v26, vcc
	;; [unrolled: 1-line block ×6, first 2 shown]
	v_cmp_lt_u32_e32 vcc, v26, v25
	v_cmp_lt_u64_e64 s[0:1], v[8:9], v[2:3]
	s_and_b64 vcc, vcc, s[0:1]
	v_cndmask_b32_e32 v2, v2, v8, vcc
	v_cndmask_b32_e32 v3, v3, v9, vcc
	v_cmp_lt_u32_e32 vcc, v29, v24
	v_cndmask_b32_e32 v9, v9, v3, vcc
	v_cndmask_b32_e32 v8, v8, v2, vcc
.LBB3456_74:
	s_or_b64 exec, exec, s[16:17]
	v_mov_b32_e32 v2, v4
	v_mov_b32_e32 v3, v5
	v_and_b32_e32 v24, 0xc00, v13
	s_barrier
	ds_write_b128 v23, v[0:3]
	ds_write_b128 v23, v[6:9] offset:16
	v_or_b32_e32 v2, 0x200, v24
	v_min_u32_e32 v23, 0x400, v2
	v_and_b32_e32 v25, 0x3fc, v13
	v_sub_u32_e32 v26, v23, v24
	v_sub_u32_e32 v3, 0x400, v23
	v_sub_u32_e64 v3, v25, v3 clamp
	v_min_u32_e32 v26, v25, v26
	v_lshlrev_b32_e32 v2, 3, v24
	v_cmp_lt_u32_e32 vcc, v3, v26
	s_waitcnt lgkmcnt(0)
	s_barrier
	s_and_saveexec_b64 s[0:1], vcc
	s_cbranch_execz .LBB3456_78
; %bb.75:
	v_lshlrev_b32_e32 v27, 3, v25
	v_lshl_add_u32 v27, v23, 3, v27
	s_mov_b64 s[2:3], 0
.LBB3456_76:                            ; =>This Inner Loop Header: Depth=1
	v_add_u32_e32 v28, v26, v3
	v_lshrrev_b32_e32 v32, 1, v28
	v_not_b32_e32 v28, v32
	v_lshl_add_u32 v29, v32, 3, v2
	v_lshl_add_u32 v30, v28, 3, v27
	ds_read_b64 v[28:29], v29
	ds_read_b64 v[30:31], v30
	v_add_u32_e32 v33, 1, v32
	s_waitcnt lgkmcnt(0)
	v_cmp_gt_u64_e32 vcc, v[28:29], v[30:31]
	v_cndmask_b32_e32 v26, v26, v32, vcc
	v_cndmask_b32_e32 v3, v33, v3, vcc
	v_cmp_ge_u32_e32 vcc, v3, v26
	s_or_b64 s[2:3], vcc, s[2:3]
	s_andn2_b64 exec, exec, s[2:3]
	s_cbranch_execnz .LBB3456_76
; %bb.77:
	s_or_b64 exec, exec, s[2:3]
.LBB3456_78:
	s_or_b64 exec, exec, s[0:1]
	v_sub_u32_e32 v25, v25, v3
	v_add_u32_e32 v24, v3, v24
	v_add_u32_e32 v25, v25, v23
	s_movk_i32 s0, 0x401
	v_cmp_le_u32_e32 vcc, v24, v23
	v_cmp_gt_u32_e64 s[0:1], s0, v25
	s_or_b64 s[0:1], vcc, s[0:1]
	s_and_saveexec_b64 s[16:17], s[0:1]
	s_cbranch_execz .LBB3456_84
; %bb.79:
	v_cmp_lt_u32_e32 vcc, v24, v23
                                        ; implicit-def: $vgpr0_vgpr1
	s_and_saveexec_b64 s[0:1], vcc
	s_cbranch_execz .LBB3456_81
; %bb.80:
	v_lshl_add_u32 v0, v3, 3, v2
	ds_read_b64 v[0:1], v0
.LBB3456_81:
	s_or_b64 exec, exec, s[0:1]
	s_movk_i32 s20, 0x3ff
	s_movk_i32 s19, 0x400
	v_cmp_lt_u32_e64 s[0:1], s20, v25
	v_cmp_gt_u32_e64 s[2:3], s19, v25
                                        ; implicit-def: $vgpr2_vgpr3
	s_and_saveexec_b64 s[4:5], s[2:3]
	s_cbranch_execz .LBB3456_83
; %bb.82:
	v_lshlrev_b32_e32 v2, 3, v25
	ds_read_b64 v[2:3], v2
.LBB3456_83:
	s_or_b64 exec, exec, s[4:5]
	s_waitcnt lgkmcnt(0)
	v_cmp_le_u64_e64 s[2:3], v[0:1], v[2:3]
	s_and_b64 s[2:3], vcc, s[2:3]
	s_or_b64 vcc, s[0:1], s[2:3]
	v_cndmask_b32_e32 v4, v25, v24, vcc
	v_add_u32_e32 v26, -1, v23
	v_mov_b32_e32 v27, 0x3ff
	v_add_u32_e32 v8, 1, v4
	v_cndmask_b32_e32 v4, v27, v26, vcc
	v_min_u32_e32 v4, v8, v4
	v_lshlrev_b32_e32 v4, 3, v4
	ds_read_b64 v[4:5], v4
	v_cndmask_b32_e32 v24, v24, v8, vcc
	v_cndmask_b32_e32 v25, v8, v25, vcc
	v_cmp_lt_u32_e64 s[2:3], v24, v23
	v_cmp_lt_u32_e64 s[0:1], s20, v25
	s_waitcnt lgkmcnt(0)
	v_cndmask_b32_e32 v7, v5, v3, vcc
	v_cndmask_b32_e32 v6, v4, v2, vcc
	;; [unrolled: 1-line block ×4, first 2 shown]
	v_cmp_le_u64_e64 s[4:5], v[4:5], v[6:7]
	s_and_b64 s[2:3], s[2:3], s[4:5]
	s_or_b64 s[0:1], s[0:1], s[2:3]
	v_cndmask_b32_e64 v8, v25, v24, s[0:1]
	v_add_u32_e32 v28, 1, v8
	v_cndmask_b32_e64 v8, v27, v26, s[0:1]
	v_min_u32_e32 v8, v28, v8
	v_lshlrev_b32_e32 v8, 3, v8
	ds_read_b64 v[8:9], v8
	v_cndmask_b32_e32 v1, v3, v1, vcc
	v_cndmask_b32_e32 v0, v2, v0, vcc
	v_cndmask_b32_e64 v29, v28, v25, s[0:1]
	v_cndmask_b32_e64 v28, v24, v28, s[0:1]
	s_waitcnt lgkmcnt(0)
	v_cndmask_b32_e64 v3, v9, v7, s[0:1]
	v_cndmask_b32_e64 v2, v8, v6, s[0:1]
	;; [unrolled: 1-line block ×4, first 2 shown]
	v_cmp_lt_u32_e64 s[2:3], v28, v23
	v_cmp_le_u64_e64 s[4:5], v[8:9], v[2:3]
	v_cmp_lt_u32_e32 vcc, s20, v29
	s_and_b64 s[2:3], s[2:3], s[4:5]
	s_or_b64 vcc, vcc, s[2:3]
	v_cndmask_b32_e32 v24, v29, v28, vcc
	v_add_u32_e32 v30, 1, v24
	v_cndmask_b32_e32 v24, v27, v26, vcc
	v_min_u32_e32 v24, v30, v24
	v_lshlrev_b32_e32 v24, 3, v24
	ds_read_b64 v[24:25], v24
	v_cndmask_b32_e64 v5, v7, v5, s[0:1]
	v_cndmask_b32_e64 v4, v6, v4, s[0:1]
	v_cndmask_b32_e32 v7, v3, v9, vcc
	v_cndmask_b32_e32 v6, v2, v8, vcc
	s_waitcnt lgkmcnt(0)
	v_cndmask_b32_e32 v9, v9, v25, vcc
	v_cndmask_b32_e32 v8, v8, v24, vcc
	v_cndmask_b32_e32 v3, v25, v3, vcc
	v_cndmask_b32_e32 v2, v24, v2, vcc
	v_cndmask_b32_e32 v24, v28, v30, vcc
	v_cndmask_b32_e32 v26, v30, v29, vcc
	v_cmp_lt_u32_e32 vcc, v24, v23
	v_cmp_lt_u64_e64 s[0:1], v[8:9], v[2:3]
	s_and_b64 vcc, vcc, s[0:1]
	v_cndmask_b32_e32 v2, v2, v8, vcc
	v_cndmask_b32_e32 v3, v3, v9, vcc
	v_cmp_gt_u32_e32 vcc, s19, v26
	v_cndmask_b32_e32 v9, v9, v3, vcc
	v_cndmask_b32_e32 v8, v8, v2, vcc
.LBB3456_84:
	s_or_b64 exec, exec, s[16:17]
	v_mov_b32_e32 v2, v4
	v_mov_b32_e32 v3, v5
	s_barrier
	s_barrier
	ds_write2_b64 v19, v[0:1], v[2:3] offset1:1
	ds_write2_b64 v19, v[6:7], v[8:9] offset0:2 offset1:3
	s_waitcnt lgkmcnt(0)
	s_barrier
	ds_read_b64 v[2:3], v18
	ds_read_b64 v[4:5], v20 offset:2048
	ds_read_b64 v[6:7], v21 offset:4096
	;; [unrolled: 1-line block ×3, first 2 shown]
	v_mov_b32_e32 v9, s18
	v_add_co_u32_e32 v8, vcc, s15, v12
	v_addc_co_u32_e32 v9, vcc, 0, v9, vcc
	s_waitcnt lgkmcnt(3)
	flat_store_dwordx2 v[8:9], v[2:3]
	s_waitcnt lgkmcnt(0)
	flat_store_dwordx2 v[8:9], v[4:5] offset:2048
	v_add_co_u32_e32 v2, vcc, 0x1000, v8
	v_addc_co_u32_e32 v3, vcc, 0, v9, vcc
	flat_store_dwordx2 v[2:3], v[6:7]
	s_mov_b64 s[16:17], -1
	s_branch .LBB3456_152
.LBB3456_85:
	s_mov_b64 s[16:17], 0
                                        ; implicit-def: $vgpr0_vgpr1
	s_cbranch_execz .LBB3456_152
; %bb.86:
	s_lshl_b64 s[0:1], s[8:9], 10
	s_sub_i32 s14, s14, s0
	v_cmp_gt_u32_e32 vcc, s14, v10
                                        ; implicit-def: $vgpr0_vgpr1_vgpr2_vgpr3_vgpr4_vgpr5_vgpr6_vgpr7
	s_and_saveexec_b64 s[2:3], vcc
	s_cbranch_execz .LBB3456_88
; %bb.87:
	v_mov_b32_e32 v1, s13
	v_add_co_u32_e64 v0, s[0:1], s7, v12
	v_addc_co_u32_e64 v1, s[0:1], 0, v1, s[0:1]
	flat_load_dwordx2 v[0:1], v[0:1]
.LBB3456_88:
	s_or_b64 exec, exec, s[2:3]
	v_add_u32_e32 v9, 0x100, v10
	v_cmp_gt_u32_e64 s[0:1], s14, v9
	s_and_saveexec_b64 s[4:5], s[0:1]
	s_cbranch_execz .LBB3456_90
; %bb.89:
	v_mov_b32_e32 v3, s13
	v_add_co_u32_e64 v2, s[2:3], s7, v12
	v_addc_co_u32_e64 v3, s[2:3], 0, v3, s[2:3]
	flat_load_dwordx2 v[2:3], v[2:3] offset:2048
.LBB3456_90:
	s_or_b64 exec, exec, s[4:5]
	v_add_u32_e32 v11, 0x200, v10
	v_cmp_gt_u32_e64 s[2:3], s14, v11
	s_and_saveexec_b64 s[8:9], s[2:3]
	s_cbranch_execz .LBB3456_92
; %bb.91:
	v_lshlrev_b32_e32 v4, 3, v11
	v_mov_b32_e32 v5, s13
	v_add_co_u32_e64 v4, s[4:5], s7, v4
	v_addc_co_u32_e64 v5, s[4:5], 0, v5, s[4:5]
	flat_load_dwordx2 v[4:5], v[4:5]
.LBB3456_92:
	s_or_b64 exec, exec, s[8:9]
	v_add_u32_e32 v18, 0x300, v10
	v_cmp_gt_u32_e64 s[16:17], s14, v18
	s_and_saveexec_b64 s[8:9], s[16:17]
	s_cbranch_execz .LBB3456_94
; %bb.93:
	v_lshlrev_b32_e32 v6, 3, v18
	v_mov_b32_e32 v7, s13
	v_add_co_u32_e64 v6, s[4:5], s7, v6
	v_addc_co_u32_e64 v7, s[4:5], 0, v7, s[4:5]
	flat_load_dwordx2 v[6:7], v[6:7]
.LBB3456_94:
	s_or_b64 exec, exec, s[8:9]
	v_and_b32_e32 v8, 0xf8, v17
	v_add_u32_e32 v8, v8, v12
	s_waitcnt vmcnt(0) lgkmcnt(0)
	ds_write_b64 v8, v[0:1]
	v_lshrrev_b32_e32 v0, 2, v9
	v_and_b32_e32 v0, 0x1f8, v0
	v_add_u32_e32 v9, v0, v12
	v_lshrrev_b32_e32 v0, 2, v11
	v_and_b32_e32 v0, 0x1f8, v0
	v_add_u32_e32 v11, v0, v12
	;; [unrolled: 3-line block ×3, first 2 shown]
	v_add_lshl_u32 v16, v16, v13, 3
	ds_write_b64 v9, v[2:3] offset:2048
	ds_write_b64 v11, v[4:5] offset:4096
	;; [unrolled: 1-line block ×3, first 2 shown]
	s_waitcnt lgkmcnt(0)
	s_barrier
	ds_read2_b64 v[0:3], v16 offset1:1
	ds_read2_b64 v[4:7], v16 offset0:2 offset1:3
	s_waitcnt lgkmcnt(0)
	s_barrier
	s_load_dword s4, s[10:11], 0xc
	v_mov_b32_e32 v18, 0
	s_waitcnt lgkmcnt(0)
	s_lshr_b32 s8, s4, 16
	s_cmp_lt_u32 s6, s12
	s_cselect_b32 s4, 12, 18
	s_add_u32 s4, s10, s4
	s_addc_u32 s5, s11, 0
	global_load_ushort v19, v18, s[4:5]
	v_mad_u32_u24 v14, v15, s8, v14
	v_mbcnt_lo_u32_b32 v18, -1, 0
	v_mbcnt_hi_u32_b32 v18, -1, v18
	v_cmp_gt_u64_e64 s[4:5], v[0:1], v[2:3]
	v_cmp_gt_u64_e64 s[6:7], v[4:5], v[6:7]
	v_lshlrev_b32_e32 v20, 5, v18
	v_lshlrev_b32_e32 v18, 2, v18
	v_or_b32_e32 v21, 4, v18
	v_and_b32_e32 v22, 0x1f8, v18
	v_and_b32_e32 v23, 4, v18
	s_waitcnt vmcnt(0)
	v_mul_lo_u32 v14, v14, v19
	v_add_lshl_u32 v14, v14, v10, 2
	v_sub_u32_e64 v15, s14, v14 clamp
	v_cmp_lt_u32_e64 s[8:9], 1, v15
	v_cmp_lt_u32_e64 s[10:11], 3, v15
	v_and_b32_e32 v14, 0xffffff00, v14
	s_and_b64 s[4:5], s[8:9], s[4:5]
	s_and_b64 s[6:7], s[10:11], s[6:7]
	v_cmp_lt_u32_e64 s[12:13], 2, v15
	v_sub_u32_e64 v15, s14, v14 clamp
	v_lshlrev_b32_e32 v14, 3, v14
	v_cndmask_b32_e64 v29, v1, v3, s[4:5]
	v_cndmask_b32_e64 v28, v0, v2, s[4:5]
	;; [unrolled: 1-line block ×6, first 2 shown]
	v_add_u32_e32 v19, v14, v20
	v_min_u32_e32 v20, v15, v21
	v_cmp_gt_u64_e64 s[4:5], v[0:1], v[2:3]
	v_cndmask_b32_e64 v31, v7, v5, s[6:7]
	v_min_u32_e32 v25, v15, v23
	v_cndmask_b32_e64 v30, v6, v4, s[6:7]
	v_add_u32_e32 v4, 4, v20
	v_sub_u32_e32 v5, v20, v22
	s_and_b64 s[4:5], s[12:13], s[4:5]
	v_min_u32_e32 v21, v15, v4
	v_min_u32_e32 v26, v25, v5
	v_cndmask_b32_e64 v5, v3, v1, s[4:5]
	v_cndmask_b32_e64 v4, v2, v0, s[4:5]
	;; [unrolled: 1-line block ×4, first 2 shown]
	v_cmp_gt_u64_e64 s[4:5], v[28:29], v[2:3]
	v_cmp_gt_u64_e64 s[6:7], v[4:5], v[30:31]
	v_sub_u32_e32 v6, v21, v20
	s_and_b64 s[4:5], s[8:9], s[4:5]
	s_and_b64 s[6:7], s[10:11], s[6:7]
	v_sub_u32_e64 v24, v25, v6 clamp
	v_cndmask_b32_e64 v1, v29, v3, s[4:5]
	v_cndmask_b32_e64 v7, v31, v5, s[6:7]
	v_cndmask_b32_e64 v0, v28, v2, s[4:5]
	v_cndmask_b32_e64 v29, v3, v29, s[4:5]
	v_cndmask_b32_e64 v28, v2, v28, s[4:5]
	v_cndmask_b32_e64 v6, v30, v4, s[6:7]
	v_cndmask_b32_e64 v5, v5, v31, s[6:7]
	v_cndmask_b32_e64 v4, v4, v30, s[6:7]
	v_cmp_gt_u64_e64 s[4:5], v[28:29], v[4:5]
	s_and_b64 s[4:5], s[12:13], s[4:5]
	v_lshl_add_u32 v23, v22, 3, v14
	v_cndmask_b32_e64 v3, v29, v5, s[4:5]
	v_cndmask_b32_e64 v2, v28, v4, s[4:5]
	;; [unrolled: 1-line block ×4, first 2 shown]
	v_cmp_lt_u32_e64 s[4:5], v24, v26
	ds_write_b128 v19, v[0:3]
	ds_write_b128 v19, v[4:7] offset:16
	; wave barrier
	s_and_saveexec_b64 s[6:7], s[4:5]
	s_cbranch_execz .LBB3456_98
; %bb.95:
	v_lshlrev_b32_e32 v27, 3, v20
	v_lshlrev_b32_e32 v28, 3, v25
	v_add3_u32 v27, v14, v27, v28
	s_mov_b64 s[8:9], 0
.LBB3456_96:                            ; =>This Inner Loop Header: Depth=1
	v_add_u32_e32 v28, v26, v24
	v_lshrrev_b32_e32 v32, 1, v28
	v_not_b32_e32 v28, v32
	v_lshl_add_u32 v29, v32, 3, v23
	v_lshl_add_u32 v30, v28, 3, v27
	ds_read_b64 v[28:29], v29
	ds_read_b64 v[30:31], v30
	v_add_u32_e32 v33, 1, v32
	s_waitcnt lgkmcnt(0)
	v_cmp_gt_u64_e64 s[4:5], v[28:29], v[30:31]
	v_cndmask_b32_e64 v26, v26, v32, s[4:5]
	v_cndmask_b32_e64 v24, v33, v24, s[4:5]
	v_cmp_ge_u32_e64 s[4:5], v24, v26
	s_or_b64 s[8:9], s[4:5], s[8:9]
	s_andn2_b64 exec, exec, s[8:9]
	s_cbranch_execnz .LBB3456_96
; %bb.97:
	s_or_b64 exec, exec, s[8:9]
.LBB3456_98:
	s_or_b64 exec, exec, s[6:7]
	v_add_u32_e32 v25, v20, v25
	v_add_u32_e32 v22, v24, v22
	v_sub_u32_e32 v25, v25, v24
	v_cmp_le_u32_e64 s[4:5], v22, v20
	v_cmp_le_u32_e64 s[6:7], v25, v21
	s_or_b64 s[4:5], s[4:5], s[6:7]
	s_and_saveexec_b64 s[12:13], s[4:5]
	s_cbranch_execz .LBB3456_104
; %bb.99:
	v_cmp_lt_u32_e64 s[4:5], v22, v20
                                        ; implicit-def: $vgpr0_vgpr1
	s_and_saveexec_b64 s[6:7], s[4:5]
	s_cbranch_execz .LBB3456_101
; %bb.100:
	v_lshl_add_u32 v0, v24, 3, v23
	ds_read_b64 v[0:1], v0
.LBB3456_101:
	s_or_b64 exec, exec, s[6:7]
	v_cmp_ge_u32_e64 s[6:7], v25, v21
	v_cmp_lt_u32_e64 s[8:9], v25, v21
                                        ; implicit-def: $vgpr2_vgpr3
	s_and_saveexec_b64 s[10:11], s[8:9]
	s_cbranch_execz .LBB3456_103
; %bb.102:
	v_lshl_add_u32 v2, v25, 3, v14
	ds_read_b64 v[2:3], v2
.LBB3456_103:
	s_or_b64 exec, exec, s[10:11]
	s_waitcnt lgkmcnt(0)
	v_cmp_le_u64_e64 s[8:9], v[0:1], v[2:3]
	s_and_b64 s[4:5], s[4:5], s[8:9]
	s_or_b64 s[4:5], s[6:7], s[4:5]
	v_cndmask_b32_e64 v4, v25, v22, s[4:5]
	v_cndmask_b32_e64 v5, v21, v20, s[4:5]
	v_add_u32_e32 v23, 1, v4
	v_add_u32_e32 v4, -1, v5
	v_min_u32_e32 v4, v23, v4
	v_lshl_add_u32 v4, v4, 3, v14
	ds_read_b64 v[4:5], v4
	v_cndmask_b32_e64 v27, v22, v23, s[4:5]
	v_cndmask_b32_e64 v26, v23, v25, s[4:5]
	v_cmp_lt_u32_e64 s[8:9], v27, v20
	v_cmp_ge_u32_e64 s[6:7], v26, v21
	s_waitcnt lgkmcnt(0)
	v_cndmask_b32_e64 v7, v5, v3, s[4:5]
	v_cndmask_b32_e64 v6, v4, v2, s[4:5]
	;; [unrolled: 1-line block ×4, first 2 shown]
	v_cmp_le_u64_e64 s[10:11], v[4:5], v[6:7]
	s_and_b64 s[8:9], s[8:9], s[10:11]
	s_or_b64 s[6:7], s[6:7], s[8:9]
	v_cndmask_b32_e64 v22, v26, v27, s[6:7]
	v_cndmask_b32_e64 v23, v21, v20, s[6:7]
	v_add_u32_e32 v28, 1, v22
	v_add_u32_e32 v22, -1, v23
	v_min_u32_e32 v22, v28, v22
	v_lshl_add_u32 v22, v22, 3, v14
	ds_read_b64 v[22:23], v22
	v_cndmask_b32_e64 v29, v28, v26, s[6:7]
	v_cndmask_b32_e64 v28, v27, v28, s[6:7]
	v_cmp_lt_u32_e64 s[8:9], v28, v20
	v_cndmask_b32_e64 v1, v3, v1, s[4:5]
	s_waitcnt lgkmcnt(0)
	v_cndmask_b32_e64 v25, v23, v7, s[6:7]
	v_cndmask_b32_e64 v24, v22, v6, s[6:7]
	;; [unrolled: 1-line block ×4, first 2 shown]
	v_cmp_le_u64_e64 s[10:11], v[22:23], v[24:25]
	v_cndmask_b32_e64 v0, v2, v0, s[4:5]
	v_cmp_ge_u32_e64 s[4:5], v29, v21
	s_and_b64 s[8:9], s[8:9], s[10:11]
	s_or_b64 s[4:5], s[4:5], s[8:9]
	v_cndmask_b32_e64 v2, v29, v28, s[4:5]
	v_cndmask_b32_e64 v3, v21, v20, s[4:5]
	v_add_u32_e32 v30, 1, v2
	v_add_u32_e32 v2, -1, v3
	v_min_u32_e32 v2, v30, v2
	v_lshl_add_u32 v2, v2, 3, v14
	ds_read_b64 v[26:27], v2
	v_cndmask_b32_e64 v3, v7, v5, s[6:7]
	v_cndmask_b32_e64 v2, v6, v4, s[6:7]
	;; [unrolled: 1-line block ×4, first 2 shown]
	s_waitcnt lgkmcnt(0)
	v_cndmask_b32_e64 v7, v23, v27, s[4:5]
	v_cndmask_b32_e64 v6, v22, v26, s[4:5]
	;; [unrolled: 1-line block ×6, first 2 shown]
	v_cmp_lt_u32_e64 s[4:5], v24, v20
	v_cmp_lt_u64_e64 s[6:7], v[6:7], v[22:23]
	s_and_b64 s[4:5], s[4:5], s[6:7]
	v_cndmask_b32_e64 v20, v22, v6, s[4:5]
	v_cndmask_b32_e64 v22, v23, v7, s[4:5]
	v_cmp_lt_u32_e64 s[4:5], v29, v21
	v_cndmask_b32_e64 v7, v7, v22, s[4:5]
	v_cndmask_b32_e64 v6, v6, v20, s[4:5]
.LBB3456_104:
	s_or_b64 exec, exec, s[12:13]
	v_and_b32_e32 v24, 0x1f0, v18
	v_or_b32_e32 v20, 8, v24
	v_min_u32_e32 v21, v15, v20
	v_add_u32_e32 v20, 8, v21
	v_min_u32_e32 v20, v15, v20
	v_and_b32_e32 v22, 12, v18
	v_min_u32_e32 v25, v15, v22
	v_sub_u32_e32 v26, v21, v24
	v_sub_u32_e32 v23, v20, v21
	v_sub_u32_e64 v23, v25, v23 clamp
	v_min_u32_e32 v26, v25, v26
	v_lshl_add_u32 v22, v24, 3, v14
	v_cmp_lt_u32_e64 s[4:5], v23, v26
	; wave barrier
	ds_write_b128 v19, v[0:3]
	ds_write_b128 v19, v[4:7] offset:16
	; wave barrier
	s_and_saveexec_b64 s[6:7], s[4:5]
	s_cbranch_execz .LBB3456_108
; %bb.105:
	v_lshlrev_b32_e32 v27, 3, v21
	v_lshlrev_b32_e32 v28, 3, v25
	v_add3_u32 v27, v14, v27, v28
	s_mov_b64 s[8:9], 0
.LBB3456_106:                           ; =>This Inner Loop Header: Depth=1
	v_add_u32_e32 v28, v26, v23
	v_lshrrev_b32_e32 v32, 1, v28
	v_not_b32_e32 v28, v32
	v_lshl_add_u32 v29, v32, 3, v22
	v_lshl_add_u32 v30, v28, 3, v27
	ds_read_b64 v[28:29], v29
	ds_read_b64 v[30:31], v30
	v_add_u32_e32 v33, 1, v32
	s_waitcnt lgkmcnt(0)
	v_cmp_gt_u64_e64 s[4:5], v[28:29], v[30:31]
	v_cndmask_b32_e64 v26, v26, v32, s[4:5]
	v_cndmask_b32_e64 v23, v33, v23, s[4:5]
	v_cmp_ge_u32_e64 s[4:5], v23, v26
	s_or_b64 s[8:9], s[4:5], s[8:9]
	s_andn2_b64 exec, exec, s[8:9]
	s_cbranch_execnz .LBB3456_106
; %bb.107:
	s_or_b64 exec, exec, s[8:9]
.LBB3456_108:
	s_or_b64 exec, exec, s[6:7]
	v_add_u32_e32 v25, v21, v25
	v_add_u32_e32 v24, v23, v24
	v_sub_u32_e32 v25, v25, v23
	v_cmp_le_u32_e64 s[4:5], v24, v21
	v_cmp_le_u32_e64 s[6:7], v25, v20
	s_or_b64 s[4:5], s[4:5], s[6:7]
	s_and_saveexec_b64 s[12:13], s[4:5]
	s_cbranch_execz .LBB3456_114
; %bb.109:
	v_cmp_lt_u32_e64 s[4:5], v24, v21
                                        ; implicit-def: $vgpr0_vgpr1
	s_and_saveexec_b64 s[6:7], s[4:5]
	s_cbranch_execz .LBB3456_111
; %bb.110:
	v_lshl_add_u32 v0, v23, 3, v22
	ds_read_b64 v[0:1], v0
.LBB3456_111:
	s_or_b64 exec, exec, s[6:7]
	v_cmp_ge_u32_e64 s[6:7], v25, v20
	v_cmp_lt_u32_e64 s[8:9], v25, v20
                                        ; implicit-def: $vgpr2_vgpr3
	s_and_saveexec_b64 s[10:11], s[8:9]
	s_cbranch_execz .LBB3456_113
; %bb.112:
	v_lshl_add_u32 v2, v25, 3, v14
	ds_read_b64 v[2:3], v2
.LBB3456_113:
	s_or_b64 exec, exec, s[10:11]
	s_waitcnt lgkmcnt(0)
	v_cmp_le_u64_e64 s[8:9], v[0:1], v[2:3]
	s_and_b64 s[4:5], s[4:5], s[8:9]
	s_or_b64 s[4:5], s[6:7], s[4:5]
	v_cndmask_b32_e64 v4, v25, v24, s[4:5]
	v_cndmask_b32_e64 v5, v20, v21, s[4:5]
	v_add_u32_e32 v22, 1, v4
	v_add_u32_e32 v4, -1, v5
	v_min_u32_e32 v4, v22, v4
	v_lshl_add_u32 v4, v4, 3, v14
	ds_read_b64 v[4:5], v4
	v_cndmask_b32_e64 v27, v24, v22, s[4:5]
	v_cndmask_b32_e64 v26, v22, v25, s[4:5]
	v_cmp_lt_u32_e64 s[8:9], v27, v21
	v_cmp_ge_u32_e64 s[6:7], v26, v20
	s_waitcnt lgkmcnt(0)
	v_cndmask_b32_e64 v7, v5, v3, s[4:5]
	v_cndmask_b32_e64 v6, v4, v2, s[4:5]
	;; [unrolled: 1-line block ×4, first 2 shown]
	v_cmp_le_u64_e64 s[10:11], v[4:5], v[6:7]
	s_and_b64 s[8:9], s[8:9], s[10:11]
	s_or_b64 s[6:7], s[6:7], s[8:9]
	v_cndmask_b32_e64 v22, v26, v27, s[6:7]
	v_cndmask_b32_e64 v23, v20, v21, s[6:7]
	v_add_u32_e32 v28, 1, v22
	v_add_u32_e32 v22, -1, v23
	v_min_u32_e32 v22, v28, v22
	v_lshl_add_u32 v22, v22, 3, v14
	ds_read_b64 v[22:23], v22
	v_cndmask_b32_e64 v29, v28, v26, s[6:7]
	v_cndmask_b32_e64 v28, v27, v28, s[6:7]
	v_cmp_lt_u32_e64 s[8:9], v28, v21
	v_cndmask_b32_e64 v1, v3, v1, s[4:5]
	s_waitcnt lgkmcnt(0)
	v_cndmask_b32_e64 v25, v23, v7, s[6:7]
	v_cndmask_b32_e64 v24, v22, v6, s[6:7]
	;; [unrolled: 1-line block ×4, first 2 shown]
	v_cmp_le_u64_e64 s[10:11], v[22:23], v[24:25]
	v_cndmask_b32_e64 v0, v2, v0, s[4:5]
	v_cmp_ge_u32_e64 s[4:5], v29, v20
	s_and_b64 s[8:9], s[8:9], s[10:11]
	s_or_b64 s[4:5], s[4:5], s[8:9]
	v_cndmask_b32_e64 v2, v29, v28, s[4:5]
	v_cndmask_b32_e64 v3, v20, v21, s[4:5]
	v_add_u32_e32 v30, 1, v2
	v_add_u32_e32 v2, -1, v3
	v_min_u32_e32 v2, v30, v2
	v_lshl_add_u32 v2, v2, 3, v14
	ds_read_b64 v[26:27], v2
	v_cndmask_b32_e64 v3, v7, v5, s[6:7]
	v_cndmask_b32_e64 v2, v6, v4, s[6:7]
	;; [unrolled: 1-line block ×4, first 2 shown]
	s_waitcnt lgkmcnt(0)
	v_cndmask_b32_e64 v7, v23, v27, s[4:5]
	v_cndmask_b32_e64 v6, v22, v26, s[4:5]
	;; [unrolled: 1-line block ×6, first 2 shown]
	v_cmp_lt_u32_e64 s[4:5], v24, v21
	v_cmp_lt_u64_e64 s[6:7], v[6:7], v[22:23]
	s_and_b64 s[4:5], s[4:5], s[6:7]
	v_cndmask_b32_e64 v21, v22, v6, s[4:5]
	v_cndmask_b32_e64 v22, v23, v7, s[4:5]
	v_cmp_lt_u32_e64 s[4:5], v29, v20
	v_cndmask_b32_e64 v7, v7, v22, s[4:5]
	v_cndmask_b32_e64 v6, v6, v21, s[4:5]
.LBB3456_114:
	s_or_b64 exec, exec, s[12:13]
	v_and_b32_e32 v24, 0x1e0, v18
	v_or_b32_e32 v20, 16, v24
	v_min_u32_e32 v21, v15, v20
	v_add_u32_e32 v20, 16, v21
	v_min_u32_e32 v20, v15, v20
	v_and_b32_e32 v22, 28, v18
	v_min_u32_e32 v25, v15, v22
	v_sub_u32_e32 v26, v21, v24
	v_sub_u32_e32 v23, v20, v21
	v_sub_u32_e64 v23, v25, v23 clamp
	v_min_u32_e32 v26, v25, v26
	v_lshl_add_u32 v22, v24, 3, v14
	v_cmp_lt_u32_e64 s[4:5], v23, v26
	; wave barrier
	ds_write_b128 v19, v[0:3]
	ds_write_b128 v19, v[4:7] offset:16
	; wave barrier
	s_and_saveexec_b64 s[6:7], s[4:5]
	s_cbranch_execz .LBB3456_118
; %bb.115:
	v_lshlrev_b32_e32 v27, 3, v21
	v_lshlrev_b32_e32 v28, 3, v25
	v_add3_u32 v27, v14, v27, v28
	s_mov_b64 s[8:9], 0
.LBB3456_116:                           ; =>This Inner Loop Header: Depth=1
	v_add_u32_e32 v28, v26, v23
	v_lshrrev_b32_e32 v32, 1, v28
	v_not_b32_e32 v28, v32
	v_lshl_add_u32 v29, v32, 3, v22
	v_lshl_add_u32 v30, v28, 3, v27
	ds_read_b64 v[28:29], v29
	ds_read_b64 v[30:31], v30
	v_add_u32_e32 v33, 1, v32
	s_waitcnt lgkmcnt(0)
	v_cmp_gt_u64_e64 s[4:5], v[28:29], v[30:31]
	v_cndmask_b32_e64 v26, v26, v32, s[4:5]
	v_cndmask_b32_e64 v23, v33, v23, s[4:5]
	v_cmp_ge_u32_e64 s[4:5], v23, v26
	s_or_b64 s[8:9], s[4:5], s[8:9]
	s_andn2_b64 exec, exec, s[8:9]
	s_cbranch_execnz .LBB3456_116
; %bb.117:
	s_or_b64 exec, exec, s[8:9]
.LBB3456_118:
	s_or_b64 exec, exec, s[6:7]
	v_add_u32_e32 v25, v21, v25
	v_add_u32_e32 v24, v23, v24
	v_sub_u32_e32 v25, v25, v23
	v_cmp_le_u32_e64 s[4:5], v24, v21
	v_cmp_le_u32_e64 s[6:7], v25, v20
	s_or_b64 s[4:5], s[4:5], s[6:7]
	s_and_saveexec_b64 s[12:13], s[4:5]
	s_cbranch_execz .LBB3456_124
; %bb.119:
	v_cmp_lt_u32_e64 s[4:5], v24, v21
                                        ; implicit-def: $vgpr0_vgpr1
	s_and_saveexec_b64 s[6:7], s[4:5]
	s_cbranch_execz .LBB3456_121
; %bb.120:
	v_lshl_add_u32 v0, v23, 3, v22
	ds_read_b64 v[0:1], v0
.LBB3456_121:
	s_or_b64 exec, exec, s[6:7]
	v_cmp_ge_u32_e64 s[6:7], v25, v20
	v_cmp_lt_u32_e64 s[8:9], v25, v20
                                        ; implicit-def: $vgpr2_vgpr3
	s_and_saveexec_b64 s[10:11], s[8:9]
	s_cbranch_execz .LBB3456_123
; %bb.122:
	v_lshl_add_u32 v2, v25, 3, v14
	ds_read_b64 v[2:3], v2
.LBB3456_123:
	s_or_b64 exec, exec, s[10:11]
	s_waitcnt lgkmcnt(0)
	v_cmp_le_u64_e64 s[8:9], v[0:1], v[2:3]
	s_and_b64 s[4:5], s[4:5], s[8:9]
	s_or_b64 s[4:5], s[6:7], s[4:5]
	v_cndmask_b32_e64 v4, v25, v24, s[4:5]
	v_cndmask_b32_e64 v5, v20, v21, s[4:5]
	v_add_u32_e32 v22, 1, v4
	v_add_u32_e32 v4, -1, v5
	v_min_u32_e32 v4, v22, v4
	v_lshl_add_u32 v4, v4, 3, v14
	ds_read_b64 v[4:5], v4
	v_cndmask_b32_e64 v27, v24, v22, s[4:5]
	v_cndmask_b32_e64 v26, v22, v25, s[4:5]
	v_cmp_lt_u32_e64 s[8:9], v27, v21
	v_cmp_ge_u32_e64 s[6:7], v26, v20
	s_waitcnt lgkmcnt(0)
	v_cndmask_b32_e64 v7, v5, v3, s[4:5]
	v_cndmask_b32_e64 v6, v4, v2, s[4:5]
	;; [unrolled: 1-line block ×4, first 2 shown]
	v_cmp_le_u64_e64 s[10:11], v[4:5], v[6:7]
	s_and_b64 s[8:9], s[8:9], s[10:11]
	s_or_b64 s[6:7], s[6:7], s[8:9]
	v_cndmask_b32_e64 v22, v26, v27, s[6:7]
	v_cndmask_b32_e64 v23, v20, v21, s[6:7]
	v_add_u32_e32 v28, 1, v22
	v_add_u32_e32 v22, -1, v23
	v_min_u32_e32 v22, v28, v22
	v_lshl_add_u32 v22, v22, 3, v14
	ds_read_b64 v[22:23], v22
	v_cndmask_b32_e64 v29, v28, v26, s[6:7]
	v_cndmask_b32_e64 v28, v27, v28, s[6:7]
	v_cmp_lt_u32_e64 s[8:9], v28, v21
	v_cndmask_b32_e64 v1, v3, v1, s[4:5]
	s_waitcnt lgkmcnt(0)
	v_cndmask_b32_e64 v25, v23, v7, s[6:7]
	v_cndmask_b32_e64 v24, v22, v6, s[6:7]
	;; [unrolled: 1-line block ×4, first 2 shown]
	v_cmp_le_u64_e64 s[10:11], v[22:23], v[24:25]
	v_cndmask_b32_e64 v0, v2, v0, s[4:5]
	v_cmp_ge_u32_e64 s[4:5], v29, v20
	s_and_b64 s[8:9], s[8:9], s[10:11]
	s_or_b64 s[4:5], s[4:5], s[8:9]
	v_cndmask_b32_e64 v2, v29, v28, s[4:5]
	v_cndmask_b32_e64 v3, v20, v21, s[4:5]
	v_add_u32_e32 v30, 1, v2
	v_add_u32_e32 v2, -1, v3
	v_min_u32_e32 v2, v30, v2
	v_lshl_add_u32 v2, v2, 3, v14
	ds_read_b64 v[26:27], v2
	v_cndmask_b32_e64 v3, v7, v5, s[6:7]
	v_cndmask_b32_e64 v2, v6, v4, s[6:7]
	;; [unrolled: 1-line block ×4, first 2 shown]
	s_waitcnt lgkmcnt(0)
	v_cndmask_b32_e64 v7, v23, v27, s[4:5]
	v_cndmask_b32_e64 v6, v22, v26, s[4:5]
	;; [unrolled: 1-line block ×6, first 2 shown]
	v_cmp_lt_u32_e64 s[4:5], v24, v21
	v_cmp_lt_u64_e64 s[6:7], v[6:7], v[22:23]
	s_and_b64 s[4:5], s[4:5], s[6:7]
	v_cndmask_b32_e64 v21, v22, v6, s[4:5]
	v_cndmask_b32_e64 v22, v23, v7, s[4:5]
	v_cmp_lt_u32_e64 s[4:5], v29, v20
	v_cndmask_b32_e64 v7, v7, v22, s[4:5]
	v_cndmask_b32_e64 v6, v6, v21, s[4:5]
.LBB3456_124:
	s_or_b64 exec, exec, s[12:13]
	v_and_b32_e32 v21, 0x1c0, v18
	; wave barrier
	ds_write_b128 v19, v[0:3]
	ds_write_b128 v19, v[4:7] offset:16
	v_or_b32_e32 v19, 32, v21
	v_min_u32_e32 v20, v15, v19
	v_add_u32_e32 v19, 32, v20
	v_min_u32_e32 v19, v15, v19
	v_and_b32_e32 v18, 60, v18
	v_min_u32_e32 v22, v15, v18
	v_sub_u32_e32 v23, v20, v21
	v_sub_u32_e32 v18, v19, v20
	v_sub_u32_e64 v18, v22, v18 clamp
	v_min_u32_e32 v23, v22, v23
	v_lshl_add_u32 v15, v21, 3, v14
	v_cmp_lt_u32_e64 s[4:5], v18, v23
	; wave barrier
	s_and_saveexec_b64 s[6:7], s[4:5]
	s_cbranch_execz .LBB3456_128
; %bb.125:
	v_lshlrev_b32_e32 v24, 3, v20
	v_lshlrev_b32_e32 v25, 3, v22
	v_add3_u32 v24, v14, v24, v25
	s_mov_b64 s[8:9], 0
.LBB3456_126:                           ; =>This Inner Loop Header: Depth=1
	v_add_u32_e32 v25, v23, v18
	v_lshrrev_b32_e32 v25, 1, v25
	v_not_b32_e32 v26, v25
	v_lshl_add_u32 v27, v25, 3, v15
	v_lshl_add_u32 v28, v26, 3, v24
	ds_read_b64 v[26:27], v27
	ds_read_b64 v[28:29], v28
	v_add_u32_e32 v30, 1, v25
	s_waitcnt lgkmcnt(0)
	v_cmp_gt_u64_e64 s[4:5], v[26:27], v[28:29]
	v_cndmask_b32_e64 v23, v23, v25, s[4:5]
	v_cndmask_b32_e64 v18, v30, v18, s[4:5]
	v_cmp_ge_u32_e64 s[4:5], v18, v23
	s_or_b64 s[8:9], s[4:5], s[8:9]
	s_andn2_b64 exec, exec, s[8:9]
	s_cbranch_execnz .LBB3456_126
; %bb.127:
	s_or_b64 exec, exec, s[8:9]
.LBB3456_128:
	s_or_b64 exec, exec, s[6:7]
	v_add_u32_e32 v22, v20, v22
	v_add_u32_e32 v21, v18, v21
	v_sub_u32_e32 v22, v22, v18
	v_cmp_le_u32_e64 s[4:5], v21, v20
	v_cmp_le_u32_e64 s[6:7], v22, v19
	s_or_b64 s[4:5], s[4:5], s[6:7]
	s_and_saveexec_b64 s[12:13], s[4:5]
	s_cbranch_execz .LBB3456_134
; %bb.129:
	v_cmp_lt_u32_e64 s[4:5], v21, v20
                                        ; implicit-def: $vgpr0_vgpr1
	s_and_saveexec_b64 s[6:7], s[4:5]
	s_cbranch_execz .LBB3456_131
; %bb.130:
	v_lshl_add_u32 v0, v18, 3, v15
	ds_read_b64 v[0:1], v0
.LBB3456_131:
	s_or_b64 exec, exec, s[6:7]
	v_cmp_ge_u32_e64 s[6:7], v22, v19
	v_cmp_lt_u32_e64 s[8:9], v22, v19
                                        ; implicit-def: $vgpr2_vgpr3
	s_and_saveexec_b64 s[10:11], s[8:9]
	s_cbranch_execz .LBB3456_133
; %bb.132:
	v_lshl_add_u32 v2, v22, 3, v14
	ds_read_b64 v[2:3], v2
.LBB3456_133:
	s_or_b64 exec, exec, s[10:11]
	s_waitcnt lgkmcnt(0)
	v_cmp_le_u64_e64 s[8:9], v[0:1], v[2:3]
	s_and_b64 s[4:5], s[4:5], s[8:9]
	s_or_b64 s[4:5], s[6:7], s[4:5]
	v_cndmask_b32_e64 v4, v22, v21, s[4:5]
	v_cndmask_b32_e64 v5, v19, v20, s[4:5]
	v_add_u32_e32 v15, 1, v4
	v_add_u32_e32 v4, -1, v5
	v_min_u32_e32 v4, v15, v4
	v_lshl_add_u32 v4, v4, 3, v14
	ds_read_b64 v[4:5], v4
	v_cndmask_b32_e64 v18, v15, v22, s[4:5]
	v_cndmask_b32_e64 v15, v21, v15, s[4:5]
	v_cmp_lt_u32_e64 s[8:9], v15, v20
	v_cmp_ge_u32_e64 s[6:7], v18, v19
	s_waitcnt lgkmcnt(0)
	v_cndmask_b32_e64 v7, v5, v3, s[4:5]
	v_cndmask_b32_e64 v6, v4, v2, s[4:5]
	v_cndmask_b32_e64 v5, v1, v5, s[4:5]
	v_cndmask_b32_e64 v4, v0, v4, s[4:5]
	v_cmp_le_u64_e64 s[10:11], v[4:5], v[6:7]
	s_and_b64 s[8:9], s[8:9], s[10:11]
	s_or_b64 s[6:7], s[6:7], s[8:9]
	v_cndmask_b32_e64 v21, v18, v15, s[6:7]
	v_cndmask_b32_e64 v22, v19, v20, s[6:7]
	v_add_u32_e32 v21, 1, v21
	v_add_u32_e32 v22, -1, v22
	v_min_u32_e32 v22, v21, v22
	v_lshl_add_u32 v22, v22, 3, v14
	ds_read_b64 v[22:23], v22
	v_cndmask_b32_e64 v18, v21, v18, s[6:7]
	v_cndmask_b32_e64 v21, v15, v21, s[6:7]
	v_cmp_lt_u32_e64 s[8:9], v21, v20
	v_cndmask_b32_e64 v1, v3, v1, s[4:5]
	s_waitcnt lgkmcnt(0)
	v_cndmask_b32_e64 v25, v23, v7, s[6:7]
	v_cndmask_b32_e64 v24, v22, v6, s[6:7]
	;; [unrolled: 1-line block ×4, first 2 shown]
	v_cmp_le_u64_e64 s[10:11], v[22:23], v[24:25]
	v_cndmask_b32_e64 v0, v2, v0, s[4:5]
	v_cmp_ge_u32_e64 s[4:5], v18, v19
	s_and_b64 s[8:9], s[8:9], s[10:11]
	s_or_b64 s[4:5], s[4:5], s[8:9]
	v_cndmask_b32_e64 v2, v18, v21, s[4:5]
	v_cndmask_b32_e64 v3, v19, v20, s[4:5]
	v_add_u32_e32 v26, 1, v2
	v_add_u32_e32 v2, -1, v3
	v_min_u32_e32 v2, v26, v2
	v_lshl_add_u32 v2, v2, 3, v14
	ds_read_b64 v[14:15], v2
	v_cndmask_b32_e64 v3, v7, v5, s[6:7]
	v_cndmask_b32_e64 v2, v6, v4, s[6:7]
	v_cndmask_b32_e64 v21, v21, v26, s[4:5]
	v_cndmask_b32_e64 v5, v25, v23, s[4:5]
	s_waitcnt lgkmcnt(0)
	v_cndmask_b32_e64 v7, v23, v15, s[4:5]
	v_cndmask_b32_e64 v6, v22, v14, s[4:5]
	v_cndmask_b32_e64 v15, v15, v25, s[4:5]
	v_cndmask_b32_e64 v14, v14, v24, s[4:5]
	v_cndmask_b32_e64 v4, v24, v22, s[4:5]
	v_cndmask_b32_e64 v18, v26, v18, s[4:5]
	v_cmp_lt_u32_e64 s[4:5], v21, v20
	v_cmp_lt_u64_e64 s[6:7], v[6:7], v[14:15]
	s_and_b64 s[4:5], s[4:5], s[6:7]
	v_cndmask_b32_e64 v14, v14, v6, s[4:5]
	v_cndmask_b32_e64 v15, v15, v7, s[4:5]
	v_cmp_lt_u32_e64 s[4:5], v18, v19
	v_cndmask_b32_e64 v7, v7, v15, s[4:5]
	v_cndmask_b32_e64 v6, v6, v14, s[4:5]
.LBB3456_134:
	s_or_b64 exec, exec, s[12:13]
	s_cmpk_lt_u32 s14, 0x41
	; wave barrier
	s_waitcnt lgkmcnt(0)
	s_barrier
	s_cbranch_scc1 .LBB3456_147
; %bb.135:
	v_lshlrev_b32_e32 v14, 5, v10
	s_mov_b32 s19, 64
	s_branch .LBB3456_138
.LBB3456_136:                           ;   in Loop: Header=BB3456_138 Depth=1
	s_or_b64 exec, exec, s[10:11]
	s_waitcnt lgkmcnt(0)
	v_cmp_le_u64_e64 s[8:9], v[0:1], v[2:3]
	s_and_b64 s[4:5], s[4:5], s[8:9]
	s_or_b64 s[4:5], s[6:7], s[4:5]
	v_cndmask_b32_e64 v4, v22, v21, s[4:5]
	v_cndmask_b32_e64 v5, v15, v18, s[4:5]
	v_add_u32_e32 v19, 1, v4
	v_add_u32_e32 v4, -1, v5
	v_min_u32_e32 v4, v19, v4
	v_lshlrev_b32_e32 v4, 3, v4
	ds_read_b64 v[4:5], v4
	v_cndmask_b32_e64 v24, v19, v22, s[4:5]
	v_cndmask_b32_e64 v19, v21, v19, s[4:5]
	v_cmp_lt_u32_e64 s[8:9], v19, v18
	v_cmp_ge_u32_e64 s[6:7], v24, v15
	s_waitcnt lgkmcnt(0)
	v_cndmask_b32_e64 v7, v5, v3, s[4:5]
	v_cndmask_b32_e64 v6, v4, v2, s[4:5]
	v_cndmask_b32_e64 v5, v1, v5, s[4:5]
	v_cndmask_b32_e64 v4, v0, v4, s[4:5]
	v_cmp_le_u64_e64 s[10:11], v[4:5], v[6:7]
	s_and_b64 s[8:9], s[8:9], s[10:11]
	s_or_b64 s[6:7], s[6:7], s[8:9]
	v_cndmask_b32_e64 v20, v24, v19, s[6:7]
	v_cndmask_b32_e64 v21, v15, v18, s[6:7]
	v_add_u32_e32 v25, 1, v20
	v_add_u32_e32 v20, -1, v21
	v_min_u32_e32 v20, v25, v20
	v_lshlrev_b32_e32 v20, 3, v20
	ds_read_b64 v[20:21], v20
	v_cndmask_b32_e64 v19, v19, v25, s[6:7]
	v_cndmask_b32_e64 v26, v25, v24, s[6:7]
	v_cmp_lt_u32_e64 s[8:9], v19, v18
	v_cndmask_b32_e64 v1, v3, v1, s[4:5]
	s_waitcnt lgkmcnt(0)
	v_cndmask_b32_e64 v23, v21, v7, s[6:7]
	v_cndmask_b32_e64 v22, v20, v6, s[6:7]
	;; [unrolled: 1-line block ×4, first 2 shown]
	v_cmp_le_u64_e64 s[10:11], v[20:21], v[22:23]
	v_cndmask_b32_e64 v0, v2, v0, s[4:5]
	v_cmp_ge_u32_e64 s[4:5], v26, v15
	s_and_b64 s[8:9], s[8:9], s[10:11]
	s_or_b64 s[4:5], s[4:5], s[8:9]
	v_cndmask_b32_e64 v2, v26, v19, s[4:5]
	v_cndmask_b32_e64 v3, v15, v18, s[4:5]
	v_add_u32_e32 v27, 1, v2
	v_add_u32_e32 v2, -1, v3
	v_min_u32_e32 v2, v27, v2
	v_lshlrev_b32_e32 v2, 3, v2
	ds_read_b64 v[24:25], v2
	v_cndmask_b32_e64 v3, v7, v5, s[6:7]
	v_cndmask_b32_e64 v2, v6, v4, s[6:7]
	;; [unrolled: 1-line block ×4, first 2 shown]
	s_waitcnt lgkmcnt(0)
	v_cndmask_b32_e64 v7, v21, v25, s[4:5]
	v_cndmask_b32_e64 v6, v20, v24, s[4:5]
	;; [unrolled: 1-line block ×6, first 2 shown]
	v_cmp_lt_u32_e64 s[4:5], v19, v18
	v_cmp_lt_u64_e64 s[6:7], v[6:7], v[20:21]
	s_and_b64 s[4:5], s[4:5], s[6:7]
	v_cndmask_b32_e64 v18, v20, v6, s[4:5]
	v_cndmask_b32_e64 v19, v21, v7, s[4:5]
	v_cmp_lt_u32_e64 s[4:5], v26, v15
	v_cndmask_b32_e64 v7, v7, v19, s[4:5]
	v_cndmask_b32_e64 v6, v6, v18, s[4:5]
.LBB3456_137:                           ;   in Loop: Header=BB3456_138 Depth=1
	s_or_b64 exec, exec, s[12:13]
	s_cmp_lt_u32 s19, s14
	s_barrier
	s_cbranch_scc0 .LBB3456_147
.LBB3456_138:                           ; =>This Loop Header: Depth=1
                                        ;     Child Loop BB3456_140 Depth 2
	s_mov_b32 s4, s19
	s_lshl_b32 s19, s19, 1
	s_sub_i32 s6, 0, s19
	v_and_b32_e32 v21, s6, v13
	v_add_u32_e32 v15, s4, v21
	v_min_u32_e32 v18, s14, v15
	s_add_i32 s5, s19, -1
	v_add_u32_e32 v15, s4, v18
	v_min_u32_e32 v15, s14, v15
	v_and_b32_e32 v19, s5, v13
	v_min_u32_e32 v22, s14, v19
	v_sub_u32_e32 v23, v18, v21
	v_sub_u32_e32 v20, v15, v18
	v_sub_u32_e64 v20, v22, v20 clamp
	v_min_u32_e32 v23, v22, v23
	v_lshlrev_b32_e32 v19, 3, v21
	v_cmp_lt_u32_e64 s[4:5], v20, v23
	ds_write_b128 v14, v[0:3]
	ds_write_b128 v14, v[4:7] offset:16
	s_waitcnt lgkmcnt(0)
	s_barrier
	s_and_saveexec_b64 s[6:7], s[4:5]
	s_cbranch_execz .LBB3456_142
; %bb.139:                              ;   in Loop: Header=BB3456_138 Depth=1
	v_lshlrev_b32_e32 v24, 3, v22
	v_lshl_add_u32 v24, v18, 3, v24
	s_mov_b64 s[8:9], 0
.LBB3456_140:                           ;   Parent Loop BB3456_138 Depth=1
                                        ; =>  This Inner Loop Header: Depth=2
	v_add_u32_e32 v25, v23, v20
	v_lshrrev_b32_e32 v25, 1, v25
	v_not_b32_e32 v26, v25
	v_lshl_add_u32 v27, v25, 3, v19
	v_lshl_add_u32 v28, v26, 3, v24
	ds_read_b64 v[26:27], v27
	ds_read_b64 v[28:29], v28
	v_add_u32_e32 v30, 1, v25
	s_waitcnt lgkmcnt(0)
	v_cmp_gt_u64_e64 s[4:5], v[26:27], v[28:29]
	v_cndmask_b32_e64 v23, v23, v25, s[4:5]
	v_cndmask_b32_e64 v20, v30, v20, s[4:5]
	v_cmp_ge_u32_e64 s[4:5], v20, v23
	s_or_b64 s[8:9], s[4:5], s[8:9]
	s_andn2_b64 exec, exec, s[8:9]
	s_cbranch_execnz .LBB3456_140
; %bb.141:                              ;   in Loop: Header=BB3456_138 Depth=1
	s_or_b64 exec, exec, s[8:9]
.LBB3456_142:                           ;   in Loop: Header=BB3456_138 Depth=1
	s_or_b64 exec, exec, s[6:7]
	v_sub_u32_e32 v22, v22, v20
	v_add_u32_e32 v21, v20, v21
	v_add_u32_e32 v22, v22, v18
	v_cmp_le_u32_e64 s[4:5], v21, v18
	v_cmp_le_u32_e64 s[6:7], v22, v15
	s_or_b64 s[4:5], s[4:5], s[6:7]
	s_and_saveexec_b64 s[12:13], s[4:5]
	s_cbranch_execz .LBB3456_137
; %bb.143:                              ;   in Loop: Header=BB3456_138 Depth=1
	v_cmp_lt_u32_e64 s[4:5], v21, v18
                                        ; implicit-def: $vgpr0_vgpr1
	s_and_saveexec_b64 s[6:7], s[4:5]
	s_cbranch_execz .LBB3456_145
; %bb.144:                              ;   in Loop: Header=BB3456_138 Depth=1
	v_lshl_add_u32 v0, v20, 3, v19
	ds_read_b64 v[0:1], v0
.LBB3456_145:                           ;   in Loop: Header=BB3456_138 Depth=1
	s_or_b64 exec, exec, s[6:7]
	v_cmp_ge_u32_e64 s[6:7], v22, v15
	v_cmp_lt_u32_e64 s[8:9], v22, v15
                                        ; implicit-def: $vgpr2_vgpr3
	s_and_saveexec_b64 s[10:11], s[8:9]
	s_cbranch_execz .LBB3456_136
; %bb.146:                              ;   in Loop: Header=BB3456_138 Depth=1
	v_lshlrev_b32_e32 v2, 3, v22
	ds_read_b64 v[2:3], v2
	s_branch .LBB3456_136
.LBB3456_147:
	s_barrier
	ds_write2_b64 v16, v[0:1], v[2:3] offset1:1
	ds_write2_b64 v16, v[4:5], v[6:7] offset0:2 offset1:3
	s_waitcnt lgkmcnt(0)
	s_barrier
	ds_read_b64 v[6:7], v9 offset:2048
	ds_read_b64 v[2:3], v11 offset:4096
	;; [unrolled: 1-line block ×3, first 2 shown]
	v_mov_b32_e32 v5, s18
	v_add_co_u32_e64 v4, s[4:5], s15, v12
	v_mov_b32_e32 v11, 0
	v_addc_co_u32_e64 v5, s[4:5], 0, v5, s[4:5]
	s_and_saveexec_b64 s[4:5], vcc
	s_cbranch_execnz .LBB3456_155
; %bb.148:
	s_or_b64 exec, exec, s[4:5]
	s_and_saveexec_b64 s[4:5], s[0:1]
	s_cbranch_execnz .LBB3456_156
.LBB3456_149:
	s_or_b64 exec, exec, s[4:5]
	s_and_saveexec_b64 s[0:1], s[2:3]
	s_cbranch_execz .LBB3456_151
.LBB3456_150:
	v_add_co_u32_e32 v4, vcc, 0x1000, v4
	v_addc_co_u32_e32 v5, vcc, 0, v5, vcc
	s_waitcnt lgkmcnt(0)
	flat_store_dwordx2 v[4:5], v[2:3]
.LBB3456_151:
	s_or_b64 exec, exec, s[0:1]
.LBB3456_152:
	s_and_saveexec_b64 s[0:1], s[16:17]
	s_cbranch_execz .LBB3456_154
; %bb.153:
	s_waitcnt lgkmcnt(0)
	v_lshlrev_b64 v[2:3], 3, v[10:11]
	v_mov_b32_e32 v4, s18
	v_add_co_u32_e32 v2, vcc, s15, v2
	v_addc_co_u32_e32 v3, vcc, v4, v3, vcc
	v_add_co_u32_e32 v2, vcc, 0x1000, v2
	v_addc_co_u32_e32 v3, vcc, 0, v3, vcc
	flat_store_dwordx2 v[2:3], v[0:1] offset:2048
.LBB3456_154:
	s_endpgm
.LBB3456_155:
	ds_read_b64 v[8:9], v8
	s_waitcnt lgkmcnt(0)
	flat_store_dwordx2 v[4:5], v[8:9]
	s_or_b64 exec, exec, s[4:5]
	s_and_saveexec_b64 s[4:5], s[0:1]
	s_cbranch_execz .LBB3456_149
.LBB3456_156:
	s_waitcnt lgkmcnt(0)
	flat_store_dwordx2 v[4:5], v[6:7] offset:2048
	s_or_b64 exec, exec, s[4:5]
	s_and_saveexec_b64 s[0:1], s[2:3]
	s_cbranch_execnz .LBB3456_150
	s_branch .LBB3456_151
	.section	.rodata,"a",@progbits
	.p2align	6, 0x0
	.amdhsa_kernel _ZN7rocprim17ROCPRIM_400000_NS6detail17trampoline_kernelINS0_14default_configENS1_37merge_sort_block_sort_config_selectorIyNS0_10empty_typeEEEZNS1_21merge_sort_block_sortIS3_N6thrust23THRUST_200600_302600_NS6detail15normal_iteratorINS9_10device_ptrIyEEEESE_PS5_SF_14custom_greaterIyEEE10hipError_tT0_T1_T2_T3_mRjT4_P12ihipStream_tbNS1_7vsmem_tEEUlT_E_NS1_11comp_targetILNS1_3genE4ELNS1_11target_archE910ELNS1_3gpuE8ELNS1_3repE0EEENS1_30default_config_static_selectorELNS0_4arch9wavefront6targetE1EEEvSK_
		.amdhsa_group_segment_fixed_size 8448
		.amdhsa_private_segment_fixed_size 0
		.amdhsa_kernarg_size 320
		.amdhsa_user_sgpr_count 6
		.amdhsa_user_sgpr_private_segment_buffer 1
		.amdhsa_user_sgpr_dispatch_ptr 0
		.amdhsa_user_sgpr_queue_ptr 0
		.amdhsa_user_sgpr_kernarg_segment_ptr 1
		.amdhsa_user_sgpr_dispatch_id 0
		.amdhsa_user_sgpr_flat_scratch_init 0
		.amdhsa_user_sgpr_kernarg_preload_length 0
		.amdhsa_user_sgpr_kernarg_preload_offset 0
		.amdhsa_user_sgpr_private_segment_size 0
		.amdhsa_uses_dynamic_stack 0
		.amdhsa_system_sgpr_private_segment_wavefront_offset 0
		.amdhsa_system_sgpr_workgroup_id_x 1
		.amdhsa_system_sgpr_workgroup_id_y 1
		.amdhsa_system_sgpr_workgroup_id_z 1
		.amdhsa_system_sgpr_workgroup_info 0
		.amdhsa_system_vgpr_workitem_id 2
		.amdhsa_next_free_vgpr 39
		.amdhsa_next_free_sgpr 21
		.amdhsa_accum_offset 40
		.amdhsa_reserve_vcc 1
		.amdhsa_reserve_flat_scratch 0
		.amdhsa_float_round_mode_32 0
		.amdhsa_float_round_mode_16_64 0
		.amdhsa_float_denorm_mode_32 3
		.amdhsa_float_denorm_mode_16_64 3
		.amdhsa_dx10_clamp 1
		.amdhsa_ieee_mode 1
		.amdhsa_fp16_overflow 0
		.amdhsa_tg_split 0
		.amdhsa_exception_fp_ieee_invalid_op 0
		.amdhsa_exception_fp_denorm_src 0
		.amdhsa_exception_fp_ieee_div_zero 0
		.amdhsa_exception_fp_ieee_overflow 0
		.amdhsa_exception_fp_ieee_underflow 0
		.amdhsa_exception_fp_ieee_inexact 0
		.amdhsa_exception_int_div_zero 0
	.end_amdhsa_kernel
	.section	.text._ZN7rocprim17ROCPRIM_400000_NS6detail17trampoline_kernelINS0_14default_configENS1_37merge_sort_block_sort_config_selectorIyNS0_10empty_typeEEEZNS1_21merge_sort_block_sortIS3_N6thrust23THRUST_200600_302600_NS6detail15normal_iteratorINS9_10device_ptrIyEEEESE_PS5_SF_14custom_greaterIyEEE10hipError_tT0_T1_T2_T3_mRjT4_P12ihipStream_tbNS1_7vsmem_tEEUlT_E_NS1_11comp_targetILNS1_3genE4ELNS1_11target_archE910ELNS1_3gpuE8ELNS1_3repE0EEENS1_30default_config_static_selectorELNS0_4arch9wavefront6targetE1EEEvSK_,"axG",@progbits,_ZN7rocprim17ROCPRIM_400000_NS6detail17trampoline_kernelINS0_14default_configENS1_37merge_sort_block_sort_config_selectorIyNS0_10empty_typeEEEZNS1_21merge_sort_block_sortIS3_N6thrust23THRUST_200600_302600_NS6detail15normal_iteratorINS9_10device_ptrIyEEEESE_PS5_SF_14custom_greaterIyEEE10hipError_tT0_T1_T2_T3_mRjT4_P12ihipStream_tbNS1_7vsmem_tEEUlT_E_NS1_11comp_targetILNS1_3genE4ELNS1_11target_archE910ELNS1_3gpuE8ELNS1_3repE0EEENS1_30default_config_static_selectorELNS0_4arch9wavefront6targetE1EEEvSK_,comdat
.Lfunc_end3456:
	.size	_ZN7rocprim17ROCPRIM_400000_NS6detail17trampoline_kernelINS0_14default_configENS1_37merge_sort_block_sort_config_selectorIyNS0_10empty_typeEEEZNS1_21merge_sort_block_sortIS3_N6thrust23THRUST_200600_302600_NS6detail15normal_iteratorINS9_10device_ptrIyEEEESE_PS5_SF_14custom_greaterIyEEE10hipError_tT0_T1_T2_T3_mRjT4_P12ihipStream_tbNS1_7vsmem_tEEUlT_E_NS1_11comp_targetILNS1_3genE4ELNS1_11target_archE910ELNS1_3gpuE8ELNS1_3repE0EEENS1_30default_config_static_selectorELNS0_4arch9wavefront6targetE1EEEvSK_, .Lfunc_end3456-_ZN7rocprim17ROCPRIM_400000_NS6detail17trampoline_kernelINS0_14default_configENS1_37merge_sort_block_sort_config_selectorIyNS0_10empty_typeEEEZNS1_21merge_sort_block_sortIS3_N6thrust23THRUST_200600_302600_NS6detail15normal_iteratorINS9_10device_ptrIyEEEESE_PS5_SF_14custom_greaterIyEEE10hipError_tT0_T1_T2_T3_mRjT4_P12ihipStream_tbNS1_7vsmem_tEEUlT_E_NS1_11comp_targetILNS1_3genE4ELNS1_11target_archE910ELNS1_3gpuE8ELNS1_3repE0EEENS1_30default_config_static_selectorELNS0_4arch9wavefront6targetE1EEEvSK_
                                        ; -- End function
	.section	.AMDGPU.csdata,"",@progbits
; Kernel info:
; codeLenInByte = 11560
; NumSgprs: 25
; NumVgprs: 39
; NumAgprs: 0
; TotalNumVgprs: 39
; ScratchSize: 0
; MemoryBound: 0
; FloatMode: 240
; IeeeMode: 1
; LDSByteSize: 8448 bytes/workgroup (compile time only)
; SGPRBlocks: 3
; VGPRBlocks: 4
; NumSGPRsForWavesPerEU: 25
; NumVGPRsForWavesPerEU: 39
; AccumOffset: 40
; Occupancy: 7
; WaveLimiterHint : 1
; COMPUTE_PGM_RSRC2:SCRATCH_EN: 0
; COMPUTE_PGM_RSRC2:USER_SGPR: 6
; COMPUTE_PGM_RSRC2:TRAP_HANDLER: 0
; COMPUTE_PGM_RSRC2:TGID_X_EN: 1
; COMPUTE_PGM_RSRC2:TGID_Y_EN: 1
; COMPUTE_PGM_RSRC2:TGID_Z_EN: 1
; COMPUTE_PGM_RSRC2:TIDIG_COMP_CNT: 2
; COMPUTE_PGM_RSRC3_GFX90A:ACCUM_OFFSET: 9
; COMPUTE_PGM_RSRC3_GFX90A:TG_SPLIT: 0
	.section	.text._ZN7rocprim17ROCPRIM_400000_NS6detail17trampoline_kernelINS0_14default_configENS1_37merge_sort_block_sort_config_selectorIyNS0_10empty_typeEEEZNS1_21merge_sort_block_sortIS3_N6thrust23THRUST_200600_302600_NS6detail15normal_iteratorINS9_10device_ptrIyEEEESE_PS5_SF_14custom_greaterIyEEE10hipError_tT0_T1_T2_T3_mRjT4_P12ihipStream_tbNS1_7vsmem_tEEUlT_E_NS1_11comp_targetILNS1_3genE3ELNS1_11target_archE908ELNS1_3gpuE7ELNS1_3repE0EEENS1_30default_config_static_selectorELNS0_4arch9wavefront6targetE1EEEvSK_,"axG",@progbits,_ZN7rocprim17ROCPRIM_400000_NS6detail17trampoline_kernelINS0_14default_configENS1_37merge_sort_block_sort_config_selectorIyNS0_10empty_typeEEEZNS1_21merge_sort_block_sortIS3_N6thrust23THRUST_200600_302600_NS6detail15normal_iteratorINS9_10device_ptrIyEEEESE_PS5_SF_14custom_greaterIyEEE10hipError_tT0_T1_T2_T3_mRjT4_P12ihipStream_tbNS1_7vsmem_tEEUlT_E_NS1_11comp_targetILNS1_3genE3ELNS1_11target_archE908ELNS1_3gpuE7ELNS1_3repE0EEENS1_30default_config_static_selectorELNS0_4arch9wavefront6targetE1EEEvSK_,comdat
	.protected	_ZN7rocprim17ROCPRIM_400000_NS6detail17trampoline_kernelINS0_14default_configENS1_37merge_sort_block_sort_config_selectorIyNS0_10empty_typeEEEZNS1_21merge_sort_block_sortIS3_N6thrust23THRUST_200600_302600_NS6detail15normal_iteratorINS9_10device_ptrIyEEEESE_PS5_SF_14custom_greaterIyEEE10hipError_tT0_T1_T2_T3_mRjT4_P12ihipStream_tbNS1_7vsmem_tEEUlT_E_NS1_11comp_targetILNS1_3genE3ELNS1_11target_archE908ELNS1_3gpuE7ELNS1_3repE0EEENS1_30default_config_static_selectorELNS0_4arch9wavefront6targetE1EEEvSK_ ; -- Begin function _ZN7rocprim17ROCPRIM_400000_NS6detail17trampoline_kernelINS0_14default_configENS1_37merge_sort_block_sort_config_selectorIyNS0_10empty_typeEEEZNS1_21merge_sort_block_sortIS3_N6thrust23THRUST_200600_302600_NS6detail15normal_iteratorINS9_10device_ptrIyEEEESE_PS5_SF_14custom_greaterIyEEE10hipError_tT0_T1_T2_T3_mRjT4_P12ihipStream_tbNS1_7vsmem_tEEUlT_E_NS1_11comp_targetILNS1_3genE3ELNS1_11target_archE908ELNS1_3gpuE7ELNS1_3repE0EEENS1_30default_config_static_selectorELNS0_4arch9wavefront6targetE1EEEvSK_
	.globl	_ZN7rocprim17ROCPRIM_400000_NS6detail17trampoline_kernelINS0_14default_configENS1_37merge_sort_block_sort_config_selectorIyNS0_10empty_typeEEEZNS1_21merge_sort_block_sortIS3_N6thrust23THRUST_200600_302600_NS6detail15normal_iteratorINS9_10device_ptrIyEEEESE_PS5_SF_14custom_greaterIyEEE10hipError_tT0_T1_T2_T3_mRjT4_P12ihipStream_tbNS1_7vsmem_tEEUlT_E_NS1_11comp_targetILNS1_3genE3ELNS1_11target_archE908ELNS1_3gpuE7ELNS1_3repE0EEENS1_30default_config_static_selectorELNS0_4arch9wavefront6targetE1EEEvSK_
	.p2align	8
	.type	_ZN7rocprim17ROCPRIM_400000_NS6detail17trampoline_kernelINS0_14default_configENS1_37merge_sort_block_sort_config_selectorIyNS0_10empty_typeEEEZNS1_21merge_sort_block_sortIS3_N6thrust23THRUST_200600_302600_NS6detail15normal_iteratorINS9_10device_ptrIyEEEESE_PS5_SF_14custom_greaterIyEEE10hipError_tT0_T1_T2_T3_mRjT4_P12ihipStream_tbNS1_7vsmem_tEEUlT_E_NS1_11comp_targetILNS1_3genE3ELNS1_11target_archE908ELNS1_3gpuE7ELNS1_3repE0EEENS1_30default_config_static_selectorELNS0_4arch9wavefront6targetE1EEEvSK_,@function
_ZN7rocprim17ROCPRIM_400000_NS6detail17trampoline_kernelINS0_14default_configENS1_37merge_sort_block_sort_config_selectorIyNS0_10empty_typeEEEZNS1_21merge_sort_block_sortIS3_N6thrust23THRUST_200600_302600_NS6detail15normal_iteratorINS9_10device_ptrIyEEEESE_PS5_SF_14custom_greaterIyEEE10hipError_tT0_T1_T2_T3_mRjT4_P12ihipStream_tbNS1_7vsmem_tEEUlT_E_NS1_11comp_targetILNS1_3genE3ELNS1_11target_archE908ELNS1_3gpuE7ELNS1_3repE0EEENS1_30default_config_static_selectorELNS0_4arch9wavefront6targetE1EEEvSK_: ; @_ZN7rocprim17ROCPRIM_400000_NS6detail17trampoline_kernelINS0_14default_configENS1_37merge_sort_block_sort_config_selectorIyNS0_10empty_typeEEEZNS1_21merge_sort_block_sortIS3_N6thrust23THRUST_200600_302600_NS6detail15normal_iteratorINS9_10device_ptrIyEEEESE_PS5_SF_14custom_greaterIyEEE10hipError_tT0_T1_T2_T3_mRjT4_P12ihipStream_tbNS1_7vsmem_tEEUlT_E_NS1_11comp_targetILNS1_3genE3ELNS1_11target_archE908ELNS1_3gpuE7ELNS1_3repE0EEENS1_30default_config_static_selectorELNS0_4arch9wavefront6targetE1EEEvSK_
; %bb.0:
	.section	.rodata,"a",@progbits
	.p2align	6, 0x0
	.amdhsa_kernel _ZN7rocprim17ROCPRIM_400000_NS6detail17trampoline_kernelINS0_14default_configENS1_37merge_sort_block_sort_config_selectorIyNS0_10empty_typeEEEZNS1_21merge_sort_block_sortIS3_N6thrust23THRUST_200600_302600_NS6detail15normal_iteratorINS9_10device_ptrIyEEEESE_PS5_SF_14custom_greaterIyEEE10hipError_tT0_T1_T2_T3_mRjT4_P12ihipStream_tbNS1_7vsmem_tEEUlT_E_NS1_11comp_targetILNS1_3genE3ELNS1_11target_archE908ELNS1_3gpuE7ELNS1_3repE0EEENS1_30default_config_static_selectorELNS0_4arch9wavefront6targetE1EEEvSK_
		.amdhsa_group_segment_fixed_size 0
		.amdhsa_private_segment_fixed_size 0
		.amdhsa_kernarg_size 64
		.amdhsa_user_sgpr_count 6
		.amdhsa_user_sgpr_private_segment_buffer 1
		.amdhsa_user_sgpr_dispatch_ptr 0
		.amdhsa_user_sgpr_queue_ptr 0
		.amdhsa_user_sgpr_kernarg_segment_ptr 1
		.amdhsa_user_sgpr_dispatch_id 0
		.amdhsa_user_sgpr_flat_scratch_init 0
		.amdhsa_user_sgpr_kernarg_preload_length 0
		.amdhsa_user_sgpr_kernarg_preload_offset 0
		.amdhsa_user_sgpr_private_segment_size 0
		.amdhsa_uses_dynamic_stack 0
		.amdhsa_system_sgpr_private_segment_wavefront_offset 0
		.amdhsa_system_sgpr_workgroup_id_x 1
		.amdhsa_system_sgpr_workgroup_id_y 0
		.amdhsa_system_sgpr_workgroup_id_z 0
		.amdhsa_system_sgpr_workgroup_info 0
		.amdhsa_system_vgpr_workitem_id 0
		.amdhsa_next_free_vgpr 1
		.amdhsa_next_free_sgpr 0
		.amdhsa_accum_offset 4
		.amdhsa_reserve_vcc 0
		.amdhsa_reserve_flat_scratch 0
		.amdhsa_float_round_mode_32 0
		.amdhsa_float_round_mode_16_64 0
		.amdhsa_float_denorm_mode_32 3
		.amdhsa_float_denorm_mode_16_64 3
		.amdhsa_dx10_clamp 1
		.amdhsa_ieee_mode 1
		.amdhsa_fp16_overflow 0
		.amdhsa_tg_split 0
		.amdhsa_exception_fp_ieee_invalid_op 0
		.amdhsa_exception_fp_denorm_src 0
		.amdhsa_exception_fp_ieee_div_zero 0
		.amdhsa_exception_fp_ieee_overflow 0
		.amdhsa_exception_fp_ieee_underflow 0
		.amdhsa_exception_fp_ieee_inexact 0
		.amdhsa_exception_int_div_zero 0
	.end_amdhsa_kernel
	.section	.text._ZN7rocprim17ROCPRIM_400000_NS6detail17trampoline_kernelINS0_14default_configENS1_37merge_sort_block_sort_config_selectorIyNS0_10empty_typeEEEZNS1_21merge_sort_block_sortIS3_N6thrust23THRUST_200600_302600_NS6detail15normal_iteratorINS9_10device_ptrIyEEEESE_PS5_SF_14custom_greaterIyEEE10hipError_tT0_T1_T2_T3_mRjT4_P12ihipStream_tbNS1_7vsmem_tEEUlT_E_NS1_11comp_targetILNS1_3genE3ELNS1_11target_archE908ELNS1_3gpuE7ELNS1_3repE0EEENS1_30default_config_static_selectorELNS0_4arch9wavefront6targetE1EEEvSK_,"axG",@progbits,_ZN7rocprim17ROCPRIM_400000_NS6detail17trampoline_kernelINS0_14default_configENS1_37merge_sort_block_sort_config_selectorIyNS0_10empty_typeEEEZNS1_21merge_sort_block_sortIS3_N6thrust23THRUST_200600_302600_NS6detail15normal_iteratorINS9_10device_ptrIyEEEESE_PS5_SF_14custom_greaterIyEEE10hipError_tT0_T1_T2_T3_mRjT4_P12ihipStream_tbNS1_7vsmem_tEEUlT_E_NS1_11comp_targetILNS1_3genE3ELNS1_11target_archE908ELNS1_3gpuE7ELNS1_3repE0EEENS1_30default_config_static_selectorELNS0_4arch9wavefront6targetE1EEEvSK_,comdat
.Lfunc_end3457:
	.size	_ZN7rocprim17ROCPRIM_400000_NS6detail17trampoline_kernelINS0_14default_configENS1_37merge_sort_block_sort_config_selectorIyNS0_10empty_typeEEEZNS1_21merge_sort_block_sortIS3_N6thrust23THRUST_200600_302600_NS6detail15normal_iteratorINS9_10device_ptrIyEEEESE_PS5_SF_14custom_greaterIyEEE10hipError_tT0_T1_T2_T3_mRjT4_P12ihipStream_tbNS1_7vsmem_tEEUlT_E_NS1_11comp_targetILNS1_3genE3ELNS1_11target_archE908ELNS1_3gpuE7ELNS1_3repE0EEENS1_30default_config_static_selectorELNS0_4arch9wavefront6targetE1EEEvSK_, .Lfunc_end3457-_ZN7rocprim17ROCPRIM_400000_NS6detail17trampoline_kernelINS0_14default_configENS1_37merge_sort_block_sort_config_selectorIyNS0_10empty_typeEEEZNS1_21merge_sort_block_sortIS3_N6thrust23THRUST_200600_302600_NS6detail15normal_iteratorINS9_10device_ptrIyEEEESE_PS5_SF_14custom_greaterIyEEE10hipError_tT0_T1_T2_T3_mRjT4_P12ihipStream_tbNS1_7vsmem_tEEUlT_E_NS1_11comp_targetILNS1_3genE3ELNS1_11target_archE908ELNS1_3gpuE7ELNS1_3repE0EEENS1_30default_config_static_selectorELNS0_4arch9wavefront6targetE1EEEvSK_
                                        ; -- End function
	.section	.AMDGPU.csdata,"",@progbits
; Kernel info:
; codeLenInByte = 0
; NumSgprs: 4
; NumVgprs: 0
; NumAgprs: 0
; TotalNumVgprs: 0
; ScratchSize: 0
; MemoryBound: 0
; FloatMode: 240
; IeeeMode: 1
; LDSByteSize: 0 bytes/workgroup (compile time only)
; SGPRBlocks: 0
; VGPRBlocks: 0
; NumSGPRsForWavesPerEU: 4
; NumVGPRsForWavesPerEU: 1
; AccumOffset: 4
; Occupancy: 8
; WaveLimiterHint : 0
; COMPUTE_PGM_RSRC2:SCRATCH_EN: 0
; COMPUTE_PGM_RSRC2:USER_SGPR: 6
; COMPUTE_PGM_RSRC2:TRAP_HANDLER: 0
; COMPUTE_PGM_RSRC2:TGID_X_EN: 1
; COMPUTE_PGM_RSRC2:TGID_Y_EN: 0
; COMPUTE_PGM_RSRC2:TGID_Z_EN: 0
; COMPUTE_PGM_RSRC2:TIDIG_COMP_CNT: 0
; COMPUTE_PGM_RSRC3_GFX90A:ACCUM_OFFSET: 0
; COMPUTE_PGM_RSRC3_GFX90A:TG_SPLIT: 0
	.section	.text._ZN7rocprim17ROCPRIM_400000_NS6detail17trampoline_kernelINS0_14default_configENS1_37merge_sort_block_sort_config_selectorIyNS0_10empty_typeEEEZNS1_21merge_sort_block_sortIS3_N6thrust23THRUST_200600_302600_NS6detail15normal_iteratorINS9_10device_ptrIyEEEESE_PS5_SF_14custom_greaterIyEEE10hipError_tT0_T1_T2_T3_mRjT4_P12ihipStream_tbNS1_7vsmem_tEEUlT_E_NS1_11comp_targetILNS1_3genE2ELNS1_11target_archE906ELNS1_3gpuE6ELNS1_3repE0EEENS1_30default_config_static_selectorELNS0_4arch9wavefront6targetE1EEEvSK_,"axG",@progbits,_ZN7rocprim17ROCPRIM_400000_NS6detail17trampoline_kernelINS0_14default_configENS1_37merge_sort_block_sort_config_selectorIyNS0_10empty_typeEEEZNS1_21merge_sort_block_sortIS3_N6thrust23THRUST_200600_302600_NS6detail15normal_iteratorINS9_10device_ptrIyEEEESE_PS5_SF_14custom_greaterIyEEE10hipError_tT0_T1_T2_T3_mRjT4_P12ihipStream_tbNS1_7vsmem_tEEUlT_E_NS1_11comp_targetILNS1_3genE2ELNS1_11target_archE906ELNS1_3gpuE6ELNS1_3repE0EEENS1_30default_config_static_selectorELNS0_4arch9wavefront6targetE1EEEvSK_,comdat
	.protected	_ZN7rocprim17ROCPRIM_400000_NS6detail17trampoline_kernelINS0_14default_configENS1_37merge_sort_block_sort_config_selectorIyNS0_10empty_typeEEEZNS1_21merge_sort_block_sortIS3_N6thrust23THRUST_200600_302600_NS6detail15normal_iteratorINS9_10device_ptrIyEEEESE_PS5_SF_14custom_greaterIyEEE10hipError_tT0_T1_T2_T3_mRjT4_P12ihipStream_tbNS1_7vsmem_tEEUlT_E_NS1_11comp_targetILNS1_3genE2ELNS1_11target_archE906ELNS1_3gpuE6ELNS1_3repE0EEENS1_30default_config_static_selectorELNS0_4arch9wavefront6targetE1EEEvSK_ ; -- Begin function _ZN7rocprim17ROCPRIM_400000_NS6detail17trampoline_kernelINS0_14default_configENS1_37merge_sort_block_sort_config_selectorIyNS0_10empty_typeEEEZNS1_21merge_sort_block_sortIS3_N6thrust23THRUST_200600_302600_NS6detail15normal_iteratorINS9_10device_ptrIyEEEESE_PS5_SF_14custom_greaterIyEEE10hipError_tT0_T1_T2_T3_mRjT4_P12ihipStream_tbNS1_7vsmem_tEEUlT_E_NS1_11comp_targetILNS1_3genE2ELNS1_11target_archE906ELNS1_3gpuE6ELNS1_3repE0EEENS1_30default_config_static_selectorELNS0_4arch9wavefront6targetE1EEEvSK_
	.globl	_ZN7rocprim17ROCPRIM_400000_NS6detail17trampoline_kernelINS0_14default_configENS1_37merge_sort_block_sort_config_selectorIyNS0_10empty_typeEEEZNS1_21merge_sort_block_sortIS3_N6thrust23THRUST_200600_302600_NS6detail15normal_iteratorINS9_10device_ptrIyEEEESE_PS5_SF_14custom_greaterIyEEE10hipError_tT0_T1_T2_T3_mRjT4_P12ihipStream_tbNS1_7vsmem_tEEUlT_E_NS1_11comp_targetILNS1_3genE2ELNS1_11target_archE906ELNS1_3gpuE6ELNS1_3repE0EEENS1_30default_config_static_selectorELNS0_4arch9wavefront6targetE1EEEvSK_
	.p2align	8
	.type	_ZN7rocprim17ROCPRIM_400000_NS6detail17trampoline_kernelINS0_14default_configENS1_37merge_sort_block_sort_config_selectorIyNS0_10empty_typeEEEZNS1_21merge_sort_block_sortIS3_N6thrust23THRUST_200600_302600_NS6detail15normal_iteratorINS9_10device_ptrIyEEEESE_PS5_SF_14custom_greaterIyEEE10hipError_tT0_T1_T2_T3_mRjT4_P12ihipStream_tbNS1_7vsmem_tEEUlT_E_NS1_11comp_targetILNS1_3genE2ELNS1_11target_archE906ELNS1_3gpuE6ELNS1_3repE0EEENS1_30default_config_static_selectorELNS0_4arch9wavefront6targetE1EEEvSK_,@function
_ZN7rocprim17ROCPRIM_400000_NS6detail17trampoline_kernelINS0_14default_configENS1_37merge_sort_block_sort_config_selectorIyNS0_10empty_typeEEEZNS1_21merge_sort_block_sortIS3_N6thrust23THRUST_200600_302600_NS6detail15normal_iteratorINS9_10device_ptrIyEEEESE_PS5_SF_14custom_greaterIyEEE10hipError_tT0_T1_T2_T3_mRjT4_P12ihipStream_tbNS1_7vsmem_tEEUlT_E_NS1_11comp_targetILNS1_3genE2ELNS1_11target_archE906ELNS1_3gpuE6ELNS1_3repE0EEENS1_30default_config_static_selectorELNS0_4arch9wavefront6targetE1EEEvSK_: ; @_ZN7rocprim17ROCPRIM_400000_NS6detail17trampoline_kernelINS0_14default_configENS1_37merge_sort_block_sort_config_selectorIyNS0_10empty_typeEEEZNS1_21merge_sort_block_sortIS3_N6thrust23THRUST_200600_302600_NS6detail15normal_iteratorINS9_10device_ptrIyEEEESE_PS5_SF_14custom_greaterIyEEE10hipError_tT0_T1_T2_T3_mRjT4_P12ihipStream_tbNS1_7vsmem_tEEUlT_E_NS1_11comp_targetILNS1_3genE2ELNS1_11target_archE906ELNS1_3gpuE6ELNS1_3repE0EEENS1_30default_config_static_selectorELNS0_4arch9wavefront6targetE1EEEvSK_
; %bb.0:
	.section	.rodata,"a",@progbits
	.p2align	6, 0x0
	.amdhsa_kernel _ZN7rocprim17ROCPRIM_400000_NS6detail17trampoline_kernelINS0_14default_configENS1_37merge_sort_block_sort_config_selectorIyNS0_10empty_typeEEEZNS1_21merge_sort_block_sortIS3_N6thrust23THRUST_200600_302600_NS6detail15normal_iteratorINS9_10device_ptrIyEEEESE_PS5_SF_14custom_greaterIyEEE10hipError_tT0_T1_T2_T3_mRjT4_P12ihipStream_tbNS1_7vsmem_tEEUlT_E_NS1_11comp_targetILNS1_3genE2ELNS1_11target_archE906ELNS1_3gpuE6ELNS1_3repE0EEENS1_30default_config_static_selectorELNS0_4arch9wavefront6targetE1EEEvSK_
		.amdhsa_group_segment_fixed_size 0
		.amdhsa_private_segment_fixed_size 0
		.amdhsa_kernarg_size 64
		.amdhsa_user_sgpr_count 6
		.amdhsa_user_sgpr_private_segment_buffer 1
		.amdhsa_user_sgpr_dispatch_ptr 0
		.amdhsa_user_sgpr_queue_ptr 0
		.amdhsa_user_sgpr_kernarg_segment_ptr 1
		.amdhsa_user_sgpr_dispatch_id 0
		.amdhsa_user_sgpr_flat_scratch_init 0
		.amdhsa_user_sgpr_kernarg_preload_length 0
		.amdhsa_user_sgpr_kernarg_preload_offset 0
		.amdhsa_user_sgpr_private_segment_size 0
		.amdhsa_uses_dynamic_stack 0
		.amdhsa_system_sgpr_private_segment_wavefront_offset 0
		.amdhsa_system_sgpr_workgroup_id_x 1
		.amdhsa_system_sgpr_workgroup_id_y 0
		.amdhsa_system_sgpr_workgroup_id_z 0
		.amdhsa_system_sgpr_workgroup_info 0
		.amdhsa_system_vgpr_workitem_id 0
		.amdhsa_next_free_vgpr 1
		.amdhsa_next_free_sgpr 0
		.amdhsa_accum_offset 4
		.amdhsa_reserve_vcc 0
		.amdhsa_reserve_flat_scratch 0
		.amdhsa_float_round_mode_32 0
		.amdhsa_float_round_mode_16_64 0
		.amdhsa_float_denorm_mode_32 3
		.amdhsa_float_denorm_mode_16_64 3
		.amdhsa_dx10_clamp 1
		.amdhsa_ieee_mode 1
		.amdhsa_fp16_overflow 0
		.amdhsa_tg_split 0
		.amdhsa_exception_fp_ieee_invalid_op 0
		.amdhsa_exception_fp_denorm_src 0
		.amdhsa_exception_fp_ieee_div_zero 0
		.amdhsa_exception_fp_ieee_overflow 0
		.amdhsa_exception_fp_ieee_underflow 0
		.amdhsa_exception_fp_ieee_inexact 0
		.amdhsa_exception_int_div_zero 0
	.end_amdhsa_kernel
	.section	.text._ZN7rocprim17ROCPRIM_400000_NS6detail17trampoline_kernelINS0_14default_configENS1_37merge_sort_block_sort_config_selectorIyNS0_10empty_typeEEEZNS1_21merge_sort_block_sortIS3_N6thrust23THRUST_200600_302600_NS6detail15normal_iteratorINS9_10device_ptrIyEEEESE_PS5_SF_14custom_greaterIyEEE10hipError_tT0_T1_T2_T3_mRjT4_P12ihipStream_tbNS1_7vsmem_tEEUlT_E_NS1_11comp_targetILNS1_3genE2ELNS1_11target_archE906ELNS1_3gpuE6ELNS1_3repE0EEENS1_30default_config_static_selectorELNS0_4arch9wavefront6targetE1EEEvSK_,"axG",@progbits,_ZN7rocprim17ROCPRIM_400000_NS6detail17trampoline_kernelINS0_14default_configENS1_37merge_sort_block_sort_config_selectorIyNS0_10empty_typeEEEZNS1_21merge_sort_block_sortIS3_N6thrust23THRUST_200600_302600_NS6detail15normal_iteratorINS9_10device_ptrIyEEEESE_PS5_SF_14custom_greaterIyEEE10hipError_tT0_T1_T2_T3_mRjT4_P12ihipStream_tbNS1_7vsmem_tEEUlT_E_NS1_11comp_targetILNS1_3genE2ELNS1_11target_archE906ELNS1_3gpuE6ELNS1_3repE0EEENS1_30default_config_static_selectorELNS0_4arch9wavefront6targetE1EEEvSK_,comdat
.Lfunc_end3458:
	.size	_ZN7rocprim17ROCPRIM_400000_NS6detail17trampoline_kernelINS0_14default_configENS1_37merge_sort_block_sort_config_selectorIyNS0_10empty_typeEEEZNS1_21merge_sort_block_sortIS3_N6thrust23THRUST_200600_302600_NS6detail15normal_iteratorINS9_10device_ptrIyEEEESE_PS5_SF_14custom_greaterIyEEE10hipError_tT0_T1_T2_T3_mRjT4_P12ihipStream_tbNS1_7vsmem_tEEUlT_E_NS1_11comp_targetILNS1_3genE2ELNS1_11target_archE906ELNS1_3gpuE6ELNS1_3repE0EEENS1_30default_config_static_selectorELNS0_4arch9wavefront6targetE1EEEvSK_, .Lfunc_end3458-_ZN7rocprim17ROCPRIM_400000_NS6detail17trampoline_kernelINS0_14default_configENS1_37merge_sort_block_sort_config_selectorIyNS0_10empty_typeEEEZNS1_21merge_sort_block_sortIS3_N6thrust23THRUST_200600_302600_NS6detail15normal_iteratorINS9_10device_ptrIyEEEESE_PS5_SF_14custom_greaterIyEEE10hipError_tT0_T1_T2_T3_mRjT4_P12ihipStream_tbNS1_7vsmem_tEEUlT_E_NS1_11comp_targetILNS1_3genE2ELNS1_11target_archE906ELNS1_3gpuE6ELNS1_3repE0EEENS1_30default_config_static_selectorELNS0_4arch9wavefront6targetE1EEEvSK_
                                        ; -- End function
	.section	.AMDGPU.csdata,"",@progbits
; Kernel info:
; codeLenInByte = 0
; NumSgprs: 4
; NumVgprs: 0
; NumAgprs: 0
; TotalNumVgprs: 0
; ScratchSize: 0
; MemoryBound: 0
; FloatMode: 240
; IeeeMode: 1
; LDSByteSize: 0 bytes/workgroup (compile time only)
; SGPRBlocks: 0
; VGPRBlocks: 0
; NumSGPRsForWavesPerEU: 4
; NumVGPRsForWavesPerEU: 1
; AccumOffset: 4
; Occupancy: 8
; WaveLimiterHint : 0
; COMPUTE_PGM_RSRC2:SCRATCH_EN: 0
; COMPUTE_PGM_RSRC2:USER_SGPR: 6
; COMPUTE_PGM_RSRC2:TRAP_HANDLER: 0
; COMPUTE_PGM_RSRC2:TGID_X_EN: 1
; COMPUTE_PGM_RSRC2:TGID_Y_EN: 0
; COMPUTE_PGM_RSRC2:TGID_Z_EN: 0
; COMPUTE_PGM_RSRC2:TIDIG_COMP_CNT: 0
; COMPUTE_PGM_RSRC3_GFX90A:ACCUM_OFFSET: 0
; COMPUTE_PGM_RSRC3_GFX90A:TG_SPLIT: 0
	.section	.text._ZN7rocprim17ROCPRIM_400000_NS6detail17trampoline_kernelINS0_14default_configENS1_37merge_sort_block_sort_config_selectorIyNS0_10empty_typeEEEZNS1_21merge_sort_block_sortIS3_N6thrust23THRUST_200600_302600_NS6detail15normal_iteratorINS9_10device_ptrIyEEEESE_PS5_SF_14custom_greaterIyEEE10hipError_tT0_T1_T2_T3_mRjT4_P12ihipStream_tbNS1_7vsmem_tEEUlT_E_NS1_11comp_targetILNS1_3genE10ELNS1_11target_archE1201ELNS1_3gpuE5ELNS1_3repE0EEENS1_30default_config_static_selectorELNS0_4arch9wavefront6targetE1EEEvSK_,"axG",@progbits,_ZN7rocprim17ROCPRIM_400000_NS6detail17trampoline_kernelINS0_14default_configENS1_37merge_sort_block_sort_config_selectorIyNS0_10empty_typeEEEZNS1_21merge_sort_block_sortIS3_N6thrust23THRUST_200600_302600_NS6detail15normal_iteratorINS9_10device_ptrIyEEEESE_PS5_SF_14custom_greaterIyEEE10hipError_tT0_T1_T2_T3_mRjT4_P12ihipStream_tbNS1_7vsmem_tEEUlT_E_NS1_11comp_targetILNS1_3genE10ELNS1_11target_archE1201ELNS1_3gpuE5ELNS1_3repE0EEENS1_30default_config_static_selectorELNS0_4arch9wavefront6targetE1EEEvSK_,comdat
	.protected	_ZN7rocprim17ROCPRIM_400000_NS6detail17trampoline_kernelINS0_14default_configENS1_37merge_sort_block_sort_config_selectorIyNS0_10empty_typeEEEZNS1_21merge_sort_block_sortIS3_N6thrust23THRUST_200600_302600_NS6detail15normal_iteratorINS9_10device_ptrIyEEEESE_PS5_SF_14custom_greaterIyEEE10hipError_tT0_T1_T2_T3_mRjT4_P12ihipStream_tbNS1_7vsmem_tEEUlT_E_NS1_11comp_targetILNS1_3genE10ELNS1_11target_archE1201ELNS1_3gpuE5ELNS1_3repE0EEENS1_30default_config_static_selectorELNS0_4arch9wavefront6targetE1EEEvSK_ ; -- Begin function _ZN7rocprim17ROCPRIM_400000_NS6detail17trampoline_kernelINS0_14default_configENS1_37merge_sort_block_sort_config_selectorIyNS0_10empty_typeEEEZNS1_21merge_sort_block_sortIS3_N6thrust23THRUST_200600_302600_NS6detail15normal_iteratorINS9_10device_ptrIyEEEESE_PS5_SF_14custom_greaterIyEEE10hipError_tT0_T1_T2_T3_mRjT4_P12ihipStream_tbNS1_7vsmem_tEEUlT_E_NS1_11comp_targetILNS1_3genE10ELNS1_11target_archE1201ELNS1_3gpuE5ELNS1_3repE0EEENS1_30default_config_static_selectorELNS0_4arch9wavefront6targetE1EEEvSK_
	.globl	_ZN7rocprim17ROCPRIM_400000_NS6detail17trampoline_kernelINS0_14default_configENS1_37merge_sort_block_sort_config_selectorIyNS0_10empty_typeEEEZNS1_21merge_sort_block_sortIS3_N6thrust23THRUST_200600_302600_NS6detail15normal_iteratorINS9_10device_ptrIyEEEESE_PS5_SF_14custom_greaterIyEEE10hipError_tT0_T1_T2_T3_mRjT4_P12ihipStream_tbNS1_7vsmem_tEEUlT_E_NS1_11comp_targetILNS1_3genE10ELNS1_11target_archE1201ELNS1_3gpuE5ELNS1_3repE0EEENS1_30default_config_static_selectorELNS0_4arch9wavefront6targetE1EEEvSK_
	.p2align	8
	.type	_ZN7rocprim17ROCPRIM_400000_NS6detail17trampoline_kernelINS0_14default_configENS1_37merge_sort_block_sort_config_selectorIyNS0_10empty_typeEEEZNS1_21merge_sort_block_sortIS3_N6thrust23THRUST_200600_302600_NS6detail15normal_iteratorINS9_10device_ptrIyEEEESE_PS5_SF_14custom_greaterIyEEE10hipError_tT0_T1_T2_T3_mRjT4_P12ihipStream_tbNS1_7vsmem_tEEUlT_E_NS1_11comp_targetILNS1_3genE10ELNS1_11target_archE1201ELNS1_3gpuE5ELNS1_3repE0EEENS1_30default_config_static_selectorELNS0_4arch9wavefront6targetE1EEEvSK_,@function
_ZN7rocprim17ROCPRIM_400000_NS6detail17trampoline_kernelINS0_14default_configENS1_37merge_sort_block_sort_config_selectorIyNS0_10empty_typeEEEZNS1_21merge_sort_block_sortIS3_N6thrust23THRUST_200600_302600_NS6detail15normal_iteratorINS9_10device_ptrIyEEEESE_PS5_SF_14custom_greaterIyEEE10hipError_tT0_T1_T2_T3_mRjT4_P12ihipStream_tbNS1_7vsmem_tEEUlT_E_NS1_11comp_targetILNS1_3genE10ELNS1_11target_archE1201ELNS1_3gpuE5ELNS1_3repE0EEENS1_30default_config_static_selectorELNS0_4arch9wavefront6targetE1EEEvSK_: ; @_ZN7rocprim17ROCPRIM_400000_NS6detail17trampoline_kernelINS0_14default_configENS1_37merge_sort_block_sort_config_selectorIyNS0_10empty_typeEEEZNS1_21merge_sort_block_sortIS3_N6thrust23THRUST_200600_302600_NS6detail15normal_iteratorINS9_10device_ptrIyEEEESE_PS5_SF_14custom_greaterIyEEE10hipError_tT0_T1_T2_T3_mRjT4_P12ihipStream_tbNS1_7vsmem_tEEUlT_E_NS1_11comp_targetILNS1_3genE10ELNS1_11target_archE1201ELNS1_3gpuE5ELNS1_3repE0EEENS1_30default_config_static_selectorELNS0_4arch9wavefront6targetE1EEEvSK_
; %bb.0:
	.section	.rodata,"a",@progbits
	.p2align	6, 0x0
	.amdhsa_kernel _ZN7rocprim17ROCPRIM_400000_NS6detail17trampoline_kernelINS0_14default_configENS1_37merge_sort_block_sort_config_selectorIyNS0_10empty_typeEEEZNS1_21merge_sort_block_sortIS3_N6thrust23THRUST_200600_302600_NS6detail15normal_iteratorINS9_10device_ptrIyEEEESE_PS5_SF_14custom_greaterIyEEE10hipError_tT0_T1_T2_T3_mRjT4_P12ihipStream_tbNS1_7vsmem_tEEUlT_E_NS1_11comp_targetILNS1_3genE10ELNS1_11target_archE1201ELNS1_3gpuE5ELNS1_3repE0EEENS1_30default_config_static_selectorELNS0_4arch9wavefront6targetE1EEEvSK_
		.amdhsa_group_segment_fixed_size 0
		.amdhsa_private_segment_fixed_size 0
		.amdhsa_kernarg_size 64
		.amdhsa_user_sgpr_count 6
		.amdhsa_user_sgpr_private_segment_buffer 1
		.amdhsa_user_sgpr_dispatch_ptr 0
		.amdhsa_user_sgpr_queue_ptr 0
		.amdhsa_user_sgpr_kernarg_segment_ptr 1
		.amdhsa_user_sgpr_dispatch_id 0
		.amdhsa_user_sgpr_flat_scratch_init 0
		.amdhsa_user_sgpr_kernarg_preload_length 0
		.amdhsa_user_sgpr_kernarg_preload_offset 0
		.amdhsa_user_sgpr_private_segment_size 0
		.amdhsa_uses_dynamic_stack 0
		.amdhsa_system_sgpr_private_segment_wavefront_offset 0
		.amdhsa_system_sgpr_workgroup_id_x 1
		.amdhsa_system_sgpr_workgroup_id_y 0
		.amdhsa_system_sgpr_workgroup_id_z 0
		.amdhsa_system_sgpr_workgroup_info 0
		.amdhsa_system_vgpr_workitem_id 0
		.amdhsa_next_free_vgpr 1
		.amdhsa_next_free_sgpr 0
		.amdhsa_accum_offset 4
		.amdhsa_reserve_vcc 0
		.amdhsa_reserve_flat_scratch 0
		.amdhsa_float_round_mode_32 0
		.amdhsa_float_round_mode_16_64 0
		.amdhsa_float_denorm_mode_32 3
		.amdhsa_float_denorm_mode_16_64 3
		.amdhsa_dx10_clamp 1
		.amdhsa_ieee_mode 1
		.amdhsa_fp16_overflow 0
		.amdhsa_tg_split 0
		.amdhsa_exception_fp_ieee_invalid_op 0
		.amdhsa_exception_fp_denorm_src 0
		.amdhsa_exception_fp_ieee_div_zero 0
		.amdhsa_exception_fp_ieee_overflow 0
		.amdhsa_exception_fp_ieee_underflow 0
		.amdhsa_exception_fp_ieee_inexact 0
		.amdhsa_exception_int_div_zero 0
	.end_amdhsa_kernel
	.section	.text._ZN7rocprim17ROCPRIM_400000_NS6detail17trampoline_kernelINS0_14default_configENS1_37merge_sort_block_sort_config_selectorIyNS0_10empty_typeEEEZNS1_21merge_sort_block_sortIS3_N6thrust23THRUST_200600_302600_NS6detail15normal_iteratorINS9_10device_ptrIyEEEESE_PS5_SF_14custom_greaterIyEEE10hipError_tT0_T1_T2_T3_mRjT4_P12ihipStream_tbNS1_7vsmem_tEEUlT_E_NS1_11comp_targetILNS1_3genE10ELNS1_11target_archE1201ELNS1_3gpuE5ELNS1_3repE0EEENS1_30default_config_static_selectorELNS0_4arch9wavefront6targetE1EEEvSK_,"axG",@progbits,_ZN7rocprim17ROCPRIM_400000_NS6detail17trampoline_kernelINS0_14default_configENS1_37merge_sort_block_sort_config_selectorIyNS0_10empty_typeEEEZNS1_21merge_sort_block_sortIS3_N6thrust23THRUST_200600_302600_NS6detail15normal_iteratorINS9_10device_ptrIyEEEESE_PS5_SF_14custom_greaterIyEEE10hipError_tT0_T1_T2_T3_mRjT4_P12ihipStream_tbNS1_7vsmem_tEEUlT_E_NS1_11comp_targetILNS1_3genE10ELNS1_11target_archE1201ELNS1_3gpuE5ELNS1_3repE0EEENS1_30default_config_static_selectorELNS0_4arch9wavefront6targetE1EEEvSK_,comdat
.Lfunc_end3459:
	.size	_ZN7rocprim17ROCPRIM_400000_NS6detail17trampoline_kernelINS0_14default_configENS1_37merge_sort_block_sort_config_selectorIyNS0_10empty_typeEEEZNS1_21merge_sort_block_sortIS3_N6thrust23THRUST_200600_302600_NS6detail15normal_iteratorINS9_10device_ptrIyEEEESE_PS5_SF_14custom_greaterIyEEE10hipError_tT0_T1_T2_T3_mRjT4_P12ihipStream_tbNS1_7vsmem_tEEUlT_E_NS1_11comp_targetILNS1_3genE10ELNS1_11target_archE1201ELNS1_3gpuE5ELNS1_3repE0EEENS1_30default_config_static_selectorELNS0_4arch9wavefront6targetE1EEEvSK_, .Lfunc_end3459-_ZN7rocprim17ROCPRIM_400000_NS6detail17trampoline_kernelINS0_14default_configENS1_37merge_sort_block_sort_config_selectorIyNS0_10empty_typeEEEZNS1_21merge_sort_block_sortIS3_N6thrust23THRUST_200600_302600_NS6detail15normal_iteratorINS9_10device_ptrIyEEEESE_PS5_SF_14custom_greaterIyEEE10hipError_tT0_T1_T2_T3_mRjT4_P12ihipStream_tbNS1_7vsmem_tEEUlT_E_NS1_11comp_targetILNS1_3genE10ELNS1_11target_archE1201ELNS1_3gpuE5ELNS1_3repE0EEENS1_30default_config_static_selectorELNS0_4arch9wavefront6targetE1EEEvSK_
                                        ; -- End function
	.section	.AMDGPU.csdata,"",@progbits
; Kernel info:
; codeLenInByte = 0
; NumSgprs: 4
; NumVgprs: 0
; NumAgprs: 0
; TotalNumVgprs: 0
; ScratchSize: 0
; MemoryBound: 0
; FloatMode: 240
; IeeeMode: 1
; LDSByteSize: 0 bytes/workgroup (compile time only)
; SGPRBlocks: 0
; VGPRBlocks: 0
; NumSGPRsForWavesPerEU: 4
; NumVGPRsForWavesPerEU: 1
; AccumOffset: 4
; Occupancy: 8
; WaveLimiterHint : 0
; COMPUTE_PGM_RSRC2:SCRATCH_EN: 0
; COMPUTE_PGM_RSRC2:USER_SGPR: 6
; COMPUTE_PGM_RSRC2:TRAP_HANDLER: 0
; COMPUTE_PGM_RSRC2:TGID_X_EN: 1
; COMPUTE_PGM_RSRC2:TGID_Y_EN: 0
; COMPUTE_PGM_RSRC2:TGID_Z_EN: 0
; COMPUTE_PGM_RSRC2:TIDIG_COMP_CNT: 0
; COMPUTE_PGM_RSRC3_GFX90A:ACCUM_OFFSET: 0
; COMPUTE_PGM_RSRC3_GFX90A:TG_SPLIT: 0
	.section	.text._ZN7rocprim17ROCPRIM_400000_NS6detail17trampoline_kernelINS0_14default_configENS1_37merge_sort_block_sort_config_selectorIyNS0_10empty_typeEEEZNS1_21merge_sort_block_sortIS3_N6thrust23THRUST_200600_302600_NS6detail15normal_iteratorINS9_10device_ptrIyEEEESE_PS5_SF_14custom_greaterIyEEE10hipError_tT0_T1_T2_T3_mRjT4_P12ihipStream_tbNS1_7vsmem_tEEUlT_E_NS1_11comp_targetILNS1_3genE10ELNS1_11target_archE1200ELNS1_3gpuE4ELNS1_3repE0EEENS1_30default_config_static_selectorELNS0_4arch9wavefront6targetE1EEEvSK_,"axG",@progbits,_ZN7rocprim17ROCPRIM_400000_NS6detail17trampoline_kernelINS0_14default_configENS1_37merge_sort_block_sort_config_selectorIyNS0_10empty_typeEEEZNS1_21merge_sort_block_sortIS3_N6thrust23THRUST_200600_302600_NS6detail15normal_iteratorINS9_10device_ptrIyEEEESE_PS5_SF_14custom_greaterIyEEE10hipError_tT0_T1_T2_T3_mRjT4_P12ihipStream_tbNS1_7vsmem_tEEUlT_E_NS1_11comp_targetILNS1_3genE10ELNS1_11target_archE1200ELNS1_3gpuE4ELNS1_3repE0EEENS1_30default_config_static_selectorELNS0_4arch9wavefront6targetE1EEEvSK_,comdat
	.protected	_ZN7rocprim17ROCPRIM_400000_NS6detail17trampoline_kernelINS0_14default_configENS1_37merge_sort_block_sort_config_selectorIyNS0_10empty_typeEEEZNS1_21merge_sort_block_sortIS3_N6thrust23THRUST_200600_302600_NS6detail15normal_iteratorINS9_10device_ptrIyEEEESE_PS5_SF_14custom_greaterIyEEE10hipError_tT0_T1_T2_T3_mRjT4_P12ihipStream_tbNS1_7vsmem_tEEUlT_E_NS1_11comp_targetILNS1_3genE10ELNS1_11target_archE1200ELNS1_3gpuE4ELNS1_3repE0EEENS1_30default_config_static_selectorELNS0_4arch9wavefront6targetE1EEEvSK_ ; -- Begin function _ZN7rocprim17ROCPRIM_400000_NS6detail17trampoline_kernelINS0_14default_configENS1_37merge_sort_block_sort_config_selectorIyNS0_10empty_typeEEEZNS1_21merge_sort_block_sortIS3_N6thrust23THRUST_200600_302600_NS6detail15normal_iteratorINS9_10device_ptrIyEEEESE_PS5_SF_14custom_greaterIyEEE10hipError_tT0_T1_T2_T3_mRjT4_P12ihipStream_tbNS1_7vsmem_tEEUlT_E_NS1_11comp_targetILNS1_3genE10ELNS1_11target_archE1200ELNS1_3gpuE4ELNS1_3repE0EEENS1_30default_config_static_selectorELNS0_4arch9wavefront6targetE1EEEvSK_
	.globl	_ZN7rocprim17ROCPRIM_400000_NS6detail17trampoline_kernelINS0_14default_configENS1_37merge_sort_block_sort_config_selectorIyNS0_10empty_typeEEEZNS1_21merge_sort_block_sortIS3_N6thrust23THRUST_200600_302600_NS6detail15normal_iteratorINS9_10device_ptrIyEEEESE_PS5_SF_14custom_greaterIyEEE10hipError_tT0_T1_T2_T3_mRjT4_P12ihipStream_tbNS1_7vsmem_tEEUlT_E_NS1_11comp_targetILNS1_3genE10ELNS1_11target_archE1200ELNS1_3gpuE4ELNS1_3repE0EEENS1_30default_config_static_selectorELNS0_4arch9wavefront6targetE1EEEvSK_
	.p2align	8
	.type	_ZN7rocprim17ROCPRIM_400000_NS6detail17trampoline_kernelINS0_14default_configENS1_37merge_sort_block_sort_config_selectorIyNS0_10empty_typeEEEZNS1_21merge_sort_block_sortIS3_N6thrust23THRUST_200600_302600_NS6detail15normal_iteratorINS9_10device_ptrIyEEEESE_PS5_SF_14custom_greaterIyEEE10hipError_tT0_T1_T2_T3_mRjT4_P12ihipStream_tbNS1_7vsmem_tEEUlT_E_NS1_11comp_targetILNS1_3genE10ELNS1_11target_archE1200ELNS1_3gpuE4ELNS1_3repE0EEENS1_30default_config_static_selectorELNS0_4arch9wavefront6targetE1EEEvSK_,@function
_ZN7rocprim17ROCPRIM_400000_NS6detail17trampoline_kernelINS0_14default_configENS1_37merge_sort_block_sort_config_selectorIyNS0_10empty_typeEEEZNS1_21merge_sort_block_sortIS3_N6thrust23THRUST_200600_302600_NS6detail15normal_iteratorINS9_10device_ptrIyEEEESE_PS5_SF_14custom_greaterIyEEE10hipError_tT0_T1_T2_T3_mRjT4_P12ihipStream_tbNS1_7vsmem_tEEUlT_E_NS1_11comp_targetILNS1_3genE10ELNS1_11target_archE1200ELNS1_3gpuE4ELNS1_3repE0EEENS1_30default_config_static_selectorELNS0_4arch9wavefront6targetE1EEEvSK_: ; @_ZN7rocprim17ROCPRIM_400000_NS6detail17trampoline_kernelINS0_14default_configENS1_37merge_sort_block_sort_config_selectorIyNS0_10empty_typeEEEZNS1_21merge_sort_block_sortIS3_N6thrust23THRUST_200600_302600_NS6detail15normal_iteratorINS9_10device_ptrIyEEEESE_PS5_SF_14custom_greaterIyEEE10hipError_tT0_T1_T2_T3_mRjT4_P12ihipStream_tbNS1_7vsmem_tEEUlT_E_NS1_11comp_targetILNS1_3genE10ELNS1_11target_archE1200ELNS1_3gpuE4ELNS1_3repE0EEENS1_30default_config_static_selectorELNS0_4arch9wavefront6targetE1EEEvSK_
; %bb.0:
	.section	.rodata,"a",@progbits
	.p2align	6, 0x0
	.amdhsa_kernel _ZN7rocprim17ROCPRIM_400000_NS6detail17trampoline_kernelINS0_14default_configENS1_37merge_sort_block_sort_config_selectorIyNS0_10empty_typeEEEZNS1_21merge_sort_block_sortIS3_N6thrust23THRUST_200600_302600_NS6detail15normal_iteratorINS9_10device_ptrIyEEEESE_PS5_SF_14custom_greaterIyEEE10hipError_tT0_T1_T2_T3_mRjT4_P12ihipStream_tbNS1_7vsmem_tEEUlT_E_NS1_11comp_targetILNS1_3genE10ELNS1_11target_archE1200ELNS1_3gpuE4ELNS1_3repE0EEENS1_30default_config_static_selectorELNS0_4arch9wavefront6targetE1EEEvSK_
		.amdhsa_group_segment_fixed_size 0
		.amdhsa_private_segment_fixed_size 0
		.amdhsa_kernarg_size 64
		.amdhsa_user_sgpr_count 6
		.amdhsa_user_sgpr_private_segment_buffer 1
		.amdhsa_user_sgpr_dispatch_ptr 0
		.amdhsa_user_sgpr_queue_ptr 0
		.amdhsa_user_sgpr_kernarg_segment_ptr 1
		.amdhsa_user_sgpr_dispatch_id 0
		.amdhsa_user_sgpr_flat_scratch_init 0
		.amdhsa_user_sgpr_kernarg_preload_length 0
		.amdhsa_user_sgpr_kernarg_preload_offset 0
		.amdhsa_user_sgpr_private_segment_size 0
		.amdhsa_uses_dynamic_stack 0
		.amdhsa_system_sgpr_private_segment_wavefront_offset 0
		.amdhsa_system_sgpr_workgroup_id_x 1
		.amdhsa_system_sgpr_workgroup_id_y 0
		.amdhsa_system_sgpr_workgroup_id_z 0
		.amdhsa_system_sgpr_workgroup_info 0
		.amdhsa_system_vgpr_workitem_id 0
		.amdhsa_next_free_vgpr 1
		.amdhsa_next_free_sgpr 0
		.amdhsa_accum_offset 4
		.amdhsa_reserve_vcc 0
		.amdhsa_reserve_flat_scratch 0
		.amdhsa_float_round_mode_32 0
		.amdhsa_float_round_mode_16_64 0
		.amdhsa_float_denorm_mode_32 3
		.amdhsa_float_denorm_mode_16_64 3
		.amdhsa_dx10_clamp 1
		.amdhsa_ieee_mode 1
		.amdhsa_fp16_overflow 0
		.amdhsa_tg_split 0
		.amdhsa_exception_fp_ieee_invalid_op 0
		.amdhsa_exception_fp_denorm_src 0
		.amdhsa_exception_fp_ieee_div_zero 0
		.amdhsa_exception_fp_ieee_overflow 0
		.amdhsa_exception_fp_ieee_underflow 0
		.amdhsa_exception_fp_ieee_inexact 0
		.amdhsa_exception_int_div_zero 0
	.end_amdhsa_kernel
	.section	.text._ZN7rocprim17ROCPRIM_400000_NS6detail17trampoline_kernelINS0_14default_configENS1_37merge_sort_block_sort_config_selectorIyNS0_10empty_typeEEEZNS1_21merge_sort_block_sortIS3_N6thrust23THRUST_200600_302600_NS6detail15normal_iteratorINS9_10device_ptrIyEEEESE_PS5_SF_14custom_greaterIyEEE10hipError_tT0_T1_T2_T3_mRjT4_P12ihipStream_tbNS1_7vsmem_tEEUlT_E_NS1_11comp_targetILNS1_3genE10ELNS1_11target_archE1200ELNS1_3gpuE4ELNS1_3repE0EEENS1_30default_config_static_selectorELNS0_4arch9wavefront6targetE1EEEvSK_,"axG",@progbits,_ZN7rocprim17ROCPRIM_400000_NS6detail17trampoline_kernelINS0_14default_configENS1_37merge_sort_block_sort_config_selectorIyNS0_10empty_typeEEEZNS1_21merge_sort_block_sortIS3_N6thrust23THRUST_200600_302600_NS6detail15normal_iteratorINS9_10device_ptrIyEEEESE_PS5_SF_14custom_greaterIyEEE10hipError_tT0_T1_T2_T3_mRjT4_P12ihipStream_tbNS1_7vsmem_tEEUlT_E_NS1_11comp_targetILNS1_3genE10ELNS1_11target_archE1200ELNS1_3gpuE4ELNS1_3repE0EEENS1_30default_config_static_selectorELNS0_4arch9wavefront6targetE1EEEvSK_,comdat
.Lfunc_end3460:
	.size	_ZN7rocprim17ROCPRIM_400000_NS6detail17trampoline_kernelINS0_14default_configENS1_37merge_sort_block_sort_config_selectorIyNS0_10empty_typeEEEZNS1_21merge_sort_block_sortIS3_N6thrust23THRUST_200600_302600_NS6detail15normal_iteratorINS9_10device_ptrIyEEEESE_PS5_SF_14custom_greaterIyEEE10hipError_tT0_T1_T2_T3_mRjT4_P12ihipStream_tbNS1_7vsmem_tEEUlT_E_NS1_11comp_targetILNS1_3genE10ELNS1_11target_archE1200ELNS1_3gpuE4ELNS1_3repE0EEENS1_30default_config_static_selectorELNS0_4arch9wavefront6targetE1EEEvSK_, .Lfunc_end3460-_ZN7rocprim17ROCPRIM_400000_NS6detail17trampoline_kernelINS0_14default_configENS1_37merge_sort_block_sort_config_selectorIyNS0_10empty_typeEEEZNS1_21merge_sort_block_sortIS3_N6thrust23THRUST_200600_302600_NS6detail15normal_iteratorINS9_10device_ptrIyEEEESE_PS5_SF_14custom_greaterIyEEE10hipError_tT0_T1_T2_T3_mRjT4_P12ihipStream_tbNS1_7vsmem_tEEUlT_E_NS1_11comp_targetILNS1_3genE10ELNS1_11target_archE1200ELNS1_3gpuE4ELNS1_3repE0EEENS1_30default_config_static_selectorELNS0_4arch9wavefront6targetE1EEEvSK_
                                        ; -- End function
	.section	.AMDGPU.csdata,"",@progbits
; Kernel info:
; codeLenInByte = 0
; NumSgprs: 4
; NumVgprs: 0
; NumAgprs: 0
; TotalNumVgprs: 0
; ScratchSize: 0
; MemoryBound: 0
; FloatMode: 240
; IeeeMode: 1
; LDSByteSize: 0 bytes/workgroup (compile time only)
; SGPRBlocks: 0
; VGPRBlocks: 0
; NumSGPRsForWavesPerEU: 4
; NumVGPRsForWavesPerEU: 1
; AccumOffset: 4
; Occupancy: 8
; WaveLimiterHint : 0
; COMPUTE_PGM_RSRC2:SCRATCH_EN: 0
; COMPUTE_PGM_RSRC2:USER_SGPR: 6
; COMPUTE_PGM_RSRC2:TRAP_HANDLER: 0
; COMPUTE_PGM_RSRC2:TGID_X_EN: 1
; COMPUTE_PGM_RSRC2:TGID_Y_EN: 0
; COMPUTE_PGM_RSRC2:TGID_Z_EN: 0
; COMPUTE_PGM_RSRC2:TIDIG_COMP_CNT: 0
; COMPUTE_PGM_RSRC3_GFX90A:ACCUM_OFFSET: 0
; COMPUTE_PGM_RSRC3_GFX90A:TG_SPLIT: 0
	.section	.text._ZN7rocprim17ROCPRIM_400000_NS6detail17trampoline_kernelINS0_14default_configENS1_37merge_sort_block_sort_config_selectorIyNS0_10empty_typeEEEZNS1_21merge_sort_block_sortIS3_N6thrust23THRUST_200600_302600_NS6detail15normal_iteratorINS9_10device_ptrIyEEEESE_PS5_SF_14custom_greaterIyEEE10hipError_tT0_T1_T2_T3_mRjT4_P12ihipStream_tbNS1_7vsmem_tEEUlT_E_NS1_11comp_targetILNS1_3genE9ELNS1_11target_archE1100ELNS1_3gpuE3ELNS1_3repE0EEENS1_30default_config_static_selectorELNS0_4arch9wavefront6targetE1EEEvSK_,"axG",@progbits,_ZN7rocprim17ROCPRIM_400000_NS6detail17trampoline_kernelINS0_14default_configENS1_37merge_sort_block_sort_config_selectorIyNS0_10empty_typeEEEZNS1_21merge_sort_block_sortIS3_N6thrust23THRUST_200600_302600_NS6detail15normal_iteratorINS9_10device_ptrIyEEEESE_PS5_SF_14custom_greaterIyEEE10hipError_tT0_T1_T2_T3_mRjT4_P12ihipStream_tbNS1_7vsmem_tEEUlT_E_NS1_11comp_targetILNS1_3genE9ELNS1_11target_archE1100ELNS1_3gpuE3ELNS1_3repE0EEENS1_30default_config_static_selectorELNS0_4arch9wavefront6targetE1EEEvSK_,comdat
	.protected	_ZN7rocprim17ROCPRIM_400000_NS6detail17trampoline_kernelINS0_14default_configENS1_37merge_sort_block_sort_config_selectorIyNS0_10empty_typeEEEZNS1_21merge_sort_block_sortIS3_N6thrust23THRUST_200600_302600_NS6detail15normal_iteratorINS9_10device_ptrIyEEEESE_PS5_SF_14custom_greaterIyEEE10hipError_tT0_T1_T2_T3_mRjT4_P12ihipStream_tbNS1_7vsmem_tEEUlT_E_NS1_11comp_targetILNS1_3genE9ELNS1_11target_archE1100ELNS1_3gpuE3ELNS1_3repE0EEENS1_30default_config_static_selectorELNS0_4arch9wavefront6targetE1EEEvSK_ ; -- Begin function _ZN7rocprim17ROCPRIM_400000_NS6detail17trampoline_kernelINS0_14default_configENS1_37merge_sort_block_sort_config_selectorIyNS0_10empty_typeEEEZNS1_21merge_sort_block_sortIS3_N6thrust23THRUST_200600_302600_NS6detail15normal_iteratorINS9_10device_ptrIyEEEESE_PS5_SF_14custom_greaterIyEEE10hipError_tT0_T1_T2_T3_mRjT4_P12ihipStream_tbNS1_7vsmem_tEEUlT_E_NS1_11comp_targetILNS1_3genE9ELNS1_11target_archE1100ELNS1_3gpuE3ELNS1_3repE0EEENS1_30default_config_static_selectorELNS0_4arch9wavefront6targetE1EEEvSK_
	.globl	_ZN7rocprim17ROCPRIM_400000_NS6detail17trampoline_kernelINS0_14default_configENS1_37merge_sort_block_sort_config_selectorIyNS0_10empty_typeEEEZNS1_21merge_sort_block_sortIS3_N6thrust23THRUST_200600_302600_NS6detail15normal_iteratorINS9_10device_ptrIyEEEESE_PS5_SF_14custom_greaterIyEEE10hipError_tT0_T1_T2_T3_mRjT4_P12ihipStream_tbNS1_7vsmem_tEEUlT_E_NS1_11comp_targetILNS1_3genE9ELNS1_11target_archE1100ELNS1_3gpuE3ELNS1_3repE0EEENS1_30default_config_static_selectorELNS0_4arch9wavefront6targetE1EEEvSK_
	.p2align	8
	.type	_ZN7rocprim17ROCPRIM_400000_NS6detail17trampoline_kernelINS0_14default_configENS1_37merge_sort_block_sort_config_selectorIyNS0_10empty_typeEEEZNS1_21merge_sort_block_sortIS3_N6thrust23THRUST_200600_302600_NS6detail15normal_iteratorINS9_10device_ptrIyEEEESE_PS5_SF_14custom_greaterIyEEE10hipError_tT0_T1_T2_T3_mRjT4_P12ihipStream_tbNS1_7vsmem_tEEUlT_E_NS1_11comp_targetILNS1_3genE9ELNS1_11target_archE1100ELNS1_3gpuE3ELNS1_3repE0EEENS1_30default_config_static_selectorELNS0_4arch9wavefront6targetE1EEEvSK_,@function
_ZN7rocprim17ROCPRIM_400000_NS6detail17trampoline_kernelINS0_14default_configENS1_37merge_sort_block_sort_config_selectorIyNS0_10empty_typeEEEZNS1_21merge_sort_block_sortIS3_N6thrust23THRUST_200600_302600_NS6detail15normal_iteratorINS9_10device_ptrIyEEEESE_PS5_SF_14custom_greaterIyEEE10hipError_tT0_T1_T2_T3_mRjT4_P12ihipStream_tbNS1_7vsmem_tEEUlT_E_NS1_11comp_targetILNS1_3genE9ELNS1_11target_archE1100ELNS1_3gpuE3ELNS1_3repE0EEENS1_30default_config_static_selectorELNS0_4arch9wavefront6targetE1EEEvSK_: ; @_ZN7rocprim17ROCPRIM_400000_NS6detail17trampoline_kernelINS0_14default_configENS1_37merge_sort_block_sort_config_selectorIyNS0_10empty_typeEEEZNS1_21merge_sort_block_sortIS3_N6thrust23THRUST_200600_302600_NS6detail15normal_iteratorINS9_10device_ptrIyEEEESE_PS5_SF_14custom_greaterIyEEE10hipError_tT0_T1_T2_T3_mRjT4_P12ihipStream_tbNS1_7vsmem_tEEUlT_E_NS1_11comp_targetILNS1_3genE9ELNS1_11target_archE1100ELNS1_3gpuE3ELNS1_3repE0EEENS1_30default_config_static_selectorELNS0_4arch9wavefront6targetE1EEEvSK_
; %bb.0:
	.section	.rodata,"a",@progbits
	.p2align	6, 0x0
	.amdhsa_kernel _ZN7rocprim17ROCPRIM_400000_NS6detail17trampoline_kernelINS0_14default_configENS1_37merge_sort_block_sort_config_selectorIyNS0_10empty_typeEEEZNS1_21merge_sort_block_sortIS3_N6thrust23THRUST_200600_302600_NS6detail15normal_iteratorINS9_10device_ptrIyEEEESE_PS5_SF_14custom_greaterIyEEE10hipError_tT0_T1_T2_T3_mRjT4_P12ihipStream_tbNS1_7vsmem_tEEUlT_E_NS1_11comp_targetILNS1_3genE9ELNS1_11target_archE1100ELNS1_3gpuE3ELNS1_3repE0EEENS1_30default_config_static_selectorELNS0_4arch9wavefront6targetE1EEEvSK_
		.amdhsa_group_segment_fixed_size 0
		.amdhsa_private_segment_fixed_size 0
		.amdhsa_kernarg_size 64
		.amdhsa_user_sgpr_count 6
		.amdhsa_user_sgpr_private_segment_buffer 1
		.amdhsa_user_sgpr_dispatch_ptr 0
		.amdhsa_user_sgpr_queue_ptr 0
		.amdhsa_user_sgpr_kernarg_segment_ptr 1
		.amdhsa_user_sgpr_dispatch_id 0
		.amdhsa_user_sgpr_flat_scratch_init 0
		.amdhsa_user_sgpr_kernarg_preload_length 0
		.amdhsa_user_sgpr_kernarg_preload_offset 0
		.amdhsa_user_sgpr_private_segment_size 0
		.amdhsa_uses_dynamic_stack 0
		.amdhsa_system_sgpr_private_segment_wavefront_offset 0
		.amdhsa_system_sgpr_workgroup_id_x 1
		.amdhsa_system_sgpr_workgroup_id_y 0
		.amdhsa_system_sgpr_workgroup_id_z 0
		.amdhsa_system_sgpr_workgroup_info 0
		.amdhsa_system_vgpr_workitem_id 0
		.amdhsa_next_free_vgpr 1
		.amdhsa_next_free_sgpr 0
		.amdhsa_accum_offset 4
		.amdhsa_reserve_vcc 0
		.amdhsa_reserve_flat_scratch 0
		.amdhsa_float_round_mode_32 0
		.amdhsa_float_round_mode_16_64 0
		.amdhsa_float_denorm_mode_32 3
		.amdhsa_float_denorm_mode_16_64 3
		.amdhsa_dx10_clamp 1
		.amdhsa_ieee_mode 1
		.amdhsa_fp16_overflow 0
		.amdhsa_tg_split 0
		.amdhsa_exception_fp_ieee_invalid_op 0
		.amdhsa_exception_fp_denorm_src 0
		.amdhsa_exception_fp_ieee_div_zero 0
		.amdhsa_exception_fp_ieee_overflow 0
		.amdhsa_exception_fp_ieee_underflow 0
		.amdhsa_exception_fp_ieee_inexact 0
		.amdhsa_exception_int_div_zero 0
	.end_amdhsa_kernel
	.section	.text._ZN7rocprim17ROCPRIM_400000_NS6detail17trampoline_kernelINS0_14default_configENS1_37merge_sort_block_sort_config_selectorIyNS0_10empty_typeEEEZNS1_21merge_sort_block_sortIS3_N6thrust23THRUST_200600_302600_NS6detail15normal_iteratorINS9_10device_ptrIyEEEESE_PS5_SF_14custom_greaterIyEEE10hipError_tT0_T1_T2_T3_mRjT4_P12ihipStream_tbNS1_7vsmem_tEEUlT_E_NS1_11comp_targetILNS1_3genE9ELNS1_11target_archE1100ELNS1_3gpuE3ELNS1_3repE0EEENS1_30default_config_static_selectorELNS0_4arch9wavefront6targetE1EEEvSK_,"axG",@progbits,_ZN7rocprim17ROCPRIM_400000_NS6detail17trampoline_kernelINS0_14default_configENS1_37merge_sort_block_sort_config_selectorIyNS0_10empty_typeEEEZNS1_21merge_sort_block_sortIS3_N6thrust23THRUST_200600_302600_NS6detail15normal_iteratorINS9_10device_ptrIyEEEESE_PS5_SF_14custom_greaterIyEEE10hipError_tT0_T1_T2_T3_mRjT4_P12ihipStream_tbNS1_7vsmem_tEEUlT_E_NS1_11comp_targetILNS1_3genE9ELNS1_11target_archE1100ELNS1_3gpuE3ELNS1_3repE0EEENS1_30default_config_static_selectorELNS0_4arch9wavefront6targetE1EEEvSK_,comdat
.Lfunc_end3461:
	.size	_ZN7rocprim17ROCPRIM_400000_NS6detail17trampoline_kernelINS0_14default_configENS1_37merge_sort_block_sort_config_selectorIyNS0_10empty_typeEEEZNS1_21merge_sort_block_sortIS3_N6thrust23THRUST_200600_302600_NS6detail15normal_iteratorINS9_10device_ptrIyEEEESE_PS5_SF_14custom_greaterIyEEE10hipError_tT0_T1_T2_T3_mRjT4_P12ihipStream_tbNS1_7vsmem_tEEUlT_E_NS1_11comp_targetILNS1_3genE9ELNS1_11target_archE1100ELNS1_3gpuE3ELNS1_3repE0EEENS1_30default_config_static_selectorELNS0_4arch9wavefront6targetE1EEEvSK_, .Lfunc_end3461-_ZN7rocprim17ROCPRIM_400000_NS6detail17trampoline_kernelINS0_14default_configENS1_37merge_sort_block_sort_config_selectorIyNS0_10empty_typeEEEZNS1_21merge_sort_block_sortIS3_N6thrust23THRUST_200600_302600_NS6detail15normal_iteratorINS9_10device_ptrIyEEEESE_PS5_SF_14custom_greaterIyEEE10hipError_tT0_T1_T2_T3_mRjT4_P12ihipStream_tbNS1_7vsmem_tEEUlT_E_NS1_11comp_targetILNS1_3genE9ELNS1_11target_archE1100ELNS1_3gpuE3ELNS1_3repE0EEENS1_30default_config_static_selectorELNS0_4arch9wavefront6targetE1EEEvSK_
                                        ; -- End function
	.section	.AMDGPU.csdata,"",@progbits
; Kernel info:
; codeLenInByte = 0
; NumSgprs: 4
; NumVgprs: 0
; NumAgprs: 0
; TotalNumVgprs: 0
; ScratchSize: 0
; MemoryBound: 0
; FloatMode: 240
; IeeeMode: 1
; LDSByteSize: 0 bytes/workgroup (compile time only)
; SGPRBlocks: 0
; VGPRBlocks: 0
; NumSGPRsForWavesPerEU: 4
; NumVGPRsForWavesPerEU: 1
; AccumOffset: 4
; Occupancy: 8
; WaveLimiterHint : 0
; COMPUTE_PGM_RSRC2:SCRATCH_EN: 0
; COMPUTE_PGM_RSRC2:USER_SGPR: 6
; COMPUTE_PGM_RSRC2:TRAP_HANDLER: 0
; COMPUTE_PGM_RSRC2:TGID_X_EN: 1
; COMPUTE_PGM_RSRC2:TGID_Y_EN: 0
; COMPUTE_PGM_RSRC2:TGID_Z_EN: 0
; COMPUTE_PGM_RSRC2:TIDIG_COMP_CNT: 0
; COMPUTE_PGM_RSRC3_GFX90A:ACCUM_OFFSET: 0
; COMPUTE_PGM_RSRC3_GFX90A:TG_SPLIT: 0
	.section	.text._ZN7rocprim17ROCPRIM_400000_NS6detail17trampoline_kernelINS0_14default_configENS1_37merge_sort_block_sort_config_selectorIyNS0_10empty_typeEEEZNS1_21merge_sort_block_sortIS3_N6thrust23THRUST_200600_302600_NS6detail15normal_iteratorINS9_10device_ptrIyEEEESE_PS5_SF_14custom_greaterIyEEE10hipError_tT0_T1_T2_T3_mRjT4_P12ihipStream_tbNS1_7vsmem_tEEUlT_E_NS1_11comp_targetILNS1_3genE8ELNS1_11target_archE1030ELNS1_3gpuE2ELNS1_3repE0EEENS1_30default_config_static_selectorELNS0_4arch9wavefront6targetE1EEEvSK_,"axG",@progbits,_ZN7rocprim17ROCPRIM_400000_NS6detail17trampoline_kernelINS0_14default_configENS1_37merge_sort_block_sort_config_selectorIyNS0_10empty_typeEEEZNS1_21merge_sort_block_sortIS3_N6thrust23THRUST_200600_302600_NS6detail15normal_iteratorINS9_10device_ptrIyEEEESE_PS5_SF_14custom_greaterIyEEE10hipError_tT0_T1_T2_T3_mRjT4_P12ihipStream_tbNS1_7vsmem_tEEUlT_E_NS1_11comp_targetILNS1_3genE8ELNS1_11target_archE1030ELNS1_3gpuE2ELNS1_3repE0EEENS1_30default_config_static_selectorELNS0_4arch9wavefront6targetE1EEEvSK_,comdat
	.protected	_ZN7rocprim17ROCPRIM_400000_NS6detail17trampoline_kernelINS0_14default_configENS1_37merge_sort_block_sort_config_selectorIyNS0_10empty_typeEEEZNS1_21merge_sort_block_sortIS3_N6thrust23THRUST_200600_302600_NS6detail15normal_iteratorINS9_10device_ptrIyEEEESE_PS5_SF_14custom_greaterIyEEE10hipError_tT0_T1_T2_T3_mRjT4_P12ihipStream_tbNS1_7vsmem_tEEUlT_E_NS1_11comp_targetILNS1_3genE8ELNS1_11target_archE1030ELNS1_3gpuE2ELNS1_3repE0EEENS1_30default_config_static_selectorELNS0_4arch9wavefront6targetE1EEEvSK_ ; -- Begin function _ZN7rocprim17ROCPRIM_400000_NS6detail17trampoline_kernelINS0_14default_configENS1_37merge_sort_block_sort_config_selectorIyNS0_10empty_typeEEEZNS1_21merge_sort_block_sortIS3_N6thrust23THRUST_200600_302600_NS6detail15normal_iteratorINS9_10device_ptrIyEEEESE_PS5_SF_14custom_greaterIyEEE10hipError_tT0_T1_T2_T3_mRjT4_P12ihipStream_tbNS1_7vsmem_tEEUlT_E_NS1_11comp_targetILNS1_3genE8ELNS1_11target_archE1030ELNS1_3gpuE2ELNS1_3repE0EEENS1_30default_config_static_selectorELNS0_4arch9wavefront6targetE1EEEvSK_
	.globl	_ZN7rocprim17ROCPRIM_400000_NS6detail17trampoline_kernelINS0_14default_configENS1_37merge_sort_block_sort_config_selectorIyNS0_10empty_typeEEEZNS1_21merge_sort_block_sortIS3_N6thrust23THRUST_200600_302600_NS6detail15normal_iteratorINS9_10device_ptrIyEEEESE_PS5_SF_14custom_greaterIyEEE10hipError_tT0_T1_T2_T3_mRjT4_P12ihipStream_tbNS1_7vsmem_tEEUlT_E_NS1_11comp_targetILNS1_3genE8ELNS1_11target_archE1030ELNS1_3gpuE2ELNS1_3repE0EEENS1_30default_config_static_selectorELNS0_4arch9wavefront6targetE1EEEvSK_
	.p2align	8
	.type	_ZN7rocprim17ROCPRIM_400000_NS6detail17trampoline_kernelINS0_14default_configENS1_37merge_sort_block_sort_config_selectorIyNS0_10empty_typeEEEZNS1_21merge_sort_block_sortIS3_N6thrust23THRUST_200600_302600_NS6detail15normal_iteratorINS9_10device_ptrIyEEEESE_PS5_SF_14custom_greaterIyEEE10hipError_tT0_T1_T2_T3_mRjT4_P12ihipStream_tbNS1_7vsmem_tEEUlT_E_NS1_11comp_targetILNS1_3genE8ELNS1_11target_archE1030ELNS1_3gpuE2ELNS1_3repE0EEENS1_30default_config_static_selectorELNS0_4arch9wavefront6targetE1EEEvSK_,@function
_ZN7rocprim17ROCPRIM_400000_NS6detail17trampoline_kernelINS0_14default_configENS1_37merge_sort_block_sort_config_selectorIyNS0_10empty_typeEEEZNS1_21merge_sort_block_sortIS3_N6thrust23THRUST_200600_302600_NS6detail15normal_iteratorINS9_10device_ptrIyEEEESE_PS5_SF_14custom_greaterIyEEE10hipError_tT0_T1_T2_T3_mRjT4_P12ihipStream_tbNS1_7vsmem_tEEUlT_E_NS1_11comp_targetILNS1_3genE8ELNS1_11target_archE1030ELNS1_3gpuE2ELNS1_3repE0EEENS1_30default_config_static_selectorELNS0_4arch9wavefront6targetE1EEEvSK_: ; @_ZN7rocprim17ROCPRIM_400000_NS6detail17trampoline_kernelINS0_14default_configENS1_37merge_sort_block_sort_config_selectorIyNS0_10empty_typeEEEZNS1_21merge_sort_block_sortIS3_N6thrust23THRUST_200600_302600_NS6detail15normal_iteratorINS9_10device_ptrIyEEEESE_PS5_SF_14custom_greaterIyEEE10hipError_tT0_T1_T2_T3_mRjT4_P12ihipStream_tbNS1_7vsmem_tEEUlT_E_NS1_11comp_targetILNS1_3genE8ELNS1_11target_archE1030ELNS1_3gpuE2ELNS1_3repE0EEENS1_30default_config_static_selectorELNS0_4arch9wavefront6targetE1EEEvSK_
; %bb.0:
	.section	.rodata,"a",@progbits
	.p2align	6, 0x0
	.amdhsa_kernel _ZN7rocprim17ROCPRIM_400000_NS6detail17trampoline_kernelINS0_14default_configENS1_37merge_sort_block_sort_config_selectorIyNS0_10empty_typeEEEZNS1_21merge_sort_block_sortIS3_N6thrust23THRUST_200600_302600_NS6detail15normal_iteratorINS9_10device_ptrIyEEEESE_PS5_SF_14custom_greaterIyEEE10hipError_tT0_T1_T2_T3_mRjT4_P12ihipStream_tbNS1_7vsmem_tEEUlT_E_NS1_11comp_targetILNS1_3genE8ELNS1_11target_archE1030ELNS1_3gpuE2ELNS1_3repE0EEENS1_30default_config_static_selectorELNS0_4arch9wavefront6targetE1EEEvSK_
		.amdhsa_group_segment_fixed_size 0
		.amdhsa_private_segment_fixed_size 0
		.amdhsa_kernarg_size 64
		.amdhsa_user_sgpr_count 6
		.amdhsa_user_sgpr_private_segment_buffer 1
		.amdhsa_user_sgpr_dispatch_ptr 0
		.amdhsa_user_sgpr_queue_ptr 0
		.amdhsa_user_sgpr_kernarg_segment_ptr 1
		.amdhsa_user_sgpr_dispatch_id 0
		.amdhsa_user_sgpr_flat_scratch_init 0
		.amdhsa_user_sgpr_kernarg_preload_length 0
		.amdhsa_user_sgpr_kernarg_preload_offset 0
		.amdhsa_user_sgpr_private_segment_size 0
		.amdhsa_uses_dynamic_stack 0
		.amdhsa_system_sgpr_private_segment_wavefront_offset 0
		.amdhsa_system_sgpr_workgroup_id_x 1
		.amdhsa_system_sgpr_workgroup_id_y 0
		.amdhsa_system_sgpr_workgroup_id_z 0
		.amdhsa_system_sgpr_workgroup_info 0
		.amdhsa_system_vgpr_workitem_id 0
		.amdhsa_next_free_vgpr 1
		.amdhsa_next_free_sgpr 0
		.amdhsa_accum_offset 4
		.amdhsa_reserve_vcc 0
		.amdhsa_reserve_flat_scratch 0
		.amdhsa_float_round_mode_32 0
		.amdhsa_float_round_mode_16_64 0
		.amdhsa_float_denorm_mode_32 3
		.amdhsa_float_denorm_mode_16_64 3
		.amdhsa_dx10_clamp 1
		.amdhsa_ieee_mode 1
		.amdhsa_fp16_overflow 0
		.amdhsa_tg_split 0
		.amdhsa_exception_fp_ieee_invalid_op 0
		.amdhsa_exception_fp_denorm_src 0
		.amdhsa_exception_fp_ieee_div_zero 0
		.amdhsa_exception_fp_ieee_overflow 0
		.amdhsa_exception_fp_ieee_underflow 0
		.amdhsa_exception_fp_ieee_inexact 0
		.amdhsa_exception_int_div_zero 0
	.end_amdhsa_kernel
	.section	.text._ZN7rocprim17ROCPRIM_400000_NS6detail17trampoline_kernelINS0_14default_configENS1_37merge_sort_block_sort_config_selectorIyNS0_10empty_typeEEEZNS1_21merge_sort_block_sortIS3_N6thrust23THRUST_200600_302600_NS6detail15normal_iteratorINS9_10device_ptrIyEEEESE_PS5_SF_14custom_greaterIyEEE10hipError_tT0_T1_T2_T3_mRjT4_P12ihipStream_tbNS1_7vsmem_tEEUlT_E_NS1_11comp_targetILNS1_3genE8ELNS1_11target_archE1030ELNS1_3gpuE2ELNS1_3repE0EEENS1_30default_config_static_selectorELNS0_4arch9wavefront6targetE1EEEvSK_,"axG",@progbits,_ZN7rocprim17ROCPRIM_400000_NS6detail17trampoline_kernelINS0_14default_configENS1_37merge_sort_block_sort_config_selectorIyNS0_10empty_typeEEEZNS1_21merge_sort_block_sortIS3_N6thrust23THRUST_200600_302600_NS6detail15normal_iteratorINS9_10device_ptrIyEEEESE_PS5_SF_14custom_greaterIyEEE10hipError_tT0_T1_T2_T3_mRjT4_P12ihipStream_tbNS1_7vsmem_tEEUlT_E_NS1_11comp_targetILNS1_3genE8ELNS1_11target_archE1030ELNS1_3gpuE2ELNS1_3repE0EEENS1_30default_config_static_selectorELNS0_4arch9wavefront6targetE1EEEvSK_,comdat
.Lfunc_end3462:
	.size	_ZN7rocprim17ROCPRIM_400000_NS6detail17trampoline_kernelINS0_14default_configENS1_37merge_sort_block_sort_config_selectorIyNS0_10empty_typeEEEZNS1_21merge_sort_block_sortIS3_N6thrust23THRUST_200600_302600_NS6detail15normal_iteratorINS9_10device_ptrIyEEEESE_PS5_SF_14custom_greaterIyEEE10hipError_tT0_T1_T2_T3_mRjT4_P12ihipStream_tbNS1_7vsmem_tEEUlT_E_NS1_11comp_targetILNS1_3genE8ELNS1_11target_archE1030ELNS1_3gpuE2ELNS1_3repE0EEENS1_30default_config_static_selectorELNS0_4arch9wavefront6targetE1EEEvSK_, .Lfunc_end3462-_ZN7rocprim17ROCPRIM_400000_NS6detail17trampoline_kernelINS0_14default_configENS1_37merge_sort_block_sort_config_selectorIyNS0_10empty_typeEEEZNS1_21merge_sort_block_sortIS3_N6thrust23THRUST_200600_302600_NS6detail15normal_iteratorINS9_10device_ptrIyEEEESE_PS5_SF_14custom_greaterIyEEE10hipError_tT0_T1_T2_T3_mRjT4_P12ihipStream_tbNS1_7vsmem_tEEUlT_E_NS1_11comp_targetILNS1_3genE8ELNS1_11target_archE1030ELNS1_3gpuE2ELNS1_3repE0EEENS1_30default_config_static_selectorELNS0_4arch9wavefront6targetE1EEEvSK_
                                        ; -- End function
	.section	.AMDGPU.csdata,"",@progbits
; Kernel info:
; codeLenInByte = 0
; NumSgprs: 4
; NumVgprs: 0
; NumAgprs: 0
; TotalNumVgprs: 0
; ScratchSize: 0
; MemoryBound: 0
; FloatMode: 240
; IeeeMode: 1
; LDSByteSize: 0 bytes/workgroup (compile time only)
; SGPRBlocks: 0
; VGPRBlocks: 0
; NumSGPRsForWavesPerEU: 4
; NumVGPRsForWavesPerEU: 1
; AccumOffset: 4
; Occupancy: 8
; WaveLimiterHint : 0
; COMPUTE_PGM_RSRC2:SCRATCH_EN: 0
; COMPUTE_PGM_RSRC2:USER_SGPR: 6
; COMPUTE_PGM_RSRC2:TRAP_HANDLER: 0
; COMPUTE_PGM_RSRC2:TGID_X_EN: 1
; COMPUTE_PGM_RSRC2:TGID_Y_EN: 0
; COMPUTE_PGM_RSRC2:TGID_Z_EN: 0
; COMPUTE_PGM_RSRC2:TIDIG_COMP_CNT: 0
; COMPUTE_PGM_RSRC3_GFX90A:ACCUM_OFFSET: 0
; COMPUTE_PGM_RSRC3_GFX90A:TG_SPLIT: 0
	.section	.text._ZN7rocprim17ROCPRIM_400000_NS6detail17trampoline_kernelINS0_14default_configENS1_38merge_sort_block_merge_config_selectorIyNS0_10empty_typeEEEZZNS1_27merge_sort_block_merge_implIS3_N6thrust23THRUST_200600_302600_NS6detail15normal_iteratorINS9_10device_ptrIyEEEEPS5_m14custom_greaterIyEEE10hipError_tT0_T1_T2_jT3_P12ihipStream_tbPNSt15iterator_traitsISJ_E10value_typeEPNSP_ISK_E10value_typeEPSL_NS1_7vsmem_tEENKUlT_SJ_SK_SL_E_clIPySE_SF_SF_EESI_SY_SJ_SK_SL_EUlSY_E_NS1_11comp_targetILNS1_3genE0ELNS1_11target_archE4294967295ELNS1_3gpuE0ELNS1_3repE0EEENS1_48merge_mergepath_partition_config_static_selectorELNS0_4arch9wavefront6targetE1EEEvSK_,"axG",@progbits,_ZN7rocprim17ROCPRIM_400000_NS6detail17trampoline_kernelINS0_14default_configENS1_38merge_sort_block_merge_config_selectorIyNS0_10empty_typeEEEZZNS1_27merge_sort_block_merge_implIS3_N6thrust23THRUST_200600_302600_NS6detail15normal_iteratorINS9_10device_ptrIyEEEEPS5_m14custom_greaterIyEEE10hipError_tT0_T1_T2_jT3_P12ihipStream_tbPNSt15iterator_traitsISJ_E10value_typeEPNSP_ISK_E10value_typeEPSL_NS1_7vsmem_tEENKUlT_SJ_SK_SL_E_clIPySE_SF_SF_EESI_SY_SJ_SK_SL_EUlSY_E_NS1_11comp_targetILNS1_3genE0ELNS1_11target_archE4294967295ELNS1_3gpuE0ELNS1_3repE0EEENS1_48merge_mergepath_partition_config_static_selectorELNS0_4arch9wavefront6targetE1EEEvSK_,comdat
	.protected	_ZN7rocprim17ROCPRIM_400000_NS6detail17trampoline_kernelINS0_14default_configENS1_38merge_sort_block_merge_config_selectorIyNS0_10empty_typeEEEZZNS1_27merge_sort_block_merge_implIS3_N6thrust23THRUST_200600_302600_NS6detail15normal_iteratorINS9_10device_ptrIyEEEEPS5_m14custom_greaterIyEEE10hipError_tT0_T1_T2_jT3_P12ihipStream_tbPNSt15iterator_traitsISJ_E10value_typeEPNSP_ISK_E10value_typeEPSL_NS1_7vsmem_tEENKUlT_SJ_SK_SL_E_clIPySE_SF_SF_EESI_SY_SJ_SK_SL_EUlSY_E_NS1_11comp_targetILNS1_3genE0ELNS1_11target_archE4294967295ELNS1_3gpuE0ELNS1_3repE0EEENS1_48merge_mergepath_partition_config_static_selectorELNS0_4arch9wavefront6targetE1EEEvSK_ ; -- Begin function _ZN7rocprim17ROCPRIM_400000_NS6detail17trampoline_kernelINS0_14default_configENS1_38merge_sort_block_merge_config_selectorIyNS0_10empty_typeEEEZZNS1_27merge_sort_block_merge_implIS3_N6thrust23THRUST_200600_302600_NS6detail15normal_iteratorINS9_10device_ptrIyEEEEPS5_m14custom_greaterIyEEE10hipError_tT0_T1_T2_jT3_P12ihipStream_tbPNSt15iterator_traitsISJ_E10value_typeEPNSP_ISK_E10value_typeEPSL_NS1_7vsmem_tEENKUlT_SJ_SK_SL_E_clIPySE_SF_SF_EESI_SY_SJ_SK_SL_EUlSY_E_NS1_11comp_targetILNS1_3genE0ELNS1_11target_archE4294967295ELNS1_3gpuE0ELNS1_3repE0EEENS1_48merge_mergepath_partition_config_static_selectorELNS0_4arch9wavefront6targetE1EEEvSK_
	.globl	_ZN7rocprim17ROCPRIM_400000_NS6detail17trampoline_kernelINS0_14default_configENS1_38merge_sort_block_merge_config_selectorIyNS0_10empty_typeEEEZZNS1_27merge_sort_block_merge_implIS3_N6thrust23THRUST_200600_302600_NS6detail15normal_iteratorINS9_10device_ptrIyEEEEPS5_m14custom_greaterIyEEE10hipError_tT0_T1_T2_jT3_P12ihipStream_tbPNSt15iterator_traitsISJ_E10value_typeEPNSP_ISK_E10value_typeEPSL_NS1_7vsmem_tEENKUlT_SJ_SK_SL_E_clIPySE_SF_SF_EESI_SY_SJ_SK_SL_EUlSY_E_NS1_11comp_targetILNS1_3genE0ELNS1_11target_archE4294967295ELNS1_3gpuE0ELNS1_3repE0EEENS1_48merge_mergepath_partition_config_static_selectorELNS0_4arch9wavefront6targetE1EEEvSK_
	.p2align	8
	.type	_ZN7rocprim17ROCPRIM_400000_NS6detail17trampoline_kernelINS0_14default_configENS1_38merge_sort_block_merge_config_selectorIyNS0_10empty_typeEEEZZNS1_27merge_sort_block_merge_implIS3_N6thrust23THRUST_200600_302600_NS6detail15normal_iteratorINS9_10device_ptrIyEEEEPS5_m14custom_greaterIyEEE10hipError_tT0_T1_T2_jT3_P12ihipStream_tbPNSt15iterator_traitsISJ_E10value_typeEPNSP_ISK_E10value_typeEPSL_NS1_7vsmem_tEENKUlT_SJ_SK_SL_E_clIPySE_SF_SF_EESI_SY_SJ_SK_SL_EUlSY_E_NS1_11comp_targetILNS1_3genE0ELNS1_11target_archE4294967295ELNS1_3gpuE0ELNS1_3repE0EEENS1_48merge_mergepath_partition_config_static_selectorELNS0_4arch9wavefront6targetE1EEEvSK_,@function
_ZN7rocprim17ROCPRIM_400000_NS6detail17trampoline_kernelINS0_14default_configENS1_38merge_sort_block_merge_config_selectorIyNS0_10empty_typeEEEZZNS1_27merge_sort_block_merge_implIS3_N6thrust23THRUST_200600_302600_NS6detail15normal_iteratorINS9_10device_ptrIyEEEEPS5_m14custom_greaterIyEEE10hipError_tT0_T1_T2_jT3_P12ihipStream_tbPNSt15iterator_traitsISJ_E10value_typeEPNSP_ISK_E10value_typeEPSL_NS1_7vsmem_tEENKUlT_SJ_SK_SL_E_clIPySE_SF_SF_EESI_SY_SJ_SK_SL_EUlSY_E_NS1_11comp_targetILNS1_3genE0ELNS1_11target_archE4294967295ELNS1_3gpuE0ELNS1_3repE0EEENS1_48merge_mergepath_partition_config_static_selectorELNS0_4arch9wavefront6targetE1EEEvSK_: ; @_ZN7rocprim17ROCPRIM_400000_NS6detail17trampoline_kernelINS0_14default_configENS1_38merge_sort_block_merge_config_selectorIyNS0_10empty_typeEEEZZNS1_27merge_sort_block_merge_implIS3_N6thrust23THRUST_200600_302600_NS6detail15normal_iteratorINS9_10device_ptrIyEEEEPS5_m14custom_greaterIyEEE10hipError_tT0_T1_T2_jT3_P12ihipStream_tbPNSt15iterator_traitsISJ_E10value_typeEPNSP_ISK_E10value_typeEPSL_NS1_7vsmem_tEENKUlT_SJ_SK_SL_E_clIPySE_SF_SF_EESI_SY_SJ_SK_SL_EUlSY_E_NS1_11comp_targetILNS1_3genE0ELNS1_11target_archE4294967295ELNS1_3gpuE0ELNS1_3repE0EEENS1_48merge_mergepath_partition_config_static_selectorELNS0_4arch9wavefront6targetE1EEEvSK_
; %bb.0:
	.section	.rodata,"a",@progbits
	.p2align	6, 0x0
	.amdhsa_kernel _ZN7rocprim17ROCPRIM_400000_NS6detail17trampoline_kernelINS0_14default_configENS1_38merge_sort_block_merge_config_selectorIyNS0_10empty_typeEEEZZNS1_27merge_sort_block_merge_implIS3_N6thrust23THRUST_200600_302600_NS6detail15normal_iteratorINS9_10device_ptrIyEEEEPS5_m14custom_greaterIyEEE10hipError_tT0_T1_T2_jT3_P12ihipStream_tbPNSt15iterator_traitsISJ_E10value_typeEPNSP_ISK_E10value_typeEPSL_NS1_7vsmem_tEENKUlT_SJ_SK_SL_E_clIPySE_SF_SF_EESI_SY_SJ_SK_SL_EUlSY_E_NS1_11comp_targetILNS1_3genE0ELNS1_11target_archE4294967295ELNS1_3gpuE0ELNS1_3repE0EEENS1_48merge_mergepath_partition_config_static_selectorELNS0_4arch9wavefront6targetE1EEEvSK_
		.amdhsa_group_segment_fixed_size 0
		.amdhsa_private_segment_fixed_size 0
		.amdhsa_kernarg_size 48
		.amdhsa_user_sgpr_count 6
		.amdhsa_user_sgpr_private_segment_buffer 1
		.amdhsa_user_sgpr_dispatch_ptr 0
		.amdhsa_user_sgpr_queue_ptr 0
		.amdhsa_user_sgpr_kernarg_segment_ptr 1
		.amdhsa_user_sgpr_dispatch_id 0
		.amdhsa_user_sgpr_flat_scratch_init 0
		.amdhsa_user_sgpr_kernarg_preload_length 0
		.amdhsa_user_sgpr_kernarg_preload_offset 0
		.amdhsa_user_sgpr_private_segment_size 0
		.amdhsa_uses_dynamic_stack 0
		.amdhsa_system_sgpr_private_segment_wavefront_offset 0
		.amdhsa_system_sgpr_workgroup_id_x 1
		.amdhsa_system_sgpr_workgroup_id_y 0
		.amdhsa_system_sgpr_workgroup_id_z 0
		.amdhsa_system_sgpr_workgroup_info 0
		.amdhsa_system_vgpr_workitem_id 0
		.amdhsa_next_free_vgpr 1
		.amdhsa_next_free_sgpr 0
		.amdhsa_accum_offset 4
		.amdhsa_reserve_vcc 0
		.amdhsa_reserve_flat_scratch 0
		.amdhsa_float_round_mode_32 0
		.amdhsa_float_round_mode_16_64 0
		.amdhsa_float_denorm_mode_32 3
		.amdhsa_float_denorm_mode_16_64 3
		.amdhsa_dx10_clamp 1
		.amdhsa_ieee_mode 1
		.amdhsa_fp16_overflow 0
		.amdhsa_tg_split 0
		.amdhsa_exception_fp_ieee_invalid_op 0
		.amdhsa_exception_fp_denorm_src 0
		.amdhsa_exception_fp_ieee_div_zero 0
		.amdhsa_exception_fp_ieee_overflow 0
		.amdhsa_exception_fp_ieee_underflow 0
		.amdhsa_exception_fp_ieee_inexact 0
		.amdhsa_exception_int_div_zero 0
	.end_amdhsa_kernel
	.section	.text._ZN7rocprim17ROCPRIM_400000_NS6detail17trampoline_kernelINS0_14default_configENS1_38merge_sort_block_merge_config_selectorIyNS0_10empty_typeEEEZZNS1_27merge_sort_block_merge_implIS3_N6thrust23THRUST_200600_302600_NS6detail15normal_iteratorINS9_10device_ptrIyEEEEPS5_m14custom_greaterIyEEE10hipError_tT0_T1_T2_jT3_P12ihipStream_tbPNSt15iterator_traitsISJ_E10value_typeEPNSP_ISK_E10value_typeEPSL_NS1_7vsmem_tEENKUlT_SJ_SK_SL_E_clIPySE_SF_SF_EESI_SY_SJ_SK_SL_EUlSY_E_NS1_11comp_targetILNS1_3genE0ELNS1_11target_archE4294967295ELNS1_3gpuE0ELNS1_3repE0EEENS1_48merge_mergepath_partition_config_static_selectorELNS0_4arch9wavefront6targetE1EEEvSK_,"axG",@progbits,_ZN7rocprim17ROCPRIM_400000_NS6detail17trampoline_kernelINS0_14default_configENS1_38merge_sort_block_merge_config_selectorIyNS0_10empty_typeEEEZZNS1_27merge_sort_block_merge_implIS3_N6thrust23THRUST_200600_302600_NS6detail15normal_iteratorINS9_10device_ptrIyEEEEPS5_m14custom_greaterIyEEE10hipError_tT0_T1_T2_jT3_P12ihipStream_tbPNSt15iterator_traitsISJ_E10value_typeEPNSP_ISK_E10value_typeEPSL_NS1_7vsmem_tEENKUlT_SJ_SK_SL_E_clIPySE_SF_SF_EESI_SY_SJ_SK_SL_EUlSY_E_NS1_11comp_targetILNS1_3genE0ELNS1_11target_archE4294967295ELNS1_3gpuE0ELNS1_3repE0EEENS1_48merge_mergepath_partition_config_static_selectorELNS0_4arch9wavefront6targetE1EEEvSK_,comdat
.Lfunc_end3463:
	.size	_ZN7rocprim17ROCPRIM_400000_NS6detail17trampoline_kernelINS0_14default_configENS1_38merge_sort_block_merge_config_selectorIyNS0_10empty_typeEEEZZNS1_27merge_sort_block_merge_implIS3_N6thrust23THRUST_200600_302600_NS6detail15normal_iteratorINS9_10device_ptrIyEEEEPS5_m14custom_greaterIyEEE10hipError_tT0_T1_T2_jT3_P12ihipStream_tbPNSt15iterator_traitsISJ_E10value_typeEPNSP_ISK_E10value_typeEPSL_NS1_7vsmem_tEENKUlT_SJ_SK_SL_E_clIPySE_SF_SF_EESI_SY_SJ_SK_SL_EUlSY_E_NS1_11comp_targetILNS1_3genE0ELNS1_11target_archE4294967295ELNS1_3gpuE0ELNS1_3repE0EEENS1_48merge_mergepath_partition_config_static_selectorELNS0_4arch9wavefront6targetE1EEEvSK_, .Lfunc_end3463-_ZN7rocprim17ROCPRIM_400000_NS6detail17trampoline_kernelINS0_14default_configENS1_38merge_sort_block_merge_config_selectorIyNS0_10empty_typeEEEZZNS1_27merge_sort_block_merge_implIS3_N6thrust23THRUST_200600_302600_NS6detail15normal_iteratorINS9_10device_ptrIyEEEEPS5_m14custom_greaterIyEEE10hipError_tT0_T1_T2_jT3_P12ihipStream_tbPNSt15iterator_traitsISJ_E10value_typeEPNSP_ISK_E10value_typeEPSL_NS1_7vsmem_tEENKUlT_SJ_SK_SL_E_clIPySE_SF_SF_EESI_SY_SJ_SK_SL_EUlSY_E_NS1_11comp_targetILNS1_3genE0ELNS1_11target_archE4294967295ELNS1_3gpuE0ELNS1_3repE0EEENS1_48merge_mergepath_partition_config_static_selectorELNS0_4arch9wavefront6targetE1EEEvSK_
                                        ; -- End function
	.section	.AMDGPU.csdata,"",@progbits
; Kernel info:
; codeLenInByte = 0
; NumSgprs: 4
; NumVgprs: 0
; NumAgprs: 0
; TotalNumVgprs: 0
; ScratchSize: 0
; MemoryBound: 0
; FloatMode: 240
; IeeeMode: 1
; LDSByteSize: 0 bytes/workgroup (compile time only)
; SGPRBlocks: 0
; VGPRBlocks: 0
; NumSGPRsForWavesPerEU: 4
; NumVGPRsForWavesPerEU: 1
; AccumOffset: 4
; Occupancy: 8
; WaveLimiterHint : 0
; COMPUTE_PGM_RSRC2:SCRATCH_EN: 0
; COMPUTE_PGM_RSRC2:USER_SGPR: 6
; COMPUTE_PGM_RSRC2:TRAP_HANDLER: 0
; COMPUTE_PGM_RSRC2:TGID_X_EN: 1
; COMPUTE_PGM_RSRC2:TGID_Y_EN: 0
; COMPUTE_PGM_RSRC2:TGID_Z_EN: 0
; COMPUTE_PGM_RSRC2:TIDIG_COMP_CNT: 0
; COMPUTE_PGM_RSRC3_GFX90A:ACCUM_OFFSET: 0
; COMPUTE_PGM_RSRC3_GFX90A:TG_SPLIT: 0
	.section	.text._ZN7rocprim17ROCPRIM_400000_NS6detail17trampoline_kernelINS0_14default_configENS1_38merge_sort_block_merge_config_selectorIyNS0_10empty_typeEEEZZNS1_27merge_sort_block_merge_implIS3_N6thrust23THRUST_200600_302600_NS6detail15normal_iteratorINS9_10device_ptrIyEEEEPS5_m14custom_greaterIyEEE10hipError_tT0_T1_T2_jT3_P12ihipStream_tbPNSt15iterator_traitsISJ_E10value_typeEPNSP_ISK_E10value_typeEPSL_NS1_7vsmem_tEENKUlT_SJ_SK_SL_E_clIPySE_SF_SF_EESI_SY_SJ_SK_SL_EUlSY_E_NS1_11comp_targetILNS1_3genE10ELNS1_11target_archE1201ELNS1_3gpuE5ELNS1_3repE0EEENS1_48merge_mergepath_partition_config_static_selectorELNS0_4arch9wavefront6targetE1EEEvSK_,"axG",@progbits,_ZN7rocprim17ROCPRIM_400000_NS6detail17trampoline_kernelINS0_14default_configENS1_38merge_sort_block_merge_config_selectorIyNS0_10empty_typeEEEZZNS1_27merge_sort_block_merge_implIS3_N6thrust23THRUST_200600_302600_NS6detail15normal_iteratorINS9_10device_ptrIyEEEEPS5_m14custom_greaterIyEEE10hipError_tT0_T1_T2_jT3_P12ihipStream_tbPNSt15iterator_traitsISJ_E10value_typeEPNSP_ISK_E10value_typeEPSL_NS1_7vsmem_tEENKUlT_SJ_SK_SL_E_clIPySE_SF_SF_EESI_SY_SJ_SK_SL_EUlSY_E_NS1_11comp_targetILNS1_3genE10ELNS1_11target_archE1201ELNS1_3gpuE5ELNS1_3repE0EEENS1_48merge_mergepath_partition_config_static_selectorELNS0_4arch9wavefront6targetE1EEEvSK_,comdat
	.protected	_ZN7rocprim17ROCPRIM_400000_NS6detail17trampoline_kernelINS0_14default_configENS1_38merge_sort_block_merge_config_selectorIyNS0_10empty_typeEEEZZNS1_27merge_sort_block_merge_implIS3_N6thrust23THRUST_200600_302600_NS6detail15normal_iteratorINS9_10device_ptrIyEEEEPS5_m14custom_greaterIyEEE10hipError_tT0_T1_T2_jT3_P12ihipStream_tbPNSt15iterator_traitsISJ_E10value_typeEPNSP_ISK_E10value_typeEPSL_NS1_7vsmem_tEENKUlT_SJ_SK_SL_E_clIPySE_SF_SF_EESI_SY_SJ_SK_SL_EUlSY_E_NS1_11comp_targetILNS1_3genE10ELNS1_11target_archE1201ELNS1_3gpuE5ELNS1_3repE0EEENS1_48merge_mergepath_partition_config_static_selectorELNS0_4arch9wavefront6targetE1EEEvSK_ ; -- Begin function _ZN7rocprim17ROCPRIM_400000_NS6detail17trampoline_kernelINS0_14default_configENS1_38merge_sort_block_merge_config_selectorIyNS0_10empty_typeEEEZZNS1_27merge_sort_block_merge_implIS3_N6thrust23THRUST_200600_302600_NS6detail15normal_iteratorINS9_10device_ptrIyEEEEPS5_m14custom_greaterIyEEE10hipError_tT0_T1_T2_jT3_P12ihipStream_tbPNSt15iterator_traitsISJ_E10value_typeEPNSP_ISK_E10value_typeEPSL_NS1_7vsmem_tEENKUlT_SJ_SK_SL_E_clIPySE_SF_SF_EESI_SY_SJ_SK_SL_EUlSY_E_NS1_11comp_targetILNS1_3genE10ELNS1_11target_archE1201ELNS1_3gpuE5ELNS1_3repE0EEENS1_48merge_mergepath_partition_config_static_selectorELNS0_4arch9wavefront6targetE1EEEvSK_
	.globl	_ZN7rocprim17ROCPRIM_400000_NS6detail17trampoline_kernelINS0_14default_configENS1_38merge_sort_block_merge_config_selectorIyNS0_10empty_typeEEEZZNS1_27merge_sort_block_merge_implIS3_N6thrust23THRUST_200600_302600_NS6detail15normal_iteratorINS9_10device_ptrIyEEEEPS5_m14custom_greaterIyEEE10hipError_tT0_T1_T2_jT3_P12ihipStream_tbPNSt15iterator_traitsISJ_E10value_typeEPNSP_ISK_E10value_typeEPSL_NS1_7vsmem_tEENKUlT_SJ_SK_SL_E_clIPySE_SF_SF_EESI_SY_SJ_SK_SL_EUlSY_E_NS1_11comp_targetILNS1_3genE10ELNS1_11target_archE1201ELNS1_3gpuE5ELNS1_3repE0EEENS1_48merge_mergepath_partition_config_static_selectorELNS0_4arch9wavefront6targetE1EEEvSK_
	.p2align	8
	.type	_ZN7rocprim17ROCPRIM_400000_NS6detail17trampoline_kernelINS0_14default_configENS1_38merge_sort_block_merge_config_selectorIyNS0_10empty_typeEEEZZNS1_27merge_sort_block_merge_implIS3_N6thrust23THRUST_200600_302600_NS6detail15normal_iteratorINS9_10device_ptrIyEEEEPS5_m14custom_greaterIyEEE10hipError_tT0_T1_T2_jT3_P12ihipStream_tbPNSt15iterator_traitsISJ_E10value_typeEPNSP_ISK_E10value_typeEPSL_NS1_7vsmem_tEENKUlT_SJ_SK_SL_E_clIPySE_SF_SF_EESI_SY_SJ_SK_SL_EUlSY_E_NS1_11comp_targetILNS1_3genE10ELNS1_11target_archE1201ELNS1_3gpuE5ELNS1_3repE0EEENS1_48merge_mergepath_partition_config_static_selectorELNS0_4arch9wavefront6targetE1EEEvSK_,@function
_ZN7rocprim17ROCPRIM_400000_NS6detail17trampoline_kernelINS0_14default_configENS1_38merge_sort_block_merge_config_selectorIyNS0_10empty_typeEEEZZNS1_27merge_sort_block_merge_implIS3_N6thrust23THRUST_200600_302600_NS6detail15normal_iteratorINS9_10device_ptrIyEEEEPS5_m14custom_greaterIyEEE10hipError_tT0_T1_T2_jT3_P12ihipStream_tbPNSt15iterator_traitsISJ_E10value_typeEPNSP_ISK_E10value_typeEPSL_NS1_7vsmem_tEENKUlT_SJ_SK_SL_E_clIPySE_SF_SF_EESI_SY_SJ_SK_SL_EUlSY_E_NS1_11comp_targetILNS1_3genE10ELNS1_11target_archE1201ELNS1_3gpuE5ELNS1_3repE0EEENS1_48merge_mergepath_partition_config_static_selectorELNS0_4arch9wavefront6targetE1EEEvSK_: ; @_ZN7rocprim17ROCPRIM_400000_NS6detail17trampoline_kernelINS0_14default_configENS1_38merge_sort_block_merge_config_selectorIyNS0_10empty_typeEEEZZNS1_27merge_sort_block_merge_implIS3_N6thrust23THRUST_200600_302600_NS6detail15normal_iteratorINS9_10device_ptrIyEEEEPS5_m14custom_greaterIyEEE10hipError_tT0_T1_T2_jT3_P12ihipStream_tbPNSt15iterator_traitsISJ_E10value_typeEPNSP_ISK_E10value_typeEPSL_NS1_7vsmem_tEENKUlT_SJ_SK_SL_E_clIPySE_SF_SF_EESI_SY_SJ_SK_SL_EUlSY_E_NS1_11comp_targetILNS1_3genE10ELNS1_11target_archE1201ELNS1_3gpuE5ELNS1_3repE0EEENS1_48merge_mergepath_partition_config_static_selectorELNS0_4arch9wavefront6targetE1EEEvSK_
; %bb.0:
	.section	.rodata,"a",@progbits
	.p2align	6, 0x0
	.amdhsa_kernel _ZN7rocprim17ROCPRIM_400000_NS6detail17trampoline_kernelINS0_14default_configENS1_38merge_sort_block_merge_config_selectorIyNS0_10empty_typeEEEZZNS1_27merge_sort_block_merge_implIS3_N6thrust23THRUST_200600_302600_NS6detail15normal_iteratorINS9_10device_ptrIyEEEEPS5_m14custom_greaterIyEEE10hipError_tT0_T1_T2_jT3_P12ihipStream_tbPNSt15iterator_traitsISJ_E10value_typeEPNSP_ISK_E10value_typeEPSL_NS1_7vsmem_tEENKUlT_SJ_SK_SL_E_clIPySE_SF_SF_EESI_SY_SJ_SK_SL_EUlSY_E_NS1_11comp_targetILNS1_3genE10ELNS1_11target_archE1201ELNS1_3gpuE5ELNS1_3repE0EEENS1_48merge_mergepath_partition_config_static_selectorELNS0_4arch9wavefront6targetE1EEEvSK_
		.amdhsa_group_segment_fixed_size 0
		.amdhsa_private_segment_fixed_size 0
		.amdhsa_kernarg_size 48
		.amdhsa_user_sgpr_count 6
		.amdhsa_user_sgpr_private_segment_buffer 1
		.amdhsa_user_sgpr_dispatch_ptr 0
		.amdhsa_user_sgpr_queue_ptr 0
		.amdhsa_user_sgpr_kernarg_segment_ptr 1
		.amdhsa_user_sgpr_dispatch_id 0
		.amdhsa_user_sgpr_flat_scratch_init 0
		.amdhsa_user_sgpr_kernarg_preload_length 0
		.amdhsa_user_sgpr_kernarg_preload_offset 0
		.amdhsa_user_sgpr_private_segment_size 0
		.amdhsa_uses_dynamic_stack 0
		.amdhsa_system_sgpr_private_segment_wavefront_offset 0
		.amdhsa_system_sgpr_workgroup_id_x 1
		.amdhsa_system_sgpr_workgroup_id_y 0
		.amdhsa_system_sgpr_workgroup_id_z 0
		.amdhsa_system_sgpr_workgroup_info 0
		.amdhsa_system_vgpr_workitem_id 0
		.amdhsa_next_free_vgpr 1
		.amdhsa_next_free_sgpr 0
		.amdhsa_accum_offset 4
		.amdhsa_reserve_vcc 0
		.amdhsa_reserve_flat_scratch 0
		.amdhsa_float_round_mode_32 0
		.amdhsa_float_round_mode_16_64 0
		.amdhsa_float_denorm_mode_32 3
		.amdhsa_float_denorm_mode_16_64 3
		.amdhsa_dx10_clamp 1
		.amdhsa_ieee_mode 1
		.amdhsa_fp16_overflow 0
		.amdhsa_tg_split 0
		.amdhsa_exception_fp_ieee_invalid_op 0
		.amdhsa_exception_fp_denorm_src 0
		.amdhsa_exception_fp_ieee_div_zero 0
		.amdhsa_exception_fp_ieee_overflow 0
		.amdhsa_exception_fp_ieee_underflow 0
		.amdhsa_exception_fp_ieee_inexact 0
		.amdhsa_exception_int_div_zero 0
	.end_amdhsa_kernel
	.section	.text._ZN7rocprim17ROCPRIM_400000_NS6detail17trampoline_kernelINS0_14default_configENS1_38merge_sort_block_merge_config_selectorIyNS0_10empty_typeEEEZZNS1_27merge_sort_block_merge_implIS3_N6thrust23THRUST_200600_302600_NS6detail15normal_iteratorINS9_10device_ptrIyEEEEPS5_m14custom_greaterIyEEE10hipError_tT0_T1_T2_jT3_P12ihipStream_tbPNSt15iterator_traitsISJ_E10value_typeEPNSP_ISK_E10value_typeEPSL_NS1_7vsmem_tEENKUlT_SJ_SK_SL_E_clIPySE_SF_SF_EESI_SY_SJ_SK_SL_EUlSY_E_NS1_11comp_targetILNS1_3genE10ELNS1_11target_archE1201ELNS1_3gpuE5ELNS1_3repE0EEENS1_48merge_mergepath_partition_config_static_selectorELNS0_4arch9wavefront6targetE1EEEvSK_,"axG",@progbits,_ZN7rocprim17ROCPRIM_400000_NS6detail17trampoline_kernelINS0_14default_configENS1_38merge_sort_block_merge_config_selectorIyNS0_10empty_typeEEEZZNS1_27merge_sort_block_merge_implIS3_N6thrust23THRUST_200600_302600_NS6detail15normal_iteratorINS9_10device_ptrIyEEEEPS5_m14custom_greaterIyEEE10hipError_tT0_T1_T2_jT3_P12ihipStream_tbPNSt15iterator_traitsISJ_E10value_typeEPNSP_ISK_E10value_typeEPSL_NS1_7vsmem_tEENKUlT_SJ_SK_SL_E_clIPySE_SF_SF_EESI_SY_SJ_SK_SL_EUlSY_E_NS1_11comp_targetILNS1_3genE10ELNS1_11target_archE1201ELNS1_3gpuE5ELNS1_3repE0EEENS1_48merge_mergepath_partition_config_static_selectorELNS0_4arch9wavefront6targetE1EEEvSK_,comdat
.Lfunc_end3464:
	.size	_ZN7rocprim17ROCPRIM_400000_NS6detail17trampoline_kernelINS0_14default_configENS1_38merge_sort_block_merge_config_selectorIyNS0_10empty_typeEEEZZNS1_27merge_sort_block_merge_implIS3_N6thrust23THRUST_200600_302600_NS6detail15normal_iteratorINS9_10device_ptrIyEEEEPS5_m14custom_greaterIyEEE10hipError_tT0_T1_T2_jT3_P12ihipStream_tbPNSt15iterator_traitsISJ_E10value_typeEPNSP_ISK_E10value_typeEPSL_NS1_7vsmem_tEENKUlT_SJ_SK_SL_E_clIPySE_SF_SF_EESI_SY_SJ_SK_SL_EUlSY_E_NS1_11comp_targetILNS1_3genE10ELNS1_11target_archE1201ELNS1_3gpuE5ELNS1_3repE0EEENS1_48merge_mergepath_partition_config_static_selectorELNS0_4arch9wavefront6targetE1EEEvSK_, .Lfunc_end3464-_ZN7rocprim17ROCPRIM_400000_NS6detail17trampoline_kernelINS0_14default_configENS1_38merge_sort_block_merge_config_selectorIyNS0_10empty_typeEEEZZNS1_27merge_sort_block_merge_implIS3_N6thrust23THRUST_200600_302600_NS6detail15normal_iteratorINS9_10device_ptrIyEEEEPS5_m14custom_greaterIyEEE10hipError_tT0_T1_T2_jT3_P12ihipStream_tbPNSt15iterator_traitsISJ_E10value_typeEPNSP_ISK_E10value_typeEPSL_NS1_7vsmem_tEENKUlT_SJ_SK_SL_E_clIPySE_SF_SF_EESI_SY_SJ_SK_SL_EUlSY_E_NS1_11comp_targetILNS1_3genE10ELNS1_11target_archE1201ELNS1_3gpuE5ELNS1_3repE0EEENS1_48merge_mergepath_partition_config_static_selectorELNS0_4arch9wavefront6targetE1EEEvSK_
                                        ; -- End function
	.section	.AMDGPU.csdata,"",@progbits
; Kernel info:
; codeLenInByte = 0
; NumSgprs: 4
; NumVgprs: 0
; NumAgprs: 0
; TotalNumVgprs: 0
; ScratchSize: 0
; MemoryBound: 0
; FloatMode: 240
; IeeeMode: 1
; LDSByteSize: 0 bytes/workgroup (compile time only)
; SGPRBlocks: 0
; VGPRBlocks: 0
; NumSGPRsForWavesPerEU: 4
; NumVGPRsForWavesPerEU: 1
; AccumOffset: 4
; Occupancy: 8
; WaveLimiterHint : 0
; COMPUTE_PGM_RSRC2:SCRATCH_EN: 0
; COMPUTE_PGM_RSRC2:USER_SGPR: 6
; COMPUTE_PGM_RSRC2:TRAP_HANDLER: 0
; COMPUTE_PGM_RSRC2:TGID_X_EN: 1
; COMPUTE_PGM_RSRC2:TGID_Y_EN: 0
; COMPUTE_PGM_RSRC2:TGID_Z_EN: 0
; COMPUTE_PGM_RSRC2:TIDIG_COMP_CNT: 0
; COMPUTE_PGM_RSRC3_GFX90A:ACCUM_OFFSET: 0
; COMPUTE_PGM_RSRC3_GFX90A:TG_SPLIT: 0
	.section	.text._ZN7rocprim17ROCPRIM_400000_NS6detail17trampoline_kernelINS0_14default_configENS1_38merge_sort_block_merge_config_selectorIyNS0_10empty_typeEEEZZNS1_27merge_sort_block_merge_implIS3_N6thrust23THRUST_200600_302600_NS6detail15normal_iteratorINS9_10device_ptrIyEEEEPS5_m14custom_greaterIyEEE10hipError_tT0_T1_T2_jT3_P12ihipStream_tbPNSt15iterator_traitsISJ_E10value_typeEPNSP_ISK_E10value_typeEPSL_NS1_7vsmem_tEENKUlT_SJ_SK_SL_E_clIPySE_SF_SF_EESI_SY_SJ_SK_SL_EUlSY_E_NS1_11comp_targetILNS1_3genE5ELNS1_11target_archE942ELNS1_3gpuE9ELNS1_3repE0EEENS1_48merge_mergepath_partition_config_static_selectorELNS0_4arch9wavefront6targetE1EEEvSK_,"axG",@progbits,_ZN7rocprim17ROCPRIM_400000_NS6detail17trampoline_kernelINS0_14default_configENS1_38merge_sort_block_merge_config_selectorIyNS0_10empty_typeEEEZZNS1_27merge_sort_block_merge_implIS3_N6thrust23THRUST_200600_302600_NS6detail15normal_iteratorINS9_10device_ptrIyEEEEPS5_m14custom_greaterIyEEE10hipError_tT0_T1_T2_jT3_P12ihipStream_tbPNSt15iterator_traitsISJ_E10value_typeEPNSP_ISK_E10value_typeEPSL_NS1_7vsmem_tEENKUlT_SJ_SK_SL_E_clIPySE_SF_SF_EESI_SY_SJ_SK_SL_EUlSY_E_NS1_11comp_targetILNS1_3genE5ELNS1_11target_archE942ELNS1_3gpuE9ELNS1_3repE0EEENS1_48merge_mergepath_partition_config_static_selectorELNS0_4arch9wavefront6targetE1EEEvSK_,comdat
	.protected	_ZN7rocprim17ROCPRIM_400000_NS6detail17trampoline_kernelINS0_14default_configENS1_38merge_sort_block_merge_config_selectorIyNS0_10empty_typeEEEZZNS1_27merge_sort_block_merge_implIS3_N6thrust23THRUST_200600_302600_NS6detail15normal_iteratorINS9_10device_ptrIyEEEEPS5_m14custom_greaterIyEEE10hipError_tT0_T1_T2_jT3_P12ihipStream_tbPNSt15iterator_traitsISJ_E10value_typeEPNSP_ISK_E10value_typeEPSL_NS1_7vsmem_tEENKUlT_SJ_SK_SL_E_clIPySE_SF_SF_EESI_SY_SJ_SK_SL_EUlSY_E_NS1_11comp_targetILNS1_3genE5ELNS1_11target_archE942ELNS1_3gpuE9ELNS1_3repE0EEENS1_48merge_mergepath_partition_config_static_selectorELNS0_4arch9wavefront6targetE1EEEvSK_ ; -- Begin function _ZN7rocprim17ROCPRIM_400000_NS6detail17trampoline_kernelINS0_14default_configENS1_38merge_sort_block_merge_config_selectorIyNS0_10empty_typeEEEZZNS1_27merge_sort_block_merge_implIS3_N6thrust23THRUST_200600_302600_NS6detail15normal_iteratorINS9_10device_ptrIyEEEEPS5_m14custom_greaterIyEEE10hipError_tT0_T1_T2_jT3_P12ihipStream_tbPNSt15iterator_traitsISJ_E10value_typeEPNSP_ISK_E10value_typeEPSL_NS1_7vsmem_tEENKUlT_SJ_SK_SL_E_clIPySE_SF_SF_EESI_SY_SJ_SK_SL_EUlSY_E_NS1_11comp_targetILNS1_3genE5ELNS1_11target_archE942ELNS1_3gpuE9ELNS1_3repE0EEENS1_48merge_mergepath_partition_config_static_selectorELNS0_4arch9wavefront6targetE1EEEvSK_
	.globl	_ZN7rocprim17ROCPRIM_400000_NS6detail17trampoline_kernelINS0_14default_configENS1_38merge_sort_block_merge_config_selectorIyNS0_10empty_typeEEEZZNS1_27merge_sort_block_merge_implIS3_N6thrust23THRUST_200600_302600_NS6detail15normal_iteratorINS9_10device_ptrIyEEEEPS5_m14custom_greaterIyEEE10hipError_tT0_T1_T2_jT3_P12ihipStream_tbPNSt15iterator_traitsISJ_E10value_typeEPNSP_ISK_E10value_typeEPSL_NS1_7vsmem_tEENKUlT_SJ_SK_SL_E_clIPySE_SF_SF_EESI_SY_SJ_SK_SL_EUlSY_E_NS1_11comp_targetILNS1_3genE5ELNS1_11target_archE942ELNS1_3gpuE9ELNS1_3repE0EEENS1_48merge_mergepath_partition_config_static_selectorELNS0_4arch9wavefront6targetE1EEEvSK_
	.p2align	8
	.type	_ZN7rocprim17ROCPRIM_400000_NS6detail17trampoline_kernelINS0_14default_configENS1_38merge_sort_block_merge_config_selectorIyNS0_10empty_typeEEEZZNS1_27merge_sort_block_merge_implIS3_N6thrust23THRUST_200600_302600_NS6detail15normal_iteratorINS9_10device_ptrIyEEEEPS5_m14custom_greaterIyEEE10hipError_tT0_T1_T2_jT3_P12ihipStream_tbPNSt15iterator_traitsISJ_E10value_typeEPNSP_ISK_E10value_typeEPSL_NS1_7vsmem_tEENKUlT_SJ_SK_SL_E_clIPySE_SF_SF_EESI_SY_SJ_SK_SL_EUlSY_E_NS1_11comp_targetILNS1_3genE5ELNS1_11target_archE942ELNS1_3gpuE9ELNS1_3repE0EEENS1_48merge_mergepath_partition_config_static_selectorELNS0_4arch9wavefront6targetE1EEEvSK_,@function
_ZN7rocprim17ROCPRIM_400000_NS6detail17trampoline_kernelINS0_14default_configENS1_38merge_sort_block_merge_config_selectorIyNS0_10empty_typeEEEZZNS1_27merge_sort_block_merge_implIS3_N6thrust23THRUST_200600_302600_NS6detail15normal_iteratorINS9_10device_ptrIyEEEEPS5_m14custom_greaterIyEEE10hipError_tT0_T1_T2_jT3_P12ihipStream_tbPNSt15iterator_traitsISJ_E10value_typeEPNSP_ISK_E10value_typeEPSL_NS1_7vsmem_tEENKUlT_SJ_SK_SL_E_clIPySE_SF_SF_EESI_SY_SJ_SK_SL_EUlSY_E_NS1_11comp_targetILNS1_3genE5ELNS1_11target_archE942ELNS1_3gpuE9ELNS1_3repE0EEENS1_48merge_mergepath_partition_config_static_selectorELNS0_4arch9wavefront6targetE1EEEvSK_: ; @_ZN7rocprim17ROCPRIM_400000_NS6detail17trampoline_kernelINS0_14default_configENS1_38merge_sort_block_merge_config_selectorIyNS0_10empty_typeEEEZZNS1_27merge_sort_block_merge_implIS3_N6thrust23THRUST_200600_302600_NS6detail15normal_iteratorINS9_10device_ptrIyEEEEPS5_m14custom_greaterIyEEE10hipError_tT0_T1_T2_jT3_P12ihipStream_tbPNSt15iterator_traitsISJ_E10value_typeEPNSP_ISK_E10value_typeEPSL_NS1_7vsmem_tEENKUlT_SJ_SK_SL_E_clIPySE_SF_SF_EESI_SY_SJ_SK_SL_EUlSY_E_NS1_11comp_targetILNS1_3genE5ELNS1_11target_archE942ELNS1_3gpuE9ELNS1_3repE0EEENS1_48merge_mergepath_partition_config_static_selectorELNS0_4arch9wavefront6targetE1EEEvSK_
; %bb.0:
	.section	.rodata,"a",@progbits
	.p2align	6, 0x0
	.amdhsa_kernel _ZN7rocprim17ROCPRIM_400000_NS6detail17trampoline_kernelINS0_14default_configENS1_38merge_sort_block_merge_config_selectorIyNS0_10empty_typeEEEZZNS1_27merge_sort_block_merge_implIS3_N6thrust23THRUST_200600_302600_NS6detail15normal_iteratorINS9_10device_ptrIyEEEEPS5_m14custom_greaterIyEEE10hipError_tT0_T1_T2_jT3_P12ihipStream_tbPNSt15iterator_traitsISJ_E10value_typeEPNSP_ISK_E10value_typeEPSL_NS1_7vsmem_tEENKUlT_SJ_SK_SL_E_clIPySE_SF_SF_EESI_SY_SJ_SK_SL_EUlSY_E_NS1_11comp_targetILNS1_3genE5ELNS1_11target_archE942ELNS1_3gpuE9ELNS1_3repE0EEENS1_48merge_mergepath_partition_config_static_selectorELNS0_4arch9wavefront6targetE1EEEvSK_
		.amdhsa_group_segment_fixed_size 0
		.amdhsa_private_segment_fixed_size 0
		.amdhsa_kernarg_size 48
		.amdhsa_user_sgpr_count 6
		.amdhsa_user_sgpr_private_segment_buffer 1
		.amdhsa_user_sgpr_dispatch_ptr 0
		.amdhsa_user_sgpr_queue_ptr 0
		.amdhsa_user_sgpr_kernarg_segment_ptr 1
		.amdhsa_user_sgpr_dispatch_id 0
		.amdhsa_user_sgpr_flat_scratch_init 0
		.amdhsa_user_sgpr_kernarg_preload_length 0
		.amdhsa_user_sgpr_kernarg_preload_offset 0
		.amdhsa_user_sgpr_private_segment_size 0
		.amdhsa_uses_dynamic_stack 0
		.amdhsa_system_sgpr_private_segment_wavefront_offset 0
		.amdhsa_system_sgpr_workgroup_id_x 1
		.amdhsa_system_sgpr_workgroup_id_y 0
		.amdhsa_system_sgpr_workgroup_id_z 0
		.amdhsa_system_sgpr_workgroup_info 0
		.amdhsa_system_vgpr_workitem_id 0
		.amdhsa_next_free_vgpr 1
		.amdhsa_next_free_sgpr 0
		.amdhsa_accum_offset 4
		.amdhsa_reserve_vcc 0
		.amdhsa_reserve_flat_scratch 0
		.amdhsa_float_round_mode_32 0
		.amdhsa_float_round_mode_16_64 0
		.amdhsa_float_denorm_mode_32 3
		.amdhsa_float_denorm_mode_16_64 3
		.amdhsa_dx10_clamp 1
		.amdhsa_ieee_mode 1
		.amdhsa_fp16_overflow 0
		.amdhsa_tg_split 0
		.amdhsa_exception_fp_ieee_invalid_op 0
		.amdhsa_exception_fp_denorm_src 0
		.amdhsa_exception_fp_ieee_div_zero 0
		.amdhsa_exception_fp_ieee_overflow 0
		.amdhsa_exception_fp_ieee_underflow 0
		.amdhsa_exception_fp_ieee_inexact 0
		.amdhsa_exception_int_div_zero 0
	.end_amdhsa_kernel
	.section	.text._ZN7rocprim17ROCPRIM_400000_NS6detail17trampoline_kernelINS0_14default_configENS1_38merge_sort_block_merge_config_selectorIyNS0_10empty_typeEEEZZNS1_27merge_sort_block_merge_implIS3_N6thrust23THRUST_200600_302600_NS6detail15normal_iteratorINS9_10device_ptrIyEEEEPS5_m14custom_greaterIyEEE10hipError_tT0_T1_T2_jT3_P12ihipStream_tbPNSt15iterator_traitsISJ_E10value_typeEPNSP_ISK_E10value_typeEPSL_NS1_7vsmem_tEENKUlT_SJ_SK_SL_E_clIPySE_SF_SF_EESI_SY_SJ_SK_SL_EUlSY_E_NS1_11comp_targetILNS1_3genE5ELNS1_11target_archE942ELNS1_3gpuE9ELNS1_3repE0EEENS1_48merge_mergepath_partition_config_static_selectorELNS0_4arch9wavefront6targetE1EEEvSK_,"axG",@progbits,_ZN7rocprim17ROCPRIM_400000_NS6detail17trampoline_kernelINS0_14default_configENS1_38merge_sort_block_merge_config_selectorIyNS0_10empty_typeEEEZZNS1_27merge_sort_block_merge_implIS3_N6thrust23THRUST_200600_302600_NS6detail15normal_iteratorINS9_10device_ptrIyEEEEPS5_m14custom_greaterIyEEE10hipError_tT0_T1_T2_jT3_P12ihipStream_tbPNSt15iterator_traitsISJ_E10value_typeEPNSP_ISK_E10value_typeEPSL_NS1_7vsmem_tEENKUlT_SJ_SK_SL_E_clIPySE_SF_SF_EESI_SY_SJ_SK_SL_EUlSY_E_NS1_11comp_targetILNS1_3genE5ELNS1_11target_archE942ELNS1_3gpuE9ELNS1_3repE0EEENS1_48merge_mergepath_partition_config_static_selectorELNS0_4arch9wavefront6targetE1EEEvSK_,comdat
.Lfunc_end3465:
	.size	_ZN7rocprim17ROCPRIM_400000_NS6detail17trampoline_kernelINS0_14default_configENS1_38merge_sort_block_merge_config_selectorIyNS0_10empty_typeEEEZZNS1_27merge_sort_block_merge_implIS3_N6thrust23THRUST_200600_302600_NS6detail15normal_iteratorINS9_10device_ptrIyEEEEPS5_m14custom_greaterIyEEE10hipError_tT0_T1_T2_jT3_P12ihipStream_tbPNSt15iterator_traitsISJ_E10value_typeEPNSP_ISK_E10value_typeEPSL_NS1_7vsmem_tEENKUlT_SJ_SK_SL_E_clIPySE_SF_SF_EESI_SY_SJ_SK_SL_EUlSY_E_NS1_11comp_targetILNS1_3genE5ELNS1_11target_archE942ELNS1_3gpuE9ELNS1_3repE0EEENS1_48merge_mergepath_partition_config_static_selectorELNS0_4arch9wavefront6targetE1EEEvSK_, .Lfunc_end3465-_ZN7rocprim17ROCPRIM_400000_NS6detail17trampoline_kernelINS0_14default_configENS1_38merge_sort_block_merge_config_selectorIyNS0_10empty_typeEEEZZNS1_27merge_sort_block_merge_implIS3_N6thrust23THRUST_200600_302600_NS6detail15normal_iteratorINS9_10device_ptrIyEEEEPS5_m14custom_greaterIyEEE10hipError_tT0_T1_T2_jT3_P12ihipStream_tbPNSt15iterator_traitsISJ_E10value_typeEPNSP_ISK_E10value_typeEPSL_NS1_7vsmem_tEENKUlT_SJ_SK_SL_E_clIPySE_SF_SF_EESI_SY_SJ_SK_SL_EUlSY_E_NS1_11comp_targetILNS1_3genE5ELNS1_11target_archE942ELNS1_3gpuE9ELNS1_3repE0EEENS1_48merge_mergepath_partition_config_static_selectorELNS0_4arch9wavefront6targetE1EEEvSK_
                                        ; -- End function
	.section	.AMDGPU.csdata,"",@progbits
; Kernel info:
; codeLenInByte = 0
; NumSgprs: 4
; NumVgprs: 0
; NumAgprs: 0
; TotalNumVgprs: 0
; ScratchSize: 0
; MemoryBound: 0
; FloatMode: 240
; IeeeMode: 1
; LDSByteSize: 0 bytes/workgroup (compile time only)
; SGPRBlocks: 0
; VGPRBlocks: 0
; NumSGPRsForWavesPerEU: 4
; NumVGPRsForWavesPerEU: 1
; AccumOffset: 4
; Occupancy: 8
; WaveLimiterHint : 0
; COMPUTE_PGM_RSRC2:SCRATCH_EN: 0
; COMPUTE_PGM_RSRC2:USER_SGPR: 6
; COMPUTE_PGM_RSRC2:TRAP_HANDLER: 0
; COMPUTE_PGM_RSRC2:TGID_X_EN: 1
; COMPUTE_PGM_RSRC2:TGID_Y_EN: 0
; COMPUTE_PGM_RSRC2:TGID_Z_EN: 0
; COMPUTE_PGM_RSRC2:TIDIG_COMP_CNT: 0
; COMPUTE_PGM_RSRC3_GFX90A:ACCUM_OFFSET: 0
; COMPUTE_PGM_RSRC3_GFX90A:TG_SPLIT: 0
	.section	.text._ZN7rocprim17ROCPRIM_400000_NS6detail17trampoline_kernelINS0_14default_configENS1_38merge_sort_block_merge_config_selectorIyNS0_10empty_typeEEEZZNS1_27merge_sort_block_merge_implIS3_N6thrust23THRUST_200600_302600_NS6detail15normal_iteratorINS9_10device_ptrIyEEEEPS5_m14custom_greaterIyEEE10hipError_tT0_T1_T2_jT3_P12ihipStream_tbPNSt15iterator_traitsISJ_E10value_typeEPNSP_ISK_E10value_typeEPSL_NS1_7vsmem_tEENKUlT_SJ_SK_SL_E_clIPySE_SF_SF_EESI_SY_SJ_SK_SL_EUlSY_E_NS1_11comp_targetILNS1_3genE4ELNS1_11target_archE910ELNS1_3gpuE8ELNS1_3repE0EEENS1_48merge_mergepath_partition_config_static_selectorELNS0_4arch9wavefront6targetE1EEEvSK_,"axG",@progbits,_ZN7rocprim17ROCPRIM_400000_NS6detail17trampoline_kernelINS0_14default_configENS1_38merge_sort_block_merge_config_selectorIyNS0_10empty_typeEEEZZNS1_27merge_sort_block_merge_implIS3_N6thrust23THRUST_200600_302600_NS6detail15normal_iteratorINS9_10device_ptrIyEEEEPS5_m14custom_greaterIyEEE10hipError_tT0_T1_T2_jT3_P12ihipStream_tbPNSt15iterator_traitsISJ_E10value_typeEPNSP_ISK_E10value_typeEPSL_NS1_7vsmem_tEENKUlT_SJ_SK_SL_E_clIPySE_SF_SF_EESI_SY_SJ_SK_SL_EUlSY_E_NS1_11comp_targetILNS1_3genE4ELNS1_11target_archE910ELNS1_3gpuE8ELNS1_3repE0EEENS1_48merge_mergepath_partition_config_static_selectorELNS0_4arch9wavefront6targetE1EEEvSK_,comdat
	.protected	_ZN7rocprim17ROCPRIM_400000_NS6detail17trampoline_kernelINS0_14default_configENS1_38merge_sort_block_merge_config_selectorIyNS0_10empty_typeEEEZZNS1_27merge_sort_block_merge_implIS3_N6thrust23THRUST_200600_302600_NS6detail15normal_iteratorINS9_10device_ptrIyEEEEPS5_m14custom_greaterIyEEE10hipError_tT0_T1_T2_jT3_P12ihipStream_tbPNSt15iterator_traitsISJ_E10value_typeEPNSP_ISK_E10value_typeEPSL_NS1_7vsmem_tEENKUlT_SJ_SK_SL_E_clIPySE_SF_SF_EESI_SY_SJ_SK_SL_EUlSY_E_NS1_11comp_targetILNS1_3genE4ELNS1_11target_archE910ELNS1_3gpuE8ELNS1_3repE0EEENS1_48merge_mergepath_partition_config_static_selectorELNS0_4arch9wavefront6targetE1EEEvSK_ ; -- Begin function _ZN7rocprim17ROCPRIM_400000_NS6detail17trampoline_kernelINS0_14default_configENS1_38merge_sort_block_merge_config_selectorIyNS0_10empty_typeEEEZZNS1_27merge_sort_block_merge_implIS3_N6thrust23THRUST_200600_302600_NS6detail15normal_iteratorINS9_10device_ptrIyEEEEPS5_m14custom_greaterIyEEE10hipError_tT0_T1_T2_jT3_P12ihipStream_tbPNSt15iterator_traitsISJ_E10value_typeEPNSP_ISK_E10value_typeEPSL_NS1_7vsmem_tEENKUlT_SJ_SK_SL_E_clIPySE_SF_SF_EESI_SY_SJ_SK_SL_EUlSY_E_NS1_11comp_targetILNS1_3genE4ELNS1_11target_archE910ELNS1_3gpuE8ELNS1_3repE0EEENS1_48merge_mergepath_partition_config_static_selectorELNS0_4arch9wavefront6targetE1EEEvSK_
	.globl	_ZN7rocprim17ROCPRIM_400000_NS6detail17trampoline_kernelINS0_14default_configENS1_38merge_sort_block_merge_config_selectorIyNS0_10empty_typeEEEZZNS1_27merge_sort_block_merge_implIS3_N6thrust23THRUST_200600_302600_NS6detail15normal_iteratorINS9_10device_ptrIyEEEEPS5_m14custom_greaterIyEEE10hipError_tT0_T1_T2_jT3_P12ihipStream_tbPNSt15iterator_traitsISJ_E10value_typeEPNSP_ISK_E10value_typeEPSL_NS1_7vsmem_tEENKUlT_SJ_SK_SL_E_clIPySE_SF_SF_EESI_SY_SJ_SK_SL_EUlSY_E_NS1_11comp_targetILNS1_3genE4ELNS1_11target_archE910ELNS1_3gpuE8ELNS1_3repE0EEENS1_48merge_mergepath_partition_config_static_selectorELNS0_4arch9wavefront6targetE1EEEvSK_
	.p2align	8
	.type	_ZN7rocprim17ROCPRIM_400000_NS6detail17trampoline_kernelINS0_14default_configENS1_38merge_sort_block_merge_config_selectorIyNS0_10empty_typeEEEZZNS1_27merge_sort_block_merge_implIS3_N6thrust23THRUST_200600_302600_NS6detail15normal_iteratorINS9_10device_ptrIyEEEEPS5_m14custom_greaterIyEEE10hipError_tT0_T1_T2_jT3_P12ihipStream_tbPNSt15iterator_traitsISJ_E10value_typeEPNSP_ISK_E10value_typeEPSL_NS1_7vsmem_tEENKUlT_SJ_SK_SL_E_clIPySE_SF_SF_EESI_SY_SJ_SK_SL_EUlSY_E_NS1_11comp_targetILNS1_3genE4ELNS1_11target_archE910ELNS1_3gpuE8ELNS1_3repE0EEENS1_48merge_mergepath_partition_config_static_selectorELNS0_4arch9wavefront6targetE1EEEvSK_,@function
_ZN7rocprim17ROCPRIM_400000_NS6detail17trampoline_kernelINS0_14default_configENS1_38merge_sort_block_merge_config_selectorIyNS0_10empty_typeEEEZZNS1_27merge_sort_block_merge_implIS3_N6thrust23THRUST_200600_302600_NS6detail15normal_iteratorINS9_10device_ptrIyEEEEPS5_m14custom_greaterIyEEE10hipError_tT0_T1_T2_jT3_P12ihipStream_tbPNSt15iterator_traitsISJ_E10value_typeEPNSP_ISK_E10value_typeEPSL_NS1_7vsmem_tEENKUlT_SJ_SK_SL_E_clIPySE_SF_SF_EESI_SY_SJ_SK_SL_EUlSY_E_NS1_11comp_targetILNS1_3genE4ELNS1_11target_archE910ELNS1_3gpuE8ELNS1_3repE0EEENS1_48merge_mergepath_partition_config_static_selectorELNS0_4arch9wavefront6targetE1EEEvSK_: ; @_ZN7rocprim17ROCPRIM_400000_NS6detail17trampoline_kernelINS0_14default_configENS1_38merge_sort_block_merge_config_selectorIyNS0_10empty_typeEEEZZNS1_27merge_sort_block_merge_implIS3_N6thrust23THRUST_200600_302600_NS6detail15normal_iteratorINS9_10device_ptrIyEEEEPS5_m14custom_greaterIyEEE10hipError_tT0_T1_T2_jT3_P12ihipStream_tbPNSt15iterator_traitsISJ_E10value_typeEPNSP_ISK_E10value_typeEPSL_NS1_7vsmem_tEENKUlT_SJ_SK_SL_E_clIPySE_SF_SF_EESI_SY_SJ_SK_SL_EUlSY_E_NS1_11comp_targetILNS1_3genE4ELNS1_11target_archE910ELNS1_3gpuE8ELNS1_3repE0EEENS1_48merge_mergepath_partition_config_static_selectorELNS0_4arch9wavefront6targetE1EEEvSK_
; %bb.0:
	s_load_dword s0, s[4:5], 0x0
	v_lshl_or_b32 v0, s6, 7, v0
	s_waitcnt lgkmcnt(0)
	v_cmp_gt_u32_e32 vcc, s0, v0
	s_and_saveexec_b64 s[0:1], vcc
	s_cbranch_execz .LBB3466_6
; %bb.1:
	s_load_dwordx4 s[0:3], s[4:5], 0x8
	s_load_dwordx2 s[6:7], s[4:5], 0x28
	v_mov_b32_e32 v5, 0
	s_waitcnt lgkmcnt(0)
	v_mov_b32_e32 v1, s0
	v_alignbit_b32 v1, s1, v1, 9
	v_and_b32_e32 v1, -2, v1
	v_add_u32_e32 v2, -1, v1
	v_sub_u32_e32 v1, 0, v1
	v_and_b32_e32 v4, v0, v1
	v_lshlrev_b64 v[8:9], 10, v[4:5]
	v_mov_b32_e32 v1, s3
	v_cmp_lt_u64_e32 vcc, s[2:3], v[8:9]
	v_mov_b32_e32 v4, s2
	v_and_b32_e32 v6, v2, v0
	v_cndmask_b32_e32 v3, v9, v1, vcc
	v_cndmask_b32_e32 v2, v8, v4, vcc
	v_mov_b32_e32 v7, s1
	v_add_co_u32_e32 v8, vcc, s0, v8
	v_addc_co_u32_e32 v9, vcc, v9, v7, vcc
	v_cmp_lt_u64_e32 vcc, s[2:3], v[8:9]
	v_cndmask_b32_e32 v8, v8, v4, vcc
	v_cndmask_b32_e32 v9, v9, v1, vcc
	v_add_co_u32_e32 v10, vcc, s0, v8
	v_addc_co_u32_e32 v11, vcc, v9, v7, vcc
	v_cmp_lt_u64_e32 vcc, s[2:3], v[10:11]
	v_cndmask_b32_e32 v12, v10, v4, vcc
	v_cndmask_b32_e32 v1, v11, v1, vcc
	v_sub_co_u32_e32 v10, vcc, v12, v2
	v_mov_b32_e32 v7, v5
	v_subb_co_u32_e32 v11, vcc, v1, v3, vcc
	v_lshlrev_b64 v[4:5], 10, v[6:7]
	v_cmp_lt_u64_e32 vcc, v[10:11], v[4:5]
	v_cndmask_b32_e32 v11, v5, v11, vcc
	v_cndmask_b32_e32 v10, v4, v10, vcc
	v_sub_co_u32_e32 v6, vcc, v8, v2
	v_subb_co_u32_e32 v7, vcc, v9, v3, vcc
	v_sub_co_u32_e32 v4, vcc, v8, v12
	v_subb_co_u32_e32 v1, vcc, v9, v1, vcc
	v_add_co_u32_e32 v4, vcc, v10, v4
	v_addc_co_u32_e32 v5, vcc, v11, v1, vcc
	v_cmp_gt_u64_e32 vcc, v[4:5], v[10:11]
	v_cndmask_b32_e64 v5, v5, 0, vcc
	v_cndmask_b32_e64 v4, v4, 0, vcc
	v_cmp_lt_u64_e32 vcc, v[10:11], v[6:7]
	v_cndmask_b32_e32 v7, v7, v11, vcc
	v_cndmask_b32_e32 v6, v6, v10, vcc
	v_cmp_lt_u64_e32 vcc, v[4:5], v[6:7]
	s_and_saveexec_b64 s[0:1], vcc
	s_cbranch_execz .LBB3466_5
; %bb.2:
	s_load_dwordx2 s[2:3], s[4:5], 0x18
	v_lshlrev_b64 v[12:13], 3, v[2:3]
	v_lshlrev_b64 v[8:9], 3, v[8:9]
	s_waitcnt lgkmcnt(0)
	v_mov_b32_e32 v14, s3
	v_add_co_u32_e32 v1, vcc, s2, v12
	v_addc_co_u32_e32 v12, vcc, v14, v13, vcc
	v_add_co_u32_e32 v13, vcc, s2, v8
	v_addc_co_u32_e32 v14, vcc, v14, v9, vcc
	v_lshlrev_b64 v[8:9], 3, v[10:11]
	v_add_co_u32_e32 v8, vcc, v13, v8
	v_addc_co_u32_e32 v9, vcc, v14, v9, vcc
	s_mov_b64 s[2:3], 0
.LBB3466_3:                             ; =>This Inner Loop Header: Depth=1
	v_add_co_u32_e32 v10, vcc, v6, v4
	v_addc_co_u32_e32 v11, vcc, v7, v5, vcc
	v_lshrrev_b64 v[10:11], 1, v[10:11]
	v_lshlrev_b64 v[16:17], 3, v[10:11]
	v_not_b32_e32 v15, v11
	v_not_b32_e32 v14, v10
	v_add_co_u32_e32 v16, vcc, v1, v16
	v_addc_co_u32_e32 v17, vcc, v12, v17, vcc
	v_lshlrev_b64 v[14:15], 3, v[14:15]
	v_add_co_u32_e32 v14, vcc, v8, v14
	v_addc_co_u32_e32 v15, vcc, v9, v15, vcc
	global_load_dwordx2 v[18:19], v[16:17], off
	global_load_dwordx2 v[20:21], v[14:15], off
	v_add_co_u32_e32 v13, vcc, 1, v10
	v_addc_co_u32_e32 v14, vcc, 0, v11, vcc
	s_waitcnt vmcnt(0)
	v_cmp_gt_u64_e32 vcc, v[18:19], v[20:21]
	v_cndmask_b32_e32 v7, v7, v11, vcc
	v_cndmask_b32_e32 v6, v6, v10, vcc
	;; [unrolled: 1-line block ×4, first 2 shown]
	v_cmp_ge_u64_e32 vcc, v[4:5], v[6:7]
	s_or_b64 s[2:3], vcc, s[2:3]
	s_andn2_b64 exec, exec, s[2:3]
	s_cbranch_execnz .LBB3466_3
; %bb.4:
	s_or_b64 exec, exec, s[2:3]
.LBB3466_5:
	s_or_b64 exec, exec, s[0:1]
	v_add_co_u32_e32 v2, vcc, v4, v2
	v_mov_b32_e32 v1, 0
	v_addc_co_u32_e32 v3, vcc, v5, v3, vcc
	v_lshlrev_b64 v[0:1], 3, v[0:1]
	v_mov_b32_e32 v4, s7
	v_add_co_u32_e32 v0, vcc, s6, v0
	v_addc_co_u32_e32 v1, vcc, v4, v1, vcc
	global_store_dwordx2 v[0:1], v[2:3], off
.LBB3466_6:
	s_endpgm
	.section	.rodata,"a",@progbits
	.p2align	6, 0x0
	.amdhsa_kernel _ZN7rocprim17ROCPRIM_400000_NS6detail17trampoline_kernelINS0_14default_configENS1_38merge_sort_block_merge_config_selectorIyNS0_10empty_typeEEEZZNS1_27merge_sort_block_merge_implIS3_N6thrust23THRUST_200600_302600_NS6detail15normal_iteratorINS9_10device_ptrIyEEEEPS5_m14custom_greaterIyEEE10hipError_tT0_T1_T2_jT3_P12ihipStream_tbPNSt15iterator_traitsISJ_E10value_typeEPNSP_ISK_E10value_typeEPSL_NS1_7vsmem_tEENKUlT_SJ_SK_SL_E_clIPySE_SF_SF_EESI_SY_SJ_SK_SL_EUlSY_E_NS1_11comp_targetILNS1_3genE4ELNS1_11target_archE910ELNS1_3gpuE8ELNS1_3repE0EEENS1_48merge_mergepath_partition_config_static_selectorELNS0_4arch9wavefront6targetE1EEEvSK_
		.amdhsa_group_segment_fixed_size 0
		.amdhsa_private_segment_fixed_size 0
		.amdhsa_kernarg_size 48
		.amdhsa_user_sgpr_count 6
		.amdhsa_user_sgpr_private_segment_buffer 1
		.amdhsa_user_sgpr_dispatch_ptr 0
		.amdhsa_user_sgpr_queue_ptr 0
		.amdhsa_user_sgpr_kernarg_segment_ptr 1
		.amdhsa_user_sgpr_dispatch_id 0
		.amdhsa_user_sgpr_flat_scratch_init 0
		.amdhsa_user_sgpr_kernarg_preload_length 0
		.amdhsa_user_sgpr_kernarg_preload_offset 0
		.amdhsa_user_sgpr_private_segment_size 0
		.amdhsa_uses_dynamic_stack 0
		.amdhsa_system_sgpr_private_segment_wavefront_offset 0
		.amdhsa_system_sgpr_workgroup_id_x 1
		.amdhsa_system_sgpr_workgroup_id_y 0
		.amdhsa_system_sgpr_workgroup_id_z 0
		.amdhsa_system_sgpr_workgroup_info 0
		.amdhsa_system_vgpr_workitem_id 0
		.amdhsa_next_free_vgpr 22
		.amdhsa_next_free_sgpr 8
		.amdhsa_accum_offset 24
		.amdhsa_reserve_vcc 1
		.amdhsa_reserve_flat_scratch 0
		.amdhsa_float_round_mode_32 0
		.amdhsa_float_round_mode_16_64 0
		.amdhsa_float_denorm_mode_32 3
		.amdhsa_float_denorm_mode_16_64 3
		.amdhsa_dx10_clamp 1
		.amdhsa_ieee_mode 1
		.amdhsa_fp16_overflow 0
		.amdhsa_tg_split 0
		.amdhsa_exception_fp_ieee_invalid_op 0
		.amdhsa_exception_fp_denorm_src 0
		.amdhsa_exception_fp_ieee_div_zero 0
		.amdhsa_exception_fp_ieee_overflow 0
		.amdhsa_exception_fp_ieee_underflow 0
		.amdhsa_exception_fp_ieee_inexact 0
		.amdhsa_exception_int_div_zero 0
	.end_amdhsa_kernel
	.section	.text._ZN7rocprim17ROCPRIM_400000_NS6detail17trampoline_kernelINS0_14default_configENS1_38merge_sort_block_merge_config_selectorIyNS0_10empty_typeEEEZZNS1_27merge_sort_block_merge_implIS3_N6thrust23THRUST_200600_302600_NS6detail15normal_iteratorINS9_10device_ptrIyEEEEPS5_m14custom_greaterIyEEE10hipError_tT0_T1_T2_jT3_P12ihipStream_tbPNSt15iterator_traitsISJ_E10value_typeEPNSP_ISK_E10value_typeEPSL_NS1_7vsmem_tEENKUlT_SJ_SK_SL_E_clIPySE_SF_SF_EESI_SY_SJ_SK_SL_EUlSY_E_NS1_11comp_targetILNS1_3genE4ELNS1_11target_archE910ELNS1_3gpuE8ELNS1_3repE0EEENS1_48merge_mergepath_partition_config_static_selectorELNS0_4arch9wavefront6targetE1EEEvSK_,"axG",@progbits,_ZN7rocprim17ROCPRIM_400000_NS6detail17trampoline_kernelINS0_14default_configENS1_38merge_sort_block_merge_config_selectorIyNS0_10empty_typeEEEZZNS1_27merge_sort_block_merge_implIS3_N6thrust23THRUST_200600_302600_NS6detail15normal_iteratorINS9_10device_ptrIyEEEEPS5_m14custom_greaterIyEEE10hipError_tT0_T1_T2_jT3_P12ihipStream_tbPNSt15iterator_traitsISJ_E10value_typeEPNSP_ISK_E10value_typeEPSL_NS1_7vsmem_tEENKUlT_SJ_SK_SL_E_clIPySE_SF_SF_EESI_SY_SJ_SK_SL_EUlSY_E_NS1_11comp_targetILNS1_3genE4ELNS1_11target_archE910ELNS1_3gpuE8ELNS1_3repE0EEENS1_48merge_mergepath_partition_config_static_selectorELNS0_4arch9wavefront6targetE1EEEvSK_,comdat
.Lfunc_end3466:
	.size	_ZN7rocprim17ROCPRIM_400000_NS6detail17trampoline_kernelINS0_14default_configENS1_38merge_sort_block_merge_config_selectorIyNS0_10empty_typeEEEZZNS1_27merge_sort_block_merge_implIS3_N6thrust23THRUST_200600_302600_NS6detail15normal_iteratorINS9_10device_ptrIyEEEEPS5_m14custom_greaterIyEEE10hipError_tT0_T1_T2_jT3_P12ihipStream_tbPNSt15iterator_traitsISJ_E10value_typeEPNSP_ISK_E10value_typeEPSL_NS1_7vsmem_tEENKUlT_SJ_SK_SL_E_clIPySE_SF_SF_EESI_SY_SJ_SK_SL_EUlSY_E_NS1_11comp_targetILNS1_3genE4ELNS1_11target_archE910ELNS1_3gpuE8ELNS1_3repE0EEENS1_48merge_mergepath_partition_config_static_selectorELNS0_4arch9wavefront6targetE1EEEvSK_, .Lfunc_end3466-_ZN7rocprim17ROCPRIM_400000_NS6detail17trampoline_kernelINS0_14default_configENS1_38merge_sort_block_merge_config_selectorIyNS0_10empty_typeEEEZZNS1_27merge_sort_block_merge_implIS3_N6thrust23THRUST_200600_302600_NS6detail15normal_iteratorINS9_10device_ptrIyEEEEPS5_m14custom_greaterIyEEE10hipError_tT0_T1_T2_jT3_P12ihipStream_tbPNSt15iterator_traitsISJ_E10value_typeEPNSP_ISK_E10value_typeEPSL_NS1_7vsmem_tEENKUlT_SJ_SK_SL_E_clIPySE_SF_SF_EESI_SY_SJ_SK_SL_EUlSY_E_NS1_11comp_targetILNS1_3genE4ELNS1_11target_archE910ELNS1_3gpuE8ELNS1_3repE0EEENS1_48merge_mergepath_partition_config_static_selectorELNS0_4arch9wavefront6targetE1EEEvSK_
                                        ; -- End function
	.section	.AMDGPU.csdata,"",@progbits
; Kernel info:
; codeLenInByte = 500
; NumSgprs: 12
; NumVgprs: 22
; NumAgprs: 0
; TotalNumVgprs: 22
; ScratchSize: 0
; MemoryBound: 0
; FloatMode: 240
; IeeeMode: 1
; LDSByteSize: 0 bytes/workgroup (compile time only)
; SGPRBlocks: 1
; VGPRBlocks: 2
; NumSGPRsForWavesPerEU: 12
; NumVGPRsForWavesPerEU: 22
; AccumOffset: 24
; Occupancy: 8
; WaveLimiterHint : 0
; COMPUTE_PGM_RSRC2:SCRATCH_EN: 0
; COMPUTE_PGM_RSRC2:USER_SGPR: 6
; COMPUTE_PGM_RSRC2:TRAP_HANDLER: 0
; COMPUTE_PGM_RSRC2:TGID_X_EN: 1
; COMPUTE_PGM_RSRC2:TGID_Y_EN: 0
; COMPUTE_PGM_RSRC2:TGID_Z_EN: 0
; COMPUTE_PGM_RSRC2:TIDIG_COMP_CNT: 0
; COMPUTE_PGM_RSRC3_GFX90A:ACCUM_OFFSET: 5
; COMPUTE_PGM_RSRC3_GFX90A:TG_SPLIT: 0
	.section	.text._ZN7rocprim17ROCPRIM_400000_NS6detail17trampoline_kernelINS0_14default_configENS1_38merge_sort_block_merge_config_selectorIyNS0_10empty_typeEEEZZNS1_27merge_sort_block_merge_implIS3_N6thrust23THRUST_200600_302600_NS6detail15normal_iteratorINS9_10device_ptrIyEEEEPS5_m14custom_greaterIyEEE10hipError_tT0_T1_T2_jT3_P12ihipStream_tbPNSt15iterator_traitsISJ_E10value_typeEPNSP_ISK_E10value_typeEPSL_NS1_7vsmem_tEENKUlT_SJ_SK_SL_E_clIPySE_SF_SF_EESI_SY_SJ_SK_SL_EUlSY_E_NS1_11comp_targetILNS1_3genE3ELNS1_11target_archE908ELNS1_3gpuE7ELNS1_3repE0EEENS1_48merge_mergepath_partition_config_static_selectorELNS0_4arch9wavefront6targetE1EEEvSK_,"axG",@progbits,_ZN7rocprim17ROCPRIM_400000_NS6detail17trampoline_kernelINS0_14default_configENS1_38merge_sort_block_merge_config_selectorIyNS0_10empty_typeEEEZZNS1_27merge_sort_block_merge_implIS3_N6thrust23THRUST_200600_302600_NS6detail15normal_iteratorINS9_10device_ptrIyEEEEPS5_m14custom_greaterIyEEE10hipError_tT0_T1_T2_jT3_P12ihipStream_tbPNSt15iterator_traitsISJ_E10value_typeEPNSP_ISK_E10value_typeEPSL_NS1_7vsmem_tEENKUlT_SJ_SK_SL_E_clIPySE_SF_SF_EESI_SY_SJ_SK_SL_EUlSY_E_NS1_11comp_targetILNS1_3genE3ELNS1_11target_archE908ELNS1_3gpuE7ELNS1_3repE0EEENS1_48merge_mergepath_partition_config_static_selectorELNS0_4arch9wavefront6targetE1EEEvSK_,comdat
	.protected	_ZN7rocprim17ROCPRIM_400000_NS6detail17trampoline_kernelINS0_14default_configENS1_38merge_sort_block_merge_config_selectorIyNS0_10empty_typeEEEZZNS1_27merge_sort_block_merge_implIS3_N6thrust23THRUST_200600_302600_NS6detail15normal_iteratorINS9_10device_ptrIyEEEEPS5_m14custom_greaterIyEEE10hipError_tT0_T1_T2_jT3_P12ihipStream_tbPNSt15iterator_traitsISJ_E10value_typeEPNSP_ISK_E10value_typeEPSL_NS1_7vsmem_tEENKUlT_SJ_SK_SL_E_clIPySE_SF_SF_EESI_SY_SJ_SK_SL_EUlSY_E_NS1_11comp_targetILNS1_3genE3ELNS1_11target_archE908ELNS1_3gpuE7ELNS1_3repE0EEENS1_48merge_mergepath_partition_config_static_selectorELNS0_4arch9wavefront6targetE1EEEvSK_ ; -- Begin function _ZN7rocprim17ROCPRIM_400000_NS6detail17trampoline_kernelINS0_14default_configENS1_38merge_sort_block_merge_config_selectorIyNS0_10empty_typeEEEZZNS1_27merge_sort_block_merge_implIS3_N6thrust23THRUST_200600_302600_NS6detail15normal_iteratorINS9_10device_ptrIyEEEEPS5_m14custom_greaterIyEEE10hipError_tT0_T1_T2_jT3_P12ihipStream_tbPNSt15iterator_traitsISJ_E10value_typeEPNSP_ISK_E10value_typeEPSL_NS1_7vsmem_tEENKUlT_SJ_SK_SL_E_clIPySE_SF_SF_EESI_SY_SJ_SK_SL_EUlSY_E_NS1_11comp_targetILNS1_3genE3ELNS1_11target_archE908ELNS1_3gpuE7ELNS1_3repE0EEENS1_48merge_mergepath_partition_config_static_selectorELNS0_4arch9wavefront6targetE1EEEvSK_
	.globl	_ZN7rocprim17ROCPRIM_400000_NS6detail17trampoline_kernelINS0_14default_configENS1_38merge_sort_block_merge_config_selectorIyNS0_10empty_typeEEEZZNS1_27merge_sort_block_merge_implIS3_N6thrust23THRUST_200600_302600_NS6detail15normal_iteratorINS9_10device_ptrIyEEEEPS5_m14custom_greaterIyEEE10hipError_tT0_T1_T2_jT3_P12ihipStream_tbPNSt15iterator_traitsISJ_E10value_typeEPNSP_ISK_E10value_typeEPSL_NS1_7vsmem_tEENKUlT_SJ_SK_SL_E_clIPySE_SF_SF_EESI_SY_SJ_SK_SL_EUlSY_E_NS1_11comp_targetILNS1_3genE3ELNS1_11target_archE908ELNS1_3gpuE7ELNS1_3repE0EEENS1_48merge_mergepath_partition_config_static_selectorELNS0_4arch9wavefront6targetE1EEEvSK_
	.p2align	8
	.type	_ZN7rocprim17ROCPRIM_400000_NS6detail17trampoline_kernelINS0_14default_configENS1_38merge_sort_block_merge_config_selectorIyNS0_10empty_typeEEEZZNS1_27merge_sort_block_merge_implIS3_N6thrust23THRUST_200600_302600_NS6detail15normal_iteratorINS9_10device_ptrIyEEEEPS5_m14custom_greaterIyEEE10hipError_tT0_T1_T2_jT3_P12ihipStream_tbPNSt15iterator_traitsISJ_E10value_typeEPNSP_ISK_E10value_typeEPSL_NS1_7vsmem_tEENKUlT_SJ_SK_SL_E_clIPySE_SF_SF_EESI_SY_SJ_SK_SL_EUlSY_E_NS1_11comp_targetILNS1_3genE3ELNS1_11target_archE908ELNS1_3gpuE7ELNS1_3repE0EEENS1_48merge_mergepath_partition_config_static_selectorELNS0_4arch9wavefront6targetE1EEEvSK_,@function
_ZN7rocprim17ROCPRIM_400000_NS6detail17trampoline_kernelINS0_14default_configENS1_38merge_sort_block_merge_config_selectorIyNS0_10empty_typeEEEZZNS1_27merge_sort_block_merge_implIS3_N6thrust23THRUST_200600_302600_NS6detail15normal_iteratorINS9_10device_ptrIyEEEEPS5_m14custom_greaterIyEEE10hipError_tT0_T1_T2_jT3_P12ihipStream_tbPNSt15iterator_traitsISJ_E10value_typeEPNSP_ISK_E10value_typeEPSL_NS1_7vsmem_tEENKUlT_SJ_SK_SL_E_clIPySE_SF_SF_EESI_SY_SJ_SK_SL_EUlSY_E_NS1_11comp_targetILNS1_3genE3ELNS1_11target_archE908ELNS1_3gpuE7ELNS1_3repE0EEENS1_48merge_mergepath_partition_config_static_selectorELNS0_4arch9wavefront6targetE1EEEvSK_: ; @_ZN7rocprim17ROCPRIM_400000_NS6detail17trampoline_kernelINS0_14default_configENS1_38merge_sort_block_merge_config_selectorIyNS0_10empty_typeEEEZZNS1_27merge_sort_block_merge_implIS3_N6thrust23THRUST_200600_302600_NS6detail15normal_iteratorINS9_10device_ptrIyEEEEPS5_m14custom_greaterIyEEE10hipError_tT0_T1_T2_jT3_P12ihipStream_tbPNSt15iterator_traitsISJ_E10value_typeEPNSP_ISK_E10value_typeEPSL_NS1_7vsmem_tEENKUlT_SJ_SK_SL_E_clIPySE_SF_SF_EESI_SY_SJ_SK_SL_EUlSY_E_NS1_11comp_targetILNS1_3genE3ELNS1_11target_archE908ELNS1_3gpuE7ELNS1_3repE0EEENS1_48merge_mergepath_partition_config_static_selectorELNS0_4arch9wavefront6targetE1EEEvSK_
; %bb.0:
	.section	.rodata,"a",@progbits
	.p2align	6, 0x0
	.amdhsa_kernel _ZN7rocprim17ROCPRIM_400000_NS6detail17trampoline_kernelINS0_14default_configENS1_38merge_sort_block_merge_config_selectorIyNS0_10empty_typeEEEZZNS1_27merge_sort_block_merge_implIS3_N6thrust23THRUST_200600_302600_NS6detail15normal_iteratorINS9_10device_ptrIyEEEEPS5_m14custom_greaterIyEEE10hipError_tT0_T1_T2_jT3_P12ihipStream_tbPNSt15iterator_traitsISJ_E10value_typeEPNSP_ISK_E10value_typeEPSL_NS1_7vsmem_tEENKUlT_SJ_SK_SL_E_clIPySE_SF_SF_EESI_SY_SJ_SK_SL_EUlSY_E_NS1_11comp_targetILNS1_3genE3ELNS1_11target_archE908ELNS1_3gpuE7ELNS1_3repE0EEENS1_48merge_mergepath_partition_config_static_selectorELNS0_4arch9wavefront6targetE1EEEvSK_
		.amdhsa_group_segment_fixed_size 0
		.amdhsa_private_segment_fixed_size 0
		.amdhsa_kernarg_size 48
		.amdhsa_user_sgpr_count 6
		.amdhsa_user_sgpr_private_segment_buffer 1
		.amdhsa_user_sgpr_dispatch_ptr 0
		.amdhsa_user_sgpr_queue_ptr 0
		.amdhsa_user_sgpr_kernarg_segment_ptr 1
		.amdhsa_user_sgpr_dispatch_id 0
		.amdhsa_user_sgpr_flat_scratch_init 0
		.amdhsa_user_sgpr_kernarg_preload_length 0
		.amdhsa_user_sgpr_kernarg_preload_offset 0
		.amdhsa_user_sgpr_private_segment_size 0
		.amdhsa_uses_dynamic_stack 0
		.amdhsa_system_sgpr_private_segment_wavefront_offset 0
		.amdhsa_system_sgpr_workgroup_id_x 1
		.amdhsa_system_sgpr_workgroup_id_y 0
		.amdhsa_system_sgpr_workgroup_id_z 0
		.amdhsa_system_sgpr_workgroup_info 0
		.amdhsa_system_vgpr_workitem_id 0
		.amdhsa_next_free_vgpr 1
		.amdhsa_next_free_sgpr 0
		.amdhsa_accum_offset 4
		.amdhsa_reserve_vcc 0
		.amdhsa_reserve_flat_scratch 0
		.amdhsa_float_round_mode_32 0
		.amdhsa_float_round_mode_16_64 0
		.amdhsa_float_denorm_mode_32 3
		.amdhsa_float_denorm_mode_16_64 3
		.amdhsa_dx10_clamp 1
		.amdhsa_ieee_mode 1
		.amdhsa_fp16_overflow 0
		.amdhsa_tg_split 0
		.amdhsa_exception_fp_ieee_invalid_op 0
		.amdhsa_exception_fp_denorm_src 0
		.amdhsa_exception_fp_ieee_div_zero 0
		.amdhsa_exception_fp_ieee_overflow 0
		.amdhsa_exception_fp_ieee_underflow 0
		.amdhsa_exception_fp_ieee_inexact 0
		.amdhsa_exception_int_div_zero 0
	.end_amdhsa_kernel
	.section	.text._ZN7rocprim17ROCPRIM_400000_NS6detail17trampoline_kernelINS0_14default_configENS1_38merge_sort_block_merge_config_selectorIyNS0_10empty_typeEEEZZNS1_27merge_sort_block_merge_implIS3_N6thrust23THRUST_200600_302600_NS6detail15normal_iteratorINS9_10device_ptrIyEEEEPS5_m14custom_greaterIyEEE10hipError_tT0_T1_T2_jT3_P12ihipStream_tbPNSt15iterator_traitsISJ_E10value_typeEPNSP_ISK_E10value_typeEPSL_NS1_7vsmem_tEENKUlT_SJ_SK_SL_E_clIPySE_SF_SF_EESI_SY_SJ_SK_SL_EUlSY_E_NS1_11comp_targetILNS1_3genE3ELNS1_11target_archE908ELNS1_3gpuE7ELNS1_3repE0EEENS1_48merge_mergepath_partition_config_static_selectorELNS0_4arch9wavefront6targetE1EEEvSK_,"axG",@progbits,_ZN7rocprim17ROCPRIM_400000_NS6detail17trampoline_kernelINS0_14default_configENS1_38merge_sort_block_merge_config_selectorIyNS0_10empty_typeEEEZZNS1_27merge_sort_block_merge_implIS3_N6thrust23THRUST_200600_302600_NS6detail15normal_iteratorINS9_10device_ptrIyEEEEPS5_m14custom_greaterIyEEE10hipError_tT0_T1_T2_jT3_P12ihipStream_tbPNSt15iterator_traitsISJ_E10value_typeEPNSP_ISK_E10value_typeEPSL_NS1_7vsmem_tEENKUlT_SJ_SK_SL_E_clIPySE_SF_SF_EESI_SY_SJ_SK_SL_EUlSY_E_NS1_11comp_targetILNS1_3genE3ELNS1_11target_archE908ELNS1_3gpuE7ELNS1_3repE0EEENS1_48merge_mergepath_partition_config_static_selectorELNS0_4arch9wavefront6targetE1EEEvSK_,comdat
.Lfunc_end3467:
	.size	_ZN7rocprim17ROCPRIM_400000_NS6detail17trampoline_kernelINS0_14default_configENS1_38merge_sort_block_merge_config_selectorIyNS0_10empty_typeEEEZZNS1_27merge_sort_block_merge_implIS3_N6thrust23THRUST_200600_302600_NS6detail15normal_iteratorINS9_10device_ptrIyEEEEPS5_m14custom_greaterIyEEE10hipError_tT0_T1_T2_jT3_P12ihipStream_tbPNSt15iterator_traitsISJ_E10value_typeEPNSP_ISK_E10value_typeEPSL_NS1_7vsmem_tEENKUlT_SJ_SK_SL_E_clIPySE_SF_SF_EESI_SY_SJ_SK_SL_EUlSY_E_NS1_11comp_targetILNS1_3genE3ELNS1_11target_archE908ELNS1_3gpuE7ELNS1_3repE0EEENS1_48merge_mergepath_partition_config_static_selectorELNS0_4arch9wavefront6targetE1EEEvSK_, .Lfunc_end3467-_ZN7rocprim17ROCPRIM_400000_NS6detail17trampoline_kernelINS0_14default_configENS1_38merge_sort_block_merge_config_selectorIyNS0_10empty_typeEEEZZNS1_27merge_sort_block_merge_implIS3_N6thrust23THRUST_200600_302600_NS6detail15normal_iteratorINS9_10device_ptrIyEEEEPS5_m14custom_greaterIyEEE10hipError_tT0_T1_T2_jT3_P12ihipStream_tbPNSt15iterator_traitsISJ_E10value_typeEPNSP_ISK_E10value_typeEPSL_NS1_7vsmem_tEENKUlT_SJ_SK_SL_E_clIPySE_SF_SF_EESI_SY_SJ_SK_SL_EUlSY_E_NS1_11comp_targetILNS1_3genE3ELNS1_11target_archE908ELNS1_3gpuE7ELNS1_3repE0EEENS1_48merge_mergepath_partition_config_static_selectorELNS0_4arch9wavefront6targetE1EEEvSK_
                                        ; -- End function
	.section	.AMDGPU.csdata,"",@progbits
; Kernel info:
; codeLenInByte = 0
; NumSgprs: 4
; NumVgprs: 0
; NumAgprs: 0
; TotalNumVgprs: 0
; ScratchSize: 0
; MemoryBound: 0
; FloatMode: 240
; IeeeMode: 1
; LDSByteSize: 0 bytes/workgroup (compile time only)
; SGPRBlocks: 0
; VGPRBlocks: 0
; NumSGPRsForWavesPerEU: 4
; NumVGPRsForWavesPerEU: 1
; AccumOffset: 4
; Occupancy: 8
; WaveLimiterHint : 0
; COMPUTE_PGM_RSRC2:SCRATCH_EN: 0
; COMPUTE_PGM_RSRC2:USER_SGPR: 6
; COMPUTE_PGM_RSRC2:TRAP_HANDLER: 0
; COMPUTE_PGM_RSRC2:TGID_X_EN: 1
; COMPUTE_PGM_RSRC2:TGID_Y_EN: 0
; COMPUTE_PGM_RSRC2:TGID_Z_EN: 0
; COMPUTE_PGM_RSRC2:TIDIG_COMP_CNT: 0
; COMPUTE_PGM_RSRC3_GFX90A:ACCUM_OFFSET: 0
; COMPUTE_PGM_RSRC3_GFX90A:TG_SPLIT: 0
	.section	.text._ZN7rocprim17ROCPRIM_400000_NS6detail17trampoline_kernelINS0_14default_configENS1_38merge_sort_block_merge_config_selectorIyNS0_10empty_typeEEEZZNS1_27merge_sort_block_merge_implIS3_N6thrust23THRUST_200600_302600_NS6detail15normal_iteratorINS9_10device_ptrIyEEEEPS5_m14custom_greaterIyEEE10hipError_tT0_T1_T2_jT3_P12ihipStream_tbPNSt15iterator_traitsISJ_E10value_typeEPNSP_ISK_E10value_typeEPSL_NS1_7vsmem_tEENKUlT_SJ_SK_SL_E_clIPySE_SF_SF_EESI_SY_SJ_SK_SL_EUlSY_E_NS1_11comp_targetILNS1_3genE2ELNS1_11target_archE906ELNS1_3gpuE6ELNS1_3repE0EEENS1_48merge_mergepath_partition_config_static_selectorELNS0_4arch9wavefront6targetE1EEEvSK_,"axG",@progbits,_ZN7rocprim17ROCPRIM_400000_NS6detail17trampoline_kernelINS0_14default_configENS1_38merge_sort_block_merge_config_selectorIyNS0_10empty_typeEEEZZNS1_27merge_sort_block_merge_implIS3_N6thrust23THRUST_200600_302600_NS6detail15normal_iteratorINS9_10device_ptrIyEEEEPS5_m14custom_greaterIyEEE10hipError_tT0_T1_T2_jT3_P12ihipStream_tbPNSt15iterator_traitsISJ_E10value_typeEPNSP_ISK_E10value_typeEPSL_NS1_7vsmem_tEENKUlT_SJ_SK_SL_E_clIPySE_SF_SF_EESI_SY_SJ_SK_SL_EUlSY_E_NS1_11comp_targetILNS1_3genE2ELNS1_11target_archE906ELNS1_3gpuE6ELNS1_3repE0EEENS1_48merge_mergepath_partition_config_static_selectorELNS0_4arch9wavefront6targetE1EEEvSK_,comdat
	.protected	_ZN7rocprim17ROCPRIM_400000_NS6detail17trampoline_kernelINS0_14default_configENS1_38merge_sort_block_merge_config_selectorIyNS0_10empty_typeEEEZZNS1_27merge_sort_block_merge_implIS3_N6thrust23THRUST_200600_302600_NS6detail15normal_iteratorINS9_10device_ptrIyEEEEPS5_m14custom_greaterIyEEE10hipError_tT0_T1_T2_jT3_P12ihipStream_tbPNSt15iterator_traitsISJ_E10value_typeEPNSP_ISK_E10value_typeEPSL_NS1_7vsmem_tEENKUlT_SJ_SK_SL_E_clIPySE_SF_SF_EESI_SY_SJ_SK_SL_EUlSY_E_NS1_11comp_targetILNS1_3genE2ELNS1_11target_archE906ELNS1_3gpuE6ELNS1_3repE0EEENS1_48merge_mergepath_partition_config_static_selectorELNS0_4arch9wavefront6targetE1EEEvSK_ ; -- Begin function _ZN7rocprim17ROCPRIM_400000_NS6detail17trampoline_kernelINS0_14default_configENS1_38merge_sort_block_merge_config_selectorIyNS0_10empty_typeEEEZZNS1_27merge_sort_block_merge_implIS3_N6thrust23THRUST_200600_302600_NS6detail15normal_iteratorINS9_10device_ptrIyEEEEPS5_m14custom_greaterIyEEE10hipError_tT0_T1_T2_jT3_P12ihipStream_tbPNSt15iterator_traitsISJ_E10value_typeEPNSP_ISK_E10value_typeEPSL_NS1_7vsmem_tEENKUlT_SJ_SK_SL_E_clIPySE_SF_SF_EESI_SY_SJ_SK_SL_EUlSY_E_NS1_11comp_targetILNS1_3genE2ELNS1_11target_archE906ELNS1_3gpuE6ELNS1_3repE0EEENS1_48merge_mergepath_partition_config_static_selectorELNS0_4arch9wavefront6targetE1EEEvSK_
	.globl	_ZN7rocprim17ROCPRIM_400000_NS6detail17trampoline_kernelINS0_14default_configENS1_38merge_sort_block_merge_config_selectorIyNS0_10empty_typeEEEZZNS1_27merge_sort_block_merge_implIS3_N6thrust23THRUST_200600_302600_NS6detail15normal_iteratorINS9_10device_ptrIyEEEEPS5_m14custom_greaterIyEEE10hipError_tT0_T1_T2_jT3_P12ihipStream_tbPNSt15iterator_traitsISJ_E10value_typeEPNSP_ISK_E10value_typeEPSL_NS1_7vsmem_tEENKUlT_SJ_SK_SL_E_clIPySE_SF_SF_EESI_SY_SJ_SK_SL_EUlSY_E_NS1_11comp_targetILNS1_3genE2ELNS1_11target_archE906ELNS1_3gpuE6ELNS1_3repE0EEENS1_48merge_mergepath_partition_config_static_selectorELNS0_4arch9wavefront6targetE1EEEvSK_
	.p2align	8
	.type	_ZN7rocprim17ROCPRIM_400000_NS6detail17trampoline_kernelINS0_14default_configENS1_38merge_sort_block_merge_config_selectorIyNS0_10empty_typeEEEZZNS1_27merge_sort_block_merge_implIS3_N6thrust23THRUST_200600_302600_NS6detail15normal_iteratorINS9_10device_ptrIyEEEEPS5_m14custom_greaterIyEEE10hipError_tT0_T1_T2_jT3_P12ihipStream_tbPNSt15iterator_traitsISJ_E10value_typeEPNSP_ISK_E10value_typeEPSL_NS1_7vsmem_tEENKUlT_SJ_SK_SL_E_clIPySE_SF_SF_EESI_SY_SJ_SK_SL_EUlSY_E_NS1_11comp_targetILNS1_3genE2ELNS1_11target_archE906ELNS1_3gpuE6ELNS1_3repE0EEENS1_48merge_mergepath_partition_config_static_selectorELNS0_4arch9wavefront6targetE1EEEvSK_,@function
_ZN7rocprim17ROCPRIM_400000_NS6detail17trampoline_kernelINS0_14default_configENS1_38merge_sort_block_merge_config_selectorIyNS0_10empty_typeEEEZZNS1_27merge_sort_block_merge_implIS3_N6thrust23THRUST_200600_302600_NS6detail15normal_iteratorINS9_10device_ptrIyEEEEPS5_m14custom_greaterIyEEE10hipError_tT0_T1_T2_jT3_P12ihipStream_tbPNSt15iterator_traitsISJ_E10value_typeEPNSP_ISK_E10value_typeEPSL_NS1_7vsmem_tEENKUlT_SJ_SK_SL_E_clIPySE_SF_SF_EESI_SY_SJ_SK_SL_EUlSY_E_NS1_11comp_targetILNS1_3genE2ELNS1_11target_archE906ELNS1_3gpuE6ELNS1_3repE0EEENS1_48merge_mergepath_partition_config_static_selectorELNS0_4arch9wavefront6targetE1EEEvSK_: ; @_ZN7rocprim17ROCPRIM_400000_NS6detail17trampoline_kernelINS0_14default_configENS1_38merge_sort_block_merge_config_selectorIyNS0_10empty_typeEEEZZNS1_27merge_sort_block_merge_implIS3_N6thrust23THRUST_200600_302600_NS6detail15normal_iteratorINS9_10device_ptrIyEEEEPS5_m14custom_greaterIyEEE10hipError_tT0_T1_T2_jT3_P12ihipStream_tbPNSt15iterator_traitsISJ_E10value_typeEPNSP_ISK_E10value_typeEPSL_NS1_7vsmem_tEENKUlT_SJ_SK_SL_E_clIPySE_SF_SF_EESI_SY_SJ_SK_SL_EUlSY_E_NS1_11comp_targetILNS1_3genE2ELNS1_11target_archE906ELNS1_3gpuE6ELNS1_3repE0EEENS1_48merge_mergepath_partition_config_static_selectorELNS0_4arch9wavefront6targetE1EEEvSK_
; %bb.0:
	.section	.rodata,"a",@progbits
	.p2align	6, 0x0
	.amdhsa_kernel _ZN7rocprim17ROCPRIM_400000_NS6detail17trampoline_kernelINS0_14default_configENS1_38merge_sort_block_merge_config_selectorIyNS0_10empty_typeEEEZZNS1_27merge_sort_block_merge_implIS3_N6thrust23THRUST_200600_302600_NS6detail15normal_iteratorINS9_10device_ptrIyEEEEPS5_m14custom_greaterIyEEE10hipError_tT0_T1_T2_jT3_P12ihipStream_tbPNSt15iterator_traitsISJ_E10value_typeEPNSP_ISK_E10value_typeEPSL_NS1_7vsmem_tEENKUlT_SJ_SK_SL_E_clIPySE_SF_SF_EESI_SY_SJ_SK_SL_EUlSY_E_NS1_11comp_targetILNS1_3genE2ELNS1_11target_archE906ELNS1_3gpuE6ELNS1_3repE0EEENS1_48merge_mergepath_partition_config_static_selectorELNS0_4arch9wavefront6targetE1EEEvSK_
		.amdhsa_group_segment_fixed_size 0
		.amdhsa_private_segment_fixed_size 0
		.amdhsa_kernarg_size 48
		.amdhsa_user_sgpr_count 6
		.amdhsa_user_sgpr_private_segment_buffer 1
		.amdhsa_user_sgpr_dispatch_ptr 0
		.amdhsa_user_sgpr_queue_ptr 0
		.amdhsa_user_sgpr_kernarg_segment_ptr 1
		.amdhsa_user_sgpr_dispatch_id 0
		.amdhsa_user_sgpr_flat_scratch_init 0
		.amdhsa_user_sgpr_kernarg_preload_length 0
		.amdhsa_user_sgpr_kernarg_preload_offset 0
		.amdhsa_user_sgpr_private_segment_size 0
		.amdhsa_uses_dynamic_stack 0
		.amdhsa_system_sgpr_private_segment_wavefront_offset 0
		.amdhsa_system_sgpr_workgroup_id_x 1
		.amdhsa_system_sgpr_workgroup_id_y 0
		.amdhsa_system_sgpr_workgroup_id_z 0
		.amdhsa_system_sgpr_workgroup_info 0
		.amdhsa_system_vgpr_workitem_id 0
		.amdhsa_next_free_vgpr 1
		.amdhsa_next_free_sgpr 0
		.amdhsa_accum_offset 4
		.amdhsa_reserve_vcc 0
		.amdhsa_reserve_flat_scratch 0
		.amdhsa_float_round_mode_32 0
		.amdhsa_float_round_mode_16_64 0
		.amdhsa_float_denorm_mode_32 3
		.amdhsa_float_denorm_mode_16_64 3
		.amdhsa_dx10_clamp 1
		.amdhsa_ieee_mode 1
		.amdhsa_fp16_overflow 0
		.amdhsa_tg_split 0
		.amdhsa_exception_fp_ieee_invalid_op 0
		.amdhsa_exception_fp_denorm_src 0
		.amdhsa_exception_fp_ieee_div_zero 0
		.amdhsa_exception_fp_ieee_overflow 0
		.amdhsa_exception_fp_ieee_underflow 0
		.amdhsa_exception_fp_ieee_inexact 0
		.amdhsa_exception_int_div_zero 0
	.end_amdhsa_kernel
	.section	.text._ZN7rocprim17ROCPRIM_400000_NS6detail17trampoline_kernelINS0_14default_configENS1_38merge_sort_block_merge_config_selectorIyNS0_10empty_typeEEEZZNS1_27merge_sort_block_merge_implIS3_N6thrust23THRUST_200600_302600_NS6detail15normal_iteratorINS9_10device_ptrIyEEEEPS5_m14custom_greaterIyEEE10hipError_tT0_T1_T2_jT3_P12ihipStream_tbPNSt15iterator_traitsISJ_E10value_typeEPNSP_ISK_E10value_typeEPSL_NS1_7vsmem_tEENKUlT_SJ_SK_SL_E_clIPySE_SF_SF_EESI_SY_SJ_SK_SL_EUlSY_E_NS1_11comp_targetILNS1_3genE2ELNS1_11target_archE906ELNS1_3gpuE6ELNS1_3repE0EEENS1_48merge_mergepath_partition_config_static_selectorELNS0_4arch9wavefront6targetE1EEEvSK_,"axG",@progbits,_ZN7rocprim17ROCPRIM_400000_NS6detail17trampoline_kernelINS0_14default_configENS1_38merge_sort_block_merge_config_selectorIyNS0_10empty_typeEEEZZNS1_27merge_sort_block_merge_implIS3_N6thrust23THRUST_200600_302600_NS6detail15normal_iteratorINS9_10device_ptrIyEEEEPS5_m14custom_greaterIyEEE10hipError_tT0_T1_T2_jT3_P12ihipStream_tbPNSt15iterator_traitsISJ_E10value_typeEPNSP_ISK_E10value_typeEPSL_NS1_7vsmem_tEENKUlT_SJ_SK_SL_E_clIPySE_SF_SF_EESI_SY_SJ_SK_SL_EUlSY_E_NS1_11comp_targetILNS1_3genE2ELNS1_11target_archE906ELNS1_3gpuE6ELNS1_3repE0EEENS1_48merge_mergepath_partition_config_static_selectorELNS0_4arch9wavefront6targetE1EEEvSK_,comdat
.Lfunc_end3468:
	.size	_ZN7rocprim17ROCPRIM_400000_NS6detail17trampoline_kernelINS0_14default_configENS1_38merge_sort_block_merge_config_selectorIyNS0_10empty_typeEEEZZNS1_27merge_sort_block_merge_implIS3_N6thrust23THRUST_200600_302600_NS6detail15normal_iteratorINS9_10device_ptrIyEEEEPS5_m14custom_greaterIyEEE10hipError_tT0_T1_T2_jT3_P12ihipStream_tbPNSt15iterator_traitsISJ_E10value_typeEPNSP_ISK_E10value_typeEPSL_NS1_7vsmem_tEENKUlT_SJ_SK_SL_E_clIPySE_SF_SF_EESI_SY_SJ_SK_SL_EUlSY_E_NS1_11comp_targetILNS1_3genE2ELNS1_11target_archE906ELNS1_3gpuE6ELNS1_3repE0EEENS1_48merge_mergepath_partition_config_static_selectorELNS0_4arch9wavefront6targetE1EEEvSK_, .Lfunc_end3468-_ZN7rocprim17ROCPRIM_400000_NS6detail17trampoline_kernelINS0_14default_configENS1_38merge_sort_block_merge_config_selectorIyNS0_10empty_typeEEEZZNS1_27merge_sort_block_merge_implIS3_N6thrust23THRUST_200600_302600_NS6detail15normal_iteratorINS9_10device_ptrIyEEEEPS5_m14custom_greaterIyEEE10hipError_tT0_T1_T2_jT3_P12ihipStream_tbPNSt15iterator_traitsISJ_E10value_typeEPNSP_ISK_E10value_typeEPSL_NS1_7vsmem_tEENKUlT_SJ_SK_SL_E_clIPySE_SF_SF_EESI_SY_SJ_SK_SL_EUlSY_E_NS1_11comp_targetILNS1_3genE2ELNS1_11target_archE906ELNS1_3gpuE6ELNS1_3repE0EEENS1_48merge_mergepath_partition_config_static_selectorELNS0_4arch9wavefront6targetE1EEEvSK_
                                        ; -- End function
	.section	.AMDGPU.csdata,"",@progbits
; Kernel info:
; codeLenInByte = 0
; NumSgprs: 4
; NumVgprs: 0
; NumAgprs: 0
; TotalNumVgprs: 0
; ScratchSize: 0
; MemoryBound: 0
; FloatMode: 240
; IeeeMode: 1
; LDSByteSize: 0 bytes/workgroup (compile time only)
; SGPRBlocks: 0
; VGPRBlocks: 0
; NumSGPRsForWavesPerEU: 4
; NumVGPRsForWavesPerEU: 1
; AccumOffset: 4
; Occupancy: 8
; WaveLimiterHint : 0
; COMPUTE_PGM_RSRC2:SCRATCH_EN: 0
; COMPUTE_PGM_RSRC2:USER_SGPR: 6
; COMPUTE_PGM_RSRC2:TRAP_HANDLER: 0
; COMPUTE_PGM_RSRC2:TGID_X_EN: 1
; COMPUTE_PGM_RSRC2:TGID_Y_EN: 0
; COMPUTE_PGM_RSRC2:TGID_Z_EN: 0
; COMPUTE_PGM_RSRC2:TIDIG_COMP_CNT: 0
; COMPUTE_PGM_RSRC3_GFX90A:ACCUM_OFFSET: 0
; COMPUTE_PGM_RSRC3_GFX90A:TG_SPLIT: 0
	.section	.text._ZN7rocprim17ROCPRIM_400000_NS6detail17trampoline_kernelINS0_14default_configENS1_38merge_sort_block_merge_config_selectorIyNS0_10empty_typeEEEZZNS1_27merge_sort_block_merge_implIS3_N6thrust23THRUST_200600_302600_NS6detail15normal_iteratorINS9_10device_ptrIyEEEEPS5_m14custom_greaterIyEEE10hipError_tT0_T1_T2_jT3_P12ihipStream_tbPNSt15iterator_traitsISJ_E10value_typeEPNSP_ISK_E10value_typeEPSL_NS1_7vsmem_tEENKUlT_SJ_SK_SL_E_clIPySE_SF_SF_EESI_SY_SJ_SK_SL_EUlSY_E_NS1_11comp_targetILNS1_3genE9ELNS1_11target_archE1100ELNS1_3gpuE3ELNS1_3repE0EEENS1_48merge_mergepath_partition_config_static_selectorELNS0_4arch9wavefront6targetE1EEEvSK_,"axG",@progbits,_ZN7rocprim17ROCPRIM_400000_NS6detail17trampoline_kernelINS0_14default_configENS1_38merge_sort_block_merge_config_selectorIyNS0_10empty_typeEEEZZNS1_27merge_sort_block_merge_implIS3_N6thrust23THRUST_200600_302600_NS6detail15normal_iteratorINS9_10device_ptrIyEEEEPS5_m14custom_greaterIyEEE10hipError_tT0_T1_T2_jT3_P12ihipStream_tbPNSt15iterator_traitsISJ_E10value_typeEPNSP_ISK_E10value_typeEPSL_NS1_7vsmem_tEENKUlT_SJ_SK_SL_E_clIPySE_SF_SF_EESI_SY_SJ_SK_SL_EUlSY_E_NS1_11comp_targetILNS1_3genE9ELNS1_11target_archE1100ELNS1_3gpuE3ELNS1_3repE0EEENS1_48merge_mergepath_partition_config_static_selectorELNS0_4arch9wavefront6targetE1EEEvSK_,comdat
	.protected	_ZN7rocprim17ROCPRIM_400000_NS6detail17trampoline_kernelINS0_14default_configENS1_38merge_sort_block_merge_config_selectorIyNS0_10empty_typeEEEZZNS1_27merge_sort_block_merge_implIS3_N6thrust23THRUST_200600_302600_NS6detail15normal_iteratorINS9_10device_ptrIyEEEEPS5_m14custom_greaterIyEEE10hipError_tT0_T1_T2_jT3_P12ihipStream_tbPNSt15iterator_traitsISJ_E10value_typeEPNSP_ISK_E10value_typeEPSL_NS1_7vsmem_tEENKUlT_SJ_SK_SL_E_clIPySE_SF_SF_EESI_SY_SJ_SK_SL_EUlSY_E_NS1_11comp_targetILNS1_3genE9ELNS1_11target_archE1100ELNS1_3gpuE3ELNS1_3repE0EEENS1_48merge_mergepath_partition_config_static_selectorELNS0_4arch9wavefront6targetE1EEEvSK_ ; -- Begin function _ZN7rocprim17ROCPRIM_400000_NS6detail17trampoline_kernelINS0_14default_configENS1_38merge_sort_block_merge_config_selectorIyNS0_10empty_typeEEEZZNS1_27merge_sort_block_merge_implIS3_N6thrust23THRUST_200600_302600_NS6detail15normal_iteratorINS9_10device_ptrIyEEEEPS5_m14custom_greaterIyEEE10hipError_tT0_T1_T2_jT3_P12ihipStream_tbPNSt15iterator_traitsISJ_E10value_typeEPNSP_ISK_E10value_typeEPSL_NS1_7vsmem_tEENKUlT_SJ_SK_SL_E_clIPySE_SF_SF_EESI_SY_SJ_SK_SL_EUlSY_E_NS1_11comp_targetILNS1_3genE9ELNS1_11target_archE1100ELNS1_3gpuE3ELNS1_3repE0EEENS1_48merge_mergepath_partition_config_static_selectorELNS0_4arch9wavefront6targetE1EEEvSK_
	.globl	_ZN7rocprim17ROCPRIM_400000_NS6detail17trampoline_kernelINS0_14default_configENS1_38merge_sort_block_merge_config_selectorIyNS0_10empty_typeEEEZZNS1_27merge_sort_block_merge_implIS3_N6thrust23THRUST_200600_302600_NS6detail15normal_iteratorINS9_10device_ptrIyEEEEPS5_m14custom_greaterIyEEE10hipError_tT0_T1_T2_jT3_P12ihipStream_tbPNSt15iterator_traitsISJ_E10value_typeEPNSP_ISK_E10value_typeEPSL_NS1_7vsmem_tEENKUlT_SJ_SK_SL_E_clIPySE_SF_SF_EESI_SY_SJ_SK_SL_EUlSY_E_NS1_11comp_targetILNS1_3genE9ELNS1_11target_archE1100ELNS1_3gpuE3ELNS1_3repE0EEENS1_48merge_mergepath_partition_config_static_selectorELNS0_4arch9wavefront6targetE1EEEvSK_
	.p2align	8
	.type	_ZN7rocprim17ROCPRIM_400000_NS6detail17trampoline_kernelINS0_14default_configENS1_38merge_sort_block_merge_config_selectorIyNS0_10empty_typeEEEZZNS1_27merge_sort_block_merge_implIS3_N6thrust23THRUST_200600_302600_NS6detail15normal_iteratorINS9_10device_ptrIyEEEEPS5_m14custom_greaterIyEEE10hipError_tT0_T1_T2_jT3_P12ihipStream_tbPNSt15iterator_traitsISJ_E10value_typeEPNSP_ISK_E10value_typeEPSL_NS1_7vsmem_tEENKUlT_SJ_SK_SL_E_clIPySE_SF_SF_EESI_SY_SJ_SK_SL_EUlSY_E_NS1_11comp_targetILNS1_3genE9ELNS1_11target_archE1100ELNS1_3gpuE3ELNS1_3repE0EEENS1_48merge_mergepath_partition_config_static_selectorELNS0_4arch9wavefront6targetE1EEEvSK_,@function
_ZN7rocprim17ROCPRIM_400000_NS6detail17trampoline_kernelINS0_14default_configENS1_38merge_sort_block_merge_config_selectorIyNS0_10empty_typeEEEZZNS1_27merge_sort_block_merge_implIS3_N6thrust23THRUST_200600_302600_NS6detail15normal_iteratorINS9_10device_ptrIyEEEEPS5_m14custom_greaterIyEEE10hipError_tT0_T1_T2_jT3_P12ihipStream_tbPNSt15iterator_traitsISJ_E10value_typeEPNSP_ISK_E10value_typeEPSL_NS1_7vsmem_tEENKUlT_SJ_SK_SL_E_clIPySE_SF_SF_EESI_SY_SJ_SK_SL_EUlSY_E_NS1_11comp_targetILNS1_3genE9ELNS1_11target_archE1100ELNS1_3gpuE3ELNS1_3repE0EEENS1_48merge_mergepath_partition_config_static_selectorELNS0_4arch9wavefront6targetE1EEEvSK_: ; @_ZN7rocprim17ROCPRIM_400000_NS6detail17trampoline_kernelINS0_14default_configENS1_38merge_sort_block_merge_config_selectorIyNS0_10empty_typeEEEZZNS1_27merge_sort_block_merge_implIS3_N6thrust23THRUST_200600_302600_NS6detail15normal_iteratorINS9_10device_ptrIyEEEEPS5_m14custom_greaterIyEEE10hipError_tT0_T1_T2_jT3_P12ihipStream_tbPNSt15iterator_traitsISJ_E10value_typeEPNSP_ISK_E10value_typeEPSL_NS1_7vsmem_tEENKUlT_SJ_SK_SL_E_clIPySE_SF_SF_EESI_SY_SJ_SK_SL_EUlSY_E_NS1_11comp_targetILNS1_3genE9ELNS1_11target_archE1100ELNS1_3gpuE3ELNS1_3repE0EEENS1_48merge_mergepath_partition_config_static_selectorELNS0_4arch9wavefront6targetE1EEEvSK_
; %bb.0:
	.section	.rodata,"a",@progbits
	.p2align	6, 0x0
	.amdhsa_kernel _ZN7rocprim17ROCPRIM_400000_NS6detail17trampoline_kernelINS0_14default_configENS1_38merge_sort_block_merge_config_selectorIyNS0_10empty_typeEEEZZNS1_27merge_sort_block_merge_implIS3_N6thrust23THRUST_200600_302600_NS6detail15normal_iteratorINS9_10device_ptrIyEEEEPS5_m14custom_greaterIyEEE10hipError_tT0_T1_T2_jT3_P12ihipStream_tbPNSt15iterator_traitsISJ_E10value_typeEPNSP_ISK_E10value_typeEPSL_NS1_7vsmem_tEENKUlT_SJ_SK_SL_E_clIPySE_SF_SF_EESI_SY_SJ_SK_SL_EUlSY_E_NS1_11comp_targetILNS1_3genE9ELNS1_11target_archE1100ELNS1_3gpuE3ELNS1_3repE0EEENS1_48merge_mergepath_partition_config_static_selectorELNS0_4arch9wavefront6targetE1EEEvSK_
		.amdhsa_group_segment_fixed_size 0
		.amdhsa_private_segment_fixed_size 0
		.amdhsa_kernarg_size 48
		.amdhsa_user_sgpr_count 6
		.amdhsa_user_sgpr_private_segment_buffer 1
		.amdhsa_user_sgpr_dispatch_ptr 0
		.amdhsa_user_sgpr_queue_ptr 0
		.amdhsa_user_sgpr_kernarg_segment_ptr 1
		.amdhsa_user_sgpr_dispatch_id 0
		.amdhsa_user_sgpr_flat_scratch_init 0
		.amdhsa_user_sgpr_kernarg_preload_length 0
		.amdhsa_user_sgpr_kernarg_preload_offset 0
		.amdhsa_user_sgpr_private_segment_size 0
		.amdhsa_uses_dynamic_stack 0
		.amdhsa_system_sgpr_private_segment_wavefront_offset 0
		.amdhsa_system_sgpr_workgroup_id_x 1
		.amdhsa_system_sgpr_workgroup_id_y 0
		.amdhsa_system_sgpr_workgroup_id_z 0
		.amdhsa_system_sgpr_workgroup_info 0
		.amdhsa_system_vgpr_workitem_id 0
		.amdhsa_next_free_vgpr 1
		.amdhsa_next_free_sgpr 0
		.amdhsa_accum_offset 4
		.amdhsa_reserve_vcc 0
		.amdhsa_reserve_flat_scratch 0
		.amdhsa_float_round_mode_32 0
		.amdhsa_float_round_mode_16_64 0
		.amdhsa_float_denorm_mode_32 3
		.amdhsa_float_denorm_mode_16_64 3
		.amdhsa_dx10_clamp 1
		.amdhsa_ieee_mode 1
		.amdhsa_fp16_overflow 0
		.amdhsa_tg_split 0
		.amdhsa_exception_fp_ieee_invalid_op 0
		.amdhsa_exception_fp_denorm_src 0
		.amdhsa_exception_fp_ieee_div_zero 0
		.amdhsa_exception_fp_ieee_overflow 0
		.amdhsa_exception_fp_ieee_underflow 0
		.amdhsa_exception_fp_ieee_inexact 0
		.amdhsa_exception_int_div_zero 0
	.end_amdhsa_kernel
	.section	.text._ZN7rocprim17ROCPRIM_400000_NS6detail17trampoline_kernelINS0_14default_configENS1_38merge_sort_block_merge_config_selectorIyNS0_10empty_typeEEEZZNS1_27merge_sort_block_merge_implIS3_N6thrust23THRUST_200600_302600_NS6detail15normal_iteratorINS9_10device_ptrIyEEEEPS5_m14custom_greaterIyEEE10hipError_tT0_T1_T2_jT3_P12ihipStream_tbPNSt15iterator_traitsISJ_E10value_typeEPNSP_ISK_E10value_typeEPSL_NS1_7vsmem_tEENKUlT_SJ_SK_SL_E_clIPySE_SF_SF_EESI_SY_SJ_SK_SL_EUlSY_E_NS1_11comp_targetILNS1_3genE9ELNS1_11target_archE1100ELNS1_3gpuE3ELNS1_3repE0EEENS1_48merge_mergepath_partition_config_static_selectorELNS0_4arch9wavefront6targetE1EEEvSK_,"axG",@progbits,_ZN7rocprim17ROCPRIM_400000_NS6detail17trampoline_kernelINS0_14default_configENS1_38merge_sort_block_merge_config_selectorIyNS0_10empty_typeEEEZZNS1_27merge_sort_block_merge_implIS3_N6thrust23THRUST_200600_302600_NS6detail15normal_iteratorINS9_10device_ptrIyEEEEPS5_m14custom_greaterIyEEE10hipError_tT0_T1_T2_jT3_P12ihipStream_tbPNSt15iterator_traitsISJ_E10value_typeEPNSP_ISK_E10value_typeEPSL_NS1_7vsmem_tEENKUlT_SJ_SK_SL_E_clIPySE_SF_SF_EESI_SY_SJ_SK_SL_EUlSY_E_NS1_11comp_targetILNS1_3genE9ELNS1_11target_archE1100ELNS1_3gpuE3ELNS1_3repE0EEENS1_48merge_mergepath_partition_config_static_selectorELNS0_4arch9wavefront6targetE1EEEvSK_,comdat
.Lfunc_end3469:
	.size	_ZN7rocprim17ROCPRIM_400000_NS6detail17trampoline_kernelINS0_14default_configENS1_38merge_sort_block_merge_config_selectorIyNS0_10empty_typeEEEZZNS1_27merge_sort_block_merge_implIS3_N6thrust23THRUST_200600_302600_NS6detail15normal_iteratorINS9_10device_ptrIyEEEEPS5_m14custom_greaterIyEEE10hipError_tT0_T1_T2_jT3_P12ihipStream_tbPNSt15iterator_traitsISJ_E10value_typeEPNSP_ISK_E10value_typeEPSL_NS1_7vsmem_tEENKUlT_SJ_SK_SL_E_clIPySE_SF_SF_EESI_SY_SJ_SK_SL_EUlSY_E_NS1_11comp_targetILNS1_3genE9ELNS1_11target_archE1100ELNS1_3gpuE3ELNS1_3repE0EEENS1_48merge_mergepath_partition_config_static_selectorELNS0_4arch9wavefront6targetE1EEEvSK_, .Lfunc_end3469-_ZN7rocprim17ROCPRIM_400000_NS6detail17trampoline_kernelINS0_14default_configENS1_38merge_sort_block_merge_config_selectorIyNS0_10empty_typeEEEZZNS1_27merge_sort_block_merge_implIS3_N6thrust23THRUST_200600_302600_NS6detail15normal_iteratorINS9_10device_ptrIyEEEEPS5_m14custom_greaterIyEEE10hipError_tT0_T1_T2_jT3_P12ihipStream_tbPNSt15iterator_traitsISJ_E10value_typeEPNSP_ISK_E10value_typeEPSL_NS1_7vsmem_tEENKUlT_SJ_SK_SL_E_clIPySE_SF_SF_EESI_SY_SJ_SK_SL_EUlSY_E_NS1_11comp_targetILNS1_3genE9ELNS1_11target_archE1100ELNS1_3gpuE3ELNS1_3repE0EEENS1_48merge_mergepath_partition_config_static_selectorELNS0_4arch9wavefront6targetE1EEEvSK_
                                        ; -- End function
	.section	.AMDGPU.csdata,"",@progbits
; Kernel info:
; codeLenInByte = 0
; NumSgprs: 4
; NumVgprs: 0
; NumAgprs: 0
; TotalNumVgprs: 0
; ScratchSize: 0
; MemoryBound: 0
; FloatMode: 240
; IeeeMode: 1
; LDSByteSize: 0 bytes/workgroup (compile time only)
; SGPRBlocks: 0
; VGPRBlocks: 0
; NumSGPRsForWavesPerEU: 4
; NumVGPRsForWavesPerEU: 1
; AccumOffset: 4
; Occupancy: 8
; WaveLimiterHint : 0
; COMPUTE_PGM_RSRC2:SCRATCH_EN: 0
; COMPUTE_PGM_RSRC2:USER_SGPR: 6
; COMPUTE_PGM_RSRC2:TRAP_HANDLER: 0
; COMPUTE_PGM_RSRC2:TGID_X_EN: 1
; COMPUTE_PGM_RSRC2:TGID_Y_EN: 0
; COMPUTE_PGM_RSRC2:TGID_Z_EN: 0
; COMPUTE_PGM_RSRC2:TIDIG_COMP_CNT: 0
; COMPUTE_PGM_RSRC3_GFX90A:ACCUM_OFFSET: 0
; COMPUTE_PGM_RSRC3_GFX90A:TG_SPLIT: 0
	.section	.text._ZN7rocprim17ROCPRIM_400000_NS6detail17trampoline_kernelINS0_14default_configENS1_38merge_sort_block_merge_config_selectorIyNS0_10empty_typeEEEZZNS1_27merge_sort_block_merge_implIS3_N6thrust23THRUST_200600_302600_NS6detail15normal_iteratorINS9_10device_ptrIyEEEEPS5_m14custom_greaterIyEEE10hipError_tT0_T1_T2_jT3_P12ihipStream_tbPNSt15iterator_traitsISJ_E10value_typeEPNSP_ISK_E10value_typeEPSL_NS1_7vsmem_tEENKUlT_SJ_SK_SL_E_clIPySE_SF_SF_EESI_SY_SJ_SK_SL_EUlSY_E_NS1_11comp_targetILNS1_3genE8ELNS1_11target_archE1030ELNS1_3gpuE2ELNS1_3repE0EEENS1_48merge_mergepath_partition_config_static_selectorELNS0_4arch9wavefront6targetE1EEEvSK_,"axG",@progbits,_ZN7rocprim17ROCPRIM_400000_NS6detail17trampoline_kernelINS0_14default_configENS1_38merge_sort_block_merge_config_selectorIyNS0_10empty_typeEEEZZNS1_27merge_sort_block_merge_implIS3_N6thrust23THRUST_200600_302600_NS6detail15normal_iteratorINS9_10device_ptrIyEEEEPS5_m14custom_greaterIyEEE10hipError_tT0_T1_T2_jT3_P12ihipStream_tbPNSt15iterator_traitsISJ_E10value_typeEPNSP_ISK_E10value_typeEPSL_NS1_7vsmem_tEENKUlT_SJ_SK_SL_E_clIPySE_SF_SF_EESI_SY_SJ_SK_SL_EUlSY_E_NS1_11comp_targetILNS1_3genE8ELNS1_11target_archE1030ELNS1_3gpuE2ELNS1_3repE0EEENS1_48merge_mergepath_partition_config_static_selectorELNS0_4arch9wavefront6targetE1EEEvSK_,comdat
	.protected	_ZN7rocprim17ROCPRIM_400000_NS6detail17trampoline_kernelINS0_14default_configENS1_38merge_sort_block_merge_config_selectorIyNS0_10empty_typeEEEZZNS1_27merge_sort_block_merge_implIS3_N6thrust23THRUST_200600_302600_NS6detail15normal_iteratorINS9_10device_ptrIyEEEEPS5_m14custom_greaterIyEEE10hipError_tT0_T1_T2_jT3_P12ihipStream_tbPNSt15iterator_traitsISJ_E10value_typeEPNSP_ISK_E10value_typeEPSL_NS1_7vsmem_tEENKUlT_SJ_SK_SL_E_clIPySE_SF_SF_EESI_SY_SJ_SK_SL_EUlSY_E_NS1_11comp_targetILNS1_3genE8ELNS1_11target_archE1030ELNS1_3gpuE2ELNS1_3repE0EEENS1_48merge_mergepath_partition_config_static_selectorELNS0_4arch9wavefront6targetE1EEEvSK_ ; -- Begin function _ZN7rocprim17ROCPRIM_400000_NS6detail17trampoline_kernelINS0_14default_configENS1_38merge_sort_block_merge_config_selectorIyNS0_10empty_typeEEEZZNS1_27merge_sort_block_merge_implIS3_N6thrust23THRUST_200600_302600_NS6detail15normal_iteratorINS9_10device_ptrIyEEEEPS5_m14custom_greaterIyEEE10hipError_tT0_T1_T2_jT3_P12ihipStream_tbPNSt15iterator_traitsISJ_E10value_typeEPNSP_ISK_E10value_typeEPSL_NS1_7vsmem_tEENKUlT_SJ_SK_SL_E_clIPySE_SF_SF_EESI_SY_SJ_SK_SL_EUlSY_E_NS1_11comp_targetILNS1_3genE8ELNS1_11target_archE1030ELNS1_3gpuE2ELNS1_3repE0EEENS1_48merge_mergepath_partition_config_static_selectorELNS0_4arch9wavefront6targetE1EEEvSK_
	.globl	_ZN7rocprim17ROCPRIM_400000_NS6detail17trampoline_kernelINS0_14default_configENS1_38merge_sort_block_merge_config_selectorIyNS0_10empty_typeEEEZZNS1_27merge_sort_block_merge_implIS3_N6thrust23THRUST_200600_302600_NS6detail15normal_iteratorINS9_10device_ptrIyEEEEPS5_m14custom_greaterIyEEE10hipError_tT0_T1_T2_jT3_P12ihipStream_tbPNSt15iterator_traitsISJ_E10value_typeEPNSP_ISK_E10value_typeEPSL_NS1_7vsmem_tEENKUlT_SJ_SK_SL_E_clIPySE_SF_SF_EESI_SY_SJ_SK_SL_EUlSY_E_NS1_11comp_targetILNS1_3genE8ELNS1_11target_archE1030ELNS1_3gpuE2ELNS1_3repE0EEENS1_48merge_mergepath_partition_config_static_selectorELNS0_4arch9wavefront6targetE1EEEvSK_
	.p2align	8
	.type	_ZN7rocprim17ROCPRIM_400000_NS6detail17trampoline_kernelINS0_14default_configENS1_38merge_sort_block_merge_config_selectorIyNS0_10empty_typeEEEZZNS1_27merge_sort_block_merge_implIS3_N6thrust23THRUST_200600_302600_NS6detail15normal_iteratorINS9_10device_ptrIyEEEEPS5_m14custom_greaterIyEEE10hipError_tT0_T1_T2_jT3_P12ihipStream_tbPNSt15iterator_traitsISJ_E10value_typeEPNSP_ISK_E10value_typeEPSL_NS1_7vsmem_tEENKUlT_SJ_SK_SL_E_clIPySE_SF_SF_EESI_SY_SJ_SK_SL_EUlSY_E_NS1_11comp_targetILNS1_3genE8ELNS1_11target_archE1030ELNS1_3gpuE2ELNS1_3repE0EEENS1_48merge_mergepath_partition_config_static_selectorELNS0_4arch9wavefront6targetE1EEEvSK_,@function
_ZN7rocprim17ROCPRIM_400000_NS6detail17trampoline_kernelINS0_14default_configENS1_38merge_sort_block_merge_config_selectorIyNS0_10empty_typeEEEZZNS1_27merge_sort_block_merge_implIS3_N6thrust23THRUST_200600_302600_NS6detail15normal_iteratorINS9_10device_ptrIyEEEEPS5_m14custom_greaterIyEEE10hipError_tT0_T1_T2_jT3_P12ihipStream_tbPNSt15iterator_traitsISJ_E10value_typeEPNSP_ISK_E10value_typeEPSL_NS1_7vsmem_tEENKUlT_SJ_SK_SL_E_clIPySE_SF_SF_EESI_SY_SJ_SK_SL_EUlSY_E_NS1_11comp_targetILNS1_3genE8ELNS1_11target_archE1030ELNS1_3gpuE2ELNS1_3repE0EEENS1_48merge_mergepath_partition_config_static_selectorELNS0_4arch9wavefront6targetE1EEEvSK_: ; @_ZN7rocprim17ROCPRIM_400000_NS6detail17trampoline_kernelINS0_14default_configENS1_38merge_sort_block_merge_config_selectorIyNS0_10empty_typeEEEZZNS1_27merge_sort_block_merge_implIS3_N6thrust23THRUST_200600_302600_NS6detail15normal_iteratorINS9_10device_ptrIyEEEEPS5_m14custom_greaterIyEEE10hipError_tT0_T1_T2_jT3_P12ihipStream_tbPNSt15iterator_traitsISJ_E10value_typeEPNSP_ISK_E10value_typeEPSL_NS1_7vsmem_tEENKUlT_SJ_SK_SL_E_clIPySE_SF_SF_EESI_SY_SJ_SK_SL_EUlSY_E_NS1_11comp_targetILNS1_3genE8ELNS1_11target_archE1030ELNS1_3gpuE2ELNS1_3repE0EEENS1_48merge_mergepath_partition_config_static_selectorELNS0_4arch9wavefront6targetE1EEEvSK_
; %bb.0:
	.section	.rodata,"a",@progbits
	.p2align	6, 0x0
	.amdhsa_kernel _ZN7rocprim17ROCPRIM_400000_NS6detail17trampoline_kernelINS0_14default_configENS1_38merge_sort_block_merge_config_selectorIyNS0_10empty_typeEEEZZNS1_27merge_sort_block_merge_implIS3_N6thrust23THRUST_200600_302600_NS6detail15normal_iteratorINS9_10device_ptrIyEEEEPS5_m14custom_greaterIyEEE10hipError_tT0_T1_T2_jT3_P12ihipStream_tbPNSt15iterator_traitsISJ_E10value_typeEPNSP_ISK_E10value_typeEPSL_NS1_7vsmem_tEENKUlT_SJ_SK_SL_E_clIPySE_SF_SF_EESI_SY_SJ_SK_SL_EUlSY_E_NS1_11comp_targetILNS1_3genE8ELNS1_11target_archE1030ELNS1_3gpuE2ELNS1_3repE0EEENS1_48merge_mergepath_partition_config_static_selectorELNS0_4arch9wavefront6targetE1EEEvSK_
		.amdhsa_group_segment_fixed_size 0
		.amdhsa_private_segment_fixed_size 0
		.amdhsa_kernarg_size 48
		.amdhsa_user_sgpr_count 6
		.amdhsa_user_sgpr_private_segment_buffer 1
		.amdhsa_user_sgpr_dispatch_ptr 0
		.amdhsa_user_sgpr_queue_ptr 0
		.amdhsa_user_sgpr_kernarg_segment_ptr 1
		.amdhsa_user_sgpr_dispatch_id 0
		.amdhsa_user_sgpr_flat_scratch_init 0
		.amdhsa_user_sgpr_kernarg_preload_length 0
		.amdhsa_user_sgpr_kernarg_preload_offset 0
		.amdhsa_user_sgpr_private_segment_size 0
		.amdhsa_uses_dynamic_stack 0
		.amdhsa_system_sgpr_private_segment_wavefront_offset 0
		.amdhsa_system_sgpr_workgroup_id_x 1
		.amdhsa_system_sgpr_workgroup_id_y 0
		.amdhsa_system_sgpr_workgroup_id_z 0
		.amdhsa_system_sgpr_workgroup_info 0
		.amdhsa_system_vgpr_workitem_id 0
		.amdhsa_next_free_vgpr 1
		.amdhsa_next_free_sgpr 0
		.amdhsa_accum_offset 4
		.amdhsa_reserve_vcc 0
		.amdhsa_reserve_flat_scratch 0
		.amdhsa_float_round_mode_32 0
		.amdhsa_float_round_mode_16_64 0
		.amdhsa_float_denorm_mode_32 3
		.amdhsa_float_denorm_mode_16_64 3
		.amdhsa_dx10_clamp 1
		.amdhsa_ieee_mode 1
		.amdhsa_fp16_overflow 0
		.amdhsa_tg_split 0
		.amdhsa_exception_fp_ieee_invalid_op 0
		.amdhsa_exception_fp_denorm_src 0
		.amdhsa_exception_fp_ieee_div_zero 0
		.amdhsa_exception_fp_ieee_overflow 0
		.amdhsa_exception_fp_ieee_underflow 0
		.amdhsa_exception_fp_ieee_inexact 0
		.amdhsa_exception_int_div_zero 0
	.end_amdhsa_kernel
	.section	.text._ZN7rocprim17ROCPRIM_400000_NS6detail17trampoline_kernelINS0_14default_configENS1_38merge_sort_block_merge_config_selectorIyNS0_10empty_typeEEEZZNS1_27merge_sort_block_merge_implIS3_N6thrust23THRUST_200600_302600_NS6detail15normal_iteratorINS9_10device_ptrIyEEEEPS5_m14custom_greaterIyEEE10hipError_tT0_T1_T2_jT3_P12ihipStream_tbPNSt15iterator_traitsISJ_E10value_typeEPNSP_ISK_E10value_typeEPSL_NS1_7vsmem_tEENKUlT_SJ_SK_SL_E_clIPySE_SF_SF_EESI_SY_SJ_SK_SL_EUlSY_E_NS1_11comp_targetILNS1_3genE8ELNS1_11target_archE1030ELNS1_3gpuE2ELNS1_3repE0EEENS1_48merge_mergepath_partition_config_static_selectorELNS0_4arch9wavefront6targetE1EEEvSK_,"axG",@progbits,_ZN7rocprim17ROCPRIM_400000_NS6detail17trampoline_kernelINS0_14default_configENS1_38merge_sort_block_merge_config_selectorIyNS0_10empty_typeEEEZZNS1_27merge_sort_block_merge_implIS3_N6thrust23THRUST_200600_302600_NS6detail15normal_iteratorINS9_10device_ptrIyEEEEPS5_m14custom_greaterIyEEE10hipError_tT0_T1_T2_jT3_P12ihipStream_tbPNSt15iterator_traitsISJ_E10value_typeEPNSP_ISK_E10value_typeEPSL_NS1_7vsmem_tEENKUlT_SJ_SK_SL_E_clIPySE_SF_SF_EESI_SY_SJ_SK_SL_EUlSY_E_NS1_11comp_targetILNS1_3genE8ELNS1_11target_archE1030ELNS1_3gpuE2ELNS1_3repE0EEENS1_48merge_mergepath_partition_config_static_selectorELNS0_4arch9wavefront6targetE1EEEvSK_,comdat
.Lfunc_end3470:
	.size	_ZN7rocprim17ROCPRIM_400000_NS6detail17trampoline_kernelINS0_14default_configENS1_38merge_sort_block_merge_config_selectorIyNS0_10empty_typeEEEZZNS1_27merge_sort_block_merge_implIS3_N6thrust23THRUST_200600_302600_NS6detail15normal_iteratorINS9_10device_ptrIyEEEEPS5_m14custom_greaterIyEEE10hipError_tT0_T1_T2_jT3_P12ihipStream_tbPNSt15iterator_traitsISJ_E10value_typeEPNSP_ISK_E10value_typeEPSL_NS1_7vsmem_tEENKUlT_SJ_SK_SL_E_clIPySE_SF_SF_EESI_SY_SJ_SK_SL_EUlSY_E_NS1_11comp_targetILNS1_3genE8ELNS1_11target_archE1030ELNS1_3gpuE2ELNS1_3repE0EEENS1_48merge_mergepath_partition_config_static_selectorELNS0_4arch9wavefront6targetE1EEEvSK_, .Lfunc_end3470-_ZN7rocprim17ROCPRIM_400000_NS6detail17trampoline_kernelINS0_14default_configENS1_38merge_sort_block_merge_config_selectorIyNS0_10empty_typeEEEZZNS1_27merge_sort_block_merge_implIS3_N6thrust23THRUST_200600_302600_NS6detail15normal_iteratorINS9_10device_ptrIyEEEEPS5_m14custom_greaterIyEEE10hipError_tT0_T1_T2_jT3_P12ihipStream_tbPNSt15iterator_traitsISJ_E10value_typeEPNSP_ISK_E10value_typeEPSL_NS1_7vsmem_tEENKUlT_SJ_SK_SL_E_clIPySE_SF_SF_EESI_SY_SJ_SK_SL_EUlSY_E_NS1_11comp_targetILNS1_3genE8ELNS1_11target_archE1030ELNS1_3gpuE2ELNS1_3repE0EEENS1_48merge_mergepath_partition_config_static_selectorELNS0_4arch9wavefront6targetE1EEEvSK_
                                        ; -- End function
	.section	.AMDGPU.csdata,"",@progbits
; Kernel info:
; codeLenInByte = 0
; NumSgprs: 4
; NumVgprs: 0
; NumAgprs: 0
; TotalNumVgprs: 0
; ScratchSize: 0
; MemoryBound: 0
; FloatMode: 240
; IeeeMode: 1
; LDSByteSize: 0 bytes/workgroup (compile time only)
; SGPRBlocks: 0
; VGPRBlocks: 0
; NumSGPRsForWavesPerEU: 4
; NumVGPRsForWavesPerEU: 1
; AccumOffset: 4
; Occupancy: 8
; WaveLimiterHint : 0
; COMPUTE_PGM_RSRC2:SCRATCH_EN: 0
; COMPUTE_PGM_RSRC2:USER_SGPR: 6
; COMPUTE_PGM_RSRC2:TRAP_HANDLER: 0
; COMPUTE_PGM_RSRC2:TGID_X_EN: 1
; COMPUTE_PGM_RSRC2:TGID_Y_EN: 0
; COMPUTE_PGM_RSRC2:TGID_Z_EN: 0
; COMPUTE_PGM_RSRC2:TIDIG_COMP_CNT: 0
; COMPUTE_PGM_RSRC3_GFX90A:ACCUM_OFFSET: 0
; COMPUTE_PGM_RSRC3_GFX90A:TG_SPLIT: 0
	.section	.text._ZN7rocprim17ROCPRIM_400000_NS6detail17trampoline_kernelINS0_14default_configENS1_38merge_sort_block_merge_config_selectorIyNS0_10empty_typeEEEZZNS1_27merge_sort_block_merge_implIS3_N6thrust23THRUST_200600_302600_NS6detail15normal_iteratorINS9_10device_ptrIyEEEEPS5_m14custom_greaterIyEEE10hipError_tT0_T1_T2_jT3_P12ihipStream_tbPNSt15iterator_traitsISJ_E10value_typeEPNSP_ISK_E10value_typeEPSL_NS1_7vsmem_tEENKUlT_SJ_SK_SL_E_clIPySE_SF_SF_EESI_SY_SJ_SK_SL_EUlSY_E0_NS1_11comp_targetILNS1_3genE0ELNS1_11target_archE4294967295ELNS1_3gpuE0ELNS1_3repE0EEENS1_38merge_mergepath_config_static_selectorELNS0_4arch9wavefront6targetE1EEEvSK_,"axG",@progbits,_ZN7rocprim17ROCPRIM_400000_NS6detail17trampoline_kernelINS0_14default_configENS1_38merge_sort_block_merge_config_selectorIyNS0_10empty_typeEEEZZNS1_27merge_sort_block_merge_implIS3_N6thrust23THRUST_200600_302600_NS6detail15normal_iteratorINS9_10device_ptrIyEEEEPS5_m14custom_greaterIyEEE10hipError_tT0_T1_T2_jT3_P12ihipStream_tbPNSt15iterator_traitsISJ_E10value_typeEPNSP_ISK_E10value_typeEPSL_NS1_7vsmem_tEENKUlT_SJ_SK_SL_E_clIPySE_SF_SF_EESI_SY_SJ_SK_SL_EUlSY_E0_NS1_11comp_targetILNS1_3genE0ELNS1_11target_archE4294967295ELNS1_3gpuE0ELNS1_3repE0EEENS1_38merge_mergepath_config_static_selectorELNS0_4arch9wavefront6targetE1EEEvSK_,comdat
	.protected	_ZN7rocprim17ROCPRIM_400000_NS6detail17trampoline_kernelINS0_14default_configENS1_38merge_sort_block_merge_config_selectorIyNS0_10empty_typeEEEZZNS1_27merge_sort_block_merge_implIS3_N6thrust23THRUST_200600_302600_NS6detail15normal_iteratorINS9_10device_ptrIyEEEEPS5_m14custom_greaterIyEEE10hipError_tT0_T1_T2_jT3_P12ihipStream_tbPNSt15iterator_traitsISJ_E10value_typeEPNSP_ISK_E10value_typeEPSL_NS1_7vsmem_tEENKUlT_SJ_SK_SL_E_clIPySE_SF_SF_EESI_SY_SJ_SK_SL_EUlSY_E0_NS1_11comp_targetILNS1_3genE0ELNS1_11target_archE4294967295ELNS1_3gpuE0ELNS1_3repE0EEENS1_38merge_mergepath_config_static_selectorELNS0_4arch9wavefront6targetE1EEEvSK_ ; -- Begin function _ZN7rocprim17ROCPRIM_400000_NS6detail17trampoline_kernelINS0_14default_configENS1_38merge_sort_block_merge_config_selectorIyNS0_10empty_typeEEEZZNS1_27merge_sort_block_merge_implIS3_N6thrust23THRUST_200600_302600_NS6detail15normal_iteratorINS9_10device_ptrIyEEEEPS5_m14custom_greaterIyEEE10hipError_tT0_T1_T2_jT3_P12ihipStream_tbPNSt15iterator_traitsISJ_E10value_typeEPNSP_ISK_E10value_typeEPSL_NS1_7vsmem_tEENKUlT_SJ_SK_SL_E_clIPySE_SF_SF_EESI_SY_SJ_SK_SL_EUlSY_E0_NS1_11comp_targetILNS1_3genE0ELNS1_11target_archE4294967295ELNS1_3gpuE0ELNS1_3repE0EEENS1_38merge_mergepath_config_static_selectorELNS0_4arch9wavefront6targetE1EEEvSK_
	.globl	_ZN7rocprim17ROCPRIM_400000_NS6detail17trampoline_kernelINS0_14default_configENS1_38merge_sort_block_merge_config_selectorIyNS0_10empty_typeEEEZZNS1_27merge_sort_block_merge_implIS3_N6thrust23THRUST_200600_302600_NS6detail15normal_iteratorINS9_10device_ptrIyEEEEPS5_m14custom_greaterIyEEE10hipError_tT0_T1_T2_jT3_P12ihipStream_tbPNSt15iterator_traitsISJ_E10value_typeEPNSP_ISK_E10value_typeEPSL_NS1_7vsmem_tEENKUlT_SJ_SK_SL_E_clIPySE_SF_SF_EESI_SY_SJ_SK_SL_EUlSY_E0_NS1_11comp_targetILNS1_3genE0ELNS1_11target_archE4294967295ELNS1_3gpuE0ELNS1_3repE0EEENS1_38merge_mergepath_config_static_selectorELNS0_4arch9wavefront6targetE1EEEvSK_
	.p2align	8
	.type	_ZN7rocprim17ROCPRIM_400000_NS6detail17trampoline_kernelINS0_14default_configENS1_38merge_sort_block_merge_config_selectorIyNS0_10empty_typeEEEZZNS1_27merge_sort_block_merge_implIS3_N6thrust23THRUST_200600_302600_NS6detail15normal_iteratorINS9_10device_ptrIyEEEEPS5_m14custom_greaterIyEEE10hipError_tT0_T1_T2_jT3_P12ihipStream_tbPNSt15iterator_traitsISJ_E10value_typeEPNSP_ISK_E10value_typeEPSL_NS1_7vsmem_tEENKUlT_SJ_SK_SL_E_clIPySE_SF_SF_EESI_SY_SJ_SK_SL_EUlSY_E0_NS1_11comp_targetILNS1_3genE0ELNS1_11target_archE4294967295ELNS1_3gpuE0ELNS1_3repE0EEENS1_38merge_mergepath_config_static_selectorELNS0_4arch9wavefront6targetE1EEEvSK_,@function
_ZN7rocprim17ROCPRIM_400000_NS6detail17trampoline_kernelINS0_14default_configENS1_38merge_sort_block_merge_config_selectorIyNS0_10empty_typeEEEZZNS1_27merge_sort_block_merge_implIS3_N6thrust23THRUST_200600_302600_NS6detail15normal_iteratorINS9_10device_ptrIyEEEEPS5_m14custom_greaterIyEEE10hipError_tT0_T1_T2_jT3_P12ihipStream_tbPNSt15iterator_traitsISJ_E10value_typeEPNSP_ISK_E10value_typeEPSL_NS1_7vsmem_tEENKUlT_SJ_SK_SL_E_clIPySE_SF_SF_EESI_SY_SJ_SK_SL_EUlSY_E0_NS1_11comp_targetILNS1_3genE0ELNS1_11target_archE4294967295ELNS1_3gpuE0ELNS1_3repE0EEENS1_38merge_mergepath_config_static_selectorELNS0_4arch9wavefront6targetE1EEEvSK_: ; @_ZN7rocprim17ROCPRIM_400000_NS6detail17trampoline_kernelINS0_14default_configENS1_38merge_sort_block_merge_config_selectorIyNS0_10empty_typeEEEZZNS1_27merge_sort_block_merge_implIS3_N6thrust23THRUST_200600_302600_NS6detail15normal_iteratorINS9_10device_ptrIyEEEEPS5_m14custom_greaterIyEEE10hipError_tT0_T1_T2_jT3_P12ihipStream_tbPNSt15iterator_traitsISJ_E10value_typeEPNSP_ISK_E10value_typeEPSL_NS1_7vsmem_tEENKUlT_SJ_SK_SL_E_clIPySE_SF_SF_EESI_SY_SJ_SK_SL_EUlSY_E0_NS1_11comp_targetILNS1_3genE0ELNS1_11target_archE4294967295ELNS1_3gpuE0ELNS1_3repE0EEENS1_38merge_mergepath_config_static_selectorELNS0_4arch9wavefront6targetE1EEEvSK_
; %bb.0:
	.section	.rodata,"a",@progbits
	.p2align	6, 0x0
	.amdhsa_kernel _ZN7rocprim17ROCPRIM_400000_NS6detail17trampoline_kernelINS0_14default_configENS1_38merge_sort_block_merge_config_selectorIyNS0_10empty_typeEEEZZNS1_27merge_sort_block_merge_implIS3_N6thrust23THRUST_200600_302600_NS6detail15normal_iteratorINS9_10device_ptrIyEEEEPS5_m14custom_greaterIyEEE10hipError_tT0_T1_T2_jT3_P12ihipStream_tbPNSt15iterator_traitsISJ_E10value_typeEPNSP_ISK_E10value_typeEPSL_NS1_7vsmem_tEENKUlT_SJ_SK_SL_E_clIPySE_SF_SF_EESI_SY_SJ_SK_SL_EUlSY_E0_NS1_11comp_targetILNS1_3genE0ELNS1_11target_archE4294967295ELNS1_3gpuE0ELNS1_3repE0EEENS1_38merge_mergepath_config_static_selectorELNS0_4arch9wavefront6targetE1EEEvSK_
		.amdhsa_group_segment_fixed_size 0
		.amdhsa_private_segment_fixed_size 0
		.amdhsa_kernarg_size 72
		.amdhsa_user_sgpr_count 6
		.amdhsa_user_sgpr_private_segment_buffer 1
		.amdhsa_user_sgpr_dispatch_ptr 0
		.amdhsa_user_sgpr_queue_ptr 0
		.amdhsa_user_sgpr_kernarg_segment_ptr 1
		.amdhsa_user_sgpr_dispatch_id 0
		.amdhsa_user_sgpr_flat_scratch_init 0
		.amdhsa_user_sgpr_kernarg_preload_length 0
		.amdhsa_user_sgpr_kernarg_preload_offset 0
		.amdhsa_user_sgpr_private_segment_size 0
		.amdhsa_uses_dynamic_stack 0
		.amdhsa_system_sgpr_private_segment_wavefront_offset 0
		.amdhsa_system_sgpr_workgroup_id_x 1
		.amdhsa_system_sgpr_workgroup_id_y 0
		.amdhsa_system_sgpr_workgroup_id_z 0
		.amdhsa_system_sgpr_workgroup_info 0
		.amdhsa_system_vgpr_workitem_id 0
		.amdhsa_next_free_vgpr 1
		.amdhsa_next_free_sgpr 0
		.amdhsa_accum_offset 4
		.amdhsa_reserve_vcc 0
		.amdhsa_reserve_flat_scratch 0
		.amdhsa_float_round_mode_32 0
		.amdhsa_float_round_mode_16_64 0
		.amdhsa_float_denorm_mode_32 3
		.amdhsa_float_denorm_mode_16_64 3
		.amdhsa_dx10_clamp 1
		.amdhsa_ieee_mode 1
		.amdhsa_fp16_overflow 0
		.amdhsa_tg_split 0
		.amdhsa_exception_fp_ieee_invalid_op 0
		.amdhsa_exception_fp_denorm_src 0
		.amdhsa_exception_fp_ieee_div_zero 0
		.amdhsa_exception_fp_ieee_overflow 0
		.amdhsa_exception_fp_ieee_underflow 0
		.amdhsa_exception_fp_ieee_inexact 0
		.amdhsa_exception_int_div_zero 0
	.end_amdhsa_kernel
	.section	.text._ZN7rocprim17ROCPRIM_400000_NS6detail17trampoline_kernelINS0_14default_configENS1_38merge_sort_block_merge_config_selectorIyNS0_10empty_typeEEEZZNS1_27merge_sort_block_merge_implIS3_N6thrust23THRUST_200600_302600_NS6detail15normal_iteratorINS9_10device_ptrIyEEEEPS5_m14custom_greaterIyEEE10hipError_tT0_T1_T2_jT3_P12ihipStream_tbPNSt15iterator_traitsISJ_E10value_typeEPNSP_ISK_E10value_typeEPSL_NS1_7vsmem_tEENKUlT_SJ_SK_SL_E_clIPySE_SF_SF_EESI_SY_SJ_SK_SL_EUlSY_E0_NS1_11comp_targetILNS1_3genE0ELNS1_11target_archE4294967295ELNS1_3gpuE0ELNS1_3repE0EEENS1_38merge_mergepath_config_static_selectorELNS0_4arch9wavefront6targetE1EEEvSK_,"axG",@progbits,_ZN7rocprim17ROCPRIM_400000_NS6detail17trampoline_kernelINS0_14default_configENS1_38merge_sort_block_merge_config_selectorIyNS0_10empty_typeEEEZZNS1_27merge_sort_block_merge_implIS3_N6thrust23THRUST_200600_302600_NS6detail15normal_iteratorINS9_10device_ptrIyEEEEPS5_m14custom_greaterIyEEE10hipError_tT0_T1_T2_jT3_P12ihipStream_tbPNSt15iterator_traitsISJ_E10value_typeEPNSP_ISK_E10value_typeEPSL_NS1_7vsmem_tEENKUlT_SJ_SK_SL_E_clIPySE_SF_SF_EESI_SY_SJ_SK_SL_EUlSY_E0_NS1_11comp_targetILNS1_3genE0ELNS1_11target_archE4294967295ELNS1_3gpuE0ELNS1_3repE0EEENS1_38merge_mergepath_config_static_selectorELNS0_4arch9wavefront6targetE1EEEvSK_,comdat
.Lfunc_end3471:
	.size	_ZN7rocprim17ROCPRIM_400000_NS6detail17trampoline_kernelINS0_14default_configENS1_38merge_sort_block_merge_config_selectorIyNS0_10empty_typeEEEZZNS1_27merge_sort_block_merge_implIS3_N6thrust23THRUST_200600_302600_NS6detail15normal_iteratorINS9_10device_ptrIyEEEEPS5_m14custom_greaterIyEEE10hipError_tT0_T1_T2_jT3_P12ihipStream_tbPNSt15iterator_traitsISJ_E10value_typeEPNSP_ISK_E10value_typeEPSL_NS1_7vsmem_tEENKUlT_SJ_SK_SL_E_clIPySE_SF_SF_EESI_SY_SJ_SK_SL_EUlSY_E0_NS1_11comp_targetILNS1_3genE0ELNS1_11target_archE4294967295ELNS1_3gpuE0ELNS1_3repE0EEENS1_38merge_mergepath_config_static_selectorELNS0_4arch9wavefront6targetE1EEEvSK_, .Lfunc_end3471-_ZN7rocprim17ROCPRIM_400000_NS6detail17trampoline_kernelINS0_14default_configENS1_38merge_sort_block_merge_config_selectorIyNS0_10empty_typeEEEZZNS1_27merge_sort_block_merge_implIS3_N6thrust23THRUST_200600_302600_NS6detail15normal_iteratorINS9_10device_ptrIyEEEEPS5_m14custom_greaterIyEEE10hipError_tT0_T1_T2_jT3_P12ihipStream_tbPNSt15iterator_traitsISJ_E10value_typeEPNSP_ISK_E10value_typeEPSL_NS1_7vsmem_tEENKUlT_SJ_SK_SL_E_clIPySE_SF_SF_EESI_SY_SJ_SK_SL_EUlSY_E0_NS1_11comp_targetILNS1_3genE0ELNS1_11target_archE4294967295ELNS1_3gpuE0ELNS1_3repE0EEENS1_38merge_mergepath_config_static_selectorELNS0_4arch9wavefront6targetE1EEEvSK_
                                        ; -- End function
	.section	.AMDGPU.csdata,"",@progbits
; Kernel info:
; codeLenInByte = 0
; NumSgprs: 4
; NumVgprs: 0
; NumAgprs: 0
; TotalNumVgprs: 0
; ScratchSize: 0
; MemoryBound: 0
; FloatMode: 240
; IeeeMode: 1
; LDSByteSize: 0 bytes/workgroup (compile time only)
; SGPRBlocks: 0
; VGPRBlocks: 0
; NumSGPRsForWavesPerEU: 4
; NumVGPRsForWavesPerEU: 1
; AccumOffset: 4
; Occupancy: 8
; WaveLimiterHint : 0
; COMPUTE_PGM_RSRC2:SCRATCH_EN: 0
; COMPUTE_PGM_RSRC2:USER_SGPR: 6
; COMPUTE_PGM_RSRC2:TRAP_HANDLER: 0
; COMPUTE_PGM_RSRC2:TGID_X_EN: 1
; COMPUTE_PGM_RSRC2:TGID_Y_EN: 0
; COMPUTE_PGM_RSRC2:TGID_Z_EN: 0
; COMPUTE_PGM_RSRC2:TIDIG_COMP_CNT: 0
; COMPUTE_PGM_RSRC3_GFX90A:ACCUM_OFFSET: 0
; COMPUTE_PGM_RSRC3_GFX90A:TG_SPLIT: 0
	.section	.text._ZN7rocprim17ROCPRIM_400000_NS6detail17trampoline_kernelINS0_14default_configENS1_38merge_sort_block_merge_config_selectorIyNS0_10empty_typeEEEZZNS1_27merge_sort_block_merge_implIS3_N6thrust23THRUST_200600_302600_NS6detail15normal_iteratorINS9_10device_ptrIyEEEEPS5_m14custom_greaterIyEEE10hipError_tT0_T1_T2_jT3_P12ihipStream_tbPNSt15iterator_traitsISJ_E10value_typeEPNSP_ISK_E10value_typeEPSL_NS1_7vsmem_tEENKUlT_SJ_SK_SL_E_clIPySE_SF_SF_EESI_SY_SJ_SK_SL_EUlSY_E0_NS1_11comp_targetILNS1_3genE10ELNS1_11target_archE1201ELNS1_3gpuE5ELNS1_3repE0EEENS1_38merge_mergepath_config_static_selectorELNS0_4arch9wavefront6targetE1EEEvSK_,"axG",@progbits,_ZN7rocprim17ROCPRIM_400000_NS6detail17trampoline_kernelINS0_14default_configENS1_38merge_sort_block_merge_config_selectorIyNS0_10empty_typeEEEZZNS1_27merge_sort_block_merge_implIS3_N6thrust23THRUST_200600_302600_NS6detail15normal_iteratorINS9_10device_ptrIyEEEEPS5_m14custom_greaterIyEEE10hipError_tT0_T1_T2_jT3_P12ihipStream_tbPNSt15iterator_traitsISJ_E10value_typeEPNSP_ISK_E10value_typeEPSL_NS1_7vsmem_tEENKUlT_SJ_SK_SL_E_clIPySE_SF_SF_EESI_SY_SJ_SK_SL_EUlSY_E0_NS1_11comp_targetILNS1_3genE10ELNS1_11target_archE1201ELNS1_3gpuE5ELNS1_3repE0EEENS1_38merge_mergepath_config_static_selectorELNS0_4arch9wavefront6targetE1EEEvSK_,comdat
	.protected	_ZN7rocprim17ROCPRIM_400000_NS6detail17trampoline_kernelINS0_14default_configENS1_38merge_sort_block_merge_config_selectorIyNS0_10empty_typeEEEZZNS1_27merge_sort_block_merge_implIS3_N6thrust23THRUST_200600_302600_NS6detail15normal_iteratorINS9_10device_ptrIyEEEEPS5_m14custom_greaterIyEEE10hipError_tT0_T1_T2_jT3_P12ihipStream_tbPNSt15iterator_traitsISJ_E10value_typeEPNSP_ISK_E10value_typeEPSL_NS1_7vsmem_tEENKUlT_SJ_SK_SL_E_clIPySE_SF_SF_EESI_SY_SJ_SK_SL_EUlSY_E0_NS1_11comp_targetILNS1_3genE10ELNS1_11target_archE1201ELNS1_3gpuE5ELNS1_3repE0EEENS1_38merge_mergepath_config_static_selectorELNS0_4arch9wavefront6targetE1EEEvSK_ ; -- Begin function _ZN7rocprim17ROCPRIM_400000_NS6detail17trampoline_kernelINS0_14default_configENS1_38merge_sort_block_merge_config_selectorIyNS0_10empty_typeEEEZZNS1_27merge_sort_block_merge_implIS3_N6thrust23THRUST_200600_302600_NS6detail15normal_iteratorINS9_10device_ptrIyEEEEPS5_m14custom_greaterIyEEE10hipError_tT0_T1_T2_jT3_P12ihipStream_tbPNSt15iterator_traitsISJ_E10value_typeEPNSP_ISK_E10value_typeEPSL_NS1_7vsmem_tEENKUlT_SJ_SK_SL_E_clIPySE_SF_SF_EESI_SY_SJ_SK_SL_EUlSY_E0_NS1_11comp_targetILNS1_3genE10ELNS1_11target_archE1201ELNS1_3gpuE5ELNS1_3repE0EEENS1_38merge_mergepath_config_static_selectorELNS0_4arch9wavefront6targetE1EEEvSK_
	.globl	_ZN7rocprim17ROCPRIM_400000_NS6detail17trampoline_kernelINS0_14default_configENS1_38merge_sort_block_merge_config_selectorIyNS0_10empty_typeEEEZZNS1_27merge_sort_block_merge_implIS3_N6thrust23THRUST_200600_302600_NS6detail15normal_iteratorINS9_10device_ptrIyEEEEPS5_m14custom_greaterIyEEE10hipError_tT0_T1_T2_jT3_P12ihipStream_tbPNSt15iterator_traitsISJ_E10value_typeEPNSP_ISK_E10value_typeEPSL_NS1_7vsmem_tEENKUlT_SJ_SK_SL_E_clIPySE_SF_SF_EESI_SY_SJ_SK_SL_EUlSY_E0_NS1_11comp_targetILNS1_3genE10ELNS1_11target_archE1201ELNS1_3gpuE5ELNS1_3repE0EEENS1_38merge_mergepath_config_static_selectorELNS0_4arch9wavefront6targetE1EEEvSK_
	.p2align	8
	.type	_ZN7rocprim17ROCPRIM_400000_NS6detail17trampoline_kernelINS0_14default_configENS1_38merge_sort_block_merge_config_selectorIyNS0_10empty_typeEEEZZNS1_27merge_sort_block_merge_implIS3_N6thrust23THRUST_200600_302600_NS6detail15normal_iteratorINS9_10device_ptrIyEEEEPS5_m14custom_greaterIyEEE10hipError_tT0_T1_T2_jT3_P12ihipStream_tbPNSt15iterator_traitsISJ_E10value_typeEPNSP_ISK_E10value_typeEPSL_NS1_7vsmem_tEENKUlT_SJ_SK_SL_E_clIPySE_SF_SF_EESI_SY_SJ_SK_SL_EUlSY_E0_NS1_11comp_targetILNS1_3genE10ELNS1_11target_archE1201ELNS1_3gpuE5ELNS1_3repE0EEENS1_38merge_mergepath_config_static_selectorELNS0_4arch9wavefront6targetE1EEEvSK_,@function
_ZN7rocprim17ROCPRIM_400000_NS6detail17trampoline_kernelINS0_14default_configENS1_38merge_sort_block_merge_config_selectorIyNS0_10empty_typeEEEZZNS1_27merge_sort_block_merge_implIS3_N6thrust23THRUST_200600_302600_NS6detail15normal_iteratorINS9_10device_ptrIyEEEEPS5_m14custom_greaterIyEEE10hipError_tT0_T1_T2_jT3_P12ihipStream_tbPNSt15iterator_traitsISJ_E10value_typeEPNSP_ISK_E10value_typeEPSL_NS1_7vsmem_tEENKUlT_SJ_SK_SL_E_clIPySE_SF_SF_EESI_SY_SJ_SK_SL_EUlSY_E0_NS1_11comp_targetILNS1_3genE10ELNS1_11target_archE1201ELNS1_3gpuE5ELNS1_3repE0EEENS1_38merge_mergepath_config_static_selectorELNS0_4arch9wavefront6targetE1EEEvSK_: ; @_ZN7rocprim17ROCPRIM_400000_NS6detail17trampoline_kernelINS0_14default_configENS1_38merge_sort_block_merge_config_selectorIyNS0_10empty_typeEEEZZNS1_27merge_sort_block_merge_implIS3_N6thrust23THRUST_200600_302600_NS6detail15normal_iteratorINS9_10device_ptrIyEEEEPS5_m14custom_greaterIyEEE10hipError_tT0_T1_T2_jT3_P12ihipStream_tbPNSt15iterator_traitsISJ_E10value_typeEPNSP_ISK_E10value_typeEPSL_NS1_7vsmem_tEENKUlT_SJ_SK_SL_E_clIPySE_SF_SF_EESI_SY_SJ_SK_SL_EUlSY_E0_NS1_11comp_targetILNS1_3genE10ELNS1_11target_archE1201ELNS1_3gpuE5ELNS1_3repE0EEENS1_38merge_mergepath_config_static_selectorELNS0_4arch9wavefront6targetE1EEEvSK_
; %bb.0:
	.section	.rodata,"a",@progbits
	.p2align	6, 0x0
	.amdhsa_kernel _ZN7rocprim17ROCPRIM_400000_NS6detail17trampoline_kernelINS0_14default_configENS1_38merge_sort_block_merge_config_selectorIyNS0_10empty_typeEEEZZNS1_27merge_sort_block_merge_implIS3_N6thrust23THRUST_200600_302600_NS6detail15normal_iteratorINS9_10device_ptrIyEEEEPS5_m14custom_greaterIyEEE10hipError_tT0_T1_T2_jT3_P12ihipStream_tbPNSt15iterator_traitsISJ_E10value_typeEPNSP_ISK_E10value_typeEPSL_NS1_7vsmem_tEENKUlT_SJ_SK_SL_E_clIPySE_SF_SF_EESI_SY_SJ_SK_SL_EUlSY_E0_NS1_11comp_targetILNS1_3genE10ELNS1_11target_archE1201ELNS1_3gpuE5ELNS1_3repE0EEENS1_38merge_mergepath_config_static_selectorELNS0_4arch9wavefront6targetE1EEEvSK_
		.amdhsa_group_segment_fixed_size 0
		.amdhsa_private_segment_fixed_size 0
		.amdhsa_kernarg_size 72
		.amdhsa_user_sgpr_count 6
		.amdhsa_user_sgpr_private_segment_buffer 1
		.amdhsa_user_sgpr_dispatch_ptr 0
		.amdhsa_user_sgpr_queue_ptr 0
		.amdhsa_user_sgpr_kernarg_segment_ptr 1
		.amdhsa_user_sgpr_dispatch_id 0
		.amdhsa_user_sgpr_flat_scratch_init 0
		.amdhsa_user_sgpr_kernarg_preload_length 0
		.amdhsa_user_sgpr_kernarg_preload_offset 0
		.amdhsa_user_sgpr_private_segment_size 0
		.amdhsa_uses_dynamic_stack 0
		.amdhsa_system_sgpr_private_segment_wavefront_offset 0
		.amdhsa_system_sgpr_workgroup_id_x 1
		.amdhsa_system_sgpr_workgroup_id_y 0
		.amdhsa_system_sgpr_workgroup_id_z 0
		.amdhsa_system_sgpr_workgroup_info 0
		.amdhsa_system_vgpr_workitem_id 0
		.amdhsa_next_free_vgpr 1
		.amdhsa_next_free_sgpr 0
		.amdhsa_accum_offset 4
		.amdhsa_reserve_vcc 0
		.amdhsa_reserve_flat_scratch 0
		.amdhsa_float_round_mode_32 0
		.amdhsa_float_round_mode_16_64 0
		.amdhsa_float_denorm_mode_32 3
		.amdhsa_float_denorm_mode_16_64 3
		.amdhsa_dx10_clamp 1
		.amdhsa_ieee_mode 1
		.amdhsa_fp16_overflow 0
		.amdhsa_tg_split 0
		.amdhsa_exception_fp_ieee_invalid_op 0
		.amdhsa_exception_fp_denorm_src 0
		.amdhsa_exception_fp_ieee_div_zero 0
		.amdhsa_exception_fp_ieee_overflow 0
		.amdhsa_exception_fp_ieee_underflow 0
		.amdhsa_exception_fp_ieee_inexact 0
		.amdhsa_exception_int_div_zero 0
	.end_amdhsa_kernel
	.section	.text._ZN7rocprim17ROCPRIM_400000_NS6detail17trampoline_kernelINS0_14default_configENS1_38merge_sort_block_merge_config_selectorIyNS0_10empty_typeEEEZZNS1_27merge_sort_block_merge_implIS3_N6thrust23THRUST_200600_302600_NS6detail15normal_iteratorINS9_10device_ptrIyEEEEPS5_m14custom_greaterIyEEE10hipError_tT0_T1_T2_jT3_P12ihipStream_tbPNSt15iterator_traitsISJ_E10value_typeEPNSP_ISK_E10value_typeEPSL_NS1_7vsmem_tEENKUlT_SJ_SK_SL_E_clIPySE_SF_SF_EESI_SY_SJ_SK_SL_EUlSY_E0_NS1_11comp_targetILNS1_3genE10ELNS1_11target_archE1201ELNS1_3gpuE5ELNS1_3repE0EEENS1_38merge_mergepath_config_static_selectorELNS0_4arch9wavefront6targetE1EEEvSK_,"axG",@progbits,_ZN7rocprim17ROCPRIM_400000_NS6detail17trampoline_kernelINS0_14default_configENS1_38merge_sort_block_merge_config_selectorIyNS0_10empty_typeEEEZZNS1_27merge_sort_block_merge_implIS3_N6thrust23THRUST_200600_302600_NS6detail15normal_iteratorINS9_10device_ptrIyEEEEPS5_m14custom_greaterIyEEE10hipError_tT0_T1_T2_jT3_P12ihipStream_tbPNSt15iterator_traitsISJ_E10value_typeEPNSP_ISK_E10value_typeEPSL_NS1_7vsmem_tEENKUlT_SJ_SK_SL_E_clIPySE_SF_SF_EESI_SY_SJ_SK_SL_EUlSY_E0_NS1_11comp_targetILNS1_3genE10ELNS1_11target_archE1201ELNS1_3gpuE5ELNS1_3repE0EEENS1_38merge_mergepath_config_static_selectorELNS0_4arch9wavefront6targetE1EEEvSK_,comdat
.Lfunc_end3472:
	.size	_ZN7rocprim17ROCPRIM_400000_NS6detail17trampoline_kernelINS0_14default_configENS1_38merge_sort_block_merge_config_selectorIyNS0_10empty_typeEEEZZNS1_27merge_sort_block_merge_implIS3_N6thrust23THRUST_200600_302600_NS6detail15normal_iteratorINS9_10device_ptrIyEEEEPS5_m14custom_greaterIyEEE10hipError_tT0_T1_T2_jT3_P12ihipStream_tbPNSt15iterator_traitsISJ_E10value_typeEPNSP_ISK_E10value_typeEPSL_NS1_7vsmem_tEENKUlT_SJ_SK_SL_E_clIPySE_SF_SF_EESI_SY_SJ_SK_SL_EUlSY_E0_NS1_11comp_targetILNS1_3genE10ELNS1_11target_archE1201ELNS1_3gpuE5ELNS1_3repE0EEENS1_38merge_mergepath_config_static_selectorELNS0_4arch9wavefront6targetE1EEEvSK_, .Lfunc_end3472-_ZN7rocprim17ROCPRIM_400000_NS6detail17trampoline_kernelINS0_14default_configENS1_38merge_sort_block_merge_config_selectorIyNS0_10empty_typeEEEZZNS1_27merge_sort_block_merge_implIS3_N6thrust23THRUST_200600_302600_NS6detail15normal_iteratorINS9_10device_ptrIyEEEEPS5_m14custom_greaterIyEEE10hipError_tT0_T1_T2_jT3_P12ihipStream_tbPNSt15iterator_traitsISJ_E10value_typeEPNSP_ISK_E10value_typeEPSL_NS1_7vsmem_tEENKUlT_SJ_SK_SL_E_clIPySE_SF_SF_EESI_SY_SJ_SK_SL_EUlSY_E0_NS1_11comp_targetILNS1_3genE10ELNS1_11target_archE1201ELNS1_3gpuE5ELNS1_3repE0EEENS1_38merge_mergepath_config_static_selectorELNS0_4arch9wavefront6targetE1EEEvSK_
                                        ; -- End function
	.section	.AMDGPU.csdata,"",@progbits
; Kernel info:
; codeLenInByte = 0
; NumSgprs: 4
; NumVgprs: 0
; NumAgprs: 0
; TotalNumVgprs: 0
; ScratchSize: 0
; MemoryBound: 0
; FloatMode: 240
; IeeeMode: 1
; LDSByteSize: 0 bytes/workgroup (compile time only)
; SGPRBlocks: 0
; VGPRBlocks: 0
; NumSGPRsForWavesPerEU: 4
; NumVGPRsForWavesPerEU: 1
; AccumOffset: 4
; Occupancy: 8
; WaveLimiterHint : 0
; COMPUTE_PGM_RSRC2:SCRATCH_EN: 0
; COMPUTE_PGM_RSRC2:USER_SGPR: 6
; COMPUTE_PGM_RSRC2:TRAP_HANDLER: 0
; COMPUTE_PGM_RSRC2:TGID_X_EN: 1
; COMPUTE_PGM_RSRC2:TGID_Y_EN: 0
; COMPUTE_PGM_RSRC2:TGID_Z_EN: 0
; COMPUTE_PGM_RSRC2:TIDIG_COMP_CNT: 0
; COMPUTE_PGM_RSRC3_GFX90A:ACCUM_OFFSET: 0
; COMPUTE_PGM_RSRC3_GFX90A:TG_SPLIT: 0
	.section	.text._ZN7rocprim17ROCPRIM_400000_NS6detail17trampoline_kernelINS0_14default_configENS1_38merge_sort_block_merge_config_selectorIyNS0_10empty_typeEEEZZNS1_27merge_sort_block_merge_implIS3_N6thrust23THRUST_200600_302600_NS6detail15normal_iteratorINS9_10device_ptrIyEEEEPS5_m14custom_greaterIyEEE10hipError_tT0_T1_T2_jT3_P12ihipStream_tbPNSt15iterator_traitsISJ_E10value_typeEPNSP_ISK_E10value_typeEPSL_NS1_7vsmem_tEENKUlT_SJ_SK_SL_E_clIPySE_SF_SF_EESI_SY_SJ_SK_SL_EUlSY_E0_NS1_11comp_targetILNS1_3genE5ELNS1_11target_archE942ELNS1_3gpuE9ELNS1_3repE0EEENS1_38merge_mergepath_config_static_selectorELNS0_4arch9wavefront6targetE1EEEvSK_,"axG",@progbits,_ZN7rocprim17ROCPRIM_400000_NS6detail17trampoline_kernelINS0_14default_configENS1_38merge_sort_block_merge_config_selectorIyNS0_10empty_typeEEEZZNS1_27merge_sort_block_merge_implIS3_N6thrust23THRUST_200600_302600_NS6detail15normal_iteratorINS9_10device_ptrIyEEEEPS5_m14custom_greaterIyEEE10hipError_tT0_T1_T2_jT3_P12ihipStream_tbPNSt15iterator_traitsISJ_E10value_typeEPNSP_ISK_E10value_typeEPSL_NS1_7vsmem_tEENKUlT_SJ_SK_SL_E_clIPySE_SF_SF_EESI_SY_SJ_SK_SL_EUlSY_E0_NS1_11comp_targetILNS1_3genE5ELNS1_11target_archE942ELNS1_3gpuE9ELNS1_3repE0EEENS1_38merge_mergepath_config_static_selectorELNS0_4arch9wavefront6targetE1EEEvSK_,comdat
	.protected	_ZN7rocprim17ROCPRIM_400000_NS6detail17trampoline_kernelINS0_14default_configENS1_38merge_sort_block_merge_config_selectorIyNS0_10empty_typeEEEZZNS1_27merge_sort_block_merge_implIS3_N6thrust23THRUST_200600_302600_NS6detail15normal_iteratorINS9_10device_ptrIyEEEEPS5_m14custom_greaterIyEEE10hipError_tT0_T1_T2_jT3_P12ihipStream_tbPNSt15iterator_traitsISJ_E10value_typeEPNSP_ISK_E10value_typeEPSL_NS1_7vsmem_tEENKUlT_SJ_SK_SL_E_clIPySE_SF_SF_EESI_SY_SJ_SK_SL_EUlSY_E0_NS1_11comp_targetILNS1_3genE5ELNS1_11target_archE942ELNS1_3gpuE9ELNS1_3repE0EEENS1_38merge_mergepath_config_static_selectorELNS0_4arch9wavefront6targetE1EEEvSK_ ; -- Begin function _ZN7rocprim17ROCPRIM_400000_NS6detail17trampoline_kernelINS0_14default_configENS1_38merge_sort_block_merge_config_selectorIyNS0_10empty_typeEEEZZNS1_27merge_sort_block_merge_implIS3_N6thrust23THRUST_200600_302600_NS6detail15normal_iteratorINS9_10device_ptrIyEEEEPS5_m14custom_greaterIyEEE10hipError_tT0_T1_T2_jT3_P12ihipStream_tbPNSt15iterator_traitsISJ_E10value_typeEPNSP_ISK_E10value_typeEPSL_NS1_7vsmem_tEENKUlT_SJ_SK_SL_E_clIPySE_SF_SF_EESI_SY_SJ_SK_SL_EUlSY_E0_NS1_11comp_targetILNS1_3genE5ELNS1_11target_archE942ELNS1_3gpuE9ELNS1_3repE0EEENS1_38merge_mergepath_config_static_selectorELNS0_4arch9wavefront6targetE1EEEvSK_
	.globl	_ZN7rocprim17ROCPRIM_400000_NS6detail17trampoline_kernelINS0_14default_configENS1_38merge_sort_block_merge_config_selectorIyNS0_10empty_typeEEEZZNS1_27merge_sort_block_merge_implIS3_N6thrust23THRUST_200600_302600_NS6detail15normal_iteratorINS9_10device_ptrIyEEEEPS5_m14custom_greaterIyEEE10hipError_tT0_T1_T2_jT3_P12ihipStream_tbPNSt15iterator_traitsISJ_E10value_typeEPNSP_ISK_E10value_typeEPSL_NS1_7vsmem_tEENKUlT_SJ_SK_SL_E_clIPySE_SF_SF_EESI_SY_SJ_SK_SL_EUlSY_E0_NS1_11comp_targetILNS1_3genE5ELNS1_11target_archE942ELNS1_3gpuE9ELNS1_3repE0EEENS1_38merge_mergepath_config_static_selectorELNS0_4arch9wavefront6targetE1EEEvSK_
	.p2align	8
	.type	_ZN7rocprim17ROCPRIM_400000_NS6detail17trampoline_kernelINS0_14default_configENS1_38merge_sort_block_merge_config_selectorIyNS0_10empty_typeEEEZZNS1_27merge_sort_block_merge_implIS3_N6thrust23THRUST_200600_302600_NS6detail15normal_iteratorINS9_10device_ptrIyEEEEPS5_m14custom_greaterIyEEE10hipError_tT0_T1_T2_jT3_P12ihipStream_tbPNSt15iterator_traitsISJ_E10value_typeEPNSP_ISK_E10value_typeEPSL_NS1_7vsmem_tEENKUlT_SJ_SK_SL_E_clIPySE_SF_SF_EESI_SY_SJ_SK_SL_EUlSY_E0_NS1_11comp_targetILNS1_3genE5ELNS1_11target_archE942ELNS1_3gpuE9ELNS1_3repE0EEENS1_38merge_mergepath_config_static_selectorELNS0_4arch9wavefront6targetE1EEEvSK_,@function
_ZN7rocprim17ROCPRIM_400000_NS6detail17trampoline_kernelINS0_14default_configENS1_38merge_sort_block_merge_config_selectorIyNS0_10empty_typeEEEZZNS1_27merge_sort_block_merge_implIS3_N6thrust23THRUST_200600_302600_NS6detail15normal_iteratorINS9_10device_ptrIyEEEEPS5_m14custom_greaterIyEEE10hipError_tT0_T1_T2_jT3_P12ihipStream_tbPNSt15iterator_traitsISJ_E10value_typeEPNSP_ISK_E10value_typeEPSL_NS1_7vsmem_tEENKUlT_SJ_SK_SL_E_clIPySE_SF_SF_EESI_SY_SJ_SK_SL_EUlSY_E0_NS1_11comp_targetILNS1_3genE5ELNS1_11target_archE942ELNS1_3gpuE9ELNS1_3repE0EEENS1_38merge_mergepath_config_static_selectorELNS0_4arch9wavefront6targetE1EEEvSK_: ; @_ZN7rocprim17ROCPRIM_400000_NS6detail17trampoline_kernelINS0_14default_configENS1_38merge_sort_block_merge_config_selectorIyNS0_10empty_typeEEEZZNS1_27merge_sort_block_merge_implIS3_N6thrust23THRUST_200600_302600_NS6detail15normal_iteratorINS9_10device_ptrIyEEEEPS5_m14custom_greaterIyEEE10hipError_tT0_T1_T2_jT3_P12ihipStream_tbPNSt15iterator_traitsISJ_E10value_typeEPNSP_ISK_E10value_typeEPSL_NS1_7vsmem_tEENKUlT_SJ_SK_SL_E_clIPySE_SF_SF_EESI_SY_SJ_SK_SL_EUlSY_E0_NS1_11comp_targetILNS1_3genE5ELNS1_11target_archE942ELNS1_3gpuE9ELNS1_3repE0EEENS1_38merge_mergepath_config_static_selectorELNS0_4arch9wavefront6targetE1EEEvSK_
; %bb.0:
	.section	.rodata,"a",@progbits
	.p2align	6, 0x0
	.amdhsa_kernel _ZN7rocprim17ROCPRIM_400000_NS6detail17trampoline_kernelINS0_14default_configENS1_38merge_sort_block_merge_config_selectorIyNS0_10empty_typeEEEZZNS1_27merge_sort_block_merge_implIS3_N6thrust23THRUST_200600_302600_NS6detail15normal_iteratorINS9_10device_ptrIyEEEEPS5_m14custom_greaterIyEEE10hipError_tT0_T1_T2_jT3_P12ihipStream_tbPNSt15iterator_traitsISJ_E10value_typeEPNSP_ISK_E10value_typeEPSL_NS1_7vsmem_tEENKUlT_SJ_SK_SL_E_clIPySE_SF_SF_EESI_SY_SJ_SK_SL_EUlSY_E0_NS1_11comp_targetILNS1_3genE5ELNS1_11target_archE942ELNS1_3gpuE9ELNS1_3repE0EEENS1_38merge_mergepath_config_static_selectorELNS0_4arch9wavefront6targetE1EEEvSK_
		.amdhsa_group_segment_fixed_size 0
		.amdhsa_private_segment_fixed_size 0
		.amdhsa_kernarg_size 72
		.amdhsa_user_sgpr_count 6
		.amdhsa_user_sgpr_private_segment_buffer 1
		.amdhsa_user_sgpr_dispatch_ptr 0
		.amdhsa_user_sgpr_queue_ptr 0
		.amdhsa_user_sgpr_kernarg_segment_ptr 1
		.amdhsa_user_sgpr_dispatch_id 0
		.amdhsa_user_sgpr_flat_scratch_init 0
		.amdhsa_user_sgpr_kernarg_preload_length 0
		.amdhsa_user_sgpr_kernarg_preload_offset 0
		.amdhsa_user_sgpr_private_segment_size 0
		.amdhsa_uses_dynamic_stack 0
		.amdhsa_system_sgpr_private_segment_wavefront_offset 0
		.amdhsa_system_sgpr_workgroup_id_x 1
		.amdhsa_system_sgpr_workgroup_id_y 0
		.amdhsa_system_sgpr_workgroup_id_z 0
		.amdhsa_system_sgpr_workgroup_info 0
		.amdhsa_system_vgpr_workitem_id 0
		.amdhsa_next_free_vgpr 1
		.amdhsa_next_free_sgpr 0
		.amdhsa_accum_offset 4
		.amdhsa_reserve_vcc 0
		.amdhsa_reserve_flat_scratch 0
		.amdhsa_float_round_mode_32 0
		.amdhsa_float_round_mode_16_64 0
		.amdhsa_float_denorm_mode_32 3
		.amdhsa_float_denorm_mode_16_64 3
		.amdhsa_dx10_clamp 1
		.amdhsa_ieee_mode 1
		.amdhsa_fp16_overflow 0
		.amdhsa_tg_split 0
		.amdhsa_exception_fp_ieee_invalid_op 0
		.amdhsa_exception_fp_denorm_src 0
		.amdhsa_exception_fp_ieee_div_zero 0
		.amdhsa_exception_fp_ieee_overflow 0
		.amdhsa_exception_fp_ieee_underflow 0
		.amdhsa_exception_fp_ieee_inexact 0
		.amdhsa_exception_int_div_zero 0
	.end_amdhsa_kernel
	.section	.text._ZN7rocprim17ROCPRIM_400000_NS6detail17trampoline_kernelINS0_14default_configENS1_38merge_sort_block_merge_config_selectorIyNS0_10empty_typeEEEZZNS1_27merge_sort_block_merge_implIS3_N6thrust23THRUST_200600_302600_NS6detail15normal_iteratorINS9_10device_ptrIyEEEEPS5_m14custom_greaterIyEEE10hipError_tT0_T1_T2_jT3_P12ihipStream_tbPNSt15iterator_traitsISJ_E10value_typeEPNSP_ISK_E10value_typeEPSL_NS1_7vsmem_tEENKUlT_SJ_SK_SL_E_clIPySE_SF_SF_EESI_SY_SJ_SK_SL_EUlSY_E0_NS1_11comp_targetILNS1_3genE5ELNS1_11target_archE942ELNS1_3gpuE9ELNS1_3repE0EEENS1_38merge_mergepath_config_static_selectorELNS0_4arch9wavefront6targetE1EEEvSK_,"axG",@progbits,_ZN7rocprim17ROCPRIM_400000_NS6detail17trampoline_kernelINS0_14default_configENS1_38merge_sort_block_merge_config_selectorIyNS0_10empty_typeEEEZZNS1_27merge_sort_block_merge_implIS3_N6thrust23THRUST_200600_302600_NS6detail15normal_iteratorINS9_10device_ptrIyEEEEPS5_m14custom_greaterIyEEE10hipError_tT0_T1_T2_jT3_P12ihipStream_tbPNSt15iterator_traitsISJ_E10value_typeEPNSP_ISK_E10value_typeEPSL_NS1_7vsmem_tEENKUlT_SJ_SK_SL_E_clIPySE_SF_SF_EESI_SY_SJ_SK_SL_EUlSY_E0_NS1_11comp_targetILNS1_3genE5ELNS1_11target_archE942ELNS1_3gpuE9ELNS1_3repE0EEENS1_38merge_mergepath_config_static_selectorELNS0_4arch9wavefront6targetE1EEEvSK_,comdat
.Lfunc_end3473:
	.size	_ZN7rocprim17ROCPRIM_400000_NS6detail17trampoline_kernelINS0_14default_configENS1_38merge_sort_block_merge_config_selectorIyNS0_10empty_typeEEEZZNS1_27merge_sort_block_merge_implIS3_N6thrust23THRUST_200600_302600_NS6detail15normal_iteratorINS9_10device_ptrIyEEEEPS5_m14custom_greaterIyEEE10hipError_tT0_T1_T2_jT3_P12ihipStream_tbPNSt15iterator_traitsISJ_E10value_typeEPNSP_ISK_E10value_typeEPSL_NS1_7vsmem_tEENKUlT_SJ_SK_SL_E_clIPySE_SF_SF_EESI_SY_SJ_SK_SL_EUlSY_E0_NS1_11comp_targetILNS1_3genE5ELNS1_11target_archE942ELNS1_3gpuE9ELNS1_3repE0EEENS1_38merge_mergepath_config_static_selectorELNS0_4arch9wavefront6targetE1EEEvSK_, .Lfunc_end3473-_ZN7rocprim17ROCPRIM_400000_NS6detail17trampoline_kernelINS0_14default_configENS1_38merge_sort_block_merge_config_selectorIyNS0_10empty_typeEEEZZNS1_27merge_sort_block_merge_implIS3_N6thrust23THRUST_200600_302600_NS6detail15normal_iteratorINS9_10device_ptrIyEEEEPS5_m14custom_greaterIyEEE10hipError_tT0_T1_T2_jT3_P12ihipStream_tbPNSt15iterator_traitsISJ_E10value_typeEPNSP_ISK_E10value_typeEPSL_NS1_7vsmem_tEENKUlT_SJ_SK_SL_E_clIPySE_SF_SF_EESI_SY_SJ_SK_SL_EUlSY_E0_NS1_11comp_targetILNS1_3genE5ELNS1_11target_archE942ELNS1_3gpuE9ELNS1_3repE0EEENS1_38merge_mergepath_config_static_selectorELNS0_4arch9wavefront6targetE1EEEvSK_
                                        ; -- End function
	.section	.AMDGPU.csdata,"",@progbits
; Kernel info:
; codeLenInByte = 0
; NumSgprs: 4
; NumVgprs: 0
; NumAgprs: 0
; TotalNumVgprs: 0
; ScratchSize: 0
; MemoryBound: 0
; FloatMode: 240
; IeeeMode: 1
; LDSByteSize: 0 bytes/workgroup (compile time only)
; SGPRBlocks: 0
; VGPRBlocks: 0
; NumSGPRsForWavesPerEU: 4
; NumVGPRsForWavesPerEU: 1
; AccumOffset: 4
; Occupancy: 8
; WaveLimiterHint : 0
; COMPUTE_PGM_RSRC2:SCRATCH_EN: 0
; COMPUTE_PGM_RSRC2:USER_SGPR: 6
; COMPUTE_PGM_RSRC2:TRAP_HANDLER: 0
; COMPUTE_PGM_RSRC2:TGID_X_EN: 1
; COMPUTE_PGM_RSRC2:TGID_Y_EN: 0
; COMPUTE_PGM_RSRC2:TGID_Z_EN: 0
; COMPUTE_PGM_RSRC2:TIDIG_COMP_CNT: 0
; COMPUTE_PGM_RSRC3_GFX90A:ACCUM_OFFSET: 0
; COMPUTE_PGM_RSRC3_GFX90A:TG_SPLIT: 0
	.section	.text._ZN7rocprim17ROCPRIM_400000_NS6detail17trampoline_kernelINS0_14default_configENS1_38merge_sort_block_merge_config_selectorIyNS0_10empty_typeEEEZZNS1_27merge_sort_block_merge_implIS3_N6thrust23THRUST_200600_302600_NS6detail15normal_iteratorINS9_10device_ptrIyEEEEPS5_m14custom_greaterIyEEE10hipError_tT0_T1_T2_jT3_P12ihipStream_tbPNSt15iterator_traitsISJ_E10value_typeEPNSP_ISK_E10value_typeEPSL_NS1_7vsmem_tEENKUlT_SJ_SK_SL_E_clIPySE_SF_SF_EESI_SY_SJ_SK_SL_EUlSY_E0_NS1_11comp_targetILNS1_3genE4ELNS1_11target_archE910ELNS1_3gpuE8ELNS1_3repE0EEENS1_38merge_mergepath_config_static_selectorELNS0_4arch9wavefront6targetE1EEEvSK_,"axG",@progbits,_ZN7rocprim17ROCPRIM_400000_NS6detail17trampoline_kernelINS0_14default_configENS1_38merge_sort_block_merge_config_selectorIyNS0_10empty_typeEEEZZNS1_27merge_sort_block_merge_implIS3_N6thrust23THRUST_200600_302600_NS6detail15normal_iteratorINS9_10device_ptrIyEEEEPS5_m14custom_greaterIyEEE10hipError_tT0_T1_T2_jT3_P12ihipStream_tbPNSt15iterator_traitsISJ_E10value_typeEPNSP_ISK_E10value_typeEPSL_NS1_7vsmem_tEENKUlT_SJ_SK_SL_E_clIPySE_SF_SF_EESI_SY_SJ_SK_SL_EUlSY_E0_NS1_11comp_targetILNS1_3genE4ELNS1_11target_archE910ELNS1_3gpuE8ELNS1_3repE0EEENS1_38merge_mergepath_config_static_selectorELNS0_4arch9wavefront6targetE1EEEvSK_,comdat
	.protected	_ZN7rocprim17ROCPRIM_400000_NS6detail17trampoline_kernelINS0_14default_configENS1_38merge_sort_block_merge_config_selectorIyNS0_10empty_typeEEEZZNS1_27merge_sort_block_merge_implIS3_N6thrust23THRUST_200600_302600_NS6detail15normal_iteratorINS9_10device_ptrIyEEEEPS5_m14custom_greaterIyEEE10hipError_tT0_T1_T2_jT3_P12ihipStream_tbPNSt15iterator_traitsISJ_E10value_typeEPNSP_ISK_E10value_typeEPSL_NS1_7vsmem_tEENKUlT_SJ_SK_SL_E_clIPySE_SF_SF_EESI_SY_SJ_SK_SL_EUlSY_E0_NS1_11comp_targetILNS1_3genE4ELNS1_11target_archE910ELNS1_3gpuE8ELNS1_3repE0EEENS1_38merge_mergepath_config_static_selectorELNS0_4arch9wavefront6targetE1EEEvSK_ ; -- Begin function _ZN7rocprim17ROCPRIM_400000_NS6detail17trampoline_kernelINS0_14default_configENS1_38merge_sort_block_merge_config_selectorIyNS0_10empty_typeEEEZZNS1_27merge_sort_block_merge_implIS3_N6thrust23THRUST_200600_302600_NS6detail15normal_iteratorINS9_10device_ptrIyEEEEPS5_m14custom_greaterIyEEE10hipError_tT0_T1_T2_jT3_P12ihipStream_tbPNSt15iterator_traitsISJ_E10value_typeEPNSP_ISK_E10value_typeEPSL_NS1_7vsmem_tEENKUlT_SJ_SK_SL_E_clIPySE_SF_SF_EESI_SY_SJ_SK_SL_EUlSY_E0_NS1_11comp_targetILNS1_3genE4ELNS1_11target_archE910ELNS1_3gpuE8ELNS1_3repE0EEENS1_38merge_mergepath_config_static_selectorELNS0_4arch9wavefront6targetE1EEEvSK_
	.globl	_ZN7rocprim17ROCPRIM_400000_NS6detail17trampoline_kernelINS0_14default_configENS1_38merge_sort_block_merge_config_selectorIyNS0_10empty_typeEEEZZNS1_27merge_sort_block_merge_implIS3_N6thrust23THRUST_200600_302600_NS6detail15normal_iteratorINS9_10device_ptrIyEEEEPS5_m14custom_greaterIyEEE10hipError_tT0_T1_T2_jT3_P12ihipStream_tbPNSt15iterator_traitsISJ_E10value_typeEPNSP_ISK_E10value_typeEPSL_NS1_7vsmem_tEENKUlT_SJ_SK_SL_E_clIPySE_SF_SF_EESI_SY_SJ_SK_SL_EUlSY_E0_NS1_11comp_targetILNS1_3genE4ELNS1_11target_archE910ELNS1_3gpuE8ELNS1_3repE0EEENS1_38merge_mergepath_config_static_selectorELNS0_4arch9wavefront6targetE1EEEvSK_
	.p2align	8
	.type	_ZN7rocprim17ROCPRIM_400000_NS6detail17trampoline_kernelINS0_14default_configENS1_38merge_sort_block_merge_config_selectorIyNS0_10empty_typeEEEZZNS1_27merge_sort_block_merge_implIS3_N6thrust23THRUST_200600_302600_NS6detail15normal_iteratorINS9_10device_ptrIyEEEEPS5_m14custom_greaterIyEEE10hipError_tT0_T1_T2_jT3_P12ihipStream_tbPNSt15iterator_traitsISJ_E10value_typeEPNSP_ISK_E10value_typeEPSL_NS1_7vsmem_tEENKUlT_SJ_SK_SL_E_clIPySE_SF_SF_EESI_SY_SJ_SK_SL_EUlSY_E0_NS1_11comp_targetILNS1_3genE4ELNS1_11target_archE910ELNS1_3gpuE8ELNS1_3repE0EEENS1_38merge_mergepath_config_static_selectorELNS0_4arch9wavefront6targetE1EEEvSK_,@function
_ZN7rocprim17ROCPRIM_400000_NS6detail17trampoline_kernelINS0_14default_configENS1_38merge_sort_block_merge_config_selectorIyNS0_10empty_typeEEEZZNS1_27merge_sort_block_merge_implIS3_N6thrust23THRUST_200600_302600_NS6detail15normal_iteratorINS9_10device_ptrIyEEEEPS5_m14custom_greaterIyEEE10hipError_tT0_T1_T2_jT3_P12ihipStream_tbPNSt15iterator_traitsISJ_E10value_typeEPNSP_ISK_E10value_typeEPSL_NS1_7vsmem_tEENKUlT_SJ_SK_SL_E_clIPySE_SF_SF_EESI_SY_SJ_SK_SL_EUlSY_E0_NS1_11comp_targetILNS1_3genE4ELNS1_11target_archE910ELNS1_3gpuE8ELNS1_3repE0EEENS1_38merge_mergepath_config_static_selectorELNS0_4arch9wavefront6targetE1EEEvSK_: ; @_ZN7rocprim17ROCPRIM_400000_NS6detail17trampoline_kernelINS0_14default_configENS1_38merge_sort_block_merge_config_selectorIyNS0_10empty_typeEEEZZNS1_27merge_sort_block_merge_implIS3_N6thrust23THRUST_200600_302600_NS6detail15normal_iteratorINS9_10device_ptrIyEEEEPS5_m14custom_greaterIyEEE10hipError_tT0_T1_T2_jT3_P12ihipStream_tbPNSt15iterator_traitsISJ_E10value_typeEPNSP_ISK_E10value_typeEPSL_NS1_7vsmem_tEENKUlT_SJ_SK_SL_E_clIPySE_SF_SF_EESI_SY_SJ_SK_SL_EUlSY_E0_NS1_11comp_targetILNS1_3genE4ELNS1_11target_archE910ELNS1_3gpuE8ELNS1_3repE0EEENS1_38merge_mergepath_config_static_selectorELNS0_4arch9wavefront6targetE1EEEvSK_
; %bb.0:
	s_load_dwordx2 s[22:23], s[4:5], 0x48
	s_load_dword s0, s[4:5], 0x38
	s_add_u32 s18, s4, 0x48
	s_addc_u32 s19, s5, 0
	s_waitcnt lgkmcnt(0)
	s_mul_i32 s1, s23, s8
	s_add_i32 s1, s1, s7
	s_mul_i32 s1, s1, s22
	s_add_i32 s20, s1, s6
	s_cmp_ge_u32 s20, s0
	s_cbranch_scc1 .LBB3474_33
; %bb.1:
	s_load_dwordx2 s[0:1], s[4:5], 0x40
	s_load_dwordx4 s[12:15], s[4:5], 0x8
	s_load_dwordx4 s[8:11], s[4:5], 0x28
	s_mov_b32 s21, 0
	s_lshl_b64 s[2:3], s[20:21], 3
	s_waitcnt lgkmcnt(0)
	s_add_u32 s0, s0, s2
	s_addc_u32 s1, s1, s3
	v_mov_b32_e32 v1, s10
	v_alignbit_b32 v1, s11, v1, 9
	v_readfirstlane_b32 s4, v1
	s_and_b32 s4, s4, -2
	s_sub_i32 s30, 0, s4
	s_and_b32 s24, s20, s30
	s_mov_b32 s25, s21
	s_lshl_b64 s[4:5], s[24:25], 10
	s_lshl_b64 s[16:17], s[20:21], 10
	s_sub_u32 s7, s16, s4
	s_load_dwordx4 s[0:3], s[0:1], 0x0
	s_subb_u32 s23, s17, s5
	s_lshl_b64 s[24:25], s[24:25], 11
	s_add_u32 s24, s24, s10
	s_addc_u32 s25, s25, s11
	s_add_u32 s7, s24, s7
	s_addc_u32 s23, s25, s23
	s_waitcnt lgkmcnt(0)
	s_sub_u32 s26, s7, s2
	s_subb_u32 s3, s23, s3
	s_add_u32 s26, s26, 0x400
	s_addc_u32 s27, s3, 0
	v_pk_mov_b32 v[2:3], s[26:27], s[26:27] op_sel:[0,1]
	v_cmp_lt_u64_e32 vcc, s[8:9], v[2:3]
	s_and_b64 s[28:29], vcc, exec
	s_cselect_b32 s3, s8, s26
	s_or_b32 s26, s20, s30
	s_cmp_lg_u32 s26, -1
	s_cbranch_scc1 .LBB3474_3
; %bb.2:
	s_sub_u32 s4, s24, s4
	s_subb_u32 s5, s25, s5
	v_pk_mov_b32 v[2:3], s[4:5], s[4:5] op_sel:[0,1]
	v_cmp_lt_u64_e32 vcc, s[8:9], v[2:3]
	s_and_b64 s[2:3], vcc, exec
	s_cselect_b32 s2, s8, s4
	s_add_u32 s4, s4, s10
	s_addc_u32 s5, s5, s11
	v_pk_mov_b32 v[2:3], s[4:5], s[4:5] op_sel:[0,1]
	v_cmp_lt_u64_e32 vcc, s[8:9], v[2:3]
	s_and_b64 s[10:11], vcc, exec
	s_cselect_b32 s3, s8, s4
.LBB3474_3:
	s_lshr_b64 s[26:27], s[8:9], 10
	s_cmp_lg_u64 s[26:27], s[20:21]
	s_cselect_b64 s[10:11], -1, 0
	s_sub_u32 s4, s7, s0
	s_subb_u32 s5, s23, s1
	v_pk_mov_b32 v[2:3], s[4:5], s[4:5] op_sel:[0,1]
	v_cmp_lt_u64_e32 vcc, s[8:9], v[2:3]
	s_and_b64 s[24:25], vcc, exec
	s_cselect_b32 s28, s8, s4
	s_cselect_b32 s29, s9, s5
	s_sub_i32 s9, s2, s0
	s_sub_i32 s4, s3, s28
	s_lshl_b64 s[0:1], s[0:1], 3
	s_add_u32 s23, s12, s0
	s_addc_u32 s24, s13, s1
	s_lshl_b64 s[0:1], s[28:29], 3
	s_add_u32 s5, s12, s0
	s_addc_u32 s7, s13, s1
	s_cmp_lt_u32 s6, s22
	v_mov_b32_e32 v9, 0
	s_cselect_b32 s0, 12, 18
	global_load_dword v1, v9, s[18:19] offset:14
	s_add_u32 s0, s18, s0
	s_addc_u32 s1, s19, 0
	global_load_ushort v2, v9, s[0:1]
	s_cmp_eq_u64 s[26:27], s[20:21]
	s_waitcnt vmcnt(1)
	v_lshrrev_b32_e32 v3, 16, v1
	v_and_b32_e32 v1, 0xffff, v1
	v_mul_lo_u32 v1, v1, v3
	s_waitcnt vmcnt(0)
	v_mul_lo_u32 v14, v1, v2
	v_add_u32_e32 v12, v14, v0
	v_lshlrev_b32_e32 v1, 3, v0
	v_add_u32_e32 v10, v12, v14
	s_cbranch_scc1 .LBB3474_5
; %bb.4:
	v_mov_b32_e32 v2, s24
	v_add_co_u32_e32 v4, vcc, s23, v1
	v_subrev_u32_e32 v8, s9, v0
	v_addc_co_u32_e32 v5, vcc, 0, v2, vcc
	v_lshlrev_b64 v[2:3], 3, v[8:9]
	v_mov_b32_e32 v6, s7
	v_add_co_u32_e32 v2, vcc, s5, v2
	v_addc_co_u32_e32 v3, vcc, v6, v3, vcc
	v_cmp_gt_u32_e32 vcc, s9, v0
	v_mov_b32_e32 v13, v9
	v_cndmask_b32_e32 v3, v3, v5, vcc
	v_cndmask_b32_e32 v2, v2, v4, vcc
	v_lshlrev_b64 v[4:5], 3, v[12:13]
	v_mov_b32_e32 v6, s24
	v_add_co_u32_e32 v7, vcc, s23, v4
	v_subrev_u32_e32 v8, s9, v12
	v_addc_co_u32_e32 v6, vcc, v6, v5, vcc
	v_lshlrev_b64 v[4:5], 3, v[8:9]
	v_mov_b32_e32 v8, s7
	v_add_co_u32_e32 v4, vcc, s5, v4
	v_addc_co_u32_e32 v5, vcc, v8, v5, vcc
	v_cmp_gt_u32_e32 vcc, s9, v12
	v_mov_b32_e32 v11, v9
	v_cndmask_b32_e32 v5, v5, v6, vcc
	v_cndmask_b32_e32 v4, v4, v7, vcc
	v_lshlrev_b64 v[6:7], 3, v[10:11]
	v_mov_b32_e32 v8, s24
	v_add_co_u32_e32 v11, vcc, s23, v6
	v_addc_co_u32_e32 v13, vcc, v8, v7, vcc
	v_subrev_u32_e32 v8, s9, v10
	v_lshlrev_b64 v[6:7], 3, v[8:9]
	v_mov_b32_e32 v8, s7
	v_add_co_u32_e32 v6, vcc, s5, v6
	v_addc_co_u32_e32 v7, vcc, v8, v7, vcc
	v_add_u32_e32 v8, v10, v14
	v_cmp_gt_u32_e32 vcc, s9, v10
	v_lshlrev_b64 v[16:17], 3, v[8:9]
	v_cndmask_b32_e32 v7, v7, v13, vcc
	v_cndmask_b32_e32 v6, v6, v11, vcc
	v_mov_b32_e32 v11, s24
	v_add_co_u32_e32 v13, vcc, s23, v16
	v_addc_co_u32_e32 v11, vcc, v11, v17, vcc
	v_cmp_gt_u32_e32 vcc, s9, v8
	v_subrev_u32_e32 v8, s9, v8
	v_lshlrev_b64 v[8:9], 3, v[8:9]
	v_mov_b32_e32 v15, s7
	v_add_co_u32_e64 v8, s[0:1], s5, v8
	v_addc_co_u32_e64 v9, s[0:1], v15, v9, s[0:1]
	v_cndmask_b32_e32 v9, v9, v11, vcc
	v_cndmask_b32_e32 v8, v8, v13, vcc
	global_load_dwordx2 v[2:3], v[2:3], off
	s_add_i32 s12, s9, s4
	global_load_dwordx2 v[4:5], v[4:5], off
	s_nop 0
	global_load_dwordx2 v[6:7], v[6:7], off
	s_nop 0
	global_load_dwordx2 v[8:9], v[8:9], off
	s_cbranch_execz .LBB3474_6
	s_branch .LBB3474_13
.LBB3474_5:
                                        ; implicit-def: $vgpr2_vgpr3_vgpr4_vgpr5_vgpr6_vgpr7_vgpr8_vgpr9
                                        ; implicit-def: $sgpr12
.LBB3474_6:
	s_add_i32 s12, s9, s4
	v_cmp_gt_u32_e32 vcc, s12, v0
                                        ; implicit-def: $vgpr2_vgpr3_vgpr4_vgpr5_vgpr6_vgpr7_vgpr8_vgpr9
	s_and_saveexec_b64 s[0:1], vcc
	s_cbranch_execnz .LBB3474_34
; %bb.7:
	s_or_b64 exec, exec, s[0:1]
	v_cmp_gt_u32_e32 vcc, s12, v12
	s_and_saveexec_b64 s[2:3], vcc
	s_cbranch_execnz .LBB3474_35
.LBB3474_8:
	s_or_b64 exec, exec, s[2:3]
	v_cmp_gt_u32_e32 vcc, s12, v10
	s_and_saveexec_b64 s[0:1], vcc
	s_cbranch_execz .LBB3474_10
.LBB3474_9:
	v_mov_b32_e32 v11, 0
	s_waitcnt vmcnt(1)
	v_lshlrev_b64 v[6:7], 3, v[10:11]
	v_mov_b32_e32 v12, s24
	v_add_co_u32_e32 v13, vcc, s23, v6
	v_addc_co_u32_e32 v12, vcc, v12, v7, vcc
	v_subrev_u32_e32 v6, s9, v10
	v_mov_b32_e32 v7, v11
	v_lshlrev_b64 v[6:7], 3, v[6:7]
	v_mov_b32_e32 v11, s7
	v_add_co_u32_e32 v6, vcc, s5, v6
	v_addc_co_u32_e32 v7, vcc, v11, v7, vcc
	v_cmp_gt_u32_e32 vcc, s9, v10
	v_cndmask_b32_e32 v7, v7, v12, vcc
	v_cndmask_b32_e32 v6, v6, v13, vcc
	global_load_dwordx2 v[6:7], v[6:7], off
.LBB3474_10:
	s_or_b64 exec, exec, s[0:1]
	v_add_u32_e32 v10, v10, v14
	v_cmp_gt_u32_e32 vcc, s12, v10
	s_and_saveexec_b64 s[2:3], vcc
	s_cbranch_execz .LBB3474_12
; %bb.11:
	v_mov_b32_e32 v11, 0
	s_waitcnt vmcnt(0)
	v_lshlrev_b64 v[8:9], 3, v[10:11]
	v_mov_b32_e32 v12, s24
	v_add_co_u32_e32 v13, vcc, s23, v8
	v_addc_co_u32_e32 v12, vcc, v12, v9, vcc
	v_cmp_gt_u32_e32 vcc, s9, v10
	v_subrev_u32_e32 v10, s9, v10
	v_lshlrev_b64 v[8:9], 3, v[10:11]
	v_mov_b32_e32 v10, s7
	v_add_co_u32_e64 v8, s[0:1], s5, v8
	v_addc_co_u32_e64 v9, s[0:1], v10, v9, s[0:1]
	v_cndmask_b32_e32 v9, v9, v12, vcc
	v_cndmask_b32_e32 v8, v8, v13, vcc
	global_load_dwordx2 v[8:9], v[8:9], off
.LBB3474_12:
	s_or_b64 exec, exec, s[2:3]
.LBB3474_13:
	v_lshlrev_b32_e32 v10, 2, v0
	v_min_u32_e32 v12, s12, v10
	v_sub_u32_e64 v11, v12, s4 clamp
	v_min_u32_e32 v13, s9, v12
	v_cmp_lt_u32_e32 vcc, v11, v13
	s_waitcnt vmcnt(0)
	ds_write2st64_b64 v1, v[2:3], v[4:5] offset1:4
	ds_write2st64_b64 v1, v[6:7], v[8:9] offset0:8 offset1:12
	s_waitcnt lgkmcnt(0)
	s_barrier
	s_and_saveexec_b64 s[0:1], vcc
	s_cbranch_execz .LBB3474_17
; %bb.14:
	v_lshlrev_b32_e32 v14, 3, v12
	v_lshl_add_u32 v14, s9, 3, v14
	s_mov_b64 s[2:3], 0
.LBB3474_15:                            ; =>This Inner Loop Header: Depth=1
	v_add_u32_e32 v15, v13, v11
	v_lshrrev_b32_e32 v15, 1, v15
	v_not_b32_e32 v16, v15
	v_lshlrev_b32_e32 v17, 3, v15
	v_lshl_add_u32 v18, v16, 3, v14
	ds_read_b64 v[16:17], v17
	ds_read_b64 v[18:19], v18
	v_add_u32_e32 v20, 1, v15
	s_waitcnt lgkmcnt(0)
	v_cmp_gt_u64_e32 vcc, v[16:17], v[18:19]
	v_cndmask_b32_e32 v13, v13, v15, vcc
	v_cndmask_b32_e32 v11, v20, v11, vcc
	v_cmp_ge_u32_e32 vcc, v11, v13
	s_or_b64 s[2:3], vcc, s[2:3]
	s_andn2_b64 exec, exec, s[2:3]
	s_cbranch_execnz .LBB3474_15
; %bb.16:
	s_or_b64 exec, exec, s[2:3]
.LBB3474_17:
	s_or_b64 exec, exec, s[0:1]
	v_sub_u32_e32 v12, v12, v11
	v_add_u32_e32 v12, s9, v12
	v_cmp_ge_u32_e32 vcc, s9, v11
	v_cmp_ge_u32_e64 s[0:1], s12, v12
	s_or_b64 s[0:1], vcc, s[0:1]
	s_and_saveexec_b64 s[6:7], s[0:1]
	s_cbranch_execz .LBB3474_23
; %bb.18:
	v_cmp_gt_u32_e32 vcc, s9, v11
                                        ; implicit-def: $vgpr2_vgpr3
	s_and_saveexec_b64 s[0:1], vcc
	s_cbranch_execz .LBB3474_20
; %bb.19:
	v_lshlrev_b32_e32 v2, 3, v11
	ds_read_b64 v[2:3], v2
.LBB3474_20:
	s_or_b64 exec, exec, s[0:1]
	v_cmp_le_u32_e64 s[0:1], s12, v12
	v_cmp_gt_u32_e64 s[2:3], s12, v12
                                        ; implicit-def: $vgpr4_vgpr5
	s_and_saveexec_b64 s[4:5], s[2:3]
	s_cbranch_execz .LBB3474_22
; %bb.21:
	v_lshlrev_b32_e32 v4, 3, v12
	ds_read_b64 v[4:5], v4
.LBB3474_22:
	s_or_b64 exec, exec, s[4:5]
	s_waitcnt lgkmcnt(0)
	v_cmp_le_u64_e64 s[2:3], v[2:3], v[4:5]
	s_and_b64 s[2:3], vcc, s[2:3]
	s_or_b64 vcc, s[0:1], s[2:3]
	v_mov_b32_e32 v16, s12
	v_mov_b32_e32 v17, s9
	v_cndmask_b32_e32 v6, v12, v11, vcc
	v_cndmask_b32_e32 v7, v16, v17, vcc
	v_add_u32_e32 v13, 1, v6
	v_add_u32_e32 v6, -1, v7
	v_min_u32_e32 v6, v13, v6
	v_lshlrev_b32_e32 v6, 3, v6
	ds_read_b64 v[6:7], v6
	v_cndmask_b32_e32 v11, v11, v13, vcc
	v_cndmask_b32_e32 v18, v13, v12, vcc
	v_cmp_gt_u32_e64 s[2:3], s9, v11
	v_cmp_le_u32_e64 s[0:1], s12, v18
	s_waitcnt lgkmcnt(0)
	v_cndmask_b32_e32 v9, v7, v5, vcc
	v_cndmask_b32_e32 v8, v6, v4, vcc
	;; [unrolled: 1-line block ×4, first 2 shown]
	v_cmp_le_u64_e64 s[4:5], v[6:7], v[8:9]
	s_and_b64 s[2:3], s[2:3], s[4:5]
	s_or_b64 s[0:1], s[0:1], s[2:3]
	v_cndmask_b32_e64 v12, v18, v11, s[0:1]
	v_cndmask_b32_e64 v13, v16, v17, s[0:1]
	v_add_u32_e32 v19, 1, v12
	v_add_u32_e32 v12, -1, v13
	v_min_u32_e32 v12, v19, v12
	v_lshlrev_b32_e32 v12, 3, v12
	ds_read_b64 v[12:13], v12
	v_cndmask_b32_e64 v11, v11, v19, s[0:1]
	v_cndmask_b32_e64 v18, v19, v18, s[0:1]
	v_cmp_gt_u32_e64 s[2:3], s9, v11
	v_cndmask_b32_e32 v3, v5, v3, vcc
	s_waitcnt lgkmcnt(0)
	v_cndmask_b32_e64 v15, v13, v9, s[0:1]
	v_cndmask_b32_e64 v14, v12, v8, s[0:1]
	;; [unrolled: 1-line block ×4, first 2 shown]
	v_cmp_le_u64_e64 s[4:5], v[12:13], v[14:15]
	v_cndmask_b32_e32 v2, v4, v2, vcc
	v_cmp_le_u32_e32 vcc, s12, v18
	s_and_b64 s[2:3], s[2:3], s[4:5]
	s_or_b64 vcc, vcc, s[2:3]
	v_cndmask_b32_e32 v4, v18, v11, vcc
	v_cndmask_b32_e32 v5, v16, v17, vcc
	v_add_u32_e32 v19, 1, v4
	v_add_u32_e32 v4, -1, v5
	v_min_u32_e32 v4, v19, v4
	v_lshlrev_b32_e32 v4, 3, v4
	ds_read_b64 v[16:17], v4
	v_cndmask_b32_e64 v5, v9, v7, s[0:1]
	v_cndmask_b32_e64 v4, v8, v6, s[0:1]
	v_cndmask_b32_e32 v7, v15, v13, vcc
	v_cndmask_b32_e32 v6, v14, v12, vcc
	s_waitcnt lgkmcnt(0)
	v_cndmask_b32_e32 v9, v17, v15, vcc
	v_cndmask_b32_e32 v8, v16, v14, vcc
	;; [unrolled: 1-line block ×6, first 2 shown]
	v_cmp_gt_u32_e64 s[0:1], s9, v11
	v_cmp_le_u64_e64 s[2:3], v[12:13], v[8:9]
	v_cmp_le_u32_e32 vcc, s12, v14
	s_and_b64 s[0:1], s[0:1], s[2:3]
	s_or_b64 vcc, vcc, s[0:1]
	v_cndmask_b32_e32 v9, v9, v13, vcc
	v_cndmask_b32_e32 v8, v8, v12, vcc
.LBB3474_23:
	s_or_b64 exec, exec, s[6:7]
	v_and_b32_e32 v11, 0xf8, v0
	v_lshl_add_u32 v10, v10, 3, v11
	s_barrier
	s_barrier
	ds_write2_b64 v10, v[2:3], v[4:5] offset1:1
	ds_write2_b64 v10, v[6:7], v[8:9] offset0:2 offset1:3
	v_lshrrev_b32_e32 v2, 2, v0
	v_and_b32_e32 v2, 56, v2
	v_or_b32_e32 v12, 0x100, v0
	v_add_u32_e32 v13, v1, v2
	v_lshrrev_b32_e32 v2, 2, v12
	v_and_b32_e32 v2, 0x78, v2
	v_or_b32_e32 v11, 0x200, v0
	v_add_u32_e32 v6, v1, v2
	v_lshrrev_b32_e32 v2, 2, v11
	s_lshl_b64 s[0:1], s[16:17], 3
	v_and_b32_e32 v2, 0xb8, v2
	v_or_b32_e32 v10, 0x300, v0
	s_add_u32 s0, s14, s0
	v_add_u32_e32 v7, v1, v2
	v_lshrrev_b32_e32 v2, 2, v10
	s_addc_u32 s1, s15, s1
	v_and_b32_e32 v2, 0xf8, v2
	v_add_u32_e32 v14, v1, v2
	v_mov_b32_e32 v3, s1
	v_add_co_u32_e32 v2, vcc, s0, v1
	v_addc_co_u32_e32 v3, vcc, 0, v3, vcc
	s_and_b64 vcc, exec, s[10:11]
	s_waitcnt lgkmcnt(0)
	s_cbranch_vccz .LBB3474_25
; %bb.24:
	s_barrier
	ds_read_b64 v[8:9], v13
	ds_read_b64 v[16:17], v6 offset:2048
	ds_read_b64 v[18:19], v7 offset:4096
	;; [unrolled: 1-line block ×3, first 2 shown]
	s_waitcnt lgkmcnt(3)
	global_store_dwordx2 v[2:3], v[8:9], off
	s_waitcnt lgkmcnt(2)
	global_store_dwordx2 v[2:3], v[16:17], off offset:2048
	v_add_co_u32_e32 v8, vcc, 0x1000, v2
	v_addc_co_u32_e32 v9, vcc, 0, v3, vcc
	s_waitcnt lgkmcnt(1)
	global_store_dwordx2 v[8:9], v[18:19], off
	s_mov_b64 s[0:1], -1
	s_cbranch_execz .LBB3474_26
	s_branch .LBB3474_31
.LBB3474_25:
	s_mov_b64 s[0:1], 0
                                        ; implicit-def: $vgpr4_vgpr5
.LBB3474_26:
	s_barrier
	s_waitcnt lgkmcnt(0)
	ds_read_b64 v[8:9], v6 offset:2048
	ds_read_b64 v[6:7], v7 offset:4096
	;; [unrolled: 1-line block ×3, first 2 shown]
	s_sub_i32 s2, s8, s16
	v_cmp_gt_u32_e32 vcc, s2, v0
	s_and_saveexec_b64 s[0:1], vcc
	s_cbranch_execnz .LBB3474_36
; %bb.27:
	s_or_b64 exec, exec, s[0:1]
	v_cmp_gt_u32_e32 vcc, s2, v12
	s_and_saveexec_b64 s[0:1], vcc
	s_cbranch_execnz .LBB3474_37
.LBB3474_28:
	s_or_b64 exec, exec, s[0:1]
	v_cmp_gt_u32_e32 vcc, s2, v11
	s_and_saveexec_b64 s[0:1], vcc
	s_cbranch_execz .LBB3474_30
.LBB3474_29:
	v_add_co_u32_e32 v0, vcc, 0x1000, v2
	v_addc_co_u32_e32 v1, vcc, 0, v3, vcc
	s_waitcnt lgkmcnt(1)
	global_store_dwordx2 v[0:1], v[6:7], off
.LBB3474_30:
	s_or_b64 exec, exec, s[0:1]
	v_cmp_gt_u32_e64 s[0:1], s2, v10
.LBB3474_31:
	s_and_saveexec_b64 s[2:3], s[0:1]
	s_cbranch_execz .LBB3474_33
; %bb.32:
	v_add_co_u32_e32 v0, vcc, 0x1000, v2
	v_addc_co_u32_e32 v1, vcc, 0, v3, vcc
	s_waitcnt lgkmcnt(0)
	global_store_dwordx2 v[0:1], v[4:5], off offset:2048
.LBB3474_33:
	s_endpgm
.LBB3474_34:
	s_waitcnt vmcnt(3)
	v_mov_b32_e32 v2, s24
	s_waitcnt vmcnt(2)
	v_add_co_u32_e32 v4, vcc, s23, v1
	v_mov_b32_e32 v3, 0
	v_addc_co_u32_e32 v5, vcc, 0, v2, vcc
	v_subrev_u32_e32 v2, s9, v0
	v_lshlrev_b64 v[2:3], 3, v[2:3]
	s_waitcnt vmcnt(1)
	v_mov_b32_e32 v6, s7
	v_add_co_u32_e32 v2, vcc, s5, v2
	v_addc_co_u32_e32 v3, vcc, v6, v3, vcc
	v_cmp_gt_u32_e32 vcc, s9, v0
	v_cndmask_b32_e32 v3, v3, v5, vcc
	v_cndmask_b32_e32 v2, v2, v4, vcc
	global_load_dwordx2 v[2:3], v[2:3], off
	s_or_b64 exec, exec, s[0:1]
	v_cmp_gt_u32_e32 vcc, s12, v12
	s_and_saveexec_b64 s[2:3], vcc
	s_cbranch_execz .LBB3474_8
.LBB3474_35:
	v_mov_b32_e32 v13, 0
	s_waitcnt vmcnt(2)
	v_lshlrev_b64 v[4:5], 3, v[12:13]
	v_mov_b32_e32 v11, s24
	v_add_co_u32_e32 v15, vcc, s23, v4
	v_addc_co_u32_e32 v11, vcc, v11, v5, vcc
	v_cmp_gt_u32_e32 vcc, s9, v12
	v_subrev_u32_e32 v12, s9, v12
	v_lshlrev_b64 v[4:5], 3, v[12:13]
	v_mov_b32_e32 v12, s7
	v_add_co_u32_e64 v4, s[0:1], s5, v4
	v_addc_co_u32_e64 v5, s[0:1], v12, v5, s[0:1]
	v_cndmask_b32_e32 v5, v5, v11, vcc
	v_cndmask_b32_e32 v4, v4, v15, vcc
	global_load_dwordx2 v[4:5], v[4:5], off
	s_or_b64 exec, exec, s[2:3]
	v_cmp_gt_u32_e32 vcc, s12, v10
	s_and_saveexec_b64 s[0:1], vcc
	s_cbranch_execnz .LBB3474_9
	s_branch .LBB3474_10
.LBB3474_36:
	ds_read_b64 v[0:1], v13
	s_waitcnt lgkmcnt(0)
	global_store_dwordx2 v[2:3], v[0:1], off
	s_or_b64 exec, exec, s[0:1]
	v_cmp_gt_u32_e32 vcc, s2, v12
	s_and_saveexec_b64 s[0:1], vcc
	s_cbranch_execz .LBB3474_28
.LBB3474_37:
	s_waitcnt lgkmcnt(2)
	global_store_dwordx2 v[2:3], v[8:9], off offset:2048
	s_or_b64 exec, exec, s[0:1]
	v_cmp_gt_u32_e32 vcc, s2, v11
	s_and_saveexec_b64 s[0:1], vcc
	s_cbranch_execnz .LBB3474_29
	s_branch .LBB3474_30
	.section	.rodata,"a",@progbits
	.p2align	6, 0x0
	.amdhsa_kernel _ZN7rocprim17ROCPRIM_400000_NS6detail17trampoline_kernelINS0_14default_configENS1_38merge_sort_block_merge_config_selectorIyNS0_10empty_typeEEEZZNS1_27merge_sort_block_merge_implIS3_N6thrust23THRUST_200600_302600_NS6detail15normal_iteratorINS9_10device_ptrIyEEEEPS5_m14custom_greaterIyEEE10hipError_tT0_T1_T2_jT3_P12ihipStream_tbPNSt15iterator_traitsISJ_E10value_typeEPNSP_ISK_E10value_typeEPSL_NS1_7vsmem_tEENKUlT_SJ_SK_SL_E_clIPySE_SF_SF_EESI_SY_SJ_SK_SL_EUlSY_E0_NS1_11comp_targetILNS1_3genE4ELNS1_11target_archE910ELNS1_3gpuE8ELNS1_3repE0EEENS1_38merge_mergepath_config_static_selectorELNS0_4arch9wavefront6targetE1EEEvSK_
		.amdhsa_group_segment_fixed_size 8448
		.amdhsa_private_segment_fixed_size 0
		.amdhsa_kernarg_size 328
		.amdhsa_user_sgpr_count 6
		.amdhsa_user_sgpr_private_segment_buffer 1
		.amdhsa_user_sgpr_dispatch_ptr 0
		.amdhsa_user_sgpr_queue_ptr 0
		.amdhsa_user_sgpr_kernarg_segment_ptr 1
		.amdhsa_user_sgpr_dispatch_id 0
		.amdhsa_user_sgpr_flat_scratch_init 0
		.amdhsa_user_sgpr_kernarg_preload_length 0
		.amdhsa_user_sgpr_kernarg_preload_offset 0
		.amdhsa_user_sgpr_private_segment_size 0
		.amdhsa_uses_dynamic_stack 0
		.amdhsa_system_sgpr_private_segment_wavefront_offset 0
		.amdhsa_system_sgpr_workgroup_id_x 1
		.amdhsa_system_sgpr_workgroup_id_y 1
		.amdhsa_system_sgpr_workgroup_id_z 1
		.amdhsa_system_sgpr_workgroup_info 0
		.amdhsa_system_vgpr_workitem_id 0
		.amdhsa_next_free_vgpr 21
		.amdhsa_next_free_sgpr 31
		.amdhsa_accum_offset 24
		.amdhsa_reserve_vcc 1
		.amdhsa_reserve_flat_scratch 0
		.amdhsa_float_round_mode_32 0
		.amdhsa_float_round_mode_16_64 0
		.amdhsa_float_denorm_mode_32 3
		.amdhsa_float_denorm_mode_16_64 3
		.amdhsa_dx10_clamp 1
		.amdhsa_ieee_mode 1
		.amdhsa_fp16_overflow 0
		.amdhsa_tg_split 0
		.amdhsa_exception_fp_ieee_invalid_op 0
		.amdhsa_exception_fp_denorm_src 0
		.amdhsa_exception_fp_ieee_div_zero 0
		.amdhsa_exception_fp_ieee_overflow 0
		.amdhsa_exception_fp_ieee_underflow 0
		.amdhsa_exception_fp_ieee_inexact 0
		.amdhsa_exception_int_div_zero 0
	.end_amdhsa_kernel
	.section	.text._ZN7rocprim17ROCPRIM_400000_NS6detail17trampoline_kernelINS0_14default_configENS1_38merge_sort_block_merge_config_selectorIyNS0_10empty_typeEEEZZNS1_27merge_sort_block_merge_implIS3_N6thrust23THRUST_200600_302600_NS6detail15normal_iteratorINS9_10device_ptrIyEEEEPS5_m14custom_greaterIyEEE10hipError_tT0_T1_T2_jT3_P12ihipStream_tbPNSt15iterator_traitsISJ_E10value_typeEPNSP_ISK_E10value_typeEPSL_NS1_7vsmem_tEENKUlT_SJ_SK_SL_E_clIPySE_SF_SF_EESI_SY_SJ_SK_SL_EUlSY_E0_NS1_11comp_targetILNS1_3genE4ELNS1_11target_archE910ELNS1_3gpuE8ELNS1_3repE0EEENS1_38merge_mergepath_config_static_selectorELNS0_4arch9wavefront6targetE1EEEvSK_,"axG",@progbits,_ZN7rocprim17ROCPRIM_400000_NS6detail17trampoline_kernelINS0_14default_configENS1_38merge_sort_block_merge_config_selectorIyNS0_10empty_typeEEEZZNS1_27merge_sort_block_merge_implIS3_N6thrust23THRUST_200600_302600_NS6detail15normal_iteratorINS9_10device_ptrIyEEEEPS5_m14custom_greaterIyEEE10hipError_tT0_T1_T2_jT3_P12ihipStream_tbPNSt15iterator_traitsISJ_E10value_typeEPNSP_ISK_E10value_typeEPSL_NS1_7vsmem_tEENKUlT_SJ_SK_SL_E_clIPySE_SF_SF_EESI_SY_SJ_SK_SL_EUlSY_E0_NS1_11comp_targetILNS1_3genE4ELNS1_11target_archE910ELNS1_3gpuE8ELNS1_3repE0EEENS1_38merge_mergepath_config_static_selectorELNS0_4arch9wavefront6targetE1EEEvSK_,comdat
.Lfunc_end3474:
	.size	_ZN7rocprim17ROCPRIM_400000_NS6detail17trampoline_kernelINS0_14default_configENS1_38merge_sort_block_merge_config_selectorIyNS0_10empty_typeEEEZZNS1_27merge_sort_block_merge_implIS3_N6thrust23THRUST_200600_302600_NS6detail15normal_iteratorINS9_10device_ptrIyEEEEPS5_m14custom_greaterIyEEE10hipError_tT0_T1_T2_jT3_P12ihipStream_tbPNSt15iterator_traitsISJ_E10value_typeEPNSP_ISK_E10value_typeEPSL_NS1_7vsmem_tEENKUlT_SJ_SK_SL_E_clIPySE_SF_SF_EESI_SY_SJ_SK_SL_EUlSY_E0_NS1_11comp_targetILNS1_3genE4ELNS1_11target_archE910ELNS1_3gpuE8ELNS1_3repE0EEENS1_38merge_mergepath_config_static_selectorELNS0_4arch9wavefront6targetE1EEEvSK_, .Lfunc_end3474-_ZN7rocprim17ROCPRIM_400000_NS6detail17trampoline_kernelINS0_14default_configENS1_38merge_sort_block_merge_config_selectorIyNS0_10empty_typeEEEZZNS1_27merge_sort_block_merge_implIS3_N6thrust23THRUST_200600_302600_NS6detail15normal_iteratorINS9_10device_ptrIyEEEEPS5_m14custom_greaterIyEEE10hipError_tT0_T1_T2_jT3_P12ihipStream_tbPNSt15iterator_traitsISJ_E10value_typeEPNSP_ISK_E10value_typeEPSL_NS1_7vsmem_tEENKUlT_SJ_SK_SL_E_clIPySE_SF_SF_EESI_SY_SJ_SK_SL_EUlSY_E0_NS1_11comp_targetILNS1_3genE4ELNS1_11target_archE910ELNS1_3gpuE8ELNS1_3repE0EEENS1_38merge_mergepath_config_static_selectorELNS0_4arch9wavefront6targetE1EEEvSK_
                                        ; -- End function
	.section	.AMDGPU.csdata,"",@progbits
; Kernel info:
; codeLenInByte = 2272
; NumSgprs: 35
; NumVgprs: 21
; NumAgprs: 0
; TotalNumVgprs: 21
; ScratchSize: 0
; MemoryBound: 0
; FloatMode: 240
; IeeeMode: 1
; LDSByteSize: 8448 bytes/workgroup (compile time only)
; SGPRBlocks: 4
; VGPRBlocks: 2
; NumSGPRsForWavesPerEU: 35
; NumVGPRsForWavesPerEU: 21
; AccumOffset: 24
; Occupancy: 7
; WaveLimiterHint : 1
; COMPUTE_PGM_RSRC2:SCRATCH_EN: 0
; COMPUTE_PGM_RSRC2:USER_SGPR: 6
; COMPUTE_PGM_RSRC2:TRAP_HANDLER: 0
; COMPUTE_PGM_RSRC2:TGID_X_EN: 1
; COMPUTE_PGM_RSRC2:TGID_Y_EN: 1
; COMPUTE_PGM_RSRC2:TGID_Z_EN: 1
; COMPUTE_PGM_RSRC2:TIDIG_COMP_CNT: 0
; COMPUTE_PGM_RSRC3_GFX90A:ACCUM_OFFSET: 5
; COMPUTE_PGM_RSRC3_GFX90A:TG_SPLIT: 0
	.section	.text._ZN7rocprim17ROCPRIM_400000_NS6detail17trampoline_kernelINS0_14default_configENS1_38merge_sort_block_merge_config_selectorIyNS0_10empty_typeEEEZZNS1_27merge_sort_block_merge_implIS3_N6thrust23THRUST_200600_302600_NS6detail15normal_iteratorINS9_10device_ptrIyEEEEPS5_m14custom_greaterIyEEE10hipError_tT0_T1_T2_jT3_P12ihipStream_tbPNSt15iterator_traitsISJ_E10value_typeEPNSP_ISK_E10value_typeEPSL_NS1_7vsmem_tEENKUlT_SJ_SK_SL_E_clIPySE_SF_SF_EESI_SY_SJ_SK_SL_EUlSY_E0_NS1_11comp_targetILNS1_3genE3ELNS1_11target_archE908ELNS1_3gpuE7ELNS1_3repE0EEENS1_38merge_mergepath_config_static_selectorELNS0_4arch9wavefront6targetE1EEEvSK_,"axG",@progbits,_ZN7rocprim17ROCPRIM_400000_NS6detail17trampoline_kernelINS0_14default_configENS1_38merge_sort_block_merge_config_selectorIyNS0_10empty_typeEEEZZNS1_27merge_sort_block_merge_implIS3_N6thrust23THRUST_200600_302600_NS6detail15normal_iteratorINS9_10device_ptrIyEEEEPS5_m14custom_greaterIyEEE10hipError_tT0_T1_T2_jT3_P12ihipStream_tbPNSt15iterator_traitsISJ_E10value_typeEPNSP_ISK_E10value_typeEPSL_NS1_7vsmem_tEENKUlT_SJ_SK_SL_E_clIPySE_SF_SF_EESI_SY_SJ_SK_SL_EUlSY_E0_NS1_11comp_targetILNS1_3genE3ELNS1_11target_archE908ELNS1_3gpuE7ELNS1_3repE0EEENS1_38merge_mergepath_config_static_selectorELNS0_4arch9wavefront6targetE1EEEvSK_,comdat
	.protected	_ZN7rocprim17ROCPRIM_400000_NS6detail17trampoline_kernelINS0_14default_configENS1_38merge_sort_block_merge_config_selectorIyNS0_10empty_typeEEEZZNS1_27merge_sort_block_merge_implIS3_N6thrust23THRUST_200600_302600_NS6detail15normal_iteratorINS9_10device_ptrIyEEEEPS5_m14custom_greaterIyEEE10hipError_tT0_T1_T2_jT3_P12ihipStream_tbPNSt15iterator_traitsISJ_E10value_typeEPNSP_ISK_E10value_typeEPSL_NS1_7vsmem_tEENKUlT_SJ_SK_SL_E_clIPySE_SF_SF_EESI_SY_SJ_SK_SL_EUlSY_E0_NS1_11comp_targetILNS1_3genE3ELNS1_11target_archE908ELNS1_3gpuE7ELNS1_3repE0EEENS1_38merge_mergepath_config_static_selectorELNS0_4arch9wavefront6targetE1EEEvSK_ ; -- Begin function _ZN7rocprim17ROCPRIM_400000_NS6detail17trampoline_kernelINS0_14default_configENS1_38merge_sort_block_merge_config_selectorIyNS0_10empty_typeEEEZZNS1_27merge_sort_block_merge_implIS3_N6thrust23THRUST_200600_302600_NS6detail15normal_iteratorINS9_10device_ptrIyEEEEPS5_m14custom_greaterIyEEE10hipError_tT0_T1_T2_jT3_P12ihipStream_tbPNSt15iterator_traitsISJ_E10value_typeEPNSP_ISK_E10value_typeEPSL_NS1_7vsmem_tEENKUlT_SJ_SK_SL_E_clIPySE_SF_SF_EESI_SY_SJ_SK_SL_EUlSY_E0_NS1_11comp_targetILNS1_3genE3ELNS1_11target_archE908ELNS1_3gpuE7ELNS1_3repE0EEENS1_38merge_mergepath_config_static_selectorELNS0_4arch9wavefront6targetE1EEEvSK_
	.globl	_ZN7rocprim17ROCPRIM_400000_NS6detail17trampoline_kernelINS0_14default_configENS1_38merge_sort_block_merge_config_selectorIyNS0_10empty_typeEEEZZNS1_27merge_sort_block_merge_implIS3_N6thrust23THRUST_200600_302600_NS6detail15normal_iteratorINS9_10device_ptrIyEEEEPS5_m14custom_greaterIyEEE10hipError_tT0_T1_T2_jT3_P12ihipStream_tbPNSt15iterator_traitsISJ_E10value_typeEPNSP_ISK_E10value_typeEPSL_NS1_7vsmem_tEENKUlT_SJ_SK_SL_E_clIPySE_SF_SF_EESI_SY_SJ_SK_SL_EUlSY_E0_NS1_11comp_targetILNS1_3genE3ELNS1_11target_archE908ELNS1_3gpuE7ELNS1_3repE0EEENS1_38merge_mergepath_config_static_selectorELNS0_4arch9wavefront6targetE1EEEvSK_
	.p2align	8
	.type	_ZN7rocprim17ROCPRIM_400000_NS6detail17trampoline_kernelINS0_14default_configENS1_38merge_sort_block_merge_config_selectorIyNS0_10empty_typeEEEZZNS1_27merge_sort_block_merge_implIS3_N6thrust23THRUST_200600_302600_NS6detail15normal_iteratorINS9_10device_ptrIyEEEEPS5_m14custom_greaterIyEEE10hipError_tT0_T1_T2_jT3_P12ihipStream_tbPNSt15iterator_traitsISJ_E10value_typeEPNSP_ISK_E10value_typeEPSL_NS1_7vsmem_tEENKUlT_SJ_SK_SL_E_clIPySE_SF_SF_EESI_SY_SJ_SK_SL_EUlSY_E0_NS1_11comp_targetILNS1_3genE3ELNS1_11target_archE908ELNS1_3gpuE7ELNS1_3repE0EEENS1_38merge_mergepath_config_static_selectorELNS0_4arch9wavefront6targetE1EEEvSK_,@function
_ZN7rocprim17ROCPRIM_400000_NS6detail17trampoline_kernelINS0_14default_configENS1_38merge_sort_block_merge_config_selectorIyNS0_10empty_typeEEEZZNS1_27merge_sort_block_merge_implIS3_N6thrust23THRUST_200600_302600_NS6detail15normal_iteratorINS9_10device_ptrIyEEEEPS5_m14custom_greaterIyEEE10hipError_tT0_T1_T2_jT3_P12ihipStream_tbPNSt15iterator_traitsISJ_E10value_typeEPNSP_ISK_E10value_typeEPSL_NS1_7vsmem_tEENKUlT_SJ_SK_SL_E_clIPySE_SF_SF_EESI_SY_SJ_SK_SL_EUlSY_E0_NS1_11comp_targetILNS1_3genE3ELNS1_11target_archE908ELNS1_3gpuE7ELNS1_3repE0EEENS1_38merge_mergepath_config_static_selectorELNS0_4arch9wavefront6targetE1EEEvSK_: ; @_ZN7rocprim17ROCPRIM_400000_NS6detail17trampoline_kernelINS0_14default_configENS1_38merge_sort_block_merge_config_selectorIyNS0_10empty_typeEEEZZNS1_27merge_sort_block_merge_implIS3_N6thrust23THRUST_200600_302600_NS6detail15normal_iteratorINS9_10device_ptrIyEEEEPS5_m14custom_greaterIyEEE10hipError_tT0_T1_T2_jT3_P12ihipStream_tbPNSt15iterator_traitsISJ_E10value_typeEPNSP_ISK_E10value_typeEPSL_NS1_7vsmem_tEENKUlT_SJ_SK_SL_E_clIPySE_SF_SF_EESI_SY_SJ_SK_SL_EUlSY_E0_NS1_11comp_targetILNS1_3genE3ELNS1_11target_archE908ELNS1_3gpuE7ELNS1_3repE0EEENS1_38merge_mergepath_config_static_selectorELNS0_4arch9wavefront6targetE1EEEvSK_
; %bb.0:
	.section	.rodata,"a",@progbits
	.p2align	6, 0x0
	.amdhsa_kernel _ZN7rocprim17ROCPRIM_400000_NS6detail17trampoline_kernelINS0_14default_configENS1_38merge_sort_block_merge_config_selectorIyNS0_10empty_typeEEEZZNS1_27merge_sort_block_merge_implIS3_N6thrust23THRUST_200600_302600_NS6detail15normal_iteratorINS9_10device_ptrIyEEEEPS5_m14custom_greaterIyEEE10hipError_tT0_T1_T2_jT3_P12ihipStream_tbPNSt15iterator_traitsISJ_E10value_typeEPNSP_ISK_E10value_typeEPSL_NS1_7vsmem_tEENKUlT_SJ_SK_SL_E_clIPySE_SF_SF_EESI_SY_SJ_SK_SL_EUlSY_E0_NS1_11comp_targetILNS1_3genE3ELNS1_11target_archE908ELNS1_3gpuE7ELNS1_3repE0EEENS1_38merge_mergepath_config_static_selectorELNS0_4arch9wavefront6targetE1EEEvSK_
		.amdhsa_group_segment_fixed_size 0
		.amdhsa_private_segment_fixed_size 0
		.amdhsa_kernarg_size 72
		.amdhsa_user_sgpr_count 6
		.amdhsa_user_sgpr_private_segment_buffer 1
		.amdhsa_user_sgpr_dispatch_ptr 0
		.amdhsa_user_sgpr_queue_ptr 0
		.amdhsa_user_sgpr_kernarg_segment_ptr 1
		.amdhsa_user_sgpr_dispatch_id 0
		.amdhsa_user_sgpr_flat_scratch_init 0
		.amdhsa_user_sgpr_kernarg_preload_length 0
		.amdhsa_user_sgpr_kernarg_preload_offset 0
		.amdhsa_user_sgpr_private_segment_size 0
		.amdhsa_uses_dynamic_stack 0
		.amdhsa_system_sgpr_private_segment_wavefront_offset 0
		.amdhsa_system_sgpr_workgroup_id_x 1
		.amdhsa_system_sgpr_workgroup_id_y 0
		.amdhsa_system_sgpr_workgroup_id_z 0
		.amdhsa_system_sgpr_workgroup_info 0
		.amdhsa_system_vgpr_workitem_id 0
		.amdhsa_next_free_vgpr 1
		.amdhsa_next_free_sgpr 0
		.amdhsa_accum_offset 4
		.amdhsa_reserve_vcc 0
		.amdhsa_reserve_flat_scratch 0
		.amdhsa_float_round_mode_32 0
		.amdhsa_float_round_mode_16_64 0
		.amdhsa_float_denorm_mode_32 3
		.amdhsa_float_denorm_mode_16_64 3
		.amdhsa_dx10_clamp 1
		.amdhsa_ieee_mode 1
		.amdhsa_fp16_overflow 0
		.amdhsa_tg_split 0
		.amdhsa_exception_fp_ieee_invalid_op 0
		.amdhsa_exception_fp_denorm_src 0
		.amdhsa_exception_fp_ieee_div_zero 0
		.amdhsa_exception_fp_ieee_overflow 0
		.amdhsa_exception_fp_ieee_underflow 0
		.amdhsa_exception_fp_ieee_inexact 0
		.amdhsa_exception_int_div_zero 0
	.end_amdhsa_kernel
	.section	.text._ZN7rocprim17ROCPRIM_400000_NS6detail17trampoline_kernelINS0_14default_configENS1_38merge_sort_block_merge_config_selectorIyNS0_10empty_typeEEEZZNS1_27merge_sort_block_merge_implIS3_N6thrust23THRUST_200600_302600_NS6detail15normal_iteratorINS9_10device_ptrIyEEEEPS5_m14custom_greaterIyEEE10hipError_tT0_T1_T2_jT3_P12ihipStream_tbPNSt15iterator_traitsISJ_E10value_typeEPNSP_ISK_E10value_typeEPSL_NS1_7vsmem_tEENKUlT_SJ_SK_SL_E_clIPySE_SF_SF_EESI_SY_SJ_SK_SL_EUlSY_E0_NS1_11comp_targetILNS1_3genE3ELNS1_11target_archE908ELNS1_3gpuE7ELNS1_3repE0EEENS1_38merge_mergepath_config_static_selectorELNS0_4arch9wavefront6targetE1EEEvSK_,"axG",@progbits,_ZN7rocprim17ROCPRIM_400000_NS6detail17trampoline_kernelINS0_14default_configENS1_38merge_sort_block_merge_config_selectorIyNS0_10empty_typeEEEZZNS1_27merge_sort_block_merge_implIS3_N6thrust23THRUST_200600_302600_NS6detail15normal_iteratorINS9_10device_ptrIyEEEEPS5_m14custom_greaterIyEEE10hipError_tT0_T1_T2_jT3_P12ihipStream_tbPNSt15iterator_traitsISJ_E10value_typeEPNSP_ISK_E10value_typeEPSL_NS1_7vsmem_tEENKUlT_SJ_SK_SL_E_clIPySE_SF_SF_EESI_SY_SJ_SK_SL_EUlSY_E0_NS1_11comp_targetILNS1_3genE3ELNS1_11target_archE908ELNS1_3gpuE7ELNS1_3repE0EEENS1_38merge_mergepath_config_static_selectorELNS0_4arch9wavefront6targetE1EEEvSK_,comdat
.Lfunc_end3475:
	.size	_ZN7rocprim17ROCPRIM_400000_NS6detail17trampoline_kernelINS0_14default_configENS1_38merge_sort_block_merge_config_selectorIyNS0_10empty_typeEEEZZNS1_27merge_sort_block_merge_implIS3_N6thrust23THRUST_200600_302600_NS6detail15normal_iteratorINS9_10device_ptrIyEEEEPS5_m14custom_greaterIyEEE10hipError_tT0_T1_T2_jT3_P12ihipStream_tbPNSt15iterator_traitsISJ_E10value_typeEPNSP_ISK_E10value_typeEPSL_NS1_7vsmem_tEENKUlT_SJ_SK_SL_E_clIPySE_SF_SF_EESI_SY_SJ_SK_SL_EUlSY_E0_NS1_11comp_targetILNS1_3genE3ELNS1_11target_archE908ELNS1_3gpuE7ELNS1_3repE0EEENS1_38merge_mergepath_config_static_selectorELNS0_4arch9wavefront6targetE1EEEvSK_, .Lfunc_end3475-_ZN7rocprim17ROCPRIM_400000_NS6detail17trampoline_kernelINS0_14default_configENS1_38merge_sort_block_merge_config_selectorIyNS0_10empty_typeEEEZZNS1_27merge_sort_block_merge_implIS3_N6thrust23THRUST_200600_302600_NS6detail15normal_iteratorINS9_10device_ptrIyEEEEPS5_m14custom_greaterIyEEE10hipError_tT0_T1_T2_jT3_P12ihipStream_tbPNSt15iterator_traitsISJ_E10value_typeEPNSP_ISK_E10value_typeEPSL_NS1_7vsmem_tEENKUlT_SJ_SK_SL_E_clIPySE_SF_SF_EESI_SY_SJ_SK_SL_EUlSY_E0_NS1_11comp_targetILNS1_3genE3ELNS1_11target_archE908ELNS1_3gpuE7ELNS1_3repE0EEENS1_38merge_mergepath_config_static_selectorELNS0_4arch9wavefront6targetE1EEEvSK_
                                        ; -- End function
	.section	.AMDGPU.csdata,"",@progbits
; Kernel info:
; codeLenInByte = 0
; NumSgprs: 4
; NumVgprs: 0
; NumAgprs: 0
; TotalNumVgprs: 0
; ScratchSize: 0
; MemoryBound: 0
; FloatMode: 240
; IeeeMode: 1
; LDSByteSize: 0 bytes/workgroup (compile time only)
; SGPRBlocks: 0
; VGPRBlocks: 0
; NumSGPRsForWavesPerEU: 4
; NumVGPRsForWavesPerEU: 1
; AccumOffset: 4
; Occupancy: 8
; WaveLimiterHint : 0
; COMPUTE_PGM_RSRC2:SCRATCH_EN: 0
; COMPUTE_PGM_RSRC2:USER_SGPR: 6
; COMPUTE_PGM_RSRC2:TRAP_HANDLER: 0
; COMPUTE_PGM_RSRC2:TGID_X_EN: 1
; COMPUTE_PGM_RSRC2:TGID_Y_EN: 0
; COMPUTE_PGM_RSRC2:TGID_Z_EN: 0
; COMPUTE_PGM_RSRC2:TIDIG_COMP_CNT: 0
; COMPUTE_PGM_RSRC3_GFX90A:ACCUM_OFFSET: 0
; COMPUTE_PGM_RSRC3_GFX90A:TG_SPLIT: 0
	.section	.text._ZN7rocprim17ROCPRIM_400000_NS6detail17trampoline_kernelINS0_14default_configENS1_38merge_sort_block_merge_config_selectorIyNS0_10empty_typeEEEZZNS1_27merge_sort_block_merge_implIS3_N6thrust23THRUST_200600_302600_NS6detail15normal_iteratorINS9_10device_ptrIyEEEEPS5_m14custom_greaterIyEEE10hipError_tT0_T1_T2_jT3_P12ihipStream_tbPNSt15iterator_traitsISJ_E10value_typeEPNSP_ISK_E10value_typeEPSL_NS1_7vsmem_tEENKUlT_SJ_SK_SL_E_clIPySE_SF_SF_EESI_SY_SJ_SK_SL_EUlSY_E0_NS1_11comp_targetILNS1_3genE2ELNS1_11target_archE906ELNS1_3gpuE6ELNS1_3repE0EEENS1_38merge_mergepath_config_static_selectorELNS0_4arch9wavefront6targetE1EEEvSK_,"axG",@progbits,_ZN7rocprim17ROCPRIM_400000_NS6detail17trampoline_kernelINS0_14default_configENS1_38merge_sort_block_merge_config_selectorIyNS0_10empty_typeEEEZZNS1_27merge_sort_block_merge_implIS3_N6thrust23THRUST_200600_302600_NS6detail15normal_iteratorINS9_10device_ptrIyEEEEPS5_m14custom_greaterIyEEE10hipError_tT0_T1_T2_jT3_P12ihipStream_tbPNSt15iterator_traitsISJ_E10value_typeEPNSP_ISK_E10value_typeEPSL_NS1_7vsmem_tEENKUlT_SJ_SK_SL_E_clIPySE_SF_SF_EESI_SY_SJ_SK_SL_EUlSY_E0_NS1_11comp_targetILNS1_3genE2ELNS1_11target_archE906ELNS1_3gpuE6ELNS1_3repE0EEENS1_38merge_mergepath_config_static_selectorELNS0_4arch9wavefront6targetE1EEEvSK_,comdat
	.protected	_ZN7rocprim17ROCPRIM_400000_NS6detail17trampoline_kernelINS0_14default_configENS1_38merge_sort_block_merge_config_selectorIyNS0_10empty_typeEEEZZNS1_27merge_sort_block_merge_implIS3_N6thrust23THRUST_200600_302600_NS6detail15normal_iteratorINS9_10device_ptrIyEEEEPS5_m14custom_greaterIyEEE10hipError_tT0_T1_T2_jT3_P12ihipStream_tbPNSt15iterator_traitsISJ_E10value_typeEPNSP_ISK_E10value_typeEPSL_NS1_7vsmem_tEENKUlT_SJ_SK_SL_E_clIPySE_SF_SF_EESI_SY_SJ_SK_SL_EUlSY_E0_NS1_11comp_targetILNS1_3genE2ELNS1_11target_archE906ELNS1_3gpuE6ELNS1_3repE0EEENS1_38merge_mergepath_config_static_selectorELNS0_4arch9wavefront6targetE1EEEvSK_ ; -- Begin function _ZN7rocprim17ROCPRIM_400000_NS6detail17trampoline_kernelINS0_14default_configENS1_38merge_sort_block_merge_config_selectorIyNS0_10empty_typeEEEZZNS1_27merge_sort_block_merge_implIS3_N6thrust23THRUST_200600_302600_NS6detail15normal_iteratorINS9_10device_ptrIyEEEEPS5_m14custom_greaterIyEEE10hipError_tT0_T1_T2_jT3_P12ihipStream_tbPNSt15iterator_traitsISJ_E10value_typeEPNSP_ISK_E10value_typeEPSL_NS1_7vsmem_tEENKUlT_SJ_SK_SL_E_clIPySE_SF_SF_EESI_SY_SJ_SK_SL_EUlSY_E0_NS1_11comp_targetILNS1_3genE2ELNS1_11target_archE906ELNS1_3gpuE6ELNS1_3repE0EEENS1_38merge_mergepath_config_static_selectorELNS0_4arch9wavefront6targetE1EEEvSK_
	.globl	_ZN7rocprim17ROCPRIM_400000_NS6detail17trampoline_kernelINS0_14default_configENS1_38merge_sort_block_merge_config_selectorIyNS0_10empty_typeEEEZZNS1_27merge_sort_block_merge_implIS3_N6thrust23THRUST_200600_302600_NS6detail15normal_iteratorINS9_10device_ptrIyEEEEPS5_m14custom_greaterIyEEE10hipError_tT0_T1_T2_jT3_P12ihipStream_tbPNSt15iterator_traitsISJ_E10value_typeEPNSP_ISK_E10value_typeEPSL_NS1_7vsmem_tEENKUlT_SJ_SK_SL_E_clIPySE_SF_SF_EESI_SY_SJ_SK_SL_EUlSY_E0_NS1_11comp_targetILNS1_3genE2ELNS1_11target_archE906ELNS1_3gpuE6ELNS1_3repE0EEENS1_38merge_mergepath_config_static_selectorELNS0_4arch9wavefront6targetE1EEEvSK_
	.p2align	8
	.type	_ZN7rocprim17ROCPRIM_400000_NS6detail17trampoline_kernelINS0_14default_configENS1_38merge_sort_block_merge_config_selectorIyNS0_10empty_typeEEEZZNS1_27merge_sort_block_merge_implIS3_N6thrust23THRUST_200600_302600_NS6detail15normal_iteratorINS9_10device_ptrIyEEEEPS5_m14custom_greaterIyEEE10hipError_tT0_T1_T2_jT3_P12ihipStream_tbPNSt15iterator_traitsISJ_E10value_typeEPNSP_ISK_E10value_typeEPSL_NS1_7vsmem_tEENKUlT_SJ_SK_SL_E_clIPySE_SF_SF_EESI_SY_SJ_SK_SL_EUlSY_E0_NS1_11comp_targetILNS1_3genE2ELNS1_11target_archE906ELNS1_3gpuE6ELNS1_3repE0EEENS1_38merge_mergepath_config_static_selectorELNS0_4arch9wavefront6targetE1EEEvSK_,@function
_ZN7rocprim17ROCPRIM_400000_NS6detail17trampoline_kernelINS0_14default_configENS1_38merge_sort_block_merge_config_selectorIyNS0_10empty_typeEEEZZNS1_27merge_sort_block_merge_implIS3_N6thrust23THRUST_200600_302600_NS6detail15normal_iteratorINS9_10device_ptrIyEEEEPS5_m14custom_greaterIyEEE10hipError_tT0_T1_T2_jT3_P12ihipStream_tbPNSt15iterator_traitsISJ_E10value_typeEPNSP_ISK_E10value_typeEPSL_NS1_7vsmem_tEENKUlT_SJ_SK_SL_E_clIPySE_SF_SF_EESI_SY_SJ_SK_SL_EUlSY_E0_NS1_11comp_targetILNS1_3genE2ELNS1_11target_archE906ELNS1_3gpuE6ELNS1_3repE0EEENS1_38merge_mergepath_config_static_selectorELNS0_4arch9wavefront6targetE1EEEvSK_: ; @_ZN7rocprim17ROCPRIM_400000_NS6detail17trampoline_kernelINS0_14default_configENS1_38merge_sort_block_merge_config_selectorIyNS0_10empty_typeEEEZZNS1_27merge_sort_block_merge_implIS3_N6thrust23THRUST_200600_302600_NS6detail15normal_iteratorINS9_10device_ptrIyEEEEPS5_m14custom_greaterIyEEE10hipError_tT0_T1_T2_jT3_P12ihipStream_tbPNSt15iterator_traitsISJ_E10value_typeEPNSP_ISK_E10value_typeEPSL_NS1_7vsmem_tEENKUlT_SJ_SK_SL_E_clIPySE_SF_SF_EESI_SY_SJ_SK_SL_EUlSY_E0_NS1_11comp_targetILNS1_3genE2ELNS1_11target_archE906ELNS1_3gpuE6ELNS1_3repE0EEENS1_38merge_mergepath_config_static_selectorELNS0_4arch9wavefront6targetE1EEEvSK_
; %bb.0:
	.section	.rodata,"a",@progbits
	.p2align	6, 0x0
	.amdhsa_kernel _ZN7rocprim17ROCPRIM_400000_NS6detail17trampoline_kernelINS0_14default_configENS1_38merge_sort_block_merge_config_selectorIyNS0_10empty_typeEEEZZNS1_27merge_sort_block_merge_implIS3_N6thrust23THRUST_200600_302600_NS6detail15normal_iteratorINS9_10device_ptrIyEEEEPS5_m14custom_greaterIyEEE10hipError_tT0_T1_T2_jT3_P12ihipStream_tbPNSt15iterator_traitsISJ_E10value_typeEPNSP_ISK_E10value_typeEPSL_NS1_7vsmem_tEENKUlT_SJ_SK_SL_E_clIPySE_SF_SF_EESI_SY_SJ_SK_SL_EUlSY_E0_NS1_11comp_targetILNS1_3genE2ELNS1_11target_archE906ELNS1_3gpuE6ELNS1_3repE0EEENS1_38merge_mergepath_config_static_selectorELNS0_4arch9wavefront6targetE1EEEvSK_
		.amdhsa_group_segment_fixed_size 0
		.amdhsa_private_segment_fixed_size 0
		.amdhsa_kernarg_size 72
		.amdhsa_user_sgpr_count 6
		.amdhsa_user_sgpr_private_segment_buffer 1
		.amdhsa_user_sgpr_dispatch_ptr 0
		.amdhsa_user_sgpr_queue_ptr 0
		.amdhsa_user_sgpr_kernarg_segment_ptr 1
		.amdhsa_user_sgpr_dispatch_id 0
		.amdhsa_user_sgpr_flat_scratch_init 0
		.amdhsa_user_sgpr_kernarg_preload_length 0
		.amdhsa_user_sgpr_kernarg_preload_offset 0
		.amdhsa_user_sgpr_private_segment_size 0
		.amdhsa_uses_dynamic_stack 0
		.amdhsa_system_sgpr_private_segment_wavefront_offset 0
		.amdhsa_system_sgpr_workgroup_id_x 1
		.amdhsa_system_sgpr_workgroup_id_y 0
		.amdhsa_system_sgpr_workgroup_id_z 0
		.amdhsa_system_sgpr_workgroup_info 0
		.amdhsa_system_vgpr_workitem_id 0
		.amdhsa_next_free_vgpr 1
		.amdhsa_next_free_sgpr 0
		.amdhsa_accum_offset 4
		.amdhsa_reserve_vcc 0
		.amdhsa_reserve_flat_scratch 0
		.amdhsa_float_round_mode_32 0
		.amdhsa_float_round_mode_16_64 0
		.amdhsa_float_denorm_mode_32 3
		.amdhsa_float_denorm_mode_16_64 3
		.amdhsa_dx10_clamp 1
		.amdhsa_ieee_mode 1
		.amdhsa_fp16_overflow 0
		.amdhsa_tg_split 0
		.amdhsa_exception_fp_ieee_invalid_op 0
		.amdhsa_exception_fp_denorm_src 0
		.amdhsa_exception_fp_ieee_div_zero 0
		.amdhsa_exception_fp_ieee_overflow 0
		.amdhsa_exception_fp_ieee_underflow 0
		.amdhsa_exception_fp_ieee_inexact 0
		.amdhsa_exception_int_div_zero 0
	.end_amdhsa_kernel
	.section	.text._ZN7rocprim17ROCPRIM_400000_NS6detail17trampoline_kernelINS0_14default_configENS1_38merge_sort_block_merge_config_selectorIyNS0_10empty_typeEEEZZNS1_27merge_sort_block_merge_implIS3_N6thrust23THRUST_200600_302600_NS6detail15normal_iteratorINS9_10device_ptrIyEEEEPS5_m14custom_greaterIyEEE10hipError_tT0_T1_T2_jT3_P12ihipStream_tbPNSt15iterator_traitsISJ_E10value_typeEPNSP_ISK_E10value_typeEPSL_NS1_7vsmem_tEENKUlT_SJ_SK_SL_E_clIPySE_SF_SF_EESI_SY_SJ_SK_SL_EUlSY_E0_NS1_11comp_targetILNS1_3genE2ELNS1_11target_archE906ELNS1_3gpuE6ELNS1_3repE0EEENS1_38merge_mergepath_config_static_selectorELNS0_4arch9wavefront6targetE1EEEvSK_,"axG",@progbits,_ZN7rocprim17ROCPRIM_400000_NS6detail17trampoline_kernelINS0_14default_configENS1_38merge_sort_block_merge_config_selectorIyNS0_10empty_typeEEEZZNS1_27merge_sort_block_merge_implIS3_N6thrust23THRUST_200600_302600_NS6detail15normal_iteratorINS9_10device_ptrIyEEEEPS5_m14custom_greaterIyEEE10hipError_tT0_T1_T2_jT3_P12ihipStream_tbPNSt15iterator_traitsISJ_E10value_typeEPNSP_ISK_E10value_typeEPSL_NS1_7vsmem_tEENKUlT_SJ_SK_SL_E_clIPySE_SF_SF_EESI_SY_SJ_SK_SL_EUlSY_E0_NS1_11comp_targetILNS1_3genE2ELNS1_11target_archE906ELNS1_3gpuE6ELNS1_3repE0EEENS1_38merge_mergepath_config_static_selectorELNS0_4arch9wavefront6targetE1EEEvSK_,comdat
.Lfunc_end3476:
	.size	_ZN7rocprim17ROCPRIM_400000_NS6detail17trampoline_kernelINS0_14default_configENS1_38merge_sort_block_merge_config_selectorIyNS0_10empty_typeEEEZZNS1_27merge_sort_block_merge_implIS3_N6thrust23THRUST_200600_302600_NS6detail15normal_iteratorINS9_10device_ptrIyEEEEPS5_m14custom_greaterIyEEE10hipError_tT0_T1_T2_jT3_P12ihipStream_tbPNSt15iterator_traitsISJ_E10value_typeEPNSP_ISK_E10value_typeEPSL_NS1_7vsmem_tEENKUlT_SJ_SK_SL_E_clIPySE_SF_SF_EESI_SY_SJ_SK_SL_EUlSY_E0_NS1_11comp_targetILNS1_3genE2ELNS1_11target_archE906ELNS1_3gpuE6ELNS1_3repE0EEENS1_38merge_mergepath_config_static_selectorELNS0_4arch9wavefront6targetE1EEEvSK_, .Lfunc_end3476-_ZN7rocprim17ROCPRIM_400000_NS6detail17trampoline_kernelINS0_14default_configENS1_38merge_sort_block_merge_config_selectorIyNS0_10empty_typeEEEZZNS1_27merge_sort_block_merge_implIS3_N6thrust23THRUST_200600_302600_NS6detail15normal_iteratorINS9_10device_ptrIyEEEEPS5_m14custom_greaterIyEEE10hipError_tT0_T1_T2_jT3_P12ihipStream_tbPNSt15iterator_traitsISJ_E10value_typeEPNSP_ISK_E10value_typeEPSL_NS1_7vsmem_tEENKUlT_SJ_SK_SL_E_clIPySE_SF_SF_EESI_SY_SJ_SK_SL_EUlSY_E0_NS1_11comp_targetILNS1_3genE2ELNS1_11target_archE906ELNS1_3gpuE6ELNS1_3repE0EEENS1_38merge_mergepath_config_static_selectorELNS0_4arch9wavefront6targetE1EEEvSK_
                                        ; -- End function
	.section	.AMDGPU.csdata,"",@progbits
; Kernel info:
; codeLenInByte = 0
; NumSgprs: 4
; NumVgprs: 0
; NumAgprs: 0
; TotalNumVgprs: 0
; ScratchSize: 0
; MemoryBound: 0
; FloatMode: 240
; IeeeMode: 1
; LDSByteSize: 0 bytes/workgroup (compile time only)
; SGPRBlocks: 0
; VGPRBlocks: 0
; NumSGPRsForWavesPerEU: 4
; NumVGPRsForWavesPerEU: 1
; AccumOffset: 4
; Occupancy: 8
; WaveLimiterHint : 0
; COMPUTE_PGM_RSRC2:SCRATCH_EN: 0
; COMPUTE_PGM_RSRC2:USER_SGPR: 6
; COMPUTE_PGM_RSRC2:TRAP_HANDLER: 0
; COMPUTE_PGM_RSRC2:TGID_X_EN: 1
; COMPUTE_PGM_RSRC2:TGID_Y_EN: 0
; COMPUTE_PGM_RSRC2:TGID_Z_EN: 0
; COMPUTE_PGM_RSRC2:TIDIG_COMP_CNT: 0
; COMPUTE_PGM_RSRC3_GFX90A:ACCUM_OFFSET: 0
; COMPUTE_PGM_RSRC3_GFX90A:TG_SPLIT: 0
	.section	.text._ZN7rocprim17ROCPRIM_400000_NS6detail17trampoline_kernelINS0_14default_configENS1_38merge_sort_block_merge_config_selectorIyNS0_10empty_typeEEEZZNS1_27merge_sort_block_merge_implIS3_N6thrust23THRUST_200600_302600_NS6detail15normal_iteratorINS9_10device_ptrIyEEEEPS5_m14custom_greaterIyEEE10hipError_tT0_T1_T2_jT3_P12ihipStream_tbPNSt15iterator_traitsISJ_E10value_typeEPNSP_ISK_E10value_typeEPSL_NS1_7vsmem_tEENKUlT_SJ_SK_SL_E_clIPySE_SF_SF_EESI_SY_SJ_SK_SL_EUlSY_E0_NS1_11comp_targetILNS1_3genE9ELNS1_11target_archE1100ELNS1_3gpuE3ELNS1_3repE0EEENS1_38merge_mergepath_config_static_selectorELNS0_4arch9wavefront6targetE1EEEvSK_,"axG",@progbits,_ZN7rocprim17ROCPRIM_400000_NS6detail17trampoline_kernelINS0_14default_configENS1_38merge_sort_block_merge_config_selectorIyNS0_10empty_typeEEEZZNS1_27merge_sort_block_merge_implIS3_N6thrust23THRUST_200600_302600_NS6detail15normal_iteratorINS9_10device_ptrIyEEEEPS5_m14custom_greaterIyEEE10hipError_tT0_T1_T2_jT3_P12ihipStream_tbPNSt15iterator_traitsISJ_E10value_typeEPNSP_ISK_E10value_typeEPSL_NS1_7vsmem_tEENKUlT_SJ_SK_SL_E_clIPySE_SF_SF_EESI_SY_SJ_SK_SL_EUlSY_E0_NS1_11comp_targetILNS1_3genE9ELNS1_11target_archE1100ELNS1_3gpuE3ELNS1_3repE0EEENS1_38merge_mergepath_config_static_selectorELNS0_4arch9wavefront6targetE1EEEvSK_,comdat
	.protected	_ZN7rocprim17ROCPRIM_400000_NS6detail17trampoline_kernelINS0_14default_configENS1_38merge_sort_block_merge_config_selectorIyNS0_10empty_typeEEEZZNS1_27merge_sort_block_merge_implIS3_N6thrust23THRUST_200600_302600_NS6detail15normal_iteratorINS9_10device_ptrIyEEEEPS5_m14custom_greaterIyEEE10hipError_tT0_T1_T2_jT3_P12ihipStream_tbPNSt15iterator_traitsISJ_E10value_typeEPNSP_ISK_E10value_typeEPSL_NS1_7vsmem_tEENKUlT_SJ_SK_SL_E_clIPySE_SF_SF_EESI_SY_SJ_SK_SL_EUlSY_E0_NS1_11comp_targetILNS1_3genE9ELNS1_11target_archE1100ELNS1_3gpuE3ELNS1_3repE0EEENS1_38merge_mergepath_config_static_selectorELNS0_4arch9wavefront6targetE1EEEvSK_ ; -- Begin function _ZN7rocprim17ROCPRIM_400000_NS6detail17trampoline_kernelINS0_14default_configENS1_38merge_sort_block_merge_config_selectorIyNS0_10empty_typeEEEZZNS1_27merge_sort_block_merge_implIS3_N6thrust23THRUST_200600_302600_NS6detail15normal_iteratorINS9_10device_ptrIyEEEEPS5_m14custom_greaterIyEEE10hipError_tT0_T1_T2_jT3_P12ihipStream_tbPNSt15iterator_traitsISJ_E10value_typeEPNSP_ISK_E10value_typeEPSL_NS1_7vsmem_tEENKUlT_SJ_SK_SL_E_clIPySE_SF_SF_EESI_SY_SJ_SK_SL_EUlSY_E0_NS1_11comp_targetILNS1_3genE9ELNS1_11target_archE1100ELNS1_3gpuE3ELNS1_3repE0EEENS1_38merge_mergepath_config_static_selectorELNS0_4arch9wavefront6targetE1EEEvSK_
	.globl	_ZN7rocprim17ROCPRIM_400000_NS6detail17trampoline_kernelINS0_14default_configENS1_38merge_sort_block_merge_config_selectorIyNS0_10empty_typeEEEZZNS1_27merge_sort_block_merge_implIS3_N6thrust23THRUST_200600_302600_NS6detail15normal_iteratorINS9_10device_ptrIyEEEEPS5_m14custom_greaterIyEEE10hipError_tT0_T1_T2_jT3_P12ihipStream_tbPNSt15iterator_traitsISJ_E10value_typeEPNSP_ISK_E10value_typeEPSL_NS1_7vsmem_tEENKUlT_SJ_SK_SL_E_clIPySE_SF_SF_EESI_SY_SJ_SK_SL_EUlSY_E0_NS1_11comp_targetILNS1_3genE9ELNS1_11target_archE1100ELNS1_3gpuE3ELNS1_3repE0EEENS1_38merge_mergepath_config_static_selectorELNS0_4arch9wavefront6targetE1EEEvSK_
	.p2align	8
	.type	_ZN7rocprim17ROCPRIM_400000_NS6detail17trampoline_kernelINS0_14default_configENS1_38merge_sort_block_merge_config_selectorIyNS0_10empty_typeEEEZZNS1_27merge_sort_block_merge_implIS3_N6thrust23THRUST_200600_302600_NS6detail15normal_iteratorINS9_10device_ptrIyEEEEPS5_m14custom_greaterIyEEE10hipError_tT0_T1_T2_jT3_P12ihipStream_tbPNSt15iterator_traitsISJ_E10value_typeEPNSP_ISK_E10value_typeEPSL_NS1_7vsmem_tEENKUlT_SJ_SK_SL_E_clIPySE_SF_SF_EESI_SY_SJ_SK_SL_EUlSY_E0_NS1_11comp_targetILNS1_3genE9ELNS1_11target_archE1100ELNS1_3gpuE3ELNS1_3repE0EEENS1_38merge_mergepath_config_static_selectorELNS0_4arch9wavefront6targetE1EEEvSK_,@function
_ZN7rocprim17ROCPRIM_400000_NS6detail17trampoline_kernelINS0_14default_configENS1_38merge_sort_block_merge_config_selectorIyNS0_10empty_typeEEEZZNS1_27merge_sort_block_merge_implIS3_N6thrust23THRUST_200600_302600_NS6detail15normal_iteratorINS9_10device_ptrIyEEEEPS5_m14custom_greaterIyEEE10hipError_tT0_T1_T2_jT3_P12ihipStream_tbPNSt15iterator_traitsISJ_E10value_typeEPNSP_ISK_E10value_typeEPSL_NS1_7vsmem_tEENKUlT_SJ_SK_SL_E_clIPySE_SF_SF_EESI_SY_SJ_SK_SL_EUlSY_E0_NS1_11comp_targetILNS1_3genE9ELNS1_11target_archE1100ELNS1_3gpuE3ELNS1_3repE0EEENS1_38merge_mergepath_config_static_selectorELNS0_4arch9wavefront6targetE1EEEvSK_: ; @_ZN7rocprim17ROCPRIM_400000_NS6detail17trampoline_kernelINS0_14default_configENS1_38merge_sort_block_merge_config_selectorIyNS0_10empty_typeEEEZZNS1_27merge_sort_block_merge_implIS3_N6thrust23THRUST_200600_302600_NS6detail15normal_iteratorINS9_10device_ptrIyEEEEPS5_m14custom_greaterIyEEE10hipError_tT0_T1_T2_jT3_P12ihipStream_tbPNSt15iterator_traitsISJ_E10value_typeEPNSP_ISK_E10value_typeEPSL_NS1_7vsmem_tEENKUlT_SJ_SK_SL_E_clIPySE_SF_SF_EESI_SY_SJ_SK_SL_EUlSY_E0_NS1_11comp_targetILNS1_3genE9ELNS1_11target_archE1100ELNS1_3gpuE3ELNS1_3repE0EEENS1_38merge_mergepath_config_static_selectorELNS0_4arch9wavefront6targetE1EEEvSK_
; %bb.0:
	.section	.rodata,"a",@progbits
	.p2align	6, 0x0
	.amdhsa_kernel _ZN7rocprim17ROCPRIM_400000_NS6detail17trampoline_kernelINS0_14default_configENS1_38merge_sort_block_merge_config_selectorIyNS0_10empty_typeEEEZZNS1_27merge_sort_block_merge_implIS3_N6thrust23THRUST_200600_302600_NS6detail15normal_iteratorINS9_10device_ptrIyEEEEPS5_m14custom_greaterIyEEE10hipError_tT0_T1_T2_jT3_P12ihipStream_tbPNSt15iterator_traitsISJ_E10value_typeEPNSP_ISK_E10value_typeEPSL_NS1_7vsmem_tEENKUlT_SJ_SK_SL_E_clIPySE_SF_SF_EESI_SY_SJ_SK_SL_EUlSY_E0_NS1_11comp_targetILNS1_3genE9ELNS1_11target_archE1100ELNS1_3gpuE3ELNS1_3repE0EEENS1_38merge_mergepath_config_static_selectorELNS0_4arch9wavefront6targetE1EEEvSK_
		.amdhsa_group_segment_fixed_size 0
		.amdhsa_private_segment_fixed_size 0
		.amdhsa_kernarg_size 72
		.amdhsa_user_sgpr_count 6
		.amdhsa_user_sgpr_private_segment_buffer 1
		.amdhsa_user_sgpr_dispatch_ptr 0
		.amdhsa_user_sgpr_queue_ptr 0
		.amdhsa_user_sgpr_kernarg_segment_ptr 1
		.amdhsa_user_sgpr_dispatch_id 0
		.amdhsa_user_sgpr_flat_scratch_init 0
		.amdhsa_user_sgpr_kernarg_preload_length 0
		.amdhsa_user_sgpr_kernarg_preload_offset 0
		.amdhsa_user_sgpr_private_segment_size 0
		.amdhsa_uses_dynamic_stack 0
		.amdhsa_system_sgpr_private_segment_wavefront_offset 0
		.amdhsa_system_sgpr_workgroup_id_x 1
		.amdhsa_system_sgpr_workgroup_id_y 0
		.amdhsa_system_sgpr_workgroup_id_z 0
		.amdhsa_system_sgpr_workgroup_info 0
		.amdhsa_system_vgpr_workitem_id 0
		.amdhsa_next_free_vgpr 1
		.amdhsa_next_free_sgpr 0
		.amdhsa_accum_offset 4
		.amdhsa_reserve_vcc 0
		.amdhsa_reserve_flat_scratch 0
		.amdhsa_float_round_mode_32 0
		.amdhsa_float_round_mode_16_64 0
		.amdhsa_float_denorm_mode_32 3
		.amdhsa_float_denorm_mode_16_64 3
		.amdhsa_dx10_clamp 1
		.amdhsa_ieee_mode 1
		.amdhsa_fp16_overflow 0
		.amdhsa_tg_split 0
		.amdhsa_exception_fp_ieee_invalid_op 0
		.amdhsa_exception_fp_denorm_src 0
		.amdhsa_exception_fp_ieee_div_zero 0
		.amdhsa_exception_fp_ieee_overflow 0
		.amdhsa_exception_fp_ieee_underflow 0
		.amdhsa_exception_fp_ieee_inexact 0
		.amdhsa_exception_int_div_zero 0
	.end_amdhsa_kernel
	.section	.text._ZN7rocprim17ROCPRIM_400000_NS6detail17trampoline_kernelINS0_14default_configENS1_38merge_sort_block_merge_config_selectorIyNS0_10empty_typeEEEZZNS1_27merge_sort_block_merge_implIS3_N6thrust23THRUST_200600_302600_NS6detail15normal_iteratorINS9_10device_ptrIyEEEEPS5_m14custom_greaterIyEEE10hipError_tT0_T1_T2_jT3_P12ihipStream_tbPNSt15iterator_traitsISJ_E10value_typeEPNSP_ISK_E10value_typeEPSL_NS1_7vsmem_tEENKUlT_SJ_SK_SL_E_clIPySE_SF_SF_EESI_SY_SJ_SK_SL_EUlSY_E0_NS1_11comp_targetILNS1_3genE9ELNS1_11target_archE1100ELNS1_3gpuE3ELNS1_3repE0EEENS1_38merge_mergepath_config_static_selectorELNS0_4arch9wavefront6targetE1EEEvSK_,"axG",@progbits,_ZN7rocprim17ROCPRIM_400000_NS6detail17trampoline_kernelINS0_14default_configENS1_38merge_sort_block_merge_config_selectorIyNS0_10empty_typeEEEZZNS1_27merge_sort_block_merge_implIS3_N6thrust23THRUST_200600_302600_NS6detail15normal_iteratorINS9_10device_ptrIyEEEEPS5_m14custom_greaterIyEEE10hipError_tT0_T1_T2_jT3_P12ihipStream_tbPNSt15iterator_traitsISJ_E10value_typeEPNSP_ISK_E10value_typeEPSL_NS1_7vsmem_tEENKUlT_SJ_SK_SL_E_clIPySE_SF_SF_EESI_SY_SJ_SK_SL_EUlSY_E0_NS1_11comp_targetILNS1_3genE9ELNS1_11target_archE1100ELNS1_3gpuE3ELNS1_3repE0EEENS1_38merge_mergepath_config_static_selectorELNS0_4arch9wavefront6targetE1EEEvSK_,comdat
.Lfunc_end3477:
	.size	_ZN7rocprim17ROCPRIM_400000_NS6detail17trampoline_kernelINS0_14default_configENS1_38merge_sort_block_merge_config_selectorIyNS0_10empty_typeEEEZZNS1_27merge_sort_block_merge_implIS3_N6thrust23THRUST_200600_302600_NS6detail15normal_iteratorINS9_10device_ptrIyEEEEPS5_m14custom_greaterIyEEE10hipError_tT0_T1_T2_jT3_P12ihipStream_tbPNSt15iterator_traitsISJ_E10value_typeEPNSP_ISK_E10value_typeEPSL_NS1_7vsmem_tEENKUlT_SJ_SK_SL_E_clIPySE_SF_SF_EESI_SY_SJ_SK_SL_EUlSY_E0_NS1_11comp_targetILNS1_3genE9ELNS1_11target_archE1100ELNS1_3gpuE3ELNS1_3repE0EEENS1_38merge_mergepath_config_static_selectorELNS0_4arch9wavefront6targetE1EEEvSK_, .Lfunc_end3477-_ZN7rocprim17ROCPRIM_400000_NS6detail17trampoline_kernelINS0_14default_configENS1_38merge_sort_block_merge_config_selectorIyNS0_10empty_typeEEEZZNS1_27merge_sort_block_merge_implIS3_N6thrust23THRUST_200600_302600_NS6detail15normal_iteratorINS9_10device_ptrIyEEEEPS5_m14custom_greaterIyEEE10hipError_tT0_T1_T2_jT3_P12ihipStream_tbPNSt15iterator_traitsISJ_E10value_typeEPNSP_ISK_E10value_typeEPSL_NS1_7vsmem_tEENKUlT_SJ_SK_SL_E_clIPySE_SF_SF_EESI_SY_SJ_SK_SL_EUlSY_E0_NS1_11comp_targetILNS1_3genE9ELNS1_11target_archE1100ELNS1_3gpuE3ELNS1_3repE0EEENS1_38merge_mergepath_config_static_selectorELNS0_4arch9wavefront6targetE1EEEvSK_
                                        ; -- End function
	.section	.AMDGPU.csdata,"",@progbits
; Kernel info:
; codeLenInByte = 0
; NumSgprs: 4
; NumVgprs: 0
; NumAgprs: 0
; TotalNumVgprs: 0
; ScratchSize: 0
; MemoryBound: 0
; FloatMode: 240
; IeeeMode: 1
; LDSByteSize: 0 bytes/workgroup (compile time only)
; SGPRBlocks: 0
; VGPRBlocks: 0
; NumSGPRsForWavesPerEU: 4
; NumVGPRsForWavesPerEU: 1
; AccumOffset: 4
; Occupancy: 8
; WaveLimiterHint : 0
; COMPUTE_PGM_RSRC2:SCRATCH_EN: 0
; COMPUTE_PGM_RSRC2:USER_SGPR: 6
; COMPUTE_PGM_RSRC2:TRAP_HANDLER: 0
; COMPUTE_PGM_RSRC2:TGID_X_EN: 1
; COMPUTE_PGM_RSRC2:TGID_Y_EN: 0
; COMPUTE_PGM_RSRC2:TGID_Z_EN: 0
; COMPUTE_PGM_RSRC2:TIDIG_COMP_CNT: 0
; COMPUTE_PGM_RSRC3_GFX90A:ACCUM_OFFSET: 0
; COMPUTE_PGM_RSRC3_GFX90A:TG_SPLIT: 0
	.section	.text._ZN7rocprim17ROCPRIM_400000_NS6detail17trampoline_kernelINS0_14default_configENS1_38merge_sort_block_merge_config_selectorIyNS0_10empty_typeEEEZZNS1_27merge_sort_block_merge_implIS3_N6thrust23THRUST_200600_302600_NS6detail15normal_iteratorINS9_10device_ptrIyEEEEPS5_m14custom_greaterIyEEE10hipError_tT0_T1_T2_jT3_P12ihipStream_tbPNSt15iterator_traitsISJ_E10value_typeEPNSP_ISK_E10value_typeEPSL_NS1_7vsmem_tEENKUlT_SJ_SK_SL_E_clIPySE_SF_SF_EESI_SY_SJ_SK_SL_EUlSY_E0_NS1_11comp_targetILNS1_3genE8ELNS1_11target_archE1030ELNS1_3gpuE2ELNS1_3repE0EEENS1_38merge_mergepath_config_static_selectorELNS0_4arch9wavefront6targetE1EEEvSK_,"axG",@progbits,_ZN7rocprim17ROCPRIM_400000_NS6detail17trampoline_kernelINS0_14default_configENS1_38merge_sort_block_merge_config_selectorIyNS0_10empty_typeEEEZZNS1_27merge_sort_block_merge_implIS3_N6thrust23THRUST_200600_302600_NS6detail15normal_iteratorINS9_10device_ptrIyEEEEPS5_m14custom_greaterIyEEE10hipError_tT0_T1_T2_jT3_P12ihipStream_tbPNSt15iterator_traitsISJ_E10value_typeEPNSP_ISK_E10value_typeEPSL_NS1_7vsmem_tEENKUlT_SJ_SK_SL_E_clIPySE_SF_SF_EESI_SY_SJ_SK_SL_EUlSY_E0_NS1_11comp_targetILNS1_3genE8ELNS1_11target_archE1030ELNS1_3gpuE2ELNS1_3repE0EEENS1_38merge_mergepath_config_static_selectorELNS0_4arch9wavefront6targetE1EEEvSK_,comdat
	.protected	_ZN7rocprim17ROCPRIM_400000_NS6detail17trampoline_kernelINS0_14default_configENS1_38merge_sort_block_merge_config_selectorIyNS0_10empty_typeEEEZZNS1_27merge_sort_block_merge_implIS3_N6thrust23THRUST_200600_302600_NS6detail15normal_iteratorINS9_10device_ptrIyEEEEPS5_m14custom_greaterIyEEE10hipError_tT0_T1_T2_jT3_P12ihipStream_tbPNSt15iterator_traitsISJ_E10value_typeEPNSP_ISK_E10value_typeEPSL_NS1_7vsmem_tEENKUlT_SJ_SK_SL_E_clIPySE_SF_SF_EESI_SY_SJ_SK_SL_EUlSY_E0_NS1_11comp_targetILNS1_3genE8ELNS1_11target_archE1030ELNS1_3gpuE2ELNS1_3repE0EEENS1_38merge_mergepath_config_static_selectorELNS0_4arch9wavefront6targetE1EEEvSK_ ; -- Begin function _ZN7rocprim17ROCPRIM_400000_NS6detail17trampoline_kernelINS0_14default_configENS1_38merge_sort_block_merge_config_selectorIyNS0_10empty_typeEEEZZNS1_27merge_sort_block_merge_implIS3_N6thrust23THRUST_200600_302600_NS6detail15normal_iteratorINS9_10device_ptrIyEEEEPS5_m14custom_greaterIyEEE10hipError_tT0_T1_T2_jT3_P12ihipStream_tbPNSt15iterator_traitsISJ_E10value_typeEPNSP_ISK_E10value_typeEPSL_NS1_7vsmem_tEENKUlT_SJ_SK_SL_E_clIPySE_SF_SF_EESI_SY_SJ_SK_SL_EUlSY_E0_NS1_11comp_targetILNS1_3genE8ELNS1_11target_archE1030ELNS1_3gpuE2ELNS1_3repE0EEENS1_38merge_mergepath_config_static_selectorELNS0_4arch9wavefront6targetE1EEEvSK_
	.globl	_ZN7rocprim17ROCPRIM_400000_NS6detail17trampoline_kernelINS0_14default_configENS1_38merge_sort_block_merge_config_selectorIyNS0_10empty_typeEEEZZNS1_27merge_sort_block_merge_implIS3_N6thrust23THRUST_200600_302600_NS6detail15normal_iteratorINS9_10device_ptrIyEEEEPS5_m14custom_greaterIyEEE10hipError_tT0_T1_T2_jT3_P12ihipStream_tbPNSt15iterator_traitsISJ_E10value_typeEPNSP_ISK_E10value_typeEPSL_NS1_7vsmem_tEENKUlT_SJ_SK_SL_E_clIPySE_SF_SF_EESI_SY_SJ_SK_SL_EUlSY_E0_NS1_11comp_targetILNS1_3genE8ELNS1_11target_archE1030ELNS1_3gpuE2ELNS1_3repE0EEENS1_38merge_mergepath_config_static_selectorELNS0_4arch9wavefront6targetE1EEEvSK_
	.p2align	8
	.type	_ZN7rocprim17ROCPRIM_400000_NS6detail17trampoline_kernelINS0_14default_configENS1_38merge_sort_block_merge_config_selectorIyNS0_10empty_typeEEEZZNS1_27merge_sort_block_merge_implIS3_N6thrust23THRUST_200600_302600_NS6detail15normal_iteratorINS9_10device_ptrIyEEEEPS5_m14custom_greaterIyEEE10hipError_tT0_T1_T2_jT3_P12ihipStream_tbPNSt15iterator_traitsISJ_E10value_typeEPNSP_ISK_E10value_typeEPSL_NS1_7vsmem_tEENKUlT_SJ_SK_SL_E_clIPySE_SF_SF_EESI_SY_SJ_SK_SL_EUlSY_E0_NS1_11comp_targetILNS1_3genE8ELNS1_11target_archE1030ELNS1_3gpuE2ELNS1_3repE0EEENS1_38merge_mergepath_config_static_selectorELNS0_4arch9wavefront6targetE1EEEvSK_,@function
_ZN7rocprim17ROCPRIM_400000_NS6detail17trampoline_kernelINS0_14default_configENS1_38merge_sort_block_merge_config_selectorIyNS0_10empty_typeEEEZZNS1_27merge_sort_block_merge_implIS3_N6thrust23THRUST_200600_302600_NS6detail15normal_iteratorINS9_10device_ptrIyEEEEPS5_m14custom_greaterIyEEE10hipError_tT0_T1_T2_jT3_P12ihipStream_tbPNSt15iterator_traitsISJ_E10value_typeEPNSP_ISK_E10value_typeEPSL_NS1_7vsmem_tEENKUlT_SJ_SK_SL_E_clIPySE_SF_SF_EESI_SY_SJ_SK_SL_EUlSY_E0_NS1_11comp_targetILNS1_3genE8ELNS1_11target_archE1030ELNS1_3gpuE2ELNS1_3repE0EEENS1_38merge_mergepath_config_static_selectorELNS0_4arch9wavefront6targetE1EEEvSK_: ; @_ZN7rocprim17ROCPRIM_400000_NS6detail17trampoline_kernelINS0_14default_configENS1_38merge_sort_block_merge_config_selectorIyNS0_10empty_typeEEEZZNS1_27merge_sort_block_merge_implIS3_N6thrust23THRUST_200600_302600_NS6detail15normal_iteratorINS9_10device_ptrIyEEEEPS5_m14custom_greaterIyEEE10hipError_tT0_T1_T2_jT3_P12ihipStream_tbPNSt15iterator_traitsISJ_E10value_typeEPNSP_ISK_E10value_typeEPSL_NS1_7vsmem_tEENKUlT_SJ_SK_SL_E_clIPySE_SF_SF_EESI_SY_SJ_SK_SL_EUlSY_E0_NS1_11comp_targetILNS1_3genE8ELNS1_11target_archE1030ELNS1_3gpuE2ELNS1_3repE0EEENS1_38merge_mergepath_config_static_selectorELNS0_4arch9wavefront6targetE1EEEvSK_
; %bb.0:
	.section	.rodata,"a",@progbits
	.p2align	6, 0x0
	.amdhsa_kernel _ZN7rocprim17ROCPRIM_400000_NS6detail17trampoline_kernelINS0_14default_configENS1_38merge_sort_block_merge_config_selectorIyNS0_10empty_typeEEEZZNS1_27merge_sort_block_merge_implIS3_N6thrust23THRUST_200600_302600_NS6detail15normal_iteratorINS9_10device_ptrIyEEEEPS5_m14custom_greaterIyEEE10hipError_tT0_T1_T2_jT3_P12ihipStream_tbPNSt15iterator_traitsISJ_E10value_typeEPNSP_ISK_E10value_typeEPSL_NS1_7vsmem_tEENKUlT_SJ_SK_SL_E_clIPySE_SF_SF_EESI_SY_SJ_SK_SL_EUlSY_E0_NS1_11comp_targetILNS1_3genE8ELNS1_11target_archE1030ELNS1_3gpuE2ELNS1_3repE0EEENS1_38merge_mergepath_config_static_selectorELNS0_4arch9wavefront6targetE1EEEvSK_
		.amdhsa_group_segment_fixed_size 0
		.amdhsa_private_segment_fixed_size 0
		.amdhsa_kernarg_size 72
		.amdhsa_user_sgpr_count 6
		.amdhsa_user_sgpr_private_segment_buffer 1
		.amdhsa_user_sgpr_dispatch_ptr 0
		.amdhsa_user_sgpr_queue_ptr 0
		.amdhsa_user_sgpr_kernarg_segment_ptr 1
		.amdhsa_user_sgpr_dispatch_id 0
		.amdhsa_user_sgpr_flat_scratch_init 0
		.amdhsa_user_sgpr_kernarg_preload_length 0
		.amdhsa_user_sgpr_kernarg_preload_offset 0
		.amdhsa_user_sgpr_private_segment_size 0
		.amdhsa_uses_dynamic_stack 0
		.amdhsa_system_sgpr_private_segment_wavefront_offset 0
		.amdhsa_system_sgpr_workgroup_id_x 1
		.amdhsa_system_sgpr_workgroup_id_y 0
		.amdhsa_system_sgpr_workgroup_id_z 0
		.amdhsa_system_sgpr_workgroup_info 0
		.amdhsa_system_vgpr_workitem_id 0
		.amdhsa_next_free_vgpr 1
		.amdhsa_next_free_sgpr 0
		.amdhsa_accum_offset 4
		.amdhsa_reserve_vcc 0
		.amdhsa_reserve_flat_scratch 0
		.amdhsa_float_round_mode_32 0
		.amdhsa_float_round_mode_16_64 0
		.amdhsa_float_denorm_mode_32 3
		.amdhsa_float_denorm_mode_16_64 3
		.amdhsa_dx10_clamp 1
		.amdhsa_ieee_mode 1
		.amdhsa_fp16_overflow 0
		.amdhsa_tg_split 0
		.amdhsa_exception_fp_ieee_invalid_op 0
		.amdhsa_exception_fp_denorm_src 0
		.amdhsa_exception_fp_ieee_div_zero 0
		.amdhsa_exception_fp_ieee_overflow 0
		.amdhsa_exception_fp_ieee_underflow 0
		.amdhsa_exception_fp_ieee_inexact 0
		.amdhsa_exception_int_div_zero 0
	.end_amdhsa_kernel
	.section	.text._ZN7rocprim17ROCPRIM_400000_NS6detail17trampoline_kernelINS0_14default_configENS1_38merge_sort_block_merge_config_selectorIyNS0_10empty_typeEEEZZNS1_27merge_sort_block_merge_implIS3_N6thrust23THRUST_200600_302600_NS6detail15normal_iteratorINS9_10device_ptrIyEEEEPS5_m14custom_greaterIyEEE10hipError_tT0_T1_T2_jT3_P12ihipStream_tbPNSt15iterator_traitsISJ_E10value_typeEPNSP_ISK_E10value_typeEPSL_NS1_7vsmem_tEENKUlT_SJ_SK_SL_E_clIPySE_SF_SF_EESI_SY_SJ_SK_SL_EUlSY_E0_NS1_11comp_targetILNS1_3genE8ELNS1_11target_archE1030ELNS1_3gpuE2ELNS1_3repE0EEENS1_38merge_mergepath_config_static_selectorELNS0_4arch9wavefront6targetE1EEEvSK_,"axG",@progbits,_ZN7rocprim17ROCPRIM_400000_NS6detail17trampoline_kernelINS0_14default_configENS1_38merge_sort_block_merge_config_selectorIyNS0_10empty_typeEEEZZNS1_27merge_sort_block_merge_implIS3_N6thrust23THRUST_200600_302600_NS6detail15normal_iteratorINS9_10device_ptrIyEEEEPS5_m14custom_greaterIyEEE10hipError_tT0_T1_T2_jT3_P12ihipStream_tbPNSt15iterator_traitsISJ_E10value_typeEPNSP_ISK_E10value_typeEPSL_NS1_7vsmem_tEENKUlT_SJ_SK_SL_E_clIPySE_SF_SF_EESI_SY_SJ_SK_SL_EUlSY_E0_NS1_11comp_targetILNS1_3genE8ELNS1_11target_archE1030ELNS1_3gpuE2ELNS1_3repE0EEENS1_38merge_mergepath_config_static_selectorELNS0_4arch9wavefront6targetE1EEEvSK_,comdat
.Lfunc_end3478:
	.size	_ZN7rocprim17ROCPRIM_400000_NS6detail17trampoline_kernelINS0_14default_configENS1_38merge_sort_block_merge_config_selectorIyNS0_10empty_typeEEEZZNS1_27merge_sort_block_merge_implIS3_N6thrust23THRUST_200600_302600_NS6detail15normal_iteratorINS9_10device_ptrIyEEEEPS5_m14custom_greaterIyEEE10hipError_tT0_T1_T2_jT3_P12ihipStream_tbPNSt15iterator_traitsISJ_E10value_typeEPNSP_ISK_E10value_typeEPSL_NS1_7vsmem_tEENKUlT_SJ_SK_SL_E_clIPySE_SF_SF_EESI_SY_SJ_SK_SL_EUlSY_E0_NS1_11comp_targetILNS1_3genE8ELNS1_11target_archE1030ELNS1_3gpuE2ELNS1_3repE0EEENS1_38merge_mergepath_config_static_selectorELNS0_4arch9wavefront6targetE1EEEvSK_, .Lfunc_end3478-_ZN7rocprim17ROCPRIM_400000_NS6detail17trampoline_kernelINS0_14default_configENS1_38merge_sort_block_merge_config_selectorIyNS0_10empty_typeEEEZZNS1_27merge_sort_block_merge_implIS3_N6thrust23THRUST_200600_302600_NS6detail15normal_iteratorINS9_10device_ptrIyEEEEPS5_m14custom_greaterIyEEE10hipError_tT0_T1_T2_jT3_P12ihipStream_tbPNSt15iterator_traitsISJ_E10value_typeEPNSP_ISK_E10value_typeEPSL_NS1_7vsmem_tEENKUlT_SJ_SK_SL_E_clIPySE_SF_SF_EESI_SY_SJ_SK_SL_EUlSY_E0_NS1_11comp_targetILNS1_3genE8ELNS1_11target_archE1030ELNS1_3gpuE2ELNS1_3repE0EEENS1_38merge_mergepath_config_static_selectorELNS0_4arch9wavefront6targetE1EEEvSK_
                                        ; -- End function
	.section	.AMDGPU.csdata,"",@progbits
; Kernel info:
; codeLenInByte = 0
; NumSgprs: 4
; NumVgprs: 0
; NumAgprs: 0
; TotalNumVgprs: 0
; ScratchSize: 0
; MemoryBound: 0
; FloatMode: 240
; IeeeMode: 1
; LDSByteSize: 0 bytes/workgroup (compile time only)
; SGPRBlocks: 0
; VGPRBlocks: 0
; NumSGPRsForWavesPerEU: 4
; NumVGPRsForWavesPerEU: 1
; AccumOffset: 4
; Occupancy: 8
; WaveLimiterHint : 0
; COMPUTE_PGM_RSRC2:SCRATCH_EN: 0
; COMPUTE_PGM_RSRC2:USER_SGPR: 6
; COMPUTE_PGM_RSRC2:TRAP_HANDLER: 0
; COMPUTE_PGM_RSRC2:TGID_X_EN: 1
; COMPUTE_PGM_RSRC2:TGID_Y_EN: 0
; COMPUTE_PGM_RSRC2:TGID_Z_EN: 0
; COMPUTE_PGM_RSRC2:TIDIG_COMP_CNT: 0
; COMPUTE_PGM_RSRC3_GFX90A:ACCUM_OFFSET: 0
; COMPUTE_PGM_RSRC3_GFX90A:TG_SPLIT: 0
	.section	.text._ZN7rocprim17ROCPRIM_400000_NS6detail17trampoline_kernelINS0_14default_configENS1_38merge_sort_block_merge_config_selectorIyNS0_10empty_typeEEEZZNS1_27merge_sort_block_merge_implIS3_N6thrust23THRUST_200600_302600_NS6detail15normal_iteratorINS9_10device_ptrIyEEEEPS5_m14custom_greaterIyEEE10hipError_tT0_T1_T2_jT3_P12ihipStream_tbPNSt15iterator_traitsISJ_E10value_typeEPNSP_ISK_E10value_typeEPSL_NS1_7vsmem_tEENKUlT_SJ_SK_SL_E_clIPySE_SF_SF_EESI_SY_SJ_SK_SL_EUlSY_E1_NS1_11comp_targetILNS1_3genE0ELNS1_11target_archE4294967295ELNS1_3gpuE0ELNS1_3repE0EEENS1_36merge_oddeven_config_static_selectorELNS0_4arch9wavefront6targetE1EEEvSK_,"axG",@progbits,_ZN7rocprim17ROCPRIM_400000_NS6detail17trampoline_kernelINS0_14default_configENS1_38merge_sort_block_merge_config_selectorIyNS0_10empty_typeEEEZZNS1_27merge_sort_block_merge_implIS3_N6thrust23THRUST_200600_302600_NS6detail15normal_iteratorINS9_10device_ptrIyEEEEPS5_m14custom_greaterIyEEE10hipError_tT0_T1_T2_jT3_P12ihipStream_tbPNSt15iterator_traitsISJ_E10value_typeEPNSP_ISK_E10value_typeEPSL_NS1_7vsmem_tEENKUlT_SJ_SK_SL_E_clIPySE_SF_SF_EESI_SY_SJ_SK_SL_EUlSY_E1_NS1_11comp_targetILNS1_3genE0ELNS1_11target_archE4294967295ELNS1_3gpuE0ELNS1_3repE0EEENS1_36merge_oddeven_config_static_selectorELNS0_4arch9wavefront6targetE1EEEvSK_,comdat
	.protected	_ZN7rocprim17ROCPRIM_400000_NS6detail17trampoline_kernelINS0_14default_configENS1_38merge_sort_block_merge_config_selectorIyNS0_10empty_typeEEEZZNS1_27merge_sort_block_merge_implIS3_N6thrust23THRUST_200600_302600_NS6detail15normal_iteratorINS9_10device_ptrIyEEEEPS5_m14custom_greaterIyEEE10hipError_tT0_T1_T2_jT3_P12ihipStream_tbPNSt15iterator_traitsISJ_E10value_typeEPNSP_ISK_E10value_typeEPSL_NS1_7vsmem_tEENKUlT_SJ_SK_SL_E_clIPySE_SF_SF_EESI_SY_SJ_SK_SL_EUlSY_E1_NS1_11comp_targetILNS1_3genE0ELNS1_11target_archE4294967295ELNS1_3gpuE0ELNS1_3repE0EEENS1_36merge_oddeven_config_static_selectorELNS0_4arch9wavefront6targetE1EEEvSK_ ; -- Begin function _ZN7rocprim17ROCPRIM_400000_NS6detail17trampoline_kernelINS0_14default_configENS1_38merge_sort_block_merge_config_selectorIyNS0_10empty_typeEEEZZNS1_27merge_sort_block_merge_implIS3_N6thrust23THRUST_200600_302600_NS6detail15normal_iteratorINS9_10device_ptrIyEEEEPS5_m14custom_greaterIyEEE10hipError_tT0_T1_T2_jT3_P12ihipStream_tbPNSt15iterator_traitsISJ_E10value_typeEPNSP_ISK_E10value_typeEPSL_NS1_7vsmem_tEENKUlT_SJ_SK_SL_E_clIPySE_SF_SF_EESI_SY_SJ_SK_SL_EUlSY_E1_NS1_11comp_targetILNS1_3genE0ELNS1_11target_archE4294967295ELNS1_3gpuE0ELNS1_3repE0EEENS1_36merge_oddeven_config_static_selectorELNS0_4arch9wavefront6targetE1EEEvSK_
	.globl	_ZN7rocprim17ROCPRIM_400000_NS6detail17trampoline_kernelINS0_14default_configENS1_38merge_sort_block_merge_config_selectorIyNS0_10empty_typeEEEZZNS1_27merge_sort_block_merge_implIS3_N6thrust23THRUST_200600_302600_NS6detail15normal_iteratorINS9_10device_ptrIyEEEEPS5_m14custom_greaterIyEEE10hipError_tT0_T1_T2_jT3_P12ihipStream_tbPNSt15iterator_traitsISJ_E10value_typeEPNSP_ISK_E10value_typeEPSL_NS1_7vsmem_tEENKUlT_SJ_SK_SL_E_clIPySE_SF_SF_EESI_SY_SJ_SK_SL_EUlSY_E1_NS1_11comp_targetILNS1_3genE0ELNS1_11target_archE4294967295ELNS1_3gpuE0ELNS1_3repE0EEENS1_36merge_oddeven_config_static_selectorELNS0_4arch9wavefront6targetE1EEEvSK_
	.p2align	8
	.type	_ZN7rocprim17ROCPRIM_400000_NS6detail17trampoline_kernelINS0_14default_configENS1_38merge_sort_block_merge_config_selectorIyNS0_10empty_typeEEEZZNS1_27merge_sort_block_merge_implIS3_N6thrust23THRUST_200600_302600_NS6detail15normal_iteratorINS9_10device_ptrIyEEEEPS5_m14custom_greaterIyEEE10hipError_tT0_T1_T2_jT3_P12ihipStream_tbPNSt15iterator_traitsISJ_E10value_typeEPNSP_ISK_E10value_typeEPSL_NS1_7vsmem_tEENKUlT_SJ_SK_SL_E_clIPySE_SF_SF_EESI_SY_SJ_SK_SL_EUlSY_E1_NS1_11comp_targetILNS1_3genE0ELNS1_11target_archE4294967295ELNS1_3gpuE0ELNS1_3repE0EEENS1_36merge_oddeven_config_static_selectorELNS0_4arch9wavefront6targetE1EEEvSK_,@function
_ZN7rocprim17ROCPRIM_400000_NS6detail17trampoline_kernelINS0_14default_configENS1_38merge_sort_block_merge_config_selectorIyNS0_10empty_typeEEEZZNS1_27merge_sort_block_merge_implIS3_N6thrust23THRUST_200600_302600_NS6detail15normal_iteratorINS9_10device_ptrIyEEEEPS5_m14custom_greaterIyEEE10hipError_tT0_T1_T2_jT3_P12ihipStream_tbPNSt15iterator_traitsISJ_E10value_typeEPNSP_ISK_E10value_typeEPSL_NS1_7vsmem_tEENKUlT_SJ_SK_SL_E_clIPySE_SF_SF_EESI_SY_SJ_SK_SL_EUlSY_E1_NS1_11comp_targetILNS1_3genE0ELNS1_11target_archE4294967295ELNS1_3gpuE0ELNS1_3repE0EEENS1_36merge_oddeven_config_static_selectorELNS0_4arch9wavefront6targetE1EEEvSK_: ; @_ZN7rocprim17ROCPRIM_400000_NS6detail17trampoline_kernelINS0_14default_configENS1_38merge_sort_block_merge_config_selectorIyNS0_10empty_typeEEEZZNS1_27merge_sort_block_merge_implIS3_N6thrust23THRUST_200600_302600_NS6detail15normal_iteratorINS9_10device_ptrIyEEEEPS5_m14custom_greaterIyEEE10hipError_tT0_T1_T2_jT3_P12ihipStream_tbPNSt15iterator_traitsISJ_E10value_typeEPNSP_ISK_E10value_typeEPSL_NS1_7vsmem_tEENKUlT_SJ_SK_SL_E_clIPySE_SF_SF_EESI_SY_SJ_SK_SL_EUlSY_E1_NS1_11comp_targetILNS1_3genE0ELNS1_11target_archE4294967295ELNS1_3gpuE0ELNS1_3repE0EEENS1_36merge_oddeven_config_static_selectorELNS0_4arch9wavefront6targetE1EEEvSK_
; %bb.0:
	.section	.rodata,"a",@progbits
	.p2align	6, 0x0
	.amdhsa_kernel _ZN7rocprim17ROCPRIM_400000_NS6detail17trampoline_kernelINS0_14default_configENS1_38merge_sort_block_merge_config_selectorIyNS0_10empty_typeEEEZZNS1_27merge_sort_block_merge_implIS3_N6thrust23THRUST_200600_302600_NS6detail15normal_iteratorINS9_10device_ptrIyEEEEPS5_m14custom_greaterIyEEE10hipError_tT0_T1_T2_jT3_P12ihipStream_tbPNSt15iterator_traitsISJ_E10value_typeEPNSP_ISK_E10value_typeEPSL_NS1_7vsmem_tEENKUlT_SJ_SK_SL_E_clIPySE_SF_SF_EESI_SY_SJ_SK_SL_EUlSY_E1_NS1_11comp_targetILNS1_3genE0ELNS1_11target_archE4294967295ELNS1_3gpuE0ELNS1_3repE0EEENS1_36merge_oddeven_config_static_selectorELNS0_4arch9wavefront6targetE1EEEvSK_
		.amdhsa_group_segment_fixed_size 0
		.amdhsa_private_segment_fixed_size 0
		.amdhsa_kernarg_size 56
		.amdhsa_user_sgpr_count 6
		.amdhsa_user_sgpr_private_segment_buffer 1
		.amdhsa_user_sgpr_dispatch_ptr 0
		.amdhsa_user_sgpr_queue_ptr 0
		.amdhsa_user_sgpr_kernarg_segment_ptr 1
		.amdhsa_user_sgpr_dispatch_id 0
		.amdhsa_user_sgpr_flat_scratch_init 0
		.amdhsa_user_sgpr_kernarg_preload_length 0
		.amdhsa_user_sgpr_kernarg_preload_offset 0
		.amdhsa_user_sgpr_private_segment_size 0
		.amdhsa_uses_dynamic_stack 0
		.amdhsa_system_sgpr_private_segment_wavefront_offset 0
		.amdhsa_system_sgpr_workgroup_id_x 1
		.amdhsa_system_sgpr_workgroup_id_y 0
		.amdhsa_system_sgpr_workgroup_id_z 0
		.amdhsa_system_sgpr_workgroup_info 0
		.amdhsa_system_vgpr_workitem_id 0
		.amdhsa_next_free_vgpr 1
		.amdhsa_next_free_sgpr 0
		.amdhsa_accum_offset 4
		.amdhsa_reserve_vcc 0
		.amdhsa_reserve_flat_scratch 0
		.amdhsa_float_round_mode_32 0
		.amdhsa_float_round_mode_16_64 0
		.amdhsa_float_denorm_mode_32 3
		.amdhsa_float_denorm_mode_16_64 3
		.amdhsa_dx10_clamp 1
		.amdhsa_ieee_mode 1
		.amdhsa_fp16_overflow 0
		.amdhsa_tg_split 0
		.amdhsa_exception_fp_ieee_invalid_op 0
		.amdhsa_exception_fp_denorm_src 0
		.amdhsa_exception_fp_ieee_div_zero 0
		.amdhsa_exception_fp_ieee_overflow 0
		.amdhsa_exception_fp_ieee_underflow 0
		.amdhsa_exception_fp_ieee_inexact 0
		.amdhsa_exception_int_div_zero 0
	.end_amdhsa_kernel
	.section	.text._ZN7rocprim17ROCPRIM_400000_NS6detail17trampoline_kernelINS0_14default_configENS1_38merge_sort_block_merge_config_selectorIyNS0_10empty_typeEEEZZNS1_27merge_sort_block_merge_implIS3_N6thrust23THRUST_200600_302600_NS6detail15normal_iteratorINS9_10device_ptrIyEEEEPS5_m14custom_greaterIyEEE10hipError_tT0_T1_T2_jT3_P12ihipStream_tbPNSt15iterator_traitsISJ_E10value_typeEPNSP_ISK_E10value_typeEPSL_NS1_7vsmem_tEENKUlT_SJ_SK_SL_E_clIPySE_SF_SF_EESI_SY_SJ_SK_SL_EUlSY_E1_NS1_11comp_targetILNS1_3genE0ELNS1_11target_archE4294967295ELNS1_3gpuE0ELNS1_3repE0EEENS1_36merge_oddeven_config_static_selectorELNS0_4arch9wavefront6targetE1EEEvSK_,"axG",@progbits,_ZN7rocprim17ROCPRIM_400000_NS6detail17trampoline_kernelINS0_14default_configENS1_38merge_sort_block_merge_config_selectorIyNS0_10empty_typeEEEZZNS1_27merge_sort_block_merge_implIS3_N6thrust23THRUST_200600_302600_NS6detail15normal_iteratorINS9_10device_ptrIyEEEEPS5_m14custom_greaterIyEEE10hipError_tT0_T1_T2_jT3_P12ihipStream_tbPNSt15iterator_traitsISJ_E10value_typeEPNSP_ISK_E10value_typeEPSL_NS1_7vsmem_tEENKUlT_SJ_SK_SL_E_clIPySE_SF_SF_EESI_SY_SJ_SK_SL_EUlSY_E1_NS1_11comp_targetILNS1_3genE0ELNS1_11target_archE4294967295ELNS1_3gpuE0ELNS1_3repE0EEENS1_36merge_oddeven_config_static_selectorELNS0_4arch9wavefront6targetE1EEEvSK_,comdat
.Lfunc_end3479:
	.size	_ZN7rocprim17ROCPRIM_400000_NS6detail17trampoline_kernelINS0_14default_configENS1_38merge_sort_block_merge_config_selectorIyNS0_10empty_typeEEEZZNS1_27merge_sort_block_merge_implIS3_N6thrust23THRUST_200600_302600_NS6detail15normal_iteratorINS9_10device_ptrIyEEEEPS5_m14custom_greaterIyEEE10hipError_tT0_T1_T2_jT3_P12ihipStream_tbPNSt15iterator_traitsISJ_E10value_typeEPNSP_ISK_E10value_typeEPSL_NS1_7vsmem_tEENKUlT_SJ_SK_SL_E_clIPySE_SF_SF_EESI_SY_SJ_SK_SL_EUlSY_E1_NS1_11comp_targetILNS1_3genE0ELNS1_11target_archE4294967295ELNS1_3gpuE0ELNS1_3repE0EEENS1_36merge_oddeven_config_static_selectorELNS0_4arch9wavefront6targetE1EEEvSK_, .Lfunc_end3479-_ZN7rocprim17ROCPRIM_400000_NS6detail17trampoline_kernelINS0_14default_configENS1_38merge_sort_block_merge_config_selectorIyNS0_10empty_typeEEEZZNS1_27merge_sort_block_merge_implIS3_N6thrust23THRUST_200600_302600_NS6detail15normal_iteratorINS9_10device_ptrIyEEEEPS5_m14custom_greaterIyEEE10hipError_tT0_T1_T2_jT3_P12ihipStream_tbPNSt15iterator_traitsISJ_E10value_typeEPNSP_ISK_E10value_typeEPSL_NS1_7vsmem_tEENKUlT_SJ_SK_SL_E_clIPySE_SF_SF_EESI_SY_SJ_SK_SL_EUlSY_E1_NS1_11comp_targetILNS1_3genE0ELNS1_11target_archE4294967295ELNS1_3gpuE0ELNS1_3repE0EEENS1_36merge_oddeven_config_static_selectorELNS0_4arch9wavefront6targetE1EEEvSK_
                                        ; -- End function
	.section	.AMDGPU.csdata,"",@progbits
; Kernel info:
; codeLenInByte = 0
; NumSgprs: 4
; NumVgprs: 0
; NumAgprs: 0
; TotalNumVgprs: 0
; ScratchSize: 0
; MemoryBound: 0
; FloatMode: 240
; IeeeMode: 1
; LDSByteSize: 0 bytes/workgroup (compile time only)
; SGPRBlocks: 0
; VGPRBlocks: 0
; NumSGPRsForWavesPerEU: 4
; NumVGPRsForWavesPerEU: 1
; AccumOffset: 4
; Occupancy: 8
; WaveLimiterHint : 0
; COMPUTE_PGM_RSRC2:SCRATCH_EN: 0
; COMPUTE_PGM_RSRC2:USER_SGPR: 6
; COMPUTE_PGM_RSRC2:TRAP_HANDLER: 0
; COMPUTE_PGM_RSRC2:TGID_X_EN: 1
; COMPUTE_PGM_RSRC2:TGID_Y_EN: 0
; COMPUTE_PGM_RSRC2:TGID_Z_EN: 0
; COMPUTE_PGM_RSRC2:TIDIG_COMP_CNT: 0
; COMPUTE_PGM_RSRC3_GFX90A:ACCUM_OFFSET: 0
; COMPUTE_PGM_RSRC3_GFX90A:TG_SPLIT: 0
	.section	.text._ZN7rocprim17ROCPRIM_400000_NS6detail17trampoline_kernelINS0_14default_configENS1_38merge_sort_block_merge_config_selectorIyNS0_10empty_typeEEEZZNS1_27merge_sort_block_merge_implIS3_N6thrust23THRUST_200600_302600_NS6detail15normal_iteratorINS9_10device_ptrIyEEEEPS5_m14custom_greaterIyEEE10hipError_tT0_T1_T2_jT3_P12ihipStream_tbPNSt15iterator_traitsISJ_E10value_typeEPNSP_ISK_E10value_typeEPSL_NS1_7vsmem_tEENKUlT_SJ_SK_SL_E_clIPySE_SF_SF_EESI_SY_SJ_SK_SL_EUlSY_E1_NS1_11comp_targetILNS1_3genE10ELNS1_11target_archE1201ELNS1_3gpuE5ELNS1_3repE0EEENS1_36merge_oddeven_config_static_selectorELNS0_4arch9wavefront6targetE1EEEvSK_,"axG",@progbits,_ZN7rocprim17ROCPRIM_400000_NS6detail17trampoline_kernelINS0_14default_configENS1_38merge_sort_block_merge_config_selectorIyNS0_10empty_typeEEEZZNS1_27merge_sort_block_merge_implIS3_N6thrust23THRUST_200600_302600_NS6detail15normal_iteratorINS9_10device_ptrIyEEEEPS5_m14custom_greaterIyEEE10hipError_tT0_T1_T2_jT3_P12ihipStream_tbPNSt15iterator_traitsISJ_E10value_typeEPNSP_ISK_E10value_typeEPSL_NS1_7vsmem_tEENKUlT_SJ_SK_SL_E_clIPySE_SF_SF_EESI_SY_SJ_SK_SL_EUlSY_E1_NS1_11comp_targetILNS1_3genE10ELNS1_11target_archE1201ELNS1_3gpuE5ELNS1_3repE0EEENS1_36merge_oddeven_config_static_selectorELNS0_4arch9wavefront6targetE1EEEvSK_,comdat
	.protected	_ZN7rocprim17ROCPRIM_400000_NS6detail17trampoline_kernelINS0_14default_configENS1_38merge_sort_block_merge_config_selectorIyNS0_10empty_typeEEEZZNS1_27merge_sort_block_merge_implIS3_N6thrust23THRUST_200600_302600_NS6detail15normal_iteratorINS9_10device_ptrIyEEEEPS5_m14custom_greaterIyEEE10hipError_tT0_T1_T2_jT3_P12ihipStream_tbPNSt15iterator_traitsISJ_E10value_typeEPNSP_ISK_E10value_typeEPSL_NS1_7vsmem_tEENKUlT_SJ_SK_SL_E_clIPySE_SF_SF_EESI_SY_SJ_SK_SL_EUlSY_E1_NS1_11comp_targetILNS1_3genE10ELNS1_11target_archE1201ELNS1_3gpuE5ELNS1_3repE0EEENS1_36merge_oddeven_config_static_selectorELNS0_4arch9wavefront6targetE1EEEvSK_ ; -- Begin function _ZN7rocprim17ROCPRIM_400000_NS6detail17trampoline_kernelINS0_14default_configENS1_38merge_sort_block_merge_config_selectorIyNS0_10empty_typeEEEZZNS1_27merge_sort_block_merge_implIS3_N6thrust23THRUST_200600_302600_NS6detail15normal_iteratorINS9_10device_ptrIyEEEEPS5_m14custom_greaterIyEEE10hipError_tT0_T1_T2_jT3_P12ihipStream_tbPNSt15iterator_traitsISJ_E10value_typeEPNSP_ISK_E10value_typeEPSL_NS1_7vsmem_tEENKUlT_SJ_SK_SL_E_clIPySE_SF_SF_EESI_SY_SJ_SK_SL_EUlSY_E1_NS1_11comp_targetILNS1_3genE10ELNS1_11target_archE1201ELNS1_3gpuE5ELNS1_3repE0EEENS1_36merge_oddeven_config_static_selectorELNS0_4arch9wavefront6targetE1EEEvSK_
	.globl	_ZN7rocprim17ROCPRIM_400000_NS6detail17trampoline_kernelINS0_14default_configENS1_38merge_sort_block_merge_config_selectorIyNS0_10empty_typeEEEZZNS1_27merge_sort_block_merge_implIS3_N6thrust23THRUST_200600_302600_NS6detail15normal_iteratorINS9_10device_ptrIyEEEEPS5_m14custom_greaterIyEEE10hipError_tT0_T1_T2_jT3_P12ihipStream_tbPNSt15iterator_traitsISJ_E10value_typeEPNSP_ISK_E10value_typeEPSL_NS1_7vsmem_tEENKUlT_SJ_SK_SL_E_clIPySE_SF_SF_EESI_SY_SJ_SK_SL_EUlSY_E1_NS1_11comp_targetILNS1_3genE10ELNS1_11target_archE1201ELNS1_3gpuE5ELNS1_3repE0EEENS1_36merge_oddeven_config_static_selectorELNS0_4arch9wavefront6targetE1EEEvSK_
	.p2align	8
	.type	_ZN7rocprim17ROCPRIM_400000_NS6detail17trampoline_kernelINS0_14default_configENS1_38merge_sort_block_merge_config_selectorIyNS0_10empty_typeEEEZZNS1_27merge_sort_block_merge_implIS3_N6thrust23THRUST_200600_302600_NS6detail15normal_iteratorINS9_10device_ptrIyEEEEPS5_m14custom_greaterIyEEE10hipError_tT0_T1_T2_jT3_P12ihipStream_tbPNSt15iterator_traitsISJ_E10value_typeEPNSP_ISK_E10value_typeEPSL_NS1_7vsmem_tEENKUlT_SJ_SK_SL_E_clIPySE_SF_SF_EESI_SY_SJ_SK_SL_EUlSY_E1_NS1_11comp_targetILNS1_3genE10ELNS1_11target_archE1201ELNS1_3gpuE5ELNS1_3repE0EEENS1_36merge_oddeven_config_static_selectorELNS0_4arch9wavefront6targetE1EEEvSK_,@function
_ZN7rocprim17ROCPRIM_400000_NS6detail17trampoline_kernelINS0_14default_configENS1_38merge_sort_block_merge_config_selectorIyNS0_10empty_typeEEEZZNS1_27merge_sort_block_merge_implIS3_N6thrust23THRUST_200600_302600_NS6detail15normal_iteratorINS9_10device_ptrIyEEEEPS5_m14custom_greaterIyEEE10hipError_tT0_T1_T2_jT3_P12ihipStream_tbPNSt15iterator_traitsISJ_E10value_typeEPNSP_ISK_E10value_typeEPSL_NS1_7vsmem_tEENKUlT_SJ_SK_SL_E_clIPySE_SF_SF_EESI_SY_SJ_SK_SL_EUlSY_E1_NS1_11comp_targetILNS1_3genE10ELNS1_11target_archE1201ELNS1_3gpuE5ELNS1_3repE0EEENS1_36merge_oddeven_config_static_selectorELNS0_4arch9wavefront6targetE1EEEvSK_: ; @_ZN7rocprim17ROCPRIM_400000_NS6detail17trampoline_kernelINS0_14default_configENS1_38merge_sort_block_merge_config_selectorIyNS0_10empty_typeEEEZZNS1_27merge_sort_block_merge_implIS3_N6thrust23THRUST_200600_302600_NS6detail15normal_iteratorINS9_10device_ptrIyEEEEPS5_m14custom_greaterIyEEE10hipError_tT0_T1_T2_jT3_P12ihipStream_tbPNSt15iterator_traitsISJ_E10value_typeEPNSP_ISK_E10value_typeEPSL_NS1_7vsmem_tEENKUlT_SJ_SK_SL_E_clIPySE_SF_SF_EESI_SY_SJ_SK_SL_EUlSY_E1_NS1_11comp_targetILNS1_3genE10ELNS1_11target_archE1201ELNS1_3gpuE5ELNS1_3repE0EEENS1_36merge_oddeven_config_static_selectorELNS0_4arch9wavefront6targetE1EEEvSK_
; %bb.0:
	.section	.rodata,"a",@progbits
	.p2align	6, 0x0
	.amdhsa_kernel _ZN7rocprim17ROCPRIM_400000_NS6detail17trampoline_kernelINS0_14default_configENS1_38merge_sort_block_merge_config_selectorIyNS0_10empty_typeEEEZZNS1_27merge_sort_block_merge_implIS3_N6thrust23THRUST_200600_302600_NS6detail15normal_iteratorINS9_10device_ptrIyEEEEPS5_m14custom_greaterIyEEE10hipError_tT0_T1_T2_jT3_P12ihipStream_tbPNSt15iterator_traitsISJ_E10value_typeEPNSP_ISK_E10value_typeEPSL_NS1_7vsmem_tEENKUlT_SJ_SK_SL_E_clIPySE_SF_SF_EESI_SY_SJ_SK_SL_EUlSY_E1_NS1_11comp_targetILNS1_3genE10ELNS1_11target_archE1201ELNS1_3gpuE5ELNS1_3repE0EEENS1_36merge_oddeven_config_static_selectorELNS0_4arch9wavefront6targetE1EEEvSK_
		.amdhsa_group_segment_fixed_size 0
		.amdhsa_private_segment_fixed_size 0
		.amdhsa_kernarg_size 56
		.amdhsa_user_sgpr_count 6
		.amdhsa_user_sgpr_private_segment_buffer 1
		.amdhsa_user_sgpr_dispatch_ptr 0
		.amdhsa_user_sgpr_queue_ptr 0
		.amdhsa_user_sgpr_kernarg_segment_ptr 1
		.amdhsa_user_sgpr_dispatch_id 0
		.amdhsa_user_sgpr_flat_scratch_init 0
		.amdhsa_user_sgpr_kernarg_preload_length 0
		.amdhsa_user_sgpr_kernarg_preload_offset 0
		.amdhsa_user_sgpr_private_segment_size 0
		.amdhsa_uses_dynamic_stack 0
		.amdhsa_system_sgpr_private_segment_wavefront_offset 0
		.amdhsa_system_sgpr_workgroup_id_x 1
		.amdhsa_system_sgpr_workgroup_id_y 0
		.amdhsa_system_sgpr_workgroup_id_z 0
		.amdhsa_system_sgpr_workgroup_info 0
		.amdhsa_system_vgpr_workitem_id 0
		.amdhsa_next_free_vgpr 1
		.amdhsa_next_free_sgpr 0
		.amdhsa_accum_offset 4
		.amdhsa_reserve_vcc 0
		.amdhsa_reserve_flat_scratch 0
		.amdhsa_float_round_mode_32 0
		.amdhsa_float_round_mode_16_64 0
		.amdhsa_float_denorm_mode_32 3
		.amdhsa_float_denorm_mode_16_64 3
		.amdhsa_dx10_clamp 1
		.amdhsa_ieee_mode 1
		.amdhsa_fp16_overflow 0
		.amdhsa_tg_split 0
		.amdhsa_exception_fp_ieee_invalid_op 0
		.amdhsa_exception_fp_denorm_src 0
		.amdhsa_exception_fp_ieee_div_zero 0
		.amdhsa_exception_fp_ieee_overflow 0
		.amdhsa_exception_fp_ieee_underflow 0
		.amdhsa_exception_fp_ieee_inexact 0
		.amdhsa_exception_int_div_zero 0
	.end_amdhsa_kernel
	.section	.text._ZN7rocprim17ROCPRIM_400000_NS6detail17trampoline_kernelINS0_14default_configENS1_38merge_sort_block_merge_config_selectorIyNS0_10empty_typeEEEZZNS1_27merge_sort_block_merge_implIS3_N6thrust23THRUST_200600_302600_NS6detail15normal_iteratorINS9_10device_ptrIyEEEEPS5_m14custom_greaterIyEEE10hipError_tT0_T1_T2_jT3_P12ihipStream_tbPNSt15iterator_traitsISJ_E10value_typeEPNSP_ISK_E10value_typeEPSL_NS1_7vsmem_tEENKUlT_SJ_SK_SL_E_clIPySE_SF_SF_EESI_SY_SJ_SK_SL_EUlSY_E1_NS1_11comp_targetILNS1_3genE10ELNS1_11target_archE1201ELNS1_3gpuE5ELNS1_3repE0EEENS1_36merge_oddeven_config_static_selectorELNS0_4arch9wavefront6targetE1EEEvSK_,"axG",@progbits,_ZN7rocprim17ROCPRIM_400000_NS6detail17trampoline_kernelINS0_14default_configENS1_38merge_sort_block_merge_config_selectorIyNS0_10empty_typeEEEZZNS1_27merge_sort_block_merge_implIS3_N6thrust23THRUST_200600_302600_NS6detail15normal_iteratorINS9_10device_ptrIyEEEEPS5_m14custom_greaterIyEEE10hipError_tT0_T1_T2_jT3_P12ihipStream_tbPNSt15iterator_traitsISJ_E10value_typeEPNSP_ISK_E10value_typeEPSL_NS1_7vsmem_tEENKUlT_SJ_SK_SL_E_clIPySE_SF_SF_EESI_SY_SJ_SK_SL_EUlSY_E1_NS1_11comp_targetILNS1_3genE10ELNS1_11target_archE1201ELNS1_3gpuE5ELNS1_3repE0EEENS1_36merge_oddeven_config_static_selectorELNS0_4arch9wavefront6targetE1EEEvSK_,comdat
.Lfunc_end3480:
	.size	_ZN7rocprim17ROCPRIM_400000_NS6detail17trampoline_kernelINS0_14default_configENS1_38merge_sort_block_merge_config_selectorIyNS0_10empty_typeEEEZZNS1_27merge_sort_block_merge_implIS3_N6thrust23THRUST_200600_302600_NS6detail15normal_iteratorINS9_10device_ptrIyEEEEPS5_m14custom_greaterIyEEE10hipError_tT0_T1_T2_jT3_P12ihipStream_tbPNSt15iterator_traitsISJ_E10value_typeEPNSP_ISK_E10value_typeEPSL_NS1_7vsmem_tEENKUlT_SJ_SK_SL_E_clIPySE_SF_SF_EESI_SY_SJ_SK_SL_EUlSY_E1_NS1_11comp_targetILNS1_3genE10ELNS1_11target_archE1201ELNS1_3gpuE5ELNS1_3repE0EEENS1_36merge_oddeven_config_static_selectorELNS0_4arch9wavefront6targetE1EEEvSK_, .Lfunc_end3480-_ZN7rocprim17ROCPRIM_400000_NS6detail17trampoline_kernelINS0_14default_configENS1_38merge_sort_block_merge_config_selectorIyNS0_10empty_typeEEEZZNS1_27merge_sort_block_merge_implIS3_N6thrust23THRUST_200600_302600_NS6detail15normal_iteratorINS9_10device_ptrIyEEEEPS5_m14custom_greaterIyEEE10hipError_tT0_T1_T2_jT3_P12ihipStream_tbPNSt15iterator_traitsISJ_E10value_typeEPNSP_ISK_E10value_typeEPSL_NS1_7vsmem_tEENKUlT_SJ_SK_SL_E_clIPySE_SF_SF_EESI_SY_SJ_SK_SL_EUlSY_E1_NS1_11comp_targetILNS1_3genE10ELNS1_11target_archE1201ELNS1_3gpuE5ELNS1_3repE0EEENS1_36merge_oddeven_config_static_selectorELNS0_4arch9wavefront6targetE1EEEvSK_
                                        ; -- End function
	.section	.AMDGPU.csdata,"",@progbits
; Kernel info:
; codeLenInByte = 0
; NumSgprs: 4
; NumVgprs: 0
; NumAgprs: 0
; TotalNumVgprs: 0
; ScratchSize: 0
; MemoryBound: 0
; FloatMode: 240
; IeeeMode: 1
; LDSByteSize: 0 bytes/workgroup (compile time only)
; SGPRBlocks: 0
; VGPRBlocks: 0
; NumSGPRsForWavesPerEU: 4
; NumVGPRsForWavesPerEU: 1
; AccumOffset: 4
; Occupancy: 8
; WaveLimiterHint : 0
; COMPUTE_PGM_RSRC2:SCRATCH_EN: 0
; COMPUTE_PGM_RSRC2:USER_SGPR: 6
; COMPUTE_PGM_RSRC2:TRAP_HANDLER: 0
; COMPUTE_PGM_RSRC2:TGID_X_EN: 1
; COMPUTE_PGM_RSRC2:TGID_Y_EN: 0
; COMPUTE_PGM_RSRC2:TGID_Z_EN: 0
; COMPUTE_PGM_RSRC2:TIDIG_COMP_CNT: 0
; COMPUTE_PGM_RSRC3_GFX90A:ACCUM_OFFSET: 0
; COMPUTE_PGM_RSRC3_GFX90A:TG_SPLIT: 0
	.section	.text._ZN7rocprim17ROCPRIM_400000_NS6detail17trampoline_kernelINS0_14default_configENS1_38merge_sort_block_merge_config_selectorIyNS0_10empty_typeEEEZZNS1_27merge_sort_block_merge_implIS3_N6thrust23THRUST_200600_302600_NS6detail15normal_iteratorINS9_10device_ptrIyEEEEPS5_m14custom_greaterIyEEE10hipError_tT0_T1_T2_jT3_P12ihipStream_tbPNSt15iterator_traitsISJ_E10value_typeEPNSP_ISK_E10value_typeEPSL_NS1_7vsmem_tEENKUlT_SJ_SK_SL_E_clIPySE_SF_SF_EESI_SY_SJ_SK_SL_EUlSY_E1_NS1_11comp_targetILNS1_3genE5ELNS1_11target_archE942ELNS1_3gpuE9ELNS1_3repE0EEENS1_36merge_oddeven_config_static_selectorELNS0_4arch9wavefront6targetE1EEEvSK_,"axG",@progbits,_ZN7rocprim17ROCPRIM_400000_NS6detail17trampoline_kernelINS0_14default_configENS1_38merge_sort_block_merge_config_selectorIyNS0_10empty_typeEEEZZNS1_27merge_sort_block_merge_implIS3_N6thrust23THRUST_200600_302600_NS6detail15normal_iteratorINS9_10device_ptrIyEEEEPS5_m14custom_greaterIyEEE10hipError_tT0_T1_T2_jT3_P12ihipStream_tbPNSt15iterator_traitsISJ_E10value_typeEPNSP_ISK_E10value_typeEPSL_NS1_7vsmem_tEENKUlT_SJ_SK_SL_E_clIPySE_SF_SF_EESI_SY_SJ_SK_SL_EUlSY_E1_NS1_11comp_targetILNS1_3genE5ELNS1_11target_archE942ELNS1_3gpuE9ELNS1_3repE0EEENS1_36merge_oddeven_config_static_selectorELNS0_4arch9wavefront6targetE1EEEvSK_,comdat
	.protected	_ZN7rocprim17ROCPRIM_400000_NS6detail17trampoline_kernelINS0_14default_configENS1_38merge_sort_block_merge_config_selectorIyNS0_10empty_typeEEEZZNS1_27merge_sort_block_merge_implIS3_N6thrust23THRUST_200600_302600_NS6detail15normal_iteratorINS9_10device_ptrIyEEEEPS5_m14custom_greaterIyEEE10hipError_tT0_T1_T2_jT3_P12ihipStream_tbPNSt15iterator_traitsISJ_E10value_typeEPNSP_ISK_E10value_typeEPSL_NS1_7vsmem_tEENKUlT_SJ_SK_SL_E_clIPySE_SF_SF_EESI_SY_SJ_SK_SL_EUlSY_E1_NS1_11comp_targetILNS1_3genE5ELNS1_11target_archE942ELNS1_3gpuE9ELNS1_3repE0EEENS1_36merge_oddeven_config_static_selectorELNS0_4arch9wavefront6targetE1EEEvSK_ ; -- Begin function _ZN7rocprim17ROCPRIM_400000_NS6detail17trampoline_kernelINS0_14default_configENS1_38merge_sort_block_merge_config_selectorIyNS0_10empty_typeEEEZZNS1_27merge_sort_block_merge_implIS3_N6thrust23THRUST_200600_302600_NS6detail15normal_iteratorINS9_10device_ptrIyEEEEPS5_m14custom_greaterIyEEE10hipError_tT0_T1_T2_jT3_P12ihipStream_tbPNSt15iterator_traitsISJ_E10value_typeEPNSP_ISK_E10value_typeEPSL_NS1_7vsmem_tEENKUlT_SJ_SK_SL_E_clIPySE_SF_SF_EESI_SY_SJ_SK_SL_EUlSY_E1_NS1_11comp_targetILNS1_3genE5ELNS1_11target_archE942ELNS1_3gpuE9ELNS1_3repE0EEENS1_36merge_oddeven_config_static_selectorELNS0_4arch9wavefront6targetE1EEEvSK_
	.globl	_ZN7rocprim17ROCPRIM_400000_NS6detail17trampoline_kernelINS0_14default_configENS1_38merge_sort_block_merge_config_selectorIyNS0_10empty_typeEEEZZNS1_27merge_sort_block_merge_implIS3_N6thrust23THRUST_200600_302600_NS6detail15normal_iteratorINS9_10device_ptrIyEEEEPS5_m14custom_greaterIyEEE10hipError_tT0_T1_T2_jT3_P12ihipStream_tbPNSt15iterator_traitsISJ_E10value_typeEPNSP_ISK_E10value_typeEPSL_NS1_7vsmem_tEENKUlT_SJ_SK_SL_E_clIPySE_SF_SF_EESI_SY_SJ_SK_SL_EUlSY_E1_NS1_11comp_targetILNS1_3genE5ELNS1_11target_archE942ELNS1_3gpuE9ELNS1_3repE0EEENS1_36merge_oddeven_config_static_selectorELNS0_4arch9wavefront6targetE1EEEvSK_
	.p2align	8
	.type	_ZN7rocprim17ROCPRIM_400000_NS6detail17trampoline_kernelINS0_14default_configENS1_38merge_sort_block_merge_config_selectorIyNS0_10empty_typeEEEZZNS1_27merge_sort_block_merge_implIS3_N6thrust23THRUST_200600_302600_NS6detail15normal_iteratorINS9_10device_ptrIyEEEEPS5_m14custom_greaterIyEEE10hipError_tT0_T1_T2_jT3_P12ihipStream_tbPNSt15iterator_traitsISJ_E10value_typeEPNSP_ISK_E10value_typeEPSL_NS1_7vsmem_tEENKUlT_SJ_SK_SL_E_clIPySE_SF_SF_EESI_SY_SJ_SK_SL_EUlSY_E1_NS1_11comp_targetILNS1_3genE5ELNS1_11target_archE942ELNS1_3gpuE9ELNS1_3repE0EEENS1_36merge_oddeven_config_static_selectorELNS0_4arch9wavefront6targetE1EEEvSK_,@function
_ZN7rocprim17ROCPRIM_400000_NS6detail17trampoline_kernelINS0_14default_configENS1_38merge_sort_block_merge_config_selectorIyNS0_10empty_typeEEEZZNS1_27merge_sort_block_merge_implIS3_N6thrust23THRUST_200600_302600_NS6detail15normal_iteratorINS9_10device_ptrIyEEEEPS5_m14custom_greaterIyEEE10hipError_tT0_T1_T2_jT3_P12ihipStream_tbPNSt15iterator_traitsISJ_E10value_typeEPNSP_ISK_E10value_typeEPSL_NS1_7vsmem_tEENKUlT_SJ_SK_SL_E_clIPySE_SF_SF_EESI_SY_SJ_SK_SL_EUlSY_E1_NS1_11comp_targetILNS1_3genE5ELNS1_11target_archE942ELNS1_3gpuE9ELNS1_3repE0EEENS1_36merge_oddeven_config_static_selectorELNS0_4arch9wavefront6targetE1EEEvSK_: ; @_ZN7rocprim17ROCPRIM_400000_NS6detail17trampoline_kernelINS0_14default_configENS1_38merge_sort_block_merge_config_selectorIyNS0_10empty_typeEEEZZNS1_27merge_sort_block_merge_implIS3_N6thrust23THRUST_200600_302600_NS6detail15normal_iteratorINS9_10device_ptrIyEEEEPS5_m14custom_greaterIyEEE10hipError_tT0_T1_T2_jT3_P12ihipStream_tbPNSt15iterator_traitsISJ_E10value_typeEPNSP_ISK_E10value_typeEPSL_NS1_7vsmem_tEENKUlT_SJ_SK_SL_E_clIPySE_SF_SF_EESI_SY_SJ_SK_SL_EUlSY_E1_NS1_11comp_targetILNS1_3genE5ELNS1_11target_archE942ELNS1_3gpuE9ELNS1_3repE0EEENS1_36merge_oddeven_config_static_selectorELNS0_4arch9wavefront6targetE1EEEvSK_
; %bb.0:
	.section	.rodata,"a",@progbits
	.p2align	6, 0x0
	.amdhsa_kernel _ZN7rocprim17ROCPRIM_400000_NS6detail17trampoline_kernelINS0_14default_configENS1_38merge_sort_block_merge_config_selectorIyNS0_10empty_typeEEEZZNS1_27merge_sort_block_merge_implIS3_N6thrust23THRUST_200600_302600_NS6detail15normal_iteratorINS9_10device_ptrIyEEEEPS5_m14custom_greaterIyEEE10hipError_tT0_T1_T2_jT3_P12ihipStream_tbPNSt15iterator_traitsISJ_E10value_typeEPNSP_ISK_E10value_typeEPSL_NS1_7vsmem_tEENKUlT_SJ_SK_SL_E_clIPySE_SF_SF_EESI_SY_SJ_SK_SL_EUlSY_E1_NS1_11comp_targetILNS1_3genE5ELNS1_11target_archE942ELNS1_3gpuE9ELNS1_3repE0EEENS1_36merge_oddeven_config_static_selectorELNS0_4arch9wavefront6targetE1EEEvSK_
		.amdhsa_group_segment_fixed_size 0
		.amdhsa_private_segment_fixed_size 0
		.amdhsa_kernarg_size 56
		.amdhsa_user_sgpr_count 6
		.amdhsa_user_sgpr_private_segment_buffer 1
		.amdhsa_user_sgpr_dispatch_ptr 0
		.amdhsa_user_sgpr_queue_ptr 0
		.amdhsa_user_sgpr_kernarg_segment_ptr 1
		.amdhsa_user_sgpr_dispatch_id 0
		.amdhsa_user_sgpr_flat_scratch_init 0
		.amdhsa_user_sgpr_kernarg_preload_length 0
		.amdhsa_user_sgpr_kernarg_preload_offset 0
		.amdhsa_user_sgpr_private_segment_size 0
		.amdhsa_uses_dynamic_stack 0
		.amdhsa_system_sgpr_private_segment_wavefront_offset 0
		.amdhsa_system_sgpr_workgroup_id_x 1
		.amdhsa_system_sgpr_workgroup_id_y 0
		.amdhsa_system_sgpr_workgroup_id_z 0
		.amdhsa_system_sgpr_workgroup_info 0
		.amdhsa_system_vgpr_workitem_id 0
		.amdhsa_next_free_vgpr 1
		.amdhsa_next_free_sgpr 0
		.amdhsa_accum_offset 4
		.amdhsa_reserve_vcc 0
		.amdhsa_reserve_flat_scratch 0
		.amdhsa_float_round_mode_32 0
		.amdhsa_float_round_mode_16_64 0
		.amdhsa_float_denorm_mode_32 3
		.amdhsa_float_denorm_mode_16_64 3
		.amdhsa_dx10_clamp 1
		.amdhsa_ieee_mode 1
		.amdhsa_fp16_overflow 0
		.amdhsa_tg_split 0
		.amdhsa_exception_fp_ieee_invalid_op 0
		.amdhsa_exception_fp_denorm_src 0
		.amdhsa_exception_fp_ieee_div_zero 0
		.amdhsa_exception_fp_ieee_overflow 0
		.amdhsa_exception_fp_ieee_underflow 0
		.amdhsa_exception_fp_ieee_inexact 0
		.amdhsa_exception_int_div_zero 0
	.end_amdhsa_kernel
	.section	.text._ZN7rocprim17ROCPRIM_400000_NS6detail17trampoline_kernelINS0_14default_configENS1_38merge_sort_block_merge_config_selectorIyNS0_10empty_typeEEEZZNS1_27merge_sort_block_merge_implIS3_N6thrust23THRUST_200600_302600_NS6detail15normal_iteratorINS9_10device_ptrIyEEEEPS5_m14custom_greaterIyEEE10hipError_tT0_T1_T2_jT3_P12ihipStream_tbPNSt15iterator_traitsISJ_E10value_typeEPNSP_ISK_E10value_typeEPSL_NS1_7vsmem_tEENKUlT_SJ_SK_SL_E_clIPySE_SF_SF_EESI_SY_SJ_SK_SL_EUlSY_E1_NS1_11comp_targetILNS1_3genE5ELNS1_11target_archE942ELNS1_3gpuE9ELNS1_3repE0EEENS1_36merge_oddeven_config_static_selectorELNS0_4arch9wavefront6targetE1EEEvSK_,"axG",@progbits,_ZN7rocprim17ROCPRIM_400000_NS6detail17trampoline_kernelINS0_14default_configENS1_38merge_sort_block_merge_config_selectorIyNS0_10empty_typeEEEZZNS1_27merge_sort_block_merge_implIS3_N6thrust23THRUST_200600_302600_NS6detail15normal_iteratorINS9_10device_ptrIyEEEEPS5_m14custom_greaterIyEEE10hipError_tT0_T1_T2_jT3_P12ihipStream_tbPNSt15iterator_traitsISJ_E10value_typeEPNSP_ISK_E10value_typeEPSL_NS1_7vsmem_tEENKUlT_SJ_SK_SL_E_clIPySE_SF_SF_EESI_SY_SJ_SK_SL_EUlSY_E1_NS1_11comp_targetILNS1_3genE5ELNS1_11target_archE942ELNS1_3gpuE9ELNS1_3repE0EEENS1_36merge_oddeven_config_static_selectorELNS0_4arch9wavefront6targetE1EEEvSK_,comdat
.Lfunc_end3481:
	.size	_ZN7rocprim17ROCPRIM_400000_NS6detail17trampoline_kernelINS0_14default_configENS1_38merge_sort_block_merge_config_selectorIyNS0_10empty_typeEEEZZNS1_27merge_sort_block_merge_implIS3_N6thrust23THRUST_200600_302600_NS6detail15normal_iteratorINS9_10device_ptrIyEEEEPS5_m14custom_greaterIyEEE10hipError_tT0_T1_T2_jT3_P12ihipStream_tbPNSt15iterator_traitsISJ_E10value_typeEPNSP_ISK_E10value_typeEPSL_NS1_7vsmem_tEENKUlT_SJ_SK_SL_E_clIPySE_SF_SF_EESI_SY_SJ_SK_SL_EUlSY_E1_NS1_11comp_targetILNS1_3genE5ELNS1_11target_archE942ELNS1_3gpuE9ELNS1_3repE0EEENS1_36merge_oddeven_config_static_selectorELNS0_4arch9wavefront6targetE1EEEvSK_, .Lfunc_end3481-_ZN7rocprim17ROCPRIM_400000_NS6detail17trampoline_kernelINS0_14default_configENS1_38merge_sort_block_merge_config_selectorIyNS0_10empty_typeEEEZZNS1_27merge_sort_block_merge_implIS3_N6thrust23THRUST_200600_302600_NS6detail15normal_iteratorINS9_10device_ptrIyEEEEPS5_m14custom_greaterIyEEE10hipError_tT0_T1_T2_jT3_P12ihipStream_tbPNSt15iterator_traitsISJ_E10value_typeEPNSP_ISK_E10value_typeEPSL_NS1_7vsmem_tEENKUlT_SJ_SK_SL_E_clIPySE_SF_SF_EESI_SY_SJ_SK_SL_EUlSY_E1_NS1_11comp_targetILNS1_3genE5ELNS1_11target_archE942ELNS1_3gpuE9ELNS1_3repE0EEENS1_36merge_oddeven_config_static_selectorELNS0_4arch9wavefront6targetE1EEEvSK_
                                        ; -- End function
	.section	.AMDGPU.csdata,"",@progbits
; Kernel info:
; codeLenInByte = 0
; NumSgprs: 4
; NumVgprs: 0
; NumAgprs: 0
; TotalNumVgprs: 0
; ScratchSize: 0
; MemoryBound: 0
; FloatMode: 240
; IeeeMode: 1
; LDSByteSize: 0 bytes/workgroup (compile time only)
; SGPRBlocks: 0
; VGPRBlocks: 0
; NumSGPRsForWavesPerEU: 4
; NumVGPRsForWavesPerEU: 1
; AccumOffset: 4
; Occupancy: 8
; WaveLimiterHint : 0
; COMPUTE_PGM_RSRC2:SCRATCH_EN: 0
; COMPUTE_PGM_RSRC2:USER_SGPR: 6
; COMPUTE_PGM_RSRC2:TRAP_HANDLER: 0
; COMPUTE_PGM_RSRC2:TGID_X_EN: 1
; COMPUTE_PGM_RSRC2:TGID_Y_EN: 0
; COMPUTE_PGM_RSRC2:TGID_Z_EN: 0
; COMPUTE_PGM_RSRC2:TIDIG_COMP_CNT: 0
; COMPUTE_PGM_RSRC3_GFX90A:ACCUM_OFFSET: 0
; COMPUTE_PGM_RSRC3_GFX90A:TG_SPLIT: 0
	.section	.text._ZN7rocprim17ROCPRIM_400000_NS6detail17trampoline_kernelINS0_14default_configENS1_38merge_sort_block_merge_config_selectorIyNS0_10empty_typeEEEZZNS1_27merge_sort_block_merge_implIS3_N6thrust23THRUST_200600_302600_NS6detail15normal_iteratorINS9_10device_ptrIyEEEEPS5_m14custom_greaterIyEEE10hipError_tT0_T1_T2_jT3_P12ihipStream_tbPNSt15iterator_traitsISJ_E10value_typeEPNSP_ISK_E10value_typeEPSL_NS1_7vsmem_tEENKUlT_SJ_SK_SL_E_clIPySE_SF_SF_EESI_SY_SJ_SK_SL_EUlSY_E1_NS1_11comp_targetILNS1_3genE4ELNS1_11target_archE910ELNS1_3gpuE8ELNS1_3repE0EEENS1_36merge_oddeven_config_static_selectorELNS0_4arch9wavefront6targetE1EEEvSK_,"axG",@progbits,_ZN7rocprim17ROCPRIM_400000_NS6detail17trampoline_kernelINS0_14default_configENS1_38merge_sort_block_merge_config_selectorIyNS0_10empty_typeEEEZZNS1_27merge_sort_block_merge_implIS3_N6thrust23THRUST_200600_302600_NS6detail15normal_iteratorINS9_10device_ptrIyEEEEPS5_m14custom_greaterIyEEE10hipError_tT0_T1_T2_jT3_P12ihipStream_tbPNSt15iterator_traitsISJ_E10value_typeEPNSP_ISK_E10value_typeEPSL_NS1_7vsmem_tEENKUlT_SJ_SK_SL_E_clIPySE_SF_SF_EESI_SY_SJ_SK_SL_EUlSY_E1_NS1_11comp_targetILNS1_3genE4ELNS1_11target_archE910ELNS1_3gpuE8ELNS1_3repE0EEENS1_36merge_oddeven_config_static_selectorELNS0_4arch9wavefront6targetE1EEEvSK_,comdat
	.protected	_ZN7rocprim17ROCPRIM_400000_NS6detail17trampoline_kernelINS0_14default_configENS1_38merge_sort_block_merge_config_selectorIyNS0_10empty_typeEEEZZNS1_27merge_sort_block_merge_implIS3_N6thrust23THRUST_200600_302600_NS6detail15normal_iteratorINS9_10device_ptrIyEEEEPS5_m14custom_greaterIyEEE10hipError_tT0_T1_T2_jT3_P12ihipStream_tbPNSt15iterator_traitsISJ_E10value_typeEPNSP_ISK_E10value_typeEPSL_NS1_7vsmem_tEENKUlT_SJ_SK_SL_E_clIPySE_SF_SF_EESI_SY_SJ_SK_SL_EUlSY_E1_NS1_11comp_targetILNS1_3genE4ELNS1_11target_archE910ELNS1_3gpuE8ELNS1_3repE0EEENS1_36merge_oddeven_config_static_selectorELNS0_4arch9wavefront6targetE1EEEvSK_ ; -- Begin function _ZN7rocprim17ROCPRIM_400000_NS6detail17trampoline_kernelINS0_14default_configENS1_38merge_sort_block_merge_config_selectorIyNS0_10empty_typeEEEZZNS1_27merge_sort_block_merge_implIS3_N6thrust23THRUST_200600_302600_NS6detail15normal_iteratorINS9_10device_ptrIyEEEEPS5_m14custom_greaterIyEEE10hipError_tT0_T1_T2_jT3_P12ihipStream_tbPNSt15iterator_traitsISJ_E10value_typeEPNSP_ISK_E10value_typeEPSL_NS1_7vsmem_tEENKUlT_SJ_SK_SL_E_clIPySE_SF_SF_EESI_SY_SJ_SK_SL_EUlSY_E1_NS1_11comp_targetILNS1_3genE4ELNS1_11target_archE910ELNS1_3gpuE8ELNS1_3repE0EEENS1_36merge_oddeven_config_static_selectorELNS0_4arch9wavefront6targetE1EEEvSK_
	.globl	_ZN7rocprim17ROCPRIM_400000_NS6detail17trampoline_kernelINS0_14default_configENS1_38merge_sort_block_merge_config_selectorIyNS0_10empty_typeEEEZZNS1_27merge_sort_block_merge_implIS3_N6thrust23THRUST_200600_302600_NS6detail15normal_iteratorINS9_10device_ptrIyEEEEPS5_m14custom_greaterIyEEE10hipError_tT0_T1_T2_jT3_P12ihipStream_tbPNSt15iterator_traitsISJ_E10value_typeEPNSP_ISK_E10value_typeEPSL_NS1_7vsmem_tEENKUlT_SJ_SK_SL_E_clIPySE_SF_SF_EESI_SY_SJ_SK_SL_EUlSY_E1_NS1_11comp_targetILNS1_3genE4ELNS1_11target_archE910ELNS1_3gpuE8ELNS1_3repE0EEENS1_36merge_oddeven_config_static_selectorELNS0_4arch9wavefront6targetE1EEEvSK_
	.p2align	8
	.type	_ZN7rocprim17ROCPRIM_400000_NS6detail17trampoline_kernelINS0_14default_configENS1_38merge_sort_block_merge_config_selectorIyNS0_10empty_typeEEEZZNS1_27merge_sort_block_merge_implIS3_N6thrust23THRUST_200600_302600_NS6detail15normal_iteratorINS9_10device_ptrIyEEEEPS5_m14custom_greaterIyEEE10hipError_tT0_T1_T2_jT3_P12ihipStream_tbPNSt15iterator_traitsISJ_E10value_typeEPNSP_ISK_E10value_typeEPSL_NS1_7vsmem_tEENKUlT_SJ_SK_SL_E_clIPySE_SF_SF_EESI_SY_SJ_SK_SL_EUlSY_E1_NS1_11comp_targetILNS1_3genE4ELNS1_11target_archE910ELNS1_3gpuE8ELNS1_3repE0EEENS1_36merge_oddeven_config_static_selectorELNS0_4arch9wavefront6targetE1EEEvSK_,@function
_ZN7rocprim17ROCPRIM_400000_NS6detail17trampoline_kernelINS0_14default_configENS1_38merge_sort_block_merge_config_selectorIyNS0_10empty_typeEEEZZNS1_27merge_sort_block_merge_implIS3_N6thrust23THRUST_200600_302600_NS6detail15normal_iteratorINS9_10device_ptrIyEEEEPS5_m14custom_greaterIyEEE10hipError_tT0_T1_T2_jT3_P12ihipStream_tbPNSt15iterator_traitsISJ_E10value_typeEPNSP_ISK_E10value_typeEPSL_NS1_7vsmem_tEENKUlT_SJ_SK_SL_E_clIPySE_SF_SF_EESI_SY_SJ_SK_SL_EUlSY_E1_NS1_11comp_targetILNS1_3genE4ELNS1_11target_archE910ELNS1_3gpuE8ELNS1_3repE0EEENS1_36merge_oddeven_config_static_selectorELNS0_4arch9wavefront6targetE1EEEvSK_: ; @_ZN7rocprim17ROCPRIM_400000_NS6detail17trampoline_kernelINS0_14default_configENS1_38merge_sort_block_merge_config_selectorIyNS0_10empty_typeEEEZZNS1_27merge_sort_block_merge_implIS3_N6thrust23THRUST_200600_302600_NS6detail15normal_iteratorINS9_10device_ptrIyEEEEPS5_m14custom_greaterIyEEE10hipError_tT0_T1_T2_jT3_P12ihipStream_tbPNSt15iterator_traitsISJ_E10value_typeEPNSP_ISK_E10value_typeEPSL_NS1_7vsmem_tEENKUlT_SJ_SK_SL_E_clIPySE_SF_SF_EESI_SY_SJ_SK_SL_EUlSY_E1_NS1_11comp_targetILNS1_3genE4ELNS1_11target_archE910ELNS1_3gpuE8ELNS1_3repE0EEENS1_36merge_oddeven_config_static_selectorELNS0_4arch9wavefront6targetE1EEEvSK_
; %bb.0:
	s_load_dword s18, s[4:5], 0x20
	s_waitcnt lgkmcnt(0)
	s_lshr_b32 s0, s18, 8
	s_cmp_lg_u32 s6, s0
	s_cselect_b64 s[14:15], -1, 0
	s_cmp_eq_u32 s6, s0
	s_cselect_b64 s[12:13], -1, 0
	s_lshl_b32 s16, s6, 8
	s_sub_i32 s0, s18, s16
	v_cmp_gt_u32_e64 s[2:3], s0, v0
	s_or_b64 s[0:1], s[14:15], s[2:3]
	s_and_saveexec_b64 s[8:9], s[0:1]
	s_cbranch_execz .LBB3482_20
; %bb.1:
	s_load_dwordx4 s[8:11], s[4:5], 0x0
	s_load_dword s19, s[4:5], 0x28
	s_mov_b32 s17, 0
	s_lshl_b64 s[0:1], s[16:17], 3
	v_lshlrev_b32_e32 v1, 3, v0
	s_waitcnt lgkmcnt(0)
	s_add_u32 s0, s8, s0
	s_addc_u32 s1, s9, s1
	global_load_dwordx2 v[2:3], v1, s[0:1]
	s_lshr_b32 s0, s19, 8
	s_sub_i32 s1, 0, s0
	s_and_b32 s1, s6, s1
	s_and_b32 s0, s1, s0
	s_lshl_b32 s20, s1, 8
	s_sub_i32 s6, 0, s19
	s_cmp_eq_u32 s0, 0
	s_cselect_b64 s[0:1], -1, 0
	s_and_b64 s[4:5], s[0:1], exec
	s_cselect_b32 s17, s19, s6
	s_add_i32 s17, s17, s20
	s_cmp_lt_u32 s17, s18
	v_add_u32_e32 v0, s16, v0
	s_cbranch_scc1 .LBB3482_3
; %bb.2:
	v_cmp_gt_u32_e32 vcc, s18, v0
	s_or_b64 s[4:5], vcc, s[14:15]
	s_and_b64 s[4:5], s[4:5], exec
	s_cbranch_execz .LBB3482_4
	s_branch .LBB3482_18
.LBB3482_3:
	s_mov_b64 s[4:5], 0
.LBB3482_4:
	s_min_u32 s14, s17, s18
	s_add_i32 s6, s14, s19
	s_min_u32 s15, s6, s18
	s_min_u32 s6, s20, s14
	s_add_i32 s20, s20, s14
	v_subrev_u32_e32 v0, s20, v0
	v_add_u32_e32 v4, s6, v0
	s_and_b64 vcc, exec, s[12:13]
	s_cbranch_vccz .LBB3482_12
; %bb.5:
                                        ; implicit-def: $vgpr0
	s_and_saveexec_b64 s[6:7], s[2:3]
	s_cbranch_execz .LBB3482_11
; %bb.6:
	s_cmp_ge_u32 s17, s15
	v_mov_b32_e32 v5, s14
	s_cbranch_scc1 .LBB3482_10
; %bb.7:
	s_mov_b64 s[2:3], 0
	v_mov_b32_e32 v6, s15
	v_mov_b32_e32 v5, s14
	;; [unrolled: 1-line block ×4, first 2 shown]
.LBB3482_8:                             ; =>This Inner Loop Header: Depth=1
	v_add_u32_e32 v0, v5, v6
	v_lshrrev_b32_e32 v0, 1, v0
	v_lshlrev_b64 v[8:9], 3, v[0:1]
	v_add_co_u32_e32 v8, vcc, s8, v8
	v_addc_co_u32_e32 v9, vcc, v7, v9, vcc
	global_load_dwordx2 v[8:9], v[8:9], off
	v_add_u32_e32 v10, 1, v0
	s_waitcnt vmcnt(0)
	v_cmp_gt_u64_e32 vcc, v[2:3], v[8:9]
	v_cndmask_b32_e64 v11, 0, 1, vcc
	v_cmp_le_u64_e32 vcc, v[8:9], v[2:3]
	v_cndmask_b32_e64 v8, 0, 1, vcc
	v_cndmask_b32_e64 v8, v8, v11, s[0:1]
	v_and_b32_e32 v8, 1, v8
	v_cmp_eq_u32_e32 vcc, 1, v8
	v_cndmask_b32_e32 v6, v0, v6, vcc
	v_cndmask_b32_e32 v5, v5, v10, vcc
	v_cmp_ge_u32_e32 vcc, v5, v6
	s_or_b64 s[2:3], vcc, s[2:3]
	s_andn2_b64 exec, exec, s[2:3]
	s_cbranch_execnz .LBB3482_8
; %bb.9:
	s_or_b64 exec, exec, s[2:3]
.LBB3482_10:
	v_add_u32_e32 v0, v5, v4
	s_or_b64 s[4:5], s[4:5], exec
.LBB3482_11:
	s_or_b64 exec, exec, s[6:7]
	s_branch .LBB3482_18
.LBB3482_12:
                                        ; implicit-def: $vgpr0
	s_cbranch_execz .LBB3482_18
; %bb.13:
	s_cmp_ge_u32 s17, s15
	v_mov_b32_e32 v5, s14
	s_cbranch_scc1 .LBB3482_17
; %bb.14:
	s_mov_b64 s[2:3], 0
	v_mov_b32_e32 v6, s15
	v_mov_b32_e32 v5, s14
	;; [unrolled: 1-line block ×4, first 2 shown]
.LBB3482_15:                            ; =>This Inner Loop Header: Depth=1
	v_add_u32_e32 v0, v5, v6
	v_lshrrev_b32_e32 v0, 1, v0
	v_lshlrev_b64 v[8:9], 3, v[0:1]
	v_add_co_u32_e32 v8, vcc, s8, v8
	v_addc_co_u32_e32 v9, vcc, v7, v9, vcc
	global_load_dwordx2 v[8:9], v[8:9], off
	v_add_u32_e32 v10, 1, v0
	s_waitcnt vmcnt(0)
	v_cmp_gt_u64_e32 vcc, v[2:3], v[8:9]
	v_cndmask_b32_e64 v11, 0, 1, vcc
	v_cmp_le_u64_e32 vcc, v[8:9], v[2:3]
	v_cndmask_b32_e64 v8, 0, 1, vcc
	v_cndmask_b32_e64 v8, v8, v11, s[0:1]
	v_and_b32_e32 v8, 1, v8
	v_cmp_eq_u32_e32 vcc, 1, v8
	v_cndmask_b32_e32 v6, v0, v6, vcc
	v_cndmask_b32_e32 v5, v5, v10, vcc
	v_cmp_ge_u32_e32 vcc, v5, v6
	s_or_b64 s[2:3], vcc, s[2:3]
	s_andn2_b64 exec, exec, s[2:3]
	s_cbranch_execnz .LBB3482_15
; %bb.16:
	s_or_b64 exec, exec, s[2:3]
.LBB3482_17:
	v_add_u32_e32 v0, v5, v4
	s_mov_b64 s[4:5], -1
.LBB3482_18:
	s_and_b64 exec, exec, s[4:5]
	s_cbranch_execz .LBB3482_20
; %bb.19:
	v_mov_b32_e32 v1, 0
	v_lshlrev_b64 v[0:1], 3, v[0:1]
	v_mov_b32_e32 v4, s11
	v_add_co_u32_e32 v0, vcc, s10, v0
	v_addc_co_u32_e32 v1, vcc, v4, v1, vcc
	s_waitcnt vmcnt(0)
	global_store_dwordx2 v[0:1], v[2:3], off
.LBB3482_20:
	s_endpgm
	.section	.rodata,"a",@progbits
	.p2align	6, 0x0
	.amdhsa_kernel _ZN7rocprim17ROCPRIM_400000_NS6detail17trampoline_kernelINS0_14default_configENS1_38merge_sort_block_merge_config_selectorIyNS0_10empty_typeEEEZZNS1_27merge_sort_block_merge_implIS3_N6thrust23THRUST_200600_302600_NS6detail15normal_iteratorINS9_10device_ptrIyEEEEPS5_m14custom_greaterIyEEE10hipError_tT0_T1_T2_jT3_P12ihipStream_tbPNSt15iterator_traitsISJ_E10value_typeEPNSP_ISK_E10value_typeEPSL_NS1_7vsmem_tEENKUlT_SJ_SK_SL_E_clIPySE_SF_SF_EESI_SY_SJ_SK_SL_EUlSY_E1_NS1_11comp_targetILNS1_3genE4ELNS1_11target_archE910ELNS1_3gpuE8ELNS1_3repE0EEENS1_36merge_oddeven_config_static_selectorELNS0_4arch9wavefront6targetE1EEEvSK_
		.amdhsa_group_segment_fixed_size 0
		.amdhsa_private_segment_fixed_size 0
		.amdhsa_kernarg_size 56
		.amdhsa_user_sgpr_count 6
		.amdhsa_user_sgpr_private_segment_buffer 1
		.amdhsa_user_sgpr_dispatch_ptr 0
		.amdhsa_user_sgpr_queue_ptr 0
		.amdhsa_user_sgpr_kernarg_segment_ptr 1
		.amdhsa_user_sgpr_dispatch_id 0
		.amdhsa_user_sgpr_flat_scratch_init 0
		.amdhsa_user_sgpr_kernarg_preload_length 0
		.amdhsa_user_sgpr_kernarg_preload_offset 0
		.amdhsa_user_sgpr_private_segment_size 0
		.amdhsa_uses_dynamic_stack 0
		.amdhsa_system_sgpr_private_segment_wavefront_offset 0
		.amdhsa_system_sgpr_workgroup_id_x 1
		.amdhsa_system_sgpr_workgroup_id_y 0
		.amdhsa_system_sgpr_workgroup_id_z 0
		.amdhsa_system_sgpr_workgroup_info 0
		.amdhsa_system_vgpr_workitem_id 0
		.amdhsa_next_free_vgpr 12
		.amdhsa_next_free_sgpr 21
		.amdhsa_accum_offset 12
		.amdhsa_reserve_vcc 1
		.amdhsa_reserve_flat_scratch 0
		.amdhsa_float_round_mode_32 0
		.amdhsa_float_round_mode_16_64 0
		.amdhsa_float_denorm_mode_32 3
		.amdhsa_float_denorm_mode_16_64 3
		.amdhsa_dx10_clamp 1
		.amdhsa_ieee_mode 1
		.amdhsa_fp16_overflow 0
		.amdhsa_tg_split 0
		.amdhsa_exception_fp_ieee_invalid_op 0
		.amdhsa_exception_fp_denorm_src 0
		.amdhsa_exception_fp_ieee_div_zero 0
		.amdhsa_exception_fp_ieee_overflow 0
		.amdhsa_exception_fp_ieee_underflow 0
		.amdhsa_exception_fp_ieee_inexact 0
		.amdhsa_exception_int_div_zero 0
	.end_amdhsa_kernel
	.section	.text._ZN7rocprim17ROCPRIM_400000_NS6detail17trampoline_kernelINS0_14default_configENS1_38merge_sort_block_merge_config_selectorIyNS0_10empty_typeEEEZZNS1_27merge_sort_block_merge_implIS3_N6thrust23THRUST_200600_302600_NS6detail15normal_iteratorINS9_10device_ptrIyEEEEPS5_m14custom_greaterIyEEE10hipError_tT0_T1_T2_jT3_P12ihipStream_tbPNSt15iterator_traitsISJ_E10value_typeEPNSP_ISK_E10value_typeEPSL_NS1_7vsmem_tEENKUlT_SJ_SK_SL_E_clIPySE_SF_SF_EESI_SY_SJ_SK_SL_EUlSY_E1_NS1_11comp_targetILNS1_3genE4ELNS1_11target_archE910ELNS1_3gpuE8ELNS1_3repE0EEENS1_36merge_oddeven_config_static_selectorELNS0_4arch9wavefront6targetE1EEEvSK_,"axG",@progbits,_ZN7rocprim17ROCPRIM_400000_NS6detail17trampoline_kernelINS0_14default_configENS1_38merge_sort_block_merge_config_selectorIyNS0_10empty_typeEEEZZNS1_27merge_sort_block_merge_implIS3_N6thrust23THRUST_200600_302600_NS6detail15normal_iteratorINS9_10device_ptrIyEEEEPS5_m14custom_greaterIyEEE10hipError_tT0_T1_T2_jT3_P12ihipStream_tbPNSt15iterator_traitsISJ_E10value_typeEPNSP_ISK_E10value_typeEPSL_NS1_7vsmem_tEENKUlT_SJ_SK_SL_E_clIPySE_SF_SF_EESI_SY_SJ_SK_SL_EUlSY_E1_NS1_11comp_targetILNS1_3genE4ELNS1_11target_archE910ELNS1_3gpuE8ELNS1_3repE0EEENS1_36merge_oddeven_config_static_selectorELNS0_4arch9wavefront6targetE1EEEvSK_,comdat
.Lfunc_end3482:
	.size	_ZN7rocprim17ROCPRIM_400000_NS6detail17trampoline_kernelINS0_14default_configENS1_38merge_sort_block_merge_config_selectorIyNS0_10empty_typeEEEZZNS1_27merge_sort_block_merge_implIS3_N6thrust23THRUST_200600_302600_NS6detail15normal_iteratorINS9_10device_ptrIyEEEEPS5_m14custom_greaterIyEEE10hipError_tT0_T1_T2_jT3_P12ihipStream_tbPNSt15iterator_traitsISJ_E10value_typeEPNSP_ISK_E10value_typeEPSL_NS1_7vsmem_tEENKUlT_SJ_SK_SL_E_clIPySE_SF_SF_EESI_SY_SJ_SK_SL_EUlSY_E1_NS1_11comp_targetILNS1_3genE4ELNS1_11target_archE910ELNS1_3gpuE8ELNS1_3repE0EEENS1_36merge_oddeven_config_static_selectorELNS0_4arch9wavefront6targetE1EEEvSK_, .Lfunc_end3482-_ZN7rocprim17ROCPRIM_400000_NS6detail17trampoline_kernelINS0_14default_configENS1_38merge_sort_block_merge_config_selectorIyNS0_10empty_typeEEEZZNS1_27merge_sort_block_merge_implIS3_N6thrust23THRUST_200600_302600_NS6detail15normal_iteratorINS9_10device_ptrIyEEEEPS5_m14custom_greaterIyEEE10hipError_tT0_T1_T2_jT3_P12ihipStream_tbPNSt15iterator_traitsISJ_E10value_typeEPNSP_ISK_E10value_typeEPSL_NS1_7vsmem_tEENKUlT_SJ_SK_SL_E_clIPySE_SF_SF_EESI_SY_SJ_SK_SL_EUlSY_E1_NS1_11comp_targetILNS1_3genE4ELNS1_11target_archE910ELNS1_3gpuE8ELNS1_3repE0EEENS1_36merge_oddeven_config_static_selectorELNS0_4arch9wavefront6targetE1EEEvSK_
                                        ; -- End function
	.section	.AMDGPU.csdata,"",@progbits
; Kernel info:
; codeLenInByte = 588
; NumSgprs: 25
; NumVgprs: 12
; NumAgprs: 0
; TotalNumVgprs: 12
; ScratchSize: 0
; MemoryBound: 0
; FloatMode: 240
; IeeeMode: 1
; LDSByteSize: 0 bytes/workgroup (compile time only)
; SGPRBlocks: 3
; VGPRBlocks: 1
; NumSGPRsForWavesPerEU: 25
; NumVGPRsForWavesPerEU: 12
; AccumOffset: 12
; Occupancy: 8
; WaveLimiterHint : 0
; COMPUTE_PGM_RSRC2:SCRATCH_EN: 0
; COMPUTE_PGM_RSRC2:USER_SGPR: 6
; COMPUTE_PGM_RSRC2:TRAP_HANDLER: 0
; COMPUTE_PGM_RSRC2:TGID_X_EN: 1
; COMPUTE_PGM_RSRC2:TGID_Y_EN: 0
; COMPUTE_PGM_RSRC2:TGID_Z_EN: 0
; COMPUTE_PGM_RSRC2:TIDIG_COMP_CNT: 0
; COMPUTE_PGM_RSRC3_GFX90A:ACCUM_OFFSET: 2
; COMPUTE_PGM_RSRC3_GFX90A:TG_SPLIT: 0
	.section	.text._ZN7rocprim17ROCPRIM_400000_NS6detail17trampoline_kernelINS0_14default_configENS1_38merge_sort_block_merge_config_selectorIyNS0_10empty_typeEEEZZNS1_27merge_sort_block_merge_implIS3_N6thrust23THRUST_200600_302600_NS6detail15normal_iteratorINS9_10device_ptrIyEEEEPS5_m14custom_greaterIyEEE10hipError_tT0_T1_T2_jT3_P12ihipStream_tbPNSt15iterator_traitsISJ_E10value_typeEPNSP_ISK_E10value_typeEPSL_NS1_7vsmem_tEENKUlT_SJ_SK_SL_E_clIPySE_SF_SF_EESI_SY_SJ_SK_SL_EUlSY_E1_NS1_11comp_targetILNS1_3genE3ELNS1_11target_archE908ELNS1_3gpuE7ELNS1_3repE0EEENS1_36merge_oddeven_config_static_selectorELNS0_4arch9wavefront6targetE1EEEvSK_,"axG",@progbits,_ZN7rocprim17ROCPRIM_400000_NS6detail17trampoline_kernelINS0_14default_configENS1_38merge_sort_block_merge_config_selectorIyNS0_10empty_typeEEEZZNS1_27merge_sort_block_merge_implIS3_N6thrust23THRUST_200600_302600_NS6detail15normal_iteratorINS9_10device_ptrIyEEEEPS5_m14custom_greaterIyEEE10hipError_tT0_T1_T2_jT3_P12ihipStream_tbPNSt15iterator_traitsISJ_E10value_typeEPNSP_ISK_E10value_typeEPSL_NS1_7vsmem_tEENKUlT_SJ_SK_SL_E_clIPySE_SF_SF_EESI_SY_SJ_SK_SL_EUlSY_E1_NS1_11comp_targetILNS1_3genE3ELNS1_11target_archE908ELNS1_3gpuE7ELNS1_3repE0EEENS1_36merge_oddeven_config_static_selectorELNS0_4arch9wavefront6targetE1EEEvSK_,comdat
	.protected	_ZN7rocprim17ROCPRIM_400000_NS6detail17trampoline_kernelINS0_14default_configENS1_38merge_sort_block_merge_config_selectorIyNS0_10empty_typeEEEZZNS1_27merge_sort_block_merge_implIS3_N6thrust23THRUST_200600_302600_NS6detail15normal_iteratorINS9_10device_ptrIyEEEEPS5_m14custom_greaterIyEEE10hipError_tT0_T1_T2_jT3_P12ihipStream_tbPNSt15iterator_traitsISJ_E10value_typeEPNSP_ISK_E10value_typeEPSL_NS1_7vsmem_tEENKUlT_SJ_SK_SL_E_clIPySE_SF_SF_EESI_SY_SJ_SK_SL_EUlSY_E1_NS1_11comp_targetILNS1_3genE3ELNS1_11target_archE908ELNS1_3gpuE7ELNS1_3repE0EEENS1_36merge_oddeven_config_static_selectorELNS0_4arch9wavefront6targetE1EEEvSK_ ; -- Begin function _ZN7rocprim17ROCPRIM_400000_NS6detail17trampoline_kernelINS0_14default_configENS1_38merge_sort_block_merge_config_selectorIyNS0_10empty_typeEEEZZNS1_27merge_sort_block_merge_implIS3_N6thrust23THRUST_200600_302600_NS6detail15normal_iteratorINS9_10device_ptrIyEEEEPS5_m14custom_greaterIyEEE10hipError_tT0_T1_T2_jT3_P12ihipStream_tbPNSt15iterator_traitsISJ_E10value_typeEPNSP_ISK_E10value_typeEPSL_NS1_7vsmem_tEENKUlT_SJ_SK_SL_E_clIPySE_SF_SF_EESI_SY_SJ_SK_SL_EUlSY_E1_NS1_11comp_targetILNS1_3genE3ELNS1_11target_archE908ELNS1_3gpuE7ELNS1_3repE0EEENS1_36merge_oddeven_config_static_selectorELNS0_4arch9wavefront6targetE1EEEvSK_
	.globl	_ZN7rocprim17ROCPRIM_400000_NS6detail17trampoline_kernelINS0_14default_configENS1_38merge_sort_block_merge_config_selectorIyNS0_10empty_typeEEEZZNS1_27merge_sort_block_merge_implIS3_N6thrust23THRUST_200600_302600_NS6detail15normal_iteratorINS9_10device_ptrIyEEEEPS5_m14custom_greaterIyEEE10hipError_tT0_T1_T2_jT3_P12ihipStream_tbPNSt15iterator_traitsISJ_E10value_typeEPNSP_ISK_E10value_typeEPSL_NS1_7vsmem_tEENKUlT_SJ_SK_SL_E_clIPySE_SF_SF_EESI_SY_SJ_SK_SL_EUlSY_E1_NS1_11comp_targetILNS1_3genE3ELNS1_11target_archE908ELNS1_3gpuE7ELNS1_3repE0EEENS1_36merge_oddeven_config_static_selectorELNS0_4arch9wavefront6targetE1EEEvSK_
	.p2align	8
	.type	_ZN7rocprim17ROCPRIM_400000_NS6detail17trampoline_kernelINS0_14default_configENS1_38merge_sort_block_merge_config_selectorIyNS0_10empty_typeEEEZZNS1_27merge_sort_block_merge_implIS3_N6thrust23THRUST_200600_302600_NS6detail15normal_iteratorINS9_10device_ptrIyEEEEPS5_m14custom_greaterIyEEE10hipError_tT0_T1_T2_jT3_P12ihipStream_tbPNSt15iterator_traitsISJ_E10value_typeEPNSP_ISK_E10value_typeEPSL_NS1_7vsmem_tEENKUlT_SJ_SK_SL_E_clIPySE_SF_SF_EESI_SY_SJ_SK_SL_EUlSY_E1_NS1_11comp_targetILNS1_3genE3ELNS1_11target_archE908ELNS1_3gpuE7ELNS1_3repE0EEENS1_36merge_oddeven_config_static_selectorELNS0_4arch9wavefront6targetE1EEEvSK_,@function
_ZN7rocprim17ROCPRIM_400000_NS6detail17trampoline_kernelINS0_14default_configENS1_38merge_sort_block_merge_config_selectorIyNS0_10empty_typeEEEZZNS1_27merge_sort_block_merge_implIS3_N6thrust23THRUST_200600_302600_NS6detail15normal_iteratorINS9_10device_ptrIyEEEEPS5_m14custom_greaterIyEEE10hipError_tT0_T1_T2_jT3_P12ihipStream_tbPNSt15iterator_traitsISJ_E10value_typeEPNSP_ISK_E10value_typeEPSL_NS1_7vsmem_tEENKUlT_SJ_SK_SL_E_clIPySE_SF_SF_EESI_SY_SJ_SK_SL_EUlSY_E1_NS1_11comp_targetILNS1_3genE3ELNS1_11target_archE908ELNS1_3gpuE7ELNS1_3repE0EEENS1_36merge_oddeven_config_static_selectorELNS0_4arch9wavefront6targetE1EEEvSK_: ; @_ZN7rocprim17ROCPRIM_400000_NS6detail17trampoline_kernelINS0_14default_configENS1_38merge_sort_block_merge_config_selectorIyNS0_10empty_typeEEEZZNS1_27merge_sort_block_merge_implIS3_N6thrust23THRUST_200600_302600_NS6detail15normal_iteratorINS9_10device_ptrIyEEEEPS5_m14custom_greaterIyEEE10hipError_tT0_T1_T2_jT3_P12ihipStream_tbPNSt15iterator_traitsISJ_E10value_typeEPNSP_ISK_E10value_typeEPSL_NS1_7vsmem_tEENKUlT_SJ_SK_SL_E_clIPySE_SF_SF_EESI_SY_SJ_SK_SL_EUlSY_E1_NS1_11comp_targetILNS1_3genE3ELNS1_11target_archE908ELNS1_3gpuE7ELNS1_3repE0EEENS1_36merge_oddeven_config_static_selectorELNS0_4arch9wavefront6targetE1EEEvSK_
; %bb.0:
	.section	.rodata,"a",@progbits
	.p2align	6, 0x0
	.amdhsa_kernel _ZN7rocprim17ROCPRIM_400000_NS6detail17trampoline_kernelINS0_14default_configENS1_38merge_sort_block_merge_config_selectorIyNS0_10empty_typeEEEZZNS1_27merge_sort_block_merge_implIS3_N6thrust23THRUST_200600_302600_NS6detail15normal_iteratorINS9_10device_ptrIyEEEEPS5_m14custom_greaterIyEEE10hipError_tT0_T1_T2_jT3_P12ihipStream_tbPNSt15iterator_traitsISJ_E10value_typeEPNSP_ISK_E10value_typeEPSL_NS1_7vsmem_tEENKUlT_SJ_SK_SL_E_clIPySE_SF_SF_EESI_SY_SJ_SK_SL_EUlSY_E1_NS1_11comp_targetILNS1_3genE3ELNS1_11target_archE908ELNS1_3gpuE7ELNS1_3repE0EEENS1_36merge_oddeven_config_static_selectorELNS0_4arch9wavefront6targetE1EEEvSK_
		.amdhsa_group_segment_fixed_size 0
		.amdhsa_private_segment_fixed_size 0
		.amdhsa_kernarg_size 56
		.amdhsa_user_sgpr_count 6
		.amdhsa_user_sgpr_private_segment_buffer 1
		.amdhsa_user_sgpr_dispatch_ptr 0
		.amdhsa_user_sgpr_queue_ptr 0
		.amdhsa_user_sgpr_kernarg_segment_ptr 1
		.amdhsa_user_sgpr_dispatch_id 0
		.amdhsa_user_sgpr_flat_scratch_init 0
		.amdhsa_user_sgpr_kernarg_preload_length 0
		.amdhsa_user_sgpr_kernarg_preload_offset 0
		.amdhsa_user_sgpr_private_segment_size 0
		.amdhsa_uses_dynamic_stack 0
		.amdhsa_system_sgpr_private_segment_wavefront_offset 0
		.amdhsa_system_sgpr_workgroup_id_x 1
		.amdhsa_system_sgpr_workgroup_id_y 0
		.amdhsa_system_sgpr_workgroup_id_z 0
		.amdhsa_system_sgpr_workgroup_info 0
		.amdhsa_system_vgpr_workitem_id 0
		.amdhsa_next_free_vgpr 1
		.amdhsa_next_free_sgpr 0
		.amdhsa_accum_offset 4
		.amdhsa_reserve_vcc 0
		.amdhsa_reserve_flat_scratch 0
		.amdhsa_float_round_mode_32 0
		.amdhsa_float_round_mode_16_64 0
		.amdhsa_float_denorm_mode_32 3
		.amdhsa_float_denorm_mode_16_64 3
		.amdhsa_dx10_clamp 1
		.amdhsa_ieee_mode 1
		.amdhsa_fp16_overflow 0
		.amdhsa_tg_split 0
		.amdhsa_exception_fp_ieee_invalid_op 0
		.amdhsa_exception_fp_denorm_src 0
		.amdhsa_exception_fp_ieee_div_zero 0
		.amdhsa_exception_fp_ieee_overflow 0
		.amdhsa_exception_fp_ieee_underflow 0
		.amdhsa_exception_fp_ieee_inexact 0
		.amdhsa_exception_int_div_zero 0
	.end_amdhsa_kernel
	.section	.text._ZN7rocprim17ROCPRIM_400000_NS6detail17trampoline_kernelINS0_14default_configENS1_38merge_sort_block_merge_config_selectorIyNS0_10empty_typeEEEZZNS1_27merge_sort_block_merge_implIS3_N6thrust23THRUST_200600_302600_NS6detail15normal_iteratorINS9_10device_ptrIyEEEEPS5_m14custom_greaterIyEEE10hipError_tT0_T1_T2_jT3_P12ihipStream_tbPNSt15iterator_traitsISJ_E10value_typeEPNSP_ISK_E10value_typeEPSL_NS1_7vsmem_tEENKUlT_SJ_SK_SL_E_clIPySE_SF_SF_EESI_SY_SJ_SK_SL_EUlSY_E1_NS1_11comp_targetILNS1_3genE3ELNS1_11target_archE908ELNS1_3gpuE7ELNS1_3repE0EEENS1_36merge_oddeven_config_static_selectorELNS0_4arch9wavefront6targetE1EEEvSK_,"axG",@progbits,_ZN7rocprim17ROCPRIM_400000_NS6detail17trampoline_kernelINS0_14default_configENS1_38merge_sort_block_merge_config_selectorIyNS0_10empty_typeEEEZZNS1_27merge_sort_block_merge_implIS3_N6thrust23THRUST_200600_302600_NS6detail15normal_iteratorINS9_10device_ptrIyEEEEPS5_m14custom_greaterIyEEE10hipError_tT0_T1_T2_jT3_P12ihipStream_tbPNSt15iterator_traitsISJ_E10value_typeEPNSP_ISK_E10value_typeEPSL_NS1_7vsmem_tEENKUlT_SJ_SK_SL_E_clIPySE_SF_SF_EESI_SY_SJ_SK_SL_EUlSY_E1_NS1_11comp_targetILNS1_3genE3ELNS1_11target_archE908ELNS1_3gpuE7ELNS1_3repE0EEENS1_36merge_oddeven_config_static_selectorELNS0_4arch9wavefront6targetE1EEEvSK_,comdat
.Lfunc_end3483:
	.size	_ZN7rocprim17ROCPRIM_400000_NS6detail17trampoline_kernelINS0_14default_configENS1_38merge_sort_block_merge_config_selectorIyNS0_10empty_typeEEEZZNS1_27merge_sort_block_merge_implIS3_N6thrust23THRUST_200600_302600_NS6detail15normal_iteratorINS9_10device_ptrIyEEEEPS5_m14custom_greaterIyEEE10hipError_tT0_T1_T2_jT3_P12ihipStream_tbPNSt15iterator_traitsISJ_E10value_typeEPNSP_ISK_E10value_typeEPSL_NS1_7vsmem_tEENKUlT_SJ_SK_SL_E_clIPySE_SF_SF_EESI_SY_SJ_SK_SL_EUlSY_E1_NS1_11comp_targetILNS1_3genE3ELNS1_11target_archE908ELNS1_3gpuE7ELNS1_3repE0EEENS1_36merge_oddeven_config_static_selectorELNS0_4arch9wavefront6targetE1EEEvSK_, .Lfunc_end3483-_ZN7rocprim17ROCPRIM_400000_NS6detail17trampoline_kernelINS0_14default_configENS1_38merge_sort_block_merge_config_selectorIyNS0_10empty_typeEEEZZNS1_27merge_sort_block_merge_implIS3_N6thrust23THRUST_200600_302600_NS6detail15normal_iteratorINS9_10device_ptrIyEEEEPS5_m14custom_greaterIyEEE10hipError_tT0_T1_T2_jT3_P12ihipStream_tbPNSt15iterator_traitsISJ_E10value_typeEPNSP_ISK_E10value_typeEPSL_NS1_7vsmem_tEENKUlT_SJ_SK_SL_E_clIPySE_SF_SF_EESI_SY_SJ_SK_SL_EUlSY_E1_NS1_11comp_targetILNS1_3genE3ELNS1_11target_archE908ELNS1_3gpuE7ELNS1_3repE0EEENS1_36merge_oddeven_config_static_selectorELNS0_4arch9wavefront6targetE1EEEvSK_
                                        ; -- End function
	.section	.AMDGPU.csdata,"",@progbits
; Kernel info:
; codeLenInByte = 0
; NumSgprs: 4
; NumVgprs: 0
; NumAgprs: 0
; TotalNumVgprs: 0
; ScratchSize: 0
; MemoryBound: 0
; FloatMode: 240
; IeeeMode: 1
; LDSByteSize: 0 bytes/workgroup (compile time only)
; SGPRBlocks: 0
; VGPRBlocks: 0
; NumSGPRsForWavesPerEU: 4
; NumVGPRsForWavesPerEU: 1
; AccumOffset: 4
; Occupancy: 8
; WaveLimiterHint : 0
; COMPUTE_PGM_RSRC2:SCRATCH_EN: 0
; COMPUTE_PGM_RSRC2:USER_SGPR: 6
; COMPUTE_PGM_RSRC2:TRAP_HANDLER: 0
; COMPUTE_PGM_RSRC2:TGID_X_EN: 1
; COMPUTE_PGM_RSRC2:TGID_Y_EN: 0
; COMPUTE_PGM_RSRC2:TGID_Z_EN: 0
; COMPUTE_PGM_RSRC2:TIDIG_COMP_CNT: 0
; COMPUTE_PGM_RSRC3_GFX90A:ACCUM_OFFSET: 0
; COMPUTE_PGM_RSRC3_GFX90A:TG_SPLIT: 0
	.section	.text._ZN7rocprim17ROCPRIM_400000_NS6detail17trampoline_kernelINS0_14default_configENS1_38merge_sort_block_merge_config_selectorIyNS0_10empty_typeEEEZZNS1_27merge_sort_block_merge_implIS3_N6thrust23THRUST_200600_302600_NS6detail15normal_iteratorINS9_10device_ptrIyEEEEPS5_m14custom_greaterIyEEE10hipError_tT0_T1_T2_jT3_P12ihipStream_tbPNSt15iterator_traitsISJ_E10value_typeEPNSP_ISK_E10value_typeEPSL_NS1_7vsmem_tEENKUlT_SJ_SK_SL_E_clIPySE_SF_SF_EESI_SY_SJ_SK_SL_EUlSY_E1_NS1_11comp_targetILNS1_3genE2ELNS1_11target_archE906ELNS1_3gpuE6ELNS1_3repE0EEENS1_36merge_oddeven_config_static_selectorELNS0_4arch9wavefront6targetE1EEEvSK_,"axG",@progbits,_ZN7rocprim17ROCPRIM_400000_NS6detail17trampoline_kernelINS0_14default_configENS1_38merge_sort_block_merge_config_selectorIyNS0_10empty_typeEEEZZNS1_27merge_sort_block_merge_implIS3_N6thrust23THRUST_200600_302600_NS6detail15normal_iteratorINS9_10device_ptrIyEEEEPS5_m14custom_greaterIyEEE10hipError_tT0_T1_T2_jT3_P12ihipStream_tbPNSt15iterator_traitsISJ_E10value_typeEPNSP_ISK_E10value_typeEPSL_NS1_7vsmem_tEENKUlT_SJ_SK_SL_E_clIPySE_SF_SF_EESI_SY_SJ_SK_SL_EUlSY_E1_NS1_11comp_targetILNS1_3genE2ELNS1_11target_archE906ELNS1_3gpuE6ELNS1_3repE0EEENS1_36merge_oddeven_config_static_selectorELNS0_4arch9wavefront6targetE1EEEvSK_,comdat
	.protected	_ZN7rocprim17ROCPRIM_400000_NS6detail17trampoline_kernelINS0_14default_configENS1_38merge_sort_block_merge_config_selectorIyNS0_10empty_typeEEEZZNS1_27merge_sort_block_merge_implIS3_N6thrust23THRUST_200600_302600_NS6detail15normal_iteratorINS9_10device_ptrIyEEEEPS5_m14custom_greaterIyEEE10hipError_tT0_T1_T2_jT3_P12ihipStream_tbPNSt15iterator_traitsISJ_E10value_typeEPNSP_ISK_E10value_typeEPSL_NS1_7vsmem_tEENKUlT_SJ_SK_SL_E_clIPySE_SF_SF_EESI_SY_SJ_SK_SL_EUlSY_E1_NS1_11comp_targetILNS1_3genE2ELNS1_11target_archE906ELNS1_3gpuE6ELNS1_3repE0EEENS1_36merge_oddeven_config_static_selectorELNS0_4arch9wavefront6targetE1EEEvSK_ ; -- Begin function _ZN7rocprim17ROCPRIM_400000_NS6detail17trampoline_kernelINS0_14default_configENS1_38merge_sort_block_merge_config_selectorIyNS0_10empty_typeEEEZZNS1_27merge_sort_block_merge_implIS3_N6thrust23THRUST_200600_302600_NS6detail15normal_iteratorINS9_10device_ptrIyEEEEPS5_m14custom_greaterIyEEE10hipError_tT0_T1_T2_jT3_P12ihipStream_tbPNSt15iterator_traitsISJ_E10value_typeEPNSP_ISK_E10value_typeEPSL_NS1_7vsmem_tEENKUlT_SJ_SK_SL_E_clIPySE_SF_SF_EESI_SY_SJ_SK_SL_EUlSY_E1_NS1_11comp_targetILNS1_3genE2ELNS1_11target_archE906ELNS1_3gpuE6ELNS1_3repE0EEENS1_36merge_oddeven_config_static_selectorELNS0_4arch9wavefront6targetE1EEEvSK_
	.globl	_ZN7rocprim17ROCPRIM_400000_NS6detail17trampoline_kernelINS0_14default_configENS1_38merge_sort_block_merge_config_selectorIyNS0_10empty_typeEEEZZNS1_27merge_sort_block_merge_implIS3_N6thrust23THRUST_200600_302600_NS6detail15normal_iteratorINS9_10device_ptrIyEEEEPS5_m14custom_greaterIyEEE10hipError_tT0_T1_T2_jT3_P12ihipStream_tbPNSt15iterator_traitsISJ_E10value_typeEPNSP_ISK_E10value_typeEPSL_NS1_7vsmem_tEENKUlT_SJ_SK_SL_E_clIPySE_SF_SF_EESI_SY_SJ_SK_SL_EUlSY_E1_NS1_11comp_targetILNS1_3genE2ELNS1_11target_archE906ELNS1_3gpuE6ELNS1_3repE0EEENS1_36merge_oddeven_config_static_selectorELNS0_4arch9wavefront6targetE1EEEvSK_
	.p2align	8
	.type	_ZN7rocprim17ROCPRIM_400000_NS6detail17trampoline_kernelINS0_14default_configENS1_38merge_sort_block_merge_config_selectorIyNS0_10empty_typeEEEZZNS1_27merge_sort_block_merge_implIS3_N6thrust23THRUST_200600_302600_NS6detail15normal_iteratorINS9_10device_ptrIyEEEEPS5_m14custom_greaterIyEEE10hipError_tT0_T1_T2_jT3_P12ihipStream_tbPNSt15iterator_traitsISJ_E10value_typeEPNSP_ISK_E10value_typeEPSL_NS1_7vsmem_tEENKUlT_SJ_SK_SL_E_clIPySE_SF_SF_EESI_SY_SJ_SK_SL_EUlSY_E1_NS1_11comp_targetILNS1_3genE2ELNS1_11target_archE906ELNS1_3gpuE6ELNS1_3repE0EEENS1_36merge_oddeven_config_static_selectorELNS0_4arch9wavefront6targetE1EEEvSK_,@function
_ZN7rocprim17ROCPRIM_400000_NS6detail17trampoline_kernelINS0_14default_configENS1_38merge_sort_block_merge_config_selectorIyNS0_10empty_typeEEEZZNS1_27merge_sort_block_merge_implIS3_N6thrust23THRUST_200600_302600_NS6detail15normal_iteratorINS9_10device_ptrIyEEEEPS5_m14custom_greaterIyEEE10hipError_tT0_T1_T2_jT3_P12ihipStream_tbPNSt15iterator_traitsISJ_E10value_typeEPNSP_ISK_E10value_typeEPSL_NS1_7vsmem_tEENKUlT_SJ_SK_SL_E_clIPySE_SF_SF_EESI_SY_SJ_SK_SL_EUlSY_E1_NS1_11comp_targetILNS1_3genE2ELNS1_11target_archE906ELNS1_3gpuE6ELNS1_3repE0EEENS1_36merge_oddeven_config_static_selectorELNS0_4arch9wavefront6targetE1EEEvSK_: ; @_ZN7rocprim17ROCPRIM_400000_NS6detail17trampoline_kernelINS0_14default_configENS1_38merge_sort_block_merge_config_selectorIyNS0_10empty_typeEEEZZNS1_27merge_sort_block_merge_implIS3_N6thrust23THRUST_200600_302600_NS6detail15normal_iteratorINS9_10device_ptrIyEEEEPS5_m14custom_greaterIyEEE10hipError_tT0_T1_T2_jT3_P12ihipStream_tbPNSt15iterator_traitsISJ_E10value_typeEPNSP_ISK_E10value_typeEPSL_NS1_7vsmem_tEENKUlT_SJ_SK_SL_E_clIPySE_SF_SF_EESI_SY_SJ_SK_SL_EUlSY_E1_NS1_11comp_targetILNS1_3genE2ELNS1_11target_archE906ELNS1_3gpuE6ELNS1_3repE0EEENS1_36merge_oddeven_config_static_selectorELNS0_4arch9wavefront6targetE1EEEvSK_
; %bb.0:
	.section	.rodata,"a",@progbits
	.p2align	6, 0x0
	.amdhsa_kernel _ZN7rocprim17ROCPRIM_400000_NS6detail17trampoline_kernelINS0_14default_configENS1_38merge_sort_block_merge_config_selectorIyNS0_10empty_typeEEEZZNS1_27merge_sort_block_merge_implIS3_N6thrust23THRUST_200600_302600_NS6detail15normal_iteratorINS9_10device_ptrIyEEEEPS5_m14custom_greaterIyEEE10hipError_tT0_T1_T2_jT3_P12ihipStream_tbPNSt15iterator_traitsISJ_E10value_typeEPNSP_ISK_E10value_typeEPSL_NS1_7vsmem_tEENKUlT_SJ_SK_SL_E_clIPySE_SF_SF_EESI_SY_SJ_SK_SL_EUlSY_E1_NS1_11comp_targetILNS1_3genE2ELNS1_11target_archE906ELNS1_3gpuE6ELNS1_3repE0EEENS1_36merge_oddeven_config_static_selectorELNS0_4arch9wavefront6targetE1EEEvSK_
		.amdhsa_group_segment_fixed_size 0
		.amdhsa_private_segment_fixed_size 0
		.amdhsa_kernarg_size 56
		.amdhsa_user_sgpr_count 6
		.amdhsa_user_sgpr_private_segment_buffer 1
		.amdhsa_user_sgpr_dispatch_ptr 0
		.amdhsa_user_sgpr_queue_ptr 0
		.amdhsa_user_sgpr_kernarg_segment_ptr 1
		.amdhsa_user_sgpr_dispatch_id 0
		.amdhsa_user_sgpr_flat_scratch_init 0
		.amdhsa_user_sgpr_kernarg_preload_length 0
		.amdhsa_user_sgpr_kernarg_preload_offset 0
		.amdhsa_user_sgpr_private_segment_size 0
		.amdhsa_uses_dynamic_stack 0
		.amdhsa_system_sgpr_private_segment_wavefront_offset 0
		.amdhsa_system_sgpr_workgroup_id_x 1
		.amdhsa_system_sgpr_workgroup_id_y 0
		.amdhsa_system_sgpr_workgroup_id_z 0
		.amdhsa_system_sgpr_workgroup_info 0
		.amdhsa_system_vgpr_workitem_id 0
		.amdhsa_next_free_vgpr 1
		.amdhsa_next_free_sgpr 0
		.amdhsa_accum_offset 4
		.amdhsa_reserve_vcc 0
		.amdhsa_reserve_flat_scratch 0
		.amdhsa_float_round_mode_32 0
		.amdhsa_float_round_mode_16_64 0
		.amdhsa_float_denorm_mode_32 3
		.amdhsa_float_denorm_mode_16_64 3
		.amdhsa_dx10_clamp 1
		.amdhsa_ieee_mode 1
		.amdhsa_fp16_overflow 0
		.amdhsa_tg_split 0
		.amdhsa_exception_fp_ieee_invalid_op 0
		.amdhsa_exception_fp_denorm_src 0
		.amdhsa_exception_fp_ieee_div_zero 0
		.amdhsa_exception_fp_ieee_overflow 0
		.amdhsa_exception_fp_ieee_underflow 0
		.amdhsa_exception_fp_ieee_inexact 0
		.amdhsa_exception_int_div_zero 0
	.end_amdhsa_kernel
	.section	.text._ZN7rocprim17ROCPRIM_400000_NS6detail17trampoline_kernelINS0_14default_configENS1_38merge_sort_block_merge_config_selectorIyNS0_10empty_typeEEEZZNS1_27merge_sort_block_merge_implIS3_N6thrust23THRUST_200600_302600_NS6detail15normal_iteratorINS9_10device_ptrIyEEEEPS5_m14custom_greaterIyEEE10hipError_tT0_T1_T2_jT3_P12ihipStream_tbPNSt15iterator_traitsISJ_E10value_typeEPNSP_ISK_E10value_typeEPSL_NS1_7vsmem_tEENKUlT_SJ_SK_SL_E_clIPySE_SF_SF_EESI_SY_SJ_SK_SL_EUlSY_E1_NS1_11comp_targetILNS1_3genE2ELNS1_11target_archE906ELNS1_3gpuE6ELNS1_3repE0EEENS1_36merge_oddeven_config_static_selectorELNS0_4arch9wavefront6targetE1EEEvSK_,"axG",@progbits,_ZN7rocprim17ROCPRIM_400000_NS6detail17trampoline_kernelINS0_14default_configENS1_38merge_sort_block_merge_config_selectorIyNS0_10empty_typeEEEZZNS1_27merge_sort_block_merge_implIS3_N6thrust23THRUST_200600_302600_NS6detail15normal_iteratorINS9_10device_ptrIyEEEEPS5_m14custom_greaterIyEEE10hipError_tT0_T1_T2_jT3_P12ihipStream_tbPNSt15iterator_traitsISJ_E10value_typeEPNSP_ISK_E10value_typeEPSL_NS1_7vsmem_tEENKUlT_SJ_SK_SL_E_clIPySE_SF_SF_EESI_SY_SJ_SK_SL_EUlSY_E1_NS1_11comp_targetILNS1_3genE2ELNS1_11target_archE906ELNS1_3gpuE6ELNS1_3repE0EEENS1_36merge_oddeven_config_static_selectorELNS0_4arch9wavefront6targetE1EEEvSK_,comdat
.Lfunc_end3484:
	.size	_ZN7rocprim17ROCPRIM_400000_NS6detail17trampoline_kernelINS0_14default_configENS1_38merge_sort_block_merge_config_selectorIyNS0_10empty_typeEEEZZNS1_27merge_sort_block_merge_implIS3_N6thrust23THRUST_200600_302600_NS6detail15normal_iteratorINS9_10device_ptrIyEEEEPS5_m14custom_greaterIyEEE10hipError_tT0_T1_T2_jT3_P12ihipStream_tbPNSt15iterator_traitsISJ_E10value_typeEPNSP_ISK_E10value_typeEPSL_NS1_7vsmem_tEENKUlT_SJ_SK_SL_E_clIPySE_SF_SF_EESI_SY_SJ_SK_SL_EUlSY_E1_NS1_11comp_targetILNS1_3genE2ELNS1_11target_archE906ELNS1_3gpuE6ELNS1_3repE0EEENS1_36merge_oddeven_config_static_selectorELNS0_4arch9wavefront6targetE1EEEvSK_, .Lfunc_end3484-_ZN7rocprim17ROCPRIM_400000_NS6detail17trampoline_kernelINS0_14default_configENS1_38merge_sort_block_merge_config_selectorIyNS0_10empty_typeEEEZZNS1_27merge_sort_block_merge_implIS3_N6thrust23THRUST_200600_302600_NS6detail15normal_iteratorINS9_10device_ptrIyEEEEPS5_m14custom_greaterIyEEE10hipError_tT0_T1_T2_jT3_P12ihipStream_tbPNSt15iterator_traitsISJ_E10value_typeEPNSP_ISK_E10value_typeEPSL_NS1_7vsmem_tEENKUlT_SJ_SK_SL_E_clIPySE_SF_SF_EESI_SY_SJ_SK_SL_EUlSY_E1_NS1_11comp_targetILNS1_3genE2ELNS1_11target_archE906ELNS1_3gpuE6ELNS1_3repE0EEENS1_36merge_oddeven_config_static_selectorELNS0_4arch9wavefront6targetE1EEEvSK_
                                        ; -- End function
	.section	.AMDGPU.csdata,"",@progbits
; Kernel info:
; codeLenInByte = 0
; NumSgprs: 4
; NumVgprs: 0
; NumAgprs: 0
; TotalNumVgprs: 0
; ScratchSize: 0
; MemoryBound: 0
; FloatMode: 240
; IeeeMode: 1
; LDSByteSize: 0 bytes/workgroup (compile time only)
; SGPRBlocks: 0
; VGPRBlocks: 0
; NumSGPRsForWavesPerEU: 4
; NumVGPRsForWavesPerEU: 1
; AccumOffset: 4
; Occupancy: 8
; WaveLimiterHint : 0
; COMPUTE_PGM_RSRC2:SCRATCH_EN: 0
; COMPUTE_PGM_RSRC2:USER_SGPR: 6
; COMPUTE_PGM_RSRC2:TRAP_HANDLER: 0
; COMPUTE_PGM_RSRC2:TGID_X_EN: 1
; COMPUTE_PGM_RSRC2:TGID_Y_EN: 0
; COMPUTE_PGM_RSRC2:TGID_Z_EN: 0
; COMPUTE_PGM_RSRC2:TIDIG_COMP_CNT: 0
; COMPUTE_PGM_RSRC3_GFX90A:ACCUM_OFFSET: 0
; COMPUTE_PGM_RSRC3_GFX90A:TG_SPLIT: 0
	.section	.text._ZN7rocprim17ROCPRIM_400000_NS6detail17trampoline_kernelINS0_14default_configENS1_38merge_sort_block_merge_config_selectorIyNS0_10empty_typeEEEZZNS1_27merge_sort_block_merge_implIS3_N6thrust23THRUST_200600_302600_NS6detail15normal_iteratorINS9_10device_ptrIyEEEEPS5_m14custom_greaterIyEEE10hipError_tT0_T1_T2_jT3_P12ihipStream_tbPNSt15iterator_traitsISJ_E10value_typeEPNSP_ISK_E10value_typeEPSL_NS1_7vsmem_tEENKUlT_SJ_SK_SL_E_clIPySE_SF_SF_EESI_SY_SJ_SK_SL_EUlSY_E1_NS1_11comp_targetILNS1_3genE9ELNS1_11target_archE1100ELNS1_3gpuE3ELNS1_3repE0EEENS1_36merge_oddeven_config_static_selectorELNS0_4arch9wavefront6targetE1EEEvSK_,"axG",@progbits,_ZN7rocprim17ROCPRIM_400000_NS6detail17trampoline_kernelINS0_14default_configENS1_38merge_sort_block_merge_config_selectorIyNS0_10empty_typeEEEZZNS1_27merge_sort_block_merge_implIS3_N6thrust23THRUST_200600_302600_NS6detail15normal_iteratorINS9_10device_ptrIyEEEEPS5_m14custom_greaterIyEEE10hipError_tT0_T1_T2_jT3_P12ihipStream_tbPNSt15iterator_traitsISJ_E10value_typeEPNSP_ISK_E10value_typeEPSL_NS1_7vsmem_tEENKUlT_SJ_SK_SL_E_clIPySE_SF_SF_EESI_SY_SJ_SK_SL_EUlSY_E1_NS1_11comp_targetILNS1_3genE9ELNS1_11target_archE1100ELNS1_3gpuE3ELNS1_3repE0EEENS1_36merge_oddeven_config_static_selectorELNS0_4arch9wavefront6targetE1EEEvSK_,comdat
	.protected	_ZN7rocprim17ROCPRIM_400000_NS6detail17trampoline_kernelINS0_14default_configENS1_38merge_sort_block_merge_config_selectorIyNS0_10empty_typeEEEZZNS1_27merge_sort_block_merge_implIS3_N6thrust23THRUST_200600_302600_NS6detail15normal_iteratorINS9_10device_ptrIyEEEEPS5_m14custom_greaterIyEEE10hipError_tT0_T1_T2_jT3_P12ihipStream_tbPNSt15iterator_traitsISJ_E10value_typeEPNSP_ISK_E10value_typeEPSL_NS1_7vsmem_tEENKUlT_SJ_SK_SL_E_clIPySE_SF_SF_EESI_SY_SJ_SK_SL_EUlSY_E1_NS1_11comp_targetILNS1_3genE9ELNS1_11target_archE1100ELNS1_3gpuE3ELNS1_3repE0EEENS1_36merge_oddeven_config_static_selectorELNS0_4arch9wavefront6targetE1EEEvSK_ ; -- Begin function _ZN7rocprim17ROCPRIM_400000_NS6detail17trampoline_kernelINS0_14default_configENS1_38merge_sort_block_merge_config_selectorIyNS0_10empty_typeEEEZZNS1_27merge_sort_block_merge_implIS3_N6thrust23THRUST_200600_302600_NS6detail15normal_iteratorINS9_10device_ptrIyEEEEPS5_m14custom_greaterIyEEE10hipError_tT0_T1_T2_jT3_P12ihipStream_tbPNSt15iterator_traitsISJ_E10value_typeEPNSP_ISK_E10value_typeEPSL_NS1_7vsmem_tEENKUlT_SJ_SK_SL_E_clIPySE_SF_SF_EESI_SY_SJ_SK_SL_EUlSY_E1_NS1_11comp_targetILNS1_3genE9ELNS1_11target_archE1100ELNS1_3gpuE3ELNS1_3repE0EEENS1_36merge_oddeven_config_static_selectorELNS0_4arch9wavefront6targetE1EEEvSK_
	.globl	_ZN7rocprim17ROCPRIM_400000_NS6detail17trampoline_kernelINS0_14default_configENS1_38merge_sort_block_merge_config_selectorIyNS0_10empty_typeEEEZZNS1_27merge_sort_block_merge_implIS3_N6thrust23THRUST_200600_302600_NS6detail15normal_iteratorINS9_10device_ptrIyEEEEPS5_m14custom_greaterIyEEE10hipError_tT0_T1_T2_jT3_P12ihipStream_tbPNSt15iterator_traitsISJ_E10value_typeEPNSP_ISK_E10value_typeEPSL_NS1_7vsmem_tEENKUlT_SJ_SK_SL_E_clIPySE_SF_SF_EESI_SY_SJ_SK_SL_EUlSY_E1_NS1_11comp_targetILNS1_3genE9ELNS1_11target_archE1100ELNS1_3gpuE3ELNS1_3repE0EEENS1_36merge_oddeven_config_static_selectorELNS0_4arch9wavefront6targetE1EEEvSK_
	.p2align	8
	.type	_ZN7rocprim17ROCPRIM_400000_NS6detail17trampoline_kernelINS0_14default_configENS1_38merge_sort_block_merge_config_selectorIyNS0_10empty_typeEEEZZNS1_27merge_sort_block_merge_implIS3_N6thrust23THRUST_200600_302600_NS6detail15normal_iteratorINS9_10device_ptrIyEEEEPS5_m14custom_greaterIyEEE10hipError_tT0_T1_T2_jT3_P12ihipStream_tbPNSt15iterator_traitsISJ_E10value_typeEPNSP_ISK_E10value_typeEPSL_NS1_7vsmem_tEENKUlT_SJ_SK_SL_E_clIPySE_SF_SF_EESI_SY_SJ_SK_SL_EUlSY_E1_NS1_11comp_targetILNS1_3genE9ELNS1_11target_archE1100ELNS1_3gpuE3ELNS1_3repE0EEENS1_36merge_oddeven_config_static_selectorELNS0_4arch9wavefront6targetE1EEEvSK_,@function
_ZN7rocprim17ROCPRIM_400000_NS6detail17trampoline_kernelINS0_14default_configENS1_38merge_sort_block_merge_config_selectorIyNS0_10empty_typeEEEZZNS1_27merge_sort_block_merge_implIS3_N6thrust23THRUST_200600_302600_NS6detail15normal_iteratorINS9_10device_ptrIyEEEEPS5_m14custom_greaterIyEEE10hipError_tT0_T1_T2_jT3_P12ihipStream_tbPNSt15iterator_traitsISJ_E10value_typeEPNSP_ISK_E10value_typeEPSL_NS1_7vsmem_tEENKUlT_SJ_SK_SL_E_clIPySE_SF_SF_EESI_SY_SJ_SK_SL_EUlSY_E1_NS1_11comp_targetILNS1_3genE9ELNS1_11target_archE1100ELNS1_3gpuE3ELNS1_3repE0EEENS1_36merge_oddeven_config_static_selectorELNS0_4arch9wavefront6targetE1EEEvSK_: ; @_ZN7rocprim17ROCPRIM_400000_NS6detail17trampoline_kernelINS0_14default_configENS1_38merge_sort_block_merge_config_selectorIyNS0_10empty_typeEEEZZNS1_27merge_sort_block_merge_implIS3_N6thrust23THRUST_200600_302600_NS6detail15normal_iteratorINS9_10device_ptrIyEEEEPS5_m14custom_greaterIyEEE10hipError_tT0_T1_T2_jT3_P12ihipStream_tbPNSt15iterator_traitsISJ_E10value_typeEPNSP_ISK_E10value_typeEPSL_NS1_7vsmem_tEENKUlT_SJ_SK_SL_E_clIPySE_SF_SF_EESI_SY_SJ_SK_SL_EUlSY_E1_NS1_11comp_targetILNS1_3genE9ELNS1_11target_archE1100ELNS1_3gpuE3ELNS1_3repE0EEENS1_36merge_oddeven_config_static_selectorELNS0_4arch9wavefront6targetE1EEEvSK_
; %bb.0:
	.section	.rodata,"a",@progbits
	.p2align	6, 0x0
	.amdhsa_kernel _ZN7rocprim17ROCPRIM_400000_NS6detail17trampoline_kernelINS0_14default_configENS1_38merge_sort_block_merge_config_selectorIyNS0_10empty_typeEEEZZNS1_27merge_sort_block_merge_implIS3_N6thrust23THRUST_200600_302600_NS6detail15normal_iteratorINS9_10device_ptrIyEEEEPS5_m14custom_greaterIyEEE10hipError_tT0_T1_T2_jT3_P12ihipStream_tbPNSt15iterator_traitsISJ_E10value_typeEPNSP_ISK_E10value_typeEPSL_NS1_7vsmem_tEENKUlT_SJ_SK_SL_E_clIPySE_SF_SF_EESI_SY_SJ_SK_SL_EUlSY_E1_NS1_11comp_targetILNS1_3genE9ELNS1_11target_archE1100ELNS1_3gpuE3ELNS1_3repE0EEENS1_36merge_oddeven_config_static_selectorELNS0_4arch9wavefront6targetE1EEEvSK_
		.amdhsa_group_segment_fixed_size 0
		.amdhsa_private_segment_fixed_size 0
		.amdhsa_kernarg_size 56
		.amdhsa_user_sgpr_count 6
		.amdhsa_user_sgpr_private_segment_buffer 1
		.amdhsa_user_sgpr_dispatch_ptr 0
		.amdhsa_user_sgpr_queue_ptr 0
		.amdhsa_user_sgpr_kernarg_segment_ptr 1
		.amdhsa_user_sgpr_dispatch_id 0
		.amdhsa_user_sgpr_flat_scratch_init 0
		.amdhsa_user_sgpr_kernarg_preload_length 0
		.amdhsa_user_sgpr_kernarg_preload_offset 0
		.amdhsa_user_sgpr_private_segment_size 0
		.amdhsa_uses_dynamic_stack 0
		.amdhsa_system_sgpr_private_segment_wavefront_offset 0
		.amdhsa_system_sgpr_workgroup_id_x 1
		.amdhsa_system_sgpr_workgroup_id_y 0
		.amdhsa_system_sgpr_workgroup_id_z 0
		.amdhsa_system_sgpr_workgroup_info 0
		.amdhsa_system_vgpr_workitem_id 0
		.amdhsa_next_free_vgpr 1
		.amdhsa_next_free_sgpr 0
		.amdhsa_accum_offset 4
		.amdhsa_reserve_vcc 0
		.amdhsa_reserve_flat_scratch 0
		.amdhsa_float_round_mode_32 0
		.amdhsa_float_round_mode_16_64 0
		.amdhsa_float_denorm_mode_32 3
		.amdhsa_float_denorm_mode_16_64 3
		.amdhsa_dx10_clamp 1
		.amdhsa_ieee_mode 1
		.amdhsa_fp16_overflow 0
		.amdhsa_tg_split 0
		.amdhsa_exception_fp_ieee_invalid_op 0
		.amdhsa_exception_fp_denorm_src 0
		.amdhsa_exception_fp_ieee_div_zero 0
		.amdhsa_exception_fp_ieee_overflow 0
		.amdhsa_exception_fp_ieee_underflow 0
		.amdhsa_exception_fp_ieee_inexact 0
		.amdhsa_exception_int_div_zero 0
	.end_amdhsa_kernel
	.section	.text._ZN7rocprim17ROCPRIM_400000_NS6detail17trampoline_kernelINS0_14default_configENS1_38merge_sort_block_merge_config_selectorIyNS0_10empty_typeEEEZZNS1_27merge_sort_block_merge_implIS3_N6thrust23THRUST_200600_302600_NS6detail15normal_iteratorINS9_10device_ptrIyEEEEPS5_m14custom_greaterIyEEE10hipError_tT0_T1_T2_jT3_P12ihipStream_tbPNSt15iterator_traitsISJ_E10value_typeEPNSP_ISK_E10value_typeEPSL_NS1_7vsmem_tEENKUlT_SJ_SK_SL_E_clIPySE_SF_SF_EESI_SY_SJ_SK_SL_EUlSY_E1_NS1_11comp_targetILNS1_3genE9ELNS1_11target_archE1100ELNS1_3gpuE3ELNS1_3repE0EEENS1_36merge_oddeven_config_static_selectorELNS0_4arch9wavefront6targetE1EEEvSK_,"axG",@progbits,_ZN7rocprim17ROCPRIM_400000_NS6detail17trampoline_kernelINS0_14default_configENS1_38merge_sort_block_merge_config_selectorIyNS0_10empty_typeEEEZZNS1_27merge_sort_block_merge_implIS3_N6thrust23THRUST_200600_302600_NS6detail15normal_iteratorINS9_10device_ptrIyEEEEPS5_m14custom_greaterIyEEE10hipError_tT0_T1_T2_jT3_P12ihipStream_tbPNSt15iterator_traitsISJ_E10value_typeEPNSP_ISK_E10value_typeEPSL_NS1_7vsmem_tEENKUlT_SJ_SK_SL_E_clIPySE_SF_SF_EESI_SY_SJ_SK_SL_EUlSY_E1_NS1_11comp_targetILNS1_3genE9ELNS1_11target_archE1100ELNS1_3gpuE3ELNS1_3repE0EEENS1_36merge_oddeven_config_static_selectorELNS0_4arch9wavefront6targetE1EEEvSK_,comdat
.Lfunc_end3485:
	.size	_ZN7rocprim17ROCPRIM_400000_NS6detail17trampoline_kernelINS0_14default_configENS1_38merge_sort_block_merge_config_selectorIyNS0_10empty_typeEEEZZNS1_27merge_sort_block_merge_implIS3_N6thrust23THRUST_200600_302600_NS6detail15normal_iteratorINS9_10device_ptrIyEEEEPS5_m14custom_greaterIyEEE10hipError_tT0_T1_T2_jT3_P12ihipStream_tbPNSt15iterator_traitsISJ_E10value_typeEPNSP_ISK_E10value_typeEPSL_NS1_7vsmem_tEENKUlT_SJ_SK_SL_E_clIPySE_SF_SF_EESI_SY_SJ_SK_SL_EUlSY_E1_NS1_11comp_targetILNS1_3genE9ELNS1_11target_archE1100ELNS1_3gpuE3ELNS1_3repE0EEENS1_36merge_oddeven_config_static_selectorELNS0_4arch9wavefront6targetE1EEEvSK_, .Lfunc_end3485-_ZN7rocprim17ROCPRIM_400000_NS6detail17trampoline_kernelINS0_14default_configENS1_38merge_sort_block_merge_config_selectorIyNS0_10empty_typeEEEZZNS1_27merge_sort_block_merge_implIS3_N6thrust23THRUST_200600_302600_NS6detail15normal_iteratorINS9_10device_ptrIyEEEEPS5_m14custom_greaterIyEEE10hipError_tT0_T1_T2_jT3_P12ihipStream_tbPNSt15iterator_traitsISJ_E10value_typeEPNSP_ISK_E10value_typeEPSL_NS1_7vsmem_tEENKUlT_SJ_SK_SL_E_clIPySE_SF_SF_EESI_SY_SJ_SK_SL_EUlSY_E1_NS1_11comp_targetILNS1_3genE9ELNS1_11target_archE1100ELNS1_3gpuE3ELNS1_3repE0EEENS1_36merge_oddeven_config_static_selectorELNS0_4arch9wavefront6targetE1EEEvSK_
                                        ; -- End function
	.section	.AMDGPU.csdata,"",@progbits
; Kernel info:
; codeLenInByte = 0
; NumSgprs: 4
; NumVgprs: 0
; NumAgprs: 0
; TotalNumVgprs: 0
; ScratchSize: 0
; MemoryBound: 0
; FloatMode: 240
; IeeeMode: 1
; LDSByteSize: 0 bytes/workgroup (compile time only)
; SGPRBlocks: 0
; VGPRBlocks: 0
; NumSGPRsForWavesPerEU: 4
; NumVGPRsForWavesPerEU: 1
; AccumOffset: 4
; Occupancy: 8
; WaveLimiterHint : 0
; COMPUTE_PGM_RSRC2:SCRATCH_EN: 0
; COMPUTE_PGM_RSRC2:USER_SGPR: 6
; COMPUTE_PGM_RSRC2:TRAP_HANDLER: 0
; COMPUTE_PGM_RSRC2:TGID_X_EN: 1
; COMPUTE_PGM_RSRC2:TGID_Y_EN: 0
; COMPUTE_PGM_RSRC2:TGID_Z_EN: 0
; COMPUTE_PGM_RSRC2:TIDIG_COMP_CNT: 0
; COMPUTE_PGM_RSRC3_GFX90A:ACCUM_OFFSET: 0
; COMPUTE_PGM_RSRC3_GFX90A:TG_SPLIT: 0
	.section	.text._ZN7rocprim17ROCPRIM_400000_NS6detail17trampoline_kernelINS0_14default_configENS1_38merge_sort_block_merge_config_selectorIyNS0_10empty_typeEEEZZNS1_27merge_sort_block_merge_implIS3_N6thrust23THRUST_200600_302600_NS6detail15normal_iteratorINS9_10device_ptrIyEEEEPS5_m14custom_greaterIyEEE10hipError_tT0_T1_T2_jT3_P12ihipStream_tbPNSt15iterator_traitsISJ_E10value_typeEPNSP_ISK_E10value_typeEPSL_NS1_7vsmem_tEENKUlT_SJ_SK_SL_E_clIPySE_SF_SF_EESI_SY_SJ_SK_SL_EUlSY_E1_NS1_11comp_targetILNS1_3genE8ELNS1_11target_archE1030ELNS1_3gpuE2ELNS1_3repE0EEENS1_36merge_oddeven_config_static_selectorELNS0_4arch9wavefront6targetE1EEEvSK_,"axG",@progbits,_ZN7rocprim17ROCPRIM_400000_NS6detail17trampoline_kernelINS0_14default_configENS1_38merge_sort_block_merge_config_selectorIyNS0_10empty_typeEEEZZNS1_27merge_sort_block_merge_implIS3_N6thrust23THRUST_200600_302600_NS6detail15normal_iteratorINS9_10device_ptrIyEEEEPS5_m14custom_greaterIyEEE10hipError_tT0_T1_T2_jT3_P12ihipStream_tbPNSt15iterator_traitsISJ_E10value_typeEPNSP_ISK_E10value_typeEPSL_NS1_7vsmem_tEENKUlT_SJ_SK_SL_E_clIPySE_SF_SF_EESI_SY_SJ_SK_SL_EUlSY_E1_NS1_11comp_targetILNS1_3genE8ELNS1_11target_archE1030ELNS1_3gpuE2ELNS1_3repE0EEENS1_36merge_oddeven_config_static_selectorELNS0_4arch9wavefront6targetE1EEEvSK_,comdat
	.protected	_ZN7rocprim17ROCPRIM_400000_NS6detail17trampoline_kernelINS0_14default_configENS1_38merge_sort_block_merge_config_selectorIyNS0_10empty_typeEEEZZNS1_27merge_sort_block_merge_implIS3_N6thrust23THRUST_200600_302600_NS6detail15normal_iteratorINS9_10device_ptrIyEEEEPS5_m14custom_greaterIyEEE10hipError_tT0_T1_T2_jT3_P12ihipStream_tbPNSt15iterator_traitsISJ_E10value_typeEPNSP_ISK_E10value_typeEPSL_NS1_7vsmem_tEENKUlT_SJ_SK_SL_E_clIPySE_SF_SF_EESI_SY_SJ_SK_SL_EUlSY_E1_NS1_11comp_targetILNS1_3genE8ELNS1_11target_archE1030ELNS1_3gpuE2ELNS1_3repE0EEENS1_36merge_oddeven_config_static_selectorELNS0_4arch9wavefront6targetE1EEEvSK_ ; -- Begin function _ZN7rocprim17ROCPRIM_400000_NS6detail17trampoline_kernelINS0_14default_configENS1_38merge_sort_block_merge_config_selectorIyNS0_10empty_typeEEEZZNS1_27merge_sort_block_merge_implIS3_N6thrust23THRUST_200600_302600_NS6detail15normal_iteratorINS9_10device_ptrIyEEEEPS5_m14custom_greaterIyEEE10hipError_tT0_T1_T2_jT3_P12ihipStream_tbPNSt15iterator_traitsISJ_E10value_typeEPNSP_ISK_E10value_typeEPSL_NS1_7vsmem_tEENKUlT_SJ_SK_SL_E_clIPySE_SF_SF_EESI_SY_SJ_SK_SL_EUlSY_E1_NS1_11comp_targetILNS1_3genE8ELNS1_11target_archE1030ELNS1_3gpuE2ELNS1_3repE0EEENS1_36merge_oddeven_config_static_selectorELNS0_4arch9wavefront6targetE1EEEvSK_
	.globl	_ZN7rocprim17ROCPRIM_400000_NS6detail17trampoline_kernelINS0_14default_configENS1_38merge_sort_block_merge_config_selectorIyNS0_10empty_typeEEEZZNS1_27merge_sort_block_merge_implIS3_N6thrust23THRUST_200600_302600_NS6detail15normal_iteratorINS9_10device_ptrIyEEEEPS5_m14custom_greaterIyEEE10hipError_tT0_T1_T2_jT3_P12ihipStream_tbPNSt15iterator_traitsISJ_E10value_typeEPNSP_ISK_E10value_typeEPSL_NS1_7vsmem_tEENKUlT_SJ_SK_SL_E_clIPySE_SF_SF_EESI_SY_SJ_SK_SL_EUlSY_E1_NS1_11comp_targetILNS1_3genE8ELNS1_11target_archE1030ELNS1_3gpuE2ELNS1_3repE0EEENS1_36merge_oddeven_config_static_selectorELNS0_4arch9wavefront6targetE1EEEvSK_
	.p2align	8
	.type	_ZN7rocprim17ROCPRIM_400000_NS6detail17trampoline_kernelINS0_14default_configENS1_38merge_sort_block_merge_config_selectorIyNS0_10empty_typeEEEZZNS1_27merge_sort_block_merge_implIS3_N6thrust23THRUST_200600_302600_NS6detail15normal_iteratorINS9_10device_ptrIyEEEEPS5_m14custom_greaterIyEEE10hipError_tT0_T1_T2_jT3_P12ihipStream_tbPNSt15iterator_traitsISJ_E10value_typeEPNSP_ISK_E10value_typeEPSL_NS1_7vsmem_tEENKUlT_SJ_SK_SL_E_clIPySE_SF_SF_EESI_SY_SJ_SK_SL_EUlSY_E1_NS1_11comp_targetILNS1_3genE8ELNS1_11target_archE1030ELNS1_3gpuE2ELNS1_3repE0EEENS1_36merge_oddeven_config_static_selectorELNS0_4arch9wavefront6targetE1EEEvSK_,@function
_ZN7rocprim17ROCPRIM_400000_NS6detail17trampoline_kernelINS0_14default_configENS1_38merge_sort_block_merge_config_selectorIyNS0_10empty_typeEEEZZNS1_27merge_sort_block_merge_implIS3_N6thrust23THRUST_200600_302600_NS6detail15normal_iteratorINS9_10device_ptrIyEEEEPS5_m14custom_greaterIyEEE10hipError_tT0_T1_T2_jT3_P12ihipStream_tbPNSt15iterator_traitsISJ_E10value_typeEPNSP_ISK_E10value_typeEPSL_NS1_7vsmem_tEENKUlT_SJ_SK_SL_E_clIPySE_SF_SF_EESI_SY_SJ_SK_SL_EUlSY_E1_NS1_11comp_targetILNS1_3genE8ELNS1_11target_archE1030ELNS1_3gpuE2ELNS1_3repE0EEENS1_36merge_oddeven_config_static_selectorELNS0_4arch9wavefront6targetE1EEEvSK_: ; @_ZN7rocprim17ROCPRIM_400000_NS6detail17trampoline_kernelINS0_14default_configENS1_38merge_sort_block_merge_config_selectorIyNS0_10empty_typeEEEZZNS1_27merge_sort_block_merge_implIS3_N6thrust23THRUST_200600_302600_NS6detail15normal_iteratorINS9_10device_ptrIyEEEEPS5_m14custom_greaterIyEEE10hipError_tT0_T1_T2_jT3_P12ihipStream_tbPNSt15iterator_traitsISJ_E10value_typeEPNSP_ISK_E10value_typeEPSL_NS1_7vsmem_tEENKUlT_SJ_SK_SL_E_clIPySE_SF_SF_EESI_SY_SJ_SK_SL_EUlSY_E1_NS1_11comp_targetILNS1_3genE8ELNS1_11target_archE1030ELNS1_3gpuE2ELNS1_3repE0EEENS1_36merge_oddeven_config_static_selectorELNS0_4arch9wavefront6targetE1EEEvSK_
; %bb.0:
	.section	.rodata,"a",@progbits
	.p2align	6, 0x0
	.amdhsa_kernel _ZN7rocprim17ROCPRIM_400000_NS6detail17trampoline_kernelINS0_14default_configENS1_38merge_sort_block_merge_config_selectorIyNS0_10empty_typeEEEZZNS1_27merge_sort_block_merge_implIS3_N6thrust23THRUST_200600_302600_NS6detail15normal_iteratorINS9_10device_ptrIyEEEEPS5_m14custom_greaterIyEEE10hipError_tT0_T1_T2_jT3_P12ihipStream_tbPNSt15iterator_traitsISJ_E10value_typeEPNSP_ISK_E10value_typeEPSL_NS1_7vsmem_tEENKUlT_SJ_SK_SL_E_clIPySE_SF_SF_EESI_SY_SJ_SK_SL_EUlSY_E1_NS1_11comp_targetILNS1_3genE8ELNS1_11target_archE1030ELNS1_3gpuE2ELNS1_3repE0EEENS1_36merge_oddeven_config_static_selectorELNS0_4arch9wavefront6targetE1EEEvSK_
		.amdhsa_group_segment_fixed_size 0
		.amdhsa_private_segment_fixed_size 0
		.amdhsa_kernarg_size 56
		.amdhsa_user_sgpr_count 6
		.amdhsa_user_sgpr_private_segment_buffer 1
		.amdhsa_user_sgpr_dispatch_ptr 0
		.amdhsa_user_sgpr_queue_ptr 0
		.amdhsa_user_sgpr_kernarg_segment_ptr 1
		.amdhsa_user_sgpr_dispatch_id 0
		.amdhsa_user_sgpr_flat_scratch_init 0
		.amdhsa_user_sgpr_kernarg_preload_length 0
		.amdhsa_user_sgpr_kernarg_preload_offset 0
		.amdhsa_user_sgpr_private_segment_size 0
		.amdhsa_uses_dynamic_stack 0
		.amdhsa_system_sgpr_private_segment_wavefront_offset 0
		.amdhsa_system_sgpr_workgroup_id_x 1
		.amdhsa_system_sgpr_workgroup_id_y 0
		.amdhsa_system_sgpr_workgroup_id_z 0
		.amdhsa_system_sgpr_workgroup_info 0
		.amdhsa_system_vgpr_workitem_id 0
		.amdhsa_next_free_vgpr 1
		.amdhsa_next_free_sgpr 0
		.amdhsa_accum_offset 4
		.amdhsa_reserve_vcc 0
		.amdhsa_reserve_flat_scratch 0
		.amdhsa_float_round_mode_32 0
		.amdhsa_float_round_mode_16_64 0
		.amdhsa_float_denorm_mode_32 3
		.amdhsa_float_denorm_mode_16_64 3
		.amdhsa_dx10_clamp 1
		.amdhsa_ieee_mode 1
		.amdhsa_fp16_overflow 0
		.amdhsa_tg_split 0
		.amdhsa_exception_fp_ieee_invalid_op 0
		.amdhsa_exception_fp_denorm_src 0
		.amdhsa_exception_fp_ieee_div_zero 0
		.amdhsa_exception_fp_ieee_overflow 0
		.amdhsa_exception_fp_ieee_underflow 0
		.amdhsa_exception_fp_ieee_inexact 0
		.amdhsa_exception_int_div_zero 0
	.end_amdhsa_kernel
	.section	.text._ZN7rocprim17ROCPRIM_400000_NS6detail17trampoline_kernelINS0_14default_configENS1_38merge_sort_block_merge_config_selectorIyNS0_10empty_typeEEEZZNS1_27merge_sort_block_merge_implIS3_N6thrust23THRUST_200600_302600_NS6detail15normal_iteratorINS9_10device_ptrIyEEEEPS5_m14custom_greaterIyEEE10hipError_tT0_T1_T2_jT3_P12ihipStream_tbPNSt15iterator_traitsISJ_E10value_typeEPNSP_ISK_E10value_typeEPSL_NS1_7vsmem_tEENKUlT_SJ_SK_SL_E_clIPySE_SF_SF_EESI_SY_SJ_SK_SL_EUlSY_E1_NS1_11comp_targetILNS1_3genE8ELNS1_11target_archE1030ELNS1_3gpuE2ELNS1_3repE0EEENS1_36merge_oddeven_config_static_selectorELNS0_4arch9wavefront6targetE1EEEvSK_,"axG",@progbits,_ZN7rocprim17ROCPRIM_400000_NS6detail17trampoline_kernelINS0_14default_configENS1_38merge_sort_block_merge_config_selectorIyNS0_10empty_typeEEEZZNS1_27merge_sort_block_merge_implIS3_N6thrust23THRUST_200600_302600_NS6detail15normal_iteratorINS9_10device_ptrIyEEEEPS5_m14custom_greaterIyEEE10hipError_tT0_T1_T2_jT3_P12ihipStream_tbPNSt15iterator_traitsISJ_E10value_typeEPNSP_ISK_E10value_typeEPSL_NS1_7vsmem_tEENKUlT_SJ_SK_SL_E_clIPySE_SF_SF_EESI_SY_SJ_SK_SL_EUlSY_E1_NS1_11comp_targetILNS1_3genE8ELNS1_11target_archE1030ELNS1_3gpuE2ELNS1_3repE0EEENS1_36merge_oddeven_config_static_selectorELNS0_4arch9wavefront6targetE1EEEvSK_,comdat
.Lfunc_end3486:
	.size	_ZN7rocprim17ROCPRIM_400000_NS6detail17trampoline_kernelINS0_14default_configENS1_38merge_sort_block_merge_config_selectorIyNS0_10empty_typeEEEZZNS1_27merge_sort_block_merge_implIS3_N6thrust23THRUST_200600_302600_NS6detail15normal_iteratorINS9_10device_ptrIyEEEEPS5_m14custom_greaterIyEEE10hipError_tT0_T1_T2_jT3_P12ihipStream_tbPNSt15iterator_traitsISJ_E10value_typeEPNSP_ISK_E10value_typeEPSL_NS1_7vsmem_tEENKUlT_SJ_SK_SL_E_clIPySE_SF_SF_EESI_SY_SJ_SK_SL_EUlSY_E1_NS1_11comp_targetILNS1_3genE8ELNS1_11target_archE1030ELNS1_3gpuE2ELNS1_3repE0EEENS1_36merge_oddeven_config_static_selectorELNS0_4arch9wavefront6targetE1EEEvSK_, .Lfunc_end3486-_ZN7rocprim17ROCPRIM_400000_NS6detail17trampoline_kernelINS0_14default_configENS1_38merge_sort_block_merge_config_selectorIyNS0_10empty_typeEEEZZNS1_27merge_sort_block_merge_implIS3_N6thrust23THRUST_200600_302600_NS6detail15normal_iteratorINS9_10device_ptrIyEEEEPS5_m14custom_greaterIyEEE10hipError_tT0_T1_T2_jT3_P12ihipStream_tbPNSt15iterator_traitsISJ_E10value_typeEPNSP_ISK_E10value_typeEPSL_NS1_7vsmem_tEENKUlT_SJ_SK_SL_E_clIPySE_SF_SF_EESI_SY_SJ_SK_SL_EUlSY_E1_NS1_11comp_targetILNS1_3genE8ELNS1_11target_archE1030ELNS1_3gpuE2ELNS1_3repE0EEENS1_36merge_oddeven_config_static_selectorELNS0_4arch9wavefront6targetE1EEEvSK_
                                        ; -- End function
	.section	.AMDGPU.csdata,"",@progbits
; Kernel info:
; codeLenInByte = 0
; NumSgprs: 4
; NumVgprs: 0
; NumAgprs: 0
; TotalNumVgprs: 0
; ScratchSize: 0
; MemoryBound: 0
; FloatMode: 240
; IeeeMode: 1
; LDSByteSize: 0 bytes/workgroup (compile time only)
; SGPRBlocks: 0
; VGPRBlocks: 0
; NumSGPRsForWavesPerEU: 4
; NumVGPRsForWavesPerEU: 1
; AccumOffset: 4
; Occupancy: 8
; WaveLimiterHint : 0
; COMPUTE_PGM_RSRC2:SCRATCH_EN: 0
; COMPUTE_PGM_RSRC2:USER_SGPR: 6
; COMPUTE_PGM_RSRC2:TRAP_HANDLER: 0
; COMPUTE_PGM_RSRC2:TGID_X_EN: 1
; COMPUTE_PGM_RSRC2:TGID_Y_EN: 0
; COMPUTE_PGM_RSRC2:TGID_Z_EN: 0
; COMPUTE_PGM_RSRC2:TIDIG_COMP_CNT: 0
; COMPUTE_PGM_RSRC3_GFX90A:ACCUM_OFFSET: 0
; COMPUTE_PGM_RSRC3_GFX90A:TG_SPLIT: 0
	.section	.text._ZN7rocprim17ROCPRIM_400000_NS6detail17trampoline_kernelINS0_14default_configENS1_38merge_sort_block_merge_config_selectorIyNS0_10empty_typeEEEZZNS1_27merge_sort_block_merge_implIS3_N6thrust23THRUST_200600_302600_NS6detail15normal_iteratorINS9_10device_ptrIyEEEEPS5_m14custom_greaterIyEEE10hipError_tT0_T1_T2_jT3_P12ihipStream_tbPNSt15iterator_traitsISJ_E10value_typeEPNSP_ISK_E10value_typeEPSL_NS1_7vsmem_tEENKUlT_SJ_SK_SL_E_clISE_PySF_SF_EESI_SY_SJ_SK_SL_EUlSY_E_NS1_11comp_targetILNS1_3genE0ELNS1_11target_archE4294967295ELNS1_3gpuE0ELNS1_3repE0EEENS1_48merge_mergepath_partition_config_static_selectorELNS0_4arch9wavefront6targetE1EEEvSK_,"axG",@progbits,_ZN7rocprim17ROCPRIM_400000_NS6detail17trampoline_kernelINS0_14default_configENS1_38merge_sort_block_merge_config_selectorIyNS0_10empty_typeEEEZZNS1_27merge_sort_block_merge_implIS3_N6thrust23THRUST_200600_302600_NS6detail15normal_iteratorINS9_10device_ptrIyEEEEPS5_m14custom_greaterIyEEE10hipError_tT0_T1_T2_jT3_P12ihipStream_tbPNSt15iterator_traitsISJ_E10value_typeEPNSP_ISK_E10value_typeEPSL_NS1_7vsmem_tEENKUlT_SJ_SK_SL_E_clISE_PySF_SF_EESI_SY_SJ_SK_SL_EUlSY_E_NS1_11comp_targetILNS1_3genE0ELNS1_11target_archE4294967295ELNS1_3gpuE0ELNS1_3repE0EEENS1_48merge_mergepath_partition_config_static_selectorELNS0_4arch9wavefront6targetE1EEEvSK_,comdat
	.protected	_ZN7rocprim17ROCPRIM_400000_NS6detail17trampoline_kernelINS0_14default_configENS1_38merge_sort_block_merge_config_selectorIyNS0_10empty_typeEEEZZNS1_27merge_sort_block_merge_implIS3_N6thrust23THRUST_200600_302600_NS6detail15normal_iteratorINS9_10device_ptrIyEEEEPS5_m14custom_greaterIyEEE10hipError_tT0_T1_T2_jT3_P12ihipStream_tbPNSt15iterator_traitsISJ_E10value_typeEPNSP_ISK_E10value_typeEPSL_NS1_7vsmem_tEENKUlT_SJ_SK_SL_E_clISE_PySF_SF_EESI_SY_SJ_SK_SL_EUlSY_E_NS1_11comp_targetILNS1_3genE0ELNS1_11target_archE4294967295ELNS1_3gpuE0ELNS1_3repE0EEENS1_48merge_mergepath_partition_config_static_selectorELNS0_4arch9wavefront6targetE1EEEvSK_ ; -- Begin function _ZN7rocprim17ROCPRIM_400000_NS6detail17trampoline_kernelINS0_14default_configENS1_38merge_sort_block_merge_config_selectorIyNS0_10empty_typeEEEZZNS1_27merge_sort_block_merge_implIS3_N6thrust23THRUST_200600_302600_NS6detail15normal_iteratorINS9_10device_ptrIyEEEEPS5_m14custom_greaterIyEEE10hipError_tT0_T1_T2_jT3_P12ihipStream_tbPNSt15iterator_traitsISJ_E10value_typeEPNSP_ISK_E10value_typeEPSL_NS1_7vsmem_tEENKUlT_SJ_SK_SL_E_clISE_PySF_SF_EESI_SY_SJ_SK_SL_EUlSY_E_NS1_11comp_targetILNS1_3genE0ELNS1_11target_archE4294967295ELNS1_3gpuE0ELNS1_3repE0EEENS1_48merge_mergepath_partition_config_static_selectorELNS0_4arch9wavefront6targetE1EEEvSK_
	.globl	_ZN7rocprim17ROCPRIM_400000_NS6detail17trampoline_kernelINS0_14default_configENS1_38merge_sort_block_merge_config_selectorIyNS0_10empty_typeEEEZZNS1_27merge_sort_block_merge_implIS3_N6thrust23THRUST_200600_302600_NS6detail15normal_iteratorINS9_10device_ptrIyEEEEPS5_m14custom_greaterIyEEE10hipError_tT0_T1_T2_jT3_P12ihipStream_tbPNSt15iterator_traitsISJ_E10value_typeEPNSP_ISK_E10value_typeEPSL_NS1_7vsmem_tEENKUlT_SJ_SK_SL_E_clISE_PySF_SF_EESI_SY_SJ_SK_SL_EUlSY_E_NS1_11comp_targetILNS1_3genE0ELNS1_11target_archE4294967295ELNS1_3gpuE0ELNS1_3repE0EEENS1_48merge_mergepath_partition_config_static_selectorELNS0_4arch9wavefront6targetE1EEEvSK_
	.p2align	8
	.type	_ZN7rocprim17ROCPRIM_400000_NS6detail17trampoline_kernelINS0_14default_configENS1_38merge_sort_block_merge_config_selectorIyNS0_10empty_typeEEEZZNS1_27merge_sort_block_merge_implIS3_N6thrust23THRUST_200600_302600_NS6detail15normal_iteratorINS9_10device_ptrIyEEEEPS5_m14custom_greaterIyEEE10hipError_tT0_T1_T2_jT3_P12ihipStream_tbPNSt15iterator_traitsISJ_E10value_typeEPNSP_ISK_E10value_typeEPSL_NS1_7vsmem_tEENKUlT_SJ_SK_SL_E_clISE_PySF_SF_EESI_SY_SJ_SK_SL_EUlSY_E_NS1_11comp_targetILNS1_3genE0ELNS1_11target_archE4294967295ELNS1_3gpuE0ELNS1_3repE0EEENS1_48merge_mergepath_partition_config_static_selectorELNS0_4arch9wavefront6targetE1EEEvSK_,@function
_ZN7rocprim17ROCPRIM_400000_NS6detail17trampoline_kernelINS0_14default_configENS1_38merge_sort_block_merge_config_selectorIyNS0_10empty_typeEEEZZNS1_27merge_sort_block_merge_implIS3_N6thrust23THRUST_200600_302600_NS6detail15normal_iteratorINS9_10device_ptrIyEEEEPS5_m14custom_greaterIyEEE10hipError_tT0_T1_T2_jT3_P12ihipStream_tbPNSt15iterator_traitsISJ_E10value_typeEPNSP_ISK_E10value_typeEPSL_NS1_7vsmem_tEENKUlT_SJ_SK_SL_E_clISE_PySF_SF_EESI_SY_SJ_SK_SL_EUlSY_E_NS1_11comp_targetILNS1_3genE0ELNS1_11target_archE4294967295ELNS1_3gpuE0ELNS1_3repE0EEENS1_48merge_mergepath_partition_config_static_selectorELNS0_4arch9wavefront6targetE1EEEvSK_: ; @_ZN7rocprim17ROCPRIM_400000_NS6detail17trampoline_kernelINS0_14default_configENS1_38merge_sort_block_merge_config_selectorIyNS0_10empty_typeEEEZZNS1_27merge_sort_block_merge_implIS3_N6thrust23THRUST_200600_302600_NS6detail15normal_iteratorINS9_10device_ptrIyEEEEPS5_m14custom_greaterIyEEE10hipError_tT0_T1_T2_jT3_P12ihipStream_tbPNSt15iterator_traitsISJ_E10value_typeEPNSP_ISK_E10value_typeEPSL_NS1_7vsmem_tEENKUlT_SJ_SK_SL_E_clISE_PySF_SF_EESI_SY_SJ_SK_SL_EUlSY_E_NS1_11comp_targetILNS1_3genE0ELNS1_11target_archE4294967295ELNS1_3gpuE0ELNS1_3repE0EEENS1_48merge_mergepath_partition_config_static_selectorELNS0_4arch9wavefront6targetE1EEEvSK_
; %bb.0:
	.section	.rodata,"a",@progbits
	.p2align	6, 0x0
	.amdhsa_kernel _ZN7rocprim17ROCPRIM_400000_NS6detail17trampoline_kernelINS0_14default_configENS1_38merge_sort_block_merge_config_selectorIyNS0_10empty_typeEEEZZNS1_27merge_sort_block_merge_implIS3_N6thrust23THRUST_200600_302600_NS6detail15normal_iteratorINS9_10device_ptrIyEEEEPS5_m14custom_greaterIyEEE10hipError_tT0_T1_T2_jT3_P12ihipStream_tbPNSt15iterator_traitsISJ_E10value_typeEPNSP_ISK_E10value_typeEPSL_NS1_7vsmem_tEENKUlT_SJ_SK_SL_E_clISE_PySF_SF_EESI_SY_SJ_SK_SL_EUlSY_E_NS1_11comp_targetILNS1_3genE0ELNS1_11target_archE4294967295ELNS1_3gpuE0ELNS1_3repE0EEENS1_48merge_mergepath_partition_config_static_selectorELNS0_4arch9wavefront6targetE1EEEvSK_
		.amdhsa_group_segment_fixed_size 0
		.amdhsa_private_segment_fixed_size 0
		.amdhsa_kernarg_size 48
		.amdhsa_user_sgpr_count 6
		.amdhsa_user_sgpr_private_segment_buffer 1
		.amdhsa_user_sgpr_dispatch_ptr 0
		.amdhsa_user_sgpr_queue_ptr 0
		.amdhsa_user_sgpr_kernarg_segment_ptr 1
		.amdhsa_user_sgpr_dispatch_id 0
		.amdhsa_user_sgpr_flat_scratch_init 0
		.amdhsa_user_sgpr_kernarg_preload_length 0
		.amdhsa_user_sgpr_kernarg_preload_offset 0
		.amdhsa_user_sgpr_private_segment_size 0
		.amdhsa_uses_dynamic_stack 0
		.amdhsa_system_sgpr_private_segment_wavefront_offset 0
		.amdhsa_system_sgpr_workgroup_id_x 1
		.amdhsa_system_sgpr_workgroup_id_y 0
		.amdhsa_system_sgpr_workgroup_id_z 0
		.amdhsa_system_sgpr_workgroup_info 0
		.amdhsa_system_vgpr_workitem_id 0
		.amdhsa_next_free_vgpr 1
		.amdhsa_next_free_sgpr 0
		.amdhsa_accum_offset 4
		.amdhsa_reserve_vcc 0
		.amdhsa_reserve_flat_scratch 0
		.amdhsa_float_round_mode_32 0
		.amdhsa_float_round_mode_16_64 0
		.amdhsa_float_denorm_mode_32 3
		.amdhsa_float_denorm_mode_16_64 3
		.amdhsa_dx10_clamp 1
		.amdhsa_ieee_mode 1
		.amdhsa_fp16_overflow 0
		.amdhsa_tg_split 0
		.amdhsa_exception_fp_ieee_invalid_op 0
		.amdhsa_exception_fp_denorm_src 0
		.amdhsa_exception_fp_ieee_div_zero 0
		.amdhsa_exception_fp_ieee_overflow 0
		.amdhsa_exception_fp_ieee_underflow 0
		.amdhsa_exception_fp_ieee_inexact 0
		.amdhsa_exception_int_div_zero 0
	.end_amdhsa_kernel
	.section	.text._ZN7rocprim17ROCPRIM_400000_NS6detail17trampoline_kernelINS0_14default_configENS1_38merge_sort_block_merge_config_selectorIyNS0_10empty_typeEEEZZNS1_27merge_sort_block_merge_implIS3_N6thrust23THRUST_200600_302600_NS6detail15normal_iteratorINS9_10device_ptrIyEEEEPS5_m14custom_greaterIyEEE10hipError_tT0_T1_T2_jT3_P12ihipStream_tbPNSt15iterator_traitsISJ_E10value_typeEPNSP_ISK_E10value_typeEPSL_NS1_7vsmem_tEENKUlT_SJ_SK_SL_E_clISE_PySF_SF_EESI_SY_SJ_SK_SL_EUlSY_E_NS1_11comp_targetILNS1_3genE0ELNS1_11target_archE4294967295ELNS1_3gpuE0ELNS1_3repE0EEENS1_48merge_mergepath_partition_config_static_selectorELNS0_4arch9wavefront6targetE1EEEvSK_,"axG",@progbits,_ZN7rocprim17ROCPRIM_400000_NS6detail17trampoline_kernelINS0_14default_configENS1_38merge_sort_block_merge_config_selectorIyNS0_10empty_typeEEEZZNS1_27merge_sort_block_merge_implIS3_N6thrust23THRUST_200600_302600_NS6detail15normal_iteratorINS9_10device_ptrIyEEEEPS5_m14custom_greaterIyEEE10hipError_tT0_T1_T2_jT3_P12ihipStream_tbPNSt15iterator_traitsISJ_E10value_typeEPNSP_ISK_E10value_typeEPSL_NS1_7vsmem_tEENKUlT_SJ_SK_SL_E_clISE_PySF_SF_EESI_SY_SJ_SK_SL_EUlSY_E_NS1_11comp_targetILNS1_3genE0ELNS1_11target_archE4294967295ELNS1_3gpuE0ELNS1_3repE0EEENS1_48merge_mergepath_partition_config_static_selectorELNS0_4arch9wavefront6targetE1EEEvSK_,comdat
.Lfunc_end3487:
	.size	_ZN7rocprim17ROCPRIM_400000_NS6detail17trampoline_kernelINS0_14default_configENS1_38merge_sort_block_merge_config_selectorIyNS0_10empty_typeEEEZZNS1_27merge_sort_block_merge_implIS3_N6thrust23THRUST_200600_302600_NS6detail15normal_iteratorINS9_10device_ptrIyEEEEPS5_m14custom_greaterIyEEE10hipError_tT0_T1_T2_jT3_P12ihipStream_tbPNSt15iterator_traitsISJ_E10value_typeEPNSP_ISK_E10value_typeEPSL_NS1_7vsmem_tEENKUlT_SJ_SK_SL_E_clISE_PySF_SF_EESI_SY_SJ_SK_SL_EUlSY_E_NS1_11comp_targetILNS1_3genE0ELNS1_11target_archE4294967295ELNS1_3gpuE0ELNS1_3repE0EEENS1_48merge_mergepath_partition_config_static_selectorELNS0_4arch9wavefront6targetE1EEEvSK_, .Lfunc_end3487-_ZN7rocprim17ROCPRIM_400000_NS6detail17trampoline_kernelINS0_14default_configENS1_38merge_sort_block_merge_config_selectorIyNS0_10empty_typeEEEZZNS1_27merge_sort_block_merge_implIS3_N6thrust23THRUST_200600_302600_NS6detail15normal_iteratorINS9_10device_ptrIyEEEEPS5_m14custom_greaterIyEEE10hipError_tT0_T1_T2_jT3_P12ihipStream_tbPNSt15iterator_traitsISJ_E10value_typeEPNSP_ISK_E10value_typeEPSL_NS1_7vsmem_tEENKUlT_SJ_SK_SL_E_clISE_PySF_SF_EESI_SY_SJ_SK_SL_EUlSY_E_NS1_11comp_targetILNS1_3genE0ELNS1_11target_archE4294967295ELNS1_3gpuE0ELNS1_3repE0EEENS1_48merge_mergepath_partition_config_static_selectorELNS0_4arch9wavefront6targetE1EEEvSK_
                                        ; -- End function
	.section	.AMDGPU.csdata,"",@progbits
; Kernel info:
; codeLenInByte = 0
; NumSgprs: 4
; NumVgprs: 0
; NumAgprs: 0
; TotalNumVgprs: 0
; ScratchSize: 0
; MemoryBound: 0
; FloatMode: 240
; IeeeMode: 1
; LDSByteSize: 0 bytes/workgroup (compile time only)
; SGPRBlocks: 0
; VGPRBlocks: 0
; NumSGPRsForWavesPerEU: 4
; NumVGPRsForWavesPerEU: 1
; AccumOffset: 4
; Occupancy: 8
; WaveLimiterHint : 0
; COMPUTE_PGM_RSRC2:SCRATCH_EN: 0
; COMPUTE_PGM_RSRC2:USER_SGPR: 6
; COMPUTE_PGM_RSRC2:TRAP_HANDLER: 0
; COMPUTE_PGM_RSRC2:TGID_X_EN: 1
; COMPUTE_PGM_RSRC2:TGID_Y_EN: 0
; COMPUTE_PGM_RSRC2:TGID_Z_EN: 0
; COMPUTE_PGM_RSRC2:TIDIG_COMP_CNT: 0
; COMPUTE_PGM_RSRC3_GFX90A:ACCUM_OFFSET: 0
; COMPUTE_PGM_RSRC3_GFX90A:TG_SPLIT: 0
	.section	.text._ZN7rocprim17ROCPRIM_400000_NS6detail17trampoline_kernelINS0_14default_configENS1_38merge_sort_block_merge_config_selectorIyNS0_10empty_typeEEEZZNS1_27merge_sort_block_merge_implIS3_N6thrust23THRUST_200600_302600_NS6detail15normal_iteratorINS9_10device_ptrIyEEEEPS5_m14custom_greaterIyEEE10hipError_tT0_T1_T2_jT3_P12ihipStream_tbPNSt15iterator_traitsISJ_E10value_typeEPNSP_ISK_E10value_typeEPSL_NS1_7vsmem_tEENKUlT_SJ_SK_SL_E_clISE_PySF_SF_EESI_SY_SJ_SK_SL_EUlSY_E_NS1_11comp_targetILNS1_3genE10ELNS1_11target_archE1201ELNS1_3gpuE5ELNS1_3repE0EEENS1_48merge_mergepath_partition_config_static_selectorELNS0_4arch9wavefront6targetE1EEEvSK_,"axG",@progbits,_ZN7rocprim17ROCPRIM_400000_NS6detail17trampoline_kernelINS0_14default_configENS1_38merge_sort_block_merge_config_selectorIyNS0_10empty_typeEEEZZNS1_27merge_sort_block_merge_implIS3_N6thrust23THRUST_200600_302600_NS6detail15normal_iteratorINS9_10device_ptrIyEEEEPS5_m14custom_greaterIyEEE10hipError_tT0_T1_T2_jT3_P12ihipStream_tbPNSt15iterator_traitsISJ_E10value_typeEPNSP_ISK_E10value_typeEPSL_NS1_7vsmem_tEENKUlT_SJ_SK_SL_E_clISE_PySF_SF_EESI_SY_SJ_SK_SL_EUlSY_E_NS1_11comp_targetILNS1_3genE10ELNS1_11target_archE1201ELNS1_3gpuE5ELNS1_3repE0EEENS1_48merge_mergepath_partition_config_static_selectorELNS0_4arch9wavefront6targetE1EEEvSK_,comdat
	.protected	_ZN7rocprim17ROCPRIM_400000_NS6detail17trampoline_kernelINS0_14default_configENS1_38merge_sort_block_merge_config_selectorIyNS0_10empty_typeEEEZZNS1_27merge_sort_block_merge_implIS3_N6thrust23THRUST_200600_302600_NS6detail15normal_iteratorINS9_10device_ptrIyEEEEPS5_m14custom_greaterIyEEE10hipError_tT0_T1_T2_jT3_P12ihipStream_tbPNSt15iterator_traitsISJ_E10value_typeEPNSP_ISK_E10value_typeEPSL_NS1_7vsmem_tEENKUlT_SJ_SK_SL_E_clISE_PySF_SF_EESI_SY_SJ_SK_SL_EUlSY_E_NS1_11comp_targetILNS1_3genE10ELNS1_11target_archE1201ELNS1_3gpuE5ELNS1_3repE0EEENS1_48merge_mergepath_partition_config_static_selectorELNS0_4arch9wavefront6targetE1EEEvSK_ ; -- Begin function _ZN7rocprim17ROCPRIM_400000_NS6detail17trampoline_kernelINS0_14default_configENS1_38merge_sort_block_merge_config_selectorIyNS0_10empty_typeEEEZZNS1_27merge_sort_block_merge_implIS3_N6thrust23THRUST_200600_302600_NS6detail15normal_iteratorINS9_10device_ptrIyEEEEPS5_m14custom_greaterIyEEE10hipError_tT0_T1_T2_jT3_P12ihipStream_tbPNSt15iterator_traitsISJ_E10value_typeEPNSP_ISK_E10value_typeEPSL_NS1_7vsmem_tEENKUlT_SJ_SK_SL_E_clISE_PySF_SF_EESI_SY_SJ_SK_SL_EUlSY_E_NS1_11comp_targetILNS1_3genE10ELNS1_11target_archE1201ELNS1_3gpuE5ELNS1_3repE0EEENS1_48merge_mergepath_partition_config_static_selectorELNS0_4arch9wavefront6targetE1EEEvSK_
	.globl	_ZN7rocprim17ROCPRIM_400000_NS6detail17trampoline_kernelINS0_14default_configENS1_38merge_sort_block_merge_config_selectorIyNS0_10empty_typeEEEZZNS1_27merge_sort_block_merge_implIS3_N6thrust23THRUST_200600_302600_NS6detail15normal_iteratorINS9_10device_ptrIyEEEEPS5_m14custom_greaterIyEEE10hipError_tT0_T1_T2_jT3_P12ihipStream_tbPNSt15iterator_traitsISJ_E10value_typeEPNSP_ISK_E10value_typeEPSL_NS1_7vsmem_tEENKUlT_SJ_SK_SL_E_clISE_PySF_SF_EESI_SY_SJ_SK_SL_EUlSY_E_NS1_11comp_targetILNS1_3genE10ELNS1_11target_archE1201ELNS1_3gpuE5ELNS1_3repE0EEENS1_48merge_mergepath_partition_config_static_selectorELNS0_4arch9wavefront6targetE1EEEvSK_
	.p2align	8
	.type	_ZN7rocprim17ROCPRIM_400000_NS6detail17trampoline_kernelINS0_14default_configENS1_38merge_sort_block_merge_config_selectorIyNS0_10empty_typeEEEZZNS1_27merge_sort_block_merge_implIS3_N6thrust23THRUST_200600_302600_NS6detail15normal_iteratorINS9_10device_ptrIyEEEEPS5_m14custom_greaterIyEEE10hipError_tT0_T1_T2_jT3_P12ihipStream_tbPNSt15iterator_traitsISJ_E10value_typeEPNSP_ISK_E10value_typeEPSL_NS1_7vsmem_tEENKUlT_SJ_SK_SL_E_clISE_PySF_SF_EESI_SY_SJ_SK_SL_EUlSY_E_NS1_11comp_targetILNS1_3genE10ELNS1_11target_archE1201ELNS1_3gpuE5ELNS1_3repE0EEENS1_48merge_mergepath_partition_config_static_selectorELNS0_4arch9wavefront6targetE1EEEvSK_,@function
_ZN7rocprim17ROCPRIM_400000_NS6detail17trampoline_kernelINS0_14default_configENS1_38merge_sort_block_merge_config_selectorIyNS0_10empty_typeEEEZZNS1_27merge_sort_block_merge_implIS3_N6thrust23THRUST_200600_302600_NS6detail15normal_iteratorINS9_10device_ptrIyEEEEPS5_m14custom_greaterIyEEE10hipError_tT0_T1_T2_jT3_P12ihipStream_tbPNSt15iterator_traitsISJ_E10value_typeEPNSP_ISK_E10value_typeEPSL_NS1_7vsmem_tEENKUlT_SJ_SK_SL_E_clISE_PySF_SF_EESI_SY_SJ_SK_SL_EUlSY_E_NS1_11comp_targetILNS1_3genE10ELNS1_11target_archE1201ELNS1_3gpuE5ELNS1_3repE0EEENS1_48merge_mergepath_partition_config_static_selectorELNS0_4arch9wavefront6targetE1EEEvSK_: ; @_ZN7rocprim17ROCPRIM_400000_NS6detail17trampoline_kernelINS0_14default_configENS1_38merge_sort_block_merge_config_selectorIyNS0_10empty_typeEEEZZNS1_27merge_sort_block_merge_implIS3_N6thrust23THRUST_200600_302600_NS6detail15normal_iteratorINS9_10device_ptrIyEEEEPS5_m14custom_greaterIyEEE10hipError_tT0_T1_T2_jT3_P12ihipStream_tbPNSt15iterator_traitsISJ_E10value_typeEPNSP_ISK_E10value_typeEPSL_NS1_7vsmem_tEENKUlT_SJ_SK_SL_E_clISE_PySF_SF_EESI_SY_SJ_SK_SL_EUlSY_E_NS1_11comp_targetILNS1_3genE10ELNS1_11target_archE1201ELNS1_3gpuE5ELNS1_3repE0EEENS1_48merge_mergepath_partition_config_static_selectorELNS0_4arch9wavefront6targetE1EEEvSK_
; %bb.0:
	.section	.rodata,"a",@progbits
	.p2align	6, 0x0
	.amdhsa_kernel _ZN7rocprim17ROCPRIM_400000_NS6detail17trampoline_kernelINS0_14default_configENS1_38merge_sort_block_merge_config_selectorIyNS0_10empty_typeEEEZZNS1_27merge_sort_block_merge_implIS3_N6thrust23THRUST_200600_302600_NS6detail15normal_iteratorINS9_10device_ptrIyEEEEPS5_m14custom_greaterIyEEE10hipError_tT0_T1_T2_jT3_P12ihipStream_tbPNSt15iterator_traitsISJ_E10value_typeEPNSP_ISK_E10value_typeEPSL_NS1_7vsmem_tEENKUlT_SJ_SK_SL_E_clISE_PySF_SF_EESI_SY_SJ_SK_SL_EUlSY_E_NS1_11comp_targetILNS1_3genE10ELNS1_11target_archE1201ELNS1_3gpuE5ELNS1_3repE0EEENS1_48merge_mergepath_partition_config_static_selectorELNS0_4arch9wavefront6targetE1EEEvSK_
		.amdhsa_group_segment_fixed_size 0
		.amdhsa_private_segment_fixed_size 0
		.amdhsa_kernarg_size 48
		.amdhsa_user_sgpr_count 6
		.amdhsa_user_sgpr_private_segment_buffer 1
		.amdhsa_user_sgpr_dispatch_ptr 0
		.amdhsa_user_sgpr_queue_ptr 0
		.amdhsa_user_sgpr_kernarg_segment_ptr 1
		.amdhsa_user_sgpr_dispatch_id 0
		.amdhsa_user_sgpr_flat_scratch_init 0
		.amdhsa_user_sgpr_kernarg_preload_length 0
		.amdhsa_user_sgpr_kernarg_preload_offset 0
		.amdhsa_user_sgpr_private_segment_size 0
		.amdhsa_uses_dynamic_stack 0
		.amdhsa_system_sgpr_private_segment_wavefront_offset 0
		.amdhsa_system_sgpr_workgroup_id_x 1
		.amdhsa_system_sgpr_workgroup_id_y 0
		.amdhsa_system_sgpr_workgroup_id_z 0
		.amdhsa_system_sgpr_workgroup_info 0
		.amdhsa_system_vgpr_workitem_id 0
		.amdhsa_next_free_vgpr 1
		.amdhsa_next_free_sgpr 0
		.amdhsa_accum_offset 4
		.amdhsa_reserve_vcc 0
		.amdhsa_reserve_flat_scratch 0
		.amdhsa_float_round_mode_32 0
		.amdhsa_float_round_mode_16_64 0
		.amdhsa_float_denorm_mode_32 3
		.amdhsa_float_denorm_mode_16_64 3
		.amdhsa_dx10_clamp 1
		.amdhsa_ieee_mode 1
		.amdhsa_fp16_overflow 0
		.amdhsa_tg_split 0
		.amdhsa_exception_fp_ieee_invalid_op 0
		.amdhsa_exception_fp_denorm_src 0
		.amdhsa_exception_fp_ieee_div_zero 0
		.amdhsa_exception_fp_ieee_overflow 0
		.amdhsa_exception_fp_ieee_underflow 0
		.amdhsa_exception_fp_ieee_inexact 0
		.amdhsa_exception_int_div_zero 0
	.end_amdhsa_kernel
	.section	.text._ZN7rocprim17ROCPRIM_400000_NS6detail17trampoline_kernelINS0_14default_configENS1_38merge_sort_block_merge_config_selectorIyNS0_10empty_typeEEEZZNS1_27merge_sort_block_merge_implIS3_N6thrust23THRUST_200600_302600_NS6detail15normal_iteratorINS9_10device_ptrIyEEEEPS5_m14custom_greaterIyEEE10hipError_tT0_T1_T2_jT3_P12ihipStream_tbPNSt15iterator_traitsISJ_E10value_typeEPNSP_ISK_E10value_typeEPSL_NS1_7vsmem_tEENKUlT_SJ_SK_SL_E_clISE_PySF_SF_EESI_SY_SJ_SK_SL_EUlSY_E_NS1_11comp_targetILNS1_3genE10ELNS1_11target_archE1201ELNS1_3gpuE5ELNS1_3repE0EEENS1_48merge_mergepath_partition_config_static_selectorELNS0_4arch9wavefront6targetE1EEEvSK_,"axG",@progbits,_ZN7rocprim17ROCPRIM_400000_NS6detail17trampoline_kernelINS0_14default_configENS1_38merge_sort_block_merge_config_selectorIyNS0_10empty_typeEEEZZNS1_27merge_sort_block_merge_implIS3_N6thrust23THRUST_200600_302600_NS6detail15normal_iteratorINS9_10device_ptrIyEEEEPS5_m14custom_greaterIyEEE10hipError_tT0_T1_T2_jT3_P12ihipStream_tbPNSt15iterator_traitsISJ_E10value_typeEPNSP_ISK_E10value_typeEPSL_NS1_7vsmem_tEENKUlT_SJ_SK_SL_E_clISE_PySF_SF_EESI_SY_SJ_SK_SL_EUlSY_E_NS1_11comp_targetILNS1_3genE10ELNS1_11target_archE1201ELNS1_3gpuE5ELNS1_3repE0EEENS1_48merge_mergepath_partition_config_static_selectorELNS0_4arch9wavefront6targetE1EEEvSK_,comdat
.Lfunc_end3488:
	.size	_ZN7rocprim17ROCPRIM_400000_NS6detail17trampoline_kernelINS0_14default_configENS1_38merge_sort_block_merge_config_selectorIyNS0_10empty_typeEEEZZNS1_27merge_sort_block_merge_implIS3_N6thrust23THRUST_200600_302600_NS6detail15normal_iteratorINS9_10device_ptrIyEEEEPS5_m14custom_greaterIyEEE10hipError_tT0_T1_T2_jT3_P12ihipStream_tbPNSt15iterator_traitsISJ_E10value_typeEPNSP_ISK_E10value_typeEPSL_NS1_7vsmem_tEENKUlT_SJ_SK_SL_E_clISE_PySF_SF_EESI_SY_SJ_SK_SL_EUlSY_E_NS1_11comp_targetILNS1_3genE10ELNS1_11target_archE1201ELNS1_3gpuE5ELNS1_3repE0EEENS1_48merge_mergepath_partition_config_static_selectorELNS0_4arch9wavefront6targetE1EEEvSK_, .Lfunc_end3488-_ZN7rocprim17ROCPRIM_400000_NS6detail17trampoline_kernelINS0_14default_configENS1_38merge_sort_block_merge_config_selectorIyNS0_10empty_typeEEEZZNS1_27merge_sort_block_merge_implIS3_N6thrust23THRUST_200600_302600_NS6detail15normal_iteratorINS9_10device_ptrIyEEEEPS5_m14custom_greaterIyEEE10hipError_tT0_T1_T2_jT3_P12ihipStream_tbPNSt15iterator_traitsISJ_E10value_typeEPNSP_ISK_E10value_typeEPSL_NS1_7vsmem_tEENKUlT_SJ_SK_SL_E_clISE_PySF_SF_EESI_SY_SJ_SK_SL_EUlSY_E_NS1_11comp_targetILNS1_3genE10ELNS1_11target_archE1201ELNS1_3gpuE5ELNS1_3repE0EEENS1_48merge_mergepath_partition_config_static_selectorELNS0_4arch9wavefront6targetE1EEEvSK_
                                        ; -- End function
	.section	.AMDGPU.csdata,"",@progbits
; Kernel info:
; codeLenInByte = 0
; NumSgprs: 4
; NumVgprs: 0
; NumAgprs: 0
; TotalNumVgprs: 0
; ScratchSize: 0
; MemoryBound: 0
; FloatMode: 240
; IeeeMode: 1
; LDSByteSize: 0 bytes/workgroup (compile time only)
; SGPRBlocks: 0
; VGPRBlocks: 0
; NumSGPRsForWavesPerEU: 4
; NumVGPRsForWavesPerEU: 1
; AccumOffset: 4
; Occupancy: 8
; WaveLimiterHint : 0
; COMPUTE_PGM_RSRC2:SCRATCH_EN: 0
; COMPUTE_PGM_RSRC2:USER_SGPR: 6
; COMPUTE_PGM_RSRC2:TRAP_HANDLER: 0
; COMPUTE_PGM_RSRC2:TGID_X_EN: 1
; COMPUTE_PGM_RSRC2:TGID_Y_EN: 0
; COMPUTE_PGM_RSRC2:TGID_Z_EN: 0
; COMPUTE_PGM_RSRC2:TIDIG_COMP_CNT: 0
; COMPUTE_PGM_RSRC3_GFX90A:ACCUM_OFFSET: 0
; COMPUTE_PGM_RSRC3_GFX90A:TG_SPLIT: 0
	.section	.text._ZN7rocprim17ROCPRIM_400000_NS6detail17trampoline_kernelINS0_14default_configENS1_38merge_sort_block_merge_config_selectorIyNS0_10empty_typeEEEZZNS1_27merge_sort_block_merge_implIS3_N6thrust23THRUST_200600_302600_NS6detail15normal_iteratorINS9_10device_ptrIyEEEEPS5_m14custom_greaterIyEEE10hipError_tT0_T1_T2_jT3_P12ihipStream_tbPNSt15iterator_traitsISJ_E10value_typeEPNSP_ISK_E10value_typeEPSL_NS1_7vsmem_tEENKUlT_SJ_SK_SL_E_clISE_PySF_SF_EESI_SY_SJ_SK_SL_EUlSY_E_NS1_11comp_targetILNS1_3genE5ELNS1_11target_archE942ELNS1_3gpuE9ELNS1_3repE0EEENS1_48merge_mergepath_partition_config_static_selectorELNS0_4arch9wavefront6targetE1EEEvSK_,"axG",@progbits,_ZN7rocprim17ROCPRIM_400000_NS6detail17trampoline_kernelINS0_14default_configENS1_38merge_sort_block_merge_config_selectorIyNS0_10empty_typeEEEZZNS1_27merge_sort_block_merge_implIS3_N6thrust23THRUST_200600_302600_NS6detail15normal_iteratorINS9_10device_ptrIyEEEEPS5_m14custom_greaterIyEEE10hipError_tT0_T1_T2_jT3_P12ihipStream_tbPNSt15iterator_traitsISJ_E10value_typeEPNSP_ISK_E10value_typeEPSL_NS1_7vsmem_tEENKUlT_SJ_SK_SL_E_clISE_PySF_SF_EESI_SY_SJ_SK_SL_EUlSY_E_NS1_11comp_targetILNS1_3genE5ELNS1_11target_archE942ELNS1_3gpuE9ELNS1_3repE0EEENS1_48merge_mergepath_partition_config_static_selectorELNS0_4arch9wavefront6targetE1EEEvSK_,comdat
	.protected	_ZN7rocprim17ROCPRIM_400000_NS6detail17trampoline_kernelINS0_14default_configENS1_38merge_sort_block_merge_config_selectorIyNS0_10empty_typeEEEZZNS1_27merge_sort_block_merge_implIS3_N6thrust23THRUST_200600_302600_NS6detail15normal_iteratorINS9_10device_ptrIyEEEEPS5_m14custom_greaterIyEEE10hipError_tT0_T1_T2_jT3_P12ihipStream_tbPNSt15iterator_traitsISJ_E10value_typeEPNSP_ISK_E10value_typeEPSL_NS1_7vsmem_tEENKUlT_SJ_SK_SL_E_clISE_PySF_SF_EESI_SY_SJ_SK_SL_EUlSY_E_NS1_11comp_targetILNS1_3genE5ELNS1_11target_archE942ELNS1_3gpuE9ELNS1_3repE0EEENS1_48merge_mergepath_partition_config_static_selectorELNS0_4arch9wavefront6targetE1EEEvSK_ ; -- Begin function _ZN7rocprim17ROCPRIM_400000_NS6detail17trampoline_kernelINS0_14default_configENS1_38merge_sort_block_merge_config_selectorIyNS0_10empty_typeEEEZZNS1_27merge_sort_block_merge_implIS3_N6thrust23THRUST_200600_302600_NS6detail15normal_iteratorINS9_10device_ptrIyEEEEPS5_m14custom_greaterIyEEE10hipError_tT0_T1_T2_jT3_P12ihipStream_tbPNSt15iterator_traitsISJ_E10value_typeEPNSP_ISK_E10value_typeEPSL_NS1_7vsmem_tEENKUlT_SJ_SK_SL_E_clISE_PySF_SF_EESI_SY_SJ_SK_SL_EUlSY_E_NS1_11comp_targetILNS1_3genE5ELNS1_11target_archE942ELNS1_3gpuE9ELNS1_3repE0EEENS1_48merge_mergepath_partition_config_static_selectorELNS0_4arch9wavefront6targetE1EEEvSK_
	.globl	_ZN7rocprim17ROCPRIM_400000_NS6detail17trampoline_kernelINS0_14default_configENS1_38merge_sort_block_merge_config_selectorIyNS0_10empty_typeEEEZZNS1_27merge_sort_block_merge_implIS3_N6thrust23THRUST_200600_302600_NS6detail15normal_iteratorINS9_10device_ptrIyEEEEPS5_m14custom_greaterIyEEE10hipError_tT0_T1_T2_jT3_P12ihipStream_tbPNSt15iterator_traitsISJ_E10value_typeEPNSP_ISK_E10value_typeEPSL_NS1_7vsmem_tEENKUlT_SJ_SK_SL_E_clISE_PySF_SF_EESI_SY_SJ_SK_SL_EUlSY_E_NS1_11comp_targetILNS1_3genE5ELNS1_11target_archE942ELNS1_3gpuE9ELNS1_3repE0EEENS1_48merge_mergepath_partition_config_static_selectorELNS0_4arch9wavefront6targetE1EEEvSK_
	.p2align	8
	.type	_ZN7rocprim17ROCPRIM_400000_NS6detail17trampoline_kernelINS0_14default_configENS1_38merge_sort_block_merge_config_selectorIyNS0_10empty_typeEEEZZNS1_27merge_sort_block_merge_implIS3_N6thrust23THRUST_200600_302600_NS6detail15normal_iteratorINS9_10device_ptrIyEEEEPS5_m14custom_greaterIyEEE10hipError_tT0_T1_T2_jT3_P12ihipStream_tbPNSt15iterator_traitsISJ_E10value_typeEPNSP_ISK_E10value_typeEPSL_NS1_7vsmem_tEENKUlT_SJ_SK_SL_E_clISE_PySF_SF_EESI_SY_SJ_SK_SL_EUlSY_E_NS1_11comp_targetILNS1_3genE5ELNS1_11target_archE942ELNS1_3gpuE9ELNS1_3repE0EEENS1_48merge_mergepath_partition_config_static_selectorELNS0_4arch9wavefront6targetE1EEEvSK_,@function
_ZN7rocprim17ROCPRIM_400000_NS6detail17trampoline_kernelINS0_14default_configENS1_38merge_sort_block_merge_config_selectorIyNS0_10empty_typeEEEZZNS1_27merge_sort_block_merge_implIS3_N6thrust23THRUST_200600_302600_NS6detail15normal_iteratorINS9_10device_ptrIyEEEEPS5_m14custom_greaterIyEEE10hipError_tT0_T1_T2_jT3_P12ihipStream_tbPNSt15iterator_traitsISJ_E10value_typeEPNSP_ISK_E10value_typeEPSL_NS1_7vsmem_tEENKUlT_SJ_SK_SL_E_clISE_PySF_SF_EESI_SY_SJ_SK_SL_EUlSY_E_NS1_11comp_targetILNS1_3genE5ELNS1_11target_archE942ELNS1_3gpuE9ELNS1_3repE0EEENS1_48merge_mergepath_partition_config_static_selectorELNS0_4arch9wavefront6targetE1EEEvSK_: ; @_ZN7rocprim17ROCPRIM_400000_NS6detail17trampoline_kernelINS0_14default_configENS1_38merge_sort_block_merge_config_selectorIyNS0_10empty_typeEEEZZNS1_27merge_sort_block_merge_implIS3_N6thrust23THRUST_200600_302600_NS6detail15normal_iteratorINS9_10device_ptrIyEEEEPS5_m14custom_greaterIyEEE10hipError_tT0_T1_T2_jT3_P12ihipStream_tbPNSt15iterator_traitsISJ_E10value_typeEPNSP_ISK_E10value_typeEPSL_NS1_7vsmem_tEENKUlT_SJ_SK_SL_E_clISE_PySF_SF_EESI_SY_SJ_SK_SL_EUlSY_E_NS1_11comp_targetILNS1_3genE5ELNS1_11target_archE942ELNS1_3gpuE9ELNS1_3repE0EEENS1_48merge_mergepath_partition_config_static_selectorELNS0_4arch9wavefront6targetE1EEEvSK_
; %bb.0:
	.section	.rodata,"a",@progbits
	.p2align	6, 0x0
	.amdhsa_kernel _ZN7rocprim17ROCPRIM_400000_NS6detail17trampoline_kernelINS0_14default_configENS1_38merge_sort_block_merge_config_selectorIyNS0_10empty_typeEEEZZNS1_27merge_sort_block_merge_implIS3_N6thrust23THRUST_200600_302600_NS6detail15normal_iteratorINS9_10device_ptrIyEEEEPS5_m14custom_greaterIyEEE10hipError_tT0_T1_T2_jT3_P12ihipStream_tbPNSt15iterator_traitsISJ_E10value_typeEPNSP_ISK_E10value_typeEPSL_NS1_7vsmem_tEENKUlT_SJ_SK_SL_E_clISE_PySF_SF_EESI_SY_SJ_SK_SL_EUlSY_E_NS1_11comp_targetILNS1_3genE5ELNS1_11target_archE942ELNS1_3gpuE9ELNS1_3repE0EEENS1_48merge_mergepath_partition_config_static_selectorELNS0_4arch9wavefront6targetE1EEEvSK_
		.amdhsa_group_segment_fixed_size 0
		.amdhsa_private_segment_fixed_size 0
		.amdhsa_kernarg_size 48
		.amdhsa_user_sgpr_count 6
		.amdhsa_user_sgpr_private_segment_buffer 1
		.amdhsa_user_sgpr_dispatch_ptr 0
		.amdhsa_user_sgpr_queue_ptr 0
		.amdhsa_user_sgpr_kernarg_segment_ptr 1
		.amdhsa_user_sgpr_dispatch_id 0
		.amdhsa_user_sgpr_flat_scratch_init 0
		.amdhsa_user_sgpr_kernarg_preload_length 0
		.amdhsa_user_sgpr_kernarg_preload_offset 0
		.amdhsa_user_sgpr_private_segment_size 0
		.amdhsa_uses_dynamic_stack 0
		.amdhsa_system_sgpr_private_segment_wavefront_offset 0
		.amdhsa_system_sgpr_workgroup_id_x 1
		.amdhsa_system_sgpr_workgroup_id_y 0
		.amdhsa_system_sgpr_workgroup_id_z 0
		.amdhsa_system_sgpr_workgroup_info 0
		.amdhsa_system_vgpr_workitem_id 0
		.amdhsa_next_free_vgpr 1
		.amdhsa_next_free_sgpr 0
		.amdhsa_accum_offset 4
		.amdhsa_reserve_vcc 0
		.amdhsa_reserve_flat_scratch 0
		.amdhsa_float_round_mode_32 0
		.amdhsa_float_round_mode_16_64 0
		.amdhsa_float_denorm_mode_32 3
		.amdhsa_float_denorm_mode_16_64 3
		.amdhsa_dx10_clamp 1
		.amdhsa_ieee_mode 1
		.amdhsa_fp16_overflow 0
		.amdhsa_tg_split 0
		.amdhsa_exception_fp_ieee_invalid_op 0
		.amdhsa_exception_fp_denorm_src 0
		.amdhsa_exception_fp_ieee_div_zero 0
		.amdhsa_exception_fp_ieee_overflow 0
		.amdhsa_exception_fp_ieee_underflow 0
		.amdhsa_exception_fp_ieee_inexact 0
		.amdhsa_exception_int_div_zero 0
	.end_amdhsa_kernel
	.section	.text._ZN7rocprim17ROCPRIM_400000_NS6detail17trampoline_kernelINS0_14default_configENS1_38merge_sort_block_merge_config_selectorIyNS0_10empty_typeEEEZZNS1_27merge_sort_block_merge_implIS3_N6thrust23THRUST_200600_302600_NS6detail15normal_iteratorINS9_10device_ptrIyEEEEPS5_m14custom_greaterIyEEE10hipError_tT0_T1_T2_jT3_P12ihipStream_tbPNSt15iterator_traitsISJ_E10value_typeEPNSP_ISK_E10value_typeEPSL_NS1_7vsmem_tEENKUlT_SJ_SK_SL_E_clISE_PySF_SF_EESI_SY_SJ_SK_SL_EUlSY_E_NS1_11comp_targetILNS1_3genE5ELNS1_11target_archE942ELNS1_3gpuE9ELNS1_3repE0EEENS1_48merge_mergepath_partition_config_static_selectorELNS0_4arch9wavefront6targetE1EEEvSK_,"axG",@progbits,_ZN7rocprim17ROCPRIM_400000_NS6detail17trampoline_kernelINS0_14default_configENS1_38merge_sort_block_merge_config_selectorIyNS0_10empty_typeEEEZZNS1_27merge_sort_block_merge_implIS3_N6thrust23THRUST_200600_302600_NS6detail15normal_iteratorINS9_10device_ptrIyEEEEPS5_m14custom_greaterIyEEE10hipError_tT0_T1_T2_jT3_P12ihipStream_tbPNSt15iterator_traitsISJ_E10value_typeEPNSP_ISK_E10value_typeEPSL_NS1_7vsmem_tEENKUlT_SJ_SK_SL_E_clISE_PySF_SF_EESI_SY_SJ_SK_SL_EUlSY_E_NS1_11comp_targetILNS1_3genE5ELNS1_11target_archE942ELNS1_3gpuE9ELNS1_3repE0EEENS1_48merge_mergepath_partition_config_static_selectorELNS0_4arch9wavefront6targetE1EEEvSK_,comdat
.Lfunc_end3489:
	.size	_ZN7rocprim17ROCPRIM_400000_NS6detail17trampoline_kernelINS0_14default_configENS1_38merge_sort_block_merge_config_selectorIyNS0_10empty_typeEEEZZNS1_27merge_sort_block_merge_implIS3_N6thrust23THRUST_200600_302600_NS6detail15normal_iteratorINS9_10device_ptrIyEEEEPS5_m14custom_greaterIyEEE10hipError_tT0_T1_T2_jT3_P12ihipStream_tbPNSt15iterator_traitsISJ_E10value_typeEPNSP_ISK_E10value_typeEPSL_NS1_7vsmem_tEENKUlT_SJ_SK_SL_E_clISE_PySF_SF_EESI_SY_SJ_SK_SL_EUlSY_E_NS1_11comp_targetILNS1_3genE5ELNS1_11target_archE942ELNS1_3gpuE9ELNS1_3repE0EEENS1_48merge_mergepath_partition_config_static_selectorELNS0_4arch9wavefront6targetE1EEEvSK_, .Lfunc_end3489-_ZN7rocprim17ROCPRIM_400000_NS6detail17trampoline_kernelINS0_14default_configENS1_38merge_sort_block_merge_config_selectorIyNS0_10empty_typeEEEZZNS1_27merge_sort_block_merge_implIS3_N6thrust23THRUST_200600_302600_NS6detail15normal_iteratorINS9_10device_ptrIyEEEEPS5_m14custom_greaterIyEEE10hipError_tT0_T1_T2_jT3_P12ihipStream_tbPNSt15iterator_traitsISJ_E10value_typeEPNSP_ISK_E10value_typeEPSL_NS1_7vsmem_tEENKUlT_SJ_SK_SL_E_clISE_PySF_SF_EESI_SY_SJ_SK_SL_EUlSY_E_NS1_11comp_targetILNS1_3genE5ELNS1_11target_archE942ELNS1_3gpuE9ELNS1_3repE0EEENS1_48merge_mergepath_partition_config_static_selectorELNS0_4arch9wavefront6targetE1EEEvSK_
                                        ; -- End function
	.section	.AMDGPU.csdata,"",@progbits
; Kernel info:
; codeLenInByte = 0
; NumSgprs: 4
; NumVgprs: 0
; NumAgprs: 0
; TotalNumVgprs: 0
; ScratchSize: 0
; MemoryBound: 0
; FloatMode: 240
; IeeeMode: 1
; LDSByteSize: 0 bytes/workgroup (compile time only)
; SGPRBlocks: 0
; VGPRBlocks: 0
; NumSGPRsForWavesPerEU: 4
; NumVGPRsForWavesPerEU: 1
; AccumOffset: 4
; Occupancy: 8
; WaveLimiterHint : 0
; COMPUTE_PGM_RSRC2:SCRATCH_EN: 0
; COMPUTE_PGM_RSRC2:USER_SGPR: 6
; COMPUTE_PGM_RSRC2:TRAP_HANDLER: 0
; COMPUTE_PGM_RSRC2:TGID_X_EN: 1
; COMPUTE_PGM_RSRC2:TGID_Y_EN: 0
; COMPUTE_PGM_RSRC2:TGID_Z_EN: 0
; COMPUTE_PGM_RSRC2:TIDIG_COMP_CNT: 0
; COMPUTE_PGM_RSRC3_GFX90A:ACCUM_OFFSET: 0
; COMPUTE_PGM_RSRC3_GFX90A:TG_SPLIT: 0
	.section	.text._ZN7rocprim17ROCPRIM_400000_NS6detail17trampoline_kernelINS0_14default_configENS1_38merge_sort_block_merge_config_selectorIyNS0_10empty_typeEEEZZNS1_27merge_sort_block_merge_implIS3_N6thrust23THRUST_200600_302600_NS6detail15normal_iteratorINS9_10device_ptrIyEEEEPS5_m14custom_greaterIyEEE10hipError_tT0_T1_T2_jT3_P12ihipStream_tbPNSt15iterator_traitsISJ_E10value_typeEPNSP_ISK_E10value_typeEPSL_NS1_7vsmem_tEENKUlT_SJ_SK_SL_E_clISE_PySF_SF_EESI_SY_SJ_SK_SL_EUlSY_E_NS1_11comp_targetILNS1_3genE4ELNS1_11target_archE910ELNS1_3gpuE8ELNS1_3repE0EEENS1_48merge_mergepath_partition_config_static_selectorELNS0_4arch9wavefront6targetE1EEEvSK_,"axG",@progbits,_ZN7rocprim17ROCPRIM_400000_NS6detail17trampoline_kernelINS0_14default_configENS1_38merge_sort_block_merge_config_selectorIyNS0_10empty_typeEEEZZNS1_27merge_sort_block_merge_implIS3_N6thrust23THRUST_200600_302600_NS6detail15normal_iteratorINS9_10device_ptrIyEEEEPS5_m14custom_greaterIyEEE10hipError_tT0_T1_T2_jT3_P12ihipStream_tbPNSt15iterator_traitsISJ_E10value_typeEPNSP_ISK_E10value_typeEPSL_NS1_7vsmem_tEENKUlT_SJ_SK_SL_E_clISE_PySF_SF_EESI_SY_SJ_SK_SL_EUlSY_E_NS1_11comp_targetILNS1_3genE4ELNS1_11target_archE910ELNS1_3gpuE8ELNS1_3repE0EEENS1_48merge_mergepath_partition_config_static_selectorELNS0_4arch9wavefront6targetE1EEEvSK_,comdat
	.protected	_ZN7rocprim17ROCPRIM_400000_NS6detail17trampoline_kernelINS0_14default_configENS1_38merge_sort_block_merge_config_selectorIyNS0_10empty_typeEEEZZNS1_27merge_sort_block_merge_implIS3_N6thrust23THRUST_200600_302600_NS6detail15normal_iteratorINS9_10device_ptrIyEEEEPS5_m14custom_greaterIyEEE10hipError_tT0_T1_T2_jT3_P12ihipStream_tbPNSt15iterator_traitsISJ_E10value_typeEPNSP_ISK_E10value_typeEPSL_NS1_7vsmem_tEENKUlT_SJ_SK_SL_E_clISE_PySF_SF_EESI_SY_SJ_SK_SL_EUlSY_E_NS1_11comp_targetILNS1_3genE4ELNS1_11target_archE910ELNS1_3gpuE8ELNS1_3repE0EEENS1_48merge_mergepath_partition_config_static_selectorELNS0_4arch9wavefront6targetE1EEEvSK_ ; -- Begin function _ZN7rocprim17ROCPRIM_400000_NS6detail17trampoline_kernelINS0_14default_configENS1_38merge_sort_block_merge_config_selectorIyNS0_10empty_typeEEEZZNS1_27merge_sort_block_merge_implIS3_N6thrust23THRUST_200600_302600_NS6detail15normal_iteratorINS9_10device_ptrIyEEEEPS5_m14custom_greaterIyEEE10hipError_tT0_T1_T2_jT3_P12ihipStream_tbPNSt15iterator_traitsISJ_E10value_typeEPNSP_ISK_E10value_typeEPSL_NS1_7vsmem_tEENKUlT_SJ_SK_SL_E_clISE_PySF_SF_EESI_SY_SJ_SK_SL_EUlSY_E_NS1_11comp_targetILNS1_3genE4ELNS1_11target_archE910ELNS1_3gpuE8ELNS1_3repE0EEENS1_48merge_mergepath_partition_config_static_selectorELNS0_4arch9wavefront6targetE1EEEvSK_
	.globl	_ZN7rocprim17ROCPRIM_400000_NS6detail17trampoline_kernelINS0_14default_configENS1_38merge_sort_block_merge_config_selectorIyNS0_10empty_typeEEEZZNS1_27merge_sort_block_merge_implIS3_N6thrust23THRUST_200600_302600_NS6detail15normal_iteratorINS9_10device_ptrIyEEEEPS5_m14custom_greaterIyEEE10hipError_tT0_T1_T2_jT3_P12ihipStream_tbPNSt15iterator_traitsISJ_E10value_typeEPNSP_ISK_E10value_typeEPSL_NS1_7vsmem_tEENKUlT_SJ_SK_SL_E_clISE_PySF_SF_EESI_SY_SJ_SK_SL_EUlSY_E_NS1_11comp_targetILNS1_3genE4ELNS1_11target_archE910ELNS1_3gpuE8ELNS1_3repE0EEENS1_48merge_mergepath_partition_config_static_selectorELNS0_4arch9wavefront6targetE1EEEvSK_
	.p2align	8
	.type	_ZN7rocprim17ROCPRIM_400000_NS6detail17trampoline_kernelINS0_14default_configENS1_38merge_sort_block_merge_config_selectorIyNS0_10empty_typeEEEZZNS1_27merge_sort_block_merge_implIS3_N6thrust23THRUST_200600_302600_NS6detail15normal_iteratorINS9_10device_ptrIyEEEEPS5_m14custom_greaterIyEEE10hipError_tT0_T1_T2_jT3_P12ihipStream_tbPNSt15iterator_traitsISJ_E10value_typeEPNSP_ISK_E10value_typeEPSL_NS1_7vsmem_tEENKUlT_SJ_SK_SL_E_clISE_PySF_SF_EESI_SY_SJ_SK_SL_EUlSY_E_NS1_11comp_targetILNS1_3genE4ELNS1_11target_archE910ELNS1_3gpuE8ELNS1_3repE0EEENS1_48merge_mergepath_partition_config_static_selectorELNS0_4arch9wavefront6targetE1EEEvSK_,@function
_ZN7rocprim17ROCPRIM_400000_NS6detail17trampoline_kernelINS0_14default_configENS1_38merge_sort_block_merge_config_selectorIyNS0_10empty_typeEEEZZNS1_27merge_sort_block_merge_implIS3_N6thrust23THRUST_200600_302600_NS6detail15normal_iteratorINS9_10device_ptrIyEEEEPS5_m14custom_greaterIyEEE10hipError_tT0_T1_T2_jT3_P12ihipStream_tbPNSt15iterator_traitsISJ_E10value_typeEPNSP_ISK_E10value_typeEPSL_NS1_7vsmem_tEENKUlT_SJ_SK_SL_E_clISE_PySF_SF_EESI_SY_SJ_SK_SL_EUlSY_E_NS1_11comp_targetILNS1_3genE4ELNS1_11target_archE910ELNS1_3gpuE8ELNS1_3repE0EEENS1_48merge_mergepath_partition_config_static_selectorELNS0_4arch9wavefront6targetE1EEEvSK_: ; @_ZN7rocprim17ROCPRIM_400000_NS6detail17trampoline_kernelINS0_14default_configENS1_38merge_sort_block_merge_config_selectorIyNS0_10empty_typeEEEZZNS1_27merge_sort_block_merge_implIS3_N6thrust23THRUST_200600_302600_NS6detail15normal_iteratorINS9_10device_ptrIyEEEEPS5_m14custom_greaterIyEEE10hipError_tT0_T1_T2_jT3_P12ihipStream_tbPNSt15iterator_traitsISJ_E10value_typeEPNSP_ISK_E10value_typeEPSL_NS1_7vsmem_tEENKUlT_SJ_SK_SL_E_clISE_PySF_SF_EESI_SY_SJ_SK_SL_EUlSY_E_NS1_11comp_targetILNS1_3genE4ELNS1_11target_archE910ELNS1_3gpuE8ELNS1_3repE0EEENS1_48merge_mergepath_partition_config_static_selectorELNS0_4arch9wavefront6targetE1EEEvSK_
; %bb.0:
	s_load_dword s0, s[4:5], 0x0
	v_lshl_or_b32 v0, s6, 7, v0
	s_waitcnt lgkmcnt(0)
	v_cmp_gt_u32_e32 vcc, s0, v0
	s_and_saveexec_b64 s[0:1], vcc
	s_cbranch_execz .LBB3490_6
; %bb.1:
	s_load_dwordx4 s[0:3], s[4:5], 0x8
	s_load_dwordx2 s[6:7], s[4:5], 0x28
	v_mov_b32_e32 v5, 0
	s_waitcnt lgkmcnt(0)
	v_mov_b32_e32 v1, s0
	v_alignbit_b32 v1, s1, v1, 9
	v_and_b32_e32 v1, -2, v1
	v_add_u32_e32 v2, -1, v1
	v_sub_u32_e32 v1, 0, v1
	v_and_b32_e32 v4, v0, v1
	v_lshlrev_b64 v[8:9], 10, v[4:5]
	v_mov_b32_e32 v1, s3
	v_cmp_lt_u64_e32 vcc, s[2:3], v[8:9]
	v_mov_b32_e32 v4, s2
	v_and_b32_e32 v6, v2, v0
	v_cndmask_b32_e32 v3, v9, v1, vcc
	v_cndmask_b32_e32 v2, v8, v4, vcc
	v_mov_b32_e32 v7, s1
	v_add_co_u32_e32 v8, vcc, s0, v8
	v_addc_co_u32_e32 v9, vcc, v9, v7, vcc
	v_cmp_lt_u64_e32 vcc, s[2:3], v[8:9]
	v_cndmask_b32_e32 v8, v8, v4, vcc
	v_cndmask_b32_e32 v9, v9, v1, vcc
	v_add_co_u32_e32 v10, vcc, s0, v8
	v_addc_co_u32_e32 v11, vcc, v9, v7, vcc
	v_cmp_lt_u64_e32 vcc, s[2:3], v[10:11]
	v_cndmask_b32_e32 v12, v10, v4, vcc
	v_cndmask_b32_e32 v1, v11, v1, vcc
	v_sub_co_u32_e32 v10, vcc, v12, v2
	v_mov_b32_e32 v7, v5
	v_subb_co_u32_e32 v11, vcc, v1, v3, vcc
	v_lshlrev_b64 v[4:5], 10, v[6:7]
	v_cmp_lt_u64_e32 vcc, v[10:11], v[4:5]
	v_cndmask_b32_e32 v11, v5, v11, vcc
	v_cndmask_b32_e32 v10, v4, v10, vcc
	v_sub_co_u32_e32 v6, vcc, v8, v2
	v_subb_co_u32_e32 v7, vcc, v9, v3, vcc
	v_sub_co_u32_e32 v4, vcc, v8, v12
	v_subb_co_u32_e32 v1, vcc, v9, v1, vcc
	v_add_co_u32_e32 v4, vcc, v10, v4
	v_addc_co_u32_e32 v5, vcc, v11, v1, vcc
	v_cmp_gt_u64_e32 vcc, v[4:5], v[10:11]
	v_cndmask_b32_e64 v5, v5, 0, vcc
	v_cndmask_b32_e64 v4, v4, 0, vcc
	v_cmp_lt_u64_e32 vcc, v[10:11], v[6:7]
	v_cndmask_b32_e32 v7, v7, v11, vcc
	v_cndmask_b32_e32 v6, v6, v10, vcc
	v_cmp_lt_u64_e32 vcc, v[4:5], v[6:7]
	s_and_saveexec_b64 s[0:1], vcc
	s_cbranch_execz .LBB3490_5
; %bb.2:
	s_load_dwordx2 s[2:3], s[4:5], 0x18
	v_lshlrev_b64 v[12:13], 3, v[2:3]
	v_lshlrev_b64 v[8:9], 3, v[8:9]
	s_waitcnt lgkmcnt(0)
	v_mov_b32_e32 v14, s3
	v_add_co_u32_e32 v1, vcc, s2, v12
	v_addc_co_u32_e32 v12, vcc, v14, v13, vcc
	v_add_co_u32_e32 v13, vcc, s2, v8
	v_addc_co_u32_e32 v14, vcc, v14, v9, vcc
	v_lshlrev_b64 v[8:9], 3, v[10:11]
	v_add_co_u32_e32 v8, vcc, v13, v8
	v_addc_co_u32_e32 v9, vcc, v14, v9, vcc
	s_mov_b64 s[2:3], 0
.LBB3490_3:                             ; =>This Inner Loop Header: Depth=1
	v_add_co_u32_e32 v10, vcc, v6, v4
	v_addc_co_u32_e32 v11, vcc, v7, v5, vcc
	v_lshrrev_b64 v[10:11], 1, v[10:11]
	v_lshlrev_b64 v[16:17], 3, v[10:11]
	v_not_b32_e32 v15, v11
	v_not_b32_e32 v14, v10
	v_add_co_u32_e32 v16, vcc, v1, v16
	v_addc_co_u32_e32 v17, vcc, v12, v17, vcc
	v_lshlrev_b64 v[14:15], 3, v[14:15]
	v_add_co_u32_e32 v14, vcc, v8, v14
	v_addc_co_u32_e32 v15, vcc, v9, v15, vcc
	flat_load_dwordx2 v[18:19], v[16:17]
	flat_load_dwordx2 v[20:21], v[14:15]
	v_add_co_u32_e32 v13, vcc, 1, v10
	v_addc_co_u32_e32 v14, vcc, 0, v11, vcc
	s_waitcnt vmcnt(0) lgkmcnt(0)
	v_cmp_gt_u64_e32 vcc, v[18:19], v[20:21]
	v_cndmask_b32_e32 v7, v7, v11, vcc
	v_cndmask_b32_e32 v6, v6, v10, vcc
	;; [unrolled: 1-line block ×4, first 2 shown]
	v_cmp_ge_u64_e32 vcc, v[4:5], v[6:7]
	s_or_b64 s[2:3], vcc, s[2:3]
	s_andn2_b64 exec, exec, s[2:3]
	s_cbranch_execnz .LBB3490_3
; %bb.4:
	s_or_b64 exec, exec, s[2:3]
.LBB3490_5:
	s_or_b64 exec, exec, s[0:1]
	v_add_co_u32_e32 v2, vcc, v4, v2
	v_mov_b32_e32 v1, 0
	v_addc_co_u32_e32 v3, vcc, v5, v3, vcc
	v_lshlrev_b64 v[0:1], 3, v[0:1]
	v_mov_b32_e32 v4, s7
	v_add_co_u32_e32 v0, vcc, s6, v0
	v_addc_co_u32_e32 v1, vcc, v4, v1, vcc
	global_store_dwordx2 v[0:1], v[2:3], off
.LBB3490_6:
	s_endpgm
	.section	.rodata,"a",@progbits
	.p2align	6, 0x0
	.amdhsa_kernel _ZN7rocprim17ROCPRIM_400000_NS6detail17trampoline_kernelINS0_14default_configENS1_38merge_sort_block_merge_config_selectorIyNS0_10empty_typeEEEZZNS1_27merge_sort_block_merge_implIS3_N6thrust23THRUST_200600_302600_NS6detail15normal_iteratorINS9_10device_ptrIyEEEEPS5_m14custom_greaterIyEEE10hipError_tT0_T1_T2_jT3_P12ihipStream_tbPNSt15iterator_traitsISJ_E10value_typeEPNSP_ISK_E10value_typeEPSL_NS1_7vsmem_tEENKUlT_SJ_SK_SL_E_clISE_PySF_SF_EESI_SY_SJ_SK_SL_EUlSY_E_NS1_11comp_targetILNS1_3genE4ELNS1_11target_archE910ELNS1_3gpuE8ELNS1_3repE0EEENS1_48merge_mergepath_partition_config_static_selectorELNS0_4arch9wavefront6targetE1EEEvSK_
		.amdhsa_group_segment_fixed_size 0
		.amdhsa_private_segment_fixed_size 0
		.amdhsa_kernarg_size 48
		.amdhsa_user_sgpr_count 6
		.amdhsa_user_sgpr_private_segment_buffer 1
		.amdhsa_user_sgpr_dispatch_ptr 0
		.amdhsa_user_sgpr_queue_ptr 0
		.amdhsa_user_sgpr_kernarg_segment_ptr 1
		.amdhsa_user_sgpr_dispatch_id 0
		.amdhsa_user_sgpr_flat_scratch_init 0
		.amdhsa_user_sgpr_kernarg_preload_length 0
		.amdhsa_user_sgpr_kernarg_preload_offset 0
		.amdhsa_user_sgpr_private_segment_size 0
		.amdhsa_uses_dynamic_stack 0
		.amdhsa_system_sgpr_private_segment_wavefront_offset 0
		.amdhsa_system_sgpr_workgroup_id_x 1
		.amdhsa_system_sgpr_workgroup_id_y 0
		.amdhsa_system_sgpr_workgroup_id_z 0
		.amdhsa_system_sgpr_workgroup_info 0
		.amdhsa_system_vgpr_workitem_id 0
		.amdhsa_next_free_vgpr 22
		.amdhsa_next_free_sgpr 8
		.amdhsa_accum_offset 24
		.amdhsa_reserve_vcc 1
		.amdhsa_reserve_flat_scratch 0
		.amdhsa_float_round_mode_32 0
		.amdhsa_float_round_mode_16_64 0
		.amdhsa_float_denorm_mode_32 3
		.amdhsa_float_denorm_mode_16_64 3
		.amdhsa_dx10_clamp 1
		.amdhsa_ieee_mode 1
		.amdhsa_fp16_overflow 0
		.amdhsa_tg_split 0
		.amdhsa_exception_fp_ieee_invalid_op 0
		.amdhsa_exception_fp_denorm_src 0
		.amdhsa_exception_fp_ieee_div_zero 0
		.amdhsa_exception_fp_ieee_overflow 0
		.amdhsa_exception_fp_ieee_underflow 0
		.amdhsa_exception_fp_ieee_inexact 0
		.amdhsa_exception_int_div_zero 0
	.end_amdhsa_kernel
	.section	.text._ZN7rocprim17ROCPRIM_400000_NS6detail17trampoline_kernelINS0_14default_configENS1_38merge_sort_block_merge_config_selectorIyNS0_10empty_typeEEEZZNS1_27merge_sort_block_merge_implIS3_N6thrust23THRUST_200600_302600_NS6detail15normal_iteratorINS9_10device_ptrIyEEEEPS5_m14custom_greaterIyEEE10hipError_tT0_T1_T2_jT3_P12ihipStream_tbPNSt15iterator_traitsISJ_E10value_typeEPNSP_ISK_E10value_typeEPSL_NS1_7vsmem_tEENKUlT_SJ_SK_SL_E_clISE_PySF_SF_EESI_SY_SJ_SK_SL_EUlSY_E_NS1_11comp_targetILNS1_3genE4ELNS1_11target_archE910ELNS1_3gpuE8ELNS1_3repE0EEENS1_48merge_mergepath_partition_config_static_selectorELNS0_4arch9wavefront6targetE1EEEvSK_,"axG",@progbits,_ZN7rocprim17ROCPRIM_400000_NS6detail17trampoline_kernelINS0_14default_configENS1_38merge_sort_block_merge_config_selectorIyNS0_10empty_typeEEEZZNS1_27merge_sort_block_merge_implIS3_N6thrust23THRUST_200600_302600_NS6detail15normal_iteratorINS9_10device_ptrIyEEEEPS5_m14custom_greaterIyEEE10hipError_tT0_T1_T2_jT3_P12ihipStream_tbPNSt15iterator_traitsISJ_E10value_typeEPNSP_ISK_E10value_typeEPSL_NS1_7vsmem_tEENKUlT_SJ_SK_SL_E_clISE_PySF_SF_EESI_SY_SJ_SK_SL_EUlSY_E_NS1_11comp_targetILNS1_3genE4ELNS1_11target_archE910ELNS1_3gpuE8ELNS1_3repE0EEENS1_48merge_mergepath_partition_config_static_selectorELNS0_4arch9wavefront6targetE1EEEvSK_,comdat
.Lfunc_end3490:
	.size	_ZN7rocprim17ROCPRIM_400000_NS6detail17trampoline_kernelINS0_14default_configENS1_38merge_sort_block_merge_config_selectorIyNS0_10empty_typeEEEZZNS1_27merge_sort_block_merge_implIS3_N6thrust23THRUST_200600_302600_NS6detail15normal_iteratorINS9_10device_ptrIyEEEEPS5_m14custom_greaterIyEEE10hipError_tT0_T1_T2_jT3_P12ihipStream_tbPNSt15iterator_traitsISJ_E10value_typeEPNSP_ISK_E10value_typeEPSL_NS1_7vsmem_tEENKUlT_SJ_SK_SL_E_clISE_PySF_SF_EESI_SY_SJ_SK_SL_EUlSY_E_NS1_11comp_targetILNS1_3genE4ELNS1_11target_archE910ELNS1_3gpuE8ELNS1_3repE0EEENS1_48merge_mergepath_partition_config_static_selectorELNS0_4arch9wavefront6targetE1EEEvSK_, .Lfunc_end3490-_ZN7rocprim17ROCPRIM_400000_NS6detail17trampoline_kernelINS0_14default_configENS1_38merge_sort_block_merge_config_selectorIyNS0_10empty_typeEEEZZNS1_27merge_sort_block_merge_implIS3_N6thrust23THRUST_200600_302600_NS6detail15normal_iteratorINS9_10device_ptrIyEEEEPS5_m14custom_greaterIyEEE10hipError_tT0_T1_T2_jT3_P12ihipStream_tbPNSt15iterator_traitsISJ_E10value_typeEPNSP_ISK_E10value_typeEPSL_NS1_7vsmem_tEENKUlT_SJ_SK_SL_E_clISE_PySF_SF_EESI_SY_SJ_SK_SL_EUlSY_E_NS1_11comp_targetILNS1_3genE4ELNS1_11target_archE910ELNS1_3gpuE8ELNS1_3repE0EEENS1_48merge_mergepath_partition_config_static_selectorELNS0_4arch9wavefront6targetE1EEEvSK_
                                        ; -- End function
	.section	.AMDGPU.csdata,"",@progbits
; Kernel info:
; codeLenInByte = 500
; NumSgprs: 12
; NumVgprs: 22
; NumAgprs: 0
; TotalNumVgprs: 22
; ScratchSize: 0
; MemoryBound: 0
; FloatMode: 240
; IeeeMode: 1
; LDSByteSize: 0 bytes/workgroup (compile time only)
; SGPRBlocks: 1
; VGPRBlocks: 2
; NumSGPRsForWavesPerEU: 12
; NumVGPRsForWavesPerEU: 22
; AccumOffset: 24
; Occupancy: 8
; WaveLimiterHint : 0
; COMPUTE_PGM_RSRC2:SCRATCH_EN: 0
; COMPUTE_PGM_RSRC2:USER_SGPR: 6
; COMPUTE_PGM_RSRC2:TRAP_HANDLER: 0
; COMPUTE_PGM_RSRC2:TGID_X_EN: 1
; COMPUTE_PGM_RSRC2:TGID_Y_EN: 0
; COMPUTE_PGM_RSRC2:TGID_Z_EN: 0
; COMPUTE_PGM_RSRC2:TIDIG_COMP_CNT: 0
; COMPUTE_PGM_RSRC3_GFX90A:ACCUM_OFFSET: 5
; COMPUTE_PGM_RSRC3_GFX90A:TG_SPLIT: 0
	.section	.text._ZN7rocprim17ROCPRIM_400000_NS6detail17trampoline_kernelINS0_14default_configENS1_38merge_sort_block_merge_config_selectorIyNS0_10empty_typeEEEZZNS1_27merge_sort_block_merge_implIS3_N6thrust23THRUST_200600_302600_NS6detail15normal_iteratorINS9_10device_ptrIyEEEEPS5_m14custom_greaterIyEEE10hipError_tT0_T1_T2_jT3_P12ihipStream_tbPNSt15iterator_traitsISJ_E10value_typeEPNSP_ISK_E10value_typeEPSL_NS1_7vsmem_tEENKUlT_SJ_SK_SL_E_clISE_PySF_SF_EESI_SY_SJ_SK_SL_EUlSY_E_NS1_11comp_targetILNS1_3genE3ELNS1_11target_archE908ELNS1_3gpuE7ELNS1_3repE0EEENS1_48merge_mergepath_partition_config_static_selectorELNS0_4arch9wavefront6targetE1EEEvSK_,"axG",@progbits,_ZN7rocprim17ROCPRIM_400000_NS6detail17trampoline_kernelINS0_14default_configENS1_38merge_sort_block_merge_config_selectorIyNS0_10empty_typeEEEZZNS1_27merge_sort_block_merge_implIS3_N6thrust23THRUST_200600_302600_NS6detail15normal_iteratorINS9_10device_ptrIyEEEEPS5_m14custom_greaterIyEEE10hipError_tT0_T1_T2_jT3_P12ihipStream_tbPNSt15iterator_traitsISJ_E10value_typeEPNSP_ISK_E10value_typeEPSL_NS1_7vsmem_tEENKUlT_SJ_SK_SL_E_clISE_PySF_SF_EESI_SY_SJ_SK_SL_EUlSY_E_NS1_11comp_targetILNS1_3genE3ELNS1_11target_archE908ELNS1_3gpuE7ELNS1_3repE0EEENS1_48merge_mergepath_partition_config_static_selectorELNS0_4arch9wavefront6targetE1EEEvSK_,comdat
	.protected	_ZN7rocprim17ROCPRIM_400000_NS6detail17trampoline_kernelINS0_14default_configENS1_38merge_sort_block_merge_config_selectorIyNS0_10empty_typeEEEZZNS1_27merge_sort_block_merge_implIS3_N6thrust23THRUST_200600_302600_NS6detail15normal_iteratorINS9_10device_ptrIyEEEEPS5_m14custom_greaterIyEEE10hipError_tT0_T1_T2_jT3_P12ihipStream_tbPNSt15iterator_traitsISJ_E10value_typeEPNSP_ISK_E10value_typeEPSL_NS1_7vsmem_tEENKUlT_SJ_SK_SL_E_clISE_PySF_SF_EESI_SY_SJ_SK_SL_EUlSY_E_NS1_11comp_targetILNS1_3genE3ELNS1_11target_archE908ELNS1_3gpuE7ELNS1_3repE0EEENS1_48merge_mergepath_partition_config_static_selectorELNS0_4arch9wavefront6targetE1EEEvSK_ ; -- Begin function _ZN7rocprim17ROCPRIM_400000_NS6detail17trampoline_kernelINS0_14default_configENS1_38merge_sort_block_merge_config_selectorIyNS0_10empty_typeEEEZZNS1_27merge_sort_block_merge_implIS3_N6thrust23THRUST_200600_302600_NS6detail15normal_iteratorINS9_10device_ptrIyEEEEPS5_m14custom_greaterIyEEE10hipError_tT0_T1_T2_jT3_P12ihipStream_tbPNSt15iterator_traitsISJ_E10value_typeEPNSP_ISK_E10value_typeEPSL_NS1_7vsmem_tEENKUlT_SJ_SK_SL_E_clISE_PySF_SF_EESI_SY_SJ_SK_SL_EUlSY_E_NS1_11comp_targetILNS1_3genE3ELNS1_11target_archE908ELNS1_3gpuE7ELNS1_3repE0EEENS1_48merge_mergepath_partition_config_static_selectorELNS0_4arch9wavefront6targetE1EEEvSK_
	.globl	_ZN7rocprim17ROCPRIM_400000_NS6detail17trampoline_kernelINS0_14default_configENS1_38merge_sort_block_merge_config_selectorIyNS0_10empty_typeEEEZZNS1_27merge_sort_block_merge_implIS3_N6thrust23THRUST_200600_302600_NS6detail15normal_iteratorINS9_10device_ptrIyEEEEPS5_m14custom_greaterIyEEE10hipError_tT0_T1_T2_jT3_P12ihipStream_tbPNSt15iterator_traitsISJ_E10value_typeEPNSP_ISK_E10value_typeEPSL_NS1_7vsmem_tEENKUlT_SJ_SK_SL_E_clISE_PySF_SF_EESI_SY_SJ_SK_SL_EUlSY_E_NS1_11comp_targetILNS1_3genE3ELNS1_11target_archE908ELNS1_3gpuE7ELNS1_3repE0EEENS1_48merge_mergepath_partition_config_static_selectorELNS0_4arch9wavefront6targetE1EEEvSK_
	.p2align	8
	.type	_ZN7rocprim17ROCPRIM_400000_NS6detail17trampoline_kernelINS0_14default_configENS1_38merge_sort_block_merge_config_selectorIyNS0_10empty_typeEEEZZNS1_27merge_sort_block_merge_implIS3_N6thrust23THRUST_200600_302600_NS6detail15normal_iteratorINS9_10device_ptrIyEEEEPS5_m14custom_greaterIyEEE10hipError_tT0_T1_T2_jT3_P12ihipStream_tbPNSt15iterator_traitsISJ_E10value_typeEPNSP_ISK_E10value_typeEPSL_NS1_7vsmem_tEENKUlT_SJ_SK_SL_E_clISE_PySF_SF_EESI_SY_SJ_SK_SL_EUlSY_E_NS1_11comp_targetILNS1_3genE3ELNS1_11target_archE908ELNS1_3gpuE7ELNS1_3repE0EEENS1_48merge_mergepath_partition_config_static_selectorELNS0_4arch9wavefront6targetE1EEEvSK_,@function
_ZN7rocprim17ROCPRIM_400000_NS6detail17trampoline_kernelINS0_14default_configENS1_38merge_sort_block_merge_config_selectorIyNS0_10empty_typeEEEZZNS1_27merge_sort_block_merge_implIS3_N6thrust23THRUST_200600_302600_NS6detail15normal_iteratorINS9_10device_ptrIyEEEEPS5_m14custom_greaterIyEEE10hipError_tT0_T1_T2_jT3_P12ihipStream_tbPNSt15iterator_traitsISJ_E10value_typeEPNSP_ISK_E10value_typeEPSL_NS1_7vsmem_tEENKUlT_SJ_SK_SL_E_clISE_PySF_SF_EESI_SY_SJ_SK_SL_EUlSY_E_NS1_11comp_targetILNS1_3genE3ELNS1_11target_archE908ELNS1_3gpuE7ELNS1_3repE0EEENS1_48merge_mergepath_partition_config_static_selectorELNS0_4arch9wavefront6targetE1EEEvSK_: ; @_ZN7rocprim17ROCPRIM_400000_NS6detail17trampoline_kernelINS0_14default_configENS1_38merge_sort_block_merge_config_selectorIyNS0_10empty_typeEEEZZNS1_27merge_sort_block_merge_implIS3_N6thrust23THRUST_200600_302600_NS6detail15normal_iteratorINS9_10device_ptrIyEEEEPS5_m14custom_greaterIyEEE10hipError_tT0_T1_T2_jT3_P12ihipStream_tbPNSt15iterator_traitsISJ_E10value_typeEPNSP_ISK_E10value_typeEPSL_NS1_7vsmem_tEENKUlT_SJ_SK_SL_E_clISE_PySF_SF_EESI_SY_SJ_SK_SL_EUlSY_E_NS1_11comp_targetILNS1_3genE3ELNS1_11target_archE908ELNS1_3gpuE7ELNS1_3repE0EEENS1_48merge_mergepath_partition_config_static_selectorELNS0_4arch9wavefront6targetE1EEEvSK_
; %bb.0:
	.section	.rodata,"a",@progbits
	.p2align	6, 0x0
	.amdhsa_kernel _ZN7rocprim17ROCPRIM_400000_NS6detail17trampoline_kernelINS0_14default_configENS1_38merge_sort_block_merge_config_selectorIyNS0_10empty_typeEEEZZNS1_27merge_sort_block_merge_implIS3_N6thrust23THRUST_200600_302600_NS6detail15normal_iteratorINS9_10device_ptrIyEEEEPS5_m14custom_greaterIyEEE10hipError_tT0_T1_T2_jT3_P12ihipStream_tbPNSt15iterator_traitsISJ_E10value_typeEPNSP_ISK_E10value_typeEPSL_NS1_7vsmem_tEENKUlT_SJ_SK_SL_E_clISE_PySF_SF_EESI_SY_SJ_SK_SL_EUlSY_E_NS1_11comp_targetILNS1_3genE3ELNS1_11target_archE908ELNS1_3gpuE7ELNS1_3repE0EEENS1_48merge_mergepath_partition_config_static_selectorELNS0_4arch9wavefront6targetE1EEEvSK_
		.amdhsa_group_segment_fixed_size 0
		.amdhsa_private_segment_fixed_size 0
		.amdhsa_kernarg_size 48
		.amdhsa_user_sgpr_count 6
		.amdhsa_user_sgpr_private_segment_buffer 1
		.amdhsa_user_sgpr_dispatch_ptr 0
		.amdhsa_user_sgpr_queue_ptr 0
		.amdhsa_user_sgpr_kernarg_segment_ptr 1
		.amdhsa_user_sgpr_dispatch_id 0
		.amdhsa_user_sgpr_flat_scratch_init 0
		.amdhsa_user_sgpr_kernarg_preload_length 0
		.amdhsa_user_sgpr_kernarg_preload_offset 0
		.amdhsa_user_sgpr_private_segment_size 0
		.amdhsa_uses_dynamic_stack 0
		.amdhsa_system_sgpr_private_segment_wavefront_offset 0
		.amdhsa_system_sgpr_workgroup_id_x 1
		.amdhsa_system_sgpr_workgroup_id_y 0
		.amdhsa_system_sgpr_workgroup_id_z 0
		.amdhsa_system_sgpr_workgroup_info 0
		.amdhsa_system_vgpr_workitem_id 0
		.amdhsa_next_free_vgpr 1
		.amdhsa_next_free_sgpr 0
		.amdhsa_accum_offset 4
		.amdhsa_reserve_vcc 0
		.amdhsa_reserve_flat_scratch 0
		.amdhsa_float_round_mode_32 0
		.amdhsa_float_round_mode_16_64 0
		.amdhsa_float_denorm_mode_32 3
		.amdhsa_float_denorm_mode_16_64 3
		.amdhsa_dx10_clamp 1
		.amdhsa_ieee_mode 1
		.amdhsa_fp16_overflow 0
		.amdhsa_tg_split 0
		.amdhsa_exception_fp_ieee_invalid_op 0
		.amdhsa_exception_fp_denorm_src 0
		.amdhsa_exception_fp_ieee_div_zero 0
		.amdhsa_exception_fp_ieee_overflow 0
		.amdhsa_exception_fp_ieee_underflow 0
		.amdhsa_exception_fp_ieee_inexact 0
		.amdhsa_exception_int_div_zero 0
	.end_amdhsa_kernel
	.section	.text._ZN7rocprim17ROCPRIM_400000_NS6detail17trampoline_kernelINS0_14default_configENS1_38merge_sort_block_merge_config_selectorIyNS0_10empty_typeEEEZZNS1_27merge_sort_block_merge_implIS3_N6thrust23THRUST_200600_302600_NS6detail15normal_iteratorINS9_10device_ptrIyEEEEPS5_m14custom_greaterIyEEE10hipError_tT0_T1_T2_jT3_P12ihipStream_tbPNSt15iterator_traitsISJ_E10value_typeEPNSP_ISK_E10value_typeEPSL_NS1_7vsmem_tEENKUlT_SJ_SK_SL_E_clISE_PySF_SF_EESI_SY_SJ_SK_SL_EUlSY_E_NS1_11comp_targetILNS1_3genE3ELNS1_11target_archE908ELNS1_3gpuE7ELNS1_3repE0EEENS1_48merge_mergepath_partition_config_static_selectorELNS0_4arch9wavefront6targetE1EEEvSK_,"axG",@progbits,_ZN7rocprim17ROCPRIM_400000_NS6detail17trampoline_kernelINS0_14default_configENS1_38merge_sort_block_merge_config_selectorIyNS0_10empty_typeEEEZZNS1_27merge_sort_block_merge_implIS3_N6thrust23THRUST_200600_302600_NS6detail15normal_iteratorINS9_10device_ptrIyEEEEPS5_m14custom_greaterIyEEE10hipError_tT0_T1_T2_jT3_P12ihipStream_tbPNSt15iterator_traitsISJ_E10value_typeEPNSP_ISK_E10value_typeEPSL_NS1_7vsmem_tEENKUlT_SJ_SK_SL_E_clISE_PySF_SF_EESI_SY_SJ_SK_SL_EUlSY_E_NS1_11comp_targetILNS1_3genE3ELNS1_11target_archE908ELNS1_3gpuE7ELNS1_3repE0EEENS1_48merge_mergepath_partition_config_static_selectorELNS0_4arch9wavefront6targetE1EEEvSK_,comdat
.Lfunc_end3491:
	.size	_ZN7rocprim17ROCPRIM_400000_NS6detail17trampoline_kernelINS0_14default_configENS1_38merge_sort_block_merge_config_selectorIyNS0_10empty_typeEEEZZNS1_27merge_sort_block_merge_implIS3_N6thrust23THRUST_200600_302600_NS6detail15normal_iteratorINS9_10device_ptrIyEEEEPS5_m14custom_greaterIyEEE10hipError_tT0_T1_T2_jT3_P12ihipStream_tbPNSt15iterator_traitsISJ_E10value_typeEPNSP_ISK_E10value_typeEPSL_NS1_7vsmem_tEENKUlT_SJ_SK_SL_E_clISE_PySF_SF_EESI_SY_SJ_SK_SL_EUlSY_E_NS1_11comp_targetILNS1_3genE3ELNS1_11target_archE908ELNS1_3gpuE7ELNS1_3repE0EEENS1_48merge_mergepath_partition_config_static_selectorELNS0_4arch9wavefront6targetE1EEEvSK_, .Lfunc_end3491-_ZN7rocprim17ROCPRIM_400000_NS6detail17trampoline_kernelINS0_14default_configENS1_38merge_sort_block_merge_config_selectorIyNS0_10empty_typeEEEZZNS1_27merge_sort_block_merge_implIS3_N6thrust23THRUST_200600_302600_NS6detail15normal_iteratorINS9_10device_ptrIyEEEEPS5_m14custom_greaterIyEEE10hipError_tT0_T1_T2_jT3_P12ihipStream_tbPNSt15iterator_traitsISJ_E10value_typeEPNSP_ISK_E10value_typeEPSL_NS1_7vsmem_tEENKUlT_SJ_SK_SL_E_clISE_PySF_SF_EESI_SY_SJ_SK_SL_EUlSY_E_NS1_11comp_targetILNS1_3genE3ELNS1_11target_archE908ELNS1_3gpuE7ELNS1_3repE0EEENS1_48merge_mergepath_partition_config_static_selectorELNS0_4arch9wavefront6targetE1EEEvSK_
                                        ; -- End function
	.section	.AMDGPU.csdata,"",@progbits
; Kernel info:
; codeLenInByte = 0
; NumSgprs: 4
; NumVgprs: 0
; NumAgprs: 0
; TotalNumVgprs: 0
; ScratchSize: 0
; MemoryBound: 0
; FloatMode: 240
; IeeeMode: 1
; LDSByteSize: 0 bytes/workgroup (compile time only)
; SGPRBlocks: 0
; VGPRBlocks: 0
; NumSGPRsForWavesPerEU: 4
; NumVGPRsForWavesPerEU: 1
; AccumOffset: 4
; Occupancy: 8
; WaveLimiterHint : 0
; COMPUTE_PGM_RSRC2:SCRATCH_EN: 0
; COMPUTE_PGM_RSRC2:USER_SGPR: 6
; COMPUTE_PGM_RSRC2:TRAP_HANDLER: 0
; COMPUTE_PGM_RSRC2:TGID_X_EN: 1
; COMPUTE_PGM_RSRC2:TGID_Y_EN: 0
; COMPUTE_PGM_RSRC2:TGID_Z_EN: 0
; COMPUTE_PGM_RSRC2:TIDIG_COMP_CNT: 0
; COMPUTE_PGM_RSRC3_GFX90A:ACCUM_OFFSET: 0
; COMPUTE_PGM_RSRC3_GFX90A:TG_SPLIT: 0
	.section	.text._ZN7rocprim17ROCPRIM_400000_NS6detail17trampoline_kernelINS0_14default_configENS1_38merge_sort_block_merge_config_selectorIyNS0_10empty_typeEEEZZNS1_27merge_sort_block_merge_implIS3_N6thrust23THRUST_200600_302600_NS6detail15normal_iteratorINS9_10device_ptrIyEEEEPS5_m14custom_greaterIyEEE10hipError_tT0_T1_T2_jT3_P12ihipStream_tbPNSt15iterator_traitsISJ_E10value_typeEPNSP_ISK_E10value_typeEPSL_NS1_7vsmem_tEENKUlT_SJ_SK_SL_E_clISE_PySF_SF_EESI_SY_SJ_SK_SL_EUlSY_E_NS1_11comp_targetILNS1_3genE2ELNS1_11target_archE906ELNS1_3gpuE6ELNS1_3repE0EEENS1_48merge_mergepath_partition_config_static_selectorELNS0_4arch9wavefront6targetE1EEEvSK_,"axG",@progbits,_ZN7rocprim17ROCPRIM_400000_NS6detail17trampoline_kernelINS0_14default_configENS1_38merge_sort_block_merge_config_selectorIyNS0_10empty_typeEEEZZNS1_27merge_sort_block_merge_implIS3_N6thrust23THRUST_200600_302600_NS6detail15normal_iteratorINS9_10device_ptrIyEEEEPS5_m14custom_greaterIyEEE10hipError_tT0_T1_T2_jT3_P12ihipStream_tbPNSt15iterator_traitsISJ_E10value_typeEPNSP_ISK_E10value_typeEPSL_NS1_7vsmem_tEENKUlT_SJ_SK_SL_E_clISE_PySF_SF_EESI_SY_SJ_SK_SL_EUlSY_E_NS1_11comp_targetILNS1_3genE2ELNS1_11target_archE906ELNS1_3gpuE6ELNS1_3repE0EEENS1_48merge_mergepath_partition_config_static_selectorELNS0_4arch9wavefront6targetE1EEEvSK_,comdat
	.protected	_ZN7rocprim17ROCPRIM_400000_NS6detail17trampoline_kernelINS0_14default_configENS1_38merge_sort_block_merge_config_selectorIyNS0_10empty_typeEEEZZNS1_27merge_sort_block_merge_implIS3_N6thrust23THRUST_200600_302600_NS6detail15normal_iteratorINS9_10device_ptrIyEEEEPS5_m14custom_greaterIyEEE10hipError_tT0_T1_T2_jT3_P12ihipStream_tbPNSt15iterator_traitsISJ_E10value_typeEPNSP_ISK_E10value_typeEPSL_NS1_7vsmem_tEENKUlT_SJ_SK_SL_E_clISE_PySF_SF_EESI_SY_SJ_SK_SL_EUlSY_E_NS1_11comp_targetILNS1_3genE2ELNS1_11target_archE906ELNS1_3gpuE6ELNS1_3repE0EEENS1_48merge_mergepath_partition_config_static_selectorELNS0_4arch9wavefront6targetE1EEEvSK_ ; -- Begin function _ZN7rocprim17ROCPRIM_400000_NS6detail17trampoline_kernelINS0_14default_configENS1_38merge_sort_block_merge_config_selectorIyNS0_10empty_typeEEEZZNS1_27merge_sort_block_merge_implIS3_N6thrust23THRUST_200600_302600_NS6detail15normal_iteratorINS9_10device_ptrIyEEEEPS5_m14custom_greaterIyEEE10hipError_tT0_T1_T2_jT3_P12ihipStream_tbPNSt15iterator_traitsISJ_E10value_typeEPNSP_ISK_E10value_typeEPSL_NS1_7vsmem_tEENKUlT_SJ_SK_SL_E_clISE_PySF_SF_EESI_SY_SJ_SK_SL_EUlSY_E_NS1_11comp_targetILNS1_3genE2ELNS1_11target_archE906ELNS1_3gpuE6ELNS1_3repE0EEENS1_48merge_mergepath_partition_config_static_selectorELNS0_4arch9wavefront6targetE1EEEvSK_
	.globl	_ZN7rocprim17ROCPRIM_400000_NS6detail17trampoline_kernelINS0_14default_configENS1_38merge_sort_block_merge_config_selectorIyNS0_10empty_typeEEEZZNS1_27merge_sort_block_merge_implIS3_N6thrust23THRUST_200600_302600_NS6detail15normal_iteratorINS9_10device_ptrIyEEEEPS5_m14custom_greaterIyEEE10hipError_tT0_T1_T2_jT3_P12ihipStream_tbPNSt15iterator_traitsISJ_E10value_typeEPNSP_ISK_E10value_typeEPSL_NS1_7vsmem_tEENKUlT_SJ_SK_SL_E_clISE_PySF_SF_EESI_SY_SJ_SK_SL_EUlSY_E_NS1_11comp_targetILNS1_3genE2ELNS1_11target_archE906ELNS1_3gpuE6ELNS1_3repE0EEENS1_48merge_mergepath_partition_config_static_selectorELNS0_4arch9wavefront6targetE1EEEvSK_
	.p2align	8
	.type	_ZN7rocprim17ROCPRIM_400000_NS6detail17trampoline_kernelINS0_14default_configENS1_38merge_sort_block_merge_config_selectorIyNS0_10empty_typeEEEZZNS1_27merge_sort_block_merge_implIS3_N6thrust23THRUST_200600_302600_NS6detail15normal_iteratorINS9_10device_ptrIyEEEEPS5_m14custom_greaterIyEEE10hipError_tT0_T1_T2_jT3_P12ihipStream_tbPNSt15iterator_traitsISJ_E10value_typeEPNSP_ISK_E10value_typeEPSL_NS1_7vsmem_tEENKUlT_SJ_SK_SL_E_clISE_PySF_SF_EESI_SY_SJ_SK_SL_EUlSY_E_NS1_11comp_targetILNS1_3genE2ELNS1_11target_archE906ELNS1_3gpuE6ELNS1_3repE0EEENS1_48merge_mergepath_partition_config_static_selectorELNS0_4arch9wavefront6targetE1EEEvSK_,@function
_ZN7rocprim17ROCPRIM_400000_NS6detail17trampoline_kernelINS0_14default_configENS1_38merge_sort_block_merge_config_selectorIyNS0_10empty_typeEEEZZNS1_27merge_sort_block_merge_implIS3_N6thrust23THRUST_200600_302600_NS6detail15normal_iteratorINS9_10device_ptrIyEEEEPS5_m14custom_greaterIyEEE10hipError_tT0_T1_T2_jT3_P12ihipStream_tbPNSt15iterator_traitsISJ_E10value_typeEPNSP_ISK_E10value_typeEPSL_NS1_7vsmem_tEENKUlT_SJ_SK_SL_E_clISE_PySF_SF_EESI_SY_SJ_SK_SL_EUlSY_E_NS1_11comp_targetILNS1_3genE2ELNS1_11target_archE906ELNS1_3gpuE6ELNS1_3repE0EEENS1_48merge_mergepath_partition_config_static_selectorELNS0_4arch9wavefront6targetE1EEEvSK_: ; @_ZN7rocprim17ROCPRIM_400000_NS6detail17trampoline_kernelINS0_14default_configENS1_38merge_sort_block_merge_config_selectorIyNS0_10empty_typeEEEZZNS1_27merge_sort_block_merge_implIS3_N6thrust23THRUST_200600_302600_NS6detail15normal_iteratorINS9_10device_ptrIyEEEEPS5_m14custom_greaterIyEEE10hipError_tT0_T1_T2_jT3_P12ihipStream_tbPNSt15iterator_traitsISJ_E10value_typeEPNSP_ISK_E10value_typeEPSL_NS1_7vsmem_tEENKUlT_SJ_SK_SL_E_clISE_PySF_SF_EESI_SY_SJ_SK_SL_EUlSY_E_NS1_11comp_targetILNS1_3genE2ELNS1_11target_archE906ELNS1_3gpuE6ELNS1_3repE0EEENS1_48merge_mergepath_partition_config_static_selectorELNS0_4arch9wavefront6targetE1EEEvSK_
; %bb.0:
	.section	.rodata,"a",@progbits
	.p2align	6, 0x0
	.amdhsa_kernel _ZN7rocprim17ROCPRIM_400000_NS6detail17trampoline_kernelINS0_14default_configENS1_38merge_sort_block_merge_config_selectorIyNS0_10empty_typeEEEZZNS1_27merge_sort_block_merge_implIS3_N6thrust23THRUST_200600_302600_NS6detail15normal_iteratorINS9_10device_ptrIyEEEEPS5_m14custom_greaterIyEEE10hipError_tT0_T1_T2_jT3_P12ihipStream_tbPNSt15iterator_traitsISJ_E10value_typeEPNSP_ISK_E10value_typeEPSL_NS1_7vsmem_tEENKUlT_SJ_SK_SL_E_clISE_PySF_SF_EESI_SY_SJ_SK_SL_EUlSY_E_NS1_11comp_targetILNS1_3genE2ELNS1_11target_archE906ELNS1_3gpuE6ELNS1_3repE0EEENS1_48merge_mergepath_partition_config_static_selectorELNS0_4arch9wavefront6targetE1EEEvSK_
		.amdhsa_group_segment_fixed_size 0
		.amdhsa_private_segment_fixed_size 0
		.amdhsa_kernarg_size 48
		.amdhsa_user_sgpr_count 6
		.amdhsa_user_sgpr_private_segment_buffer 1
		.amdhsa_user_sgpr_dispatch_ptr 0
		.amdhsa_user_sgpr_queue_ptr 0
		.amdhsa_user_sgpr_kernarg_segment_ptr 1
		.amdhsa_user_sgpr_dispatch_id 0
		.amdhsa_user_sgpr_flat_scratch_init 0
		.amdhsa_user_sgpr_kernarg_preload_length 0
		.amdhsa_user_sgpr_kernarg_preload_offset 0
		.amdhsa_user_sgpr_private_segment_size 0
		.amdhsa_uses_dynamic_stack 0
		.amdhsa_system_sgpr_private_segment_wavefront_offset 0
		.amdhsa_system_sgpr_workgroup_id_x 1
		.amdhsa_system_sgpr_workgroup_id_y 0
		.amdhsa_system_sgpr_workgroup_id_z 0
		.amdhsa_system_sgpr_workgroup_info 0
		.amdhsa_system_vgpr_workitem_id 0
		.amdhsa_next_free_vgpr 1
		.amdhsa_next_free_sgpr 0
		.amdhsa_accum_offset 4
		.amdhsa_reserve_vcc 0
		.amdhsa_reserve_flat_scratch 0
		.amdhsa_float_round_mode_32 0
		.amdhsa_float_round_mode_16_64 0
		.amdhsa_float_denorm_mode_32 3
		.amdhsa_float_denorm_mode_16_64 3
		.amdhsa_dx10_clamp 1
		.amdhsa_ieee_mode 1
		.amdhsa_fp16_overflow 0
		.amdhsa_tg_split 0
		.amdhsa_exception_fp_ieee_invalid_op 0
		.amdhsa_exception_fp_denorm_src 0
		.amdhsa_exception_fp_ieee_div_zero 0
		.amdhsa_exception_fp_ieee_overflow 0
		.amdhsa_exception_fp_ieee_underflow 0
		.amdhsa_exception_fp_ieee_inexact 0
		.amdhsa_exception_int_div_zero 0
	.end_amdhsa_kernel
	.section	.text._ZN7rocprim17ROCPRIM_400000_NS6detail17trampoline_kernelINS0_14default_configENS1_38merge_sort_block_merge_config_selectorIyNS0_10empty_typeEEEZZNS1_27merge_sort_block_merge_implIS3_N6thrust23THRUST_200600_302600_NS6detail15normal_iteratorINS9_10device_ptrIyEEEEPS5_m14custom_greaterIyEEE10hipError_tT0_T1_T2_jT3_P12ihipStream_tbPNSt15iterator_traitsISJ_E10value_typeEPNSP_ISK_E10value_typeEPSL_NS1_7vsmem_tEENKUlT_SJ_SK_SL_E_clISE_PySF_SF_EESI_SY_SJ_SK_SL_EUlSY_E_NS1_11comp_targetILNS1_3genE2ELNS1_11target_archE906ELNS1_3gpuE6ELNS1_3repE0EEENS1_48merge_mergepath_partition_config_static_selectorELNS0_4arch9wavefront6targetE1EEEvSK_,"axG",@progbits,_ZN7rocprim17ROCPRIM_400000_NS6detail17trampoline_kernelINS0_14default_configENS1_38merge_sort_block_merge_config_selectorIyNS0_10empty_typeEEEZZNS1_27merge_sort_block_merge_implIS3_N6thrust23THRUST_200600_302600_NS6detail15normal_iteratorINS9_10device_ptrIyEEEEPS5_m14custom_greaterIyEEE10hipError_tT0_T1_T2_jT3_P12ihipStream_tbPNSt15iterator_traitsISJ_E10value_typeEPNSP_ISK_E10value_typeEPSL_NS1_7vsmem_tEENKUlT_SJ_SK_SL_E_clISE_PySF_SF_EESI_SY_SJ_SK_SL_EUlSY_E_NS1_11comp_targetILNS1_3genE2ELNS1_11target_archE906ELNS1_3gpuE6ELNS1_3repE0EEENS1_48merge_mergepath_partition_config_static_selectorELNS0_4arch9wavefront6targetE1EEEvSK_,comdat
.Lfunc_end3492:
	.size	_ZN7rocprim17ROCPRIM_400000_NS6detail17trampoline_kernelINS0_14default_configENS1_38merge_sort_block_merge_config_selectorIyNS0_10empty_typeEEEZZNS1_27merge_sort_block_merge_implIS3_N6thrust23THRUST_200600_302600_NS6detail15normal_iteratorINS9_10device_ptrIyEEEEPS5_m14custom_greaterIyEEE10hipError_tT0_T1_T2_jT3_P12ihipStream_tbPNSt15iterator_traitsISJ_E10value_typeEPNSP_ISK_E10value_typeEPSL_NS1_7vsmem_tEENKUlT_SJ_SK_SL_E_clISE_PySF_SF_EESI_SY_SJ_SK_SL_EUlSY_E_NS1_11comp_targetILNS1_3genE2ELNS1_11target_archE906ELNS1_3gpuE6ELNS1_3repE0EEENS1_48merge_mergepath_partition_config_static_selectorELNS0_4arch9wavefront6targetE1EEEvSK_, .Lfunc_end3492-_ZN7rocprim17ROCPRIM_400000_NS6detail17trampoline_kernelINS0_14default_configENS1_38merge_sort_block_merge_config_selectorIyNS0_10empty_typeEEEZZNS1_27merge_sort_block_merge_implIS3_N6thrust23THRUST_200600_302600_NS6detail15normal_iteratorINS9_10device_ptrIyEEEEPS5_m14custom_greaterIyEEE10hipError_tT0_T1_T2_jT3_P12ihipStream_tbPNSt15iterator_traitsISJ_E10value_typeEPNSP_ISK_E10value_typeEPSL_NS1_7vsmem_tEENKUlT_SJ_SK_SL_E_clISE_PySF_SF_EESI_SY_SJ_SK_SL_EUlSY_E_NS1_11comp_targetILNS1_3genE2ELNS1_11target_archE906ELNS1_3gpuE6ELNS1_3repE0EEENS1_48merge_mergepath_partition_config_static_selectorELNS0_4arch9wavefront6targetE1EEEvSK_
                                        ; -- End function
	.section	.AMDGPU.csdata,"",@progbits
; Kernel info:
; codeLenInByte = 0
; NumSgprs: 4
; NumVgprs: 0
; NumAgprs: 0
; TotalNumVgprs: 0
; ScratchSize: 0
; MemoryBound: 0
; FloatMode: 240
; IeeeMode: 1
; LDSByteSize: 0 bytes/workgroup (compile time only)
; SGPRBlocks: 0
; VGPRBlocks: 0
; NumSGPRsForWavesPerEU: 4
; NumVGPRsForWavesPerEU: 1
; AccumOffset: 4
; Occupancy: 8
; WaveLimiterHint : 0
; COMPUTE_PGM_RSRC2:SCRATCH_EN: 0
; COMPUTE_PGM_RSRC2:USER_SGPR: 6
; COMPUTE_PGM_RSRC2:TRAP_HANDLER: 0
; COMPUTE_PGM_RSRC2:TGID_X_EN: 1
; COMPUTE_PGM_RSRC2:TGID_Y_EN: 0
; COMPUTE_PGM_RSRC2:TGID_Z_EN: 0
; COMPUTE_PGM_RSRC2:TIDIG_COMP_CNT: 0
; COMPUTE_PGM_RSRC3_GFX90A:ACCUM_OFFSET: 0
; COMPUTE_PGM_RSRC3_GFX90A:TG_SPLIT: 0
	.section	.text._ZN7rocprim17ROCPRIM_400000_NS6detail17trampoline_kernelINS0_14default_configENS1_38merge_sort_block_merge_config_selectorIyNS0_10empty_typeEEEZZNS1_27merge_sort_block_merge_implIS3_N6thrust23THRUST_200600_302600_NS6detail15normal_iteratorINS9_10device_ptrIyEEEEPS5_m14custom_greaterIyEEE10hipError_tT0_T1_T2_jT3_P12ihipStream_tbPNSt15iterator_traitsISJ_E10value_typeEPNSP_ISK_E10value_typeEPSL_NS1_7vsmem_tEENKUlT_SJ_SK_SL_E_clISE_PySF_SF_EESI_SY_SJ_SK_SL_EUlSY_E_NS1_11comp_targetILNS1_3genE9ELNS1_11target_archE1100ELNS1_3gpuE3ELNS1_3repE0EEENS1_48merge_mergepath_partition_config_static_selectorELNS0_4arch9wavefront6targetE1EEEvSK_,"axG",@progbits,_ZN7rocprim17ROCPRIM_400000_NS6detail17trampoline_kernelINS0_14default_configENS1_38merge_sort_block_merge_config_selectorIyNS0_10empty_typeEEEZZNS1_27merge_sort_block_merge_implIS3_N6thrust23THRUST_200600_302600_NS6detail15normal_iteratorINS9_10device_ptrIyEEEEPS5_m14custom_greaterIyEEE10hipError_tT0_T1_T2_jT3_P12ihipStream_tbPNSt15iterator_traitsISJ_E10value_typeEPNSP_ISK_E10value_typeEPSL_NS1_7vsmem_tEENKUlT_SJ_SK_SL_E_clISE_PySF_SF_EESI_SY_SJ_SK_SL_EUlSY_E_NS1_11comp_targetILNS1_3genE9ELNS1_11target_archE1100ELNS1_3gpuE3ELNS1_3repE0EEENS1_48merge_mergepath_partition_config_static_selectorELNS0_4arch9wavefront6targetE1EEEvSK_,comdat
	.protected	_ZN7rocprim17ROCPRIM_400000_NS6detail17trampoline_kernelINS0_14default_configENS1_38merge_sort_block_merge_config_selectorIyNS0_10empty_typeEEEZZNS1_27merge_sort_block_merge_implIS3_N6thrust23THRUST_200600_302600_NS6detail15normal_iteratorINS9_10device_ptrIyEEEEPS5_m14custom_greaterIyEEE10hipError_tT0_T1_T2_jT3_P12ihipStream_tbPNSt15iterator_traitsISJ_E10value_typeEPNSP_ISK_E10value_typeEPSL_NS1_7vsmem_tEENKUlT_SJ_SK_SL_E_clISE_PySF_SF_EESI_SY_SJ_SK_SL_EUlSY_E_NS1_11comp_targetILNS1_3genE9ELNS1_11target_archE1100ELNS1_3gpuE3ELNS1_3repE0EEENS1_48merge_mergepath_partition_config_static_selectorELNS0_4arch9wavefront6targetE1EEEvSK_ ; -- Begin function _ZN7rocprim17ROCPRIM_400000_NS6detail17trampoline_kernelINS0_14default_configENS1_38merge_sort_block_merge_config_selectorIyNS0_10empty_typeEEEZZNS1_27merge_sort_block_merge_implIS3_N6thrust23THRUST_200600_302600_NS6detail15normal_iteratorINS9_10device_ptrIyEEEEPS5_m14custom_greaterIyEEE10hipError_tT0_T1_T2_jT3_P12ihipStream_tbPNSt15iterator_traitsISJ_E10value_typeEPNSP_ISK_E10value_typeEPSL_NS1_7vsmem_tEENKUlT_SJ_SK_SL_E_clISE_PySF_SF_EESI_SY_SJ_SK_SL_EUlSY_E_NS1_11comp_targetILNS1_3genE9ELNS1_11target_archE1100ELNS1_3gpuE3ELNS1_3repE0EEENS1_48merge_mergepath_partition_config_static_selectorELNS0_4arch9wavefront6targetE1EEEvSK_
	.globl	_ZN7rocprim17ROCPRIM_400000_NS6detail17trampoline_kernelINS0_14default_configENS1_38merge_sort_block_merge_config_selectorIyNS0_10empty_typeEEEZZNS1_27merge_sort_block_merge_implIS3_N6thrust23THRUST_200600_302600_NS6detail15normal_iteratorINS9_10device_ptrIyEEEEPS5_m14custom_greaterIyEEE10hipError_tT0_T1_T2_jT3_P12ihipStream_tbPNSt15iterator_traitsISJ_E10value_typeEPNSP_ISK_E10value_typeEPSL_NS1_7vsmem_tEENKUlT_SJ_SK_SL_E_clISE_PySF_SF_EESI_SY_SJ_SK_SL_EUlSY_E_NS1_11comp_targetILNS1_3genE9ELNS1_11target_archE1100ELNS1_3gpuE3ELNS1_3repE0EEENS1_48merge_mergepath_partition_config_static_selectorELNS0_4arch9wavefront6targetE1EEEvSK_
	.p2align	8
	.type	_ZN7rocprim17ROCPRIM_400000_NS6detail17trampoline_kernelINS0_14default_configENS1_38merge_sort_block_merge_config_selectorIyNS0_10empty_typeEEEZZNS1_27merge_sort_block_merge_implIS3_N6thrust23THRUST_200600_302600_NS6detail15normal_iteratorINS9_10device_ptrIyEEEEPS5_m14custom_greaterIyEEE10hipError_tT0_T1_T2_jT3_P12ihipStream_tbPNSt15iterator_traitsISJ_E10value_typeEPNSP_ISK_E10value_typeEPSL_NS1_7vsmem_tEENKUlT_SJ_SK_SL_E_clISE_PySF_SF_EESI_SY_SJ_SK_SL_EUlSY_E_NS1_11comp_targetILNS1_3genE9ELNS1_11target_archE1100ELNS1_3gpuE3ELNS1_3repE0EEENS1_48merge_mergepath_partition_config_static_selectorELNS0_4arch9wavefront6targetE1EEEvSK_,@function
_ZN7rocprim17ROCPRIM_400000_NS6detail17trampoline_kernelINS0_14default_configENS1_38merge_sort_block_merge_config_selectorIyNS0_10empty_typeEEEZZNS1_27merge_sort_block_merge_implIS3_N6thrust23THRUST_200600_302600_NS6detail15normal_iteratorINS9_10device_ptrIyEEEEPS5_m14custom_greaterIyEEE10hipError_tT0_T1_T2_jT3_P12ihipStream_tbPNSt15iterator_traitsISJ_E10value_typeEPNSP_ISK_E10value_typeEPSL_NS1_7vsmem_tEENKUlT_SJ_SK_SL_E_clISE_PySF_SF_EESI_SY_SJ_SK_SL_EUlSY_E_NS1_11comp_targetILNS1_3genE9ELNS1_11target_archE1100ELNS1_3gpuE3ELNS1_3repE0EEENS1_48merge_mergepath_partition_config_static_selectorELNS0_4arch9wavefront6targetE1EEEvSK_: ; @_ZN7rocprim17ROCPRIM_400000_NS6detail17trampoline_kernelINS0_14default_configENS1_38merge_sort_block_merge_config_selectorIyNS0_10empty_typeEEEZZNS1_27merge_sort_block_merge_implIS3_N6thrust23THRUST_200600_302600_NS6detail15normal_iteratorINS9_10device_ptrIyEEEEPS5_m14custom_greaterIyEEE10hipError_tT0_T1_T2_jT3_P12ihipStream_tbPNSt15iterator_traitsISJ_E10value_typeEPNSP_ISK_E10value_typeEPSL_NS1_7vsmem_tEENKUlT_SJ_SK_SL_E_clISE_PySF_SF_EESI_SY_SJ_SK_SL_EUlSY_E_NS1_11comp_targetILNS1_3genE9ELNS1_11target_archE1100ELNS1_3gpuE3ELNS1_3repE0EEENS1_48merge_mergepath_partition_config_static_selectorELNS0_4arch9wavefront6targetE1EEEvSK_
; %bb.0:
	.section	.rodata,"a",@progbits
	.p2align	6, 0x0
	.amdhsa_kernel _ZN7rocprim17ROCPRIM_400000_NS6detail17trampoline_kernelINS0_14default_configENS1_38merge_sort_block_merge_config_selectorIyNS0_10empty_typeEEEZZNS1_27merge_sort_block_merge_implIS3_N6thrust23THRUST_200600_302600_NS6detail15normal_iteratorINS9_10device_ptrIyEEEEPS5_m14custom_greaterIyEEE10hipError_tT0_T1_T2_jT3_P12ihipStream_tbPNSt15iterator_traitsISJ_E10value_typeEPNSP_ISK_E10value_typeEPSL_NS1_7vsmem_tEENKUlT_SJ_SK_SL_E_clISE_PySF_SF_EESI_SY_SJ_SK_SL_EUlSY_E_NS1_11comp_targetILNS1_3genE9ELNS1_11target_archE1100ELNS1_3gpuE3ELNS1_3repE0EEENS1_48merge_mergepath_partition_config_static_selectorELNS0_4arch9wavefront6targetE1EEEvSK_
		.amdhsa_group_segment_fixed_size 0
		.amdhsa_private_segment_fixed_size 0
		.amdhsa_kernarg_size 48
		.amdhsa_user_sgpr_count 6
		.amdhsa_user_sgpr_private_segment_buffer 1
		.amdhsa_user_sgpr_dispatch_ptr 0
		.amdhsa_user_sgpr_queue_ptr 0
		.amdhsa_user_sgpr_kernarg_segment_ptr 1
		.amdhsa_user_sgpr_dispatch_id 0
		.amdhsa_user_sgpr_flat_scratch_init 0
		.amdhsa_user_sgpr_kernarg_preload_length 0
		.amdhsa_user_sgpr_kernarg_preload_offset 0
		.amdhsa_user_sgpr_private_segment_size 0
		.amdhsa_uses_dynamic_stack 0
		.amdhsa_system_sgpr_private_segment_wavefront_offset 0
		.amdhsa_system_sgpr_workgroup_id_x 1
		.amdhsa_system_sgpr_workgroup_id_y 0
		.amdhsa_system_sgpr_workgroup_id_z 0
		.amdhsa_system_sgpr_workgroup_info 0
		.amdhsa_system_vgpr_workitem_id 0
		.amdhsa_next_free_vgpr 1
		.amdhsa_next_free_sgpr 0
		.amdhsa_accum_offset 4
		.amdhsa_reserve_vcc 0
		.amdhsa_reserve_flat_scratch 0
		.amdhsa_float_round_mode_32 0
		.amdhsa_float_round_mode_16_64 0
		.amdhsa_float_denorm_mode_32 3
		.amdhsa_float_denorm_mode_16_64 3
		.amdhsa_dx10_clamp 1
		.amdhsa_ieee_mode 1
		.amdhsa_fp16_overflow 0
		.amdhsa_tg_split 0
		.amdhsa_exception_fp_ieee_invalid_op 0
		.amdhsa_exception_fp_denorm_src 0
		.amdhsa_exception_fp_ieee_div_zero 0
		.amdhsa_exception_fp_ieee_overflow 0
		.amdhsa_exception_fp_ieee_underflow 0
		.amdhsa_exception_fp_ieee_inexact 0
		.amdhsa_exception_int_div_zero 0
	.end_amdhsa_kernel
	.section	.text._ZN7rocprim17ROCPRIM_400000_NS6detail17trampoline_kernelINS0_14default_configENS1_38merge_sort_block_merge_config_selectorIyNS0_10empty_typeEEEZZNS1_27merge_sort_block_merge_implIS3_N6thrust23THRUST_200600_302600_NS6detail15normal_iteratorINS9_10device_ptrIyEEEEPS5_m14custom_greaterIyEEE10hipError_tT0_T1_T2_jT3_P12ihipStream_tbPNSt15iterator_traitsISJ_E10value_typeEPNSP_ISK_E10value_typeEPSL_NS1_7vsmem_tEENKUlT_SJ_SK_SL_E_clISE_PySF_SF_EESI_SY_SJ_SK_SL_EUlSY_E_NS1_11comp_targetILNS1_3genE9ELNS1_11target_archE1100ELNS1_3gpuE3ELNS1_3repE0EEENS1_48merge_mergepath_partition_config_static_selectorELNS0_4arch9wavefront6targetE1EEEvSK_,"axG",@progbits,_ZN7rocprim17ROCPRIM_400000_NS6detail17trampoline_kernelINS0_14default_configENS1_38merge_sort_block_merge_config_selectorIyNS0_10empty_typeEEEZZNS1_27merge_sort_block_merge_implIS3_N6thrust23THRUST_200600_302600_NS6detail15normal_iteratorINS9_10device_ptrIyEEEEPS5_m14custom_greaterIyEEE10hipError_tT0_T1_T2_jT3_P12ihipStream_tbPNSt15iterator_traitsISJ_E10value_typeEPNSP_ISK_E10value_typeEPSL_NS1_7vsmem_tEENKUlT_SJ_SK_SL_E_clISE_PySF_SF_EESI_SY_SJ_SK_SL_EUlSY_E_NS1_11comp_targetILNS1_3genE9ELNS1_11target_archE1100ELNS1_3gpuE3ELNS1_3repE0EEENS1_48merge_mergepath_partition_config_static_selectorELNS0_4arch9wavefront6targetE1EEEvSK_,comdat
.Lfunc_end3493:
	.size	_ZN7rocprim17ROCPRIM_400000_NS6detail17trampoline_kernelINS0_14default_configENS1_38merge_sort_block_merge_config_selectorIyNS0_10empty_typeEEEZZNS1_27merge_sort_block_merge_implIS3_N6thrust23THRUST_200600_302600_NS6detail15normal_iteratorINS9_10device_ptrIyEEEEPS5_m14custom_greaterIyEEE10hipError_tT0_T1_T2_jT3_P12ihipStream_tbPNSt15iterator_traitsISJ_E10value_typeEPNSP_ISK_E10value_typeEPSL_NS1_7vsmem_tEENKUlT_SJ_SK_SL_E_clISE_PySF_SF_EESI_SY_SJ_SK_SL_EUlSY_E_NS1_11comp_targetILNS1_3genE9ELNS1_11target_archE1100ELNS1_3gpuE3ELNS1_3repE0EEENS1_48merge_mergepath_partition_config_static_selectorELNS0_4arch9wavefront6targetE1EEEvSK_, .Lfunc_end3493-_ZN7rocprim17ROCPRIM_400000_NS6detail17trampoline_kernelINS0_14default_configENS1_38merge_sort_block_merge_config_selectorIyNS0_10empty_typeEEEZZNS1_27merge_sort_block_merge_implIS3_N6thrust23THRUST_200600_302600_NS6detail15normal_iteratorINS9_10device_ptrIyEEEEPS5_m14custom_greaterIyEEE10hipError_tT0_T1_T2_jT3_P12ihipStream_tbPNSt15iterator_traitsISJ_E10value_typeEPNSP_ISK_E10value_typeEPSL_NS1_7vsmem_tEENKUlT_SJ_SK_SL_E_clISE_PySF_SF_EESI_SY_SJ_SK_SL_EUlSY_E_NS1_11comp_targetILNS1_3genE9ELNS1_11target_archE1100ELNS1_3gpuE3ELNS1_3repE0EEENS1_48merge_mergepath_partition_config_static_selectorELNS0_4arch9wavefront6targetE1EEEvSK_
                                        ; -- End function
	.section	.AMDGPU.csdata,"",@progbits
; Kernel info:
; codeLenInByte = 0
; NumSgprs: 4
; NumVgprs: 0
; NumAgprs: 0
; TotalNumVgprs: 0
; ScratchSize: 0
; MemoryBound: 0
; FloatMode: 240
; IeeeMode: 1
; LDSByteSize: 0 bytes/workgroup (compile time only)
; SGPRBlocks: 0
; VGPRBlocks: 0
; NumSGPRsForWavesPerEU: 4
; NumVGPRsForWavesPerEU: 1
; AccumOffset: 4
; Occupancy: 8
; WaveLimiterHint : 0
; COMPUTE_PGM_RSRC2:SCRATCH_EN: 0
; COMPUTE_PGM_RSRC2:USER_SGPR: 6
; COMPUTE_PGM_RSRC2:TRAP_HANDLER: 0
; COMPUTE_PGM_RSRC2:TGID_X_EN: 1
; COMPUTE_PGM_RSRC2:TGID_Y_EN: 0
; COMPUTE_PGM_RSRC2:TGID_Z_EN: 0
; COMPUTE_PGM_RSRC2:TIDIG_COMP_CNT: 0
; COMPUTE_PGM_RSRC3_GFX90A:ACCUM_OFFSET: 0
; COMPUTE_PGM_RSRC3_GFX90A:TG_SPLIT: 0
	.section	.text._ZN7rocprim17ROCPRIM_400000_NS6detail17trampoline_kernelINS0_14default_configENS1_38merge_sort_block_merge_config_selectorIyNS0_10empty_typeEEEZZNS1_27merge_sort_block_merge_implIS3_N6thrust23THRUST_200600_302600_NS6detail15normal_iteratorINS9_10device_ptrIyEEEEPS5_m14custom_greaterIyEEE10hipError_tT0_T1_T2_jT3_P12ihipStream_tbPNSt15iterator_traitsISJ_E10value_typeEPNSP_ISK_E10value_typeEPSL_NS1_7vsmem_tEENKUlT_SJ_SK_SL_E_clISE_PySF_SF_EESI_SY_SJ_SK_SL_EUlSY_E_NS1_11comp_targetILNS1_3genE8ELNS1_11target_archE1030ELNS1_3gpuE2ELNS1_3repE0EEENS1_48merge_mergepath_partition_config_static_selectorELNS0_4arch9wavefront6targetE1EEEvSK_,"axG",@progbits,_ZN7rocprim17ROCPRIM_400000_NS6detail17trampoline_kernelINS0_14default_configENS1_38merge_sort_block_merge_config_selectorIyNS0_10empty_typeEEEZZNS1_27merge_sort_block_merge_implIS3_N6thrust23THRUST_200600_302600_NS6detail15normal_iteratorINS9_10device_ptrIyEEEEPS5_m14custom_greaterIyEEE10hipError_tT0_T1_T2_jT3_P12ihipStream_tbPNSt15iterator_traitsISJ_E10value_typeEPNSP_ISK_E10value_typeEPSL_NS1_7vsmem_tEENKUlT_SJ_SK_SL_E_clISE_PySF_SF_EESI_SY_SJ_SK_SL_EUlSY_E_NS1_11comp_targetILNS1_3genE8ELNS1_11target_archE1030ELNS1_3gpuE2ELNS1_3repE0EEENS1_48merge_mergepath_partition_config_static_selectorELNS0_4arch9wavefront6targetE1EEEvSK_,comdat
	.protected	_ZN7rocprim17ROCPRIM_400000_NS6detail17trampoline_kernelINS0_14default_configENS1_38merge_sort_block_merge_config_selectorIyNS0_10empty_typeEEEZZNS1_27merge_sort_block_merge_implIS3_N6thrust23THRUST_200600_302600_NS6detail15normal_iteratorINS9_10device_ptrIyEEEEPS5_m14custom_greaterIyEEE10hipError_tT0_T1_T2_jT3_P12ihipStream_tbPNSt15iterator_traitsISJ_E10value_typeEPNSP_ISK_E10value_typeEPSL_NS1_7vsmem_tEENKUlT_SJ_SK_SL_E_clISE_PySF_SF_EESI_SY_SJ_SK_SL_EUlSY_E_NS1_11comp_targetILNS1_3genE8ELNS1_11target_archE1030ELNS1_3gpuE2ELNS1_3repE0EEENS1_48merge_mergepath_partition_config_static_selectorELNS0_4arch9wavefront6targetE1EEEvSK_ ; -- Begin function _ZN7rocprim17ROCPRIM_400000_NS6detail17trampoline_kernelINS0_14default_configENS1_38merge_sort_block_merge_config_selectorIyNS0_10empty_typeEEEZZNS1_27merge_sort_block_merge_implIS3_N6thrust23THRUST_200600_302600_NS6detail15normal_iteratorINS9_10device_ptrIyEEEEPS5_m14custom_greaterIyEEE10hipError_tT0_T1_T2_jT3_P12ihipStream_tbPNSt15iterator_traitsISJ_E10value_typeEPNSP_ISK_E10value_typeEPSL_NS1_7vsmem_tEENKUlT_SJ_SK_SL_E_clISE_PySF_SF_EESI_SY_SJ_SK_SL_EUlSY_E_NS1_11comp_targetILNS1_3genE8ELNS1_11target_archE1030ELNS1_3gpuE2ELNS1_3repE0EEENS1_48merge_mergepath_partition_config_static_selectorELNS0_4arch9wavefront6targetE1EEEvSK_
	.globl	_ZN7rocprim17ROCPRIM_400000_NS6detail17trampoline_kernelINS0_14default_configENS1_38merge_sort_block_merge_config_selectorIyNS0_10empty_typeEEEZZNS1_27merge_sort_block_merge_implIS3_N6thrust23THRUST_200600_302600_NS6detail15normal_iteratorINS9_10device_ptrIyEEEEPS5_m14custom_greaterIyEEE10hipError_tT0_T1_T2_jT3_P12ihipStream_tbPNSt15iterator_traitsISJ_E10value_typeEPNSP_ISK_E10value_typeEPSL_NS1_7vsmem_tEENKUlT_SJ_SK_SL_E_clISE_PySF_SF_EESI_SY_SJ_SK_SL_EUlSY_E_NS1_11comp_targetILNS1_3genE8ELNS1_11target_archE1030ELNS1_3gpuE2ELNS1_3repE0EEENS1_48merge_mergepath_partition_config_static_selectorELNS0_4arch9wavefront6targetE1EEEvSK_
	.p2align	8
	.type	_ZN7rocprim17ROCPRIM_400000_NS6detail17trampoline_kernelINS0_14default_configENS1_38merge_sort_block_merge_config_selectorIyNS0_10empty_typeEEEZZNS1_27merge_sort_block_merge_implIS3_N6thrust23THRUST_200600_302600_NS6detail15normal_iteratorINS9_10device_ptrIyEEEEPS5_m14custom_greaterIyEEE10hipError_tT0_T1_T2_jT3_P12ihipStream_tbPNSt15iterator_traitsISJ_E10value_typeEPNSP_ISK_E10value_typeEPSL_NS1_7vsmem_tEENKUlT_SJ_SK_SL_E_clISE_PySF_SF_EESI_SY_SJ_SK_SL_EUlSY_E_NS1_11comp_targetILNS1_3genE8ELNS1_11target_archE1030ELNS1_3gpuE2ELNS1_3repE0EEENS1_48merge_mergepath_partition_config_static_selectorELNS0_4arch9wavefront6targetE1EEEvSK_,@function
_ZN7rocprim17ROCPRIM_400000_NS6detail17trampoline_kernelINS0_14default_configENS1_38merge_sort_block_merge_config_selectorIyNS0_10empty_typeEEEZZNS1_27merge_sort_block_merge_implIS3_N6thrust23THRUST_200600_302600_NS6detail15normal_iteratorINS9_10device_ptrIyEEEEPS5_m14custom_greaterIyEEE10hipError_tT0_T1_T2_jT3_P12ihipStream_tbPNSt15iterator_traitsISJ_E10value_typeEPNSP_ISK_E10value_typeEPSL_NS1_7vsmem_tEENKUlT_SJ_SK_SL_E_clISE_PySF_SF_EESI_SY_SJ_SK_SL_EUlSY_E_NS1_11comp_targetILNS1_3genE8ELNS1_11target_archE1030ELNS1_3gpuE2ELNS1_3repE0EEENS1_48merge_mergepath_partition_config_static_selectorELNS0_4arch9wavefront6targetE1EEEvSK_: ; @_ZN7rocprim17ROCPRIM_400000_NS6detail17trampoline_kernelINS0_14default_configENS1_38merge_sort_block_merge_config_selectorIyNS0_10empty_typeEEEZZNS1_27merge_sort_block_merge_implIS3_N6thrust23THRUST_200600_302600_NS6detail15normal_iteratorINS9_10device_ptrIyEEEEPS5_m14custom_greaterIyEEE10hipError_tT0_T1_T2_jT3_P12ihipStream_tbPNSt15iterator_traitsISJ_E10value_typeEPNSP_ISK_E10value_typeEPSL_NS1_7vsmem_tEENKUlT_SJ_SK_SL_E_clISE_PySF_SF_EESI_SY_SJ_SK_SL_EUlSY_E_NS1_11comp_targetILNS1_3genE8ELNS1_11target_archE1030ELNS1_3gpuE2ELNS1_3repE0EEENS1_48merge_mergepath_partition_config_static_selectorELNS0_4arch9wavefront6targetE1EEEvSK_
; %bb.0:
	.section	.rodata,"a",@progbits
	.p2align	6, 0x0
	.amdhsa_kernel _ZN7rocprim17ROCPRIM_400000_NS6detail17trampoline_kernelINS0_14default_configENS1_38merge_sort_block_merge_config_selectorIyNS0_10empty_typeEEEZZNS1_27merge_sort_block_merge_implIS3_N6thrust23THRUST_200600_302600_NS6detail15normal_iteratorINS9_10device_ptrIyEEEEPS5_m14custom_greaterIyEEE10hipError_tT0_T1_T2_jT3_P12ihipStream_tbPNSt15iterator_traitsISJ_E10value_typeEPNSP_ISK_E10value_typeEPSL_NS1_7vsmem_tEENKUlT_SJ_SK_SL_E_clISE_PySF_SF_EESI_SY_SJ_SK_SL_EUlSY_E_NS1_11comp_targetILNS1_3genE8ELNS1_11target_archE1030ELNS1_3gpuE2ELNS1_3repE0EEENS1_48merge_mergepath_partition_config_static_selectorELNS0_4arch9wavefront6targetE1EEEvSK_
		.amdhsa_group_segment_fixed_size 0
		.amdhsa_private_segment_fixed_size 0
		.amdhsa_kernarg_size 48
		.amdhsa_user_sgpr_count 6
		.amdhsa_user_sgpr_private_segment_buffer 1
		.amdhsa_user_sgpr_dispatch_ptr 0
		.amdhsa_user_sgpr_queue_ptr 0
		.amdhsa_user_sgpr_kernarg_segment_ptr 1
		.amdhsa_user_sgpr_dispatch_id 0
		.amdhsa_user_sgpr_flat_scratch_init 0
		.amdhsa_user_sgpr_kernarg_preload_length 0
		.amdhsa_user_sgpr_kernarg_preload_offset 0
		.amdhsa_user_sgpr_private_segment_size 0
		.amdhsa_uses_dynamic_stack 0
		.amdhsa_system_sgpr_private_segment_wavefront_offset 0
		.amdhsa_system_sgpr_workgroup_id_x 1
		.amdhsa_system_sgpr_workgroup_id_y 0
		.amdhsa_system_sgpr_workgroup_id_z 0
		.amdhsa_system_sgpr_workgroup_info 0
		.amdhsa_system_vgpr_workitem_id 0
		.amdhsa_next_free_vgpr 1
		.amdhsa_next_free_sgpr 0
		.amdhsa_accum_offset 4
		.amdhsa_reserve_vcc 0
		.amdhsa_reserve_flat_scratch 0
		.amdhsa_float_round_mode_32 0
		.amdhsa_float_round_mode_16_64 0
		.amdhsa_float_denorm_mode_32 3
		.amdhsa_float_denorm_mode_16_64 3
		.amdhsa_dx10_clamp 1
		.amdhsa_ieee_mode 1
		.amdhsa_fp16_overflow 0
		.amdhsa_tg_split 0
		.amdhsa_exception_fp_ieee_invalid_op 0
		.amdhsa_exception_fp_denorm_src 0
		.amdhsa_exception_fp_ieee_div_zero 0
		.amdhsa_exception_fp_ieee_overflow 0
		.amdhsa_exception_fp_ieee_underflow 0
		.amdhsa_exception_fp_ieee_inexact 0
		.amdhsa_exception_int_div_zero 0
	.end_amdhsa_kernel
	.section	.text._ZN7rocprim17ROCPRIM_400000_NS6detail17trampoline_kernelINS0_14default_configENS1_38merge_sort_block_merge_config_selectorIyNS0_10empty_typeEEEZZNS1_27merge_sort_block_merge_implIS3_N6thrust23THRUST_200600_302600_NS6detail15normal_iteratorINS9_10device_ptrIyEEEEPS5_m14custom_greaterIyEEE10hipError_tT0_T1_T2_jT3_P12ihipStream_tbPNSt15iterator_traitsISJ_E10value_typeEPNSP_ISK_E10value_typeEPSL_NS1_7vsmem_tEENKUlT_SJ_SK_SL_E_clISE_PySF_SF_EESI_SY_SJ_SK_SL_EUlSY_E_NS1_11comp_targetILNS1_3genE8ELNS1_11target_archE1030ELNS1_3gpuE2ELNS1_3repE0EEENS1_48merge_mergepath_partition_config_static_selectorELNS0_4arch9wavefront6targetE1EEEvSK_,"axG",@progbits,_ZN7rocprim17ROCPRIM_400000_NS6detail17trampoline_kernelINS0_14default_configENS1_38merge_sort_block_merge_config_selectorIyNS0_10empty_typeEEEZZNS1_27merge_sort_block_merge_implIS3_N6thrust23THRUST_200600_302600_NS6detail15normal_iteratorINS9_10device_ptrIyEEEEPS5_m14custom_greaterIyEEE10hipError_tT0_T1_T2_jT3_P12ihipStream_tbPNSt15iterator_traitsISJ_E10value_typeEPNSP_ISK_E10value_typeEPSL_NS1_7vsmem_tEENKUlT_SJ_SK_SL_E_clISE_PySF_SF_EESI_SY_SJ_SK_SL_EUlSY_E_NS1_11comp_targetILNS1_3genE8ELNS1_11target_archE1030ELNS1_3gpuE2ELNS1_3repE0EEENS1_48merge_mergepath_partition_config_static_selectorELNS0_4arch9wavefront6targetE1EEEvSK_,comdat
.Lfunc_end3494:
	.size	_ZN7rocprim17ROCPRIM_400000_NS6detail17trampoline_kernelINS0_14default_configENS1_38merge_sort_block_merge_config_selectorIyNS0_10empty_typeEEEZZNS1_27merge_sort_block_merge_implIS3_N6thrust23THRUST_200600_302600_NS6detail15normal_iteratorINS9_10device_ptrIyEEEEPS5_m14custom_greaterIyEEE10hipError_tT0_T1_T2_jT3_P12ihipStream_tbPNSt15iterator_traitsISJ_E10value_typeEPNSP_ISK_E10value_typeEPSL_NS1_7vsmem_tEENKUlT_SJ_SK_SL_E_clISE_PySF_SF_EESI_SY_SJ_SK_SL_EUlSY_E_NS1_11comp_targetILNS1_3genE8ELNS1_11target_archE1030ELNS1_3gpuE2ELNS1_3repE0EEENS1_48merge_mergepath_partition_config_static_selectorELNS0_4arch9wavefront6targetE1EEEvSK_, .Lfunc_end3494-_ZN7rocprim17ROCPRIM_400000_NS6detail17trampoline_kernelINS0_14default_configENS1_38merge_sort_block_merge_config_selectorIyNS0_10empty_typeEEEZZNS1_27merge_sort_block_merge_implIS3_N6thrust23THRUST_200600_302600_NS6detail15normal_iteratorINS9_10device_ptrIyEEEEPS5_m14custom_greaterIyEEE10hipError_tT0_T1_T2_jT3_P12ihipStream_tbPNSt15iterator_traitsISJ_E10value_typeEPNSP_ISK_E10value_typeEPSL_NS1_7vsmem_tEENKUlT_SJ_SK_SL_E_clISE_PySF_SF_EESI_SY_SJ_SK_SL_EUlSY_E_NS1_11comp_targetILNS1_3genE8ELNS1_11target_archE1030ELNS1_3gpuE2ELNS1_3repE0EEENS1_48merge_mergepath_partition_config_static_selectorELNS0_4arch9wavefront6targetE1EEEvSK_
                                        ; -- End function
	.section	.AMDGPU.csdata,"",@progbits
; Kernel info:
; codeLenInByte = 0
; NumSgprs: 4
; NumVgprs: 0
; NumAgprs: 0
; TotalNumVgprs: 0
; ScratchSize: 0
; MemoryBound: 0
; FloatMode: 240
; IeeeMode: 1
; LDSByteSize: 0 bytes/workgroup (compile time only)
; SGPRBlocks: 0
; VGPRBlocks: 0
; NumSGPRsForWavesPerEU: 4
; NumVGPRsForWavesPerEU: 1
; AccumOffset: 4
; Occupancy: 8
; WaveLimiterHint : 0
; COMPUTE_PGM_RSRC2:SCRATCH_EN: 0
; COMPUTE_PGM_RSRC2:USER_SGPR: 6
; COMPUTE_PGM_RSRC2:TRAP_HANDLER: 0
; COMPUTE_PGM_RSRC2:TGID_X_EN: 1
; COMPUTE_PGM_RSRC2:TGID_Y_EN: 0
; COMPUTE_PGM_RSRC2:TGID_Z_EN: 0
; COMPUTE_PGM_RSRC2:TIDIG_COMP_CNT: 0
; COMPUTE_PGM_RSRC3_GFX90A:ACCUM_OFFSET: 0
; COMPUTE_PGM_RSRC3_GFX90A:TG_SPLIT: 0
	.section	.text._ZN7rocprim17ROCPRIM_400000_NS6detail17trampoline_kernelINS0_14default_configENS1_38merge_sort_block_merge_config_selectorIyNS0_10empty_typeEEEZZNS1_27merge_sort_block_merge_implIS3_N6thrust23THRUST_200600_302600_NS6detail15normal_iteratorINS9_10device_ptrIyEEEEPS5_m14custom_greaterIyEEE10hipError_tT0_T1_T2_jT3_P12ihipStream_tbPNSt15iterator_traitsISJ_E10value_typeEPNSP_ISK_E10value_typeEPSL_NS1_7vsmem_tEENKUlT_SJ_SK_SL_E_clISE_PySF_SF_EESI_SY_SJ_SK_SL_EUlSY_E0_NS1_11comp_targetILNS1_3genE0ELNS1_11target_archE4294967295ELNS1_3gpuE0ELNS1_3repE0EEENS1_38merge_mergepath_config_static_selectorELNS0_4arch9wavefront6targetE1EEEvSK_,"axG",@progbits,_ZN7rocprim17ROCPRIM_400000_NS6detail17trampoline_kernelINS0_14default_configENS1_38merge_sort_block_merge_config_selectorIyNS0_10empty_typeEEEZZNS1_27merge_sort_block_merge_implIS3_N6thrust23THRUST_200600_302600_NS6detail15normal_iteratorINS9_10device_ptrIyEEEEPS5_m14custom_greaterIyEEE10hipError_tT0_T1_T2_jT3_P12ihipStream_tbPNSt15iterator_traitsISJ_E10value_typeEPNSP_ISK_E10value_typeEPSL_NS1_7vsmem_tEENKUlT_SJ_SK_SL_E_clISE_PySF_SF_EESI_SY_SJ_SK_SL_EUlSY_E0_NS1_11comp_targetILNS1_3genE0ELNS1_11target_archE4294967295ELNS1_3gpuE0ELNS1_3repE0EEENS1_38merge_mergepath_config_static_selectorELNS0_4arch9wavefront6targetE1EEEvSK_,comdat
	.protected	_ZN7rocprim17ROCPRIM_400000_NS6detail17trampoline_kernelINS0_14default_configENS1_38merge_sort_block_merge_config_selectorIyNS0_10empty_typeEEEZZNS1_27merge_sort_block_merge_implIS3_N6thrust23THRUST_200600_302600_NS6detail15normal_iteratorINS9_10device_ptrIyEEEEPS5_m14custom_greaterIyEEE10hipError_tT0_T1_T2_jT3_P12ihipStream_tbPNSt15iterator_traitsISJ_E10value_typeEPNSP_ISK_E10value_typeEPSL_NS1_7vsmem_tEENKUlT_SJ_SK_SL_E_clISE_PySF_SF_EESI_SY_SJ_SK_SL_EUlSY_E0_NS1_11comp_targetILNS1_3genE0ELNS1_11target_archE4294967295ELNS1_3gpuE0ELNS1_3repE0EEENS1_38merge_mergepath_config_static_selectorELNS0_4arch9wavefront6targetE1EEEvSK_ ; -- Begin function _ZN7rocprim17ROCPRIM_400000_NS6detail17trampoline_kernelINS0_14default_configENS1_38merge_sort_block_merge_config_selectorIyNS0_10empty_typeEEEZZNS1_27merge_sort_block_merge_implIS3_N6thrust23THRUST_200600_302600_NS6detail15normal_iteratorINS9_10device_ptrIyEEEEPS5_m14custom_greaterIyEEE10hipError_tT0_T1_T2_jT3_P12ihipStream_tbPNSt15iterator_traitsISJ_E10value_typeEPNSP_ISK_E10value_typeEPSL_NS1_7vsmem_tEENKUlT_SJ_SK_SL_E_clISE_PySF_SF_EESI_SY_SJ_SK_SL_EUlSY_E0_NS1_11comp_targetILNS1_3genE0ELNS1_11target_archE4294967295ELNS1_3gpuE0ELNS1_3repE0EEENS1_38merge_mergepath_config_static_selectorELNS0_4arch9wavefront6targetE1EEEvSK_
	.globl	_ZN7rocprim17ROCPRIM_400000_NS6detail17trampoline_kernelINS0_14default_configENS1_38merge_sort_block_merge_config_selectorIyNS0_10empty_typeEEEZZNS1_27merge_sort_block_merge_implIS3_N6thrust23THRUST_200600_302600_NS6detail15normal_iteratorINS9_10device_ptrIyEEEEPS5_m14custom_greaterIyEEE10hipError_tT0_T1_T2_jT3_P12ihipStream_tbPNSt15iterator_traitsISJ_E10value_typeEPNSP_ISK_E10value_typeEPSL_NS1_7vsmem_tEENKUlT_SJ_SK_SL_E_clISE_PySF_SF_EESI_SY_SJ_SK_SL_EUlSY_E0_NS1_11comp_targetILNS1_3genE0ELNS1_11target_archE4294967295ELNS1_3gpuE0ELNS1_3repE0EEENS1_38merge_mergepath_config_static_selectorELNS0_4arch9wavefront6targetE1EEEvSK_
	.p2align	8
	.type	_ZN7rocprim17ROCPRIM_400000_NS6detail17trampoline_kernelINS0_14default_configENS1_38merge_sort_block_merge_config_selectorIyNS0_10empty_typeEEEZZNS1_27merge_sort_block_merge_implIS3_N6thrust23THRUST_200600_302600_NS6detail15normal_iteratorINS9_10device_ptrIyEEEEPS5_m14custom_greaterIyEEE10hipError_tT0_T1_T2_jT3_P12ihipStream_tbPNSt15iterator_traitsISJ_E10value_typeEPNSP_ISK_E10value_typeEPSL_NS1_7vsmem_tEENKUlT_SJ_SK_SL_E_clISE_PySF_SF_EESI_SY_SJ_SK_SL_EUlSY_E0_NS1_11comp_targetILNS1_3genE0ELNS1_11target_archE4294967295ELNS1_3gpuE0ELNS1_3repE0EEENS1_38merge_mergepath_config_static_selectorELNS0_4arch9wavefront6targetE1EEEvSK_,@function
_ZN7rocprim17ROCPRIM_400000_NS6detail17trampoline_kernelINS0_14default_configENS1_38merge_sort_block_merge_config_selectorIyNS0_10empty_typeEEEZZNS1_27merge_sort_block_merge_implIS3_N6thrust23THRUST_200600_302600_NS6detail15normal_iteratorINS9_10device_ptrIyEEEEPS5_m14custom_greaterIyEEE10hipError_tT0_T1_T2_jT3_P12ihipStream_tbPNSt15iterator_traitsISJ_E10value_typeEPNSP_ISK_E10value_typeEPSL_NS1_7vsmem_tEENKUlT_SJ_SK_SL_E_clISE_PySF_SF_EESI_SY_SJ_SK_SL_EUlSY_E0_NS1_11comp_targetILNS1_3genE0ELNS1_11target_archE4294967295ELNS1_3gpuE0ELNS1_3repE0EEENS1_38merge_mergepath_config_static_selectorELNS0_4arch9wavefront6targetE1EEEvSK_: ; @_ZN7rocprim17ROCPRIM_400000_NS6detail17trampoline_kernelINS0_14default_configENS1_38merge_sort_block_merge_config_selectorIyNS0_10empty_typeEEEZZNS1_27merge_sort_block_merge_implIS3_N6thrust23THRUST_200600_302600_NS6detail15normal_iteratorINS9_10device_ptrIyEEEEPS5_m14custom_greaterIyEEE10hipError_tT0_T1_T2_jT3_P12ihipStream_tbPNSt15iterator_traitsISJ_E10value_typeEPNSP_ISK_E10value_typeEPSL_NS1_7vsmem_tEENKUlT_SJ_SK_SL_E_clISE_PySF_SF_EESI_SY_SJ_SK_SL_EUlSY_E0_NS1_11comp_targetILNS1_3genE0ELNS1_11target_archE4294967295ELNS1_3gpuE0ELNS1_3repE0EEENS1_38merge_mergepath_config_static_selectorELNS0_4arch9wavefront6targetE1EEEvSK_
; %bb.0:
	.section	.rodata,"a",@progbits
	.p2align	6, 0x0
	.amdhsa_kernel _ZN7rocprim17ROCPRIM_400000_NS6detail17trampoline_kernelINS0_14default_configENS1_38merge_sort_block_merge_config_selectorIyNS0_10empty_typeEEEZZNS1_27merge_sort_block_merge_implIS3_N6thrust23THRUST_200600_302600_NS6detail15normal_iteratorINS9_10device_ptrIyEEEEPS5_m14custom_greaterIyEEE10hipError_tT0_T1_T2_jT3_P12ihipStream_tbPNSt15iterator_traitsISJ_E10value_typeEPNSP_ISK_E10value_typeEPSL_NS1_7vsmem_tEENKUlT_SJ_SK_SL_E_clISE_PySF_SF_EESI_SY_SJ_SK_SL_EUlSY_E0_NS1_11comp_targetILNS1_3genE0ELNS1_11target_archE4294967295ELNS1_3gpuE0ELNS1_3repE0EEENS1_38merge_mergepath_config_static_selectorELNS0_4arch9wavefront6targetE1EEEvSK_
		.amdhsa_group_segment_fixed_size 0
		.amdhsa_private_segment_fixed_size 0
		.amdhsa_kernarg_size 72
		.amdhsa_user_sgpr_count 6
		.amdhsa_user_sgpr_private_segment_buffer 1
		.amdhsa_user_sgpr_dispatch_ptr 0
		.amdhsa_user_sgpr_queue_ptr 0
		.amdhsa_user_sgpr_kernarg_segment_ptr 1
		.amdhsa_user_sgpr_dispatch_id 0
		.amdhsa_user_sgpr_flat_scratch_init 0
		.amdhsa_user_sgpr_kernarg_preload_length 0
		.amdhsa_user_sgpr_kernarg_preload_offset 0
		.amdhsa_user_sgpr_private_segment_size 0
		.amdhsa_uses_dynamic_stack 0
		.amdhsa_system_sgpr_private_segment_wavefront_offset 0
		.amdhsa_system_sgpr_workgroup_id_x 1
		.amdhsa_system_sgpr_workgroup_id_y 0
		.amdhsa_system_sgpr_workgroup_id_z 0
		.amdhsa_system_sgpr_workgroup_info 0
		.amdhsa_system_vgpr_workitem_id 0
		.amdhsa_next_free_vgpr 1
		.amdhsa_next_free_sgpr 0
		.amdhsa_accum_offset 4
		.amdhsa_reserve_vcc 0
		.amdhsa_reserve_flat_scratch 0
		.amdhsa_float_round_mode_32 0
		.amdhsa_float_round_mode_16_64 0
		.amdhsa_float_denorm_mode_32 3
		.amdhsa_float_denorm_mode_16_64 3
		.amdhsa_dx10_clamp 1
		.amdhsa_ieee_mode 1
		.amdhsa_fp16_overflow 0
		.amdhsa_tg_split 0
		.amdhsa_exception_fp_ieee_invalid_op 0
		.amdhsa_exception_fp_denorm_src 0
		.amdhsa_exception_fp_ieee_div_zero 0
		.amdhsa_exception_fp_ieee_overflow 0
		.amdhsa_exception_fp_ieee_underflow 0
		.amdhsa_exception_fp_ieee_inexact 0
		.amdhsa_exception_int_div_zero 0
	.end_amdhsa_kernel
	.section	.text._ZN7rocprim17ROCPRIM_400000_NS6detail17trampoline_kernelINS0_14default_configENS1_38merge_sort_block_merge_config_selectorIyNS0_10empty_typeEEEZZNS1_27merge_sort_block_merge_implIS3_N6thrust23THRUST_200600_302600_NS6detail15normal_iteratorINS9_10device_ptrIyEEEEPS5_m14custom_greaterIyEEE10hipError_tT0_T1_T2_jT3_P12ihipStream_tbPNSt15iterator_traitsISJ_E10value_typeEPNSP_ISK_E10value_typeEPSL_NS1_7vsmem_tEENKUlT_SJ_SK_SL_E_clISE_PySF_SF_EESI_SY_SJ_SK_SL_EUlSY_E0_NS1_11comp_targetILNS1_3genE0ELNS1_11target_archE4294967295ELNS1_3gpuE0ELNS1_3repE0EEENS1_38merge_mergepath_config_static_selectorELNS0_4arch9wavefront6targetE1EEEvSK_,"axG",@progbits,_ZN7rocprim17ROCPRIM_400000_NS6detail17trampoline_kernelINS0_14default_configENS1_38merge_sort_block_merge_config_selectorIyNS0_10empty_typeEEEZZNS1_27merge_sort_block_merge_implIS3_N6thrust23THRUST_200600_302600_NS6detail15normal_iteratorINS9_10device_ptrIyEEEEPS5_m14custom_greaterIyEEE10hipError_tT0_T1_T2_jT3_P12ihipStream_tbPNSt15iterator_traitsISJ_E10value_typeEPNSP_ISK_E10value_typeEPSL_NS1_7vsmem_tEENKUlT_SJ_SK_SL_E_clISE_PySF_SF_EESI_SY_SJ_SK_SL_EUlSY_E0_NS1_11comp_targetILNS1_3genE0ELNS1_11target_archE4294967295ELNS1_3gpuE0ELNS1_3repE0EEENS1_38merge_mergepath_config_static_selectorELNS0_4arch9wavefront6targetE1EEEvSK_,comdat
.Lfunc_end3495:
	.size	_ZN7rocprim17ROCPRIM_400000_NS6detail17trampoline_kernelINS0_14default_configENS1_38merge_sort_block_merge_config_selectorIyNS0_10empty_typeEEEZZNS1_27merge_sort_block_merge_implIS3_N6thrust23THRUST_200600_302600_NS6detail15normal_iteratorINS9_10device_ptrIyEEEEPS5_m14custom_greaterIyEEE10hipError_tT0_T1_T2_jT3_P12ihipStream_tbPNSt15iterator_traitsISJ_E10value_typeEPNSP_ISK_E10value_typeEPSL_NS1_7vsmem_tEENKUlT_SJ_SK_SL_E_clISE_PySF_SF_EESI_SY_SJ_SK_SL_EUlSY_E0_NS1_11comp_targetILNS1_3genE0ELNS1_11target_archE4294967295ELNS1_3gpuE0ELNS1_3repE0EEENS1_38merge_mergepath_config_static_selectorELNS0_4arch9wavefront6targetE1EEEvSK_, .Lfunc_end3495-_ZN7rocprim17ROCPRIM_400000_NS6detail17trampoline_kernelINS0_14default_configENS1_38merge_sort_block_merge_config_selectorIyNS0_10empty_typeEEEZZNS1_27merge_sort_block_merge_implIS3_N6thrust23THRUST_200600_302600_NS6detail15normal_iteratorINS9_10device_ptrIyEEEEPS5_m14custom_greaterIyEEE10hipError_tT0_T1_T2_jT3_P12ihipStream_tbPNSt15iterator_traitsISJ_E10value_typeEPNSP_ISK_E10value_typeEPSL_NS1_7vsmem_tEENKUlT_SJ_SK_SL_E_clISE_PySF_SF_EESI_SY_SJ_SK_SL_EUlSY_E0_NS1_11comp_targetILNS1_3genE0ELNS1_11target_archE4294967295ELNS1_3gpuE0ELNS1_3repE0EEENS1_38merge_mergepath_config_static_selectorELNS0_4arch9wavefront6targetE1EEEvSK_
                                        ; -- End function
	.section	.AMDGPU.csdata,"",@progbits
; Kernel info:
; codeLenInByte = 0
; NumSgprs: 4
; NumVgprs: 0
; NumAgprs: 0
; TotalNumVgprs: 0
; ScratchSize: 0
; MemoryBound: 0
; FloatMode: 240
; IeeeMode: 1
; LDSByteSize: 0 bytes/workgroup (compile time only)
; SGPRBlocks: 0
; VGPRBlocks: 0
; NumSGPRsForWavesPerEU: 4
; NumVGPRsForWavesPerEU: 1
; AccumOffset: 4
; Occupancy: 8
; WaveLimiterHint : 0
; COMPUTE_PGM_RSRC2:SCRATCH_EN: 0
; COMPUTE_PGM_RSRC2:USER_SGPR: 6
; COMPUTE_PGM_RSRC2:TRAP_HANDLER: 0
; COMPUTE_PGM_RSRC2:TGID_X_EN: 1
; COMPUTE_PGM_RSRC2:TGID_Y_EN: 0
; COMPUTE_PGM_RSRC2:TGID_Z_EN: 0
; COMPUTE_PGM_RSRC2:TIDIG_COMP_CNT: 0
; COMPUTE_PGM_RSRC3_GFX90A:ACCUM_OFFSET: 0
; COMPUTE_PGM_RSRC3_GFX90A:TG_SPLIT: 0
	.section	.text._ZN7rocprim17ROCPRIM_400000_NS6detail17trampoline_kernelINS0_14default_configENS1_38merge_sort_block_merge_config_selectorIyNS0_10empty_typeEEEZZNS1_27merge_sort_block_merge_implIS3_N6thrust23THRUST_200600_302600_NS6detail15normal_iteratorINS9_10device_ptrIyEEEEPS5_m14custom_greaterIyEEE10hipError_tT0_T1_T2_jT3_P12ihipStream_tbPNSt15iterator_traitsISJ_E10value_typeEPNSP_ISK_E10value_typeEPSL_NS1_7vsmem_tEENKUlT_SJ_SK_SL_E_clISE_PySF_SF_EESI_SY_SJ_SK_SL_EUlSY_E0_NS1_11comp_targetILNS1_3genE10ELNS1_11target_archE1201ELNS1_3gpuE5ELNS1_3repE0EEENS1_38merge_mergepath_config_static_selectorELNS0_4arch9wavefront6targetE1EEEvSK_,"axG",@progbits,_ZN7rocprim17ROCPRIM_400000_NS6detail17trampoline_kernelINS0_14default_configENS1_38merge_sort_block_merge_config_selectorIyNS0_10empty_typeEEEZZNS1_27merge_sort_block_merge_implIS3_N6thrust23THRUST_200600_302600_NS6detail15normal_iteratorINS9_10device_ptrIyEEEEPS5_m14custom_greaterIyEEE10hipError_tT0_T1_T2_jT3_P12ihipStream_tbPNSt15iterator_traitsISJ_E10value_typeEPNSP_ISK_E10value_typeEPSL_NS1_7vsmem_tEENKUlT_SJ_SK_SL_E_clISE_PySF_SF_EESI_SY_SJ_SK_SL_EUlSY_E0_NS1_11comp_targetILNS1_3genE10ELNS1_11target_archE1201ELNS1_3gpuE5ELNS1_3repE0EEENS1_38merge_mergepath_config_static_selectorELNS0_4arch9wavefront6targetE1EEEvSK_,comdat
	.protected	_ZN7rocprim17ROCPRIM_400000_NS6detail17trampoline_kernelINS0_14default_configENS1_38merge_sort_block_merge_config_selectorIyNS0_10empty_typeEEEZZNS1_27merge_sort_block_merge_implIS3_N6thrust23THRUST_200600_302600_NS6detail15normal_iteratorINS9_10device_ptrIyEEEEPS5_m14custom_greaterIyEEE10hipError_tT0_T1_T2_jT3_P12ihipStream_tbPNSt15iterator_traitsISJ_E10value_typeEPNSP_ISK_E10value_typeEPSL_NS1_7vsmem_tEENKUlT_SJ_SK_SL_E_clISE_PySF_SF_EESI_SY_SJ_SK_SL_EUlSY_E0_NS1_11comp_targetILNS1_3genE10ELNS1_11target_archE1201ELNS1_3gpuE5ELNS1_3repE0EEENS1_38merge_mergepath_config_static_selectorELNS0_4arch9wavefront6targetE1EEEvSK_ ; -- Begin function _ZN7rocprim17ROCPRIM_400000_NS6detail17trampoline_kernelINS0_14default_configENS1_38merge_sort_block_merge_config_selectorIyNS0_10empty_typeEEEZZNS1_27merge_sort_block_merge_implIS3_N6thrust23THRUST_200600_302600_NS6detail15normal_iteratorINS9_10device_ptrIyEEEEPS5_m14custom_greaterIyEEE10hipError_tT0_T1_T2_jT3_P12ihipStream_tbPNSt15iterator_traitsISJ_E10value_typeEPNSP_ISK_E10value_typeEPSL_NS1_7vsmem_tEENKUlT_SJ_SK_SL_E_clISE_PySF_SF_EESI_SY_SJ_SK_SL_EUlSY_E0_NS1_11comp_targetILNS1_3genE10ELNS1_11target_archE1201ELNS1_3gpuE5ELNS1_3repE0EEENS1_38merge_mergepath_config_static_selectorELNS0_4arch9wavefront6targetE1EEEvSK_
	.globl	_ZN7rocprim17ROCPRIM_400000_NS6detail17trampoline_kernelINS0_14default_configENS1_38merge_sort_block_merge_config_selectorIyNS0_10empty_typeEEEZZNS1_27merge_sort_block_merge_implIS3_N6thrust23THRUST_200600_302600_NS6detail15normal_iteratorINS9_10device_ptrIyEEEEPS5_m14custom_greaterIyEEE10hipError_tT0_T1_T2_jT3_P12ihipStream_tbPNSt15iterator_traitsISJ_E10value_typeEPNSP_ISK_E10value_typeEPSL_NS1_7vsmem_tEENKUlT_SJ_SK_SL_E_clISE_PySF_SF_EESI_SY_SJ_SK_SL_EUlSY_E0_NS1_11comp_targetILNS1_3genE10ELNS1_11target_archE1201ELNS1_3gpuE5ELNS1_3repE0EEENS1_38merge_mergepath_config_static_selectorELNS0_4arch9wavefront6targetE1EEEvSK_
	.p2align	8
	.type	_ZN7rocprim17ROCPRIM_400000_NS6detail17trampoline_kernelINS0_14default_configENS1_38merge_sort_block_merge_config_selectorIyNS0_10empty_typeEEEZZNS1_27merge_sort_block_merge_implIS3_N6thrust23THRUST_200600_302600_NS6detail15normal_iteratorINS9_10device_ptrIyEEEEPS5_m14custom_greaterIyEEE10hipError_tT0_T1_T2_jT3_P12ihipStream_tbPNSt15iterator_traitsISJ_E10value_typeEPNSP_ISK_E10value_typeEPSL_NS1_7vsmem_tEENKUlT_SJ_SK_SL_E_clISE_PySF_SF_EESI_SY_SJ_SK_SL_EUlSY_E0_NS1_11comp_targetILNS1_3genE10ELNS1_11target_archE1201ELNS1_3gpuE5ELNS1_3repE0EEENS1_38merge_mergepath_config_static_selectorELNS0_4arch9wavefront6targetE1EEEvSK_,@function
_ZN7rocprim17ROCPRIM_400000_NS6detail17trampoline_kernelINS0_14default_configENS1_38merge_sort_block_merge_config_selectorIyNS0_10empty_typeEEEZZNS1_27merge_sort_block_merge_implIS3_N6thrust23THRUST_200600_302600_NS6detail15normal_iteratorINS9_10device_ptrIyEEEEPS5_m14custom_greaterIyEEE10hipError_tT0_T1_T2_jT3_P12ihipStream_tbPNSt15iterator_traitsISJ_E10value_typeEPNSP_ISK_E10value_typeEPSL_NS1_7vsmem_tEENKUlT_SJ_SK_SL_E_clISE_PySF_SF_EESI_SY_SJ_SK_SL_EUlSY_E0_NS1_11comp_targetILNS1_3genE10ELNS1_11target_archE1201ELNS1_3gpuE5ELNS1_3repE0EEENS1_38merge_mergepath_config_static_selectorELNS0_4arch9wavefront6targetE1EEEvSK_: ; @_ZN7rocprim17ROCPRIM_400000_NS6detail17trampoline_kernelINS0_14default_configENS1_38merge_sort_block_merge_config_selectorIyNS0_10empty_typeEEEZZNS1_27merge_sort_block_merge_implIS3_N6thrust23THRUST_200600_302600_NS6detail15normal_iteratorINS9_10device_ptrIyEEEEPS5_m14custom_greaterIyEEE10hipError_tT0_T1_T2_jT3_P12ihipStream_tbPNSt15iterator_traitsISJ_E10value_typeEPNSP_ISK_E10value_typeEPSL_NS1_7vsmem_tEENKUlT_SJ_SK_SL_E_clISE_PySF_SF_EESI_SY_SJ_SK_SL_EUlSY_E0_NS1_11comp_targetILNS1_3genE10ELNS1_11target_archE1201ELNS1_3gpuE5ELNS1_3repE0EEENS1_38merge_mergepath_config_static_selectorELNS0_4arch9wavefront6targetE1EEEvSK_
; %bb.0:
	.section	.rodata,"a",@progbits
	.p2align	6, 0x0
	.amdhsa_kernel _ZN7rocprim17ROCPRIM_400000_NS6detail17trampoline_kernelINS0_14default_configENS1_38merge_sort_block_merge_config_selectorIyNS0_10empty_typeEEEZZNS1_27merge_sort_block_merge_implIS3_N6thrust23THRUST_200600_302600_NS6detail15normal_iteratorINS9_10device_ptrIyEEEEPS5_m14custom_greaterIyEEE10hipError_tT0_T1_T2_jT3_P12ihipStream_tbPNSt15iterator_traitsISJ_E10value_typeEPNSP_ISK_E10value_typeEPSL_NS1_7vsmem_tEENKUlT_SJ_SK_SL_E_clISE_PySF_SF_EESI_SY_SJ_SK_SL_EUlSY_E0_NS1_11comp_targetILNS1_3genE10ELNS1_11target_archE1201ELNS1_3gpuE5ELNS1_3repE0EEENS1_38merge_mergepath_config_static_selectorELNS0_4arch9wavefront6targetE1EEEvSK_
		.amdhsa_group_segment_fixed_size 0
		.amdhsa_private_segment_fixed_size 0
		.amdhsa_kernarg_size 72
		.amdhsa_user_sgpr_count 6
		.amdhsa_user_sgpr_private_segment_buffer 1
		.amdhsa_user_sgpr_dispatch_ptr 0
		.amdhsa_user_sgpr_queue_ptr 0
		.amdhsa_user_sgpr_kernarg_segment_ptr 1
		.amdhsa_user_sgpr_dispatch_id 0
		.amdhsa_user_sgpr_flat_scratch_init 0
		.amdhsa_user_sgpr_kernarg_preload_length 0
		.amdhsa_user_sgpr_kernarg_preload_offset 0
		.amdhsa_user_sgpr_private_segment_size 0
		.amdhsa_uses_dynamic_stack 0
		.amdhsa_system_sgpr_private_segment_wavefront_offset 0
		.amdhsa_system_sgpr_workgroup_id_x 1
		.amdhsa_system_sgpr_workgroup_id_y 0
		.amdhsa_system_sgpr_workgroup_id_z 0
		.amdhsa_system_sgpr_workgroup_info 0
		.amdhsa_system_vgpr_workitem_id 0
		.amdhsa_next_free_vgpr 1
		.amdhsa_next_free_sgpr 0
		.amdhsa_accum_offset 4
		.amdhsa_reserve_vcc 0
		.amdhsa_reserve_flat_scratch 0
		.amdhsa_float_round_mode_32 0
		.amdhsa_float_round_mode_16_64 0
		.amdhsa_float_denorm_mode_32 3
		.amdhsa_float_denorm_mode_16_64 3
		.amdhsa_dx10_clamp 1
		.amdhsa_ieee_mode 1
		.amdhsa_fp16_overflow 0
		.amdhsa_tg_split 0
		.amdhsa_exception_fp_ieee_invalid_op 0
		.amdhsa_exception_fp_denorm_src 0
		.amdhsa_exception_fp_ieee_div_zero 0
		.amdhsa_exception_fp_ieee_overflow 0
		.amdhsa_exception_fp_ieee_underflow 0
		.amdhsa_exception_fp_ieee_inexact 0
		.amdhsa_exception_int_div_zero 0
	.end_amdhsa_kernel
	.section	.text._ZN7rocprim17ROCPRIM_400000_NS6detail17trampoline_kernelINS0_14default_configENS1_38merge_sort_block_merge_config_selectorIyNS0_10empty_typeEEEZZNS1_27merge_sort_block_merge_implIS3_N6thrust23THRUST_200600_302600_NS6detail15normal_iteratorINS9_10device_ptrIyEEEEPS5_m14custom_greaterIyEEE10hipError_tT0_T1_T2_jT3_P12ihipStream_tbPNSt15iterator_traitsISJ_E10value_typeEPNSP_ISK_E10value_typeEPSL_NS1_7vsmem_tEENKUlT_SJ_SK_SL_E_clISE_PySF_SF_EESI_SY_SJ_SK_SL_EUlSY_E0_NS1_11comp_targetILNS1_3genE10ELNS1_11target_archE1201ELNS1_3gpuE5ELNS1_3repE0EEENS1_38merge_mergepath_config_static_selectorELNS0_4arch9wavefront6targetE1EEEvSK_,"axG",@progbits,_ZN7rocprim17ROCPRIM_400000_NS6detail17trampoline_kernelINS0_14default_configENS1_38merge_sort_block_merge_config_selectorIyNS0_10empty_typeEEEZZNS1_27merge_sort_block_merge_implIS3_N6thrust23THRUST_200600_302600_NS6detail15normal_iteratorINS9_10device_ptrIyEEEEPS5_m14custom_greaterIyEEE10hipError_tT0_T1_T2_jT3_P12ihipStream_tbPNSt15iterator_traitsISJ_E10value_typeEPNSP_ISK_E10value_typeEPSL_NS1_7vsmem_tEENKUlT_SJ_SK_SL_E_clISE_PySF_SF_EESI_SY_SJ_SK_SL_EUlSY_E0_NS1_11comp_targetILNS1_3genE10ELNS1_11target_archE1201ELNS1_3gpuE5ELNS1_3repE0EEENS1_38merge_mergepath_config_static_selectorELNS0_4arch9wavefront6targetE1EEEvSK_,comdat
.Lfunc_end3496:
	.size	_ZN7rocprim17ROCPRIM_400000_NS6detail17trampoline_kernelINS0_14default_configENS1_38merge_sort_block_merge_config_selectorIyNS0_10empty_typeEEEZZNS1_27merge_sort_block_merge_implIS3_N6thrust23THRUST_200600_302600_NS6detail15normal_iteratorINS9_10device_ptrIyEEEEPS5_m14custom_greaterIyEEE10hipError_tT0_T1_T2_jT3_P12ihipStream_tbPNSt15iterator_traitsISJ_E10value_typeEPNSP_ISK_E10value_typeEPSL_NS1_7vsmem_tEENKUlT_SJ_SK_SL_E_clISE_PySF_SF_EESI_SY_SJ_SK_SL_EUlSY_E0_NS1_11comp_targetILNS1_3genE10ELNS1_11target_archE1201ELNS1_3gpuE5ELNS1_3repE0EEENS1_38merge_mergepath_config_static_selectorELNS0_4arch9wavefront6targetE1EEEvSK_, .Lfunc_end3496-_ZN7rocprim17ROCPRIM_400000_NS6detail17trampoline_kernelINS0_14default_configENS1_38merge_sort_block_merge_config_selectorIyNS0_10empty_typeEEEZZNS1_27merge_sort_block_merge_implIS3_N6thrust23THRUST_200600_302600_NS6detail15normal_iteratorINS9_10device_ptrIyEEEEPS5_m14custom_greaterIyEEE10hipError_tT0_T1_T2_jT3_P12ihipStream_tbPNSt15iterator_traitsISJ_E10value_typeEPNSP_ISK_E10value_typeEPSL_NS1_7vsmem_tEENKUlT_SJ_SK_SL_E_clISE_PySF_SF_EESI_SY_SJ_SK_SL_EUlSY_E0_NS1_11comp_targetILNS1_3genE10ELNS1_11target_archE1201ELNS1_3gpuE5ELNS1_3repE0EEENS1_38merge_mergepath_config_static_selectorELNS0_4arch9wavefront6targetE1EEEvSK_
                                        ; -- End function
	.section	.AMDGPU.csdata,"",@progbits
; Kernel info:
; codeLenInByte = 0
; NumSgprs: 4
; NumVgprs: 0
; NumAgprs: 0
; TotalNumVgprs: 0
; ScratchSize: 0
; MemoryBound: 0
; FloatMode: 240
; IeeeMode: 1
; LDSByteSize: 0 bytes/workgroup (compile time only)
; SGPRBlocks: 0
; VGPRBlocks: 0
; NumSGPRsForWavesPerEU: 4
; NumVGPRsForWavesPerEU: 1
; AccumOffset: 4
; Occupancy: 8
; WaveLimiterHint : 0
; COMPUTE_PGM_RSRC2:SCRATCH_EN: 0
; COMPUTE_PGM_RSRC2:USER_SGPR: 6
; COMPUTE_PGM_RSRC2:TRAP_HANDLER: 0
; COMPUTE_PGM_RSRC2:TGID_X_EN: 1
; COMPUTE_PGM_RSRC2:TGID_Y_EN: 0
; COMPUTE_PGM_RSRC2:TGID_Z_EN: 0
; COMPUTE_PGM_RSRC2:TIDIG_COMP_CNT: 0
; COMPUTE_PGM_RSRC3_GFX90A:ACCUM_OFFSET: 0
; COMPUTE_PGM_RSRC3_GFX90A:TG_SPLIT: 0
	.section	.text._ZN7rocprim17ROCPRIM_400000_NS6detail17trampoline_kernelINS0_14default_configENS1_38merge_sort_block_merge_config_selectorIyNS0_10empty_typeEEEZZNS1_27merge_sort_block_merge_implIS3_N6thrust23THRUST_200600_302600_NS6detail15normal_iteratorINS9_10device_ptrIyEEEEPS5_m14custom_greaterIyEEE10hipError_tT0_T1_T2_jT3_P12ihipStream_tbPNSt15iterator_traitsISJ_E10value_typeEPNSP_ISK_E10value_typeEPSL_NS1_7vsmem_tEENKUlT_SJ_SK_SL_E_clISE_PySF_SF_EESI_SY_SJ_SK_SL_EUlSY_E0_NS1_11comp_targetILNS1_3genE5ELNS1_11target_archE942ELNS1_3gpuE9ELNS1_3repE0EEENS1_38merge_mergepath_config_static_selectorELNS0_4arch9wavefront6targetE1EEEvSK_,"axG",@progbits,_ZN7rocprim17ROCPRIM_400000_NS6detail17trampoline_kernelINS0_14default_configENS1_38merge_sort_block_merge_config_selectorIyNS0_10empty_typeEEEZZNS1_27merge_sort_block_merge_implIS3_N6thrust23THRUST_200600_302600_NS6detail15normal_iteratorINS9_10device_ptrIyEEEEPS5_m14custom_greaterIyEEE10hipError_tT0_T1_T2_jT3_P12ihipStream_tbPNSt15iterator_traitsISJ_E10value_typeEPNSP_ISK_E10value_typeEPSL_NS1_7vsmem_tEENKUlT_SJ_SK_SL_E_clISE_PySF_SF_EESI_SY_SJ_SK_SL_EUlSY_E0_NS1_11comp_targetILNS1_3genE5ELNS1_11target_archE942ELNS1_3gpuE9ELNS1_3repE0EEENS1_38merge_mergepath_config_static_selectorELNS0_4arch9wavefront6targetE1EEEvSK_,comdat
	.protected	_ZN7rocprim17ROCPRIM_400000_NS6detail17trampoline_kernelINS0_14default_configENS1_38merge_sort_block_merge_config_selectorIyNS0_10empty_typeEEEZZNS1_27merge_sort_block_merge_implIS3_N6thrust23THRUST_200600_302600_NS6detail15normal_iteratorINS9_10device_ptrIyEEEEPS5_m14custom_greaterIyEEE10hipError_tT0_T1_T2_jT3_P12ihipStream_tbPNSt15iterator_traitsISJ_E10value_typeEPNSP_ISK_E10value_typeEPSL_NS1_7vsmem_tEENKUlT_SJ_SK_SL_E_clISE_PySF_SF_EESI_SY_SJ_SK_SL_EUlSY_E0_NS1_11comp_targetILNS1_3genE5ELNS1_11target_archE942ELNS1_3gpuE9ELNS1_3repE0EEENS1_38merge_mergepath_config_static_selectorELNS0_4arch9wavefront6targetE1EEEvSK_ ; -- Begin function _ZN7rocprim17ROCPRIM_400000_NS6detail17trampoline_kernelINS0_14default_configENS1_38merge_sort_block_merge_config_selectorIyNS0_10empty_typeEEEZZNS1_27merge_sort_block_merge_implIS3_N6thrust23THRUST_200600_302600_NS6detail15normal_iteratorINS9_10device_ptrIyEEEEPS5_m14custom_greaterIyEEE10hipError_tT0_T1_T2_jT3_P12ihipStream_tbPNSt15iterator_traitsISJ_E10value_typeEPNSP_ISK_E10value_typeEPSL_NS1_7vsmem_tEENKUlT_SJ_SK_SL_E_clISE_PySF_SF_EESI_SY_SJ_SK_SL_EUlSY_E0_NS1_11comp_targetILNS1_3genE5ELNS1_11target_archE942ELNS1_3gpuE9ELNS1_3repE0EEENS1_38merge_mergepath_config_static_selectorELNS0_4arch9wavefront6targetE1EEEvSK_
	.globl	_ZN7rocprim17ROCPRIM_400000_NS6detail17trampoline_kernelINS0_14default_configENS1_38merge_sort_block_merge_config_selectorIyNS0_10empty_typeEEEZZNS1_27merge_sort_block_merge_implIS3_N6thrust23THRUST_200600_302600_NS6detail15normal_iteratorINS9_10device_ptrIyEEEEPS5_m14custom_greaterIyEEE10hipError_tT0_T1_T2_jT3_P12ihipStream_tbPNSt15iterator_traitsISJ_E10value_typeEPNSP_ISK_E10value_typeEPSL_NS1_7vsmem_tEENKUlT_SJ_SK_SL_E_clISE_PySF_SF_EESI_SY_SJ_SK_SL_EUlSY_E0_NS1_11comp_targetILNS1_3genE5ELNS1_11target_archE942ELNS1_3gpuE9ELNS1_3repE0EEENS1_38merge_mergepath_config_static_selectorELNS0_4arch9wavefront6targetE1EEEvSK_
	.p2align	8
	.type	_ZN7rocprim17ROCPRIM_400000_NS6detail17trampoline_kernelINS0_14default_configENS1_38merge_sort_block_merge_config_selectorIyNS0_10empty_typeEEEZZNS1_27merge_sort_block_merge_implIS3_N6thrust23THRUST_200600_302600_NS6detail15normal_iteratorINS9_10device_ptrIyEEEEPS5_m14custom_greaterIyEEE10hipError_tT0_T1_T2_jT3_P12ihipStream_tbPNSt15iterator_traitsISJ_E10value_typeEPNSP_ISK_E10value_typeEPSL_NS1_7vsmem_tEENKUlT_SJ_SK_SL_E_clISE_PySF_SF_EESI_SY_SJ_SK_SL_EUlSY_E0_NS1_11comp_targetILNS1_3genE5ELNS1_11target_archE942ELNS1_3gpuE9ELNS1_3repE0EEENS1_38merge_mergepath_config_static_selectorELNS0_4arch9wavefront6targetE1EEEvSK_,@function
_ZN7rocprim17ROCPRIM_400000_NS6detail17trampoline_kernelINS0_14default_configENS1_38merge_sort_block_merge_config_selectorIyNS0_10empty_typeEEEZZNS1_27merge_sort_block_merge_implIS3_N6thrust23THRUST_200600_302600_NS6detail15normal_iteratorINS9_10device_ptrIyEEEEPS5_m14custom_greaterIyEEE10hipError_tT0_T1_T2_jT3_P12ihipStream_tbPNSt15iterator_traitsISJ_E10value_typeEPNSP_ISK_E10value_typeEPSL_NS1_7vsmem_tEENKUlT_SJ_SK_SL_E_clISE_PySF_SF_EESI_SY_SJ_SK_SL_EUlSY_E0_NS1_11comp_targetILNS1_3genE5ELNS1_11target_archE942ELNS1_3gpuE9ELNS1_3repE0EEENS1_38merge_mergepath_config_static_selectorELNS0_4arch9wavefront6targetE1EEEvSK_: ; @_ZN7rocprim17ROCPRIM_400000_NS6detail17trampoline_kernelINS0_14default_configENS1_38merge_sort_block_merge_config_selectorIyNS0_10empty_typeEEEZZNS1_27merge_sort_block_merge_implIS3_N6thrust23THRUST_200600_302600_NS6detail15normal_iteratorINS9_10device_ptrIyEEEEPS5_m14custom_greaterIyEEE10hipError_tT0_T1_T2_jT3_P12ihipStream_tbPNSt15iterator_traitsISJ_E10value_typeEPNSP_ISK_E10value_typeEPSL_NS1_7vsmem_tEENKUlT_SJ_SK_SL_E_clISE_PySF_SF_EESI_SY_SJ_SK_SL_EUlSY_E0_NS1_11comp_targetILNS1_3genE5ELNS1_11target_archE942ELNS1_3gpuE9ELNS1_3repE0EEENS1_38merge_mergepath_config_static_selectorELNS0_4arch9wavefront6targetE1EEEvSK_
; %bb.0:
	.section	.rodata,"a",@progbits
	.p2align	6, 0x0
	.amdhsa_kernel _ZN7rocprim17ROCPRIM_400000_NS6detail17trampoline_kernelINS0_14default_configENS1_38merge_sort_block_merge_config_selectorIyNS0_10empty_typeEEEZZNS1_27merge_sort_block_merge_implIS3_N6thrust23THRUST_200600_302600_NS6detail15normal_iteratorINS9_10device_ptrIyEEEEPS5_m14custom_greaterIyEEE10hipError_tT0_T1_T2_jT3_P12ihipStream_tbPNSt15iterator_traitsISJ_E10value_typeEPNSP_ISK_E10value_typeEPSL_NS1_7vsmem_tEENKUlT_SJ_SK_SL_E_clISE_PySF_SF_EESI_SY_SJ_SK_SL_EUlSY_E0_NS1_11comp_targetILNS1_3genE5ELNS1_11target_archE942ELNS1_3gpuE9ELNS1_3repE0EEENS1_38merge_mergepath_config_static_selectorELNS0_4arch9wavefront6targetE1EEEvSK_
		.amdhsa_group_segment_fixed_size 0
		.amdhsa_private_segment_fixed_size 0
		.amdhsa_kernarg_size 72
		.amdhsa_user_sgpr_count 6
		.amdhsa_user_sgpr_private_segment_buffer 1
		.amdhsa_user_sgpr_dispatch_ptr 0
		.amdhsa_user_sgpr_queue_ptr 0
		.amdhsa_user_sgpr_kernarg_segment_ptr 1
		.amdhsa_user_sgpr_dispatch_id 0
		.amdhsa_user_sgpr_flat_scratch_init 0
		.amdhsa_user_sgpr_kernarg_preload_length 0
		.amdhsa_user_sgpr_kernarg_preload_offset 0
		.amdhsa_user_sgpr_private_segment_size 0
		.amdhsa_uses_dynamic_stack 0
		.amdhsa_system_sgpr_private_segment_wavefront_offset 0
		.amdhsa_system_sgpr_workgroup_id_x 1
		.amdhsa_system_sgpr_workgroup_id_y 0
		.amdhsa_system_sgpr_workgroup_id_z 0
		.amdhsa_system_sgpr_workgroup_info 0
		.amdhsa_system_vgpr_workitem_id 0
		.amdhsa_next_free_vgpr 1
		.amdhsa_next_free_sgpr 0
		.amdhsa_accum_offset 4
		.amdhsa_reserve_vcc 0
		.amdhsa_reserve_flat_scratch 0
		.amdhsa_float_round_mode_32 0
		.amdhsa_float_round_mode_16_64 0
		.amdhsa_float_denorm_mode_32 3
		.amdhsa_float_denorm_mode_16_64 3
		.amdhsa_dx10_clamp 1
		.amdhsa_ieee_mode 1
		.amdhsa_fp16_overflow 0
		.amdhsa_tg_split 0
		.amdhsa_exception_fp_ieee_invalid_op 0
		.amdhsa_exception_fp_denorm_src 0
		.amdhsa_exception_fp_ieee_div_zero 0
		.amdhsa_exception_fp_ieee_overflow 0
		.amdhsa_exception_fp_ieee_underflow 0
		.amdhsa_exception_fp_ieee_inexact 0
		.amdhsa_exception_int_div_zero 0
	.end_amdhsa_kernel
	.section	.text._ZN7rocprim17ROCPRIM_400000_NS6detail17trampoline_kernelINS0_14default_configENS1_38merge_sort_block_merge_config_selectorIyNS0_10empty_typeEEEZZNS1_27merge_sort_block_merge_implIS3_N6thrust23THRUST_200600_302600_NS6detail15normal_iteratorINS9_10device_ptrIyEEEEPS5_m14custom_greaterIyEEE10hipError_tT0_T1_T2_jT3_P12ihipStream_tbPNSt15iterator_traitsISJ_E10value_typeEPNSP_ISK_E10value_typeEPSL_NS1_7vsmem_tEENKUlT_SJ_SK_SL_E_clISE_PySF_SF_EESI_SY_SJ_SK_SL_EUlSY_E0_NS1_11comp_targetILNS1_3genE5ELNS1_11target_archE942ELNS1_3gpuE9ELNS1_3repE0EEENS1_38merge_mergepath_config_static_selectorELNS0_4arch9wavefront6targetE1EEEvSK_,"axG",@progbits,_ZN7rocprim17ROCPRIM_400000_NS6detail17trampoline_kernelINS0_14default_configENS1_38merge_sort_block_merge_config_selectorIyNS0_10empty_typeEEEZZNS1_27merge_sort_block_merge_implIS3_N6thrust23THRUST_200600_302600_NS6detail15normal_iteratorINS9_10device_ptrIyEEEEPS5_m14custom_greaterIyEEE10hipError_tT0_T1_T2_jT3_P12ihipStream_tbPNSt15iterator_traitsISJ_E10value_typeEPNSP_ISK_E10value_typeEPSL_NS1_7vsmem_tEENKUlT_SJ_SK_SL_E_clISE_PySF_SF_EESI_SY_SJ_SK_SL_EUlSY_E0_NS1_11comp_targetILNS1_3genE5ELNS1_11target_archE942ELNS1_3gpuE9ELNS1_3repE0EEENS1_38merge_mergepath_config_static_selectorELNS0_4arch9wavefront6targetE1EEEvSK_,comdat
.Lfunc_end3497:
	.size	_ZN7rocprim17ROCPRIM_400000_NS6detail17trampoline_kernelINS0_14default_configENS1_38merge_sort_block_merge_config_selectorIyNS0_10empty_typeEEEZZNS1_27merge_sort_block_merge_implIS3_N6thrust23THRUST_200600_302600_NS6detail15normal_iteratorINS9_10device_ptrIyEEEEPS5_m14custom_greaterIyEEE10hipError_tT0_T1_T2_jT3_P12ihipStream_tbPNSt15iterator_traitsISJ_E10value_typeEPNSP_ISK_E10value_typeEPSL_NS1_7vsmem_tEENKUlT_SJ_SK_SL_E_clISE_PySF_SF_EESI_SY_SJ_SK_SL_EUlSY_E0_NS1_11comp_targetILNS1_3genE5ELNS1_11target_archE942ELNS1_3gpuE9ELNS1_3repE0EEENS1_38merge_mergepath_config_static_selectorELNS0_4arch9wavefront6targetE1EEEvSK_, .Lfunc_end3497-_ZN7rocprim17ROCPRIM_400000_NS6detail17trampoline_kernelINS0_14default_configENS1_38merge_sort_block_merge_config_selectorIyNS0_10empty_typeEEEZZNS1_27merge_sort_block_merge_implIS3_N6thrust23THRUST_200600_302600_NS6detail15normal_iteratorINS9_10device_ptrIyEEEEPS5_m14custom_greaterIyEEE10hipError_tT0_T1_T2_jT3_P12ihipStream_tbPNSt15iterator_traitsISJ_E10value_typeEPNSP_ISK_E10value_typeEPSL_NS1_7vsmem_tEENKUlT_SJ_SK_SL_E_clISE_PySF_SF_EESI_SY_SJ_SK_SL_EUlSY_E0_NS1_11comp_targetILNS1_3genE5ELNS1_11target_archE942ELNS1_3gpuE9ELNS1_3repE0EEENS1_38merge_mergepath_config_static_selectorELNS0_4arch9wavefront6targetE1EEEvSK_
                                        ; -- End function
	.section	.AMDGPU.csdata,"",@progbits
; Kernel info:
; codeLenInByte = 0
; NumSgprs: 4
; NumVgprs: 0
; NumAgprs: 0
; TotalNumVgprs: 0
; ScratchSize: 0
; MemoryBound: 0
; FloatMode: 240
; IeeeMode: 1
; LDSByteSize: 0 bytes/workgroup (compile time only)
; SGPRBlocks: 0
; VGPRBlocks: 0
; NumSGPRsForWavesPerEU: 4
; NumVGPRsForWavesPerEU: 1
; AccumOffset: 4
; Occupancy: 8
; WaveLimiterHint : 0
; COMPUTE_PGM_RSRC2:SCRATCH_EN: 0
; COMPUTE_PGM_RSRC2:USER_SGPR: 6
; COMPUTE_PGM_RSRC2:TRAP_HANDLER: 0
; COMPUTE_PGM_RSRC2:TGID_X_EN: 1
; COMPUTE_PGM_RSRC2:TGID_Y_EN: 0
; COMPUTE_PGM_RSRC2:TGID_Z_EN: 0
; COMPUTE_PGM_RSRC2:TIDIG_COMP_CNT: 0
; COMPUTE_PGM_RSRC3_GFX90A:ACCUM_OFFSET: 0
; COMPUTE_PGM_RSRC3_GFX90A:TG_SPLIT: 0
	.section	.text._ZN7rocprim17ROCPRIM_400000_NS6detail17trampoline_kernelINS0_14default_configENS1_38merge_sort_block_merge_config_selectorIyNS0_10empty_typeEEEZZNS1_27merge_sort_block_merge_implIS3_N6thrust23THRUST_200600_302600_NS6detail15normal_iteratorINS9_10device_ptrIyEEEEPS5_m14custom_greaterIyEEE10hipError_tT0_T1_T2_jT3_P12ihipStream_tbPNSt15iterator_traitsISJ_E10value_typeEPNSP_ISK_E10value_typeEPSL_NS1_7vsmem_tEENKUlT_SJ_SK_SL_E_clISE_PySF_SF_EESI_SY_SJ_SK_SL_EUlSY_E0_NS1_11comp_targetILNS1_3genE4ELNS1_11target_archE910ELNS1_3gpuE8ELNS1_3repE0EEENS1_38merge_mergepath_config_static_selectorELNS0_4arch9wavefront6targetE1EEEvSK_,"axG",@progbits,_ZN7rocprim17ROCPRIM_400000_NS6detail17trampoline_kernelINS0_14default_configENS1_38merge_sort_block_merge_config_selectorIyNS0_10empty_typeEEEZZNS1_27merge_sort_block_merge_implIS3_N6thrust23THRUST_200600_302600_NS6detail15normal_iteratorINS9_10device_ptrIyEEEEPS5_m14custom_greaterIyEEE10hipError_tT0_T1_T2_jT3_P12ihipStream_tbPNSt15iterator_traitsISJ_E10value_typeEPNSP_ISK_E10value_typeEPSL_NS1_7vsmem_tEENKUlT_SJ_SK_SL_E_clISE_PySF_SF_EESI_SY_SJ_SK_SL_EUlSY_E0_NS1_11comp_targetILNS1_3genE4ELNS1_11target_archE910ELNS1_3gpuE8ELNS1_3repE0EEENS1_38merge_mergepath_config_static_selectorELNS0_4arch9wavefront6targetE1EEEvSK_,comdat
	.protected	_ZN7rocprim17ROCPRIM_400000_NS6detail17trampoline_kernelINS0_14default_configENS1_38merge_sort_block_merge_config_selectorIyNS0_10empty_typeEEEZZNS1_27merge_sort_block_merge_implIS3_N6thrust23THRUST_200600_302600_NS6detail15normal_iteratorINS9_10device_ptrIyEEEEPS5_m14custom_greaterIyEEE10hipError_tT0_T1_T2_jT3_P12ihipStream_tbPNSt15iterator_traitsISJ_E10value_typeEPNSP_ISK_E10value_typeEPSL_NS1_7vsmem_tEENKUlT_SJ_SK_SL_E_clISE_PySF_SF_EESI_SY_SJ_SK_SL_EUlSY_E0_NS1_11comp_targetILNS1_3genE4ELNS1_11target_archE910ELNS1_3gpuE8ELNS1_3repE0EEENS1_38merge_mergepath_config_static_selectorELNS0_4arch9wavefront6targetE1EEEvSK_ ; -- Begin function _ZN7rocprim17ROCPRIM_400000_NS6detail17trampoline_kernelINS0_14default_configENS1_38merge_sort_block_merge_config_selectorIyNS0_10empty_typeEEEZZNS1_27merge_sort_block_merge_implIS3_N6thrust23THRUST_200600_302600_NS6detail15normal_iteratorINS9_10device_ptrIyEEEEPS5_m14custom_greaterIyEEE10hipError_tT0_T1_T2_jT3_P12ihipStream_tbPNSt15iterator_traitsISJ_E10value_typeEPNSP_ISK_E10value_typeEPSL_NS1_7vsmem_tEENKUlT_SJ_SK_SL_E_clISE_PySF_SF_EESI_SY_SJ_SK_SL_EUlSY_E0_NS1_11comp_targetILNS1_3genE4ELNS1_11target_archE910ELNS1_3gpuE8ELNS1_3repE0EEENS1_38merge_mergepath_config_static_selectorELNS0_4arch9wavefront6targetE1EEEvSK_
	.globl	_ZN7rocprim17ROCPRIM_400000_NS6detail17trampoline_kernelINS0_14default_configENS1_38merge_sort_block_merge_config_selectorIyNS0_10empty_typeEEEZZNS1_27merge_sort_block_merge_implIS3_N6thrust23THRUST_200600_302600_NS6detail15normal_iteratorINS9_10device_ptrIyEEEEPS5_m14custom_greaterIyEEE10hipError_tT0_T1_T2_jT3_P12ihipStream_tbPNSt15iterator_traitsISJ_E10value_typeEPNSP_ISK_E10value_typeEPSL_NS1_7vsmem_tEENKUlT_SJ_SK_SL_E_clISE_PySF_SF_EESI_SY_SJ_SK_SL_EUlSY_E0_NS1_11comp_targetILNS1_3genE4ELNS1_11target_archE910ELNS1_3gpuE8ELNS1_3repE0EEENS1_38merge_mergepath_config_static_selectorELNS0_4arch9wavefront6targetE1EEEvSK_
	.p2align	8
	.type	_ZN7rocprim17ROCPRIM_400000_NS6detail17trampoline_kernelINS0_14default_configENS1_38merge_sort_block_merge_config_selectorIyNS0_10empty_typeEEEZZNS1_27merge_sort_block_merge_implIS3_N6thrust23THRUST_200600_302600_NS6detail15normal_iteratorINS9_10device_ptrIyEEEEPS5_m14custom_greaterIyEEE10hipError_tT0_T1_T2_jT3_P12ihipStream_tbPNSt15iterator_traitsISJ_E10value_typeEPNSP_ISK_E10value_typeEPSL_NS1_7vsmem_tEENKUlT_SJ_SK_SL_E_clISE_PySF_SF_EESI_SY_SJ_SK_SL_EUlSY_E0_NS1_11comp_targetILNS1_3genE4ELNS1_11target_archE910ELNS1_3gpuE8ELNS1_3repE0EEENS1_38merge_mergepath_config_static_selectorELNS0_4arch9wavefront6targetE1EEEvSK_,@function
_ZN7rocprim17ROCPRIM_400000_NS6detail17trampoline_kernelINS0_14default_configENS1_38merge_sort_block_merge_config_selectorIyNS0_10empty_typeEEEZZNS1_27merge_sort_block_merge_implIS3_N6thrust23THRUST_200600_302600_NS6detail15normal_iteratorINS9_10device_ptrIyEEEEPS5_m14custom_greaterIyEEE10hipError_tT0_T1_T2_jT3_P12ihipStream_tbPNSt15iterator_traitsISJ_E10value_typeEPNSP_ISK_E10value_typeEPSL_NS1_7vsmem_tEENKUlT_SJ_SK_SL_E_clISE_PySF_SF_EESI_SY_SJ_SK_SL_EUlSY_E0_NS1_11comp_targetILNS1_3genE4ELNS1_11target_archE910ELNS1_3gpuE8ELNS1_3repE0EEENS1_38merge_mergepath_config_static_selectorELNS0_4arch9wavefront6targetE1EEEvSK_: ; @_ZN7rocprim17ROCPRIM_400000_NS6detail17trampoline_kernelINS0_14default_configENS1_38merge_sort_block_merge_config_selectorIyNS0_10empty_typeEEEZZNS1_27merge_sort_block_merge_implIS3_N6thrust23THRUST_200600_302600_NS6detail15normal_iteratorINS9_10device_ptrIyEEEEPS5_m14custom_greaterIyEEE10hipError_tT0_T1_T2_jT3_P12ihipStream_tbPNSt15iterator_traitsISJ_E10value_typeEPNSP_ISK_E10value_typeEPSL_NS1_7vsmem_tEENKUlT_SJ_SK_SL_E_clISE_PySF_SF_EESI_SY_SJ_SK_SL_EUlSY_E0_NS1_11comp_targetILNS1_3genE4ELNS1_11target_archE910ELNS1_3gpuE8ELNS1_3repE0EEENS1_38merge_mergepath_config_static_selectorELNS0_4arch9wavefront6targetE1EEEvSK_
; %bb.0:
	s_load_dwordx2 s[22:23], s[4:5], 0x48
	s_load_dword s0, s[4:5], 0x38
	s_add_u32 s18, s4, 0x48
	s_addc_u32 s19, s5, 0
	s_waitcnt lgkmcnt(0)
	s_mul_i32 s1, s23, s8
	s_add_i32 s1, s1, s7
	s_mul_i32 s1, s1, s22
	s_add_i32 s20, s1, s6
	s_cmp_ge_u32 s20, s0
	s_cbranch_scc1 .LBB3498_33
; %bb.1:
	s_load_dwordx2 s[0:1], s[4:5], 0x40
	s_load_dwordx4 s[12:15], s[4:5], 0x8
	s_load_dwordx4 s[8:11], s[4:5], 0x28
	s_mov_b32 s21, 0
	s_lshl_b64 s[2:3], s[20:21], 3
	s_waitcnt lgkmcnt(0)
	s_add_u32 s0, s0, s2
	s_addc_u32 s1, s1, s3
	v_mov_b32_e32 v1, s10
	v_alignbit_b32 v1, s11, v1, 9
	v_readfirstlane_b32 s4, v1
	s_and_b32 s4, s4, -2
	s_sub_i32 s30, 0, s4
	s_and_b32 s24, s20, s30
	s_mov_b32 s25, s21
	s_lshl_b64 s[4:5], s[24:25], 10
	s_lshl_b64 s[16:17], s[20:21], 10
	s_sub_u32 s7, s16, s4
	s_load_dwordx4 s[0:3], s[0:1], 0x0
	s_subb_u32 s23, s17, s5
	s_lshl_b64 s[24:25], s[24:25], 11
	s_add_u32 s24, s24, s10
	s_addc_u32 s25, s25, s11
	s_add_u32 s7, s24, s7
	s_addc_u32 s23, s25, s23
	s_waitcnt lgkmcnt(0)
	s_sub_u32 s26, s7, s2
	s_subb_u32 s3, s23, s3
	s_add_u32 s26, s26, 0x400
	s_addc_u32 s27, s3, 0
	v_pk_mov_b32 v[2:3], s[26:27], s[26:27] op_sel:[0,1]
	v_cmp_lt_u64_e32 vcc, s[8:9], v[2:3]
	s_and_b64 s[28:29], vcc, exec
	s_cselect_b32 s3, s8, s26
	s_or_b32 s26, s20, s30
	s_cmp_lg_u32 s26, -1
	s_cbranch_scc1 .LBB3498_3
; %bb.2:
	s_sub_u32 s4, s24, s4
	s_subb_u32 s5, s25, s5
	v_pk_mov_b32 v[2:3], s[4:5], s[4:5] op_sel:[0,1]
	v_cmp_lt_u64_e32 vcc, s[8:9], v[2:3]
	s_and_b64 s[2:3], vcc, exec
	s_cselect_b32 s2, s8, s4
	s_add_u32 s4, s4, s10
	s_addc_u32 s5, s5, s11
	v_pk_mov_b32 v[2:3], s[4:5], s[4:5] op_sel:[0,1]
	v_cmp_lt_u64_e32 vcc, s[8:9], v[2:3]
	s_and_b64 s[10:11], vcc, exec
	s_cselect_b32 s3, s8, s4
.LBB3498_3:
	s_lshr_b64 s[24:25], s[8:9], 10
	s_cmp_lg_u64 s[24:25], s[20:21]
	s_cselect_b64 s[10:11], -1, 0
	s_sub_u32 s4, s7, s0
	s_subb_u32 s5, s23, s1
	v_pk_mov_b32 v[2:3], s[4:5], s[4:5] op_sel:[0,1]
	v_cmp_lt_u64_e32 vcc, s[8:9], v[2:3]
	s_and_b64 s[26:27], vcc, exec
	s_cselect_b32 s26, s8, s4
	s_cselect_b32 s27, s9, s5
	s_sub_i32 s9, s2, s0
	s_sub_i32 s4, s3, s26
	s_lshl_b64 s[0:1], s[0:1], 3
	s_add_u32 s5, s12, s0
	s_addc_u32 s7, s13, s1
	s_lshl_b64 s[0:1], s[26:27], 3
	s_add_u32 s12, s12, s0
	s_addc_u32 s13, s13, s1
	s_cmp_lt_u32 s6, s22
	v_mov_b32_e32 v7, 0
	s_cselect_b32 s0, 12, 18
	global_load_dword v1, v7, s[18:19] offset:14
	s_add_u32 s0, s18, s0
	s_addc_u32 s1, s19, 0
	global_load_ushort v2, v7, s[0:1]
	s_cmp_eq_u64 s[24:25], s[20:21]
	s_waitcnt vmcnt(1)
	v_lshrrev_b32_e32 v3, 16, v1
	v_and_b32_e32 v1, 0xffff, v1
	v_mul_lo_u32 v1, v1, v3
	s_waitcnt vmcnt(0)
	v_mul_lo_u32 v15, v1, v2
	v_add_u32_e32 v12, v15, v0
	v_lshlrev_b32_e32 v1, 3, v0
	v_add_u32_e32 v10, v12, v15
	s_cbranch_scc1 .LBB3498_5
; %bb.4:
	v_subrev_u32_e32 v6, s9, v0
	v_lshlrev_b64 v[2:3], 3, v[6:7]
	v_mov_b32_e32 v4, s13
	v_add_co_u32_e32 v2, vcc, s12, v2
	v_addc_co_u32_e32 v3, vcc, v4, v3, vcc
	v_mov_b32_e32 v4, s7
	v_add_co_u32_e32 v5, vcc, s5, v1
	v_addc_co_u32_e32 v4, vcc, 0, v4, vcc
	v_cmp_gt_u32_e32 vcc, s9, v0
	v_subrev_u32_e32 v6, s9, v12
	v_cndmask_b32_e32 v3, v3, v4, vcc
	v_cndmask_b32_e32 v2, v2, v5, vcc
	v_lshlrev_b64 v[4:5], 3, v[6:7]
	v_mov_b32_e32 v6, s13
	v_add_co_u32_e32 v8, vcc, s12, v4
	v_mov_b32_e32 v13, v7
	v_addc_co_u32_e32 v6, vcc, v6, v5, vcc
	v_lshlrev_b64 v[4:5], 3, v[12:13]
	v_mov_b32_e32 v9, s7
	v_add_co_u32_e32 v4, vcc, s5, v4
	v_addc_co_u32_e32 v5, vcc, v9, v5, vcc
	v_cmp_gt_u32_e32 vcc, s9, v12
	v_cndmask_b32_e32 v5, v6, v5, vcc
	v_subrev_u32_e32 v6, s9, v10
	v_cndmask_b32_e32 v4, v8, v4, vcc
	v_lshlrev_b64 v[8:9], 3, v[6:7]
	v_mov_b32_e32 v6, s13
	v_add_co_u32_e32 v8, vcc, s12, v8
	v_mov_b32_e32 v11, v7
	v_addc_co_u32_e32 v9, vcc, v6, v9, vcc
	v_lshlrev_b64 v[6:7], 3, v[10:11]
	v_mov_b32_e32 v11, s7
	v_add_co_u32_e32 v6, vcc, s5, v6
	v_addc_co_u32_e32 v7, vcc, v11, v7, vcc
	v_cmp_gt_u32_e32 vcc, s9, v10
	v_cndmask_b32_e32 v7, v9, v7, vcc
	v_cndmask_b32_e32 v6, v8, v6, vcc
	global_load_dwordx2 v[2:3], v[2:3], off
	v_add_u32_e32 v14, v10, v15
	global_load_dwordx2 v[4:5], v[4:5], off
	s_add_i32 s6, s9, s4
	global_load_dwordx2 v[6:7], v[6:7], off
	s_mov_b64 s[0:1], -1
	s_cbranch_execz .LBB3498_6
	s_branch .LBB3498_11
.LBB3498_5:
	s_mov_b64 s[0:1], 0
                                        ; implicit-def: $vgpr14
                                        ; implicit-def: $vgpr2_vgpr3_vgpr4_vgpr5_vgpr6_vgpr7_vgpr8_vgpr9
                                        ; implicit-def: $sgpr6
.LBB3498_6:
	s_add_i32 s6, s9, s4
	v_cmp_gt_u32_e32 vcc, s6, v0
                                        ; implicit-def: $vgpr2_vgpr3_vgpr4_vgpr5_vgpr6_vgpr7_vgpr8_vgpr9
	s_and_saveexec_b64 s[0:1], vcc
	s_cbranch_execnz .LBB3498_34
; %bb.7:
	s_or_b64 exec, exec, s[0:1]
	v_cmp_gt_u32_e32 vcc, s6, v12
	s_and_saveexec_b64 s[2:3], vcc
	s_cbranch_execnz .LBB3498_35
.LBB3498_8:
	s_or_b64 exec, exec, s[2:3]
	v_cmp_gt_u32_e32 vcc, s6, v10
	s_and_saveexec_b64 s[0:1], vcc
	s_cbranch_execz .LBB3498_10
.LBB3498_9:
	v_mov_b32_e32 v11, 0
	s_waitcnt vmcnt(0)
	v_lshlrev_b64 v[6:7], 3, v[10:11]
	v_mov_b32_e32 v12, s7
	v_add_co_u32_e32 v13, vcc, s5, v6
	v_addc_co_u32_e32 v12, vcc, v12, v7, vcc
	v_subrev_u32_e32 v6, s9, v10
	v_mov_b32_e32 v7, v11
	v_lshlrev_b64 v[6:7], 3, v[6:7]
	v_mov_b32_e32 v11, s13
	v_add_co_u32_e32 v6, vcc, s12, v6
	v_addc_co_u32_e32 v7, vcc, v11, v7, vcc
	v_cmp_gt_u32_e32 vcc, s9, v10
	v_cndmask_b32_e32 v7, v7, v12, vcc
	v_cndmask_b32_e32 v6, v6, v13, vcc
	global_load_dwordx2 v[6:7], v[6:7], off
.LBB3498_10:
	s_or_b64 exec, exec, s[0:1]
	v_add_u32_e32 v14, v10, v15
	v_cmp_gt_u32_e64 s[0:1], s6, v14
.LBB3498_11:
	v_mov_b32_e32 v10, s6
	s_and_saveexec_b64 s[2:3], s[0:1]
	s_cbranch_execz .LBB3498_13
; %bb.12:
	v_subrev_u32_e32 v8, s9, v14
	v_mov_b32_e32 v9, 0
	v_lshlrev_b64 v[10:11], 3, v[8:9]
	v_mov_b32_e32 v8, s13
	v_add_co_u32_e32 v10, vcc, s12, v10
	v_mov_b32_e32 v15, v9
	v_addc_co_u32_e32 v11, vcc, v8, v11, vcc
	v_lshlrev_b64 v[8:9], 3, v[14:15]
	v_mov_b32_e32 v12, s7
	v_add_co_u32_e32 v8, vcc, s5, v8
	v_addc_co_u32_e32 v9, vcc, v12, v9, vcc
	v_cmp_gt_u32_e32 vcc, s9, v14
	v_cndmask_b32_e32 v9, v11, v9, vcc
	v_cndmask_b32_e32 v8, v10, v8, vcc
	global_load_dwordx2 v[8:9], v[8:9], off
	v_mov_b32_e32 v10, s6
.LBB3498_13:
	s_or_b64 exec, exec, s[2:3]
	v_lshlrev_b32_e32 v11, 2, v0
	v_min_u32_e32 v13, v10, v11
	v_sub_u32_e64 v12, v13, s4 clamp
	v_min_u32_e32 v14, s9, v13
	v_cmp_lt_u32_e32 vcc, v12, v14
	s_waitcnt vmcnt(0)
	ds_write2st64_b64 v1, v[2:3], v[4:5] offset1:4
	ds_write2st64_b64 v1, v[6:7], v[8:9] offset0:8 offset1:12
	s_waitcnt lgkmcnt(0)
	s_barrier
	s_and_saveexec_b64 s[0:1], vcc
	s_cbranch_execz .LBB3498_17
; %bb.14:
	v_lshlrev_b32_e32 v15, 3, v13
	v_lshl_add_u32 v15, s9, 3, v15
	s_mov_b64 s[2:3], 0
.LBB3498_15:                            ; =>This Inner Loop Header: Depth=1
	v_add_u32_e32 v16, v14, v12
	v_lshrrev_b32_e32 v20, 1, v16
	v_not_b32_e32 v16, v20
	v_lshlrev_b32_e32 v17, 3, v20
	v_lshl_add_u32 v18, v16, 3, v15
	ds_read_b64 v[16:17], v17
	ds_read_b64 v[18:19], v18
	v_add_u32_e32 v21, 1, v20
	s_waitcnt lgkmcnt(0)
	v_cmp_gt_u64_e32 vcc, v[16:17], v[18:19]
	v_cndmask_b32_e32 v14, v14, v20, vcc
	v_cndmask_b32_e32 v12, v21, v12, vcc
	v_cmp_ge_u32_e32 vcc, v12, v14
	s_or_b64 s[2:3], vcc, s[2:3]
	s_andn2_b64 exec, exec, s[2:3]
	s_cbranch_execnz .LBB3498_15
; %bb.16:
	s_or_b64 exec, exec, s[2:3]
.LBB3498_17:
	s_or_b64 exec, exec, s[0:1]
	v_sub_u32_e32 v13, v13, v12
	v_add_u32_e32 v13, s9, v13
	v_cmp_ge_u32_e32 vcc, s9, v12
	v_cmp_le_u32_e64 s[0:1], v13, v10
	s_or_b64 s[0:1], vcc, s[0:1]
	s_and_saveexec_b64 s[6:7], s[0:1]
	s_cbranch_execz .LBB3498_23
; %bb.18:
	v_cmp_gt_u32_e32 vcc, s9, v12
                                        ; implicit-def: $vgpr2_vgpr3
	s_and_saveexec_b64 s[0:1], vcc
	s_cbranch_execz .LBB3498_20
; %bb.19:
	v_lshlrev_b32_e32 v2, 3, v12
	ds_read_b64 v[2:3], v2
.LBB3498_20:
	s_or_b64 exec, exec, s[0:1]
	v_cmp_ge_u32_e64 s[0:1], v13, v10
	v_cmp_lt_u32_e64 s[2:3], v13, v10
                                        ; implicit-def: $vgpr4_vgpr5
	s_and_saveexec_b64 s[4:5], s[2:3]
	s_cbranch_execz .LBB3498_22
; %bb.21:
	v_lshlrev_b32_e32 v4, 3, v13
	ds_read_b64 v[4:5], v4
.LBB3498_22:
	s_or_b64 exec, exec, s[4:5]
	s_waitcnt lgkmcnt(0)
	v_cmp_le_u64_e64 s[2:3], v[2:3], v[4:5]
	s_and_b64 s[2:3], vcc, s[2:3]
	s_or_b64 vcc, s[0:1], s[2:3]
	v_mov_b32_e32 v16, s9
	v_cndmask_b32_e32 v6, v13, v12, vcc
	v_cndmask_b32_e32 v7, v10, v16, vcc
	v_add_u32_e32 v14, 1, v6
	v_add_u32_e32 v6, -1, v7
	v_min_u32_e32 v6, v14, v6
	v_lshlrev_b32_e32 v6, 3, v6
	ds_read_b64 v[6:7], v6
	v_cndmask_b32_e32 v18, v12, v14, vcc
	v_cndmask_b32_e32 v17, v14, v13, vcc
	v_cmp_gt_u32_e64 s[2:3], s9, v18
	v_cmp_ge_u32_e64 s[0:1], v17, v10
	s_waitcnt lgkmcnt(0)
	v_cndmask_b32_e32 v9, v7, v5, vcc
	v_cndmask_b32_e32 v8, v6, v4, vcc
	;; [unrolled: 1-line block ×4, first 2 shown]
	v_cmp_le_u64_e64 s[4:5], v[6:7], v[8:9]
	s_and_b64 s[2:3], s[2:3], s[4:5]
	s_or_b64 s[0:1], s[0:1], s[2:3]
	v_cndmask_b32_e64 v12, v17, v18, s[0:1]
	v_cndmask_b32_e64 v13, v10, v16, s[0:1]
	v_add_u32_e32 v19, 1, v12
	v_add_u32_e32 v12, -1, v13
	v_min_u32_e32 v12, v19, v12
	v_lshlrev_b32_e32 v12, 3, v12
	ds_read_b64 v[12:13], v12
	v_cndmask_b32_e64 v18, v18, v19, s[0:1]
	v_cndmask_b32_e64 v20, v19, v17, s[0:1]
	v_cmp_gt_u32_e64 s[2:3], s9, v18
	v_cndmask_b32_e32 v3, v5, v3, vcc
	s_waitcnt lgkmcnt(0)
	v_cndmask_b32_e64 v15, v13, v9, s[0:1]
	v_cndmask_b32_e64 v14, v12, v8, s[0:1]
	;; [unrolled: 1-line block ×4, first 2 shown]
	v_cmp_le_u64_e64 s[4:5], v[12:13], v[14:15]
	v_cndmask_b32_e32 v2, v4, v2, vcc
	v_cmp_ge_u32_e32 vcc, v20, v10
	s_and_b64 s[2:3], s[2:3], s[4:5]
	s_or_b64 vcc, vcc, s[2:3]
	v_cndmask_b32_e32 v4, v20, v18, vcc
	v_cndmask_b32_e32 v5, v10, v16, vcc
	v_add_u32_e32 v19, 1, v4
	v_add_u32_e32 v4, -1, v5
	v_min_u32_e32 v4, v19, v4
	v_lshlrev_b32_e32 v4, 3, v4
	ds_read_b64 v[16:17], v4
	v_cndmask_b32_e64 v5, v9, v7, s[0:1]
	v_cndmask_b32_e64 v4, v8, v6, s[0:1]
	v_cndmask_b32_e32 v7, v15, v13, vcc
	v_cndmask_b32_e32 v6, v14, v12, vcc
	s_waitcnt lgkmcnt(0)
	v_cndmask_b32_e32 v9, v17, v15, vcc
	v_cndmask_b32_e32 v8, v16, v14, vcc
	;; [unrolled: 1-line block ×6, first 2 shown]
	v_cmp_gt_u32_e64 s[0:1], s9, v15
	v_cmp_le_u64_e64 s[2:3], v[12:13], v[8:9]
	v_cmp_ge_u32_e32 vcc, v14, v10
	s_and_b64 s[0:1], s[0:1], s[2:3]
	s_or_b64 vcc, vcc, s[0:1]
	v_cndmask_b32_e32 v9, v9, v13, vcc
	v_cndmask_b32_e32 v8, v8, v12, vcc
.LBB3498_23:
	s_or_b64 exec, exec, s[6:7]
	v_and_b32_e32 v10, 0xf8, v0
	v_lshl_add_u32 v10, v11, 3, v10
	s_barrier
	s_barrier
	ds_write2_b64 v10, v[2:3], v[4:5] offset1:1
	ds_write2_b64 v10, v[6:7], v[8:9] offset0:2 offset1:3
	v_lshrrev_b32_e32 v2, 2, v0
	v_and_b32_e32 v2, 56, v2
	v_or_b32_e32 v12, 0x100, v0
	v_add_u32_e32 v13, v1, v2
	v_lshrrev_b32_e32 v2, 2, v12
	v_and_b32_e32 v2, 0x78, v2
	v_or_b32_e32 v11, 0x200, v0
	v_add_u32_e32 v6, v1, v2
	v_lshrrev_b32_e32 v2, 2, v11
	s_lshl_b64 s[0:1], s[16:17], 3
	v_and_b32_e32 v2, 0xb8, v2
	v_or_b32_e32 v10, 0x300, v0
	s_add_u32 s0, s14, s0
	v_add_u32_e32 v7, v1, v2
	v_lshrrev_b32_e32 v2, 2, v10
	s_addc_u32 s1, s15, s1
	v_and_b32_e32 v2, 0xf8, v2
	v_add_u32_e32 v14, v1, v2
	v_mov_b32_e32 v3, s1
	v_add_co_u32_e32 v2, vcc, s0, v1
	v_addc_co_u32_e32 v3, vcc, 0, v3, vcc
	s_and_b64 vcc, exec, s[10:11]
	s_waitcnt lgkmcnt(0)
	s_cbranch_vccz .LBB3498_25
; %bb.24:
	s_barrier
	ds_read_b64 v[8:9], v13
	ds_read_b64 v[16:17], v6 offset:2048
	ds_read_b64 v[18:19], v7 offset:4096
	;; [unrolled: 1-line block ×3, first 2 shown]
	s_waitcnt lgkmcnt(3)
	global_store_dwordx2 v[2:3], v[8:9], off
	s_waitcnt lgkmcnt(2)
	global_store_dwordx2 v[2:3], v[16:17], off offset:2048
	v_add_co_u32_e32 v8, vcc, 0x1000, v2
	v_addc_co_u32_e32 v9, vcc, 0, v3, vcc
	s_waitcnt lgkmcnt(1)
	global_store_dwordx2 v[8:9], v[18:19], off
	s_mov_b64 s[0:1], -1
	s_cbranch_execz .LBB3498_26
	s_branch .LBB3498_31
.LBB3498_25:
	s_mov_b64 s[0:1], 0
                                        ; implicit-def: $vgpr4_vgpr5
.LBB3498_26:
	s_barrier
	s_waitcnt lgkmcnt(0)
	ds_read_b64 v[8:9], v6 offset:2048
	ds_read_b64 v[6:7], v7 offset:4096
	;; [unrolled: 1-line block ×3, first 2 shown]
	s_sub_i32 s2, s8, s16
	v_cmp_gt_u32_e32 vcc, s2, v0
	s_and_saveexec_b64 s[0:1], vcc
	s_cbranch_execnz .LBB3498_36
; %bb.27:
	s_or_b64 exec, exec, s[0:1]
	v_cmp_gt_u32_e32 vcc, s2, v12
	s_and_saveexec_b64 s[0:1], vcc
	s_cbranch_execnz .LBB3498_37
.LBB3498_28:
	s_or_b64 exec, exec, s[0:1]
	v_cmp_gt_u32_e32 vcc, s2, v11
	s_and_saveexec_b64 s[0:1], vcc
	s_cbranch_execz .LBB3498_30
.LBB3498_29:
	v_add_co_u32_e32 v0, vcc, 0x1000, v2
	v_addc_co_u32_e32 v1, vcc, 0, v3, vcc
	s_waitcnt lgkmcnt(1)
	global_store_dwordx2 v[0:1], v[6:7], off
.LBB3498_30:
	s_or_b64 exec, exec, s[0:1]
	v_cmp_gt_u32_e64 s[0:1], s2, v10
.LBB3498_31:
	s_and_saveexec_b64 s[2:3], s[0:1]
	s_cbranch_execz .LBB3498_33
; %bb.32:
	v_add_co_u32_e32 v0, vcc, 0x1000, v2
	v_addc_co_u32_e32 v1, vcc, 0, v3, vcc
	s_waitcnt lgkmcnt(0)
	global_store_dwordx2 v[0:1], v[4:5], off offset:2048
.LBB3498_33:
	s_endpgm
.LBB3498_34:
	s_waitcnt vmcnt(2)
	v_mov_b32_e32 v2, s7
	s_waitcnt vmcnt(1)
	v_add_co_u32_e32 v4, vcc, s5, v1
	v_mov_b32_e32 v3, 0
	v_addc_co_u32_e32 v5, vcc, 0, v2, vcc
	v_subrev_u32_e32 v2, s9, v0
	v_lshlrev_b64 v[2:3], 3, v[2:3]
	s_waitcnt vmcnt(0)
	v_mov_b32_e32 v6, s13
	v_add_co_u32_e32 v2, vcc, s12, v2
	v_addc_co_u32_e32 v3, vcc, v6, v3, vcc
	v_cmp_gt_u32_e32 vcc, s9, v0
	v_cndmask_b32_e32 v3, v3, v5, vcc
	v_cndmask_b32_e32 v2, v2, v4, vcc
	global_load_dwordx2 v[2:3], v[2:3], off
	s_or_b64 exec, exec, s[0:1]
	v_cmp_gt_u32_e32 vcc, s6, v12
	s_and_saveexec_b64 s[2:3], vcc
	s_cbranch_execz .LBB3498_8
.LBB3498_35:
	v_mov_b32_e32 v13, 0
	s_waitcnt vmcnt(1)
	v_lshlrev_b64 v[4:5], 3, v[12:13]
	v_mov_b32_e32 v11, s7
	v_add_co_u32_e32 v14, vcc, s5, v4
	v_addc_co_u32_e32 v11, vcc, v11, v5, vcc
	v_cmp_gt_u32_e32 vcc, s9, v12
	v_subrev_u32_e32 v12, s9, v12
	v_lshlrev_b64 v[4:5], 3, v[12:13]
	v_mov_b32_e32 v12, s13
	v_add_co_u32_e64 v4, s[0:1], s12, v4
	v_addc_co_u32_e64 v5, s[0:1], v12, v5, s[0:1]
	v_cndmask_b32_e32 v5, v5, v11, vcc
	v_cndmask_b32_e32 v4, v4, v14, vcc
	global_load_dwordx2 v[4:5], v[4:5], off
	s_or_b64 exec, exec, s[2:3]
	v_cmp_gt_u32_e32 vcc, s6, v10
	s_and_saveexec_b64 s[0:1], vcc
	s_cbranch_execnz .LBB3498_9
	s_branch .LBB3498_10
.LBB3498_36:
	ds_read_b64 v[0:1], v13
	s_waitcnt lgkmcnt(0)
	global_store_dwordx2 v[2:3], v[0:1], off
	s_or_b64 exec, exec, s[0:1]
	v_cmp_gt_u32_e32 vcc, s2, v12
	s_and_saveexec_b64 s[0:1], vcc
	s_cbranch_execz .LBB3498_28
.LBB3498_37:
	s_waitcnt lgkmcnt(2)
	global_store_dwordx2 v[2:3], v[8:9], off offset:2048
	s_or_b64 exec, exec, s[0:1]
	v_cmp_gt_u32_e32 vcc, s2, v11
	s_and_saveexec_b64 s[0:1], vcc
	s_cbranch_execnz .LBB3498_29
	s_branch .LBB3498_30
	.section	.rodata,"a",@progbits
	.p2align	6, 0x0
	.amdhsa_kernel _ZN7rocprim17ROCPRIM_400000_NS6detail17trampoline_kernelINS0_14default_configENS1_38merge_sort_block_merge_config_selectorIyNS0_10empty_typeEEEZZNS1_27merge_sort_block_merge_implIS3_N6thrust23THRUST_200600_302600_NS6detail15normal_iteratorINS9_10device_ptrIyEEEEPS5_m14custom_greaterIyEEE10hipError_tT0_T1_T2_jT3_P12ihipStream_tbPNSt15iterator_traitsISJ_E10value_typeEPNSP_ISK_E10value_typeEPSL_NS1_7vsmem_tEENKUlT_SJ_SK_SL_E_clISE_PySF_SF_EESI_SY_SJ_SK_SL_EUlSY_E0_NS1_11comp_targetILNS1_3genE4ELNS1_11target_archE910ELNS1_3gpuE8ELNS1_3repE0EEENS1_38merge_mergepath_config_static_selectorELNS0_4arch9wavefront6targetE1EEEvSK_
		.amdhsa_group_segment_fixed_size 8448
		.amdhsa_private_segment_fixed_size 0
		.amdhsa_kernarg_size 328
		.amdhsa_user_sgpr_count 6
		.amdhsa_user_sgpr_private_segment_buffer 1
		.amdhsa_user_sgpr_dispatch_ptr 0
		.amdhsa_user_sgpr_queue_ptr 0
		.amdhsa_user_sgpr_kernarg_segment_ptr 1
		.amdhsa_user_sgpr_dispatch_id 0
		.amdhsa_user_sgpr_flat_scratch_init 0
		.amdhsa_user_sgpr_kernarg_preload_length 0
		.amdhsa_user_sgpr_kernarg_preload_offset 0
		.amdhsa_user_sgpr_private_segment_size 0
		.amdhsa_uses_dynamic_stack 0
		.amdhsa_system_sgpr_private_segment_wavefront_offset 0
		.amdhsa_system_sgpr_workgroup_id_x 1
		.amdhsa_system_sgpr_workgroup_id_y 1
		.amdhsa_system_sgpr_workgroup_id_z 1
		.amdhsa_system_sgpr_workgroup_info 0
		.amdhsa_system_vgpr_workitem_id 0
		.amdhsa_next_free_vgpr 22
		.amdhsa_next_free_sgpr 31
		.amdhsa_accum_offset 24
		.amdhsa_reserve_vcc 1
		.amdhsa_reserve_flat_scratch 0
		.amdhsa_float_round_mode_32 0
		.amdhsa_float_round_mode_16_64 0
		.amdhsa_float_denorm_mode_32 3
		.amdhsa_float_denorm_mode_16_64 3
		.amdhsa_dx10_clamp 1
		.amdhsa_ieee_mode 1
		.amdhsa_fp16_overflow 0
		.amdhsa_tg_split 0
		.amdhsa_exception_fp_ieee_invalid_op 0
		.amdhsa_exception_fp_denorm_src 0
		.amdhsa_exception_fp_ieee_div_zero 0
		.amdhsa_exception_fp_ieee_overflow 0
		.amdhsa_exception_fp_ieee_underflow 0
		.amdhsa_exception_fp_ieee_inexact 0
		.amdhsa_exception_int_div_zero 0
	.end_amdhsa_kernel
	.section	.text._ZN7rocprim17ROCPRIM_400000_NS6detail17trampoline_kernelINS0_14default_configENS1_38merge_sort_block_merge_config_selectorIyNS0_10empty_typeEEEZZNS1_27merge_sort_block_merge_implIS3_N6thrust23THRUST_200600_302600_NS6detail15normal_iteratorINS9_10device_ptrIyEEEEPS5_m14custom_greaterIyEEE10hipError_tT0_T1_T2_jT3_P12ihipStream_tbPNSt15iterator_traitsISJ_E10value_typeEPNSP_ISK_E10value_typeEPSL_NS1_7vsmem_tEENKUlT_SJ_SK_SL_E_clISE_PySF_SF_EESI_SY_SJ_SK_SL_EUlSY_E0_NS1_11comp_targetILNS1_3genE4ELNS1_11target_archE910ELNS1_3gpuE8ELNS1_3repE0EEENS1_38merge_mergepath_config_static_selectorELNS0_4arch9wavefront6targetE1EEEvSK_,"axG",@progbits,_ZN7rocprim17ROCPRIM_400000_NS6detail17trampoline_kernelINS0_14default_configENS1_38merge_sort_block_merge_config_selectorIyNS0_10empty_typeEEEZZNS1_27merge_sort_block_merge_implIS3_N6thrust23THRUST_200600_302600_NS6detail15normal_iteratorINS9_10device_ptrIyEEEEPS5_m14custom_greaterIyEEE10hipError_tT0_T1_T2_jT3_P12ihipStream_tbPNSt15iterator_traitsISJ_E10value_typeEPNSP_ISK_E10value_typeEPSL_NS1_7vsmem_tEENKUlT_SJ_SK_SL_E_clISE_PySF_SF_EESI_SY_SJ_SK_SL_EUlSY_E0_NS1_11comp_targetILNS1_3genE4ELNS1_11target_archE910ELNS1_3gpuE8ELNS1_3repE0EEENS1_38merge_mergepath_config_static_selectorELNS0_4arch9wavefront6targetE1EEEvSK_,comdat
.Lfunc_end3498:
	.size	_ZN7rocprim17ROCPRIM_400000_NS6detail17trampoline_kernelINS0_14default_configENS1_38merge_sort_block_merge_config_selectorIyNS0_10empty_typeEEEZZNS1_27merge_sort_block_merge_implIS3_N6thrust23THRUST_200600_302600_NS6detail15normal_iteratorINS9_10device_ptrIyEEEEPS5_m14custom_greaterIyEEE10hipError_tT0_T1_T2_jT3_P12ihipStream_tbPNSt15iterator_traitsISJ_E10value_typeEPNSP_ISK_E10value_typeEPSL_NS1_7vsmem_tEENKUlT_SJ_SK_SL_E_clISE_PySF_SF_EESI_SY_SJ_SK_SL_EUlSY_E0_NS1_11comp_targetILNS1_3genE4ELNS1_11target_archE910ELNS1_3gpuE8ELNS1_3repE0EEENS1_38merge_mergepath_config_static_selectorELNS0_4arch9wavefront6targetE1EEEvSK_, .Lfunc_end3498-_ZN7rocprim17ROCPRIM_400000_NS6detail17trampoline_kernelINS0_14default_configENS1_38merge_sort_block_merge_config_selectorIyNS0_10empty_typeEEEZZNS1_27merge_sort_block_merge_implIS3_N6thrust23THRUST_200600_302600_NS6detail15normal_iteratorINS9_10device_ptrIyEEEEPS5_m14custom_greaterIyEEE10hipError_tT0_T1_T2_jT3_P12ihipStream_tbPNSt15iterator_traitsISJ_E10value_typeEPNSP_ISK_E10value_typeEPSL_NS1_7vsmem_tEENKUlT_SJ_SK_SL_E_clISE_PySF_SF_EESI_SY_SJ_SK_SL_EUlSY_E0_NS1_11comp_targetILNS1_3genE4ELNS1_11target_archE910ELNS1_3gpuE8ELNS1_3repE0EEENS1_38merge_mergepath_config_static_selectorELNS0_4arch9wavefront6targetE1EEEvSK_
                                        ; -- End function
	.section	.AMDGPU.csdata,"",@progbits
; Kernel info:
; codeLenInByte = 2200
; NumSgprs: 35
; NumVgprs: 22
; NumAgprs: 0
; TotalNumVgprs: 22
; ScratchSize: 0
; MemoryBound: 0
; FloatMode: 240
; IeeeMode: 1
; LDSByteSize: 8448 bytes/workgroup (compile time only)
; SGPRBlocks: 4
; VGPRBlocks: 2
; NumSGPRsForWavesPerEU: 35
; NumVGPRsForWavesPerEU: 22
; AccumOffset: 24
; Occupancy: 7
; WaveLimiterHint : 1
; COMPUTE_PGM_RSRC2:SCRATCH_EN: 0
; COMPUTE_PGM_RSRC2:USER_SGPR: 6
; COMPUTE_PGM_RSRC2:TRAP_HANDLER: 0
; COMPUTE_PGM_RSRC2:TGID_X_EN: 1
; COMPUTE_PGM_RSRC2:TGID_Y_EN: 1
; COMPUTE_PGM_RSRC2:TGID_Z_EN: 1
; COMPUTE_PGM_RSRC2:TIDIG_COMP_CNT: 0
; COMPUTE_PGM_RSRC3_GFX90A:ACCUM_OFFSET: 5
; COMPUTE_PGM_RSRC3_GFX90A:TG_SPLIT: 0
	.section	.text._ZN7rocprim17ROCPRIM_400000_NS6detail17trampoline_kernelINS0_14default_configENS1_38merge_sort_block_merge_config_selectorIyNS0_10empty_typeEEEZZNS1_27merge_sort_block_merge_implIS3_N6thrust23THRUST_200600_302600_NS6detail15normal_iteratorINS9_10device_ptrIyEEEEPS5_m14custom_greaterIyEEE10hipError_tT0_T1_T2_jT3_P12ihipStream_tbPNSt15iterator_traitsISJ_E10value_typeEPNSP_ISK_E10value_typeEPSL_NS1_7vsmem_tEENKUlT_SJ_SK_SL_E_clISE_PySF_SF_EESI_SY_SJ_SK_SL_EUlSY_E0_NS1_11comp_targetILNS1_3genE3ELNS1_11target_archE908ELNS1_3gpuE7ELNS1_3repE0EEENS1_38merge_mergepath_config_static_selectorELNS0_4arch9wavefront6targetE1EEEvSK_,"axG",@progbits,_ZN7rocprim17ROCPRIM_400000_NS6detail17trampoline_kernelINS0_14default_configENS1_38merge_sort_block_merge_config_selectorIyNS0_10empty_typeEEEZZNS1_27merge_sort_block_merge_implIS3_N6thrust23THRUST_200600_302600_NS6detail15normal_iteratorINS9_10device_ptrIyEEEEPS5_m14custom_greaterIyEEE10hipError_tT0_T1_T2_jT3_P12ihipStream_tbPNSt15iterator_traitsISJ_E10value_typeEPNSP_ISK_E10value_typeEPSL_NS1_7vsmem_tEENKUlT_SJ_SK_SL_E_clISE_PySF_SF_EESI_SY_SJ_SK_SL_EUlSY_E0_NS1_11comp_targetILNS1_3genE3ELNS1_11target_archE908ELNS1_3gpuE7ELNS1_3repE0EEENS1_38merge_mergepath_config_static_selectorELNS0_4arch9wavefront6targetE1EEEvSK_,comdat
	.protected	_ZN7rocprim17ROCPRIM_400000_NS6detail17trampoline_kernelINS0_14default_configENS1_38merge_sort_block_merge_config_selectorIyNS0_10empty_typeEEEZZNS1_27merge_sort_block_merge_implIS3_N6thrust23THRUST_200600_302600_NS6detail15normal_iteratorINS9_10device_ptrIyEEEEPS5_m14custom_greaterIyEEE10hipError_tT0_T1_T2_jT3_P12ihipStream_tbPNSt15iterator_traitsISJ_E10value_typeEPNSP_ISK_E10value_typeEPSL_NS1_7vsmem_tEENKUlT_SJ_SK_SL_E_clISE_PySF_SF_EESI_SY_SJ_SK_SL_EUlSY_E0_NS1_11comp_targetILNS1_3genE3ELNS1_11target_archE908ELNS1_3gpuE7ELNS1_3repE0EEENS1_38merge_mergepath_config_static_selectorELNS0_4arch9wavefront6targetE1EEEvSK_ ; -- Begin function _ZN7rocprim17ROCPRIM_400000_NS6detail17trampoline_kernelINS0_14default_configENS1_38merge_sort_block_merge_config_selectorIyNS0_10empty_typeEEEZZNS1_27merge_sort_block_merge_implIS3_N6thrust23THRUST_200600_302600_NS6detail15normal_iteratorINS9_10device_ptrIyEEEEPS5_m14custom_greaterIyEEE10hipError_tT0_T1_T2_jT3_P12ihipStream_tbPNSt15iterator_traitsISJ_E10value_typeEPNSP_ISK_E10value_typeEPSL_NS1_7vsmem_tEENKUlT_SJ_SK_SL_E_clISE_PySF_SF_EESI_SY_SJ_SK_SL_EUlSY_E0_NS1_11comp_targetILNS1_3genE3ELNS1_11target_archE908ELNS1_3gpuE7ELNS1_3repE0EEENS1_38merge_mergepath_config_static_selectorELNS0_4arch9wavefront6targetE1EEEvSK_
	.globl	_ZN7rocprim17ROCPRIM_400000_NS6detail17trampoline_kernelINS0_14default_configENS1_38merge_sort_block_merge_config_selectorIyNS0_10empty_typeEEEZZNS1_27merge_sort_block_merge_implIS3_N6thrust23THRUST_200600_302600_NS6detail15normal_iteratorINS9_10device_ptrIyEEEEPS5_m14custom_greaterIyEEE10hipError_tT0_T1_T2_jT3_P12ihipStream_tbPNSt15iterator_traitsISJ_E10value_typeEPNSP_ISK_E10value_typeEPSL_NS1_7vsmem_tEENKUlT_SJ_SK_SL_E_clISE_PySF_SF_EESI_SY_SJ_SK_SL_EUlSY_E0_NS1_11comp_targetILNS1_3genE3ELNS1_11target_archE908ELNS1_3gpuE7ELNS1_3repE0EEENS1_38merge_mergepath_config_static_selectorELNS0_4arch9wavefront6targetE1EEEvSK_
	.p2align	8
	.type	_ZN7rocprim17ROCPRIM_400000_NS6detail17trampoline_kernelINS0_14default_configENS1_38merge_sort_block_merge_config_selectorIyNS0_10empty_typeEEEZZNS1_27merge_sort_block_merge_implIS3_N6thrust23THRUST_200600_302600_NS6detail15normal_iteratorINS9_10device_ptrIyEEEEPS5_m14custom_greaterIyEEE10hipError_tT0_T1_T2_jT3_P12ihipStream_tbPNSt15iterator_traitsISJ_E10value_typeEPNSP_ISK_E10value_typeEPSL_NS1_7vsmem_tEENKUlT_SJ_SK_SL_E_clISE_PySF_SF_EESI_SY_SJ_SK_SL_EUlSY_E0_NS1_11comp_targetILNS1_3genE3ELNS1_11target_archE908ELNS1_3gpuE7ELNS1_3repE0EEENS1_38merge_mergepath_config_static_selectorELNS0_4arch9wavefront6targetE1EEEvSK_,@function
_ZN7rocprim17ROCPRIM_400000_NS6detail17trampoline_kernelINS0_14default_configENS1_38merge_sort_block_merge_config_selectorIyNS0_10empty_typeEEEZZNS1_27merge_sort_block_merge_implIS3_N6thrust23THRUST_200600_302600_NS6detail15normal_iteratorINS9_10device_ptrIyEEEEPS5_m14custom_greaterIyEEE10hipError_tT0_T1_T2_jT3_P12ihipStream_tbPNSt15iterator_traitsISJ_E10value_typeEPNSP_ISK_E10value_typeEPSL_NS1_7vsmem_tEENKUlT_SJ_SK_SL_E_clISE_PySF_SF_EESI_SY_SJ_SK_SL_EUlSY_E0_NS1_11comp_targetILNS1_3genE3ELNS1_11target_archE908ELNS1_3gpuE7ELNS1_3repE0EEENS1_38merge_mergepath_config_static_selectorELNS0_4arch9wavefront6targetE1EEEvSK_: ; @_ZN7rocprim17ROCPRIM_400000_NS6detail17trampoline_kernelINS0_14default_configENS1_38merge_sort_block_merge_config_selectorIyNS0_10empty_typeEEEZZNS1_27merge_sort_block_merge_implIS3_N6thrust23THRUST_200600_302600_NS6detail15normal_iteratorINS9_10device_ptrIyEEEEPS5_m14custom_greaterIyEEE10hipError_tT0_T1_T2_jT3_P12ihipStream_tbPNSt15iterator_traitsISJ_E10value_typeEPNSP_ISK_E10value_typeEPSL_NS1_7vsmem_tEENKUlT_SJ_SK_SL_E_clISE_PySF_SF_EESI_SY_SJ_SK_SL_EUlSY_E0_NS1_11comp_targetILNS1_3genE3ELNS1_11target_archE908ELNS1_3gpuE7ELNS1_3repE0EEENS1_38merge_mergepath_config_static_selectorELNS0_4arch9wavefront6targetE1EEEvSK_
; %bb.0:
	.section	.rodata,"a",@progbits
	.p2align	6, 0x0
	.amdhsa_kernel _ZN7rocprim17ROCPRIM_400000_NS6detail17trampoline_kernelINS0_14default_configENS1_38merge_sort_block_merge_config_selectorIyNS0_10empty_typeEEEZZNS1_27merge_sort_block_merge_implIS3_N6thrust23THRUST_200600_302600_NS6detail15normal_iteratorINS9_10device_ptrIyEEEEPS5_m14custom_greaterIyEEE10hipError_tT0_T1_T2_jT3_P12ihipStream_tbPNSt15iterator_traitsISJ_E10value_typeEPNSP_ISK_E10value_typeEPSL_NS1_7vsmem_tEENKUlT_SJ_SK_SL_E_clISE_PySF_SF_EESI_SY_SJ_SK_SL_EUlSY_E0_NS1_11comp_targetILNS1_3genE3ELNS1_11target_archE908ELNS1_3gpuE7ELNS1_3repE0EEENS1_38merge_mergepath_config_static_selectorELNS0_4arch9wavefront6targetE1EEEvSK_
		.amdhsa_group_segment_fixed_size 0
		.amdhsa_private_segment_fixed_size 0
		.amdhsa_kernarg_size 72
		.amdhsa_user_sgpr_count 6
		.amdhsa_user_sgpr_private_segment_buffer 1
		.amdhsa_user_sgpr_dispatch_ptr 0
		.amdhsa_user_sgpr_queue_ptr 0
		.amdhsa_user_sgpr_kernarg_segment_ptr 1
		.amdhsa_user_sgpr_dispatch_id 0
		.amdhsa_user_sgpr_flat_scratch_init 0
		.amdhsa_user_sgpr_kernarg_preload_length 0
		.amdhsa_user_sgpr_kernarg_preload_offset 0
		.amdhsa_user_sgpr_private_segment_size 0
		.amdhsa_uses_dynamic_stack 0
		.amdhsa_system_sgpr_private_segment_wavefront_offset 0
		.amdhsa_system_sgpr_workgroup_id_x 1
		.amdhsa_system_sgpr_workgroup_id_y 0
		.amdhsa_system_sgpr_workgroup_id_z 0
		.amdhsa_system_sgpr_workgroup_info 0
		.amdhsa_system_vgpr_workitem_id 0
		.amdhsa_next_free_vgpr 1
		.amdhsa_next_free_sgpr 0
		.amdhsa_accum_offset 4
		.amdhsa_reserve_vcc 0
		.amdhsa_reserve_flat_scratch 0
		.amdhsa_float_round_mode_32 0
		.amdhsa_float_round_mode_16_64 0
		.amdhsa_float_denorm_mode_32 3
		.amdhsa_float_denorm_mode_16_64 3
		.amdhsa_dx10_clamp 1
		.amdhsa_ieee_mode 1
		.amdhsa_fp16_overflow 0
		.amdhsa_tg_split 0
		.amdhsa_exception_fp_ieee_invalid_op 0
		.amdhsa_exception_fp_denorm_src 0
		.amdhsa_exception_fp_ieee_div_zero 0
		.amdhsa_exception_fp_ieee_overflow 0
		.amdhsa_exception_fp_ieee_underflow 0
		.amdhsa_exception_fp_ieee_inexact 0
		.amdhsa_exception_int_div_zero 0
	.end_amdhsa_kernel
	.section	.text._ZN7rocprim17ROCPRIM_400000_NS6detail17trampoline_kernelINS0_14default_configENS1_38merge_sort_block_merge_config_selectorIyNS0_10empty_typeEEEZZNS1_27merge_sort_block_merge_implIS3_N6thrust23THRUST_200600_302600_NS6detail15normal_iteratorINS9_10device_ptrIyEEEEPS5_m14custom_greaterIyEEE10hipError_tT0_T1_T2_jT3_P12ihipStream_tbPNSt15iterator_traitsISJ_E10value_typeEPNSP_ISK_E10value_typeEPSL_NS1_7vsmem_tEENKUlT_SJ_SK_SL_E_clISE_PySF_SF_EESI_SY_SJ_SK_SL_EUlSY_E0_NS1_11comp_targetILNS1_3genE3ELNS1_11target_archE908ELNS1_3gpuE7ELNS1_3repE0EEENS1_38merge_mergepath_config_static_selectorELNS0_4arch9wavefront6targetE1EEEvSK_,"axG",@progbits,_ZN7rocprim17ROCPRIM_400000_NS6detail17trampoline_kernelINS0_14default_configENS1_38merge_sort_block_merge_config_selectorIyNS0_10empty_typeEEEZZNS1_27merge_sort_block_merge_implIS3_N6thrust23THRUST_200600_302600_NS6detail15normal_iteratorINS9_10device_ptrIyEEEEPS5_m14custom_greaterIyEEE10hipError_tT0_T1_T2_jT3_P12ihipStream_tbPNSt15iterator_traitsISJ_E10value_typeEPNSP_ISK_E10value_typeEPSL_NS1_7vsmem_tEENKUlT_SJ_SK_SL_E_clISE_PySF_SF_EESI_SY_SJ_SK_SL_EUlSY_E0_NS1_11comp_targetILNS1_3genE3ELNS1_11target_archE908ELNS1_3gpuE7ELNS1_3repE0EEENS1_38merge_mergepath_config_static_selectorELNS0_4arch9wavefront6targetE1EEEvSK_,comdat
.Lfunc_end3499:
	.size	_ZN7rocprim17ROCPRIM_400000_NS6detail17trampoline_kernelINS0_14default_configENS1_38merge_sort_block_merge_config_selectorIyNS0_10empty_typeEEEZZNS1_27merge_sort_block_merge_implIS3_N6thrust23THRUST_200600_302600_NS6detail15normal_iteratorINS9_10device_ptrIyEEEEPS5_m14custom_greaterIyEEE10hipError_tT0_T1_T2_jT3_P12ihipStream_tbPNSt15iterator_traitsISJ_E10value_typeEPNSP_ISK_E10value_typeEPSL_NS1_7vsmem_tEENKUlT_SJ_SK_SL_E_clISE_PySF_SF_EESI_SY_SJ_SK_SL_EUlSY_E0_NS1_11comp_targetILNS1_3genE3ELNS1_11target_archE908ELNS1_3gpuE7ELNS1_3repE0EEENS1_38merge_mergepath_config_static_selectorELNS0_4arch9wavefront6targetE1EEEvSK_, .Lfunc_end3499-_ZN7rocprim17ROCPRIM_400000_NS6detail17trampoline_kernelINS0_14default_configENS1_38merge_sort_block_merge_config_selectorIyNS0_10empty_typeEEEZZNS1_27merge_sort_block_merge_implIS3_N6thrust23THRUST_200600_302600_NS6detail15normal_iteratorINS9_10device_ptrIyEEEEPS5_m14custom_greaterIyEEE10hipError_tT0_T1_T2_jT3_P12ihipStream_tbPNSt15iterator_traitsISJ_E10value_typeEPNSP_ISK_E10value_typeEPSL_NS1_7vsmem_tEENKUlT_SJ_SK_SL_E_clISE_PySF_SF_EESI_SY_SJ_SK_SL_EUlSY_E0_NS1_11comp_targetILNS1_3genE3ELNS1_11target_archE908ELNS1_3gpuE7ELNS1_3repE0EEENS1_38merge_mergepath_config_static_selectorELNS0_4arch9wavefront6targetE1EEEvSK_
                                        ; -- End function
	.section	.AMDGPU.csdata,"",@progbits
; Kernel info:
; codeLenInByte = 0
; NumSgprs: 4
; NumVgprs: 0
; NumAgprs: 0
; TotalNumVgprs: 0
; ScratchSize: 0
; MemoryBound: 0
; FloatMode: 240
; IeeeMode: 1
; LDSByteSize: 0 bytes/workgroup (compile time only)
; SGPRBlocks: 0
; VGPRBlocks: 0
; NumSGPRsForWavesPerEU: 4
; NumVGPRsForWavesPerEU: 1
; AccumOffset: 4
; Occupancy: 8
; WaveLimiterHint : 0
; COMPUTE_PGM_RSRC2:SCRATCH_EN: 0
; COMPUTE_PGM_RSRC2:USER_SGPR: 6
; COMPUTE_PGM_RSRC2:TRAP_HANDLER: 0
; COMPUTE_PGM_RSRC2:TGID_X_EN: 1
; COMPUTE_PGM_RSRC2:TGID_Y_EN: 0
; COMPUTE_PGM_RSRC2:TGID_Z_EN: 0
; COMPUTE_PGM_RSRC2:TIDIG_COMP_CNT: 0
; COMPUTE_PGM_RSRC3_GFX90A:ACCUM_OFFSET: 0
; COMPUTE_PGM_RSRC3_GFX90A:TG_SPLIT: 0
	.section	.text._ZN7rocprim17ROCPRIM_400000_NS6detail17trampoline_kernelINS0_14default_configENS1_38merge_sort_block_merge_config_selectorIyNS0_10empty_typeEEEZZNS1_27merge_sort_block_merge_implIS3_N6thrust23THRUST_200600_302600_NS6detail15normal_iteratorINS9_10device_ptrIyEEEEPS5_m14custom_greaterIyEEE10hipError_tT0_T1_T2_jT3_P12ihipStream_tbPNSt15iterator_traitsISJ_E10value_typeEPNSP_ISK_E10value_typeEPSL_NS1_7vsmem_tEENKUlT_SJ_SK_SL_E_clISE_PySF_SF_EESI_SY_SJ_SK_SL_EUlSY_E0_NS1_11comp_targetILNS1_3genE2ELNS1_11target_archE906ELNS1_3gpuE6ELNS1_3repE0EEENS1_38merge_mergepath_config_static_selectorELNS0_4arch9wavefront6targetE1EEEvSK_,"axG",@progbits,_ZN7rocprim17ROCPRIM_400000_NS6detail17trampoline_kernelINS0_14default_configENS1_38merge_sort_block_merge_config_selectorIyNS0_10empty_typeEEEZZNS1_27merge_sort_block_merge_implIS3_N6thrust23THRUST_200600_302600_NS6detail15normal_iteratorINS9_10device_ptrIyEEEEPS5_m14custom_greaterIyEEE10hipError_tT0_T1_T2_jT3_P12ihipStream_tbPNSt15iterator_traitsISJ_E10value_typeEPNSP_ISK_E10value_typeEPSL_NS1_7vsmem_tEENKUlT_SJ_SK_SL_E_clISE_PySF_SF_EESI_SY_SJ_SK_SL_EUlSY_E0_NS1_11comp_targetILNS1_3genE2ELNS1_11target_archE906ELNS1_3gpuE6ELNS1_3repE0EEENS1_38merge_mergepath_config_static_selectorELNS0_4arch9wavefront6targetE1EEEvSK_,comdat
	.protected	_ZN7rocprim17ROCPRIM_400000_NS6detail17trampoline_kernelINS0_14default_configENS1_38merge_sort_block_merge_config_selectorIyNS0_10empty_typeEEEZZNS1_27merge_sort_block_merge_implIS3_N6thrust23THRUST_200600_302600_NS6detail15normal_iteratorINS9_10device_ptrIyEEEEPS5_m14custom_greaterIyEEE10hipError_tT0_T1_T2_jT3_P12ihipStream_tbPNSt15iterator_traitsISJ_E10value_typeEPNSP_ISK_E10value_typeEPSL_NS1_7vsmem_tEENKUlT_SJ_SK_SL_E_clISE_PySF_SF_EESI_SY_SJ_SK_SL_EUlSY_E0_NS1_11comp_targetILNS1_3genE2ELNS1_11target_archE906ELNS1_3gpuE6ELNS1_3repE0EEENS1_38merge_mergepath_config_static_selectorELNS0_4arch9wavefront6targetE1EEEvSK_ ; -- Begin function _ZN7rocprim17ROCPRIM_400000_NS6detail17trampoline_kernelINS0_14default_configENS1_38merge_sort_block_merge_config_selectorIyNS0_10empty_typeEEEZZNS1_27merge_sort_block_merge_implIS3_N6thrust23THRUST_200600_302600_NS6detail15normal_iteratorINS9_10device_ptrIyEEEEPS5_m14custom_greaterIyEEE10hipError_tT0_T1_T2_jT3_P12ihipStream_tbPNSt15iterator_traitsISJ_E10value_typeEPNSP_ISK_E10value_typeEPSL_NS1_7vsmem_tEENKUlT_SJ_SK_SL_E_clISE_PySF_SF_EESI_SY_SJ_SK_SL_EUlSY_E0_NS1_11comp_targetILNS1_3genE2ELNS1_11target_archE906ELNS1_3gpuE6ELNS1_3repE0EEENS1_38merge_mergepath_config_static_selectorELNS0_4arch9wavefront6targetE1EEEvSK_
	.globl	_ZN7rocprim17ROCPRIM_400000_NS6detail17trampoline_kernelINS0_14default_configENS1_38merge_sort_block_merge_config_selectorIyNS0_10empty_typeEEEZZNS1_27merge_sort_block_merge_implIS3_N6thrust23THRUST_200600_302600_NS6detail15normal_iteratorINS9_10device_ptrIyEEEEPS5_m14custom_greaterIyEEE10hipError_tT0_T1_T2_jT3_P12ihipStream_tbPNSt15iterator_traitsISJ_E10value_typeEPNSP_ISK_E10value_typeEPSL_NS1_7vsmem_tEENKUlT_SJ_SK_SL_E_clISE_PySF_SF_EESI_SY_SJ_SK_SL_EUlSY_E0_NS1_11comp_targetILNS1_3genE2ELNS1_11target_archE906ELNS1_3gpuE6ELNS1_3repE0EEENS1_38merge_mergepath_config_static_selectorELNS0_4arch9wavefront6targetE1EEEvSK_
	.p2align	8
	.type	_ZN7rocprim17ROCPRIM_400000_NS6detail17trampoline_kernelINS0_14default_configENS1_38merge_sort_block_merge_config_selectorIyNS0_10empty_typeEEEZZNS1_27merge_sort_block_merge_implIS3_N6thrust23THRUST_200600_302600_NS6detail15normal_iteratorINS9_10device_ptrIyEEEEPS5_m14custom_greaterIyEEE10hipError_tT0_T1_T2_jT3_P12ihipStream_tbPNSt15iterator_traitsISJ_E10value_typeEPNSP_ISK_E10value_typeEPSL_NS1_7vsmem_tEENKUlT_SJ_SK_SL_E_clISE_PySF_SF_EESI_SY_SJ_SK_SL_EUlSY_E0_NS1_11comp_targetILNS1_3genE2ELNS1_11target_archE906ELNS1_3gpuE6ELNS1_3repE0EEENS1_38merge_mergepath_config_static_selectorELNS0_4arch9wavefront6targetE1EEEvSK_,@function
_ZN7rocprim17ROCPRIM_400000_NS6detail17trampoline_kernelINS0_14default_configENS1_38merge_sort_block_merge_config_selectorIyNS0_10empty_typeEEEZZNS1_27merge_sort_block_merge_implIS3_N6thrust23THRUST_200600_302600_NS6detail15normal_iteratorINS9_10device_ptrIyEEEEPS5_m14custom_greaterIyEEE10hipError_tT0_T1_T2_jT3_P12ihipStream_tbPNSt15iterator_traitsISJ_E10value_typeEPNSP_ISK_E10value_typeEPSL_NS1_7vsmem_tEENKUlT_SJ_SK_SL_E_clISE_PySF_SF_EESI_SY_SJ_SK_SL_EUlSY_E0_NS1_11comp_targetILNS1_3genE2ELNS1_11target_archE906ELNS1_3gpuE6ELNS1_3repE0EEENS1_38merge_mergepath_config_static_selectorELNS0_4arch9wavefront6targetE1EEEvSK_: ; @_ZN7rocprim17ROCPRIM_400000_NS6detail17trampoline_kernelINS0_14default_configENS1_38merge_sort_block_merge_config_selectorIyNS0_10empty_typeEEEZZNS1_27merge_sort_block_merge_implIS3_N6thrust23THRUST_200600_302600_NS6detail15normal_iteratorINS9_10device_ptrIyEEEEPS5_m14custom_greaterIyEEE10hipError_tT0_T1_T2_jT3_P12ihipStream_tbPNSt15iterator_traitsISJ_E10value_typeEPNSP_ISK_E10value_typeEPSL_NS1_7vsmem_tEENKUlT_SJ_SK_SL_E_clISE_PySF_SF_EESI_SY_SJ_SK_SL_EUlSY_E0_NS1_11comp_targetILNS1_3genE2ELNS1_11target_archE906ELNS1_3gpuE6ELNS1_3repE0EEENS1_38merge_mergepath_config_static_selectorELNS0_4arch9wavefront6targetE1EEEvSK_
; %bb.0:
	.section	.rodata,"a",@progbits
	.p2align	6, 0x0
	.amdhsa_kernel _ZN7rocprim17ROCPRIM_400000_NS6detail17trampoline_kernelINS0_14default_configENS1_38merge_sort_block_merge_config_selectorIyNS0_10empty_typeEEEZZNS1_27merge_sort_block_merge_implIS3_N6thrust23THRUST_200600_302600_NS6detail15normal_iteratorINS9_10device_ptrIyEEEEPS5_m14custom_greaterIyEEE10hipError_tT0_T1_T2_jT3_P12ihipStream_tbPNSt15iterator_traitsISJ_E10value_typeEPNSP_ISK_E10value_typeEPSL_NS1_7vsmem_tEENKUlT_SJ_SK_SL_E_clISE_PySF_SF_EESI_SY_SJ_SK_SL_EUlSY_E0_NS1_11comp_targetILNS1_3genE2ELNS1_11target_archE906ELNS1_3gpuE6ELNS1_3repE0EEENS1_38merge_mergepath_config_static_selectorELNS0_4arch9wavefront6targetE1EEEvSK_
		.amdhsa_group_segment_fixed_size 0
		.amdhsa_private_segment_fixed_size 0
		.amdhsa_kernarg_size 72
		.amdhsa_user_sgpr_count 6
		.amdhsa_user_sgpr_private_segment_buffer 1
		.amdhsa_user_sgpr_dispatch_ptr 0
		.amdhsa_user_sgpr_queue_ptr 0
		.amdhsa_user_sgpr_kernarg_segment_ptr 1
		.amdhsa_user_sgpr_dispatch_id 0
		.amdhsa_user_sgpr_flat_scratch_init 0
		.amdhsa_user_sgpr_kernarg_preload_length 0
		.amdhsa_user_sgpr_kernarg_preload_offset 0
		.amdhsa_user_sgpr_private_segment_size 0
		.amdhsa_uses_dynamic_stack 0
		.amdhsa_system_sgpr_private_segment_wavefront_offset 0
		.amdhsa_system_sgpr_workgroup_id_x 1
		.amdhsa_system_sgpr_workgroup_id_y 0
		.amdhsa_system_sgpr_workgroup_id_z 0
		.amdhsa_system_sgpr_workgroup_info 0
		.amdhsa_system_vgpr_workitem_id 0
		.amdhsa_next_free_vgpr 1
		.amdhsa_next_free_sgpr 0
		.amdhsa_accum_offset 4
		.amdhsa_reserve_vcc 0
		.amdhsa_reserve_flat_scratch 0
		.amdhsa_float_round_mode_32 0
		.amdhsa_float_round_mode_16_64 0
		.amdhsa_float_denorm_mode_32 3
		.amdhsa_float_denorm_mode_16_64 3
		.amdhsa_dx10_clamp 1
		.amdhsa_ieee_mode 1
		.amdhsa_fp16_overflow 0
		.amdhsa_tg_split 0
		.amdhsa_exception_fp_ieee_invalid_op 0
		.amdhsa_exception_fp_denorm_src 0
		.amdhsa_exception_fp_ieee_div_zero 0
		.amdhsa_exception_fp_ieee_overflow 0
		.amdhsa_exception_fp_ieee_underflow 0
		.amdhsa_exception_fp_ieee_inexact 0
		.amdhsa_exception_int_div_zero 0
	.end_amdhsa_kernel
	.section	.text._ZN7rocprim17ROCPRIM_400000_NS6detail17trampoline_kernelINS0_14default_configENS1_38merge_sort_block_merge_config_selectorIyNS0_10empty_typeEEEZZNS1_27merge_sort_block_merge_implIS3_N6thrust23THRUST_200600_302600_NS6detail15normal_iteratorINS9_10device_ptrIyEEEEPS5_m14custom_greaterIyEEE10hipError_tT0_T1_T2_jT3_P12ihipStream_tbPNSt15iterator_traitsISJ_E10value_typeEPNSP_ISK_E10value_typeEPSL_NS1_7vsmem_tEENKUlT_SJ_SK_SL_E_clISE_PySF_SF_EESI_SY_SJ_SK_SL_EUlSY_E0_NS1_11comp_targetILNS1_3genE2ELNS1_11target_archE906ELNS1_3gpuE6ELNS1_3repE0EEENS1_38merge_mergepath_config_static_selectorELNS0_4arch9wavefront6targetE1EEEvSK_,"axG",@progbits,_ZN7rocprim17ROCPRIM_400000_NS6detail17trampoline_kernelINS0_14default_configENS1_38merge_sort_block_merge_config_selectorIyNS0_10empty_typeEEEZZNS1_27merge_sort_block_merge_implIS3_N6thrust23THRUST_200600_302600_NS6detail15normal_iteratorINS9_10device_ptrIyEEEEPS5_m14custom_greaterIyEEE10hipError_tT0_T1_T2_jT3_P12ihipStream_tbPNSt15iterator_traitsISJ_E10value_typeEPNSP_ISK_E10value_typeEPSL_NS1_7vsmem_tEENKUlT_SJ_SK_SL_E_clISE_PySF_SF_EESI_SY_SJ_SK_SL_EUlSY_E0_NS1_11comp_targetILNS1_3genE2ELNS1_11target_archE906ELNS1_3gpuE6ELNS1_3repE0EEENS1_38merge_mergepath_config_static_selectorELNS0_4arch9wavefront6targetE1EEEvSK_,comdat
.Lfunc_end3500:
	.size	_ZN7rocprim17ROCPRIM_400000_NS6detail17trampoline_kernelINS0_14default_configENS1_38merge_sort_block_merge_config_selectorIyNS0_10empty_typeEEEZZNS1_27merge_sort_block_merge_implIS3_N6thrust23THRUST_200600_302600_NS6detail15normal_iteratorINS9_10device_ptrIyEEEEPS5_m14custom_greaterIyEEE10hipError_tT0_T1_T2_jT3_P12ihipStream_tbPNSt15iterator_traitsISJ_E10value_typeEPNSP_ISK_E10value_typeEPSL_NS1_7vsmem_tEENKUlT_SJ_SK_SL_E_clISE_PySF_SF_EESI_SY_SJ_SK_SL_EUlSY_E0_NS1_11comp_targetILNS1_3genE2ELNS1_11target_archE906ELNS1_3gpuE6ELNS1_3repE0EEENS1_38merge_mergepath_config_static_selectorELNS0_4arch9wavefront6targetE1EEEvSK_, .Lfunc_end3500-_ZN7rocprim17ROCPRIM_400000_NS6detail17trampoline_kernelINS0_14default_configENS1_38merge_sort_block_merge_config_selectorIyNS0_10empty_typeEEEZZNS1_27merge_sort_block_merge_implIS3_N6thrust23THRUST_200600_302600_NS6detail15normal_iteratorINS9_10device_ptrIyEEEEPS5_m14custom_greaterIyEEE10hipError_tT0_T1_T2_jT3_P12ihipStream_tbPNSt15iterator_traitsISJ_E10value_typeEPNSP_ISK_E10value_typeEPSL_NS1_7vsmem_tEENKUlT_SJ_SK_SL_E_clISE_PySF_SF_EESI_SY_SJ_SK_SL_EUlSY_E0_NS1_11comp_targetILNS1_3genE2ELNS1_11target_archE906ELNS1_3gpuE6ELNS1_3repE0EEENS1_38merge_mergepath_config_static_selectorELNS0_4arch9wavefront6targetE1EEEvSK_
                                        ; -- End function
	.section	.AMDGPU.csdata,"",@progbits
; Kernel info:
; codeLenInByte = 0
; NumSgprs: 4
; NumVgprs: 0
; NumAgprs: 0
; TotalNumVgprs: 0
; ScratchSize: 0
; MemoryBound: 0
; FloatMode: 240
; IeeeMode: 1
; LDSByteSize: 0 bytes/workgroup (compile time only)
; SGPRBlocks: 0
; VGPRBlocks: 0
; NumSGPRsForWavesPerEU: 4
; NumVGPRsForWavesPerEU: 1
; AccumOffset: 4
; Occupancy: 8
; WaveLimiterHint : 0
; COMPUTE_PGM_RSRC2:SCRATCH_EN: 0
; COMPUTE_PGM_RSRC2:USER_SGPR: 6
; COMPUTE_PGM_RSRC2:TRAP_HANDLER: 0
; COMPUTE_PGM_RSRC2:TGID_X_EN: 1
; COMPUTE_PGM_RSRC2:TGID_Y_EN: 0
; COMPUTE_PGM_RSRC2:TGID_Z_EN: 0
; COMPUTE_PGM_RSRC2:TIDIG_COMP_CNT: 0
; COMPUTE_PGM_RSRC3_GFX90A:ACCUM_OFFSET: 0
; COMPUTE_PGM_RSRC3_GFX90A:TG_SPLIT: 0
	.section	.text._ZN7rocprim17ROCPRIM_400000_NS6detail17trampoline_kernelINS0_14default_configENS1_38merge_sort_block_merge_config_selectorIyNS0_10empty_typeEEEZZNS1_27merge_sort_block_merge_implIS3_N6thrust23THRUST_200600_302600_NS6detail15normal_iteratorINS9_10device_ptrIyEEEEPS5_m14custom_greaterIyEEE10hipError_tT0_T1_T2_jT3_P12ihipStream_tbPNSt15iterator_traitsISJ_E10value_typeEPNSP_ISK_E10value_typeEPSL_NS1_7vsmem_tEENKUlT_SJ_SK_SL_E_clISE_PySF_SF_EESI_SY_SJ_SK_SL_EUlSY_E0_NS1_11comp_targetILNS1_3genE9ELNS1_11target_archE1100ELNS1_3gpuE3ELNS1_3repE0EEENS1_38merge_mergepath_config_static_selectorELNS0_4arch9wavefront6targetE1EEEvSK_,"axG",@progbits,_ZN7rocprim17ROCPRIM_400000_NS6detail17trampoline_kernelINS0_14default_configENS1_38merge_sort_block_merge_config_selectorIyNS0_10empty_typeEEEZZNS1_27merge_sort_block_merge_implIS3_N6thrust23THRUST_200600_302600_NS6detail15normal_iteratorINS9_10device_ptrIyEEEEPS5_m14custom_greaterIyEEE10hipError_tT0_T1_T2_jT3_P12ihipStream_tbPNSt15iterator_traitsISJ_E10value_typeEPNSP_ISK_E10value_typeEPSL_NS1_7vsmem_tEENKUlT_SJ_SK_SL_E_clISE_PySF_SF_EESI_SY_SJ_SK_SL_EUlSY_E0_NS1_11comp_targetILNS1_3genE9ELNS1_11target_archE1100ELNS1_3gpuE3ELNS1_3repE0EEENS1_38merge_mergepath_config_static_selectorELNS0_4arch9wavefront6targetE1EEEvSK_,comdat
	.protected	_ZN7rocprim17ROCPRIM_400000_NS6detail17trampoline_kernelINS0_14default_configENS1_38merge_sort_block_merge_config_selectorIyNS0_10empty_typeEEEZZNS1_27merge_sort_block_merge_implIS3_N6thrust23THRUST_200600_302600_NS6detail15normal_iteratorINS9_10device_ptrIyEEEEPS5_m14custom_greaterIyEEE10hipError_tT0_T1_T2_jT3_P12ihipStream_tbPNSt15iterator_traitsISJ_E10value_typeEPNSP_ISK_E10value_typeEPSL_NS1_7vsmem_tEENKUlT_SJ_SK_SL_E_clISE_PySF_SF_EESI_SY_SJ_SK_SL_EUlSY_E0_NS1_11comp_targetILNS1_3genE9ELNS1_11target_archE1100ELNS1_3gpuE3ELNS1_3repE0EEENS1_38merge_mergepath_config_static_selectorELNS0_4arch9wavefront6targetE1EEEvSK_ ; -- Begin function _ZN7rocprim17ROCPRIM_400000_NS6detail17trampoline_kernelINS0_14default_configENS1_38merge_sort_block_merge_config_selectorIyNS0_10empty_typeEEEZZNS1_27merge_sort_block_merge_implIS3_N6thrust23THRUST_200600_302600_NS6detail15normal_iteratorINS9_10device_ptrIyEEEEPS5_m14custom_greaterIyEEE10hipError_tT0_T1_T2_jT3_P12ihipStream_tbPNSt15iterator_traitsISJ_E10value_typeEPNSP_ISK_E10value_typeEPSL_NS1_7vsmem_tEENKUlT_SJ_SK_SL_E_clISE_PySF_SF_EESI_SY_SJ_SK_SL_EUlSY_E0_NS1_11comp_targetILNS1_3genE9ELNS1_11target_archE1100ELNS1_3gpuE3ELNS1_3repE0EEENS1_38merge_mergepath_config_static_selectorELNS0_4arch9wavefront6targetE1EEEvSK_
	.globl	_ZN7rocprim17ROCPRIM_400000_NS6detail17trampoline_kernelINS0_14default_configENS1_38merge_sort_block_merge_config_selectorIyNS0_10empty_typeEEEZZNS1_27merge_sort_block_merge_implIS3_N6thrust23THRUST_200600_302600_NS6detail15normal_iteratorINS9_10device_ptrIyEEEEPS5_m14custom_greaterIyEEE10hipError_tT0_T1_T2_jT3_P12ihipStream_tbPNSt15iterator_traitsISJ_E10value_typeEPNSP_ISK_E10value_typeEPSL_NS1_7vsmem_tEENKUlT_SJ_SK_SL_E_clISE_PySF_SF_EESI_SY_SJ_SK_SL_EUlSY_E0_NS1_11comp_targetILNS1_3genE9ELNS1_11target_archE1100ELNS1_3gpuE3ELNS1_3repE0EEENS1_38merge_mergepath_config_static_selectorELNS0_4arch9wavefront6targetE1EEEvSK_
	.p2align	8
	.type	_ZN7rocprim17ROCPRIM_400000_NS6detail17trampoline_kernelINS0_14default_configENS1_38merge_sort_block_merge_config_selectorIyNS0_10empty_typeEEEZZNS1_27merge_sort_block_merge_implIS3_N6thrust23THRUST_200600_302600_NS6detail15normal_iteratorINS9_10device_ptrIyEEEEPS5_m14custom_greaterIyEEE10hipError_tT0_T1_T2_jT3_P12ihipStream_tbPNSt15iterator_traitsISJ_E10value_typeEPNSP_ISK_E10value_typeEPSL_NS1_7vsmem_tEENKUlT_SJ_SK_SL_E_clISE_PySF_SF_EESI_SY_SJ_SK_SL_EUlSY_E0_NS1_11comp_targetILNS1_3genE9ELNS1_11target_archE1100ELNS1_3gpuE3ELNS1_3repE0EEENS1_38merge_mergepath_config_static_selectorELNS0_4arch9wavefront6targetE1EEEvSK_,@function
_ZN7rocprim17ROCPRIM_400000_NS6detail17trampoline_kernelINS0_14default_configENS1_38merge_sort_block_merge_config_selectorIyNS0_10empty_typeEEEZZNS1_27merge_sort_block_merge_implIS3_N6thrust23THRUST_200600_302600_NS6detail15normal_iteratorINS9_10device_ptrIyEEEEPS5_m14custom_greaterIyEEE10hipError_tT0_T1_T2_jT3_P12ihipStream_tbPNSt15iterator_traitsISJ_E10value_typeEPNSP_ISK_E10value_typeEPSL_NS1_7vsmem_tEENKUlT_SJ_SK_SL_E_clISE_PySF_SF_EESI_SY_SJ_SK_SL_EUlSY_E0_NS1_11comp_targetILNS1_3genE9ELNS1_11target_archE1100ELNS1_3gpuE3ELNS1_3repE0EEENS1_38merge_mergepath_config_static_selectorELNS0_4arch9wavefront6targetE1EEEvSK_: ; @_ZN7rocprim17ROCPRIM_400000_NS6detail17trampoline_kernelINS0_14default_configENS1_38merge_sort_block_merge_config_selectorIyNS0_10empty_typeEEEZZNS1_27merge_sort_block_merge_implIS3_N6thrust23THRUST_200600_302600_NS6detail15normal_iteratorINS9_10device_ptrIyEEEEPS5_m14custom_greaterIyEEE10hipError_tT0_T1_T2_jT3_P12ihipStream_tbPNSt15iterator_traitsISJ_E10value_typeEPNSP_ISK_E10value_typeEPSL_NS1_7vsmem_tEENKUlT_SJ_SK_SL_E_clISE_PySF_SF_EESI_SY_SJ_SK_SL_EUlSY_E0_NS1_11comp_targetILNS1_3genE9ELNS1_11target_archE1100ELNS1_3gpuE3ELNS1_3repE0EEENS1_38merge_mergepath_config_static_selectorELNS0_4arch9wavefront6targetE1EEEvSK_
; %bb.0:
	.section	.rodata,"a",@progbits
	.p2align	6, 0x0
	.amdhsa_kernel _ZN7rocprim17ROCPRIM_400000_NS6detail17trampoline_kernelINS0_14default_configENS1_38merge_sort_block_merge_config_selectorIyNS0_10empty_typeEEEZZNS1_27merge_sort_block_merge_implIS3_N6thrust23THRUST_200600_302600_NS6detail15normal_iteratorINS9_10device_ptrIyEEEEPS5_m14custom_greaterIyEEE10hipError_tT0_T1_T2_jT3_P12ihipStream_tbPNSt15iterator_traitsISJ_E10value_typeEPNSP_ISK_E10value_typeEPSL_NS1_7vsmem_tEENKUlT_SJ_SK_SL_E_clISE_PySF_SF_EESI_SY_SJ_SK_SL_EUlSY_E0_NS1_11comp_targetILNS1_3genE9ELNS1_11target_archE1100ELNS1_3gpuE3ELNS1_3repE0EEENS1_38merge_mergepath_config_static_selectorELNS0_4arch9wavefront6targetE1EEEvSK_
		.amdhsa_group_segment_fixed_size 0
		.amdhsa_private_segment_fixed_size 0
		.amdhsa_kernarg_size 72
		.amdhsa_user_sgpr_count 6
		.amdhsa_user_sgpr_private_segment_buffer 1
		.amdhsa_user_sgpr_dispatch_ptr 0
		.amdhsa_user_sgpr_queue_ptr 0
		.amdhsa_user_sgpr_kernarg_segment_ptr 1
		.amdhsa_user_sgpr_dispatch_id 0
		.amdhsa_user_sgpr_flat_scratch_init 0
		.amdhsa_user_sgpr_kernarg_preload_length 0
		.amdhsa_user_sgpr_kernarg_preload_offset 0
		.amdhsa_user_sgpr_private_segment_size 0
		.amdhsa_uses_dynamic_stack 0
		.amdhsa_system_sgpr_private_segment_wavefront_offset 0
		.amdhsa_system_sgpr_workgroup_id_x 1
		.amdhsa_system_sgpr_workgroup_id_y 0
		.amdhsa_system_sgpr_workgroup_id_z 0
		.amdhsa_system_sgpr_workgroup_info 0
		.amdhsa_system_vgpr_workitem_id 0
		.amdhsa_next_free_vgpr 1
		.amdhsa_next_free_sgpr 0
		.amdhsa_accum_offset 4
		.amdhsa_reserve_vcc 0
		.amdhsa_reserve_flat_scratch 0
		.amdhsa_float_round_mode_32 0
		.amdhsa_float_round_mode_16_64 0
		.amdhsa_float_denorm_mode_32 3
		.amdhsa_float_denorm_mode_16_64 3
		.amdhsa_dx10_clamp 1
		.amdhsa_ieee_mode 1
		.amdhsa_fp16_overflow 0
		.amdhsa_tg_split 0
		.amdhsa_exception_fp_ieee_invalid_op 0
		.amdhsa_exception_fp_denorm_src 0
		.amdhsa_exception_fp_ieee_div_zero 0
		.amdhsa_exception_fp_ieee_overflow 0
		.amdhsa_exception_fp_ieee_underflow 0
		.amdhsa_exception_fp_ieee_inexact 0
		.amdhsa_exception_int_div_zero 0
	.end_amdhsa_kernel
	.section	.text._ZN7rocprim17ROCPRIM_400000_NS6detail17trampoline_kernelINS0_14default_configENS1_38merge_sort_block_merge_config_selectorIyNS0_10empty_typeEEEZZNS1_27merge_sort_block_merge_implIS3_N6thrust23THRUST_200600_302600_NS6detail15normal_iteratorINS9_10device_ptrIyEEEEPS5_m14custom_greaterIyEEE10hipError_tT0_T1_T2_jT3_P12ihipStream_tbPNSt15iterator_traitsISJ_E10value_typeEPNSP_ISK_E10value_typeEPSL_NS1_7vsmem_tEENKUlT_SJ_SK_SL_E_clISE_PySF_SF_EESI_SY_SJ_SK_SL_EUlSY_E0_NS1_11comp_targetILNS1_3genE9ELNS1_11target_archE1100ELNS1_3gpuE3ELNS1_3repE0EEENS1_38merge_mergepath_config_static_selectorELNS0_4arch9wavefront6targetE1EEEvSK_,"axG",@progbits,_ZN7rocprim17ROCPRIM_400000_NS6detail17trampoline_kernelINS0_14default_configENS1_38merge_sort_block_merge_config_selectorIyNS0_10empty_typeEEEZZNS1_27merge_sort_block_merge_implIS3_N6thrust23THRUST_200600_302600_NS6detail15normal_iteratorINS9_10device_ptrIyEEEEPS5_m14custom_greaterIyEEE10hipError_tT0_T1_T2_jT3_P12ihipStream_tbPNSt15iterator_traitsISJ_E10value_typeEPNSP_ISK_E10value_typeEPSL_NS1_7vsmem_tEENKUlT_SJ_SK_SL_E_clISE_PySF_SF_EESI_SY_SJ_SK_SL_EUlSY_E0_NS1_11comp_targetILNS1_3genE9ELNS1_11target_archE1100ELNS1_3gpuE3ELNS1_3repE0EEENS1_38merge_mergepath_config_static_selectorELNS0_4arch9wavefront6targetE1EEEvSK_,comdat
.Lfunc_end3501:
	.size	_ZN7rocprim17ROCPRIM_400000_NS6detail17trampoline_kernelINS0_14default_configENS1_38merge_sort_block_merge_config_selectorIyNS0_10empty_typeEEEZZNS1_27merge_sort_block_merge_implIS3_N6thrust23THRUST_200600_302600_NS6detail15normal_iteratorINS9_10device_ptrIyEEEEPS5_m14custom_greaterIyEEE10hipError_tT0_T1_T2_jT3_P12ihipStream_tbPNSt15iterator_traitsISJ_E10value_typeEPNSP_ISK_E10value_typeEPSL_NS1_7vsmem_tEENKUlT_SJ_SK_SL_E_clISE_PySF_SF_EESI_SY_SJ_SK_SL_EUlSY_E0_NS1_11comp_targetILNS1_3genE9ELNS1_11target_archE1100ELNS1_3gpuE3ELNS1_3repE0EEENS1_38merge_mergepath_config_static_selectorELNS0_4arch9wavefront6targetE1EEEvSK_, .Lfunc_end3501-_ZN7rocprim17ROCPRIM_400000_NS6detail17trampoline_kernelINS0_14default_configENS1_38merge_sort_block_merge_config_selectorIyNS0_10empty_typeEEEZZNS1_27merge_sort_block_merge_implIS3_N6thrust23THRUST_200600_302600_NS6detail15normal_iteratorINS9_10device_ptrIyEEEEPS5_m14custom_greaterIyEEE10hipError_tT0_T1_T2_jT3_P12ihipStream_tbPNSt15iterator_traitsISJ_E10value_typeEPNSP_ISK_E10value_typeEPSL_NS1_7vsmem_tEENKUlT_SJ_SK_SL_E_clISE_PySF_SF_EESI_SY_SJ_SK_SL_EUlSY_E0_NS1_11comp_targetILNS1_3genE9ELNS1_11target_archE1100ELNS1_3gpuE3ELNS1_3repE0EEENS1_38merge_mergepath_config_static_selectorELNS0_4arch9wavefront6targetE1EEEvSK_
                                        ; -- End function
	.section	.AMDGPU.csdata,"",@progbits
; Kernel info:
; codeLenInByte = 0
; NumSgprs: 4
; NumVgprs: 0
; NumAgprs: 0
; TotalNumVgprs: 0
; ScratchSize: 0
; MemoryBound: 0
; FloatMode: 240
; IeeeMode: 1
; LDSByteSize: 0 bytes/workgroup (compile time only)
; SGPRBlocks: 0
; VGPRBlocks: 0
; NumSGPRsForWavesPerEU: 4
; NumVGPRsForWavesPerEU: 1
; AccumOffset: 4
; Occupancy: 8
; WaveLimiterHint : 0
; COMPUTE_PGM_RSRC2:SCRATCH_EN: 0
; COMPUTE_PGM_RSRC2:USER_SGPR: 6
; COMPUTE_PGM_RSRC2:TRAP_HANDLER: 0
; COMPUTE_PGM_RSRC2:TGID_X_EN: 1
; COMPUTE_PGM_RSRC2:TGID_Y_EN: 0
; COMPUTE_PGM_RSRC2:TGID_Z_EN: 0
; COMPUTE_PGM_RSRC2:TIDIG_COMP_CNT: 0
; COMPUTE_PGM_RSRC3_GFX90A:ACCUM_OFFSET: 0
; COMPUTE_PGM_RSRC3_GFX90A:TG_SPLIT: 0
	.section	.text._ZN7rocprim17ROCPRIM_400000_NS6detail17trampoline_kernelINS0_14default_configENS1_38merge_sort_block_merge_config_selectorIyNS0_10empty_typeEEEZZNS1_27merge_sort_block_merge_implIS3_N6thrust23THRUST_200600_302600_NS6detail15normal_iteratorINS9_10device_ptrIyEEEEPS5_m14custom_greaterIyEEE10hipError_tT0_T1_T2_jT3_P12ihipStream_tbPNSt15iterator_traitsISJ_E10value_typeEPNSP_ISK_E10value_typeEPSL_NS1_7vsmem_tEENKUlT_SJ_SK_SL_E_clISE_PySF_SF_EESI_SY_SJ_SK_SL_EUlSY_E0_NS1_11comp_targetILNS1_3genE8ELNS1_11target_archE1030ELNS1_3gpuE2ELNS1_3repE0EEENS1_38merge_mergepath_config_static_selectorELNS0_4arch9wavefront6targetE1EEEvSK_,"axG",@progbits,_ZN7rocprim17ROCPRIM_400000_NS6detail17trampoline_kernelINS0_14default_configENS1_38merge_sort_block_merge_config_selectorIyNS0_10empty_typeEEEZZNS1_27merge_sort_block_merge_implIS3_N6thrust23THRUST_200600_302600_NS6detail15normal_iteratorINS9_10device_ptrIyEEEEPS5_m14custom_greaterIyEEE10hipError_tT0_T1_T2_jT3_P12ihipStream_tbPNSt15iterator_traitsISJ_E10value_typeEPNSP_ISK_E10value_typeEPSL_NS1_7vsmem_tEENKUlT_SJ_SK_SL_E_clISE_PySF_SF_EESI_SY_SJ_SK_SL_EUlSY_E0_NS1_11comp_targetILNS1_3genE8ELNS1_11target_archE1030ELNS1_3gpuE2ELNS1_3repE0EEENS1_38merge_mergepath_config_static_selectorELNS0_4arch9wavefront6targetE1EEEvSK_,comdat
	.protected	_ZN7rocprim17ROCPRIM_400000_NS6detail17trampoline_kernelINS0_14default_configENS1_38merge_sort_block_merge_config_selectorIyNS0_10empty_typeEEEZZNS1_27merge_sort_block_merge_implIS3_N6thrust23THRUST_200600_302600_NS6detail15normal_iteratorINS9_10device_ptrIyEEEEPS5_m14custom_greaterIyEEE10hipError_tT0_T1_T2_jT3_P12ihipStream_tbPNSt15iterator_traitsISJ_E10value_typeEPNSP_ISK_E10value_typeEPSL_NS1_7vsmem_tEENKUlT_SJ_SK_SL_E_clISE_PySF_SF_EESI_SY_SJ_SK_SL_EUlSY_E0_NS1_11comp_targetILNS1_3genE8ELNS1_11target_archE1030ELNS1_3gpuE2ELNS1_3repE0EEENS1_38merge_mergepath_config_static_selectorELNS0_4arch9wavefront6targetE1EEEvSK_ ; -- Begin function _ZN7rocprim17ROCPRIM_400000_NS6detail17trampoline_kernelINS0_14default_configENS1_38merge_sort_block_merge_config_selectorIyNS0_10empty_typeEEEZZNS1_27merge_sort_block_merge_implIS3_N6thrust23THRUST_200600_302600_NS6detail15normal_iteratorINS9_10device_ptrIyEEEEPS5_m14custom_greaterIyEEE10hipError_tT0_T1_T2_jT3_P12ihipStream_tbPNSt15iterator_traitsISJ_E10value_typeEPNSP_ISK_E10value_typeEPSL_NS1_7vsmem_tEENKUlT_SJ_SK_SL_E_clISE_PySF_SF_EESI_SY_SJ_SK_SL_EUlSY_E0_NS1_11comp_targetILNS1_3genE8ELNS1_11target_archE1030ELNS1_3gpuE2ELNS1_3repE0EEENS1_38merge_mergepath_config_static_selectorELNS0_4arch9wavefront6targetE1EEEvSK_
	.globl	_ZN7rocprim17ROCPRIM_400000_NS6detail17trampoline_kernelINS0_14default_configENS1_38merge_sort_block_merge_config_selectorIyNS0_10empty_typeEEEZZNS1_27merge_sort_block_merge_implIS3_N6thrust23THRUST_200600_302600_NS6detail15normal_iteratorINS9_10device_ptrIyEEEEPS5_m14custom_greaterIyEEE10hipError_tT0_T1_T2_jT3_P12ihipStream_tbPNSt15iterator_traitsISJ_E10value_typeEPNSP_ISK_E10value_typeEPSL_NS1_7vsmem_tEENKUlT_SJ_SK_SL_E_clISE_PySF_SF_EESI_SY_SJ_SK_SL_EUlSY_E0_NS1_11comp_targetILNS1_3genE8ELNS1_11target_archE1030ELNS1_3gpuE2ELNS1_3repE0EEENS1_38merge_mergepath_config_static_selectorELNS0_4arch9wavefront6targetE1EEEvSK_
	.p2align	8
	.type	_ZN7rocprim17ROCPRIM_400000_NS6detail17trampoline_kernelINS0_14default_configENS1_38merge_sort_block_merge_config_selectorIyNS0_10empty_typeEEEZZNS1_27merge_sort_block_merge_implIS3_N6thrust23THRUST_200600_302600_NS6detail15normal_iteratorINS9_10device_ptrIyEEEEPS5_m14custom_greaterIyEEE10hipError_tT0_T1_T2_jT3_P12ihipStream_tbPNSt15iterator_traitsISJ_E10value_typeEPNSP_ISK_E10value_typeEPSL_NS1_7vsmem_tEENKUlT_SJ_SK_SL_E_clISE_PySF_SF_EESI_SY_SJ_SK_SL_EUlSY_E0_NS1_11comp_targetILNS1_3genE8ELNS1_11target_archE1030ELNS1_3gpuE2ELNS1_3repE0EEENS1_38merge_mergepath_config_static_selectorELNS0_4arch9wavefront6targetE1EEEvSK_,@function
_ZN7rocprim17ROCPRIM_400000_NS6detail17trampoline_kernelINS0_14default_configENS1_38merge_sort_block_merge_config_selectorIyNS0_10empty_typeEEEZZNS1_27merge_sort_block_merge_implIS3_N6thrust23THRUST_200600_302600_NS6detail15normal_iteratorINS9_10device_ptrIyEEEEPS5_m14custom_greaterIyEEE10hipError_tT0_T1_T2_jT3_P12ihipStream_tbPNSt15iterator_traitsISJ_E10value_typeEPNSP_ISK_E10value_typeEPSL_NS1_7vsmem_tEENKUlT_SJ_SK_SL_E_clISE_PySF_SF_EESI_SY_SJ_SK_SL_EUlSY_E0_NS1_11comp_targetILNS1_3genE8ELNS1_11target_archE1030ELNS1_3gpuE2ELNS1_3repE0EEENS1_38merge_mergepath_config_static_selectorELNS0_4arch9wavefront6targetE1EEEvSK_: ; @_ZN7rocprim17ROCPRIM_400000_NS6detail17trampoline_kernelINS0_14default_configENS1_38merge_sort_block_merge_config_selectorIyNS0_10empty_typeEEEZZNS1_27merge_sort_block_merge_implIS3_N6thrust23THRUST_200600_302600_NS6detail15normal_iteratorINS9_10device_ptrIyEEEEPS5_m14custom_greaterIyEEE10hipError_tT0_T1_T2_jT3_P12ihipStream_tbPNSt15iterator_traitsISJ_E10value_typeEPNSP_ISK_E10value_typeEPSL_NS1_7vsmem_tEENKUlT_SJ_SK_SL_E_clISE_PySF_SF_EESI_SY_SJ_SK_SL_EUlSY_E0_NS1_11comp_targetILNS1_3genE8ELNS1_11target_archE1030ELNS1_3gpuE2ELNS1_3repE0EEENS1_38merge_mergepath_config_static_selectorELNS0_4arch9wavefront6targetE1EEEvSK_
; %bb.0:
	.section	.rodata,"a",@progbits
	.p2align	6, 0x0
	.amdhsa_kernel _ZN7rocprim17ROCPRIM_400000_NS6detail17trampoline_kernelINS0_14default_configENS1_38merge_sort_block_merge_config_selectorIyNS0_10empty_typeEEEZZNS1_27merge_sort_block_merge_implIS3_N6thrust23THRUST_200600_302600_NS6detail15normal_iteratorINS9_10device_ptrIyEEEEPS5_m14custom_greaterIyEEE10hipError_tT0_T1_T2_jT3_P12ihipStream_tbPNSt15iterator_traitsISJ_E10value_typeEPNSP_ISK_E10value_typeEPSL_NS1_7vsmem_tEENKUlT_SJ_SK_SL_E_clISE_PySF_SF_EESI_SY_SJ_SK_SL_EUlSY_E0_NS1_11comp_targetILNS1_3genE8ELNS1_11target_archE1030ELNS1_3gpuE2ELNS1_3repE0EEENS1_38merge_mergepath_config_static_selectorELNS0_4arch9wavefront6targetE1EEEvSK_
		.amdhsa_group_segment_fixed_size 0
		.amdhsa_private_segment_fixed_size 0
		.amdhsa_kernarg_size 72
		.amdhsa_user_sgpr_count 6
		.amdhsa_user_sgpr_private_segment_buffer 1
		.amdhsa_user_sgpr_dispatch_ptr 0
		.amdhsa_user_sgpr_queue_ptr 0
		.amdhsa_user_sgpr_kernarg_segment_ptr 1
		.amdhsa_user_sgpr_dispatch_id 0
		.amdhsa_user_sgpr_flat_scratch_init 0
		.amdhsa_user_sgpr_kernarg_preload_length 0
		.amdhsa_user_sgpr_kernarg_preload_offset 0
		.amdhsa_user_sgpr_private_segment_size 0
		.amdhsa_uses_dynamic_stack 0
		.amdhsa_system_sgpr_private_segment_wavefront_offset 0
		.amdhsa_system_sgpr_workgroup_id_x 1
		.amdhsa_system_sgpr_workgroup_id_y 0
		.amdhsa_system_sgpr_workgroup_id_z 0
		.amdhsa_system_sgpr_workgroup_info 0
		.amdhsa_system_vgpr_workitem_id 0
		.amdhsa_next_free_vgpr 1
		.amdhsa_next_free_sgpr 0
		.amdhsa_accum_offset 4
		.amdhsa_reserve_vcc 0
		.amdhsa_reserve_flat_scratch 0
		.amdhsa_float_round_mode_32 0
		.amdhsa_float_round_mode_16_64 0
		.amdhsa_float_denorm_mode_32 3
		.amdhsa_float_denorm_mode_16_64 3
		.amdhsa_dx10_clamp 1
		.amdhsa_ieee_mode 1
		.amdhsa_fp16_overflow 0
		.amdhsa_tg_split 0
		.amdhsa_exception_fp_ieee_invalid_op 0
		.amdhsa_exception_fp_denorm_src 0
		.amdhsa_exception_fp_ieee_div_zero 0
		.amdhsa_exception_fp_ieee_overflow 0
		.amdhsa_exception_fp_ieee_underflow 0
		.amdhsa_exception_fp_ieee_inexact 0
		.amdhsa_exception_int_div_zero 0
	.end_amdhsa_kernel
	.section	.text._ZN7rocprim17ROCPRIM_400000_NS6detail17trampoline_kernelINS0_14default_configENS1_38merge_sort_block_merge_config_selectorIyNS0_10empty_typeEEEZZNS1_27merge_sort_block_merge_implIS3_N6thrust23THRUST_200600_302600_NS6detail15normal_iteratorINS9_10device_ptrIyEEEEPS5_m14custom_greaterIyEEE10hipError_tT0_T1_T2_jT3_P12ihipStream_tbPNSt15iterator_traitsISJ_E10value_typeEPNSP_ISK_E10value_typeEPSL_NS1_7vsmem_tEENKUlT_SJ_SK_SL_E_clISE_PySF_SF_EESI_SY_SJ_SK_SL_EUlSY_E0_NS1_11comp_targetILNS1_3genE8ELNS1_11target_archE1030ELNS1_3gpuE2ELNS1_3repE0EEENS1_38merge_mergepath_config_static_selectorELNS0_4arch9wavefront6targetE1EEEvSK_,"axG",@progbits,_ZN7rocprim17ROCPRIM_400000_NS6detail17trampoline_kernelINS0_14default_configENS1_38merge_sort_block_merge_config_selectorIyNS0_10empty_typeEEEZZNS1_27merge_sort_block_merge_implIS3_N6thrust23THRUST_200600_302600_NS6detail15normal_iteratorINS9_10device_ptrIyEEEEPS5_m14custom_greaterIyEEE10hipError_tT0_T1_T2_jT3_P12ihipStream_tbPNSt15iterator_traitsISJ_E10value_typeEPNSP_ISK_E10value_typeEPSL_NS1_7vsmem_tEENKUlT_SJ_SK_SL_E_clISE_PySF_SF_EESI_SY_SJ_SK_SL_EUlSY_E0_NS1_11comp_targetILNS1_3genE8ELNS1_11target_archE1030ELNS1_3gpuE2ELNS1_3repE0EEENS1_38merge_mergepath_config_static_selectorELNS0_4arch9wavefront6targetE1EEEvSK_,comdat
.Lfunc_end3502:
	.size	_ZN7rocprim17ROCPRIM_400000_NS6detail17trampoline_kernelINS0_14default_configENS1_38merge_sort_block_merge_config_selectorIyNS0_10empty_typeEEEZZNS1_27merge_sort_block_merge_implIS3_N6thrust23THRUST_200600_302600_NS6detail15normal_iteratorINS9_10device_ptrIyEEEEPS5_m14custom_greaterIyEEE10hipError_tT0_T1_T2_jT3_P12ihipStream_tbPNSt15iterator_traitsISJ_E10value_typeEPNSP_ISK_E10value_typeEPSL_NS1_7vsmem_tEENKUlT_SJ_SK_SL_E_clISE_PySF_SF_EESI_SY_SJ_SK_SL_EUlSY_E0_NS1_11comp_targetILNS1_3genE8ELNS1_11target_archE1030ELNS1_3gpuE2ELNS1_3repE0EEENS1_38merge_mergepath_config_static_selectorELNS0_4arch9wavefront6targetE1EEEvSK_, .Lfunc_end3502-_ZN7rocprim17ROCPRIM_400000_NS6detail17trampoline_kernelINS0_14default_configENS1_38merge_sort_block_merge_config_selectorIyNS0_10empty_typeEEEZZNS1_27merge_sort_block_merge_implIS3_N6thrust23THRUST_200600_302600_NS6detail15normal_iteratorINS9_10device_ptrIyEEEEPS5_m14custom_greaterIyEEE10hipError_tT0_T1_T2_jT3_P12ihipStream_tbPNSt15iterator_traitsISJ_E10value_typeEPNSP_ISK_E10value_typeEPSL_NS1_7vsmem_tEENKUlT_SJ_SK_SL_E_clISE_PySF_SF_EESI_SY_SJ_SK_SL_EUlSY_E0_NS1_11comp_targetILNS1_3genE8ELNS1_11target_archE1030ELNS1_3gpuE2ELNS1_3repE0EEENS1_38merge_mergepath_config_static_selectorELNS0_4arch9wavefront6targetE1EEEvSK_
                                        ; -- End function
	.section	.AMDGPU.csdata,"",@progbits
; Kernel info:
; codeLenInByte = 0
; NumSgprs: 4
; NumVgprs: 0
; NumAgprs: 0
; TotalNumVgprs: 0
; ScratchSize: 0
; MemoryBound: 0
; FloatMode: 240
; IeeeMode: 1
; LDSByteSize: 0 bytes/workgroup (compile time only)
; SGPRBlocks: 0
; VGPRBlocks: 0
; NumSGPRsForWavesPerEU: 4
; NumVGPRsForWavesPerEU: 1
; AccumOffset: 4
; Occupancy: 8
; WaveLimiterHint : 0
; COMPUTE_PGM_RSRC2:SCRATCH_EN: 0
; COMPUTE_PGM_RSRC2:USER_SGPR: 6
; COMPUTE_PGM_RSRC2:TRAP_HANDLER: 0
; COMPUTE_PGM_RSRC2:TGID_X_EN: 1
; COMPUTE_PGM_RSRC2:TGID_Y_EN: 0
; COMPUTE_PGM_RSRC2:TGID_Z_EN: 0
; COMPUTE_PGM_RSRC2:TIDIG_COMP_CNT: 0
; COMPUTE_PGM_RSRC3_GFX90A:ACCUM_OFFSET: 0
; COMPUTE_PGM_RSRC3_GFX90A:TG_SPLIT: 0
	.section	.text._ZN7rocprim17ROCPRIM_400000_NS6detail17trampoline_kernelINS0_14default_configENS1_38merge_sort_block_merge_config_selectorIyNS0_10empty_typeEEEZZNS1_27merge_sort_block_merge_implIS3_N6thrust23THRUST_200600_302600_NS6detail15normal_iteratorINS9_10device_ptrIyEEEEPS5_m14custom_greaterIyEEE10hipError_tT0_T1_T2_jT3_P12ihipStream_tbPNSt15iterator_traitsISJ_E10value_typeEPNSP_ISK_E10value_typeEPSL_NS1_7vsmem_tEENKUlT_SJ_SK_SL_E_clISE_PySF_SF_EESI_SY_SJ_SK_SL_EUlSY_E1_NS1_11comp_targetILNS1_3genE0ELNS1_11target_archE4294967295ELNS1_3gpuE0ELNS1_3repE0EEENS1_36merge_oddeven_config_static_selectorELNS0_4arch9wavefront6targetE1EEEvSK_,"axG",@progbits,_ZN7rocprim17ROCPRIM_400000_NS6detail17trampoline_kernelINS0_14default_configENS1_38merge_sort_block_merge_config_selectorIyNS0_10empty_typeEEEZZNS1_27merge_sort_block_merge_implIS3_N6thrust23THRUST_200600_302600_NS6detail15normal_iteratorINS9_10device_ptrIyEEEEPS5_m14custom_greaterIyEEE10hipError_tT0_T1_T2_jT3_P12ihipStream_tbPNSt15iterator_traitsISJ_E10value_typeEPNSP_ISK_E10value_typeEPSL_NS1_7vsmem_tEENKUlT_SJ_SK_SL_E_clISE_PySF_SF_EESI_SY_SJ_SK_SL_EUlSY_E1_NS1_11comp_targetILNS1_3genE0ELNS1_11target_archE4294967295ELNS1_3gpuE0ELNS1_3repE0EEENS1_36merge_oddeven_config_static_selectorELNS0_4arch9wavefront6targetE1EEEvSK_,comdat
	.protected	_ZN7rocprim17ROCPRIM_400000_NS6detail17trampoline_kernelINS0_14default_configENS1_38merge_sort_block_merge_config_selectorIyNS0_10empty_typeEEEZZNS1_27merge_sort_block_merge_implIS3_N6thrust23THRUST_200600_302600_NS6detail15normal_iteratorINS9_10device_ptrIyEEEEPS5_m14custom_greaterIyEEE10hipError_tT0_T1_T2_jT3_P12ihipStream_tbPNSt15iterator_traitsISJ_E10value_typeEPNSP_ISK_E10value_typeEPSL_NS1_7vsmem_tEENKUlT_SJ_SK_SL_E_clISE_PySF_SF_EESI_SY_SJ_SK_SL_EUlSY_E1_NS1_11comp_targetILNS1_3genE0ELNS1_11target_archE4294967295ELNS1_3gpuE0ELNS1_3repE0EEENS1_36merge_oddeven_config_static_selectorELNS0_4arch9wavefront6targetE1EEEvSK_ ; -- Begin function _ZN7rocprim17ROCPRIM_400000_NS6detail17trampoline_kernelINS0_14default_configENS1_38merge_sort_block_merge_config_selectorIyNS0_10empty_typeEEEZZNS1_27merge_sort_block_merge_implIS3_N6thrust23THRUST_200600_302600_NS6detail15normal_iteratorINS9_10device_ptrIyEEEEPS5_m14custom_greaterIyEEE10hipError_tT0_T1_T2_jT3_P12ihipStream_tbPNSt15iterator_traitsISJ_E10value_typeEPNSP_ISK_E10value_typeEPSL_NS1_7vsmem_tEENKUlT_SJ_SK_SL_E_clISE_PySF_SF_EESI_SY_SJ_SK_SL_EUlSY_E1_NS1_11comp_targetILNS1_3genE0ELNS1_11target_archE4294967295ELNS1_3gpuE0ELNS1_3repE0EEENS1_36merge_oddeven_config_static_selectorELNS0_4arch9wavefront6targetE1EEEvSK_
	.globl	_ZN7rocprim17ROCPRIM_400000_NS6detail17trampoline_kernelINS0_14default_configENS1_38merge_sort_block_merge_config_selectorIyNS0_10empty_typeEEEZZNS1_27merge_sort_block_merge_implIS3_N6thrust23THRUST_200600_302600_NS6detail15normal_iteratorINS9_10device_ptrIyEEEEPS5_m14custom_greaterIyEEE10hipError_tT0_T1_T2_jT3_P12ihipStream_tbPNSt15iterator_traitsISJ_E10value_typeEPNSP_ISK_E10value_typeEPSL_NS1_7vsmem_tEENKUlT_SJ_SK_SL_E_clISE_PySF_SF_EESI_SY_SJ_SK_SL_EUlSY_E1_NS1_11comp_targetILNS1_3genE0ELNS1_11target_archE4294967295ELNS1_3gpuE0ELNS1_3repE0EEENS1_36merge_oddeven_config_static_selectorELNS0_4arch9wavefront6targetE1EEEvSK_
	.p2align	8
	.type	_ZN7rocprim17ROCPRIM_400000_NS6detail17trampoline_kernelINS0_14default_configENS1_38merge_sort_block_merge_config_selectorIyNS0_10empty_typeEEEZZNS1_27merge_sort_block_merge_implIS3_N6thrust23THRUST_200600_302600_NS6detail15normal_iteratorINS9_10device_ptrIyEEEEPS5_m14custom_greaterIyEEE10hipError_tT0_T1_T2_jT3_P12ihipStream_tbPNSt15iterator_traitsISJ_E10value_typeEPNSP_ISK_E10value_typeEPSL_NS1_7vsmem_tEENKUlT_SJ_SK_SL_E_clISE_PySF_SF_EESI_SY_SJ_SK_SL_EUlSY_E1_NS1_11comp_targetILNS1_3genE0ELNS1_11target_archE4294967295ELNS1_3gpuE0ELNS1_3repE0EEENS1_36merge_oddeven_config_static_selectorELNS0_4arch9wavefront6targetE1EEEvSK_,@function
_ZN7rocprim17ROCPRIM_400000_NS6detail17trampoline_kernelINS0_14default_configENS1_38merge_sort_block_merge_config_selectorIyNS0_10empty_typeEEEZZNS1_27merge_sort_block_merge_implIS3_N6thrust23THRUST_200600_302600_NS6detail15normal_iteratorINS9_10device_ptrIyEEEEPS5_m14custom_greaterIyEEE10hipError_tT0_T1_T2_jT3_P12ihipStream_tbPNSt15iterator_traitsISJ_E10value_typeEPNSP_ISK_E10value_typeEPSL_NS1_7vsmem_tEENKUlT_SJ_SK_SL_E_clISE_PySF_SF_EESI_SY_SJ_SK_SL_EUlSY_E1_NS1_11comp_targetILNS1_3genE0ELNS1_11target_archE4294967295ELNS1_3gpuE0ELNS1_3repE0EEENS1_36merge_oddeven_config_static_selectorELNS0_4arch9wavefront6targetE1EEEvSK_: ; @_ZN7rocprim17ROCPRIM_400000_NS6detail17trampoline_kernelINS0_14default_configENS1_38merge_sort_block_merge_config_selectorIyNS0_10empty_typeEEEZZNS1_27merge_sort_block_merge_implIS3_N6thrust23THRUST_200600_302600_NS6detail15normal_iteratorINS9_10device_ptrIyEEEEPS5_m14custom_greaterIyEEE10hipError_tT0_T1_T2_jT3_P12ihipStream_tbPNSt15iterator_traitsISJ_E10value_typeEPNSP_ISK_E10value_typeEPSL_NS1_7vsmem_tEENKUlT_SJ_SK_SL_E_clISE_PySF_SF_EESI_SY_SJ_SK_SL_EUlSY_E1_NS1_11comp_targetILNS1_3genE0ELNS1_11target_archE4294967295ELNS1_3gpuE0ELNS1_3repE0EEENS1_36merge_oddeven_config_static_selectorELNS0_4arch9wavefront6targetE1EEEvSK_
; %bb.0:
	.section	.rodata,"a",@progbits
	.p2align	6, 0x0
	.amdhsa_kernel _ZN7rocprim17ROCPRIM_400000_NS6detail17trampoline_kernelINS0_14default_configENS1_38merge_sort_block_merge_config_selectorIyNS0_10empty_typeEEEZZNS1_27merge_sort_block_merge_implIS3_N6thrust23THRUST_200600_302600_NS6detail15normal_iteratorINS9_10device_ptrIyEEEEPS5_m14custom_greaterIyEEE10hipError_tT0_T1_T2_jT3_P12ihipStream_tbPNSt15iterator_traitsISJ_E10value_typeEPNSP_ISK_E10value_typeEPSL_NS1_7vsmem_tEENKUlT_SJ_SK_SL_E_clISE_PySF_SF_EESI_SY_SJ_SK_SL_EUlSY_E1_NS1_11comp_targetILNS1_3genE0ELNS1_11target_archE4294967295ELNS1_3gpuE0ELNS1_3repE0EEENS1_36merge_oddeven_config_static_selectorELNS0_4arch9wavefront6targetE1EEEvSK_
		.amdhsa_group_segment_fixed_size 0
		.amdhsa_private_segment_fixed_size 0
		.amdhsa_kernarg_size 56
		.amdhsa_user_sgpr_count 6
		.amdhsa_user_sgpr_private_segment_buffer 1
		.amdhsa_user_sgpr_dispatch_ptr 0
		.amdhsa_user_sgpr_queue_ptr 0
		.amdhsa_user_sgpr_kernarg_segment_ptr 1
		.amdhsa_user_sgpr_dispatch_id 0
		.amdhsa_user_sgpr_flat_scratch_init 0
		.amdhsa_user_sgpr_kernarg_preload_length 0
		.amdhsa_user_sgpr_kernarg_preload_offset 0
		.amdhsa_user_sgpr_private_segment_size 0
		.amdhsa_uses_dynamic_stack 0
		.amdhsa_system_sgpr_private_segment_wavefront_offset 0
		.amdhsa_system_sgpr_workgroup_id_x 1
		.amdhsa_system_sgpr_workgroup_id_y 0
		.amdhsa_system_sgpr_workgroup_id_z 0
		.amdhsa_system_sgpr_workgroup_info 0
		.amdhsa_system_vgpr_workitem_id 0
		.amdhsa_next_free_vgpr 1
		.amdhsa_next_free_sgpr 0
		.amdhsa_accum_offset 4
		.amdhsa_reserve_vcc 0
		.amdhsa_reserve_flat_scratch 0
		.amdhsa_float_round_mode_32 0
		.amdhsa_float_round_mode_16_64 0
		.amdhsa_float_denorm_mode_32 3
		.amdhsa_float_denorm_mode_16_64 3
		.amdhsa_dx10_clamp 1
		.amdhsa_ieee_mode 1
		.amdhsa_fp16_overflow 0
		.amdhsa_tg_split 0
		.amdhsa_exception_fp_ieee_invalid_op 0
		.amdhsa_exception_fp_denorm_src 0
		.amdhsa_exception_fp_ieee_div_zero 0
		.amdhsa_exception_fp_ieee_overflow 0
		.amdhsa_exception_fp_ieee_underflow 0
		.amdhsa_exception_fp_ieee_inexact 0
		.amdhsa_exception_int_div_zero 0
	.end_amdhsa_kernel
	.section	.text._ZN7rocprim17ROCPRIM_400000_NS6detail17trampoline_kernelINS0_14default_configENS1_38merge_sort_block_merge_config_selectorIyNS0_10empty_typeEEEZZNS1_27merge_sort_block_merge_implIS3_N6thrust23THRUST_200600_302600_NS6detail15normal_iteratorINS9_10device_ptrIyEEEEPS5_m14custom_greaterIyEEE10hipError_tT0_T1_T2_jT3_P12ihipStream_tbPNSt15iterator_traitsISJ_E10value_typeEPNSP_ISK_E10value_typeEPSL_NS1_7vsmem_tEENKUlT_SJ_SK_SL_E_clISE_PySF_SF_EESI_SY_SJ_SK_SL_EUlSY_E1_NS1_11comp_targetILNS1_3genE0ELNS1_11target_archE4294967295ELNS1_3gpuE0ELNS1_3repE0EEENS1_36merge_oddeven_config_static_selectorELNS0_4arch9wavefront6targetE1EEEvSK_,"axG",@progbits,_ZN7rocprim17ROCPRIM_400000_NS6detail17trampoline_kernelINS0_14default_configENS1_38merge_sort_block_merge_config_selectorIyNS0_10empty_typeEEEZZNS1_27merge_sort_block_merge_implIS3_N6thrust23THRUST_200600_302600_NS6detail15normal_iteratorINS9_10device_ptrIyEEEEPS5_m14custom_greaterIyEEE10hipError_tT0_T1_T2_jT3_P12ihipStream_tbPNSt15iterator_traitsISJ_E10value_typeEPNSP_ISK_E10value_typeEPSL_NS1_7vsmem_tEENKUlT_SJ_SK_SL_E_clISE_PySF_SF_EESI_SY_SJ_SK_SL_EUlSY_E1_NS1_11comp_targetILNS1_3genE0ELNS1_11target_archE4294967295ELNS1_3gpuE0ELNS1_3repE0EEENS1_36merge_oddeven_config_static_selectorELNS0_4arch9wavefront6targetE1EEEvSK_,comdat
.Lfunc_end3503:
	.size	_ZN7rocprim17ROCPRIM_400000_NS6detail17trampoline_kernelINS0_14default_configENS1_38merge_sort_block_merge_config_selectorIyNS0_10empty_typeEEEZZNS1_27merge_sort_block_merge_implIS3_N6thrust23THRUST_200600_302600_NS6detail15normal_iteratorINS9_10device_ptrIyEEEEPS5_m14custom_greaterIyEEE10hipError_tT0_T1_T2_jT3_P12ihipStream_tbPNSt15iterator_traitsISJ_E10value_typeEPNSP_ISK_E10value_typeEPSL_NS1_7vsmem_tEENKUlT_SJ_SK_SL_E_clISE_PySF_SF_EESI_SY_SJ_SK_SL_EUlSY_E1_NS1_11comp_targetILNS1_3genE0ELNS1_11target_archE4294967295ELNS1_3gpuE0ELNS1_3repE0EEENS1_36merge_oddeven_config_static_selectorELNS0_4arch9wavefront6targetE1EEEvSK_, .Lfunc_end3503-_ZN7rocprim17ROCPRIM_400000_NS6detail17trampoline_kernelINS0_14default_configENS1_38merge_sort_block_merge_config_selectorIyNS0_10empty_typeEEEZZNS1_27merge_sort_block_merge_implIS3_N6thrust23THRUST_200600_302600_NS6detail15normal_iteratorINS9_10device_ptrIyEEEEPS5_m14custom_greaterIyEEE10hipError_tT0_T1_T2_jT3_P12ihipStream_tbPNSt15iterator_traitsISJ_E10value_typeEPNSP_ISK_E10value_typeEPSL_NS1_7vsmem_tEENKUlT_SJ_SK_SL_E_clISE_PySF_SF_EESI_SY_SJ_SK_SL_EUlSY_E1_NS1_11comp_targetILNS1_3genE0ELNS1_11target_archE4294967295ELNS1_3gpuE0ELNS1_3repE0EEENS1_36merge_oddeven_config_static_selectorELNS0_4arch9wavefront6targetE1EEEvSK_
                                        ; -- End function
	.section	.AMDGPU.csdata,"",@progbits
; Kernel info:
; codeLenInByte = 0
; NumSgprs: 4
; NumVgprs: 0
; NumAgprs: 0
; TotalNumVgprs: 0
; ScratchSize: 0
; MemoryBound: 0
; FloatMode: 240
; IeeeMode: 1
; LDSByteSize: 0 bytes/workgroup (compile time only)
; SGPRBlocks: 0
; VGPRBlocks: 0
; NumSGPRsForWavesPerEU: 4
; NumVGPRsForWavesPerEU: 1
; AccumOffset: 4
; Occupancy: 8
; WaveLimiterHint : 0
; COMPUTE_PGM_RSRC2:SCRATCH_EN: 0
; COMPUTE_PGM_RSRC2:USER_SGPR: 6
; COMPUTE_PGM_RSRC2:TRAP_HANDLER: 0
; COMPUTE_PGM_RSRC2:TGID_X_EN: 1
; COMPUTE_PGM_RSRC2:TGID_Y_EN: 0
; COMPUTE_PGM_RSRC2:TGID_Z_EN: 0
; COMPUTE_PGM_RSRC2:TIDIG_COMP_CNT: 0
; COMPUTE_PGM_RSRC3_GFX90A:ACCUM_OFFSET: 0
; COMPUTE_PGM_RSRC3_GFX90A:TG_SPLIT: 0
	.section	.text._ZN7rocprim17ROCPRIM_400000_NS6detail17trampoline_kernelINS0_14default_configENS1_38merge_sort_block_merge_config_selectorIyNS0_10empty_typeEEEZZNS1_27merge_sort_block_merge_implIS3_N6thrust23THRUST_200600_302600_NS6detail15normal_iteratorINS9_10device_ptrIyEEEEPS5_m14custom_greaterIyEEE10hipError_tT0_T1_T2_jT3_P12ihipStream_tbPNSt15iterator_traitsISJ_E10value_typeEPNSP_ISK_E10value_typeEPSL_NS1_7vsmem_tEENKUlT_SJ_SK_SL_E_clISE_PySF_SF_EESI_SY_SJ_SK_SL_EUlSY_E1_NS1_11comp_targetILNS1_3genE10ELNS1_11target_archE1201ELNS1_3gpuE5ELNS1_3repE0EEENS1_36merge_oddeven_config_static_selectorELNS0_4arch9wavefront6targetE1EEEvSK_,"axG",@progbits,_ZN7rocprim17ROCPRIM_400000_NS6detail17trampoline_kernelINS0_14default_configENS1_38merge_sort_block_merge_config_selectorIyNS0_10empty_typeEEEZZNS1_27merge_sort_block_merge_implIS3_N6thrust23THRUST_200600_302600_NS6detail15normal_iteratorINS9_10device_ptrIyEEEEPS5_m14custom_greaterIyEEE10hipError_tT0_T1_T2_jT3_P12ihipStream_tbPNSt15iterator_traitsISJ_E10value_typeEPNSP_ISK_E10value_typeEPSL_NS1_7vsmem_tEENKUlT_SJ_SK_SL_E_clISE_PySF_SF_EESI_SY_SJ_SK_SL_EUlSY_E1_NS1_11comp_targetILNS1_3genE10ELNS1_11target_archE1201ELNS1_3gpuE5ELNS1_3repE0EEENS1_36merge_oddeven_config_static_selectorELNS0_4arch9wavefront6targetE1EEEvSK_,comdat
	.protected	_ZN7rocprim17ROCPRIM_400000_NS6detail17trampoline_kernelINS0_14default_configENS1_38merge_sort_block_merge_config_selectorIyNS0_10empty_typeEEEZZNS1_27merge_sort_block_merge_implIS3_N6thrust23THRUST_200600_302600_NS6detail15normal_iteratorINS9_10device_ptrIyEEEEPS5_m14custom_greaterIyEEE10hipError_tT0_T1_T2_jT3_P12ihipStream_tbPNSt15iterator_traitsISJ_E10value_typeEPNSP_ISK_E10value_typeEPSL_NS1_7vsmem_tEENKUlT_SJ_SK_SL_E_clISE_PySF_SF_EESI_SY_SJ_SK_SL_EUlSY_E1_NS1_11comp_targetILNS1_3genE10ELNS1_11target_archE1201ELNS1_3gpuE5ELNS1_3repE0EEENS1_36merge_oddeven_config_static_selectorELNS0_4arch9wavefront6targetE1EEEvSK_ ; -- Begin function _ZN7rocprim17ROCPRIM_400000_NS6detail17trampoline_kernelINS0_14default_configENS1_38merge_sort_block_merge_config_selectorIyNS0_10empty_typeEEEZZNS1_27merge_sort_block_merge_implIS3_N6thrust23THRUST_200600_302600_NS6detail15normal_iteratorINS9_10device_ptrIyEEEEPS5_m14custom_greaterIyEEE10hipError_tT0_T1_T2_jT3_P12ihipStream_tbPNSt15iterator_traitsISJ_E10value_typeEPNSP_ISK_E10value_typeEPSL_NS1_7vsmem_tEENKUlT_SJ_SK_SL_E_clISE_PySF_SF_EESI_SY_SJ_SK_SL_EUlSY_E1_NS1_11comp_targetILNS1_3genE10ELNS1_11target_archE1201ELNS1_3gpuE5ELNS1_3repE0EEENS1_36merge_oddeven_config_static_selectorELNS0_4arch9wavefront6targetE1EEEvSK_
	.globl	_ZN7rocprim17ROCPRIM_400000_NS6detail17trampoline_kernelINS0_14default_configENS1_38merge_sort_block_merge_config_selectorIyNS0_10empty_typeEEEZZNS1_27merge_sort_block_merge_implIS3_N6thrust23THRUST_200600_302600_NS6detail15normal_iteratorINS9_10device_ptrIyEEEEPS5_m14custom_greaterIyEEE10hipError_tT0_T1_T2_jT3_P12ihipStream_tbPNSt15iterator_traitsISJ_E10value_typeEPNSP_ISK_E10value_typeEPSL_NS1_7vsmem_tEENKUlT_SJ_SK_SL_E_clISE_PySF_SF_EESI_SY_SJ_SK_SL_EUlSY_E1_NS1_11comp_targetILNS1_3genE10ELNS1_11target_archE1201ELNS1_3gpuE5ELNS1_3repE0EEENS1_36merge_oddeven_config_static_selectorELNS0_4arch9wavefront6targetE1EEEvSK_
	.p2align	8
	.type	_ZN7rocprim17ROCPRIM_400000_NS6detail17trampoline_kernelINS0_14default_configENS1_38merge_sort_block_merge_config_selectorIyNS0_10empty_typeEEEZZNS1_27merge_sort_block_merge_implIS3_N6thrust23THRUST_200600_302600_NS6detail15normal_iteratorINS9_10device_ptrIyEEEEPS5_m14custom_greaterIyEEE10hipError_tT0_T1_T2_jT3_P12ihipStream_tbPNSt15iterator_traitsISJ_E10value_typeEPNSP_ISK_E10value_typeEPSL_NS1_7vsmem_tEENKUlT_SJ_SK_SL_E_clISE_PySF_SF_EESI_SY_SJ_SK_SL_EUlSY_E1_NS1_11comp_targetILNS1_3genE10ELNS1_11target_archE1201ELNS1_3gpuE5ELNS1_3repE0EEENS1_36merge_oddeven_config_static_selectorELNS0_4arch9wavefront6targetE1EEEvSK_,@function
_ZN7rocprim17ROCPRIM_400000_NS6detail17trampoline_kernelINS0_14default_configENS1_38merge_sort_block_merge_config_selectorIyNS0_10empty_typeEEEZZNS1_27merge_sort_block_merge_implIS3_N6thrust23THRUST_200600_302600_NS6detail15normal_iteratorINS9_10device_ptrIyEEEEPS5_m14custom_greaterIyEEE10hipError_tT0_T1_T2_jT3_P12ihipStream_tbPNSt15iterator_traitsISJ_E10value_typeEPNSP_ISK_E10value_typeEPSL_NS1_7vsmem_tEENKUlT_SJ_SK_SL_E_clISE_PySF_SF_EESI_SY_SJ_SK_SL_EUlSY_E1_NS1_11comp_targetILNS1_3genE10ELNS1_11target_archE1201ELNS1_3gpuE5ELNS1_3repE0EEENS1_36merge_oddeven_config_static_selectorELNS0_4arch9wavefront6targetE1EEEvSK_: ; @_ZN7rocprim17ROCPRIM_400000_NS6detail17trampoline_kernelINS0_14default_configENS1_38merge_sort_block_merge_config_selectorIyNS0_10empty_typeEEEZZNS1_27merge_sort_block_merge_implIS3_N6thrust23THRUST_200600_302600_NS6detail15normal_iteratorINS9_10device_ptrIyEEEEPS5_m14custom_greaterIyEEE10hipError_tT0_T1_T2_jT3_P12ihipStream_tbPNSt15iterator_traitsISJ_E10value_typeEPNSP_ISK_E10value_typeEPSL_NS1_7vsmem_tEENKUlT_SJ_SK_SL_E_clISE_PySF_SF_EESI_SY_SJ_SK_SL_EUlSY_E1_NS1_11comp_targetILNS1_3genE10ELNS1_11target_archE1201ELNS1_3gpuE5ELNS1_3repE0EEENS1_36merge_oddeven_config_static_selectorELNS0_4arch9wavefront6targetE1EEEvSK_
; %bb.0:
	.section	.rodata,"a",@progbits
	.p2align	6, 0x0
	.amdhsa_kernel _ZN7rocprim17ROCPRIM_400000_NS6detail17trampoline_kernelINS0_14default_configENS1_38merge_sort_block_merge_config_selectorIyNS0_10empty_typeEEEZZNS1_27merge_sort_block_merge_implIS3_N6thrust23THRUST_200600_302600_NS6detail15normal_iteratorINS9_10device_ptrIyEEEEPS5_m14custom_greaterIyEEE10hipError_tT0_T1_T2_jT3_P12ihipStream_tbPNSt15iterator_traitsISJ_E10value_typeEPNSP_ISK_E10value_typeEPSL_NS1_7vsmem_tEENKUlT_SJ_SK_SL_E_clISE_PySF_SF_EESI_SY_SJ_SK_SL_EUlSY_E1_NS1_11comp_targetILNS1_3genE10ELNS1_11target_archE1201ELNS1_3gpuE5ELNS1_3repE0EEENS1_36merge_oddeven_config_static_selectorELNS0_4arch9wavefront6targetE1EEEvSK_
		.amdhsa_group_segment_fixed_size 0
		.amdhsa_private_segment_fixed_size 0
		.amdhsa_kernarg_size 56
		.amdhsa_user_sgpr_count 6
		.amdhsa_user_sgpr_private_segment_buffer 1
		.amdhsa_user_sgpr_dispatch_ptr 0
		.amdhsa_user_sgpr_queue_ptr 0
		.amdhsa_user_sgpr_kernarg_segment_ptr 1
		.amdhsa_user_sgpr_dispatch_id 0
		.amdhsa_user_sgpr_flat_scratch_init 0
		.amdhsa_user_sgpr_kernarg_preload_length 0
		.amdhsa_user_sgpr_kernarg_preload_offset 0
		.amdhsa_user_sgpr_private_segment_size 0
		.amdhsa_uses_dynamic_stack 0
		.amdhsa_system_sgpr_private_segment_wavefront_offset 0
		.amdhsa_system_sgpr_workgroup_id_x 1
		.amdhsa_system_sgpr_workgroup_id_y 0
		.amdhsa_system_sgpr_workgroup_id_z 0
		.amdhsa_system_sgpr_workgroup_info 0
		.amdhsa_system_vgpr_workitem_id 0
		.amdhsa_next_free_vgpr 1
		.amdhsa_next_free_sgpr 0
		.amdhsa_accum_offset 4
		.amdhsa_reserve_vcc 0
		.amdhsa_reserve_flat_scratch 0
		.amdhsa_float_round_mode_32 0
		.amdhsa_float_round_mode_16_64 0
		.amdhsa_float_denorm_mode_32 3
		.amdhsa_float_denorm_mode_16_64 3
		.amdhsa_dx10_clamp 1
		.amdhsa_ieee_mode 1
		.amdhsa_fp16_overflow 0
		.amdhsa_tg_split 0
		.amdhsa_exception_fp_ieee_invalid_op 0
		.amdhsa_exception_fp_denorm_src 0
		.amdhsa_exception_fp_ieee_div_zero 0
		.amdhsa_exception_fp_ieee_overflow 0
		.amdhsa_exception_fp_ieee_underflow 0
		.amdhsa_exception_fp_ieee_inexact 0
		.amdhsa_exception_int_div_zero 0
	.end_amdhsa_kernel
	.section	.text._ZN7rocprim17ROCPRIM_400000_NS6detail17trampoline_kernelINS0_14default_configENS1_38merge_sort_block_merge_config_selectorIyNS0_10empty_typeEEEZZNS1_27merge_sort_block_merge_implIS3_N6thrust23THRUST_200600_302600_NS6detail15normal_iteratorINS9_10device_ptrIyEEEEPS5_m14custom_greaterIyEEE10hipError_tT0_T1_T2_jT3_P12ihipStream_tbPNSt15iterator_traitsISJ_E10value_typeEPNSP_ISK_E10value_typeEPSL_NS1_7vsmem_tEENKUlT_SJ_SK_SL_E_clISE_PySF_SF_EESI_SY_SJ_SK_SL_EUlSY_E1_NS1_11comp_targetILNS1_3genE10ELNS1_11target_archE1201ELNS1_3gpuE5ELNS1_3repE0EEENS1_36merge_oddeven_config_static_selectorELNS0_4arch9wavefront6targetE1EEEvSK_,"axG",@progbits,_ZN7rocprim17ROCPRIM_400000_NS6detail17trampoline_kernelINS0_14default_configENS1_38merge_sort_block_merge_config_selectorIyNS0_10empty_typeEEEZZNS1_27merge_sort_block_merge_implIS3_N6thrust23THRUST_200600_302600_NS6detail15normal_iteratorINS9_10device_ptrIyEEEEPS5_m14custom_greaterIyEEE10hipError_tT0_T1_T2_jT3_P12ihipStream_tbPNSt15iterator_traitsISJ_E10value_typeEPNSP_ISK_E10value_typeEPSL_NS1_7vsmem_tEENKUlT_SJ_SK_SL_E_clISE_PySF_SF_EESI_SY_SJ_SK_SL_EUlSY_E1_NS1_11comp_targetILNS1_3genE10ELNS1_11target_archE1201ELNS1_3gpuE5ELNS1_3repE0EEENS1_36merge_oddeven_config_static_selectorELNS0_4arch9wavefront6targetE1EEEvSK_,comdat
.Lfunc_end3504:
	.size	_ZN7rocprim17ROCPRIM_400000_NS6detail17trampoline_kernelINS0_14default_configENS1_38merge_sort_block_merge_config_selectorIyNS0_10empty_typeEEEZZNS1_27merge_sort_block_merge_implIS3_N6thrust23THRUST_200600_302600_NS6detail15normal_iteratorINS9_10device_ptrIyEEEEPS5_m14custom_greaterIyEEE10hipError_tT0_T1_T2_jT3_P12ihipStream_tbPNSt15iterator_traitsISJ_E10value_typeEPNSP_ISK_E10value_typeEPSL_NS1_7vsmem_tEENKUlT_SJ_SK_SL_E_clISE_PySF_SF_EESI_SY_SJ_SK_SL_EUlSY_E1_NS1_11comp_targetILNS1_3genE10ELNS1_11target_archE1201ELNS1_3gpuE5ELNS1_3repE0EEENS1_36merge_oddeven_config_static_selectorELNS0_4arch9wavefront6targetE1EEEvSK_, .Lfunc_end3504-_ZN7rocprim17ROCPRIM_400000_NS6detail17trampoline_kernelINS0_14default_configENS1_38merge_sort_block_merge_config_selectorIyNS0_10empty_typeEEEZZNS1_27merge_sort_block_merge_implIS3_N6thrust23THRUST_200600_302600_NS6detail15normal_iteratorINS9_10device_ptrIyEEEEPS5_m14custom_greaterIyEEE10hipError_tT0_T1_T2_jT3_P12ihipStream_tbPNSt15iterator_traitsISJ_E10value_typeEPNSP_ISK_E10value_typeEPSL_NS1_7vsmem_tEENKUlT_SJ_SK_SL_E_clISE_PySF_SF_EESI_SY_SJ_SK_SL_EUlSY_E1_NS1_11comp_targetILNS1_3genE10ELNS1_11target_archE1201ELNS1_3gpuE5ELNS1_3repE0EEENS1_36merge_oddeven_config_static_selectorELNS0_4arch9wavefront6targetE1EEEvSK_
                                        ; -- End function
	.section	.AMDGPU.csdata,"",@progbits
; Kernel info:
; codeLenInByte = 0
; NumSgprs: 4
; NumVgprs: 0
; NumAgprs: 0
; TotalNumVgprs: 0
; ScratchSize: 0
; MemoryBound: 0
; FloatMode: 240
; IeeeMode: 1
; LDSByteSize: 0 bytes/workgroup (compile time only)
; SGPRBlocks: 0
; VGPRBlocks: 0
; NumSGPRsForWavesPerEU: 4
; NumVGPRsForWavesPerEU: 1
; AccumOffset: 4
; Occupancy: 8
; WaveLimiterHint : 0
; COMPUTE_PGM_RSRC2:SCRATCH_EN: 0
; COMPUTE_PGM_RSRC2:USER_SGPR: 6
; COMPUTE_PGM_RSRC2:TRAP_HANDLER: 0
; COMPUTE_PGM_RSRC2:TGID_X_EN: 1
; COMPUTE_PGM_RSRC2:TGID_Y_EN: 0
; COMPUTE_PGM_RSRC2:TGID_Z_EN: 0
; COMPUTE_PGM_RSRC2:TIDIG_COMP_CNT: 0
; COMPUTE_PGM_RSRC3_GFX90A:ACCUM_OFFSET: 0
; COMPUTE_PGM_RSRC3_GFX90A:TG_SPLIT: 0
	.section	.text._ZN7rocprim17ROCPRIM_400000_NS6detail17trampoline_kernelINS0_14default_configENS1_38merge_sort_block_merge_config_selectorIyNS0_10empty_typeEEEZZNS1_27merge_sort_block_merge_implIS3_N6thrust23THRUST_200600_302600_NS6detail15normal_iteratorINS9_10device_ptrIyEEEEPS5_m14custom_greaterIyEEE10hipError_tT0_T1_T2_jT3_P12ihipStream_tbPNSt15iterator_traitsISJ_E10value_typeEPNSP_ISK_E10value_typeEPSL_NS1_7vsmem_tEENKUlT_SJ_SK_SL_E_clISE_PySF_SF_EESI_SY_SJ_SK_SL_EUlSY_E1_NS1_11comp_targetILNS1_3genE5ELNS1_11target_archE942ELNS1_3gpuE9ELNS1_3repE0EEENS1_36merge_oddeven_config_static_selectorELNS0_4arch9wavefront6targetE1EEEvSK_,"axG",@progbits,_ZN7rocprim17ROCPRIM_400000_NS6detail17trampoline_kernelINS0_14default_configENS1_38merge_sort_block_merge_config_selectorIyNS0_10empty_typeEEEZZNS1_27merge_sort_block_merge_implIS3_N6thrust23THRUST_200600_302600_NS6detail15normal_iteratorINS9_10device_ptrIyEEEEPS5_m14custom_greaterIyEEE10hipError_tT0_T1_T2_jT3_P12ihipStream_tbPNSt15iterator_traitsISJ_E10value_typeEPNSP_ISK_E10value_typeEPSL_NS1_7vsmem_tEENKUlT_SJ_SK_SL_E_clISE_PySF_SF_EESI_SY_SJ_SK_SL_EUlSY_E1_NS1_11comp_targetILNS1_3genE5ELNS1_11target_archE942ELNS1_3gpuE9ELNS1_3repE0EEENS1_36merge_oddeven_config_static_selectorELNS0_4arch9wavefront6targetE1EEEvSK_,comdat
	.protected	_ZN7rocprim17ROCPRIM_400000_NS6detail17trampoline_kernelINS0_14default_configENS1_38merge_sort_block_merge_config_selectorIyNS0_10empty_typeEEEZZNS1_27merge_sort_block_merge_implIS3_N6thrust23THRUST_200600_302600_NS6detail15normal_iteratorINS9_10device_ptrIyEEEEPS5_m14custom_greaterIyEEE10hipError_tT0_T1_T2_jT3_P12ihipStream_tbPNSt15iterator_traitsISJ_E10value_typeEPNSP_ISK_E10value_typeEPSL_NS1_7vsmem_tEENKUlT_SJ_SK_SL_E_clISE_PySF_SF_EESI_SY_SJ_SK_SL_EUlSY_E1_NS1_11comp_targetILNS1_3genE5ELNS1_11target_archE942ELNS1_3gpuE9ELNS1_3repE0EEENS1_36merge_oddeven_config_static_selectorELNS0_4arch9wavefront6targetE1EEEvSK_ ; -- Begin function _ZN7rocprim17ROCPRIM_400000_NS6detail17trampoline_kernelINS0_14default_configENS1_38merge_sort_block_merge_config_selectorIyNS0_10empty_typeEEEZZNS1_27merge_sort_block_merge_implIS3_N6thrust23THRUST_200600_302600_NS6detail15normal_iteratorINS9_10device_ptrIyEEEEPS5_m14custom_greaterIyEEE10hipError_tT0_T1_T2_jT3_P12ihipStream_tbPNSt15iterator_traitsISJ_E10value_typeEPNSP_ISK_E10value_typeEPSL_NS1_7vsmem_tEENKUlT_SJ_SK_SL_E_clISE_PySF_SF_EESI_SY_SJ_SK_SL_EUlSY_E1_NS1_11comp_targetILNS1_3genE5ELNS1_11target_archE942ELNS1_3gpuE9ELNS1_3repE0EEENS1_36merge_oddeven_config_static_selectorELNS0_4arch9wavefront6targetE1EEEvSK_
	.globl	_ZN7rocprim17ROCPRIM_400000_NS6detail17trampoline_kernelINS0_14default_configENS1_38merge_sort_block_merge_config_selectorIyNS0_10empty_typeEEEZZNS1_27merge_sort_block_merge_implIS3_N6thrust23THRUST_200600_302600_NS6detail15normal_iteratorINS9_10device_ptrIyEEEEPS5_m14custom_greaterIyEEE10hipError_tT0_T1_T2_jT3_P12ihipStream_tbPNSt15iterator_traitsISJ_E10value_typeEPNSP_ISK_E10value_typeEPSL_NS1_7vsmem_tEENKUlT_SJ_SK_SL_E_clISE_PySF_SF_EESI_SY_SJ_SK_SL_EUlSY_E1_NS1_11comp_targetILNS1_3genE5ELNS1_11target_archE942ELNS1_3gpuE9ELNS1_3repE0EEENS1_36merge_oddeven_config_static_selectorELNS0_4arch9wavefront6targetE1EEEvSK_
	.p2align	8
	.type	_ZN7rocprim17ROCPRIM_400000_NS6detail17trampoline_kernelINS0_14default_configENS1_38merge_sort_block_merge_config_selectorIyNS0_10empty_typeEEEZZNS1_27merge_sort_block_merge_implIS3_N6thrust23THRUST_200600_302600_NS6detail15normal_iteratorINS9_10device_ptrIyEEEEPS5_m14custom_greaterIyEEE10hipError_tT0_T1_T2_jT3_P12ihipStream_tbPNSt15iterator_traitsISJ_E10value_typeEPNSP_ISK_E10value_typeEPSL_NS1_7vsmem_tEENKUlT_SJ_SK_SL_E_clISE_PySF_SF_EESI_SY_SJ_SK_SL_EUlSY_E1_NS1_11comp_targetILNS1_3genE5ELNS1_11target_archE942ELNS1_3gpuE9ELNS1_3repE0EEENS1_36merge_oddeven_config_static_selectorELNS0_4arch9wavefront6targetE1EEEvSK_,@function
_ZN7rocprim17ROCPRIM_400000_NS6detail17trampoline_kernelINS0_14default_configENS1_38merge_sort_block_merge_config_selectorIyNS0_10empty_typeEEEZZNS1_27merge_sort_block_merge_implIS3_N6thrust23THRUST_200600_302600_NS6detail15normal_iteratorINS9_10device_ptrIyEEEEPS5_m14custom_greaterIyEEE10hipError_tT0_T1_T2_jT3_P12ihipStream_tbPNSt15iterator_traitsISJ_E10value_typeEPNSP_ISK_E10value_typeEPSL_NS1_7vsmem_tEENKUlT_SJ_SK_SL_E_clISE_PySF_SF_EESI_SY_SJ_SK_SL_EUlSY_E1_NS1_11comp_targetILNS1_3genE5ELNS1_11target_archE942ELNS1_3gpuE9ELNS1_3repE0EEENS1_36merge_oddeven_config_static_selectorELNS0_4arch9wavefront6targetE1EEEvSK_: ; @_ZN7rocprim17ROCPRIM_400000_NS6detail17trampoline_kernelINS0_14default_configENS1_38merge_sort_block_merge_config_selectorIyNS0_10empty_typeEEEZZNS1_27merge_sort_block_merge_implIS3_N6thrust23THRUST_200600_302600_NS6detail15normal_iteratorINS9_10device_ptrIyEEEEPS5_m14custom_greaterIyEEE10hipError_tT0_T1_T2_jT3_P12ihipStream_tbPNSt15iterator_traitsISJ_E10value_typeEPNSP_ISK_E10value_typeEPSL_NS1_7vsmem_tEENKUlT_SJ_SK_SL_E_clISE_PySF_SF_EESI_SY_SJ_SK_SL_EUlSY_E1_NS1_11comp_targetILNS1_3genE5ELNS1_11target_archE942ELNS1_3gpuE9ELNS1_3repE0EEENS1_36merge_oddeven_config_static_selectorELNS0_4arch9wavefront6targetE1EEEvSK_
; %bb.0:
	.section	.rodata,"a",@progbits
	.p2align	6, 0x0
	.amdhsa_kernel _ZN7rocprim17ROCPRIM_400000_NS6detail17trampoline_kernelINS0_14default_configENS1_38merge_sort_block_merge_config_selectorIyNS0_10empty_typeEEEZZNS1_27merge_sort_block_merge_implIS3_N6thrust23THRUST_200600_302600_NS6detail15normal_iteratorINS9_10device_ptrIyEEEEPS5_m14custom_greaterIyEEE10hipError_tT0_T1_T2_jT3_P12ihipStream_tbPNSt15iterator_traitsISJ_E10value_typeEPNSP_ISK_E10value_typeEPSL_NS1_7vsmem_tEENKUlT_SJ_SK_SL_E_clISE_PySF_SF_EESI_SY_SJ_SK_SL_EUlSY_E1_NS1_11comp_targetILNS1_3genE5ELNS1_11target_archE942ELNS1_3gpuE9ELNS1_3repE0EEENS1_36merge_oddeven_config_static_selectorELNS0_4arch9wavefront6targetE1EEEvSK_
		.amdhsa_group_segment_fixed_size 0
		.amdhsa_private_segment_fixed_size 0
		.amdhsa_kernarg_size 56
		.amdhsa_user_sgpr_count 6
		.amdhsa_user_sgpr_private_segment_buffer 1
		.amdhsa_user_sgpr_dispatch_ptr 0
		.amdhsa_user_sgpr_queue_ptr 0
		.amdhsa_user_sgpr_kernarg_segment_ptr 1
		.amdhsa_user_sgpr_dispatch_id 0
		.amdhsa_user_sgpr_flat_scratch_init 0
		.amdhsa_user_sgpr_kernarg_preload_length 0
		.amdhsa_user_sgpr_kernarg_preload_offset 0
		.amdhsa_user_sgpr_private_segment_size 0
		.amdhsa_uses_dynamic_stack 0
		.amdhsa_system_sgpr_private_segment_wavefront_offset 0
		.amdhsa_system_sgpr_workgroup_id_x 1
		.amdhsa_system_sgpr_workgroup_id_y 0
		.amdhsa_system_sgpr_workgroup_id_z 0
		.amdhsa_system_sgpr_workgroup_info 0
		.amdhsa_system_vgpr_workitem_id 0
		.amdhsa_next_free_vgpr 1
		.amdhsa_next_free_sgpr 0
		.amdhsa_accum_offset 4
		.amdhsa_reserve_vcc 0
		.amdhsa_reserve_flat_scratch 0
		.amdhsa_float_round_mode_32 0
		.amdhsa_float_round_mode_16_64 0
		.amdhsa_float_denorm_mode_32 3
		.amdhsa_float_denorm_mode_16_64 3
		.amdhsa_dx10_clamp 1
		.amdhsa_ieee_mode 1
		.amdhsa_fp16_overflow 0
		.amdhsa_tg_split 0
		.amdhsa_exception_fp_ieee_invalid_op 0
		.amdhsa_exception_fp_denorm_src 0
		.amdhsa_exception_fp_ieee_div_zero 0
		.amdhsa_exception_fp_ieee_overflow 0
		.amdhsa_exception_fp_ieee_underflow 0
		.amdhsa_exception_fp_ieee_inexact 0
		.amdhsa_exception_int_div_zero 0
	.end_amdhsa_kernel
	.section	.text._ZN7rocprim17ROCPRIM_400000_NS6detail17trampoline_kernelINS0_14default_configENS1_38merge_sort_block_merge_config_selectorIyNS0_10empty_typeEEEZZNS1_27merge_sort_block_merge_implIS3_N6thrust23THRUST_200600_302600_NS6detail15normal_iteratorINS9_10device_ptrIyEEEEPS5_m14custom_greaterIyEEE10hipError_tT0_T1_T2_jT3_P12ihipStream_tbPNSt15iterator_traitsISJ_E10value_typeEPNSP_ISK_E10value_typeEPSL_NS1_7vsmem_tEENKUlT_SJ_SK_SL_E_clISE_PySF_SF_EESI_SY_SJ_SK_SL_EUlSY_E1_NS1_11comp_targetILNS1_3genE5ELNS1_11target_archE942ELNS1_3gpuE9ELNS1_3repE0EEENS1_36merge_oddeven_config_static_selectorELNS0_4arch9wavefront6targetE1EEEvSK_,"axG",@progbits,_ZN7rocprim17ROCPRIM_400000_NS6detail17trampoline_kernelINS0_14default_configENS1_38merge_sort_block_merge_config_selectorIyNS0_10empty_typeEEEZZNS1_27merge_sort_block_merge_implIS3_N6thrust23THRUST_200600_302600_NS6detail15normal_iteratorINS9_10device_ptrIyEEEEPS5_m14custom_greaterIyEEE10hipError_tT0_T1_T2_jT3_P12ihipStream_tbPNSt15iterator_traitsISJ_E10value_typeEPNSP_ISK_E10value_typeEPSL_NS1_7vsmem_tEENKUlT_SJ_SK_SL_E_clISE_PySF_SF_EESI_SY_SJ_SK_SL_EUlSY_E1_NS1_11comp_targetILNS1_3genE5ELNS1_11target_archE942ELNS1_3gpuE9ELNS1_3repE0EEENS1_36merge_oddeven_config_static_selectorELNS0_4arch9wavefront6targetE1EEEvSK_,comdat
.Lfunc_end3505:
	.size	_ZN7rocprim17ROCPRIM_400000_NS6detail17trampoline_kernelINS0_14default_configENS1_38merge_sort_block_merge_config_selectorIyNS0_10empty_typeEEEZZNS1_27merge_sort_block_merge_implIS3_N6thrust23THRUST_200600_302600_NS6detail15normal_iteratorINS9_10device_ptrIyEEEEPS5_m14custom_greaterIyEEE10hipError_tT0_T1_T2_jT3_P12ihipStream_tbPNSt15iterator_traitsISJ_E10value_typeEPNSP_ISK_E10value_typeEPSL_NS1_7vsmem_tEENKUlT_SJ_SK_SL_E_clISE_PySF_SF_EESI_SY_SJ_SK_SL_EUlSY_E1_NS1_11comp_targetILNS1_3genE5ELNS1_11target_archE942ELNS1_3gpuE9ELNS1_3repE0EEENS1_36merge_oddeven_config_static_selectorELNS0_4arch9wavefront6targetE1EEEvSK_, .Lfunc_end3505-_ZN7rocprim17ROCPRIM_400000_NS6detail17trampoline_kernelINS0_14default_configENS1_38merge_sort_block_merge_config_selectorIyNS0_10empty_typeEEEZZNS1_27merge_sort_block_merge_implIS3_N6thrust23THRUST_200600_302600_NS6detail15normal_iteratorINS9_10device_ptrIyEEEEPS5_m14custom_greaterIyEEE10hipError_tT0_T1_T2_jT3_P12ihipStream_tbPNSt15iterator_traitsISJ_E10value_typeEPNSP_ISK_E10value_typeEPSL_NS1_7vsmem_tEENKUlT_SJ_SK_SL_E_clISE_PySF_SF_EESI_SY_SJ_SK_SL_EUlSY_E1_NS1_11comp_targetILNS1_3genE5ELNS1_11target_archE942ELNS1_3gpuE9ELNS1_3repE0EEENS1_36merge_oddeven_config_static_selectorELNS0_4arch9wavefront6targetE1EEEvSK_
                                        ; -- End function
	.section	.AMDGPU.csdata,"",@progbits
; Kernel info:
; codeLenInByte = 0
; NumSgprs: 4
; NumVgprs: 0
; NumAgprs: 0
; TotalNumVgprs: 0
; ScratchSize: 0
; MemoryBound: 0
; FloatMode: 240
; IeeeMode: 1
; LDSByteSize: 0 bytes/workgroup (compile time only)
; SGPRBlocks: 0
; VGPRBlocks: 0
; NumSGPRsForWavesPerEU: 4
; NumVGPRsForWavesPerEU: 1
; AccumOffset: 4
; Occupancy: 8
; WaveLimiterHint : 0
; COMPUTE_PGM_RSRC2:SCRATCH_EN: 0
; COMPUTE_PGM_RSRC2:USER_SGPR: 6
; COMPUTE_PGM_RSRC2:TRAP_HANDLER: 0
; COMPUTE_PGM_RSRC2:TGID_X_EN: 1
; COMPUTE_PGM_RSRC2:TGID_Y_EN: 0
; COMPUTE_PGM_RSRC2:TGID_Z_EN: 0
; COMPUTE_PGM_RSRC2:TIDIG_COMP_CNT: 0
; COMPUTE_PGM_RSRC3_GFX90A:ACCUM_OFFSET: 0
; COMPUTE_PGM_RSRC3_GFX90A:TG_SPLIT: 0
	.section	.text._ZN7rocprim17ROCPRIM_400000_NS6detail17trampoline_kernelINS0_14default_configENS1_38merge_sort_block_merge_config_selectorIyNS0_10empty_typeEEEZZNS1_27merge_sort_block_merge_implIS3_N6thrust23THRUST_200600_302600_NS6detail15normal_iteratorINS9_10device_ptrIyEEEEPS5_m14custom_greaterIyEEE10hipError_tT0_T1_T2_jT3_P12ihipStream_tbPNSt15iterator_traitsISJ_E10value_typeEPNSP_ISK_E10value_typeEPSL_NS1_7vsmem_tEENKUlT_SJ_SK_SL_E_clISE_PySF_SF_EESI_SY_SJ_SK_SL_EUlSY_E1_NS1_11comp_targetILNS1_3genE4ELNS1_11target_archE910ELNS1_3gpuE8ELNS1_3repE0EEENS1_36merge_oddeven_config_static_selectorELNS0_4arch9wavefront6targetE1EEEvSK_,"axG",@progbits,_ZN7rocprim17ROCPRIM_400000_NS6detail17trampoline_kernelINS0_14default_configENS1_38merge_sort_block_merge_config_selectorIyNS0_10empty_typeEEEZZNS1_27merge_sort_block_merge_implIS3_N6thrust23THRUST_200600_302600_NS6detail15normal_iteratorINS9_10device_ptrIyEEEEPS5_m14custom_greaterIyEEE10hipError_tT0_T1_T2_jT3_P12ihipStream_tbPNSt15iterator_traitsISJ_E10value_typeEPNSP_ISK_E10value_typeEPSL_NS1_7vsmem_tEENKUlT_SJ_SK_SL_E_clISE_PySF_SF_EESI_SY_SJ_SK_SL_EUlSY_E1_NS1_11comp_targetILNS1_3genE4ELNS1_11target_archE910ELNS1_3gpuE8ELNS1_3repE0EEENS1_36merge_oddeven_config_static_selectorELNS0_4arch9wavefront6targetE1EEEvSK_,comdat
	.protected	_ZN7rocprim17ROCPRIM_400000_NS6detail17trampoline_kernelINS0_14default_configENS1_38merge_sort_block_merge_config_selectorIyNS0_10empty_typeEEEZZNS1_27merge_sort_block_merge_implIS3_N6thrust23THRUST_200600_302600_NS6detail15normal_iteratorINS9_10device_ptrIyEEEEPS5_m14custom_greaterIyEEE10hipError_tT0_T1_T2_jT3_P12ihipStream_tbPNSt15iterator_traitsISJ_E10value_typeEPNSP_ISK_E10value_typeEPSL_NS1_7vsmem_tEENKUlT_SJ_SK_SL_E_clISE_PySF_SF_EESI_SY_SJ_SK_SL_EUlSY_E1_NS1_11comp_targetILNS1_3genE4ELNS1_11target_archE910ELNS1_3gpuE8ELNS1_3repE0EEENS1_36merge_oddeven_config_static_selectorELNS0_4arch9wavefront6targetE1EEEvSK_ ; -- Begin function _ZN7rocprim17ROCPRIM_400000_NS6detail17trampoline_kernelINS0_14default_configENS1_38merge_sort_block_merge_config_selectorIyNS0_10empty_typeEEEZZNS1_27merge_sort_block_merge_implIS3_N6thrust23THRUST_200600_302600_NS6detail15normal_iteratorINS9_10device_ptrIyEEEEPS5_m14custom_greaterIyEEE10hipError_tT0_T1_T2_jT3_P12ihipStream_tbPNSt15iterator_traitsISJ_E10value_typeEPNSP_ISK_E10value_typeEPSL_NS1_7vsmem_tEENKUlT_SJ_SK_SL_E_clISE_PySF_SF_EESI_SY_SJ_SK_SL_EUlSY_E1_NS1_11comp_targetILNS1_3genE4ELNS1_11target_archE910ELNS1_3gpuE8ELNS1_3repE0EEENS1_36merge_oddeven_config_static_selectorELNS0_4arch9wavefront6targetE1EEEvSK_
	.globl	_ZN7rocprim17ROCPRIM_400000_NS6detail17trampoline_kernelINS0_14default_configENS1_38merge_sort_block_merge_config_selectorIyNS0_10empty_typeEEEZZNS1_27merge_sort_block_merge_implIS3_N6thrust23THRUST_200600_302600_NS6detail15normal_iteratorINS9_10device_ptrIyEEEEPS5_m14custom_greaterIyEEE10hipError_tT0_T1_T2_jT3_P12ihipStream_tbPNSt15iterator_traitsISJ_E10value_typeEPNSP_ISK_E10value_typeEPSL_NS1_7vsmem_tEENKUlT_SJ_SK_SL_E_clISE_PySF_SF_EESI_SY_SJ_SK_SL_EUlSY_E1_NS1_11comp_targetILNS1_3genE4ELNS1_11target_archE910ELNS1_3gpuE8ELNS1_3repE0EEENS1_36merge_oddeven_config_static_selectorELNS0_4arch9wavefront6targetE1EEEvSK_
	.p2align	8
	.type	_ZN7rocprim17ROCPRIM_400000_NS6detail17trampoline_kernelINS0_14default_configENS1_38merge_sort_block_merge_config_selectorIyNS0_10empty_typeEEEZZNS1_27merge_sort_block_merge_implIS3_N6thrust23THRUST_200600_302600_NS6detail15normal_iteratorINS9_10device_ptrIyEEEEPS5_m14custom_greaterIyEEE10hipError_tT0_T1_T2_jT3_P12ihipStream_tbPNSt15iterator_traitsISJ_E10value_typeEPNSP_ISK_E10value_typeEPSL_NS1_7vsmem_tEENKUlT_SJ_SK_SL_E_clISE_PySF_SF_EESI_SY_SJ_SK_SL_EUlSY_E1_NS1_11comp_targetILNS1_3genE4ELNS1_11target_archE910ELNS1_3gpuE8ELNS1_3repE0EEENS1_36merge_oddeven_config_static_selectorELNS0_4arch9wavefront6targetE1EEEvSK_,@function
_ZN7rocprim17ROCPRIM_400000_NS6detail17trampoline_kernelINS0_14default_configENS1_38merge_sort_block_merge_config_selectorIyNS0_10empty_typeEEEZZNS1_27merge_sort_block_merge_implIS3_N6thrust23THRUST_200600_302600_NS6detail15normal_iteratorINS9_10device_ptrIyEEEEPS5_m14custom_greaterIyEEE10hipError_tT0_T1_T2_jT3_P12ihipStream_tbPNSt15iterator_traitsISJ_E10value_typeEPNSP_ISK_E10value_typeEPSL_NS1_7vsmem_tEENKUlT_SJ_SK_SL_E_clISE_PySF_SF_EESI_SY_SJ_SK_SL_EUlSY_E1_NS1_11comp_targetILNS1_3genE4ELNS1_11target_archE910ELNS1_3gpuE8ELNS1_3repE0EEENS1_36merge_oddeven_config_static_selectorELNS0_4arch9wavefront6targetE1EEEvSK_: ; @_ZN7rocprim17ROCPRIM_400000_NS6detail17trampoline_kernelINS0_14default_configENS1_38merge_sort_block_merge_config_selectorIyNS0_10empty_typeEEEZZNS1_27merge_sort_block_merge_implIS3_N6thrust23THRUST_200600_302600_NS6detail15normal_iteratorINS9_10device_ptrIyEEEEPS5_m14custom_greaterIyEEE10hipError_tT0_T1_T2_jT3_P12ihipStream_tbPNSt15iterator_traitsISJ_E10value_typeEPNSP_ISK_E10value_typeEPSL_NS1_7vsmem_tEENKUlT_SJ_SK_SL_E_clISE_PySF_SF_EESI_SY_SJ_SK_SL_EUlSY_E1_NS1_11comp_targetILNS1_3genE4ELNS1_11target_archE910ELNS1_3gpuE8ELNS1_3repE0EEENS1_36merge_oddeven_config_static_selectorELNS0_4arch9wavefront6targetE1EEEvSK_
; %bb.0:
	s_load_dword s18, s[4:5], 0x20
	s_waitcnt lgkmcnt(0)
	s_lshr_b32 s0, s18, 8
	s_cmp_lg_u32 s6, s0
	s_cselect_b64 s[14:15], -1, 0
	s_cmp_eq_u32 s6, s0
	s_cselect_b64 s[12:13], -1, 0
	s_lshl_b32 s16, s6, 8
	s_sub_i32 s0, s18, s16
	v_cmp_gt_u32_e64 s[2:3], s0, v0
	s_or_b64 s[0:1], s[14:15], s[2:3]
	s_and_saveexec_b64 s[8:9], s[0:1]
	s_cbranch_execz .LBB3506_20
; %bb.1:
	s_load_dwordx4 s[8:11], s[4:5], 0x0
	s_load_dword s19, s[4:5], 0x28
	s_mov_b32 s17, 0
	s_lshl_b64 s[0:1], s[16:17], 3
	v_lshlrev_b32_e32 v1, 3, v0
	s_waitcnt lgkmcnt(0)
	s_add_u32 s0, s8, s0
	s_addc_u32 s1, s9, s1
	global_load_dwordx2 v[2:3], v1, s[0:1]
	s_lshr_b32 s0, s19, 8
	s_sub_i32 s1, 0, s0
	s_and_b32 s1, s6, s1
	s_and_b32 s0, s1, s0
	s_lshl_b32 s20, s1, 8
	s_sub_i32 s6, 0, s19
	s_cmp_eq_u32 s0, 0
	s_cselect_b64 s[0:1], -1, 0
	s_and_b64 s[4:5], s[0:1], exec
	s_cselect_b32 s17, s19, s6
	s_add_i32 s17, s17, s20
	s_cmp_lt_u32 s17, s18
	v_add_u32_e32 v0, s16, v0
	s_cbranch_scc1 .LBB3506_3
; %bb.2:
	v_cmp_gt_u32_e32 vcc, s18, v0
	s_or_b64 s[4:5], vcc, s[14:15]
	s_and_b64 s[4:5], s[4:5], exec
	s_cbranch_execz .LBB3506_4
	s_branch .LBB3506_18
.LBB3506_3:
	s_mov_b64 s[4:5], 0
.LBB3506_4:
	s_min_u32 s14, s17, s18
	s_add_i32 s6, s14, s19
	s_min_u32 s15, s6, s18
	s_min_u32 s6, s20, s14
	s_add_i32 s20, s20, s14
	v_subrev_u32_e32 v0, s20, v0
	v_add_u32_e32 v4, s6, v0
	s_and_b64 vcc, exec, s[12:13]
	s_cbranch_vccz .LBB3506_12
; %bb.5:
                                        ; implicit-def: $vgpr0
	s_and_saveexec_b64 s[6:7], s[2:3]
	s_cbranch_execz .LBB3506_11
; %bb.6:
	s_cmp_ge_u32 s17, s15
	v_mov_b32_e32 v5, s14
	s_cbranch_scc1 .LBB3506_10
; %bb.7:
	s_mov_b64 s[2:3], 0
	v_mov_b32_e32 v6, s15
	v_mov_b32_e32 v5, s14
	;; [unrolled: 1-line block ×4, first 2 shown]
.LBB3506_8:                             ; =>This Inner Loop Header: Depth=1
	v_add_u32_e32 v0, v5, v6
	v_lshrrev_b32_e32 v0, 1, v0
	v_lshlrev_b64 v[8:9], 3, v[0:1]
	v_add_co_u32_e32 v8, vcc, s8, v8
	v_addc_co_u32_e32 v9, vcc, v7, v9, vcc
	global_load_dwordx2 v[8:9], v[8:9], off
	v_add_u32_e32 v10, 1, v0
	s_waitcnt vmcnt(0)
	v_cmp_gt_u64_e32 vcc, v[2:3], v[8:9]
	v_cndmask_b32_e64 v11, 0, 1, vcc
	v_cmp_le_u64_e32 vcc, v[8:9], v[2:3]
	v_cndmask_b32_e64 v8, 0, 1, vcc
	v_cndmask_b32_e64 v8, v8, v11, s[0:1]
	v_and_b32_e32 v8, 1, v8
	v_cmp_eq_u32_e32 vcc, 1, v8
	v_cndmask_b32_e32 v6, v0, v6, vcc
	v_cndmask_b32_e32 v5, v5, v10, vcc
	v_cmp_ge_u32_e32 vcc, v5, v6
	s_or_b64 s[2:3], vcc, s[2:3]
	s_andn2_b64 exec, exec, s[2:3]
	s_cbranch_execnz .LBB3506_8
; %bb.9:
	s_or_b64 exec, exec, s[2:3]
.LBB3506_10:
	v_add_u32_e32 v0, v5, v4
	s_or_b64 s[4:5], s[4:5], exec
.LBB3506_11:
	s_or_b64 exec, exec, s[6:7]
	s_branch .LBB3506_18
.LBB3506_12:
                                        ; implicit-def: $vgpr0
	s_cbranch_execz .LBB3506_18
; %bb.13:
	s_cmp_ge_u32 s17, s15
	v_mov_b32_e32 v5, s14
	s_cbranch_scc1 .LBB3506_17
; %bb.14:
	s_mov_b64 s[2:3], 0
	v_mov_b32_e32 v6, s15
	v_mov_b32_e32 v5, s14
	;; [unrolled: 1-line block ×4, first 2 shown]
.LBB3506_15:                            ; =>This Inner Loop Header: Depth=1
	v_add_u32_e32 v0, v5, v6
	v_lshrrev_b32_e32 v0, 1, v0
	v_lshlrev_b64 v[8:9], 3, v[0:1]
	v_add_co_u32_e32 v8, vcc, s8, v8
	v_addc_co_u32_e32 v9, vcc, v7, v9, vcc
	global_load_dwordx2 v[8:9], v[8:9], off
	v_add_u32_e32 v10, 1, v0
	s_waitcnt vmcnt(0)
	v_cmp_gt_u64_e32 vcc, v[2:3], v[8:9]
	v_cndmask_b32_e64 v11, 0, 1, vcc
	v_cmp_le_u64_e32 vcc, v[8:9], v[2:3]
	v_cndmask_b32_e64 v8, 0, 1, vcc
	v_cndmask_b32_e64 v8, v8, v11, s[0:1]
	v_and_b32_e32 v8, 1, v8
	v_cmp_eq_u32_e32 vcc, 1, v8
	v_cndmask_b32_e32 v6, v0, v6, vcc
	v_cndmask_b32_e32 v5, v5, v10, vcc
	v_cmp_ge_u32_e32 vcc, v5, v6
	s_or_b64 s[2:3], vcc, s[2:3]
	s_andn2_b64 exec, exec, s[2:3]
	s_cbranch_execnz .LBB3506_15
; %bb.16:
	s_or_b64 exec, exec, s[2:3]
.LBB3506_17:
	v_add_u32_e32 v0, v5, v4
	s_mov_b64 s[4:5], -1
.LBB3506_18:
	s_and_b64 exec, exec, s[4:5]
	s_cbranch_execz .LBB3506_20
; %bb.19:
	v_mov_b32_e32 v1, 0
	v_lshlrev_b64 v[0:1], 3, v[0:1]
	v_mov_b32_e32 v4, s11
	v_add_co_u32_e32 v0, vcc, s10, v0
	v_addc_co_u32_e32 v1, vcc, v4, v1, vcc
	s_waitcnt vmcnt(0)
	global_store_dwordx2 v[0:1], v[2:3], off
.LBB3506_20:
	s_endpgm
	.section	.rodata,"a",@progbits
	.p2align	6, 0x0
	.amdhsa_kernel _ZN7rocprim17ROCPRIM_400000_NS6detail17trampoline_kernelINS0_14default_configENS1_38merge_sort_block_merge_config_selectorIyNS0_10empty_typeEEEZZNS1_27merge_sort_block_merge_implIS3_N6thrust23THRUST_200600_302600_NS6detail15normal_iteratorINS9_10device_ptrIyEEEEPS5_m14custom_greaterIyEEE10hipError_tT0_T1_T2_jT3_P12ihipStream_tbPNSt15iterator_traitsISJ_E10value_typeEPNSP_ISK_E10value_typeEPSL_NS1_7vsmem_tEENKUlT_SJ_SK_SL_E_clISE_PySF_SF_EESI_SY_SJ_SK_SL_EUlSY_E1_NS1_11comp_targetILNS1_3genE4ELNS1_11target_archE910ELNS1_3gpuE8ELNS1_3repE0EEENS1_36merge_oddeven_config_static_selectorELNS0_4arch9wavefront6targetE1EEEvSK_
		.amdhsa_group_segment_fixed_size 0
		.amdhsa_private_segment_fixed_size 0
		.amdhsa_kernarg_size 56
		.amdhsa_user_sgpr_count 6
		.amdhsa_user_sgpr_private_segment_buffer 1
		.amdhsa_user_sgpr_dispatch_ptr 0
		.amdhsa_user_sgpr_queue_ptr 0
		.amdhsa_user_sgpr_kernarg_segment_ptr 1
		.amdhsa_user_sgpr_dispatch_id 0
		.amdhsa_user_sgpr_flat_scratch_init 0
		.amdhsa_user_sgpr_kernarg_preload_length 0
		.amdhsa_user_sgpr_kernarg_preload_offset 0
		.amdhsa_user_sgpr_private_segment_size 0
		.amdhsa_uses_dynamic_stack 0
		.amdhsa_system_sgpr_private_segment_wavefront_offset 0
		.amdhsa_system_sgpr_workgroup_id_x 1
		.amdhsa_system_sgpr_workgroup_id_y 0
		.amdhsa_system_sgpr_workgroup_id_z 0
		.amdhsa_system_sgpr_workgroup_info 0
		.amdhsa_system_vgpr_workitem_id 0
		.amdhsa_next_free_vgpr 12
		.amdhsa_next_free_sgpr 21
		.amdhsa_accum_offset 12
		.amdhsa_reserve_vcc 1
		.amdhsa_reserve_flat_scratch 0
		.amdhsa_float_round_mode_32 0
		.amdhsa_float_round_mode_16_64 0
		.amdhsa_float_denorm_mode_32 3
		.amdhsa_float_denorm_mode_16_64 3
		.amdhsa_dx10_clamp 1
		.amdhsa_ieee_mode 1
		.amdhsa_fp16_overflow 0
		.amdhsa_tg_split 0
		.amdhsa_exception_fp_ieee_invalid_op 0
		.amdhsa_exception_fp_denorm_src 0
		.amdhsa_exception_fp_ieee_div_zero 0
		.amdhsa_exception_fp_ieee_overflow 0
		.amdhsa_exception_fp_ieee_underflow 0
		.amdhsa_exception_fp_ieee_inexact 0
		.amdhsa_exception_int_div_zero 0
	.end_amdhsa_kernel
	.section	.text._ZN7rocprim17ROCPRIM_400000_NS6detail17trampoline_kernelINS0_14default_configENS1_38merge_sort_block_merge_config_selectorIyNS0_10empty_typeEEEZZNS1_27merge_sort_block_merge_implIS3_N6thrust23THRUST_200600_302600_NS6detail15normal_iteratorINS9_10device_ptrIyEEEEPS5_m14custom_greaterIyEEE10hipError_tT0_T1_T2_jT3_P12ihipStream_tbPNSt15iterator_traitsISJ_E10value_typeEPNSP_ISK_E10value_typeEPSL_NS1_7vsmem_tEENKUlT_SJ_SK_SL_E_clISE_PySF_SF_EESI_SY_SJ_SK_SL_EUlSY_E1_NS1_11comp_targetILNS1_3genE4ELNS1_11target_archE910ELNS1_3gpuE8ELNS1_3repE0EEENS1_36merge_oddeven_config_static_selectorELNS0_4arch9wavefront6targetE1EEEvSK_,"axG",@progbits,_ZN7rocprim17ROCPRIM_400000_NS6detail17trampoline_kernelINS0_14default_configENS1_38merge_sort_block_merge_config_selectorIyNS0_10empty_typeEEEZZNS1_27merge_sort_block_merge_implIS3_N6thrust23THRUST_200600_302600_NS6detail15normal_iteratorINS9_10device_ptrIyEEEEPS5_m14custom_greaterIyEEE10hipError_tT0_T1_T2_jT3_P12ihipStream_tbPNSt15iterator_traitsISJ_E10value_typeEPNSP_ISK_E10value_typeEPSL_NS1_7vsmem_tEENKUlT_SJ_SK_SL_E_clISE_PySF_SF_EESI_SY_SJ_SK_SL_EUlSY_E1_NS1_11comp_targetILNS1_3genE4ELNS1_11target_archE910ELNS1_3gpuE8ELNS1_3repE0EEENS1_36merge_oddeven_config_static_selectorELNS0_4arch9wavefront6targetE1EEEvSK_,comdat
.Lfunc_end3506:
	.size	_ZN7rocprim17ROCPRIM_400000_NS6detail17trampoline_kernelINS0_14default_configENS1_38merge_sort_block_merge_config_selectorIyNS0_10empty_typeEEEZZNS1_27merge_sort_block_merge_implIS3_N6thrust23THRUST_200600_302600_NS6detail15normal_iteratorINS9_10device_ptrIyEEEEPS5_m14custom_greaterIyEEE10hipError_tT0_T1_T2_jT3_P12ihipStream_tbPNSt15iterator_traitsISJ_E10value_typeEPNSP_ISK_E10value_typeEPSL_NS1_7vsmem_tEENKUlT_SJ_SK_SL_E_clISE_PySF_SF_EESI_SY_SJ_SK_SL_EUlSY_E1_NS1_11comp_targetILNS1_3genE4ELNS1_11target_archE910ELNS1_3gpuE8ELNS1_3repE0EEENS1_36merge_oddeven_config_static_selectorELNS0_4arch9wavefront6targetE1EEEvSK_, .Lfunc_end3506-_ZN7rocprim17ROCPRIM_400000_NS6detail17trampoline_kernelINS0_14default_configENS1_38merge_sort_block_merge_config_selectorIyNS0_10empty_typeEEEZZNS1_27merge_sort_block_merge_implIS3_N6thrust23THRUST_200600_302600_NS6detail15normal_iteratorINS9_10device_ptrIyEEEEPS5_m14custom_greaterIyEEE10hipError_tT0_T1_T2_jT3_P12ihipStream_tbPNSt15iterator_traitsISJ_E10value_typeEPNSP_ISK_E10value_typeEPSL_NS1_7vsmem_tEENKUlT_SJ_SK_SL_E_clISE_PySF_SF_EESI_SY_SJ_SK_SL_EUlSY_E1_NS1_11comp_targetILNS1_3genE4ELNS1_11target_archE910ELNS1_3gpuE8ELNS1_3repE0EEENS1_36merge_oddeven_config_static_selectorELNS0_4arch9wavefront6targetE1EEEvSK_
                                        ; -- End function
	.section	.AMDGPU.csdata,"",@progbits
; Kernel info:
; codeLenInByte = 588
; NumSgprs: 25
; NumVgprs: 12
; NumAgprs: 0
; TotalNumVgprs: 12
; ScratchSize: 0
; MemoryBound: 0
; FloatMode: 240
; IeeeMode: 1
; LDSByteSize: 0 bytes/workgroup (compile time only)
; SGPRBlocks: 3
; VGPRBlocks: 1
; NumSGPRsForWavesPerEU: 25
; NumVGPRsForWavesPerEU: 12
; AccumOffset: 12
; Occupancy: 8
; WaveLimiterHint : 0
; COMPUTE_PGM_RSRC2:SCRATCH_EN: 0
; COMPUTE_PGM_RSRC2:USER_SGPR: 6
; COMPUTE_PGM_RSRC2:TRAP_HANDLER: 0
; COMPUTE_PGM_RSRC2:TGID_X_EN: 1
; COMPUTE_PGM_RSRC2:TGID_Y_EN: 0
; COMPUTE_PGM_RSRC2:TGID_Z_EN: 0
; COMPUTE_PGM_RSRC2:TIDIG_COMP_CNT: 0
; COMPUTE_PGM_RSRC3_GFX90A:ACCUM_OFFSET: 2
; COMPUTE_PGM_RSRC3_GFX90A:TG_SPLIT: 0
	.section	.text._ZN7rocprim17ROCPRIM_400000_NS6detail17trampoline_kernelINS0_14default_configENS1_38merge_sort_block_merge_config_selectorIyNS0_10empty_typeEEEZZNS1_27merge_sort_block_merge_implIS3_N6thrust23THRUST_200600_302600_NS6detail15normal_iteratorINS9_10device_ptrIyEEEEPS5_m14custom_greaterIyEEE10hipError_tT0_T1_T2_jT3_P12ihipStream_tbPNSt15iterator_traitsISJ_E10value_typeEPNSP_ISK_E10value_typeEPSL_NS1_7vsmem_tEENKUlT_SJ_SK_SL_E_clISE_PySF_SF_EESI_SY_SJ_SK_SL_EUlSY_E1_NS1_11comp_targetILNS1_3genE3ELNS1_11target_archE908ELNS1_3gpuE7ELNS1_3repE0EEENS1_36merge_oddeven_config_static_selectorELNS0_4arch9wavefront6targetE1EEEvSK_,"axG",@progbits,_ZN7rocprim17ROCPRIM_400000_NS6detail17trampoline_kernelINS0_14default_configENS1_38merge_sort_block_merge_config_selectorIyNS0_10empty_typeEEEZZNS1_27merge_sort_block_merge_implIS3_N6thrust23THRUST_200600_302600_NS6detail15normal_iteratorINS9_10device_ptrIyEEEEPS5_m14custom_greaterIyEEE10hipError_tT0_T1_T2_jT3_P12ihipStream_tbPNSt15iterator_traitsISJ_E10value_typeEPNSP_ISK_E10value_typeEPSL_NS1_7vsmem_tEENKUlT_SJ_SK_SL_E_clISE_PySF_SF_EESI_SY_SJ_SK_SL_EUlSY_E1_NS1_11comp_targetILNS1_3genE3ELNS1_11target_archE908ELNS1_3gpuE7ELNS1_3repE0EEENS1_36merge_oddeven_config_static_selectorELNS0_4arch9wavefront6targetE1EEEvSK_,comdat
	.protected	_ZN7rocprim17ROCPRIM_400000_NS6detail17trampoline_kernelINS0_14default_configENS1_38merge_sort_block_merge_config_selectorIyNS0_10empty_typeEEEZZNS1_27merge_sort_block_merge_implIS3_N6thrust23THRUST_200600_302600_NS6detail15normal_iteratorINS9_10device_ptrIyEEEEPS5_m14custom_greaterIyEEE10hipError_tT0_T1_T2_jT3_P12ihipStream_tbPNSt15iterator_traitsISJ_E10value_typeEPNSP_ISK_E10value_typeEPSL_NS1_7vsmem_tEENKUlT_SJ_SK_SL_E_clISE_PySF_SF_EESI_SY_SJ_SK_SL_EUlSY_E1_NS1_11comp_targetILNS1_3genE3ELNS1_11target_archE908ELNS1_3gpuE7ELNS1_3repE0EEENS1_36merge_oddeven_config_static_selectorELNS0_4arch9wavefront6targetE1EEEvSK_ ; -- Begin function _ZN7rocprim17ROCPRIM_400000_NS6detail17trampoline_kernelINS0_14default_configENS1_38merge_sort_block_merge_config_selectorIyNS0_10empty_typeEEEZZNS1_27merge_sort_block_merge_implIS3_N6thrust23THRUST_200600_302600_NS6detail15normal_iteratorINS9_10device_ptrIyEEEEPS5_m14custom_greaterIyEEE10hipError_tT0_T1_T2_jT3_P12ihipStream_tbPNSt15iterator_traitsISJ_E10value_typeEPNSP_ISK_E10value_typeEPSL_NS1_7vsmem_tEENKUlT_SJ_SK_SL_E_clISE_PySF_SF_EESI_SY_SJ_SK_SL_EUlSY_E1_NS1_11comp_targetILNS1_3genE3ELNS1_11target_archE908ELNS1_3gpuE7ELNS1_3repE0EEENS1_36merge_oddeven_config_static_selectorELNS0_4arch9wavefront6targetE1EEEvSK_
	.globl	_ZN7rocprim17ROCPRIM_400000_NS6detail17trampoline_kernelINS0_14default_configENS1_38merge_sort_block_merge_config_selectorIyNS0_10empty_typeEEEZZNS1_27merge_sort_block_merge_implIS3_N6thrust23THRUST_200600_302600_NS6detail15normal_iteratorINS9_10device_ptrIyEEEEPS5_m14custom_greaterIyEEE10hipError_tT0_T1_T2_jT3_P12ihipStream_tbPNSt15iterator_traitsISJ_E10value_typeEPNSP_ISK_E10value_typeEPSL_NS1_7vsmem_tEENKUlT_SJ_SK_SL_E_clISE_PySF_SF_EESI_SY_SJ_SK_SL_EUlSY_E1_NS1_11comp_targetILNS1_3genE3ELNS1_11target_archE908ELNS1_3gpuE7ELNS1_3repE0EEENS1_36merge_oddeven_config_static_selectorELNS0_4arch9wavefront6targetE1EEEvSK_
	.p2align	8
	.type	_ZN7rocprim17ROCPRIM_400000_NS6detail17trampoline_kernelINS0_14default_configENS1_38merge_sort_block_merge_config_selectorIyNS0_10empty_typeEEEZZNS1_27merge_sort_block_merge_implIS3_N6thrust23THRUST_200600_302600_NS6detail15normal_iteratorINS9_10device_ptrIyEEEEPS5_m14custom_greaterIyEEE10hipError_tT0_T1_T2_jT3_P12ihipStream_tbPNSt15iterator_traitsISJ_E10value_typeEPNSP_ISK_E10value_typeEPSL_NS1_7vsmem_tEENKUlT_SJ_SK_SL_E_clISE_PySF_SF_EESI_SY_SJ_SK_SL_EUlSY_E1_NS1_11comp_targetILNS1_3genE3ELNS1_11target_archE908ELNS1_3gpuE7ELNS1_3repE0EEENS1_36merge_oddeven_config_static_selectorELNS0_4arch9wavefront6targetE1EEEvSK_,@function
_ZN7rocprim17ROCPRIM_400000_NS6detail17trampoline_kernelINS0_14default_configENS1_38merge_sort_block_merge_config_selectorIyNS0_10empty_typeEEEZZNS1_27merge_sort_block_merge_implIS3_N6thrust23THRUST_200600_302600_NS6detail15normal_iteratorINS9_10device_ptrIyEEEEPS5_m14custom_greaterIyEEE10hipError_tT0_T1_T2_jT3_P12ihipStream_tbPNSt15iterator_traitsISJ_E10value_typeEPNSP_ISK_E10value_typeEPSL_NS1_7vsmem_tEENKUlT_SJ_SK_SL_E_clISE_PySF_SF_EESI_SY_SJ_SK_SL_EUlSY_E1_NS1_11comp_targetILNS1_3genE3ELNS1_11target_archE908ELNS1_3gpuE7ELNS1_3repE0EEENS1_36merge_oddeven_config_static_selectorELNS0_4arch9wavefront6targetE1EEEvSK_: ; @_ZN7rocprim17ROCPRIM_400000_NS6detail17trampoline_kernelINS0_14default_configENS1_38merge_sort_block_merge_config_selectorIyNS0_10empty_typeEEEZZNS1_27merge_sort_block_merge_implIS3_N6thrust23THRUST_200600_302600_NS6detail15normal_iteratorINS9_10device_ptrIyEEEEPS5_m14custom_greaterIyEEE10hipError_tT0_T1_T2_jT3_P12ihipStream_tbPNSt15iterator_traitsISJ_E10value_typeEPNSP_ISK_E10value_typeEPSL_NS1_7vsmem_tEENKUlT_SJ_SK_SL_E_clISE_PySF_SF_EESI_SY_SJ_SK_SL_EUlSY_E1_NS1_11comp_targetILNS1_3genE3ELNS1_11target_archE908ELNS1_3gpuE7ELNS1_3repE0EEENS1_36merge_oddeven_config_static_selectorELNS0_4arch9wavefront6targetE1EEEvSK_
; %bb.0:
	.section	.rodata,"a",@progbits
	.p2align	6, 0x0
	.amdhsa_kernel _ZN7rocprim17ROCPRIM_400000_NS6detail17trampoline_kernelINS0_14default_configENS1_38merge_sort_block_merge_config_selectorIyNS0_10empty_typeEEEZZNS1_27merge_sort_block_merge_implIS3_N6thrust23THRUST_200600_302600_NS6detail15normal_iteratorINS9_10device_ptrIyEEEEPS5_m14custom_greaterIyEEE10hipError_tT0_T1_T2_jT3_P12ihipStream_tbPNSt15iterator_traitsISJ_E10value_typeEPNSP_ISK_E10value_typeEPSL_NS1_7vsmem_tEENKUlT_SJ_SK_SL_E_clISE_PySF_SF_EESI_SY_SJ_SK_SL_EUlSY_E1_NS1_11comp_targetILNS1_3genE3ELNS1_11target_archE908ELNS1_3gpuE7ELNS1_3repE0EEENS1_36merge_oddeven_config_static_selectorELNS0_4arch9wavefront6targetE1EEEvSK_
		.amdhsa_group_segment_fixed_size 0
		.amdhsa_private_segment_fixed_size 0
		.amdhsa_kernarg_size 56
		.amdhsa_user_sgpr_count 6
		.amdhsa_user_sgpr_private_segment_buffer 1
		.amdhsa_user_sgpr_dispatch_ptr 0
		.amdhsa_user_sgpr_queue_ptr 0
		.amdhsa_user_sgpr_kernarg_segment_ptr 1
		.amdhsa_user_sgpr_dispatch_id 0
		.amdhsa_user_sgpr_flat_scratch_init 0
		.amdhsa_user_sgpr_kernarg_preload_length 0
		.amdhsa_user_sgpr_kernarg_preload_offset 0
		.amdhsa_user_sgpr_private_segment_size 0
		.amdhsa_uses_dynamic_stack 0
		.amdhsa_system_sgpr_private_segment_wavefront_offset 0
		.amdhsa_system_sgpr_workgroup_id_x 1
		.amdhsa_system_sgpr_workgroup_id_y 0
		.amdhsa_system_sgpr_workgroup_id_z 0
		.amdhsa_system_sgpr_workgroup_info 0
		.amdhsa_system_vgpr_workitem_id 0
		.amdhsa_next_free_vgpr 1
		.amdhsa_next_free_sgpr 0
		.amdhsa_accum_offset 4
		.amdhsa_reserve_vcc 0
		.amdhsa_reserve_flat_scratch 0
		.amdhsa_float_round_mode_32 0
		.amdhsa_float_round_mode_16_64 0
		.amdhsa_float_denorm_mode_32 3
		.amdhsa_float_denorm_mode_16_64 3
		.amdhsa_dx10_clamp 1
		.amdhsa_ieee_mode 1
		.amdhsa_fp16_overflow 0
		.amdhsa_tg_split 0
		.amdhsa_exception_fp_ieee_invalid_op 0
		.amdhsa_exception_fp_denorm_src 0
		.amdhsa_exception_fp_ieee_div_zero 0
		.amdhsa_exception_fp_ieee_overflow 0
		.amdhsa_exception_fp_ieee_underflow 0
		.amdhsa_exception_fp_ieee_inexact 0
		.amdhsa_exception_int_div_zero 0
	.end_amdhsa_kernel
	.section	.text._ZN7rocprim17ROCPRIM_400000_NS6detail17trampoline_kernelINS0_14default_configENS1_38merge_sort_block_merge_config_selectorIyNS0_10empty_typeEEEZZNS1_27merge_sort_block_merge_implIS3_N6thrust23THRUST_200600_302600_NS6detail15normal_iteratorINS9_10device_ptrIyEEEEPS5_m14custom_greaterIyEEE10hipError_tT0_T1_T2_jT3_P12ihipStream_tbPNSt15iterator_traitsISJ_E10value_typeEPNSP_ISK_E10value_typeEPSL_NS1_7vsmem_tEENKUlT_SJ_SK_SL_E_clISE_PySF_SF_EESI_SY_SJ_SK_SL_EUlSY_E1_NS1_11comp_targetILNS1_3genE3ELNS1_11target_archE908ELNS1_3gpuE7ELNS1_3repE0EEENS1_36merge_oddeven_config_static_selectorELNS0_4arch9wavefront6targetE1EEEvSK_,"axG",@progbits,_ZN7rocprim17ROCPRIM_400000_NS6detail17trampoline_kernelINS0_14default_configENS1_38merge_sort_block_merge_config_selectorIyNS0_10empty_typeEEEZZNS1_27merge_sort_block_merge_implIS3_N6thrust23THRUST_200600_302600_NS6detail15normal_iteratorINS9_10device_ptrIyEEEEPS5_m14custom_greaterIyEEE10hipError_tT0_T1_T2_jT3_P12ihipStream_tbPNSt15iterator_traitsISJ_E10value_typeEPNSP_ISK_E10value_typeEPSL_NS1_7vsmem_tEENKUlT_SJ_SK_SL_E_clISE_PySF_SF_EESI_SY_SJ_SK_SL_EUlSY_E1_NS1_11comp_targetILNS1_3genE3ELNS1_11target_archE908ELNS1_3gpuE7ELNS1_3repE0EEENS1_36merge_oddeven_config_static_selectorELNS0_4arch9wavefront6targetE1EEEvSK_,comdat
.Lfunc_end3507:
	.size	_ZN7rocprim17ROCPRIM_400000_NS6detail17trampoline_kernelINS0_14default_configENS1_38merge_sort_block_merge_config_selectorIyNS0_10empty_typeEEEZZNS1_27merge_sort_block_merge_implIS3_N6thrust23THRUST_200600_302600_NS6detail15normal_iteratorINS9_10device_ptrIyEEEEPS5_m14custom_greaterIyEEE10hipError_tT0_T1_T2_jT3_P12ihipStream_tbPNSt15iterator_traitsISJ_E10value_typeEPNSP_ISK_E10value_typeEPSL_NS1_7vsmem_tEENKUlT_SJ_SK_SL_E_clISE_PySF_SF_EESI_SY_SJ_SK_SL_EUlSY_E1_NS1_11comp_targetILNS1_3genE3ELNS1_11target_archE908ELNS1_3gpuE7ELNS1_3repE0EEENS1_36merge_oddeven_config_static_selectorELNS0_4arch9wavefront6targetE1EEEvSK_, .Lfunc_end3507-_ZN7rocprim17ROCPRIM_400000_NS6detail17trampoline_kernelINS0_14default_configENS1_38merge_sort_block_merge_config_selectorIyNS0_10empty_typeEEEZZNS1_27merge_sort_block_merge_implIS3_N6thrust23THRUST_200600_302600_NS6detail15normal_iteratorINS9_10device_ptrIyEEEEPS5_m14custom_greaterIyEEE10hipError_tT0_T1_T2_jT3_P12ihipStream_tbPNSt15iterator_traitsISJ_E10value_typeEPNSP_ISK_E10value_typeEPSL_NS1_7vsmem_tEENKUlT_SJ_SK_SL_E_clISE_PySF_SF_EESI_SY_SJ_SK_SL_EUlSY_E1_NS1_11comp_targetILNS1_3genE3ELNS1_11target_archE908ELNS1_3gpuE7ELNS1_3repE0EEENS1_36merge_oddeven_config_static_selectorELNS0_4arch9wavefront6targetE1EEEvSK_
                                        ; -- End function
	.section	.AMDGPU.csdata,"",@progbits
; Kernel info:
; codeLenInByte = 0
; NumSgprs: 4
; NumVgprs: 0
; NumAgprs: 0
; TotalNumVgprs: 0
; ScratchSize: 0
; MemoryBound: 0
; FloatMode: 240
; IeeeMode: 1
; LDSByteSize: 0 bytes/workgroup (compile time only)
; SGPRBlocks: 0
; VGPRBlocks: 0
; NumSGPRsForWavesPerEU: 4
; NumVGPRsForWavesPerEU: 1
; AccumOffset: 4
; Occupancy: 8
; WaveLimiterHint : 0
; COMPUTE_PGM_RSRC2:SCRATCH_EN: 0
; COMPUTE_PGM_RSRC2:USER_SGPR: 6
; COMPUTE_PGM_RSRC2:TRAP_HANDLER: 0
; COMPUTE_PGM_RSRC2:TGID_X_EN: 1
; COMPUTE_PGM_RSRC2:TGID_Y_EN: 0
; COMPUTE_PGM_RSRC2:TGID_Z_EN: 0
; COMPUTE_PGM_RSRC2:TIDIG_COMP_CNT: 0
; COMPUTE_PGM_RSRC3_GFX90A:ACCUM_OFFSET: 0
; COMPUTE_PGM_RSRC3_GFX90A:TG_SPLIT: 0
	.section	.text._ZN7rocprim17ROCPRIM_400000_NS6detail17trampoline_kernelINS0_14default_configENS1_38merge_sort_block_merge_config_selectorIyNS0_10empty_typeEEEZZNS1_27merge_sort_block_merge_implIS3_N6thrust23THRUST_200600_302600_NS6detail15normal_iteratorINS9_10device_ptrIyEEEEPS5_m14custom_greaterIyEEE10hipError_tT0_T1_T2_jT3_P12ihipStream_tbPNSt15iterator_traitsISJ_E10value_typeEPNSP_ISK_E10value_typeEPSL_NS1_7vsmem_tEENKUlT_SJ_SK_SL_E_clISE_PySF_SF_EESI_SY_SJ_SK_SL_EUlSY_E1_NS1_11comp_targetILNS1_3genE2ELNS1_11target_archE906ELNS1_3gpuE6ELNS1_3repE0EEENS1_36merge_oddeven_config_static_selectorELNS0_4arch9wavefront6targetE1EEEvSK_,"axG",@progbits,_ZN7rocprim17ROCPRIM_400000_NS6detail17trampoline_kernelINS0_14default_configENS1_38merge_sort_block_merge_config_selectorIyNS0_10empty_typeEEEZZNS1_27merge_sort_block_merge_implIS3_N6thrust23THRUST_200600_302600_NS6detail15normal_iteratorINS9_10device_ptrIyEEEEPS5_m14custom_greaterIyEEE10hipError_tT0_T1_T2_jT3_P12ihipStream_tbPNSt15iterator_traitsISJ_E10value_typeEPNSP_ISK_E10value_typeEPSL_NS1_7vsmem_tEENKUlT_SJ_SK_SL_E_clISE_PySF_SF_EESI_SY_SJ_SK_SL_EUlSY_E1_NS1_11comp_targetILNS1_3genE2ELNS1_11target_archE906ELNS1_3gpuE6ELNS1_3repE0EEENS1_36merge_oddeven_config_static_selectorELNS0_4arch9wavefront6targetE1EEEvSK_,comdat
	.protected	_ZN7rocprim17ROCPRIM_400000_NS6detail17trampoline_kernelINS0_14default_configENS1_38merge_sort_block_merge_config_selectorIyNS0_10empty_typeEEEZZNS1_27merge_sort_block_merge_implIS3_N6thrust23THRUST_200600_302600_NS6detail15normal_iteratorINS9_10device_ptrIyEEEEPS5_m14custom_greaterIyEEE10hipError_tT0_T1_T2_jT3_P12ihipStream_tbPNSt15iterator_traitsISJ_E10value_typeEPNSP_ISK_E10value_typeEPSL_NS1_7vsmem_tEENKUlT_SJ_SK_SL_E_clISE_PySF_SF_EESI_SY_SJ_SK_SL_EUlSY_E1_NS1_11comp_targetILNS1_3genE2ELNS1_11target_archE906ELNS1_3gpuE6ELNS1_3repE0EEENS1_36merge_oddeven_config_static_selectorELNS0_4arch9wavefront6targetE1EEEvSK_ ; -- Begin function _ZN7rocprim17ROCPRIM_400000_NS6detail17trampoline_kernelINS0_14default_configENS1_38merge_sort_block_merge_config_selectorIyNS0_10empty_typeEEEZZNS1_27merge_sort_block_merge_implIS3_N6thrust23THRUST_200600_302600_NS6detail15normal_iteratorINS9_10device_ptrIyEEEEPS5_m14custom_greaterIyEEE10hipError_tT0_T1_T2_jT3_P12ihipStream_tbPNSt15iterator_traitsISJ_E10value_typeEPNSP_ISK_E10value_typeEPSL_NS1_7vsmem_tEENKUlT_SJ_SK_SL_E_clISE_PySF_SF_EESI_SY_SJ_SK_SL_EUlSY_E1_NS1_11comp_targetILNS1_3genE2ELNS1_11target_archE906ELNS1_3gpuE6ELNS1_3repE0EEENS1_36merge_oddeven_config_static_selectorELNS0_4arch9wavefront6targetE1EEEvSK_
	.globl	_ZN7rocprim17ROCPRIM_400000_NS6detail17trampoline_kernelINS0_14default_configENS1_38merge_sort_block_merge_config_selectorIyNS0_10empty_typeEEEZZNS1_27merge_sort_block_merge_implIS3_N6thrust23THRUST_200600_302600_NS6detail15normal_iteratorINS9_10device_ptrIyEEEEPS5_m14custom_greaterIyEEE10hipError_tT0_T1_T2_jT3_P12ihipStream_tbPNSt15iterator_traitsISJ_E10value_typeEPNSP_ISK_E10value_typeEPSL_NS1_7vsmem_tEENKUlT_SJ_SK_SL_E_clISE_PySF_SF_EESI_SY_SJ_SK_SL_EUlSY_E1_NS1_11comp_targetILNS1_3genE2ELNS1_11target_archE906ELNS1_3gpuE6ELNS1_3repE0EEENS1_36merge_oddeven_config_static_selectorELNS0_4arch9wavefront6targetE1EEEvSK_
	.p2align	8
	.type	_ZN7rocprim17ROCPRIM_400000_NS6detail17trampoline_kernelINS0_14default_configENS1_38merge_sort_block_merge_config_selectorIyNS0_10empty_typeEEEZZNS1_27merge_sort_block_merge_implIS3_N6thrust23THRUST_200600_302600_NS6detail15normal_iteratorINS9_10device_ptrIyEEEEPS5_m14custom_greaterIyEEE10hipError_tT0_T1_T2_jT3_P12ihipStream_tbPNSt15iterator_traitsISJ_E10value_typeEPNSP_ISK_E10value_typeEPSL_NS1_7vsmem_tEENKUlT_SJ_SK_SL_E_clISE_PySF_SF_EESI_SY_SJ_SK_SL_EUlSY_E1_NS1_11comp_targetILNS1_3genE2ELNS1_11target_archE906ELNS1_3gpuE6ELNS1_3repE0EEENS1_36merge_oddeven_config_static_selectorELNS0_4arch9wavefront6targetE1EEEvSK_,@function
_ZN7rocprim17ROCPRIM_400000_NS6detail17trampoline_kernelINS0_14default_configENS1_38merge_sort_block_merge_config_selectorIyNS0_10empty_typeEEEZZNS1_27merge_sort_block_merge_implIS3_N6thrust23THRUST_200600_302600_NS6detail15normal_iteratorINS9_10device_ptrIyEEEEPS5_m14custom_greaterIyEEE10hipError_tT0_T1_T2_jT3_P12ihipStream_tbPNSt15iterator_traitsISJ_E10value_typeEPNSP_ISK_E10value_typeEPSL_NS1_7vsmem_tEENKUlT_SJ_SK_SL_E_clISE_PySF_SF_EESI_SY_SJ_SK_SL_EUlSY_E1_NS1_11comp_targetILNS1_3genE2ELNS1_11target_archE906ELNS1_3gpuE6ELNS1_3repE0EEENS1_36merge_oddeven_config_static_selectorELNS0_4arch9wavefront6targetE1EEEvSK_: ; @_ZN7rocprim17ROCPRIM_400000_NS6detail17trampoline_kernelINS0_14default_configENS1_38merge_sort_block_merge_config_selectorIyNS0_10empty_typeEEEZZNS1_27merge_sort_block_merge_implIS3_N6thrust23THRUST_200600_302600_NS6detail15normal_iteratorINS9_10device_ptrIyEEEEPS5_m14custom_greaterIyEEE10hipError_tT0_T1_T2_jT3_P12ihipStream_tbPNSt15iterator_traitsISJ_E10value_typeEPNSP_ISK_E10value_typeEPSL_NS1_7vsmem_tEENKUlT_SJ_SK_SL_E_clISE_PySF_SF_EESI_SY_SJ_SK_SL_EUlSY_E1_NS1_11comp_targetILNS1_3genE2ELNS1_11target_archE906ELNS1_3gpuE6ELNS1_3repE0EEENS1_36merge_oddeven_config_static_selectorELNS0_4arch9wavefront6targetE1EEEvSK_
; %bb.0:
	.section	.rodata,"a",@progbits
	.p2align	6, 0x0
	.amdhsa_kernel _ZN7rocprim17ROCPRIM_400000_NS6detail17trampoline_kernelINS0_14default_configENS1_38merge_sort_block_merge_config_selectorIyNS0_10empty_typeEEEZZNS1_27merge_sort_block_merge_implIS3_N6thrust23THRUST_200600_302600_NS6detail15normal_iteratorINS9_10device_ptrIyEEEEPS5_m14custom_greaterIyEEE10hipError_tT0_T1_T2_jT3_P12ihipStream_tbPNSt15iterator_traitsISJ_E10value_typeEPNSP_ISK_E10value_typeEPSL_NS1_7vsmem_tEENKUlT_SJ_SK_SL_E_clISE_PySF_SF_EESI_SY_SJ_SK_SL_EUlSY_E1_NS1_11comp_targetILNS1_3genE2ELNS1_11target_archE906ELNS1_3gpuE6ELNS1_3repE0EEENS1_36merge_oddeven_config_static_selectorELNS0_4arch9wavefront6targetE1EEEvSK_
		.amdhsa_group_segment_fixed_size 0
		.amdhsa_private_segment_fixed_size 0
		.amdhsa_kernarg_size 56
		.amdhsa_user_sgpr_count 6
		.amdhsa_user_sgpr_private_segment_buffer 1
		.amdhsa_user_sgpr_dispatch_ptr 0
		.amdhsa_user_sgpr_queue_ptr 0
		.amdhsa_user_sgpr_kernarg_segment_ptr 1
		.amdhsa_user_sgpr_dispatch_id 0
		.amdhsa_user_sgpr_flat_scratch_init 0
		.amdhsa_user_sgpr_kernarg_preload_length 0
		.amdhsa_user_sgpr_kernarg_preload_offset 0
		.amdhsa_user_sgpr_private_segment_size 0
		.amdhsa_uses_dynamic_stack 0
		.amdhsa_system_sgpr_private_segment_wavefront_offset 0
		.amdhsa_system_sgpr_workgroup_id_x 1
		.amdhsa_system_sgpr_workgroup_id_y 0
		.amdhsa_system_sgpr_workgroup_id_z 0
		.amdhsa_system_sgpr_workgroup_info 0
		.amdhsa_system_vgpr_workitem_id 0
		.amdhsa_next_free_vgpr 1
		.amdhsa_next_free_sgpr 0
		.amdhsa_accum_offset 4
		.amdhsa_reserve_vcc 0
		.amdhsa_reserve_flat_scratch 0
		.amdhsa_float_round_mode_32 0
		.amdhsa_float_round_mode_16_64 0
		.amdhsa_float_denorm_mode_32 3
		.amdhsa_float_denorm_mode_16_64 3
		.amdhsa_dx10_clamp 1
		.amdhsa_ieee_mode 1
		.amdhsa_fp16_overflow 0
		.amdhsa_tg_split 0
		.amdhsa_exception_fp_ieee_invalid_op 0
		.amdhsa_exception_fp_denorm_src 0
		.amdhsa_exception_fp_ieee_div_zero 0
		.amdhsa_exception_fp_ieee_overflow 0
		.amdhsa_exception_fp_ieee_underflow 0
		.amdhsa_exception_fp_ieee_inexact 0
		.amdhsa_exception_int_div_zero 0
	.end_amdhsa_kernel
	.section	.text._ZN7rocprim17ROCPRIM_400000_NS6detail17trampoline_kernelINS0_14default_configENS1_38merge_sort_block_merge_config_selectorIyNS0_10empty_typeEEEZZNS1_27merge_sort_block_merge_implIS3_N6thrust23THRUST_200600_302600_NS6detail15normal_iteratorINS9_10device_ptrIyEEEEPS5_m14custom_greaterIyEEE10hipError_tT0_T1_T2_jT3_P12ihipStream_tbPNSt15iterator_traitsISJ_E10value_typeEPNSP_ISK_E10value_typeEPSL_NS1_7vsmem_tEENKUlT_SJ_SK_SL_E_clISE_PySF_SF_EESI_SY_SJ_SK_SL_EUlSY_E1_NS1_11comp_targetILNS1_3genE2ELNS1_11target_archE906ELNS1_3gpuE6ELNS1_3repE0EEENS1_36merge_oddeven_config_static_selectorELNS0_4arch9wavefront6targetE1EEEvSK_,"axG",@progbits,_ZN7rocprim17ROCPRIM_400000_NS6detail17trampoline_kernelINS0_14default_configENS1_38merge_sort_block_merge_config_selectorIyNS0_10empty_typeEEEZZNS1_27merge_sort_block_merge_implIS3_N6thrust23THRUST_200600_302600_NS6detail15normal_iteratorINS9_10device_ptrIyEEEEPS5_m14custom_greaterIyEEE10hipError_tT0_T1_T2_jT3_P12ihipStream_tbPNSt15iterator_traitsISJ_E10value_typeEPNSP_ISK_E10value_typeEPSL_NS1_7vsmem_tEENKUlT_SJ_SK_SL_E_clISE_PySF_SF_EESI_SY_SJ_SK_SL_EUlSY_E1_NS1_11comp_targetILNS1_3genE2ELNS1_11target_archE906ELNS1_3gpuE6ELNS1_3repE0EEENS1_36merge_oddeven_config_static_selectorELNS0_4arch9wavefront6targetE1EEEvSK_,comdat
.Lfunc_end3508:
	.size	_ZN7rocprim17ROCPRIM_400000_NS6detail17trampoline_kernelINS0_14default_configENS1_38merge_sort_block_merge_config_selectorIyNS0_10empty_typeEEEZZNS1_27merge_sort_block_merge_implIS3_N6thrust23THRUST_200600_302600_NS6detail15normal_iteratorINS9_10device_ptrIyEEEEPS5_m14custom_greaterIyEEE10hipError_tT0_T1_T2_jT3_P12ihipStream_tbPNSt15iterator_traitsISJ_E10value_typeEPNSP_ISK_E10value_typeEPSL_NS1_7vsmem_tEENKUlT_SJ_SK_SL_E_clISE_PySF_SF_EESI_SY_SJ_SK_SL_EUlSY_E1_NS1_11comp_targetILNS1_3genE2ELNS1_11target_archE906ELNS1_3gpuE6ELNS1_3repE0EEENS1_36merge_oddeven_config_static_selectorELNS0_4arch9wavefront6targetE1EEEvSK_, .Lfunc_end3508-_ZN7rocprim17ROCPRIM_400000_NS6detail17trampoline_kernelINS0_14default_configENS1_38merge_sort_block_merge_config_selectorIyNS0_10empty_typeEEEZZNS1_27merge_sort_block_merge_implIS3_N6thrust23THRUST_200600_302600_NS6detail15normal_iteratorINS9_10device_ptrIyEEEEPS5_m14custom_greaterIyEEE10hipError_tT0_T1_T2_jT3_P12ihipStream_tbPNSt15iterator_traitsISJ_E10value_typeEPNSP_ISK_E10value_typeEPSL_NS1_7vsmem_tEENKUlT_SJ_SK_SL_E_clISE_PySF_SF_EESI_SY_SJ_SK_SL_EUlSY_E1_NS1_11comp_targetILNS1_3genE2ELNS1_11target_archE906ELNS1_3gpuE6ELNS1_3repE0EEENS1_36merge_oddeven_config_static_selectorELNS0_4arch9wavefront6targetE1EEEvSK_
                                        ; -- End function
	.section	.AMDGPU.csdata,"",@progbits
; Kernel info:
; codeLenInByte = 0
; NumSgprs: 4
; NumVgprs: 0
; NumAgprs: 0
; TotalNumVgprs: 0
; ScratchSize: 0
; MemoryBound: 0
; FloatMode: 240
; IeeeMode: 1
; LDSByteSize: 0 bytes/workgroup (compile time only)
; SGPRBlocks: 0
; VGPRBlocks: 0
; NumSGPRsForWavesPerEU: 4
; NumVGPRsForWavesPerEU: 1
; AccumOffset: 4
; Occupancy: 8
; WaveLimiterHint : 0
; COMPUTE_PGM_RSRC2:SCRATCH_EN: 0
; COMPUTE_PGM_RSRC2:USER_SGPR: 6
; COMPUTE_PGM_RSRC2:TRAP_HANDLER: 0
; COMPUTE_PGM_RSRC2:TGID_X_EN: 1
; COMPUTE_PGM_RSRC2:TGID_Y_EN: 0
; COMPUTE_PGM_RSRC2:TGID_Z_EN: 0
; COMPUTE_PGM_RSRC2:TIDIG_COMP_CNT: 0
; COMPUTE_PGM_RSRC3_GFX90A:ACCUM_OFFSET: 0
; COMPUTE_PGM_RSRC3_GFX90A:TG_SPLIT: 0
	.section	.text._ZN7rocprim17ROCPRIM_400000_NS6detail17trampoline_kernelINS0_14default_configENS1_38merge_sort_block_merge_config_selectorIyNS0_10empty_typeEEEZZNS1_27merge_sort_block_merge_implIS3_N6thrust23THRUST_200600_302600_NS6detail15normal_iteratorINS9_10device_ptrIyEEEEPS5_m14custom_greaterIyEEE10hipError_tT0_T1_T2_jT3_P12ihipStream_tbPNSt15iterator_traitsISJ_E10value_typeEPNSP_ISK_E10value_typeEPSL_NS1_7vsmem_tEENKUlT_SJ_SK_SL_E_clISE_PySF_SF_EESI_SY_SJ_SK_SL_EUlSY_E1_NS1_11comp_targetILNS1_3genE9ELNS1_11target_archE1100ELNS1_3gpuE3ELNS1_3repE0EEENS1_36merge_oddeven_config_static_selectorELNS0_4arch9wavefront6targetE1EEEvSK_,"axG",@progbits,_ZN7rocprim17ROCPRIM_400000_NS6detail17trampoline_kernelINS0_14default_configENS1_38merge_sort_block_merge_config_selectorIyNS0_10empty_typeEEEZZNS1_27merge_sort_block_merge_implIS3_N6thrust23THRUST_200600_302600_NS6detail15normal_iteratorINS9_10device_ptrIyEEEEPS5_m14custom_greaterIyEEE10hipError_tT0_T1_T2_jT3_P12ihipStream_tbPNSt15iterator_traitsISJ_E10value_typeEPNSP_ISK_E10value_typeEPSL_NS1_7vsmem_tEENKUlT_SJ_SK_SL_E_clISE_PySF_SF_EESI_SY_SJ_SK_SL_EUlSY_E1_NS1_11comp_targetILNS1_3genE9ELNS1_11target_archE1100ELNS1_3gpuE3ELNS1_3repE0EEENS1_36merge_oddeven_config_static_selectorELNS0_4arch9wavefront6targetE1EEEvSK_,comdat
	.protected	_ZN7rocprim17ROCPRIM_400000_NS6detail17trampoline_kernelINS0_14default_configENS1_38merge_sort_block_merge_config_selectorIyNS0_10empty_typeEEEZZNS1_27merge_sort_block_merge_implIS3_N6thrust23THRUST_200600_302600_NS6detail15normal_iteratorINS9_10device_ptrIyEEEEPS5_m14custom_greaterIyEEE10hipError_tT0_T1_T2_jT3_P12ihipStream_tbPNSt15iterator_traitsISJ_E10value_typeEPNSP_ISK_E10value_typeEPSL_NS1_7vsmem_tEENKUlT_SJ_SK_SL_E_clISE_PySF_SF_EESI_SY_SJ_SK_SL_EUlSY_E1_NS1_11comp_targetILNS1_3genE9ELNS1_11target_archE1100ELNS1_3gpuE3ELNS1_3repE0EEENS1_36merge_oddeven_config_static_selectorELNS0_4arch9wavefront6targetE1EEEvSK_ ; -- Begin function _ZN7rocprim17ROCPRIM_400000_NS6detail17trampoline_kernelINS0_14default_configENS1_38merge_sort_block_merge_config_selectorIyNS0_10empty_typeEEEZZNS1_27merge_sort_block_merge_implIS3_N6thrust23THRUST_200600_302600_NS6detail15normal_iteratorINS9_10device_ptrIyEEEEPS5_m14custom_greaterIyEEE10hipError_tT0_T1_T2_jT3_P12ihipStream_tbPNSt15iterator_traitsISJ_E10value_typeEPNSP_ISK_E10value_typeEPSL_NS1_7vsmem_tEENKUlT_SJ_SK_SL_E_clISE_PySF_SF_EESI_SY_SJ_SK_SL_EUlSY_E1_NS1_11comp_targetILNS1_3genE9ELNS1_11target_archE1100ELNS1_3gpuE3ELNS1_3repE0EEENS1_36merge_oddeven_config_static_selectorELNS0_4arch9wavefront6targetE1EEEvSK_
	.globl	_ZN7rocprim17ROCPRIM_400000_NS6detail17trampoline_kernelINS0_14default_configENS1_38merge_sort_block_merge_config_selectorIyNS0_10empty_typeEEEZZNS1_27merge_sort_block_merge_implIS3_N6thrust23THRUST_200600_302600_NS6detail15normal_iteratorINS9_10device_ptrIyEEEEPS5_m14custom_greaterIyEEE10hipError_tT0_T1_T2_jT3_P12ihipStream_tbPNSt15iterator_traitsISJ_E10value_typeEPNSP_ISK_E10value_typeEPSL_NS1_7vsmem_tEENKUlT_SJ_SK_SL_E_clISE_PySF_SF_EESI_SY_SJ_SK_SL_EUlSY_E1_NS1_11comp_targetILNS1_3genE9ELNS1_11target_archE1100ELNS1_3gpuE3ELNS1_3repE0EEENS1_36merge_oddeven_config_static_selectorELNS0_4arch9wavefront6targetE1EEEvSK_
	.p2align	8
	.type	_ZN7rocprim17ROCPRIM_400000_NS6detail17trampoline_kernelINS0_14default_configENS1_38merge_sort_block_merge_config_selectorIyNS0_10empty_typeEEEZZNS1_27merge_sort_block_merge_implIS3_N6thrust23THRUST_200600_302600_NS6detail15normal_iteratorINS9_10device_ptrIyEEEEPS5_m14custom_greaterIyEEE10hipError_tT0_T1_T2_jT3_P12ihipStream_tbPNSt15iterator_traitsISJ_E10value_typeEPNSP_ISK_E10value_typeEPSL_NS1_7vsmem_tEENKUlT_SJ_SK_SL_E_clISE_PySF_SF_EESI_SY_SJ_SK_SL_EUlSY_E1_NS1_11comp_targetILNS1_3genE9ELNS1_11target_archE1100ELNS1_3gpuE3ELNS1_3repE0EEENS1_36merge_oddeven_config_static_selectorELNS0_4arch9wavefront6targetE1EEEvSK_,@function
_ZN7rocprim17ROCPRIM_400000_NS6detail17trampoline_kernelINS0_14default_configENS1_38merge_sort_block_merge_config_selectorIyNS0_10empty_typeEEEZZNS1_27merge_sort_block_merge_implIS3_N6thrust23THRUST_200600_302600_NS6detail15normal_iteratorINS9_10device_ptrIyEEEEPS5_m14custom_greaterIyEEE10hipError_tT0_T1_T2_jT3_P12ihipStream_tbPNSt15iterator_traitsISJ_E10value_typeEPNSP_ISK_E10value_typeEPSL_NS1_7vsmem_tEENKUlT_SJ_SK_SL_E_clISE_PySF_SF_EESI_SY_SJ_SK_SL_EUlSY_E1_NS1_11comp_targetILNS1_3genE9ELNS1_11target_archE1100ELNS1_3gpuE3ELNS1_3repE0EEENS1_36merge_oddeven_config_static_selectorELNS0_4arch9wavefront6targetE1EEEvSK_: ; @_ZN7rocprim17ROCPRIM_400000_NS6detail17trampoline_kernelINS0_14default_configENS1_38merge_sort_block_merge_config_selectorIyNS0_10empty_typeEEEZZNS1_27merge_sort_block_merge_implIS3_N6thrust23THRUST_200600_302600_NS6detail15normal_iteratorINS9_10device_ptrIyEEEEPS5_m14custom_greaterIyEEE10hipError_tT0_T1_T2_jT3_P12ihipStream_tbPNSt15iterator_traitsISJ_E10value_typeEPNSP_ISK_E10value_typeEPSL_NS1_7vsmem_tEENKUlT_SJ_SK_SL_E_clISE_PySF_SF_EESI_SY_SJ_SK_SL_EUlSY_E1_NS1_11comp_targetILNS1_3genE9ELNS1_11target_archE1100ELNS1_3gpuE3ELNS1_3repE0EEENS1_36merge_oddeven_config_static_selectorELNS0_4arch9wavefront6targetE1EEEvSK_
; %bb.0:
	.section	.rodata,"a",@progbits
	.p2align	6, 0x0
	.amdhsa_kernel _ZN7rocprim17ROCPRIM_400000_NS6detail17trampoline_kernelINS0_14default_configENS1_38merge_sort_block_merge_config_selectorIyNS0_10empty_typeEEEZZNS1_27merge_sort_block_merge_implIS3_N6thrust23THRUST_200600_302600_NS6detail15normal_iteratorINS9_10device_ptrIyEEEEPS5_m14custom_greaterIyEEE10hipError_tT0_T1_T2_jT3_P12ihipStream_tbPNSt15iterator_traitsISJ_E10value_typeEPNSP_ISK_E10value_typeEPSL_NS1_7vsmem_tEENKUlT_SJ_SK_SL_E_clISE_PySF_SF_EESI_SY_SJ_SK_SL_EUlSY_E1_NS1_11comp_targetILNS1_3genE9ELNS1_11target_archE1100ELNS1_3gpuE3ELNS1_3repE0EEENS1_36merge_oddeven_config_static_selectorELNS0_4arch9wavefront6targetE1EEEvSK_
		.amdhsa_group_segment_fixed_size 0
		.amdhsa_private_segment_fixed_size 0
		.amdhsa_kernarg_size 56
		.amdhsa_user_sgpr_count 6
		.amdhsa_user_sgpr_private_segment_buffer 1
		.amdhsa_user_sgpr_dispatch_ptr 0
		.amdhsa_user_sgpr_queue_ptr 0
		.amdhsa_user_sgpr_kernarg_segment_ptr 1
		.amdhsa_user_sgpr_dispatch_id 0
		.amdhsa_user_sgpr_flat_scratch_init 0
		.amdhsa_user_sgpr_kernarg_preload_length 0
		.amdhsa_user_sgpr_kernarg_preload_offset 0
		.amdhsa_user_sgpr_private_segment_size 0
		.amdhsa_uses_dynamic_stack 0
		.amdhsa_system_sgpr_private_segment_wavefront_offset 0
		.amdhsa_system_sgpr_workgroup_id_x 1
		.amdhsa_system_sgpr_workgroup_id_y 0
		.amdhsa_system_sgpr_workgroup_id_z 0
		.amdhsa_system_sgpr_workgroup_info 0
		.amdhsa_system_vgpr_workitem_id 0
		.amdhsa_next_free_vgpr 1
		.amdhsa_next_free_sgpr 0
		.amdhsa_accum_offset 4
		.amdhsa_reserve_vcc 0
		.amdhsa_reserve_flat_scratch 0
		.amdhsa_float_round_mode_32 0
		.amdhsa_float_round_mode_16_64 0
		.amdhsa_float_denorm_mode_32 3
		.amdhsa_float_denorm_mode_16_64 3
		.amdhsa_dx10_clamp 1
		.amdhsa_ieee_mode 1
		.amdhsa_fp16_overflow 0
		.amdhsa_tg_split 0
		.amdhsa_exception_fp_ieee_invalid_op 0
		.amdhsa_exception_fp_denorm_src 0
		.amdhsa_exception_fp_ieee_div_zero 0
		.amdhsa_exception_fp_ieee_overflow 0
		.amdhsa_exception_fp_ieee_underflow 0
		.amdhsa_exception_fp_ieee_inexact 0
		.amdhsa_exception_int_div_zero 0
	.end_amdhsa_kernel
	.section	.text._ZN7rocprim17ROCPRIM_400000_NS6detail17trampoline_kernelINS0_14default_configENS1_38merge_sort_block_merge_config_selectorIyNS0_10empty_typeEEEZZNS1_27merge_sort_block_merge_implIS3_N6thrust23THRUST_200600_302600_NS6detail15normal_iteratorINS9_10device_ptrIyEEEEPS5_m14custom_greaterIyEEE10hipError_tT0_T1_T2_jT3_P12ihipStream_tbPNSt15iterator_traitsISJ_E10value_typeEPNSP_ISK_E10value_typeEPSL_NS1_7vsmem_tEENKUlT_SJ_SK_SL_E_clISE_PySF_SF_EESI_SY_SJ_SK_SL_EUlSY_E1_NS1_11comp_targetILNS1_3genE9ELNS1_11target_archE1100ELNS1_3gpuE3ELNS1_3repE0EEENS1_36merge_oddeven_config_static_selectorELNS0_4arch9wavefront6targetE1EEEvSK_,"axG",@progbits,_ZN7rocprim17ROCPRIM_400000_NS6detail17trampoline_kernelINS0_14default_configENS1_38merge_sort_block_merge_config_selectorIyNS0_10empty_typeEEEZZNS1_27merge_sort_block_merge_implIS3_N6thrust23THRUST_200600_302600_NS6detail15normal_iteratorINS9_10device_ptrIyEEEEPS5_m14custom_greaterIyEEE10hipError_tT0_T1_T2_jT3_P12ihipStream_tbPNSt15iterator_traitsISJ_E10value_typeEPNSP_ISK_E10value_typeEPSL_NS1_7vsmem_tEENKUlT_SJ_SK_SL_E_clISE_PySF_SF_EESI_SY_SJ_SK_SL_EUlSY_E1_NS1_11comp_targetILNS1_3genE9ELNS1_11target_archE1100ELNS1_3gpuE3ELNS1_3repE0EEENS1_36merge_oddeven_config_static_selectorELNS0_4arch9wavefront6targetE1EEEvSK_,comdat
.Lfunc_end3509:
	.size	_ZN7rocprim17ROCPRIM_400000_NS6detail17trampoline_kernelINS0_14default_configENS1_38merge_sort_block_merge_config_selectorIyNS0_10empty_typeEEEZZNS1_27merge_sort_block_merge_implIS3_N6thrust23THRUST_200600_302600_NS6detail15normal_iteratorINS9_10device_ptrIyEEEEPS5_m14custom_greaterIyEEE10hipError_tT0_T1_T2_jT3_P12ihipStream_tbPNSt15iterator_traitsISJ_E10value_typeEPNSP_ISK_E10value_typeEPSL_NS1_7vsmem_tEENKUlT_SJ_SK_SL_E_clISE_PySF_SF_EESI_SY_SJ_SK_SL_EUlSY_E1_NS1_11comp_targetILNS1_3genE9ELNS1_11target_archE1100ELNS1_3gpuE3ELNS1_3repE0EEENS1_36merge_oddeven_config_static_selectorELNS0_4arch9wavefront6targetE1EEEvSK_, .Lfunc_end3509-_ZN7rocprim17ROCPRIM_400000_NS6detail17trampoline_kernelINS0_14default_configENS1_38merge_sort_block_merge_config_selectorIyNS0_10empty_typeEEEZZNS1_27merge_sort_block_merge_implIS3_N6thrust23THRUST_200600_302600_NS6detail15normal_iteratorINS9_10device_ptrIyEEEEPS5_m14custom_greaterIyEEE10hipError_tT0_T1_T2_jT3_P12ihipStream_tbPNSt15iterator_traitsISJ_E10value_typeEPNSP_ISK_E10value_typeEPSL_NS1_7vsmem_tEENKUlT_SJ_SK_SL_E_clISE_PySF_SF_EESI_SY_SJ_SK_SL_EUlSY_E1_NS1_11comp_targetILNS1_3genE9ELNS1_11target_archE1100ELNS1_3gpuE3ELNS1_3repE0EEENS1_36merge_oddeven_config_static_selectorELNS0_4arch9wavefront6targetE1EEEvSK_
                                        ; -- End function
	.section	.AMDGPU.csdata,"",@progbits
; Kernel info:
; codeLenInByte = 0
; NumSgprs: 4
; NumVgprs: 0
; NumAgprs: 0
; TotalNumVgprs: 0
; ScratchSize: 0
; MemoryBound: 0
; FloatMode: 240
; IeeeMode: 1
; LDSByteSize: 0 bytes/workgroup (compile time only)
; SGPRBlocks: 0
; VGPRBlocks: 0
; NumSGPRsForWavesPerEU: 4
; NumVGPRsForWavesPerEU: 1
; AccumOffset: 4
; Occupancy: 8
; WaveLimiterHint : 0
; COMPUTE_PGM_RSRC2:SCRATCH_EN: 0
; COMPUTE_PGM_RSRC2:USER_SGPR: 6
; COMPUTE_PGM_RSRC2:TRAP_HANDLER: 0
; COMPUTE_PGM_RSRC2:TGID_X_EN: 1
; COMPUTE_PGM_RSRC2:TGID_Y_EN: 0
; COMPUTE_PGM_RSRC2:TGID_Z_EN: 0
; COMPUTE_PGM_RSRC2:TIDIG_COMP_CNT: 0
; COMPUTE_PGM_RSRC3_GFX90A:ACCUM_OFFSET: 0
; COMPUTE_PGM_RSRC3_GFX90A:TG_SPLIT: 0
	.section	.text._ZN7rocprim17ROCPRIM_400000_NS6detail17trampoline_kernelINS0_14default_configENS1_38merge_sort_block_merge_config_selectorIyNS0_10empty_typeEEEZZNS1_27merge_sort_block_merge_implIS3_N6thrust23THRUST_200600_302600_NS6detail15normal_iteratorINS9_10device_ptrIyEEEEPS5_m14custom_greaterIyEEE10hipError_tT0_T1_T2_jT3_P12ihipStream_tbPNSt15iterator_traitsISJ_E10value_typeEPNSP_ISK_E10value_typeEPSL_NS1_7vsmem_tEENKUlT_SJ_SK_SL_E_clISE_PySF_SF_EESI_SY_SJ_SK_SL_EUlSY_E1_NS1_11comp_targetILNS1_3genE8ELNS1_11target_archE1030ELNS1_3gpuE2ELNS1_3repE0EEENS1_36merge_oddeven_config_static_selectorELNS0_4arch9wavefront6targetE1EEEvSK_,"axG",@progbits,_ZN7rocprim17ROCPRIM_400000_NS6detail17trampoline_kernelINS0_14default_configENS1_38merge_sort_block_merge_config_selectorIyNS0_10empty_typeEEEZZNS1_27merge_sort_block_merge_implIS3_N6thrust23THRUST_200600_302600_NS6detail15normal_iteratorINS9_10device_ptrIyEEEEPS5_m14custom_greaterIyEEE10hipError_tT0_T1_T2_jT3_P12ihipStream_tbPNSt15iterator_traitsISJ_E10value_typeEPNSP_ISK_E10value_typeEPSL_NS1_7vsmem_tEENKUlT_SJ_SK_SL_E_clISE_PySF_SF_EESI_SY_SJ_SK_SL_EUlSY_E1_NS1_11comp_targetILNS1_3genE8ELNS1_11target_archE1030ELNS1_3gpuE2ELNS1_3repE0EEENS1_36merge_oddeven_config_static_selectorELNS0_4arch9wavefront6targetE1EEEvSK_,comdat
	.protected	_ZN7rocprim17ROCPRIM_400000_NS6detail17trampoline_kernelINS0_14default_configENS1_38merge_sort_block_merge_config_selectorIyNS0_10empty_typeEEEZZNS1_27merge_sort_block_merge_implIS3_N6thrust23THRUST_200600_302600_NS6detail15normal_iteratorINS9_10device_ptrIyEEEEPS5_m14custom_greaterIyEEE10hipError_tT0_T1_T2_jT3_P12ihipStream_tbPNSt15iterator_traitsISJ_E10value_typeEPNSP_ISK_E10value_typeEPSL_NS1_7vsmem_tEENKUlT_SJ_SK_SL_E_clISE_PySF_SF_EESI_SY_SJ_SK_SL_EUlSY_E1_NS1_11comp_targetILNS1_3genE8ELNS1_11target_archE1030ELNS1_3gpuE2ELNS1_3repE0EEENS1_36merge_oddeven_config_static_selectorELNS0_4arch9wavefront6targetE1EEEvSK_ ; -- Begin function _ZN7rocprim17ROCPRIM_400000_NS6detail17trampoline_kernelINS0_14default_configENS1_38merge_sort_block_merge_config_selectorIyNS0_10empty_typeEEEZZNS1_27merge_sort_block_merge_implIS3_N6thrust23THRUST_200600_302600_NS6detail15normal_iteratorINS9_10device_ptrIyEEEEPS5_m14custom_greaterIyEEE10hipError_tT0_T1_T2_jT3_P12ihipStream_tbPNSt15iterator_traitsISJ_E10value_typeEPNSP_ISK_E10value_typeEPSL_NS1_7vsmem_tEENKUlT_SJ_SK_SL_E_clISE_PySF_SF_EESI_SY_SJ_SK_SL_EUlSY_E1_NS1_11comp_targetILNS1_3genE8ELNS1_11target_archE1030ELNS1_3gpuE2ELNS1_3repE0EEENS1_36merge_oddeven_config_static_selectorELNS0_4arch9wavefront6targetE1EEEvSK_
	.globl	_ZN7rocprim17ROCPRIM_400000_NS6detail17trampoline_kernelINS0_14default_configENS1_38merge_sort_block_merge_config_selectorIyNS0_10empty_typeEEEZZNS1_27merge_sort_block_merge_implIS3_N6thrust23THRUST_200600_302600_NS6detail15normal_iteratorINS9_10device_ptrIyEEEEPS5_m14custom_greaterIyEEE10hipError_tT0_T1_T2_jT3_P12ihipStream_tbPNSt15iterator_traitsISJ_E10value_typeEPNSP_ISK_E10value_typeEPSL_NS1_7vsmem_tEENKUlT_SJ_SK_SL_E_clISE_PySF_SF_EESI_SY_SJ_SK_SL_EUlSY_E1_NS1_11comp_targetILNS1_3genE8ELNS1_11target_archE1030ELNS1_3gpuE2ELNS1_3repE0EEENS1_36merge_oddeven_config_static_selectorELNS0_4arch9wavefront6targetE1EEEvSK_
	.p2align	8
	.type	_ZN7rocprim17ROCPRIM_400000_NS6detail17trampoline_kernelINS0_14default_configENS1_38merge_sort_block_merge_config_selectorIyNS0_10empty_typeEEEZZNS1_27merge_sort_block_merge_implIS3_N6thrust23THRUST_200600_302600_NS6detail15normal_iteratorINS9_10device_ptrIyEEEEPS5_m14custom_greaterIyEEE10hipError_tT0_T1_T2_jT3_P12ihipStream_tbPNSt15iterator_traitsISJ_E10value_typeEPNSP_ISK_E10value_typeEPSL_NS1_7vsmem_tEENKUlT_SJ_SK_SL_E_clISE_PySF_SF_EESI_SY_SJ_SK_SL_EUlSY_E1_NS1_11comp_targetILNS1_3genE8ELNS1_11target_archE1030ELNS1_3gpuE2ELNS1_3repE0EEENS1_36merge_oddeven_config_static_selectorELNS0_4arch9wavefront6targetE1EEEvSK_,@function
_ZN7rocprim17ROCPRIM_400000_NS6detail17trampoline_kernelINS0_14default_configENS1_38merge_sort_block_merge_config_selectorIyNS0_10empty_typeEEEZZNS1_27merge_sort_block_merge_implIS3_N6thrust23THRUST_200600_302600_NS6detail15normal_iteratorINS9_10device_ptrIyEEEEPS5_m14custom_greaterIyEEE10hipError_tT0_T1_T2_jT3_P12ihipStream_tbPNSt15iterator_traitsISJ_E10value_typeEPNSP_ISK_E10value_typeEPSL_NS1_7vsmem_tEENKUlT_SJ_SK_SL_E_clISE_PySF_SF_EESI_SY_SJ_SK_SL_EUlSY_E1_NS1_11comp_targetILNS1_3genE8ELNS1_11target_archE1030ELNS1_3gpuE2ELNS1_3repE0EEENS1_36merge_oddeven_config_static_selectorELNS0_4arch9wavefront6targetE1EEEvSK_: ; @_ZN7rocprim17ROCPRIM_400000_NS6detail17trampoline_kernelINS0_14default_configENS1_38merge_sort_block_merge_config_selectorIyNS0_10empty_typeEEEZZNS1_27merge_sort_block_merge_implIS3_N6thrust23THRUST_200600_302600_NS6detail15normal_iteratorINS9_10device_ptrIyEEEEPS5_m14custom_greaterIyEEE10hipError_tT0_T1_T2_jT3_P12ihipStream_tbPNSt15iterator_traitsISJ_E10value_typeEPNSP_ISK_E10value_typeEPSL_NS1_7vsmem_tEENKUlT_SJ_SK_SL_E_clISE_PySF_SF_EESI_SY_SJ_SK_SL_EUlSY_E1_NS1_11comp_targetILNS1_3genE8ELNS1_11target_archE1030ELNS1_3gpuE2ELNS1_3repE0EEENS1_36merge_oddeven_config_static_selectorELNS0_4arch9wavefront6targetE1EEEvSK_
; %bb.0:
	.section	.rodata,"a",@progbits
	.p2align	6, 0x0
	.amdhsa_kernel _ZN7rocprim17ROCPRIM_400000_NS6detail17trampoline_kernelINS0_14default_configENS1_38merge_sort_block_merge_config_selectorIyNS0_10empty_typeEEEZZNS1_27merge_sort_block_merge_implIS3_N6thrust23THRUST_200600_302600_NS6detail15normal_iteratorINS9_10device_ptrIyEEEEPS5_m14custom_greaterIyEEE10hipError_tT0_T1_T2_jT3_P12ihipStream_tbPNSt15iterator_traitsISJ_E10value_typeEPNSP_ISK_E10value_typeEPSL_NS1_7vsmem_tEENKUlT_SJ_SK_SL_E_clISE_PySF_SF_EESI_SY_SJ_SK_SL_EUlSY_E1_NS1_11comp_targetILNS1_3genE8ELNS1_11target_archE1030ELNS1_3gpuE2ELNS1_3repE0EEENS1_36merge_oddeven_config_static_selectorELNS0_4arch9wavefront6targetE1EEEvSK_
		.amdhsa_group_segment_fixed_size 0
		.amdhsa_private_segment_fixed_size 0
		.amdhsa_kernarg_size 56
		.amdhsa_user_sgpr_count 6
		.amdhsa_user_sgpr_private_segment_buffer 1
		.amdhsa_user_sgpr_dispatch_ptr 0
		.amdhsa_user_sgpr_queue_ptr 0
		.amdhsa_user_sgpr_kernarg_segment_ptr 1
		.amdhsa_user_sgpr_dispatch_id 0
		.amdhsa_user_sgpr_flat_scratch_init 0
		.amdhsa_user_sgpr_kernarg_preload_length 0
		.amdhsa_user_sgpr_kernarg_preload_offset 0
		.amdhsa_user_sgpr_private_segment_size 0
		.amdhsa_uses_dynamic_stack 0
		.amdhsa_system_sgpr_private_segment_wavefront_offset 0
		.amdhsa_system_sgpr_workgroup_id_x 1
		.amdhsa_system_sgpr_workgroup_id_y 0
		.amdhsa_system_sgpr_workgroup_id_z 0
		.amdhsa_system_sgpr_workgroup_info 0
		.amdhsa_system_vgpr_workitem_id 0
		.amdhsa_next_free_vgpr 1
		.amdhsa_next_free_sgpr 0
		.amdhsa_accum_offset 4
		.amdhsa_reserve_vcc 0
		.amdhsa_reserve_flat_scratch 0
		.amdhsa_float_round_mode_32 0
		.amdhsa_float_round_mode_16_64 0
		.amdhsa_float_denorm_mode_32 3
		.amdhsa_float_denorm_mode_16_64 3
		.amdhsa_dx10_clamp 1
		.amdhsa_ieee_mode 1
		.amdhsa_fp16_overflow 0
		.amdhsa_tg_split 0
		.amdhsa_exception_fp_ieee_invalid_op 0
		.amdhsa_exception_fp_denorm_src 0
		.amdhsa_exception_fp_ieee_div_zero 0
		.amdhsa_exception_fp_ieee_overflow 0
		.amdhsa_exception_fp_ieee_underflow 0
		.amdhsa_exception_fp_ieee_inexact 0
		.amdhsa_exception_int_div_zero 0
	.end_amdhsa_kernel
	.section	.text._ZN7rocprim17ROCPRIM_400000_NS6detail17trampoline_kernelINS0_14default_configENS1_38merge_sort_block_merge_config_selectorIyNS0_10empty_typeEEEZZNS1_27merge_sort_block_merge_implIS3_N6thrust23THRUST_200600_302600_NS6detail15normal_iteratorINS9_10device_ptrIyEEEEPS5_m14custom_greaterIyEEE10hipError_tT0_T1_T2_jT3_P12ihipStream_tbPNSt15iterator_traitsISJ_E10value_typeEPNSP_ISK_E10value_typeEPSL_NS1_7vsmem_tEENKUlT_SJ_SK_SL_E_clISE_PySF_SF_EESI_SY_SJ_SK_SL_EUlSY_E1_NS1_11comp_targetILNS1_3genE8ELNS1_11target_archE1030ELNS1_3gpuE2ELNS1_3repE0EEENS1_36merge_oddeven_config_static_selectorELNS0_4arch9wavefront6targetE1EEEvSK_,"axG",@progbits,_ZN7rocprim17ROCPRIM_400000_NS6detail17trampoline_kernelINS0_14default_configENS1_38merge_sort_block_merge_config_selectorIyNS0_10empty_typeEEEZZNS1_27merge_sort_block_merge_implIS3_N6thrust23THRUST_200600_302600_NS6detail15normal_iteratorINS9_10device_ptrIyEEEEPS5_m14custom_greaterIyEEE10hipError_tT0_T1_T2_jT3_P12ihipStream_tbPNSt15iterator_traitsISJ_E10value_typeEPNSP_ISK_E10value_typeEPSL_NS1_7vsmem_tEENKUlT_SJ_SK_SL_E_clISE_PySF_SF_EESI_SY_SJ_SK_SL_EUlSY_E1_NS1_11comp_targetILNS1_3genE8ELNS1_11target_archE1030ELNS1_3gpuE2ELNS1_3repE0EEENS1_36merge_oddeven_config_static_selectorELNS0_4arch9wavefront6targetE1EEEvSK_,comdat
.Lfunc_end3510:
	.size	_ZN7rocprim17ROCPRIM_400000_NS6detail17trampoline_kernelINS0_14default_configENS1_38merge_sort_block_merge_config_selectorIyNS0_10empty_typeEEEZZNS1_27merge_sort_block_merge_implIS3_N6thrust23THRUST_200600_302600_NS6detail15normal_iteratorINS9_10device_ptrIyEEEEPS5_m14custom_greaterIyEEE10hipError_tT0_T1_T2_jT3_P12ihipStream_tbPNSt15iterator_traitsISJ_E10value_typeEPNSP_ISK_E10value_typeEPSL_NS1_7vsmem_tEENKUlT_SJ_SK_SL_E_clISE_PySF_SF_EESI_SY_SJ_SK_SL_EUlSY_E1_NS1_11comp_targetILNS1_3genE8ELNS1_11target_archE1030ELNS1_3gpuE2ELNS1_3repE0EEENS1_36merge_oddeven_config_static_selectorELNS0_4arch9wavefront6targetE1EEEvSK_, .Lfunc_end3510-_ZN7rocprim17ROCPRIM_400000_NS6detail17trampoline_kernelINS0_14default_configENS1_38merge_sort_block_merge_config_selectorIyNS0_10empty_typeEEEZZNS1_27merge_sort_block_merge_implIS3_N6thrust23THRUST_200600_302600_NS6detail15normal_iteratorINS9_10device_ptrIyEEEEPS5_m14custom_greaterIyEEE10hipError_tT0_T1_T2_jT3_P12ihipStream_tbPNSt15iterator_traitsISJ_E10value_typeEPNSP_ISK_E10value_typeEPSL_NS1_7vsmem_tEENKUlT_SJ_SK_SL_E_clISE_PySF_SF_EESI_SY_SJ_SK_SL_EUlSY_E1_NS1_11comp_targetILNS1_3genE8ELNS1_11target_archE1030ELNS1_3gpuE2ELNS1_3repE0EEENS1_36merge_oddeven_config_static_selectorELNS0_4arch9wavefront6targetE1EEEvSK_
                                        ; -- End function
	.section	.AMDGPU.csdata,"",@progbits
; Kernel info:
; codeLenInByte = 0
; NumSgprs: 4
; NumVgprs: 0
; NumAgprs: 0
; TotalNumVgprs: 0
; ScratchSize: 0
; MemoryBound: 0
; FloatMode: 240
; IeeeMode: 1
; LDSByteSize: 0 bytes/workgroup (compile time only)
; SGPRBlocks: 0
; VGPRBlocks: 0
; NumSGPRsForWavesPerEU: 4
; NumVGPRsForWavesPerEU: 1
; AccumOffset: 4
; Occupancy: 8
; WaveLimiterHint : 0
; COMPUTE_PGM_RSRC2:SCRATCH_EN: 0
; COMPUTE_PGM_RSRC2:USER_SGPR: 6
; COMPUTE_PGM_RSRC2:TRAP_HANDLER: 0
; COMPUTE_PGM_RSRC2:TGID_X_EN: 1
; COMPUTE_PGM_RSRC2:TGID_Y_EN: 0
; COMPUTE_PGM_RSRC2:TGID_Z_EN: 0
; COMPUTE_PGM_RSRC2:TIDIG_COMP_CNT: 0
; COMPUTE_PGM_RSRC3_GFX90A:ACCUM_OFFSET: 0
; COMPUTE_PGM_RSRC3_GFX90A:TG_SPLIT: 0
	.section	.text._ZN7rocprim17ROCPRIM_400000_NS6detail17trampoline_kernelINS0_14default_configENS1_25transform_config_selectorIyLb0EEEZNS1_14transform_implILb0ES3_S5_PyN6thrust23THRUST_200600_302600_NS6detail15normal_iteratorINS9_10device_ptrIyEEEENS0_8identityIyEEEE10hipError_tT2_T3_mT4_P12ihipStream_tbEUlT_E_NS1_11comp_targetILNS1_3genE0ELNS1_11target_archE4294967295ELNS1_3gpuE0ELNS1_3repE0EEENS1_30default_config_static_selectorELNS0_4arch9wavefront6targetE1EEEvT1_,"axG",@progbits,_ZN7rocprim17ROCPRIM_400000_NS6detail17trampoline_kernelINS0_14default_configENS1_25transform_config_selectorIyLb0EEEZNS1_14transform_implILb0ES3_S5_PyN6thrust23THRUST_200600_302600_NS6detail15normal_iteratorINS9_10device_ptrIyEEEENS0_8identityIyEEEE10hipError_tT2_T3_mT4_P12ihipStream_tbEUlT_E_NS1_11comp_targetILNS1_3genE0ELNS1_11target_archE4294967295ELNS1_3gpuE0ELNS1_3repE0EEENS1_30default_config_static_selectorELNS0_4arch9wavefront6targetE1EEEvT1_,comdat
	.protected	_ZN7rocprim17ROCPRIM_400000_NS6detail17trampoline_kernelINS0_14default_configENS1_25transform_config_selectorIyLb0EEEZNS1_14transform_implILb0ES3_S5_PyN6thrust23THRUST_200600_302600_NS6detail15normal_iteratorINS9_10device_ptrIyEEEENS0_8identityIyEEEE10hipError_tT2_T3_mT4_P12ihipStream_tbEUlT_E_NS1_11comp_targetILNS1_3genE0ELNS1_11target_archE4294967295ELNS1_3gpuE0ELNS1_3repE0EEENS1_30default_config_static_selectorELNS0_4arch9wavefront6targetE1EEEvT1_ ; -- Begin function _ZN7rocprim17ROCPRIM_400000_NS6detail17trampoline_kernelINS0_14default_configENS1_25transform_config_selectorIyLb0EEEZNS1_14transform_implILb0ES3_S5_PyN6thrust23THRUST_200600_302600_NS6detail15normal_iteratorINS9_10device_ptrIyEEEENS0_8identityIyEEEE10hipError_tT2_T3_mT4_P12ihipStream_tbEUlT_E_NS1_11comp_targetILNS1_3genE0ELNS1_11target_archE4294967295ELNS1_3gpuE0ELNS1_3repE0EEENS1_30default_config_static_selectorELNS0_4arch9wavefront6targetE1EEEvT1_
	.globl	_ZN7rocprim17ROCPRIM_400000_NS6detail17trampoline_kernelINS0_14default_configENS1_25transform_config_selectorIyLb0EEEZNS1_14transform_implILb0ES3_S5_PyN6thrust23THRUST_200600_302600_NS6detail15normal_iteratorINS9_10device_ptrIyEEEENS0_8identityIyEEEE10hipError_tT2_T3_mT4_P12ihipStream_tbEUlT_E_NS1_11comp_targetILNS1_3genE0ELNS1_11target_archE4294967295ELNS1_3gpuE0ELNS1_3repE0EEENS1_30default_config_static_selectorELNS0_4arch9wavefront6targetE1EEEvT1_
	.p2align	8
	.type	_ZN7rocprim17ROCPRIM_400000_NS6detail17trampoline_kernelINS0_14default_configENS1_25transform_config_selectorIyLb0EEEZNS1_14transform_implILb0ES3_S5_PyN6thrust23THRUST_200600_302600_NS6detail15normal_iteratorINS9_10device_ptrIyEEEENS0_8identityIyEEEE10hipError_tT2_T3_mT4_P12ihipStream_tbEUlT_E_NS1_11comp_targetILNS1_3genE0ELNS1_11target_archE4294967295ELNS1_3gpuE0ELNS1_3repE0EEENS1_30default_config_static_selectorELNS0_4arch9wavefront6targetE1EEEvT1_,@function
_ZN7rocprim17ROCPRIM_400000_NS6detail17trampoline_kernelINS0_14default_configENS1_25transform_config_selectorIyLb0EEEZNS1_14transform_implILb0ES3_S5_PyN6thrust23THRUST_200600_302600_NS6detail15normal_iteratorINS9_10device_ptrIyEEEENS0_8identityIyEEEE10hipError_tT2_T3_mT4_P12ihipStream_tbEUlT_E_NS1_11comp_targetILNS1_3genE0ELNS1_11target_archE4294967295ELNS1_3gpuE0ELNS1_3repE0EEENS1_30default_config_static_selectorELNS0_4arch9wavefront6targetE1EEEvT1_: ; @_ZN7rocprim17ROCPRIM_400000_NS6detail17trampoline_kernelINS0_14default_configENS1_25transform_config_selectorIyLb0EEEZNS1_14transform_implILb0ES3_S5_PyN6thrust23THRUST_200600_302600_NS6detail15normal_iteratorINS9_10device_ptrIyEEEENS0_8identityIyEEEE10hipError_tT2_T3_mT4_P12ihipStream_tbEUlT_E_NS1_11comp_targetILNS1_3genE0ELNS1_11target_archE4294967295ELNS1_3gpuE0ELNS1_3repE0EEENS1_30default_config_static_selectorELNS0_4arch9wavefront6targetE1EEEvT1_
; %bb.0:
	.section	.rodata,"a",@progbits
	.p2align	6, 0x0
	.amdhsa_kernel _ZN7rocprim17ROCPRIM_400000_NS6detail17trampoline_kernelINS0_14default_configENS1_25transform_config_selectorIyLb0EEEZNS1_14transform_implILb0ES3_S5_PyN6thrust23THRUST_200600_302600_NS6detail15normal_iteratorINS9_10device_ptrIyEEEENS0_8identityIyEEEE10hipError_tT2_T3_mT4_P12ihipStream_tbEUlT_E_NS1_11comp_targetILNS1_3genE0ELNS1_11target_archE4294967295ELNS1_3gpuE0ELNS1_3repE0EEENS1_30default_config_static_selectorELNS0_4arch9wavefront6targetE1EEEvT1_
		.amdhsa_group_segment_fixed_size 0
		.amdhsa_private_segment_fixed_size 0
		.amdhsa_kernarg_size 40
		.amdhsa_user_sgpr_count 6
		.amdhsa_user_sgpr_private_segment_buffer 1
		.amdhsa_user_sgpr_dispatch_ptr 0
		.amdhsa_user_sgpr_queue_ptr 0
		.amdhsa_user_sgpr_kernarg_segment_ptr 1
		.amdhsa_user_sgpr_dispatch_id 0
		.amdhsa_user_sgpr_flat_scratch_init 0
		.amdhsa_user_sgpr_kernarg_preload_length 0
		.amdhsa_user_sgpr_kernarg_preload_offset 0
		.amdhsa_user_sgpr_private_segment_size 0
		.amdhsa_uses_dynamic_stack 0
		.amdhsa_system_sgpr_private_segment_wavefront_offset 0
		.amdhsa_system_sgpr_workgroup_id_x 1
		.amdhsa_system_sgpr_workgroup_id_y 0
		.amdhsa_system_sgpr_workgroup_id_z 0
		.amdhsa_system_sgpr_workgroup_info 0
		.amdhsa_system_vgpr_workitem_id 0
		.amdhsa_next_free_vgpr 1
		.amdhsa_next_free_sgpr 0
		.amdhsa_accum_offset 4
		.amdhsa_reserve_vcc 0
		.amdhsa_reserve_flat_scratch 0
		.amdhsa_float_round_mode_32 0
		.amdhsa_float_round_mode_16_64 0
		.amdhsa_float_denorm_mode_32 3
		.amdhsa_float_denorm_mode_16_64 3
		.amdhsa_dx10_clamp 1
		.amdhsa_ieee_mode 1
		.amdhsa_fp16_overflow 0
		.amdhsa_tg_split 0
		.amdhsa_exception_fp_ieee_invalid_op 0
		.amdhsa_exception_fp_denorm_src 0
		.amdhsa_exception_fp_ieee_div_zero 0
		.amdhsa_exception_fp_ieee_overflow 0
		.amdhsa_exception_fp_ieee_underflow 0
		.amdhsa_exception_fp_ieee_inexact 0
		.amdhsa_exception_int_div_zero 0
	.end_amdhsa_kernel
	.section	.text._ZN7rocprim17ROCPRIM_400000_NS6detail17trampoline_kernelINS0_14default_configENS1_25transform_config_selectorIyLb0EEEZNS1_14transform_implILb0ES3_S5_PyN6thrust23THRUST_200600_302600_NS6detail15normal_iteratorINS9_10device_ptrIyEEEENS0_8identityIyEEEE10hipError_tT2_T3_mT4_P12ihipStream_tbEUlT_E_NS1_11comp_targetILNS1_3genE0ELNS1_11target_archE4294967295ELNS1_3gpuE0ELNS1_3repE0EEENS1_30default_config_static_selectorELNS0_4arch9wavefront6targetE1EEEvT1_,"axG",@progbits,_ZN7rocprim17ROCPRIM_400000_NS6detail17trampoline_kernelINS0_14default_configENS1_25transform_config_selectorIyLb0EEEZNS1_14transform_implILb0ES3_S5_PyN6thrust23THRUST_200600_302600_NS6detail15normal_iteratorINS9_10device_ptrIyEEEENS0_8identityIyEEEE10hipError_tT2_T3_mT4_P12ihipStream_tbEUlT_E_NS1_11comp_targetILNS1_3genE0ELNS1_11target_archE4294967295ELNS1_3gpuE0ELNS1_3repE0EEENS1_30default_config_static_selectorELNS0_4arch9wavefront6targetE1EEEvT1_,comdat
.Lfunc_end3511:
	.size	_ZN7rocprim17ROCPRIM_400000_NS6detail17trampoline_kernelINS0_14default_configENS1_25transform_config_selectorIyLb0EEEZNS1_14transform_implILb0ES3_S5_PyN6thrust23THRUST_200600_302600_NS6detail15normal_iteratorINS9_10device_ptrIyEEEENS0_8identityIyEEEE10hipError_tT2_T3_mT4_P12ihipStream_tbEUlT_E_NS1_11comp_targetILNS1_3genE0ELNS1_11target_archE4294967295ELNS1_3gpuE0ELNS1_3repE0EEENS1_30default_config_static_selectorELNS0_4arch9wavefront6targetE1EEEvT1_, .Lfunc_end3511-_ZN7rocprim17ROCPRIM_400000_NS6detail17trampoline_kernelINS0_14default_configENS1_25transform_config_selectorIyLb0EEEZNS1_14transform_implILb0ES3_S5_PyN6thrust23THRUST_200600_302600_NS6detail15normal_iteratorINS9_10device_ptrIyEEEENS0_8identityIyEEEE10hipError_tT2_T3_mT4_P12ihipStream_tbEUlT_E_NS1_11comp_targetILNS1_3genE0ELNS1_11target_archE4294967295ELNS1_3gpuE0ELNS1_3repE0EEENS1_30default_config_static_selectorELNS0_4arch9wavefront6targetE1EEEvT1_
                                        ; -- End function
	.section	.AMDGPU.csdata,"",@progbits
; Kernel info:
; codeLenInByte = 0
; NumSgprs: 4
; NumVgprs: 0
; NumAgprs: 0
; TotalNumVgprs: 0
; ScratchSize: 0
; MemoryBound: 0
; FloatMode: 240
; IeeeMode: 1
; LDSByteSize: 0 bytes/workgroup (compile time only)
; SGPRBlocks: 0
; VGPRBlocks: 0
; NumSGPRsForWavesPerEU: 4
; NumVGPRsForWavesPerEU: 1
; AccumOffset: 4
; Occupancy: 8
; WaveLimiterHint : 0
; COMPUTE_PGM_RSRC2:SCRATCH_EN: 0
; COMPUTE_PGM_RSRC2:USER_SGPR: 6
; COMPUTE_PGM_RSRC2:TRAP_HANDLER: 0
; COMPUTE_PGM_RSRC2:TGID_X_EN: 1
; COMPUTE_PGM_RSRC2:TGID_Y_EN: 0
; COMPUTE_PGM_RSRC2:TGID_Z_EN: 0
; COMPUTE_PGM_RSRC2:TIDIG_COMP_CNT: 0
; COMPUTE_PGM_RSRC3_GFX90A:ACCUM_OFFSET: 0
; COMPUTE_PGM_RSRC3_GFX90A:TG_SPLIT: 0
	.section	.text._ZN7rocprim17ROCPRIM_400000_NS6detail17trampoline_kernelINS0_14default_configENS1_25transform_config_selectorIyLb0EEEZNS1_14transform_implILb0ES3_S5_PyN6thrust23THRUST_200600_302600_NS6detail15normal_iteratorINS9_10device_ptrIyEEEENS0_8identityIyEEEE10hipError_tT2_T3_mT4_P12ihipStream_tbEUlT_E_NS1_11comp_targetILNS1_3genE5ELNS1_11target_archE942ELNS1_3gpuE9ELNS1_3repE0EEENS1_30default_config_static_selectorELNS0_4arch9wavefront6targetE1EEEvT1_,"axG",@progbits,_ZN7rocprim17ROCPRIM_400000_NS6detail17trampoline_kernelINS0_14default_configENS1_25transform_config_selectorIyLb0EEEZNS1_14transform_implILb0ES3_S5_PyN6thrust23THRUST_200600_302600_NS6detail15normal_iteratorINS9_10device_ptrIyEEEENS0_8identityIyEEEE10hipError_tT2_T3_mT4_P12ihipStream_tbEUlT_E_NS1_11comp_targetILNS1_3genE5ELNS1_11target_archE942ELNS1_3gpuE9ELNS1_3repE0EEENS1_30default_config_static_selectorELNS0_4arch9wavefront6targetE1EEEvT1_,comdat
	.protected	_ZN7rocprim17ROCPRIM_400000_NS6detail17trampoline_kernelINS0_14default_configENS1_25transform_config_selectorIyLb0EEEZNS1_14transform_implILb0ES3_S5_PyN6thrust23THRUST_200600_302600_NS6detail15normal_iteratorINS9_10device_ptrIyEEEENS0_8identityIyEEEE10hipError_tT2_T3_mT4_P12ihipStream_tbEUlT_E_NS1_11comp_targetILNS1_3genE5ELNS1_11target_archE942ELNS1_3gpuE9ELNS1_3repE0EEENS1_30default_config_static_selectorELNS0_4arch9wavefront6targetE1EEEvT1_ ; -- Begin function _ZN7rocprim17ROCPRIM_400000_NS6detail17trampoline_kernelINS0_14default_configENS1_25transform_config_selectorIyLb0EEEZNS1_14transform_implILb0ES3_S5_PyN6thrust23THRUST_200600_302600_NS6detail15normal_iteratorINS9_10device_ptrIyEEEENS0_8identityIyEEEE10hipError_tT2_T3_mT4_P12ihipStream_tbEUlT_E_NS1_11comp_targetILNS1_3genE5ELNS1_11target_archE942ELNS1_3gpuE9ELNS1_3repE0EEENS1_30default_config_static_selectorELNS0_4arch9wavefront6targetE1EEEvT1_
	.globl	_ZN7rocprim17ROCPRIM_400000_NS6detail17trampoline_kernelINS0_14default_configENS1_25transform_config_selectorIyLb0EEEZNS1_14transform_implILb0ES3_S5_PyN6thrust23THRUST_200600_302600_NS6detail15normal_iteratorINS9_10device_ptrIyEEEENS0_8identityIyEEEE10hipError_tT2_T3_mT4_P12ihipStream_tbEUlT_E_NS1_11comp_targetILNS1_3genE5ELNS1_11target_archE942ELNS1_3gpuE9ELNS1_3repE0EEENS1_30default_config_static_selectorELNS0_4arch9wavefront6targetE1EEEvT1_
	.p2align	8
	.type	_ZN7rocprim17ROCPRIM_400000_NS6detail17trampoline_kernelINS0_14default_configENS1_25transform_config_selectorIyLb0EEEZNS1_14transform_implILb0ES3_S5_PyN6thrust23THRUST_200600_302600_NS6detail15normal_iteratorINS9_10device_ptrIyEEEENS0_8identityIyEEEE10hipError_tT2_T3_mT4_P12ihipStream_tbEUlT_E_NS1_11comp_targetILNS1_3genE5ELNS1_11target_archE942ELNS1_3gpuE9ELNS1_3repE0EEENS1_30default_config_static_selectorELNS0_4arch9wavefront6targetE1EEEvT1_,@function
_ZN7rocprim17ROCPRIM_400000_NS6detail17trampoline_kernelINS0_14default_configENS1_25transform_config_selectorIyLb0EEEZNS1_14transform_implILb0ES3_S5_PyN6thrust23THRUST_200600_302600_NS6detail15normal_iteratorINS9_10device_ptrIyEEEENS0_8identityIyEEEE10hipError_tT2_T3_mT4_P12ihipStream_tbEUlT_E_NS1_11comp_targetILNS1_3genE5ELNS1_11target_archE942ELNS1_3gpuE9ELNS1_3repE0EEENS1_30default_config_static_selectorELNS0_4arch9wavefront6targetE1EEEvT1_: ; @_ZN7rocprim17ROCPRIM_400000_NS6detail17trampoline_kernelINS0_14default_configENS1_25transform_config_selectorIyLb0EEEZNS1_14transform_implILb0ES3_S5_PyN6thrust23THRUST_200600_302600_NS6detail15normal_iteratorINS9_10device_ptrIyEEEENS0_8identityIyEEEE10hipError_tT2_T3_mT4_P12ihipStream_tbEUlT_E_NS1_11comp_targetILNS1_3genE5ELNS1_11target_archE942ELNS1_3gpuE9ELNS1_3repE0EEENS1_30default_config_static_selectorELNS0_4arch9wavefront6targetE1EEEvT1_
; %bb.0:
	.section	.rodata,"a",@progbits
	.p2align	6, 0x0
	.amdhsa_kernel _ZN7rocprim17ROCPRIM_400000_NS6detail17trampoline_kernelINS0_14default_configENS1_25transform_config_selectorIyLb0EEEZNS1_14transform_implILb0ES3_S5_PyN6thrust23THRUST_200600_302600_NS6detail15normal_iteratorINS9_10device_ptrIyEEEENS0_8identityIyEEEE10hipError_tT2_T3_mT4_P12ihipStream_tbEUlT_E_NS1_11comp_targetILNS1_3genE5ELNS1_11target_archE942ELNS1_3gpuE9ELNS1_3repE0EEENS1_30default_config_static_selectorELNS0_4arch9wavefront6targetE1EEEvT1_
		.amdhsa_group_segment_fixed_size 0
		.amdhsa_private_segment_fixed_size 0
		.amdhsa_kernarg_size 40
		.amdhsa_user_sgpr_count 6
		.amdhsa_user_sgpr_private_segment_buffer 1
		.amdhsa_user_sgpr_dispatch_ptr 0
		.amdhsa_user_sgpr_queue_ptr 0
		.amdhsa_user_sgpr_kernarg_segment_ptr 1
		.amdhsa_user_sgpr_dispatch_id 0
		.amdhsa_user_sgpr_flat_scratch_init 0
		.amdhsa_user_sgpr_kernarg_preload_length 0
		.amdhsa_user_sgpr_kernarg_preload_offset 0
		.amdhsa_user_sgpr_private_segment_size 0
		.amdhsa_uses_dynamic_stack 0
		.amdhsa_system_sgpr_private_segment_wavefront_offset 0
		.amdhsa_system_sgpr_workgroup_id_x 1
		.amdhsa_system_sgpr_workgroup_id_y 0
		.amdhsa_system_sgpr_workgroup_id_z 0
		.amdhsa_system_sgpr_workgroup_info 0
		.amdhsa_system_vgpr_workitem_id 0
		.amdhsa_next_free_vgpr 1
		.amdhsa_next_free_sgpr 0
		.amdhsa_accum_offset 4
		.amdhsa_reserve_vcc 0
		.amdhsa_reserve_flat_scratch 0
		.amdhsa_float_round_mode_32 0
		.amdhsa_float_round_mode_16_64 0
		.amdhsa_float_denorm_mode_32 3
		.amdhsa_float_denorm_mode_16_64 3
		.amdhsa_dx10_clamp 1
		.amdhsa_ieee_mode 1
		.amdhsa_fp16_overflow 0
		.amdhsa_tg_split 0
		.amdhsa_exception_fp_ieee_invalid_op 0
		.amdhsa_exception_fp_denorm_src 0
		.amdhsa_exception_fp_ieee_div_zero 0
		.amdhsa_exception_fp_ieee_overflow 0
		.amdhsa_exception_fp_ieee_underflow 0
		.amdhsa_exception_fp_ieee_inexact 0
		.amdhsa_exception_int_div_zero 0
	.end_amdhsa_kernel
	.section	.text._ZN7rocprim17ROCPRIM_400000_NS6detail17trampoline_kernelINS0_14default_configENS1_25transform_config_selectorIyLb0EEEZNS1_14transform_implILb0ES3_S5_PyN6thrust23THRUST_200600_302600_NS6detail15normal_iteratorINS9_10device_ptrIyEEEENS0_8identityIyEEEE10hipError_tT2_T3_mT4_P12ihipStream_tbEUlT_E_NS1_11comp_targetILNS1_3genE5ELNS1_11target_archE942ELNS1_3gpuE9ELNS1_3repE0EEENS1_30default_config_static_selectorELNS0_4arch9wavefront6targetE1EEEvT1_,"axG",@progbits,_ZN7rocprim17ROCPRIM_400000_NS6detail17trampoline_kernelINS0_14default_configENS1_25transform_config_selectorIyLb0EEEZNS1_14transform_implILb0ES3_S5_PyN6thrust23THRUST_200600_302600_NS6detail15normal_iteratorINS9_10device_ptrIyEEEENS0_8identityIyEEEE10hipError_tT2_T3_mT4_P12ihipStream_tbEUlT_E_NS1_11comp_targetILNS1_3genE5ELNS1_11target_archE942ELNS1_3gpuE9ELNS1_3repE0EEENS1_30default_config_static_selectorELNS0_4arch9wavefront6targetE1EEEvT1_,comdat
.Lfunc_end3512:
	.size	_ZN7rocprim17ROCPRIM_400000_NS6detail17trampoline_kernelINS0_14default_configENS1_25transform_config_selectorIyLb0EEEZNS1_14transform_implILb0ES3_S5_PyN6thrust23THRUST_200600_302600_NS6detail15normal_iteratorINS9_10device_ptrIyEEEENS0_8identityIyEEEE10hipError_tT2_T3_mT4_P12ihipStream_tbEUlT_E_NS1_11comp_targetILNS1_3genE5ELNS1_11target_archE942ELNS1_3gpuE9ELNS1_3repE0EEENS1_30default_config_static_selectorELNS0_4arch9wavefront6targetE1EEEvT1_, .Lfunc_end3512-_ZN7rocprim17ROCPRIM_400000_NS6detail17trampoline_kernelINS0_14default_configENS1_25transform_config_selectorIyLb0EEEZNS1_14transform_implILb0ES3_S5_PyN6thrust23THRUST_200600_302600_NS6detail15normal_iteratorINS9_10device_ptrIyEEEENS0_8identityIyEEEE10hipError_tT2_T3_mT4_P12ihipStream_tbEUlT_E_NS1_11comp_targetILNS1_3genE5ELNS1_11target_archE942ELNS1_3gpuE9ELNS1_3repE0EEENS1_30default_config_static_selectorELNS0_4arch9wavefront6targetE1EEEvT1_
                                        ; -- End function
	.section	.AMDGPU.csdata,"",@progbits
; Kernel info:
; codeLenInByte = 0
; NumSgprs: 4
; NumVgprs: 0
; NumAgprs: 0
; TotalNumVgprs: 0
; ScratchSize: 0
; MemoryBound: 0
; FloatMode: 240
; IeeeMode: 1
; LDSByteSize: 0 bytes/workgroup (compile time only)
; SGPRBlocks: 0
; VGPRBlocks: 0
; NumSGPRsForWavesPerEU: 4
; NumVGPRsForWavesPerEU: 1
; AccumOffset: 4
; Occupancy: 8
; WaveLimiterHint : 0
; COMPUTE_PGM_RSRC2:SCRATCH_EN: 0
; COMPUTE_PGM_RSRC2:USER_SGPR: 6
; COMPUTE_PGM_RSRC2:TRAP_HANDLER: 0
; COMPUTE_PGM_RSRC2:TGID_X_EN: 1
; COMPUTE_PGM_RSRC2:TGID_Y_EN: 0
; COMPUTE_PGM_RSRC2:TGID_Z_EN: 0
; COMPUTE_PGM_RSRC2:TIDIG_COMP_CNT: 0
; COMPUTE_PGM_RSRC3_GFX90A:ACCUM_OFFSET: 0
; COMPUTE_PGM_RSRC3_GFX90A:TG_SPLIT: 0
	.section	.text._ZN7rocprim17ROCPRIM_400000_NS6detail17trampoline_kernelINS0_14default_configENS1_25transform_config_selectorIyLb0EEEZNS1_14transform_implILb0ES3_S5_PyN6thrust23THRUST_200600_302600_NS6detail15normal_iteratorINS9_10device_ptrIyEEEENS0_8identityIyEEEE10hipError_tT2_T3_mT4_P12ihipStream_tbEUlT_E_NS1_11comp_targetILNS1_3genE4ELNS1_11target_archE910ELNS1_3gpuE8ELNS1_3repE0EEENS1_30default_config_static_selectorELNS0_4arch9wavefront6targetE1EEEvT1_,"axG",@progbits,_ZN7rocprim17ROCPRIM_400000_NS6detail17trampoline_kernelINS0_14default_configENS1_25transform_config_selectorIyLb0EEEZNS1_14transform_implILb0ES3_S5_PyN6thrust23THRUST_200600_302600_NS6detail15normal_iteratorINS9_10device_ptrIyEEEENS0_8identityIyEEEE10hipError_tT2_T3_mT4_P12ihipStream_tbEUlT_E_NS1_11comp_targetILNS1_3genE4ELNS1_11target_archE910ELNS1_3gpuE8ELNS1_3repE0EEENS1_30default_config_static_selectorELNS0_4arch9wavefront6targetE1EEEvT1_,comdat
	.protected	_ZN7rocprim17ROCPRIM_400000_NS6detail17trampoline_kernelINS0_14default_configENS1_25transform_config_selectorIyLb0EEEZNS1_14transform_implILb0ES3_S5_PyN6thrust23THRUST_200600_302600_NS6detail15normal_iteratorINS9_10device_ptrIyEEEENS0_8identityIyEEEE10hipError_tT2_T3_mT4_P12ihipStream_tbEUlT_E_NS1_11comp_targetILNS1_3genE4ELNS1_11target_archE910ELNS1_3gpuE8ELNS1_3repE0EEENS1_30default_config_static_selectorELNS0_4arch9wavefront6targetE1EEEvT1_ ; -- Begin function _ZN7rocprim17ROCPRIM_400000_NS6detail17trampoline_kernelINS0_14default_configENS1_25transform_config_selectorIyLb0EEEZNS1_14transform_implILb0ES3_S5_PyN6thrust23THRUST_200600_302600_NS6detail15normal_iteratorINS9_10device_ptrIyEEEENS0_8identityIyEEEE10hipError_tT2_T3_mT4_P12ihipStream_tbEUlT_E_NS1_11comp_targetILNS1_3genE4ELNS1_11target_archE910ELNS1_3gpuE8ELNS1_3repE0EEENS1_30default_config_static_selectorELNS0_4arch9wavefront6targetE1EEEvT1_
	.globl	_ZN7rocprim17ROCPRIM_400000_NS6detail17trampoline_kernelINS0_14default_configENS1_25transform_config_selectorIyLb0EEEZNS1_14transform_implILb0ES3_S5_PyN6thrust23THRUST_200600_302600_NS6detail15normal_iteratorINS9_10device_ptrIyEEEENS0_8identityIyEEEE10hipError_tT2_T3_mT4_P12ihipStream_tbEUlT_E_NS1_11comp_targetILNS1_3genE4ELNS1_11target_archE910ELNS1_3gpuE8ELNS1_3repE0EEENS1_30default_config_static_selectorELNS0_4arch9wavefront6targetE1EEEvT1_
	.p2align	8
	.type	_ZN7rocprim17ROCPRIM_400000_NS6detail17trampoline_kernelINS0_14default_configENS1_25transform_config_selectorIyLb0EEEZNS1_14transform_implILb0ES3_S5_PyN6thrust23THRUST_200600_302600_NS6detail15normal_iteratorINS9_10device_ptrIyEEEENS0_8identityIyEEEE10hipError_tT2_T3_mT4_P12ihipStream_tbEUlT_E_NS1_11comp_targetILNS1_3genE4ELNS1_11target_archE910ELNS1_3gpuE8ELNS1_3repE0EEENS1_30default_config_static_selectorELNS0_4arch9wavefront6targetE1EEEvT1_,@function
_ZN7rocprim17ROCPRIM_400000_NS6detail17trampoline_kernelINS0_14default_configENS1_25transform_config_selectorIyLb0EEEZNS1_14transform_implILb0ES3_S5_PyN6thrust23THRUST_200600_302600_NS6detail15normal_iteratorINS9_10device_ptrIyEEEENS0_8identityIyEEEE10hipError_tT2_T3_mT4_P12ihipStream_tbEUlT_E_NS1_11comp_targetILNS1_3genE4ELNS1_11target_archE910ELNS1_3gpuE8ELNS1_3repE0EEENS1_30default_config_static_selectorELNS0_4arch9wavefront6targetE1EEEvT1_: ; @_ZN7rocprim17ROCPRIM_400000_NS6detail17trampoline_kernelINS0_14default_configENS1_25transform_config_selectorIyLb0EEEZNS1_14transform_implILb0ES3_S5_PyN6thrust23THRUST_200600_302600_NS6detail15normal_iteratorINS9_10device_ptrIyEEEENS0_8identityIyEEEE10hipError_tT2_T3_mT4_P12ihipStream_tbEUlT_E_NS1_11comp_targetILNS1_3genE4ELNS1_11target_archE910ELNS1_3gpuE8ELNS1_3repE0EEENS1_30default_config_static_selectorELNS0_4arch9wavefront6targetE1EEEvT1_
; %bb.0:
	s_load_dwordx8 s[8:15], s[4:5], 0x0
	s_load_dword s2, s[4:5], 0x28
	v_lshlrev_b32_e32 v8, 3, v0
	s_waitcnt lgkmcnt(0)
	s_lshl_b64 s[0:1], s[10:11], 3
	s_add_u32 s3, s8, s0
	s_addc_u32 s4, s9, s1
	s_add_u32 s7, s14, s0
	s_addc_u32 s13, s15, s1
	s_lshl_b32 s0, s6, 9
	s_mov_b32 s1, 0
	s_add_i32 s2, s2, -1
	s_lshl_b64 s[8:9], s[0:1], 3
	s_add_u32 s10, s3, s8
	s_addc_u32 s11, s4, s9
	s_cmp_lg_u32 s6, s2
	s_cbranch_scc0 .LBB3513_2
; %bb.1:
	global_load_dwordx2 v[2:3], v8, s[10:11]
	global_load_dwordx2 v[4:5], v8, s[10:11] offset:2048
	s_add_u32 s1, s7, s8
	s_addc_u32 s4, s13, s9
	v_mov_b32_e32 v1, s4
	v_add_co_u32_e32 v6, vcc, s1, v8
	v_addc_co_u32_e32 v7, vcc, 0, v1, vcc
	s_mov_b64 s[4:5], -1
	s_waitcnt vmcnt(1)
	flat_store_dwordx2 v[6:7], v[2:3]
	s_cbranch_execz .LBB3513_3
	s_branch .LBB3513_14
.LBB3513_2:
	s_mov_b64 s[4:5], 0
                                        ; implicit-def: $vgpr4_vgpr5
                                        ; implicit-def: $vgpr6_vgpr7
.LBB3513_3:
	s_sub_i32 s2, s12, s0
	v_cmp_gt_u32_e32 vcc, s2, v0
                                        ; implicit-def: $vgpr2_vgpr3_vgpr4_vgpr5
	s_and_saveexec_b64 s[0:1], vcc
	s_cbranch_execz .LBB3513_5
; %bb.4:
	global_load_dwordx2 v[2:3], v8, s[10:11]
.LBB3513_5:
	s_or_b64 exec, exec, s[0:1]
	v_or_b32_e32 v1, 0x100, v0
	v_cmp_gt_u32_e64 s[0:1], s2, v1
	v_cmp_le_u32_e64 s[2:3], s2, v1
	s_and_saveexec_b64 s[14:15], s[2:3]
	s_xor_b64 s[2:3], exec, s[14:15]
; %bb.6:
	v_mov_b32_e32 v1, 0
                                        ; implicit-def: $vgpr8
; %bb.7:
	s_andn2_saveexec_b64 s[2:3], s[2:3]
	s_cbranch_execz .LBB3513_9
; %bb.8:
	global_load_dwordx2 v[4:5], v8, s[10:11] offset:2048
	v_mov_b32_e32 v1, 0
.LBB3513_9:
	s_or_b64 exec, exec, s[2:3]
	s_add_u32 s2, s7, s8
	s_addc_u32 s3, s13, s9
	v_lshlrev_b64 v[0:1], 3, v[0:1]
	v_mov_b32_e32 v7, s3
	v_add_co_u32_e64 v6, s[2:3], s2, v0
	v_addc_co_u32_e64 v7, s[2:3], v7, v1, s[2:3]
	s_and_saveexec_b64 s[2:3], vcc
	s_cbranch_execz .LBB3513_11
; %bb.10:
	s_waitcnt vmcnt(0)
	flat_store_dwordx2 v[6:7], v[2:3]
.LBB3513_11:
	s_or_b64 exec, exec, s[2:3]
	s_and_saveexec_b64 s[2:3], s[0:1]
; %bb.12:
	s_or_b64 s[4:5], s[4:5], exec
; %bb.13:
	s_or_b64 exec, exec, s[2:3]
.LBB3513_14:
	s_and_saveexec_b64 s[0:1], s[4:5]
	s_cbranch_execnz .LBB3513_16
; %bb.15:
	s_endpgm
.LBB3513_16:
	s_waitcnt vmcnt(0)
	flat_store_dwordx2 v[6:7], v[4:5] offset:2048
	s_endpgm
	.section	.rodata,"a",@progbits
	.p2align	6, 0x0
	.amdhsa_kernel _ZN7rocprim17ROCPRIM_400000_NS6detail17trampoline_kernelINS0_14default_configENS1_25transform_config_selectorIyLb0EEEZNS1_14transform_implILb0ES3_S5_PyN6thrust23THRUST_200600_302600_NS6detail15normal_iteratorINS9_10device_ptrIyEEEENS0_8identityIyEEEE10hipError_tT2_T3_mT4_P12ihipStream_tbEUlT_E_NS1_11comp_targetILNS1_3genE4ELNS1_11target_archE910ELNS1_3gpuE8ELNS1_3repE0EEENS1_30default_config_static_selectorELNS0_4arch9wavefront6targetE1EEEvT1_
		.amdhsa_group_segment_fixed_size 0
		.amdhsa_private_segment_fixed_size 0
		.amdhsa_kernarg_size 296
		.amdhsa_user_sgpr_count 6
		.amdhsa_user_sgpr_private_segment_buffer 1
		.amdhsa_user_sgpr_dispatch_ptr 0
		.amdhsa_user_sgpr_queue_ptr 0
		.amdhsa_user_sgpr_kernarg_segment_ptr 1
		.amdhsa_user_sgpr_dispatch_id 0
		.amdhsa_user_sgpr_flat_scratch_init 0
		.amdhsa_user_sgpr_kernarg_preload_length 0
		.amdhsa_user_sgpr_kernarg_preload_offset 0
		.amdhsa_user_sgpr_private_segment_size 0
		.amdhsa_uses_dynamic_stack 0
		.amdhsa_system_sgpr_private_segment_wavefront_offset 0
		.amdhsa_system_sgpr_workgroup_id_x 1
		.amdhsa_system_sgpr_workgroup_id_y 0
		.amdhsa_system_sgpr_workgroup_id_z 0
		.amdhsa_system_sgpr_workgroup_info 0
		.amdhsa_system_vgpr_workitem_id 0
		.amdhsa_next_free_vgpr 9
		.amdhsa_next_free_sgpr 16
		.amdhsa_accum_offset 12
		.amdhsa_reserve_vcc 1
		.amdhsa_reserve_flat_scratch 0
		.amdhsa_float_round_mode_32 0
		.amdhsa_float_round_mode_16_64 0
		.amdhsa_float_denorm_mode_32 3
		.amdhsa_float_denorm_mode_16_64 3
		.amdhsa_dx10_clamp 1
		.amdhsa_ieee_mode 1
		.amdhsa_fp16_overflow 0
		.amdhsa_tg_split 0
		.amdhsa_exception_fp_ieee_invalid_op 0
		.amdhsa_exception_fp_denorm_src 0
		.amdhsa_exception_fp_ieee_div_zero 0
		.amdhsa_exception_fp_ieee_overflow 0
		.amdhsa_exception_fp_ieee_underflow 0
		.amdhsa_exception_fp_ieee_inexact 0
		.amdhsa_exception_int_div_zero 0
	.end_amdhsa_kernel
	.section	.text._ZN7rocprim17ROCPRIM_400000_NS6detail17trampoline_kernelINS0_14default_configENS1_25transform_config_selectorIyLb0EEEZNS1_14transform_implILb0ES3_S5_PyN6thrust23THRUST_200600_302600_NS6detail15normal_iteratorINS9_10device_ptrIyEEEENS0_8identityIyEEEE10hipError_tT2_T3_mT4_P12ihipStream_tbEUlT_E_NS1_11comp_targetILNS1_3genE4ELNS1_11target_archE910ELNS1_3gpuE8ELNS1_3repE0EEENS1_30default_config_static_selectorELNS0_4arch9wavefront6targetE1EEEvT1_,"axG",@progbits,_ZN7rocprim17ROCPRIM_400000_NS6detail17trampoline_kernelINS0_14default_configENS1_25transform_config_selectorIyLb0EEEZNS1_14transform_implILb0ES3_S5_PyN6thrust23THRUST_200600_302600_NS6detail15normal_iteratorINS9_10device_ptrIyEEEENS0_8identityIyEEEE10hipError_tT2_T3_mT4_P12ihipStream_tbEUlT_E_NS1_11comp_targetILNS1_3genE4ELNS1_11target_archE910ELNS1_3gpuE8ELNS1_3repE0EEENS1_30default_config_static_selectorELNS0_4arch9wavefront6targetE1EEEvT1_,comdat
.Lfunc_end3513:
	.size	_ZN7rocprim17ROCPRIM_400000_NS6detail17trampoline_kernelINS0_14default_configENS1_25transform_config_selectorIyLb0EEEZNS1_14transform_implILb0ES3_S5_PyN6thrust23THRUST_200600_302600_NS6detail15normal_iteratorINS9_10device_ptrIyEEEENS0_8identityIyEEEE10hipError_tT2_T3_mT4_P12ihipStream_tbEUlT_E_NS1_11comp_targetILNS1_3genE4ELNS1_11target_archE910ELNS1_3gpuE8ELNS1_3repE0EEENS1_30default_config_static_selectorELNS0_4arch9wavefront6targetE1EEEvT1_, .Lfunc_end3513-_ZN7rocprim17ROCPRIM_400000_NS6detail17trampoline_kernelINS0_14default_configENS1_25transform_config_selectorIyLb0EEEZNS1_14transform_implILb0ES3_S5_PyN6thrust23THRUST_200600_302600_NS6detail15normal_iteratorINS9_10device_ptrIyEEEENS0_8identityIyEEEE10hipError_tT2_T3_mT4_P12ihipStream_tbEUlT_E_NS1_11comp_targetILNS1_3genE4ELNS1_11target_archE910ELNS1_3gpuE8ELNS1_3repE0EEENS1_30default_config_static_selectorELNS0_4arch9wavefront6targetE1EEEvT1_
                                        ; -- End function
	.section	.AMDGPU.csdata,"",@progbits
; Kernel info:
; codeLenInByte = 328
; NumSgprs: 20
; NumVgprs: 9
; NumAgprs: 0
; TotalNumVgprs: 9
; ScratchSize: 0
; MemoryBound: 0
; FloatMode: 240
; IeeeMode: 1
; LDSByteSize: 0 bytes/workgroup (compile time only)
; SGPRBlocks: 2
; VGPRBlocks: 1
; NumSGPRsForWavesPerEU: 20
; NumVGPRsForWavesPerEU: 9
; AccumOffset: 12
; Occupancy: 8
; WaveLimiterHint : 1
; COMPUTE_PGM_RSRC2:SCRATCH_EN: 0
; COMPUTE_PGM_RSRC2:USER_SGPR: 6
; COMPUTE_PGM_RSRC2:TRAP_HANDLER: 0
; COMPUTE_PGM_RSRC2:TGID_X_EN: 1
; COMPUTE_PGM_RSRC2:TGID_Y_EN: 0
; COMPUTE_PGM_RSRC2:TGID_Z_EN: 0
; COMPUTE_PGM_RSRC2:TIDIG_COMP_CNT: 0
; COMPUTE_PGM_RSRC3_GFX90A:ACCUM_OFFSET: 2
; COMPUTE_PGM_RSRC3_GFX90A:TG_SPLIT: 0
	.section	.text._ZN7rocprim17ROCPRIM_400000_NS6detail17trampoline_kernelINS0_14default_configENS1_25transform_config_selectorIyLb0EEEZNS1_14transform_implILb0ES3_S5_PyN6thrust23THRUST_200600_302600_NS6detail15normal_iteratorINS9_10device_ptrIyEEEENS0_8identityIyEEEE10hipError_tT2_T3_mT4_P12ihipStream_tbEUlT_E_NS1_11comp_targetILNS1_3genE3ELNS1_11target_archE908ELNS1_3gpuE7ELNS1_3repE0EEENS1_30default_config_static_selectorELNS0_4arch9wavefront6targetE1EEEvT1_,"axG",@progbits,_ZN7rocprim17ROCPRIM_400000_NS6detail17trampoline_kernelINS0_14default_configENS1_25transform_config_selectorIyLb0EEEZNS1_14transform_implILb0ES3_S5_PyN6thrust23THRUST_200600_302600_NS6detail15normal_iteratorINS9_10device_ptrIyEEEENS0_8identityIyEEEE10hipError_tT2_T3_mT4_P12ihipStream_tbEUlT_E_NS1_11comp_targetILNS1_3genE3ELNS1_11target_archE908ELNS1_3gpuE7ELNS1_3repE0EEENS1_30default_config_static_selectorELNS0_4arch9wavefront6targetE1EEEvT1_,comdat
	.protected	_ZN7rocprim17ROCPRIM_400000_NS6detail17trampoline_kernelINS0_14default_configENS1_25transform_config_selectorIyLb0EEEZNS1_14transform_implILb0ES3_S5_PyN6thrust23THRUST_200600_302600_NS6detail15normal_iteratorINS9_10device_ptrIyEEEENS0_8identityIyEEEE10hipError_tT2_T3_mT4_P12ihipStream_tbEUlT_E_NS1_11comp_targetILNS1_3genE3ELNS1_11target_archE908ELNS1_3gpuE7ELNS1_3repE0EEENS1_30default_config_static_selectorELNS0_4arch9wavefront6targetE1EEEvT1_ ; -- Begin function _ZN7rocprim17ROCPRIM_400000_NS6detail17trampoline_kernelINS0_14default_configENS1_25transform_config_selectorIyLb0EEEZNS1_14transform_implILb0ES3_S5_PyN6thrust23THRUST_200600_302600_NS6detail15normal_iteratorINS9_10device_ptrIyEEEENS0_8identityIyEEEE10hipError_tT2_T3_mT4_P12ihipStream_tbEUlT_E_NS1_11comp_targetILNS1_3genE3ELNS1_11target_archE908ELNS1_3gpuE7ELNS1_3repE0EEENS1_30default_config_static_selectorELNS0_4arch9wavefront6targetE1EEEvT1_
	.globl	_ZN7rocprim17ROCPRIM_400000_NS6detail17trampoline_kernelINS0_14default_configENS1_25transform_config_selectorIyLb0EEEZNS1_14transform_implILb0ES3_S5_PyN6thrust23THRUST_200600_302600_NS6detail15normal_iteratorINS9_10device_ptrIyEEEENS0_8identityIyEEEE10hipError_tT2_T3_mT4_P12ihipStream_tbEUlT_E_NS1_11comp_targetILNS1_3genE3ELNS1_11target_archE908ELNS1_3gpuE7ELNS1_3repE0EEENS1_30default_config_static_selectorELNS0_4arch9wavefront6targetE1EEEvT1_
	.p2align	8
	.type	_ZN7rocprim17ROCPRIM_400000_NS6detail17trampoline_kernelINS0_14default_configENS1_25transform_config_selectorIyLb0EEEZNS1_14transform_implILb0ES3_S5_PyN6thrust23THRUST_200600_302600_NS6detail15normal_iteratorINS9_10device_ptrIyEEEENS0_8identityIyEEEE10hipError_tT2_T3_mT4_P12ihipStream_tbEUlT_E_NS1_11comp_targetILNS1_3genE3ELNS1_11target_archE908ELNS1_3gpuE7ELNS1_3repE0EEENS1_30default_config_static_selectorELNS0_4arch9wavefront6targetE1EEEvT1_,@function
_ZN7rocprim17ROCPRIM_400000_NS6detail17trampoline_kernelINS0_14default_configENS1_25transform_config_selectorIyLb0EEEZNS1_14transform_implILb0ES3_S5_PyN6thrust23THRUST_200600_302600_NS6detail15normal_iteratorINS9_10device_ptrIyEEEENS0_8identityIyEEEE10hipError_tT2_T3_mT4_P12ihipStream_tbEUlT_E_NS1_11comp_targetILNS1_3genE3ELNS1_11target_archE908ELNS1_3gpuE7ELNS1_3repE0EEENS1_30default_config_static_selectorELNS0_4arch9wavefront6targetE1EEEvT1_: ; @_ZN7rocprim17ROCPRIM_400000_NS6detail17trampoline_kernelINS0_14default_configENS1_25transform_config_selectorIyLb0EEEZNS1_14transform_implILb0ES3_S5_PyN6thrust23THRUST_200600_302600_NS6detail15normal_iteratorINS9_10device_ptrIyEEEENS0_8identityIyEEEE10hipError_tT2_T3_mT4_P12ihipStream_tbEUlT_E_NS1_11comp_targetILNS1_3genE3ELNS1_11target_archE908ELNS1_3gpuE7ELNS1_3repE0EEENS1_30default_config_static_selectorELNS0_4arch9wavefront6targetE1EEEvT1_
; %bb.0:
	.section	.rodata,"a",@progbits
	.p2align	6, 0x0
	.amdhsa_kernel _ZN7rocprim17ROCPRIM_400000_NS6detail17trampoline_kernelINS0_14default_configENS1_25transform_config_selectorIyLb0EEEZNS1_14transform_implILb0ES3_S5_PyN6thrust23THRUST_200600_302600_NS6detail15normal_iteratorINS9_10device_ptrIyEEEENS0_8identityIyEEEE10hipError_tT2_T3_mT4_P12ihipStream_tbEUlT_E_NS1_11comp_targetILNS1_3genE3ELNS1_11target_archE908ELNS1_3gpuE7ELNS1_3repE0EEENS1_30default_config_static_selectorELNS0_4arch9wavefront6targetE1EEEvT1_
		.amdhsa_group_segment_fixed_size 0
		.amdhsa_private_segment_fixed_size 0
		.amdhsa_kernarg_size 40
		.amdhsa_user_sgpr_count 6
		.amdhsa_user_sgpr_private_segment_buffer 1
		.amdhsa_user_sgpr_dispatch_ptr 0
		.amdhsa_user_sgpr_queue_ptr 0
		.amdhsa_user_sgpr_kernarg_segment_ptr 1
		.amdhsa_user_sgpr_dispatch_id 0
		.amdhsa_user_sgpr_flat_scratch_init 0
		.amdhsa_user_sgpr_kernarg_preload_length 0
		.amdhsa_user_sgpr_kernarg_preload_offset 0
		.amdhsa_user_sgpr_private_segment_size 0
		.amdhsa_uses_dynamic_stack 0
		.amdhsa_system_sgpr_private_segment_wavefront_offset 0
		.amdhsa_system_sgpr_workgroup_id_x 1
		.amdhsa_system_sgpr_workgroup_id_y 0
		.amdhsa_system_sgpr_workgroup_id_z 0
		.amdhsa_system_sgpr_workgroup_info 0
		.amdhsa_system_vgpr_workitem_id 0
		.amdhsa_next_free_vgpr 1
		.amdhsa_next_free_sgpr 0
		.amdhsa_accum_offset 4
		.amdhsa_reserve_vcc 0
		.amdhsa_reserve_flat_scratch 0
		.amdhsa_float_round_mode_32 0
		.amdhsa_float_round_mode_16_64 0
		.amdhsa_float_denorm_mode_32 3
		.amdhsa_float_denorm_mode_16_64 3
		.amdhsa_dx10_clamp 1
		.amdhsa_ieee_mode 1
		.amdhsa_fp16_overflow 0
		.amdhsa_tg_split 0
		.amdhsa_exception_fp_ieee_invalid_op 0
		.amdhsa_exception_fp_denorm_src 0
		.amdhsa_exception_fp_ieee_div_zero 0
		.amdhsa_exception_fp_ieee_overflow 0
		.amdhsa_exception_fp_ieee_underflow 0
		.amdhsa_exception_fp_ieee_inexact 0
		.amdhsa_exception_int_div_zero 0
	.end_amdhsa_kernel
	.section	.text._ZN7rocprim17ROCPRIM_400000_NS6detail17trampoline_kernelINS0_14default_configENS1_25transform_config_selectorIyLb0EEEZNS1_14transform_implILb0ES3_S5_PyN6thrust23THRUST_200600_302600_NS6detail15normal_iteratorINS9_10device_ptrIyEEEENS0_8identityIyEEEE10hipError_tT2_T3_mT4_P12ihipStream_tbEUlT_E_NS1_11comp_targetILNS1_3genE3ELNS1_11target_archE908ELNS1_3gpuE7ELNS1_3repE0EEENS1_30default_config_static_selectorELNS0_4arch9wavefront6targetE1EEEvT1_,"axG",@progbits,_ZN7rocprim17ROCPRIM_400000_NS6detail17trampoline_kernelINS0_14default_configENS1_25transform_config_selectorIyLb0EEEZNS1_14transform_implILb0ES3_S5_PyN6thrust23THRUST_200600_302600_NS6detail15normal_iteratorINS9_10device_ptrIyEEEENS0_8identityIyEEEE10hipError_tT2_T3_mT4_P12ihipStream_tbEUlT_E_NS1_11comp_targetILNS1_3genE3ELNS1_11target_archE908ELNS1_3gpuE7ELNS1_3repE0EEENS1_30default_config_static_selectorELNS0_4arch9wavefront6targetE1EEEvT1_,comdat
.Lfunc_end3514:
	.size	_ZN7rocprim17ROCPRIM_400000_NS6detail17trampoline_kernelINS0_14default_configENS1_25transform_config_selectorIyLb0EEEZNS1_14transform_implILb0ES3_S5_PyN6thrust23THRUST_200600_302600_NS6detail15normal_iteratorINS9_10device_ptrIyEEEENS0_8identityIyEEEE10hipError_tT2_T3_mT4_P12ihipStream_tbEUlT_E_NS1_11comp_targetILNS1_3genE3ELNS1_11target_archE908ELNS1_3gpuE7ELNS1_3repE0EEENS1_30default_config_static_selectorELNS0_4arch9wavefront6targetE1EEEvT1_, .Lfunc_end3514-_ZN7rocprim17ROCPRIM_400000_NS6detail17trampoline_kernelINS0_14default_configENS1_25transform_config_selectorIyLb0EEEZNS1_14transform_implILb0ES3_S5_PyN6thrust23THRUST_200600_302600_NS6detail15normal_iteratorINS9_10device_ptrIyEEEENS0_8identityIyEEEE10hipError_tT2_T3_mT4_P12ihipStream_tbEUlT_E_NS1_11comp_targetILNS1_3genE3ELNS1_11target_archE908ELNS1_3gpuE7ELNS1_3repE0EEENS1_30default_config_static_selectorELNS0_4arch9wavefront6targetE1EEEvT1_
                                        ; -- End function
	.section	.AMDGPU.csdata,"",@progbits
; Kernel info:
; codeLenInByte = 0
; NumSgprs: 4
; NumVgprs: 0
; NumAgprs: 0
; TotalNumVgprs: 0
; ScratchSize: 0
; MemoryBound: 0
; FloatMode: 240
; IeeeMode: 1
; LDSByteSize: 0 bytes/workgroup (compile time only)
; SGPRBlocks: 0
; VGPRBlocks: 0
; NumSGPRsForWavesPerEU: 4
; NumVGPRsForWavesPerEU: 1
; AccumOffset: 4
; Occupancy: 8
; WaveLimiterHint : 0
; COMPUTE_PGM_RSRC2:SCRATCH_EN: 0
; COMPUTE_PGM_RSRC2:USER_SGPR: 6
; COMPUTE_PGM_RSRC2:TRAP_HANDLER: 0
; COMPUTE_PGM_RSRC2:TGID_X_EN: 1
; COMPUTE_PGM_RSRC2:TGID_Y_EN: 0
; COMPUTE_PGM_RSRC2:TGID_Z_EN: 0
; COMPUTE_PGM_RSRC2:TIDIG_COMP_CNT: 0
; COMPUTE_PGM_RSRC3_GFX90A:ACCUM_OFFSET: 0
; COMPUTE_PGM_RSRC3_GFX90A:TG_SPLIT: 0
	.section	.text._ZN7rocprim17ROCPRIM_400000_NS6detail17trampoline_kernelINS0_14default_configENS1_25transform_config_selectorIyLb0EEEZNS1_14transform_implILb0ES3_S5_PyN6thrust23THRUST_200600_302600_NS6detail15normal_iteratorINS9_10device_ptrIyEEEENS0_8identityIyEEEE10hipError_tT2_T3_mT4_P12ihipStream_tbEUlT_E_NS1_11comp_targetILNS1_3genE2ELNS1_11target_archE906ELNS1_3gpuE6ELNS1_3repE0EEENS1_30default_config_static_selectorELNS0_4arch9wavefront6targetE1EEEvT1_,"axG",@progbits,_ZN7rocprim17ROCPRIM_400000_NS6detail17trampoline_kernelINS0_14default_configENS1_25transform_config_selectorIyLb0EEEZNS1_14transform_implILb0ES3_S5_PyN6thrust23THRUST_200600_302600_NS6detail15normal_iteratorINS9_10device_ptrIyEEEENS0_8identityIyEEEE10hipError_tT2_T3_mT4_P12ihipStream_tbEUlT_E_NS1_11comp_targetILNS1_3genE2ELNS1_11target_archE906ELNS1_3gpuE6ELNS1_3repE0EEENS1_30default_config_static_selectorELNS0_4arch9wavefront6targetE1EEEvT1_,comdat
	.protected	_ZN7rocprim17ROCPRIM_400000_NS6detail17trampoline_kernelINS0_14default_configENS1_25transform_config_selectorIyLb0EEEZNS1_14transform_implILb0ES3_S5_PyN6thrust23THRUST_200600_302600_NS6detail15normal_iteratorINS9_10device_ptrIyEEEENS0_8identityIyEEEE10hipError_tT2_T3_mT4_P12ihipStream_tbEUlT_E_NS1_11comp_targetILNS1_3genE2ELNS1_11target_archE906ELNS1_3gpuE6ELNS1_3repE0EEENS1_30default_config_static_selectorELNS0_4arch9wavefront6targetE1EEEvT1_ ; -- Begin function _ZN7rocprim17ROCPRIM_400000_NS6detail17trampoline_kernelINS0_14default_configENS1_25transform_config_selectorIyLb0EEEZNS1_14transform_implILb0ES3_S5_PyN6thrust23THRUST_200600_302600_NS6detail15normal_iteratorINS9_10device_ptrIyEEEENS0_8identityIyEEEE10hipError_tT2_T3_mT4_P12ihipStream_tbEUlT_E_NS1_11comp_targetILNS1_3genE2ELNS1_11target_archE906ELNS1_3gpuE6ELNS1_3repE0EEENS1_30default_config_static_selectorELNS0_4arch9wavefront6targetE1EEEvT1_
	.globl	_ZN7rocprim17ROCPRIM_400000_NS6detail17trampoline_kernelINS0_14default_configENS1_25transform_config_selectorIyLb0EEEZNS1_14transform_implILb0ES3_S5_PyN6thrust23THRUST_200600_302600_NS6detail15normal_iteratorINS9_10device_ptrIyEEEENS0_8identityIyEEEE10hipError_tT2_T3_mT4_P12ihipStream_tbEUlT_E_NS1_11comp_targetILNS1_3genE2ELNS1_11target_archE906ELNS1_3gpuE6ELNS1_3repE0EEENS1_30default_config_static_selectorELNS0_4arch9wavefront6targetE1EEEvT1_
	.p2align	8
	.type	_ZN7rocprim17ROCPRIM_400000_NS6detail17trampoline_kernelINS0_14default_configENS1_25transform_config_selectorIyLb0EEEZNS1_14transform_implILb0ES3_S5_PyN6thrust23THRUST_200600_302600_NS6detail15normal_iteratorINS9_10device_ptrIyEEEENS0_8identityIyEEEE10hipError_tT2_T3_mT4_P12ihipStream_tbEUlT_E_NS1_11comp_targetILNS1_3genE2ELNS1_11target_archE906ELNS1_3gpuE6ELNS1_3repE0EEENS1_30default_config_static_selectorELNS0_4arch9wavefront6targetE1EEEvT1_,@function
_ZN7rocprim17ROCPRIM_400000_NS6detail17trampoline_kernelINS0_14default_configENS1_25transform_config_selectorIyLb0EEEZNS1_14transform_implILb0ES3_S5_PyN6thrust23THRUST_200600_302600_NS6detail15normal_iteratorINS9_10device_ptrIyEEEENS0_8identityIyEEEE10hipError_tT2_T3_mT4_P12ihipStream_tbEUlT_E_NS1_11comp_targetILNS1_3genE2ELNS1_11target_archE906ELNS1_3gpuE6ELNS1_3repE0EEENS1_30default_config_static_selectorELNS0_4arch9wavefront6targetE1EEEvT1_: ; @_ZN7rocprim17ROCPRIM_400000_NS6detail17trampoline_kernelINS0_14default_configENS1_25transform_config_selectorIyLb0EEEZNS1_14transform_implILb0ES3_S5_PyN6thrust23THRUST_200600_302600_NS6detail15normal_iteratorINS9_10device_ptrIyEEEENS0_8identityIyEEEE10hipError_tT2_T3_mT4_P12ihipStream_tbEUlT_E_NS1_11comp_targetILNS1_3genE2ELNS1_11target_archE906ELNS1_3gpuE6ELNS1_3repE0EEENS1_30default_config_static_selectorELNS0_4arch9wavefront6targetE1EEEvT1_
; %bb.0:
	.section	.rodata,"a",@progbits
	.p2align	6, 0x0
	.amdhsa_kernel _ZN7rocprim17ROCPRIM_400000_NS6detail17trampoline_kernelINS0_14default_configENS1_25transform_config_selectorIyLb0EEEZNS1_14transform_implILb0ES3_S5_PyN6thrust23THRUST_200600_302600_NS6detail15normal_iteratorINS9_10device_ptrIyEEEENS0_8identityIyEEEE10hipError_tT2_T3_mT4_P12ihipStream_tbEUlT_E_NS1_11comp_targetILNS1_3genE2ELNS1_11target_archE906ELNS1_3gpuE6ELNS1_3repE0EEENS1_30default_config_static_selectorELNS0_4arch9wavefront6targetE1EEEvT1_
		.amdhsa_group_segment_fixed_size 0
		.amdhsa_private_segment_fixed_size 0
		.amdhsa_kernarg_size 40
		.amdhsa_user_sgpr_count 6
		.amdhsa_user_sgpr_private_segment_buffer 1
		.amdhsa_user_sgpr_dispatch_ptr 0
		.amdhsa_user_sgpr_queue_ptr 0
		.amdhsa_user_sgpr_kernarg_segment_ptr 1
		.amdhsa_user_sgpr_dispatch_id 0
		.amdhsa_user_sgpr_flat_scratch_init 0
		.amdhsa_user_sgpr_kernarg_preload_length 0
		.amdhsa_user_sgpr_kernarg_preload_offset 0
		.amdhsa_user_sgpr_private_segment_size 0
		.amdhsa_uses_dynamic_stack 0
		.amdhsa_system_sgpr_private_segment_wavefront_offset 0
		.amdhsa_system_sgpr_workgroup_id_x 1
		.amdhsa_system_sgpr_workgroup_id_y 0
		.amdhsa_system_sgpr_workgroup_id_z 0
		.amdhsa_system_sgpr_workgroup_info 0
		.amdhsa_system_vgpr_workitem_id 0
		.amdhsa_next_free_vgpr 1
		.amdhsa_next_free_sgpr 0
		.amdhsa_accum_offset 4
		.amdhsa_reserve_vcc 0
		.amdhsa_reserve_flat_scratch 0
		.amdhsa_float_round_mode_32 0
		.amdhsa_float_round_mode_16_64 0
		.amdhsa_float_denorm_mode_32 3
		.amdhsa_float_denorm_mode_16_64 3
		.amdhsa_dx10_clamp 1
		.amdhsa_ieee_mode 1
		.amdhsa_fp16_overflow 0
		.amdhsa_tg_split 0
		.amdhsa_exception_fp_ieee_invalid_op 0
		.amdhsa_exception_fp_denorm_src 0
		.amdhsa_exception_fp_ieee_div_zero 0
		.amdhsa_exception_fp_ieee_overflow 0
		.amdhsa_exception_fp_ieee_underflow 0
		.amdhsa_exception_fp_ieee_inexact 0
		.amdhsa_exception_int_div_zero 0
	.end_amdhsa_kernel
	.section	.text._ZN7rocprim17ROCPRIM_400000_NS6detail17trampoline_kernelINS0_14default_configENS1_25transform_config_selectorIyLb0EEEZNS1_14transform_implILb0ES3_S5_PyN6thrust23THRUST_200600_302600_NS6detail15normal_iteratorINS9_10device_ptrIyEEEENS0_8identityIyEEEE10hipError_tT2_T3_mT4_P12ihipStream_tbEUlT_E_NS1_11comp_targetILNS1_3genE2ELNS1_11target_archE906ELNS1_3gpuE6ELNS1_3repE0EEENS1_30default_config_static_selectorELNS0_4arch9wavefront6targetE1EEEvT1_,"axG",@progbits,_ZN7rocprim17ROCPRIM_400000_NS6detail17trampoline_kernelINS0_14default_configENS1_25transform_config_selectorIyLb0EEEZNS1_14transform_implILb0ES3_S5_PyN6thrust23THRUST_200600_302600_NS6detail15normal_iteratorINS9_10device_ptrIyEEEENS0_8identityIyEEEE10hipError_tT2_T3_mT4_P12ihipStream_tbEUlT_E_NS1_11comp_targetILNS1_3genE2ELNS1_11target_archE906ELNS1_3gpuE6ELNS1_3repE0EEENS1_30default_config_static_selectorELNS0_4arch9wavefront6targetE1EEEvT1_,comdat
.Lfunc_end3515:
	.size	_ZN7rocprim17ROCPRIM_400000_NS6detail17trampoline_kernelINS0_14default_configENS1_25transform_config_selectorIyLb0EEEZNS1_14transform_implILb0ES3_S5_PyN6thrust23THRUST_200600_302600_NS6detail15normal_iteratorINS9_10device_ptrIyEEEENS0_8identityIyEEEE10hipError_tT2_T3_mT4_P12ihipStream_tbEUlT_E_NS1_11comp_targetILNS1_3genE2ELNS1_11target_archE906ELNS1_3gpuE6ELNS1_3repE0EEENS1_30default_config_static_selectorELNS0_4arch9wavefront6targetE1EEEvT1_, .Lfunc_end3515-_ZN7rocprim17ROCPRIM_400000_NS6detail17trampoline_kernelINS0_14default_configENS1_25transform_config_selectorIyLb0EEEZNS1_14transform_implILb0ES3_S5_PyN6thrust23THRUST_200600_302600_NS6detail15normal_iteratorINS9_10device_ptrIyEEEENS0_8identityIyEEEE10hipError_tT2_T3_mT4_P12ihipStream_tbEUlT_E_NS1_11comp_targetILNS1_3genE2ELNS1_11target_archE906ELNS1_3gpuE6ELNS1_3repE0EEENS1_30default_config_static_selectorELNS0_4arch9wavefront6targetE1EEEvT1_
                                        ; -- End function
	.section	.AMDGPU.csdata,"",@progbits
; Kernel info:
; codeLenInByte = 0
; NumSgprs: 4
; NumVgprs: 0
; NumAgprs: 0
; TotalNumVgprs: 0
; ScratchSize: 0
; MemoryBound: 0
; FloatMode: 240
; IeeeMode: 1
; LDSByteSize: 0 bytes/workgroup (compile time only)
; SGPRBlocks: 0
; VGPRBlocks: 0
; NumSGPRsForWavesPerEU: 4
; NumVGPRsForWavesPerEU: 1
; AccumOffset: 4
; Occupancy: 8
; WaveLimiterHint : 0
; COMPUTE_PGM_RSRC2:SCRATCH_EN: 0
; COMPUTE_PGM_RSRC2:USER_SGPR: 6
; COMPUTE_PGM_RSRC2:TRAP_HANDLER: 0
; COMPUTE_PGM_RSRC2:TGID_X_EN: 1
; COMPUTE_PGM_RSRC2:TGID_Y_EN: 0
; COMPUTE_PGM_RSRC2:TGID_Z_EN: 0
; COMPUTE_PGM_RSRC2:TIDIG_COMP_CNT: 0
; COMPUTE_PGM_RSRC3_GFX90A:ACCUM_OFFSET: 0
; COMPUTE_PGM_RSRC3_GFX90A:TG_SPLIT: 0
	.section	.text._ZN7rocprim17ROCPRIM_400000_NS6detail17trampoline_kernelINS0_14default_configENS1_25transform_config_selectorIyLb0EEEZNS1_14transform_implILb0ES3_S5_PyN6thrust23THRUST_200600_302600_NS6detail15normal_iteratorINS9_10device_ptrIyEEEENS0_8identityIyEEEE10hipError_tT2_T3_mT4_P12ihipStream_tbEUlT_E_NS1_11comp_targetILNS1_3genE10ELNS1_11target_archE1201ELNS1_3gpuE5ELNS1_3repE0EEENS1_30default_config_static_selectorELNS0_4arch9wavefront6targetE1EEEvT1_,"axG",@progbits,_ZN7rocprim17ROCPRIM_400000_NS6detail17trampoline_kernelINS0_14default_configENS1_25transform_config_selectorIyLb0EEEZNS1_14transform_implILb0ES3_S5_PyN6thrust23THRUST_200600_302600_NS6detail15normal_iteratorINS9_10device_ptrIyEEEENS0_8identityIyEEEE10hipError_tT2_T3_mT4_P12ihipStream_tbEUlT_E_NS1_11comp_targetILNS1_3genE10ELNS1_11target_archE1201ELNS1_3gpuE5ELNS1_3repE0EEENS1_30default_config_static_selectorELNS0_4arch9wavefront6targetE1EEEvT1_,comdat
	.protected	_ZN7rocprim17ROCPRIM_400000_NS6detail17trampoline_kernelINS0_14default_configENS1_25transform_config_selectorIyLb0EEEZNS1_14transform_implILb0ES3_S5_PyN6thrust23THRUST_200600_302600_NS6detail15normal_iteratorINS9_10device_ptrIyEEEENS0_8identityIyEEEE10hipError_tT2_T3_mT4_P12ihipStream_tbEUlT_E_NS1_11comp_targetILNS1_3genE10ELNS1_11target_archE1201ELNS1_3gpuE5ELNS1_3repE0EEENS1_30default_config_static_selectorELNS0_4arch9wavefront6targetE1EEEvT1_ ; -- Begin function _ZN7rocprim17ROCPRIM_400000_NS6detail17trampoline_kernelINS0_14default_configENS1_25transform_config_selectorIyLb0EEEZNS1_14transform_implILb0ES3_S5_PyN6thrust23THRUST_200600_302600_NS6detail15normal_iteratorINS9_10device_ptrIyEEEENS0_8identityIyEEEE10hipError_tT2_T3_mT4_P12ihipStream_tbEUlT_E_NS1_11comp_targetILNS1_3genE10ELNS1_11target_archE1201ELNS1_3gpuE5ELNS1_3repE0EEENS1_30default_config_static_selectorELNS0_4arch9wavefront6targetE1EEEvT1_
	.globl	_ZN7rocprim17ROCPRIM_400000_NS6detail17trampoline_kernelINS0_14default_configENS1_25transform_config_selectorIyLb0EEEZNS1_14transform_implILb0ES3_S5_PyN6thrust23THRUST_200600_302600_NS6detail15normal_iteratorINS9_10device_ptrIyEEEENS0_8identityIyEEEE10hipError_tT2_T3_mT4_P12ihipStream_tbEUlT_E_NS1_11comp_targetILNS1_3genE10ELNS1_11target_archE1201ELNS1_3gpuE5ELNS1_3repE0EEENS1_30default_config_static_selectorELNS0_4arch9wavefront6targetE1EEEvT1_
	.p2align	8
	.type	_ZN7rocprim17ROCPRIM_400000_NS6detail17trampoline_kernelINS0_14default_configENS1_25transform_config_selectorIyLb0EEEZNS1_14transform_implILb0ES3_S5_PyN6thrust23THRUST_200600_302600_NS6detail15normal_iteratorINS9_10device_ptrIyEEEENS0_8identityIyEEEE10hipError_tT2_T3_mT4_P12ihipStream_tbEUlT_E_NS1_11comp_targetILNS1_3genE10ELNS1_11target_archE1201ELNS1_3gpuE5ELNS1_3repE0EEENS1_30default_config_static_selectorELNS0_4arch9wavefront6targetE1EEEvT1_,@function
_ZN7rocprim17ROCPRIM_400000_NS6detail17trampoline_kernelINS0_14default_configENS1_25transform_config_selectorIyLb0EEEZNS1_14transform_implILb0ES3_S5_PyN6thrust23THRUST_200600_302600_NS6detail15normal_iteratorINS9_10device_ptrIyEEEENS0_8identityIyEEEE10hipError_tT2_T3_mT4_P12ihipStream_tbEUlT_E_NS1_11comp_targetILNS1_3genE10ELNS1_11target_archE1201ELNS1_3gpuE5ELNS1_3repE0EEENS1_30default_config_static_selectorELNS0_4arch9wavefront6targetE1EEEvT1_: ; @_ZN7rocprim17ROCPRIM_400000_NS6detail17trampoline_kernelINS0_14default_configENS1_25transform_config_selectorIyLb0EEEZNS1_14transform_implILb0ES3_S5_PyN6thrust23THRUST_200600_302600_NS6detail15normal_iteratorINS9_10device_ptrIyEEEENS0_8identityIyEEEE10hipError_tT2_T3_mT4_P12ihipStream_tbEUlT_E_NS1_11comp_targetILNS1_3genE10ELNS1_11target_archE1201ELNS1_3gpuE5ELNS1_3repE0EEENS1_30default_config_static_selectorELNS0_4arch9wavefront6targetE1EEEvT1_
; %bb.0:
	.section	.rodata,"a",@progbits
	.p2align	6, 0x0
	.amdhsa_kernel _ZN7rocprim17ROCPRIM_400000_NS6detail17trampoline_kernelINS0_14default_configENS1_25transform_config_selectorIyLb0EEEZNS1_14transform_implILb0ES3_S5_PyN6thrust23THRUST_200600_302600_NS6detail15normal_iteratorINS9_10device_ptrIyEEEENS0_8identityIyEEEE10hipError_tT2_T3_mT4_P12ihipStream_tbEUlT_E_NS1_11comp_targetILNS1_3genE10ELNS1_11target_archE1201ELNS1_3gpuE5ELNS1_3repE0EEENS1_30default_config_static_selectorELNS0_4arch9wavefront6targetE1EEEvT1_
		.amdhsa_group_segment_fixed_size 0
		.amdhsa_private_segment_fixed_size 0
		.amdhsa_kernarg_size 40
		.amdhsa_user_sgpr_count 6
		.amdhsa_user_sgpr_private_segment_buffer 1
		.amdhsa_user_sgpr_dispatch_ptr 0
		.amdhsa_user_sgpr_queue_ptr 0
		.amdhsa_user_sgpr_kernarg_segment_ptr 1
		.amdhsa_user_sgpr_dispatch_id 0
		.amdhsa_user_sgpr_flat_scratch_init 0
		.amdhsa_user_sgpr_kernarg_preload_length 0
		.amdhsa_user_sgpr_kernarg_preload_offset 0
		.amdhsa_user_sgpr_private_segment_size 0
		.amdhsa_uses_dynamic_stack 0
		.amdhsa_system_sgpr_private_segment_wavefront_offset 0
		.amdhsa_system_sgpr_workgroup_id_x 1
		.amdhsa_system_sgpr_workgroup_id_y 0
		.amdhsa_system_sgpr_workgroup_id_z 0
		.amdhsa_system_sgpr_workgroup_info 0
		.amdhsa_system_vgpr_workitem_id 0
		.amdhsa_next_free_vgpr 1
		.amdhsa_next_free_sgpr 0
		.amdhsa_accum_offset 4
		.amdhsa_reserve_vcc 0
		.amdhsa_reserve_flat_scratch 0
		.amdhsa_float_round_mode_32 0
		.amdhsa_float_round_mode_16_64 0
		.amdhsa_float_denorm_mode_32 3
		.amdhsa_float_denorm_mode_16_64 3
		.amdhsa_dx10_clamp 1
		.amdhsa_ieee_mode 1
		.amdhsa_fp16_overflow 0
		.amdhsa_tg_split 0
		.amdhsa_exception_fp_ieee_invalid_op 0
		.amdhsa_exception_fp_denorm_src 0
		.amdhsa_exception_fp_ieee_div_zero 0
		.amdhsa_exception_fp_ieee_overflow 0
		.amdhsa_exception_fp_ieee_underflow 0
		.amdhsa_exception_fp_ieee_inexact 0
		.amdhsa_exception_int_div_zero 0
	.end_amdhsa_kernel
	.section	.text._ZN7rocprim17ROCPRIM_400000_NS6detail17trampoline_kernelINS0_14default_configENS1_25transform_config_selectorIyLb0EEEZNS1_14transform_implILb0ES3_S5_PyN6thrust23THRUST_200600_302600_NS6detail15normal_iteratorINS9_10device_ptrIyEEEENS0_8identityIyEEEE10hipError_tT2_T3_mT4_P12ihipStream_tbEUlT_E_NS1_11comp_targetILNS1_3genE10ELNS1_11target_archE1201ELNS1_3gpuE5ELNS1_3repE0EEENS1_30default_config_static_selectorELNS0_4arch9wavefront6targetE1EEEvT1_,"axG",@progbits,_ZN7rocprim17ROCPRIM_400000_NS6detail17trampoline_kernelINS0_14default_configENS1_25transform_config_selectorIyLb0EEEZNS1_14transform_implILb0ES3_S5_PyN6thrust23THRUST_200600_302600_NS6detail15normal_iteratorINS9_10device_ptrIyEEEENS0_8identityIyEEEE10hipError_tT2_T3_mT4_P12ihipStream_tbEUlT_E_NS1_11comp_targetILNS1_3genE10ELNS1_11target_archE1201ELNS1_3gpuE5ELNS1_3repE0EEENS1_30default_config_static_selectorELNS0_4arch9wavefront6targetE1EEEvT1_,comdat
.Lfunc_end3516:
	.size	_ZN7rocprim17ROCPRIM_400000_NS6detail17trampoline_kernelINS0_14default_configENS1_25transform_config_selectorIyLb0EEEZNS1_14transform_implILb0ES3_S5_PyN6thrust23THRUST_200600_302600_NS6detail15normal_iteratorINS9_10device_ptrIyEEEENS0_8identityIyEEEE10hipError_tT2_T3_mT4_P12ihipStream_tbEUlT_E_NS1_11comp_targetILNS1_3genE10ELNS1_11target_archE1201ELNS1_3gpuE5ELNS1_3repE0EEENS1_30default_config_static_selectorELNS0_4arch9wavefront6targetE1EEEvT1_, .Lfunc_end3516-_ZN7rocprim17ROCPRIM_400000_NS6detail17trampoline_kernelINS0_14default_configENS1_25transform_config_selectorIyLb0EEEZNS1_14transform_implILb0ES3_S5_PyN6thrust23THRUST_200600_302600_NS6detail15normal_iteratorINS9_10device_ptrIyEEEENS0_8identityIyEEEE10hipError_tT2_T3_mT4_P12ihipStream_tbEUlT_E_NS1_11comp_targetILNS1_3genE10ELNS1_11target_archE1201ELNS1_3gpuE5ELNS1_3repE0EEENS1_30default_config_static_selectorELNS0_4arch9wavefront6targetE1EEEvT1_
                                        ; -- End function
	.section	.AMDGPU.csdata,"",@progbits
; Kernel info:
; codeLenInByte = 0
; NumSgprs: 4
; NumVgprs: 0
; NumAgprs: 0
; TotalNumVgprs: 0
; ScratchSize: 0
; MemoryBound: 0
; FloatMode: 240
; IeeeMode: 1
; LDSByteSize: 0 bytes/workgroup (compile time only)
; SGPRBlocks: 0
; VGPRBlocks: 0
; NumSGPRsForWavesPerEU: 4
; NumVGPRsForWavesPerEU: 1
; AccumOffset: 4
; Occupancy: 8
; WaveLimiterHint : 0
; COMPUTE_PGM_RSRC2:SCRATCH_EN: 0
; COMPUTE_PGM_RSRC2:USER_SGPR: 6
; COMPUTE_PGM_RSRC2:TRAP_HANDLER: 0
; COMPUTE_PGM_RSRC2:TGID_X_EN: 1
; COMPUTE_PGM_RSRC2:TGID_Y_EN: 0
; COMPUTE_PGM_RSRC2:TGID_Z_EN: 0
; COMPUTE_PGM_RSRC2:TIDIG_COMP_CNT: 0
; COMPUTE_PGM_RSRC3_GFX90A:ACCUM_OFFSET: 0
; COMPUTE_PGM_RSRC3_GFX90A:TG_SPLIT: 0
	.section	.text._ZN7rocprim17ROCPRIM_400000_NS6detail17trampoline_kernelINS0_14default_configENS1_25transform_config_selectorIyLb0EEEZNS1_14transform_implILb0ES3_S5_PyN6thrust23THRUST_200600_302600_NS6detail15normal_iteratorINS9_10device_ptrIyEEEENS0_8identityIyEEEE10hipError_tT2_T3_mT4_P12ihipStream_tbEUlT_E_NS1_11comp_targetILNS1_3genE10ELNS1_11target_archE1200ELNS1_3gpuE4ELNS1_3repE0EEENS1_30default_config_static_selectorELNS0_4arch9wavefront6targetE1EEEvT1_,"axG",@progbits,_ZN7rocprim17ROCPRIM_400000_NS6detail17trampoline_kernelINS0_14default_configENS1_25transform_config_selectorIyLb0EEEZNS1_14transform_implILb0ES3_S5_PyN6thrust23THRUST_200600_302600_NS6detail15normal_iteratorINS9_10device_ptrIyEEEENS0_8identityIyEEEE10hipError_tT2_T3_mT4_P12ihipStream_tbEUlT_E_NS1_11comp_targetILNS1_3genE10ELNS1_11target_archE1200ELNS1_3gpuE4ELNS1_3repE0EEENS1_30default_config_static_selectorELNS0_4arch9wavefront6targetE1EEEvT1_,comdat
	.protected	_ZN7rocprim17ROCPRIM_400000_NS6detail17trampoline_kernelINS0_14default_configENS1_25transform_config_selectorIyLb0EEEZNS1_14transform_implILb0ES3_S5_PyN6thrust23THRUST_200600_302600_NS6detail15normal_iteratorINS9_10device_ptrIyEEEENS0_8identityIyEEEE10hipError_tT2_T3_mT4_P12ihipStream_tbEUlT_E_NS1_11comp_targetILNS1_3genE10ELNS1_11target_archE1200ELNS1_3gpuE4ELNS1_3repE0EEENS1_30default_config_static_selectorELNS0_4arch9wavefront6targetE1EEEvT1_ ; -- Begin function _ZN7rocprim17ROCPRIM_400000_NS6detail17trampoline_kernelINS0_14default_configENS1_25transform_config_selectorIyLb0EEEZNS1_14transform_implILb0ES3_S5_PyN6thrust23THRUST_200600_302600_NS6detail15normal_iteratorINS9_10device_ptrIyEEEENS0_8identityIyEEEE10hipError_tT2_T3_mT4_P12ihipStream_tbEUlT_E_NS1_11comp_targetILNS1_3genE10ELNS1_11target_archE1200ELNS1_3gpuE4ELNS1_3repE0EEENS1_30default_config_static_selectorELNS0_4arch9wavefront6targetE1EEEvT1_
	.globl	_ZN7rocprim17ROCPRIM_400000_NS6detail17trampoline_kernelINS0_14default_configENS1_25transform_config_selectorIyLb0EEEZNS1_14transform_implILb0ES3_S5_PyN6thrust23THRUST_200600_302600_NS6detail15normal_iteratorINS9_10device_ptrIyEEEENS0_8identityIyEEEE10hipError_tT2_T3_mT4_P12ihipStream_tbEUlT_E_NS1_11comp_targetILNS1_3genE10ELNS1_11target_archE1200ELNS1_3gpuE4ELNS1_3repE0EEENS1_30default_config_static_selectorELNS0_4arch9wavefront6targetE1EEEvT1_
	.p2align	8
	.type	_ZN7rocprim17ROCPRIM_400000_NS6detail17trampoline_kernelINS0_14default_configENS1_25transform_config_selectorIyLb0EEEZNS1_14transform_implILb0ES3_S5_PyN6thrust23THRUST_200600_302600_NS6detail15normal_iteratorINS9_10device_ptrIyEEEENS0_8identityIyEEEE10hipError_tT2_T3_mT4_P12ihipStream_tbEUlT_E_NS1_11comp_targetILNS1_3genE10ELNS1_11target_archE1200ELNS1_3gpuE4ELNS1_3repE0EEENS1_30default_config_static_selectorELNS0_4arch9wavefront6targetE1EEEvT1_,@function
_ZN7rocprim17ROCPRIM_400000_NS6detail17trampoline_kernelINS0_14default_configENS1_25transform_config_selectorIyLb0EEEZNS1_14transform_implILb0ES3_S5_PyN6thrust23THRUST_200600_302600_NS6detail15normal_iteratorINS9_10device_ptrIyEEEENS0_8identityIyEEEE10hipError_tT2_T3_mT4_P12ihipStream_tbEUlT_E_NS1_11comp_targetILNS1_3genE10ELNS1_11target_archE1200ELNS1_3gpuE4ELNS1_3repE0EEENS1_30default_config_static_selectorELNS0_4arch9wavefront6targetE1EEEvT1_: ; @_ZN7rocprim17ROCPRIM_400000_NS6detail17trampoline_kernelINS0_14default_configENS1_25transform_config_selectorIyLb0EEEZNS1_14transform_implILb0ES3_S5_PyN6thrust23THRUST_200600_302600_NS6detail15normal_iteratorINS9_10device_ptrIyEEEENS0_8identityIyEEEE10hipError_tT2_T3_mT4_P12ihipStream_tbEUlT_E_NS1_11comp_targetILNS1_3genE10ELNS1_11target_archE1200ELNS1_3gpuE4ELNS1_3repE0EEENS1_30default_config_static_selectorELNS0_4arch9wavefront6targetE1EEEvT1_
; %bb.0:
	.section	.rodata,"a",@progbits
	.p2align	6, 0x0
	.amdhsa_kernel _ZN7rocprim17ROCPRIM_400000_NS6detail17trampoline_kernelINS0_14default_configENS1_25transform_config_selectorIyLb0EEEZNS1_14transform_implILb0ES3_S5_PyN6thrust23THRUST_200600_302600_NS6detail15normal_iteratorINS9_10device_ptrIyEEEENS0_8identityIyEEEE10hipError_tT2_T3_mT4_P12ihipStream_tbEUlT_E_NS1_11comp_targetILNS1_3genE10ELNS1_11target_archE1200ELNS1_3gpuE4ELNS1_3repE0EEENS1_30default_config_static_selectorELNS0_4arch9wavefront6targetE1EEEvT1_
		.amdhsa_group_segment_fixed_size 0
		.amdhsa_private_segment_fixed_size 0
		.amdhsa_kernarg_size 40
		.amdhsa_user_sgpr_count 6
		.amdhsa_user_sgpr_private_segment_buffer 1
		.amdhsa_user_sgpr_dispatch_ptr 0
		.amdhsa_user_sgpr_queue_ptr 0
		.amdhsa_user_sgpr_kernarg_segment_ptr 1
		.amdhsa_user_sgpr_dispatch_id 0
		.amdhsa_user_sgpr_flat_scratch_init 0
		.amdhsa_user_sgpr_kernarg_preload_length 0
		.amdhsa_user_sgpr_kernarg_preload_offset 0
		.amdhsa_user_sgpr_private_segment_size 0
		.amdhsa_uses_dynamic_stack 0
		.amdhsa_system_sgpr_private_segment_wavefront_offset 0
		.amdhsa_system_sgpr_workgroup_id_x 1
		.amdhsa_system_sgpr_workgroup_id_y 0
		.amdhsa_system_sgpr_workgroup_id_z 0
		.amdhsa_system_sgpr_workgroup_info 0
		.amdhsa_system_vgpr_workitem_id 0
		.amdhsa_next_free_vgpr 1
		.amdhsa_next_free_sgpr 0
		.amdhsa_accum_offset 4
		.amdhsa_reserve_vcc 0
		.amdhsa_reserve_flat_scratch 0
		.amdhsa_float_round_mode_32 0
		.amdhsa_float_round_mode_16_64 0
		.amdhsa_float_denorm_mode_32 3
		.amdhsa_float_denorm_mode_16_64 3
		.amdhsa_dx10_clamp 1
		.amdhsa_ieee_mode 1
		.amdhsa_fp16_overflow 0
		.amdhsa_tg_split 0
		.amdhsa_exception_fp_ieee_invalid_op 0
		.amdhsa_exception_fp_denorm_src 0
		.amdhsa_exception_fp_ieee_div_zero 0
		.amdhsa_exception_fp_ieee_overflow 0
		.amdhsa_exception_fp_ieee_underflow 0
		.amdhsa_exception_fp_ieee_inexact 0
		.amdhsa_exception_int_div_zero 0
	.end_amdhsa_kernel
	.section	.text._ZN7rocprim17ROCPRIM_400000_NS6detail17trampoline_kernelINS0_14default_configENS1_25transform_config_selectorIyLb0EEEZNS1_14transform_implILb0ES3_S5_PyN6thrust23THRUST_200600_302600_NS6detail15normal_iteratorINS9_10device_ptrIyEEEENS0_8identityIyEEEE10hipError_tT2_T3_mT4_P12ihipStream_tbEUlT_E_NS1_11comp_targetILNS1_3genE10ELNS1_11target_archE1200ELNS1_3gpuE4ELNS1_3repE0EEENS1_30default_config_static_selectorELNS0_4arch9wavefront6targetE1EEEvT1_,"axG",@progbits,_ZN7rocprim17ROCPRIM_400000_NS6detail17trampoline_kernelINS0_14default_configENS1_25transform_config_selectorIyLb0EEEZNS1_14transform_implILb0ES3_S5_PyN6thrust23THRUST_200600_302600_NS6detail15normal_iteratorINS9_10device_ptrIyEEEENS0_8identityIyEEEE10hipError_tT2_T3_mT4_P12ihipStream_tbEUlT_E_NS1_11comp_targetILNS1_3genE10ELNS1_11target_archE1200ELNS1_3gpuE4ELNS1_3repE0EEENS1_30default_config_static_selectorELNS0_4arch9wavefront6targetE1EEEvT1_,comdat
.Lfunc_end3517:
	.size	_ZN7rocprim17ROCPRIM_400000_NS6detail17trampoline_kernelINS0_14default_configENS1_25transform_config_selectorIyLb0EEEZNS1_14transform_implILb0ES3_S5_PyN6thrust23THRUST_200600_302600_NS6detail15normal_iteratorINS9_10device_ptrIyEEEENS0_8identityIyEEEE10hipError_tT2_T3_mT4_P12ihipStream_tbEUlT_E_NS1_11comp_targetILNS1_3genE10ELNS1_11target_archE1200ELNS1_3gpuE4ELNS1_3repE0EEENS1_30default_config_static_selectorELNS0_4arch9wavefront6targetE1EEEvT1_, .Lfunc_end3517-_ZN7rocprim17ROCPRIM_400000_NS6detail17trampoline_kernelINS0_14default_configENS1_25transform_config_selectorIyLb0EEEZNS1_14transform_implILb0ES3_S5_PyN6thrust23THRUST_200600_302600_NS6detail15normal_iteratorINS9_10device_ptrIyEEEENS0_8identityIyEEEE10hipError_tT2_T3_mT4_P12ihipStream_tbEUlT_E_NS1_11comp_targetILNS1_3genE10ELNS1_11target_archE1200ELNS1_3gpuE4ELNS1_3repE0EEENS1_30default_config_static_selectorELNS0_4arch9wavefront6targetE1EEEvT1_
                                        ; -- End function
	.section	.AMDGPU.csdata,"",@progbits
; Kernel info:
; codeLenInByte = 0
; NumSgprs: 4
; NumVgprs: 0
; NumAgprs: 0
; TotalNumVgprs: 0
; ScratchSize: 0
; MemoryBound: 0
; FloatMode: 240
; IeeeMode: 1
; LDSByteSize: 0 bytes/workgroup (compile time only)
; SGPRBlocks: 0
; VGPRBlocks: 0
; NumSGPRsForWavesPerEU: 4
; NumVGPRsForWavesPerEU: 1
; AccumOffset: 4
; Occupancy: 8
; WaveLimiterHint : 0
; COMPUTE_PGM_RSRC2:SCRATCH_EN: 0
; COMPUTE_PGM_RSRC2:USER_SGPR: 6
; COMPUTE_PGM_RSRC2:TRAP_HANDLER: 0
; COMPUTE_PGM_RSRC2:TGID_X_EN: 1
; COMPUTE_PGM_RSRC2:TGID_Y_EN: 0
; COMPUTE_PGM_RSRC2:TGID_Z_EN: 0
; COMPUTE_PGM_RSRC2:TIDIG_COMP_CNT: 0
; COMPUTE_PGM_RSRC3_GFX90A:ACCUM_OFFSET: 0
; COMPUTE_PGM_RSRC3_GFX90A:TG_SPLIT: 0
	.section	.text._ZN7rocprim17ROCPRIM_400000_NS6detail17trampoline_kernelINS0_14default_configENS1_25transform_config_selectorIyLb0EEEZNS1_14transform_implILb0ES3_S5_PyN6thrust23THRUST_200600_302600_NS6detail15normal_iteratorINS9_10device_ptrIyEEEENS0_8identityIyEEEE10hipError_tT2_T3_mT4_P12ihipStream_tbEUlT_E_NS1_11comp_targetILNS1_3genE9ELNS1_11target_archE1100ELNS1_3gpuE3ELNS1_3repE0EEENS1_30default_config_static_selectorELNS0_4arch9wavefront6targetE1EEEvT1_,"axG",@progbits,_ZN7rocprim17ROCPRIM_400000_NS6detail17trampoline_kernelINS0_14default_configENS1_25transform_config_selectorIyLb0EEEZNS1_14transform_implILb0ES3_S5_PyN6thrust23THRUST_200600_302600_NS6detail15normal_iteratorINS9_10device_ptrIyEEEENS0_8identityIyEEEE10hipError_tT2_T3_mT4_P12ihipStream_tbEUlT_E_NS1_11comp_targetILNS1_3genE9ELNS1_11target_archE1100ELNS1_3gpuE3ELNS1_3repE0EEENS1_30default_config_static_selectorELNS0_4arch9wavefront6targetE1EEEvT1_,comdat
	.protected	_ZN7rocprim17ROCPRIM_400000_NS6detail17trampoline_kernelINS0_14default_configENS1_25transform_config_selectorIyLb0EEEZNS1_14transform_implILb0ES3_S5_PyN6thrust23THRUST_200600_302600_NS6detail15normal_iteratorINS9_10device_ptrIyEEEENS0_8identityIyEEEE10hipError_tT2_T3_mT4_P12ihipStream_tbEUlT_E_NS1_11comp_targetILNS1_3genE9ELNS1_11target_archE1100ELNS1_3gpuE3ELNS1_3repE0EEENS1_30default_config_static_selectorELNS0_4arch9wavefront6targetE1EEEvT1_ ; -- Begin function _ZN7rocprim17ROCPRIM_400000_NS6detail17trampoline_kernelINS0_14default_configENS1_25transform_config_selectorIyLb0EEEZNS1_14transform_implILb0ES3_S5_PyN6thrust23THRUST_200600_302600_NS6detail15normal_iteratorINS9_10device_ptrIyEEEENS0_8identityIyEEEE10hipError_tT2_T3_mT4_P12ihipStream_tbEUlT_E_NS1_11comp_targetILNS1_3genE9ELNS1_11target_archE1100ELNS1_3gpuE3ELNS1_3repE0EEENS1_30default_config_static_selectorELNS0_4arch9wavefront6targetE1EEEvT1_
	.globl	_ZN7rocprim17ROCPRIM_400000_NS6detail17trampoline_kernelINS0_14default_configENS1_25transform_config_selectorIyLb0EEEZNS1_14transform_implILb0ES3_S5_PyN6thrust23THRUST_200600_302600_NS6detail15normal_iteratorINS9_10device_ptrIyEEEENS0_8identityIyEEEE10hipError_tT2_T3_mT4_P12ihipStream_tbEUlT_E_NS1_11comp_targetILNS1_3genE9ELNS1_11target_archE1100ELNS1_3gpuE3ELNS1_3repE0EEENS1_30default_config_static_selectorELNS0_4arch9wavefront6targetE1EEEvT1_
	.p2align	8
	.type	_ZN7rocprim17ROCPRIM_400000_NS6detail17trampoline_kernelINS0_14default_configENS1_25transform_config_selectorIyLb0EEEZNS1_14transform_implILb0ES3_S5_PyN6thrust23THRUST_200600_302600_NS6detail15normal_iteratorINS9_10device_ptrIyEEEENS0_8identityIyEEEE10hipError_tT2_T3_mT4_P12ihipStream_tbEUlT_E_NS1_11comp_targetILNS1_3genE9ELNS1_11target_archE1100ELNS1_3gpuE3ELNS1_3repE0EEENS1_30default_config_static_selectorELNS0_4arch9wavefront6targetE1EEEvT1_,@function
_ZN7rocprim17ROCPRIM_400000_NS6detail17trampoline_kernelINS0_14default_configENS1_25transform_config_selectorIyLb0EEEZNS1_14transform_implILb0ES3_S5_PyN6thrust23THRUST_200600_302600_NS6detail15normal_iteratorINS9_10device_ptrIyEEEENS0_8identityIyEEEE10hipError_tT2_T3_mT4_P12ihipStream_tbEUlT_E_NS1_11comp_targetILNS1_3genE9ELNS1_11target_archE1100ELNS1_3gpuE3ELNS1_3repE0EEENS1_30default_config_static_selectorELNS0_4arch9wavefront6targetE1EEEvT1_: ; @_ZN7rocprim17ROCPRIM_400000_NS6detail17trampoline_kernelINS0_14default_configENS1_25transform_config_selectorIyLb0EEEZNS1_14transform_implILb0ES3_S5_PyN6thrust23THRUST_200600_302600_NS6detail15normal_iteratorINS9_10device_ptrIyEEEENS0_8identityIyEEEE10hipError_tT2_T3_mT4_P12ihipStream_tbEUlT_E_NS1_11comp_targetILNS1_3genE9ELNS1_11target_archE1100ELNS1_3gpuE3ELNS1_3repE0EEENS1_30default_config_static_selectorELNS0_4arch9wavefront6targetE1EEEvT1_
; %bb.0:
	.section	.rodata,"a",@progbits
	.p2align	6, 0x0
	.amdhsa_kernel _ZN7rocprim17ROCPRIM_400000_NS6detail17trampoline_kernelINS0_14default_configENS1_25transform_config_selectorIyLb0EEEZNS1_14transform_implILb0ES3_S5_PyN6thrust23THRUST_200600_302600_NS6detail15normal_iteratorINS9_10device_ptrIyEEEENS0_8identityIyEEEE10hipError_tT2_T3_mT4_P12ihipStream_tbEUlT_E_NS1_11comp_targetILNS1_3genE9ELNS1_11target_archE1100ELNS1_3gpuE3ELNS1_3repE0EEENS1_30default_config_static_selectorELNS0_4arch9wavefront6targetE1EEEvT1_
		.amdhsa_group_segment_fixed_size 0
		.amdhsa_private_segment_fixed_size 0
		.amdhsa_kernarg_size 40
		.amdhsa_user_sgpr_count 6
		.amdhsa_user_sgpr_private_segment_buffer 1
		.amdhsa_user_sgpr_dispatch_ptr 0
		.amdhsa_user_sgpr_queue_ptr 0
		.amdhsa_user_sgpr_kernarg_segment_ptr 1
		.amdhsa_user_sgpr_dispatch_id 0
		.amdhsa_user_sgpr_flat_scratch_init 0
		.amdhsa_user_sgpr_kernarg_preload_length 0
		.amdhsa_user_sgpr_kernarg_preload_offset 0
		.amdhsa_user_sgpr_private_segment_size 0
		.amdhsa_uses_dynamic_stack 0
		.amdhsa_system_sgpr_private_segment_wavefront_offset 0
		.amdhsa_system_sgpr_workgroup_id_x 1
		.amdhsa_system_sgpr_workgroup_id_y 0
		.amdhsa_system_sgpr_workgroup_id_z 0
		.amdhsa_system_sgpr_workgroup_info 0
		.amdhsa_system_vgpr_workitem_id 0
		.amdhsa_next_free_vgpr 1
		.amdhsa_next_free_sgpr 0
		.amdhsa_accum_offset 4
		.amdhsa_reserve_vcc 0
		.amdhsa_reserve_flat_scratch 0
		.amdhsa_float_round_mode_32 0
		.amdhsa_float_round_mode_16_64 0
		.amdhsa_float_denorm_mode_32 3
		.amdhsa_float_denorm_mode_16_64 3
		.amdhsa_dx10_clamp 1
		.amdhsa_ieee_mode 1
		.amdhsa_fp16_overflow 0
		.amdhsa_tg_split 0
		.amdhsa_exception_fp_ieee_invalid_op 0
		.amdhsa_exception_fp_denorm_src 0
		.amdhsa_exception_fp_ieee_div_zero 0
		.amdhsa_exception_fp_ieee_overflow 0
		.amdhsa_exception_fp_ieee_underflow 0
		.amdhsa_exception_fp_ieee_inexact 0
		.amdhsa_exception_int_div_zero 0
	.end_amdhsa_kernel
	.section	.text._ZN7rocprim17ROCPRIM_400000_NS6detail17trampoline_kernelINS0_14default_configENS1_25transform_config_selectorIyLb0EEEZNS1_14transform_implILb0ES3_S5_PyN6thrust23THRUST_200600_302600_NS6detail15normal_iteratorINS9_10device_ptrIyEEEENS0_8identityIyEEEE10hipError_tT2_T3_mT4_P12ihipStream_tbEUlT_E_NS1_11comp_targetILNS1_3genE9ELNS1_11target_archE1100ELNS1_3gpuE3ELNS1_3repE0EEENS1_30default_config_static_selectorELNS0_4arch9wavefront6targetE1EEEvT1_,"axG",@progbits,_ZN7rocprim17ROCPRIM_400000_NS6detail17trampoline_kernelINS0_14default_configENS1_25transform_config_selectorIyLb0EEEZNS1_14transform_implILb0ES3_S5_PyN6thrust23THRUST_200600_302600_NS6detail15normal_iteratorINS9_10device_ptrIyEEEENS0_8identityIyEEEE10hipError_tT2_T3_mT4_P12ihipStream_tbEUlT_E_NS1_11comp_targetILNS1_3genE9ELNS1_11target_archE1100ELNS1_3gpuE3ELNS1_3repE0EEENS1_30default_config_static_selectorELNS0_4arch9wavefront6targetE1EEEvT1_,comdat
.Lfunc_end3518:
	.size	_ZN7rocprim17ROCPRIM_400000_NS6detail17trampoline_kernelINS0_14default_configENS1_25transform_config_selectorIyLb0EEEZNS1_14transform_implILb0ES3_S5_PyN6thrust23THRUST_200600_302600_NS6detail15normal_iteratorINS9_10device_ptrIyEEEENS0_8identityIyEEEE10hipError_tT2_T3_mT4_P12ihipStream_tbEUlT_E_NS1_11comp_targetILNS1_3genE9ELNS1_11target_archE1100ELNS1_3gpuE3ELNS1_3repE0EEENS1_30default_config_static_selectorELNS0_4arch9wavefront6targetE1EEEvT1_, .Lfunc_end3518-_ZN7rocprim17ROCPRIM_400000_NS6detail17trampoline_kernelINS0_14default_configENS1_25transform_config_selectorIyLb0EEEZNS1_14transform_implILb0ES3_S5_PyN6thrust23THRUST_200600_302600_NS6detail15normal_iteratorINS9_10device_ptrIyEEEENS0_8identityIyEEEE10hipError_tT2_T3_mT4_P12ihipStream_tbEUlT_E_NS1_11comp_targetILNS1_3genE9ELNS1_11target_archE1100ELNS1_3gpuE3ELNS1_3repE0EEENS1_30default_config_static_selectorELNS0_4arch9wavefront6targetE1EEEvT1_
                                        ; -- End function
	.section	.AMDGPU.csdata,"",@progbits
; Kernel info:
; codeLenInByte = 0
; NumSgprs: 4
; NumVgprs: 0
; NumAgprs: 0
; TotalNumVgprs: 0
; ScratchSize: 0
; MemoryBound: 0
; FloatMode: 240
; IeeeMode: 1
; LDSByteSize: 0 bytes/workgroup (compile time only)
; SGPRBlocks: 0
; VGPRBlocks: 0
; NumSGPRsForWavesPerEU: 4
; NumVGPRsForWavesPerEU: 1
; AccumOffset: 4
; Occupancy: 8
; WaveLimiterHint : 0
; COMPUTE_PGM_RSRC2:SCRATCH_EN: 0
; COMPUTE_PGM_RSRC2:USER_SGPR: 6
; COMPUTE_PGM_RSRC2:TRAP_HANDLER: 0
; COMPUTE_PGM_RSRC2:TGID_X_EN: 1
; COMPUTE_PGM_RSRC2:TGID_Y_EN: 0
; COMPUTE_PGM_RSRC2:TGID_Z_EN: 0
; COMPUTE_PGM_RSRC2:TIDIG_COMP_CNT: 0
; COMPUTE_PGM_RSRC3_GFX90A:ACCUM_OFFSET: 0
; COMPUTE_PGM_RSRC3_GFX90A:TG_SPLIT: 0
	.section	.text._ZN7rocprim17ROCPRIM_400000_NS6detail17trampoline_kernelINS0_14default_configENS1_25transform_config_selectorIyLb0EEEZNS1_14transform_implILb0ES3_S5_PyN6thrust23THRUST_200600_302600_NS6detail15normal_iteratorINS9_10device_ptrIyEEEENS0_8identityIyEEEE10hipError_tT2_T3_mT4_P12ihipStream_tbEUlT_E_NS1_11comp_targetILNS1_3genE8ELNS1_11target_archE1030ELNS1_3gpuE2ELNS1_3repE0EEENS1_30default_config_static_selectorELNS0_4arch9wavefront6targetE1EEEvT1_,"axG",@progbits,_ZN7rocprim17ROCPRIM_400000_NS6detail17trampoline_kernelINS0_14default_configENS1_25transform_config_selectorIyLb0EEEZNS1_14transform_implILb0ES3_S5_PyN6thrust23THRUST_200600_302600_NS6detail15normal_iteratorINS9_10device_ptrIyEEEENS0_8identityIyEEEE10hipError_tT2_T3_mT4_P12ihipStream_tbEUlT_E_NS1_11comp_targetILNS1_3genE8ELNS1_11target_archE1030ELNS1_3gpuE2ELNS1_3repE0EEENS1_30default_config_static_selectorELNS0_4arch9wavefront6targetE1EEEvT1_,comdat
	.protected	_ZN7rocprim17ROCPRIM_400000_NS6detail17trampoline_kernelINS0_14default_configENS1_25transform_config_selectorIyLb0EEEZNS1_14transform_implILb0ES3_S5_PyN6thrust23THRUST_200600_302600_NS6detail15normal_iteratorINS9_10device_ptrIyEEEENS0_8identityIyEEEE10hipError_tT2_T3_mT4_P12ihipStream_tbEUlT_E_NS1_11comp_targetILNS1_3genE8ELNS1_11target_archE1030ELNS1_3gpuE2ELNS1_3repE0EEENS1_30default_config_static_selectorELNS0_4arch9wavefront6targetE1EEEvT1_ ; -- Begin function _ZN7rocprim17ROCPRIM_400000_NS6detail17trampoline_kernelINS0_14default_configENS1_25transform_config_selectorIyLb0EEEZNS1_14transform_implILb0ES3_S5_PyN6thrust23THRUST_200600_302600_NS6detail15normal_iteratorINS9_10device_ptrIyEEEENS0_8identityIyEEEE10hipError_tT2_T3_mT4_P12ihipStream_tbEUlT_E_NS1_11comp_targetILNS1_3genE8ELNS1_11target_archE1030ELNS1_3gpuE2ELNS1_3repE0EEENS1_30default_config_static_selectorELNS0_4arch9wavefront6targetE1EEEvT1_
	.globl	_ZN7rocprim17ROCPRIM_400000_NS6detail17trampoline_kernelINS0_14default_configENS1_25transform_config_selectorIyLb0EEEZNS1_14transform_implILb0ES3_S5_PyN6thrust23THRUST_200600_302600_NS6detail15normal_iteratorINS9_10device_ptrIyEEEENS0_8identityIyEEEE10hipError_tT2_T3_mT4_P12ihipStream_tbEUlT_E_NS1_11comp_targetILNS1_3genE8ELNS1_11target_archE1030ELNS1_3gpuE2ELNS1_3repE0EEENS1_30default_config_static_selectorELNS0_4arch9wavefront6targetE1EEEvT1_
	.p2align	8
	.type	_ZN7rocprim17ROCPRIM_400000_NS6detail17trampoline_kernelINS0_14default_configENS1_25transform_config_selectorIyLb0EEEZNS1_14transform_implILb0ES3_S5_PyN6thrust23THRUST_200600_302600_NS6detail15normal_iteratorINS9_10device_ptrIyEEEENS0_8identityIyEEEE10hipError_tT2_T3_mT4_P12ihipStream_tbEUlT_E_NS1_11comp_targetILNS1_3genE8ELNS1_11target_archE1030ELNS1_3gpuE2ELNS1_3repE0EEENS1_30default_config_static_selectorELNS0_4arch9wavefront6targetE1EEEvT1_,@function
_ZN7rocprim17ROCPRIM_400000_NS6detail17trampoline_kernelINS0_14default_configENS1_25transform_config_selectorIyLb0EEEZNS1_14transform_implILb0ES3_S5_PyN6thrust23THRUST_200600_302600_NS6detail15normal_iteratorINS9_10device_ptrIyEEEENS0_8identityIyEEEE10hipError_tT2_T3_mT4_P12ihipStream_tbEUlT_E_NS1_11comp_targetILNS1_3genE8ELNS1_11target_archE1030ELNS1_3gpuE2ELNS1_3repE0EEENS1_30default_config_static_selectorELNS0_4arch9wavefront6targetE1EEEvT1_: ; @_ZN7rocprim17ROCPRIM_400000_NS6detail17trampoline_kernelINS0_14default_configENS1_25transform_config_selectorIyLb0EEEZNS1_14transform_implILb0ES3_S5_PyN6thrust23THRUST_200600_302600_NS6detail15normal_iteratorINS9_10device_ptrIyEEEENS0_8identityIyEEEE10hipError_tT2_T3_mT4_P12ihipStream_tbEUlT_E_NS1_11comp_targetILNS1_3genE8ELNS1_11target_archE1030ELNS1_3gpuE2ELNS1_3repE0EEENS1_30default_config_static_selectorELNS0_4arch9wavefront6targetE1EEEvT1_
; %bb.0:
	.section	.rodata,"a",@progbits
	.p2align	6, 0x0
	.amdhsa_kernel _ZN7rocprim17ROCPRIM_400000_NS6detail17trampoline_kernelINS0_14default_configENS1_25transform_config_selectorIyLb0EEEZNS1_14transform_implILb0ES3_S5_PyN6thrust23THRUST_200600_302600_NS6detail15normal_iteratorINS9_10device_ptrIyEEEENS0_8identityIyEEEE10hipError_tT2_T3_mT4_P12ihipStream_tbEUlT_E_NS1_11comp_targetILNS1_3genE8ELNS1_11target_archE1030ELNS1_3gpuE2ELNS1_3repE0EEENS1_30default_config_static_selectorELNS0_4arch9wavefront6targetE1EEEvT1_
		.amdhsa_group_segment_fixed_size 0
		.amdhsa_private_segment_fixed_size 0
		.amdhsa_kernarg_size 40
		.amdhsa_user_sgpr_count 6
		.amdhsa_user_sgpr_private_segment_buffer 1
		.amdhsa_user_sgpr_dispatch_ptr 0
		.amdhsa_user_sgpr_queue_ptr 0
		.amdhsa_user_sgpr_kernarg_segment_ptr 1
		.amdhsa_user_sgpr_dispatch_id 0
		.amdhsa_user_sgpr_flat_scratch_init 0
		.amdhsa_user_sgpr_kernarg_preload_length 0
		.amdhsa_user_sgpr_kernarg_preload_offset 0
		.amdhsa_user_sgpr_private_segment_size 0
		.amdhsa_uses_dynamic_stack 0
		.amdhsa_system_sgpr_private_segment_wavefront_offset 0
		.amdhsa_system_sgpr_workgroup_id_x 1
		.amdhsa_system_sgpr_workgroup_id_y 0
		.amdhsa_system_sgpr_workgroup_id_z 0
		.amdhsa_system_sgpr_workgroup_info 0
		.amdhsa_system_vgpr_workitem_id 0
		.amdhsa_next_free_vgpr 1
		.amdhsa_next_free_sgpr 0
		.amdhsa_accum_offset 4
		.amdhsa_reserve_vcc 0
		.amdhsa_reserve_flat_scratch 0
		.amdhsa_float_round_mode_32 0
		.amdhsa_float_round_mode_16_64 0
		.amdhsa_float_denorm_mode_32 3
		.amdhsa_float_denorm_mode_16_64 3
		.amdhsa_dx10_clamp 1
		.amdhsa_ieee_mode 1
		.amdhsa_fp16_overflow 0
		.amdhsa_tg_split 0
		.amdhsa_exception_fp_ieee_invalid_op 0
		.amdhsa_exception_fp_denorm_src 0
		.amdhsa_exception_fp_ieee_div_zero 0
		.amdhsa_exception_fp_ieee_overflow 0
		.amdhsa_exception_fp_ieee_underflow 0
		.amdhsa_exception_fp_ieee_inexact 0
		.amdhsa_exception_int_div_zero 0
	.end_amdhsa_kernel
	.section	.text._ZN7rocprim17ROCPRIM_400000_NS6detail17trampoline_kernelINS0_14default_configENS1_25transform_config_selectorIyLb0EEEZNS1_14transform_implILb0ES3_S5_PyN6thrust23THRUST_200600_302600_NS6detail15normal_iteratorINS9_10device_ptrIyEEEENS0_8identityIyEEEE10hipError_tT2_T3_mT4_P12ihipStream_tbEUlT_E_NS1_11comp_targetILNS1_3genE8ELNS1_11target_archE1030ELNS1_3gpuE2ELNS1_3repE0EEENS1_30default_config_static_selectorELNS0_4arch9wavefront6targetE1EEEvT1_,"axG",@progbits,_ZN7rocprim17ROCPRIM_400000_NS6detail17trampoline_kernelINS0_14default_configENS1_25transform_config_selectorIyLb0EEEZNS1_14transform_implILb0ES3_S5_PyN6thrust23THRUST_200600_302600_NS6detail15normal_iteratorINS9_10device_ptrIyEEEENS0_8identityIyEEEE10hipError_tT2_T3_mT4_P12ihipStream_tbEUlT_E_NS1_11comp_targetILNS1_3genE8ELNS1_11target_archE1030ELNS1_3gpuE2ELNS1_3repE0EEENS1_30default_config_static_selectorELNS0_4arch9wavefront6targetE1EEEvT1_,comdat
.Lfunc_end3519:
	.size	_ZN7rocprim17ROCPRIM_400000_NS6detail17trampoline_kernelINS0_14default_configENS1_25transform_config_selectorIyLb0EEEZNS1_14transform_implILb0ES3_S5_PyN6thrust23THRUST_200600_302600_NS6detail15normal_iteratorINS9_10device_ptrIyEEEENS0_8identityIyEEEE10hipError_tT2_T3_mT4_P12ihipStream_tbEUlT_E_NS1_11comp_targetILNS1_3genE8ELNS1_11target_archE1030ELNS1_3gpuE2ELNS1_3repE0EEENS1_30default_config_static_selectorELNS0_4arch9wavefront6targetE1EEEvT1_, .Lfunc_end3519-_ZN7rocprim17ROCPRIM_400000_NS6detail17trampoline_kernelINS0_14default_configENS1_25transform_config_selectorIyLb0EEEZNS1_14transform_implILb0ES3_S5_PyN6thrust23THRUST_200600_302600_NS6detail15normal_iteratorINS9_10device_ptrIyEEEENS0_8identityIyEEEE10hipError_tT2_T3_mT4_P12ihipStream_tbEUlT_E_NS1_11comp_targetILNS1_3genE8ELNS1_11target_archE1030ELNS1_3gpuE2ELNS1_3repE0EEENS1_30default_config_static_selectorELNS0_4arch9wavefront6targetE1EEEvT1_
                                        ; -- End function
	.section	.AMDGPU.csdata,"",@progbits
; Kernel info:
; codeLenInByte = 0
; NumSgprs: 4
; NumVgprs: 0
; NumAgprs: 0
; TotalNumVgprs: 0
; ScratchSize: 0
; MemoryBound: 0
; FloatMode: 240
; IeeeMode: 1
; LDSByteSize: 0 bytes/workgroup (compile time only)
; SGPRBlocks: 0
; VGPRBlocks: 0
; NumSGPRsForWavesPerEU: 4
; NumVGPRsForWavesPerEU: 1
; AccumOffset: 4
; Occupancy: 8
; WaveLimiterHint : 0
; COMPUTE_PGM_RSRC2:SCRATCH_EN: 0
; COMPUTE_PGM_RSRC2:USER_SGPR: 6
; COMPUTE_PGM_RSRC2:TRAP_HANDLER: 0
; COMPUTE_PGM_RSRC2:TGID_X_EN: 1
; COMPUTE_PGM_RSRC2:TGID_Y_EN: 0
; COMPUTE_PGM_RSRC2:TGID_Z_EN: 0
; COMPUTE_PGM_RSRC2:TIDIG_COMP_CNT: 0
; COMPUTE_PGM_RSRC3_GFX90A:ACCUM_OFFSET: 0
; COMPUTE_PGM_RSRC3_GFX90A:TG_SPLIT: 0
	.section	.text._ZN7rocprim17ROCPRIM_400000_NS6detail44device_merge_sort_compile_time_verifier_archINS1_11comp_targetILNS1_3genE0ELNS1_11target_archE4294967295ELNS1_3gpuE0ELNS1_3repE0EEES8_NS0_14default_configES9_NS1_37merge_sort_block_sort_config_selectorIfNS0_10empty_typeEEENS1_38merge_sort_block_merge_config_selectorIfSB_EEEEvv,"axG",@progbits,_ZN7rocprim17ROCPRIM_400000_NS6detail44device_merge_sort_compile_time_verifier_archINS1_11comp_targetILNS1_3genE0ELNS1_11target_archE4294967295ELNS1_3gpuE0ELNS1_3repE0EEES8_NS0_14default_configES9_NS1_37merge_sort_block_sort_config_selectorIfNS0_10empty_typeEEENS1_38merge_sort_block_merge_config_selectorIfSB_EEEEvv,comdat
	.protected	_ZN7rocprim17ROCPRIM_400000_NS6detail44device_merge_sort_compile_time_verifier_archINS1_11comp_targetILNS1_3genE0ELNS1_11target_archE4294967295ELNS1_3gpuE0ELNS1_3repE0EEES8_NS0_14default_configES9_NS1_37merge_sort_block_sort_config_selectorIfNS0_10empty_typeEEENS1_38merge_sort_block_merge_config_selectorIfSB_EEEEvv ; -- Begin function _ZN7rocprim17ROCPRIM_400000_NS6detail44device_merge_sort_compile_time_verifier_archINS1_11comp_targetILNS1_3genE0ELNS1_11target_archE4294967295ELNS1_3gpuE0ELNS1_3repE0EEES8_NS0_14default_configES9_NS1_37merge_sort_block_sort_config_selectorIfNS0_10empty_typeEEENS1_38merge_sort_block_merge_config_selectorIfSB_EEEEvv
	.globl	_ZN7rocprim17ROCPRIM_400000_NS6detail44device_merge_sort_compile_time_verifier_archINS1_11comp_targetILNS1_3genE0ELNS1_11target_archE4294967295ELNS1_3gpuE0ELNS1_3repE0EEES8_NS0_14default_configES9_NS1_37merge_sort_block_sort_config_selectorIfNS0_10empty_typeEEENS1_38merge_sort_block_merge_config_selectorIfSB_EEEEvv
	.p2align	8
	.type	_ZN7rocprim17ROCPRIM_400000_NS6detail44device_merge_sort_compile_time_verifier_archINS1_11comp_targetILNS1_3genE0ELNS1_11target_archE4294967295ELNS1_3gpuE0ELNS1_3repE0EEES8_NS0_14default_configES9_NS1_37merge_sort_block_sort_config_selectorIfNS0_10empty_typeEEENS1_38merge_sort_block_merge_config_selectorIfSB_EEEEvv,@function
_ZN7rocprim17ROCPRIM_400000_NS6detail44device_merge_sort_compile_time_verifier_archINS1_11comp_targetILNS1_3genE0ELNS1_11target_archE4294967295ELNS1_3gpuE0ELNS1_3repE0EEES8_NS0_14default_configES9_NS1_37merge_sort_block_sort_config_selectorIfNS0_10empty_typeEEENS1_38merge_sort_block_merge_config_selectorIfSB_EEEEvv: ; @_ZN7rocprim17ROCPRIM_400000_NS6detail44device_merge_sort_compile_time_verifier_archINS1_11comp_targetILNS1_3genE0ELNS1_11target_archE4294967295ELNS1_3gpuE0ELNS1_3repE0EEES8_NS0_14default_configES9_NS1_37merge_sort_block_sort_config_selectorIfNS0_10empty_typeEEENS1_38merge_sort_block_merge_config_selectorIfSB_EEEEvv
; %bb.0:
	s_endpgm
	.section	.rodata,"a",@progbits
	.p2align	6, 0x0
	.amdhsa_kernel _ZN7rocprim17ROCPRIM_400000_NS6detail44device_merge_sort_compile_time_verifier_archINS1_11comp_targetILNS1_3genE0ELNS1_11target_archE4294967295ELNS1_3gpuE0ELNS1_3repE0EEES8_NS0_14default_configES9_NS1_37merge_sort_block_sort_config_selectorIfNS0_10empty_typeEEENS1_38merge_sort_block_merge_config_selectorIfSB_EEEEvv
		.amdhsa_group_segment_fixed_size 0
		.amdhsa_private_segment_fixed_size 0
		.amdhsa_kernarg_size 0
		.amdhsa_user_sgpr_count 4
		.amdhsa_user_sgpr_private_segment_buffer 1
		.amdhsa_user_sgpr_dispatch_ptr 0
		.amdhsa_user_sgpr_queue_ptr 0
		.amdhsa_user_sgpr_kernarg_segment_ptr 0
		.amdhsa_user_sgpr_dispatch_id 0
		.amdhsa_user_sgpr_flat_scratch_init 0
		.amdhsa_user_sgpr_kernarg_preload_length 0
		.amdhsa_user_sgpr_kernarg_preload_offset 0
		.amdhsa_user_sgpr_private_segment_size 0
		.amdhsa_uses_dynamic_stack 0
		.amdhsa_system_sgpr_private_segment_wavefront_offset 0
		.amdhsa_system_sgpr_workgroup_id_x 1
		.amdhsa_system_sgpr_workgroup_id_y 0
		.amdhsa_system_sgpr_workgroup_id_z 0
		.amdhsa_system_sgpr_workgroup_info 0
		.amdhsa_system_vgpr_workitem_id 0
		.amdhsa_next_free_vgpr 1
		.amdhsa_next_free_sgpr 0
		.amdhsa_accum_offset 4
		.amdhsa_reserve_vcc 0
		.amdhsa_reserve_flat_scratch 0
		.amdhsa_float_round_mode_32 0
		.amdhsa_float_round_mode_16_64 0
		.amdhsa_float_denorm_mode_32 3
		.amdhsa_float_denorm_mode_16_64 3
		.amdhsa_dx10_clamp 1
		.amdhsa_ieee_mode 1
		.amdhsa_fp16_overflow 0
		.amdhsa_tg_split 0
		.amdhsa_exception_fp_ieee_invalid_op 0
		.amdhsa_exception_fp_denorm_src 0
		.amdhsa_exception_fp_ieee_div_zero 0
		.amdhsa_exception_fp_ieee_overflow 0
		.amdhsa_exception_fp_ieee_underflow 0
		.amdhsa_exception_fp_ieee_inexact 0
		.amdhsa_exception_int_div_zero 0
	.end_amdhsa_kernel
	.section	.text._ZN7rocprim17ROCPRIM_400000_NS6detail44device_merge_sort_compile_time_verifier_archINS1_11comp_targetILNS1_3genE0ELNS1_11target_archE4294967295ELNS1_3gpuE0ELNS1_3repE0EEES8_NS0_14default_configES9_NS1_37merge_sort_block_sort_config_selectorIfNS0_10empty_typeEEENS1_38merge_sort_block_merge_config_selectorIfSB_EEEEvv,"axG",@progbits,_ZN7rocprim17ROCPRIM_400000_NS6detail44device_merge_sort_compile_time_verifier_archINS1_11comp_targetILNS1_3genE0ELNS1_11target_archE4294967295ELNS1_3gpuE0ELNS1_3repE0EEES8_NS0_14default_configES9_NS1_37merge_sort_block_sort_config_selectorIfNS0_10empty_typeEEENS1_38merge_sort_block_merge_config_selectorIfSB_EEEEvv,comdat
.Lfunc_end3520:
	.size	_ZN7rocprim17ROCPRIM_400000_NS6detail44device_merge_sort_compile_time_verifier_archINS1_11comp_targetILNS1_3genE0ELNS1_11target_archE4294967295ELNS1_3gpuE0ELNS1_3repE0EEES8_NS0_14default_configES9_NS1_37merge_sort_block_sort_config_selectorIfNS0_10empty_typeEEENS1_38merge_sort_block_merge_config_selectorIfSB_EEEEvv, .Lfunc_end3520-_ZN7rocprim17ROCPRIM_400000_NS6detail44device_merge_sort_compile_time_verifier_archINS1_11comp_targetILNS1_3genE0ELNS1_11target_archE4294967295ELNS1_3gpuE0ELNS1_3repE0EEES8_NS0_14default_configES9_NS1_37merge_sort_block_sort_config_selectorIfNS0_10empty_typeEEENS1_38merge_sort_block_merge_config_selectorIfSB_EEEEvv
                                        ; -- End function
	.section	.AMDGPU.csdata,"",@progbits
; Kernel info:
; codeLenInByte = 4
; NumSgprs: 4
; NumVgprs: 0
; NumAgprs: 0
; TotalNumVgprs: 0
; ScratchSize: 0
; MemoryBound: 0
; FloatMode: 240
; IeeeMode: 1
; LDSByteSize: 0 bytes/workgroup (compile time only)
; SGPRBlocks: 0
; VGPRBlocks: 0
; NumSGPRsForWavesPerEU: 4
; NumVGPRsForWavesPerEU: 1
; AccumOffset: 4
; Occupancy: 8
; WaveLimiterHint : 0
; COMPUTE_PGM_RSRC2:SCRATCH_EN: 0
; COMPUTE_PGM_RSRC2:USER_SGPR: 4
; COMPUTE_PGM_RSRC2:TRAP_HANDLER: 0
; COMPUTE_PGM_RSRC2:TGID_X_EN: 1
; COMPUTE_PGM_RSRC2:TGID_Y_EN: 0
; COMPUTE_PGM_RSRC2:TGID_Z_EN: 0
; COMPUTE_PGM_RSRC2:TIDIG_COMP_CNT: 0
; COMPUTE_PGM_RSRC3_GFX90A:ACCUM_OFFSET: 0
; COMPUTE_PGM_RSRC3_GFX90A:TG_SPLIT: 0
	.section	.text._ZN7rocprim17ROCPRIM_400000_NS6detail44device_merge_sort_compile_time_verifier_archINS1_11comp_targetILNS1_3genE5ELNS1_11target_archE942ELNS1_3gpuE9ELNS1_3repE0EEES8_NS0_14default_configES9_NS1_37merge_sort_block_sort_config_selectorIfNS0_10empty_typeEEENS1_38merge_sort_block_merge_config_selectorIfSB_EEEEvv,"axG",@progbits,_ZN7rocprim17ROCPRIM_400000_NS6detail44device_merge_sort_compile_time_verifier_archINS1_11comp_targetILNS1_3genE5ELNS1_11target_archE942ELNS1_3gpuE9ELNS1_3repE0EEES8_NS0_14default_configES9_NS1_37merge_sort_block_sort_config_selectorIfNS0_10empty_typeEEENS1_38merge_sort_block_merge_config_selectorIfSB_EEEEvv,comdat
	.protected	_ZN7rocprim17ROCPRIM_400000_NS6detail44device_merge_sort_compile_time_verifier_archINS1_11comp_targetILNS1_3genE5ELNS1_11target_archE942ELNS1_3gpuE9ELNS1_3repE0EEES8_NS0_14default_configES9_NS1_37merge_sort_block_sort_config_selectorIfNS0_10empty_typeEEENS1_38merge_sort_block_merge_config_selectorIfSB_EEEEvv ; -- Begin function _ZN7rocprim17ROCPRIM_400000_NS6detail44device_merge_sort_compile_time_verifier_archINS1_11comp_targetILNS1_3genE5ELNS1_11target_archE942ELNS1_3gpuE9ELNS1_3repE0EEES8_NS0_14default_configES9_NS1_37merge_sort_block_sort_config_selectorIfNS0_10empty_typeEEENS1_38merge_sort_block_merge_config_selectorIfSB_EEEEvv
	.globl	_ZN7rocprim17ROCPRIM_400000_NS6detail44device_merge_sort_compile_time_verifier_archINS1_11comp_targetILNS1_3genE5ELNS1_11target_archE942ELNS1_3gpuE9ELNS1_3repE0EEES8_NS0_14default_configES9_NS1_37merge_sort_block_sort_config_selectorIfNS0_10empty_typeEEENS1_38merge_sort_block_merge_config_selectorIfSB_EEEEvv
	.p2align	8
	.type	_ZN7rocprim17ROCPRIM_400000_NS6detail44device_merge_sort_compile_time_verifier_archINS1_11comp_targetILNS1_3genE5ELNS1_11target_archE942ELNS1_3gpuE9ELNS1_3repE0EEES8_NS0_14default_configES9_NS1_37merge_sort_block_sort_config_selectorIfNS0_10empty_typeEEENS1_38merge_sort_block_merge_config_selectorIfSB_EEEEvv,@function
_ZN7rocprim17ROCPRIM_400000_NS6detail44device_merge_sort_compile_time_verifier_archINS1_11comp_targetILNS1_3genE5ELNS1_11target_archE942ELNS1_3gpuE9ELNS1_3repE0EEES8_NS0_14default_configES9_NS1_37merge_sort_block_sort_config_selectorIfNS0_10empty_typeEEENS1_38merge_sort_block_merge_config_selectorIfSB_EEEEvv: ; @_ZN7rocprim17ROCPRIM_400000_NS6detail44device_merge_sort_compile_time_verifier_archINS1_11comp_targetILNS1_3genE5ELNS1_11target_archE942ELNS1_3gpuE9ELNS1_3repE0EEES8_NS0_14default_configES9_NS1_37merge_sort_block_sort_config_selectorIfNS0_10empty_typeEEENS1_38merge_sort_block_merge_config_selectorIfSB_EEEEvv
; %bb.0:
	s_endpgm
	.section	.rodata,"a",@progbits
	.p2align	6, 0x0
	.amdhsa_kernel _ZN7rocprim17ROCPRIM_400000_NS6detail44device_merge_sort_compile_time_verifier_archINS1_11comp_targetILNS1_3genE5ELNS1_11target_archE942ELNS1_3gpuE9ELNS1_3repE0EEES8_NS0_14default_configES9_NS1_37merge_sort_block_sort_config_selectorIfNS0_10empty_typeEEENS1_38merge_sort_block_merge_config_selectorIfSB_EEEEvv
		.amdhsa_group_segment_fixed_size 0
		.amdhsa_private_segment_fixed_size 0
		.amdhsa_kernarg_size 0
		.amdhsa_user_sgpr_count 4
		.amdhsa_user_sgpr_private_segment_buffer 1
		.amdhsa_user_sgpr_dispatch_ptr 0
		.amdhsa_user_sgpr_queue_ptr 0
		.amdhsa_user_sgpr_kernarg_segment_ptr 0
		.amdhsa_user_sgpr_dispatch_id 0
		.amdhsa_user_sgpr_flat_scratch_init 0
		.amdhsa_user_sgpr_kernarg_preload_length 0
		.amdhsa_user_sgpr_kernarg_preload_offset 0
		.amdhsa_user_sgpr_private_segment_size 0
		.amdhsa_uses_dynamic_stack 0
		.amdhsa_system_sgpr_private_segment_wavefront_offset 0
		.amdhsa_system_sgpr_workgroup_id_x 1
		.amdhsa_system_sgpr_workgroup_id_y 0
		.amdhsa_system_sgpr_workgroup_id_z 0
		.amdhsa_system_sgpr_workgroup_info 0
		.amdhsa_system_vgpr_workitem_id 0
		.amdhsa_next_free_vgpr 1
		.amdhsa_next_free_sgpr 0
		.amdhsa_accum_offset 4
		.amdhsa_reserve_vcc 0
		.amdhsa_reserve_flat_scratch 0
		.amdhsa_float_round_mode_32 0
		.amdhsa_float_round_mode_16_64 0
		.amdhsa_float_denorm_mode_32 3
		.amdhsa_float_denorm_mode_16_64 3
		.amdhsa_dx10_clamp 1
		.amdhsa_ieee_mode 1
		.amdhsa_fp16_overflow 0
		.amdhsa_tg_split 0
		.amdhsa_exception_fp_ieee_invalid_op 0
		.amdhsa_exception_fp_denorm_src 0
		.amdhsa_exception_fp_ieee_div_zero 0
		.amdhsa_exception_fp_ieee_overflow 0
		.amdhsa_exception_fp_ieee_underflow 0
		.amdhsa_exception_fp_ieee_inexact 0
		.amdhsa_exception_int_div_zero 0
	.end_amdhsa_kernel
	.section	.text._ZN7rocprim17ROCPRIM_400000_NS6detail44device_merge_sort_compile_time_verifier_archINS1_11comp_targetILNS1_3genE5ELNS1_11target_archE942ELNS1_3gpuE9ELNS1_3repE0EEES8_NS0_14default_configES9_NS1_37merge_sort_block_sort_config_selectorIfNS0_10empty_typeEEENS1_38merge_sort_block_merge_config_selectorIfSB_EEEEvv,"axG",@progbits,_ZN7rocprim17ROCPRIM_400000_NS6detail44device_merge_sort_compile_time_verifier_archINS1_11comp_targetILNS1_3genE5ELNS1_11target_archE942ELNS1_3gpuE9ELNS1_3repE0EEES8_NS0_14default_configES9_NS1_37merge_sort_block_sort_config_selectorIfNS0_10empty_typeEEENS1_38merge_sort_block_merge_config_selectorIfSB_EEEEvv,comdat
.Lfunc_end3521:
	.size	_ZN7rocprim17ROCPRIM_400000_NS6detail44device_merge_sort_compile_time_verifier_archINS1_11comp_targetILNS1_3genE5ELNS1_11target_archE942ELNS1_3gpuE9ELNS1_3repE0EEES8_NS0_14default_configES9_NS1_37merge_sort_block_sort_config_selectorIfNS0_10empty_typeEEENS1_38merge_sort_block_merge_config_selectorIfSB_EEEEvv, .Lfunc_end3521-_ZN7rocprim17ROCPRIM_400000_NS6detail44device_merge_sort_compile_time_verifier_archINS1_11comp_targetILNS1_3genE5ELNS1_11target_archE942ELNS1_3gpuE9ELNS1_3repE0EEES8_NS0_14default_configES9_NS1_37merge_sort_block_sort_config_selectorIfNS0_10empty_typeEEENS1_38merge_sort_block_merge_config_selectorIfSB_EEEEvv
                                        ; -- End function
	.section	.AMDGPU.csdata,"",@progbits
; Kernel info:
; codeLenInByte = 4
; NumSgprs: 4
; NumVgprs: 0
; NumAgprs: 0
; TotalNumVgprs: 0
; ScratchSize: 0
; MemoryBound: 0
; FloatMode: 240
; IeeeMode: 1
; LDSByteSize: 0 bytes/workgroup (compile time only)
; SGPRBlocks: 0
; VGPRBlocks: 0
; NumSGPRsForWavesPerEU: 4
; NumVGPRsForWavesPerEU: 1
; AccumOffset: 4
; Occupancy: 8
; WaveLimiterHint : 0
; COMPUTE_PGM_RSRC2:SCRATCH_EN: 0
; COMPUTE_PGM_RSRC2:USER_SGPR: 4
; COMPUTE_PGM_RSRC2:TRAP_HANDLER: 0
; COMPUTE_PGM_RSRC2:TGID_X_EN: 1
; COMPUTE_PGM_RSRC2:TGID_Y_EN: 0
; COMPUTE_PGM_RSRC2:TGID_Z_EN: 0
; COMPUTE_PGM_RSRC2:TIDIG_COMP_CNT: 0
; COMPUTE_PGM_RSRC3_GFX90A:ACCUM_OFFSET: 0
; COMPUTE_PGM_RSRC3_GFX90A:TG_SPLIT: 0
	.section	.text._ZN7rocprim17ROCPRIM_400000_NS6detail44device_merge_sort_compile_time_verifier_archINS1_11comp_targetILNS1_3genE4ELNS1_11target_archE910ELNS1_3gpuE8ELNS1_3repE0EEES8_NS0_14default_configES9_NS1_37merge_sort_block_sort_config_selectorIfNS0_10empty_typeEEENS1_38merge_sort_block_merge_config_selectorIfSB_EEEEvv,"axG",@progbits,_ZN7rocprim17ROCPRIM_400000_NS6detail44device_merge_sort_compile_time_verifier_archINS1_11comp_targetILNS1_3genE4ELNS1_11target_archE910ELNS1_3gpuE8ELNS1_3repE0EEES8_NS0_14default_configES9_NS1_37merge_sort_block_sort_config_selectorIfNS0_10empty_typeEEENS1_38merge_sort_block_merge_config_selectorIfSB_EEEEvv,comdat
	.protected	_ZN7rocprim17ROCPRIM_400000_NS6detail44device_merge_sort_compile_time_verifier_archINS1_11comp_targetILNS1_3genE4ELNS1_11target_archE910ELNS1_3gpuE8ELNS1_3repE0EEES8_NS0_14default_configES9_NS1_37merge_sort_block_sort_config_selectorIfNS0_10empty_typeEEENS1_38merge_sort_block_merge_config_selectorIfSB_EEEEvv ; -- Begin function _ZN7rocprim17ROCPRIM_400000_NS6detail44device_merge_sort_compile_time_verifier_archINS1_11comp_targetILNS1_3genE4ELNS1_11target_archE910ELNS1_3gpuE8ELNS1_3repE0EEES8_NS0_14default_configES9_NS1_37merge_sort_block_sort_config_selectorIfNS0_10empty_typeEEENS1_38merge_sort_block_merge_config_selectorIfSB_EEEEvv
	.globl	_ZN7rocprim17ROCPRIM_400000_NS6detail44device_merge_sort_compile_time_verifier_archINS1_11comp_targetILNS1_3genE4ELNS1_11target_archE910ELNS1_3gpuE8ELNS1_3repE0EEES8_NS0_14default_configES9_NS1_37merge_sort_block_sort_config_selectorIfNS0_10empty_typeEEENS1_38merge_sort_block_merge_config_selectorIfSB_EEEEvv
	.p2align	8
	.type	_ZN7rocprim17ROCPRIM_400000_NS6detail44device_merge_sort_compile_time_verifier_archINS1_11comp_targetILNS1_3genE4ELNS1_11target_archE910ELNS1_3gpuE8ELNS1_3repE0EEES8_NS0_14default_configES9_NS1_37merge_sort_block_sort_config_selectorIfNS0_10empty_typeEEENS1_38merge_sort_block_merge_config_selectorIfSB_EEEEvv,@function
_ZN7rocprim17ROCPRIM_400000_NS6detail44device_merge_sort_compile_time_verifier_archINS1_11comp_targetILNS1_3genE4ELNS1_11target_archE910ELNS1_3gpuE8ELNS1_3repE0EEES8_NS0_14default_configES9_NS1_37merge_sort_block_sort_config_selectorIfNS0_10empty_typeEEENS1_38merge_sort_block_merge_config_selectorIfSB_EEEEvv: ; @_ZN7rocprim17ROCPRIM_400000_NS6detail44device_merge_sort_compile_time_verifier_archINS1_11comp_targetILNS1_3genE4ELNS1_11target_archE910ELNS1_3gpuE8ELNS1_3repE0EEES8_NS0_14default_configES9_NS1_37merge_sort_block_sort_config_selectorIfNS0_10empty_typeEEENS1_38merge_sort_block_merge_config_selectorIfSB_EEEEvv
; %bb.0:
	s_endpgm
	.section	.rodata,"a",@progbits
	.p2align	6, 0x0
	.amdhsa_kernel _ZN7rocprim17ROCPRIM_400000_NS6detail44device_merge_sort_compile_time_verifier_archINS1_11comp_targetILNS1_3genE4ELNS1_11target_archE910ELNS1_3gpuE8ELNS1_3repE0EEES8_NS0_14default_configES9_NS1_37merge_sort_block_sort_config_selectorIfNS0_10empty_typeEEENS1_38merge_sort_block_merge_config_selectorIfSB_EEEEvv
		.amdhsa_group_segment_fixed_size 0
		.amdhsa_private_segment_fixed_size 0
		.amdhsa_kernarg_size 0
		.amdhsa_user_sgpr_count 4
		.amdhsa_user_sgpr_private_segment_buffer 1
		.amdhsa_user_sgpr_dispatch_ptr 0
		.amdhsa_user_sgpr_queue_ptr 0
		.amdhsa_user_sgpr_kernarg_segment_ptr 0
		.amdhsa_user_sgpr_dispatch_id 0
		.amdhsa_user_sgpr_flat_scratch_init 0
		.amdhsa_user_sgpr_kernarg_preload_length 0
		.amdhsa_user_sgpr_kernarg_preload_offset 0
		.amdhsa_user_sgpr_private_segment_size 0
		.amdhsa_uses_dynamic_stack 0
		.amdhsa_system_sgpr_private_segment_wavefront_offset 0
		.amdhsa_system_sgpr_workgroup_id_x 1
		.amdhsa_system_sgpr_workgroup_id_y 0
		.amdhsa_system_sgpr_workgroup_id_z 0
		.amdhsa_system_sgpr_workgroup_info 0
		.amdhsa_system_vgpr_workitem_id 0
		.amdhsa_next_free_vgpr 1
		.amdhsa_next_free_sgpr 0
		.amdhsa_accum_offset 4
		.amdhsa_reserve_vcc 0
		.amdhsa_reserve_flat_scratch 0
		.amdhsa_float_round_mode_32 0
		.amdhsa_float_round_mode_16_64 0
		.amdhsa_float_denorm_mode_32 3
		.amdhsa_float_denorm_mode_16_64 3
		.amdhsa_dx10_clamp 1
		.amdhsa_ieee_mode 1
		.amdhsa_fp16_overflow 0
		.amdhsa_tg_split 0
		.amdhsa_exception_fp_ieee_invalid_op 0
		.amdhsa_exception_fp_denorm_src 0
		.amdhsa_exception_fp_ieee_div_zero 0
		.amdhsa_exception_fp_ieee_overflow 0
		.amdhsa_exception_fp_ieee_underflow 0
		.amdhsa_exception_fp_ieee_inexact 0
		.amdhsa_exception_int_div_zero 0
	.end_amdhsa_kernel
	.section	.text._ZN7rocprim17ROCPRIM_400000_NS6detail44device_merge_sort_compile_time_verifier_archINS1_11comp_targetILNS1_3genE4ELNS1_11target_archE910ELNS1_3gpuE8ELNS1_3repE0EEES8_NS0_14default_configES9_NS1_37merge_sort_block_sort_config_selectorIfNS0_10empty_typeEEENS1_38merge_sort_block_merge_config_selectorIfSB_EEEEvv,"axG",@progbits,_ZN7rocprim17ROCPRIM_400000_NS6detail44device_merge_sort_compile_time_verifier_archINS1_11comp_targetILNS1_3genE4ELNS1_11target_archE910ELNS1_3gpuE8ELNS1_3repE0EEES8_NS0_14default_configES9_NS1_37merge_sort_block_sort_config_selectorIfNS0_10empty_typeEEENS1_38merge_sort_block_merge_config_selectorIfSB_EEEEvv,comdat
.Lfunc_end3522:
	.size	_ZN7rocprim17ROCPRIM_400000_NS6detail44device_merge_sort_compile_time_verifier_archINS1_11comp_targetILNS1_3genE4ELNS1_11target_archE910ELNS1_3gpuE8ELNS1_3repE0EEES8_NS0_14default_configES9_NS1_37merge_sort_block_sort_config_selectorIfNS0_10empty_typeEEENS1_38merge_sort_block_merge_config_selectorIfSB_EEEEvv, .Lfunc_end3522-_ZN7rocprim17ROCPRIM_400000_NS6detail44device_merge_sort_compile_time_verifier_archINS1_11comp_targetILNS1_3genE4ELNS1_11target_archE910ELNS1_3gpuE8ELNS1_3repE0EEES8_NS0_14default_configES9_NS1_37merge_sort_block_sort_config_selectorIfNS0_10empty_typeEEENS1_38merge_sort_block_merge_config_selectorIfSB_EEEEvv
                                        ; -- End function
	.section	.AMDGPU.csdata,"",@progbits
; Kernel info:
; codeLenInByte = 4
; NumSgprs: 4
; NumVgprs: 0
; NumAgprs: 0
; TotalNumVgprs: 0
; ScratchSize: 0
; MemoryBound: 0
; FloatMode: 240
; IeeeMode: 1
; LDSByteSize: 0 bytes/workgroup (compile time only)
; SGPRBlocks: 0
; VGPRBlocks: 0
; NumSGPRsForWavesPerEU: 4
; NumVGPRsForWavesPerEU: 1
; AccumOffset: 4
; Occupancy: 8
; WaveLimiterHint : 0
; COMPUTE_PGM_RSRC2:SCRATCH_EN: 0
; COMPUTE_PGM_RSRC2:USER_SGPR: 4
; COMPUTE_PGM_RSRC2:TRAP_HANDLER: 0
; COMPUTE_PGM_RSRC2:TGID_X_EN: 1
; COMPUTE_PGM_RSRC2:TGID_Y_EN: 0
; COMPUTE_PGM_RSRC2:TGID_Z_EN: 0
; COMPUTE_PGM_RSRC2:TIDIG_COMP_CNT: 0
; COMPUTE_PGM_RSRC3_GFX90A:ACCUM_OFFSET: 0
; COMPUTE_PGM_RSRC3_GFX90A:TG_SPLIT: 0
	.section	.text._ZN7rocprim17ROCPRIM_400000_NS6detail44device_merge_sort_compile_time_verifier_archINS1_11comp_targetILNS1_3genE3ELNS1_11target_archE908ELNS1_3gpuE7ELNS1_3repE0EEES8_NS0_14default_configES9_NS1_37merge_sort_block_sort_config_selectorIfNS0_10empty_typeEEENS1_38merge_sort_block_merge_config_selectorIfSB_EEEEvv,"axG",@progbits,_ZN7rocprim17ROCPRIM_400000_NS6detail44device_merge_sort_compile_time_verifier_archINS1_11comp_targetILNS1_3genE3ELNS1_11target_archE908ELNS1_3gpuE7ELNS1_3repE0EEES8_NS0_14default_configES9_NS1_37merge_sort_block_sort_config_selectorIfNS0_10empty_typeEEENS1_38merge_sort_block_merge_config_selectorIfSB_EEEEvv,comdat
	.protected	_ZN7rocprim17ROCPRIM_400000_NS6detail44device_merge_sort_compile_time_verifier_archINS1_11comp_targetILNS1_3genE3ELNS1_11target_archE908ELNS1_3gpuE7ELNS1_3repE0EEES8_NS0_14default_configES9_NS1_37merge_sort_block_sort_config_selectorIfNS0_10empty_typeEEENS1_38merge_sort_block_merge_config_selectorIfSB_EEEEvv ; -- Begin function _ZN7rocprim17ROCPRIM_400000_NS6detail44device_merge_sort_compile_time_verifier_archINS1_11comp_targetILNS1_3genE3ELNS1_11target_archE908ELNS1_3gpuE7ELNS1_3repE0EEES8_NS0_14default_configES9_NS1_37merge_sort_block_sort_config_selectorIfNS0_10empty_typeEEENS1_38merge_sort_block_merge_config_selectorIfSB_EEEEvv
	.globl	_ZN7rocprim17ROCPRIM_400000_NS6detail44device_merge_sort_compile_time_verifier_archINS1_11comp_targetILNS1_3genE3ELNS1_11target_archE908ELNS1_3gpuE7ELNS1_3repE0EEES8_NS0_14default_configES9_NS1_37merge_sort_block_sort_config_selectorIfNS0_10empty_typeEEENS1_38merge_sort_block_merge_config_selectorIfSB_EEEEvv
	.p2align	8
	.type	_ZN7rocprim17ROCPRIM_400000_NS6detail44device_merge_sort_compile_time_verifier_archINS1_11comp_targetILNS1_3genE3ELNS1_11target_archE908ELNS1_3gpuE7ELNS1_3repE0EEES8_NS0_14default_configES9_NS1_37merge_sort_block_sort_config_selectorIfNS0_10empty_typeEEENS1_38merge_sort_block_merge_config_selectorIfSB_EEEEvv,@function
_ZN7rocprim17ROCPRIM_400000_NS6detail44device_merge_sort_compile_time_verifier_archINS1_11comp_targetILNS1_3genE3ELNS1_11target_archE908ELNS1_3gpuE7ELNS1_3repE0EEES8_NS0_14default_configES9_NS1_37merge_sort_block_sort_config_selectorIfNS0_10empty_typeEEENS1_38merge_sort_block_merge_config_selectorIfSB_EEEEvv: ; @_ZN7rocprim17ROCPRIM_400000_NS6detail44device_merge_sort_compile_time_verifier_archINS1_11comp_targetILNS1_3genE3ELNS1_11target_archE908ELNS1_3gpuE7ELNS1_3repE0EEES8_NS0_14default_configES9_NS1_37merge_sort_block_sort_config_selectorIfNS0_10empty_typeEEENS1_38merge_sort_block_merge_config_selectorIfSB_EEEEvv
; %bb.0:
	s_endpgm
	.section	.rodata,"a",@progbits
	.p2align	6, 0x0
	.amdhsa_kernel _ZN7rocprim17ROCPRIM_400000_NS6detail44device_merge_sort_compile_time_verifier_archINS1_11comp_targetILNS1_3genE3ELNS1_11target_archE908ELNS1_3gpuE7ELNS1_3repE0EEES8_NS0_14default_configES9_NS1_37merge_sort_block_sort_config_selectorIfNS0_10empty_typeEEENS1_38merge_sort_block_merge_config_selectorIfSB_EEEEvv
		.amdhsa_group_segment_fixed_size 0
		.amdhsa_private_segment_fixed_size 0
		.amdhsa_kernarg_size 0
		.amdhsa_user_sgpr_count 4
		.amdhsa_user_sgpr_private_segment_buffer 1
		.amdhsa_user_sgpr_dispatch_ptr 0
		.amdhsa_user_sgpr_queue_ptr 0
		.amdhsa_user_sgpr_kernarg_segment_ptr 0
		.amdhsa_user_sgpr_dispatch_id 0
		.amdhsa_user_sgpr_flat_scratch_init 0
		.amdhsa_user_sgpr_kernarg_preload_length 0
		.amdhsa_user_sgpr_kernarg_preload_offset 0
		.amdhsa_user_sgpr_private_segment_size 0
		.amdhsa_uses_dynamic_stack 0
		.amdhsa_system_sgpr_private_segment_wavefront_offset 0
		.amdhsa_system_sgpr_workgroup_id_x 1
		.amdhsa_system_sgpr_workgroup_id_y 0
		.amdhsa_system_sgpr_workgroup_id_z 0
		.amdhsa_system_sgpr_workgroup_info 0
		.amdhsa_system_vgpr_workitem_id 0
		.amdhsa_next_free_vgpr 1
		.amdhsa_next_free_sgpr 0
		.amdhsa_accum_offset 4
		.amdhsa_reserve_vcc 0
		.amdhsa_reserve_flat_scratch 0
		.amdhsa_float_round_mode_32 0
		.amdhsa_float_round_mode_16_64 0
		.amdhsa_float_denorm_mode_32 3
		.amdhsa_float_denorm_mode_16_64 3
		.amdhsa_dx10_clamp 1
		.amdhsa_ieee_mode 1
		.amdhsa_fp16_overflow 0
		.amdhsa_tg_split 0
		.amdhsa_exception_fp_ieee_invalid_op 0
		.amdhsa_exception_fp_denorm_src 0
		.amdhsa_exception_fp_ieee_div_zero 0
		.amdhsa_exception_fp_ieee_overflow 0
		.amdhsa_exception_fp_ieee_underflow 0
		.amdhsa_exception_fp_ieee_inexact 0
		.amdhsa_exception_int_div_zero 0
	.end_amdhsa_kernel
	.section	.text._ZN7rocprim17ROCPRIM_400000_NS6detail44device_merge_sort_compile_time_verifier_archINS1_11comp_targetILNS1_3genE3ELNS1_11target_archE908ELNS1_3gpuE7ELNS1_3repE0EEES8_NS0_14default_configES9_NS1_37merge_sort_block_sort_config_selectorIfNS0_10empty_typeEEENS1_38merge_sort_block_merge_config_selectorIfSB_EEEEvv,"axG",@progbits,_ZN7rocprim17ROCPRIM_400000_NS6detail44device_merge_sort_compile_time_verifier_archINS1_11comp_targetILNS1_3genE3ELNS1_11target_archE908ELNS1_3gpuE7ELNS1_3repE0EEES8_NS0_14default_configES9_NS1_37merge_sort_block_sort_config_selectorIfNS0_10empty_typeEEENS1_38merge_sort_block_merge_config_selectorIfSB_EEEEvv,comdat
.Lfunc_end3523:
	.size	_ZN7rocprim17ROCPRIM_400000_NS6detail44device_merge_sort_compile_time_verifier_archINS1_11comp_targetILNS1_3genE3ELNS1_11target_archE908ELNS1_3gpuE7ELNS1_3repE0EEES8_NS0_14default_configES9_NS1_37merge_sort_block_sort_config_selectorIfNS0_10empty_typeEEENS1_38merge_sort_block_merge_config_selectorIfSB_EEEEvv, .Lfunc_end3523-_ZN7rocprim17ROCPRIM_400000_NS6detail44device_merge_sort_compile_time_verifier_archINS1_11comp_targetILNS1_3genE3ELNS1_11target_archE908ELNS1_3gpuE7ELNS1_3repE0EEES8_NS0_14default_configES9_NS1_37merge_sort_block_sort_config_selectorIfNS0_10empty_typeEEENS1_38merge_sort_block_merge_config_selectorIfSB_EEEEvv
                                        ; -- End function
	.section	.AMDGPU.csdata,"",@progbits
; Kernel info:
; codeLenInByte = 4
; NumSgprs: 4
; NumVgprs: 0
; NumAgprs: 0
; TotalNumVgprs: 0
; ScratchSize: 0
; MemoryBound: 0
; FloatMode: 240
; IeeeMode: 1
; LDSByteSize: 0 bytes/workgroup (compile time only)
; SGPRBlocks: 0
; VGPRBlocks: 0
; NumSGPRsForWavesPerEU: 4
; NumVGPRsForWavesPerEU: 1
; AccumOffset: 4
; Occupancy: 8
; WaveLimiterHint : 0
; COMPUTE_PGM_RSRC2:SCRATCH_EN: 0
; COMPUTE_PGM_RSRC2:USER_SGPR: 4
; COMPUTE_PGM_RSRC2:TRAP_HANDLER: 0
; COMPUTE_PGM_RSRC2:TGID_X_EN: 1
; COMPUTE_PGM_RSRC2:TGID_Y_EN: 0
; COMPUTE_PGM_RSRC2:TGID_Z_EN: 0
; COMPUTE_PGM_RSRC2:TIDIG_COMP_CNT: 0
; COMPUTE_PGM_RSRC3_GFX90A:ACCUM_OFFSET: 0
; COMPUTE_PGM_RSRC3_GFX90A:TG_SPLIT: 0
	.section	.text._ZN7rocprim17ROCPRIM_400000_NS6detail44device_merge_sort_compile_time_verifier_archINS1_11comp_targetILNS1_3genE2ELNS1_11target_archE906ELNS1_3gpuE6ELNS1_3repE0EEES8_NS0_14default_configES9_NS1_37merge_sort_block_sort_config_selectorIfNS0_10empty_typeEEENS1_38merge_sort_block_merge_config_selectorIfSB_EEEEvv,"axG",@progbits,_ZN7rocprim17ROCPRIM_400000_NS6detail44device_merge_sort_compile_time_verifier_archINS1_11comp_targetILNS1_3genE2ELNS1_11target_archE906ELNS1_3gpuE6ELNS1_3repE0EEES8_NS0_14default_configES9_NS1_37merge_sort_block_sort_config_selectorIfNS0_10empty_typeEEENS1_38merge_sort_block_merge_config_selectorIfSB_EEEEvv,comdat
	.protected	_ZN7rocprim17ROCPRIM_400000_NS6detail44device_merge_sort_compile_time_verifier_archINS1_11comp_targetILNS1_3genE2ELNS1_11target_archE906ELNS1_3gpuE6ELNS1_3repE0EEES8_NS0_14default_configES9_NS1_37merge_sort_block_sort_config_selectorIfNS0_10empty_typeEEENS1_38merge_sort_block_merge_config_selectorIfSB_EEEEvv ; -- Begin function _ZN7rocprim17ROCPRIM_400000_NS6detail44device_merge_sort_compile_time_verifier_archINS1_11comp_targetILNS1_3genE2ELNS1_11target_archE906ELNS1_3gpuE6ELNS1_3repE0EEES8_NS0_14default_configES9_NS1_37merge_sort_block_sort_config_selectorIfNS0_10empty_typeEEENS1_38merge_sort_block_merge_config_selectorIfSB_EEEEvv
	.globl	_ZN7rocprim17ROCPRIM_400000_NS6detail44device_merge_sort_compile_time_verifier_archINS1_11comp_targetILNS1_3genE2ELNS1_11target_archE906ELNS1_3gpuE6ELNS1_3repE0EEES8_NS0_14default_configES9_NS1_37merge_sort_block_sort_config_selectorIfNS0_10empty_typeEEENS1_38merge_sort_block_merge_config_selectorIfSB_EEEEvv
	.p2align	8
	.type	_ZN7rocprim17ROCPRIM_400000_NS6detail44device_merge_sort_compile_time_verifier_archINS1_11comp_targetILNS1_3genE2ELNS1_11target_archE906ELNS1_3gpuE6ELNS1_3repE0EEES8_NS0_14default_configES9_NS1_37merge_sort_block_sort_config_selectorIfNS0_10empty_typeEEENS1_38merge_sort_block_merge_config_selectorIfSB_EEEEvv,@function
_ZN7rocprim17ROCPRIM_400000_NS6detail44device_merge_sort_compile_time_verifier_archINS1_11comp_targetILNS1_3genE2ELNS1_11target_archE906ELNS1_3gpuE6ELNS1_3repE0EEES8_NS0_14default_configES9_NS1_37merge_sort_block_sort_config_selectorIfNS0_10empty_typeEEENS1_38merge_sort_block_merge_config_selectorIfSB_EEEEvv: ; @_ZN7rocprim17ROCPRIM_400000_NS6detail44device_merge_sort_compile_time_verifier_archINS1_11comp_targetILNS1_3genE2ELNS1_11target_archE906ELNS1_3gpuE6ELNS1_3repE0EEES8_NS0_14default_configES9_NS1_37merge_sort_block_sort_config_selectorIfNS0_10empty_typeEEENS1_38merge_sort_block_merge_config_selectorIfSB_EEEEvv
; %bb.0:
	s_endpgm
	.section	.rodata,"a",@progbits
	.p2align	6, 0x0
	.amdhsa_kernel _ZN7rocprim17ROCPRIM_400000_NS6detail44device_merge_sort_compile_time_verifier_archINS1_11comp_targetILNS1_3genE2ELNS1_11target_archE906ELNS1_3gpuE6ELNS1_3repE0EEES8_NS0_14default_configES9_NS1_37merge_sort_block_sort_config_selectorIfNS0_10empty_typeEEENS1_38merge_sort_block_merge_config_selectorIfSB_EEEEvv
		.amdhsa_group_segment_fixed_size 0
		.amdhsa_private_segment_fixed_size 0
		.amdhsa_kernarg_size 0
		.amdhsa_user_sgpr_count 4
		.amdhsa_user_sgpr_private_segment_buffer 1
		.amdhsa_user_sgpr_dispatch_ptr 0
		.amdhsa_user_sgpr_queue_ptr 0
		.amdhsa_user_sgpr_kernarg_segment_ptr 0
		.amdhsa_user_sgpr_dispatch_id 0
		.amdhsa_user_sgpr_flat_scratch_init 0
		.amdhsa_user_sgpr_kernarg_preload_length 0
		.amdhsa_user_sgpr_kernarg_preload_offset 0
		.amdhsa_user_sgpr_private_segment_size 0
		.amdhsa_uses_dynamic_stack 0
		.amdhsa_system_sgpr_private_segment_wavefront_offset 0
		.amdhsa_system_sgpr_workgroup_id_x 1
		.amdhsa_system_sgpr_workgroup_id_y 0
		.amdhsa_system_sgpr_workgroup_id_z 0
		.amdhsa_system_sgpr_workgroup_info 0
		.amdhsa_system_vgpr_workitem_id 0
		.amdhsa_next_free_vgpr 1
		.amdhsa_next_free_sgpr 0
		.amdhsa_accum_offset 4
		.amdhsa_reserve_vcc 0
		.amdhsa_reserve_flat_scratch 0
		.amdhsa_float_round_mode_32 0
		.amdhsa_float_round_mode_16_64 0
		.amdhsa_float_denorm_mode_32 3
		.amdhsa_float_denorm_mode_16_64 3
		.amdhsa_dx10_clamp 1
		.amdhsa_ieee_mode 1
		.amdhsa_fp16_overflow 0
		.amdhsa_tg_split 0
		.amdhsa_exception_fp_ieee_invalid_op 0
		.amdhsa_exception_fp_denorm_src 0
		.amdhsa_exception_fp_ieee_div_zero 0
		.amdhsa_exception_fp_ieee_overflow 0
		.amdhsa_exception_fp_ieee_underflow 0
		.amdhsa_exception_fp_ieee_inexact 0
		.amdhsa_exception_int_div_zero 0
	.end_amdhsa_kernel
	.section	.text._ZN7rocprim17ROCPRIM_400000_NS6detail44device_merge_sort_compile_time_verifier_archINS1_11comp_targetILNS1_3genE2ELNS1_11target_archE906ELNS1_3gpuE6ELNS1_3repE0EEES8_NS0_14default_configES9_NS1_37merge_sort_block_sort_config_selectorIfNS0_10empty_typeEEENS1_38merge_sort_block_merge_config_selectorIfSB_EEEEvv,"axG",@progbits,_ZN7rocprim17ROCPRIM_400000_NS6detail44device_merge_sort_compile_time_verifier_archINS1_11comp_targetILNS1_3genE2ELNS1_11target_archE906ELNS1_3gpuE6ELNS1_3repE0EEES8_NS0_14default_configES9_NS1_37merge_sort_block_sort_config_selectorIfNS0_10empty_typeEEENS1_38merge_sort_block_merge_config_selectorIfSB_EEEEvv,comdat
.Lfunc_end3524:
	.size	_ZN7rocprim17ROCPRIM_400000_NS6detail44device_merge_sort_compile_time_verifier_archINS1_11comp_targetILNS1_3genE2ELNS1_11target_archE906ELNS1_3gpuE6ELNS1_3repE0EEES8_NS0_14default_configES9_NS1_37merge_sort_block_sort_config_selectorIfNS0_10empty_typeEEENS1_38merge_sort_block_merge_config_selectorIfSB_EEEEvv, .Lfunc_end3524-_ZN7rocprim17ROCPRIM_400000_NS6detail44device_merge_sort_compile_time_verifier_archINS1_11comp_targetILNS1_3genE2ELNS1_11target_archE906ELNS1_3gpuE6ELNS1_3repE0EEES8_NS0_14default_configES9_NS1_37merge_sort_block_sort_config_selectorIfNS0_10empty_typeEEENS1_38merge_sort_block_merge_config_selectorIfSB_EEEEvv
                                        ; -- End function
	.section	.AMDGPU.csdata,"",@progbits
; Kernel info:
; codeLenInByte = 4
; NumSgprs: 4
; NumVgprs: 0
; NumAgprs: 0
; TotalNumVgprs: 0
; ScratchSize: 0
; MemoryBound: 0
; FloatMode: 240
; IeeeMode: 1
; LDSByteSize: 0 bytes/workgroup (compile time only)
; SGPRBlocks: 0
; VGPRBlocks: 0
; NumSGPRsForWavesPerEU: 4
; NumVGPRsForWavesPerEU: 1
; AccumOffset: 4
; Occupancy: 8
; WaveLimiterHint : 0
; COMPUTE_PGM_RSRC2:SCRATCH_EN: 0
; COMPUTE_PGM_RSRC2:USER_SGPR: 4
; COMPUTE_PGM_RSRC2:TRAP_HANDLER: 0
; COMPUTE_PGM_RSRC2:TGID_X_EN: 1
; COMPUTE_PGM_RSRC2:TGID_Y_EN: 0
; COMPUTE_PGM_RSRC2:TGID_Z_EN: 0
; COMPUTE_PGM_RSRC2:TIDIG_COMP_CNT: 0
; COMPUTE_PGM_RSRC3_GFX90A:ACCUM_OFFSET: 0
; COMPUTE_PGM_RSRC3_GFX90A:TG_SPLIT: 0
	.section	.text._ZN7rocprim17ROCPRIM_400000_NS6detail44device_merge_sort_compile_time_verifier_archINS1_11comp_targetILNS1_3genE10ELNS1_11target_archE1201ELNS1_3gpuE5ELNS1_3repE0EEES8_NS0_14default_configES9_NS1_37merge_sort_block_sort_config_selectorIfNS0_10empty_typeEEENS1_38merge_sort_block_merge_config_selectorIfSB_EEEEvv,"axG",@progbits,_ZN7rocprim17ROCPRIM_400000_NS6detail44device_merge_sort_compile_time_verifier_archINS1_11comp_targetILNS1_3genE10ELNS1_11target_archE1201ELNS1_3gpuE5ELNS1_3repE0EEES8_NS0_14default_configES9_NS1_37merge_sort_block_sort_config_selectorIfNS0_10empty_typeEEENS1_38merge_sort_block_merge_config_selectorIfSB_EEEEvv,comdat
	.protected	_ZN7rocprim17ROCPRIM_400000_NS6detail44device_merge_sort_compile_time_verifier_archINS1_11comp_targetILNS1_3genE10ELNS1_11target_archE1201ELNS1_3gpuE5ELNS1_3repE0EEES8_NS0_14default_configES9_NS1_37merge_sort_block_sort_config_selectorIfNS0_10empty_typeEEENS1_38merge_sort_block_merge_config_selectorIfSB_EEEEvv ; -- Begin function _ZN7rocprim17ROCPRIM_400000_NS6detail44device_merge_sort_compile_time_verifier_archINS1_11comp_targetILNS1_3genE10ELNS1_11target_archE1201ELNS1_3gpuE5ELNS1_3repE0EEES8_NS0_14default_configES9_NS1_37merge_sort_block_sort_config_selectorIfNS0_10empty_typeEEENS1_38merge_sort_block_merge_config_selectorIfSB_EEEEvv
	.globl	_ZN7rocprim17ROCPRIM_400000_NS6detail44device_merge_sort_compile_time_verifier_archINS1_11comp_targetILNS1_3genE10ELNS1_11target_archE1201ELNS1_3gpuE5ELNS1_3repE0EEES8_NS0_14default_configES9_NS1_37merge_sort_block_sort_config_selectorIfNS0_10empty_typeEEENS1_38merge_sort_block_merge_config_selectorIfSB_EEEEvv
	.p2align	8
	.type	_ZN7rocprim17ROCPRIM_400000_NS6detail44device_merge_sort_compile_time_verifier_archINS1_11comp_targetILNS1_3genE10ELNS1_11target_archE1201ELNS1_3gpuE5ELNS1_3repE0EEES8_NS0_14default_configES9_NS1_37merge_sort_block_sort_config_selectorIfNS0_10empty_typeEEENS1_38merge_sort_block_merge_config_selectorIfSB_EEEEvv,@function
_ZN7rocprim17ROCPRIM_400000_NS6detail44device_merge_sort_compile_time_verifier_archINS1_11comp_targetILNS1_3genE10ELNS1_11target_archE1201ELNS1_3gpuE5ELNS1_3repE0EEES8_NS0_14default_configES9_NS1_37merge_sort_block_sort_config_selectorIfNS0_10empty_typeEEENS1_38merge_sort_block_merge_config_selectorIfSB_EEEEvv: ; @_ZN7rocprim17ROCPRIM_400000_NS6detail44device_merge_sort_compile_time_verifier_archINS1_11comp_targetILNS1_3genE10ELNS1_11target_archE1201ELNS1_3gpuE5ELNS1_3repE0EEES8_NS0_14default_configES9_NS1_37merge_sort_block_sort_config_selectorIfNS0_10empty_typeEEENS1_38merge_sort_block_merge_config_selectorIfSB_EEEEvv
; %bb.0:
	s_endpgm
	.section	.rodata,"a",@progbits
	.p2align	6, 0x0
	.amdhsa_kernel _ZN7rocprim17ROCPRIM_400000_NS6detail44device_merge_sort_compile_time_verifier_archINS1_11comp_targetILNS1_3genE10ELNS1_11target_archE1201ELNS1_3gpuE5ELNS1_3repE0EEES8_NS0_14default_configES9_NS1_37merge_sort_block_sort_config_selectorIfNS0_10empty_typeEEENS1_38merge_sort_block_merge_config_selectorIfSB_EEEEvv
		.amdhsa_group_segment_fixed_size 0
		.amdhsa_private_segment_fixed_size 0
		.amdhsa_kernarg_size 0
		.amdhsa_user_sgpr_count 4
		.amdhsa_user_sgpr_private_segment_buffer 1
		.amdhsa_user_sgpr_dispatch_ptr 0
		.amdhsa_user_sgpr_queue_ptr 0
		.amdhsa_user_sgpr_kernarg_segment_ptr 0
		.amdhsa_user_sgpr_dispatch_id 0
		.amdhsa_user_sgpr_flat_scratch_init 0
		.amdhsa_user_sgpr_kernarg_preload_length 0
		.amdhsa_user_sgpr_kernarg_preload_offset 0
		.amdhsa_user_sgpr_private_segment_size 0
		.amdhsa_uses_dynamic_stack 0
		.amdhsa_system_sgpr_private_segment_wavefront_offset 0
		.amdhsa_system_sgpr_workgroup_id_x 1
		.amdhsa_system_sgpr_workgroup_id_y 0
		.amdhsa_system_sgpr_workgroup_id_z 0
		.amdhsa_system_sgpr_workgroup_info 0
		.amdhsa_system_vgpr_workitem_id 0
		.amdhsa_next_free_vgpr 1
		.amdhsa_next_free_sgpr 0
		.amdhsa_accum_offset 4
		.amdhsa_reserve_vcc 0
		.amdhsa_reserve_flat_scratch 0
		.amdhsa_float_round_mode_32 0
		.amdhsa_float_round_mode_16_64 0
		.amdhsa_float_denorm_mode_32 3
		.amdhsa_float_denorm_mode_16_64 3
		.amdhsa_dx10_clamp 1
		.amdhsa_ieee_mode 1
		.amdhsa_fp16_overflow 0
		.amdhsa_tg_split 0
		.amdhsa_exception_fp_ieee_invalid_op 0
		.amdhsa_exception_fp_denorm_src 0
		.amdhsa_exception_fp_ieee_div_zero 0
		.amdhsa_exception_fp_ieee_overflow 0
		.amdhsa_exception_fp_ieee_underflow 0
		.amdhsa_exception_fp_ieee_inexact 0
		.amdhsa_exception_int_div_zero 0
	.end_amdhsa_kernel
	.section	.text._ZN7rocprim17ROCPRIM_400000_NS6detail44device_merge_sort_compile_time_verifier_archINS1_11comp_targetILNS1_3genE10ELNS1_11target_archE1201ELNS1_3gpuE5ELNS1_3repE0EEES8_NS0_14default_configES9_NS1_37merge_sort_block_sort_config_selectorIfNS0_10empty_typeEEENS1_38merge_sort_block_merge_config_selectorIfSB_EEEEvv,"axG",@progbits,_ZN7rocprim17ROCPRIM_400000_NS6detail44device_merge_sort_compile_time_verifier_archINS1_11comp_targetILNS1_3genE10ELNS1_11target_archE1201ELNS1_3gpuE5ELNS1_3repE0EEES8_NS0_14default_configES9_NS1_37merge_sort_block_sort_config_selectorIfNS0_10empty_typeEEENS1_38merge_sort_block_merge_config_selectorIfSB_EEEEvv,comdat
.Lfunc_end3525:
	.size	_ZN7rocprim17ROCPRIM_400000_NS6detail44device_merge_sort_compile_time_verifier_archINS1_11comp_targetILNS1_3genE10ELNS1_11target_archE1201ELNS1_3gpuE5ELNS1_3repE0EEES8_NS0_14default_configES9_NS1_37merge_sort_block_sort_config_selectorIfNS0_10empty_typeEEENS1_38merge_sort_block_merge_config_selectorIfSB_EEEEvv, .Lfunc_end3525-_ZN7rocprim17ROCPRIM_400000_NS6detail44device_merge_sort_compile_time_verifier_archINS1_11comp_targetILNS1_3genE10ELNS1_11target_archE1201ELNS1_3gpuE5ELNS1_3repE0EEES8_NS0_14default_configES9_NS1_37merge_sort_block_sort_config_selectorIfNS0_10empty_typeEEENS1_38merge_sort_block_merge_config_selectorIfSB_EEEEvv
                                        ; -- End function
	.section	.AMDGPU.csdata,"",@progbits
; Kernel info:
; codeLenInByte = 4
; NumSgprs: 4
; NumVgprs: 0
; NumAgprs: 0
; TotalNumVgprs: 0
; ScratchSize: 0
; MemoryBound: 0
; FloatMode: 240
; IeeeMode: 1
; LDSByteSize: 0 bytes/workgroup (compile time only)
; SGPRBlocks: 0
; VGPRBlocks: 0
; NumSGPRsForWavesPerEU: 4
; NumVGPRsForWavesPerEU: 1
; AccumOffset: 4
; Occupancy: 8
; WaveLimiterHint : 0
; COMPUTE_PGM_RSRC2:SCRATCH_EN: 0
; COMPUTE_PGM_RSRC2:USER_SGPR: 4
; COMPUTE_PGM_RSRC2:TRAP_HANDLER: 0
; COMPUTE_PGM_RSRC2:TGID_X_EN: 1
; COMPUTE_PGM_RSRC2:TGID_Y_EN: 0
; COMPUTE_PGM_RSRC2:TGID_Z_EN: 0
; COMPUTE_PGM_RSRC2:TIDIG_COMP_CNT: 0
; COMPUTE_PGM_RSRC3_GFX90A:ACCUM_OFFSET: 0
; COMPUTE_PGM_RSRC3_GFX90A:TG_SPLIT: 0
	.section	.text._ZN7rocprim17ROCPRIM_400000_NS6detail44device_merge_sort_compile_time_verifier_archINS1_11comp_targetILNS1_3genE10ELNS1_11target_archE1200ELNS1_3gpuE4ELNS1_3repE0EEENS3_ILS4_10ELS5_1201ELS6_5ELS7_0EEENS0_14default_configESA_NS1_37merge_sort_block_sort_config_selectorIfNS0_10empty_typeEEENS1_38merge_sort_block_merge_config_selectorIfSC_EEEEvv,"axG",@progbits,_ZN7rocprim17ROCPRIM_400000_NS6detail44device_merge_sort_compile_time_verifier_archINS1_11comp_targetILNS1_3genE10ELNS1_11target_archE1200ELNS1_3gpuE4ELNS1_3repE0EEENS3_ILS4_10ELS5_1201ELS6_5ELS7_0EEENS0_14default_configESA_NS1_37merge_sort_block_sort_config_selectorIfNS0_10empty_typeEEENS1_38merge_sort_block_merge_config_selectorIfSC_EEEEvv,comdat
	.protected	_ZN7rocprim17ROCPRIM_400000_NS6detail44device_merge_sort_compile_time_verifier_archINS1_11comp_targetILNS1_3genE10ELNS1_11target_archE1200ELNS1_3gpuE4ELNS1_3repE0EEENS3_ILS4_10ELS5_1201ELS6_5ELS7_0EEENS0_14default_configESA_NS1_37merge_sort_block_sort_config_selectorIfNS0_10empty_typeEEENS1_38merge_sort_block_merge_config_selectorIfSC_EEEEvv ; -- Begin function _ZN7rocprim17ROCPRIM_400000_NS6detail44device_merge_sort_compile_time_verifier_archINS1_11comp_targetILNS1_3genE10ELNS1_11target_archE1200ELNS1_3gpuE4ELNS1_3repE0EEENS3_ILS4_10ELS5_1201ELS6_5ELS7_0EEENS0_14default_configESA_NS1_37merge_sort_block_sort_config_selectorIfNS0_10empty_typeEEENS1_38merge_sort_block_merge_config_selectorIfSC_EEEEvv
	.globl	_ZN7rocprim17ROCPRIM_400000_NS6detail44device_merge_sort_compile_time_verifier_archINS1_11comp_targetILNS1_3genE10ELNS1_11target_archE1200ELNS1_3gpuE4ELNS1_3repE0EEENS3_ILS4_10ELS5_1201ELS6_5ELS7_0EEENS0_14default_configESA_NS1_37merge_sort_block_sort_config_selectorIfNS0_10empty_typeEEENS1_38merge_sort_block_merge_config_selectorIfSC_EEEEvv
	.p2align	8
	.type	_ZN7rocprim17ROCPRIM_400000_NS6detail44device_merge_sort_compile_time_verifier_archINS1_11comp_targetILNS1_3genE10ELNS1_11target_archE1200ELNS1_3gpuE4ELNS1_3repE0EEENS3_ILS4_10ELS5_1201ELS6_5ELS7_0EEENS0_14default_configESA_NS1_37merge_sort_block_sort_config_selectorIfNS0_10empty_typeEEENS1_38merge_sort_block_merge_config_selectorIfSC_EEEEvv,@function
_ZN7rocprim17ROCPRIM_400000_NS6detail44device_merge_sort_compile_time_verifier_archINS1_11comp_targetILNS1_3genE10ELNS1_11target_archE1200ELNS1_3gpuE4ELNS1_3repE0EEENS3_ILS4_10ELS5_1201ELS6_5ELS7_0EEENS0_14default_configESA_NS1_37merge_sort_block_sort_config_selectorIfNS0_10empty_typeEEENS1_38merge_sort_block_merge_config_selectorIfSC_EEEEvv: ; @_ZN7rocprim17ROCPRIM_400000_NS6detail44device_merge_sort_compile_time_verifier_archINS1_11comp_targetILNS1_3genE10ELNS1_11target_archE1200ELNS1_3gpuE4ELNS1_3repE0EEENS3_ILS4_10ELS5_1201ELS6_5ELS7_0EEENS0_14default_configESA_NS1_37merge_sort_block_sort_config_selectorIfNS0_10empty_typeEEENS1_38merge_sort_block_merge_config_selectorIfSC_EEEEvv
; %bb.0:
	s_endpgm
	.section	.rodata,"a",@progbits
	.p2align	6, 0x0
	.amdhsa_kernel _ZN7rocprim17ROCPRIM_400000_NS6detail44device_merge_sort_compile_time_verifier_archINS1_11comp_targetILNS1_3genE10ELNS1_11target_archE1200ELNS1_3gpuE4ELNS1_3repE0EEENS3_ILS4_10ELS5_1201ELS6_5ELS7_0EEENS0_14default_configESA_NS1_37merge_sort_block_sort_config_selectorIfNS0_10empty_typeEEENS1_38merge_sort_block_merge_config_selectorIfSC_EEEEvv
		.amdhsa_group_segment_fixed_size 0
		.amdhsa_private_segment_fixed_size 0
		.amdhsa_kernarg_size 0
		.amdhsa_user_sgpr_count 4
		.amdhsa_user_sgpr_private_segment_buffer 1
		.amdhsa_user_sgpr_dispatch_ptr 0
		.amdhsa_user_sgpr_queue_ptr 0
		.amdhsa_user_sgpr_kernarg_segment_ptr 0
		.amdhsa_user_sgpr_dispatch_id 0
		.amdhsa_user_sgpr_flat_scratch_init 0
		.amdhsa_user_sgpr_kernarg_preload_length 0
		.amdhsa_user_sgpr_kernarg_preload_offset 0
		.amdhsa_user_sgpr_private_segment_size 0
		.amdhsa_uses_dynamic_stack 0
		.amdhsa_system_sgpr_private_segment_wavefront_offset 0
		.amdhsa_system_sgpr_workgroup_id_x 1
		.amdhsa_system_sgpr_workgroup_id_y 0
		.amdhsa_system_sgpr_workgroup_id_z 0
		.amdhsa_system_sgpr_workgroup_info 0
		.amdhsa_system_vgpr_workitem_id 0
		.amdhsa_next_free_vgpr 1
		.amdhsa_next_free_sgpr 0
		.amdhsa_accum_offset 4
		.amdhsa_reserve_vcc 0
		.amdhsa_reserve_flat_scratch 0
		.amdhsa_float_round_mode_32 0
		.amdhsa_float_round_mode_16_64 0
		.amdhsa_float_denorm_mode_32 3
		.amdhsa_float_denorm_mode_16_64 3
		.amdhsa_dx10_clamp 1
		.amdhsa_ieee_mode 1
		.amdhsa_fp16_overflow 0
		.amdhsa_tg_split 0
		.amdhsa_exception_fp_ieee_invalid_op 0
		.amdhsa_exception_fp_denorm_src 0
		.amdhsa_exception_fp_ieee_div_zero 0
		.amdhsa_exception_fp_ieee_overflow 0
		.amdhsa_exception_fp_ieee_underflow 0
		.amdhsa_exception_fp_ieee_inexact 0
		.amdhsa_exception_int_div_zero 0
	.end_amdhsa_kernel
	.section	.text._ZN7rocprim17ROCPRIM_400000_NS6detail44device_merge_sort_compile_time_verifier_archINS1_11comp_targetILNS1_3genE10ELNS1_11target_archE1200ELNS1_3gpuE4ELNS1_3repE0EEENS3_ILS4_10ELS5_1201ELS6_5ELS7_0EEENS0_14default_configESA_NS1_37merge_sort_block_sort_config_selectorIfNS0_10empty_typeEEENS1_38merge_sort_block_merge_config_selectorIfSC_EEEEvv,"axG",@progbits,_ZN7rocprim17ROCPRIM_400000_NS6detail44device_merge_sort_compile_time_verifier_archINS1_11comp_targetILNS1_3genE10ELNS1_11target_archE1200ELNS1_3gpuE4ELNS1_3repE0EEENS3_ILS4_10ELS5_1201ELS6_5ELS7_0EEENS0_14default_configESA_NS1_37merge_sort_block_sort_config_selectorIfNS0_10empty_typeEEENS1_38merge_sort_block_merge_config_selectorIfSC_EEEEvv,comdat
.Lfunc_end3526:
	.size	_ZN7rocprim17ROCPRIM_400000_NS6detail44device_merge_sort_compile_time_verifier_archINS1_11comp_targetILNS1_3genE10ELNS1_11target_archE1200ELNS1_3gpuE4ELNS1_3repE0EEENS3_ILS4_10ELS5_1201ELS6_5ELS7_0EEENS0_14default_configESA_NS1_37merge_sort_block_sort_config_selectorIfNS0_10empty_typeEEENS1_38merge_sort_block_merge_config_selectorIfSC_EEEEvv, .Lfunc_end3526-_ZN7rocprim17ROCPRIM_400000_NS6detail44device_merge_sort_compile_time_verifier_archINS1_11comp_targetILNS1_3genE10ELNS1_11target_archE1200ELNS1_3gpuE4ELNS1_3repE0EEENS3_ILS4_10ELS5_1201ELS6_5ELS7_0EEENS0_14default_configESA_NS1_37merge_sort_block_sort_config_selectorIfNS0_10empty_typeEEENS1_38merge_sort_block_merge_config_selectorIfSC_EEEEvv
                                        ; -- End function
	.section	.AMDGPU.csdata,"",@progbits
; Kernel info:
; codeLenInByte = 4
; NumSgprs: 4
; NumVgprs: 0
; NumAgprs: 0
; TotalNumVgprs: 0
; ScratchSize: 0
; MemoryBound: 0
; FloatMode: 240
; IeeeMode: 1
; LDSByteSize: 0 bytes/workgroup (compile time only)
; SGPRBlocks: 0
; VGPRBlocks: 0
; NumSGPRsForWavesPerEU: 4
; NumVGPRsForWavesPerEU: 1
; AccumOffset: 4
; Occupancy: 8
; WaveLimiterHint : 0
; COMPUTE_PGM_RSRC2:SCRATCH_EN: 0
; COMPUTE_PGM_RSRC2:USER_SGPR: 4
; COMPUTE_PGM_RSRC2:TRAP_HANDLER: 0
; COMPUTE_PGM_RSRC2:TGID_X_EN: 1
; COMPUTE_PGM_RSRC2:TGID_Y_EN: 0
; COMPUTE_PGM_RSRC2:TGID_Z_EN: 0
; COMPUTE_PGM_RSRC2:TIDIG_COMP_CNT: 0
; COMPUTE_PGM_RSRC3_GFX90A:ACCUM_OFFSET: 0
; COMPUTE_PGM_RSRC3_GFX90A:TG_SPLIT: 0
	.section	.text._ZN7rocprim17ROCPRIM_400000_NS6detail44device_merge_sort_compile_time_verifier_archINS1_11comp_targetILNS1_3genE9ELNS1_11target_archE1100ELNS1_3gpuE3ELNS1_3repE0EEES8_NS0_14default_configES9_NS1_37merge_sort_block_sort_config_selectorIfNS0_10empty_typeEEENS1_38merge_sort_block_merge_config_selectorIfSB_EEEEvv,"axG",@progbits,_ZN7rocprim17ROCPRIM_400000_NS6detail44device_merge_sort_compile_time_verifier_archINS1_11comp_targetILNS1_3genE9ELNS1_11target_archE1100ELNS1_3gpuE3ELNS1_3repE0EEES8_NS0_14default_configES9_NS1_37merge_sort_block_sort_config_selectorIfNS0_10empty_typeEEENS1_38merge_sort_block_merge_config_selectorIfSB_EEEEvv,comdat
	.protected	_ZN7rocprim17ROCPRIM_400000_NS6detail44device_merge_sort_compile_time_verifier_archINS1_11comp_targetILNS1_3genE9ELNS1_11target_archE1100ELNS1_3gpuE3ELNS1_3repE0EEES8_NS0_14default_configES9_NS1_37merge_sort_block_sort_config_selectorIfNS0_10empty_typeEEENS1_38merge_sort_block_merge_config_selectorIfSB_EEEEvv ; -- Begin function _ZN7rocprim17ROCPRIM_400000_NS6detail44device_merge_sort_compile_time_verifier_archINS1_11comp_targetILNS1_3genE9ELNS1_11target_archE1100ELNS1_3gpuE3ELNS1_3repE0EEES8_NS0_14default_configES9_NS1_37merge_sort_block_sort_config_selectorIfNS0_10empty_typeEEENS1_38merge_sort_block_merge_config_selectorIfSB_EEEEvv
	.globl	_ZN7rocprim17ROCPRIM_400000_NS6detail44device_merge_sort_compile_time_verifier_archINS1_11comp_targetILNS1_3genE9ELNS1_11target_archE1100ELNS1_3gpuE3ELNS1_3repE0EEES8_NS0_14default_configES9_NS1_37merge_sort_block_sort_config_selectorIfNS0_10empty_typeEEENS1_38merge_sort_block_merge_config_selectorIfSB_EEEEvv
	.p2align	8
	.type	_ZN7rocprim17ROCPRIM_400000_NS6detail44device_merge_sort_compile_time_verifier_archINS1_11comp_targetILNS1_3genE9ELNS1_11target_archE1100ELNS1_3gpuE3ELNS1_3repE0EEES8_NS0_14default_configES9_NS1_37merge_sort_block_sort_config_selectorIfNS0_10empty_typeEEENS1_38merge_sort_block_merge_config_selectorIfSB_EEEEvv,@function
_ZN7rocprim17ROCPRIM_400000_NS6detail44device_merge_sort_compile_time_verifier_archINS1_11comp_targetILNS1_3genE9ELNS1_11target_archE1100ELNS1_3gpuE3ELNS1_3repE0EEES8_NS0_14default_configES9_NS1_37merge_sort_block_sort_config_selectorIfNS0_10empty_typeEEENS1_38merge_sort_block_merge_config_selectorIfSB_EEEEvv: ; @_ZN7rocprim17ROCPRIM_400000_NS6detail44device_merge_sort_compile_time_verifier_archINS1_11comp_targetILNS1_3genE9ELNS1_11target_archE1100ELNS1_3gpuE3ELNS1_3repE0EEES8_NS0_14default_configES9_NS1_37merge_sort_block_sort_config_selectorIfNS0_10empty_typeEEENS1_38merge_sort_block_merge_config_selectorIfSB_EEEEvv
; %bb.0:
	s_endpgm
	.section	.rodata,"a",@progbits
	.p2align	6, 0x0
	.amdhsa_kernel _ZN7rocprim17ROCPRIM_400000_NS6detail44device_merge_sort_compile_time_verifier_archINS1_11comp_targetILNS1_3genE9ELNS1_11target_archE1100ELNS1_3gpuE3ELNS1_3repE0EEES8_NS0_14default_configES9_NS1_37merge_sort_block_sort_config_selectorIfNS0_10empty_typeEEENS1_38merge_sort_block_merge_config_selectorIfSB_EEEEvv
		.amdhsa_group_segment_fixed_size 0
		.amdhsa_private_segment_fixed_size 0
		.amdhsa_kernarg_size 0
		.amdhsa_user_sgpr_count 4
		.amdhsa_user_sgpr_private_segment_buffer 1
		.amdhsa_user_sgpr_dispatch_ptr 0
		.amdhsa_user_sgpr_queue_ptr 0
		.amdhsa_user_sgpr_kernarg_segment_ptr 0
		.amdhsa_user_sgpr_dispatch_id 0
		.amdhsa_user_sgpr_flat_scratch_init 0
		.amdhsa_user_sgpr_kernarg_preload_length 0
		.amdhsa_user_sgpr_kernarg_preload_offset 0
		.amdhsa_user_sgpr_private_segment_size 0
		.amdhsa_uses_dynamic_stack 0
		.amdhsa_system_sgpr_private_segment_wavefront_offset 0
		.amdhsa_system_sgpr_workgroup_id_x 1
		.amdhsa_system_sgpr_workgroup_id_y 0
		.amdhsa_system_sgpr_workgroup_id_z 0
		.amdhsa_system_sgpr_workgroup_info 0
		.amdhsa_system_vgpr_workitem_id 0
		.amdhsa_next_free_vgpr 1
		.amdhsa_next_free_sgpr 0
		.amdhsa_accum_offset 4
		.amdhsa_reserve_vcc 0
		.amdhsa_reserve_flat_scratch 0
		.amdhsa_float_round_mode_32 0
		.amdhsa_float_round_mode_16_64 0
		.amdhsa_float_denorm_mode_32 3
		.amdhsa_float_denorm_mode_16_64 3
		.amdhsa_dx10_clamp 1
		.amdhsa_ieee_mode 1
		.amdhsa_fp16_overflow 0
		.amdhsa_tg_split 0
		.amdhsa_exception_fp_ieee_invalid_op 0
		.amdhsa_exception_fp_denorm_src 0
		.amdhsa_exception_fp_ieee_div_zero 0
		.amdhsa_exception_fp_ieee_overflow 0
		.amdhsa_exception_fp_ieee_underflow 0
		.amdhsa_exception_fp_ieee_inexact 0
		.amdhsa_exception_int_div_zero 0
	.end_amdhsa_kernel
	.section	.text._ZN7rocprim17ROCPRIM_400000_NS6detail44device_merge_sort_compile_time_verifier_archINS1_11comp_targetILNS1_3genE9ELNS1_11target_archE1100ELNS1_3gpuE3ELNS1_3repE0EEES8_NS0_14default_configES9_NS1_37merge_sort_block_sort_config_selectorIfNS0_10empty_typeEEENS1_38merge_sort_block_merge_config_selectorIfSB_EEEEvv,"axG",@progbits,_ZN7rocprim17ROCPRIM_400000_NS6detail44device_merge_sort_compile_time_verifier_archINS1_11comp_targetILNS1_3genE9ELNS1_11target_archE1100ELNS1_3gpuE3ELNS1_3repE0EEES8_NS0_14default_configES9_NS1_37merge_sort_block_sort_config_selectorIfNS0_10empty_typeEEENS1_38merge_sort_block_merge_config_selectorIfSB_EEEEvv,comdat
.Lfunc_end3527:
	.size	_ZN7rocprim17ROCPRIM_400000_NS6detail44device_merge_sort_compile_time_verifier_archINS1_11comp_targetILNS1_3genE9ELNS1_11target_archE1100ELNS1_3gpuE3ELNS1_3repE0EEES8_NS0_14default_configES9_NS1_37merge_sort_block_sort_config_selectorIfNS0_10empty_typeEEENS1_38merge_sort_block_merge_config_selectorIfSB_EEEEvv, .Lfunc_end3527-_ZN7rocprim17ROCPRIM_400000_NS6detail44device_merge_sort_compile_time_verifier_archINS1_11comp_targetILNS1_3genE9ELNS1_11target_archE1100ELNS1_3gpuE3ELNS1_3repE0EEES8_NS0_14default_configES9_NS1_37merge_sort_block_sort_config_selectorIfNS0_10empty_typeEEENS1_38merge_sort_block_merge_config_selectorIfSB_EEEEvv
                                        ; -- End function
	.section	.AMDGPU.csdata,"",@progbits
; Kernel info:
; codeLenInByte = 4
; NumSgprs: 4
; NumVgprs: 0
; NumAgprs: 0
; TotalNumVgprs: 0
; ScratchSize: 0
; MemoryBound: 0
; FloatMode: 240
; IeeeMode: 1
; LDSByteSize: 0 bytes/workgroup (compile time only)
; SGPRBlocks: 0
; VGPRBlocks: 0
; NumSGPRsForWavesPerEU: 4
; NumVGPRsForWavesPerEU: 1
; AccumOffset: 4
; Occupancy: 8
; WaveLimiterHint : 0
; COMPUTE_PGM_RSRC2:SCRATCH_EN: 0
; COMPUTE_PGM_RSRC2:USER_SGPR: 4
; COMPUTE_PGM_RSRC2:TRAP_HANDLER: 0
; COMPUTE_PGM_RSRC2:TGID_X_EN: 1
; COMPUTE_PGM_RSRC2:TGID_Y_EN: 0
; COMPUTE_PGM_RSRC2:TGID_Z_EN: 0
; COMPUTE_PGM_RSRC2:TIDIG_COMP_CNT: 0
; COMPUTE_PGM_RSRC3_GFX90A:ACCUM_OFFSET: 0
; COMPUTE_PGM_RSRC3_GFX90A:TG_SPLIT: 0
	.section	.text._ZN7rocprim17ROCPRIM_400000_NS6detail44device_merge_sort_compile_time_verifier_archINS1_11comp_targetILNS1_3genE8ELNS1_11target_archE1030ELNS1_3gpuE2ELNS1_3repE0EEES8_NS0_14default_configES9_NS1_37merge_sort_block_sort_config_selectorIfNS0_10empty_typeEEENS1_38merge_sort_block_merge_config_selectorIfSB_EEEEvv,"axG",@progbits,_ZN7rocprim17ROCPRIM_400000_NS6detail44device_merge_sort_compile_time_verifier_archINS1_11comp_targetILNS1_3genE8ELNS1_11target_archE1030ELNS1_3gpuE2ELNS1_3repE0EEES8_NS0_14default_configES9_NS1_37merge_sort_block_sort_config_selectorIfNS0_10empty_typeEEENS1_38merge_sort_block_merge_config_selectorIfSB_EEEEvv,comdat
	.protected	_ZN7rocprim17ROCPRIM_400000_NS6detail44device_merge_sort_compile_time_verifier_archINS1_11comp_targetILNS1_3genE8ELNS1_11target_archE1030ELNS1_3gpuE2ELNS1_3repE0EEES8_NS0_14default_configES9_NS1_37merge_sort_block_sort_config_selectorIfNS0_10empty_typeEEENS1_38merge_sort_block_merge_config_selectorIfSB_EEEEvv ; -- Begin function _ZN7rocprim17ROCPRIM_400000_NS6detail44device_merge_sort_compile_time_verifier_archINS1_11comp_targetILNS1_3genE8ELNS1_11target_archE1030ELNS1_3gpuE2ELNS1_3repE0EEES8_NS0_14default_configES9_NS1_37merge_sort_block_sort_config_selectorIfNS0_10empty_typeEEENS1_38merge_sort_block_merge_config_selectorIfSB_EEEEvv
	.globl	_ZN7rocprim17ROCPRIM_400000_NS6detail44device_merge_sort_compile_time_verifier_archINS1_11comp_targetILNS1_3genE8ELNS1_11target_archE1030ELNS1_3gpuE2ELNS1_3repE0EEES8_NS0_14default_configES9_NS1_37merge_sort_block_sort_config_selectorIfNS0_10empty_typeEEENS1_38merge_sort_block_merge_config_selectorIfSB_EEEEvv
	.p2align	8
	.type	_ZN7rocprim17ROCPRIM_400000_NS6detail44device_merge_sort_compile_time_verifier_archINS1_11comp_targetILNS1_3genE8ELNS1_11target_archE1030ELNS1_3gpuE2ELNS1_3repE0EEES8_NS0_14default_configES9_NS1_37merge_sort_block_sort_config_selectorIfNS0_10empty_typeEEENS1_38merge_sort_block_merge_config_selectorIfSB_EEEEvv,@function
_ZN7rocprim17ROCPRIM_400000_NS6detail44device_merge_sort_compile_time_verifier_archINS1_11comp_targetILNS1_3genE8ELNS1_11target_archE1030ELNS1_3gpuE2ELNS1_3repE0EEES8_NS0_14default_configES9_NS1_37merge_sort_block_sort_config_selectorIfNS0_10empty_typeEEENS1_38merge_sort_block_merge_config_selectorIfSB_EEEEvv: ; @_ZN7rocprim17ROCPRIM_400000_NS6detail44device_merge_sort_compile_time_verifier_archINS1_11comp_targetILNS1_3genE8ELNS1_11target_archE1030ELNS1_3gpuE2ELNS1_3repE0EEES8_NS0_14default_configES9_NS1_37merge_sort_block_sort_config_selectorIfNS0_10empty_typeEEENS1_38merge_sort_block_merge_config_selectorIfSB_EEEEvv
; %bb.0:
	s_endpgm
	.section	.rodata,"a",@progbits
	.p2align	6, 0x0
	.amdhsa_kernel _ZN7rocprim17ROCPRIM_400000_NS6detail44device_merge_sort_compile_time_verifier_archINS1_11comp_targetILNS1_3genE8ELNS1_11target_archE1030ELNS1_3gpuE2ELNS1_3repE0EEES8_NS0_14default_configES9_NS1_37merge_sort_block_sort_config_selectorIfNS0_10empty_typeEEENS1_38merge_sort_block_merge_config_selectorIfSB_EEEEvv
		.amdhsa_group_segment_fixed_size 0
		.amdhsa_private_segment_fixed_size 0
		.amdhsa_kernarg_size 0
		.amdhsa_user_sgpr_count 4
		.amdhsa_user_sgpr_private_segment_buffer 1
		.amdhsa_user_sgpr_dispatch_ptr 0
		.amdhsa_user_sgpr_queue_ptr 0
		.amdhsa_user_sgpr_kernarg_segment_ptr 0
		.amdhsa_user_sgpr_dispatch_id 0
		.amdhsa_user_sgpr_flat_scratch_init 0
		.amdhsa_user_sgpr_kernarg_preload_length 0
		.amdhsa_user_sgpr_kernarg_preload_offset 0
		.amdhsa_user_sgpr_private_segment_size 0
		.amdhsa_uses_dynamic_stack 0
		.amdhsa_system_sgpr_private_segment_wavefront_offset 0
		.amdhsa_system_sgpr_workgroup_id_x 1
		.amdhsa_system_sgpr_workgroup_id_y 0
		.amdhsa_system_sgpr_workgroup_id_z 0
		.amdhsa_system_sgpr_workgroup_info 0
		.amdhsa_system_vgpr_workitem_id 0
		.amdhsa_next_free_vgpr 1
		.amdhsa_next_free_sgpr 0
		.amdhsa_accum_offset 4
		.amdhsa_reserve_vcc 0
		.amdhsa_reserve_flat_scratch 0
		.amdhsa_float_round_mode_32 0
		.amdhsa_float_round_mode_16_64 0
		.amdhsa_float_denorm_mode_32 3
		.amdhsa_float_denorm_mode_16_64 3
		.amdhsa_dx10_clamp 1
		.amdhsa_ieee_mode 1
		.amdhsa_fp16_overflow 0
		.amdhsa_tg_split 0
		.amdhsa_exception_fp_ieee_invalid_op 0
		.amdhsa_exception_fp_denorm_src 0
		.amdhsa_exception_fp_ieee_div_zero 0
		.amdhsa_exception_fp_ieee_overflow 0
		.amdhsa_exception_fp_ieee_underflow 0
		.amdhsa_exception_fp_ieee_inexact 0
		.amdhsa_exception_int_div_zero 0
	.end_amdhsa_kernel
	.section	.text._ZN7rocprim17ROCPRIM_400000_NS6detail44device_merge_sort_compile_time_verifier_archINS1_11comp_targetILNS1_3genE8ELNS1_11target_archE1030ELNS1_3gpuE2ELNS1_3repE0EEES8_NS0_14default_configES9_NS1_37merge_sort_block_sort_config_selectorIfNS0_10empty_typeEEENS1_38merge_sort_block_merge_config_selectorIfSB_EEEEvv,"axG",@progbits,_ZN7rocprim17ROCPRIM_400000_NS6detail44device_merge_sort_compile_time_verifier_archINS1_11comp_targetILNS1_3genE8ELNS1_11target_archE1030ELNS1_3gpuE2ELNS1_3repE0EEES8_NS0_14default_configES9_NS1_37merge_sort_block_sort_config_selectorIfNS0_10empty_typeEEENS1_38merge_sort_block_merge_config_selectorIfSB_EEEEvv,comdat
.Lfunc_end3528:
	.size	_ZN7rocprim17ROCPRIM_400000_NS6detail44device_merge_sort_compile_time_verifier_archINS1_11comp_targetILNS1_3genE8ELNS1_11target_archE1030ELNS1_3gpuE2ELNS1_3repE0EEES8_NS0_14default_configES9_NS1_37merge_sort_block_sort_config_selectorIfNS0_10empty_typeEEENS1_38merge_sort_block_merge_config_selectorIfSB_EEEEvv, .Lfunc_end3528-_ZN7rocprim17ROCPRIM_400000_NS6detail44device_merge_sort_compile_time_verifier_archINS1_11comp_targetILNS1_3genE8ELNS1_11target_archE1030ELNS1_3gpuE2ELNS1_3repE0EEES8_NS0_14default_configES9_NS1_37merge_sort_block_sort_config_selectorIfNS0_10empty_typeEEENS1_38merge_sort_block_merge_config_selectorIfSB_EEEEvv
                                        ; -- End function
	.section	.AMDGPU.csdata,"",@progbits
; Kernel info:
; codeLenInByte = 4
; NumSgprs: 4
; NumVgprs: 0
; NumAgprs: 0
; TotalNumVgprs: 0
; ScratchSize: 0
; MemoryBound: 0
; FloatMode: 240
; IeeeMode: 1
; LDSByteSize: 0 bytes/workgroup (compile time only)
; SGPRBlocks: 0
; VGPRBlocks: 0
; NumSGPRsForWavesPerEU: 4
; NumVGPRsForWavesPerEU: 1
; AccumOffset: 4
; Occupancy: 8
; WaveLimiterHint : 0
; COMPUTE_PGM_RSRC2:SCRATCH_EN: 0
; COMPUTE_PGM_RSRC2:USER_SGPR: 4
; COMPUTE_PGM_RSRC2:TRAP_HANDLER: 0
; COMPUTE_PGM_RSRC2:TGID_X_EN: 1
; COMPUTE_PGM_RSRC2:TGID_Y_EN: 0
; COMPUTE_PGM_RSRC2:TGID_Z_EN: 0
; COMPUTE_PGM_RSRC2:TIDIG_COMP_CNT: 0
; COMPUTE_PGM_RSRC3_GFX90A:ACCUM_OFFSET: 0
; COMPUTE_PGM_RSRC3_GFX90A:TG_SPLIT: 0
	.section	.text._ZN7rocprim17ROCPRIM_400000_NS6detail17trampoline_kernelINS0_14default_configENS1_37merge_sort_block_sort_config_selectorIfNS0_10empty_typeEEEZNS1_21merge_sort_block_sortIS3_N6thrust23THRUST_200600_302600_NS6detail15normal_iteratorINS9_10device_ptrIfEEEESE_PS5_SF_14custom_greaterIfEEE10hipError_tT0_T1_T2_T3_mRjT4_P12ihipStream_tbNS1_7vsmem_tEEUlT_E_NS1_11comp_targetILNS1_3genE0ELNS1_11target_archE4294967295ELNS1_3gpuE0ELNS1_3repE0EEENS1_30default_config_static_selectorELNS0_4arch9wavefront6targetE1EEEvSK_,"axG",@progbits,_ZN7rocprim17ROCPRIM_400000_NS6detail17trampoline_kernelINS0_14default_configENS1_37merge_sort_block_sort_config_selectorIfNS0_10empty_typeEEEZNS1_21merge_sort_block_sortIS3_N6thrust23THRUST_200600_302600_NS6detail15normal_iteratorINS9_10device_ptrIfEEEESE_PS5_SF_14custom_greaterIfEEE10hipError_tT0_T1_T2_T3_mRjT4_P12ihipStream_tbNS1_7vsmem_tEEUlT_E_NS1_11comp_targetILNS1_3genE0ELNS1_11target_archE4294967295ELNS1_3gpuE0ELNS1_3repE0EEENS1_30default_config_static_selectorELNS0_4arch9wavefront6targetE1EEEvSK_,comdat
	.protected	_ZN7rocprim17ROCPRIM_400000_NS6detail17trampoline_kernelINS0_14default_configENS1_37merge_sort_block_sort_config_selectorIfNS0_10empty_typeEEEZNS1_21merge_sort_block_sortIS3_N6thrust23THRUST_200600_302600_NS6detail15normal_iteratorINS9_10device_ptrIfEEEESE_PS5_SF_14custom_greaterIfEEE10hipError_tT0_T1_T2_T3_mRjT4_P12ihipStream_tbNS1_7vsmem_tEEUlT_E_NS1_11comp_targetILNS1_3genE0ELNS1_11target_archE4294967295ELNS1_3gpuE0ELNS1_3repE0EEENS1_30default_config_static_selectorELNS0_4arch9wavefront6targetE1EEEvSK_ ; -- Begin function _ZN7rocprim17ROCPRIM_400000_NS6detail17trampoline_kernelINS0_14default_configENS1_37merge_sort_block_sort_config_selectorIfNS0_10empty_typeEEEZNS1_21merge_sort_block_sortIS3_N6thrust23THRUST_200600_302600_NS6detail15normal_iteratorINS9_10device_ptrIfEEEESE_PS5_SF_14custom_greaterIfEEE10hipError_tT0_T1_T2_T3_mRjT4_P12ihipStream_tbNS1_7vsmem_tEEUlT_E_NS1_11comp_targetILNS1_3genE0ELNS1_11target_archE4294967295ELNS1_3gpuE0ELNS1_3repE0EEENS1_30default_config_static_selectorELNS0_4arch9wavefront6targetE1EEEvSK_
	.globl	_ZN7rocprim17ROCPRIM_400000_NS6detail17trampoline_kernelINS0_14default_configENS1_37merge_sort_block_sort_config_selectorIfNS0_10empty_typeEEEZNS1_21merge_sort_block_sortIS3_N6thrust23THRUST_200600_302600_NS6detail15normal_iteratorINS9_10device_ptrIfEEEESE_PS5_SF_14custom_greaterIfEEE10hipError_tT0_T1_T2_T3_mRjT4_P12ihipStream_tbNS1_7vsmem_tEEUlT_E_NS1_11comp_targetILNS1_3genE0ELNS1_11target_archE4294967295ELNS1_3gpuE0ELNS1_3repE0EEENS1_30default_config_static_selectorELNS0_4arch9wavefront6targetE1EEEvSK_
	.p2align	8
	.type	_ZN7rocprim17ROCPRIM_400000_NS6detail17trampoline_kernelINS0_14default_configENS1_37merge_sort_block_sort_config_selectorIfNS0_10empty_typeEEEZNS1_21merge_sort_block_sortIS3_N6thrust23THRUST_200600_302600_NS6detail15normal_iteratorINS9_10device_ptrIfEEEESE_PS5_SF_14custom_greaterIfEEE10hipError_tT0_T1_T2_T3_mRjT4_P12ihipStream_tbNS1_7vsmem_tEEUlT_E_NS1_11comp_targetILNS1_3genE0ELNS1_11target_archE4294967295ELNS1_3gpuE0ELNS1_3repE0EEENS1_30default_config_static_selectorELNS0_4arch9wavefront6targetE1EEEvSK_,@function
_ZN7rocprim17ROCPRIM_400000_NS6detail17trampoline_kernelINS0_14default_configENS1_37merge_sort_block_sort_config_selectorIfNS0_10empty_typeEEEZNS1_21merge_sort_block_sortIS3_N6thrust23THRUST_200600_302600_NS6detail15normal_iteratorINS9_10device_ptrIfEEEESE_PS5_SF_14custom_greaterIfEEE10hipError_tT0_T1_T2_T3_mRjT4_P12ihipStream_tbNS1_7vsmem_tEEUlT_E_NS1_11comp_targetILNS1_3genE0ELNS1_11target_archE4294967295ELNS1_3gpuE0ELNS1_3repE0EEENS1_30default_config_static_selectorELNS0_4arch9wavefront6targetE1EEEvSK_: ; @_ZN7rocprim17ROCPRIM_400000_NS6detail17trampoline_kernelINS0_14default_configENS1_37merge_sort_block_sort_config_selectorIfNS0_10empty_typeEEEZNS1_21merge_sort_block_sortIS3_N6thrust23THRUST_200600_302600_NS6detail15normal_iteratorINS9_10device_ptrIfEEEESE_PS5_SF_14custom_greaterIfEEE10hipError_tT0_T1_T2_T3_mRjT4_P12ihipStream_tbNS1_7vsmem_tEEUlT_E_NS1_11comp_targetILNS1_3genE0ELNS1_11target_archE4294967295ELNS1_3gpuE0ELNS1_3repE0EEENS1_30default_config_static_selectorELNS0_4arch9wavefront6targetE1EEEvSK_
; %bb.0:
	.section	.rodata,"a",@progbits
	.p2align	6, 0x0
	.amdhsa_kernel _ZN7rocprim17ROCPRIM_400000_NS6detail17trampoline_kernelINS0_14default_configENS1_37merge_sort_block_sort_config_selectorIfNS0_10empty_typeEEEZNS1_21merge_sort_block_sortIS3_N6thrust23THRUST_200600_302600_NS6detail15normal_iteratorINS9_10device_ptrIfEEEESE_PS5_SF_14custom_greaterIfEEE10hipError_tT0_T1_T2_T3_mRjT4_P12ihipStream_tbNS1_7vsmem_tEEUlT_E_NS1_11comp_targetILNS1_3genE0ELNS1_11target_archE4294967295ELNS1_3gpuE0ELNS1_3repE0EEENS1_30default_config_static_selectorELNS0_4arch9wavefront6targetE1EEEvSK_
		.amdhsa_group_segment_fixed_size 0
		.amdhsa_private_segment_fixed_size 0
		.amdhsa_kernarg_size 64
		.amdhsa_user_sgpr_count 6
		.amdhsa_user_sgpr_private_segment_buffer 1
		.amdhsa_user_sgpr_dispatch_ptr 0
		.amdhsa_user_sgpr_queue_ptr 0
		.amdhsa_user_sgpr_kernarg_segment_ptr 1
		.amdhsa_user_sgpr_dispatch_id 0
		.amdhsa_user_sgpr_flat_scratch_init 0
		.amdhsa_user_sgpr_kernarg_preload_length 0
		.amdhsa_user_sgpr_kernarg_preload_offset 0
		.amdhsa_user_sgpr_private_segment_size 0
		.amdhsa_uses_dynamic_stack 0
		.amdhsa_system_sgpr_private_segment_wavefront_offset 0
		.amdhsa_system_sgpr_workgroup_id_x 1
		.amdhsa_system_sgpr_workgroup_id_y 0
		.amdhsa_system_sgpr_workgroup_id_z 0
		.amdhsa_system_sgpr_workgroup_info 0
		.amdhsa_system_vgpr_workitem_id 0
		.amdhsa_next_free_vgpr 1
		.amdhsa_next_free_sgpr 0
		.amdhsa_accum_offset 4
		.amdhsa_reserve_vcc 0
		.amdhsa_reserve_flat_scratch 0
		.amdhsa_float_round_mode_32 0
		.amdhsa_float_round_mode_16_64 0
		.amdhsa_float_denorm_mode_32 3
		.amdhsa_float_denorm_mode_16_64 3
		.amdhsa_dx10_clamp 1
		.amdhsa_ieee_mode 1
		.amdhsa_fp16_overflow 0
		.amdhsa_tg_split 0
		.amdhsa_exception_fp_ieee_invalid_op 0
		.amdhsa_exception_fp_denorm_src 0
		.amdhsa_exception_fp_ieee_div_zero 0
		.amdhsa_exception_fp_ieee_overflow 0
		.amdhsa_exception_fp_ieee_underflow 0
		.amdhsa_exception_fp_ieee_inexact 0
		.amdhsa_exception_int_div_zero 0
	.end_amdhsa_kernel
	.section	.text._ZN7rocprim17ROCPRIM_400000_NS6detail17trampoline_kernelINS0_14default_configENS1_37merge_sort_block_sort_config_selectorIfNS0_10empty_typeEEEZNS1_21merge_sort_block_sortIS3_N6thrust23THRUST_200600_302600_NS6detail15normal_iteratorINS9_10device_ptrIfEEEESE_PS5_SF_14custom_greaterIfEEE10hipError_tT0_T1_T2_T3_mRjT4_P12ihipStream_tbNS1_7vsmem_tEEUlT_E_NS1_11comp_targetILNS1_3genE0ELNS1_11target_archE4294967295ELNS1_3gpuE0ELNS1_3repE0EEENS1_30default_config_static_selectorELNS0_4arch9wavefront6targetE1EEEvSK_,"axG",@progbits,_ZN7rocprim17ROCPRIM_400000_NS6detail17trampoline_kernelINS0_14default_configENS1_37merge_sort_block_sort_config_selectorIfNS0_10empty_typeEEEZNS1_21merge_sort_block_sortIS3_N6thrust23THRUST_200600_302600_NS6detail15normal_iteratorINS9_10device_ptrIfEEEESE_PS5_SF_14custom_greaterIfEEE10hipError_tT0_T1_T2_T3_mRjT4_P12ihipStream_tbNS1_7vsmem_tEEUlT_E_NS1_11comp_targetILNS1_3genE0ELNS1_11target_archE4294967295ELNS1_3gpuE0ELNS1_3repE0EEENS1_30default_config_static_selectorELNS0_4arch9wavefront6targetE1EEEvSK_,comdat
.Lfunc_end3529:
	.size	_ZN7rocprim17ROCPRIM_400000_NS6detail17trampoline_kernelINS0_14default_configENS1_37merge_sort_block_sort_config_selectorIfNS0_10empty_typeEEEZNS1_21merge_sort_block_sortIS3_N6thrust23THRUST_200600_302600_NS6detail15normal_iteratorINS9_10device_ptrIfEEEESE_PS5_SF_14custom_greaterIfEEE10hipError_tT0_T1_T2_T3_mRjT4_P12ihipStream_tbNS1_7vsmem_tEEUlT_E_NS1_11comp_targetILNS1_3genE0ELNS1_11target_archE4294967295ELNS1_3gpuE0ELNS1_3repE0EEENS1_30default_config_static_selectorELNS0_4arch9wavefront6targetE1EEEvSK_, .Lfunc_end3529-_ZN7rocprim17ROCPRIM_400000_NS6detail17trampoline_kernelINS0_14default_configENS1_37merge_sort_block_sort_config_selectorIfNS0_10empty_typeEEEZNS1_21merge_sort_block_sortIS3_N6thrust23THRUST_200600_302600_NS6detail15normal_iteratorINS9_10device_ptrIfEEEESE_PS5_SF_14custom_greaterIfEEE10hipError_tT0_T1_T2_T3_mRjT4_P12ihipStream_tbNS1_7vsmem_tEEUlT_E_NS1_11comp_targetILNS1_3genE0ELNS1_11target_archE4294967295ELNS1_3gpuE0ELNS1_3repE0EEENS1_30default_config_static_selectorELNS0_4arch9wavefront6targetE1EEEvSK_
                                        ; -- End function
	.section	.AMDGPU.csdata,"",@progbits
; Kernel info:
; codeLenInByte = 0
; NumSgprs: 4
; NumVgprs: 0
; NumAgprs: 0
; TotalNumVgprs: 0
; ScratchSize: 0
; MemoryBound: 0
; FloatMode: 240
; IeeeMode: 1
; LDSByteSize: 0 bytes/workgroup (compile time only)
; SGPRBlocks: 0
; VGPRBlocks: 0
; NumSGPRsForWavesPerEU: 4
; NumVGPRsForWavesPerEU: 1
; AccumOffset: 4
; Occupancy: 8
; WaveLimiterHint : 0
; COMPUTE_PGM_RSRC2:SCRATCH_EN: 0
; COMPUTE_PGM_RSRC2:USER_SGPR: 6
; COMPUTE_PGM_RSRC2:TRAP_HANDLER: 0
; COMPUTE_PGM_RSRC2:TGID_X_EN: 1
; COMPUTE_PGM_RSRC2:TGID_Y_EN: 0
; COMPUTE_PGM_RSRC2:TGID_Z_EN: 0
; COMPUTE_PGM_RSRC2:TIDIG_COMP_CNT: 0
; COMPUTE_PGM_RSRC3_GFX90A:ACCUM_OFFSET: 0
; COMPUTE_PGM_RSRC3_GFX90A:TG_SPLIT: 0
	.section	.text._ZN7rocprim17ROCPRIM_400000_NS6detail17trampoline_kernelINS0_14default_configENS1_37merge_sort_block_sort_config_selectorIfNS0_10empty_typeEEEZNS1_21merge_sort_block_sortIS3_N6thrust23THRUST_200600_302600_NS6detail15normal_iteratorINS9_10device_ptrIfEEEESE_PS5_SF_14custom_greaterIfEEE10hipError_tT0_T1_T2_T3_mRjT4_P12ihipStream_tbNS1_7vsmem_tEEUlT_E_NS1_11comp_targetILNS1_3genE5ELNS1_11target_archE942ELNS1_3gpuE9ELNS1_3repE0EEENS1_30default_config_static_selectorELNS0_4arch9wavefront6targetE1EEEvSK_,"axG",@progbits,_ZN7rocprim17ROCPRIM_400000_NS6detail17trampoline_kernelINS0_14default_configENS1_37merge_sort_block_sort_config_selectorIfNS0_10empty_typeEEEZNS1_21merge_sort_block_sortIS3_N6thrust23THRUST_200600_302600_NS6detail15normal_iteratorINS9_10device_ptrIfEEEESE_PS5_SF_14custom_greaterIfEEE10hipError_tT0_T1_T2_T3_mRjT4_P12ihipStream_tbNS1_7vsmem_tEEUlT_E_NS1_11comp_targetILNS1_3genE5ELNS1_11target_archE942ELNS1_3gpuE9ELNS1_3repE0EEENS1_30default_config_static_selectorELNS0_4arch9wavefront6targetE1EEEvSK_,comdat
	.protected	_ZN7rocprim17ROCPRIM_400000_NS6detail17trampoline_kernelINS0_14default_configENS1_37merge_sort_block_sort_config_selectorIfNS0_10empty_typeEEEZNS1_21merge_sort_block_sortIS3_N6thrust23THRUST_200600_302600_NS6detail15normal_iteratorINS9_10device_ptrIfEEEESE_PS5_SF_14custom_greaterIfEEE10hipError_tT0_T1_T2_T3_mRjT4_P12ihipStream_tbNS1_7vsmem_tEEUlT_E_NS1_11comp_targetILNS1_3genE5ELNS1_11target_archE942ELNS1_3gpuE9ELNS1_3repE0EEENS1_30default_config_static_selectorELNS0_4arch9wavefront6targetE1EEEvSK_ ; -- Begin function _ZN7rocprim17ROCPRIM_400000_NS6detail17trampoline_kernelINS0_14default_configENS1_37merge_sort_block_sort_config_selectorIfNS0_10empty_typeEEEZNS1_21merge_sort_block_sortIS3_N6thrust23THRUST_200600_302600_NS6detail15normal_iteratorINS9_10device_ptrIfEEEESE_PS5_SF_14custom_greaterIfEEE10hipError_tT0_T1_T2_T3_mRjT4_P12ihipStream_tbNS1_7vsmem_tEEUlT_E_NS1_11comp_targetILNS1_3genE5ELNS1_11target_archE942ELNS1_3gpuE9ELNS1_3repE0EEENS1_30default_config_static_selectorELNS0_4arch9wavefront6targetE1EEEvSK_
	.globl	_ZN7rocprim17ROCPRIM_400000_NS6detail17trampoline_kernelINS0_14default_configENS1_37merge_sort_block_sort_config_selectorIfNS0_10empty_typeEEEZNS1_21merge_sort_block_sortIS3_N6thrust23THRUST_200600_302600_NS6detail15normal_iteratorINS9_10device_ptrIfEEEESE_PS5_SF_14custom_greaterIfEEE10hipError_tT0_T1_T2_T3_mRjT4_P12ihipStream_tbNS1_7vsmem_tEEUlT_E_NS1_11comp_targetILNS1_3genE5ELNS1_11target_archE942ELNS1_3gpuE9ELNS1_3repE0EEENS1_30default_config_static_selectorELNS0_4arch9wavefront6targetE1EEEvSK_
	.p2align	8
	.type	_ZN7rocprim17ROCPRIM_400000_NS6detail17trampoline_kernelINS0_14default_configENS1_37merge_sort_block_sort_config_selectorIfNS0_10empty_typeEEEZNS1_21merge_sort_block_sortIS3_N6thrust23THRUST_200600_302600_NS6detail15normal_iteratorINS9_10device_ptrIfEEEESE_PS5_SF_14custom_greaterIfEEE10hipError_tT0_T1_T2_T3_mRjT4_P12ihipStream_tbNS1_7vsmem_tEEUlT_E_NS1_11comp_targetILNS1_3genE5ELNS1_11target_archE942ELNS1_3gpuE9ELNS1_3repE0EEENS1_30default_config_static_selectorELNS0_4arch9wavefront6targetE1EEEvSK_,@function
_ZN7rocprim17ROCPRIM_400000_NS6detail17trampoline_kernelINS0_14default_configENS1_37merge_sort_block_sort_config_selectorIfNS0_10empty_typeEEEZNS1_21merge_sort_block_sortIS3_N6thrust23THRUST_200600_302600_NS6detail15normal_iteratorINS9_10device_ptrIfEEEESE_PS5_SF_14custom_greaterIfEEE10hipError_tT0_T1_T2_T3_mRjT4_P12ihipStream_tbNS1_7vsmem_tEEUlT_E_NS1_11comp_targetILNS1_3genE5ELNS1_11target_archE942ELNS1_3gpuE9ELNS1_3repE0EEENS1_30default_config_static_selectorELNS0_4arch9wavefront6targetE1EEEvSK_: ; @_ZN7rocprim17ROCPRIM_400000_NS6detail17trampoline_kernelINS0_14default_configENS1_37merge_sort_block_sort_config_selectorIfNS0_10empty_typeEEEZNS1_21merge_sort_block_sortIS3_N6thrust23THRUST_200600_302600_NS6detail15normal_iteratorINS9_10device_ptrIfEEEESE_PS5_SF_14custom_greaterIfEEE10hipError_tT0_T1_T2_T3_mRjT4_P12ihipStream_tbNS1_7vsmem_tEEUlT_E_NS1_11comp_targetILNS1_3genE5ELNS1_11target_archE942ELNS1_3gpuE9ELNS1_3repE0EEENS1_30default_config_static_selectorELNS0_4arch9wavefront6targetE1EEEvSK_
; %bb.0:
	.section	.rodata,"a",@progbits
	.p2align	6, 0x0
	.amdhsa_kernel _ZN7rocprim17ROCPRIM_400000_NS6detail17trampoline_kernelINS0_14default_configENS1_37merge_sort_block_sort_config_selectorIfNS0_10empty_typeEEEZNS1_21merge_sort_block_sortIS3_N6thrust23THRUST_200600_302600_NS6detail15normal_iteratorINS9_10device_ptrIfEEEESE_PS5_SF_14custom_greaterIfEEE10hipError_tT0_T1_T2_T3_mRjT4_P12ihipStream_tbNS1_7vsmem_tEEUlT_E_NS1_11comp_targetILNS1_3genE5ELNS1_11target_archE942ELNS1_3gpuE9ELNS1_3repE0EEENS1_30default_config_static_selectorELNS0_4arch9wavefront6targetE1EEEvSK_
		.amdhsa_group_segment_fixed_size 0
		.amdhsa_private_segment_fixed_size 0
		.amdhsa_kernarg_size 64
		.amdhsa_user_sgpr_count 6
		.amdhsa_user_sgpr_private_segment_buffer 1
		.amdhsa_user_sgpr_dispatch_ptr 0
		.amdhsa_user_sgpr_queue_ptr 0
		.amdhsa_user_sgpr_kernarg_segment_ptr 1
		.amdhsa_user_sgpr_dispatch_id 0
		.amdhsa_user_sgpr_flat_scratch_init 0
		.amdhsa_user_sgpr_kernarg_preload_length 0
		.amdhsa_user_sgpr_kernarg_preload_offset 0
		.amdhsa_user_sgpr_private_segment_size 0
		.amdhsa_uses_dynamic_stack 0
		.amdhsa_system_sgpr_private_segment_wavefront_offset 0
		.amdhsa_system_sgpr_workgroup_id_x 1
		.amdhsa_system_sgpr_workgroup_id_y 0
		.amdhsa_system_sgpr_workgroup_id_z 0
		.amdhsa_system_sgpr_workgroup_info 0
		.amdhsa_system_vgpr_workitem_id 0
		.amdhsa_next_free_vgpr 1
		.amdhsa_next_free_sgpr 0
		.amdhsa_accum_offset 4
		.amdhsa_reserve_vcc 0
		.amdhsa_reserve_flat_scratch 0
		.amdhsa_float_round_mode_32 0
		.amdhsa_float_round_mode_16_64 0
		.amdhsa_float_denorm_mode_32 3
		.amdhsa_float_denorm_mode_16_64 3
		.amdhsa_dx10_clamp 1
		.amdhsa_ieee_mode 1
		.amdhsa_fp16_overflow 0
		.amdhsa_tg_split 0
		.amdhsa_exception_fp_ieee_invalid_op 0
		.amdhsa_exception_fp_denorm_src 0
		.amdhsa_exception_fp_ieee_div_zero 0
		.amdhsa_exception_fp_ieee_overflow 0
		.amdhsa_exception_fp_ieee_underflow 0
		.amdhsa_exception_fp_ieee_inexact 0
		.amdhsa_exception_int_div_zero 0
	.end_amdhsa_kernel
	.section	.text._ZN7rocprim17ROCPRIM_400000_NS6detail17trampoline_kernelINS0_14default_configENS1_37merge_sort_block_sort_config_selectorIfNS0_10empty_typeEEEZNS1_21merge_sort_block_sortIS3_N6thrust23THRUST_200600_302600_NS6detail15normal_iteratorINS9_10device_ptrIfEEEESE_PS5_SF_14custom_greaterIfEEE10hipError_tT0_T1_T2_T3_mRjT4_P12ihipStream_tbNS1_7vsmem_tEEUlT_E_NS1_11comp_targetILNS1_3genE5ELNS1_11target_archE942ELNS1_3gpuE9ELNS1_3repE0EEENS1_30default_config_static_selectorELNS0_4arch9wavefront6targetE1EEEvSK_,"axG",@progbits,_ZN7rocprim17ROCPRIM_400000_NS6detail17trampoline_kernelINS0_14default_configENS1_37merge_sort_block_sort_config_selectorIfNS0_10empty_typeEEEZNS1_21merge_sort_block_sortIS3_N6thrust23THRUST_200600_302600_NS6detail15normal_iteratorINS9_10device_ptrIfEEEESE_PS5_SF_14custom_greaterIfEEE10hipError_tT0_T1_T2_T3_mRjT4_P12ihipStream_tbNS1_7vsmem_tEEUlT_E_NS1_11comp_targetILNS1_3genE5ELNS1_11target_archE942ELNS1_3gpuE9ELNS1_3repE0EEENS1_30default_config_static_selectorELNS0_4arch9wavefront6targetE1EEEvSK_,comdat
.Lfunc_end3530:
	.size	_ZN7rocprim17ROCPRIM_400000_NS6detail17trampoline_kernelINS0_14default_configENS1_37merge_sort_block_sort_config_selectorIfNS0_10empty_typeEEEZNS1_21merge_sort_block_sortIS3_N6thrust23THRUST_200600_302600_NS6detail15normal_iteratorINS9_10device_ptrIfEEEESE_PS5_SF_14custom_greaterIfEEE10hipError_tT0_T1_T2_T3_mRjT4_P12ihipStream_tbNS1_7vsmem_tEEUlT_E_NS1_11comp_targetILNS1_3genE5ELNS1_11target_archE942ELNS1_3gpuE9ELNS1_3repE0EEENS1_30default_config_static_selectorELNS0_4arch9wavefront6targetE1EEEvSK_, .Lfunc_end3530-_ZN7rocprim17ROCPRIM_400000_NS6detail17trampoline_kernelINS0_14default_configENS1_37merge_sort_block_sort_config_selectorIfNS0_10empty_typeEEEZNS1_21merge_sort_block_sortIS3_N6thrust23THRUST_200600_302600_NS6detail15normal_iteratorINS9_10device_ptrIfEEEESE_PS5_SF_14custom_greaterIfEEE10hipError_tT0_T1_T2_T3_mRjT4_P12ihipStream_tbNS1_7vsmem_tEEUlT_E_NS1_11comp_targetILNS1_3genE5ELNS1_11target_archE942ELNS1_3gpuE9ELNS1_3repE0EEENS1_30default_config_static_selectorELNS0_4arch9wavefront6targetE1EEEvSK_
                                        ; -- End function
	.section	.AMDGPU.csdata,"",@progbits
; Kernel info:
; codeLenInByte = 0
; NumSgprs: 4
; NumVgprs: 0
; NumAgprs: 0
; TotalNumVgprs: 0
; ScratchSize: 0
; MemoryBound: 0
; FloatMode: 240
; IeeeMode: 1
; LDSByteSize: 0 bytes/workgroup (compile time only)
; SGPRBlocks: 0
; VGPRBlocks: 0
; NumSGPRsForWavesPerEU: 4
; NumVGPRsForWavesPerEU: 1
; AccumOffset: 4
; Occupancy: 8
; WaveLimiterHint : 0
; COMPUTE_PGM_RSRC2:SCRATCH_EN: 0
; COMPUTE_PGM_RSRC2:USER_SGPR: 6
; COMPUTE_PGM_RSRC2:TRAP_HANDLER: 0
; COMPUTE_PGM_RSRC2:TGID_X_EN: 1
; COMPUTE_PGM_RSRC2:TGID_Y_EN: 0
; COMPUTE_PGM_RSRC2:TGID_Z_EN: 0
; COMPUTE_PGM_RSRC2:TIDIG_COMP_CNT: 0
; COMPUTE_PGM_RSRC3_GFX90A:ACCUM_OFFSET: 0
; COMPUTE_PGM_RSRC3_GFX90A:TG_SPLIT: 0
	.section	.text._ZN7rocprim17ROCPRIM_400000_NS6detail17trampoline_kernelINS0_14default_configENS1_37merge_sort_block_sort_config_selectorIfNS0_10empty_typeEEEZNS1_21merge_sort_block_sortIS3_N6thrust23THRUST_200600_302600_NS6detail15normal_iteratorINS9_10device_ptrIfEEEESE_PS5_SF_14custom_greaterIfEEE10hipError_tT0_T1_T2_T3_mRjT4_P12ihipStream_tbNS1_7vsmem_tEEUlT_E_NS1_11comp_targetILNS1_3genE4ELNS1_11target_archE910ELNS1_3gpuE8ELNS1_3repE0EEENS1_30default_config_static_selectorELNS0_4arch9wavefront6targetE1EEEvSK_,"axG",@progbits,_ZN7rocprim17ROCPRIM_400000_NS6detail17trampoline_kernelINS0_14default_configENS1_37merge_sort_block_sort_config_selectorIfNS0_10empty_typeEEEZNS1_21merge_sort_block_sortIS3_N6thrust23THRUST_200600_302600_NS6detail15normal_iteratorINS9_10device_ptrIfEEEESE_PS5_SF_14custom_greaterIfEEE10hipError_tT0_T1_T2_T3_mRjT4_P12ihipStream_tbNS1_7vsmem_tEEUlT_E_NS1_11comp_targetILNS1_3genE4ELNS1_11target_archE910ELNS1_3gpuE8ELNS1_3repE0EEENS1_30default_config_static_selectorELNS0_4arch9wavefront6targetE1EEEvSK_,comdat
	.protected	_ZN7rocprim17ROCPRIM_400000_NS6detail17trampoline_kernelINS0_14default_configENS1_37merge_sort_block_sort_config_selectorIfNS0_10empty_typeEEEZNS1_21merge_sort_block_sortIS3_N6thrust23THRUST_200600_302600_NS6detail15normal_iteratorINS9_10device_ptrIfEEEESE_PS5_SF_14custom_greaterIfEEE10hipError_tT0_T1_T2_T3_mRjT4_P12ihipStream_tbNS1_7vsmem_tEEUlT_E_NS1_11comp_targetILNS1_3genE4ELNS1_11target_archE910ELNS1_3gpuE8ELNS1_3repE0EEENS1_30default_config_static_selectorELNS0_4arch9wavefront6targetE1EEEvSK_ ; -- Begin function _ZN7rocprim17ROCPRIM_400000_NS6detail17trampoline_kernelINS0_14default_configENS1_37merge_sort_block_sort_config_selectorIfNS0_10empty_typeEEEZNS1_21merge_sort_block_sortIS3_N6thrust23THRUST_200600_302600_NS6detail15normal_iteratorINS9_10device_ptrIfEEEESE_PS5_SF_14custom_greaterIfEEE10hipError_tT0_T1_T2_T3_mRjT4_P12ihipStream_tbNS1_7vsmem_tEEUlT_E_NS1_11comp_targetILNS1_3genE4ELNS1_11target_archE910ELNS1_3gpuE8ELNS1_3repE0EEENS1_30default_config_static_selectorELNS0_4arch9wavefront6targetE1EEEvSK_
	.globl	_ZN7rocprim17ROCPRIM_400000_NS6detail17trampoline_kernelINS0_14default_configENS1_37merge_sort_block_sort_config_selectorIfNS0_10empty_typeEEEZNS1_21merge_sort_block_sortIS3_N6thrust23THRUST_200600_302600_NS6detail15normal_iteratorINS9_10device_ptrIfEEEESE_PS5_SF_14custom_greaterIfEEE10hipError_tT0_T1_T2_T3_mRjT4_P12ihipStream_tbNS1_7vsmem_tEEUlT_E_NS1_11comp_targetILNS1_3genE4ELNS1_11target_archE910ELNS1_3gpuE8ELNS1_3repE0EEENS1_30default_config_static_selectorELNS0_4arch9wavefront6targetE1EEEvSK_
	.p2align	8
	.type	_ZN7rocprim17ROCPRIM_400000_NS6detail17trampoline_kernelINS0_14default_configENS1_37merge_sort_block_sort_config_selectorIfNS0_10empty_typeEEEZNS1_21merge_sort_block_sortIS3_N6thrust23THRUST_200600_302600_NS6detail15normal_iteratorINS9_10device_ptrIfEEEESE_PS5_SF_14custom_greaterIfEEE10hipError_tT0_T1_T2_T3_mRjT4_P12ihipStream_tbNS1_7vsmem_tEEUlT_E_NS1_11comp_targetILNS1_3genE4ELNS1_11target_archE910ELNS1_3gpuE8ELNS1_3repE0EEENS1_30default_config_static_selectorELNS0_4arch9wavefront6targetE1EEEvSK_,@function
_ZN7rocprim17ROCPRIM_400000_NS6detail17trampoline_kernelINS0_14default_configENS1_37merge_sort_block_sort_config_selectorIfNS0_10empty_typeEEEZNS1_21merge_sort_block_sortIS3_N6thrust23THRUST_200600_302600_NS6detail15normal_iteratorINS9_10device_ptrIfEEEESE_PS5_SF_14custom_greaterIfEEE10hipError_tT0_T1_T2_T3_mRjT4_P12ihipStream_tbNS1_7vsmem_tEEUlT_E_NS1_11comp_targetILNS1_3genE4ELNS1_11target_archE910ELNS1_3gpuE8ELNS1_3repE0EEENS1_30default_config_static_selectorELNS0_4arch9wavefront6targetE1EEEvSK_: ; @_ZN7rocprim17ROCPRIM_400000_NS6detail17trampoline_kernelINS0_14default_configENS1_37merge_sort_block_sort_config_selectorIfNS0_10empty_typeEEEZNS1_21merge_sort_block_sortIS3_N6thrust23THRUST_200600_302600_NS6detail15normal_iteratorINS9_10device_ptrIfEEEESE_PS5_SF_14custom_greaterIfEEE10hipError_tT0_T1_T2_T3_mRjT4_P12ihipStream_tbNS1_7vsmem_tEEUlT_E_NS1_11comp_targetILNS1_3genE4ELNS1_11target_archE910ELNS1_3gpuE8ELNS1_3repE0EEENS1_30default_config_static_selectorELNS0_4arch9wavefront6targetE1EEEvSK_
; %bb.0:
	s_load_dwordx2 s[18:19], s[4:5], 0x40
	s_load_dword s0, s[4:5], 0x0
	s_add_u32 s16, s4, 64
	s_addc_u32 s17, s5, 0
	s_waitcnt lgkmcnt(0)
	s_mul_i32 s1, s19, s8
	s_add_i32 s1, s1, s7
	s_mul_i32 s1, s1, s18
	s_add_i32 s20, s1, s6
	s_cmp_ge_u32 s20, s0
	s_cbranch_scc1 .LBB3531_168
; %bb.1:
	s_load_dwordx2 s[22:23], s[4:5], 0x8
	s_load_dwordx4 s[0:3], s[4:5], 0x18
	s_mov_b32 s21, 0
	s_lshl_b64 s[4:5], s[20:21], 13
	v_and_b32_e32 v8, 0x3ff, v0
	s_waitcnt lgkmcnt(0)
	s_lshr_b64 s[8:9], s[22:23], 11
	s_add_u32 s7, s0, s4
	s_addc_u32 s19, s1, s5
	s_add_u32 s33, s2, s4
	s_addc_u32 s38, s3, s5
	s_cmp_lg_u64 s[8:9], s[20:21]
	v_bfe_u32 v13, v0, 10, 10
	v_bfe_u32 v14, v0, 20, 10
	v_lshlrev_b32_e32 v10, 2, v8
	v_lshrrev_b32_e32 v15, 3, v8
	v_lshlrev_b32_e32 v12, 3, v8
	v_lshrrev_b32_e32 v11, 2, v8
	s_cbranch_scc0 .LBB3531_87
; %bb.2:
	v_mov_b32_e32 v1, s19
	v_add_co_u32_e32 v0, vcc, s7, v10
	v_addc_co_u32_e32 v1, vcc, 0, v1, vcc
	v_add_co_u32_e32 v2, vcc, 0x1000, v0
	v_addc_co_u32_e32 v3, vcc, 0, v1, vcc
	flat_load_dword v4, v[0:1]
	flat_load_dword v5, v[0:1] offset:1024
	flat_load_dword v6, v[0:1] offset:2048
	;; [unrolled: 1-line block ×3, first 2 shown]
	flat_load_dword v9, v[2:3]
	flat_load_dword v24, v[2:3] offset:1024
	flat_load_dword v25, v[2:3] offset:2048
	;; [unrolled: 1-line block ×3, first 2 shown]
	v_and_b32_e32 v0, 0x7c, v15
	v_add_u32_e32 v1, 0x100, v8
	v_add_u32_e32 v2, 0x200, v8
	;; [unrolled: 1-line block ×3, first 2 shown]
	v_or_b32_e32 v17, 0x400, v8
	v_add_u32_e32 v18, 0x500, v8
	v_add_u32_e32 v19, 0x600, v8
	;; [unrolled: 1-line block ×4, first 2 shown]
	v_lshrrev_b32_e32 v0, 3, v1
	v_lshrrev_b32_e32 v1, 3, v2
	;; [unrolled: 1-line block ×7, first 2 shown]
	v_add_lshl_u32 v27, v11, v12, 2
	v_and_b32_e32 v0, 0xfc, v0
	v_and_b32_e32 v1, 0xfc, v1
	;; [unrolled: 1-line block ×7, first 2 shown]
	v_add_u32_e32 v17, v0, v10
	v_add_u32_e32 v18, v1, v10
	;; [unrolled: 1-line block ×7, first 2 shown]
	s_movk_i32 s4, 0x800
	s_waitcnt vmcnt(0) lgkmcnt(0)
	ds_write_b32 v16, v4
	ds_write_b32 v17, v5 offset:1024
	ds_write_b32 v18, v6 offset:2048
	;; [unrolled: 1-line block ×7, first 2 shown]
	s_waitcnt lgkmcnt(0)
	s_barrier
	ds_read2_b32 v[0:1], v27 offset1:1
	ds_read2_b32 v[2:3], v27 offset0:2 offset1:3
	ds_read2_b32 v[4:5], v27 offset0:4 offset1:5
	;; [unrolled: 1-line block ×3, first 2 shown]
	s_waitcnt lgkmcnt(0)
	s_barrier
	s_load_dword s0, s[16:17], 0xc
	v_mov_b32_e32 v9, 0
	s_waitcnt lgkmcnt(0)
	s_lshr_b32 s2, s0, 16
	s_cmp_lt_u32 s6, s18
	s_cselect_b32 s0, 12, 18
	s_add_u32 s0, s16, s0
	s_addc_u32 s1, s17, 0
	global_load_ushort v24, v9, s[0:1]
	v_mad_u32_u24 v25, v14, s2, v13
	s_waitcnt vmcnt(0)
	v_mul_lo_u32 v24, v25, v24
	v_add_lshl_u32 v24, v24, v8, 3
	v_cmp_gt_u32_e32 vcc, s4, v24
	s_and_saveexec_b64 s[0:1], vcc
	s_cbranch_execz .LBB3531_6
; %bb.3:
	v_cmp_gt_f32_e32 vcc, v0, v1
	v_cndmask_b32_e32 v25, v0, v1, vcc
	v_cndmask_b32_e32 v0, v1, v0, vcc
	v_cmp_gt_f32_e32 vcc, v2, v3
	v_cndmask_b32_e32 v1, v3, v2, vcc
	v_cndmask_b32_e32 v2, v2, v3, vcc
	;; [unrolled: 3-line block ×27, first 2 shown]
	v_cmp_gt_f32_e32 vcc, v5, v25
	v_mov_b32_e32 v6, v25
	s_and_saveexec_b64 s[2:3], vcc
; %bb.4:
	v_mov_b32_e32 v6, v5
	v_mov_b32_e32 v5, v25
; %bb.5:
	s_or_b64 exec, exec, s[2:3]
.LBB3531_6:
	s_or_b64 exec, exec, s[0:1]
	v_mbcnt_lo_u32_b32 v25, -1, 0
	v_mbcnt_hi_u32_b32 v27, -1, v25
	v_and_b32_e32 v24, 0xfffffe00, v24
	v_lshlrev_b32_e32 v26, 5, v27
	v_lshlrev_b32_e32 v27, 3, v27
	v_sub_u32_e64 v25, s4, v24 clamp
	v_or_b32_e32 v28, 8, v27
	v_min_u32_e32 v29, v25, v28
	v_add_u32_e32 v28, 8, v29
	v_and_b32_e32 v32, 0x3f0, v27
	v_min_u32_e32 v28, v25, v28
	v_and_b32_e32 v30, 8, v27
	v_min_u32_e32 v33, v25, v30
	v_sub_u32_e32 v34, v29, v32
	v_sub_u32_e32 v31, v28, v29
	v_lshlrev_b32_e32 v24, 2, v24
	v_sub_u32_e64 v31, v33, v31 clamp
	v_min_u32_e32 v34, v33, v34
	v_add_u32_e32 v26, v24, v26
	v_lshl_add_u32 v30, v32, 2, v24
	v_cmp_lt_u32_e32 vcc, v31, v34
	ds_write_b96 v26, v[0:2]
	ds_write2_b32 v26, v3, v4 offset0:3 offset1:4
	ds_write2_b32 v26, v5, v6 offset0:5 offset1:6
	ds_write_b32 v26, v7 offset:28
	; wave barrier
	s_and_saveexec_b64 s[0:1], vcc
	s_cbranch_execz .LBB3531_10
; %bb.7:
	v_lshlrev_b32_e32 v35, 2, v29
	v_lshlrev_b32_e32 v36, 2, v33
	v_add3_u32 v35, v24, v35, v36
	s_mov_b64 s[2:3], 0
.LBB3531_8:                             ; =>This Inner Loop Header: Depth=1
	v_add_u32_e32 v36, v34, v31
	v_lshrrev_b32_e32 v36, 1, v36
	v_not_b32_e32 v37, v36
	v_lshl_add_u32 v38, v36, 2, v30
	v_lshl_add_u32 v37, v37, 2, v35
	ds_read_b32 v38, v38
	ds_read_b32 v37, v37
	v_add_u32_e32 v39, 1, v36
	s_waitcnt lgkmcnt(0)
	v_cmp_gt_f32_e32 vcc, v38, v37
	v_cndmask_b32_e32 v34, v34, v36, vcc
	v_cndmask_b32_e32 v31, v39, v31, vcc
	v_cmp_ge_u32_e32 vcc, v31, v34
	s_or_b64 s[2:3], vcc, s[2:3]
	s_andn2_b64 exec, exec, s[2:3]
	s_cbranch_execnz .LBB3531_8
; %bb.9:
	s_or_b64 exec, exec, s[2:3]
.LBB3531_10:
	s_or_b64 exec, exec, s[0:1]
	v_add_u32_e32 v33, v29, v33
	v_add_u32_e32 v32, v31, v32
	v_sub_u32_e32 v33, v33, v31
	v_cmp_le_u32_e32 vcc, v32, v29
	v_cmp_le_u32_e64 s[0:1], v33, v28
	s_or_b64 s[0:1], vcc, s[0:1]
	s_and_saveexec_b64 s[24:25], s[0:1]
	s_cbranch_execz .LBB3531_16
; %bb.11:
	v_cmp_lt_u32_e32 vcc, v32, v29
                                        ; implicit-def: $vgpr0
	s_and_saveexec_b64 s[0:1], vcc
	s_cbranch_execz .LBB3531_13
; %bb.12:
	v_lshl_add_u32 v0, v31, 2, v30
	ds_read_b32 v0, v0
.LBB3531_13:
	s_or_b64 exec, exec, s[0:1]
	v_cmp_ge_u32_e64 s[0:1], v33, v28
	v_cmp_lt_u32_e64 s[2:3], v33, v28
                                        ; implicit-def: $vgpr1
	s_and_saveexec_b64 s[4:5], s[2:3]
	s_cbranch_execz .LBB3531_15
; %bb.14:
	v_lshl_add_u32 v1, v33, 2, v24
	ds_read_b32 v1, v1
.LBB3531_15:
	s_or_b64 exec, exec, s[4:5]
	s_waitcnt lgkmcnt(0)
	v_cmp_ngt_f32_e64 s[2:3], v0, v1
	s_and_b64 s[2:3], vcc, s[2:3]
	s_or_b64 vcc, s[0:1], s[2:3]
	v_cndmask_b32_e32 v2, v33, v32, vcc
	v_cndmask_b32_e32 v3, v28, v29, vcc
	v_add_u32_e32 v2, 1, v2
	v_add_u32_e32 v3, -1, v3
	v_min_u32_e32 v3, v2, v3
	v_lshl_add_u32 v3, v3, 2, v24
	ds_read_b32 v3, v3
	v_cndmask_b32_e32 v4, v2, v33, vcc
	v_cndmask_b32_e32 v2, v32, v2, vcc
	v_cmp_lt_u32_e64 s[2:3], v2, v29
	v_cmp_ge_u32_e64 s[0:1], v4, v28
	s_waitcnt lgkmcnt(0)
	v_cndmask_b32_e32 v5, v3, v1, vcc
	v_cndmask_b32_e32 v3, v0, v3, vcc
	v_cmp_ngt_f32_e64 s[4:5], v3, v5
	s_and_b64 s[2:3], s[2:3], s[4:5]
	s_or_b64 s[0:1], s[0:1], s[2:3]
	v_cndmask_b32_e64 v6, v4, v2, s[0:1]
	v_cndmask_b32_e64 v7, v28, v29, s[0:1]
	v_add_u32_e32 v6, 1, v6
	v_add_u32_e32 v7, -1, v7
	v_min_u32_e32 v7, v6, v7
	v_lshl_add_u32 v7, v7, 2, v24
	ds_read_b32 v7, v7
	v_cndmask_b32_e64 v2, v2, v6, s[0:1]
	v_cndmask_b32_e64 v4, v6, v4, s[0:1]
	v_cmp_lt_u32_e64 s[4:5], v2, v29
	v_cmp_ge_u32_e64 s[2:3], v4, v28
	s_waitcnt lgkmcnt(0)
	v_cndmask_b32_e64 v30, v7, v5, s[0:1]
	v_cndmask_b32_e64 v7, v3, v7, s[0:1]
	v_cmp_ngt_f32_e64 s[8:9], v7, v30
	s_and_b64 s[4:5], s[4:5], s[8:9]
	s_or_b64 s[2:3], s[2:3], s[4:5]
	v_cndmask_b32_e64 v6, v4, v2, s[2:3]
	v_cndmask_b32_e64 v31, v28, v29, s[2:3]
	v_add_u32_e32 v6, 1, v6
	v_add_u32_e32 v31, -1, v31
	v_min_u32_e32 v31, v6, v31
	v_lshl_add_u32 v31, v31, 2, v24
	ds_read_b32 v31, v31
	v_cndmask_b32_e64 v2, v2, v6, s[2:3]
	v_cndmask_b32_e64 v4, v6, v4, s[2:3]
	v_cmp_lt_u32_e64 s[8:9], v2, v29
	v_cmp_ge_u32_e64 s[4:5], v4, v28
	s_waitcnt lgkmcnt(0)
	v_cndmask_b32_e64 v32, v31, v30, s[2:3]
	v_cndmask_b32_e64 v31, v7, v31, s[2:3]
	;; [unrolled: 17-line block ×4, first 2 shown]
	v_cmp_ngt_f32_e64 s[14:15], v35, v36
	s_and_b64 s[12:13], s[12:13], s[14:15]
	s_or_b64 s[10:11], s[10:11], s[12:13]
	v_cndmask_b32_e64 v2, v4, v6, s[10:11]
	v_cndmask_b32_e64 v37, v28, v29, s[10:11]
	v_add_u32_e32 v38, 1, v2
	v_add_u32_e32 v2, -1, v37
	v_min_u32_e32 v2, v38, v2
	v_lshl_add_u32 v2, v2, 2, v24
	ds_read_b32 v37, v2
	v_cndmask_b32_e64 v2, v30, v7, s[2:3]
	v_cndmask_b32_e32 v0, v1, v0, vcc
	v_cndmask_b32_e64 v1, v5, v3, s[0:1]
	v_cndmask_b32_e64 v5, v36, v35, s[10:11]
	s_waitcnt lgkmcnt(0)
	v_cndmask_b32_e64 v7, v37, v36, s[10:11]
	v_cndmask_b32_e64 v30, v35, v37, s[10:11]
	;; [unrolled: 1-line block ×4, first 2 shown]
	v_cmp_lt_u32_e64 s[0:1], v38, v29
	v_cmp_ngt_f32_e64 s[2:3], v30, v7
	v_cmp_ge_u32_e32 vcc, v37, v28
	s_and_b64 s[0:1], s[0:1], s[2:3]
	s_or_b64 vcc, vcc, s[0:1]
	v_cndmask_b32_e32 v3, v37, v38, vcc
	v_cndmask_b32_e32 v4, v28, v29, vcc
	v_add_u32_e32 v39, 1, v3
	v_add_u32_e32 v3, -1, v4
	v_min_u32_e32 v3, v39, v3
	v_lshl_add_u32 v3, v3, 2, v24
	ds_read_b32 v40, v3
	v_cndmask_b32_e64 v3, v32, v31, s[4:5]
	v_cndmask_b32_e32 v6, v7, v30, vcc
	v_cndmask_b32_e32 v32, v38, v39, vcc
	;; [unrolled: 1-line block ×3, first 2 shown]
	s_waitcnt lgkmcnt(0)
	v_cndmask_b32_e32 v30, v30, v40, vcc
	v_cndmask_b32_e32 v7, v40, v7, vcc
	v_cmp_lt_u32_e32 vcc, v32, v29
	v_cmp_ngt_f32_e64 s[0:1], v30, v7
	s_and_b64 vcc, vcc, s[0:1]
	v_cndmask_b32_e32 v7, v7, v30, vcc
	v_cmp_lt_u32_e32 vcc, v31, v28
	v_cndmask_b32_e64 v4, v34, v33, s[8:9]
	v_cndmask_b32_e32 v7, v30, v7, vcc
.LBB3531_16:
	s_or_b64 exec, exec, s[24:25]
	v_and_b32_e32 v32, 0x3e0, v27
	v_or_b32_e32 v28, 16, v32
	v_min_u32_e32 v29, v25, v28
	v_add_u32_e32 v28, 16, v29
	v_min_u32_e32 v28, v25, v28
	v_and_b32_e32 v30, 24, v27
	v_min_u32_e32 v33, v25, v30
	v_sub_u32_e32 v34, v29, v32
	v_sub_u32_e32 v31, v28, v29
	v_sub_u32_e64 v31, v33, v31 clamp
	v_min_u32_e32 v34, v33, v34
	v_lshl_add_u32 v30, v32, 2, v24
	v_cmp_lt_u32_e32 vcc, v31, v34
	; wave barrier
	ds_write_b128 v26, v[0:3]
	ds_write_b128 v26, v[4:7] offset:16
	; wave barrier
	s_and_saveexec_b64 s[0:1], vcc
	s_cbranch_execz .LBB3531_20
; %bb.17:
	v_lshlrev_b32_e32 v35, 2, v29
	v_lshlrev_b32_e32 v36, 2, v33
	v_add3_u32 v35, v24, v35, v36
	s_mov_b64 s[2:3], 0
.LBB3531_18:                            ; =>This Inner Loop Header: Depth=1
	v_add_u32_e32 v36, v34, v31
	v_lshrrev_b32_e32 v36, 1, v36
	v_not_b32_e32 v37, v36
	v_lshl_add_u32 v38, v36, 2, v30
	v_lshl_add_u32 v37, v37, 2, v35
	ds_read_b32 v38, v38
	ds_read_b32 v37, v37
	v_add_u32_e32 v39, 1, v36
	s_waitcnt lgkmcnt(0)
	v_cmp_gt_f32_e32 vcc, v38, v37
	v_cndmask_b32_e32 v34, v34, v36, vcc
	v_cndmask_b32_e32 v31, v39, v31, vcc
	v_cmp_ge_u32_e32 vcc, v31, v34
	s_or_b64 s[2:3], vcc, s[2:3]
	s_andn2_b64 exec, exec, s[2:3]
	s_cbranch_execnz .LBB3531_18
; %bb.19:
	s_or_b64 exec, exec, s[2:3]
.LBB3531_20:
	s_or_b64 exec, exec, s[0:1]
	v_add_u32_e32 v33, v29, v33
	v_add_u32_e32 v32, v31, v32
	v_sub_u32_e32 v33, v33, v31
	v_cmp_le_u32_e32 vcc, v32, v29
	v_cmp_le_u32_e64 s[0:1], v33, v28
	s_or_b64 s[0:1], vcc, s[0:1]
	s_and_saveexec_b64 s[24:25], s[0:1]
	s_cbranch_execz .LBB3531_26
; %bb.21:
	v_cmp_lt_u32_e32 vcc, v32, v29
                                        ; implicit-def: $vgpr0
	s_and_saveexec_b64 s[0:1], vcc
	s_cbranch_execz .LBB3531_23
; %bb.22:
	v_lshl_add_u32 v0, v31, 2, v30
	ds_read_b32 v0, v0
.LBB3531_23:
	s_or_b64 exec, exec, s[0:1]
	v_cmp_ge_u32_e64 s[0:1], v33, v28
	v_cmp_lt_u32_e64 s[2:3], v33, v28
                                        ; implicit-def: $vgpr1
	s_and_saveexec_b64 s[4:5], s[2:3]
	s_cbranch_execz .LBB3531_25
; %bb.24:
	v_lshl_add_u32 v1, v33, 2, v24
	ds_read_b32 v1, v1
.LBB3531_25:
	s_or_b64 exec, exec, s[4:5]
	s_waitcnt lgkmcnt(0)
	v_cmp_ngt_f32_e64 s[2:3], v0, v1
	s_and_b64 s[2:3], vcc, s[2:3]
	s_or_b64 vcc, s[0:1], s[2:3]
	v_cndmask_b32_e32 v2, v33, v32, vcc
	v_cndmask_b32_e32 v3, v28, v29, vcc
	v_add_u32_e32 v2, 1, v2
	v_add_u32_e32 v3, -1, v3
	v_min_u32_e32 v3, v2, v3
	v_lshl_add_u32 v3, v3, 2, v24
	ds_read_b32 v3, v3
	v_cndmask_b32_e32 v4, v2, v33, vcc
	v_cndmask_b32_e32 v2, v32, v2, vcc
	v_cmp_lt_u32_e64 s[2:3], v2, v29
	v_cmp_ge_u32_e64 s[0:1], v4, v28
	s_waitcnt lgkmcnt(0)
	v_cndmask_b32_e32 v5, v3, v1, vcc
	v_cndmask_b32_e32 v3, v0, v3, vcc
	v_cmp_ngt_f32_e64 s[4:5], v3, v5
	s_and_b64 s[2:3], s[2:3], s[4:5]
	s_or_b64 s[0:1], s[0:1], s[2:3]
	v_cndmask_b32_e64 v6, v4, v2, s[0:1]
	v_cndmask_b32_e64 v7, v28, v29, s[0:1]
	v_add_u32_e32 v6, 1, v6
	v_add_u32_e32 v7, -1, v7
	v_min_u32_e32 v7, v6, v7
	v_lshl_add_u32 v7, v7, 2, v24
	ds_read_b32 v7, v7
	v_cndmask_b32_e64 v2, v2, v6, s[0:1]
	v_cndmask_b32_e64 v4, v6, v4, s[0:1]
	v_cmp_lt_u32_e64 s[4:5], v2, v29
	v_cmp_ge_u32_e64 s[2:3], v4, v28
	s_waitcnt lgkmcnt(0)
	v_cndmask_b32_e64 v30, v7, v5, s[0:1]
	v_cndmask_b32_e64 v7, v3, v7, s[0:1]
	v_cmp_ngt_f32_e64 s[8:9], v7, v30
	s_and_b64 s[4:5], s[4:5], s[8:9]
	s_or_b64 s[2:3], s[2:3], s[4:5]
	v_cndmask_b32_e64 v6, v4, v2, s[2:3]
	v_cndmask_b32_e64 v31, v28, v29, s[2:3]
	v_add_u32_e32 v6, 1, v6
	v_add_u32_e32 v31, -1, v31
	v_min_u32_e32 v31, v6, v31
	v_lshl_add_u32 v31, v31, 2, v24
	ds_read_b32 v31, v31
	v_cndmask_b32_e64 v2, v2, v6, s[2:3]
	v_cndmask_b32_e64 v4, v6, v4, s[2:3]
	v_cmp_lt_u32_e64 s[8:9], v2, v29
	v_cmp_ge_u32_e64 s[4:5], v4, v28
	s_waitcnt lgkmcnt(0)
	v_cndmask_b32_e64 v32, v31, v30, s[2:3]
	v_cndmask_b32_e64 v31, v7, v31, s[2:3]
	;; [unrolled: 17-line block ×4, first 2 shown]
	v_cmp_ngt_f32_e64 s[14:15], v35, v36
	s_and_b64 s[12:13], s[12:13], s[14:15]
	s_or_b64 s[10:11], s[10:11], s[12:13]
	v_cndmask_b32_e64 v2, v4, v6, s[10:11]
	v_cndmask_b32_e64 v37, v28, v29, s[10:11]
	v_add_u32_e32 v38, 1, v2
	v_add_u32_e32 v2, -1, v37
	v_min_u32_e32 v2, v38, v2
	v_lshl_add_u32 v2, v2, 2, v24
	ds_read_b32 v37, v2
	v_cndmask_b32_e64 v2, v30, v7, s[2:3]
	v_cndmask_b32_e32 v0, v1, v0, vcc
	v_cndmask_b32_e64 v1, v5, v3, s[0:1]
	v_cndmask_b32_e64 v5, v36, v35, s[10:11]
	s_waitcnt lgkmcnt(0)
	v_cndmask_b32_e64 v7, v37, v36, s[10:11]
	v_cndmask_b32_e64 v30, v35, v37, s[10:11]
	v_cndmask_b32_e64 v37, v38, v4, s[10:11]
	v_cndmask_b32_e64 v38, v6, v38, s[10:11]
	v_cmp_lt_u32_e64 s[0:1], v38, v29
	v_cmp_ngt_f32_e64 s[2:3], v30, v7
	v_cmp_ge_u32_e32 vcc, v37, v28
	s_and_b64 s[0:1], s[0:1], s[2:3]
	s_or_b64 vcc, vcc, s[0:1]
	v_cndmask_b32_e32 v3, v37, v38, vcc
	v_cndmask_b32_e32 v4, v28, v29, vcc
	v_add_u32_e32 v39, 1, v3
	v_add_u32_e32 v3, -1, v4
	v_min_u32_e32 v3, v39, v3
	v_lshl_add_u32 v3, v3, 2, v24
	ds_read_b32 v40, v3
	v_cndmask_b32_e64 v3, v32, v31, s[4:5]
	v_cndmask_b32_e32 v6, v7, v30, vcc
	v_cndmask_b32_e32 v32, v38, v39, vcc
	;; [unrolled: 1-line block ×3, first 2 shown]
	s_waitcnt lgkmcnt(0)
	v_cndmask_b32_e32 v30, v30, v40, vcc
	v_cndmask_b32_e32 v7, v40, v7, vcc
	v_cmp_lt_u32_e32 vcc, v32, v29
	v_cmp_ngt_f32_e64 s[0:1], v30, v7
	s_and_b64 vcc, vcc, s[0:1]
	v_cndmask_b32_e32 v7, v7, v30, vcc
	v_cmp_lt_u32_e32 vcc, v31, v28
	v_cndmask_b32_e64 v4, v34, v33, s[8:9]
	v_cndmask_b32_e32 v7, v30, v7, vcc
.LBB3531_26:
	s_or_b64 exec, exec, s[24:25]
	v_and_b32_e32 v32, 0x3c0, v27
	v_or_b32_e32 v28, 32, v32
	v_min_u32_e32 v29, v25, v28
	v_add_u32_e32 v28, 32, v29
	v_min_u32_e32 v28, v25, v28
	v_and_b32_e32 v30, 56, v27
	v_min_u32_e32 v33, v25, v30
	v_sub_u32_e32 v34, v29, v32
	v_sub_u32_e32 v31, v28, v29
	v_sub_u32_e64 v31, v33, v31 clamp
	v_min_u32_e32 v34, v33, v34
	v_lshl_add_u32 v30, v32, 2, v24
	v_cmp_lt_u32_e32 vcc, v31, v34
	; wave barrier
	ds_write_b128 v26, v[0:3]
	ds_write_b128 v26, v[4:7] offset:16
	; wave barrier
	s_and_saveexec_b64 s[0:1], vcc
	s_cbranch_execz .LBB3531_30
; %bb.27:
	v_lshlrev_b32_e32 v35, 2, v29
	v_lshlrev_b32_e32 v36, 2, v33
	v_add3_u32 v35, v24, v35, v36
	s_mov_b64 s[2:3], 0
.LBB3531_28:                            ; =>This Inner Loop Header: Depth=1
	v_add_u32_e32 v36, v34, v31
	v_lshrrev_b32_e32 v36, 1, v36
	v_not_b32_e32 v37, v36
	v_lshl_add_u32 v38, v36, 2, v30
	v_lshl_add_u32 v37, v37, 2, v35
	ds_read_b32 v38, v38
	ds_read_b32 v37, v37
	v_add_u32_e32 v39, 1, v36
	s_waitcnt lgkmcnt(0)
	v_cmp_gt_f32_e32 vcc, v38, v37
	v_cndmask_b32_e32 v34, v34, v36, vcc
	v_cndmask_b32_e32 v31, v39, v31, vcc
	v_cmp_ge_u32_e32 vcc, v31, v34
	s_or_b64 s[2:3], vcc, s[2:3]
	s_andn2_b64 exec, exec, s[2:3]
	s_cbranch_execnz .LBB3531_28
; %bb.29:
	s_or_b64 exec, exec, s[2:3]
.LBB3531_30:
	s_or_b64 exec, exec, s[0:1]
	v_add_u32_e32 v33, v29, v33
	v_add_u32_e32 v32, v31, v32
	v_sub_u32_e32 v33, v33, v31
	v_cmp_le_u32_e32 vcc, v32, v29
	v_cmp_le_u32_e64 s[0:1], v33, v28
	s_or_b64 s[0:1], vcc, s[0:1]
	s_and_saveexec_b64 s[24:25], s[0:1]
	s_cbranch_execz .LBB3531_36
; %bb.31:
	v_cmp_lt_u32_e32 vcc, v32, v29
                                        ; implicit-def: $vgpr0
	s_and_saveexec_b64 s[0:1], vcc
	s_cbranch_execz .LBB3531_33
; %bb.32:
	v_lshl_add_u32 v0, v31, 2, v30
	ds_read_b32 v0, v0
.LBB3531_33:
	s_or_b64 exec, exec, s[0:1]
	v_cmp_ge_u32_e64 s[0:1], v33, v28
	v_cmp_lt_u32_e64 s[2:3], v33, v28
                                        ; implicit-def: $vgpr1
	s_and_saveexec_b64 s[4:5], s[2:3]
	s_cbranch_execz .LBB3531_35
; %bb.34:
	v_lshl_add_u32 v1, v33, 2, v24
	ds_read_b32 v1, v1
.LBB3531_35:
	s_or_b64 exec, exec, s[4:5]
	s_waitcnt lgkmcnt(0)
	v_cmp_ngt_f32_e64 s[2:3], v0, v1
	s_and_b64 s[2:3], vcc, s[2:3]
	s_or_b64 vcc, s[0:1], s[2:3]
	v_cndmask_b32_e32 v2, v33, v32, vcc
	v_cndmask_b32_e32 v3, v28, v29, vcc
	v_add_u32_e32 v2, 1, v2
	v_add_u32_e32 v3, -1, v3
	v_min_u32_e32 v3, v2, v3
	v_lshl_add_u32 v3, v3, 2, v24
	ds_read_b32 v3, v3
	v_cndmask_b32_e32 v4, v2, v33, vcc
	v_cndmask_b32_e32 v2, v32, v2, vcc
	v_cmp_lt_u32_e64 s[2:3], v2, v29
	v_cmp_ge_u32_e64 s[0:1], v4, v28
	s_waitcnt lgkmcnt(0)
	v_cndmask_b32_e32 v5, v3, v1, vcc
	v_cndmask_b32_e32 v3, v0, v3, vcc
	v_cmp_ngt_f32_e64 s[4:5], v3, v5
	s_and_b64 s[2:3], s[2:3], s[4:5]
	s_or_b64 s[0:1], s[0:1], s[2:3]
	v_cndmask_b32_e64 v6, v4, v2, s[0:1]
	v_cndmask_b32_e64 v7, v28, v29, s[0:1]
	v_add_u32_e32 v6, 1, v6
	v_add_u32_e32 v7, -1, v7
	v_min_u32_e32 v7, v6, v7
	v_lshl_add_u32 v7, v7, 2, v24
	ds_read_b32 v7, v7
	v_cndmask_b32_e64 v2, v2, v6, s[0:1]
	v_cndmask_b32_e64 v4, v6, v4, s[0:1]
	v_cmp_lt_u32_e64 s[4:5], v2, v29
	v_cmp_ge_u32_e64 s[2:3], v4, v28
	s_waitcnt lgkmcnt(0)
	v_cndmask_b32_e64 v30, v7, v5, s[0:1]
	v_cndmask_b32_e64 v7, v3, v7, s[0:1]
	v_cmp_ngt_f32_e64 s[8:9], v7, v30
	s_and_b64 s[4:5], s[4:5], s[8:9]
	s_or_b64 s[2:3], s[2:3], s[4:5]
	v_cndmask_b32_e64 v6, v4, v2, s[2:3]
	v_cndmask_b32_e64 v31, v28, v29, s[2:3]
	v_add_u32_e32 v6, 1, v6
	v_add_u32_e32 v31, -1, v31
	v_min_u32_e32 v31, v6, v31
	v_lshl_add_u32 v31, v31, 2, v24
	ds_read_b32 v31, v31
	v_cndmask_b32_e64 v2, v2, v6, s[2:3]
	v_cndmask_b32_e64 v4, v6, v4, s[2:3]
	v_cmp_lt_u32_e64 s[8:9], v2, v29
	v_cmp_ge_u32_e64 s[4:5], v4, v28
	s_waitcnt lgkmcnt(0)
	v_cndmask_b32_e64 v32, v31, v30, s[2:3]
	v_cndmask_b32_e64 v31, v7, v31, s[2:3]
	;; [unrolled: 17-line block ×4, first 2 shown]
	v_cmp_ngt_f32_e64 s[14:15], v35, v36
	s_and_b64 s[12:13], s[12:13], s[14:15]
	s_or_b64 s[10:11], s[10:11], s[12:13]
	v_cndmask_b32_e64 v2, v4, v6, s[10:11]
	v_cndmask_b32_e64 v37, v28, v29, s[10:11]
	v_add_u32_e32 v38, 1, v2
	v_add_u32_e32 v2, -1, v37
	v_min_u32_e32 v2, v38, v2
	v_lshl_add_u32 v2, v2, 2, v24
	ds_read_b32 v37, v2
	v_cndmask_b32_e64 v2, v30, v7, s[2:3]
	v_cndmask_b32_e32 v0, v1, v0, vcc
	v_cndmask_b32_e64 v1, v5, v3, s[0:1]
	v_cndmask_b32_e64 v5, v36, v35, s[10:11]
	s_waitcnt lgkmcnt(0)
	v_cndmask_b32_e64 v7, v37, v36, s[10:11]
	v_cndmask_b32_e64 v30, v35, v37, s[10:11]
	;; [unrolled: 1-line block ×4, first 2 shown]
	v_cmp_lt_u32_e64 s[0:1], v38, v29
	v_cmp_ngt_f32_e64 s[2:3], v30, v7
	v_cmp_ge_u32_e32 vcc, v37, v28
	s_and_b64 s[0:1], s[0:1], s[2:3]
	s_or_b64 vcc, vcc, s[0:1]
	v_cndmask_b32_e32 v3, v37, v38, vcc
	v_cndmask_b32_e32 v4, v28, v29, vcc
	v_add_u32_e32 v39, 1, v3
	v_add_u32_e32 v3, -1, v4
	v_min_u32_e32 v3, v39, v3
	v_lshl_add_u32 v3, v3, 2, v24
	ds_read_b32 v40, v3
	v_cndmask_b32_e64 v3, v32, v31, s[4:5]
	v_cndmask_b32_e32 v6, v7, v30, vcc
	v_cndmask_b32_e32 v32, v38, v39, vcc
	;; [unrolled: 1-line block ×3, first 2 shown]
	s_waitcnt lgkmcnt(0)
	v_cndmask_b32_e32 v30, v30, v40, vcc
	v_cndmask_b32_e32 v7, v40, v7, vcc
	v_cmp_lt_u32_e32 vcc, v32, v29
	v_cmp_ngt_f32_e64 s[0:1], v30, v7
	s_and_b64 vcc, vcc, s[0:1]
	v_cndmask_b32_e32 v7, v7, v30, vcc
	v_cmp_lt_u32_e32 vcc, v31, v28
	v_cndmask_b32_e64 v4, v34, v33, s[8:9]
	v_cndmask_b32_e32 v7, v30, v7, vcc
.LBB3531_36:
	s_or_b64 exec, exec, s[24:25]
	v_and_b32_e32 v29, 0x380, v27
	; wave barrier
	ds_write_b128 v26, v[0:3]
	ds_write_b128 v26, v[4:7] offset:16
	v_or_b32_e32 v26, 64, v29
	v_min_u32_e32 v28, v25, v26
	v_add_u32_e32 v26, 64, v28
	v_min_u32_e32 v26, v25, v26
	v_and_b32_e32 v27, 0x78, v27
	v_min_u32_e32 v30, v25, v27
	v_sub_u32_e32 v31, v28, v29
	v_sub_u32_e32 v27, v26, v28
	v_sub_u32_e64 v27, v30, v27 clamp
	v_min_u32_e32 v31, v30, v31
	v_lshl_add_u32 v25, v29, 2, v24
	v_cmp_lt_u32_e32 vcc, v27, v31
	; wave barrier
	s_and_saveexec_b64 s[0:1], vcc
	s_cbranch_execz .LBB3531_40
; %bb.37:
	v_lshlrev_b32_e32 v32, 2, v28
	v_lshlrev_b32_e32 v33, 2, v30
	v_add3_u32 v32, v24, v32, v33
	s_mov_b64 s[2:3], 0
.LBB3531_38:                            ; =>This Inner Loop Header: Depth=1
	v_add_u32_e32 v33, v31, v27
	v_lshrrev_b32_e32 v33, 1, v33
	v_not_b32_e32 v34, v33
	v_lshl_add_u32 v35, v33, 2, v25
	v_lshl_add_u32 v34, v34, 2, v32
	ds_read_b32 v35, v35
	ds_read_b32 v34, v34
	v_add_u32_e32 v36, 1, v33
	s_waitcnt lgkmcnt(0)
	v_cmp_gt_f32_e32 vcc, v35, v34
	v_cndmask_b32_e32 v31, v31, v33, vcc
	v_cndmask_b32_e32 v27, v36, v27, vcc
	v_cmp_ge_u32_e32 vcc, v27, v31
	s_or_b64 s[2:3], vcc, s[2:3]
	s_andn2_b64 exec, exec, s[2:3]
	s_cbranch_execnz .LBB3531_38
; %bb.39:
	s_or_b64 exec, exec, s[2:3]
.LBB3531_40:
	s_or_b64 exec, exec, s[0:1]
	v_add_u32_e32 v30, v28, v30
	v_add_u32_e32 v29, v27, v29
	v_sub_u32_e32 v30, v30, v27
	v_cmp_le_u32_e32 vcc, v29, v28
	v_cmp_le_u32_e64 s[0:1], v30, v26
	s_or_b64 s[0:1], vcc, s[0:1]
	s_and_saveexec_b64 s[24:25], s[0:1]
	s_cbranch_execz .LBB3531_46
; %bb.41:
	v_cmp_lt_u32_e32 vcc, v29, v28
                                        ; implicit-def: $vgpr0
	s_and_saveexec_b64 s[0:1], vcc
	s_cbranch_execz .LBB3531_43
; %bb.42:
	v_lshl_add_u32 v0, v27, 2, v25
	ds_read_b32 v0, v0
.LBB3531_43:
	s_or_b64 exec, exec, s[0:1]
	v_cmp_ge_u32_e64 s[0:1], v30, v26
	v_cmp_lt_u32_e64 s[2:3], v30, v26
                                        ; implicit-def: $vgpr1
	s_and_saveexec_b64 s[4:5], s[2:3]
	s_cbranch_execz .LBB3531_45
; %bb.44:
	v_lshl_add_u32 v1, v30, 2, v24
	ds_read_b32 v1, v1
.LBB3531_45:
	s_or_b64 exec, exec, s[4:5]
	s_waitcnt lgkmcnt(0)
	v_cmp_ngt_f32_e64 s[2:3], v0, v1
	s_and_b64 s[2:3], vcc, s[2:3]
	s_or_b64 vcc, s[0:1], s[2:3]
	v_cndmask_b32_e32 v2, v30, v29, vcc
	v_cndmask_b32_e32 v3, v26, v28, vcc
	v_add_u32_e32 v2, 1, v2
	v_add_u32_e32 v3, -1, v3
	v_min_u32_e32 v3, v2, v3
	v_lshl_add_u32 v3, v3, 2, v24
	ds_read_b32 v3, v3
	v_cndmask_b32_e32 v4, v2, v30, vcc
	v_cndmask_b32_e32 v2, v29, v2, vcc
	v_cmp_lt_u32_e64 s[2:3], v2, v28
	v_cmp_ge_u32_e64 s[0:1], v4, v26
	s_waitcnt lgkmcnt(0)
	v_cndmask_b32_e32 v5, v3, v1, vcc
	v_cndmask_b32_e32 v3, v0, v3, vcc
	v_cmp_ngt_f32_e64 s[4:5], v3, v5
	s_and_b64 s[2:3], s[2:3], s[4:5]
	s_or_b64 s[0:1], s[0:1], s[2:3]
	v_cndmask_b32_e64 v6, v4, v2, s[0:1]
	v_cndmask_b32_e64 v7, v26, v28, s[0:1]
	v_add_u32_e32 v6, 1, v6
	v_add_u32_e32 v7, -1, v7
	v_min_u32_e32 v7, v6, v7
	v_lshl_add_u32 v7, v7, 2, v24
	ds_read_b32 v7, v7
	v_cndmask_b32_e64 v2, v2, v6, s[0:1]
	v_cndmask_b32_e64 v4, v6, v4, s[0:1]
	v_cmp_lt_u32_e64 s[4:5], v2, v28
	v_cmp_ge_u32_e64 s[2:3], v4, v26
	s_waitcnt lgkmcnt(0)
	v_cndmask_b32_e64 v25, v7, v5, s[0:1]
	v_cndmask_b32_e64 v7, v3, v7, s[0:1]
	v_cmp_ngt_f32_e64 s[8:9], v7, v25
	s_and_b64 s[4:5], s[4:5], s[8:9]
	s_or_b64 s[2:3], s[2:3], s[4:5]
	v_cndmask_b32_e64 v6, v4, v2, s[2:3]
	v_cndmask_b32_e64 v27, v26, v28, s[2:3]
	v_add_u32_e32 v6, 1, v6
	v_add_u32_e32 v27, -1, v27
	v_min_u32_e32 v27, v6, v27
	v_lshl_add_u32 v27, v27, 2, v24
	ds_read_b32 v27, v27
	v_cndmask_b32_e64 v2, v2, v6, s[2:3]
	v_cndmask_b32_e64 v4, v6, v4, s[2:3]
	v_cmp_lt_u32_e64 s[8:9], v2, v28
	v_cmp_ge_u32_e64 s[4:5], v4, v26
	s_waitcnt lgkmcnt(0)
	v_cndmask_b32_e64 v29, v27, v25, s[2:3]
	v_cndmask_b32_e64 v27, v7, v27, s[2:3]
	;; [unrolled: 17-line block ×4, first 2 shown]
	v_cmp_ngt_f32_e64 s[14:15], v32, v33
	s_and_b64 s[12:13], s[12:13], s[14:15]
	s_or_b64 s[10:11], s[10:11], s[12:13]
	v_cndmask_b32_e64 v2, v4, v6, s[10:11]
	v_cndmask_b32_e64 v34, v26, v28, s[10:11]
	v_add_u32_e32 v35, 1, v2
	v_add_u32_e32 v2, -1, v34
	v_min_u32_e32 v2, v35, v2
	v_lshl_add_u32 v2, v2, 2, v24
	ds_read_b32 v34, v2
	v_cndmask_b32_e64 v2, v25, v7, s[2:3]
	v_cndmask_b32_e32 v0, v1, v0, vcc
	v_cndmask_b32_e64 v1, v5, v3, s[0:1]
	v_cndmask_b32_e64 v5, v33, v32, s[10:11]
	s_waitcnt lgkmcnt(0)
	v_cndmask_b32_e64 v7, v34, v33, s[10:11]
	v_cndmask_b32_e64 v25, v32, v34, s[10:11]
	;; [unrolled: 1-line block ×4, first 2 shown]
	v_cmp_lt_u32_e64 s[0:1], v35, v28
	v_cmp_ngt_f32_e64 s[2:3], v25, v7
	v_cmp_ge_u32_e32 vcc, v34, v26
	s_and_b64 s[0:1], s[0:1], s[2:3]
	s_or_b64 vcc, vcc, s[0:1]
	v_cndmask_b32_e32 v3, v34, v35, vcc
	v_cndmask_b32_e32 v4, v26, v28, vcc
	v_add_u32_e32 v36, 1, v3
	v_add_u32_e32 v3, -1, v4
	v_min_u32_e32 v3, v36, v3
	v_lshl_add_u32 v3, v3, 2, v24
	ds_read_b32 v24, v3
	v_cndmask_b32_e32 v6, v7, v25, vcc
	v_cndmask_b32_e64 v3, v29, v27, s[4:5]
	v_cndmask_b32_e32 v27, v36, v34, vcc
	v_cndmask_b32_e64 v4, v31, v30, s[8:9]
	s_waitcnt lgkmcnt(0)
	v_cndmask_b32_e32 v25, v25, v24, vcc
	v_cndmask_b32_e32 v7, v24, v7, vcc
	;; [unrolled: 1-line block ×3, first 2 shown]
	v_cmp_lt_u32_e32 vcc, v24, v28
	v_cmp_ngt_f32_e64 s[0:1], v25, v7
	s_and_b64 vcc, vcc, s[0:1]
	v_cndmask_b32_e32 v7, v7, v25, vcc
	v_cmp_lt_u32_e32 vcc, v27, v26
	v_cndmask_b32_e32 v7, v25, v7, vcc
.LBB3531_46:
	s_or_b64 exec, exec, s[24:25]
	v_and_b32_e32 v29, 0x1f00, v12
	v_or_b32_e32 v25, 0x80, v29
	v_min_u32_e32 v26, 0x800, v25
	v_min_u32_e32 v25, 0x780, v25
	v_add_u32_e32 v25, 0x80, v25
	v_and_b32_e32 v30, 0xf8, v12
	v_sub_u32_e32 v31, v26, v29
	v_sub_u32_e32 v28, v25, v26
	v_sub_u32_e64 v28, v30, v28 clamp
	v_min_u32_e32 v31, v30, v31
	v_lshlrev_b32_e32 v24, 5, v8
	v_lshlrev_b32_e32 v27, 2, v29
	v_cmp_lt_u32_e32 vcc, v28, v31
	; wave barrier
	s_waitcnt lgkmcnt(0)
	s_barrier
	ds_write_b128 v24, v[0:3]
	ds_write_b128 v24, v[4:7] offset:16
	s_waitcnt lgkmcnt(0)
	s_barrier
	s_and_saveexec_b64 s[0:1], vcc
	s_cbranch_execz .LBB3531_50
; %bb.47:
	v_lshlrev_b32_e32 v32, 2, v30
	v_lshl_add_u32 v32, v26, 2, v32
	s_mov_b64 s[2:3], 0
.LBB3531_48:                            ; =>This Inner Loop Header: Depth=1
	v_add_u32_e32 v33, v31, v28
	v_lshrrev_b32_e32 v33, 1, v33
	v_not_b32_e32 v34, v33
	v_lshl_add_u32 v35, v33, 2, v27
	v_lshl_add_u32 v34, v34, 2, v32
	ds_read_b32 v35, v35
	ds_read_b32 v34, v34
	v_add_u32_e32 v36, 1, v33
	s_waitcnt lgkmcnt(0)
	v_cmp_gt_f32_e32 vcc, v35, v34
	v_cndmask_b32_e32 v31, v31, v33, vcc
	v_cndmask_b32_e32 v28, v36, v28, vcc
	v_cmp_ge_u32_e32 vcc, v28, v31
	s_or_b64 s[2:3], vcc, s[2:3]
	s_andn2_b64 exec, exec, s[2:3]
	s_cbranch_execnz .LBB3531_48
; %bb.49:
	s_or_b64 exec, exec, s[2:3]
.LBB3531_50:
	s_or_b64 exec, exec, s[0:1]
	v_sub_u32_e32 v30, v30, v28
	v_add_u32_e32 v29, v28, v29
	v_add_u32_e32 v30, v30, v26
	v_cmp_le_u32_e32 vcc, v29, v26
	v_cmp_le_u32_e64 s[0:1], v30, v25
	s_or_b64 s[0:1], vcc, s[0:1]
	s_and_saveexec_b64 s[24:25], s[0:1]
	s_cbranch_execz .LBB3531_56
; %bb.51:
	v_cmp_lt_u32_e32 vcc, v29, v26
                                        ; implicit-def: $vgpr0
	s_and_saveexec_b64 s[0:1], vcc
	s_cbranch_execz .LBB3531_53
; %bb.52:
	v_lshl_add_u32 v0, v28, 2, v27
	ds_read_b32 v0, v0
.LBB3531_53:
	s_or_b64 exec, exec, s[0:1]
	v_cmp_ge_u32_e64 s[0:1], v30, v25
	v_cmp_lt_u32_e64 s[2:3], v30, v25
                                        ; implicit-def: $vgpr1
	s_and_saveexec_b64 s[4:5], s[2:3]
	s_cbranch_execz .LBB3531_55
; %bb.54:
	v_lshlrev_b32_e32 v1, 2, v30
	ds_read_b32 v1, v1
.LBB3531_55:
	s_or_b64 exec, exec, s[4:5]
	s_waitcnt lgkmcnt(0)
	v_cmp_ngt_f32_e64 s[2:3], v0, v1
	s_and_b64 s[2:3], vcc, s[2:3]
	s_or_b64 vcc, s[0:1], s[2:3]
	v_cndmask_b32_e32 v2, v30, v29, vcc
	v_cndmask_b32_e32 v3, v25, v26, vcc
	v_add_u32_e32 v2, 1, v2
	v_add_u32_e32 v3, -1, v3
	v_min_u32_e32 v3, v2, v3
	v_lshlrev_b32_e32 v3, 2, v3
	ds_read_b32 v3, v3
	v_cndmask_b32_e32 v4, v2, v30, vcc
	v_cndmask_b32_e32 v2, v29, v2, vcc
	v_cmp_lt_u32_e64 s[2:3], v2, v26
	v_cmp_ge_u32_e64 s[0:1], v4, v25
	s_waitcnt lgkmcnt(0)
	v_cndmask_b32_e32 v5, v3, v1, vcc
	v_cndmask_b32_e32 v3, v0, v3, vcc
	v_cmp_ngt_f32_e64 s[4:5], v3, v5
	s_and_b64 s[2:3], s[2:3], s[4:5]
	s_or_b64 s[0:1], s[0:1], s[2:3]
	v_cndmask_b32_e64 v6, v4, v2, s[0:1]
	v_cndmask_b32_e64 v7, v25, v26, s[0:1]
	v_add_u32_e32 v6, 1, v6
	v_add_u32_e32 v7, -1, v7
	v_min_u32_e32 v7, v6, v7
	v_lshlrev_b32_e32 v7, 2, v7
	ds_read_b32 v7, v7
	v_cndmask_b32_e64 v2, v2, v6, s[0:1]
	v_cndmask_b32_e64 v4, v6, v4, s[0:1]
	v_cmp_lt_u32_e64 s[4:5], v2, v26
	v_cmp_ge_u32_e64 s[2:3], v4, v25
	s_waitcnt lgkmcnt(0)
	v_cndmask_b32_e64 v27, v7, v5, s[0:1]
	v_cndmask_b32_e64 v7, v3, v7, s[0:1]
	v_cmp_ngt_f32_e64 s[8:9], v7, v27
	s_and_b64 s[4:5], s[4:5], s[8:9]
	s_or_b64 s[2:3], s[2:3], s[4:5]
	v_cndmask_b32_e64 v6, v4, v2, s[2:3]
	v_cndmask_b32_e64 v28, v25, v26, s[2:3]
	v_add_u32_e32 v6, 1, v6
	v_add_u32_e32 v28, -1, v28
	v_min_u32_e32 v28, v6, v28
	v_lshlrev_b32_e32 v28, 2, v28
	ds_read_b32 v28, v28
	v_cndmask_b32_e64 v2, v2, v6, s[2:3]
	v_cndmask_b32_e64 v4, v6, v4, s[2:3]
	v_cmp_lt_u32_e64 s[8:9], v2, v26
	v_cmp_ge_u32_e64 s[4:5], v4, v25
	s_waitcnt lgkmcnt(0)
	v_cndmask_b32_e64 v29, v28, v27, s[2:3]
	v_cndmask_b32_e64 v28, v7, v28, s[2:3]
	;; [unrolled: 17-line block ×4, first 2 shown]
	v_cmp_ngt_f32_e64 s[14:15], v32, v33
	s_and_b64 s[12:13], s[12:13], s[14:15]
	s_or_b64 s[10:11], s[10:11], s[12:13]
	v_cndmask_b32_e64 v2, v4, v6, s[10:11]
	v_cndmask_b32_e64 v34, v25, v26, s[10:11]
	v_add_u32_e32 v35, 1, v2
	v_add_u32_e32 v2, -1, v34
	v_min_u32_e32 v2, v35, v2
	v_lshlrev_b32_e32 v2, 2, v2
	ds_read_b32 v34, v2
	v_cndmask_b32_e64 v2, v27, v7, s[2:3]
	v_cndmask_b32_e32 v0, v1, v0, vcc
	v_cndmask_b32_e64 v1, v5, v3, s[0:1]
	v_cndmask_b32_e64 v5, v33, v32, s[10:11]
	s_waitcnt lgkmcnt(0)
	v_cndmask_b32_e64 v7, v34, v33, s[10:11]
	v_cndmask_b32_e64 v27, v32, v34, s[10:11]
	;; [unrolled: 1-line block ×4, first 2 shown]
	v_cmp_lt_u32_e64 s[0:1], v35, v26
	v_cmp_ngt_f32_e64 s[2:3], v27, v7
	v_cmp_ge_u32_e32 vcc, v34, v25
	s_and_b64 s[0:1], s[0:1], s[2:3]
	s_or_b64 vcc, vcc, s[0:1]
	v_cndmask_b32_e32 v3, v34, v35, vcc
	v_cndmask_b32_e32 v4, v25, v26, vcc
	v_add_u32_e32 v36, 1, v3
	v_add_u32_e32 v3, -1, v4
	v_min_u32_e32 v3, v36, v3
	v_lshlrev_b32_e32 v3, 2, v3
	ds_read_b32 v37, v3
	v_cndmask_b32_e64 v3, v29, v28, s[4:5]
	v_cndmask_b32_e32 v6, v7, v27, vcc
	v_cndmask_b32_e32 v29, v35, v36, vcc
	;; [unrolled: 1-line block ×3, first 2 shown]
	s_waitcnt lgkmcnt(0)
	v_cndmask_b32_e32 v27, v27, v37, vcc
	v_cndmask_b32_e32 v7, v37, v7, vcc
	v_cmp_lt_u32_e32 vcc, v29, v26
	v_cmp_ngt_f32_e64 s[0:1], v27, v7
	s_and_b64 vcc, vcc, s[0:1]
	v_cndmask_b32_e32 v7, v7, v27, vcc
	v_cmp_lt_u32_e32 vcc, v28, v25
	v_cndmask_b32_e64 v4, v31, v30, s[8:9]
	v_cndmask_b32_e32 v7, v27, v7, vcc
.LBB3531_56:
	s_or_b64 exec, exec, s[24:25]
	v_and_b32_e32 v29, 0x1e00, v12
	v_or_b32_e32 v25, 0x100, v29
	v_min_u32_e32 v26, 0x800, v25
	v_min_u32_e32 v25, 0x700, v25
	v_add_u32_e32 v25, 0x100, v25
	v_and_b32_e32 v30, 0x1f8, v12
	v_sub_u32_e32 v31, v26, v29
	v_sub_u32_e32 v28, v25, v26
	v_sub_u32_e64 v28, v30, v28 clamp
	v_min_u32_e32 v31, v30, v31
	v_lshlrev_b32_e32 v27, 2, v29
	v_cmp_lt_u32_e32 vcc, v28, v31
	s_barrier
	ds_write_b128 v24, v[0:3]
	ds_write_b128 v24, v[4:7] offset:16
	s_waitcnt lgkmcnt(0)
	s_barrier
	s_and_saveexec_b64 s[0:1], vcc
	s_cbranch_execz .LBB3531_60
; %bb.57:
	v_lshlrev_b32_e32 v32, 2, v30
	v_lshl_add_u32 v32, v26, 2, v32
	s_mov_b64 s[2:3], 0
.LBB3531_58:                            ; =>This Inner Loop Header: Depth=1
	v_add_u32_e32 v33, v31, v28
	v_lshrrev_b32_e32 v33, 1, v33
	v_not_b32_e32 v34, v33
	v_lshl_add_u32 v35, v33, 2, v27
	v_lshl_add_u32 v34, v34, 2, v32
	ds_read_b32 v35, v35
	ds_read_b32 v34, v34
	v_add_u32_e32 v36, 1, v33
	s_waitcnt lgkmcnt(0)
	v_cmp_gt_f32_e32 vcc, v35, v34
	v_cndmask_b32_e32 v31, v31, v33, vcc
	v_cndmask_b32_e32 v28, v36, v28, vcc
	v_cmp_ge_u32_e32 vcc, v28, v31
	s_or_b64 s[2:3], vcc, s[2:3]
	s_andn2_b64 exec, exec, s[2:3]
	s_cbranch_execnz .LBB3531_58
; %bb.59:
	s_or_b64 exec, exec, s[2:3]
.LBB3531_60:
	s_or_b64 exec, exec, s[0:1]
	v_sub_u32_e32 v30, v30, v28
	v_add_u32_e32 v29, v28, v29
	v_add_u32_e32 v30, v30, v26
	v_cmp_le_u32_e32 vcc, v29, v26
	v_cmp_le_u32_e64 s[0:1], v30, v25
	s_or_b64 s[0:1], vcc, s[0:1]
	s_and_saveexec_b64 s[24:25], s[0:1]
	s_cbranch_execz .LBB3531_66
; %bb.61:
	v_cmp_lt_u32_e32 vcc, v29, v26
                                        ; implicit-def: $vgpr0
	s_and_saveexec_b64 s[0:1], vcc
	s_cbranch_execz .LBB3531_63
; %bb.62:
	v_lshl_add_u32 v0, v28, 2, v27
	ds_read_b32 v0, v0
.LBB3531_63:
	s_or_b64 exec, exec, s[0:1]
	v_cmp_ge_u32_e64 s[0:1], v30, v25
	v_cmp_lt_u32_e64 s[2:3], v30, v25
                                        ; implicit-def: $vgpr1
	s_and_saveexec_b64 s[4:5], s[2:3]
	s_cbranch_execz .LBB3531_65
; %bb.64:
	v_lshlrev_b32_e32 v1, 2, v30
	ds_read_b32 v1, v1
.LBB3531_65:
	s_or_b64 exec, exec, s[4:5]
	s_waitcnt lgkmcnt(0)
	v_cmp_ngt_f32_e64 s[2:3], v0, v1
	s_and_b64 s[2:3], vcc, s[2:3]
	s_or_b64 vcc, s[0:1], s[2:3]
	v_cndmask_b32_e32 v2, v30, v29, vcc
	v_cndmask_b32_e32 v3, v25, v26, vcc
	v_add_u32_e32 v2, 1, v2
	v_add_u32_e32 v3, -1, v3
	v_min_u32_e32 v3, v2, v3
	v_lshlrev_b32_e32 v3, 2, v3
	ds_read_b32 v3, v3
	v_cndmask_b32_e32 v4, v2, v30, vcc
	v_cndmask_b32_e32 v2, v29, v2, vcc
	v_cmp_lt_u32_e64 s[2:3], v2, v26
	v_cmp_ge_u32_e64 s[0:1], v4, v25
	s_waitcnt lgkmcnt(0)
	v_cndmask_b32_e32 v5, v3, v1, vcc
	v_cndmask_b32_e32 v3, v0, v3, vcc
	v_cmp_ngt_f32_e64 s[4:5], v3, v5
	s_and_b64 s[2:3], s[2:3], s[4:5]
	s_or_b64 s[0:1], s[0:1], s[2:3]
	v_cndmask_b32_e64 v6, v4, v2, s[0:1]
	v_cndmask_b32_e64 v7, v25, v26, s[0:1]
	v_add_u32_e32 v6, 1, v6
	v_add_u32_e32 v7, -1, v7
	v_min_u32_e32 v7, v6, v7
	v_lshlrev_b32_e32 v7, 2, v7
	ds_read_b32 v7, v7
	v_cndmask_b32_e64 v2, v2, v6, s[0:1]
	v_cndmask_b32_e64 v4, v6, v4, s[0:1]
	v_cmp_lt_u32_e64 s[4:5], v2, v26
	v_cmp_ge_u32_e64 s[2:3], v4, v25
	s_waitcnt lgkmcnt(0)
	v_cndmask_b32_e64 v27, v7, v5, s[0:1]
	v_cndmask_b32_e64 v7, v3, v7, s[0:1]
	v_cmp_ngt_f32_e64 s[8:9], v7, v27
	s_and_b64 s[4:5], s[4:5], s[8:9]
	s_or_b64 s[2:3], s[2:3], s[4:5]
	v_cndmask_b32_e64 v6, v4, v2, s[2:3]
	v_cndmask_b32_e64 v28, v25, v26, s[2:3]
	v_add_u32_e32 v6, 1, v6
	v_add_u32_e32 v28, -1, v28
	v_min_u32_e32 v28, v6, v28
	v_lshlrev_b32_e32 v28, 2, v28
	ds_read_b32 v28, v28
	v_cndmask_b32_e64 v2, v2, v6, s[2:3]
	v_cndmask_b32_e64 v4, v6, v4, s[2:3]
	v_cmp_lt_u32_e64 s[8:9], v2, v26
	v_cmp_ge_u32_e64 s[4:5], v4, v25
	s_waitcnt lgkmcnt(0)
	v_cndmask_b32_e64 v29, v28, v27, s[2:3]
	v_cndmask_b32_e64 v28, v7, v28, s[2:3]
	;; [unrolled: 17-line block ×4, first 2 shown]
	v_cmp_ngt_f32_e64 s[14:15], v32, v33
	s_and_b64 s[12:13], s[12:13], s[14:15]
	s_or_b64 s[10:11], s[10:11], s[12:13]
	v_cndmask_b32_e64 v2, v4, v6, s[10:11]
	v_cndmask_b32_e64 v34, v25, v26, s[10:11]
	v_add_u32_e32 v35, 1, v2
	v_add_u32_e32 v2, -1, v34
	v_min_u32_e32 v2, v35, v2
	v_lshlrev_b32_e32 v2, 2, v2
	ds_read_b32 v34, v2
	v_cndmask_b32_e64 v2, v27, v7, s[2:3]
	v_cndmask_b32_e32 v0, v1, v0, vcc
	v_cndmask_b32_e64 v1, v5, v3, s[0:1]
	v_cndmask_b32_e64 v5, v33, v32, s[10:11]
	s_waitcnt lgkmcnt(0)
	v_cndmask_b32_e64 v7, v34, v33, s[10:11]
	v_cndmask_b32_e64 v27, v32, v34, s[10:11]
	;; [unrolled: 1-line block ×4, first 2 shown]
	v_cmp_lt_u32_e64 s[0:1], v35, v26
	v_cmp_ngt_f32_e64 s[2:3], v27, v7
	v_cmp_ge_u32_e32 vcc, v34, v25
	s_and_b64 s[0:1], s[0:1], s[2:3]
	s_or_b64 vcc, vcc, s[0:1]
	v_cndmask_b32_e32 v3, v34, v35, vcc
	v_cndmask_b32_e32 v4, v25, v26, vcc
	v_add_u32_e32 v36, 1, v3
	v_add_u32_e32 v3, -1, v4
	v_min_u32_e32 v3, v36, v3
	v_lshlrev_b32_e32 v3, 2, v3
	ds_read_b32 v37, v3
	v_cndmask_b32_e64 v3, v29, v28, s[4:5]
	v_cndmask_b32_e32 v6, v7, v27, vcc
	v_cndmask_b32_e32 v29, v35, v36, vcc
	;; [unrolled: 1-line block ×3, first 2 shown]
	s_waitcnt lgkmcnt(0)
	v_cndmask_b32_e32 v27, v27, v37, vcc
	v_cndmask_b32_e32 v7, v37, v7, vcc
	v_cmp_lt_u32_e32 vcc, v29, v26
	v_cmp_ngt_f32_e64 s[0:1], v27, v7
	s_and_b64 vcc, vcc, s[0:1]
	v_cndmask_b32_e32 v7, v7, v27, vcc
	v_cmp_lt_u32_e32 vcc, v28, v25
	v_cndmask_b32_e64 v4, v31, v30, s[8:9]
	v_cndmask_b32_e32 v7, v27, v7, vcc
.LBB3531_66:
	s_or_b64 exec, exec, s[24:25]
	v_and_b32_e32 v29, 0x1c00, v12
	v_or_b32_e32 v25, 0x200, v29
	v_min_u32_e32 v26, 0x800, v25
	v_min_u32_e32 v25, 0x600, v25
	v_add_u32_e32 v25, 0x200, v25
	v_and_b32_e32 v30, 0x3f8, v12
	v_sub_u32_e32 v31, v26, v29
	v_sub_u32_e32 v28, v25, v26
	v_sub_u32_e64 v28, v30, v28 clamp
	v_min_u32_e32 v31, v30, v31
	v_lshlrev_b32_e32 v27, 2, v29
	v_cmp_lt_u32_e32 vcc, v28, v31
	s_barrier
	ds_write_b128 v24, v[0:3]
	ds_write_b128 v24, v[4:7] offset:16
	s_waitcnt lgkmcnt(0)
	s_barrier
	s_and_saveexec_b64 s[0:1], vcc
	s_cbranch_execz .LBB3531_70
; %bb.67:
	v_lshlrev_b32_e32 v32, 2, v30
	v_lshl_add_u32 v32, v26, 2, v32
	s_mov_b64 s[2:3], 0
.LBB3531_68:                            ; =>This Inner Loop Header: Depth=1
	v_add_u32_e32 v33, v31, v28
	v_lshrrev_b32_e32 v33, 1, v33
	v_not_b32_e32 v34, v33
	v_lshl_add_u32 v35, v33, 2, v27
	v_lshl_add_u32 v34, v34, 2, v32
	ds_read_b32 v35, v35
	ds_read_b32 v34, v34
	v_add_u32_e32 v36, 1, v33
	s_waitcnt lgkmcnt(0)
	v_cmp_gt_f32_e32 vcc, v35, v34
	v_cndmask_b32_e32 v31, v31, v33, vcc
	v_cndmask_b32_e32 v28, v36, v28, vcc
	v_cmp_ge_u32_e32 vcc, v28, v31
	s_or_b64 s[2:3], vcc, s[2:3]
	s_andn2_b64 exec, exec, s[2:3]
	s_cbranch_execnz .LBB3531_68
; %bb.69:
	s_or_b64 exec, exec, s[2:3]
.LBB3531_70:
	s_or_b64 exec, exec, s[0:1]
	v_sub_u32_e32 v30, v30, v28
	v_add_u32_e32 v29, v28, v29
	v_add_u32_e32 v30, v30, v26
	v_cmp_le_u32_e32 vcc, v29, v26
	v_cmp_le_u32_e64 s[0:1], v30, v25
	s_or_b64 s[0:1], vcc, s[0:1]
	s_and_saveexec_b64 s[24:25], s[0:1]
	s_cbranch_execz .LBB3531_76
; %bb.71:
	v_cmp_lt_u32_e32 vcc, v29, v26
                                        ; implicit-def: $vgpr0
	s_and_saveexec_b64 s[0:1], vcc
	s_cbranch_execz .LBB3531_73
; %bb.72:
	v_lshl_add_u32 v0, v28, 2, v27
	ds_read_b32 v0, v0
.LBB3531_73:
	s_or_b64 exec, exec, s[0:1]
	v_cmp_ge_u32_e64 s[0:1], v30, v25
	v_cmp_lt_u32_e64 s[2:3], v30, v25
                                        ; implicit-def: $vgpr1
	s_and_saveexec_b64 s[4:5], s[2:3]
	s_cbranch_execz .LBB3531_75
; %bb.74:
	v_lshlrev_b32_e32 v1, 2, v30
	ds_read_b32 v1, v1
.LBB3531_75:
	s_or_b64 exec, exec, s[4:5]
	s_waitcnt lgkmcnt(0)
	v_cmp_ngt_f32_e64 s[2:3], v0, v1
	s_and_b64 s[2:3], vcc, s[2:3]
	s_or_b64 vcc, s[0:1], s[2:3]
	v_cndmask_b32_e32 v2, v30, v29, vcc
	v_cndmask_b32_e32 v3, v25, v26, vcc
	v_add_u32_e32 v2, 1, v2
	v_add_u32_e32 v3, -1, v3
	v_min_u32_e32 v3, v2, v3
	v_lshlrev_b32_e32 v3, 2, v3
	ds_read_b32 v3, v3
	v_cndmask_b32_e32 v4, v2, v30, vcc
	v_cndmask_b32_e32 v2, v29, v2, vcc
	v_cmp_lt_u32_e64 s[2:3], v2, v26
	v_cmp_ge_u32_e64 s[0:1], v4, v25
	s_waitcnt lgkmcnt(0)
	v_cndmask_b32_e32 v5, v3, v1, vcc
	v_cndmask_b32_e32 v3, v0, v3, vcc
	v_cmp_ngt_f32_e64 s[4:5], v3, v5
	s_and_b64 s[2:3], s[2:3], s[4:5]
	s_or_b64 s[0:1], s[0:1], s[2:3]
	v_cndmask_b32_e64 v6, v4, v2, s[0:1]
	v_cndmask_b32_e64 v7, v25, v26, s[0:1]
	v_add_u32_e32 v6, 1, v6
	v_add_u32_e32 v7, -1, v7
	v_min_u32_e32 v7, v6, v7
	v_lshlrev_b32_e32 v7, 2, v7
	ds_read_b32 v7, v7
	v_cndmask_b32_e64 v2, v2, v6, s[0:1]
	v_cndmask_b32_e64 v4, v6, v4, s[0:1]
	v_cmp_lt_u32_e64 s[4:5], v2, v26
	v_cmp_ge_u32_e64 s[2:3], v4, v25
	s_waitcnt lgkmcnt(0)
	v_cndmask_b32_e64 v27, v7, v5, s[0:1]
	v_cndmask_b32_e64 v7, v3, v7, s[0:1]
	v_cmp_ngt_f32_e64 s[8:9], v7, v27
	s_and_b64 s[4:5], s[4:5], s[8:9]
	s_or_b64 s[2:3], s[2:3], s[4:5]
	v_cndmask_b32_e64 v6, v4, v2, s[2:3]
	v_cndmask_b32_e64 v28, v25, v26, s[2:3]
	v_add_u32_e32 v6, 1, v6
	v_add_u32_e32 v28, -1, v28
	v_min_u32_e32 v28, v6, v28
	v_lshlrev_b32_e32 v28, 2, v28
	ds_read_b32 v28, v28
	v_cndmask_b32_e64 v2, v2, v6, s[2:3]
	v_cndmask_b32_e64 v4, v6, v4, s[2:3]
	v_cmp_lt_u32_e64 s[8:9], v2, v26
	v_cmp_ge_u32_e64 s[4:5], v4, v25
	s_waitcnt lgkmcnt(0)
	v_cndmask_b32_e64 v29, v28, v27, s[2:3]
	v_cndmask_b32_e64 v28, v7, v28, s[2:3]
	;; [unrolled: 17-line block ×4, first 2 shown]
	v_cmp_ngt_f32_e64 s[14:15], v32, v33
	s_and_b64 s[12:13], s[12:13], s[14:15]
	s_or_b64 s[10:11], s[10:11], s[12:13]
	v_cndmask_b32_e64 v2, v4, v6, s[10:11]
	v_cndmask_b32_e64 v34, v25, v26, s[10:11]
	v_add_u32_e32 v35, 1, v2
	v_add_u32_e32 v2, -1, v34
	v_min_u32_e32 v2, v35, v2
	v_lshlrev_b32_e32 v2, 2, v2
	ds_read_b32 v34, v2
	v_cndmask_b32_e64 v2, v27, v7, s[2:3]
	v_cndmask_b32_e32 v0, v1, v0, vcc
	v_cndmask_b32_e64 v1, v5, v3, s[0:1]
	v_cndmask_b32_e64 v5, v33, v32, s[10:11]
	s_waitcnt lgkmcnt(0)
	v_cndmask_b32_e64 v7, v34, v33, s[10:11]
	v_cndmask_b32_e64 v27, v32, v34, s[10:11]
	;; [unrolled: 1-line block ×4, first 2 shown]
	v_cmp_lt_u32_e64 s[0:1], v35, v26
	v_cmp_ngt_f32_e64 s[2:3], v27, v7
	v_cmp_ge_u32_e32 vcc, v34, v25
	s_and_b64 s[0:1], s[0:1], s[2:3]
	s_or_b64 vcc, vcc, s[0:1]
	v_cndmask_b32_e32 v3, v34, v35, vcc
	v_cndmask_b32_e32 v4, v25, v26, vcc
	v_add_u32_e32 v36, 1, v3
	v_add_u32_e32 v3, -1, v4
	v_min_u32_e32 v3, v36, v3
	v_lshlrev_b32_e32 v3, 2, v3
	ds_read_b32 v37, v3
	v_cndmask_b32_e64 v3, v29, v28, s[4:5]
	v_cndmask_b32_e32 v6, v7, v27, vcc
	v_cndmask_b32_e32 v29, v35, v36, vcc
	;; [unrolled: 1-line block ×3, first 2 shown]
	s_waitcnt lgkmcnt(0)
	v_cndmask_b32_e32 v27, v27, v37, vcc
	v_cndmask_b32_e32 v7, v37, v7, vcc
	v_cmp_lt_u32_e32 vcc, v29, v26
	v_cmp_ngt_f32_e64 s[0:1], v27, v7
	s_and_b64 vcc, vcc, s[0:1]
	v_cndmask_b32_e32 v7, v7, v27, vcc
	v_cmp_lt_u32_e32 vcc, v28, v25
	v_cndmask_b32_e64 v4, v31, v30, s[8:9]
	v_cndmask_b32_e32 v7, v27, v7, vcc
.LBB3531_76:
	s_or_b64 exec, exec, s[24:25]
	v_and_b32_e32 v28, 0x1800, v12
	v_or_b32_e32 v25, 0x400, v28
	v_min_u32_e32 v25, 0x800, v25
	v_and_b32_e32 v29, 0x7f8, v12
	v_sub_u32_e32 v30, v25, v28
	v_sub_u32_e32 v27, 0x800, v25
	v_sub_u32_e64 v27, v29, v27 clamp
	v_min_u32_e32 v30, v29, v30
	v_lshlrev_b32_e32 v26, 2, v28
	v_cmp_lt_u32_e32 vcc, v27, v30
	s_barrier
	ds_write_b128 v24, v[0:3]
	ds_write_b128 v24, v[4:7] offset:16
	s_waitcnt lgkmcnt(0)
	s_barrier
	s_and_saveexec_b64 s[0:1], vcc
	s_cbranch_execz .LBB3531_80
; %bb.77:
	v_lshlrev_b32_e32 v31, 2, v29
	v_lshl_add_u32 v31, v25, 2, v31
	s_mov_b64 s[2:3], 0
.LBB3531_78:                            ; =>This Inner Loop Header: Depth=1
	v_add_u32_e32 v32, v30, v27
	v_lshrrev_b32_e32 v32, 1, v32
	v_not_b32_e32 v33, v32
	v_lshl_add_u32 v34, v32, 2, v26
	v_lshl_add_u32 v33, v33, 2, v31
	ds_read_b32 v34, v34
	ds_read_b32 v33, v33
	v_add_u32_e32 v35, 1, v32
	s_waitcnt lgkmcnt(0)
	v_cmp_gt_f32_e32 vcc, v34, v33
	v_cndmask_b32_e32 v30, v30, v32, vcc
	v_cndmask_b32_e32 v27, v35, v27, vcc
	v_cmp_ge_u32_e32 vcc, v27, v30
	s_or_b64 s[2:3], vcc, s[2:3]
	s_andn2_b64 exec, exec, s[2:3]
	s_cbranch_execnz .LBB3531_78
; %bb.79:
	s_or_b64 exec, exec, s[2:3]
.LBB3531_80:
	s_or_b64 exec, exec, s[0:1]
	v_sub_u32_e32 v29, v29, v27
	v_add_u32_e32 v28, v27, v28
	v_add_u32_e32 v29, v29, v25
	s_movk_i32 s0, 0x801
	v_cmp_le_u32_e32 vcc, v28, v25
	v_cmp_gt_u32_e64 s[0:1], s0, v29
	s_or_b64 s[0:1], vcc, s[0:1]
	s_and_saveexec_b64 s[24:25], s[0:1]
	s_cbranch_execz .LBB3531_86
; %bb.81:
	v_cmp_lt_u32_e32 vcc, v28, v25
                                        ; implicit-def: $vgpr0
	s_and_saveexec_b64 s[0:1], vcc
	s_cbranch_execz .LBB3531_83
; %bb.82:
	v_lshl_add_u32 v0, v27, 2, v26
	ds_read_b32 v0, v0
.LBB3531_83:
	s_or_b64 exec, exec, s[0:1]
	s_movk_i32 s26, 0x7ff
	s_movk_i32 s23, 0x800
	v_cmp_lt_u32_e64 s[0:1], s26, v29
	v_cmp_gt_u32_e64 s[2:3], s23, v29
                                        ; implicit-def: $vgpr1
	s_and_saveexec_b64 s[4:5], s[2:3]
	s_cbranch_execz .LBB3531_85
; %bb.84:
	v_lshlrev_b32_e32 v1, 2, v29
	ds_read_b32 v1, v1
.LBB3531_85:
	s_or_b64 exec, exec, s[4:5]
	s_waitcnt lgkmcnt(0)
	v_cmp_ngt_f32_e64 s[2:3], v0, v1
	s_and_b64 s[2:3], vcc, s[2:3]
	s_or_b64 vcc, s[0:1], s[2:3]
	v_cndmask_b32_e32 v2, v29, v28, vcc
	v_add_u32_e32 v3, -1, v25
	v_mov_b32_e32 v4, 0x7ff
	v_add_u32_e32 v2, 1, v2
	v_cndmask_b32_e32 v5, v4, v3, vcc
	v_min_u32_e32 v5, v2, v5
	v_lshlrev_b32_e32 v5, 2, v5
	ds_read_b32 v5, v5
	v_cndmask_b32_e32 v7, v2, v29, vcc
	v_cndmask_b32_e32 v2, v28, v2, vcc
	v_cmp_lt_u32_e64 s[2:3], v2, v25
	v_cmp_lt_u32_e64 s[0:1], s26, v7
	s_waitcnt lgkmcnt(0)
	v_cndmask_b32_e32 v6, v5, v1, vcc
	v_cndmask_b32_e32 v5, v0, v5, vcc
	v_cmp_ngt_f32_e64 s[4:5], v5, v6
	s_and_b64 s[2:3], s[2:3], s[4:5]
	s_or_b64 s[0:1], s[0:1], s[2:3]
	v_cndmask_b32_e64 v26, v7, v2, s[0:1]
	v_add_u32_e32 v26, 1, v26
	v_cndmask_b32_e64 v27, v4, v3, s[0:1]
	v_min_u32_e32 v27, v26, v27
	v_lshlrev_b32_e32 v27, 2, v27
	ds_read_b32 v27, v27
	v_cndmask_b32_e64 v2, v2, v26, s[0:1]
	v_cndmask_b32_e64 v7, v26, v7, s[0:1]
	v_cmp_lt_u32_e64 s[4:5], v2, v25
	v_cmp_lt_u32_e64 s[2:3], s26, v7
	s_waitcnt lgkmcnt(0)
	v_cndmask_b32_e64 v28, v27, v6, s[0:1]
	v_cndmask_b32_e64 v27, v5, v27, s[0:1]
	v_cmp_ngt_f32_e64 s[8:9], v27, v28
	s_and_b64 s[4:5], s[4:5], s[8:9]
	s_or_b64 s[2:3], s[2:3], s[4:5]
	v_cndmask_b32_e64 v26, v7, v2, s[2:3]
	v_add_u32_e32 v26, 1, v26
	v_cndmask_b32_e64 v29, v4, v3, s[2:3]
	v_min_u32_e32 v29, v26, v29
	v_lshlrev_b32_e32 v29, 2, v29
	ds_read_b32 v29, v29
	v_cndmask_b32_e64 v2, v2, v26, s[2:3]
	v_cndmask_b32_e64 v7, v26, v7, s[2:3]
	v_cmp_lt_u32_e64 s[8:9], v2, v25
	v_cmp_lt_u32_e64 s[4:5], s26, v7
	s_waitcnt lgkmcnt(0)
	v_cndmask_b32_e64 v30, v29, v28, s[2:3]
	v_cndmask_b32_e64 v29, v27, v29, s[2:3]
	;; [unrolled: 16-line block ×4, first 2 shown]
	v_cmp_ngt_f32_e64 s[14:15], v33, v34
	s_and_b64 s[12:13], s[12:13], s[14:15]
	s_or_b64 s[10:11], s[10:11], s[12:13]
	v_cndmask_b32_e64 v2, v7, v26, s[10:11]
	v_add_u32_e32 v35, 1, v2
	v_cndmask_b32_e64 v2, v4, v3, s[10:11]
	v_min_u32_e32 v2, v35, v2
	v_lshlrev_b32_e32 v2, 2, v2
	ds_read_b32 v36, v2
	v_cndmask_b32_e64 v2, v28, v27, s[2:3]
	v_cndmask_b32_e64 v26, v26, v35, s[10:11]
	v_cndmask_b32_e32 v0, v1, v0, vcc
	v_cndmask_b32_e64 v1, v6, v5, s[0:1]
	s_waitcnt lgkmcnt(0)
	v_cndmask_b32_e64 v27, v36, v34, s[10:11]
	v_cndmask_b32_e64 v28, v33, v36, s[10:11]
	;; [unrolled: 1-line block ×3, first 2 shown]
	v_cmp_lt_u32_e64 s[0:1], v26, v25
	v_cmp_ngt_f32_e64 s[2:3], v28, v27
	v_cmp_lt_u32_e32 vcc, s26, v7
	s_and_b64 s[0:1], s[0:1], s[2:3]
	s_or_b64 vcc, vcc, s[0:1]
	v_cndmask_b32_e32 v5, v7, v26, vcc
	v_add_u32_e32 v35, 1, v5
	v_cndmask_b32_e32 v3, v4, v3, vcc
	v_min_u32_e32 v3, v35, v3
	v_lshlrev_b32_e32 v3, 2, v3
	ds_read_b32 v36, v3
	v_cndmask_b32_e32 v6, v27, v28, vcc
	v_cndmask_b32_e32 v26, v26, v35, vcc
	;; [unrolled: 1-line block ×3, first 2 shown]
	v_cndmask_b32_e64 v3, v30, v29, s[4:5]
	s_waitcnt lgkmcnt(0)
	v_cndmask_b32_e32 v28, v28, v36, vcc
	v_cndmask_b32_e32 v27, v36, v27, vcc
	v_cmp_lt_u32_e32 vcc, v26, v25
	v_cmp_ngt_f32_e64 s[0:1], v28, v27
	s_and_b64 vcc, vcc, s[0:1]
	v_cndmask_b32_e32 v25, v27, v28, vcc
	v_cmp_gt_u32_e32 vcc, s23, v7
	v_cndmask_b32_e64 v4, v32, v31, s[8:9]
	v_cndmask_b32_e64 v5, v34, v33, s[10:11]
	v_cndmask_b32_e32 v7, v28, v25, vcc
.LBB3531_86:
	s_or_b64 exec, exec, s[24:25]
	v_lshl_add_u32 v24, v11, 2, v24
	s_barrier
	s_barrier
	ds_write2_b32 v24, v0, v1 offset1:1
	ds_write2_b32 v24, v2, v3 offset0:2 offset1:3
	ds_write2_b32 v24, v4, v5 offset0:4 offset1:5
	;; [unrolled: 1-line block ×3, first 2 shown]
	s_waitcnt lgkmcnt(0)
	s_barrier
	ds_read_b32 v3, v16
	ds_read_b32 v4, v17 offset:1024
	ds_read_b32 v5, v18 offset:2048
	;; [unrolled: 1-line block ×7, first 2 shown]
	v_mov_b32_e32 v1, s38
	v_add_co_u32_e32 v0, vcc, s33, v10
	v_addc_co_u32_e32 v1, vcc, 0, v1, vcc
	s_waitcnt lgkmcnt(7)
	flat_store_dword v[0:1], v3
	s_waitcnt lgkmcnt(0)
	flat_store_dword v[0:1], v4 offset:1024
	flat_store_dword v[0:1], v5 offset:2048
	;; [unrolled: 1-line block ×3, first 2 shown]
	v_add_co_u32_e32 v0, vcc, 0x1000, v0
	v_addc_co_u32_e32 v1, vcc, 0, v1, vcc
	flat_store_dword v[0:1], v7
	flat_store_dword v[0:1], v16 offset:1024
	flat_store_dword v[0:1], v17 offset:2048
	s_mov_b64 s[36:37], -1
	s_branch .LBB3531_166
.LBB3531_87:
	s_mov_b64 s[36:37], 0
                                        ; implicit-def: $vgpr2
	s_cbranch_execz .LBB3531_166
; %bb.88:
	s_lshl_b64 s[0:1], s[20:21], 11
	s_sub_i32 s39, s22, s0
	v_cmp_gt_u32_e32 vcc, s39, v8
                                        ; implicit-def: $vgpr0_vgpr1_vgpr2_vgpr3_vgpr4_vgpr5_vgpr6_vgpr7
	s_and_saveexec_b64 s[2:3], vcc
	s_cbranch_execz .LBB3531_90
; %bb.89:
	v_mov_b32_e32 v1, s19
	v_add_co_u32_e64 v0, s[0:1], s7, v10
	v_addc_co_u32_e64 v1, s[0:1], 0, v1, s[0:1]
	flat_load_dword v0, v[0:1]
.LBB3531_90:
	s_or_b64 exec, exec, s[2:3]
	v_add_u32_e32 v9, 0x100, v8
	v_cmp_gt_u32_e64 s[0:1], s39, v9
	s_and_saveexec_b64 s[4:5], s[0:1]
	s_cbranch_execz .LBB3531_92
; %bb.91:
	v_mov_b32_e32 v1, s19
	v_add_co_u32_e64 v16, s[2:3], s7, v10
	v_addc_co_u32_e64 v17, s[2:3], 0, v1, s[2:3]
	flat_load_dword v1, v[16:17] offset:1024
.LBB3531_92:
	s_or_b64 exec, exec, s[4:5]
	v_add_u32_e32 v16, 0x200, v8
	v_cmp_gt_u32_e64 s[2:3], s39, v16
	s_and_saveexec_b64 s[8:9], s[2:3]
	s_cbranch_execz .LBB3531_94
; %bb.93:
	v_mov_b32_e32 v2, s19
	v_add_co_u32_e64 v18, s[4:5], s7, v10
	v_addc_co_u32_e64 v19, s[4:5], 0, v2, s[4:5]
	flat_load_dword v2, v[18:19] offset:2048
.LBB3531_94:
	;; [unrolled: 11-line block ×3, first 2 shown]
	s_or_b64 exec, exec, s[10:11]
	v_or_b32_e32 v18, 0x400, v8
	v_cmp_gt_u32_e64 s[26:27], s39, v18
	s_and_saveexec_b64 s[10:11], s[26:27]
	s_cbranch_execz .LBB3531_98
; %bb.97:
	v_lshlrev_b32_e32 v4, 2, v18
	v_mov_b32_e32 v19, s19
	v_add_co_u32_e64 v20, s[8:9], s7, v4
	v_addc_co_u32_e64 v21, s[8:9], 0, v19, s[8:9]
	flat_load_dword v4, v[20:21]
.LBB3531_98:
	s_or_b64 exec, exec, s[10:11]
	v_add_u32_e32 v19, 0x500, v8
	v_cmp_gt_u32_e64 s[8:9], s39, v19
	s_and_saveexec_b64 s[12:13], s[8:9]
	s_cbranch_execz .LBB3531_100
; %bb.99:
	v_lshlrev_b32_e32 v5, 2, v19
	v_mov_b32_e32 v21, s19
	v_add_co_u32_e64 v20, s[10:11], s7, v5
	v_addc_co_u32_e64 v21, s[10:11], 0, v21, s[10:11]
	flat_load_dword v5, v[20:21]
.LBB3531_100:
	s_or_b64 exec, exec, s[12:13]
	v_add_u32_e32 v20, 0x600, v8
	;; [unrolled: 12-line block ×3, first 2 shown]
	v_cmp_gt_u32_e64 s[36:37], s39, v21
	s_and_saveexec_b64 s[14:15], s[36:37]
	s_cbranch_execz .LBB3531_104
; %bb.103:
	v_lshlrev_b32_e32 v7, 2, v21
	v_mov_b32_e32 v23, s19
	v_add_co_u32_e64 v22, s[12:13], s7, v7
	v_addc_co_u32_e64 v23, s[12:13], 0, v23, s[12:13]
	flat_load_dword v7, v[22:23]
.LBB3531_104:
	s_or_b64 exec, exec, s[14:15]
	v_and_b32_e32 v15, 0x7c, v15
	v_add_u32_e32 v15, v15, v10
	s_waitcnt vmcnt(0) lgkmcnt(0)
	ds_write_b32 v15, v0
	v_lshrrev_b32_e32 v0, 3, v9
	v_and_b32_e32 v0, 0xfc, v0
	v_add_u32_e32 v9, v0, v10
	v_lshrrev_b32_e32 v0, 3, v16
	v_and_b32_e32 v0, 0xfc, v0
	v_add_u32_e32 v16, v0, v10
	v_lshrrev_b32_e32 v0, 3, v17
	v_and_b32_e32 v0, 0xfc, v0
	v_add_u32_e32 v17, v0, v10
	v_lshrrev_b32_e32 v0, 3, v18
	v_and_b32_e32 v0, 0xfc, v0
	v_add_u32_e32 v18, v0, v10
	v_lshrrev_b32_e32 v0, 3, v19
	v_and_b32_e32 v0, 0x1fc, v0
	v_add_u32_e32 v19, v0, v10
	v_lshrrev_b32_e32 v0, 3, v20
	v_and_b32_e32 v0, 0x1fc, v0
	v_add_u32_e32 v20, v0, v10
	v_lshrrev_b32_e32 v0, 3, v21
	v_and_b32_e32 v0, 0x1fc, v0
	ds_write_b32 v20, v6 offset:6144
	v_add_u32_e32 v21, v0, v10
	v_add_lshl_u32 v6, v11, v12, 2
	ds_write_b32 v9, v1 offset:1024
	ds_write_b32 v16, v2 offset:2048
	;; [unrolled: 1-line block ×6, first 2 shown]
	s_waitcnt lgkmcnt(0)
	s_barrier
	ds_read2_b32 v[0:1], v6 offset1:1
	ds_read2_b32 v[2:3], v6 offset0:2 offset1:3
	ds_read2_b32 v[4:5], v6 offset0:4 offset1:5
	;; [unrolled: 1-line block ×3, first 2 shown]
	s_waitcnt lgkmcnt(0)
	s_barrier
	s_load_dword s7, s[16:17], 0xc
	v_mov_b32_e32 v22, 0
	v_cmp_gt_f32_e64 s[28:29], v2, v3
	v_cmp_gt_f32_e64 s[30:31], v4, v5
	;; [unrolled: 1-line block ×3, first 2 shown]
	s_waitcnt lgkmcnt(0)
	s_lshr_b32 s12, s7, 16
	s_cmp_lt_u32 s6, s18
	s_cselect_b32 s6, 12, 18
	s_add_u32 s6, s16, s6
	s_addc_u32 s7, s17, 0
	global_load_ushort v22, v22, s[6:7]
	v_mad_u32_u24 v13, v14, s12, v13
	v_cmp_gt_f32_e64 s[6:7], v0, v1
	s_waitcnt vmcnt(0)
	v_mul_lo_u32 v13, v13, v22
	v_add_lshl_u32 v13, v13, v8, 3
	v_sub_u32_e64 v14, s39, v13 clamp
	v_cmp_lt_u32_e64 s[24:25], 1, v14
	v_cmp_lt_u32_e64 s[22:23], 3, v14
	;; [unrolled: 1-line block ×4, first 2 shown]
	s_and_b64 s[6:7], s[24:25], s[6:7]
	s_and_b64 s[28:29], s[22:23], s[28:29]
	s_and_b64 s[30:31], s[20:21], s[30:31]
	v_cmp_lt_u32_e64 s[14:15], 2, v14
	v_cmp_lt_u32_e64 s[16:17], 4, v14
	;; [unrolled: 1-line block ×3, first 2 shown]
	v_cndmask_b32_e64 v14, v0, v1, s[6:7]
	v_cndmask_b32_e64 v22, v3, v2, s[28:29]
	s_and_b64 s[34:35], s[12:13], s[34:35]
	v_cndmask_b32_e64 v0, v1, v0, s[6:7]
	v_cndmask_b32_e64 v1, v2, v3, s[28:29]
	v_cndmask_b32_e64 v2, v4, v5, s[30:31]
	v_cndmask_b32_e64 v23, v5, v4, s[30:31]
	v_cndmask_b32_e64 v3, v6, v7, s[34:35]
	v_cmp_gt_f32_e64 s[6:7], v0, v1
	v_cmp_gt_f32_e64 s[28:29], v22, v2
	;; [unrolled: 1-line block ×3, first 2 shown]
	s_and_b64 s[6:7], s[14:15], s[6:7]
	s_and_b64 s[28:29], s[16:17], s[28:29]
	v_cndmask_b32_e64 v4, v1, v0, s[6:7]
	s_and_b64 s[30:31], s[18:19], s[30:31]
	v_cndmask_b32_e64 v0, v0, v1, s[6:7]
	v_cndmask_b32_e64 v1, v22, v2, s[28:29]
	;; [unrolled: 1-line block ×6, first 2 shown]
	v_cmp_gt_f32_e64 s[28:29], v14, v0
	v_cmp_gt_f32_e64 s[30:31], v4, v1
	;; [unrolled: 1-line block ×3, first 2 shown]
	s_and_b64 s[28:29], s[24:25], s[28:29]
	s_and_b64 s[30:31], s[22:23], s[30:31]
	v_cmp_gt_f32_e64 s[34:35], v5, v2
	s_and_b64 s[6:7], s[12:13], s[6:7]
	v_cndmask_b32_e64 v7, v14, v0, s[28:29]
	v_cndmask_b32_e64 v22, v1, v4, s[30:31]
	;; [unrolled: 1-line block ×5, first 2 shown]
	s_and_b64 s[34:35], s[20:21], s[34:35]
	v_cndmask_b32_e64 v6, v6, v24, s[6:7]
	v_cmp_gt_f32_e64 s[6:7], v0, v1
	v_cndmask_b32_e64 v23, v2, v5, s[34:35]
	v_cndmask_b32_e64 v2, v5, v2, s[34:35]
	s_and_b64 s[6:7], s[14:15], s[6:7]
	v_cndmask_b32_e64 v4, v1, v0, s[6:7]
	v_cndmask_b32_e64 v0, v0, v1, s[6:7]
	v_cmp_gt_f32_e64 s[6:7], v22, v2
	s_and_b64 s[6:7], s[16:17], s[6:7]
	v_cndmask_b32_e64 v1, v2, v22, s[6:7]
	v_cndmask_b32_e64 v2, v22, v2, s[6:7]
	v_cmp_gt_f32_e64 s[6:7], v23, v6
	;; [unrolled: 4-line block ×16, first 2 shown]
	v_mbcnt_lo_u32_b32 v14, -1, 0
	s_and_b64 s[6:7], s[18:19], s[6:7]
	v_mbcnt_hi_u32_b32 v23, -1, v14
	v_cndmask_b32_e64 v6, v22, v5, s[6:7]
	v_cndmask_b32_e64 v5, v5, v22, s[6:7]
	v_and_b32_e32 v13, 0xfffffe00, v13
	v_lshlrev_b32_e32 v22, 5, v23
	v_lshlrev_b32_e32 v23, 3, v23
	v_sub_u32_e64 v14, s39, v13 clamp
	v_or_b32_e32 v24, 8, v23
	v_min_u32_e32 v25, v14, v24
	v_add_u32_e32 v24, 8, v25
	v_and_b32_e32 v28, 0x3f0, v23
	v_min_u32_e32 v24, v14, v24
	v_and_b32_e32 v26, 8, v23
	v_min_u32_e32 v29, v14, v26
	v_sub_u32_e32 v30, v25, v28
	v_sub_u32_e32 v27, v24, v25
	v_lshlrev_b32_e32 v13, 2, v13
	v_sub_u32_e64 v27, v29, v27 clamp
	v_min_u32_e32 v30, v29, v30
	v_add_u32_e32 v22, v13, v22
	v_lshl_add_u32 v26, v28, 2, v13
	v_cmp_lt_u32_e64 s[6:7], v27, v30
	ds_write_b128 v22, v[0:3]
	ds_write_b128 v22, v[4:7] offset:16
	; wave barrier
	s_and_saveexec_b64 s[12:13], s[6:7]
	s_cbranch_execz .LBB3531_108
; %bb.105:
	v_lshlrev_b32_e32 v31, 2, v25
	v_lshlrev_b32_e32 v32, 2, v29
	v_add3_u32 v31, v13, v31, v32
	s_mov_b64 s[14:15], 0
.LBB3531_106:                           ; =>This Inner Loop Header: Depth=1
	v_add_u32_e32 v32, v30, v27
	v_lshrrev_b32_e32 v32, 1, v32
	v_not_b32_e32 v33, v32
	v_lshl_add_u32 v34, v32, 2, v26
	v_lshl_add_u32 v33, v33, 2, v31
	ds_read_b32 v34, v34
	ds_read_b32 v33, v33
	v_add_u32_e32 v35, 1, v32
	s_waitcnt lgkmcnt(0)
	v_cmp_gt_f32_e64 s[6:7], v34, v33
	v_cndmask_b32_e64 v30, v30, v32, s[6:7]
	v_cndmask_b32_e64 v27, v35, v27, s[6:7]
	v_cmp_ge_u32_e64 s[6:7], v27, v30
	s_or_b64 s[14:15], s[6:7], s[14:15]
	s_andn2_b64 exec, exec, s[14:15]
	s_cbranch_execnz .LBB3531_106
; %bb.107:
	s_or_b64 exec, exec, s[14:15]
.LBB3531_108:
	s_or_b64 exec, exec, s[12:13]
	v_add_u32_e32 v29, v25, v29
	v_add_u32_e32 v28, v27, v28
	v_sub_u32_e32 v29, v29, v27
	v_cmp_le_u32_e64 s[6:7], v28, v25
	v_cmp_le_u32_e64 s[12:13], v29, v24
	s_or_b64 s[6:7], s[6:7], s[12:13]
	s_and_saveexec_b64 s[12:13], s[6:7]
	s_xor_b64 s[28:29], exec, s[12:13]
	s_cbranch_execz .LBB3531_114
; %bb.109:
	v_cmp_lt_u32_e64 s[12:13], v28, v25
                                        ; implicit-def: $vgpr0
	s_and_saveexec_b64 s[6:7], s[12:13]
	s_cbranch_execz .LBB3531_111
; %bb.110:
	v_lshl_add_u32 v0, v27, 2, v26
	ds_read_b32 v0, v0
.LBB3531_111:
	s_or_b64 exec, exec, s[6:7]
	v_cmp_ge_u32_e64 s[14:15], v29, v24
	v_cmp_lt_u32_e64 s[6:7], v29, v24
                                        ; implicit-def: $vgpr1
	s_and_saveexec_b64 s[16:17], s[6:7]
	s_cbranch_execz .LBB3531_113
; %bb.112:
	v_lshl_add_u32 v1, v29, 2, v13
	ds_read_b32 v1, v1
.LBB3531_113:
	s_or_b64 exec, exec, s[16:17]
	s_waitcnt lgkmcnt(0)
	v_cmp_ngt_f32_e64 s[6:7], v0, v1
	s_and_b64 s[6:7], s[12:13], s[6:7]
	s_or_b64 s[6:7], s[14:15], s[6:7]
	v_cndmask_b32_e64 v2, v29, v28, s[6:7]
	v_cndmask_b32_e64 v3, v24, v25, s[6:7]
	v_add_u32_e32 v2, 1, v2
	v_add_u32_e32 v3, -1, v3
	v_min_u32_e32 v3, v2, v3
	v_lshl_add_u32 v3, v3, 2, v13
	ds_read_b32 v3, v3
	v_cndmask_b32_e64 v4, v2, v29, s[6:7]
	v_cndmask_b32_e64 v2, v28, v2, s[6:7]
	v_cmp_lt_u32_e64 s[14:15], v2, v25
	v_cmp_ge_u32_e64 s[12:13], v4, v24
	s_waitcnt lgkmcnt(0)
	v_cndmask_b32_e64 v5, v3, v1, s[6:7]
	v_cndmask_b32_e64 v3, v0, v3, s[6:7]
	v_cmp_ngt_f32_e64 s[16:17], v3, v5
	s_and_b64 s[14:15], s[14:15], s[16:17]
	s_or_b64 s[12:13], s[12:13], s[14:15]
	v_cndmask_b32_e64 v6, v4, v2, s[12:13]
	v_cndmask_b32_e64 v7, v24, v25, s[12:13]
	v_add_u32_e32 v6, 1, v6
	v_add_u32_e32 v7, -1, v7
	v_min_u32_e32 v7, v6, v7
	v_lshl_add_u32 v7, v7, 2, v13
	ds_read_b32 v7, v7
	v_cndmask_b32_e64 v2, v2, v6, s[12:13]
	v_cndmask_b32_e64 v4, v6, v4, s[12:13]
	v_cmp_lt_u32_e64 s[16:17], v2, v25
	v_cmp_ge_u32_e64 s[14:15], v4, v24
	s_waitcnt lgkmcnt(0)
	v_cndmask_b32_e64 v26, v7, v5, s[12:13]
	v_cndmask_b32_e64 v7, v3, v7, s[12:13]
	v_cmp_ngt_f32_e64 s[18:19], v7, v26
	s_and_b64 s[16:17], s[16:17], s[18:19]
	s_or_b64 s[14:15], s[14:15], s[16:17]
	v_cndmask_b32_e64 v6, v4, v2, s[14:15]
	v_cndmask_b32_e64 v27, v24, v25, s[14:15]
	v_add_u32_e32 v6, 1, v6
	v_add_u32_e32 v27, -1, v27
	v_min_u32_e32 v27, v6, v27
	v_lshl_add_u32 v27, v27, 2, v13
	ds_read_b32 v27, v27
	v_cndmask_b32_e64 v2, v2, v6, s[14:15]
	v_cndmask_b32_e64 v4, v6, v4, s[14:15]
	v_cmp_lt_u32_e64 s[18:19], v2, v25
	v_cmp_ge_u32_e64 s[16:17], v4, v24
	s_waitcnt lgkmcnt(0)
	v_cndmask_b32_e64 v28, v27, v26, s[14:15]
	v_cndmask_b32_e64 v27, v7, v27, s[14:15]
	v_cmp_ngt_f32_e64 s[20:21], v27, v28
	s_and_b64 s[18:19], s[18:19], s[20:21]
	s_or_b64 s[16:17], s[16:17], s[18:19]
	v_cndmask_b32_e64 v6, v4, v2, s[16:17]
	v_cndmask_b32_e64 v29, v24, v25, s[16:17]
	v_add_u32_e32 v6, 1, v6
	v_add_u32_e32 v29, -1, v29
	v_min_u32_e32 v29, v6, v29
	v_lshl_add_u32 v29, v29, 2, v13
	ds_read_b32 v29, v29
	v_cndmask_b32_e64 v2, v2, v6, s[16:17]
	v_cndmask_b32_e64 v4, v6, v4, s[16:17]
	v_cmp_lt_u32_e64 s[20:21], v2, v25
	v_cmp_ge_u32_e64 s[18:19], v4, v24
	s_waitcnt lgkmcnt(0)
	v_cndmask_b32_e64 v30, v29, v28, s[16:17]
	v_cndmask_b32_e64 v29, v27, v29, s[16:17]
	v_cmp_ngt_f32_e64 s[22:23], v29, v30
	s_and_b64 s[20:21], s[20:21], s[22:23]
	s_or_b64 s[18:19], s[18:19], s[20:21]
	v_cndmask_b32_e64 v6, v4, v2, s[18:19]
	v_cndmask_b32_e64 v31, v24, v25, s[18:19]
	v_add_u32_e32 v6, 1, v6
	v_add_u32_e32 v31, -1, v31
	v_min_u32_e32 v31, v6, v31
	v_lshl_add_u32 v31, v31, 2, v13
	ds_read_b32 v31, v31
	v_cndmask_b32_e64 v4, v6, v4, s[18:19]
	v_cndmask_b32_e64 v6, v2, v6, s[18:19]
	v_cmp_lt_u32_e64 s[22:23], v6, v25
	v_cmp_ge_u32_e64 s[20:21], v4, v24
	s_waitcnt lgkmcnt(0)
	v_cndmask_b32_e64 v32, v31, v30, s[18:19]
	v_cndmask_b32_e64 v31, v29, v31, s[18:19]
	v_cmp_ngt_f32_e64 s[24:25], v31, v32
	s_and_b64 s[22:23], s[22:23], s[24:25]
	s_or_b64 s[20:21], s[20:21], s[22:23]
	v_cndmask_b32_e64 v2, v4, v6, s[20:21]
	v_cndmask_b32_e64 v33, v24, v25, s[20:21]
	v_add_u32_e32 v34, 1, v2
	v_add_u32_e32 v2, -1, v33
	v_min_u32_e32 v2, v34, v2
	v_lshl_add_u32 v2, v2, 2, v13
	ds_read_b32 v33, v2
	v_cndmask_b32_e64 v2, v26, v7, s[14:15]
	v_cndmask_b32_e64 v0, v1, v0, s[6:7]
	v_cndmask_b32_e64 v1, v5, v3, s[12:13]
	v_cndmask_b32_e64 v5, v32, v31, s[20:21]
	s_waitcnt lgkmcnt(0)
	v_cndmask_b32_e64 v7, v33, v32, s[20:21]
	v_cndmask_b32_e64 v26, v31, v33, s[20:21]
	;; [unrolled: 1-line block ×4, first 2 shown]
	v_cmp_lt_u32_e64 s[12:13], v34, v25
	v_cmp_ngt_f32_e64 s[14:15], v26, v7
	v_cmp_ge_u32_e64 s[6:7], v33, v24
	s_and_b64 s[12:13], s[12:13], s[14:15]
	s_or_b64 s[6:7], s[6:7], s[12:13]
	v_cndmask_b32_e64 v3, v33, v34, s[6:7]
	v_cndmask_b32_e64 v4, v24, v25, s[6:7]
	v_add_u32_e32 v35, 1, v3
	v_add_u32_e32 v3, -1, v4
	v_min_u32_e32 v3, v35, v3
	v_lshl_add_u32 v3, v3, 2, v13
	ds_read_b32 v36, v3
	v_cndmask_b32_e64 v3, v28, v27, s[16:17]
	v_cndmask_b32_e64 v6, v7, v26, s[6:7]
	;; [unrolled: 1-line block ×4, first 2 shown]
	s_waitcnt lgkmcnt(0)
	v_cndmask_b32_e64 v26, v26, v36, s[6:7]
	v_cndmask_b32_e64 v7, v36, v7, s[6:7]
	v_cmp_lt_u32_e64 s[6:7], v28, v25
	v_cmp_ngt_f32_e64 s[12:13], v26, v7
	s_and_b64 s[6:7], s[6:7], s[12:13]
	v_cndmask_b32_e64 v7, v7, v26, s[6:7]
	v_cmp_lt_u32_e64 s[6:7], v27, v24
	v_cndmask_b32_e64 v4, v30, v29, s[18:19]
	v_cndmask_b32_e64 v7, v26, v7, s[6:7]
.LBB3531_114:
	s_andn2_saveexec_b64 s[6:7], s[28:29]
	s_or_b64 exec, exec, s[6:7]
	v_and_b32_e32 v28, 0x3e0, v23
	v_or_b32_e32 v24, 16, v28
	v_min_u32_e32 v25, v14, v24
	v_add_u32_e32 v24, 16, v25
	v_min_u32_e32 v24, v14, v24
	v_and_b32_e32 v26, 24, v23
	v_min_u32_e32 v29, v14, v26
	v_sub_u32_e32 v30, v25, v28
	v_sub_u32_e32 v27, v24, v25
	v_sub_u32_e64 v27, v29, v27 clamp
	v_min_u32_e32 v30, v29, v30
	v_lshl_add_u32 v26, v28, 2, v13
	v_cmp_lt_u32_e64 s[6:7], v27, v30
	; wave barrier
	ds_write_b128 v22, v[0:3]
	ds_write_b128 v22, v[4:7] offset:16
	; wave barrier
	s_and_saveexec_b64 s[12:13], s[6:7]
	s_cbranch_execz .LBB3531_118
; %bb.115:
	v_lshlrev_b32_e32 v31, 2, v25
	v_lshlrev_b32_e32 v32, 2, v29
	v_add3_u32 v31, v13, v31, v32
	s_mov_b64 s[14:15], 0
.LBB3531_116:                           ; =>This Inner Loop Header: Depth=1
	v_add_u32_e32 v32, v30, v27
	v_lshrrev_b32_e32 v32, 1, v32
	v_not_b32_e32 v33, v32
	v_lshl_add_u32 v34, v32, 2, v26
	v_lshl_add_u32 v33, v33, 2, v31
	ds_read_b32 v34, v34
	ds_read_b32 v33, v33
	v_add_u32_e32 v35, 1, v32
	s_waitcnt lgkmcnt(0)
	v_cmp_gt_f32_e64 s[6:7], v34, v33
	v_cndmask_b32_e64 v30, v30, v32, s[6:7]
	v_cndmask_b32_e64 v27, v35, v27, s[6:7]
	v_cmp_ge_u32_e64 s[6:7], v27, v30
	s_or_b64 s[14:15], s[6:7], s[14:15]
	s_andn2_b64 exec, exec, s[14:15]
	s_cbranch_execnz .LBB3531_116
; %bb.117:
	s_or_b64 exec, exec, s[14:15]
.LBB3531_118:
	s_or_b64 exec, exec, s[12:13]
	v_add_u32_e32 v29, v25, v29
	v_add_u32_e32 v28, v27, v28
	v_sub_u32_e32 v29, v29, v27
	v_cmp_le_u32_e64 s[6:7], v28, v25
	v_cmp_le_u32_e64 s[12:13], v29, v24
	s_or_b64 s[6:7], s[6:7], s[12:13]
	s_and_saveexec_b64 s[28:29], s[6:7]
	s_cbranch_execz .LBB3531_124
; %bb.119:
	v_cmp_lt_u32_e64 s[12:13], v28, v25
                                        ; implicit-def: $vgpr0
	s_and_saveexec_b64 s[6:7], s[12:13]
	s_cbranch_execz .LBB3531_121
; %bb.120:
	v_lshl_add_u32 v0, v27, 2, v26
	ds_read_b32 v0, v0
.LBB3531_121:
	s_or_b64 exec, exec, s[6:7]
	v_cmp_ge_u32_e64 s[14:15], v29, v24
	v_cmp_lt_u32_e64 s[6:7], v29, v24
                                        ; implicit-def: $vgpr1
	s_and_saveexec_b64 s[16:17], s[6:7]
	s_cbranch_execz .LBB3531_123
; %bb.122:
	v_lshl_add_u32 v1, v29, 2, v13
	ds_read_b32 v1, v1
.LBB3531_123:
	s_or_b64 exec, exec, s[16:17]
	s_waitcnt lgkmcnt(0)
	v_cmp_ngt_f32_e64 s[6:7], v0, v1
	s_and_b64 s[6:7], s[12:13], s[6:7]
	s_or_b64 s[6:7], s[14:15], s[6:7]
	v_cndmask_b32_e64 v2, v29, v28, s[6:7]
	v_cndmask_b32_e64 v3, v24, v25, s[6:7]
	v_add_u32_e32 v2, 1, v2
	v_add_u32_e32 v3, -1, v3
	v_min_u32_e32 v3, v2, v3
	v_lshl_add_u32 v3, v3, 2, v13
	ds_read_b32 v3, v3
	v_cndmask_b32_e64 v4, v2, v29, s[6:7]
	v_cndmask_b32_e64 v2, v28, v2, s[6:7]
	v_cmp_lt_u32_e64 s[14:15], v2, v25
	v_cmp_ge_u32_e64 s[12:13], v4, v24
	s_waitcnt lgkmcnt(0)
	v_cndmask_b32_e64 v5, v3, v1, s[6:7]
	v_cndmask_b32_e64 v3, v0, v3, s[6:7]
	v_cmp_ngt_f32_e64 s[16:17], v3, v5
	s_and_b64 s[14:15], s[14:15], s[16:17]
	s_or_b64 s[12:13], s[12:13], s[14:15]
	v_cndmask_b32_e64 v6, v4, v2, s[12:13]
	v_cndmask_b32_e64 v7, v24, v25, s[12:13]
	v_add_u32_e32 v6, 1, v6
	v_add_u32_e32 v7, -1, v7
	v_min_u32_e32 v7, v6, v7
	v_lshl_add_u32 v7, v7, 2, v13
	ds_read_b32 v7, v7
	v_cndmask_b32_e64 v2, v2, v6, s[12:13]
	v_cndmask_b32_e64 v4, v6, v4, s[12:13]
	v_cmp_lt_u32_e64 s[16:17], v2, v25
	v_cmp_ge_u32_e64 s[14:15], v4, v24
	s_waitcnt lgkmcnt(0)
	v_cndmask_b32_e64 v26, v7, v5, s[12:13]
	v_cndmask_b32_e64 v7, v3, v7, s[12:13]
	;; [unrolled: 17-line block ×5, first 2 shown]
	v_cmp_ngt_f32_e64 s[24:25], v31, v32
	s_and_b64 s[22:23], s[22:23], s[24:25]
	s_or_b64 s[20:21], s[20:21], s[22:23]
	v_cndmask_b32_e64 v2, v4, v6, s[20:21]
	v_cndmask_b32_e64 v33, v24, v25, s[20:21]
	v_add_u32_e32 v34, 1, v2
	v_add_u32_e32 v2, -1, v33
	v_min_u32_e32 v2, v34, v2
	v_lshl_add_u32 v2, v2, 2, v13
	ds_read_b32 v33, v2
	v_cndmask_b32_e64 v2, v26, v7, s[14:15]
	v_cndmask_b32_e64 v0, v1, v0, s[6:7]
	;; [unrolled: 1-line block ×4, first 2 shown]
	s_waitcnt lgkmcnt(0)
	v_cndmask_b32_e64 v7, v33, v32, s[20:21]
	v_cndmask_b32_e64 v26, v31, v33, s[20:21]
	;; [unrolled: 1-line block ×4, first 2 shown]
	v_cmp_lt_u32_e64 s[12:13], v34, v25
	v_cmp_ngt_f32_e64 s[14:15], v26, v7
	v_cmp_ge_u32_e64 s[6:7], v33, v24
	s_and_b64 s[12:13], s[12:13], s[14:15]
	s_or_b64 s[6:7], s[6:7], s[12:13]
	v_cndmask_b32_e64 v3, v33, v34, s[6:7]
	v_cndmask_b32_e64 v4, v24, v25, s[6:7]
	v_add_u32_e32 v35, 1, v3
	v_add_u32_e32 v3, -1, v4
	v_min_u32_e32 v3, v35, v3
	v_lshl_add_u32 v3, v3, 2, v13
	ds_read_b32 v36, v3
	v_cndmask_b32_e64 v3, v28, v27, s[16:17]
	v_cndmask_b32_e64 v6, v7, v26, s[6:7]
	;; [unrolled: 1-line block ×4, first 2 shown]
	s_waitcnt lgkmcnt(0)
	v_cndmask_b32_e64 v26, v26, v36, s[6:7]
	v_cndmask_b32_e64 v7, v36, v7, s[6:7]
	v_cmp_lt_u32_e64 s[6:7], v28, v25
	v_cmp_ngt_f32_e64 s[12:13], v26, v7
	s_and_b64 s[6:7], s[6:7], s[12:13]
	v_cndmask_b32_e64 v7, v7, v26, s[6:7]
	v_cmp_lt_u32_e64 s[6:7], v27, v24
	v_cndmask_b32_e64 v4, v30, v29, s[18:19]
	v_cndmask_b32_e64 v7, v26, v7, s[6:7]
.LBB3531_124:
	s_or_b64 exec, exec, s[28:29]
	v_and_b32_e32 v28, 0x3c0, v23
	v_or_b32_e32 v24, 32, v28
	v_min_u32_e32 v25, v14, v24
	v_add_u32_e32 v24, 32, v25
	v_min_u32_e32 v24, v14, v24
	v_and_b32_e32 v26, 56, v23
	v_min_u32_e32 v29, v14, v26
	v_sub_u32_e32 v30, v25, v28
	v_sub_u32_e32 v27, v24, v25
	v_sub_u32_e64 v27, v29, v27 clamp
	v_min_u32_e32 v30, v29, v30
	v_lshl_add_u32 v26, v28, 2, v13
	v_cmp_lt_u32_e64 s[6:7], v27, v30
	; wave barrier
	ds_write_b128 v22, v[0:3]
	ds_write_b128 v22, v[4:7] offset:16
	; wave barrier
	s_and_saveexec_b64 s[12:13], s[6:7]
	s_cbranch_execz .LBB3531_128
; %bb.125:
	v_lshlrev_b32_e32 v31, 2, v25
	v_lshlrev_b32_e32 v32, 2, v29
	v_add3_u32 v31, v13, v31, v32
	s_mov_b64 s[14:15], 0
.LBB3531_126:                           ; =>This Inner Loop Header: Depth=1
	v_add_u32_e32 v32, v30, v27
	v_lshrrev_b32_e32 v32, 1, v32
	v_not_b32_e32 v33, v32
	v_lshl_add_u32 v34, v32, 2, v26
	v_lshl_add_u32 v33, v33, 2, v31
	ds_read_b32 v34, v34
	ds_read_b32 v33, v33
	v_add_u32_e32 v35, 1, v32
	s_waitcnt lgkmcnt(0)
	v_cmp_gt_f32_e64 s[6:7], v34, v33
	v_cndmask_b32_e64 v30, v30, v32, s[6:7]
	v_cndmask_b32_e64 v27, v35, v27, s[6:7]
	v_cmp_ge_u32_e64 s[6:7], v27, v30
	s_or_b64 s[14:15], s[6:7], s[14:15]
	s_andn2_b64 exec, exec, s[14:15]
	s_cbranch_execnz .LBB3531_126
; %bb.127:
	s_or_b64 exec, exec, s[14:15]
.LBB3531_128:
	s_or_b64 exec, exec, s[12:13]
	v_add_u32_e32 v29, v25, v29
	v_add_u32_e32 v28, v27, v28
	v_sub_u32_e32 v29, v29, v27
	v_cmp_le_u32_e64 s[6:7], v28, v25
	v_cmp_le_u32_e64 s[12:13], v29, v24
	s_or_b64 s[6:7], s[6:7], s[12:13]
	s_and_saveexec_b64 s[28:29], s[6:7]
	s_cbranch_execz .LBB3531_134
; %bb.129:
	v_cmp_lt_u32_e64 s[12:13], v28, v25
                                        ; implicit-def: $vgpr0
	s_and_saveexec_b64 s[6:7], s[12:13]
	s_cbranch_execz .LBB3531_131
; %bb.130:
	v_lshl_add_u32 v0, v27, 2, v26
	ds_read_b32 v0, v0
.LBB3531_131:
	s_or_b64 exec, exec, s[6:7]
	v_cmp_ge_u32_e64 s[14:15], v29, v24
	v_cmp_lt_u32_e64 s[6:7], v29, v24
                                        ; implicit-def: $vgpr1
	s_and_saveexec_b64 s[16:17], s[6:7]
	s_cbranch_execz .LBB3531_133
; %bb.132:
	v_lshl_add_u32 v1, v29, 2, v13
	ds_read_b32 v1, v1
.LBB3531_133:
	s_or_b64 exec, exec, s[16:17]
	s_waitcnt lgkmcnt(0)
	v_cmp_ngt_f32_e64 s[6:7], v0, v1
	s_and_b64 s[6:7], s[12:13], s[6:7]
	s_or_b64 s[6:7], s[14:15], s[6:7]
	v_cndmask_b32_e64 v2, v29, v28, s[6:7]
	v_cndmask_b32_e64 v3, v24, v25, s[6:7]
	v_add_u32_e32 v2, 1, v2
	v_add_u32_e32 v3, -1, v3
	v_min_u32_e32 v3, v2, v3
	v_lshl_add_u32 v3, v3, 2, v13
	ds_read_b32 v3, v3
	v_cndmask_b32_e64 v4, v2, v29, s[6:7]
	v_cndmask_b32_e64 v2, v28, v2, s[6:7]
	v_cmp_lt_u32_e64 s[14:15], v2, v25
	v_cmp_ge_u32_e64 s[12:13], v4, v24
	s_waitcnt lgkmcnt(0)
	v_cndmask_b32_e64 v5, v3, v1, s[6:7]
	v_cndmask_b32_e64 v3, v0, v3, s[6:7]
	v_cmp_ngt_f32_e64 s[16:17], v3, v5
	s_and_b64 s[14:15], s[14:15], s[16:17]
	s_or_b64 s[12:13], s[12:13], s[14:15]
	v_cndmask_b32_e64 v6, v4, v2, s[12:13]
	v_cndmask_b32_e64 v7, v24, v25, s[12:13]
	v_add_u32_e32 v6, 1, v6
	v_add_u32_e32 v7, -1, v7
	v_min_u32_e32 v7, v6, v7
	v_lshl_add_u32 v7, v7, 2, v13
	ds_read_b32 v7, v7
	v_cndmask_b32_e64 v2, v2, v6, s[12:13]
	v_cndmask_b32_e64 v4, v6, v4, s[12:13]
	v_cmp_lt_u32_e64 s[16:17], v2, v25
	v_cmp_ge_u32_e64 s[14:15], v4, v24
	s_waitcnt lgkmcnt(0)
	v_cndmask_b32_e64 v26, v7, v5, s[12:13]
	v_cndmask_b32_e64 v7, v3, v7, s[12:13]
	v_cmp_ngt_f32_e64 s[18:19], v7, v26
	s_and_b64 s[16:17], s[16:17], s[18:19]
	s_or_b64 s[14:15], s[14:15], s[16:17]
	v_cndmask_b32_e64 v6, v4, v2, s[14:15]
	v_cndmask_b32_e64 v27, v24, v25, s[14:15]
	v_add_u32_e32 v6, 1, v6
	v_add_u32_e32 v27, -1, v27
	v_min_u32_e32 v27, v6, v27
	v_lshl_add_u32 v27, v27, 2, v13
	ds_read_b32 v27, v27
	v_cndmask_b32_e64 v2, v2, v6, s[14:15]
	v_cndmask_b32_e64 v4, v6, v4, s[14:15]
	v_cmp_lt_u32_e64 s[18:19], v2, v25
	v_cmp_ge_u32_e64 s[16:17], v4, v24
	s_waitcnt lgkmcnt(0)
	v_cndmask_b32_e64 v28, v27, v26, s[14:15]
	v_cndmask_b32_e64 v27, v7, v27, s[14:15]
	v_cmp_ngt_f32_e64 s[20:21], v27, v28
	s_and_b64 s[18:19], s[18:19], s[20:21]
	s_or_b64 s[16:17], s[16:17], s[18:19]
	v_cndmask_b32_e64 v6, v4, v2, s[16:17]
	v_cndmask_b32_e64 v29, v24, v25, s[16:17]
	v_add_u32_e32 v6, 1, v6
	v_add_u32_e32 v29, -1, v29
	v_min_u32_e32 v29, v6, v29
	v_lshl_add_u32 v29, v29, 2, v13
	ds_read_b32 v29, v29
	v_cndmask_b32_e64 v2, v2, v6, s[16:17]
	v_cndmask_b32_e64 v4, v6, v4, s[16:17]
	v_cmp_lt_u32_e64 s[20:21], v2, v25
	v_cmp_ge_u32_e64 s[18:19], v4, v24
	s_waitcnt lgkmcnt(0)
	v_cndmask_b32_e64 v30, v29, v28, s[16:17]
	v_cndmask_b32_e64 v29, v27, v29, s[16:17]
	v_cmp_ngt_f32_e64 s[22:23], v29, v30
	s_and_b64 s[20:21], s[20:21], s[22:23]
	s_or_b64 s[18:19], s[18:19], s[20:21]
	v_cndmask_b32_e64 v6, v4, v2, s[18:19]
	v_cndmask_b32_e64 v31, v24, v25, s[18:19]
	v_add_u32_e32 v6, 1, v6
	v_add_u32_e32 v31, -1, v31
	v_min_u32_e32 v31, v6, v31
	v_lshl_add_u32 v31, v31, 2, v13
	ds_read_b32 v31, v31
	v_cndmask_b32_e64 v4, v6, v4, s[18:19]
	v_cndmask_b32_e64 v6, v2, v6, s[18:19]
	v_cmp_lt_u32_e64 s[22:23], v6, v25
	v_cmp_ge_u32_e64 s[20:21], v4, v24
	s_waitcnt lgkmcnt(0)
	v_cndmask_b32_e64 v32, v31, v30, s[18:19]
	v_cndmask_b32_e64 v31, v29, v31, s[18:19]
	v_cmp_ngt_f32_e64 s[24:25], v31, v32
	s_and_b64 s[22:23], s[22:23], s[24:25]
	s_or_b64 s[20:21], s[20:21], s[22:23]
	v_cndmask_b32_e64 v2, v4, v6, s[20:21]
	v_cndmask_b32_e64 v33, v24, v25, s[20:21]
	v_add_u32_e32 v34, 1, v2
	v_add_u32_e32 v2, -1, v33
	v_min_u32_e32 v2, v34, v2
	v_lshl_add_u32 v2, v2, 2, v13
	ds_read_b32 v33, v2
	v_cndmask_b32_e64 v2, v26, v7, s[14:15]
	v_cndmask_b32_e64 v0, v1, v0, s[6:7]
	;; [unrolled: 1-line block ×4, first 2 shown]
	s_waitcnt lgkmcnt(0)
	v_cndmask_b32_e64 v7, v33, v32, s[20:21]
	v_cndmask_b32_e64 v26, v31, v33, s[20:21]
	;; [unrolled: 1-line block ×4, first 2 shown]
	v_cmp_lt_u32_e64 s[12:13], v34, v25
	v_cmp_ngt_f32_e64 s[14:15], v26, v7
	v_cmp_ge_u32_e64 s[6:7], v33, v24
	s_and_b64 s[12:13], s[12:13], s[14:15]
	s_or_b64 s[6:7], s[6:7], s[12:13]
	v_cndmask_b32_e64 v3, v33, v34, s[6:7]
	v_cndmask_b32_e64 v4, v24, v25, s[6:7]
	v_add_u32_e32 v35, 1, v3
	v_add_u32_e32 v3, -1, v4
	v_min_u32_e32 v3, v35, v3
	v_lshl_add_u32 v3, v3, 2, v13
	ds_read_b32 v36, v3
	v_cndmask_b32_e64 v3, v28, v27, s[16:17]
	v_cndmask_b32_e64 v6, v7, v26, s[6:7]
	;; [unrolled: 1-line block ×4, first 2 shown]
	s_waitcnt lgkmcnt(0)
	v_cndmask_b32_e64 v26, v26, v36, s[6:7]
	v_cndmask_b32_e64 v7, v36, v7, s[6:7]
	v_cmp_lt_u32_e64 s[6:7], v28, v25
	v_cmp_ngt_f32_e64 s[12:13], v26, v7
	s_and_b64 s[6:7], s[6:7], s[12:13]
	v_cndmask_b32_e64 v7, v7, v26, s[6:7]
	v_cmp_lt_u32_e64 s[6:7], v27, v24
	v_cndmask_b32_e64 v4, v30, v29, s[18:19]
	v_cndmask_b32_e64 v7, v26, v7, s[6:7]
.LBB3531_134:
	s_or_b64 exec, exec, s[28:29]
	v_and_b32_e32 v25, 0x380, v23
	; wave barrier
	ds_write_b128 v22, v[0:3]
	ds_write_b128 v22, v[4:7] offset:16
	v_or_b32_e32 v22, 64, v25
	v_min_u32_e32 v24, v14, v22
	v_add_u32_e32 v22, 64, v24
	v_min_u32_e32 v22, v14, v22
	v_and_b32_e32 v23, 0x78, v23
	v_min_u32_e32 v26, v14, v23
	v_sub_u32_e32 v27, v24, v25
	v_sub_u32_e32 v23, v22, v24
	v_sub_u32_e64 v23, v26, v23 clamp
	v_min_u32_e32 v27, v26, v27
	v_lshl_add_u32 v14, v25, 2, v13
	v_cmp_lt_u32_e64 s[6:7], v23, v27
	; wave barrier
	s_and_saveexec_b64 s[12:13], s[6:7]
	s_cbranch_execz .LBB3531_138
; %bb.135:
	v_lshlrev_b32_e32 v28, 2, v24
	v_lshlrev_b32_e32 v29, 2, v26
	v_add3_u32 v28, v13, v28, v29
	s_mov_b64 s[14:15], 0
.LBB3531_136:                           ; =>This Inner Loop Header: Depth=1
	v_add_u32_e32 v29, v27, v23
	v_lshrrev_b32_e32 v29, 1, v29
	v_not_b32_e32 v30, v29
	v_lshl_add_u32 v31, v29, 2, v14
	v_lshl_add_u32 v30, v30, 2, v28
	ds_read_b32 v31, v31
	ds_read_b32 v30, v30
	v_add_u32_e32 v32, 1, v29
	s_waitcnt lgkmcnt(0)
	v_cmp_gt_f32_e64 s[6:7], v31, v30
	v_cndmask_b32_e64 v27, v27, v29, s[6:7]
	v_cndmask_b32_e64 v23, v32, v23, s[6:7]
	v_cmp_ge_u32_e64 s[6:7], v23, v27
	s_or_b64 s[14:15], s[6:7], s[14:15]
	s_andn2_b64 exec, exec, s[14:15]
	s_cbranch_execnz .LBB3531_136
; %bb.137:
	s_or_b64 exec, exec, s[14:15]
.LBB3531_138:
	s_or_b64 exec, exec, s[12:13]
	v_add_u32_e32 v26, v24, v26
	v_add_u32_e32 v25, v23, v25
	v_sub_u32_e32 v26, v26, v23
	v_cmp_le_u32_e64 s[6:7], v25, v24
	v_cmp_le_u32_e64 s[12:13], v26, v22
	s_or_b64 s[6:7], s[6:7], s[12:13]
	s_and_saveexec_b64 s[28:29], s[6:7]
	s_cbranch_execz .LBB3531_144
; %bb.139:
	v_cmp_lt_u32_e64 s[12:13], v25, v24
                                        ; implicit-def: $vgpr0
	s_and_saveexec_b64 s[6:7], s[12:13]
	s_cbranch_execz .LBB3531_141
; %bb.140:
	v_lshl_add_u32 v0, v23, 2, v14
	ds_read_b32 v0, v0
.LBB3531_141:
	s_or_b64 exec, exec, s[6:7]
	v_cmp_ge_u32_e64 s[14:15], v26, v22
	v_cmp_lt_u32_e64 s[6:7], v26, v22
                                        ; implicit-def: $vgpr1
	s_and_saveexec_b64 s[16:17], s[6:7]
	s_cbranch_execz .LBB3531_143
; %bb.142:
	v_lshl_add_u32 v1, v26, 2, v13
	ds_read_b32 v1, v1
.LBB3531_143:
	s_or_b64 exec, exec, s[16:17]
	s_waitcnt lgkmcnt(0)
	v_cmp_ngt_f32_e64 s[6:7], v0, v1
	s_and_b64 s[6:7], s[12:13], s[6:7]
	s_or_b64 s[6:7], s[14:15], s[6:7]
	v_cndmask_b32_e64 v2, v26, v25, s[6:7]
	v_cndmask_b32_e64 v3, v22, v24, s[6:7]
	v_add_u32_e32 v2, 1, v2
	v_add_u32_e32 v3, -1, v3
	v_min_u32_e32 v3, v2, v3
	v_lshl_add_u32 v3, v3, 2, v13
	ds_read_b32 v3, v3
	v_cndmask_b32_e64 v4, v2, v26, s[6:7]
	v_cndmask_b32_e64 v2, v25, v2, s[6:7]
	v_cmp_lt_u32_e64 s[14:15], v2, v24
	v_cmp_ge_u32_e64 s[12:13], v4, v22
	s_waitcnt lgkmcnt(0)
	v_cndmask_b32_e64 v5, v3, v1, s[6:7]
	v_cndmask_b32_e64 v3, v0, v3, s[6:7]
	v_cmp_ngt_f32_e64 s[16:17], v3, v5
	s_and_b64 s[14:15], s[14:15], s[16:17]
	s_or_b64 s[12:13], s[12:13], s[14:15]
	v_cndmask_b32_e64 v6, v4, v2, s[12:13]
	v_cndmask_b32_e64 v7, v22, v24, s[12:13]
	v_add_u32_e32 v6, 1, v6
	v_add_u32_e32 v7, -1, v7
	v_min_u32_e32 v7, v6, v7
	v_lshl_add_u32 v7, v7, 2, v13
	ds_read_b32 v7, v7
	v_cndmask_b32_e64 v2, v2, v6, s[12:13]
	v_cndmask_b32_e64 v4, v6, v4, s[12:13]
	v_cmp_lt_u32_e64 s[16:17], v2, v24
	v_cmp_ge_u32_e64 s[14:15], v4, v22
	s_waitcnt lgkmcnt(0)
	v_cndmask_b32_e64 v14, v7, v5, s[12:13]
	v_cndmask_b32_e64 v7, v3, v7, s[12:13]
	v_cmp_ngt_f32_e64 s[18:19], v7, v14
	s_and_b64 s[16:17], s[16:17], s[18:19]
	s_or_b64 s[14:15], s[14:15], s[16:17]
	v_cndmask_b32_e64 v6, v4, v2, s[14:15]
	v_cndmask_b32_e64 v23, v22, v24, s[14:15]
	v_add_u32_e32 v6, 1, v6
	v_add_u32_e32 v23, -1, v23
	v_min_u32_e32 v23, v6, v23
	v_lshl_add_u32 v23, v23, 2, v13
	ds_read_b32 v23, v23
	v_cndmask_b32_e64 v2, v2, v6, s[14:15]
	v_cndmask_b32_e64 v4, v6, v4, s[14:15]
	v_cmp_lt_u32_e64 s[18:19], v2, v24
	v_cmp_ge_u32_e64 s[16:17], v4, v22
	s_waitcnt lgkmcnt(0)
	v_cndmask_b32_e64 v25, v23, v14, s[14:15]
	v_cndmask_b32_e64 v23, v7, v23, s[14:15]
	v_cmp_ngt_f32_e64 s[20:21], v23, v25
	s_and_b64 s[18:19], s[18:19], s[20:21]
	s_or_b64 s[16:17], s[16:17], s[18:19]
	v_cndmask_b32_e64 v6, v4, v2, s[16:17]
	v_cndmask_b32_e64 v26, v22, v24, s[16:17]
	v_add_u32_e32 v6, 1, v6
	v_add_u32_e32 v26, -1, v26
	v_min_u32_e32 v26, v6, v26
	v_lshl_add_u32 v26, v26, 2, v13
	ds_read_b32 v26, v26
	v_cndmask_b32_e64 v2, v2, v6, s[16:17]
	v_cndmask_b32_e64 v4, v6, v4, s[16:17]
	v_cmp_lt_u32_e64 s[20:21], v2, v24
	v_cmp_ge_u32_e64 s[18:19], v4, v22
	s_waitcnt lgkmcnt(0)
	v_cndmask_b32_e64 v27, v26, v25, s[16:17]
	v_cndmask_b32_e64 v26, v23, v26, s[16:17]
	v_cmp_ngt_f32_e64 s[22:23], v26, v27
	s_and_b64 s[20:21], s[20:21], s[22:23]
	s_or_b64 s[18:19], s[18:19], s[20:21]
	v_cndmask_b32_e64 v6, v4, v2, s[18:19]
	v_cndmask_b32_e64 v28, v22, v24, s[18:19]
	v_add_u32_e32 v6, 1, v6
	v_add_u32_e32 v28, -1, v28
	v_min_u32_e32 v28, v6, v28
	v_lshl_add_u32 v28, v28, 2, v13
	ds_read_b32 v28, v28
	v_cndmask_b32_e64 v4, v6, v4, s[18:19]
	v_cndmask_b32_e64 v6, v2, v6, s[18:19]
	v_cmp_lt_u32_e64 s[22:23], v6, v24
	v_cmp_ge_u32_e64 s[20:21], v4, v22
	s_waitcnt lgkmcnt(0)
	v_cndmask_b32_e64 v29, v28, v27, s[18:19]
	v_cndmask_b32_e64 v28, v26, v28, s[18:19]
	v_cmp_ngt_f32_e64 s[24:25], v28, v29
	s_and_b64 s[22:23], s[22:23], s[24:25]
	s_or_b64 s[20:21], s[20:21], s[22:23]
	v_cndmask_b32_e64 v2, v4, v6, s[20:21]
	v_cndmask_b32_e64 v30, v22, v24, s[20:21]
	v_add_u32_e32 v31, 1, v2
	v_add_u32_e32 v2, -1, v30
	v_min_u32_e32 v2, v31, v2
	v_lshl_add_u32 v2, v2, 2, v13
	ds_read_b32 v30, v2
	v_cndmask_b32_e64 v2, v14, v7, s[14:15]
	v_cndmask_b32_e64 v0, v1, v0, s[6:7]
	;; [unrolled: 1-line block ×4, first 2 shown]
	s_waitcnt lgkmcnt(0)
	v_cndmask_b32_e64 v7, v30, v29, s[20:21]
	v_cndmask_b32_e64 v14, v28, v30, s[20:21]
	;; [unrolled: 1-line block ×4, first 2 shown]
	v_cmp_lt_u32_e64 s[12:13], v31, v24
	v_cmp_ngt_f32_e64 s[14:15], v14, v7
	v_cmp_ge_u32_e64 s[6:7], v30, v22
	s_and_b64 s[12:13], s[12:13], s[14:15]
	s_or_b64 s[6:7], s[6:7], s[12:13]
	v_cndmask_b32_e64 v3, v30, v31, s[6:7]
	v_cndmask_b32_e64 v4, v22, v24, s[6:7]
	v_add_u32_e32 v32, 1, v3
	v_add_u32_e32 v3, -1, v4
	v_min_u32_e32 v3, v32, v3
	v_lshl_add_u32 v3, v3, 2, v13
	ds_read_b32 v13, v3
	v_cndmask_b32_e64 v6, v7, v14, s[6:7]
	v_cndmask_b32_e64 v3, v25, v23, s[16:17]
	;; [unrolled: 1-line block ×4, first 2 shown]
	s_waitcnt lgkmcnt(0)
	v_cndmask_b32_e64 v14, v14, v13, s[6:7]
	v_cndmask_b32_e64 v7, v13, v7, s[6:7]
	;; [unrolled: 1-line block ×3, first 2 shown]
	v_cmp_lt_u32_e64 s[6:7], v13, v24
	v_cmp_ngt_f32_e64 s[12:13], v14, v7
	s_and_b64 s[6:7], s[6:7], s[12:13]
	v_cndmask_b32_e64 v7, v7, v14, s[6:7]
	v_cmp_lt_u32_e64 s[6:7], v23, v22
	v_cndmask_b32_e64 v7, v14, v7, s[6:7]
.LBB3531_144:
	s_or_b64 exec, exec, s[28:29]
	s_cmpk_lt_u32 s39, 0x81
	v_lshlrev_b32_e32 v13, 5, v8
	; wave barrier
	s_waitcnt lgkmcnt(0)
	s_barrier
	s_cbranch_scc1 .LBB3531_157
; %bb.145:
	s_movk_i32 s30, 0x80
	s_branch .LBB3531_148
.LBB3531_146:                           ;   in Loop: Header=BB3531_148 Depth=1
	s_or_b64 exec, exec, s[16:17]
	s_waitcnt lgkmcnt(0)
	v_cmp_ngt_f32_e64 s[6:7], v0, v1
	s_and_b64 s[6:7], s[12:13], s[6:7]
	s_or_b64 s[6:7], s[14:15], s[6:7]
	v_cndmask_b32_e64 v2, v26, v25, s[6:7]
	v_cndmask_b32_e64 v3, v14, v22, s[6:7]
	v_add_u32_e32 v2, 1, v2
	v_add_u32_e32 v3, -1, v3
	v_min_u32_e32 v3, v2, v3
	v_lshlrev_b32_e32 v3, 2, v3
	ds_read_b32 v3, v3
	v_cndmask_b32_e64 v4, v2, v26, s[6:7]
	v_cndmask_b32_e64 v2, v25, v2, s[6:7]
	v_cmp_lt_u32_e64 s[14:15], v2, v22
	v_cmp_ge_u32_e64 s[12:13], v4, v14
	s_waitcnt lgkmcnt(0)
	v_cndmask_b32_e64 v5, v3, v1, s[6:7]
	v_cndmask_b32_e64 v3, v0, v3, s[6:7]
	v_cmp_ngt_f32_e64 s[16:17], v3, v5
	s_and_b64 s[14:15], s[14:15], s[16:17]
	s_or_b64 s[12:13], s[12:13], s[14:15]
	v_cndmask_b32_e64 v6, v4, v2, s[12:13]
	v_cndmask_b32_e64 v7, v14, v22, s[12:13]
	v_add_u32_e32 v6, 1, v6
	v_add_u32_e32 v7, -1, v7
	v_min_u32_e32 v7, v6, v7
	v_lshlrev_b32_e32 v7, 2, v7
	ds_read_b32 v7, v7
	v_cndmask_b32_e64 v2, v2, v6, s[12:13]
	v_cndmask_b32_e64 v4, v6, v4, s[12:13]
	v_cmp_lt_u32_e64 s[16:17], v2, v22
	v_cmp_ge_u32_e64 s[14:15], v4, v14
	s_waitcnt lgkmcnt(0)
	v_cndmask_b32_e64 v23, v7, v5, s[12:13]
	v_cndmask_b32_e64 v7, v3, v7, s[12:13]
	;; [unrolled: 17-line block ×5, first 2 shown]
	v_cmp_ngt_f32_e64 s[24:25], v28, v29
	s_and_b64 s[22:23], s[22:23], s[24:25]
	s_or_b64 s[20:21], s[20:21], s[22:23]
	v_cndmask_b32_e64 v2, v4, v6, s[20:21]
	v_cndmask_b32_e64 v30, v14, v22, s[20:21]
	v_add_u32_e32 v31, 1, v2
	v_add_u32_e32 v2, -1, v30
	v_min_u32_e32 v2, v31, v2
	v_lshlrev_b32_e32 v2, 2, v2
	ds_read_b32 v30, v2
	v_cndmask_b32_e64 v2, v23, v7, s[14:15]
	v_cndmask_b32_e64 v0, v1, v0, s[6:7]
	;; [unrolled: 1-line block ×4, first 2 shown]
	s_waitcnt lgkmcnt(0)
	v_cndmask_b32_e64 v7, v30, v29, s[20:21]
	v_cndmask_b32_e64 v23, v28, v30, s[20:21]
	;; [unrolled: 1-line block ×4, first 2 shown]
	v_cmp_lt_u32_e64 s[12:13], v31, v22
	v_cmp_ngt_f32_e64 s[14:15], v23, v7
	v_cmp_ge_u32_e64 s[6:7], v30, v14
	s_and_b64 s[12:13], s[12:13], s[14:15]
	s_or_b64 s[6:7], s[6:7], s[12:13]
	v_cndmask_b32_e64 v3, v30, v31, s[6:7]
	v_cndmask_b32_e64 v4, v14, v22, s[6:7]
	v_add_u32_e32 v32, 1, v3
	v_add_u32_e32 v3, -1, v4
	v_min_u32_e32 v3, v32, v3
	v_lshlrev_b32_e32 v3, 2, v3
	ds_read_b32 v33, v3
	v_cndmask_b32_e64 v3, v25, v24, s[16:17]
	v_cndmask_b32_e64 v6, v7, v23, s[6:7]
	;; [unrolled: 1-line block ×4, first 2 shown]
	s_waitcnt lgkmcnt(0)
	v_cndmask_b32_e64 v23, v23, v33, s[6:7]
	v_cndmask_b32_e64 v7, v33, v7, s[6:7]
	v_cmp_lt_u32_e64 s[6:7], v25, v22
	v_cmp_ngt_f32_e64 s[12:13], v23, v7
	s_and_b64 s[6:7], s[6:7], s[12:13]
	v_cndmask_b32_e64 v7, v7, v23, s[6:7]
	v_cmp_lt_u32_e64 s[6:7], v24, v14
	v_cndmask_b32_e64 v4, v27, v26, s[18:19]
	v_cndmask_b32_e64 v7, v23, v7, s[6:7]
.LBB3531_147:                           ;   in Loop: Header=BB3531_148 Depth=1
	s_or_b64 exec, exec, s[28:29]
	s_cmp_lt_u32 s30, s39
	s_barrier
	s_cbranch_scc0 .LBB3531_157
.LBB3531_148:                           ; =>This Loop Header: Depth=1
                                        ;     Child Loop BB3531_150 Depth 2
	s_mov_b32 s6, s30
	s_lshl_b32 s30, s30, 1
	s_sub_i32 s12, 0, s30
	v_and_b32_e32 v25, s12, v12
	v_add_u32_e32 v14, s6, v25
	v_min_u32_e32 v22, s39, v14
	s_add_i32 s7, s30, -1
	v_add_u32_e32 v14, s6, v22
	v_min_u32_e32 v14, s39, v14
	v_and_b32_e32 v23, s7, v12
	v_min_u32_e32 v26, s39, v23
	v_sub_u32_e32 v27, v22, v25
	v_sub_u32_e32 v24, v14, v22
	v_sub_u32_e64 v24, v26, v24 clamp
	v_min_u32_e32 v27, v26, v27
	v_lshlrev_b32_e32 v23, 2, v25
	v_cmp_lt_u32_e64 s[6:7], v24, v27
	ds_write_b128 v13, v[0:3]
	ds_write_b128 v13, v[4:7] offset:16
	s_waitcnt lgkmcnt(0)
	s_barrier
	s_and_saveexec_b64 s[12:13], s[6:7]
	s_cbranch_execz .LBB3531_152
; %bb.149:                              ;   in Loop: Header=BB3531_148 Depth=1
	v_lshlrev_b32_e32 v28, 2, v26
	v_lshl_add_u32 v28, v22, 2, v28
	s_mov_b64 s[14:15], 0
.LBB3531_150:                           ;   Parent Loop BB3531_148 Depth=1
                                        ; =>  This Inner Loop Header: Depth=2
	v_add_u32_e32 v29, v27, v24
	v_lshrrev_b32_e32 v29, 1, v29
	v_not_b32_e32 v30, v29
	v_lshl_add_u32 v31, v29, 2, v23
	v_lshl_add_u32 v30, v30, 2, v28
	ds_read_b32 v31, v31
	ds_read_b32 v30, v30
	v_add_u32_e32 v32, 1, v29
	s_waitcnt lgkmcnt(0)
	v_cmp_gt_f32_e64 s[6:7], v31, v30
	v_cndmask_b32_e64 v27, v27, v29, s[6:7]
	v_cndmask_b32_e64 v24, v32, v24, s[6:7]
	v_cmp_ge_u32_e64 s[6:7], v24, v27
	s_or_b64 s[14:15], s[6:7], s[14:15]
	s_andn2_b64 exec, exec, s[14:15]
	s_cbranch_execnz .LBB3531_150
; %bb.151:                              ;   in Loop: Header=BB3531_148 Depth=1
	s_or_b64 exec, exec, s[14:15]
.LBB3531_152:                           ;   in Loop: Header=BB3531_148 Depth=1
	s_or_b64 exec, exec, s[12:13]
	v_sub_u32_e32 v26, v26, v24
	v_add_u32_e32 v25, v24, v25
	v_add_u32_e32 v26, v26, v22
	v_cmp_le_u32_e64 s[6:7], v25, v22
	v_cmp_le_u32_e64 s[12:13], v26, v14
	s_or_b64 s[6:7], s[6:7], s[12:13]
	s_and_saveexec_b64 s[28:29], s[6:7]
	s_cbranch_execz .LBB3531_147
; %bb.153:                              ;   in Loop: Header=BB3531_148 Depth=1
	v_cmp_lt_u32_e64 s[12:13], v25, v22
                                        ; implicit-def: $vgpr0
	s_and_saveexec_b64 s[6:7], s[12:13]
	s_cbranch_execz .LBB3531_155
; %bb.154:                              ;   in Loop: Header=BB3531_148 Depth=1
	v_lshl_add_u32 v0, v24, 2, v23
	ds_read_b32 v0, v0
.LBB3531_155:                           ;   in Loop: Header=BB3531_148 Depth=1
	s_or_b64 exec, exec, s[6:7]
	v_cmp_ge_u32_e64 s[14:15], v26, v14
	v_cmp_lt_u32_e64 s[6:7], v26, v14
                                        ; implicit-def: $vgpr1
	s_and_saveexec_b64 s[16:17], s[6:7]
	s_cbranch_execz .LBB3531_146
; %bb.156:                              ;   in Loop: Header=BB3531_148 Depth=1
	v_lshlrev_b32_e32 v1, 2, v26
	ds_read_b32 v1, v1
	s_branch .LBB3531_146
.LBB3531_157:
	v_lshl_add_u32 v11, v11, 2, v13
	s_barrier
	ds_write2_b32 v11, v0, v1 offset1:1
	ds_write2_b32 v11, v2, v3 offset0:2 offset1:3
	ds_write2_b32 v11, v4, v5 offset0:4 offset1:5
	;; [unrolled: 1-line block ×3, first 2 shown]
	s_waitcnt lgkmcnt(0)
	s_barrier
	ds_read_b32 v11, v9 offset:1024
	ds_read_b32 v7, v16 offset:2048
	;; [unrolled: 1-line block ×7, first 2 shown]
	v_mov_b32_e32 v1, s38
	v_add_co_u32_e64 v0, s[6:7], s33, v10
	v_mov_b32_e32 v9, 0
	v_addc_co_u32_e64 v1, s[6:7], 0, v1, s[6:7]
	s_and_saveexec_b64 s[6:7], vcc
	s_cbranch_execz .LBB3531_169
; %bb.158:
	ds_read_b32 v10, v15
	s_waitcnt lgkmcnt(0)
	flat_store_dword v[0:1], v10
	s_or_b64 exec, exec, s[6:7]
	s_and_saveexec_b64 s[6:7], s[0:1]
	s_cbranch_execnz .LBB3531_170
.LBB3531_159:
	s_or_b64 exec, exec, s[6:7]
	s_and_saveexec_b64 s[0:1], s[2:3]
	s_cbranch_execz .LBB3531_171
.LBB3531_160:
	s_waitcnt lgkmcnt(0)
	flat_store_dword v[0:1], v7 offset:2048
	s_or_b64 exec, exec, s[0:1]
	s_and_saveexec_b64 s[0:1], s[4:5]
	s_cbranch_execnz .LBB3531_172
.LBB3531_161:
	s_or_b64 exec, exec, s[0:1]
	s_and_saveexec_b64 s[0:1], s[26:27]
	s_cbranch_execz .LBB3531_173
.LBB3531_162:
	s_waitcnt lgkmcnt(0)
	v_add_co_u32_e32 v6, vcc, 0x1000, v0
	v_addc_co_u32_e32 v7, vcc, 0, v1, vcc
	flat_store_dword v[6:7], v5
	s_or_b64 exec, exec, s[0:1]
	s_and_saveexec_b64 s[0:1], s[8:9]
	s_cbranch_execnz .LBB3531_174
.LBB3531_163:
	s_or_b64 exec, exec, s[0:1]
	s_and_saveexec_b64 s[0:1], s[10:11]
	s_cbranch_execz .LBB3531_165
.LBB3531_164:
	v_add_co_u32_e32 v0, vcc, 0x1000, v0
	v_addc_co_u32_e32 v1, vcc, 0, v1, vcc
	s_waitcnt lgkmcnt(0)
	flat_store_dword v[0:1], v3 offset:2048
.LBB3531_165:
	s_or_b64 exec, exec, s[0:1]
.LBB3531_166:
	s_and_saveexec_b64 s[0:1], s[36:37]
	s_cbranch_execz .LBB3531_168
; %bb.167:
	v_lshlrev_b64 v[0:1], 2, v[8:9]
	s_waitcnt lgkmcnt(0)
	v_mov_b32_e32 v3, s38
	v_add_co_u32_e32 v0, vcc, s33, v0
	v_addc_co_u32_e32 v1, vcc, v3, v1, vcc
	v_add_co_u32_e32 v0, vcc, 0x1000, v0
	v_addc_co_u32_e32 v1, vcc, 0, v1, vcc
	flat_store_dword v[0:1], v2 offset:3072
.LBB3531_168:
	s_endpgm
.LBB3531_169:
	s_or_b64 exec, exec, s[6:7]
	s_and_saveexec_b64 s[6:7], s[0:1]
	s_cbranch_execz .LBB3531_159
.LBB3531_170:
	s_waitcnt lgkmcnt(0)
	flat_store_dword v[0:1], v11 offset:1024
	s_or_b64 exec, exec, s[6:7]
	s_and_saveexec_b64 s[0:1], s[2:3]
	s_cbranch_execnz .LBB3531_160
.LBB3531_171:
	s_or_b64 exec, exec, s[0:1]
	s_and_saveexec_b64 s[0:1], s[4:5]
	s_cbranch_execz .LBB3531_161
.LBB3531_172:
	s_waitcnt lgkmcnt(0)
	flat_store_dword v[0:1], v6 offset:3072
	s_or_b64 exec, exec, s[0:1]
	s_and_saveexec_b64 s[0:1], s[26:27]
	s_cbranch_execnz .LBB3531_162
.LBB3531_173:
	s_or_b64 exec, exec, s[0:1]
	s_and_saveexec_b64 s[0:1], s[8:9]
	s_cbranch_execz .LBB3531_163
.LBB3531_174:
	s_waitcnt lgkmcnt(0)
	v_add_co_u32_e32 v6, vcc, 0x1000, v0
	v_addc_co_u32_e32 v7, vcc, 0, v1, vcc
	flat_store_dword v[6:7], v4 offset:1024
	s_or_b64 exec, exec, s[0:1]
	s_and_saveexec_b64 s[0:1], s[10:11]
	s_cbranch_execnz .LBB3531_164
	s_branch .LBB3531_165
	.section	.rodata,"a",@progbits
	.p2align	6, 0x0
	.amdhsa_kernel _ZN7rocprim17ROCPRIM_400000_NS6detail17trampoline_kernelINS0_14default_configENS1_37merge_sort_block_sort_config_selectorIfNS0_10empty_typeEEEZNS1_21merge_sort_block_sortIS3_N6thrust23THRUST_200600_302600_NS6detail15normal_iteratorINS9_10device_ptrIfEEEESE_PS5_SF_14custom_greaterIfEEE10hipError_tT0_T1_T2_T3_mRjT4_P12ihipStream_tbNS1_7vsmem_tEEUlT_E_NS1_11comp_targetILNS1_3genE4ELNS1_11target_archE910ELNS1_3gpuE8ELNS1_3repE0EEENS1_30default_config_static_selectorELNS0_4arch9wavefront6targetE1EEEvSK_
		.amdhsa_group_segment_fixed_size 8448
		.amdhsa_private_segment_fixed_size 0
		.amdhsa_kernarg_size 320
		.amdhsa_user_sgpr_count 6
		.amdhsa_user_sgpr_private_segment_buffer 1
		.amdhsa_user_sgpr_dispatch_ptr 0
		.amdhsa_user_sgpr_queue_ptr 0
		.amdhsa_user_sgpr_kernarg_segment_ptr 1
		.amdhsa_user_sgpr_dispatch_id 0
		.amdhsa_user_sgpr_flat_scratch_init 0
		.amdhsa_user_sgpr_kernarg_preload_length 0
		.amdhsa_user_sgpr_kernarg_preload_offset 0
		.amdhsa_user_sgpr_private_segment_size 0
		.amdhsa_uses_dynamic_stack 0
		.amdhsa_system_sgpr_private_segment_wavefront_offset 0
		.amdhsa_system_sgpr_workgroup_id_x 1
		.amdhsa_system_sgpr_workgroup_id_y 1
		.amdhsa_system_sgpr_workgroup_id_z 1
		.amdhsa_system_sgpr_workgroup_info 0
		.amdhsa_system_vgpr_workitem_id 2
		.amdhsa_next_free_vgpr 41
		.amdhsa_next_free_sgpr 40
		.amdhsa_accum_offset 44
		.amdhsa_reserve_vcc 1
		.amdhsa_reserve_flat_scratch 0
		.amdhsa_float_round_mode_32 0
		.amdhsa_float_round_mode_16_64 0
		.amdhsa_float_denorm_mode_32 3
		.amdhsa_float_denorm_mode_16_64 3
		.amdhsa_dx10_clamp 1
		.amdhsa_ieee_mode 1
		.amdhsa_fp16_overflow 0
		.amdhsa_tg_split 0
		.amdhsa_exception_fp_ieee_invalid_op 0
		.amdhsa_exception_fp_denorm_src 0
		.amdhsa_exception_fp_ieee_div_zero 0
		.amdhsa_exception_fp_ieee_overflow 0
		.amdhsa_exception_fp_ieee_underflow 0
		.amdhsa_exception_fp_ieee_inexact 0
		.amdhsa_exception_int_div_zero 0
	.end_amdhsa_kernel
	.section	.text._ZN7rocprim17ROCPRIM_400000_NS6detail17trampoline_kernelINS0_14default_configENS1_37merge_sort_block_sort_config_selectorIfNS0_10empty_typeEEEZNS1_21merge_sort_block_sortIS3_N6thrust23THRUST_200600_302600_NS6detail15normal_iteratorINS9_10device_ptrIfEEEESE_PS5_SF_14custom_greaterIfEEE10hipError_tT0_T1_T2_T3_mRjT4_P12ihipStream_tbNS1_7vsmem_tEEUlT_E_NS1_11comp_targetILNS1_3genE4ELNS1_11target_archE910ELNS1_3gpuE8ELNS1_3repE0EEENS1_30default_config_static_selectorELNS0_4arch9wavefront6targetE1EEEvSK_,"axG",@progbits,_ZN7rocprim17ROCPRIM_400000_NS6detail17trampoline_kernelINS0_14default_configENS1_37merge_sort_block_sort_config_selectorIfNS0_10empty_typeEEEZNS1_21merge_sort_block_sortIS3_N6thrust23THRUST_200600_302600_NS6detail15normal_iteratorINS9_10device_ptrIfEEEESE_PS5_SF_14custom_greaterIfEEE10hipError_tT0_T1_T2_T3_mRjT4_P12ihipStream_tbNS1_7vsmem_tEEUlT_E_NS1_11comp_targetILNS1_3genE4ELNS1_11target_archE910ELNS1_3gpuE8ELNS1_3repE0EEENS1_30default_config_static_selectorELNS0_4arch9wavefront6targetE1EEEvSK_,comdat
.Lfunc_end3531:
	.size	_ZN7rocprim17ROCPRIM_400000_NS6detail17trampoline_kernelINS0_14default_configENS1_37merge_sort_block_sort_config_selectorIfNS0_10empty_typeEEEZNS1_21merge_sort_block_sortIS3_N6thrust23THRUST_200600_302600_NS6detail15normal_iteratorINS9_10device_ptrIfEEEESE_PS5_SF_14custom_greaterIfEEE10hipError_tT0_T1_T2_T3_mRjT4_P12ihipStream_tbNS1_7vsmem_tEEUlT_E_NS1_11comp_targetILNS1_3genE4ELNS1_11target_archE910ELNS1_3gpuE8ELNS1_3repE0EEENS1_30default_config_static_selectorELNS0_4arch9wavefront6targetE1EEEvSK_, .Lfunc_end3531-_ZN7rocprim17ROCPRIM_400000_NS6detail17trampoline_kernelINS0_14default_configENS1_37merge_sort_block_sort_config_selectorIfNS0_10empty_typeEEEZNS1_21merge_sort_block_sortIS3_N6thrust23THRUST_200600_302600_NS6detail15normal_iteratorINS9_10device_ptrIfEEEESE_PS5_SF_14custom_greaterIfEEE10hipError_tT0_T1_T2_T3_mRjT4_P12ihipStream_tbNS1_7vsmem_tEEUlT_E_NS1_11comp_targetILNS1_3genE4ELNS1_11target_archE910ELNS1_3gpuE8ELNS1_3repE0EEENS1_30default_config_static_selectorELNS0_4arch9wavefront6targetE1EEEvSK_
                                        ; -- End function
	.section	.AMDGPU.csdata,"",@progbits
; Kernel info:
; codeLenInByte = 18328
; NumSgprs: 44
; NumVgprs: 41
; NumAgprs: 0
; TotalNumVgprs: 41
; ScratchSize: 0
; MemoryBound: 0
; FloatMode: 240
; IeeeMode: 1
; LDSByteSize: 8448 bytes/workgroup (compile time only)
; SGPRBlocks: 5
; VGPRBlocks: 5
; NumSGPRsForWavesPerEU: 44
; NumVGPRsForWavesPerEU: 41
; AccumOffset: 44
; Occupancy: 7
; WaveLimiterHint : 1
; COMPUTE_PGM_RSRC2:SCRATCH_EN: 0
; COMPUTE_PGM_RSRC2:USER_SGPR: 6
; COMPUTE_PGM_RSRC2:TRAP_HANDLER: 0
; COMPUTE_PGM_RSRC2:TGID_X_EN: 1
; COMPUTE_PGM_RSRC2:TGID_Y_EN: 1
; COMPUTE_PGM_RSRC2:TGID_Z_EN: 1
; COMPUTE_PGM_RSRC2:TIDIG_COMP_CNT: 2
; COMPUTE_PGM_RSRC3_GFX90A:ACCUM_OFFSET: 10
; COMPUTE_PGM_RSRC3_GFX90A:TG_SPLIT: 0
	.section	.text._ZN7rocprim17ROCPRIM_400000_NS6detail17trampoline_kernelINS0_14default_configENS1_37merge_sort_block_sort_config_selectorIfNS0_10empty_typeEEEZNS1_21merge_sort_block_sortIS3_N6thrust23THRUST_200600_302600_NS6detail15normal_iteratorINS9_10device_ptrIfEEEESE_PS5_SF_14custom_greaterIfEEE10hipError_tT0_T1_T2_T3_mRjT4_P12ihipStream_tbNS1_7vsmem_tEEUlT_E_NS1_11comp_targetILNS1_3genE3ELNS1_11target_archE908ELNS1_3gpuE7ELNS1_3repE0EEENS1_30default_config_static_selectorELNS0_4arch9wavefront6targetE1EEEvSK_,"axG",@progbits,_ZN7rocprim17ROCPRIM_400000_NS6detail17trampoline_kernelINS0_14default_configENS1_37merge_sort_block_sort_config_selectorIfNS0_10empty_typeEEEZNS1_21merge_sort_block_sortIS3_N6thrust23THRUST_200600_302600_NS6detail15normal_iteratorINS9_10device_ptrIfEEEESE_PS5_SF_14custom_greaterIfEEE10hipError_tT0_T1_T2_T3_mRjT4_P12ihipStream_tbNS1_7vsmem_tEEUlT_E_NS1_11comp_targetILNS1_3genE3ELNS1_11target_archE908ELNS1_3gpuE7ELNS1_3repE0EEENS1_30default_config_static_selectorELNS0_4arch9wavefront6targetE1EEEvSK_,comdat
	.protected	_ZN7rocprim17ROCPRIM_400000_NS6detail17trampoline_kernelINS0_14default_configENS1_37merge_sort_block_sort_config_selectorIfNS0_10empty_typeEEEZNS1_21merge_sort_block_sortIS3_N6thrust23THRUST_200600_302600_NS6detail15normal_iteratorINS9_10device_ptrIfEEEESE_PS5_SF_14custom_greaterIfEEE10hipError_tT0_T1_T2_T3_mRjT4_P12ihipStream_tbNS1_7vsmem_tEEUlT_E_NS1_11comp_targetILNS1_3genE3ELNS1_11target_archE908ELNS1_3gpuE7ELNS1_3repE0EEENS1_30default_config_static_selectorELNS0_4arch9wavefront6targetE1EEEvSK_ ; -- Begin function _ZN7rocprim17ROCPRIM_400000_NS6detail17trampoline_kernelINS0_14default_configENS1_37merge_sort_block_sort_config_selectorIfNS0_10empty_typeEEEZNS1_21merge_sort_block_sortIS3_N6thrust23THRUST_200600_302600_NS6detail15normal_iteratorINS9_10device_ptrIfEEEESE_PS5_SF_14custom_greaterIfEEE10hipError_tT0_T1_T2_T3_mRjT4_P12ihipStream_tbNS1_7vsmem_tEEUlT_E_NS1_11comp_targetILNS1_3genE3ELNS1_11target_archE908ELNS1_3gpuE7ELNS1_3repE0EEENS1_30default_config_static_selectorELNS0_4arch9wavefront6targetE1EEEvSK_
	.globl	_ZN7rocprim17ROCPRIM_400000_NS6detail17trampoline_kernelINS0_14default_configENS1_37merge_sort_block_sort_config_selectorIfNS0_10empty_typeEEEZNS1_21merge_sort_block_sortIS3_N6thrust23THRUST_200600_302600_NS6detail15normal_iteratorINS9_10device_ptrIfEEEESE_PS5_SF_14custom_greaterIfEEE10hipError_tT0_T1_T2_T3_mRjT4_P12ihipStream_tbNS1_7vsmem_tEEUlT_E_NS1_11comp_targetILNS1_3genE3ELNS1_11target_archE908ELNS1_3gpuE7ELNS1_3repE0EEENS1_30default_config_static_selectorELNS0_4arch9wavefront6targetE1EEEvSK_
	.p2align	8
	.type	_ZN7rocprim17ROCPRIM_400000_NS6detail17trampoline_kernelINS0_14default_configENS1_37merge_sort_block_sort_config_selectorIfNS0_10empty_typeEEEZNS1_21merge_sort_block_sortIS3_N6thrust23THRUST_200600_302600_NS6detail15normal_iteratorINS9_10device_ptrIfEEEESE_PS5_SF_14custom_greaterIfEEE10hipError_tT0_T1_T2_T3_mRjT4_P12ihipStream_tbNS1_7vsmem_tEEUlT_E_NS1_11comp_targetILNS1_3genE3ELNS1_11target_archE908ELNS1_3gpuE7ELNS1_3repE0EEENS1_30default_config_static_selectorELNS0_4arch9wavefront6targetE1EEEvSK_,@function
_ZN7rocprim17ROCPRIM_400000_NS6detail17trampoline_kernelINS0_14default_configENS1_37merge_sort_block_sort_config_selectorIfNS0_10empty_typeEEEZNS1_21merge_sort_block_sortIS3_N6thrust23THRUST_200600_302600_NS6detail15normal_iteratorINS9_10device_ptrIfEEEESE_PS5_SF_14custom_greaterIfEEE10hipError_tT0_T1_T2_T3_mRjT4_P12ihipStream_tbNS1_7vsmem_tEEUlT_E_NS1_11comp_targetILNS1_3genE3ELNS1_11target_archE908ELNS1_3gpuE7ELNS1_3repE0EEENS1_30default_config_static_selectorELNS0_4arch9wavefront6targetE1EEEvSK_: ; @_ZN7rocprim17ROCPRIM_400000_NS6detail17trampoline_kernelINS0_14default_configENS1_37merge_sort_block_sort_config_selectorIfNS0_10empty_typeEEEZNS1_21merge_sort_block_sortIS3_N6thrust23THRUST_200600_302600_NS6detail15normal_iteratorINS9_10device_ptrIfEEEESE_PS5_SF_14custom_greaterIfEEE10hipError_tT0_T1_T2_T3_mRjT4_P12ihipStream_tbNS1_7vsmem_tEEUlT_E_NS1_11comp_targetILNS1_3genE3ELNS1_11target_archE908ELNS1_3gpuE7ELNS1_3repE0EEENS1_30default_config_static_selectorELNS0_4arch9wavefront6targetE1EEEvSK_
; %bb.0:
	.section	.rodata,"a",@progbits
	.p2align	6, 0x0
	.amdhsa_kernel _ZN7rocprim17ROCPRIM_400000_NS6detail17trampoline_kernelINS0_14default_configENS1_37merge_sort_block_sort_config_selectorIfNS0_10empty_typeEEEZNS1_21merge_sort_block_sortIS3_N6thrust23THRUST_200600_302600_NS6detail15normal_iteratorINS9_10device_ptrIfEEEESE_PS5_SF_14custom_greaterIfEEE10hipError_tT0_T1_T2_T3_mRjT4_P12ihipStream_tbNS1_7vsmem_tEEUlT_E_NS1_11comp_targetILNS1_3genE3ELNS1_11target_archE908ELNS1_3gpuE7ELNS1_3repE0EEENS1_30default_config_static_selectorELNS0_4arch9wavefront6targetE1EEEvSK_
		.amdhsa_group_segment_fixed_size 0
		.amdhsa_private_segment_fixed_size 0
		.amdhsa_kernarg_size 64
		.amdhsa_user_sgpr_count 6
		.amdhsa_user_sgpr_private_segment_buffer 1
		.amdhsa_user_sgpr_dispatch_ptr 0
		.amdhsa_user_sgpr_queue_ptr 0
		.amdhsa_user_sgpr_kernarg_segment_ptr 1
		.amdhsa_user_sgpr_dispatch_id 0
		.amdhsa_user_sgpr_flat_scratch_init 0
		.amdhsa_user_sgpr_kernarg_preload_length 0
		.amdhsa_user_sgpr_kernarg_preload_offset 0
		.amdhsa_user_sgpr_private_segment_size 0
		.amdhsa_uses_dynamic_stack 0
		.amdhsa_system_sgpr_private_segment_wavefront_offset 0
		.amdhsa_system_sgpr_workgroup_id_x 1
		.amdhsa_system_sgpr_workgroup_id_y 0
		.amdhsa_system_sgpr_workgroup_id_z 0
		.amdhsa_system_sgpr_workgroup_info 0
		.amdhsa_system_vgpr_workitem_id 0
		.amdhsa_next_free_vgpr 1
		.amdhsa_next_free_sgpr 0
		.amdhsa_accum_offset 4
		.amdhsa_reserve_vcc 0
		.amdhsa_reserve_flat_scratch 0
		.amdhsa_float_round_mode_32 0
		.amdhsa_float_round_mode_16_64 0
		.amdhsa_float_denorm_mode_32 3
		.amdhsa_float_denorm_mode_16_64 3
		.amdhsa_dx10_clamp 1
		.amdhsa_ieee_mode 1
		.amdhsa_fp16_overflow 0
		.amdhsa_tg_split 0
		.amdhsa_exception_fp_ieee_invalid_op 0
		.amdhsa_exception_fp_denorm_src 0
		.amdhsa_exception_fp_ieee_div_zero 0
		.amdhsa_exception_fp_ieee_overflow 0
		.amdhsa_exception_fp_ieee_underflow 0
		.amdhsa_exception_fp_ieee_inexact 0
		.amdhsa_exception_int_div_zero 0
	.end_amdhsa_kernel
	.section	.text._ZN7rocprim17ROCPRIM_400000_NS6detail17trampoline_kernelINS0_14default_configENS1_37merge_sort_block_sort_config_selectorIfNS0_10empty_typeEEEZNS1_21merge_sort_block_sortIS3_N6thrust23THRUST_200600_302600_NS6detail15normal_iteratorINS9_10device_ptrIfEEEESE_PS5_SF_14custom_greaterIfEEE10hipError_tT0_T1_T2_T3_mRjT4_P12ihipStream_tbNS1_7vsmem_tEEUlT_E_NS1_11comp_targetILNS1_3genE3ELNS1_11target_archE908ELNS1_3gpuE7ELNS1_3repE0EEENS1_30default_config_static_selectorELNS0_4arch9wavefront6targetE1EEEvSK_,"axG",@progbits,_ZN7rocprim17ROCPRIM_400000_NS6detail17trampoline_kernelINS0_14default_configENS1_37merge_sort_block_sort_config_selectorIfNS0_10empty_typeEEEZNS1_21merge_sort_block_sortIS3_N6thrust23THRUST_200600_302600_NS6detail15normal_iteratorINS9_10device_ptrIfEEEESE_PS5_SF_14custom_greaterIfEEE10hipError_tT0_T1_T2_T3_mRjT4_P12ihipStream_tbNS1_7vsmem_tEEUlT_E_NS1_11comp_targetILNS1_3genE3ELNS1_11target_archE908ELNS1_3gpuE7ELNS1_3repE0EEENS1_30default_config_static_selectorELNS0_4arch9wavefront6targetE1EEEvSK_,comdat
.Lfunc_end3532:
	.size	_ZN7rocprim17ROCPRIM_400000_NS6detail17trampoline_kernelINS0_14default_configENS1_37merge_sort_block_sort_config_selectorIfNS0_10empty_typeEEEZNS1_21merge_sort_block_sortIS3_N6thrust23THRUST_200600_302600_NS6detail15normal_iteratorINS9_10device_ptrIfEEEESE_PS5_SF_14custom_greaterIfEEE10hipError_tT0_T1_T2_T3_mRjT4_P12ihipStream_tbNS1_7vsmem_tEEUlT_E_NS1_11comp_targetILNS1_3genE3ELNS1_11target_archE908ELNS1_3gpuE7ELNS1_3repE0EEENS1_30default_config_static_selectorELNS0_4arch9wavefront6targetE1EEEvSK_, .Lfunc_end3532-_ZN7rocprim17ROCPRIM_400000_NS6detail17trampoline_kernelINS0_14default_configENS1_37merge_sort_block_sort_config_selectorIfNS0_10empty_typeEEEZNS1_21merge_sort_block_sortIS3_N6thrust23THRUST_200600_302600_NS6detail15normal_iteratorINS9_10device_ptrIfEEEESE_PS5_SF_14custom_greaterIfEEE10hipError_tT0_T1_T2_T3_mRjT4_P12ihipStream_tbNS1_7vsmem_tEEUlT_E_NS1_11comp_targetILNS1_3genE3ELNS1_11target_archE908ELNS1_3gpuE7ELNS1_3repE0EEENS1_30default_config_static_selectorELNS0_4arch9wavefront6targetE1EEEvSK_
                                        ; -- End function
	.section	.AMDGPU.csdata,"",@progbits
; Kernel info:
; codeLenInByte = 0
; NumSgprs: 4
; NumVgprs: 0
; NumAgprs: 0
; TotalNumVgprs: 0
; ScratchSize: 0
; MemoryBound: 0
; FloatMode: 240
; IeeeMode: 1
; LDSByteSize: 0 bytes/workgroup (compile time only)
; SGPRBlocks: 0
; VGPRBlocks: 0
; NumSGPRsForWavesPerEU: 4
; NumVGPRsForWavesPerEU: 1
; AccumOffset: 4
; Occupancy: 8
; WaveLimiterHint : 0
; COMPUTE_PGM_RSRC2:SCRATCH_EN: 0
; COMPUTE_PGM_RSRC2:USER_SGPR: 6
; COMPUTE_PGM_RSRC2:TRAP_HANDLER: 0
; COMPUTE_PGM_RSRC2:TGID_X_EN: 1
; COMPUTE_PGM_RSRC2:TGID_Y_EN: 0
; COMPUTE_PGM_RSRC2:TGID_Z_EN: 0
; COMPUTE_PGM_RSRC2:TIDIG_COMP_CNT: 0
; COMPUTE_PGM_RSRC3_GFX90A:ACCUM_OFFSET: 0
; COMPUTE_PGM_RSRC3_GFX90A:TG_SPLIT: 0
	.section	.text._ZN7rocprim17ROCPRIM_400000_NS6detail17trampoline_kernelINS0_14default_configENS1_37merge_sort_block_sort_config_selectorIfNS0_10empty_typeEEEZNS1_21merge_sort_block_sortIS3_N6thrust23THRUST_200600_302600_NS6detail15normal_iteratorINS9_10device_ptrIfEEEESE_PS5_SF_14custom_greaterIfEEE10hipError_tT0_T1_T2_T3_mRjT4_P12ihipStream_tbNS1_7vsmem_tEEUlT_E_NS1_11comp_targetILNS1_3genE2ELNS1_11target_archE906ELNS1_3gpuE6ELNS1_3repE0EEENS1_30default_config_static_selectorELNS0_4arch9wavefront6targetE1EEEvSK_,"axG",@progbits,_ZN7rocprim17ROCPRIM_400000_NS6detail17trampoline_kernelINS0_14default_configENS1_37merge_sort_block_sort_config_selectorIfNS0_10empty_typeEEEZNS1_21merge_sort_block_sortIS3_N6thrust23THRUST_200600_302600_NS6detail15normal_iteratorINS9_10device_ptrIfEEEESE_PS5_SF_14custom_greaterIfEEE10hipError_tT0_T1_T2_T3_mRjT4_P12ihipStream_tbNS1_7vsmem_tEEUlT_E_NS1_11comp_targetILNS1_3genE2ELNS1_11target_archE906ELNS1_3gpuE6ELNS1_3repE0EEENS1_30default_config_static_selectorELNS0_4arch9wavefront6targetE1EEEvSK_,comdat
	.protected	_ZN7rocprim17ROCPRIM_400000_NS6detail17trampoline_kernelINS0_14default_configENS1_37merge_sort_block_sort_config_selectorIfNS0_10empty_typeEEEZNS1_21merge_sort_block_sortIS3_N6thrust23THRUST_200600_302600_NS6detail15normal_iteratorINS9_10device_ptrIfEEEESE_PS5_SF_14custom_greaterIfEEE10hipError_tT0_T1_T2_T3_mRjT4_P12ihipStream_tbNS1_7vsmem_tEEUlT_E_NS1_11comp_targetILNS1_3genE2ELNS1_11target_archE906ELNS1_3gpuE6ELNS1_3repE0EEENS1_30default_config_static_selectorELNS0_4arch9wavefront6targetE1EEEvSK_ ; -- Begin function _ZN7rocprim17ROCPRIM_400000_NS6detail17trampoline_kernelINS0_14default_configENS1_37merge_sort_block_sort_config_selectorIfNS0_10empty_typeEEEZNS1_21merge_sort_block_sortIS3_N6thrust23THRUST_200600_302600_NS6detail15normal_iteratorINS9_10device_ptrIfEEEESE_PS5_SF_14custom_greaterIfEEE10hipError_tT0_T1_T2_T3_mRjT4_P12ihipStream_tbNS1_7vsmem_tEEUlT_E_NS1_11comp_targetILNS1_3genE2ELNS1_11target_archE906ELNS1_3gpuE6ELNS1_3repE0EEENS1_30default_config_static_selectorELNS0_4arch9wavefront6targetE1EEEvSK_
	.globl	_ZN7rocprim17ROCPRIM_400000_NS6detail17trampoline_kernelINS0_14default_configENS1_37merge_sort_block_sort_config_selectorIfNS0_10empty_typeEEEZNS1_21merge_sort_block_sortIS3_N6thrust23THRUST_200600_302600_NS6detail15normal_iteratorINS9_10device_ptrIfEEEESE_PS5_SF_14custom_greaterIfEEE10hipError_tT0_T1_T2_T3_mRjT4_P12ihipStream_tbNS1_7vsmem_tEEUlT_E_NS1_11comp_targetILNS1_3genE2ELNS1_11target_archE906ELNS1_3gpuE6ELNS1_3repE0EEENS1_30default_config_static_selectorELNS0_4arch9wavefront6targetE1EEEvSK_
	.p2align	8
	.type	_ZN7rocprim17ROCPRIM_400000_NS6detail17trampoline_kernelINS0_14default_configENS1_37merge_sort_block_sort_config_selectorIfNS0_10empty_typeEEEZNS1_21merge_sort_block_sortIS3_N6thrust23THRUST_200600_302600_NS6detail15normal_iteratorINS9_10device_ptrIfEEEESE_PS5_SF_14custom_greaterIfEEE10hipError_tT0_T1_T2_T3_mRjT4_P12ihipStream_tbNS1_7vsmem_tEEUlT_E_NS1_11comp_targetILNS1_3genE2ELNS1_11target_archE906ELNS1_3gpuE6ELNS1_3repE0EEENS1_30default_config_static_selectorELNS0_4arch9wavefront6targetE1EEEvSK_,@function
_ZN7rocprim17ROCPRIM_400000_NS6detail17trampoline_kernelINS0_14default_configENS1_37merge_sort_block_sort_config_selectorIfNS0_10empty_typeEEEZNS1_21merge_sort_block_sortIS3_N6thrust23THRUST_200600_302600_NS6detail15normal_iteratorINS9_10device_ptrIfEEEESE_PS5_SF_14custom_greaterIfEEE10hipError_tT0_T1_T2_T3_mRjT4_P12ihipStream_tbNS1_7vsmem_tEEUlT_E_NS1_11comp_targetILNS1_3genE2ELNS1_11target_archE906ELNS1_3gpuE6ELNS1_3repE0EEENS1_30default_config_static_selectorELNS0_4arch9wavefront6targetE1EEEvSK_: ; @_ZN7rocprim17ROCPRIM_400000_NS6detail17trampoline_kernelINS0_14default_configENS1_37merge_sort_block_sort_config_selectorIfNS0_10empty_typeEEEZNS1_21merge_sort_block_sortIS3_N6thrust23THRUST_200600_302600_NS6detail15normal_iteratorINS9_10device_ptrIfEEEESE_PS5_SF_14custom_greaterIfEEE10hipError_tT0_T1_T2_T3_mRjT4_P12ihipStream_tbNS1_7vsmem_tEEUlT_E_NS1_11comp_targetILNS1_3genE2ELNS1_11target_archE906ELNS1_3gpuE6ELNS1_3repE0EEENS1_30default_config_static_selectorELNS0_4arch9wavefront6targetE1EEEvSK_
; %bb.0:
	.section	.rodata,"a",@progbits
	.p2align	6, 0x0
	.amdhsa_kernel _ZN7rocprim17ROCPRIM_400000_NS6detail17trampoline_kernelINS0_14default_configENS1_37merge_sort_block_sort_config_selectorIfNS0_10empty_typeEEEZNS1_21merge_sort_block_sortIS3_N6thrust23THRUST_200600_302600_NS6detail15normal_iteratorINS9_10device_ptrIfEEEESE_PS5_SF_14custom_greaterIfEEE10hipError_tT0_T1_T2_T3_mRjT4_P12ihipStream_tbNS1_7vsmem_tEEUlT_E_NS1_11comp_targetILNS1_3genE2ELNS1_11target_archE906ELNS1_3gpuE6ELNS1_3repE0EEENS1_30default_config_static_selectorELNS0_4arch9wavefront6targetE1EEEvSK_
		.amdhsa_group_segment_fixed_size 0
		.amdhsa_private_segment_fixed_size 0
		.amdhsa_kernarg_size 64
		.amdhsa_user_sgpr_count 6
		.amdhsa_user_sgpr_private_segment_buffer 1
		.amdhsa_user_sgpr_dispatch_ptr 0
		.amdhsa_user_sgpr_queue_ptr 0
		.amdhsa_user_sgpr_kernarg_segment_ptr 1
		.amdhsa_user_sgpr_dispatch_id 0
		.amdhsa_user_sgpr_flat_scratch_init 0
		.amdhsa_user_sgpr_kernarg_preload_length 0
		.amdhsa_user_sgpr_kernarg_preload_offset 0
		.amdhsa_user_sgpr_private_segment_size 0
		.amdhsa_uses_dynamic_stack 0
		.amdhsa_system_sgpr_private_segment_wavefront_offset 0
		.amdhsa_system_sgpr_workgroup_id_x 1
		.amdhsa_system_sgpr_workgroup_id_y 0
		.amdhsa_system_sgpr_workgroup_id_z 0
		.amdhsa_system_sgpr_workgroup_info 0
		.amdhsa_system_vgpr_workitem_id 0
		.amdhsa_next_free_vgpr 1
		.amdhsa_next_free_sgpr 0
		.amdhsa_accum_offset 4
		.amdhsa_reserve_vcc 0
		.amdhsa_reserve_flat_scratch 0
		.amdhsa_float_round_mode_32 0
		.amdhsa_float_round_mode_16_64 0
		.amdhsa_float_denorm_mode_32 3
		.amdhsa_float_denorm_mode_16_64 3
		.amdhsa_dx10_clamp 1
		.amdhsa_ieee_mode 1
		.amdhsa_fp16_overflow 0
		.amdhsa_tg_split 0
		.amdhsa_exception_fp_ieee_invalid_op 0
		.amdhsa_exception_fp_denorm_src 0
		.amdhsa_exception_fp_ieee_div_zero 0
		.amdhsa_exception_fp_ieee_overflow 0
		.amdhsa_exception_fp_ieee_underflow 0
		.amdhsa_exception_fp_ieee_inexact 0
		.amdhsa_exception_int_div_zero 0
	.end_amdhsa_kernel
	.section	.text._ZN7rocprim17ROCPRIM_400000_NS6detail17trampoline_kernelINS0_14default_configENS1_37merge_sort_block_sort_config_selectorIfNS0_10empty_typeEEEZNS1_21merge_sort_block_sortIS3_N6thrust23THRUST_200600_302600_NS6detail15normal_iteratorINS9_10device_ptrIfEEEESE_PS5_SF_14custom_greaterIfEEE10hipError_tT0_T1_T2_T3_mRjT4_P12ihipStream_tbNS1_7vsmem_tEEUlT_E_NS1_11comp_targetILNS1_3genE2ELNS1_11target_archE906ELNS1_3gpuE6ELNS1_3repE0EEENS1_30default_config_static_selectorELNS0_4arch9wavefront6targetE1EEEvSK_,"axG",@progbits,_ZN7rocprim17ROCPRIM_400000_NS6detail17trampoline_kernelINS0_14default_configENS1_37merge_sort_block_sort_config_selectorIfNS0_10empty_typeEEEZNS1_21merge_sort_block_sortIS3_N6thrust23THRUST_200600_302600_NS6detail15normal_iteratorINS9_10device_ptrIfEEEESE_PS5_SF_14custom_greaterIfEEE10hipError_tT0_T1_T2_T3_mRjT4_P12ihipStream_tbNS1_7vsmem_tEEUlT_E_NS1_11comp_targetILNS1_3genE2ELNS1_11target_archE906ELNS1_3gpuE6ELNS1_3repE0EEENS1_30default_config_static_selectorELNS0_4arch9wavefront6targetE1EEEvSK_,comdat
.Lfunc_end3533:
	.size	_ZN7rocprim17ROCPRIM_400000_NS6detail17trampoline_kernelINS0_14default_configENS1_37merge_sort_block_sort_config_selectorIfNS0_10empty_typeEEEZNS1_21merge_sort_block_sortIS3_N6thrust23THRUST_200600_302600_NS6detail15normal_iteratorINS9_10device_ptrIfEEEESE_PS5_SF_14custom_greaterIfEEE10hipError_tT0_T1_T2_T3_mRjT4_P12ihipStream_tbNS1_7vsmem_tEEUlT_E_NS1_11comp_targetILNS1_3genE2ELNS1_11target_archE906ELNS1_3gpuE6ELNS1_3repE0EEENS1_30default_config_static_selectorELNS0_4arch9wavefront6targetE1EEEvSK_, .Lfunc_end3533-_ZN7rocprim17ROCPRIM_400000_NS6detail17trampoline_kernelINS0_14default_configENS1_37merge_sort_block_sort_config_selectorIfNS0_10empty_typeEEEZNS1_21merge_sort_block_sortIS3_N6thrust23THRUST_200600_302600_NS6detail15normal_iteratorINS9_10device_ptrIfEEEESE_PS5_SF_14custom_greaterIfEEE10hipError_tT0_T1_T2_T3_mRjT4_P12ihipStream_tbNS1_7vsmem_tEEUlT_E_NS1_11comp_targetILNS1_3genE2ELNS1_11target_archE906ELNS1_3gpuE6ELNS1_3repE0EEENS1_30default_config_static_selectorELNS0_4arch9wavefront6targetE1EEEvSK_
                                        ; -- End function
	.section	.AMDGPU.csdata,"",@progbits
; Kernel info:
; codeLenInByte = 0
; NumSgprs: 4
; NumVgprs: 0
; NumAgprs: 0
; TotalNumVgprs: 0
; ScratchSize: 0
; MemoryBound: 0
; FloatMode: 240
; IeeeMode: 1
; LDSByteSize: 0 bytes/workgroup (compile time only)
; SGPRBlocks: 0
; VGPRBlocks: 0
; NumSGPRsForWavesPerEU: 4
; NumVGPRsForWavesPerEU: 1
; AccumOffset: 4
; Occupancy: 8
; WaveLimiterHint : 0
; COMPUTE_PGM_RSRC2:SCRATCH_EN: 0
; COMPUTE_PGM_RSRC2:USER_SGPR: 6
; COMPUTE_PGM_RSRC2:TRAP_HANDLER: 0
; COMPUTE_PGM_RSRC2:TGID_X_EN: 1
; COMPUTE_PGM_RSRC2:TGID_Y_EN: 0
; COMPUTE_PGM_RSRC2:TGID_Z_EN: 0
; COMPUTE_PGM_RSRC2:TIDIG_COMP_CNT: 0
; COMPUTE_PGM_RSRC3_GFX90A:ACCUM_OFFSET: 0
; COMPUTE_PGM_RSRC3_GFX90A:TG_SPLIT: 0
	.section	.text._ZN7rocprim17ROCPRIM_400000_NS6detail17trampoline_kernelINS0_14default_configENS1_37merge_sort_block_sort_config_selectorIfNS0_10empty_typeEEEZNS1_21merge_sort_block_sortIS3_N6thrust23THRUST_200600_302600_NS6detail15normal_iteratorINS9_10device_ptrIfEEEESE_PS5_SF_14custom_greaterIfEEE10hipError_tT0_T1_T2_T3_mRjT4_P12ihipStream_tbNS1_7vsmem_tEEUlT_E_NS1_11comp_targetILNS1_3genE10ELNS1_11target_archE1201ELNS1_3gpuE5ELNS1_3repE0EEENS1_30default_config_static_selectorELNS0_4arch9wavefront6targetE1EEEvSK_,"axG",@progbits,_ZN7rocprim17ROCPRIM_400000_NS6detail17trampoline_kernelINS0_14default_configENS1_37merge_sort_block_sort_config_selectorIfNS0_10empty_typeEEEZNS1_21merge_sort_block_sortIS3_N6thrust23THRUST_200600_302600_NS6detail15normal_iteratorINS9_10device_ptrIfEEEESE_PS5_SF_14custom_greaterIfEEE10hipError_tT0_T1_T2_T3_mRjT4_P12ihipStream_tbNS1_7vsmem_tEEUlT_E_NS1_11comp_targetILNS1_3genE10ELNS1_11target_archE1201ELNS1_3gpuE5ELNS1_3repE0EEENS1_30default_config_static_selectorELNS0_4arch9wavefront6targetE1EEEvSK_,comdat
	.protected	_ZN7rocprim17ROCPRIM_400000_NS6detail17trampoline_kernelINS0_14default_configENS1_37merge_sort_block_sort_config_selectorIfNS0_10empty_typeEEEZNS1_21merge_sort_block_sortIS3_N6thrust23THRUST_200600_302600_NS6detail15normal_iteratorINS9_10device_ptrIfEEEESE_PS5_SF_14custom_greaterIfEEE10hipError_tT0_T1_T2_T3_mRjT4_P12ihipStream_tbNS1_7vsmem_tEEUlT_E_NS1_11comp_targetILNS1_3genE10ELNS1_11target_archE1201ELNS1_3gpuE5ELNS1_3repE0EEENS1_30default_config_static_selectorELNS0_4arch9wavefront6targetE1EEEvSK_ ; -- Begin function _ZN7rocprim17ROCPRIM_400000_NS6detail17trampoline_kernelINS0_14default_configENS1_37merge_sort_block_sort_config_selectorIfNS0_10empty_typeEEEZNS1_21merge_sort_block_sortIS3_N6thrust23THRUST_200600_302600_NS6detail15normal_iteratorINS9_10device_ptrIfEEEESE_PS5_SF_14custom_greaterIfEEE10hipError_tT0_T1_T2_T3_mRjT4_P12ihipStream_tbNS1_7vsmem_tEEUlT_E_NS1_11comp_targetILNS1_3genE10ELNS1_11target_archE1201ELNS1_3gpuE5ELNS1_3repE0EEENS1_30default_config_static_selectorELNS0_4arch9wavefront6targetE1EEEvSK_
	.globl	_ZN7rocprim17ROCPRIM_400000_NS6detail17trampoline_kernelINS0_14default_configENS1_37merge_sort_block_sort_config_selectorIfNS0_10empty_typeEEEZNS1_21merge_sort_block_sortIS3_N6thrust23THRUST_200600_302600_NS6detail15normal_iteratorINS9_10device_ptrIfEEEESE_PS5_SF_14custom_greaterIfEEE10hipError_tT0_T1_T2_T3_mRjT4_P12ihipStream_tbNS1_7vsmem_tEEUlT_E_NS1_11comp_targetILNS1_3genE10ELNS1_11target_archE1201ELNS1_3gpuE5ELNS1_3repE0EEENS1_30default_config_static_selectorELNS0_4arch9wavefront6targetE1EEEvSK_
	.p2align	8
	.type	_ZN7rocprim17ROCPRIM_400000_NS6detail17trampoline_kernelINS0_14default_configENS1_37merge_sort_block_sort_config_selectorIfNS0_10empty_typeEEEZNS1_21merge_sort_block_sortIS3_N6thrust23THRUST_200600_302600_NS6detail15normal_iteratorINS9_10device_ptrIfEEEESE_PS5_SF_14custom_greaterIfEEE10hipError_tT0_T1_T2_T3_mRjT4_P12ihipStream_tbNS1_7vsmem_tEEUlT_E_NS1_11comp_targetILNS1_3genE10ELNS1_11target_archE1201ELNS1_3gpuE5ELNS1_3repE0EEENS1_30default_config_static_selectorELNS0_4arch9wavefront6targetE1EEEvSK_,@function
_ZN7rocprim17ROCPRIM_400000_NS6detail17trampoline_kernelINS0_14default_configENS1_37merge_sort_block_sort_config_selectorIfNS0_10empty_typeEEEZNS1_21merge_sort_block_sortIS3_N6thrust23THRUST_200600_302600_NS6detail15normal_iteratorINS9_10device_ptrIfEEEESE_PS5_SF_14custom_greaterIfEEE10hipError_tT0_T1_T2_T3_mRjT4_P12ihipStream_tbNS1_7vsmem_tEEUlT_E_NS1_11comp_targetILNS1_3genE10ELNS1_11target_archE1201ELNS1_3gpuE5ELNS1_3repE0EEENS1_30default_config_static_selectorELNS0_4arch9wavefront6targetE1EEEvSK_: ; @_ZN7rocprim17ROCPRIM_400000_NS6detail17trampoline_kernelINS0_14default_configENS1_37merge_sort_block_sort_config_selectorIfNS0_10empty_typeEEEZNS1_21merge_sort_block_sortIS3_N6thrust23THRUST_200600_302600_NS6detail15normal_iteratorINS9_10device_ptrIfEEEESE_PS5_SF_14custom_greaterIfEEE10hipError_tT0_T1_T2_T3_mRjT4_P12ihipStream_tbNS1_7vsmem_tEEUlT_E_NS1_11comp_targetILNS1_3genE10ELNS1_11target_archE1201ELNS1_3gpuE5ELNS1_3repE0EEENS1_30default_config_static_selectorELNS0_4arch9wavefront6targetE1EEEvSK_
; %bb.0:
	.section	.rodata,"a",@progbits
	.p2align	6, 0x0
	.amdhsa_kernel _ZN7rocprim17ROCPRIM_400000_NS6detail17trampoline_kernelINS0_14default_configENS1_37merge_sort_block_sort_config_selectorIfNS0_10empty_typeEEEZNS1_21merge_sort_block_sortIS3_N6thrust23THRUST_200600_302600_NS6detail15normal_iteratorINS9_10device_ptrIfEEEESE_PS5_SF_14custom_greaterIfEEE10hipError_tT0_T1_T2_T3_mRjT4_P12ihipStream_tbNS1_7vsmem_tEEUlT_E_NS1_11comp_targetILNS1_3genE10ELNS1_11target_archE1201ELNS1_3gpuE5ELNS1_3repE0EEENS1_30default_config_static_selectorELNS0_4arch9wavefront6targetE1EEEvSK_
		.amdhsa_group_segment_fixed_size 0
		.amdhsa_private_segment_fixed_size 0
		.amdhsa_kernarg_size 64
		.amdhsa_user_sgpr_count 6
		.amdhsa_user_sgpr_private_segment_buffer 1
		.amdhsa_user_sgpr_dispatch_ptr 0
		.amdhsa_user_sgpr_queue_ptr 0
		.amdhsa_user_sgpr_kernarg_segment_ptr 1
		.amdhsa_user_sgpr_dispatch_id 0
		.amdhsa_user_sgpr_flat_scratch_init 0
		.amdhsa_user_sgpr_kernarg_preload_length 0
		.amdhsa_user_sgpr_kernarg_preload_offset 0
		.amdhsa_user_sgpr_private_segment_size 0
		.amdhsa_uses_dynamic_stack 0
		.amdhsa_system_sgpr_private_segment_wavefront_offset 0
		.amdhsa_system_sgpr_workgroup_id_x 1
		.amdhsa_system_sgpr_workgroup_id_y 0
		.amdhsa_system_sgpr_workgroup_id_z 0
		.amdhsa_system_sgpr_workgroup_info 0
		.amdhsa_system_vgpr_workitem_id 0
		.amdhsa_next_free_vgpr 1
		.amdhsa_next_free_sgpr 0
		.amdhsa_accum_offset 4
		.amdhsa_reserve_vcc 0
		.amdhsa_reserve_flat_scratch 0
		.amdhsa_float_round_mode_32 0
		.amdhsa_float_round_mode_16_64 0
		.amdhsa_float_denorm_mode_32 3
		.amdhsa_float_denorm_mode_16_64 3
		.amdhsa_dx10_clamp 1
		.amdhsa_ieee_mode 1
		.amdhsa_fp16_overflow 0
		.amdhsa_tg_split 0
		.amdhsa_exception_fp_ieee_invalid_op 0
		.amdhsa_exception_fp_denorm_src 0
		.amdhsa_exception_fp_ieee_div_zero 0
		.amdhsa_exception_fp_ieee_overflow 0
		.amdhsa_exception_fp_ieee_underflow 0
		.amdhsa_exception_fp_ieee_inexact 0
		.amdhsa_exception_int_div_zero 0
	.end_amdhsa_kernel
	.section	.text._ZN7rocprim17ROCPRIM_400000_NS6detail17trampoline_kernelINS0_14default_configENS1_37merge_sort_block_sort_config_selectorIfNS0_10empty_typeEEEZNS1_21merge_sort_block_sortIS3_N6thrust23THRUST_200600_302600_NS6detail15normal_iteratorINS9_10device_ptrIfEEEESE_PS5_SF_14custom_greaterIfEEE10hipError_tT0_T1_T2_T3_mRjT4_P12ihipStream_tbNS1_7vsmem_tEEUlT_E_NS1_11comp_targetILNS1_3genE10ELNS1_11target_archE1201ELNS1_3gpuE5ELNS1_3repE0EEENS1_30default_config_static_selectorELNS0_4arch9wavefront6targetE1EEEvSK_,"axG",@progbits,_ZN7rocprim17ROCPRIM_400000_NS6detail17trampoline_kernelINS0_14default_configENS1_37merge_sort_block_sort_config_selectorIfNS0_10empty_typeEEEZNS1_21merge_sort_block_sortIS3_N6thrust23THRUST_200600_302600_NS6detail15normal_iteratorINS9_10device_ptrIfEEEESE_PS5_SF_14custom_greaterIfEEE10hipError_tT0_T1_T2_T3_mRjT4_P12ihipStream_tbNS1_7vsmem_tEEUlT_E_NS1_11comp_targetILNS1_3genE10ELNS1_11target_archE1201ELNS1_3gpuE5ELNS1_3repE0EEENS1_30default_config_static_selectorELNS0_4arch9wavefront6targetE1EEEvSK_,comdat
.Lfunc_end3534:
	.size	_ZN7rocprim17ROCPRIM_400000_NS6detail17trampoline_kernelINS0_14default_configENS1_37merge_sort_block_sort_config_selectorIfNS0_10empty_typeEEEZNS1_21merge_sort_block_sortIS3_N6thrust23THRUST_200600_302600_NS6detail15normal_iteratorINS9_10device_ptrIfEEEESE_PS5_SF_14custom_greaterIfEEE10hipError_tT0_T1_T2_T3_mRjT4_P12ihipStream_tbNS1_7vsmem_tEEUlT_E_NS1_11comp_targetILNS1_3genE10ELNS1_11target_archE1201ELNS1_3gpuE5ELNS1_3repE0EEENS1_30default_config_static_selectorELNS0_4arch9wavefront6targetE1EEEvSK_, .Lfunc_end3534-_ZN7rocprim17ROCPRIM_400000_NS6detail17trampoline_kernelINS0_14default_configENS1_37merge_sort_block_sort_config_selectorIfNS0_10empty_typeEEEZNS1_21merge_sort_block_sortIS3_N6thrust23THRUST_200600_302600_NS6detail15normal_iteratorINS9_10device_ptrIfEEEESE_PS5_SF_14custom_greaterIfEEE10hipError_tT0_T1_T2_T3_mRjT4_P12ihipStream_tbNS1_7vsmem_tEEUlT_E_NS1_11comp_targetILNS1_3genE10ELNS1_11target_archE1201ELNS1_3gpuE5ELNS1_3repE0EEENS1_30default_config_static_selectorELNS0_4arch9wavefront6targetE1EEEvSK_
                                        ; -- End function
	.section	.AMDGPU.csdata,"",@progbits
; Kernel info:
; codeLenInByte = 0
; NumSgprs: 4
; NumVgprs: 0
; NumAgprs: 0
; TotalNumVgprs: 0
; ScratchSize: 0
; MemoryBound: 0
; FloatMode: 240
; IeeeMode: 1
; LDSByteSize: 0 bytes/workgroup (compile time only)
; SGPRBlocks: 0
; VGPRBlocks: 0
; NumSGPRsForWavesPerEU: 4
; NumVGPRsForWavesPerEU: 1
; AccumOffset: 4
; Occupancy: 8
; WaveLimiterHint : 0
; COMPUTE_PGM_RSRC2:SCRATCH_EN: 0
; COMPUTE_PGM_RSRC2:USER_SGPR: 6
; COMPUTE_PGM_RSRC2:TRAP_HANDLER: 0
; COMPUTE_PGM_RSRC2:TGID_X_EN: 1
; COMPUTE_PGM_RSRC2:TGID_Y_EN: 0
; COMPUTE_PGM_RSRC2:TGID_Z_EN: 0
; COMPUTE_PGM_RSRC2:TIDIG_COMP_CNT: 0
; COMPUTE_PGM_RSRC3_GFX90A:ACCUM_OFFSET: 0
; COMPUTE_PGM_RSRC3_GFX90A:TG_SPLIT: 0
	.section	.text._ZN7rocprim17ROCPRIM_400000_NS6detail17trampoline_kernelINS0_14default_configENS1_37merge_sort_block_sort_config_selectorIfNS0_10empty_typeEEEZNS1_21merge_sort_block_sortIS3_N6thrust23THRUST_200600_302600_NS6detail15normal_iteratorINS9_10device_ptrIfEEEESE_PS5_SF_14custom_greaterIfEEE10hipError_tT0_T1_T2_T3_mRjT4_P12ihipStream_tbNS1_7vsmem_tEEUlT_E_NS1_11comp_targetILNS1_3genE10ELNS1_11target_archE1200ELNS1_3gpuE4ELNS1_3repE0EEENS1_30default_config_static_selectorELNS0_4arch9wavefront6targetE1EEEvSK_,"axG",@progbits,_ZN7rocprim17ROCPRIM_400000_NS6detail17trampoline_kernelINS0_14default_configENS1_37merge_sort_block_sort_config_selectorIfNS0_10empty_typeEEEZNS1_21merge_sort_block_sortIS3_N6thrust23THRUST_200600_302600_NS6detail15normal_iteratorINS9_10device_ptrIfEEEESE_PS5_SF_14custom_greaterIfEEE10hipError_tT0_T1_T2_T3_mRjT4_P12ihipStream_tbNS1_7vsmem_tEEUlT_E_NS1_11comp_targetILNS1_3genE10ELNS1_11target_archE1200ELNS1_3gpuE4ELNS1_3repE0EEENS1_30default_config_static_selectorELNS0_4arch9wavefront6targetE1EEEvSK_,comdat
	.protected	_ZN7rocprim17ROCPRIM_400000_NS6detail17trampoline_kernelINS0_14default_configENS1_37merge_sort_block_sort_config_selectorIfNS0_10empty_typeEEEZNS1_21merge_sort_block_sortIS3_N6thrust23THRUST_200600_302600_NS6detail15normal_iteratorINS9_10device_ptrIfEEEESE_PS5_SF_14custom_greaterIfEEE10hipError_tT0_T1_T2_T3_mRjT4_P12ihipStream_tbNS1_7vsmem_tEEUlT_E_NS1_11comp_targetILNS1_3genE10ELNS1_11target_archE1200ELNS1_3gpuE4ELNS1_3repE0EEENS1_30default_config_static_selectorELNS0_4arch9wavefront6targetE1EEEvSK_ ; -- Begin function _ZN7rocprim17ROCPRIM_400000_NS6detail17trampoline_kernelINS0_14default_configENS1_37merge_sort_block_sort_config_selectorIfNS0_10empty_typeEEEZNS1_21merge_sort_block_sortIS3_N6thrust23THRUST_200600_302600_NS6detail15normal_iteratorINS9_10device_ptrIfEEEESE_PS5_SF_14custom_greaterIfEEE10hipError_tT0_T1_T2_T3_mRjT4_P12ihipStream_tbNS1_7vsmem_tEEUlT_E_NS1_11comp_targetILNS1_3genE10ELNS1_11target_archE1200ELNS1_3gpuE4ELNS1_3repE0EEENS1_30default_config_static_selectorELNS0_4arch9wavefront6targetE1EEEvSK_
	.globl	_ZN7rocprim17ROCPRIM_400000_NS6detail17trampoline_kernelINS0_14default_configENS1_37merge_sort_block_sort_config_selectorIfNS0_10empty_typeEEEZNS1_21merge_sort_block_sortIS3_N6thrust23THRUST_200600_302600_NS6detail15normal_iteratorINS9_10device_ptrIfEEEESE_PS5_SF_14custom_greaterIfEEE10hipError_tT0_T1_T2_T3_mRjT4_P12ihipStream_tbNS1_7vsmem_tEEUlT_E_NS1_11comp_targetILNS1_3genE10ELNS1_11target_archE1200ELNS1_3gpuE4ELNS1_3repE0EEENS1_30default_config_static_selectorELNS0_4arch9wavefront6targetE1EEEvSK_
	.p2align	8
	.type	_ZN7rocprim17ROCPRIM_400000_NS6detail17trampoline_kernelINS0_14default_configENS1_37merge_sort_block_sort_config_selectorIfNS0_10empty_typeEEEZNS1_21merge_sort_block_sortIS3_N6thrust23THRUST_200600_302600_NS6detail15normal_iteratorINS9_10device_ptrIfEEEESE_PS5_SF_14custom_greaterIfEEE10hipError_tT0_T1_T2_T3_mRjT4_P12ihipStream_tbNS1_7vsmem_tEEUlT_E_NS1_11comp_targetILNS1_3genE10ELNS1_11target_archE1200ELNS1_3gpuE4ELNS1_3repE0EEENS1_30default_config_static_selectorELNS0_4arch9wavefront6targetE1EEEvSK_,@function
_ZN7rocprim17ROCPRIM_400000_NS6detail17trampoline_kernelINS0_14default_configENS1_37merge_sort_block_sort_config_selectorIfNS0_10empty_typeEEEZNS1_21merge_sort_block_sortIS3_N6thrust23THRUST_200600_302600_NS6detail15normal_iteratorINS9_10device_ptrIfEEEESE_PS5_SF_14custom_greaterIfEEE10hipError_tT0_T1_T2_T3_mRjT4_P12ihipStream_tbNS1_7vsmem_tEEUlT_E_NS1_11comp_targetILNS1_3genE10ELNS1_11target_archE1200ELNS1_3gpuE4ELNS1_3repE0EEENS1_30default_config_static_selectorELNS0_4arch9wavefront6targetE1EEEvSK_: ; @_ZN7rocprim17ROCPRIM_400000_NS6detail17trampoline_kernelINS0_14default_configENS1_37merge_sort_block_sort_config_selectorIfNS0_10empty_typeEEEZNS1_21merge_sort_block_sortIS3_N6thrust23THRUST_200600_302600_NS6detail15normal_iteratorINS9_10device_ptrIfEEEESE_PS5_SF_14custom_greaterIfEEE10hipError_tT0_T1_T2_T3_mRjT4_P12ihipStream_tbNS1_7vsmem_tEEUlT_E_NS1_11comp_targetILNS1_3genE10ELNS1_11target_archE1200ELNS1_3gpuE4ELNS1_3repE0EEENS1_30default_config_static_selectorELNS0_4arch9wavefront6targetE1EEEvSK_
; %bb.0:
	.section	.rodata,"a",@progbits
	.p2align	6, 0x0
	.amdhsa_kernel _ZN7rocprim17ROCPRIM_400000_NS6detail17trampoline_kernelINS0_14default_configENS1_37merge_sort_block_sort_config_selectorIfNS0_10empty_typeEEEZNS1_21merge_sort_block_sortIS3_N6thrust23THRUST_200600_302600_NS6detail15normal_iteratorINS9_10device_ptrIfEEEESE_PS5_SF_14custom_greaterIfEEE10hipError_tT0_T1_T2_T3_mRjT4_P12ihipStream_tbNS1_7vsmem_tEEUlT_E_NS1_11comp_targetILNS1_3genE10ELNS1_11target_archE1200ELNS1_3gpuE4ELNS1_3repE0EEENS1_30default_config_static_selectorELNS0_4arch9wavefront6targetE1EEEvSK_
		.amdhsa_group_segment_fixed_size 0
		.amdhsa_private_segment_fixed_size 0
		.amdhsa_kernarg_size 64
		.amdhsa_user_sgpr_count 6
		.amdhsa_user_sgpr_private_segment_buffer 1
		.amdhsa_user_sgpr_dispatch_ptr 0
		.amdhsa_user_sgpr_queue_ptr 0
		.amdhsa_user_sgpr_kernarg_segment_ptr 1
		.amdhsa_user_sgpr_dispatch_id 0
		.amdhsa_user_sgpr_flat_scratch_init 0
		.amdhsa_user_sgpr_kernarg_preload_length 0
		.amdhsa_user_sgpr_kernarg_preload_offset 0
		.amdhsa_user_sgpr_private_segment_size 0
		.amdhsa_uses_dynamic_stack 0
		.amdhsa_system_sgpr_private_segment_wavefront_offset 0
		.amdhsa_system_sgpr_workgroup_id_x 1
		.amdhsa_system_sgpr_workgroup_id_y 0
		.amdhsa_system_sgpr_workgroup_id_z 0
		.amdhsa_system_sgpr_workgroup_info 0
		.amdhsa_system_vgpr_workitem_id 0
		.amdhsa_next_free_vgpr 1
		.amdhsa_next_free_sgpr 0
		.amdhsa_accum_offset 4
		.amdhsa_reserve_vcc 0
		.amdhsa_reserve_flat_scratch 0
		.amdhsa_float_round_mode_32 0
		.amdhsa_float_round_mode_16_64 0
		.amdhsa_float_denorm_mode_32 3
		.amdhsa_float_denorm_mode_16_64 3
		.amdhsa_dx10_clamp 1
		.amdhsa_ieee_mode 1
		.amdhsa_fp16_overflow 0
		.amdhsa_tg_split 0
		.amdhsa_exception_fp_ieee_invalid_op 0
		.amdhsa_exception_fp_denorm_src 0
		.amdhsa_exception_fp_ieee_div_zero 0
		.amdhsa_exception_fp_ieee_overflow 0
		.amdhsa_exception_fp_ieee_underflow 0
		.amdhsa_exception_fp_ieee_inexact 0
		.amdhsa_exception_int_div_zero 0
	.end_amdhsa_kernel
	.section	.text._ZN7rocprim17ROCPRIM_400000_NS6detail17trampoline_kernelINS0_14default_configENS1_37merge_sort_block_sort_config_selectorIfNS0_10empty_typeEEEZNS1_21merge_sort_block_sortIS3_N6thrust23THRUST_200600_302600_NS6detail15normal_iteratorINS9_10device_ptrIfEEEESE_PS5_SF_14custom_greaterIfEEE10hipError_tT0_T1_T2_T3_mRjT4_P12ihipStream_tbNS1_7vsmem_tEEUlT_E_NS1_11comp_targetILNS1_3genE10ELNS1_11target_archE1200ELNS1_3gpuE4ELNS1_3repE0EEENS1_30default_config_static_selectorELNS0_4arch9wavefront6targetE1EEEvSK_,"axG",@progbits,_ZN7rocprim17ROCPRIM_400000_NS6detail17trampoline_kernelINS0_14default_configENS1_37merge_sort_block_sort_config_selectorIfNS0_10empty_typeEEEZNS1_21merge_sort_block_sortIS3_N6thrust23THRUST_200600_302600_NS6detail15normal_iteratorINS9_10device_ptrIfEEEESE_PS5_SF_14custom_greaterIfEEE10hipError_tT0_T1_T2_T3_mRjT4_P12ihipStream_tbNS1_7vsmem_tEEUlT_E_NS1_11comp_targetILNS1_3genE10ELNS1_11target_archE1200ELNS1_3gpuE4ELNS1_3repE0EEENS1_30default_config_static_selectorELNS0_4arch9wavefront6targetE1EEEvSK_,comdat
.Lfunc_end3535:
	.size	_ZN7rocprim17ROCPRIM_400000_NS6detail17trampoline_kernelINS0_14default_configENS1_37merge_sort_block_sort_config_selectorIfNS0_10empty_typeEEEZNS1_21merge_sort_block_sortIS3_N6thrust23THRUST_200600_302600_NS6detail15normal_iteratorINS9_10device_ptrIfEEEESE_PS5_SF_14custom_greaterIfEEE10hipError_tT0_T1_T2_T3_mRjT4_P12ihipStream_tbNS1_7vsmem_tEEUlT_E_NS1_11comp_targetILNS1_3genE10ELNS1_11target_archE1200ELNS1_3gpuE4ELNS1_3repE0EEENS1_30default_config_static_selectorELNS0_4arch9wavefront6targetE1EEEvSK_, .Lfunc_end3535-_ZN7rocprim17ROCPRIM_400000_NS6detail17trampoline_kernelINS0_14default_configENS1_37merge_sort_block_sort_config_selectorIfNS0_10empty_typeEEEZNS1_21merge_sort_block_sortIS3_N6thrust23THRUST_200600_302600_NS6detail15normal_iteratorINS9_10device_ptrIfEEEESE_PS5_SF_14custom_greaterIfEEE10hipError_tT0_T1_T2_T3_mRjT4_P12ihipStream_tbNS1_7vsmem_tEEUlT_E_NS1_11comp_targetILNS1_3genE10ELNS1_11target_archE1200ELNS1_3gpuE4ELNS1_3repE0EEENS1_30default_config_static_selectorELNS0_4arch9wavefront6targetE1EEEvSK_
                                        ; -- End function
	.section	.AMDGPU.csdata,"",@progbits
; Kernel info:
; codeLenInByte = 0
; NumSgprs: 4
; NumVgprs: 0
; NumAgprs: 0
; TotalNumVgprs: 0
; ScratchSize: 0
; MemoryBound: 0
; FloatMode: 240
; IeeeMode: 1
; LDSByteSize: 0 bytes/workgroup (compile time only)
; SGPRBlocks: 0
; VGPRBlocks: 0
; NumSGPRsForWavesPerEU: 4
; NumVGPRsForWavesPerEU: 1
; AccumOffset: 4
; Occupancy: 8
; WaveLimiterHint : 0
; COMPUTE_PGM_RSRC2:SCRATCH_EN: 0
; COMPUTE_PGM_RSRC2:USER_SGPR: 6
; COMPUTE_PGM_RSRC2:TRAP_HANDLER: 0
; COMPUTE_PGM_RSRC2:TGID_X_EN: 1
; COMPUTE_PGM_RSRC2:TGID_Y_EN: 0
; COMPUTE_PGM_RSRC2:TGID_Z_EN: 0
; COMPUTE_PGM_RSRC2:TIDIG_COMP_CNT: 0
; COMPUTE_PGM_RSRC3_GFX90A:ACCUM_OFFSET: 0
; COMPUTE_PGM_RSRC3_GFX90A:TG_SPLIT: 0
	.section	.text._ZN7rocprim17ROCPRIM_400000_NS6detail17trampoline_kernelINS0_14default_configENS1_37merge_sort_block_sort_config_selectorIfNS0_10empty_typeEEEZNS1_21merge_sort_block_sortIS3_N6thrust23THRUST_200600_302600_NS6detail15normal_iteratorINS9_10device_ptrIfEEEESE_PS5_SF_14custom_greaterIfEEE10hipError_tT0_T1_T2_T3_mRjT4_P12ihipStream_tbNS1_7vsmem_tEEUlT_E_NS1_11comp_targetILNS1_3genE9ELNS1_11target_archE1100ELNS1_3gpuE3ELNS1_3repE0EEENS1_30default_config_static_selectorELNS0_4arch9wavefront6targetE1EEEvSK_,"axG",@progbits,_ZN7rocprim17ROCPRIM_400000_NS6detail17trampoline_kernelINS0_14default_configENS1_37merge_sort_block_sort_config_selectorIfNS0_10empty_typeEEEZNS1_21merge_sort_block_sortIS3_N6thrust23THRUST_200600_302600_NS6detail15normal_iteratorINS9_10device_ptrIfEEEESE_PS5_SF_14custom_greaterIfEEE10hipError_tT0_T1_T2_T3_mRjT4_P12ihipStream_tbNS1_7vsmem_tEEUlT_E_NS1_11comp_targetILNS1_3genE9ELNS1_11target_archE1100ELNS1_3gpuE3ELNS1_3repE0EEENS1_30default_config_static_selectorELNS0_4arch9wavefront6targetE1EEEvSK_,comdat
	.protected	_ZN7rocprim17ROCPRIM_400000_NS6detail17trampoline_kernelINS0_14default_configENS1_37merge_sort_block_sort_config_selectorIfNS0_10empty_typeEEEZNS1_21merge_sort_block_sortIS3_N6thrust23THRUST_200600_302600_NS6detail15normal_iteratorINS9_10device_ptrIfEEEESE_PS5_SF_14custom_greaterIfEEE10hipError_tT0_T1_T2_T3_mRjT4_P12ihipStream_tbNS1_7vsmem_tEEUlT_E_NS1_11comp_targetILNS1_3genE9ELNS1_11target_archE1100ELNS1_3gpuE3ELNS1_3repE0EEENS1_30default_config_static_selectorELNS0_4arch9wavefront6targetE1EEEvSK_ ; -- Begin function _ZN7rocprim17ROCPRIM_400000_NS6detail17trampoline_kernelINS0_14default_configENS1_37merge_sort_block_sort_config_selectorIfNS0_10empty_typeEEEZNS1_21merge_sort_block_sortIS3_N6thrust23THRUST_200600_302600_NS6detail15normal_iteratorINS9_10device_ptrIfEEEESE_PS5_SF_14custom_greaterIfEEE10hipError_tT0_T1_T2_T3_mRjT4_P12ihipStream_tbNS1_7vsmem_tEEUlT_E_NS1_11comp_targetILNS1_3genE9ELNS1_11target_archE1100ELNS1_3gpuE3ELNS1_3repE0EEENS1_30default_config_static_selectorELNS0_4arch9wavefront6targetE1EEEvSK_
	.globl	_ZN7rocprim17ROCPRIM_400000_NS6detail17trampoline_kernelINS0_14default_configENS1_37merge_sort_block_sort_config_selectorIfNS0_10empty_typeEEEZNS1_21merge_sort_block_sortIS3_N6thrust23THRUST_200600_302600_NS6detail15normal_iteratorINS9_10device_ptrIfEEEESE_PS5_SF_14custom_greaterIfEEE10hipError_tT0_T1_T2_T3_mRjT4_P12ihipStream_tbNS1_7vsmem_tEEUlT_E_NS1_11comp_targetILNS1_3genE9ELNS1_11target_archE1100ELNS1_3gpuE3ELNS1_3repE0EEENS1_30default_config_static_selectorELNS0_4arch9wavefront6targetE1EEEvSK_
	.p2align	8
	.type	_ZN7rocprim17ROCPRIM_400000_NS6detail17trampoline_kernelINS0_14default_configENS1_37merge_sort_block_sort_config_selectorIfNS0_10empty_typeEEEZNS1_21merge_sort_block_sortIS3_N6thrust23THRUST_200600_302600_NS6detail15normal_iteratorINS9_10device_ptrIfEEEESE_PS5_SF_14custom_greaterIfEEE10hipError_tT0_T1_T2_T3_mRjT4_P12ihipStream_tbNS1_7vsmem_tEEUlT_E_NS1_11comp_targetILNS1_3genE9ELNS1_11target_archE1100ELNS1_3gpuE3ELNS1_3repE0EEENS1_30default_config_static_selectorELNS0_4arch9wavefront6targetE1EEEvSK_,@function
_ZN7rocprim17ROCPRIM_400000_NS6detail17trampoline_kernelINS0_14default_configENS1_37merge_sort_block_sort_config_selectorIfNS0_10empty_typeEEEZNS1_21merge_sort_block_sortIS3_N6thrust23THRUST_200600_302600_NS6detail15normal_iteratorINS9_10device_ptrIfEEEESE_PS5_SF_14custom_greaterIfEEE10hipError_tT0_T1_T2_T3_mRjT4_P12ihipStream_tbNS1_7vsmem_tEEUlT_E_NS1_11comp_targetILNS1_3genE9ELNS1_11target_archE1100ELNS1_3gpuE3ELNS1_3repE0EEENS1_30default_config_static_selectorELNS0_4arch9wavefront6targetE1EEEvSK_: ; @_ZN7rocprim17ROCPRIM_400000_NS6detail17trampoline_kernelINS0_14default_configENS1_37merge_sort_block_sort_config_selectorIfNS0_10empty_typeEEEZNS1_21merge_sort_block_sortIS3_N6thrust23THRUST_200600_302600_NS6detail15normal_iteratorINS9_10device_ptrIfEEEESE_PS5_SF_14custom_greaterIfEEE10hipError_tT0_T1_T2_T3_mRjT4_P12ihipStream_tbNS1_7vsmem_tEEUlT_E_NS1_11comp_targetILNS1_3genE9ELNS1_11target_archE1100ELNS1_3gpuE3ELNS1_3repE0EEENS1_30default_config_static_selectorELNS0_4arch9wavefront6targetE1EEEvSK_
; %bb.0:
	.section	.rodata,"a",@progbits
	.p2align	6, 0x0
	.amdhsa_kernel _ZN7rocprim17ROCPRIM_400000_NS6detail17trampoline_kernelINS0_14default_configENS1_37merge_sort_block_sort_config_selectorIfNS0_10empty_typeEEEZNS1_21merge_sort_block_sortIS3_N6thrust23THRUST_200600_302600_NS6detail15normal_iteratorINS9_10device_ptrIfEEEESE_PS5_SF_14custom_greaterIfEEE10hipError_tT0_T1_T2_T3_mRjT4_P12ihipStream_tbNS1_7vsmem_tEEUlT_E_NS1_11comp_targetILNS1_3genE9ELNS1_11target_archE1100ELNS1_3gpuE3ELNS1_3repE0EEENS1_30default_config_static_selectorELNS0_4arch9wavefront6targetE1EEEvSK_
		.amdhsa_group_segment_fixed_size 0
		.amdhsa_private_segment_fixed_size 0
		.amdhsa_kernarg_size 64
		.amdhsa_user_sgpr_count 6
		.amdhsa_user_sgpr_private_segment_buffer 1
		.amdhsa_user_sgpr_dispatch_ptr 0
		.amdhsa_user_sgpr_queue_ptr 0
		.amdhsa_user_sgpr_kernarg_segment_ptr 1
		.amdhsa_user_sgpr_dispatch_id 0
		.amdhsa_user_sgpr_flat_scratch_init 0
		.amdhsa_user_sgpr_kernarg_preload_length 0
		.amdhsa_user_sgpr_kernarg_preload_offset 0
		.amdhsa_user_sgpr_private_segment_size 0
		.amdhsa_uses_dynamic_stack 0
		.amdhsa_system_sgpr_private_segment_wavefront_offset 0
		.amdhsa_system_sgpr_workgroup_id_x 1
		.amdhsa_system_sgpr_workgroup_id_y 0
		.amdhsa_system_sgpr_workgroup_id_z 0
		.amdhsa_system_sgpr_workgroup_info 0
		.amdhsa_system_vgpr_workitem_id 0
		.amdhsa_next_free_vgpr 1
		.amdhsa_next_free_sgpr 0
		.amdhsa_accum_offset 4
		.amdhsa_reserve_vcc 0
		.amdhsa_reserve_flat_scratch 0
		.amdhsa_float_round_mode_32 0
		.amdhsa_float_round_mode_16_64 0
		.amdhsa_float_denorm_mode_32 3
		.amdhsa_float_denorm_mode_16_64 3
		.amdhsa_dx10_clamp 1
		.amdhsa_ieee_mode 1
		.amdhsa_fp16_overflow 0
		.amdhsa_tg_split 0
		.amdhsa_exception_fp_ieee_invalid_op 0
		.amdhsa_exception_fp_denorm_src 0
		.amdhsa_exception_fp_ieee_div_zero 0
		.amdhsa_exception_fp_ieee_overflow 0
		.amdhsa_exception_fp_ieee_underflow 0
		.amdhsa_exception_fp_ieee_inexact 0
		.amdhsa_exception_int_div_zero 0
	.end_amdhsa_kernel
	.section	.text._ZN7rocprim17ROCPRIM_400000_NS6detail17trampoline_kernelINS0_14default_configENS1_37merge_sort_block_sort_config_selectorIfNS0_10empty_typeEEEZNS1_21merge_sort_block_sortIS3_N6thrust23THRUST_200600_302600_NS6detail15normal_iteratorINS9_10device_ptrIfEEEESE_PS5_SF_14custom_greaterIfEEE10hipError_tT0_T1_T2_T3_mRjT4_P12ihipStream_tbNS1_7vsmem_tEEUlT_E_NS1_11comp_targetILNS1_3genE9ELNS1_11target_archE1100ELNS1_3gpuE3ELNS1_3repE0EEENS1_30default_config_static_selectorELNS0_4arch9wavefront6targetE1EEEvSK_,"axG",@progbits,_ZN7rocprim17ROCPRIM_400000_NS6detail17trampoline_kernelINS0_14default_configENS1_37merge_sort_block_sort_config_selectorIfNS0_10empty_typeEEEZNS1_21merge_sort_block_sortIS3_N6thrust23THRUST_200600_302600_NS6detail15normal_iteratorINS9_10device_ptrIfEEEESE_PS5_SF_14custom_greaterIfEEE10hipError_tT0_T1_T2_T3_mRjT4_P12ihipStream_tbNS1_7vsmem_tEEUlT_E_NS1_11comp_targetILNS1_3genE9ELNS1_11target_archE1100ELNS1_3gpuE3ELNS1_3repE0EEENS1_30default_config_static_selectorELNS0_4arch9wavefront6targetE1EEEvSK_,comdat
.Lfunc_end3536:
	.size	_ZN7rocprim17ROCPRIM_400000_NS6detail17trampoline_kernelINS0_14default_configENS1_37merge_sort_block_sort_config_selectorIfNS0_10empty_typeEEEZNS1_21merge_sort_block_sortIS3_N6thrust23THRUST_200600_302600_NS6detail15normal_iteratorINS9_10device_ptrIfEEEESE_PS5_SF_14custom_greaterIfEEE10hipError_tT0_T1_T2_T3_mRjT4_P12ihipStream_tbNS1_7vsmem_tEEUlT_E_NS1_11comp_targetILNS1_3genE9ELNS1_11target_archE1100ELNS1_3gpuE3ELNS1_3repE0EEENS1_30default_config_static_selectorELNS0_4arch9wavefront6targetE1EEEvSK_, .Lfunc_end3536-_ZN7rocprim17ROCPRIM_400000_NS6detail17trampoline_kernelINS0_14default_configENS1_37merge_sort_block_sort_config_selectorIfNS0_10empty_typeEEEZNS1_21merge_sort_block_sortIS3_N6thrust23THRUST_200600_302600_NS6detail15normal_iteratorINS9_10device_ptrIfEEEESE_PS5_SF_14custom_greaterIfEEE10hipError_tT0_T1_T2_T3_mRjT4_P12ihipStream_tbNS1_7vsmem_tEEUlT_E_NS1_11comp_targetILNS1_3genE9ELNS1_11target_archE1100ELNS1_3gpuE3ELNS1_3repE0EEENS1_30default_config_static_selectorELNS0_4arch9wavefront6targetE1EEEvSK_
                                        ; -- End function
	.section	.AMDGPU.csdata,"",@progbits
; Kernel info:
; codeLenInByte = 0
; NumSgprs: 4
; NumVgprs: 0
; NumAgprs: 0
; TotalNumVgprs: 0
; ScratchSize: 0
; MemoryBound: 0
; FloatMode: 240
; IeeeMode: 1
; LDSByteSize: 0 bytes/workgroup (compile time only)
; SGPRBlocks: 0
; VGPRBlocks: 0
; NumSGPRsForWavesPerEU: 4
; NumVGPRsForWavesPerEU: 1
; AccumOffset: 4
; Occupancy: 8
; WaveLimiterHint : 0
; COMPUTE_PGM_RSRC2:SCRATCH_EN: 0
; COMPUTE_PGM_RSRC2:USER_SGPR: 6
; COMPUTE_PGM_RSRC2:TRAP_HANDLER: 0
; COMPUTE_PGM_RSRC2:TGID_X_EN: 1
; COMPUTE_PGM_RSRC2:TGID_Y_EN: 0
; COMPUTE_PGM_RSRC2:TGID_Z_EN: 0
; COMPUTE_PGM_RSRC2:TIDIG_COMP_CNT: 0
; COMPUTE_PGM_RSRC3_GFX90A:ACCUM_OFFSET: 0
; COMPUTE_PGM_RSRC3_GFX90A:TG_SPLIT: 0
	.section	.text._ZN7rocprim17ROCPRIM_400000_NS6detail17trampoline_kernelINS0_14default_configENS1_37merge_sort_block_sort_config_selectorIfNS0_10empty_typeEEEZNS1_21merge_sort_block_sortIS3_N6thrust23THRUST_200600_302600_NS6detail15normal_iteratorINS9_10device_ptrIfEEEESE_PS5_SF_14custom_greaterIfEEE10hipError_tT0_T1_T2_T3_mRjT4_P12ihipStream_tbNS1_7vsmem_tEEUlT_E_NS1_11comp_targetILNS1_3genE8ELNS1_11target_archE1030ELNS1_3gpuE2ELNS1_3repE0EEENS1_30default_config_static_selectorELNS0_4arch9wavefront6targetE1EEEvSK_,"axG",@progbits,_ZN7rocprim17ROCPRIM_400000_NS6detail17trampoline_kernelINS0_14default_configENS1_37merge_sort_block_sort_config_selectorIfNS0_10empty_typeEEEZNS1_21merge_sort_block_sortIS3_N6thrust23THRUST_200600_302600_NS6detail15normal_iteratorINS9_10device_ptrIfEEEESE_PS5_SF_14custom_greaterIfEEE10hipError_tT0_T1_T2_T3_mRjT4_P12ihipStream_tbNS1_7vsmem_tEEUlT_E_NS1_11comp_targetILNS1_3genE8ELNS1_11target_archE1030ELNS1_3gpuE2ELNS1_3repE0EEENS1_30default_config_static_selectorELNS0_4arch9wavefront6targetE1EEEvSK_,comdat
	.protected	_ZN7rocprim17ROCPRIM_400000_NS6detail17trampoline_kernelINS0_14default_configENS1_37merge_sort_block_sort_config_selectorIfNS0_10empty_typeEEEZNS1_21merge_sort_block_sortIS3_N6thrust23THRUST_200600_302600_NS6detail15normal_iteratorINS9_10device_ptrIfEEEESE_PS5_SF_14custom_greaterIfEEE10hipError_tT0_T1_T2_T3_mRjT4_P12ihipStream_tbNS1_7vsmem_tEEUlT_E_NS1_11comp_targetILNS1_3genE8ELNS1_11target_archE1030ELNS1_3gpuE2ELNS1_3repE0EEENS1_30default_config_static_selectorELNS0_4arch9wavefront6targetE1EEEvSK_ ; -- Begin function _ZN7rocprim17ROCPRIM_400000_NS6detail17trampoline_kernelINS0_14default_configENS1_37merge_sort_block_sort_config_selectorIfNS0_10empty_typeEEEZNS1_21merge_sort_block_sortIS3_N6thrust23THRUST_200600_302600_NS6detail15normal_iteratorINS9_10device_ptrIfEEEESE_PS5_SF_14custom_greaterIfEEE10hipError_tT0_T1_T2_T3_mRjT4_P12ihipStream_tbNS1_7vsmem_tEEUlT_E_NS1_11comp_targetILNS1_3genE8ELNS1_11target_archE1030ELNS1_3gpuE2ELNS1_3repE0EEENS1_30default_config_static_selectorELNS0_4arch9wavefront6targetE1EEEvSK_
	.globl	_ZN7rocprim17ROCPRIM_400000_NS6detail17trampoline_kernelINS0_14default_configENS1_37merge_sort_block_sort_config_selectorIfNS0_10empty_typeEEEZNS1_21merge_sort_block_sortIS3_N6thrust23THRUST_200600_302600_NS6detail15normal_iteratorINS9_10device_ptrIfEEEESE_PS5_SF_14custom_greaterIfEEE10hipError_tT0_T1_T2_T3_mRjT4_P12ihipStream_tbNS1_7vsmem_tEEUlT_E_NS1_11comp_targetILNS1_3genE8ELNS1_11target_archE1030ELNS1_3gpuE2ELNS1_3repE0EEENS1_30default_config_static_selectorELNS0_4arch9wavefront6targetE1EEEvSK_
	.p2align	8
	.type	_ZN7rocprim17ROCPRIM_400000_NS6detail17trampoline_kernelINS0_14default_configENS1_37merge_sort_block_sort_config_selectorIfNS0_10empty_typeEEEZNS1_21merge_sort_block_sortIS3_N6thrust23THRUST_200600_302600_NS6detail15normal_iteratorINS9_10device_ptrIfEEEESE_PS5_SF_14custom_greaterIfEEE10hipError_tT0_T1_T2_T3_mRjT4_P12ihipStream_tbNS1_7vsmem_tEEUlT_E_NS1_11comp_targetILNS1_3genE8ELNS1_11target_archE1030ELNS1_3gpuE2ELNS1_3repE0EEENS1_30default_config_static_selectorELNS0_4arch9wavefront6targetE1EEEvSK_,@function
_ZN7rocprim17ROCPRIM_400000_NS6detail17trampoline_kernelINS0_14default_configENS1_37merge_sort_block_sort_config_selectorIfNS0_10empty_typeEEEZNS1_21merge_sort_block_sortIS3_N6thrust23THRUST_200600_302600_NS6detail15normal_iteratorINS9_10device_ptrIfEEEESE_PS5_SF_14custom_greaterIfEEE10hipError_tT0_T1_T2_T3_mRjT4_P12ihipStream_tbNS1_7vsmem_tEEUlT_E_NS1_11comp_targetILNS1_3genE8ELNS1_11target_archE1030ELNS1_3gpuE2ELNS1_3repE0EEENS1_30default_config_static_selectorELNS0_4arch9wavefront6targetE1EEEvSK_: ; @_ZN7rocprim17ROCPRIM_400000_NS6detail17trampoline_kernelINS0_14default_configENS1_37merge_sort_block_sort_config_selectorIfNS0_10empty_typeEEEZNS1_21merge_sort_block_sortIS3_N6thrust23THRUST_200600_302600_NS6detail15normal_iteratorINS9_10device_ptrIfEEEESE_PS5_SF_14custom_greaterIfEEE10hipError_tT0_T1_T2_T3_mRjT4_P12ihipStream_tbNS1_7vsmem_tEEUlT_E_NS1_11comp_targetILNS1_3genE8ELNS1_11target_archE1030ELNS1_3gpuE2ELNS1_3repE0EEENS1_30default_config_static_selectorELNS0_4arch9wavefront6targetE1EEEvSK_
; %bb.0:
	.section	.rodata,"a",@progbits
	.p2align	6, 0x0
	.amdhsa_kernel _ZN7rocprim17ROCPRIM_400000_NS6detail17trampoline_kernelINS0_14default_configENS1_37merge_sort_block_sort_config_selectorIfNS0_10empty_typeEEEZNS1_21merge_sort_block_sortIS3_N6thrust23THRUST_200600_302600_NS6detail15normal_iteratorINS9_10device_ptrIfEEEESE_PS5_SF_14custom_greaterIfEEE10hipError_tT0_T1_T2_T3_mRjT4_P12ihipStream_tbNS1_7vsmem_tEEUlT_E_NS1_11comp_targetILNS1_3genE8ELNS1_11target_archE1030ELNS1_3gpuE2ELNS1_3repE0EEENS1_30default_config_static_selectorELNS0_4arch9wavefront6targetE1EEEvSK_
		.amdhsa_group_segment_fixed_size 0
		.amdhsa_private_segment_fixed_size 0
		.amdhsa_kernarg_size 64
		.amdhsa_user_sgpr_count 6
		.amdhsa_user_sgpr_private_segment_buffer 1
		.amdhsa_user_sgpr_dispatch_ptr 0
		.amdhsa_user_sgpr_queue_ptr 0
		.amdhsa_user_sgpr_kernarg_segment_ptr 1
		.amdhsa_user_sgpr_dispatch_id 0
		.amdhsa_user_sgpr_flat_scratch_init 0
		.amdhsa_user_sgpr_kernarg_preload_length 0
		.amdhsa_user_sgpr_kernarg_preload_offset 0
		.amdhsa_user_sgpr_private_segment_size 0
		.amdhsa_uses_dynamic_stack 0
		.amdhsa_system_sgpr_private_segment_wavefront_offset 0
		.amdhsa_system_sgpr_workgroup_id_x 1
		.amdhsa_system_sgpr_workgroup_id_y 0
		.amdhsa_system_sgpr_workgroup_id_z 0
		.amdhsa_system_sgpr_workgroup_info 0
		.amdhsa_system_vgpr_workitem_id 0
		.amdhsa_next_free_vgpr 1
		.amdhsa_next_free_sgpr 0
		.amdhsa_accum_offset 4
		.amdhsa_reserve_vcc 0
		.amdhsa_reserve_flat_scratch 0
		.amdhsa_float_round_mode_32 0
		.amdhsa_float_round_mode_16_64 0
		.amdhsa_float_denorm_mode_32 3
		.amdhsa_float_denorm_mode_16_64 3
		.amdhsa_dx10_clamp 1
		.amdhsa_ieee_mode 1
		.amdhsa_fp16_overflow 0
		.amdhsa_tg_split 0
		.amdhsa_exception_fp_ieee_invalid_op 0
		.amdhsa_exception_fp_denorm_src 0
		.amdhsa_exception_fp_ieee_div_zero 0
		.amdhsa_exception_fp_ieee_overflow 0
		.amdhsa_exception_fp_ieee_underflow 0
		.amdhsa_exception_fp_ieee_inexact 0
		.amdhsa_exception_int_div_zero 0
	.end_amdhsa_kernel
	.section	.text._ZN7rocprim17ROCPRIM_400000_NS6detail17trampoline_kernelINS0_14default_configENS1_37merge_sort_block_sort_config_selectorIfNS0_10empty_typeEEEZNS1_21merge_sort_block_sortIS3_N6thrust23THRUST_200600_302600_NS6detail15normal_iteratorINS9_10device_ptrIfEEEESE_PS5_SF_14custom_greaterIfEEE10hipError_tT0_T1_T2_T3_mRjT4_P12ihipStream_tbNS1_7vsmem_tEEUlT_E_NS1_11comp_targetILNS1_3genE8ELNS1_11target_archE1030ELNS1_3gpuE2ELNS1_3repE0EEENS1_30default_config_static_selectorELNS0_4arch9wavefront6targetE1EEEvSK_,"axG",@progbits,_ZN7rocprim17ROCPRIM_400000_NS6detail17trampoline_kernelINS0_14default_configENS1_37merge_sort_block_sort_config_selectorIfNS0_10empty_typeEEEZNS1_21merge_sort_block_sortIS3_N6thrust23THRUST_200600_302600_NS6detail15normal_iteratorINS9_10device_ptrIfEEEESE_PS5_SF_14custom_greaterIfEEE10hipError_tT0_T1_T2_T3_mRjT4_P12ihipStream_tbNS1_7vsmem_tEEUlT_E_NS1_11comp_targetILNS1_3genE8ELNS1_11target_archE1030ELNS1_3gpuE2ELNS1_3repE0EEENS1_30default_config_static_selectorELNS0_4arch9wavefront6targetE1EEEvSK_,comdat
.Lfunc_end3537:
	.size	_ZN7rocprim17ROCPRIM_400000_NS6detail17trampoline_kernelINS0_14default_configENS1_37merge_sort_block_sort_config_selectorIfNS0_10empty_typeEEEZNS1_21merge_sort_block_sortIS3_N6thrust23THRUST_200600_302600_NS6detail15normal_iteratorINS9_10device_ptrIfEEEESE_PS5_SF_14custom_greaterIfEEE10hipError_tT0_T1_T2_T3_mRjT4_P12ihipStream_tbNS1_7vsmem_tEEUlT_E_NS1_11comp_targetILNS1_3genE8ELNS1_11target_archE1030ELNS1_3gpuE2ELNS1_3repE0EEENS1_30default_config_static_selectorELNS0_4arch9wavefront6targetE1EEEvSK_, .Lfunc_end3537-_ZN7rocprim17ROCPRIM_400000_NS6detail17trampoline_kernelINS0_14default_configENS1_37merge_sort_block_sort_config_selectorIfNS0_10empty_typeEEEZNS1_21merge_sort_block_sortIS3_N6thrust23THRUST_200600_302600_NS6detail15normal_iteratorINS9_10device_ptrIfEEEESE_PS5_SF_14custom_greaterIfEEE10hipError_tT0_T1_T2_T3_mRjT4_P12ihipStream_tbNS1_7vsmem_tEEUlT_E_NS1_11comp_targetILNS1_3genE8ELNS1_11target_archE1030ELNS1_3gpuE2ELNS1_3repE0EEENS1_30default_config_static_selectorELNS0_4arch9wavefront6targetE1EEEvSK_
                                        ; -- End function
	.section	.AMDGPU.csdata,"",@progbits
; Kernel info:
; codeLenInByte = 0
; NumSgprs: 4
; NumVgprs: 0
; NumAgprs: 0
; TotalNumVgprs: 0
; ScratchSize: 0
; MemoryBound: 0
; FloatMode: 240
; IeeeMode: 1
; LDSByteSize: 0 bytes/workgroup (compile time only)
; SGPRBlocks: 0
; VGPRBlocks: 0
; NumSGPRsForWavesPerEU: 4
; NumVGPRsForWavesPerEU: 1
; AccumOffset: 4
; Occupancy: 8
; WaveLimiterHint : 0
; COMPUTE_PGM_RSRC2:SCRATCH_EN: 0
; COMPUTE_PGM_RSRC2:USER_SGPR: 6
; COMPUTE_PGM_RSRC2:TRAP_HANDLER: 0
; COMPUTE_PGM_RSRC2:TGID_X_EN: 1
; COMPUTE_PGM_RSRC2:TGID_Y_EN: 0
; COMPUTE_PGM_RSRC2:TGID_Z_EN: 0
; COMPUTE_PGM_RSRC2:TIDIG_COMP_CNT: 0
; COMPUTE_PGM_RSRC3_GFX90A:ACCUM_OFFSET: 0
; COMPUTE_PGM_RSRC3_GFX90A:TG_SPLIT: 0
	.section	.text._ZN7rocprim17ROCPRIM_400000_NS6detail17trampoline_kernelINS0_14default_configENS1_38merge_sort_block_merge_config_selectorIfNS0_10empty_typeEEEZZNS1_27merge_sort_block_merge_implIS3_N6thrust23THRUST_200600_302600_NS6detail15normal_iteratorINS9_10device_ptrIfEEEEPS5_m14custom_greaterIfEEE10hipError_tT0_T1_T2_jT3_P12ihipStream_tbPNSt15iterator_traitsISJ_E10value_typeEPNSP_ISK_E10value_typeEPSL_NS1_7vsmem_tEENKUlT_SJ_SK_SL_E_clIPfSE_SF_SF_EESI_SY_SJ_SK_SL_EUlSY_E_NS1_11comp_targetILNS1_3genE0ELNS1_11target_archE4294967295ELNS1_3gpuE0ELNS1_3repE0EEENS1_48merge_mergepath_partition_config_static_selectorELNS0_4arch9wavefront6targetE1EEEvSK_,"axG",@progbits,_ZN7rocprim17ROCPRIM_400000_NS6detail17trampoline_kernelINS0_14default_configENS1_38merge_sort_block_merge_config_selectorIfNS0_10empty_typeEEEZZNS1_27merge_sort_block_merge_implIS3_N6thrust23THRUST_200600_302600_NS6detail15normal_iteratorINS9_10device_ptrIfEEEEPS5_m14custom_greaterIfEEE10hipError_tT0_T1_T2_jT3_P12ihipStream_tbPNSt15iterator_traitsISJ_E10value_typeEPNSP_ISK_E10value_typeEPSL_NS1_7vsmem_tEENKUlT_SJ_SK_SL_E_clIPfSE_SF_SF_EESI_SY_SJ_SK_SL_EUlSY_E_NS1_11comp_targetILNS1_3genE0ELNS1_11target_archE4294967295ELNS1_3gpuE0ELNS1_3repE0EEENS1_48merge_mergepath_partition_config_static_selectorELNS0_4arch9wavefront6targetE1EEEvSK_,comdat
	.protected	_ZN7rocprim17ROCPRIM_400000_NS6detail17trampoline_kernelINS0_14default_configENS1_38merge_sort_block_merge_config_selectorIfNS0_10empty_typeEEEZZNS1_27merge_sort_block_merge_implIS3_N6thrust23THRUST_200600_302600_NS6detail15normal_iteratorINS9_10device_ptrIfEEEEPS5_m14custom_greaterIfEEE10hipError_tT0_T1_T2_jT3_P12ihipStream_tbPNSt15iterator_traitsISJ_E10value_typeEPNSP_ISK_E10value_typeEPSL_NS1_7vsmem_tEENKUlT_SJ_SK_SL_E_clIPfSE_SF_SF_EESI_SY_SJ_SK_SL_EUlSY_E_NS1_11comp_targetILNS1_3genE0ELNS1_11target_archE4294967295ELNS1_3gpuE0ELNS1_3repE0EEENS1_48merge_mergepath_partition_config_static_selectorELNS0_4arch9wavefront6targetE1EEEvSK_ ; -- Begin function _ZN7rocprim17ROCPRIM_400000_NS6detail17trampoline_kernelINS0_14default_configENS1_38merge_sort_block_merge_config_selectorIfNS0_10empty_typeEEEZZNS1_27merge_sort_block_merge_implIS3_N6thrust23THRUST_200600_302600_NS6detail15normal_iteratorINS9_10device_ptrIfEEEEPS5_m14custom_greaterIfEEE10hipError_tT0_T1_T2_jT3_P12ihipStream_tbPNSt15iterator_traitsISJ_E10value_typeEPNSP_ISK_E10value_typeEPSL_NS1_7vsmem_tEENKUlT_SJ_SK_SL_E_clIPfSE_SF_SF_EESI_SY_SJ_SK_SL_EUlSY_E_NS1_11comp_targetILNS1_3genE0ELNS1_11target_archE4294967295ELNS1_3gpuE0ELNS1_3repE0EEENS1_48merge_mergepath_partition_config_static_selectorELNS0_4arch9wavefront6targetE1EEEvSK_
	.globl	_ZN7rocprim17ROCPRIM_400000_NS6detail17trampoline_kernelINS0_14default_configENS1_38merge_sort_block_merge_config_selectorIfNS0_10empty_typeEEEZZNS1_27merge_sort_block_merge_implIS3_N6thrust23THRUST_200600_302600_NS6detail15normal_iteratorINS9_10device_ptrIfEEEEPS5_m14custom_greaterIfEEE10hipError_tT0_T1_T2_jT3_P12ihipStream_tbPNSt15iterator_traitsISJ_E10value_typeEPNSP_ISK_E10value_typeEPSL_NS1_7vsmem_tEENKUlT_SJ_SK_SL_E_clIPfSE_SF_SF_EESI_SY_SJ_SK_SL_EUlSY_E_NS1_11comp_targetILNS1_3genE0ELNS1_11target_archE4294967295ELNS1_3gpuE0ELNS1_3repE0EEENS1_48merge_mergepath_partition_config_static_selectorELNS0_4arch9wavefront6targetE1EEEvSK_
	.p2align	8
	.type	_ZN7rocprim17ROCPRIM_400000_NS6detail17trampoline_kernelINS0_14default_configENS1_38merge_sort_block_merge_config_selectorIfNS0_10empty_typeEEEZZNS1_27merge_sort_block_merge_implIS3_N6thrust23THRUST_200600_302600_NS6detail15normal_iteratorINS9_10device_ptrIfEEEEPS5_m14custom_greaterIfEEE10hipError_tT0_T1_T2_jT3_P12ihipStream_tbPNSt15iterator_traitsISJ_E10value_typeEPNSP_ISK_E10value_typeEPSL_NS1_7vsmem_tEENKUlT_SJ_SK_SL_E_clIPfSE_SF_SF_EESI_SY_SJ_SK_SL_EUlSY_E_NS1_11comp_targetILNS1_3genE0ELNS1_11target_archE4294967295ELNS1_3gpuE0ELNS1_3repE0EEENS1_48merge_mergepath_partition_config_static_selectorELNS0_4arch9wavefront6targetE1EEEvSK_,@function
_ZN7rocprim17ROCPRIM_400000_NS6detail17trampoline_kernelINS0_14default_configENS1_38merge_sort_block_merge_config_selectorIfNS0_10empty_typeEEEZZNS1_27merge_sort_block_merge_implIS3_N6thrust23THRUST_200600_302600_NS6detail15normal_iteratorINS9_10device_ptrIfEEEEPS5_m14custom_greaterIfEEE10hipError_tT0_T1_T2_jT3_P12ihipStream_tbPNSt15iterator_traitsISJ_E10value_typeEPNSP_ISK_E10value_typeEPSL_NS1_7vsmem_tEENKUlT_SJ_SK_SL_E_clIPfSE_SF_SF_EESI_SY_SJ_SK_SL_EUlSY_E_NS1_11comp_targetILNS1_3genE0ELNS1_11target_archE4294967295ELNS1_3gpuE0ELNS1_3repE0EEENS1_48merge_mergepath_partition_config_static_selectorELNS0_4arch9wavefront6targetE1EEEvSK_: ; @_ZN7rocprim17ROCPRIM_400000_NS6detail17trampoline_kernelINS0_14default_configENS1_38merge_sort_block_merge_config_selectorIfNS0_10empty_typeEEEZZNS1_27merge_sort_block_merge_implIS3_N6thrust23THRUST_200600_302600_NS6detail15normal_iteratorINS9_10device_ptrIfEEEEPS5_m14custom_greaterIfEEE10hipError_tT0_T1_T2_jT3_P12ihipStream_tbPNSt15iterator_traitsISJ_E10value_typeEPNSP_ISK_E10value_typeEPSL_NS1_7vsmem_tEENKUlT_SJ_SK_SL_E_clIPfSE_SF_SF_EESI_SY_SJ_SK_SL_EUlSY_E_NS1_11comp_targetILNS1_3genE0ELNS1_11target_archE4294967295ELNS1_3gpuE0ELNS1_3repE0EEENS1_48merge_mergepath_partition_config_static_selectorELNS0_4arch9wavefront6targetE1EEEvSK_
; %bb.0:
	.section	.rodata,"a",@progbits
	.p2align	6, 0x0
	.amdhsa_kernel _ZN7rocprim17ROCPRIM_400000_NS6detail17trampoline_kernelINS0_14default_configENS1_38merge_sort_block_merge_config_selectorIfNS0_10empty_typeEEEZZNS1_27merge_sort_block_merge_implIS3_N6thrust23THRUST_200600_302600_NS6detail15normal_iteratorINS9_10device_ptrIfEEEEPS5_m14custom_greaterIfEEE10hipError_tT0_T1_T2_jT3_P12ihipStream_tbPNSt15iterator_traitsISJ_E10value_typeEPNSP_ISK_E10value_typeEPSL_NS1_7vsmem_tEENKUlT_SJ_SK_SL_E_clIPfSE_SF_SF_EESI_SY_SJ_SK_SL_EUlSY_E_NS1_11comp_targetILNS1_3genE0ELNS1_11target_archE4294967295ELNS1_3gpuE0ELNS1_3repE0EEENS1_48merge_mergepath_partition_config_static_selectorELNS0_4arch9wavefront6targetE1EEEvSK_
		.amdhsa_group_segment_fixed_size 0
		.amdhsa_private_segment_fixed_size 0
		.amdhsa_kernarg_size 48
		.amdhsa_user_sgpr_count 6
		.amdhsa_user_sgpr_private_segment_buffer 1
		.amdhsa_user_sgpr_dispatch_ptr 0
		.amdhsa_user_sgpr_queue_ptr 0
		.amdhsa_user_sgpr_kernarg_segment_ptr 1
		.amdhsa_user_sgpr_dispatch_id 0
		.amdhsa_user_sgpr_flat_scratch_init 0
		.amdhsa_user_sgpr_kernarg_preload_length 0
		.amdhsa_user_sgpr_kernarg_preload_offset 0
		.amdhsa_user_sgpr_private_segment_size 0
		.amdhsa_uses_dynamic_stack 0
		.amdhsa_system_sgpr_private_segment_wavefront_offset 0
		.amdhsa_system_sgpr_workgroup_id_x 1
		.amdhsa_system_sgpr_workgroup_id_y 0
		.amdhsa_system_sgpr_workgroup_id_z 0
		.amdhsa_system_sgpr_workgroup_info 0
		.amdhsa_system_vgpr_workitem_id 0
		.amdhsa_next_free_vgpr 1
		.amdhsa_next_free_sgpr 0
		.amdhsa_accum_offset 4
		.amdhsa_reserve_vcc 0
		.amdhsa_reserve_flat_scratch 0
		.amdhsa_float_round_mode_32 0
		.amdhsa_float_round_mode_16_64 0
		.amdhsa_float_denorm_mode_32 3
		.amdhsa_float_denorm_mode_16_64 3
		.amdhsa_dx10_clamp 1
		.amdhsa_ieee_mode 1
		.amdhsa_fp16_overflow 0
		.amdhsa_tg_split 0
		.amdhsa_exception_fp_ieee_invalid_op 0
		.amdhsa_exception_fp_denorm_src 0
		.amdhsa_exception_fp_ieee_div_zero 0
		.amdhsa_exception_fp_ieee_overflow 0
		.amdhsa_exception_fp_ieee_underflow 0
		.amdhsa_exception_fp_ieee_inexact 0
		.amdhsa_exception_int_div_zero 0
	.end_amdhsa_kernel
	.section	.text._ZN7rocprim17ROCPRIM_400000_NS6detail17trampoline_kernelINS0_14default_configENS1_38merge_sort_block_merge_config_selectorIfNS0_10empty_typeEEEZZNS1_27merge_sort_block_merge_implIS3_N6thrust23THRUST_200600_302600_NS6detail15normal_iteratorINS9_10device_ptrIfEEEEPS5_m14custom_greaterIfEEE10hipError_tT0_T1_T2_jT3_P12ihipStream_tbPNSt15iterator_traitsISJ_E10value_typeEPNSP_ISK_E10value_typeEPSL_NS1_7vsmem_tEENKUlT_SJ_SK_SL_E_clIPfSE_SF_SF_EESI_SY_SJ_SK_SL_EUlSY_E_NS1_11comp_targetILNS1_3genE0ELNS1_11target_archE4294967295ELNS1_3gpuE0ELNS1_3repE0EEENS1_48merge_mergepath_partition_config_static_selectorELNS0_4arch9wavefront6targetE1EEEvSK_,"axG",@progbits,_ZN7rocprim17ROCPRIM_400000_NS6detail17trampoline_kernelINS0_14default_configENS1_38merge_sort_block_merge_config_selectorIfNS0_10empty_typeEEEZZNS1_27merge_sort_block_merge_implIS3_N6thrust23THRUST_200600_302600_NS6detail15normal_iteratorINS9_10device_ptrIfEEEEPS5_m14custom_greaterIfEEE10hipError_tT0_T1_T2_jT3_P12ihipStream_tbPNSt15iterator_traitsISJ_E10value_typeEPNSP_ISK_E10value_typeEPSL_NS1_7vsmem_tEENKUlT_SJ_SK_SL_E_clIPfSE_SF_SF_EESI_SY_SJ_SK_SL_EUlSY_E_NS1_11comp_targetILNS1_3genE0ELNS1_11target_archE4294967295ELNS1_3gpuE0ELNS1_3repE0EEENS1_48merge_mergepath_partition_config_static_selectorELNS0_4arch9wavefront6targetE1EEEvSK_,comdat
.Lfunc_end3538:
	.size	_ZN7rocprim17ROCPRIM_400000_NS6detail17trampoline_kernelINS0_14default_configENS1_38merge_sort_block_merge_config_selectorIfNS0_10empty_typeEEEZZNS1_27merge_sort_block_merge_implIS3_N6thrust23THRUST_200600_302600_NS6detail15normal_iteratorINS9_10device_ptrIfEEEEPS5_m14custom_greaterIfEEE10hipError_tT0_T1_T2_jT3_P12ihipStream_tbPNSt15iterator_traitsISJ_E10value_typeEPNSP_ISK_E10value_typeEPSL_NS1_7vsmem_tEENKUlT_SJ_SK_SL_E_clIPfSE_SF_SF_EESI_SY_SJ_SK_SL_EUlSY_E_NS1_11comp_targetILNS1_3genE0ELNS1_11target_archE4294967295ELNS1_3gpuE0ELNS1_3repE0EEENS1_48merge_mergepath_partition_config_static_selectorELNS0_4arch9wavefront6targetE1EEEvSK_, .Lfunc_end3538-_ZN7rocprim17ROCPRIM_400000_NS6detail17trampoline_kernelINS0_14default_configENS1_38merge_sort_block_merge_config_selectorIfNS0_10empty_typeEEEZZNS1_27merge_sort_block_merge_implIS3_N6thrust23THRUST_200600_302600_NS6detail15normal_iteratorINS9_10device_ptrIfEEEEPS5_m14custom_greaterIfEEE10hipError_tT0_T1_T2_jT3_P12ihipStream_tbPNSt15iterator_traitsISJ_E10value_typeEPNSP_ISK_E10value_typeEPSL_NS1_7vsmem_tEENKUlT_SJ_SK_SL_E_clIPfSE_SF_SF_EESI_SY_SJ_SK_SL_EUlSY_E_NS1_11comp_targetILNS1_3genE0ELNS1_11target_archE4294967295ELNS1_3gpuE0ELNS1_3repE0EEENS1_48merge_mergepath_partition_config_static_selectorELNS0_4arch9wavefront6targetE1EEEvSK_
                                        ; -- End function
	.section	.AMDGPU.csdata,"",@progbits
; Kernel info:
; codeLenInByte = 0
; NumSgprs: 4
; NumVgprs: 0
; NumAgprs: 0
; TotalNumVgprs: 0
; ScratchSize: 0
; MemoryBound: 0
; FloatMode: 240
; IeeeMode: 1
; LDSByteSize: 0 bytes/workgroup (compile time only)
; SGPRBlocks: 0
; VGPRBlocks: 0
; NumSGPRsForWavesPerEU: 4
; NumVGPRsForWavesPerEU: 1
; AccumOffset: 4
; Occupancy: 8
; WaveLimiterHint : 0
; COMPUTE_PGM_RSRC2:SCRATCH_EN: 0
; COMPUTE_PGM_RSRC2:USER_SGPR: 6
; COMPUTE_PGM_RSRC2:TRAP_HANDLER: 0
; COMPUTE_PGM_RSRC2:TGID_X_EN: 1
; COMPUTE_PGM_RSRC2:TGID_Y_EN: 0
; COMPUTE_PGM_RSRC2:TGID_Z_EN: 0
; COMPUTE_PGM_RSRC2:TIDIG_COMP_CNT: 0
; COMPUTE_PGM_RSRC3_GFX90A:ACCUM_OFFSET: 0
; COMPUTE_PGM_RSRC3_GFX90A:TG_SPLIT: 0
	.section	.text._ZN7rocprim17ROCPRIM_400000_NS6detail17trampoline_kernelINS0_14default_configENS1_38merge_sort_block_merge_config_selectorIfNS0_10empty_typeEEEZZNS1_27merge_sort_block_merge_implIS3_N6thrust23THRUST_200600_302600_NS6detail15normal_iteratorINS9_10device_ptrIfEEEEPS5_m14custom_greaterIfEEE10hipError_tT0_T1_T2_jT3_P12ihipStream_tbPNSt15iterator_traitsISJ_E10value_typeEPNSP_ISK_E10value_typeEPSL_NS1_7vsmem_tEENKUlT_SJ_SK_SL_E_clIPfSE_SF_SF_EESI_SY_SJ_SK_SL_EUlSY_E_NS1_11comp_targetILNS1_3genE10ELNS1_11target_archE1201ELNS1_3gpuE5ELNS1_3repE0EEENS1_48merge_mergepath_partition_config_static_selectorELNS0_4arch9wavefront6targetE1EEEvSK_,"axG",@progbits,_ZN7rocprim17ROCPRIM_400000_NS6detail17trampoline_kernelINS0_14default_configENS1_38merge_sort_block_merge_config_selectorIfNS0_10empty_typeEEEZZNS1_27merge_sort_block_merge_implIS3_N6thrust23THRUST_200600_302600_NS6detail15normal_iteratorINS9_10device_ptrIfEEEEPS5_m14custom_greaterIfEEE10hipError_tT0_T1_T2_jT3_P12ihipStream_tbPNSt15iterator_traitsISJ_E10value_typeEPNSP_ISK_E10value_typeEPSL_NS1_7vsmem_tEENKUlT_SJ_SK_SL_E_clIPfSE_SF_SF_EESI_SY_SJ_SK_SL_EUlSY_E_NS1_11comp_targetILNS1_3genE10ELNS1_11target_archE1201ELNS1_3gpuE5ELNS1_3repE0EEENS1_48merge_mergepath_partition_config_static_selectorELNS0_4arch9wavefront6targetE1EEEvSK_,comdat
	.protected	_ZN7rocprim17ROCPRIM_400000_NS6detail17trampoline_kernelINS0_14default_configENS1_38merge_sort_block_merge_config_selectorIfNS0_10empty_typeEEEZZNS1_27merge_sort_block_merge_implIS3_N6thrust23THRUST_200600_302600_NS6detail15normal_iteratorINS9_10device_ptrIfEEEEPS5_m14custom_greaterIfEEE10hipError_tT0_T1_T2_jT3_P12ihipStream_tbPNSt15iterator_traitsISJ_E10value_typeEPNSP_ISK_E10value_typeEPSL_NS1_7vsmem_tEENKUlT_SJ_SK_SL_E_clIPfSE_SF_SF_EESI_SY_SJ_SK_SL_EUlSY_E_NS1_11comp_targetILNS1_3genE10ELNS1_11target_archE1201ELNS1_3gpuE5ELNS1_3repE0EEENS1_48merge_mergepath_partition_config_static_selectorELNS0_4arch9wavefront6targetE1EEEvSK_ ; -- Begin function _ZN7rocprim17ROCPRIM_400000_NS6detail17trampoline_kernelINS0_14default_configENS1_38merge_sort_block_merge_config_selectorIfNS0_10empty_typeEEEZZNS1_27merge_sort_block_merge_implIS3_N6thrust23THRUST_200600_302600_NS6detail15normal_iteratorINS9_10device_ptrIfEEEEPS5_m14custom_greaterIfEEE10hipError_tT0_T1_T2_jT3_P12ihipStream_tbPNSt15iterator_traitsISJ_E10value_typeEPNSP_ISK_E10value_typeEPSL_NS1_7vsmem_tEENKUlT_SJ_SK_SL_E_clIPfSE_SF_SF_EESI_SY_SJ_SK_SL_EUlSY_E_NS1_11comp_targetILNS1_3genE10ELNS1_11target_archE1201ELNS1_3gpuE5ELNS1_3repE0EEENS1_48merge_mergepath_partition_config_static_selectorELNS0_4arch9wavefront6targetE1EEEvSK_
	.globl	_ZN7rocprim17ROCPRIM_400000_NS6detail17trampoline_kernelINS0_14default_configENS1_38merge_sort_block_merge_config_selectorIfNS0_10empty_typeEEEZZNS1_27merge_sort_block_merge_implIS3_N6thrust23THRUST_200600_302600_NS6detail15normal_iteratorINS9_10device_ptrIfEEEEPS5_m14custom_greaterIfEEE10hipError_tT0_T1_T2_jT3_P12ihipStream_tbPNSt15iterator_traitsISJ_E10value_typeEPNSP_ISK_E10value_typeEPSL_NS1_7vsmem_tEENKUlT_SJ_SK_SL_E_clIPfSE_SF_SF_EESI_SY_SJ_SK_SL_EUlSY_E_NS1_11comp_targetILNS1_3genE10ELNS1_11target_archE1201ELNS1_3gpuE5ELNS1_3repE0EEENS1_48merge_mergepath_partition_config_static_selectorELNS0_4arch9wavefront6targetE1EEEvSK_
	.p2align	8
	.type	_ZN7rocprim17ROCPRIM_400000_NS6detail17trampoline_kernelINS0_14default_configENS1_38merge_sort_block_merge_config_selectorIfNS0_10empty_typeEEEZZNS1_27merge_sort_block_merge_implIS3_N6thrust23THRUST_200600_302600_NS6detail15normal_iteratorINS9_10device_ptrIfEEEEPS5_m14custom_greaterIfEEE10hipError_tT0_T1_T2_jT3_P12ihipStream_tbPNSt15iterator_traitsISJ_E10value_typeEPNSP_ISK_E10value_typeEPSL_NS1_7vsmem_tEENKUlT_SJ_SK_SL_E_clIPfSE_SF_SF_EESI_SY_SJ_SK_SL_EUlSY_E_NS1_11comp_targetILNS1_3genE10ELNS1_11target_archE1201ELNS1_3gpuE5ELNS1_3repE0EEENS1_48merge_mergepath_partition_config_static_selectorELNS0_4arch9wavefront6targetE1EEEvSK_,@function
_ZN7rocprim17ROCPRIM_400000_NS6detail17trampoline_kernelINS0_14default_configENS1_38merge_sort_block_merge_config_selectorIfNS0_10empty_typeEEEZZNS1_27merge_sort_block_merge_implIS3_N6thrust23THRUST_200600_302600_NS6detail15normal_iteratorINS9_10device_ptrIfEEEEPS5_m14custom_greaterIfEEE10hipError_tT0_T1_T2_jT3_P12ihipStream_tbPNSt15iterator_traitsISJ_E10value_typeEPNSP_ISK_E10value_typeEPSL_NS1_7vsmem_tEENKUlT_SJ_SK_SL_E_clIPfSE_SF_SF_EESI_SY_SJ_SK_SL_EUlSY_E_NS1_11comp_targetILNS1_3genE10ELNS1_11target_archE1201ELNS1_3gpuE5ELNS1_3repE0EEENS1_48merge_mergepath_partition_config_static_selectorELNS0_4arch9wavefront6targetE1EEEvSK_: ; @_ZN7rocprim17ROCPRIM_400000_NS6detail17trampoline_kernelINS0_14default_configENS1_38merge_sort_block_merge_config_selectorIfNS0_10empty_typeEEEZZNS1_27merge_sort_block_merge_implIS3_N6thrust23THRUST_200600_302600_NS6detail15normal_iteratorINS9_10device_ptrIfEEEEPS5_m14custom_greaterIfEEE10hipError_tT0_T1_T2_jT3_P12ihipStream_tbPNSt15iterator_traitsISJ_E10value_typeEPNSP_ISK_E10value_typeEPSL_NS1_7vsmem_tEENKUlT_SJ_SK_SL_E_clIPfSE_SF_SF_EESI_SY_SJ_SK_SL_EUlSY_E_NS1_11comp_targetILNS1_3genE10ELNS1_11target_archE1201ELNS1_3gpuE5ELNS1_3repE0EEENS1_48merge_mergepath_partition_config_static_selectorELNS0_4arch9wavefront6targetE1EEEvSK_
; %bb.0:
	.section	.rodata,"a",@progbits
	.p2align	6, 0x0
	.amdhsa_kernel _ZN7rocprim17ROCPRIM_400000_NS6detail17trampoline_kernelINS0_14default_configENS1_38merge_sort_block_merge_config_selectorIfNS0_10empty_typeEEEZZNS1_27merge_sort_block_merge_implIS3_N6thrust23THRUST_200600_302600_NS6detail15normal_iteratorINS9_10device_ptrIfEEEEPS5_m14custom_greaterIfEEE10hipError_tT0_T1_T2_jT3_P12ihipStream_tbPNSt15iterator_traitsISJ_E10value_typeEPNSP_ISK_E10value_typeEPSL_NS1_7vsmem_tEENKUlT_SJ_SK_SL_E_clIPfSE_SF_SF_EESI_SY_SJ_SK_SL_EUlSY_E_NS1_11comp_targetILNS1_3genE10ELNS1_11target_archE1201ELNS1_3gpuE5ELNS1_3repE0EEENS1_48merge_mergepath_partition_config_static_selectorELNS0_4arch9wavefront6targetE1EEEvSK_
		.amdhsa_group_segment_fixed_size 0
		.amdhsa_private_segment_fixed_size 0
		.amdhsa_kernarg_size 48
		.amdhsa_user_sgpr_count 6
		.amdhsa_user_sgpr_private_segment_buffer 1
		.amdhsa_user_sgpr_dispatch_ptr 0
		.amdhsa_user_sgpr_queue_ptr 0
		.amdhsa_user_sgpr_kernarg_segment_ptr 1
		.amdhsa_user_sgpr_dispatch_id 0
		.amdhsa_user_sgpr_flat_scratch_init 0
		.amdhsa_user_sgpr_kernarg_preload_length 0
		.amdhsa_user_sgpr_kernarg_preload_offset 0
		.amdhsa_user_sgpr_private_segment_size 0
		.amdhsa_uses_dynamic_stack 0
		.amdhsa_system_sgpr_private_segment_wavefront_offset 0
		.amdhsa_system_sgpr_workgroup_id_x 1
		.amdhsa_system_sgpr_workgroup_id_y 0
		.amdhsa_system_sgpr_workgroup_id_z 0
		.amdhsa_system_sgpr_workgroup_info 0
		.amdhsa_system_vgpr_workitem_id 0
		.amdhsa_next_free_vgpr 1
		.amdhsa_next_free_sgpr 0
		.amdhsa_accum_offset 4
		.amdhsa_reserve_vcc 0
		.amdhsa_reserve_flat_scratch 0
		.amdhsa_float_round_mode_32 0
		.amdhsa_float_round_mode_16_64 0
		.amdhsa_float_denorm_mode_32 3
		.amdhsa_float_denorm_mode_16_64 3
		.amdhsa_dx10_clamp 1
		.amdhsa_ieee_mode 1
		.amdhsa_fp16_overflow 0
		.amdhsa_tg_split 0
		.amdhsa_exception_fp_ieee_invalid_op 0
		.amdhsa_exception_fp_denorm_src 0
		.amdhsa_exception_fp_ieee_div_zero 0
		.amdhsa_exception_fp_ieee_overflow 0
		.amdhsa_exception_fp_ieee_underflow 0
		.amdhsa_exception_fp_ieee_inexact 0
		.amdhsa_exception_int_div_zero 0
	.end_amdhsa_kernel
	.section	.text._ZN7rocprim17ROCPRIM_400000_NS6detail17trampoline_kernelINS0_14default_configENS1_38merge_sort_block_merge_config_selectorIfNS0_10empty_typeEEEZZNS1_27merge_sort_block_merge_implIS3_N6thrust23THRUST_200600_302600_NS6detail15normal_iteratorINS9_10device_ptrIfEEEEPS5_m14custom_greaterIfEEE10hipError_tT0_T1_T2_jT3_P12ihipStream_tbPNSt15iterator_traitsISJ_E10value_typeEPNSP_ISK_E10value_typeEPSL_NS1_7vsmem_tEENKUlT_SJ_SK_SL_E_clIPfSE_SF_SF_EESI_SY_SJ_SK_SL_EUlSY_E_NS1_11comp_targetILNS1_3genE10ELNS1_11target_archE1201ELNS1_3gpuE5ELNS1_3repE0EEENS1_48merge_mergepath_partition_config_static_selectorELNS0_4arch9wavefront6targetE1EEEvSK_,"axG",@progbits,_ZN7rocprim17ROCPRIM_400000_NS6detail17trampoline_kernelINS0_14default_configENS1_38merge_sort_block_merge_config_selectorIfNS0_10empty_typeEEEZZNS1_27merge_sort_block_merge_implIS3_N6thrust23THRUST_200600_302600_NS6detail15normal_iteratorINS9_10device_ptrIfEEEEPS5_m14custom_greaterIfEEE10hipError_tT0_T1_T2_jT3_P12ihipStream_tbPNSt15iterator_traitsISJ_E10value_typeEPNSP_ISK_E10value_typeEPSL_NS1_7vsmem_tEENKUlT_SJ_SK_SL_E_clIPfSE_SF_SF_EESI_SY_SJ_SK_SL_EUlSY_E_NS1_11comp_targetILNS1_3genE10ELNS1_11target_archE1201ELNS1_3gpuE5ELNS1_3repE0EEENS1_48merge_mergepath_partition_config_static_selectorELNS0_4arch9wavefront6targetE1EEEvSK_,comdat
.Lfunc_end3539:
	.size	_ZN7rocprim17ROCPRIM_400000_NS6detail17trampoline_kernelINS0_14default_configENS1_38merge_sort_block_merge_config_selectorIfNS0_10empty_typeEEEZZNS1_27merge_sort_block_merge_implIS3_N6thrust23THRUST_200600_302600_NS6detail15normal_iteratorINS9_10device_ptrIfEEEEPS5_m14custom_greaterIfEEE10hipError_tT0_T1_T2_jT3_P12ihipStream_tbPNSt15iterator_traitsISJ_E10value_typeEPNSP_ISK_E10value_typeEPSL_NS1_7vsmem_tEENKUlT_SJ_SK_SL_E_clIPfSE_SF_SF_EESI_SY_SJ_SK_SL_EUlSY_E_NS1_11comp_targetILNS1_3genE10ELNS1_11target_archE1201ELNS1_3gpuE5ELNS1_3repE0EEENS1_48merge_mergepath_partition_config_static_selectorELNS0_4arch9wavefront6targetE1EEEvSK_, .Lfunc_end3539-_ZN7rocprim17ROCPRIM_400000_NS6detail17trampoline_kernelINS0_14default_configENS1_38merge_sort_block_merge_config_selectorIfNS0_10empty_typeEEEZZNS1_27merge_sort_block_merge_implIS3_N6thrust23THRUST_200600_302600_NS6detail15normal_iteratorINS9_10device_ptrIfEEEEPS5_m14custom_greaterIfEEE10hipError_tT0_T1_T2_jT3_P12ihipStream_tbPNSt15iterator_traitsISJ_E10value_typeEPNSP_ISK_E10value_typeEPSL_NS1_7vsmem_tEENKUlT_SJ_SK_SL_E_clIPfSE_SF_SF_EESI_SY_SJ_SK_SL_EUlSY_E_NS1_11comp_targetILNS1_3genE10ELNS1_11target_archE1201ELNS1_3gpuE5ELNS1_3repE0EEENS1_48merge_mergepath_partition_config_static_selectorELNS0_4arch9wavefront6targetE1EEEvSK_
                                        ; -- End function
	.section	.AMDGPU.csdata,"",@progbits
; Kernel info:
; codeLenInByte = 0
; NumSgprs: 4
; NumVgprs: 0
; NumAgprs: 0
; TotalNumVgprs: 0
; ScratchSize: 0
; MemoryBound: 0
; FloatMode: 240
; IeeeMode: 1
; LDSByteSize: 0 bytes/workgroup (compile time only)
; SGPRBlocks: 0
; VGPRBlocks: 0
; NumSGPRsForWavesPerEU: 4
; NumVGPRsForWavesPerEU: 1
; AccumOffset: 4
; Occupancy: 8
; WaveLimiterHint : 0
; COMPUTE_PGM_RSRC2:SCRATCH_EN: 0
; COMPUTE_PGM_RSRC2:USER_SGPR: 6
; COMPUTE_PGM_RSRC2:TRAP_HANDLER: 0
; COMPUTE_PGM_RSRC2:TGID_X_EN: 1
; COMPUTE_PGM_RSRC2:TGID_Y_EN: 0
; COMPUTE_PGM_RSRC2:TGID_Z_EN: 0
; COMPUTE_PGM_RSRC2:TIDIG_COMP_CNT: 0
; COMPUTE_PGM_RSRC3_GFX90A:ACCUM_OFFSET: 0
; COMPUTE_PGM_RSRC3_GFX90A:TG_SPLIT: 0
	.section	.text._ZN7rocprim17ROCPRIM_400000_NS6detail17trampoline_kernelINS0_14default_configENS1_38merge_sort_block_merge_config_selectorIfNS0_10empty_typeEEEZZNS1_27merge_sort_block_merge_implIS3_N6thrust23THRUST_200600_302600_NS6detail15normal_iteratorINS9_10device_ptrIfEEEEPS5_m14custom_greaterIfEEE10hipError_tT0_T1_T2_jT3_P12ihipStream_tbPNSt15iterator_traitsISJ_E10value_typeEPNSP_ISK_E10value_typeEPSL_NS1_7vsmem_tEENKUlT_SJ_SK_SL_E_clIPfSE_SF_SF_EESI_SY_SJ_SK_SL_EUlSY_E_NS1_11comp_targetILNS1_3genE5ELNS1_11target_archE942ELNS1_3gpuE9ELNS1_3repE0EEENS1_48merge_mergepath_partition_config_static_selectorELNS0_4arch9wavefront6targetE1EEEvSK_,"axG",@progbits,_ZN7rocprim17ROCPRIM_400000_NS6detail17trampoline_kernelINS0_14default_configENS1_38merge_sort_block_merge_config_selectorIfNS0_10empty_typeEEEZZNS1_27merge_sort_block_merge_implIS3_N6thrust23THRUST_200600_302600_NS6detail15normal_iteratorINS9_10device_ptrIfEEEEPS5_m14custom_greaterIfEEE10hipError_tT0_T1_T2_jT3_P12ihipStream_tbPNSt15iterator_traitsISJ_E10value_typeEPNSP_ISK_E10value_typeEPSL_NS1_7vsmem_tEENKUlT_SJ_SK_SL_E_clIPfSE_SF_SF_EESI_SY_SJ_SK_SL_EUlSY_E_NS1_11comp_targetILNS1_3genE5ELNS1_11target_archE942ELNS1_3gpuE9ELNS1_3repE0EEENS1_48merge_mergepath_partition_config_static_selectorELNS0_4arch9wavefront6targetE1EEEvSK_,comdat
	.protected	_ZN7rocprim17ROCPRIM_400000_NS6detail17trampoline_kernelINS0_14default_configENS1_38merge_sort_block_merge_config_selectorIfNS0_10empty_typeEEEZZNS1_27merge_sort_block_merge_implIS3_N6thrust23THRUST_200600_302600_NS6detail15normal_iteratorINS9_10device_ptrIfEEEEPS5_m14custom_greaterIfEEE10hipError_tT0_T1_T2_jT3_P12ihipStream_tbPNSt15iterator_traitsISJ_E10value_typeEPNSP_ISK_E10value_typeEPSL_NS1_7vsmem_tEENKUlT_SJ_SK_SL_E_clIPfSE_SF_SF_EESI_SY_SJ_SK_SL_EUlSY_E_NS1_11comp_targetILNS1_3genE5ELNS1_11target_archE942ELNS1_3gpuE9ELNS1_3repE0EEENS1_48merge_mergepath_partition_config_static_selectorELNS0_4arch9wavefront6targetE1EEEvSK_ ; -- Begin function _ZN7rocprim17ROCPRIM_400000_NS6detail17trampoline_kernelINS0_14default_configENS1_38merge_sort_block_merge_config_selectorIfNS0_10empty_typeEEEZZNS1_27merge_sort_block_merge_implIS3_N6thrust23THRUST_200600_302600_NS6detail15normal_iteratorINS9_10device_ptrIfEEEEPS5_m14custom_greaterIfEEE10hipError_tT0_T1_T2_jT3_P12ihipStream_tbPNSt15iterator_traitsISJ_E10value_typeEPNSP_ISK_E10value_typeEPSL_NS1_7vsmem_tEENKUlT_SJ_SK_SL_E_clIPfSE_SF_SF_EESI_SY_SJ_SK_SL_EUlSY_E_NS1_11comp_targetILNS1_3genE5ELNS1_11target_archE942ELNS1_3gpuE9ELNS1_3repE0EEENS1_48merge_mergepath_partition_config_static_selectorELNS0_4arch9wavefront6targetE1EEEvSK_
	.globl	_ZN7rocprim17ROCPRIM_400000_NS6detail17trampoline_kernelINS0_14default_configENS1_38merge_sort_block_merge_config_selectorIfNS0_10empty_typeEEEZZNS1_27merge_sort_block_merge_implIS3_N6thrust23THRUST_200600_302600_NS6detail15normal_iteratorINS9_10device_ptrIfEEEEPS5_m14custom_greaterIfEEE10hipError_tT0_T1_T2_jT3_P12ihipStream_tbPNSt15iterator_traitsISJ_E10value_typeEPNSP_ISK_E10value_typeEPSL_NS1_7vsmem_tEENKUlT_SJ_SK_SL_E_clIPfSE_SF_SF_EESI_SY_SJ_SK_SL_EUlSY_E_NS1_11comp_targetILNS1_3genE5ELNS1_11target_archE942ELNS1_3gpuE9ELNS1_3repE0EEENS1_48merge_mergepath_partition_config_static_selectorELNS0_4arch9wavefront6targetE1EEEvSK_
	.p2align	8
	.type	_ZN7rocprim17ROCPRIM_400000_NS6detail17trampoline_kernelINS0_14default_configENS1_38merge_sort_block_merge_config_selectorIfNS0_10empty_typeEEEZZNS1_27merge_sort_block_merge_implIS3_N6thrust23THRUST_200600_302600_NS6detail15normal_iteratorINS9_10device_ptrIfEEEEPS5_m14custom_greaterIfEEE10hipError_tT0_T1_T2_jT3_P12ihipStream_tbPNSt15iterator_traitsISJ_E10value_typeEPNSP_ISK_E10value_typeEPSL_NS1_7vsmem_tEENKUlT_SJ_SK_SL_E_clIPfSE_SF_SF_EESI_SY_SJ_SK_SL_EUlSY_E_NS1_11comp_targetILNS1_3genE5ELNS1_11target_archE942ELNS1_3gpuE9ELNS1_3repE0EEENS1_48merge_mergepath_partition_config_static_selectorELNS0_4arch9wavefront6targetE1EEEvSK_,@function
_ZN7rocprim17ROCPRIM_400000_NS6detail17trampoline_kernelINS0_14default_configENS1_38merge_sort_block_merge_config_selectorIfNS0_10empty_typeEEEZZNS1_27merge_sort_block_merge_implIS3_N6thrust23THRUST_200600_302600_NS6detail15normal_iteratorINS9_10device_ptrIfEEEEPS5_m14custom_greaterIfEEE10hipError_tT0_T1_T2_jT3_P12ihipStream_tbPNSt15iterator_traitsISJ_E10value_typeEPNSP_ISK_E10value_typeEPSL_NS1_7vsmem_tEENKUlT_SJ_SK_SL_E_clIPfSE_SF_SF_EESI_SY_SJ_SK_SL_EUlSY_E_NS1_11comp_targetILNS1_3genE5ELNS1_11target_archE942ELNS1_3gpuE9ELNS1_3repE0EEENS1_48merge_mergepath_partition_config_static_selectorELNS0_4arch9wavefront6targetE1EEEvSK_: ; @_ZN7rocprim17ROCPRIM_400000_NS6detail17trampoline_kernelINS0_14default_configENS1_38merge_sort_block_merge_config_selectorIfNS0_10empty_typeEEEZZNS1_27merge_sort_block_merge_implIS3_N6thrust23THRUST_200600_302600_NS6detail15normal_iteratorINS9_10device_ptrIfEEEEPS5_m14custom_greaterIfEEE10hipError_tT0_T1_T2_jT3_P12ihipStream_tbPNSt15iterator_traitsISJ_E10value_typeEPNSP_ISK_E10value_typeEPSL_NS1_7vsmem_tEENKUlT_SJ_SK_SL_E_clIPfSE_SF_SF_EESI_SY_SJ_SK_SL_EUlSY_E_NS1_11comp_targetILNS1_3genE5ELNS1_11target_archE942ELNS1_3gpuE9ELNS1_3repE0EEENS1_48merge_mergepath_partition_config_static_selectorELNS0_4arch9wavefront6targetE1EEEvSK_
; %bb.0:
	.section	.rodata,"a",@progbits
	.p2align	6, 0x0
	.amdhsa_kernel _ZN7rocprim17ROCPRIM_400000_NS6detail17trampoline_kernelINS0_14default_configENS1_38merge_sort_block_merge_config_selectorIfNS0_10empty_typeEEEZZNS1_27merge_sort_block_merge_implIS3_N6thrust23THRUST_200600_302600_NS6detail15normal_iteratorINS9_10device_ptrIfEEEEPS5_m14custom_greaterIfEEE10hipError_tT0_T1_T2_jT3_P12ihipStream_tbPNSt15iterator_traitsISJ_E10value_typeEPNSP_ISK_E10value_typeEPSL_NS1_7vsmem_tEENKUlT_SJ_SK_SL_E_clIPfSE_SF_SF_EESI_SY_SJ_SK_SL_EUlSY_E_NS1_11comp_targetILNS1_3genE5ELNS1_11target_archE942ELNS1_3gpuE9ELNS1_3repE0EEENS1_48merge_mergepath_partition_config_static_selectorELNS0_4arch9wavefront6targetE1EEEvSK_
		.amdhsa_group_segment_fixed_size 0
		.amdhsa_private_segment_fixed_size 0
		.amdhsa_kernarg_size 48
		.amdhsa_user_sgpr_count 6
		.amdhsa_user_sgpr_private_segment_buffer 1
		.amdhsa_user_sgpr_dispatch_ptr 0
		.amdhsa_user_sgpr_queue_ptr 0
		.amdhsa_user_sgpr_kernarg_segment_ptr 1
		.amdhsa_user_sgpr_dispatch_id 0
		.amdhsa_user_sgpr_flat_scratch_init 0
		.amdhsa_user_sgpr_kernarg_preload_length 0
		.amdhsa_user_sgpr_kernarg_preload_offset 0
		.amdhsa_user_sgpr_private_segment_size 0
		.amdhsa_uses_dynamic_stack 0
		.amdhsa_system_sgpr_private_segment_wavefront_offset 0
		.amdhsa_system_sgpr_workgroup_id_x 1
		.amdhsa_system_sgpr_workgroup_id_y 0
		.amdhsa_system_sgpr_workgroup_id_z 0
		.amdhsa_system_sgpr_workgroup_info 0
		.amdhsa_system_vgpr_workitem_id 0
		.amdhsa_next_free_vgpr 1
		.amdhsa_next_free_sgpr 0
		.amdhsa_accum_offset 4
		.amdhsa_reserve_vcc 0
		.amdhsa_reserve_flat_scratch 0
		.amdhsa_float_round_mode_32 0
		.amdhsa_float_round_mode_16_64 0
		.amdhsa_float_denorm_mode_32 3
		.amdhsa_float_denorm_mode_16_64 3
		.amdhsa_dx10_clamp 1
		.amdhsa_ieee_mode 1
		.amdhsa_fp16_overflow 0
		.amdhsa_tg_split 0
		.amdhsa_exception_fp_ieee_invalid_op 0
		.amdhsa_exception_fp_denorm_src 0
		.amdhsa_exception_fp_ieee_div_zero 0
		.amdhsa_exception_fp_ieee_overflow 0
		.amdhsa_exception_fp_ieee_underflow 0
		.amdhsa_exception_fp_ieee_inexact 0
		.amdhsa_exception_int_div_zero 0
	.end_amdhsa_kernel
	.section	.text._ZN7rocprim17ROCPRIM_400000_NS6detail17trampoline_kernelINS0_14default_configENS1_38merge_sort_block_merge_config_selectorIfNS0_10empty_typeEEEZZNS1_27merge_sort_block_merge_implIS3_N6thrust23THRUST_200600_302600_NS6detail15normal_iteratorINS9_10device_ptrIfEEEEPS5_m14custom_greaterIfEEE10hipError_tT0_T1_T2_jT3_P12ihipStream_tbPNSt15iterator_traitsISJ_E10value_typeEPNSP_ISK_E10value_typeEPSL_NS1_7vsmem_tEENKUlT_SJ_SK_SL_E_clIPfSE_SF_SF_EESI_SY_SJ_SK_SL_EUlSY_E_NS1_11comp_targetILNS1_3genE5ELNS1_11target_archE942ELNS1_3gpuE9ELNS1_3repE0EEENS1_48merge_mergepath_partition_config_static_selectorELNS0_4arch9wavefront6targetE1EEEvSK_,"axG",@progbits,_ZN7rocprim17ROCPRIM_400000_NS6detail17trampoline_kernelINS0_14default_configENS1_38merge_sort_block_merge_config_selectorIfNS0_10empty_typeEEEZZNS1_27merge_sort_block_merge_implIS3_N6thrust23THRUST_200600_302600_NS6detail15normal_iteratorINS9_10device_ptrIfEEEEPS5_m14custom_greaterIfEEE10hipError_tT0_T1_T2_jT3_P12ihipStream_tbPNSt15iterator_traitsISJ_E10value_typeEPNSP_ISK_E10value_typeEPSL_NS1_7vsmem_tEENKUlT_SJ_SK_SL_E_clIPfSE_SF_SF_EESI_SY_SJ_SK_SL_EUlSY_E_NS1_11comp_targetILNS1_3genE5ELNS1_11target_archE942ELNS1_3gpuE9ELNS1_3repE0EEENS1_48merge_mergepath_partition_config_static_selectorELNS0_4arch9wavefront6targetE1EEEvSK_,comdat
.Lfunc_end3540:
	.size	_ZN7rocprim17ROCPRIM_400000_NS6detail17trampoline_kernelINS0_14default_configENS1_38merge_sort_block_merge_config_selectorIfNS0_10empty_typeEEEZZNS1_27merge_sort_block_merge_implIS3_N6thrust23THRUST_200600_302600_NS6detail15normal_iteratorINS9_10device_ptrIfEEEEPS5_m14custom_greaterIfEEE10hipError_tT0_T1_T2_jT3_P12ihipStream_tbPNSt15iterator_traitsISJ_E10value_typeEPNSP_ISK_E10value_typeEPSL_NS1_7vsmem_tEENKUlT_SJ_SK_SL_E_clIPfSE_SF_SF_EESI_SY_SJ_SK_SL_EUlSY_E_NS1_11comp_targetILNS1_3genE5ELNS1_11target_archE942ELNS1_3gpuE9ELNS1_3repE0EEENS1_48merge_mergepath_partition_config_static_selectorELNS0_4arch9wavefront6targetE1EEEvSK_, .Lfunc_end3540-_ZN7rocprim17ROCPRIM_400000_NS6detail17trampoline_kernelINS0_14default_configENS1_38merge_sort_block_merge_config_selectorIfNS0_10empty_typeEEEZZNS1_27merge_sort_block_merge_implIS3_N6thrust23THRUST_200600_302600_NS6detail15normal_iteratorINS9_10device_ptrIfEEEEPS5_m14custom_greaterIfEEE10hipError_tT0_T1_T2_jT3_P12ihipStream_tbPNSt15iterator_traitsISJ_E10value_typeEPNSP_ISK_E10value_typeEPSL_NS1_7vsmem_tEENKUlT_SJ_SK_SL_E_clIPfSE_SF_SF_EESI_SY_SJ_SK_SL_EUlSY_E_NS1_11comp_targetILNS1_3genE5ELNS1_11target_archE942ELNS1_3gpuE9ELNS1_3repE0EEENS1_48merge_mergepath_partition_config_static_selectorELNS0_4arch9wavefront6targetE1EEEvSK_
                                        ; -- End function
	.section	.AMDGPU.csdata,"",@progbits
; Kernel info:
; codeLenInByte = 0
; NumSgprs: 4
; NumVgprs: 0
; NumAgprs: 0
; TotalNumVgprs: 0
; ScratchSize: 0
; MemoryBound: 0
; FloatMode: 240
; IeeeMode: 1
; LDSByteSize: 0 bytes/workgroup (compile time only)
; SGPRBlocks: 0
; VGPRBlocks: 0
; NumSGPRsForWavesPerEU: 4
; NumVGPRsForWavesPerEU: 1
; AccumOffset: 4
; Occupancy: 8
; WaveLimiterHint : 0
; COMPUTE_PGM_RSRC2:SCRATCH_EN: 0
; COMPUTE_PGM_RSRC2:USER_SGPR: 6
; COMPUTE_PGM_RSRC2:TRAP_HANDLER: 0
; COMPUTE_PGM_RSRC2:TGID_X_EN: 1
; COMPUTE_PGM_RSRC2:TGID_Y_EN: 0
; COMPUTE_PGM_RSRC2:TGID_Z_EN: 0
; COMPUTE_PGM_RSRC2:TIDIG_COMP_CNT: 0
; COMPUTE_PGM_RSRC3_GFX90A:ACCUM_OFFSET: 0
; COMPUTE_PGM_RSRC3_GFX90A:TG_SPLIT: 0
	.section	.text._ZN7rocprim17ROCPRIM_400000_NS6detail17trampoline_kernelINS0_14default_configENS1_38merge_sort_block_merge_config_selectorIfNS0_10empty_typeEEEZZNS1_27merge_sort_block_merge_implIS3_N6thrust23THRUST_200600_302600_NS6detail15normal_iteratorINS9_10device_ptrIfEEEEPS5_m14custom_greaterIfEEE10hipError_tT0_T1_T2_jT3_P12ihipStream_tbPNSt15iterator_traitsISJ_E10value_typeEPNSP_ISK_E10value_typeEPSL_NS1_7vsmem_tEENKUlT_SJ_SK_SL_E_clIPfSE_SF_SF_EESI_SY_SJ_SK_SL_EUlSY_E_NS1_11comp_targetILNS1_3genE4ELNS1_11target_archE910ELNS1_3gpuE8ELNS1_3repE0EEENS1_48merge_mergepath_partition_config_static_selectorELNS0_4arch9wavefront6targetE1EEEvSK_,"axG",@progbits,_ZN7rocprim17ROCPRIM_400000_NS6detail17trampoline_kernelINS0_14default_configENS1_38merge_sort_block_merge_config_selectorIfNS0_10empty_typeEEEZZNS1_27merge_sort_block_merge_implIS3_N6thrust23THRUST_200600_302600_NS6detail15normal_iteratorINS9_10device_ptrIfEEEEPS5_m14custom_greaterIfEEE10hipError_tT0_T1_T2_jT3_P12ihipStream_tbPNSt15iterator_traitsISJ_E10value_typeEPNSP_ISK_E10value_typeEPSL_NS1_7vsmem_tEENKUlT_SJ_SK_SL_E_clIPfSE_SF_SF_EESI_SY_SJ_SK_SL_EUlSY_E_NS1_11comp_targetILNS1_3genE4ELNS1_11target_archE910ELNS1_3gpuE8ELNS1_3repE0EEENS1_48merge_mergepath_partition_config_static_selectorELNS0_4arch9wavefront6targetE1EEEvSK_,comdat
	.protected	_ZN7rocprim17ROCPRIM_400000_NS6detail17trampoline_kernelINS0_14default_configENS1_38merge_sort_block_merge_config_selectorIfNS0_10empty_typeEEEZZNS1_27merge_sort_block_merge_implIS3_N6thrust23THRUST_200600_302600_NS6detail15normal_iteratorINS9_10device_ptrIfEEEEPS5_m14custom_greaterIfEEE10hipError_tT0_T1_T2_jT3_P12ihipStream_tbPNSt15iterator_traitsISJ_E10value_typeEPNSP_ISK_E10value_typeEPSL_NS1_7vsmem_tEENKUlT_SJ_SK_SL_E_clIPfSE_SF_SF_EESI_SY_SJ_SK_SL_EUlSY_E_NS1_11comp_targetILNS1_3genE4ELNS1_11target_archE910ELNS1_3gpuE8ELNS1_3repE0EEENS1_48merge_mergepath_partition_config_static_selectorELNS0_4arch9wavefront6targetE1EEEvSK_ ; -- Begin function _ZN7rocprim17ROCPRIM_400000_NS6detail17trampoline_kernelINS0_14default_configENS1_38merge_sort_block_merge_config_selectorIfNS0_10empty_typeEEEZZNS1_27merge_sort_block_merge_implIS3_N6thrust23THRUST_200600_302600_NS6detail15normal_iteratorINS9_10device_ptrIfEEEEPS5_m14custom_greaterIfEEE10hipError_tT0_T1_T2_jT3_P12ihipStream_tbPNSt15iterator_traitsISJ_E10value_typeEPNSP_ISK_E10value_typeEPSL_NS1_7vsmem_tEENKUlT_SJ_SK_SL_E_clIPfSE_SF_SF_EESI_SY_SJ_SK_SL_EUlSY_E_NS1_11comp_targetILNS1_3genE4ELNS1_11target_archE910ELNS1_3gpuE8ELNS1_3repE0EEENS1_48merge_mergepath_partition_config_static_selectorELNS0_4arch9wavefront6targetE1EEEvSK_
	.globl	_ZN7rocprim17ROCPRIM_400000_NS6detail17trampoline_kernelINS0_14default_configENS1_38merge_sort_block_merge_config_selectorIfNS0_10empty_typeEEEZZNS1_27merge_sort_block_merge_implIS3_N6thrust23THRUST_200600_302600_NS6detail15normal_iteratorINS9_10device_ptrIfEEEEPS5_m14custom_greaterIfEEE10hipError_tT0_T1_T2_jT3_P12ihipStream_tbPNSt15iterator_traitsISJ_E10value_typeEPNSP_ISK_E10value_typeEPSL_NS1_7vsmem_tEENKUlT_SJ_SK_SL_E_clIPfSE_SF_SF_EESI_SY_SJ_SK_SL_EUlSY_E_NS1_11comp_targetILNS1_3genE4ELNS1_11target_archE910ELNS1_3gpuE8ELNS1_3repE0EEENS1_48merge_mergepath_partition_config_static_selectorELNS0_4arch9wavefront6targetE1EEEvSK_
	.p2align	8
	.type	_ZN7rocprim17ROCPRIM_400000_NS6detail17trampoline_kernelINS0_14default_configENS1_38merge_sort_block_merge_config_selectorIfNS0_10empty_typeEEEZZNS1_27merge_sort_block_merge_implIS3_N6thrust23THRUST_200600_302600_NS6detail15normal_iteratorINS9_10device_ptrIfEEEEPS5_m14custom_greaterIfEEE10hipError_tT0_T1_T2_jT3_P12ihipStream_tbPNSt15iterator_traitsISJ_E10value_typeEPNSP_ISK_E10value_typeEPSL_NS1_7vsmem_tEENKUlT_SJ_SK_SL_E_clIPfSE_SF_SF_EESI_SY_SJ_SK_SL_EUlSY_E_NS1_11comp_targetILNS1_3genE4ELNS1_11target_archE910ELNS1_3gpuE8ELNS1_3repE0EEENS1_48merge_mergepath_partition_config_static_selectorELNS0_4arch9wavefront6targetE1EEEvSK_,@function
_ZN7rocprim17ROCPRIM_400000_NS6detail17trampoline_kernelINS0_14default_configENS1_38merge_sort_block_merge_config_selectorIfNS0_10empty_typeEEEZZNS1_27merge_sort_block_merge_implIS3_N6thrust23THRUST_200600_302600_NS6detail15normal_iteratorINS9_10device_ptrIfEEEEPS5_m14custom_greaterIfEEE10hipError_tT0_T1_T2_jT3_P12ihipStream_tbPNSt15iterator_traitsISJ_E10value_typeEPNSP_ISK_E10value_typeEPSL_NS1_7vsmem_tEENKUlT_SJ_SK_SL_E_clIPfSE_SF_SF_EESI_SY_SJ_SK_SL_EUlSY_E_NS1_11comp_targetILNS1_3genE4ELNS1_11target_archE910ELNS1_3gpuE8ELNS1_3repE0EEENS1_48merge_mergepath_partition_config_static_selectorELNS0_4arch9wavefront6targetE1EEEvSK_: ; @_ZN7rocprim17ROCPRIM_400000_NS6detail17trampoline_kernelINS0_14default_configENS1_38merge_sort_block_merge_config_selectorIfNS0_10empty_typeEEEZZNS1_27merge_sort_block_merge_implIS3_N6thrust23THRUST_200600_302600_NS6detail15normal_iteratorINS9_10device_ptrIfEEEEPS5_m14custom_greaterIfEEE10hipError_tT0_T1_T2_jT3_P12ihipStream_tbPNSt15iterator_traitsISJ_E10value_typeEPNSP_ISK_E10value_typeEPSL_NS1_7vsmem_tEENKUlT_SJ_SK_SL_E_clIPfSE_SF_SF_EESI_SY_SJ_SK_SL_EUlSY_E_NS1_11comp_targetILNS1_3genE4ELNS1_11target_archE910ELNS1_3gpuE8ELNS1_3repE0EEENS1_48merge_mergepath_partition_config_static_selectorELNS0_4arch9wavefront6targetE1EEEvSK_
; %bb.0:
	s_load_dword s0, s[4:5], 0x0
	v_lshl_or_b32 v0, s6, 7, v0
	s_waitcnt lgkmcnt(0)
	v_cmp_gt_u32_e32 vcc, s0, v0
	s_and_saveexec_b64 s[0:1], vcc
	s_cbranch_execz .LBB3541_6
; %bb.1:
	s_load_dwordx4 s[0:3], s[4:5], 0x8
	s_load_dwordx2 s[6:7], s[4:5], 0x28
	v_mov_b32_e32 v5, 0
	s_waitcnt lgkmcnt(0)
	v_mov_b32_e32 v1, s0
	v_alignbit_b32 v1, s1, v1, 9
	v_and_b32_e32 v1, -2, v1
	v_add_u32_e32 v2, -1, v1
	v_sub_u32_e32 v1, 0, v1
	v_and_b32_e32 v4, v0, v1
	v_lshlrev_b64 v[8:9], 10, v[4:5]
	v_mov_b32_e32 v1, s3
	v_cmp_lt_u64_e32 vcc, s[2:3], v[8:9]
	v_mov_b32_e32 v4, s2
	v_and_b32_e32 v6, v2, v0
	v_cndmask_b32_e32 v3, v9, v1, vcc
	v_cndmask_b32_e32 v2, v8, v4, vcc
	v_mov_b32_e32 v7, s1
	v_add_co_u32_e32 v8, vcc, s0, v8
	v_addc_co_u32_e32 v9, vcc, v9, v7, vcc
	v_cmp_lt_u64_e32 vcc, s[2:3], v[8:9]
	v_cndmask_b32_e32 v8, v8, v4, vcc
	v_cndmask_b32_e32 v9, v9, v1, vcc
	v_add_co_u32_e32 v10, vcc, s0, v8
	v_addc_co_u32_e32 v11, vcc, v9, v7, vcc
	v_cmp_lt_u64_e32 vcc, s[2:3], v[10:11]
	v_cndmask_b32_e32 v12, v10, v4, vcc
	v_cndmask_b32_e32 v1, v11, v1, vcc
	v_sub_co_u32_e32 v10, vcc, v12, v2
	v_mov_b32_e32 v7, v5
	v_subb_co_u32_e32 v11, vcc, v1, v3, vcc
	v_lshlrev_b64 v[4:5], 10, v[6:7]
	v_cmp_lt_u64_e32 vcc, v[10:11], v[4:5]
	v_cndmask_b32_e32 v11, v5, v11, vcc
	v_cndmask_b32_e32 v10, v4, v10, vcc
	v_sub_co_u32_e32 v6, vcc, v8, v2
	v_subb_co_u32_e32 v7, vcc, v9, v3, vcc
	v_sub_co_u32_e32 v4, vcc, v8, v12
	v_subb_co_u32_e32 v1, vcc, v9, v1, vcc
	v_add_co_u32_e32 v4, vcc, v10, v4
	v_addc_co_u32_e32 v5, vcc, v11, v1, vcc
	v_cmp_gt_u64_e32 vcc, v[4:5], v[10:11]
	v_cndmask_b32_e64 v5, v5, 0, vcc
	v_cndmask_b32_e64 v4, v4, 0, vcc
	v_cmp_lt_u64_e32 vcc, v[10:11], v[6:7]
	v_cndmask_b32_e32 v7, v7, v11, vcc
	v_cndmask_b32_e32 v6, v6, v10, vcc
	v_cmp_lt_u64_e32 vcc, v[4:5], v[6:7]
	s_and_saveexec_b64 s[0:1], vcc
	s_cbranch_execz .LBB3541_5
; %bb.2:
	s_load_dwordx2 s[2:3], s[4:5], 0x18
	v_lshlrev_b64 v[12:13], 2, v[2:3]
	v_lshlrev_b64 v[8:9], 2, v[8:9]
	s_waitcnt lgkmcnt(0)
	v_mov_b32_e32 v14, s3
	v_add_co_u32_e32 v1, vcc, s2, v12
	v_addc_co_u32_e32 v12, vcc, v14, v13, vcc
	v_add_co_u32_e32 v13, vcc, s2, v8
	v_addc_co_u32_e32 v14, vcc, v14, v9, vcc
	v_lshlrev_b64 v[8:9], 2, v[10:11]
	v_add_co_u32_e32 v8, vcc, v13, v8
	v_addc_co_u32_e32 v9, vcc, v14, v9, vcc
	s_mov_b64 s[2:3], 0
.LBB3541_3:                             ; =>This Inner Loop Header: Depth=1
	v_add_co_u32_e32 v10, vcc, v6, v4
	v_addc_co_u32_e32 v11, vcc, v7, v5, vcc
	v_lshrrev_b64 v[10:11], 1, v[10:11]
	v_lshlrev_b64 v[16:17], 2, v[10:11]
	v_not_b32_e32 v15, v11
	v_not_b32_e32 v14, v10
	v_add_co_u32_e32 v16, vcc, v1, v16
	v_addc_co_u32_e32 v17, vcc, v12, v17, vcc
	v_lshlrev_b64 v[14:15], 2, v[14:15]
	v_add_co_u32_e32 v14, vcc, v8, v14
	v_addc_co_u32_e32 v15, vcc, v9, v15, vcc
	global_load_dword v13, v[16:17], off
	global_load_dword v18, v[14:15], off
	v_add_co_u32_e32 v14, vcc, 1, v10
	v_addc_co_u32_e32 v15, vcc, 0, v11, vcc
	s_waitcnt vmcnt(0)
	v_cmp_gt_f32_e32 vcc, v13, v18
	v_cndmask_b32_e32 v7, v7, v11, vcc
	v_cndmask_b32_e32 v6, v6, v10, vcc
	;; [unrolled: 1-line block ×4, first 2 shown]
	v_cmp_ge_u64_e32 vcc, v[4:5], v[6:7]
	s_or_b64 s[2:3], vcc, s[2:3]
	s_andn2_b64 exec, exec, s[2:3]
	s_cbranch_execnz .LBB3541_3
; %bb.4:
	s_or_b64 exec, exec, s[2:3]
.LBB3541_5:
	s_or_b64 exec, exec, s[0:1]
	v_add_co_u32_e32 v2, vcc, v4, v2
	v_mov_b32_e32 v1, 0
	v_addc_co_u32_e32 v3, vcc, v5, v3, vcc
	v_lshlrev_b64 v[0:1], 3, v[0:1]
	v_mov_b32_e32 v4, s7
	v_add_co_u32_e32 v0, vcc, s6, v0
	v_addc_co_u32_e32 v1, vcc, v4, v1, vcc
	global_store_dwordx2 v[0:1], v[2:3], off
.LBB3541_6:
	s_endpgm
	.section	.rodata,"a",@progbits
	.p2align	6, 0x0
	.amdhsa_kernel _ZN7rocprim17ROCPRIM_400000_NS6detail17trampoline_kernelINS0_14default_configENS1_38merge_sort_block_merge_config_selectorIfNS0_10empty_typeEEEZZNS1_27merge_sort_block_merge_implIS3_N6thrust23THRUST_200600_302600_NS6detail15normal_iteratorINS9_10device_ptrIfEEEEPS5_m14custom_greaterIfEEE10hipError_tT0_T1_T2_jT3_P12ihipStream_tbPNSt15iterator_traitsISJ_E10value_typeEPNSP_ISK_E10value_typeEPSL_NS1_7vsmem_tEENKUlT_SJ_SK_SL_E_clIPfSE_SF_SF_EESI_SY_SJ_SK_SL_EUlSY_E_NS1_11comp_targetILNS1_3genE4ELNS1_11target_archE910ELNS1_3gpuE8ELNS1_3repE0EEENS1_48merge_mergepath_partition_config_static_selectorELNS0_4arch9wavefront6targetE1EEEvSK_
		.amdhsa_group_segment_fixed_size 0
		.amdhsa_private_segment_fixed_size 0
		.amdhsa_kernarg_size 48
		.amdhsa_user_sgpr_count 6
		.amdhsa_user_sgpr_private_segment_buffer 1
		.amdhsa_user_sgpr_dispatch_ptr 0
		.amdhsa_user_sgpr_queue_ptr 0
		.amdhsa_user_sgpr_kernarg_segment_ptr 1
		.amdhsa_user_sgpr_dispatch_id 0
		.amdhsa_user_sgpr_flat_scratch_init 0
		.amdhsa_user_sgpr_kernarg_preload_length 0
		.amdhsa_user_sgpr_kernarg_preload_offset 0
		.amdhsa_user_sgpr_private_segment_size 0
		.amdhsa_uses_dynamic_stack 0
		.amdhsa_system_sgpr_private_segment_wavefront_offset 0
		.amdhsa_system_sgpr_workgroup_id_x 1
		.amdhsa_system_sgpr_workgroup_id_y 0
		.amdhsa_system_sgpr_workgroup_id_z 0
		.amdhsa_system_sgpr_workgroup_info 0
		.amdhsa_system_vgpr_workitem_id 0
		.amdhsa_next_free_vgpr 19
		.amdhsa_next_free_sgpr 8
		.amdhsa_accum_offset 20
		.amdhsa_reserve_vcc 1
		.amdhsa_reserve_flat_scratch 0
		.amdhsa_float_round_mode_32 0
		.amdhsa_float_round_mode_16_64 0
		.amdhsa_float_denorm_mode_32 3
		.amdhsa_float_denorm_mode_16_64 3
		.amdhsa_dx10_clamp 1
		.amdhsa_ieee_mode 1
		.amdhsa_fp16_overflow 0
		.amdhsa_tg_split 0
		.amdhsa_exception_fp_ieee_invalid_op 0
		.amdhsa_exception_fp_denorm_src 0
		.amdhsa_exception_fp_ieee_div_zero 0
		.amdhsa_exception_fp_ieee_overflow 0
		.amdhsa_exception_fp_ieee_underflow 0
		.amdhsa_exception_fp_ieee_inexact 0
		.amdhsa_exception_int_div_zero 0
	.end_amdhsa_kernel
	.section	.text._ZN7rocprim17ROCPRIM_400000_NS6detail17trampoline_kernelINS0_14default_configENS1_38merge_sort_block_merge_config_selectorIfNS0_10empty_typeEEEZZNS1_27merge_sort_block_merge_implIS3_N6thrust23THRUST_200600_302600_NS6detail15normal_iteratorINS9_10device_ptrIfEEEEPS5_m14custom_greaterIfEEE10hipError_tT0_T1_T2_jT3_P12ihipStream_tbPNSt15iterator_traitsISJ_E10value_typeEPNSP_ISK_E10value_typeEPSL_NS1_7vsmem_tEENKUlT_SJ_SK_SL_E_clIPfSE_SF_SF_EESI_SY_SJ_SK_SL_EUlSY_E_NS1_11comp_targetILNS1_3genE4ELNS1_11target_archE910ELNS1_3gpuE8ELNS1_3repE0EEENS1_48merge_mergepath_partition_config_static_selectorELNS0_4arch9wavefront6targetE1EEEvSK_,"axG",@progbits,_ZN7rocprim17ROCPRIM_400000_NS6detail17trampoline_kernelINS0_14default_configENS1_38merge_sort_block_merge_config_selectorIfNS0_10empty_typeEEEZZNS1_27merge_sort_block_merge_implIS3_N6thrust23THRUST_200600_302600_NS6detail15normal_iteratorINS9_10device_ptrIfEEEEPS5_m14custom_greaterIfEEE10hipError_tT0_T1_T2_jT3_P12ihipStream_tbPNSt15iterator_traitsISJ_E10value_typeEPNSP_ISK_E10value_typeEPSL_NS1_7vsmem_tEENKUlT_SJ_SK_SL_E_clIPfSE_SF_SF_EESI_SY_SJ_SK_SL_EUlSY_E_NS1_11comp_targetILNS1_3genE4ELNS1_11target_archE910ELNS1_3gpuE8ELNS1_3repE0EEENS1_48merge_mergepath_partition_config_static_selectorELNS0_4arch9wavefront6targetE1EEEvSK_,comdat
.Lfunc_end3541:
	.size	_ZN7rocprim17ROCPRIM_400000_NS6detail17trampoline_kernelINS0_14default_configENS1_38merge_sort_block_merge_config_selectorIfNS0_10empty_typeEEEZZNS1_27merge_sort_block_merge_implIS3_N6thrust23THRUST_200600_302600_NS6detail15normal_iteratorINS9_10device_ptrIfEEEEPS5_m14custom_greaterIfEEE10hipError_tT0_T1_T2_jT3_P12ihipStream_tbPNSt15iterator_traitsISJ_E10value_typeEPNSP_ISK_E10value_typeEPSL_NS1_7vsmem_tEENKUlT_SJ_SK_SL_E_clIPfSE_SF_SF_EESI_SY_SJ_SK_SL_EUlSY_E_NS1_11comp_targetILNS1_3genE4ELNS1_11target_archE910ELNS1_3gpuE8ELNS1_3repE0EEENS1_48merge_mergepath_partition_config_static_selectorELNS0_4arch9wavefront6targetE1EEEvSK_, .Lfunc_end3541-_ZN7rocprim17ROCPRIM_400000_NS6detail17trampoline_kernelINS0_14default_configENS1_38merge_sort_block_merge_config_selectorIfNS0_10empty_typeEEEZZNS1_27merge_sort_block_merge_implIS3_N6thrust23THRUST_200600_302600_NS6detail15normal_iteratorINS9_10device_ptrIfEEEEPS5_m14custom_greaterIfEEE10hipError_tT0_T1_T2_jT3_P12ihipStream_tbPNSt15iterator_traitsISJ_E10value_typeEPNSP_ISK_E10value_typeEPSL_NS1_7vsmem_tEENKUlT_SJ_SK_SL_E_clIPfSE_SF_SF_EESI_SY_SJ_SK_SL_EUlSY_E_NS1_11comp_targetILNS1_3genE4ELNS1_11target_archE910ELNS1_3gpuE8ELNS1_3repE0EEENS1_48merge_mergepath_partition_config_static_selectorELNS0_4arch9wavefront6targetE1EEEvSK_
                                        ; -- End function
	.section	.AMDGPU.csdata,"",@progbits
; Kernel info:
; codeLenInByte = 500
; NumSgprs: 12
; NumVgprs: 19
; NumAgprs: 0
; TotalNumVgprs: 19
; ScratchSize: 0
; MemoryBound: 0
; FloatMode: 240
; IeeeMode: 1
; LDSByteSize: 0 bytes/workgroup (compile time only)
; SGPRBlocks: 1
; VGPRBlocks: 2
; NumSGPRsForWavesPerEU: 12
; NumVGPRsForWavesPerEU: 19
; AccumOffset: 20
; Occupancy: 8
; WaveLimiterHint : 0
; COMPUTE_PGM_RSRC2:SCRATCH_EN: 0
; COMPUTE_PGM_RSRC2:USER_SGPR: 6
; COMPUTE_PGM_RSRC2:TRAP_HANDLER: 0
; COMPUTE_PGM_RSRC2:TGID_X_EN: 1
; COMPUTE_PGM_RSRC2:TGID_Y_EN: 0
; COMPUTE_PGM_RSRC2:TGID_Z_EN: 0
; COMPUTE_PGM_RSRC2:TIDIG_COMP_CNT: 0
; COMPUTE_PGM_RSRC3_GFX90A:ACCUM_OFFSET: 4
; COMPUTE_PGM_RSRC3_GFX90A:TG_SPLIT: 0
	.section	.text._ZN7rocprim17ROCPRIM_400000_NS6detail17trampoline_kernelINS0_14default_configENS1_38merge_sort_block_merge_config_selectorIfNS0_10empty_typeEEEZZNS1_27merge_sort_block_merge_implIS3_N6thrust23THRUST_200600_302600_NS6detail15normal_iteratorINS9_10device_ptrIfEEEEPS5_m14custom_greaterIfEEE10hipError_tT0_T1_T2_jT3_P12ihipStream_tbPNSt15iterator_traitsISJ_E10value_typeEPNSP_ISK_E10value_typeEPSL_NS1_7vsmem_tEENKUlT_SJ_SK_SL_E_clIPfSE_SF_SF_EESI_SY_SJ_SK_SL_EUlSY_E_NS1_11comp_targetILNS1_3genE3ELNS1_11target_archE908ELNS1_3gpuE7ELNS1_3repE0EEENS1_48merge_mergepath_partition_config_static_selectorELNS0_4arch9wavefront6targetE1EEEvSK_,"axG",@progbits,_ZN7rocprim17ROCPRIM_400000_NS6detail17trampoline_kernelINS0_14default_configENS1_38merge_sort_block_merge_config_selectorIfNS0_10empty_typeEEEZZNS1_27merge_sort_block_merge_implIS3_N6thrust23THRUST_200600_302600_NS6detail15normal_iteratorINS9_10device_ptrIfEEEEPS5_m14custom_greaterIfEEE10hipError_tT0_T1_T2_jT3_P12ihipStream_tbPNSt15iterator_traitsISJ_E10value_typeEPNSP_ISK_E10value_typeEPSL_NS1_7vsmem_tEENKUlT_SJ_SK_SL_E_clIPfSE_SF_SF_EESI_SY_SJ_SK_SL_EUlSY_E_NS1_11comp_targetILNS1_3genE3ELNS1_11target_archE908ELNS1_3gpuE7ELNS1_3repE0EEENS1_48merge_mergepath_partition_config_static_selectorELNS0_4arch9wavefront6targetE1EEEvSK_,comdat
	.protected	_ZN7rocprim17ROCPRIM_400000_NS6detail17trampoline_kernelINS0_14default_configENS1_38merge_sort_block_merge_config_selectorIfNS0_10empty_typeEEEZZNS1_27merge_sort_block_merge_implIS3_N6thrust23THRUST_200600_302600_NS6detail15normal_iteratorINS9_10device_ptrIfEEEEPS5_m14custom_greaterIfEEE10hipError_tT0_T1_T2_jT3_P12ihipStream_tbPNSt15iterator_traitsISJ_E10value_typeEPNSP_ISK_E10value_typeEPSL_NS1_7vsmem_tEENKUlT_SJ_SK_SL_E_clIPfSE_SF_SF_EESI_SY_SJ_SK_SL_EUlSY_E_NS1_11comp_targetILNS1_3genE3ELNS1_11target_archE908ELNS1_3gpuE7ELNS1_3repE0EEENS1_48merge_mergepath_partition_config_static_selectorELNS0_4arch9wavefront6targetE1EEEvSK_ ; -- Begin function _ZN7rocprim17ROCPRIM_400000_NS6detail17trampoline_kernelINS0_14default_configENS1_38merge_sort_block_merge_config_selectorIfNS0_10empty_typeEEEZZNS1_27merge_sort_block_merge_implIS3_N6thrust23THRUST_200600_302600_NS6detail15normal_iteratorINS9_10device_ptrIfEEEEPS5_m14custom_greaterIfEEE10hipError_tT0_T1_T2_jT3_P12ihipStream_tbPNSt15iterator_traitsISJ_E10value_typeEPNSP_ISK_E10value_typeEPSL_NS1_7vsmem_tEENKUlT_SJ_SK_SL_E_clIPfSE_SF_SF_EESI_SY_SJ_SK_SL_EUlSY_E_NS1_11comp_targetILNS1_3genE3ELNS1_11target_archE908ELNS1_3gpuE7ELNS1_3repE0EEENS1_48merge_mergepath_partition_config_static_selectorELNS0_4arch9wavefront6targetE1EEEvSK_
	.globl	_ZN7rocprim17ROCPRIM_400000_NS6detail17trampoline_kernelINS0_14default_configENS1_38merge_sort_block_merge_config_selectorIfNS0_10empty_typeEEEZZNS1_27merge_sort_block_merge_implIS3_N6thrust23THRUST_200600_302600_NS6detail15normal_iteratorINS9_10device_ptrIfEEEEPS5_m14custom_greaterIfEEE10hipError_tT0_T1_T2_jT3_P12ihipStream_tbPNSt15iterator_traitsISJ_E10value_typeEPNSP_ISK_E10value_typeEPSL_NS1_7vsmem_tEENKUlT_SJ_SK_SL_E_clIPfSE_SF_SF_EESI_SY_SJ_SK_SL_EUlSY_E_NS1_11comp_targetILNS1_3genE3ELNS1_11target_archE908ELNS1_3gpuE7ELNS1_3repE0EEENS1_48merge_mergepath_partition_config_static_selectorELNS0_4arch9wavefront6targetE1EEEvSK_
	.p2align	8
	.type	_ZN7rocprim17ROCPRIM_400000_NS6detail17trampoline_kernelINS0_14default_configENS1_38merge_sort_block_merge_config_selectorIfNS0_10empty_typeEEEZZNS1_27merge_sort_block_merge_implIS3_N6thrust23THRUST_200600_302600_NS6detail15normal_iteratorINS9_10device_ptrIfEEEEPS5_m14custom_greaterIfEEE10hipError_tT0_T1_T2_jT3_P12ihipStream_tbPNSt15iterator_traitsISJ_E10value_typeEPNSP_ISK_E10value_typeEPSL_NS1_7vsmem_tEENKUlT_SJ_SK_SL_E_clIPfSE_SF_SF_EESI_SY_SJ_SK_SL_EUlSY_E_NS1_11comp_targetILNS1_3genE3ELNS1_11target_archE908ELNS1_3gpuE7ELNS1_3repE0EEENS1_48merge_mergepath_partition_config_static_selectorELNS0_4arch9wavefront6targetE1EEEvSK_,@function
_ZN7rocprim17ROCPRIM_400000_NS6detail17trampoline_kernelINS0_14default_configENS1_38merge_sort_block_merge_config_selectorIfNS0_10empty_typeEEEZZNS1_27merge_sort_block_merge_implIS3_N6thrust23THRUST_200600_302600_NS6detail15normal_iteratorINS9_10device_ptrIfEEEEPS5_m14custom_greaterIfEEE10hipError_tT0_T1_T2_jT3_P12ihipStream_tbPNSt15iterator_traitsISJ_E10value_typeEPNSP_ISK_E10value_typeEPSL_NS1_7vsmem_tEENKUlT_SJ_SK_SL_E_clIPfSE_SF_SF_EESI_SY_SJ_SK_SL_EUlSY_E_NS1_11comp_targetILNS1_3genE3ELNS1_11target_archE908ELNS1_3gpuE7ELNS1_3repE0EEENS1_48merge_mergepath_partition_config_static_selectorELNS0_4arch9wavefront6targetE1EEEvSK_: ; @_ZN7rocprim17ROCPRIM_400000_NS6detail17trampoline_kernelINS0_14default_configENS1_38merge_sort_block_merge_config_selectorIfNS0_10empty_typeEEEZZNS1_27merge_sort_block_merge_implIS3_N6thrust23THRUST_200600_302600_NS6detail15normal_iteratorINS9_10device_ptrIfEEEEPS5_m14custom_greaterIfEEE10hipError_tT0_T1_T2_jT3_P12ihipStream_tbPNSt15iterator_traitsISJ_E10value_typeEPNSP_ISK_E10value_typeEPSL_NS1_7vsmem_tEENKUlT_SJ_SK_SL_E_clIPfSE_SF_SF_EESI_SY_SJ_SK_SL_EUlSY_E_NS1_11comp_targetILNS1_3genE3ELNS1_11target_archE908ELNS1_3gpuE7ELNS1_3repE0EEENS1_48merge_mergepath_partition_config_static_selectorELNS0_4arch9wavefront6targetE1EEEvSK_
; %bb.0:
	.section	.rodata,"a",@progbits
	.p2align	6, 0x0
	.amdhsa_kernel _ZN7rocprim17ROCPRIM_400000_NS6detail17trampoline_kernelINS0_14default_configENS1_38merge_sort_block_merge_config_selectorIfNS0_10empty_typeEEEZZNS1_27merge_sort_block_merge_implIS3_N6thrust23THRUST_200600_302600_NS6detail15normal_iteratorINS9_10device_ptrIfEEEEPS5_m14custom_greaterIfEEE10hipError_tT0_T1_T2_jT3_P12ihipStream_tbPNSt15iterator_traitsISJ_E10value_typeEPNSP_ISK_E10value_typeEPSL_NS1_7vsmem_tEENKUlT_SJ_SK_SL_E_clIPfSE_SF_SF_EESI_SY_SJ_SK_SL_EUlSY_E_NS1_11comp_targetILNS1_3genE3ELNS1_11target_archE908ELNS1_3gpuE7ELNS1_3repE0EEENS1_48merge_mergepath_partition_config_static_selectorELNS0_4arch9wavefront6targetE1EEEvSK_
		.amdhsa_group_segment_fixed_size 0
		.amdhsa_private_segment_fixed_size 0
		.amdhsa_kernarg_size 48
		.amdhsa_user_sgpr_count 6
		.amdhsa_user_sgpr_private_segment_buffer 1
		.amdhsa_user_sgpr_dispatch_ptr 0
		.amdhsa_user_sgpr_queue_ptr 0
		.amdhsa_user_sgpr_kernarg_segment_ptr 1
		.amdhsa_user_sgpr_dispatch_id 0
		.amdhsa_user_sgpr_flat_scratch_init 0
		.amdhsa_user_sgpr_kernarg_preload_length 0
		.amdhsa_user_sgpr_kernarg_preload_offset 0
		.amdhsa_user_sgpr_private_segment_size 0
		.amdhsa_uses_dynamic_stack 0
		.amdhsa_system_sgpr_private_segment_wavefront_offset 0
		.amdhsa_system_sgpr_workgroup_id_x 1
		.amdhsa_system_sgpr_workgroup_id_y 0
		.amdhsa_system_sgpr_workgroup_id_z 0
		.amdhsa_system_sgpr_workgroup_info 0
		.amdhsa_system_vgpr_workitem_id 0
		.amdhsa_next_free_vgpr 1
		.amdhsa_next_free_sgpr 0
		.amdhsa_accum_offset 4
		.amdhsa_reserve_vcc 0
		.amdhsa_reserve_flat_scratch 0
		.amdhsa_float_round_mode_32 0
		.amdhsa_float_round_mode_16_64 0
		.amdhsa_float_denorm_mode_32 3
		.amdhsa_float_denorm_mode_16_64 3
		.amdhsa_dx10_clamp 1
		.amdhsa_ieee_mode 1
		.amdhsa_fp16_overflow 0
		.amdhsa_tg_split 0
		.amdhsa_exception_fp_ieee_invalid_op 0
		.amdhsa_exception_fp_denorm_src 0
		.amdhsa_exception_fp_ieee_div_zero 0
		.amdhsa_exception_fp_ieee_overflow 0
		.amdhsa_exception_fp_ieee_underflow 0
		.amdhsa_exception_fp_ieee_inexact 0
		.amdhsa_exception_int_div_zero 0
	.end_amdhsa_kernel
	.section	.text._ZN7rocprim17ROCPRIM_400000_NS6detail17trampoline_kernelINS0_14default_configENS1_38merge_sort_block_merge_config_selectorIfNS0_10empty_typeEEEZZNS1_27merge_sort_block_merge_implIS3_N6thrust23THRUST_200600_302600_NS6detail15normal_iteratorINS9_10device_ptrIfEEEEPS5_m14custom_greaterIfEEE10hipError_tT0_T1_T2_jT3_P12ihipStream_tbPNSt15iterator_traitsISJ_E10value_typeEPNSP_ISK_E10value_typeEPSL_NS1_7vsmem_tEENKUlT_SJ_SK_SL_E_clIPfSE_SF_SF_EESI_SY_SJ_SK_SL_EUlSY_E_NS1_11comp_targetILNS1_3genE3ELNS1_11target_archE908ELNS1_3gpuE7ELNS1_3repE0EEENS1_48merge_mergepath_partition_config_static_selectorELNS0_4arch9wavefront6targetE1EEEvSK_,"axG",@progbits,_ZN7rocprim17ROCPRIM_400000_NS6detail17trampoline_kernelINS0_14default_configENS1_38merge_sort_block_merge_config_selectorIfNS0_10empty_typeEEEZZNS1_27merge_sort_block_merge_implIS3_N6thrust23THRUST_200600_302600_NS6detail15normal_iteratorINS9_10device_ptrIfEEEEPS5_m14custom_greaterIfEEE10hipError_tT0_T1_T2_jT3_P12ihipStream_tbPNSt15iterator_traitsISJ_E10value_typeEPNSP_ISK_E10value_typeEPSL_NS1_7vsmem_tEENKUlT_SJ_SK_SL_E_clIPfSE_SF_SF_EESI_SY_SJ_SK_SL_EUlSY_E_NS1_11comp_targetILNS1_3genE3ELNS1_11target_archE908ELNS1_3gpuE7ELNS1_3repE0EEENS1_48merge_mergepath_partition_config_static_selectorELNS0_4arch9wavefront6targetE1EEEvSK_,comdat
.Lfunc_end3542:
	.size	_ZN7rocprim17ROCPRIM_400000_NS6detail17trampoline_kernelINS0_14default_configENS1_38merge_sort_block_merge_config_selectorIfNS0_10empty_typeEEEZZNS1_27merge_sort_block_merge_implIS3_N6thrust23THRUST_200600_302600_NS6detail15normal_iteratorINS9_10device_ptrIfEEEEPS5_m14custom_greaterIfEEE10hipError_tT0_T1_T2_jT3_P12ihipStream_tbPNSt15iterator_traitsISJ_E10value_typeEPNSP_ISK_E10value_typeEPSL_NS1_7vsmem_tEENKUlT_SJ_SK_SL_E_clIPfSE_SF_SF_EESI_SY_SJ_SK_SL_EUlSY_E_NS1_11comp_targetILNS1_3genE3ELNS1_11target_archE908ELNS1_3gpuE7ELNS1_3repE0EEENS1_48merge_mergepath_partition_config_static_selectorELNS0_4arch9wavefront6targetE1EEEvSK_, .Lfunc_end3542-_ZN7rocprim17ROCPRIM_400000_NS6detail17trampoline_kernelINS0_14default_configENS1_38merge_sort_block_merge_config_selectorIfNS0_10empty_typeEEEZZNS1_27merge_sort_block_merge_implIS3_N6thrust23THRUST_200600_302600_NS6detail15normal_iteratorINS9_10device_ptrIfEEEEPS5_m14custom_greaterIfEEE10hipError_tT0_T1_T2_jT3_P12ihipStream_tbPNSt15iterator_traitsISJ_E10value_typeEPNSP_ISK_E10value_typeEPSL_NS1_7vsmem_tEENKUlT_SJ_SK_SL_E_clIPfSE_SF_SF_EESI_SY_SJ_SK_SL_EUlSY_E_NS1_11comp_targetILNS1_3genE3ELNS1_11target_archE908ELNS1_3gpuE7ELNS1_3repE0EEENS1_48merge_mergepath_partition_config_static_selectorELNS0_4arch9wavefront6targetE1EEEvSK_
                                        ; -- End function
	.section	.AMDGPU.csdata,"",@progbits
; Kernel info:
; codeLenInByte = 0
; NumSgprs: 4
; NumVgprs: 0
; NumAgprs: 0
; TotalNumVgprs: 0
; ScratchSize: 0
; MemoryBound: 0
; FloatMode: 240
; IeeeMode: 1
; LDSByteSize: 0 bytes/workgroup (compile time only)
; SGPRBlocks: 0
; VGPRBlocks: 0
; NumSGPRsForWavesPerEU: 4
; NumVGPRsForWavesPerEU: 1
; AccumOffset: 4
; Occupancy: 8
; WaveLimiterHint : 0
; COMPUTE_PGM_RSRC2:SCRATCH_EN: 0
; COMPUTE_PGM_RSRC2:USER_SGPR: 6
; COMPUTE_PGM_RSRC2:TRAP_HANDLER: 0
; COMPUTE_PGM_RSRC2:TGID_X_EN: 1
; COMPUTE_PGM_RSRC2:TGID_Y_EN: 0
; COMPUTE_PGM_RSRC2:TGID_Z_EN: 0
; COMPUTE_PGM_RSRC2:TIDIG_COMP_CNT: 0
; COMPUTE_PGM_RSRC3_GFX90A:ACCUM_OFFSET: 0
; COMPUTE_PGM_RSRC3_GFX90A:TG_SPLIT: 0
	.section	.text._ZN7rocprim17ROCPRIM_400000_NS6detail17trampoline_kernelINS0_14default_configENS1_38merge_sort_block_merge_config_selectorIfNS0_10empty_typeEEEZZNS1_27merge_sort_block_merge_implIS3_N6thrust23THRUST_200600_302600_NS6detail15normal_iteratorINS9_10device_ptrIfEEEEPS5_m14custom_greaterIfEEE10hipError_tT0_T1_T2_jT3_P12ihipStream_tbPNSt15iterator_traitsISJ_E10value_typeEPNSP_ISK_E10value_typeEPSL_NS1_7vsmem_tEENKUlT_SJ_SK_SL_E_clIPfSE_SF_SF_EESI_SY_SJ_SK_SL_EUlSY_E_NS1_11comp_targetILNS1_3genE2ELNS1_11target_archE906ELNS1_3gpuE6ELNS1_3repE0EEENS1_48merge_mergepath_partition_config_static_selectorELNS0_4arch9wavefront6targetE1EEEvSK_,"axG",@progbits,_ZN7rocprim17ROCPRIM_400000_NS6detail17trampoline_kernelINS0_14default_configENS1_38merge_sort_block_merge_config_selectorIfNS0_10empty_typeEEEZZNS1_27merge_sort_block_merge_implIS3_N6thrust23THRUST_200600_302600_NS6detail15normal_iteratorINS9_10device_ptrIfEEEEPS5_m14custom_greaterIfEEE10hipError_tT0_T1_T2_jT3_P12ihipStream_tbPNSt15iterator_traitsISJ_E10value_typeEPNSP_ISK_E10value_typeEPSL_NS1_7vsmem_tEENKUlT_SJ_SK_SL_E_clIPfSE_SF_SF_EESI_SY_SJ_SK_SL_EUlSY_E_NS1_11comp_targetILNS1_3genE2ELNS1_11target_archE906ELNS1_3gpuE6ELNS1_3repE0EEENS1_48merge_mergepath_partition_config_static_selectorELNS0_4arch9wavefront6targetE1EEEvSK_,comdat
	.protected	_ZN7rocprim17ROCPRIM_400000_NS6detail17trampoline_kernelINS0_14default_configENS1_38merge_sort_block_merge_config_selectorIfNS0_10empty_typeEEEZZNS1_27merge_sort_block_merge_implIS3_N6thrust23THRUST_200600_302600_NS6detail15normal_iteratorINS9_10device_ptrIfEEEEPS5_m14custom_greaterIfEEE10hipError_tT0_T1_T2_jT3_P12ihipStream_tbPNSt15iterator_traitsISJ_E10value_typeEPNSP_ISK_E10value_typeEPSL_NS1_7vsmem_tEENKUlT_SJ_SK_SL_E_clIPfSE_SF_SF_EESI_SY_SJ_SK_SL_EUlSY_E_NS1_11comp_targetILNS1_3genE2ELNS1_11target_archE906ELNS1_3gpuE6ELNS1_3repE0EEENS1_48merge_mergepath_partition_config_static_selectorELNS0_4arch9wavefront6targetE1EEEvSK_ ; -- Begin function _ZN7rocprim17ROCPRIM_400000_NS6detail17trampoline_kernelINS0_14default_configENS1_38merge_sort_block_merge_config_selectorIfNS0_10empty_typeEEEZZNS1_27merge_sort_block_merge_implIS3_N6thrust23THRUST_200600_302600_NS6detail15normal_iteratorINS9_10device_ptrIfEEEEPS5_m14custom_greaterIfEEE10hipError_tT0_T1_T2_jT3_P12ihipStream_tbPNSt15iterator_traitsISJ_E10value_typeEPNSP_ISK_E10value_typeEPSL_NS1_7vsmem_tEENKUlT_SJ_SK_SL_E_clIPfSE_SF_SF_EESI_SY_SJ_SK_SL_EUlSY_E_NS1_11comp_targetILNS1_3genE2ELNS1_11target_archE906ELNS1_3gpuE6ELNS1_3repE0EEENS1_48merge_mergepath_partition_config_static_selectorELNS0_4arch9wavefront6targetE1EEEvSK_
	.globl	_ZN7rocprim17ROCPRIM_400000_NS6detail17trampoline_kernelINS0_14default_configENS1_38merge_sort_block_merge_config_selectorIfNS0_10empty_typeEEEZZNS1_27merge_sort_block_merge_implIS3_N6thrust23THRUST_200600_302600_NS6detail15normal_iteratorINS9_10device_ptrIfEEEEPS5_m14custom_greaterIfEEE10hipError_tT0_T1_T2_jT3_P12ihipStream_tbPNSt15iterator_traitsISJ_E10value_typeEPNSP_ISK_E10value_typeEPSL_NS1_7vsmem_tEENKUlT_SJ_SK_SL_E_clIPfSE_SF_SF_EESI_SY_SJ_SK_SL_EUlSY_E_NS1_11comp_targetILNS1_3genE2ELNS1_11target_archE906ELNS1_3gpuE6ELNS1_3repE0EEENS1_48merge_mergepath_partition_config_static_selectorELNS0_4arch9wavefront6targetE1EEEvSK_
	.p2align	8
	.type	_ZN7rocprim17ROCPRIM_400000_NS6detail17trampoline_kernelINS0_14default_configENS1_38merge_sort_block_merge_config_selectorIfNS0_10empty_typeEEEZZNS1_27merge_sort_block_merge_implIS3_N6thrust23THRUST_200600_302600_NS6detail15normal_iteratorINS9_10device_ptrIfEEEEPS5_m14custom_greaterIfEEE10hipError_tT0_T1_T2_jT3_P12ihipStream_tbPNSt15iterator_traitsISJ_E10value_typeEPNSP_ISK_E10value_typeEPSL_NS1_7vsmem_tEENKUlT_SJ_SK_SL_E_clIPfSE_SF_SF_EESI_SY_SJ_SK_SL_EUlSY_E_NS1_11comp_targetILNS1_3genE2ELNS1_11target_archE906ELNS1_3gpuE6ELNS1_3repE0EEENS1_48merge_mergepath_partition_config_static_selectorELNS0_4arch9wavefront6targetE1EEEvSK_,@function
_ZN7rocprim17ROCPRIM_400000_NS6detail17trampoline_kernelINS0_14default_configENS1_38merge_sort_block_merge_config_selectorIfNS0_10empty_typeEEEZZNS1_27merge_sort_block_merge_implIS3_N6thrust23THRUST_200600_302600_NS6detail15normal_iteratorINS9_10device_ptrIfEEEEPS5_m14custom_greaterIfEEE10hipError_tT0_T1_T2_jT3_P12ihipStream_tbPNSt15iterator_traitsISJ_E10value_typeEPNSP_ISK_E10value_typeEPSL_NS1_7vsmem_tEENKUlT_SJ_SK_SL_E_clIPfSE_SF_SF_EESI_SY_SJ_SK_SL_EUlSY_E_NS1_11comp_targetILNS1_3genE2ELNS1_11target_archE906ELNS1_3gpuE6ELNS1_3repE0EEENS1_48merge_mergepath_partition_config_static_selectorELNS0_4arch9wavefront6targetE1EEEvSK_: ; @_ZN7rocprim17ROCPRIM_400000_NS6detail17trampoline_kernelINS0_14default_configENS1_38merge_sort_block_merge_config_selectorIfNS0_10empty_typeEEEZZNS1_27merge_sort_block_merge_implIS3_N6thrust23THRUST_200600_302600_NS6detail15normal_iteratorINS9_10device_ptrIfEEEEPS5_m14custom_greaterIfEEE10hipError_tT0_T1_T2_jT3_P12ihipStream_tbPNSt15iterator_traitsISJ_E10value_typeEPNSP_ISK_E10value_typeEPSL_NS1_7vsmem_tEENKUlT_SJ_SK_SL_E_clIPfSE_SF_SF_EESI_SY_SJ_SK_SL_EUlSY_E_NS1_11comp_targetILNS1_3genE2ELNS1_11target_archE906ELNS1_3gpuE6ELNS1_3repE0EEENS1_48merge_mergepath_partition_config_static_selectorELNS0_4arch9wavefront6targetE1EEEvSK_
; %bb.0:
	.section	.rodata,"a",@progbits
	.p2align	6, 0x0
	.amdhsa_kernel _ZN7rocprim17ROCPRIM_400000_NS6detail17trampoline_kernelINS0_14default_configENS1_38merge_sort_block_merge_config_selectorIfNS0_10empty_typeEEEZZNS1_27merge_sort_block_merge_implIS3_N6thrust23THRUST_200600_302600_NS6detail15normal_iteratorINS9_10device_ptrIfEEEEPS5_m14custom_greaterIfEEE10hipError_tT0_T1_T2_jT3_P12ihipStream_tbPNSt15iterator_traitsISJ_E10value_typeEPNSP_ISK_E10value_typeEPSL_NS1_7vsmem_tEENKUlT_SJ_SK_SL_E_clIPfSE_SF_SF_EESI_SY_SJ_SK_SL_EUlSY_E_NS1_11comp_targetILNS1_3genE2ELNS1_11target_archE906ELNS1_3gpuE6ELNS1_3repE0EEENS1_48merge_mergepath_partition_config_static_selectorELNS0_4arch9wavefront6targetE1EEEvSK_
		.amdhsa_group_segment_fixed_size 0
		.amdhsa_private_segment_fixed_size 0
		.amdhsa_kernarg_size 48
		.amdhsa_user_sgpr_count 6
		.amdhsa_user_sgpr_private_segment_buffer 1
		.amdhsa_user_sgpr_dispatch_ptr 0
		.amdhsa_user_sgpr_queue_ptr 0
		.amdhsa_user_sgpr_kernarg_segment_ptr 1
		.amdhsa_user_sgpr_dispatch_id 0
		.amdhsa_user_sgpr_flat_scratch_init 0
		.amdhsa_user_sgpr_kernarg_preload_length 0
		.amdhsa_user_sgpr_kernarg_preload_offset 0
		.amdhsa_user_sgpr_private_segment_size 0
		.amdhsa_uses_dynamic_stack 0
		.amdhsa_system_sgpr_private_segment_wavefront_offset 0
		.amdhsa_system_sgpr_workgroup_id_x 1
		.amdhsa_system_sgpr_workgroup_id_y 0
		.amdhsa_system_sgpr_workgroup_id_z 0
		.amdhsa_system_sgpr_workgroup_info 0
		.amdhsa_system_vgpr_workitem_id 0
		.amdhsa_next_free_vgpr 1
		.amdhsa_next_free_sgpr 0
		.amdhsa_accum_offset 4
		.amdhsa_reserve_vcc 0
		.amdhsa_reserve_flat_scratch 0
		.amdhsa_float_round_mode_32 0
		.amdhsa_float_round_mode_16_64 0
		.amdhsa_float_denorm_mode_32 3
		.amdhsa_float_denorm_mode_16_64 3
		.amdhsa_dx10_clamp 1
		.amdhsa_ieee_mode 1
		.amdhsa_fp16_overflow 0
		.amdhsa_tg_split 0
		.amdhsa_exception_fp_ieee_invalid_op 0
		.amdhsa_exception_fp_denorm_src 0
		.amdhsa_exception_fp_ieee_div_zero 0
		.amdhsa_exception_fp_ieee_overflow 0
		.amdhsa_exception_fp_ieee_underflow 0
		.amdhsa_exception_fp_ieee_inexact 0
		.amdhsa_exception_int_div_zero 0
	.end_amdhsa_kernel
	.section	.text._ZN7rocprim17ROCPRIM_400000_NS6detail17trampoline_kernelINS0_14default_configENS1_38merge_sort_block_merge_config_selectorIfNS0_10empty_typeEEEZZNS1_27merge_sort_block_merge_implIS3_N6thrust23THRUST_200600_302600_NS6detail15normal_iteratorINS9_10device_ptrIfEEEEPS5_m14custom_greaterIfEEE10hipError_tT0_T1_T2_jT3_P12ihipStream_tbPNSt15iterator_traitsISJ_E10value_typeEPNSP_ISK_E10value_typeEPSL_NS1_7vsmem_tEENKUlT_SJ_SK_SL_E_clIPfSE_SF_SF_EESI_SY_SJ_SK_SL_EUlSY_E_NS1_11comp_targetILNS1_3genE2ELNS1_11target_archE906ELNS1_3gpuE6ELNS1_3repE0EEENS1_48merge_mergepath_partition_config_static_selectorELNS0_4arch9wavefront6targetE1EEEvSK_,"axG",@progbits,_ZN7rocprim17ROCPRIM_400000_NS6detail17trampoline_kernelINS0_14default_configENS1_38merge_sort_block_merge_config_selectorIfNS0_10empty_typeEEEZZNS1_27merge_sort_block_merge_implIS3_N6thrust23THRUST_200600_302600_NS6detail15normal_iteratorINS9_10device_ptrIfEEEEPS5_m14custom_greaterIfEEE10hipError_tT0_T1_T2_jT3_P12ihipStream_tbPNSt15iterator_traitsISJ_E10value_typeEPNSP_ISK_E10value_typeEPSL_NS1_7vsmem_tEENKUlT_SJ_SK_SL_E_clIPfSE_SF_SF_EESI_SY_SJ_SK_SL_EUlSY_E_NS1_11comp_targetILNS1_3genE2ELNS1_11target_archE906ELNS1_3gpuE6ELNS1_3repE0EEENS1_48merge_mergepath_partition_config_static_selectorELNS0_4arch9wavefront6targetE1EEEvSK_,comdat
.Lfunc_end3543:
	.size	_ZN7rocprim17ROCPRIM_400000_NS6detail17trampoline_kernelINS0_14default_configENS1_38merge_sort_block_merge_config_selectorIfNS0_10empty_typeEEEZZNS1_27merge_sort_block_merge_implIS3_N6thrust23THRUST_200600_302600_NS6detail15normal_iteratorINS9_10device_ptrIfEEEEPS5_m14custom_greaterIfEEE10hipError_tT0_T1_T2_jT3_P12ihipStream_tbPNSt15iterator_traitsISJ_E10value_typeEPNSP_ISK_E10value_typeEPSL_NS1_7vsmem_tEENKUlT_SJ_SK_SL_E_clIPfSE_SF_SF_EESI_SY_SJ_SK_SL_EUlSY_E_NS1_11comp_targetILNS1_3genE2ELNS1_11target_archE906ELNS1_3gpuE6ELNS1_3repE0EEENS1_48merge_mergepath_partition_config_static_selectorELNS0_4arch9wavefront6targetE1EEEvSK_, .Lfunc_end3543-_ZN7rocprim17ROCPRIM_400000_NS6detail17trampoline_kernelINS0_14default_configENS1_38merge_sort_block_merge_config_selectorIfNS0_10empty_typeEEEZZNS1_27merge_sort_block_merge_implIS3_N6thrust23THRUST_200600_302600_NS6detail15normal_iteratorINS9_10device_ptrIfEEEEPS5_m14custom_greaterIfEEE10hipError_tT0_T1_T2_jT3_P12ihipStream_tbPNSt15iterator_traitsISJ_E10value_typeEPNSP_ISK_E10value_typeEPSL_NS1_7vsmem_tEENKUlT_SJ_SK_SL_E_clIPfSE_SF_SF_EESI_SY_SJ_SK_SL_EUlSY_E_NS1_11comp_targetILNS1_3genE2ELNS1_11target_archE906ELNS1_3gpuE6ELNS1_3repE0EEENS1_48merge_mergepath_partition_config_static_selectorELNS0_4arch9wavefront6targetE1EEEvSK_
                                        ; -- End function
	.section	.AMDGPU.csdata,"",@progbits
; Kernel info:
; codeLenInByte = 0
; NumSgprs: 4
; NumVgprs: 0
; NumAgprs: 0
; TotalNumVgprs: 0
; ScratchSize: 0
; MemoryBound: 0
; FloatMode: 240
; IeeeMode: 1
; LDSByteSize: 0 bytes/workgroup (compile time only)
; SGPRBlocks: 0
; VGPRBlocks: 0
; NumSGPRsForWavesPerEU: 4
; NumVGPRsForWavesPerEU: 1
; AccumOffset: 4
; Occupancy: 8
; WaveLimiterHint : 0
; COMPUTE_PGM_RSRC2:SCRATCH_EN: 0
; COMPUTE_PGM_RSRC2:USER_SGPR: 6
; COMPUTE_PGM_RSRC2:TRAP_HANDLER: 0
; COMPUTE_PGM_RSRC2:TGID_X_EN: 1
; COMPUTE_PGM_RSRC2:TGID_Y_EN: 0
; COMPUTE_PGM_RSRC2:TGID_Z_EN: 0
; COMPUTE_PGM_RSRC2:TIDIG_COMP_CNT: 0
; COMPUTE_PGM_RSRC3_GFX90A:ACCUM_OFFSET: 0
; COMPUTE_PGM_RSRC3_GFX90A:TG_SPLIT: 0
	.section	.text._ZN7rocprim17ROCPRIM_400000_NS6detail17trampoline_kernelINS0_14default_configENS1_38merge_sort_block_merge_config_selectorIfNS0_10empty_typeEEEZZNS1_27merge_sort_block_merge_implIS3_N6thrust23THRUST_200600_302600_NS6detail15normal_iteratorINS9_10device_ptrIfEEEEPS5_m14custom_greaterIfEEE10hipError_tT0_T1_T2_jT3_P12ihipStream_tbPNSt15iterator_traitsISJ_E10value_typeEPNSP_ISK_E10value_typeEPSL_NS1_7vsmem_tEENKUlT_SJ_SK_SL_E_clIPfSE_SF_SF_EESI_SY_SJ_SK_SL_EUlSY_E_NS1_11comp_targetILNS1_3genE9ELNS1_11target_archE1100ELNS1_3gpuE3ELNS1_3repE0EEENS1_48merge_mergepath_partition_config_static_selectorELNS0_4arch9wavefront6targetE1EEEvSK_,"axG",@progbits,_ZN7rocprim17ROCPRIM_400000_NS6detail17trampoline_kernelINS0_14default_configENS1_38merge_sort_block_merge_config_selectorIfNS0_10empty_typeEEEZZNS1_27merge_sort_block_merge_implIS3_N6thrust23THRUST_200600_302600_NS6detail15normal_iteratorINS9_10device_ptrIfEEEEPS5_m14custom_greaterIfEEE10hipError_tT0_T1_T2_jT3_P12ihipStream_tbPNSt15iterator_traitsISJ_E10value_typeEPNSP_ISK_E10value_typeEPSL_NS1_7vsmem_tEENKUlT_SJ_SK_SL_E_clIPfSE_SF_SF_EESI_SY_SJ_SK_SL_EUlSY_E_NS1_11comp_targetILNS1_3genE9ELNS1_11target_archE1100ELNS1_3gpuE3ELNS1_3repE0EEENS1_48merge_mergepath_partition_config_static_selectorELNS0_4arch9wavefront6targetE1EEEvSK_,comdat
	.protected	_ZN7rocprim17ROCPRIM_400000_NS6detail17trampoline_kernelINS0_14default_configENS1_38merge_sort_block_merge_config_selectorIfNS0_10empty_typeEEEZZNS1_27merge_sort_block_merge_implIS3_N6thrust23THRUST_200600_302600_NS6detail15normal_iteratorINS9_10device_ptrIfEEEEPS5_m14custom_greaterIfEEE10hipError_tT0_T1_T2_jT3_P12ihipStream_tbPNSt15iterator_traitsISJ_E10value_typeEPNSP_ISK_E10value_typeEPSL_NS1_7vsmem_tEENKUlT_SJ_SK_SL_E_clIPfSE_SF_SF_EESI_SY_SJ_SK_SL_EUlSY_E_NS1_11comp_targetILNS1_3genE9ELNS1_11target_archE1100ELNS1_3gpuE3ELNS1_3repE0EEENS1_48merge_mergepath_partition_config_static_selectorELNS0_4arch9wavefront6targetE1EEEvSK_ ; -- Begin function _ZN7rocprim17ROCPRIM_400000_NS6detail17trampoline_kernelINS0_14default_configENS1_38merge_sort_block_merge_config_selectorIfNS0_10empty_typeEEEZZNS1_27merge_sort_block_merge_implIS3_N6thrust23THRUST_200600_302600_NS6detail15normal_iteratorINS9_10device_ptrIfEEEEPS5_m14custom_greaterIfEEE10hipError_tT0_T1_T2_jT3_P12ihipStream_tbPNSt15iterator_traitsISJ_E10value_typeEPNSP_ISK_E10value_typeEPSL_NS1_7vsmem_tEENKUlT_SJ_SK_SL_E_clIPfSE_SF_SF_EESI_SY_SJ_SK_SL_EUlSY_E_NS1_11comp_targetILNS1_3genE9ELNS1_11target_archE1100ELNS1_3gpuE3ELNS1_3repE0EEENS1_48merge_mergepath_partition_config_static_selectorELNS0_4arch9wavefront6targetE1EEEvSK_
	.globl	_ZN7rocprim17ROCPRIM_400000_NS6detail17trampoline_kernelINS0_14default_configENS1_38merge_sort_block_merge_config_selectorIfNS0_10empty_typeEEEZZNS1_27merge_sort_block_merge_implIS3_N6thrust23THRUST_200600_302600_NS6detail15normal_iteratorINS9_10device_ptrIfEEEEPS5_m14custom_greaterIfEEE10hipError_tT0_T1_T2_jT3_P12ihipStream_tbPNSt15iterator_traitsISJ_E10value_typeEPNSP_ISK_E10value_typeEPSL_NS1_7vsmem_tEENKUlT_SJ_SK_SL_E_clIPfSE_SF_SF_EESI_SY_SJ_SK_SL_EUlSY_E_NS1_11comp_targetILNS1_3genE9ELNS1_11target_archE1100ELNS1_3gpuE3ELNS1_3repE0EEENS1_48merge_mergepath_partition_config_static_selectorELNS0_4arch9wavefront6targetE1EEEvSK_
	.p2align	8
	.type	_ZN7rocprim17ROCPRIM_400000_NS6detail17trampoline_kernelINS0_14default_configENS1_38merge_sort_block_merge_config_selectorIfNS0_10empty_typeEEEZZNS1_27merge_sort_block_merge_implIS3_N6thrust23THRUST_200600_302600_NS6detail15normal_iteratorINS9_10device_ptrIfEEEEPS5_m14custom_greaterIfEEE10hipError_tT0_T1_T2_jT3_P12ihipStream_tbPNSt15iterator_traitsISJ_E10value_typeEPNSP_ISK_E10value_typeEPSL_NS1_7vsmem_tEENKUlT_SJ_SK_SL_E_clIPfSE_SF_SF_EESI_SY_SJ_SK_SL_EUlSY_E_NS1_11comp_targetILNS1_3genE9ELNS1_11target_archE1100ELNS1_3gpuE3ELNS1_3repE0EEENS1_48merge_mergepath_partition_config_static_selectorELNS0_4arch9wavefront6targetE1EEEvSK_,@function
_ZN7rocprim17ROCPRIM_400000_NS6detail17trampoline_kernelINS0_14default_configENS1_38merge_sort_block_merge_config_selectorIfNS0_10empty_typeEEEZZNS1_27merge_sort_block_merge_implIS3_N6thrust23THRUST_200600_302600_NS6detail15normal_iteratorINS9_10device_ptrIfEEEEPS5_m14custom_greaterIfEEE10hipError_tT0_T1_T2_jT3_P12ihipStream_tbPNSt15iterator_traitsISJ_E10value_typeEPNSP_ISK_E10value_typeEPSL_NS1_7vsmem_tEENKUlT_SJ_SK_SL_E_clIPfSE_SF_SF_EESI_SY_SJ_SK_SL_EUlSY_E_NS1_11comp_targetILNS1_3genE9ELNS1_11target_archE1100ELNS1_3gpuE3ELNS1_3repE0EEENS1_48merge_mergepath_partition_config_static_selectorELNS0_4arch9wavefront6targetE1EEEvSK_: ; @_ZN7rocprim17ROCPRIM_400000_NS6detail17trampoline_kernelINS0_14default_configENS1_38merge_sort_block_merge_config_selectorIfNS0_10empty_typeEEEZZNS1_27merge_sort_block_merge_implIS3_N6thrust23THRUST_200600_302600_NS6detail15normal_iteratorINS9_10device_ptrIfEEEEPS5_m14custom_greaterIfEEE10hipError_tT0_T1_T2_jT3_P12ihipStream_tbPNSt15iterator_traitsISJ_E10value_typeEPNSP_ISK_E10value_typeEPSL_NS1_7vsmem_tEENKUlT_SJ_SK_SL_E_clIPfSE_SF_SF_EESI_SY_SJ_SK_SL_EUlSY_E_NS1_11comp_targetILNS1_3genE9ELNS1_11target_archE1100ELNS1_3gpuE3ELNS1_3repE0EEENS1_48merge_mergepath_partition_config_static_selectorELNS0_4arch9wavefront6targetE1EEEvSK_
; %bb.0:
	.section	.rodata,"a",@progbits
	.p2align	6, 0x0
	.amdhsa_kernel _ZN7rocprim17ROCPRIM_400000_NS6detail17trampoline_kernelINS0_14default_configENS1_38merge_sort_block_merge_config_selectorIfNS0_10empty_typeEEEZZNS1_27merge_sort_block_merge_implIS3_N6thrust23THRUST_200600_302600_NS6detail15normal_iteratorINS9_10device_ptrIfEEEEPS5_m14custom_greaterIfEEE10hipError_tT0_T1_T2_jT3_P12ihipStream_tbPNSt15iterator_traitsISJ_E10value_typeEPNSP_ISK_E10value_typeEPSL_NS1_7vsmem_tEENKUlT_SJ_SK_SL_E_clIPfSE_SF_SF_EESI_SY_SJ_SK_SL_EUlSY_E_NS1_11comp_targetILNS1_3genE9ELNS1_11target_archE1100ELNS1_3gpuE3ELNS1_3repE0EEENS1_48merge_mergepath_partition_config_static_selectorELNS0_4arch9wavefront6targetE1EEEvSK_
		.amdhsa_group_segment_fixed_size 0
		.amdhsa_private_segment_fixed_size 0
		.amdhsa_kernarg_size 48
		.amdhsa_user_sgpr_count 6
		.amdhsa_user_sgpr_private_segment_buffer 1
		.amdhsa_user_sgpr_dispatch_ptr 0
		.amdhsa_user_sgpr_queue_ptr 0
		.amdhsa_user_sgpr_kernarg_segment_ptr 1
		.amdhsa_user_sgpr_dispatch_id 0
		.amdhsa_user_sgpr_flat_scratch_init 0
		.amdhsa_user_sgpr_kernarg_preload_length 0
		.amdhsa_user_sgpr_kernarg_preload_offset 0
		.amdhsa_user_sgpr_private_segment_size 0
		.amdhsa_uses_dynamic_stack 0
		.amdhsa_system_sgpr_private_segment_wavefront_offset 0
		.amdhsa_system_sgpr_workgroup_id_x 1
		.amdhsa_system_sgpr_workgroup_id_y 0
		.amdhsa_system_sgpr_workgroup_id_z 0
		.amdhsa_system_sgpr_workgroup_info 0
		.amdhsa_system_vgpr_workitem_id 0
		.amdhsa_next_free_vgpr 1
		.amdhsa_next_free_sgpr 0
		.amdhsa_accum_offset 4
		.amdhsa_reserve_vcc 0
		.amdhsa_reserve_flat_scratch 0
		.amdhsa_float_round_mode_32 0
		.amdhsa_float_round_mode_16_64 0
		.amdhsa_float_denorm_mode_32 3
		.amdhsa_float_denorm_mode_16_64 3
		.amdhsa_dx10_clamp 1
		.amdhsa_ieee_mode 1
		.amdhsa_fp16_overflow 0
		.amdhsa_tg_split 0
		.amdhsa_exception_fp_ieee_invalid_op 0
		.amdhsa_exception_fp_denorm_src 0
		.amdhsa_exception_fp_ieee_div_zero 0
		.amdhsa_exception_fp_ieee_overflow 0
		.amdhsa_exception_fp_ieee_underflow 0
		.amdhsa_exception_fp_ieee_inexact 0
		.amdhsa_exception_int_div_zero 0
	.end_amdhsa_kernel
	.section	.text._ZN7rocprim17ROCPRIM_400000_NS6detail17trampoline_kernelINS0_14default_configENS1_38merge_sort_block_merge_config_selectorIfNS0_10empty_typeEEEZZNS1_27merge_sort_block_merge_implIS3_N6thrust23THRUST_200600_302600_NS6detail15normal_iteratorINS9_10device_ptrIfEEEEPS5_m14custom_greaterIfEEE10hipError_tT0_T1_T2_jT3_P12ihipStream_tbPNSt15iterator_traitsISJ_E10value_typeEPNSP_ISK_E10value_typeEPSL_NS1_7vsmem_tEENKUlT_SJ_SK_SL_E_clIPfSE_SF_SF_EESI_SY_SJ_SK_SL_EUlSY_E_NS1_11comp_targetILNS1_3genE9ELNS1_11target_archE1100ELNS1_3gpuE3ELNS1_3repE0EEENS1_48merge_mergepath_partition_config_static_selectorELNS0_4arch9wavefront6targetE1EEEvSK_,"axG",@progbits,_ZN7rocprim17ROCPRIM_400000_NS6detail17trampoline_kernelINS0_14default_configENS1_38merge_sort_block_merge_config_selectorIfNS0_10empty_typeEEEZZNS1_27merge_sort_block_merge_implIS3_N6thrust23THRUST_200600_302600_NS6detail15normal_iteratorINS9_10device_ptrIfEEEEPS5_m14custom_greaterIfEEE10hipError_tT0_T1_T2_jT3_P12ihipStream_tbPNSt15iterator_traitsISJ_E10value_typeEPNSP_ISK_E10value_typeEPSL_NS1_7vsmem_tEENKUlT_SJ_SK_SL_E_clIPfSE_SF_SF_EESI_SY_SJ_SK_SL_EUlSY_E_NS1_11comp_targetILNS1_3genE9ELNS1_11target_archE1100ELNS1_3gpuE3ELNS1_3repE0EEENS1_48merge_mergepath_partition_config_static_selectorELNS0_4arch9wavefront6targetE1EEEvSK_,comdat
.Lfunc_end3544:
	.size	_ZN7rocprim17ROCPRIM_400000_NS6detail17trampoline_kernelINS0_14default_configENS1_38merge_sort_block_merge_config_selectorIfNS0_10empty_typeEEEZZNS1_27merge_sort_block_merge_implIS3_N6thrust23THRUST_200600_302600_NS6detail15normal_iteratorINS9_10device_ptrIfEEEEPS5_m14custom_greaterIfEEE10hipError_tT0_T1_T2_jT3_P12ihipStream_tbPNSt15iterator_traitsISJ_E10value_typeEPNSP_ISK_E10value_typeEPSL_NS1_7vsmem_tEENKUlT_SJ_SK_SL_E_clIPfSE_SF_SF_EESI_SY_SJ_SK_SL_EUlSY_E_NS1_11comp_targetILNS1_3genE9ELNS1_11target_archE1100ELNS1_3gpuE3ELNS1_3repE0EEENS1_48merge_mergepath_partition_config_static_selectorELNS0_4arch9wavefront6targetE1EEEvSK_, .Lfunc_end3544-_ZN7rocprim17ROCPRIM_400000_NS6detail17trampoline_kernelINS0_14default_configENS1_38merge_sort_block_merge_config_selectorIfNS0_10empty_typeEEEZZNS1_27merge_sort_block_merge_implIS3_N6thrust23THRUST_200600_302600_NS6detail15normal_iteratorINS9_10device_ptrIfEEEEPS5_m14custom_greaterIfEEE10hipError_tT0_T1_T2_jT3_P12ihipStream_tbPNSt15iterator_traitsISJ_E10value_typeEPNSP_ISK_E10value_typeEPSL_NS1_7vsmem_tEENKUlT_SJ_SK_SL_E_clIPfSE_SF_SF_EESI_SY_SJ_SK_SL_EUlSY_E_NS1_11comp_targetILNS1_3genE9ELNS1_11target_archE1100ELNS1_3gpuE3ELNS1_3repE0EEENS1_48merge_mergepath_partition_config_static_selectorELNS0_4arch9wavefront6targetE1EEEvSK_
                                        ; -- End function
	.section	.AMDGPU.csdata,"",@progbits
; Kernel info:
; codeLenInByte = 0
; NumSgprs: 4
; NumVgprs: 0
; NumAgprs: 0
; TotalNumVgprs: 0
; ScratchSize: 0
; MemoryBound: 0
; FloatMode: 240
; IeeeMode: 1
; LDSByteSize: 0 bytes/workgroup (compile time only)
; SGPRBlocks: 0
; VGPRBlocks: 0
; NumSGPRsForWavesPerEU: 4
; NumVGPRsForWavesPerEU: 1
; AccumOffset: 4
; Occupancy: 8
; WaveLimiterHint : 0
; COMPUTE_PGM_RSRC2:SCRATCH_EN: 0
; COMPUTE_PGM_RSRC2:USER_SGPR: 6
; COMPUTE_PGM_RSRC2:TRAP_HANDLER: 0
; COMPUTE_PGM_RSRC2:TGID_X_EN: 1
; COMPUTE_PGM_RSRC2:TGID_Y_EN: 0
; COMPUTE_PGM_RSRC2:TGID_Z_EN: 0
; COMPUTE_PGM_RSRC2:TIDIG_COMP_CNT: 0
; COMPUTE_PGM_RSRC3_GFX90A:ACCUM_OFFSET: 0
; COMPUTE_PGM_RSRC3_GFX90A:TG_SPLIT: 0
	.section	.text._ZN7rocprim17ROCPRIM_400000_NS6detail17trampoline_kernelINS0_14default_configENS1_38merge_sort_block_merge_config_selectorIfNS0_10empty_typeEEEZZNS1_27merge_sort_block_merge_implIS3_N6thrust23THRUST_200600_302600_NS6detail15normal_iteratorINS9_10device_ptrIfEEEEPS5_m14custom_greaterIfEEE10hipError_tT0_T1_T2_jT3_P12ihipStream_tbPNSt15iterator_traitsISJ_E10value_typeEPNSP_ISK_E10value_typeEPSL_NS1_7vsmem_tEENKUlT_SJ_SK_SL_E_clIPfSE_SF_SF_EESI_SY_SJ_SK_SL_EUlSY_E_NS1_11comp_targetILNS1_3genE8ELNS1_11target_archE1030ELNS1_3gpuE2ELNS1_3repE0EEENS1_48merge_mergepath_partition_config_static_selectorELNS0_4arch9wavefront6targetE1EEEvSK_,"axG",@progbits,_ZN7rocprim17ROCPRIM_400000_NS6detail17trampoline_kernelINS0_14default_configENS1_38merge_sort_block_merge_config_selectorIfNS0_10empty_typeEEEZZNS1_27merge_sort_block_merge_implIS3_N6thrust23THRUST_200600_302600_NS6detail15normal_iteratorINS9_10device_ptrIfEEEEPS5_m14custom_greaterIfEEE10hipError_tT0_T1_T2_jT3_P12ihipStream_tbPNSt15iterator_traitsISJ_E10value_typeEPNSP_ISK_E10value_typeEPSL_NS1_7vsmem_tEENKUlT_SJ_SK_SL_E_clIPfSE_SF_SF_EESI_SY_SJ_SK_SL_EUlSY_E_NS1_11comp_targetILNS1_3genE8ELNS1_11target_archE1030ELNS1_3gpuE2ELNS1_3repE0EEENS1_48merge_mergepath_partition_config_static_selectorELNS0_4arch9wavefront6targetE1EEEvSK_,comdat
	.protected	_ZN7rocprim17ROCPRIM_400000_NS6detail17trampoline_kernelINS0_14default_configENS1_38merge_sort_block_merge_config_selectorIfNS0_10empty_typeEEEZZNS1_27merge_sort_block_merge_implIS3_N6thrust23THRUST_200600_302600_NS6detail15normal_iteratorINS9_10device_ptrIfEEEEPS5_m14custom_greaterIfEEE10hipError_tT0_T1_T2_jT3_P12ihipStream_tbPNSt15iterator_traitsISJ_E10value_typeEPNSP_ISK_E10value_typeEPSL_NS1_7vsmem_tEENKUlT_SJ_SK_SL_E_clIPfSE_SF_SF_EESI_SY_SJ_SK_SL_EUlSY_E_NS1_11comp_targetILNS1_3genE8ELNS1_11target_archE1030ELNS1_3gpuE2ELNS1_3repE0EEENS1_48merge_mergepath_partition_config_static_selectorELNS0_4arch9wavefront6targetE1EEEvSK_ ; -- Begin function _ZN7rocprim17ROCPRIM_400000_NS6detail17trampoline_kernelINS0_14default_configENS1_38merge_sort_block_merge_config_selectorIfNS0_10empty_typeEEEZZNS1_27merge_sort_block_merge_implIS3_N6thrust23THRUST_200600_302600_NS6detail15normal_iteratorINS9_10device_ptrIfEEEEPS5_m14custom_greaterIfEEE10hipError_tT0_T1_T2_jT3_P12ihipStream_tbPNSt15iterator_traitsISJ_E10value_typeEPNSP_ISK_E10value_typeEPSL_NS1_7vsmem_tEENKUlT_SJ_SK_SL_E_clIPfSE_SF_SF_EESI_SY_SJ_SK_SL_EUlSY_E_NS1_11comp_targetILNS1_3genE8ELNS1_11target_archE1030ELNS1_3gpuE2ELNS1_3repE0EEENS1_48merge_mergepath_partition_config_static_selectorELNS0_4arch9wavefront6targetE1EEEvSK_
	.globl	_ZN7rocprim17ROCPRIM_400000_NS6detail17trampoline_kernelINS0_14default_configENS1_38merge_sort_block_merge_config_selectorIfNS0_10empty_typeEEEZZNS1_27merge_sort_block_merge_implIS3_N6thrust23THRUST_200600_302600_NS6detail15normal_iteratorINS9_10device_ptrIfEEEEPS5_m14custom_greaterIfEEE10hipError_tT0_T1_T2_jT3_P12ihipStream_tbPNSt15iterator_traitsISJ_E10value_typeEPNSP_ISK_E10value_typeEPSL_NS1_7vsmem_tEENKUlT_SJ_SK_SL_E_clIPfSE_SF_SF_EESI_SY_SJ_SK_SL_EUlSY_E_NS1_11comp_targetILNS1_3genE8ELNS1_11target_archE1030ELNS1_3gpuE2ELNS1_3repE0EEENS1_48merge_mergepath_partition_config_static_selectorELNS0_4arch9wavefront6targetE1EEEvSK_
	.p2align	8
	.type	_ZN7rocprim17ROCPRIM_400000_NS6detail17trampoline_kernelINS0_14default_configENS1_38merge_sort_block_merge_config_selectorIfNS0_10empty_typeEEEZZNS1_27merge_sort_block_merge_implIS3_N6thrust23THRUST_200600_302600_NS6detail15normal_iteratorINS9_10device_ptrIfEEEEPS5_m14custom_greaterIfEEE10hipError_tT0_T1_T2_jT3_P12ihipStream_tbPNSt15iterator_traitsISJ_E10value_typeEPNSP_ISK_E10value_typeEPSL_NS1_7vsmem_tEENKUlT_SJ_SK_SL_E_clIPfSE_SF_SF_EESI_SY_SJ_SK_SL_EUlSY_E_NS1_11comp_targetILNS1_3genE8ELNS1_11target_archE1030ELNS1_3gpuE2ELNS1_3repE0EEENS1_48merge_mergepath_partition_config_static_selectorELNS0_4arch9wavefront6targetE1EEEvSK_,@function
_ZN7rocprim17ROCPRIM_400000_NS6detail17trampoline_kernelINS0_14default_configENS1_38merge_sort_block_merge_config_selectorIfNS0_10empty_typeEEEZZNS1_27merge_sort_block_merge_implIS3_N6thrust23THRUST_200600_302600_NS6detail15normal_iteratorINS9_10device_ptrIfEEEEPS5_m14custom_greaterIfEEE10hipError_tT0_T1_T2_jT3_P12ihipStream_tbPNSt15iterator_traitsISJ_E10value_typeEPNSP_ISK_E10value_typeEPSL_NS1_7vsmem_tEENKUlT_SJ_SK_SL_E_clIPfSE_SF_SF_EESI_SY_SJ_SK_SL_EUlSY_E_NS1_11comp_targetILNS1_3genE8ELNS1_11target_archE1030ELNS1_3gpuE2ELNS1_3repE0EEENS1_48merge_mergepath_partition_config_static_selectorELNS0_4arch9wavefront6targetE1EEEvSK_: ; @_ZN7rocprim17ROCPRIM_400000_NS6detail17trampoline_kernelINS0_14default_configENS1_38merge_sort_block_merge_config_selectorIfNS0_10empty_typeEEEZZNS1_27merge_sort_block_merge_implIS3_N6thrust23THRUST_200600_302600_NS6detail15normal_iteratorINS9_10device_ptrIfEEEEPS5_m14custom_greaterIfEEE10hipError_tT0_T1_T2_jT3_P12ihipStream_tbPNSt15iterator_traitsISJ_E10value_typeEPNSP_ISK_E10value_typeEPSL_NS1_7vsmem_tEENKUlT_SJ_SK_SL_E_clIPfSE_SF_SF_EESI_SY_SJ_SK_SL_EUlSY_E_NS1_11comp_targetILNS1_3genE8ELNS1_11target_archE1030ELNS1_3gpuE2ELNS1_3repE0EEENS1_48merge_mergepath_partition_config_static_selectorELNS0_4arch9wavefront6targetE1EEEvSK_
; %bb.0:
	.section	.rodata,"a",@progbits
	.p2align	6, 0x0
	.amdhsa_kernel _ZN7rocprim17ROCPRIM_400000_NS6detail17trampoline_kernelINS0_14default_configENS1_38merge_sort_block_merge_config_selectorIfNS0_10empty_typeEEEZZNS1_27merge_sort_block_merge_implIS3_N6thrust23THRUST_200600_302600_NS6detail15normal_iteratorINS9_10device_ptrIfEEEEPS5_m14custom_greaterIfEEE10hipError_tT0_T1_T2_jT3_P12ihipStream_tbPNSt15iterator_traitsISJ_E10value_typeEPNSP_ISK_E10value_typeEPSL_NS1_7vsmem_tEENKUlT_SJ_SK_SL_E_clIPfSE_SF_SF_EESI_SY_SJ_SK_SL_EUlSY_E_NS1_11comp_targetILNS1_3genE8ELNS1_11target_archE1030ELNS1_3gpuE2ELNS1_3repE0EEENS1_48merge_mergepath_partition_config_static_selectorELNS0_4arch9wavefront6targetE1EEEvSK_
		.amdhsa_group_segment_fixed_size 0
		.amdhsa_private_segment_fixed_size 0
		.amdhsa_kernarg_size 48
		.amdhsa_user_sgpr_count 6
		.amdhsa_user_sgpr_private_segment_buffer 1
		.amdhsa_user_sgpr_dispatch_ptr 0
		.amdhsa_user_sgpr_queue_ptr 0
		.amdhsa_user_sgpr_kernarg_segment_ptr 1
		.amdhsa_user_sgpr_dispatch_id 0
		.amdhsa_user_sgpr_flat_scratch_init 0
		.amdhsa_user_sgpr_kernarg_preload_length 0
		.amdhsa_user_sgpr_kernarg_preload_offset 0
		.amdhsa_user_sgpr_private_segment_size 0
		.amdhsa_uses_dynamic_stack 0
		.amdhsa_system_sgpr_private_segment_wavefront_offset 0
		.amdhsa_system_sgpr_workgroup_id_x 1
		.amdhsa_system_sgpr_workgroup_id_y 0
		.amdhsa_system_sgpr_workgroup_id_z 0
		.amdhsa_system_sgpr_workgroup_info 0
		.amdhsa_system_vgpr_workitem_id 0
		.amdhsa_next_free_vgpr 1
		.amdhsa_next_free_sgpr 0
		.amdhsa_accum_offset 4
		.amdhsa_reserve_vcc 0
		.amdhsa_reserve_flat_scratch 0
		.amdhsa_float_round_mode_32 0
		.amdhsa_float_round_mode_16_64 0
		.amdhsa_float_denorm_mode_32 3
		.amdhsa_float_denorm_mode_16_64 3
		.amdhsa_dx10_clamp 1
		.amdhsa_ieee_mode 1
		.amdhsa_fp16_overflow 0
		.amdhsa_tg_split 0
		.amdhsa_exception_fp_ieee_invalid_op 0
		.amdhsa_exception_fp_denorm_src 0
		.amdhsa_exception_fp_ieee_div_zero 0
		.amdhsa_exception_fp_ieee_overflow 0
		.amdhsa_exception_fp_ieee_underflow 0
		.amdhsa_exception_fp_ieee_inexact 0
		.amdhsa_exception_int_div_zero 0
	.end_amdhsa_kernel
	.section	.text._ZN7rocprim17ROCPRIM_400000_NS6detail17trampoline_kernelINS0_14default_configENS1_38merge_sort_block_merge_config_selectorIfNS0_10empty_typeEEEZZNS1_27merge_sort_block_merge_implIS3_N6thrust23THRUST_200600_302600_NS6detail15normal_iteratorINS9_10device_ptrIfEEEEPS5_m14custom_greaterIfEEE10hipError_tT0_T1_T2_jT3_P12ihipStream_tbPNSt15iterator_traitsISJ_E10value_typeEPNSP_ISK_E10value_typeEPSL_NS1_7vsmem_tEENKUlT_SJ_SK_SL_E_clIPfSE_SF_SF_EESI_SY_SJ_SK_SL_EUlSY_E_NS1_11comp_targetILNS1_3genE8ELNS1_11target_archE1030ELNS1_3gpuE2ELNS1_3repE0EEENS1_48merge_mergepath_partition_config_static_selectorELNS0_4arch9wavefront6targetE1EEEvSK_,"axG",@progbits,_ZN7rocprim17ROCPRIM_400000_NS6detail17trampoline_kernelINS0_14default_configENS1_38merge_sort_block_merge_config_selectorIfNS0_10empty_typeEEEZZNS1_27merge_sort_block_merge_implIS3_N6thrust23THRUST_200600_302600_NS6detail15normal_iteratorINS9_10device_ptrIfEEEEPS5_m14custom_greaterIfEEE10hipError_tT0_T1_T2_jT3_P12ihipStream_tbPNSt15iterator_traitsISJ_E10value_typeEPNSP_ISK_E10value_typeEPSL_NS1_7vsmem_tEENKUlT_SJ_SK_SL_E_clIPfSE_SF_SF_EESI_SY_SJ_SK_SL_EUlSY_E_NS1_11comp_targetILNS1_3genE8ELNS1_11target_archE1030ELNS1_3gpuE2ELNS1_3repE0EEENS1_48merge_mergepath_partition_config_static_selectorELNS0_4arch9wavefront6targetE1EEEvSK_,comdat
.Lfunc_end3545:
	.size	_ZN7rocprim17ROCPRIM_400000_NS6detail17trampoline_kernelINS0_14default_configENS1_38merge_sort_block_merge_config_selectorIfNS0_10empty_typeEEEZZNS1_27merge_sort_block_merge_implIS3_N6thrust23THRUST_200600_302600_NS6detail15normal_iteratorINS9_10device_ptrIfEEEEPS5_m14custom_greaterIfEEE10hipError_tT0_T1_T2_jT3_P12ihipStream_tbPNSt15iterator_traitsISJ_E10value_typeEPNSP_ISK_E10value_typeEPSL_NS1_7vsmem_tEENKUlT_SJ_SK_SL_E_clIPfSE_SF_SF_EESI_SY_SJ_SK_SL_EUlSY_E_NS1_11comp_targetILNS1_3genE8ELNS1_11target_archE1030ELNS1_3gpuE2ELNS1_3repE0EEENS1_48merge_mergepath_partition_config_static_selectorELNS0_4arch9wavefront6targetE1EEEvSK_, .Lfunc_end3545-_ZN7rocprim17ROCPRIM_400000_NS6detail17trampoline_kernelINS0_14default_configENS1_38merge_sort_block_merge_config_selectorIfNS0_10empty_typeEEEZZNS1_27merge_sort_block_merge_implIS3_N6thrust23THRUST_200600_302600_NS6detail15normal_iteratorINS9_10device_ptrIfEEEEPS5_m14custom_greaterIfEEE10hipError_tT0_T1_T2_jT3_P12ihipStream_tbPNSt15iterator_traitsISJ_E10value_typeEPNSP_ISK_E10value_typeEPSL_NS1_7vsmem_tEENKUlT_SJ_SK_SL_E_clIPfSE_SF_SF_EESI_SY_SJ_SK_SL_EUlSY_E_NS1_11comp_targetILNS1_3genE8ELNS1_11target_archE1030ELNS1_3gpuE2ELNS1_3repE0EEENS1_48merge_mergepath_partition_config_static_selectorELNS0_4arch9wavefront6targetE1EEEvSK_
                                        ; -- End function
	.section	.AMDGPU.csdata,"",@progbits
; Kernel info:
; codeLenInByte = 0
; NumSgprs: 4
; NumVgprs: 0
; NumAgprs: 0
; TotalNumVgprs: 0
; ScratchSize: 0
; MemoryBound: 0
; FloatMode: 240
; IeeeMode: 1
; LDSByteSize: 0 bytes/workgroup (compile time only)
; SGPRBlocks: 0
; VGPRBlocks: 0
; NumSGPRsForWavesPerEU: 4
; NumVGPRsForWavesPerEU: 1
; AccumOffset: 4
; Occupancy: 8
; WaveLimiterHint : 0
; COMPUTE_PGM_RSRC2:SCRATCH_EN: 0
; COMPUTE_PGM_RSRC2:USER_SGPR: 6
; COMPUTE_PGM_RSRC2:TRAP_HANDLER: 0
; COMPUTE_PGM_RSRC2:TGID_X_EN: 1
; COMPUTE_PGM_RSRC2:TGID_Y_EN: 0
; COMPUTE_PGM_RSRC2:TGID_Z_EN: 0
; COMPUTE_PGM_RSRC2:TIDIG_COMP_CNT: 0
; COMPUTE_PGM_RSRC3_GFX90A:ACCUM_OFFSET: 0
; COMPUTE_PGM_RSRC3_GFX90A:TG_SPLIT: 0
	.section	.text._ZN7rocprim17ROCPRIM_400000_NS6detail17trampoline_kernelINS0_14default_configENS1_38merge_sort_block_merge_config_selectorIfNS0_10empty_typeEEEZZNS1_27merge_sort_block_merge_implIS3_N6thrust23THRUST_200600_302600_NS6detail15normal_iteratorINS9_10device_ptrIfEEEEPS5_m14custom_greaterIfEEE10hipError_tT0_T1_T2_jT3_P12ihipStream_tbPNSt15iterator_traitsISJ_E10value_typeEPNSP_ISK_E10value_typeEPSL_NS1_7vsmem_tEENKUlT_SJ_SK_SL_E_clIPfSE_SF_SF_EESI_SY_SJ_SK_SL_EUlSY_E0_NS1_11comp_targetILNS1_3genE0ELNS1_11target_archE4294967295ELNS1_3gpuE0ELNS1_3repE0EEENS1_38merge_mergepath_config_static_selectorELNS0_4arch9wavefront6targetE1EEEvSK_,"axG",@progbits,_ZN7rocprim17ROCPRIM_400000_NS6detail17trampoline_kernelINS0_14default_configENS1_38merge_sort_block_merge_config_selectorIfNS0_10empty_typeEEEZZNS1_27merge_sort_block_merge_implIS3_N6thrust23THRUST_200600_302600_NS6detail15normal_iteratorINS9_10device_ptrIfEEEEPS5_m14custom_greaterIfEEE10hipError_tT0_T1_T2_jT3_P12ihipStream_tbPNSt15iterator_traitsISJ_E10value_typeEPNSP_ISK_E10value_typeEPSL_NS1_7vsmem_tEENKUlT_SJ_SK_SL_E_clIPfSE_SF_SF_EESI_SY_SJ_SK_SL_EUlSY_E0_NS1_11comp_targetILNS1_3genE0ELNS1_11target_archE4294967295ELNS1_3gpuE0ELNS1_3repE0EEENS1_38merge_mergepath_config_static_selectorELNS0_4arch9wavefront6targetE1EEEvSK_,comdat
	.protected	_ZN7rocprim17ROCPRIM_400000_NS6detail17trampoline_kernelINS0_14default_configENS1_38merge_sort_block_merge_config_selectorIfNS0_10empty_typeEEEZZNS1_27merge_sort_block_merge_implIS3_N6thrust23THRUST_200600_302600_NS6detail15normal_iteratorINS9_10device_ptrIfEEEEPS5_m14custom_greaterIfEEE10hipError_tT0_T1_T2_jT3_P12ihipStream_tbPNSt15iterator_traitsISJ_E10value_typeEPNSP_ISK_E10value_typeEPSL_NS1_7vsmem_tEENKUlT_SJ_SK_SL_E_clIPfSE_SF_SF_EESI_SY_SJ_SK_SL_EUlSY_E0_NS1_11comp_targetILNS1_3genE0ELNS1_11target_archE4294967295ELNS1_3gpuE0ELNS1_3repE0EEENS1_38merge_mergepath_config_static_selectorELNS0_4arch9wavefront6targetE1EEEvSK_ ; -- Begin function _ZN7rocprim17ROCPRIM_400000_NS6detail17trampoline_kernelINS0_14default_configENS1_38merge_sort_block_merge_config_selectorIfNS0_10empty_typeEEEZZNS1_27merge_sort_block_merge_implIS3_N6thrust23THRUST_200600_302600_NS6detail15normal_iteratorINS9_10device_ptrIfEEEEPS5_m14custom_greaterIfEEE10hipError_tT0_T1_T2_jT3_P12ihipStream_tbPNSt15iterator_traitsISJ_E10value_typeEPNSP_ISK_E10value_typeEPSL_NS1_7vsmem_tEENKUlT_SJ_SK_SL_E_clIPfSE_SF_SF_EESI_SY_SJ_SK_SL_EUlSY_E0_NS1_11comp_targetILNS1_3genE0ELNS1_11target_archE4294967295ELNS1_3gpuE0ELNS1_3repE0EEENS1_38merge_mergepath_config_static_selectorELNS0_4arch9wavefront6targetE1EEEvSK_
	.globl	_ZN7rocprim17ROCPRIM_400000_NS6detail17trampoline_kernelINS0_14default_configENS1_38merge_sort_block_merge_config_selectorIfNS0_10empty_typeEEEZZNS1_27merge_sort_block_merge_implIS3_N6thrust23THRUST_200600_302600_NS6detail15normal_iteratorINS9_10device_ptrIfEEEEPS5_m14custom_greaterIfEEE10hipError_tT0_T1_T2_jT3_P12ihipStream_tbPNSt15iterator_traitsISJ_E10value_typeEPNSP_ISK_E10value_typeEPSL_NS1_7vsmem_tEENKUlT_SJ_SK_SL_E_clIPfSE_SF_SF_EESI_SY_SJ_SK_SL_EUlSY_E0_NS1_11comp_targetILNS1_3genE0ELNS1_11target_archE4294967295ELNS1_3gpuE0ELNS1_3repE0EEENS1_38merge_mergepath_config_static_selectorELNS0_4arch9wavefront6targetE1EEEvSK_
	.p2align	8
	.type	_ZN7rocprim17ROCPRIM_400000_NS6detail17trampoline_kernelINS0_14default_configENS1_38merge_sort_block_merge_config_selectorIfNS0_10empty_typeEEEZZNS1_27merge_sort_block_merge_implIS3_N6thrust23THRUST_200600_302600_NS6detail15normal_iteratorINS9_10device_ptrIfEEEEPS5_m14custom_greaterIfEEE10hipError_tT0_T1_T2_jT3_P12ihipStream_tbPNSt15iterator_traitsISJ_E10value_typeEPNSP_ISK_E10value_typeEPSL_NS1_7vsmem_tEENKUlT_SJ_SK_SL_E_clIPfSE_SF_SF_EESI_SY_SJ_SK_SL_EUlSY_E0_NS1_11comp_targetILNS1_3genE0ELNS1_11target_archE4294967295ELNS1_3gpuE0ELNS1_3repE0EEENS1_38merge_mergepath_config_static_selectorELNS0_4arch9wavefront6targetE1EEEvSK_,@function
_ZN7rocprim17ROCPRIM_400000_NS6detail17trampoline_kernelINS0_14default_configENS1_38merge_sort_block_merge_config_selectorIfNS0_10empty_typeEEEZZNS1_27merge_sort_block_merge_implIS3_N6thrust23THRUST_200600_302600_NS6detail15normal_iteratorINS9_10device_ptrIfEEEEPS5_m14custom_greaterIfEEE10hipError_tT0_T1_T2_jT3_P12ihipStream_tbPNSt15iterator_traitsISJ_E10value_typeEPNSP_ISK_E10value_typeEPSL_NS1_7vsmem_tEENKUlT_SJ_SK_SL_E_clIPfSE_SF_SF_EESI_SY_SJ_SK_SL_EUlSY_E0_NS1_11comp_targetILNS1_3genE0ELNS1_11target_archE4294967295ELNS1_3gpuE0ELNS1_3repE0EEENS1_38merge_mergepath_config_static_selectorELNS0_4arch9wavefront6targetE1EEEvSK_: ; @_ZN7rocprim17ROCPRIM_400000_NS6detail17trampoline_kernelINS0_14default_configENS1_38merge_sort_block_merge_config_selectorIfNS0_10empty_typeEEEZZNS1_27merge_sort_block_merge_implIS3_N6thrust23THRUST_200600_302600_NS6detail15normal_iteratorINS9_10device_ptrIfEEEEPS5_m14custom_greaterIfEEE10hipError_tT0_T1_T2_jT3_P12ihipStream_tbPNSt15iterator_traitsISJ_E10value_typeEPNSP_ISK_E10value_typeEPSL_NS1_7vsmem_tEENKUlT_SJ_SK_SL_E_clIPfSE_SF_SF_EESI_SY_SJ_SK_SL_EUlSY_E0_NS1_11comp_targetILNS1_3genE0ELNS1_11target_archE4294967295ELNS1_3gpuE0ELNS1_3repE0EEENS1_38merge_mergepath_config_static_selectorELNS0_4arch9wavefront6targetE1EEEvSK_
; %bb.0:
	.section	.rodata,"a",@progbits
	.p2align	6, 0x0
	.amdhsa_kernel _ZN7rocprim17ROCPRIM_400000_NS6detail17trampoline_kernelINS0_14default_configENS1_38merge_sort_block_merge_config_selectorIfNS0_10empty_typeEEEZZNS1_27merge_sort_block_merge_implIS3_N6thrust23THRUST_200600_302600_NS6detail15normal_iteratorINS9_10device_ptrIfEEEEPS5_m14custom_greaterIfEEE10hipError_tT0_T1_T2_jT3_P12ihipStream_tbPNSt15iterator_traitsISJ_E10value_typeEPNSP_ISK_E10value_typeEPSL_NS1_7vsmem_tEENKUlT_SJ_SK_SL_E_clIPfSE_SF_SF_EESI_SY_SJ_SK_SL_EUlSY_E0_NS1_11comp_targetILNS1_3genE0ELNS1_11target_archE4294967295ELNS1_3gpuE0ELNS1_3repE0EEENS1_38merge_mergepath_config_static_selectorELNS0_4arch9wavefront6targetE1EEEvSK_
		.amdhsa_group_segment_fixed_size 0
		.amdhsa_private_segment_fixed_size 0
		.amdhsa_kernarg_size 72
		.amdhsa_user_sgpr_count 6
		.amdhsa_user_sgpr_private_segment_buffer 1
		.amdhsa_user_sgpr_dispatch_ptr 0
		.amdhsa_user_sgpr_queue_ptr 0
		.amdhsa_user_sgpr_kernarg_segment_ptr 1
		.amdhsa_user_sgpr_dispatch_id 0
		.amdhsa_user_sgpr_flat_scratch_init 0
		.amdhsa_user_sgpr_kernarg_preload_length 0
		.amdhsa_user_sgpr_kernarg_preload_offset 0
		.amdhsa_user_sgpr_private_segment_size 0
		.amdhsa_uses_dynamic_stack 0
		.amdhsa_system_sgpr_private_segment_wavefront_offset 0
		.amdhsa_system_sgpr_workgroup_id_x 1
		.amdhsa_system_sgpr_workgroup_id_y 0
		.amdhsa_system_sgpr_workgroup_id_z 0
		.amdhsa_system_sgpr_workgroup_info 0
		.amdhsa_system_vgpr_workitem_id 0
		.amdhsa_next_free_vgpr 1
		.amdhsa_next_free_sgpr 0
		.amdhsa_accum_offset 4
		.amdhsa_reserve_vcc 0
		.amdhsa_reserve_flat_scratch 0
		.amdhsa_float_round_mode_32 0
		.amdhsa_float_round_mode_16_64 0
		.amdhsa_float_denorm_mode_32 3
		.amdhsa_float_denorm_mode_16_64 3
		.amdhsa_dx10_clamp 1
		.amdhsa_ieee_mode 1
		.amdhsa_fp16_overflow 0
		.amdhsa_tg_split 0
		.amdhsa_exception_fp_ieee_invalid_op 0
		.amdhsa_exception_fp_denorm_src 0
		.amdhsa_exception_fp_ieee_div_zero 0
		.amdhsa_exception_fp_ieee_overflow 0
		.amdhsa_exception_fp_ieee_underflow 0
		.amdhsa_exception_fp_ieee_inexact 0
		.amdhsa_exception_int_div_zero 0
	.end_amdhsa_kernel
	.section	.text._ZN7rocprim17ROCPRIM_400000_NS6detail17trampoline_kernelINS0_14default_configENS1_38merge_sort_block_merge_config_selectorIfNS0_10empty_typeEEEZZNS1_27merge_sort_block_merge_implIS3_N6thrust23THRUST_200600_302600_NS6detail15normal_iteratorINS9_10device_ptrIfEEEEPS5_m14custom_greaterIfEEE10hipError_tT0_T1_T2_jT3_P12ihipStream_tbPNSt15iterator_traitsISJ_E10value_typeEPNSP_ISK_E10value_typeEPSL_NS1_7vsmem_tEENKUlT_SJ_SK_SL_E_clIPfSE_SF_SF_EESI_SY_SJ_SK_SL_EUlSY_E0_NS1_11comp_targetILNS1_3genE0ELNS1_11target_archE4294967295ELNS1_3gpuE0ELNS1_3repE0EEENS1_38merge_mergepath_config_static_selectorELNS0_4arch9wavefront6targetE1EEEvSK_,"axG",@progbits,_ZN7rocprim17ROCPRIM_400000_NS6detail17trampoline_kernelINS0_14default_configENS1_38merge_sort_block_merge_config_selectorIfNS0_10empty_typeEEEZZNS1_27merge_sort_block_merge_implIS3_N6thrust23THRUST_200600_302600_NS6detail15normal_iteratorINS9_10device_ptrIfEEEEPS5_m14custom_greaterIfEEE10hipError_tT0_T1_T2_jT3_P12ihipStream_tbPNSt15iterator_traitsISJ_E10value_typeEPNSP_ISK_E10value_typeEPSL_NS1_7vsmem_tEENKUlT_SJ_SK_SL_E_clIPfSE_SF_SF_EESI_SY_SJ_SK_SL_EUlSY_E0_NS1_11comp_targetILNS1_3genE0ELNS1_11target_archE4294967295ELNS1_3gpuE0ELNS1_3repE0EEENS1_38merge_mergepath_config_static_selectorELNS0_4arch9wavefront6targetE1EEEvSK_,comdat
.Lfunc_end3546:
	.size	_ZN7rocprim17ROCPRIM_400000_NS6detail17trampoline_kernelINS0_14default_configENS1_38merge_sort_block_merge_config_selectorIfNS0_10empty_typeEEEZZNS1_27merge_sort_block_merge_implIS3_N6thrust23THRUST_200600_302600_NS6detail15normal_iteratorINS9_10device_ptrIfEEEEPS5_m14custom_greaterIfEEE10hipError_tT0_T1_T2_jT3_P12ihipStream_tbPNSt15iterator_traitsISJ_E10value_typeEPNSP_ISK_E10value_typeEPSL_NS1_7vsmem_tEENKUlT_SJ_SK_SL_E_clIPfSE_SF_SF_EESI_SY_SJ_SK_SL_EUlSY_E0_NS1_11comp_targetILNS1_3genE0ELNS1_11target_archE4294967295ELNS1_3gpuE0ELNS1_3repE0EEENS1_38merge_mergepath_config_static_selectorELNS0_4arch9wavefront6targetE1EEEvSK_, .Lfunc_end3546-_ZN7rocprim17ROCPRIM_400000_NS6detail17trampoline_kernelINS0_14default_configENS1_38merge_sort_block_merge_config_selectorIfNS0_10empty_typeEEEZZNS1_27merge_sort_block_merge_implIS3_N6thrust23THRUST_200600_302600_NS6detail15normal_iteratorINS9_10device_ptrIfEEEEPS5_m14custom_greaterIfEEE10hipError_tT0_T1_T2_jT3_P12ihipStream_tbPNSt15iterator_traitsISJ_E10value_typeEPNSP_ISK_E10value_typeEPSL_NS1_7vsmem_tEENKUlT_SJ_SK_SL_E_clIPfSE_SF_SF_EESI_SY_SJ_SK_SL_EUlSY_E0_NS1_11comp_targetILNS1_3genE0ELNS1_11target_archE4294967295ELNS1_3gpuE0ELNS1_3repE0EEENS1_38merge_mergepath_config_static_selectorELNS0_4arch9wavefront6targetE1EEEvSK_
                                        ; -- End function
	.section	.AMDGPU.csdata,"",@progbits
; Kernel info:
; codeLenInByte = 0
; NumSgprs: 4
; NumVgprs: 0
; NumAgprs: 0
; TotalNumVgprs: 0
; ScratchSize: 0
; MemoryBound: 0
; FloatMode: 240
; IeeeMode: 1
; LDSByteSize: 0 bytes/workgroup (compile time only)
; SGPRBlocks: 0
; VGPRBlocks: 0
; NumSGPRsForWavesPerEU: 4
; NumVGPRsForWavesPerEU: 1
; AccumOffset: 4
; Occupancy: 8
; WaveLimiterHint : 0
; COMPUTE_PGM_RSRC2:SCRATCH_EN: 0
; COMPUTE_PGM_RSRC2:USER_SGPR: 6
; COMPUTE_PGM_RSRC2:TRAP_HANDLER: 0
; COMPUTE_PGM_RSRC2:TGID_X_EN: 1
; COMPUTE_PGM_RSRC2:TGID_Y_EN: 0
; COMPUTE_PGM_RSRC2:TGID_Z_EN: 0
; COMPUTE_PGM_RSRC2:TIDIG_COMP_CNT: 0
; COMPUTE_PGM_RSRC3_GFX90A:ACCUM_OFFSET: 0
; COMPUTE_PGM_RSRC3_GFX90A:TG_SPLIT: 0
	.section	.text._ZN7rocprim17ROCPRIM_400000_NS6detail17trampoline_kernelINS0_14default_configENS1_38merge_sort_block_merge_config_selectorIfNS0_10empty_typeEEEZZNS1_27merge_sort_block_merge_implIS3_N6thrust23THRUST_200600_302600_NS6detail15normal_iteratorINS9_10device_ptrIfEEEEPS5_m14custom_greaterIfEEE10hipError_tT0_T1_T2_jT3_P12ihipStream_tbPNSt15iterator_traitsISJ_E10value_typeEPNSP_ISK_E10value_typeEPSL_NS1_7vsmem_tEENKUlT_SJ_SK_SL_E_clIPfSE_SF_SF_EESI_SY_SJ_SK_SL_EUlSY_E0_NS1_11comp_targetILNS1_3genE10ELNS1_11target_archE1201ELNS1_3gpuE5ELNS1_3repE0EEENS1_38merge_mergepath_config_static_selectorELNS0_4arch9wavefront6targetE1EEEvSK_,"axG",@progbits,_ZN7rocprim17ROCPRIM_400000_NS6detail17trampoline_kernelINS0_14default_configENS1_38merge_sort_block_merge_config_selectorIfNS0_10empty_typeEEEZZNS1_27merge_sort_block_merge_implIS3_N6thrust23THRUST_200600_302600_NS6detail15normal_iteratorINS9_10device_ptrIfEEEEPS5_m14custom_greaterIfEEE10hipError_tT0_T1_T2_jT3_P12ihipStream_tbPNSt15iterator_traitsISJ_E10value_typeEPNSP_ISK_E10value_typeEPSL_NS1_7vsmem_tEENKUlT_SJ_SK_SL_E_clIPfSE_SF_SF_EESI_SY_SJ_SK_SL_EUlSY_E0_NS1_11comp_targetILNS1_3genE10ELNS1_11target_archE1201ELNS1_3gpuE5ELNS1_3repE0EEENS1_38merge_mergepath_config_static_selectorELNS0_4arch9wavefront6targetE1EEEvSK_,comdat
	.protected	_ZN7rocprim17ROCPRIM_400000_NS6detail17trampoline_kernelINS0_14default_configENS1_38merge_sort_block_merge_config_selectorIfNS0_10empty_typeEEEZZNS1_27merge_sort_block_merge_implIS3_N6thrust23THRUST_200600_302600_NS6detail15normal_iteratorINS9_10device_ptrIfEEEEPS5_m14custom_greaterIfEEE10hipError_tT0_T1_T2_jT3_P12ihipStream_tbPNSt15iterator_traitsISJ_E10value_typeEPNSP_ISK_E10value_typeEPSL_NS1_7vsmem_tEENKUlT_SJ_SK_SL_E_clIPfSE_SF_SF_EESI_SY_SJ_SK_SL_EUlSY_E0_NS1_11comp_targetILNS1_3genE10ELNS1_11target_archE1201ELNS1_3gpuE5ELNS1_3repE0EEENS1_38merge_mergepath_config_static_selectorELNS0_4arch9wavefront6targetE1EEEvSK_ ; -- Begin function _ZN7rocprim17ROCPRIM_400000_NS6detail17trampoline_kernelINS0_14default_configENS1_38merge_sort_block_merge_config_selectorIfNS0_10empty_typeEEEZZNS1_27merge_sort_block_merge_implIS3_N6thrust23THRUST_200600_302600_NS6detail15normal_iteratorINS9_10device_ptrIfEEEEPS5_m14custom_greaterIfEEE10hipError_tT0_T1_T2_jT3_P12ihipStream_tbPNSt15iterator_traitsISJ_E10value_typeEPNSP_ISK_E10value_typeEPSL_NS1_7vsmem_tEENKUlT_SJ_SK_SL_E_clIPfSE_SF_SF_EESI_SY_SJ_SK_SL_EUlSY_E0_NS1_11comp_targetILNS1_3genE10ELNS1_11target_archE1201ELNS1_3gpuE5ELNS1_3repE0EEENS1_38merge_mergepath_config_static_selectorELNS0_4arch9wavefront6targetE1EEEvSK_
	.globl	_ZN7rocprim17ROCPRIM_400000_NS6detail17trampoline_kernelINS0_14default_configENS1_38merge_sort_block_merge_config_selectorIfNS0_10empty_typeEEEZZNS1_27merge_sort_block_merge_implIS3_N6thrust23THRUST_200600_302600_NS6detail15normal_iteratorINS9_10device_ptrIfEEEEPS5_m14custom_greaterIfEEE10hipError_tT0_T1_T2_jT3_P12ihipStream_tbPNSt15iterator_traitsISJ_E10value_typeEPNSP_ISK_E10value_typeEPSL_NS1_7vsmem_tEENKUlT_SJ_SK_SL_E_clIPfSE_SF_SF_EESI_SY_SJ_SK_SL_EUlSY_E0_NS1_11comp_targetILNS1_3genE10ELNS1_11target_archE1201ELNS1_3gpuE5ELNS1_3repE0EEENS1_38merge_mergepath_config_static_selectorELNS0_4arch9wavefront6targetE1EEEvSK_
	.p2align	8
	.type	_ZN7rocprim17ROCPRIM_400000_NS6detail17trampoline_kernelINS0_14default_configENS1_38merge_sort_block_merge_config_selectorIfNS0_10empty_typeEEEZZNS1_27merge_sort_block_merge_implIS3_N6thrust23THRUST_200600_302600_NS6detail15normal_iteratorINS9_10device_ptrIfEEEEPS5_m14custom_greaterIfEEE10hipError_tT0_T1_T2_jT3_P12ihipStream_tbPNSt15iterator_traitsISJ_E10value_typeEPNSP_ISK_E10value_typeEPSL_NS1_7vsmem_tEENKUlT_SJ_SK_SL_E_clIPfSE_SF_SF_EESI_SY_SJ_SK_SL_EUlSY_E0_NS1_11comp_targetILNS1_3genE10ELNS1_11target_archE1201ELNS1_3gpuE5ELNS1_3repE0EEENS1_38merge_mergepath_config_static_selectorELNS0_4arch9wavefront6targetE1EEEvSK_,@function
_ZN7rocprim17ROCPRIM_400000_NS6detail17trampoline_kernelINS0_14default_configENS1_38merge_sort_block_merge_config_selectorIfNS0_10empty_typeEEEZZNS1_27merge_sort_block_merge_implIS3_N6thrust23THRUST_200600_302600_NS6detail15normal_iteratorINS9_10device_ptrIfEEEEPS5_m14custom_greaterIfEEE10hipError_tT0_T1_T2_jT3_P12ihipStream_tbPNSt15iterator_traitsISJ_E10value_typeEPNSP_ISK_E10value_typeEPSL_NS1_7vsmem_tEENKUlT_SJ_SK_SL_E_clIPfSE_SF_SF_EESI_SY_SJ_SK_SL_EUlSY_E0_NS1_11comp_targetILNS1_3genE10ELNS1_11target_archE1201ELNS1_3gpuE5ELNS1_3repE0EEENS1_38merge_mergepath_config_static_selectorELNS0_4arch9wavefront6targetE1EEEvSK_: ; @_ZN7rocprim17ROCPRIM_400000_NS6detail17trampoline_kernelINS0_14default_configENS1_38merge_sort_block_merge_config_selectorIfNS0_10empty_typeEEEZZNS1_27merge_sort_block_merge_implIS3_N6thrust23THRUST_200600_302600_NS6detail15normal_iteratorINS9_10device_ptrIfEEEEPS5_m14custom_greaterIfEEE10hipError_tT0_T1_T2_jT3_P12ihipStream_tbPNSt15iterator_traitsISJ_E10value_typeEPNSP_ISK_E10value_typeEPSL_NS1_7vsmem_tEENKUlT_SJ_SK_SL_E_clIPfSE_SF_SF_EESI_SY_SJ_SK_SL_EUlSY_E0_NS1_11comp_targetILNS1_3genE10ELNS1_11target_archE1201ELNS1_3gpuE5ELNS1_3repE0EEENS1_38merge_mergepath_config_static_selectorELNS0_4arch9wavefront6targetE1EEEvSK_
; %bb.0:
	.section	.rodata,"a",@progbits
	.p2align	6, 0x0
	.amdhsa_kernel _ZN7rocprim17ROCPRIM_400000_NS6detail17trampoline_kernelINS0_14default_configENS1_38merge_sort_block_merge_config_selectorIfNS0_10empty_typeEEEZZNS1_27merge_sort_block_merge_implIS3_N6thrust23THRUST_200600_302600_NS6detail15normal_iteratorINS9_10device_ptrIfEEEEPS5_m14custom_greaterIfEEE10hipError_tT0_T1_T2_jT3_P12ihipStream_tbPNSt15iterator_traitsISJ_E10value_typeEPNSP_ISK_E10value_typeEPSL_NS1_7vsmem_tEENKUlT_SJ_SK_SL_E_clIPfSE_SF_SF_EESI_SY_SJ_SK_SL_EUlSY_E0_NS1_11comp_targetILNS1_3genE10ELNS1_11target_archE1201ELNS1_3gpuE5ELNS1_3repE0EEENS1_38merge_mergepath_config_static_selectorELNS0_4arch9wavefront6targetE1EEEvSK_
		.amdhsa_group_segment_fixed_size 0
		.amdhsa_private_segment_fixed_size 0
		.amdhsa_kernarg_size 72
		.amdhsa_user_sgpr_count 6
		.amdhsa_user_sgpr_private_segment_buffer 1
		.amdhsa_user_sgpr_dispatch_ptr 0
		.amdhsa_user_sgpr_queue_ptr 0
		.amdhsa_user_sgpr_kernarg_segment_ptr 1
		.amdhsa_user_sgpr_dispatch_id 0
		.amdhsa_user_sgpr_flat_scratch_init 0
		.amdhsa_user_sgpr_kernarg_preload_length 0
		.amdhsa_user_sgpr_kernarg_preload_offset 0
		.amdhsa_user_sgpr_private_segment_size 0
		.amdhsa_uses_dynamic_stack 0
		.amdhsa_system_sgpr_private_segment_wavefront_offset 0
		.amdhsa_system_sgpr_workgroup_id_x 1
		.amdhsa_system_sgpr_workgroup_id_y 0
		.amdhsa_system_sgpr_workgroup_id_z 0
		.amdhsa_system_sgpr_workgroup_info 0
		.amdhsa_system_vgpr_workitem_id 0
		.amdhsa_next_free_vgpr 1
		.amdhsa_next_free_sgpr 0
		.amdhsa_accum_offset 4
		.amdhsa_reserve_vcc 0
		.amdhsa_reserve_flat_scratch 0
		.amdhsa_float_round_mode_32 0
		.amdhsa_float_round_mode_16_64 0
		.amdhsa_float_denorm_mode_32 3
		.amdhsa_float_denorm_mode_16_64 3
		.amdhsa_dx10_clamp 1
		.amdhsa_ieee_mode 1
		.amdhsa_fp16_overflow 0
		.amdhsa_tg_split 0
		.amdhsa_exception_fp_ieee_invalid_op 0
		.amdhsa_exception_fp_denorm_src 0
		.amdhsa_exception_fp_ieee_div_zero 0
		.amdhsa_exception_fp_ieee_overflow 0
		.amdhsa_exception_fp_ieee_underflow 0
		.amdhsa_exception_fp_ieee_inexact 0
		.amdhsa_exception_int_div_zero 0
	.end_amdhsa_kernel
	.section	.text._ZN7rocprim17ROCPRIM_400000_NS6detail17trampoline_kernelINS0_14default_configENS1_38merge_sort_block_merge_config_selectorIfNS0_10empty_typeEEEZZNS1_27merge_sort_block_merge_implIS3_N6thrust23THRUST_200600_302600_NS6detail15normal_iteratorINS9_10device_ptrIfEEEEPS5_m14custom_greaterIfEEE10hipError_tT0_T1_T2_jT3_P12ihipStream_tbPNSt15iterator_traitsISJ_E10value_typeEPNSP_ISK_E10value_typeEPSL_NS1_7vsmem_tEENKUlT_SJ_SK_SL_E_clIPfSE_SF_SF_EESI_SY_SJ_SK_SL_EUlSY_E0_NS1_11comp_targetILNS1_3genE10ELNS1_11target_archE1201ELNS1_3gpuE5ELNS1_3repE0EEENS1_38merge_mergepath_config_static_selectorELNS0_4arch9wavefront6targetE1EEEvSK_,"axG",@progbits,_ZN7rocprim17ROCPRIM_400000_NS6detail17trampoline_kernelINS0_14default_configENS1_38merge_sort_block_merge_config_selectorIfNS0_10empty_typeEEEZZNS1_27merge_sort_block_merge_implIS3_N6thrust23THRUST_200600_302600_NS6detail15normal_iteratorINS9_10device_ptrIfEEEEPS5_m14custom_greaterIfEEE10hipError_tT0_T1_T2_jT3_P12ihipStream_tbPNSt15iterator_traitsISJ_E10value_typeEPNSP_ISK_E10value_typeEPSL_NS1_7vsmem_tEENKUlT_SJ_SK_SL_E_clIPfSE_SF_SF_EESI_SY_SJ_SK_SL_EUlSY_E0_NS1_11comp_targetILNS1_3genE10ELNS1_11target_archE1201ELNS1_3gpuE5ELNS1_3repE0EEENS1_38merge_mergepath_config_static_selectorELNS0_4arch9wavefront6targetE1EEEvSK_,comdat
.Lfunc_end3547:
	.size	_ZN7rocprim17ROCPRIM_400000_NS6detail17trampoline_kernelINS0_14default_configENS1_38merge_sort_block_merge_config_selectorIfNS0_10empty_typeEEEZZNS1_27merge_sort_block_merge_implIS3_N6thrust23THRUST_200600_302600_NS6detail15normal_iteratorINS9_10device_ptrIfEEEEPS5_m14custom_greaterIfEEE10hipError_tT0_T1_T2_jT3_P12ihipStream_tbPNSt15iterator_traitsISJ_E10value_typeEPNSP_ISK_E10value_typeEPSL_NS1_7vsmem_tEENKUlT_SJ_SK_SL_E_clIPfSE_SF_SF_EESI_SY_SJ_SK_SL_EUlSY_E0_NS1_11comp_targetILNS1_3genE10ELNS1_11target_archE1201ELNS1_3gpuE5ELNS1_3repE0EEENS1_38merge_mergepath_config_static_selectorELNS0_4arch9wavefront6targetE1EEEvSK_, .Lfunc_end3547-_ZN7rocprim17ROCPRIM_400000_NS6detail17trampoline_kernelINS0_14default_configENS1_38merge_sort_block_merge_config_selectorIfNS0_10empty_typeEEEZZNS1_27merge_sort_block_merge_implIS3_N6thrust23THRUST_200600_302600_NS6detail15normal_iteratorINS9_10device_ptrIfEEEEPS5_m14custom_greaterIfEEE10hipError_tT0_T1_T2_jT3_P12ihipStream_tbPNSt15iterator_traitsISJ_E10value_typeEPNSP_ISK_E10value_typeEPSL_NS1_7vsmem_tEENKUlT_SJ_SK_SL_E_clIPfSE_SF_SF_EESI_SY_SJ_SK_SL_EUlSY_E0_NS1_11comp_targetILNS1_3genE10ELNS1_11target_archE1201ELNS1_3gpuE5ELNS1_3repE0EEENS1_38merge_mergepath_config_static_selectorELNS0_4arch9wavefront6targetE1EEEvSK_
                                        ; -- End function
	.section	.AMDGPU.csdata,"",@progbits
; Kernel info:
; codeLenInByte = 0
; NumSgprs: 4
; NumVgprs: 0
; NumAgprs: 0
; TotalNumVgprs: 0
; ScratchSize: 0
; MemoryBound: 0
; FloatMode: 240
; IeeeMode: 1
; LDSByteSize: 0 bytes/workgroup (compile time only)
; SGPRBlocks: 0
; VGPRBlocks: 0
; NumSGPRsForWavesPerEU: 4
; NumVGPRsForWavesPerEU: 1
; AccumOffset: 4
; Occupancy: 8
; WaveLimiterHint : 0
; COMPUTE_PGM_RSRC2:SCRATCH_EN: 0
; COMPUTE_PGM_RSRC2:USER_SGPR: 6
; COMPUTE_PGM_RSRC2:TRAP_HANDLER: 0
; COMPUTE_PGM_RSRC2:TGID_X_EN: 1
; COMPUTE_PGM_RSRC2:TGID_Y_EN: 0
; COMPUTE_PGM_RSRC2:TGID_Z_EN: 0
; COMPUTE_PGM_RSRC2:TIDIG_COMP_CNT: 0
; COMPUTE_PGM_RSRC3_GFX90A:ACCUM_OFFSET: 0
; COMPUTE_PGM_RSRC3_GFX90A:TG_SPLIT: 0
	.section	.text._ZN7rocprim17ROCPRIM_400000_NS6detail17trampoline_kernelINS0_14default_configENS1_38merge_sort_block_merge_config_selectorIfNS0_10empty_typeEEEZZNS1_27merge_sort_block_merge_implIS3_N6thrust23THRUST_200600_302600_NS6detail15normal_iteratorINS9_10device_ptrIfEEEEPS5_m14custom_greaterIfEEE10hipError_tT0_T1_T2_jT3_P12ihipStream_tbPNSt15iterator_traitsISJ_E10value_typeEPNSP_ISK_E10value_typeEPSL_NS1_7vsmem_tEENKUlT_SJ_SK_SL_E_clIPfSE_SF_SF_EESI_SY_SJ_SK_SL_EUlSY_E0_NS1_11comp_targetILNS1_3genE5ELNS1_11target_archE942ELNS1_3gpuE9ELNS1_3repE0EEENS1_38merge_mergepath_config_static_selectorELNS0_4arch9wavefront6targetE1EEEvSK_,"axG",@progbits,_ZN7rocprim17ROCPRIM_400000_NS6detail17trampoline_kernelINS0_14default_configENS1_38merge_sort_block_merge_config_selectorIfNS0_10empty_typeEEEZZNS1_27merge_sort_block_merge_implIS3_N6thrust23THRUST_200600_302600_NS6detail15normal_iteratorINS9_10device_ptrIfEEEEPS5_m14custom_greaterIfEEE10hipError_tT0_T1_T2_jT3_P12ihipStream_tbPNSt15iterator_traitsISJ_E10value_typeEPNSP_ISK_E10value_typeEPSL_NS1_7vsmem_tEENKUlT_SJ_SK_SL_E_clIPfSE_SF_SF_EESI_SY_SJ_SK_SL_EUlSY_E0_NS1_11comp_targetILNS1_3genE5ELNS1_11target_archE942ELNS1_3gpuE9ELNS1_3repE0EEENS1_38merge_mergepath_config_static_selectorELNS0_4arch9wavefront6targetE1EEEvSK_,comdat
	.protected	_ZN7rocprim17ROCPRIM_400000_NS6detail17trampoline_kernelINS0_14default_configENS1_38merge_sort_block_merge_config_selectorIfNS0_10empty_typeEEEZZNS1_27merge_sort_block_merge_implIS3_N6thrust23THRUST_200600_302600_NS6detail15normal_iteratorINS9_10device_ptrIfEEEEPS5_m14custom_greaterIfEEE10hipError_tT0_T1_T2_jT3_P12ihipStream_tbPNSt15iterator_traitsISJ_E10value_typeEPNSP_ISK_E10value_typeEPSL_NS1_7vsmem_tEENKUlT_SJ_SK_SL_E_clIPfSE_SF_SF_EESI_SY_SJ_SK_SL_EUlSY_E0_NS1_11comp_targetILNS1_3genE5ELNS1_11target_archE942ELNS1_3gpuE9ELNS1_3repE0EEENS1_38merge_mergepath_config_static_selectorELNS0_4arch9wavefront6targetE1EEEvSK_ ; -- Begin function _ZN7rocprim17ROCPRIM_400000_NS6detail17trampoline_kernelINS0_14default_configENS1_38merge_sort_block_merge_config_selectorIfNS0_10empty_typeEEEZZNS1_27merge_sort_block_merge_implIS3_N6thrust23THRUST_200600_302600_NS6detail15normal_iteratorINS9_10device_ptrIfEEEEPS5_m14custom_greaterIfEEE10hipError_tT0_T1_T2_jT3_P12ihipStream_tbPNSt15iterator_traitsISJ_E10value_typeEPNSP_ISK_E10value_typeEPSL_NS1_7vsmem_tEENKUlT_SJ_SK_SL_E_clIPfSE_SF_SF_EESI_SY_SJ_SK_SL_EUlSY_E0_NS1_11comp_targetILNS1_3genE5ELNS1_11target_archE942ELNS1_3gpuE9ELNS1_3repE0EEENS1_38merge_mergepath_config_static_selectorELNS0_4arch9wavefront6targetE1EEEvSK_
	.globl	_ZN7rocprim17ROCPRIM_400000_NS6detail17trampoline_kernelINS0_14default_configENS1_38merge_sort_block_merge_config_selectorIfNS0_10empty_typeEEEZZNS1_27merge_sort_block_merge_implIS3_N6thrust23THRUST_200600_302600_NS6detail15normal_iteratorINS9_10device_ptrIfEEEEPS5_m14custom_greaterIfEEE10hipError_tT0_T1_T2_jT3_P12ihipStream_tbPNSt15iterator_traitsISJ_E10value_typeEPNSP_ISK_E10value_typeEPSL_NS1_7vsmem_tEENKUlT_SJ_SK_SL_E_clIPfSE_SF_SF_EESI_SY_SJ_SK_SL_EUlSY_E0_NS1_11comp_targetILNS1_3genE5ELNS1_11target_archE942ELNS1_3gpuE9ELNS1_3repE0EEENS1_38merge_mergepath_config_static_selectorELNS0_4arch9wavefront6targetE1EEEvSK_
	.p2align	8
	.type	_ZN7rocprim17ROCPRIM_400000_NS6detail17trampoline_kernelINS0_14default_configENS1_38merge_sort_block_merge_config_selectorIfNS0_10empty_typeEEEZZNS1_27merge_sort_block_merge_implIS3_N6thrust23THRUST_200600_302600_NS6detail15normal_iteratorINS9_10device_ptrIfEEEEPS5_m14custom_greaterIfEEE10hipError_tT0_T1_T2_jT3_P12ihipStream_tbPNSt15iterator_traitsISJ_E10value_typeEPNSP_ISK_E10value_typeEPSL_NS1_7vsmem_tEENKUlT_SJ_SK_SL_E_clIPfSE_SF_SF_EESI_SY_SJ_SK_SL_EUlSY_E0_NS1_11comp_targetILNS1_3genE5ELNS1_11target_archE942ELNS1_3gpuE9ELNS1_3repE0EEENS1_38merge_mergepath_config_static_selectorELNS0_4arch9wavefront6targetE1EEEvSK_,@function
_ZN7rocprim17ROCPRIM_400000_NS6detail17trampoline_kernelINS0_14default_configENS1_38merge_sort_block_merge_config_selectorIfNS0_10empty_typeEEEZZNS1_27merge_sort_block_merge_implIS3_N6thrust23THRUST_200600_302600_NS6detail15normal_iteratorINS9_10device_ptrIfEEEEPS5_m14custom_greaterIfEEE10hipError_tT0_T1_T2_jT3_P12ihipStream_tbPNSt15iterator_traitsISJ_E10value_typeEPNSP_ISK_E10value_typeEPSL_NS1_7vsmem_tEENKUlT_SJ_SK_SL_E_clIPfSE_SF_SF_EESI_SY_SJ_SK_SL_EUlSY_E0_NS1_11comp_targetILNS1_3genE5ELNS1_11target_archE942ELNS1_3gpuE9ELNS1_3repE0EEENS1_38merge_mergepath_config_static_selectorELNS0_4arch9wavefront6targetE1EEEvSK_: ; @_ZN7rocprim17ROCPRIM_400000_NS6detail17trampoline_kernelINS0_14default_configENS1_38merge_sort_block_merge_config_selectorIfNS0_10empty_typeEEEZZNS1_27merge_sort_block_merge_implIS3_N6thrust23THRUST_200600_302600_NS6detail15normal_iteratorINS9_10device_ptrIfEEEEPS5_m14custom_greaterIfEEE10hipError_tT0_T1_T2_jT3_P12ihipStream_tbPNSt15iterator_traitsISJ_E10value_typeEPNSP_ISK_E10value_typeEPSL_NS1_7vsmem_tEENKUlT_SJ_SK_SL_E_clIPfSE_SF_SF_EESI_SY_SJ_SK_SL_EUlSY_E0_NS1_11comp_targetILNS1_3genE5ELNS1_11target_archE942ELNS1_3gpuE9ELNS1_3repE0EEENS1_38merge_mergepath_config_static_selectorELNS0_4arch9wavefront6targetE1EEEvSK_
; %bb.0:
	.section	.rodata,"a",@progbits
	.p2align	6, 0x0
	.amdhsa_kernel _ZN7rocprim17ROCPRIM_400000_NS6detail17trampoline_kernelINS0_14default_configENS1_38merge_sort_block_merge_config_selectorIfNS0_10empty_typeEEEZZNS1_27merge_sort_block_merge_implIS3_N6thrust23THRUST_200600_302600_NS6detail15normal_iteratorINS9_10device_ptrIfEEEEPS5_m14custom_greaterIfEEE10hipError_tT0_T1_T2_jT3_P12ihipStream_tbPNSt15iterator_traitsISJ_E10value_typeEPNSP_ISK_E10value_typeEPSL_NS1_7vsmem_tEENKUlT_SJ_SK_SL_E_clIPfSE_SF_SF_EESI_SY_SJ_SK_SL_EUlSY_E0_NS1_11comp_targetILNS1_3genE5ELNS1_11target_archE942ELNS1_3gpuE9ELNS1_3repE0EEENS1_38merge_mergepath_config_static_selectorELNS0_4arch9wavefront6targetE1EEEvSK_
		.amdhsa_group_segment_fixed_size 0
		.amdhsa_private_segment_fixed_size 0
		.amdhsa_kernarg_size 72
		.amdhsa_user_sgpr_count 6
		.amdhsa_user_sgpr_private_segment_buffer 1
		.amdhsa_user_sgpr_dispatch_ptr 0
		.amdhsa_user_sgpr_queue_ptr 0
		.amdhsa_user_sgpr_kernarg_segment_ptr 1
		.amdhsa_user_sgpr_dispatch_id 0
		.amdhsa_user_sgpr_flat_scratch_init 0
		.amdhsa_user_sgpr_kernarg_preload_length 0
		.amdhsa_user_sgpr_kernarg_preload_offset 0
		.amdhsa_user_sgpr_private_segment_size 0
		.amdhsa_uses_dynamic_stack 0
		.amdhsa_system_sgpr_private_segment_wavefront_offset 0
		.amdhsa_system_sgpr_workgroup_id_x 1
		.amdhsa_system_sgpr_workgroup_id_y 0
		.amdhsa_system_sgpr_workgroup_id_z 0
		.amdhsa_system_sgpr_workgroup_info 0
		.amdhsa_system_vgpr_workitem_id 0
		.amdhsa_next_free_vgpr 1
		.amdhsa_next_free_sgpr 0
		.amdhsa_accum_offset 4
		.amdhsa_reserve_vcc 0
		.amdhsa_reserve_flat_scratch 0
		.amdhsa_float_round_mode_32 0
		.amdhsa_float_round_mode_16_64 0
		.amdhsa_float_denorm_mode_32 3
		.amdhsa_float_denorm_mode_16_64 3
		.amdhsa_dx10_clamp 1
		.amdhsa_ieee_mode 1
		.amdhsa_fp16_overflow 0
		.amdhsa_tg_split 0
		.amdhsa_exception_fp_ieee_invalid_op 0
		.amdhsa_exception_fp_denorm_src 0
		.amdhsa_exception_fp_ieee_div_zero 0
		.amdhsa_exception_fp_ieee_overflow 0
		.amdhsa_exception_fp_ieee_underflow 0
		.amdhsa_exception_fp_ieee_inexact 0
		.amdhsa_exception_int_div_zero 0
	.end_amdhsa_kernel
	.section	.text._ZN7rocprim17ROCPRIM_400000_NS6detail17trampoline_kernelINS0_14default_configENS1_38merge_sort_block_merge_config_selectorIfNS0_10empty_typeEEEZZNS1_27merge_sort_block_merge_implIS3_N6thrust23THRUST_200600_302600_NS6detail15normal_iteratorINS9_10device_ptrIfEEEEPS5_m14custom_greaterIfEEE10hipError_tT0_T1_T2_jT3_P12ihipStream_tbPNSt15iterator_traitsISJ_E10value_typeEPNSP_ISK_E10value_typeEPSL_NS1_7vsmem_tEENKUlT_SJ_SK_SL_E_clIPfSE_SF_SF_EESI_SY_SJ_SK_SL_EUlSY_E0_NS1_11comp_targetILNS1_3genE5ELNS1_11target_archE942ELNS1_3gpuE9ELNS1_3repE0EEENS1_38merge_mergepath_config_static_selectorELNS0_4arch9wavefront6targetE1EEEvSK_,"axG",@progbits,_ZN7rocprim17ROCPRIM_400000_NS6detail17trampoline_kernelINS0_14default_configENS1_38merge_sort_block_merge_config_selectorIfNS0_10empty_typeEEEZZNS1_27merge_sort_block_merge_implIS3_N6thrust23THRUST_200600_302600_NS6detail15normal_iteratorINS9_10device_ptrIfEEEEPS5_m14custom_greaterIfEEE10hipError_tT0_T1_T2_jT3_P12ihipStream_tbPNSt15iterator_traitsISJ_E10value_typeEPNSP_ISK_E10value_typeEPSL_NS1_7vsmem_tEENKUlT_SJ_SK_SL_E_clIPfSE_SF_SF_EESI_SY_SJ_SK_SL_EUlSY_E0_NS1_11comp_targetILNS1_3genE5ELNS1_11target_archE942ELNS1_3gpuE9ELNS1_3repE0EEENS1_38merge_mergepath_config_static_selectorELNS0_4arch9wavefront6targetE1EEEvSK_,comdat
.Lfunc_end3548:
	.size	_ZN7rocprim17ROCPRIM_400000_NS6detail17trampoline_kernelINS0_14default_configENS1_38merge_sort_block_merge_config_selectorIfNS0_10empty_typeEEEZZNS1_27merge_sort_block_merge_implIS3_N6thrust23THRUST_200600_302600_NS6detail15normal_iteratorINS9_10device_ptrIfEEEEPS5_m14custom_greaterIfEEE10hipError_tT0_T1_T2_jT3_P12ihipStream_tbPNSt15iterator_traitsISJ_E10value_typeEPNSP_ISK_E10value_typeEPSL_NS1_7vsmem_tEENKUlT_SJ_SK_SL_E_clIPfSE_SF_SF_EESI_SY_SJ_SK_SL_EUlSY_E0_NS1_11comp_targetILNS1_3genE5ELNS1_11target_archE942ELNS1_3gpuE9ELNS1_3repE0EEENS1_38merge_mergepath_config_static_selectorELNS0_4arch9wavefront6targetE1EEEvSK_, .Lfunc_end3548-_ZN7rocprim17ROCPRIM_400000_NS6detail17trampoline_kernelINS0_14default_configENS1_38merge_sort_block_merge_config_selectorIfNS0_10empty_typeEEEZZNS1_27merge_sort_block_merge_implIS3_N6thrust23THRUST_200600_302600_NS6detail15normal_iteratorINS9_10device_ptrIfEEEEPS5_m14custom_greaterIfEEE10hipError_tT0_T1_T2_jT3_P12ihipStream_tbPNSt15iterator_traitsISJ_E10value_typeEPNSP_ISK_E10value_typeEPSL_NS1_7vsmem_tEENKUlT_SJ_SK_SL_E_clIPfSE_SF_SF_EESI_SY_SJ_SK_SL_EUlSY_E0_NS1_11comp_targetILNS1_3genE5ELNS1_11target_archE942ELNS1_3gpuE9ELNS1_3repE0EEENS1_38merge_mergepath_config_static_selectorELNS0_4arch9wavefront6targetE1EEEvSK_
                                        ; -- End function
	.section	.AMDGPU.csdata,"",@progbits
; Kernel info:
; codeLenInByte = 0
; NumSgprs: 4
; NumVgprs: 0
; NumAgprs: 0
; TotalNumVgprs: 0
; ScratchSize: 0
; MemoryBound: 0
; FloatMode: 240
; IeeeMode: 1
; LDSByteSize: 0 bytes/workgroup (compile time only)
; SGPRBlocks: 0
; VGPRBlocks: 0
; NumSGPRsForWavesPerEU: 4
; NumVGPRsForWavesPerEU: 1
; AccumOffset: 4
; Occupancy: 8
; WaveLimiterHint : 0
; COMPUTE_PGM_RSRC2:SCRATCH_EN: 0
; COMPUTE_PGM_RSRC2:USER_SGPR: 6
; COMPUTE_PGM_RSRC2:TRAP_HANDLER: 0
; COMPUTE_PGM_RSRC2:TGID_X_EN: 1
; COMPUTE_PGM_RSRC2:TGID_Y_EN: 0
; COMPUTE_PGM_RSRC2:TGID_Z_EN: 0
; COMPUTE_PGM_RSRC2:TIDIG_COMP_CNT: 0
; COMPUTE_PGM_RSRC3_GFX90A:ACCUM_OFFSET: 0
; COMPUTE_PGM_RSRC3_GFX90A:TG_SPLIT: 0
	.section	.text._ZN7rocprim17ROCPRIM_400000_NS6detail17trampoline_kernelINS0_14default_configENS1_38merge_sort_block_merge_config_selectorIfNS0_10empty_typeEEEZZNS1_27merge_sort_block_merge_implIS3_N6thrust23THRUST_200600_302600_NS6detail15normal_iteratorINS9_10device_ptrIfEEEEPS5_m14custom_greaterIfEEE10hipError_tT0_T1_T2_jT3_P12ihipStream_tbPNSt15iterator_traitsISJ_E10value_typeEPNSP_ISK_E10value_typeEPSL_NS1_7vsmem_tEENKUlT_SJ_SK_SL_E_clIPfSE_SF_SF_EESI_SY_SJ_SK_SL_EUlSY_E0_NS1_11comp_targetILNS1_3genE4ELNS1_11target_archE910ELNS1_3gpuE8ELNS1_3repE0EEENS1_38merge_mergepath_config_static_selectorELNS0_4arch9wavefront6targetE1EEEvSK_,"axG",@progbits,_ZN7rocprim17ROCPRIM_400000_NS6detail17trampoline_kernelINS0_14default_configENS1_38merge_sort_block_merge_config_selectorIfNS0_10empty_typeEEEZZNS1_27merge_sort_block_merge_implIS3_N6thrust23THRUST_200600_302600_NS6detail15normal_iteratorINS9_10device_ptrIfEEEEPS5_m14custom_greaterIfEEE10hipError_tT0_T1_T2_jT3_P12ihipStream_tbPNSt15iterator_traitsISJ_E10value_typeEPNSP_ISK_E10value_typeEPSL_NS1_7vsmem_tEENKUlT_SJ_SK_SL_E_clIPfSE_SF_SF_EESI_SY_SJ_SK_SL_EUlSY_E0_NS1_11comp_targetILNS1_3genE4ELNS1_11target_archE910ELNS1_3gpuE8ELNS1_3repE0EEENS1_38merge_mergepath_config_static_selectorELNS0_4arch9wavefront6targetE1EEEvSK_,comdat
	.protected	_ZN7rocprim17ROCPRIM_400000_NS6detail17trampoline_kernelINS0_14default_configENS1_38merge_sort_block_merge_config_selectorIfNS0_10empty_typeEEEZZNS1_27merge_sort_block_merge_implIS3_N6thrust23THRUST_200600_302600_NS6detail15normal_iteratorINS9_10device_ptrIfEEEEPS5_m14custom_greaterIfEEE10hipError_tT0_T1_T2_jT3_P12ihipStream_tbPNSt15iterator_traitsISJ_E10value_typeEPNSP_ISK_E10value_typeEPSL_NS1_7vsmem_tEENKUlT_SJ_SK_SL_E_clIPfSE_SF_SF_EESI_SY_SJ_SK_SL_EUlSY_E0_NS1_11comp_targetILNS1_3genE4ELNS1_11target_archE910ELNS1_3gpuE8ELNS1_3repE0EEENS1_38merge_mergepath_config_static_selectorELNS0_4arch9wavefront6targetE1EEEvSK_ ; -- Begin function _ZN7rocprim17ROCPRIM_400000_NS6detail17trampoline_kernelINS0_14default_configENS1_38merge_sort_block_merge_config_selectorIfNS0_10empty_typeEEEZZNS1_27merge_sort_block_merge_implIS3_N6thrust23THRUST_200600_302600_NS6detail15normal_iteratorINS9_10device_ptrIfEEEEPS5_m14custom_greaterIfEEE10hipError_tT0_T1_T2_jT3_P12ihipStream_tbPNSt15iterator_traitsISJ_E10value_typeEPNSP_ISK_E10value_typeEPSL_NS1_7vsmem_tEENKUlT_SJ_SK_SL_E_clIPfSE_SF_SF_EESI_SY_SJ_SK_SL_EUlSY_E0_NS1_11comp_targetILNS1_3genE4ELNS1_11target_archE910ELNS1_3gpuE8ELNS1_3repE0EEENS1_38merge_mergepath_config_static_selectorELNS0_4arch9wavefront6targetE1EEEvSK_
	.globl	_ZN7rocprim17ROCPRIM_400000_NS6detail17trampoline_kernelINS0_14default_configENS1_38merge_sort_block_merge_config_selectorIfNS0_10empty_typeEEEZZNS1_27merge_sort_block_merge_implIS3_N6thrust23THRUST_200600_302600_NS6detail15normal_iteratorINS9_10device_ptrIfEEEEPS5_m14custom_greaterIfEEE10hipError_tT0_T1_T2_jT3_P12ihipStream_tbPNSt15iterator_traitsISJ_E10value_typeEPNSP_ISK_E10value_typeEPSL_NS1_7vsmem_tEENKUlT_SJ_SK_SL_E_clIPfSE_SF_SF_EESI_SY_SJ_SK_SL_EUlSY_E0_NS1_11comp_targetILNS1_3genE4ELNS1_11target_archE910ELNS1_3gpuE8ELNS1_3repE0EEENS1_38merge_mergepath_config_static_selectorELNS0_4arch9wavefront6targetE1EEEvSK_
	.p2align	8
	.type	_ZN7rocprim17ROCPRIM_400000_NS6detail17trampoline_kernelINS0_14default_configENS1_38merge_sort_block_merge_config_selectorIfNS0_10empty_typeEEEZZNS1_27merge_sort_block_merge_implIS3_N6thrust23THRUST_200600_302600_NS6detail15normal_iteratorINS9_10device_ptrIfEEEEPS5_m14custom_greaterIfEEE10hipError_tT0_T1_T2_jT3_P12ihipStream_tbPNSt15iterator_traitsISJ_E10value_typeEPNSP_ISK_E10value_typeEPSL_NS1_7vsmem_tEENKUlT_SJ_SK_SL_E_clIPfSE_SF_SF_EESI_SY_SJ_SK_SL_EUlSY_E0_NS1_11comp_targetILNS1_3genE4ELNS1_11target_archE910ELNS1_3gpuE8ELNS1_3repE0EEENS1_38merge_mergepath_config_static_selectorELNS0_4arch9wavefront6targetE1EEEvSK_,@function
_ZN7rocprim17ROCPRIM_400000_NS6detail17trampoline_kernelINS0_14default_configENS1_38merge_sort_block_merge_config_selectorIfNS0_10empty_typeEEEZZNS1_27merge_sort_block_merge_implIS3_N6thrust23THRUST_200600_302600_NS6detail15normal_iteratorINS9_10device_ptrIfEEEEPS5_m14custom_greaterIfEEE10hipError_tT0_T1_T2_jT3_P12ihipStream_tbPNSt15iterator_traitsISJ_E10value_typeEPNSP_ISK_E10value_typeEPSL_NS1_7vsmem_tEENKUlT_SJ_SK_SL_E_clIPfSE_SF_SF_EESI_SY_SJ_SK_SL_EUlSY_E0_NS1_11comp_targetILNS1_3genE4ELNS1_11target_archE910ELNS1_3gpuE8ELNS1_3repE0EEENS1_38merge_mergepath_config_static_selectorELNS0_4arch9wavefront6targetE1EEEvSK_: ; @_ZN7rocprim17ROCPRIM_400000_NS6detail17trampoline_kernelINS0_14default_configENS1_38merge_sort_block_merge_config_selectorIfNS0_10empty_typeEEEZZNS1_27merge_sort_block_merge_implIS3_N6thrust23THRUST_200600_302600_NS6detail15normal_iteratorINS9_10device_ptrIfEEEEPS5_m14custom_greaterIfEEE10hipError_tT0_T1_T2_jT3_P12ihipStream_tbPNSt15iterator_traitsISJ_E10value_typeEPNSP_ISK_E10value_typeEPSL_NS1_7vsmem_tEENKUlT_SJ_SK_SL_E_clIPfSE_SF_SF_EESI_SY_SJ_SK_SL_EUlSY_E0_NS1_11comp_targetILNS1_3genE4ELNS1_11target_archE910ELNS1_3gpuE8ELNS1_3repE0EEENS1_38merge_mergepath_config_static_selectorELNS0_4arch9wavefront6targetE1EEEvSK_
; %bb.0:
	s_load_dwordx2 s[22:23], s[4:5], 0x48
	s_load_dword s0, s[4:5], 0x38
	s_add_u32 s10, s4, 0x48
	s_addc_u32 s11, s5, 0
	s_waitcnt lgkmcnt(0)
	s_mul_i32 s1, s23, s8
	s_add_i32 s1, s1, s7
	s_mul_i32 s1, s1, s22
	s_add_i32 s8, s1, s6
	s_cmp_ge_u32 s8, s0
	s_cbranch_scc1 .LBB3549_45
; %bb.1:
	s_load_dwordx2 s[0:1], s[4:5], 0x40
	s_load_dwordx4 s[12:15], s[4:5], 0x8
	s_load_dwordx4 s[16:19], s[4:5], 0x28
	s_mov_b32 s9, 0
	s_lshl_b64 s[2:3], s[8:9], 3
	s_waitcnt lgkmcnt(0)
	s_add_u32 s0, s0, s2
	s_addc_u32 s1, s1, s3
	v_mov_b32_e32 v1, s18
	v_alignbit_b32 v1, s19, v1, 9
	v_readfirstlane_b32 s4, v1
	s_and_b32 s4, s4, -2
	s_sub_i32 s30, 0, s4
	s_and_b32 s24, s8, s30
	s_mov_b32 s25, s9
	s_lshl_b64 s[4:5], s[24:25], 10
	s_lshl_b64 s[20:21], s[8:9], 10
	s_sub_u32 s7, s20, s4
	s_load_dwordx4 s[0:3], s[0:1], 0x0
	s_subb_u32 s23, s21, s5
	s_lshl_b64 s[24:25], s[24:25], 11
	s_add_u32 s24, s24, s18
	s_addc_u32 s25, s25, s19
	s_add_u32 s7, s24, s7
	s_addc_u32 s23, s25, s23
	s_waitcnt lgkmcnt(0)
	s_sub_u32 s26, s7, s2
	s_subb_u32 s3, s23, s3
	s_add_u32 s26, s26, 0x400
	s_addc_u32 s27, s3, 0
	v_pk_mov_b32 v[2:3], s[26:27], s[26:27] op_sel:[0,1]
	v_cmp_lt_u64_e32 vcc, s[16:17], v[2:3]
	s_and_b64 s[28:29], vcc, exec
	s_cselect_b32 s3, s16, s26
	s_or_b32 s26, s8, s30
	s_cmp_lg_u32 s26, -1
	s_cbranch_scc1 .LBB3549_3
; %bb.2:
	s_sub_u32 s4, s24, s4
	s_subb_u32 s5, s25, s5
	v_pk_mov_b32 v[2:3], s[4:5], s[4:5] op_sel:[0,1]
	v_cmp_lt_u64_e32 vcc, s[16:17], v[2:3]
	s_and_b64 s[2:3], vcc, exec
	s_cselect_b32 s2, s16, s4
	s_add_u32 s4, s4, s18
	s_addc_u32 s5, s5, s19
	v_pk_mov_b32 v[2:3], s[4:5], s[4:5] op_sel:[0,1]
	v_cmp_lt_u64_e32 vcc, s[16:17], v[2:3]
	s_and_b64 s[18:19], vcc, exec
	s_cselect_b32 s3, s16, s4
.LBB3549_3:
	s_lshr_b64 s[26:27], s[16:17], 10
	s_cmp_lg_u64 s[26:27], s[8:9]
	s_cselect_b64 s[18:19], -1, 0
	s_sub_u32 s4, s7, s0
	s_subb_u32 s5, s23, s1
	v_pk_mov_b32 v[2:3], s[4:5], s[4:5] op_sel:[0,1]
	v_cmp_lt_u64_e32 vcc, s[16:17], v[2:3]
	s_and_b64 s[24:25], vcc, exec
	s_cselect_b32 s28, s16, s4
	s_cselect_b32 s29, s17, s5
	s_sub_i32 s17, s2, s0
	s_sub_i32 s4, s3, s28
	s_lshl_b64 s[0:1], s[0:1], 2
	s_add_u32 s23, s12, s0
	s_addc_u32 s25, s13, s1
	s_lshl_b64 s[0:1], s[28:29], 2
	s_add_u32 s5, s12, s0
	s_addc_u32 s7, s13, s1
	s_cmp_lt_u32 s6, s22
	v_mov_b32_e32 v15, 0
	s_cselect_b32 s0, 12, 18
	global_load_dword v1, v15, s[10:11] offset:14
	s_add_u32 s0, s10, s0
	s_addc_u32 s1, s11, 0
	global_load_ushort v2, v15, s[0:1]
	s_cmp_eq_u64 s[26:27], s[8:9]
	s_waitcnt vmcnt(1)
	v_lshrrev_b32_e32 v3, 16, v1
	v_and_b32_e32 v1, 0xffff, v1
	v_mul_lo_u32 v1, v1, v3
	s_waitcnt vmcnt(0)
	v_mul_lo_u32 v16, v1, v2
	v_add_u32_e32 v12, v16, v0
	v_lshlrev_b32_e32 v1, 2, v0
	v_add_u32_e32 v10, v12, v16
	s_cbranch_scc1 .LBB3549_5
; %bb.4:
	v_mov_b32_e32 v2, s25
	v_add_co_u32_e32 v4, vcc, s23, v1
	v_subrev_u32_e32 v14, s17, v0
	v_addc_co_u32_e32 v5, vcc, 0, v2, vcc
	v_lshlrev_b64 v[2:3], 2, v[14:15]
	v_mov_b32_e32 v6, s7
	v_add_co_u32_e32 v2, vcc, s5, v2
	v_addc_co_u32_e32 v3, vcc, v6, v3, vcc
	v_cmp_gt_u32_e32 vcc, s17, v0
	v_mov_b32_e32 v13, v15
	v_cndmask_b32_e32 v3, v3, v5, vcc
	v_cndmask_b32_e32 v2, v2, v4, vcc
	v_lshlrev_b64 v[4:5], 2, v[12:13]
	global_load_dword v2, v[2:3], off
	v_mov_b32_e32 v3, s25
	v_add_co_u32_e32 v6, vcc, s23, v4
	v_subrev_u32_e32 v14, s17, v12
	v_addc_co_u32_e32 v3, vcc, v3, v5, vcc
	v_lshlrev_b64 v[4:5], 2, v[14:15]
	v_mov_b32_e32 v7, s7
	v_add_co_u32_e32 v4, vcc, s5, v4
	v_addc_co_u32_e32 v5, vcc, v7, v5, vcc
	v_cmp_gt_u32_e32 vcc, s17, v12
	v_cndmask_b32_e32 v5, v5, v3, vcc
	v_cndmask_b32_e32 v4, v4, v6, vcc
	v_mov_b32_e32 v11, v15
	global_load_dword v3, v[4:5], off
	v_lshlrev_b64 v[4:5], 2, v[10:11]
	v_mov_b32_e32 v6, s25
	v_add_co_u32_e32 v7, vcc, s23, v4
	v_subrev_u32_e32 v14, s17, v10
	v_addc_co_u32_e32 v6, vcc, v6, v5, vcc
	v_lshlrev_b64 v[4:5], 2, v[14:15]
	v_mov_b32_e32 v8, s7
	v_add_co_u32_e32 v4, vcc, s5, v4
	v_addc_co_u32_e32 v5, vcc, v8, v5, vcc
	v_cmp_gt_u32_e32 vcc, s17, v10
	v_add_u32_e32 v14, v10, v16
	v_cndmask_b32_e32 v5, v5, v6, vcc
	v_cndmask_b32_e32 v4, v4, v7, vcc
	v_lshlrev_b64 v[6:7], 2, v[14:15]
	global_load_dword v4, v[4:5], off
	v_mov_b32_e32 v5, s25
	v_add_co_u32_e32 v8, vcc, s23, v6
	v_addc_co_u32_e32 v5, vcc, v5, v7, vcc
	v_subrev_u32_e32 v6, s17, v14
	v_mov_b32_e32 v7, v15
	v_lshlrev_b64 v[6:7], 2, v[6:7]
	v_mov_b32_e32 v9, s7
	v_add_co_u32_e32 v6, vcc, s5, v6
	v_addc_co_u32_e32 v7, vcc, v9, v7, vcc
	v_cmp_gt_u32_e32 vcc, s17, v14
	v_cndmask_b32_e32 v7, v7, v5, vcc
	v_cndmask_b32_e32 v6, v6, v8, vcc
	v_add_u32_e32 v14, v14, v16
	global_load_dword v5, v[6:7], off
	v_lshlrev_b64 v[6:7], 2, v[14:15]
	v_mov_b32_e32 v8, s25
	v_add_co_u32_e32 v9, vcc, s23, v6
	v_addc_co_u32_e32 v8, vcc, v8, v7, vcc
	v_subrev_u32_e32 v6, s17, v14
	v_mov_b32_e32 v7, v15
	v_lshlrev_b64 v[6:7], 2, v[6:7]
	v_mov_b32_e32 v11, s7
	v_add_co_u32_e32 v6, vcc, s5, v6
	v_addc_co_u32_e32 v7, vcc, v11, v7, vcc
	v_cmp_gt_u32_e32 vcc, s17, v14
	v_add_u32_e32 v14, v14, v16
	v_cndmask_b32_e32 v7, v7, v8, vcc
	v_cndmask_b32_e32 v6, v6, v9, vcc
	v_lshlrev_b64 v[8:9], 2, v[14:15]
	global_load_dword v6, v[6:7], off
	v_mov_b32_e32 v7, s25
	v_add_co_u32_e32 v11, vcc, s23, v8
	v_addc_co_u32_e32 v7, vcc, v7, v9, vcc
	v_subrev_u32_e32 v8, s17, v14
	v_mov_b32_e32 v9, v15
	v_lshlrev_b64 v[8:9], 2, v[8:9]
	v_mov_b32_e32 v13, s7
	v_add_co_u32_e32 v8, vcc, s5, v8
	v_addc_co_u32_e32 v9, vcc, v13, v9, vcc
	v_cmp_gt_u32_e32 vcc, s17, v14
	v_cndmask_b32_e32 v9, v9, v7, vcc
	v_cndmask_b32_e32 v8, v8, v11, vcc
	v_add_u32_e32 v14, v14, v16
	global_load_dword v7, v[8:9], off
	v_lshlrev_b64 v[8:9], 2, v[14:15]
	v_mov_b32_e32 v11, s25
	v_add_co_u32_e32 v13, vcc, s23, v8
	v_addc_co_u32_e32 v11, vcc, v11, v9, vcc
	v_subrev_u32_e32 v8, s17, v14
	v_mov_b32_e32 v9, v15
	v_lshlrev_b64 v[8:9], 2, v[8:9]
	v_mov_b32_e32 v17, s7
	v_add_co_u32_e32 v8, vcc, s5, v8
	v_addc_co_u32_e32 v9, vcc, v17, v9, vcc
	v_cmp_gt_u32_e32 vcc, s17, v14
	v_add_u32_e32 v14, v14, v16
	v_cndmask_b32_e32 v9, v9, v11, vcc
	v_cndmask_b32_e32 v8, v8, v13, vcc
	v_lshlrev_b64 v[18:19], 2, v[14:15]
	global_load_dword v8, v[8:9], off
	v_mov_b32_e32 v9, s25
	v_add_co_u32_e32 v11, vcc, s23, v18
	v_addc_co_u32_e32 v9, vcc, v9, v19, vcc
	v_cmp_gt_u32_e32 vcc, s17, v14
	v_subrev_u32_e32 v14, s17, v14
	v_lshlrev_b64 v[14:15], 2, v[14:15]
	v_mov_b32_e32 v13, s7
	v_add_co_u32_e64 v14, s[0:1], s5, v14
	v_addc_co_u32_e64 v13, s[0:1], v13, v15, s[0:1]
	v_cndmask_b32_e32 v15, v13, v9, vcc
	v_cndmask_b32_e32 v14, v14, v11, vcc
	global_load_dword v9, v[14:15], off
	s_add_i32 s24, s17, s4
	s_cbranch_execz .LBB3549_6
	s_branch .LBB3549_21
.LBB3549_5:
                                        ; implicit-def: $vgpr2_vgpr3_vgpr4_vgpr5_vgpr6_vgpr7_vgpr8_vgpr9
                                        ; implicit-def: $sgpr24
.LBB3549_6:
	s_add_i32 s24, s17, s4
	v_cmp_gt_u32_e32 vcc, s24, v0
                                        ; implicit-def: $vgpr2_vgpr3_vgpr4_vgpr5_vgpr6_vgpr7_vgpr8_vgpr9
	s_and_saveexec_b64 s[0:1], vcc
	s_cbranch_execnz .LBB3549_46
; %bb.7:
	s_or_b64 exec, exec, s[0:1]
	v_cmp_gt_u32_e32 vcc, s24, v12
	s_and_saveexec_b64 s[2:3], vcc
	s_cbranch_execnz .LBB3549_47
.LBB3549_8:
	s_or_b64 exec, exec, s[2:3]
	v_cmp_gt_u32_e32 vcc, s24, v10
	s_and_saveexec_b64 s[0:1], vcc
	s_cbranch_execz .LBB3549_10
.LBB3549_9:
	v_mov_b32_e32 v11, 0
	v_lshlrev_b64 v[12:13], 2, v[10:11]
	s_waitcnt vmcnt(5)
	v_mov_b32_e32 v4, s25
	v_add_co_u32_e32 v14, vcc, s23, v12
	v_addc_co_u32_e32 v4, vcc, v4, v13, vcc
	v_subrev_u32_e32 v12, s17, v10
	v_mov_b32_e32 v13, v11
	v_lshlrev_b64 v[12:13], 2, v[12:13]
	v_mov_b32_e32 v11, s7
	v_add_co_u32_e32 v12, vcc, s5, v12
	v_addc_co_u32_e32 v11, vcc, v11, v13, vcc
	v_cmp_gt_u32_e32 vcc, s17, v10
	v_cndmask_b32_e32 v13, v11, v4, vcc
	v_cndmask_b32_e32 v12, v12, v14, vcc
	global_load_dword v4, v[12:13], off
.LBB3549_10:
	s_or_b64 exec, exec, s[0:1]
	v_add_u32_e32 v10, v10, v16
	v_cmp_gt_u32_e32 vcc, s24, v10
	s_and_saveexec_b64 s[0:1], vcc
	s_cbranch_execz .LBB3549_12
; %bb.11:
	v_mov_b32_e32 v11, 0
	v_lshlrev_b64 v[12:13], 2, v[10:11]
	s_waitcnt vmcnt(4)
	v_mov_b32_e32 v5, s25
	v_add_co_u32_e32 v14, vcc, s23, v12
	v_addc_co_u32_e32 v5, vcc, v5, v13, vcc
	v_subrev_u32_e32 v12, s17, v10
	v_mov_b32_e32 v13, v11
	v_lshlrev_b64 v[12:13], 2, v[12:13]
	v_mov_b32_e32 v11, s7
	v_add_co_u32_e32 v12, vcc, s5, v12
	v_addc_co_u32_e32 v11, vcc, v11, v13, vcc
	v_cmp_gt_u32_e32 vcc, s17, v10
	v_cndmask_b32_e32 v13, v11, v5, vcc
	v_cndmask_b32_e32 v12, v12, v14, vcc
	global_load_dword v5, v[12:13], off
.LBB3549_12:
	s_or_b64 exec, exec, s[0:1]
	v_add_u32_e32 v10, v10, v16
	v_cmp_gt_u32_e32 vcc, s24, v10
	s_and_saveexec_b64 s[0:1], vcc
	s_cbranch_execz .LBB3549_14
; %bb.13:
	v_mov_b32_e32 v11, 0
	v_lshlrev_b64 v[12:13], 2, v[10:11]
	s_waitcnt vmcnt(3)
	v_mov_b32_e32 v6, s25
	v_add_co_u32_e32 v14, vcc, s23, v12
	v_addc_co_u32_e32 v6, vcc, v6, v13, vcc
	v_subrev_u32_e32 v12, s17, v10
	v_mov_b32_e32 v13, v11
	v_lshlrev_b64 v[12:13], 2, v[12:13]
	v_mov_b32_e32 v11, s7
	v_add_co_u32_e32 v12, vcc, s5, v12
	v_addc_co_u32_e32 v11, vcc, v11, v13, vcc
	v_cmp_gt_u32_e32 vcc, s17, v10
	v_cndmask_b32_e32 v13, v11, v6, vcc
	v_cndmask_b32_e32 v12, v12, v14, vcc
	global_load_dword v6, v[12:13], off
.LBB3549_14:
	;; [unrolled: 23-line block ×4, first 2 shown]
	s_or_b64 exec, exec, s[0:1]
	v_add_u32_e32 v10, v10, v16
	v_cmp_gt_u32_e32 vcc, s24, v10
	s_and_saveexec_b64 s[2:3], vcc
	s_cbranch_execz .LBB3549_20
; %bb.19:
	v_mov_b32_e32 v11, 0
	v_lshlrev_b64 v[12:13], 2, v[10:11]
	s_waitcnt vmcnt(0)
	v_mov_b32_e32 v9, s25
	v_add_co_u32_e32 v12, vcc, s23, v12
	v_addc_co_u32_e32 v9, vcc, v9, v13, vcc
	v_cmp_gt_u32_e32 vcc, s17, v10
	v_subrev_u32_e32 v10, s17, v10
	v_lshlrev_b64 v[10:11], 2, v[10:11]
	v_mov_b32_e32 v13, s7
	v_add_co_u32_e64 v10, s[0:1], s5, v10
	v_addc_co_u32_e64 v11, s[0:1], v13, v11, s[0:1]
	v_cndmask_b32_e32 v11, v11, v9, vcc
	v_cndmask_b32_e32 v10, v10, v12, vcc
	global_load_dword v9, v[10:11], off
.LBB3549_20:
	s_or_b64 exec, exec, s[2:3]
.LBB3549_21:
	v_lshlrev_b32_e32 v10, 3, v0
	v_min_u32_e32 v12, s24, v10
	v_sub_u32_e64 v11, v12, s4 clamp
	v_min_u32_e32 v13, s17, v12
	v_cmp_lt_u32_e32 vcc, v11, v13
	s_waitcnt vmcnt(0)
	ds_write2st64_b32 v1, v2, v3 offset1:2
	ds_write2st64_b32 v1, v4, v5 offset0:4 offset1:6
	ds_write2st64_b32 v1, v6, v7 offset0:8 offset1:10
	;; [unrolled: 1-line block ×3, first 2 shown]
	s_waitcnt lgkmcnt(0)
	s_barrier
	s_and_saveexec_b64 s[0:1], vcc
	s_cbranch_execz .LBB3549_25
; %bb.22:
	v_lshlrev_b32_e32 v14, 2, v12
	v_lshl_add_u32 v14, s17, 2, v14
	s_mov_b64 s[2:3], 0
.LBB3549_23:                            ; =>This Inner Loop Header: Depth=1
	v_add_u32_e32 v15, v13, v11
	v_lshrrev_b32_e32 v15, 1, v15
	v_not_b32_e32 v16, v15
	v_lshlrev_b32_e32 v17, 2, v15
	v_lshl_add_u32 v16, v16, 2, v14
	ds_read_b32 v17, v17
	ds_read_b32 v16, v16
	v_add_u32_e32 v18, 1, v15
	s_waitcnt lgkmcnt(0)
	v_cmp_gt_f32_e32 vcc, v17, v16
	v_cndmask_b32_e32 v13, v13, v15, vcc
	v_cndmask_b32_e32 v11, v18, v11, vcc
	v_cmp_ge_u32_e32 vcc, v11, v13
	s_or_b64 s[2:3], vcc, s[2:3]
	s_andn2_b64 exec, exec, s[2:3]
	s_cbranch_execnz .LBB3549_23
; %bb.24:
	s_or_b64 exec, exec, s[2:3]
.LBB3549_25:
	s_or_b64 exec, exec, s[0:1]
	v_sub_u32_e32 v12, v12, v11
	v_add_u32_e32 v12, s17, v12
	v_cmp_ge_u32_e32 vcc, s17, v11
	v_cmp_ge_u32_e64 s[0:1], s24, v12
	s_or_b64 s[0:1], vcc, s[0:1]
	s_and_saveexec_b64 s[22:23], s[0:1]
	s_cbranch_execz .LBB3549_31
; %bb.26:
	v_cmp_gt_u32_e32 vcc, s17, v11
                                        ; implicit-def: $vgpr2
	s_and_saveexec_b64 s[0:1], vcc
	s_cbranch_execz .LBB3549_28
; %bb.27:
	v_lshlrev_b32_e32 v2, 2, v11
	ds_read_b32 v2, v2
.LBB3549_28:
	s_or_b64 exec, exec, s[0:1]
	v_cmp_le_u32_e64 s[0:1], s24, v12
	v_cmp_gt_u32_e64 s[2:3], s24, v12
                                        ; implicit-def: $vgpr3
	s_and_saveexec_b64 s[4:5], s[2:3]
	s_cbranch_execz .LBB3549_30
; %bb.29:
	v_lshlrev_b32_e32 v3, 2, v12
	ds_read_b32 v3, v3
.LBB3549_30:
	s_or_b64 exec, exec, s[4:5]
	s_waitcnt lgkmcnt(0)
	v_cmp_ngt_f32_e64 s[2:3], v2, v3
	s_and_b64 s[2:3], vcc, s[2:3]
	s_or_b64 vcc, s[0:1], s[2:3]
	v_mov_b32_e32 v5, s24
	v_mov_b32_e32 v6, s17
	v_cndmask_b32_e32 v4, v12, v11, vcc
	v_cndmask_b32_e32 v7, v5, v6, vcc
	v_add_u32_e32 v4, 1, v4
	v_add_u32_e32 v7, -1, v7
	v_min_u32_e32 v7, v4, v7
	v_lshlrev_b32_e32 v7, 2, v7
	ds_read_b32 v7, v7
	v_cndmask_b32_e32 v9, v4, v12, vcc
	v_cndmask_b32_e32 v4, v11, v4, vcc
	v_cmp_gt_u32_e64 s[2:3], s17, v4
	v_cmp_le_u32_e64 s[0:1], s24, v9
	s_waitcnt lgkmcnt(0)
	v_cndmask_b32_e32 v8, v7, v3, vcc
	v_cndmask_b32_e32 v7, v2, v7, vcc
	v_cmp_ngt_f32_e64 s[4:5], v7, v8
	s_and_b64 s[2:3], s[2:3], s[4:5]
	s_or_b64 s[0:1], s[0:1], s[2:3]
	v_cndmask_b32_e64 v11, v9, v4, s[0:1]
	v_cndmask_b32_e64 v12, v5, v6, s[0:1]
	v_add_u32_e32 v11, 1, v11
	v_add_u32_e32 v12, -1, v12
	v_min_u32_e32 v12, v11, v12
	v_lshlrev_b32_e32 v12, 2, v12
	ds_read_b32 v12, v12
	v_cndmask_b32_e64 v4, v4, v11, s[0:1]
	v_cndmask_b32_e64 v9, v11, v9, s[0:1]
	v_cmp_gt_u32_e64 s[4:5], s17, v4
	v_cmp_le_u32_e64 s[2:3], s24, v9
	s_waitcnt lgkmcnt(0)
	v_cndmask_b32_e64 v13, v12, v8, s[0:1]
	v_cndmask_b32_e64 v12, v7, v12, s[0:1]
	v_cmp_ngt_f32_e64 s[6:7], v12, v13
	s_and_b64 s[4:5], s[4:5], s[6:7]
	s_or_b64 s[2:3], s[2:3], s[4:5]
	v_cndmask_b32_e64 v11, v9, v4, s[2:3]
	v_cndmask_b32_e64 v14, v5, v6, s[2:3]
	v_add_u32_e32 v11, 1, v11
	v_add_u32_e32 v14, -1, v14
	v_min_u32_e32 v14, v11, v14
	v_lshlrev_b32_e32 v14, 2, v14
	ds_read_b32 v14, v14
	v_cndmask_b32_e64 v4, v4, v11, s[2:3]
	v_cndmask_b32_e64 v9, v11, v9, s[2:3]
	v_cmp_gt_u32_e64 s[6:7], s17, v4
	v_cmp_le_u32_e64 s[4:5], s24, v9
	s_waitcnt lgkmcnt(0)
	v_cndmask_b32_e64 v15, v14, v13, s[2:3]
	v_cndmask_b32_e64 v14, v12, v14, s[2:3]
	;; [unrolled: 17-line block ×4, first 2 shown]
	v_cmp_ngt_f32_e64 s[12:13], v18, v19
	s_and_b64 s[10:11], s[10:11], s[12:13]
	s_or_b64 s[8:9], s[8:9], s[10:11]
	v_cndmask_b32_e64 v4, v9, v11, s[8:9]
	v_cndmask_b32_e64 v20, v5, v6, s[8:9]
	v_add_u32_e32 v21, 1, v4
	v_add_u32_e32 v4, -1, v20
	v_min_u32_e32 v4, v21, v4
	v_lshlrev_b32_e32 v4, 2, v4
	ds_read_b32 v20, v4
	v_cndmask_b32_e64 v4, v13, v12, s[2:3]
	v_cndmask_b32_e64 v11, v11, v21, s[8:9]
	v_cndmask_b32_e32 v2, v3, v2, vcc
	v_cndmask_b32_e64 v3, v8, v7, s[0:1]
	s_waitcnt lgkmcnt(0)
	v_cndmask_b32_e64 v12, v20, v19, s[8:9]
	v_cndmask_b32_e64 v13, v18, v20, s[8:9]
	;; [unrolled: 1-line block ×3, first 2 shown]
	v_cmp_gt_u32_e64 s[0:1], s17, v11
	v_cmp_ngt_f32_e64 s[2:3], v13, v12
	v_cmp_le_u32_e32 vcc, s24, v9
	s_and_b64 s[0:1], s[0:1], s[2:3]
	s_or_b64 vcc, vcc, s[0:1]
	v_cndmask_b32_e32 v7, v9, v11, vcc
	v_cndmask_b32_e32 v5, v5, v6, vcc
	v_add_u32_e32 v20, 1, v7
	v_add_u32_e32 v5, -1, v5
	v_min_u32_e32 v5, v20, v5
	v_lshlrev_b32_e32 v5, 2, v5
	ds_read_b32 v21, v5
	v_cndmask_b32_e32 v8, v12, v13, vcc
	v_cndmask_b32_e32 v11, v11, v20, vcc
	;; [unrolled: 1-line block ×3, first 2 shown]
	v_cmp_gt_u32_e64 s[0:1], s17, v11
	s_waitcnt lgkmcnt(0)
	v_cndmask_b32_e32 v12, v21, v12, vcc
	v_cndmask_b32_e32 v13, v13, v21, vcc
	v_cmp_ngt_f32_e64 s[2:3], v13, v12
	v_cmp_le_u32_e32 vcc, s24, v9
	s_and_b64 s[0:1], s[0:1], s[2:3]
	s_or_b64 vcc, vcc, s[0:1]
	v_cndmask_b32_e64 v5, v15, v14, s[4:5]
	v_cndmask_b32_e64 v6, v17, v16, s[6:7]
	;; [unrolled: 1-line block ×3, first 2 shown]
	v_cndmask_b32_e32 v9, v12, v13, vcc
.LBB3549_31:
	s_or_b64 exec, exec, s[22:23]
	v_and_b32_e32 v11, 0x7c, v0
	v_lshl_add_u32 v10, v10, 2, v11
	s_barrier
	s_barrier
	ds_write2_b32 v10, v2, v3 offset1:1
	ds_write2_b32 v10, v4, v5 offset0:2 offset1:3
	ds_write2_b32 v10, v6, v7 offset0:4 offset1:5
	ds_write2_b32 v10, v8, v9 offset0:6 offset1:7
	v_lshrrev_b32_e32 v2, 3, v0
	v_and_b32_e32 v2, 12, v2
	v_or_b32_e32 v10, 0x80, v0
	v_add_u32_e32 v11, v1, v2
	v_lshrrev_b32_e32 v2, 3, v10
	v_and_b32_e32 v2, 28, v2
	v_or_b32_e32 v9, 0x100, v0
	v_add_u32_e32 v12, v1, v2
	;; [unrolled: 4-line block ×6, first 2 shown]
	v_lshrrev_b32_e32 v2, 3, v5
	s_lshl_b64 s[0:1], s[20:21], 2
	v_and_b32_e32 v2, 0x6c, v2
	v_or_b32_e32 v4, 0x380, v0
	s_add_u32 s0, s14, s0
	v_add_u32_e32 v17, v1, v2
	v_lshrrev_b32_e32 v2, 3, v4
	s_addc_u32 s1, s15, s1
	v_and_b32_e32 v2, 0x7c, v2
	v_add_u32_e32 v18, v1, v2
	v_mov_b32_e32 v3, s1
	v_add_co_u32_e32 v2, vcc, s0, v1
	v_addc_co_u32_e32 v3, vcc, 0, v3, vcc
	s_and_b64 vcc, exec, s[18:19]
	s_waitcnt lgkmcnt(0)
	s_cbranch_vccz .LBB3549_33
; %bb.32:
	s_barrier
	ds_read_b32 v19, v11
	ds_read_b32 v20, v12 offset:512
	ds_read_b32 v21, v13 offset:1024
	;; [unrolled: 1-line block ×7, first 2 shown]
	s_waitcnt lgkmcnt(7)
	global_store_dword v[2:3], v19, off
	s_waitcnt lgkmcnt(6)
	global_store_dword v[2:3], v20, off offset:512
	s_waitcnt lgkmcnt(5)
	global_store_dword v[2:3], v21, off offset:1024
	;; [unrolled: 2-line block ×6, first 2 shown]
	s_mov_b64 s[0:1], -1
	s_cbranch_execz .LBB3549_34
	s_branch .LBB3549_43
.LBB3549_33:
	s_mov_b64 s[0:1], 0
                                        ; implicit-def: $vgpr1
.LBB3549_34:
	s_barrier
	s_waitcnt lgkmcnt(0)
	ds_read_b32 v21, v12 offset:512
	ds_read_b32 v20, v13 offset:1024
	;; [unrolled: 1-line block ×7, first 2 shown]
	s_sub_i32 s2, s16, s20
	v_cmp_gt_u32_e32 vcc, s2, v0
	s_and_saveexec_b64 s[0:1], vcc
	s_cbranch_execnz .LBB3549_48
; %bb.35:
	s_or_b64 exec, exec, s[0:1]
	v_cmp_gt_u32_e32 vcc, s2, v10
	s_and_saveexec_b64 s[0:1], vcc
	s_cbranch_execnz .LBB3549_49
.LBB3549_36:
	s_or_b64 exec, exec, s[0:1]
	v_cmp_gt_u32_e32 vcc, s2, v9
	s_and_saveexec_b64 s[0:1], vcc
	s_cbranch_execnz .LBB3549_50
.LBB3549_37:
	s_or_b64 exec, exec, s[0:1]
	v_cmp_gt_u32_e32 vcc, s2, v8
	s_and_saveexec_b64 s[0:1], vcc
	s_cbranch_execnz .LBB3549_51
.LBB3549_38:
	s_or_b64 exec, exec, s[0:1]
	v_cmp_gt_u32_e32 vcc, s2, v7
	s_and_saveexec_b64 s[0:1], vcc
	s_cbranch_execnz .LBB3549_52
.LBB3549_39:
	s_or_b64 exec, exec, s[0:1]
	v_cmp_gt_u32_e32 vcc, s2, v6
	s_and_saveexec_b64 s[0:1], vcc
	s_cbranch_execnz .LBB3549_53
.LBB3549_40:
	s_or_b64 exec, exec, s[0:1]
	v_cmp_gt_u32_e32 vcc, s2, v5
	s_and_saveexec_b64 s[0:1], vcc
	s_cbranch_execz .LBB3549_42
.LBB3549_41:
	s_waitcnt lgkmcnt(1)
	global_store_dword v[2:3], v12, off offset:3072
.LBB3549_42:
	s_or_b64 exec, exec, s[0:1]
	v_cmp_gt_u32_e64 s[0:1], s2, v4
.LBB3549_43:
	s_and_saveexec_b64 s[2:3], s[0:1]
	s_cbranch_execz .LBB3549_45
; %bb.44:
	s_waitcnt lgkmcnt(0)
	global_store_dword v[2:3], v1, off offset:3584
.LBB3549_45:
	s_endpgm
.LBB3549_46:
	s_waitcnt vmcnt(7)
	v_mov_b32_e32 v2, s25
	s_waitcnt vmcnt(5)
	v_add_co_u32_e32 v4, vcc, s23, v1
	v_mov_b32_e32 v3, 0
	s_waitcnt vmcnt(4)
	v_addc_co_u32_e32 v5, vcc, 0, v2, vcc
	v_subrev_u32_e32 v2, s17, v0
	v_lshlrev_b64 v[2:3], 2, v[2:3]
	s_waitcnt vmcnt(3)
	v_mov_b32_e32 v6, s7
	v_add_co_u32_e32 v2, vcc, s5, v2
	v_addc_co_u32_e32 v3, vcc, v6, v3, vcc
	v_cmp_gt_u32_e32 vcc, s17, v0
	v_cndmask_b32_e32 v3, v3, v5, vcc
	v_cndmask_b32_e32 v2, v2, v4, vcc
	global_load_dword v2, v[2:3], off
	s_or_b64 exec, exec, s[0:1]
	v_cmp_gt_u32_e32 vcc, s24, v12
	s_and_saveexec_b64 s[2:3], vcc
	s_cbranch_execz .LBB3549_8
.LBB3549_47:
	v_mov_b32_e32 v13, 0
	v_lshlrev_b64 v[14:15], 2, v[12:13]
	s_waitcnt vmcnt(6)
	v_mov_b32_e32 v3, s25
	v_add_co_u32_e32 v11, vcc, s23, v14
	v_addc_co_u32_e32 v3, vcc, v3, v15, vcc
	v_cmp_gt_u32_e32 vcc, s17, v12
	v_subrev_u32_e32 v12, s17, v12
	v_lshlrev_b64 v[12:13], 2, v[12:13]
	v_mov_b32_e32 v14, s7
	v_add_co_u32_e64 v12, s[0:1], s5, v12
	v_addc_co_u32_e64 v13, s[0:1], v14, v13, s[0:1]
	v_cndmask_b32_e32 v13, v13, v3, vcc
	v_cndmask_b32_e32 v12, v12, v11, vcc
	global_load_dword v3, v[12:13], off
	s_or_b64 exec, exec, s[2:3]
	v_cmp_gt_u32_e32 vcc, s24, v10
	s_and_saveexec_b64 s[0:1], vcc
	s_cbranch_execnz .LBB3549_9
	s_branch .LBB3549_10
.LBB3549_48:
	ds_read_b32 v0, v11
	s_waitcnt lgkmcnt(0)
	global_store_dword v[2:3], v0, off
	s_or_b64 exec, exec, s[0:1]
	v_cmp_gt_u32_e32 vcc, s2, v10
	s_and_saveexec_b64 s[0:1], vcc
	s_cbranch_execz .LBB3549_36
.LBB3549_49:
	s_waitcnt lgkmcnt(6)
	global_store_dword v[2:3], v21, off offset:512
	s_or_b64 exec, exec, s[0:1]
	v_cmp_gt_u32_e32 vcc, s2, v9
	s_and_saveexec_b64 s[0:1], vcc
	s_cbranch_execz .LBB3549_37
.LBB3549_50:
	s_waitcnt lgkmcnt(5)
	global_store_dword v[2:3], v20, off offset:1024
	s_or_b64 exec, exec, s[0:1]
	v_cmp_gt_u32_e32 vcc, s2, v8
	s_and_saveexec_b64 s[0:1], vcc
	s_cbranch_execz .LBB3549_38
.LBB3549_51:
	s_waitcnt lgkmcnt(4)
	global_store_dword v[2:3], v19, off offset:1536
	s_or_b64 exec, exec, s[0:1]
	v_cmp_gt_u32_e32 vcc, s2, v7
	s_and_saveexec_b64 s[0:1], vcc
	s_cbranch_execz .LBB3549_39
.LBB3549_52:
	s_waitcnt lgkmcnt(3)
	global_store_dword v[2:3], v14, off offset:2048
	s_or_b64 exec, exec, s[0:1]
	v_cmp_gt_u32_e32 vcc, s2, v6
	s_and_saveexec_b64 s[0:1], vcc
	s_cbranch_execz .LBB3549_40
.LBB3549_53:
	s_waitcnt lgkmcnt(2)
	global_store_dword v[2:3], v13, off offset:2560
	s_or_b64 exec, exec, s[0:1]
	v_cmp_gt_u32_e32 vcc, s2, v5
	s_and_saveexec_b64 s[0:1], vcc
	s_cbranch_execnz .LBB3549_41
	s_branch .LBB3549_42
	.section	.rodata,"a",@progbits
	.p2align	6, 0x0
	.amdhsa_kernel _ZN7rocprim17ROCPRIM_400000_NS6detail17trampoline_kernelINS0_14default_configENS1_38merge_sort_block_merge_config_selectorIfNS0_10empty_typeEEEZZNS1_27merge_sort_block_merge_implIS3_N6thrust23THRUST_200600_302600_NS6detail15normal_iteratorINS9_10device_ptrIfEEEEPS5_m14custom_greaterIfEEE10hipError_tT0_T1_T2_jT3_P12ihipStream_tbPNSt15iterator_traitsISJ_E10value_typeEPNSP_ISK_E10value_typeEPSL_NS1_7vsmem_tEENKUlT_SJ_SK_SL_E_clIPfSE_SF_SF_EESI_SY_SJ_SK_SL_EUlSY_E0_NS1_11comp_targetILNS1_3genE4ELNS1_11target_archE910ELNS1_3gpuE8ELNS1_3repE0EEENS1_38merge_mergepath_config_static_selectorELNS0_4arch9wavefront6targetE1EEEvSK_
		.amdhsa_group_segment_fixed_size 4224
		.amdhsa_private_segment_fixed_size 0
		.amdhsa_kernarg_size 328
		.amdhsa_user_sgpr_count 6
		.amdhsa_user_sgpr_private_segment_buffer 1
		.amdhsa_user_sgpr_dispatch_ptr 0
		.amdhsa_user_sgpr_queue_ptr 0
		.amdhsa_user_sgpr_kernarg_segment_ptr 1
		.amdhsa_user_sgpr_dispatch_id 0
		.amdhsa_user_sgpr_flat_scratch_init 0
		.amdhsa_user_sgpr_kernarg_preload_length 0
		.amdhsa_user_sgpr_kernarg_preload_offset 0
		.amdhsa_user_sgpr_private_segment_size 0
		.amdhsa_uses_dynamic_stack 0
		.amdhsa_system_sgpr_private_segment_wavefront_offset 0
		.amdhsa_system_sgpr_workgroup_id_x 1
		.amdhsa_system_sgpr_workgroup_id_y 1
		.amdhsa_system_sgpr_workgroup_id_z 1
		.amdhsa_system_sgpr_workgroup_info 0
		.amdhsa_system_vgpr_workitem_id 0
		.amdhsa_next_free_vgpr 26
		.amdhsa_next_free_sgpr 31
		.amdhsa_accum_offset 28
		.amdhsa_reserve_vcc 1
		.amdhsa_reserve_flat_scratch 0
		.amdhsa_float_round_mode_32 0
		.amdhsa_float_round_mode_16_64 0
		.amdhsa_float_denorm_mode_32 3
		.amdhsa_float_denorm_mode_16_64 3
		.amdhsa_dx10_clamp 1
		.amdhsa_ieee_mode 1
		.amdhsa_fp16_overflow 0
		.amdhsa_tg_split 0
		.amdhsa_exception_fp_ieee_invalid_op 0
		.amdhsa_exception_fp_denorm_src 0
		.amdhsa_exception_fp_ieee_div_zero 0
		.amdhsa_exception_fp_ieee_overflow 0
		.amdhsa_exception_fp_ieee_underflow 0
		.amdhsa_exception_fp_ieee_inexact 0
		.amdhsa_exception_int_div_zero 0
	.end_amdhsa_kernel
	.section	.text._ZN7rocprim17ROCPRIM_400000_NS6detail17trampoline_kernelINS0_14default_configENS1_38merge_sort_block_merge_config_selectorIfNS0_10empty_typeEEEZZNS1_27merge_sort_block_merge_implIS3_N6thrust23THRUST_200600_302600_NS6detail15normal_iteratorINS9_10device_ptrIfEEEEPS5_m14custom_greaterIfEEE10hipError_tT0_T1_T2_jT3_P12ihipStream_tbPNSt15iterator_traitsISJ_E10value_typeEPNSP_ISK_E10value_typeEPSL_NS1_7vsmem_tEENKUlT_SJ_SK_SL_E_clIPfSE_SF_SF_EESI_SY_SJ_SK_SL_EUlSY_E0_NS1_11comp_targetILNS1_3genE4ELNS1_11target_archE910ELNS1_3gpuE8ELNS1_3repE0EEENS1_38merge_mergepath_config_static_selectorELNS0_4arch9wavefront6targetE1EEEvSK_,"axG",@progbits,_ZN7rocprim17ROCPRIM_400000_NS6detail17trampoline_kernelINS0_14default_configENS1_38merge_sort_block_merge_config_selectorIfNS0_10empty_typeEEEZZNS1_27merge_sort_block_merge_implIS3_N6thrust23THRUST_200600_302600_NS6detail15normal_iteratorINS9_10device_ptrIfEEEEPS5_m14custom_greaterIfEEE10hipError_tT0_T1_T2_jT3_P12ihipStream_tbPNSt15iterator_traitsISJ_E10value_typeEPNSP_ISK_E10value_typeEPSL_NS1_7vsmem_tEENKUlT_SJ_SK_SL_E_clIPfSE_SF_SF_EESI_SY_SJ_SK_SL_EUlSY_E0_NS1_11comp_targetILNS1_3genE4ELNS1_11target_archE910ELNS1_3gpuE8ELNS1_3repE0EEENS1_38merge_mergepath_config_static_selectorELNS0_4arch9wavefront6targetE1EEEvSK_,comdat
.Lfunc_end3549:
	.size	_ZN7rocprim17ROCPRIM_400000_NS6detail17trampoline_kernelINS0_14default_configENS1_38merge_sort_block_merge_config_selectorIfNS0_10empty_typeEEEZZNS1_27merge_sort_block_merge_implIS3_N6thrust23THRUST_200600_302600_NS6detail15normal_iteratorINS9_10device_ptrIfEEEEPS5_m14custom_greaterIfEEE10hipError_tT0_T1_T2_jT3_P12ihipStream_tbPNSt15iterator_traitsISJ_E10value_typeEPNSP_ISK_E10value_typeEPSL_NS1_7vsmem_tEENKUlT_SJ_SK_SL_E_clIPfSE_SF_SF_EESI_SY_SJ_SK_SL_EUlSY_E0_NS1_11comp_targetILNS1_3genE4ELNS1_11target_archE910ELNS1_3gpuE8ELNS1_3repE0EEENS1_38merge_mergepath_config_static_selectorELNS0_4arch9wavefront6targetE1EEEvSK_, .Lfunc_end3549-_ZN7rocprim17ROCPRIM_400000_NS6detail17trampoline_kernelINS0_14default_configENS1_38merge_sort_block_merge_config_selectorIfNS0_10empty_typeEEEZZNS1_27merge_sort_block_merge_implIS3_N6thrust23THRUST_200600_302600_NS6detail15normal_iteratorINS9_10device_ptrIfEEEEPS5_m14custom_greaterIfEEE10hipError_tT0_T1_T2_jT3_P12ihipStream_tbPNSt15iterator_traitsISJ_E10value_typeEPNSP_ISK_E10value_typeEPSL_NS1_7vsmem_tEENKUlT_SJ_SK_SL_E_clIPfSE_SF_SF_EESI_SY_SJ_SK_SL_EUlSY_E0_NS1_11comp_targetILNS1_3genE4ELNS1_11target_archE910ELNS1_3gpuE8ELNS1_3repE0EEENS1_38merge_mergepath_config_static_selectorELNS0_4arch9wavefront6targetE1EEEvSK_
                                        ; -- End function
	.section	.AMDGPU.csdata,"",@progbits
; Kernel info:
; codeLenInByte = 3720
; NumSgprs: 35
; NumVgprs: 26
; NumAgprs: 0
; TotalNumVgprs: 26
; ScratchSize: 0
; MemoryBound: 0
; FloatMode: 240
; IeeeMode: 1
; LDSByteSize: 4224 bytes/workgroup (compile time only)
; SGPRBlocks: 4
; VGPRBlocks: 3
; NumSGPRsForWavesPerEU: 35
; NumVGPRsForWavesPerEU: 26
; AccumOffset: 28
; Occupancy: 8
; WaveLimiterHint : 1
; COMPUTE_PGM_RSRC2:SCRATCH_EN: 0
; COMPUTE_PGM_RSRC2:USER_SGPR: 6
; COMPUTE_PGM_RSRC2:TRAP_HANDLER: 0
; COMPUTE_PGM_RSRC2:TGID_X_EN: 1
; COMPUTE_PGM_RSRC2:TGID_Y_EN: 1
; COMPUTE_PGM_RSRC2:TGID_Z_EN: 1
; COMPUTE_PGM_RSRC2:TIDIG_COMP_CNT: 0
; COMPUTE_PGM_RSRC3_GFX90A:ACCUM_OFFSET: 6
; COMPUTE_PGM_RSRC3_GFX90A:TG_SPLIT: 0
	.section	.text._ZN7rocprim17ROCPRIM_400000_NS6detail17trampoline_kernelINS0_14default_configENS1_38merge_sort_block_merge_config_selectorIfNS0_10empty_typeEEEZZNS1_27merge_sort_block_merge_implIS3_N6thrust23THRUST_200600_302600_NS6detail15normal_iteratorINS9_10device_ptrIfEEEEPS5_m14custom_greaterIfEEE10hipError_tT0_T1_T2_jT3_P12ihipStream_tbPNSt15iterator_traitsISJ_E10value_typeEPNSP_ISK_E10value_typeEPSL_NS1_7vsmem_tEENKUlT_SJ_SK_SL_E_clIPfSE_SF_SF_EESI_SY_SJ_SK_SL_EUlSY_E0_NS1_11comp_targetILNS1_3genE3ELNS1_11target_archE908ELNS1_3gpuE7ELNS1_3repE0EEENS1_38merge_mergepath_config_static_selectorELNS0_4arch9wavefront6targetE1EEEvSK_,"axG",@progbits,_ZN7rocprim17ROCPRIM_400000_NS6detail17trampoline_kernelINS0_14default_configENS1_38merge_sort_block_merge_config_selectorIfNS0_10empty_typeEEEZZNS1_27merge_sort_block_merge_implIS3_N6thrust23THRUST_200600_302600_NS6detail15normal_iteratorINS9_10device_ptrIfEEEEPS5_m14custom_greaterIfEEE10hipError_tT0_T1_T2_jT3_P12ihipStream_tbPNSt15iterator_traitsISJ_E10value_typeEPNSP_ISK_E10value_typeEPSL_NS1_7vsmem_tEENKUlT_SJ_SK_SL_E_clIPfSE_SF_SF_EESI_SY_SJ_SK_SL_EUlSY_E0_NS1_11comp_targetILNS1_3genE3ELNS1_11target_archE908ELNS1_3gpuE7ELNS1_3repE0EEENS1_38merge_mergepath_config_static_selectorELNS0_4arch9wavefront6targetE1EEEvSK_,comdat
	.protected	_ZN7rocprim17ROCPRIM_400000_NS6detail17trampoline_kernelINS0_14default_configENS1_38merge_sort_block_merge_config_selectorIfNS0_10empty_typeEEEZZNS1_27merge_sort_block_merge_implIS3_N6thrust23THRUST_200600_302600_NS6detail15normal_iteratorINS9_10device_ptrIfEEEEPS5_m14custom_greaterIfEEE10hipError_tT0_T1_T2_jT3_P12ihipStream_tbPNSt15iterator_traitsISJ_E10value_typeEPNSP_ISK_E10value_typeEPSL_NS1_7vsmem_tEENKUlT_SJ_SK_SL_E_clIPfSE_SF_SF_EESI_SY_SJ_SK_SL_EUlSY_E0_NS1_11comp_targetILNS1_3genE3ELNS1_11target_archE908ELNS1_3gpuE7ELNS1_3repE0EEENS1_38merge_mergepath_config_static_selectorELNS0_4arch9wavefront6targetE1EEEvSK_ ; -- Begin function _ZN7rocprim17ROCPRIM_400000_NS6detail17trampoline_kernelINS0_14default_configENS1_38merge_sort_block_merge_config_selectorIfNS0_10empty_typeEEEZZNS1_27merge_sort_block_merge_implIS3_N6thrust23THRUST_200600_302600_NS6detail15normal_iteratorINS9_10device_ptrIfEEEEPS5_m14custom_greaterIfEEE10hipError_tT0_T1_T2_jT3_P12ihipStream_tbPNSt15iterator_traitsISJ_E10value_typeEPNSP_ISK_E10value_typeEPSL_NS1_7vsmem_tEENKUlT_SJ_SK_SL_E_clIPfSE_SF_SF_EESI_SY_SJ_SK_SL_EUlSY_E0_NS1_11comp_targetILNS1_3genE3ELNS1_11target_archE908ELNS1_3gpuE7ELNS1_3repE0EEENS1_38merge_mergepath_config_static_selectorELNS0_4arch9wavefront6targetE1EEEvSK_
	.globl	_ZN7rocprim17ROCPRIM_400000_NS6detail17trampoline_kernelINS0_14default_configENS1_38merge_sort_block_merge_config_selectorIfNS0_10empty_typeEEEZZNS1_27merge_sort_block_merge_implIS3_N6thrust23THRUST_200600_302600_NS6detail15normal_iteratorINS9_10device_ptrIfEEEEPS5_m14custom_greaterIfEEE10hipError_tT0_T1_T2_jT3_P12ihipStream_tbPNSt15iterator_traitsISJ_E10value_typeEPNSP_ISK_E10value_typeEPSL_NS1_7vsmem_tEENKUlT_SJ_SK_SL_E_clIPfSE_SF_SF_EESI_SY_SJ_SK_SL_EUlSY_E0_NS1_11comp_targetILNS1_3genE3ELNS1_11target_archE908ELNS1_3gpuE7ELNS1_3repE0EEENS1_38merge_mergepath_config_static_selectorELNS0_4arch9wavefront6targetE1EEEvSK_
	.p2align	8
	.type	_ZN7rocprim17ROCPRIM_400000_NS6detail17trampoline_kernelINS0_14default_configENS1_38merge_sort_block_merge_config_selectorIfNS0_10empty_typeEEEZZNS1_27merge_sort_block_merge_implIS3_N6thrust23THRUST_200600_302600_NS6detail15normal_iteratorINS9_10device_ptrIfEEEEPS5_m14custom_greaterIfEEE10hipError_tT0_T1_T2_jT3_P12ihipStream_tbPNSt15iterator_traitsISJ_E10value_typeEPNSP_ISK_E10value_typeEPSL_NS1_7vsmem_tEENKUlT_SJ_SK_SL_E_clIPfSE_SF_SF_EESI_SY_SJ_SK_SL_EUlSY_E0_NS1_11comp_targetILNS1_3genE3ELNS1_11target_archE908ELNS1_3gpuE7ELNS1_3repE0EEENS1_38merge_mergepath_config_static_selectorELNS0_4arch9wavefront6targetE1EEEvSK_,@function
_ZN7rocprim17ROCPRIM_400000_NS6detail17trampoline_kernelINS0_14default_configENS1_38merge_sort_block_merge_config_selectorIfNS0_10empty_typeEEEZZNS1_27merge_sort_block_merge_implIS3_N6thrust23THRUST_200600_302600_NS6detail15normal_iteratorINS9_10device_ptrIfEEEEPS5_m14custom_greaterIfEEE10hipError_tT0_T1_T2_jT3_P12ihipStream_tbPNSt15iterator_traitsISJ_E10value_typeEPNSP_ISK_E10value_typeEPSL_NS1_7vsmem_tEENKUlT_SJ_SK_SL_E_clIPfSE_SF_SF_EESI_SY_SJ_SK_SL_EUlSY_E0_NS1_11comp_targetILNS1_3genE3ELNS1_11target_archE908ELNS1_3gpuE7ELNS1_3repE0EEENS1_38merge_mergepath_config_static_selectorELNS0_4arch9wavefront6targetE1EEEvSK_: ; @_ZN7rocprim17ROCPRIM_400000_NS6detail17trampoline_kernelINS0_14default_configENS1_38merge_sort_block_merge_config_selectorIfNS0_10empty_typeEEEZZNS1_27merge_sort_block_merge_implIS3_N6thrust23THRUST_200600_302600_NS6detail15normal_iteratorINS9_10device_ptrIfEEEEPS5_m14custom_greaterIfEEE10hipError_tT0_T1_T2_jT3_P12ihipStream_tbPNSt15iterator_traitsISJ_E10value_typeEPNSP_ISK_E10value_typeEPSL_NS1_7vsmem_tEENKUlT_SJ_SK_SL_E_clIPfSE_SF_SF_EESI_SY_SJ_SK_SL_EUlSY_E0_NS1_11comp_targetILNS1_3genE3ELNS1_11target_archE908ELNS1_3gpuE7ELNS1_3repE0EEENS1_38merge_mergepath_config_static_selectorELNS0_4arch9wavefront6targetE1EEEvSK_
; %bb.0:
	.section	.rodata,"a",@progbits
	.p2align	6, 0x0
	.amdhsa_kernel _ZN7rocprim17ROCPRIM_400000_NS6detail17trampoline_kernelINS0_14default_configENS1_38merge_sort_block_merge_config_selectorIfNS0_10empty_typeEEEZZNS1_27merge_sort_block_merge_implIS3_N6thrust23THRUST_200600_302600_NS6detail15normal_iteratorINS9_10device_ptrIfEEEEPS5_m14custom_greaterIfEEE10hipError_tT0_T1_T2_jT3_P12ihipStream_tbPNSt15iterator_traitsISJ_E10value_typeEPNSP_ISK_E10value_typeEPSL_NS1_7vsmem_tEENKUlT_SJ_SK_SL_E_clIPfSE_SF_SF_EESI_SY_SJ_SK_SL_EUlSY_E0_NS1_11comp_targetILNS1_3genE3ELNS1_11target_archE908ELNS1_3gpuE7ELNS1_3repE0EEENS1_38merge_mergepath_config_static_selectorELNS0_4arch9wavefront6targetE1EEEvSK_
		.amdhsa_group_segment_fixed_size 0
		.amdhsa_private_segment_fixed_size 0
		.amdhsa_kernarg_size 72
		.amdhsa_user_sgpr_count 6
		.amdhsa_user_sgpr_private_segment_buffer 1
		.amdhsa_user_sgpr_dispatch_ptr 0
		.amdhsa_user_sgpr_queue_ptr 0
		.amdhsa_user_sgpr_kernarg_segment_ptr 1
		.amdhsa_user_sgpr_dispatch_id 0
		.amdhsa_user_sgpr_flat_scratch_init 0
		.amdhsa_user_sgpr_kernarg_preload_length 0
		.amdhsa_user_sgpr_kernarg_preload_offset 0
		.amdhsa_user_sgpr_private_segment_size 0
		.amdhsa_uses_dynamic_stack 0
		.amdhsa_system_sgpr_private_segment_wavefront_offset 0
		.amdhsa_system_sgpr_workgroup_id_x 1
		.amdhsa_system_sgpr_workgroup_id_y 0
		.amdhsa_system_sgpr_workgroup_id_z 0
		.amdhsa_system_sgpr_workgroup_info 0
		.amdhsa_system_vgpr_workitem_id 0
		.amdhsa_next_free_vgpr 1
		.amdhsa_next_free_sgpr 0
		.amdhsa_accum_offset 4
		.amdhsa_reserve_vcc 0
		.amdhsa_reserve_flat_scratch 0
		.amdhsa_float_round_mode_32 0
		.amdhsa_float_round_mode_16_64 0
		.amdhsa_float_denorm_mode_32 3
		.amdhsa_float_denorm_mode_16_64 3
		.amdhsa_dx10_clamp 1
		.amdhsa_ieee_mode 1
		.amdhsa_fp16_overflow 0
		.amdhsa_tg_split 0
		.amdhsa_exception_fp_ieee_invalid_op 0
		.amdhsa_exception_fp_denorm_src 0
		.amdhsa_exception_fp_ieee_div_zero 0
		.amdhsa_exception_fp_ieee_overflow 0
		.amdhsa_exception_fp_ieee_underflow 0
		.amdhsa_exception_fp_ieee_inexact 0
		.amdhsa_exception_int_div_zero 0
	.end_amdhsa_kernel
	.section	.text._ZN7rocprim17ROCPRIM_400000_NS6detail17trampoline_kernelINS0_14default_configENS1_38merge_sort_block_merge_config_selectorIfNS0_10empty_typeEEEZZNS1_27merge_sort_block_merge_implIS3_N6thrust23THRUST_200600_302600_NS6detail15normal_iteratorINS9_10device_ptrIfEEEEPS5_m14custom_greaterIfEEE10hipError_tT0_T1_T2_jT3_P12ihipStream_tbPNSt15iterator_traitsISJ_E10value_typeEPNSP_ISK_E10value_typeEPSL_NS1_7vsmem_tEENKUlT_SJ_SK_SL_E_clIPfSE_SF_SF_EESI_SY_SJ_SK_SL_EUlSY_E0_NS1_11comp_targetILNS1_3genE3ELNS1_11target_archE908ELNS1_3gpuE7ELNS1_3repE0EEENS1_38merge_mergepath_config_static_selectorELNS0_4arch9wavefront6targetE1EEEvSK_,"axG",@progbits,_ZN7rocprim17ROCPRIM_400000_NS6detail17trampoline_kernelINS0_14default_configENS1_38merge_sort_block_merge_config_selectorIfNS0_10empty_typeEEEZZNS1_27merge_sort_block_merge_implIS3_N6thrust23THRUST_200600_302600_NS6detail15normal_iteratorINS9_10device_ptrIfEEEEPS5_m14custom_greaterIfEEE10hipError_tT0_T1_T2_jT3_P12ihipStream_tbPNSt15iterator_traitsISJ_E10value_typeEPNSP_ISK_E10value_typeEPSL_NS1_7vsmem_tEENKUlT_SJ_SK_SL_E_clIPfSE_SF_SF_EESI_SY_SJ_SK_SL_EUlSY_E0_NS1_11comp_targetILNS1_3genE3ELNS1_11target_archE908ELNS1_3gpuE7ELNS1_3repE0EEENS1_38merge_mergepath_config_static_selectorELNS0_4arch9wavefront6targetE1EEEvSK_,comdat
.Lfunc_end3550:
	.size	_ZN7rocprim17ROCPRIM_400000_NS6detail17trampoline_kernelINS0_14default_configENS1_38merge_sort_block_merge_config_selectorIfNS0_10empty_typeEEEZZNS1_27merge_sort_block_merge_implIS3_N6thrust23THRUST_200600_302600_NS6detail15normal_iteratorINS9_10device_ptrIfEEEEPS5_m14custom_greaterIfEEE10hipError_tT0_T1_T2_jT3_P12ihipStream_tbPNSt15iterator_traitsISJ_E10value_typeEPNSP_ISK_E10value_typeEPSL_NS1_7vsmem_tEENKUlT_SJ_SK_SL_E_clIPfSE_SF_SF_EESI_SY_SJ_SK_SL_EUlSY_E0_NS1_11comp_targetILNS1_3genE3ELNS1_11target_archE908ELNS1_3gpuE7ELNS1_3repE0EEENS1_38merge_mergepath_config_static_selectorELNS0_4arch9wavefront6targetE1EEEvSK_, .Lfunc_end3550-_ZN7rocprim17ROCPRIM_400000_NS6detail17trampoline_kernelINS0_14default_configENS1_38merge_sort_block_merge_config_selectorIfNS0_10empty_typeEEEZZNS1_27merge_sort_block_merge_implIS3_N6thrust23THRUST_200600_302600_NS6detail15normal_iteratorINS9_10device_ptrIfEEEEPS5_m14custom_greaterIfEEE10hipError_tT0_T1_T2_jT3_P12ihipStream_tbPNSt15iterator_traitsISJ_E10value_typeEPNSP_ISK_E10value_typeEPSL_NS1_7vsmem_tEENKUlT_SJ_SK_SL_E_clIPfSE_SF_SF_EESI_SY_SJ_SK_SL_EUlSY_E0_NS1_11comp_targetILNS1_3genE3ELNS1_11target_archE908ELNS1_3gpuE7ELNS1_3repE0EEENS1_38merge_mergepath_config_static_selectorELNS0_4arch9wavefront6targetE1EEEvSK_
                                        ; -- End function
	.section	.AMDGPU.csdata,"",@progbits
; Kernel info:
; codeLenInByte = 0
; NumSgprs: 4
; NumVgprs: 0
; NumAgprs: 0
; TotalNumVgprs: 0
; ScratchSize: 0
; MemoryBound: 0
; FloatMode: 240
; IeeeMode: 1
; LDSByteSize: 0 bytes/workgroup (compile time only)
; SGPRBlocks: 0
; VGPRBlocks: 0
; NumSGPRsForWavesPerEU: 4
; NumVGPRsForWavesPerEU: 1
; AccumOffset: 4
; Occupancy: 8
; WaveLimiterHint : 0
; COMPUTE_PGM_RSRC2:SCRATCH_EN: 0
; COMPUTE_PGM_RSRC2:USER_SGPR: 6
; COMPUTE_PGM_RSRC2:TRAP_HANDLER: 0
; COMPUTE_PGM_RSRC2:TGID_X_EN: 1
; COMPUTE_PGM_RSRC2:TGID_Y_EN: 0
; COMPUTE_PGM_RSRC2:TGID_Z_EN: 0
; COMPUTE_PGM_RSRC2:TIDIG_COMP_CNT: 0
; COMPUTE_PGM_RSRC3_GFX90A:ACCUM_OFFSET: 0
; COMPUTE_PGM_RSRC3_GFX90A:TG_SPLIT: 0
	.section	.text._ZN7rocprim17ROCPRIM_400000_NS6detail17trampoline_kernelINS0_14default_configENS1_38merge_sort_block_merge_config_selectorIfNS0_10empty_typeEEEZZNS1_27merge_sort_block_merge_implIS3_N6thrust23THRUST_200600_302600_NS6detail15normal_iteratorINS9_10device_ptrIfEEEEPS5_m14custom_greaterIfEEE10hipError_tT0_T1_T2_jT3_P12ihipStream_tbPNSt15iterator_traitsISJ_E10value_typeEPNSP_ISK_E10value_typeEPSL_NS1_7vsmem_tEENKUlT_SJ_SK_SL_E_clIPfSE_SF_SF_EESI_SY_SJ_SK_SL_EUlSY_E0_NS1_11comp_targetILNS1_3genE2ELNS1_11target_archE906ELNS1_3gpuE6ELNS1_3repE0EEENS1_38merge_mergepath_config_static_selectorELNS0_4arch9wavefront6targetE1EEEvSK_,"axG",@progbits,_ZN7rocprim17ROCPRIM_400000_NS6detail17trampoline_kernelINS0_14default_configENS1_38merge_sort_block_merge_config_selectorIfNS0_10empty_typeEEEZZNS1_27merge_sort_block_merge_implIS3_N6thrust23THRUST_200600_302600_NS6detail15normal_iteratorINS9_10device_ptrIfEEEEPS5_m14custom_greaterIfEEE10hipError_tT0_T1_T2_jT3_P12ihipStream_tbPNSt15iterator_traitsISJ_E10value_typeEPNSP_ISK_E10value_typeEPSL_NS1_7vsmem_tEENKUlT_SJ_SK_SL_E_clIPfSE_SF_SF_EESI_SY_SJ_SK_SL_EUlSY_E0_NS1_11comp_targetILNS1_3genE2ELNS1_11target_archE906ELNS1_3gpuE6ELNS1_3repE0EEENS1_38merge_mergepath_config_static_selectorELNS0_4arch9wavefront6targetE1EEEvSK_,comdat
	.protected	_ZN7rocprim17ROCPRIM_400000_NS6detail17trampoline_kernelINS0_14default_configENS1_38merge_sort_block_merge_config_selectorIfNS0_10empty_typeEEEZZNS1_27merge_sort_block_merge_implIS3_N6thrust23THRUST_200600_302600_NS6detail15normal_iteratorINS9_10device_ptrIfEEEEPS5_m14custom_greaterIfEEE10hipError_tT0_T1_T2_jT3_P12ihipStream_tbPNSt15iterator_traitsISJ_E10value_typeEPNSP_ISK_E10value_typeEPSL_NS1_7vsmem_tEENKUlT_SJ_SK_SL_E_clIPfSE_SF_SF_EESI_SY_SJ_SK_SL_EUlSY_E0_NS1_11comp_targetILNS1_3genE2ELNS1_11target_archE906ELNS1_3gpuE6ELNS1_3repE0EEENS1_38merge_mergepath_config_static_selectorELNS0_4arch9wavefront6targetE1EEEvSK_ ; -- Begin function _ZN7rocprim17ROCPRIM_400000_NS6detail17trampoline_kernelINS0_14default_configENS1_38merge_sort_block_merge_config_selectorIfNS0_10empty_typeEEEZZNS1_27merge_sort_block_merge_implIS3_N6thrust23THRUST_200600_302600_NS6detail15normal_iteratorINS9_10device_ptrIfEEEEPS5_m14custom_greaterIfEEE10hipError_tT0_T1_T2_jT3_P12ihipStream_tbPNSt15iterator_traitsISJ_E10value_typeEPNSP_ISK_E10value_typeEPSL_NS1_7vsmem_tEENKUlT_SJ_SK_SL_E_clIPfSE_SF_SF_EESI_SY_SJ_SK_SL_EUlSY_E0_NS1_11comp_targetILNS1_3genE2ELNS1_11target_archE906ELNS1_3gpuE6ELNS1_3repE0EEENS1_38merge_mergepath_config_static_selectorELNS0_4arch9wavefront6targetE1EEEvSK_
	.globl	_ZN7rocprim17ROCPRIM_400000_NS6detail17trampoline_kernelINS0_14default_configENS1_38merge_sort_block_merge_config_selectorIfNS0_10empty_typeEEEZZNS1_27merge_sort_block_merge_implIS3_N6thrust23THRUST_200600_302600_NS6detail15normal_iteratorINS9_10device_ptrIfEEEEPS5_m14custom_greaterIfEEE10hipError_tT0_T1_T2_jT3_P12ihipStream_tbPNSt15iterator_traitsISJ_E10value_typeEPNSP_ISK_E10value_typeEPSL_NS1_7vsmem_tEENKUlT_SJ_SK_SL_E_clIPfSE_SF_SF_EESI_SY_SJ_SK_SL_EUlSY_E0_NS1_11comp_targetILNS1_3genE2ELNS1_11target_archE906ELNS1_3gpuE6ELNS1_3repE0EEENS1_38merge_mergepath_config_static_selectorELNS0_4arch9wavefront6targetE1EEEvSK_
	.p2align	8
	.type	_ZN7rocprim17ROCPRIM_400000_NS6detail17trampoline_kernelINS0_14default_configENS1_38merge_sort_block_merge_config_selectorIfNS0_10empty_typeEEEZZNS1_27merge_sort_block_merge_implIS3_N6thrust23THRUST_200600_302600_NS6detail15normal_iteratorINS9_10device_ptrIfEEEEPS5_m14custom_greaterIfEEE10hipError_tT0_T1_T2_jT3_P12ihipStream_tbPNSt15iterator_traitsISJ_E10value_typeEPNSP_ISK_E10value_typeEPSL_NS1_7vsmem_tEENKUlT_SJ_SK_SL_E_clIPfSE_SF_SF_EESI_SY_SJ_SK_SL_EUlSY_E0_NS1_11comp_targetILNS1_3genE2ELNS1_11target_archE906ELNS1_3gpuE6ELNS1_3repE0EEENS1_38merge_mergepath_config_static_selectorELNS0_4arch9wavefront6targetE1EEEvSK_,@function
_ZN7rocprim17ROCPRIM_400000_NS6detail17trampoline_kernelINS0_14default_configENS1_38merge_sort_block_merge_config_selectorIfNS0_10empty_typeEEEZZNS1_27merge_sort_block_merge_implIS3_N6thrust23THRUST_200600_302600_NS6detail15normal_iteratorINS9_10device_ptrIfEEEEPS5_m14custom_greaterIfEEE10hipError_tT0_T1_T2_jT3_P12ihipStream_tbPNSt15iterator_traitsISJ_E10value_typeEPNSP_ISK_E10value_typeEPSL_NS1_7vsmem_tEENKUlT_SJ_SK_SL_E_clIPfSE_SF_SF_EESI_SY_SJ_SK_SL_EUlSY_E0_NS1_11comp_targetILNS1_3genE2ELNS1_11target_archE906ELNS1_3gpuE6ELNS1_3repE0EEENS1_38merge_mergepath_config_static_selectorELNS0_4arch9wavefront6targetE1EEEvSK_: ; @_ZN7rocprim17ROCPRIM_400000_NS6detail17trampoline_kernelINS0_14default_configENS1_38merge_sort_block_merge_config_selectorIfNS0_10empty_typeEEEZZNS1_27merge_sort_block_merge_implIS3_N6thrust23THRUST_200600_302600_NS6detail15normal_iteratorINS9_10device_ptrIfEEEEPS5_m14custom_greaterIfEEE10hipError_tT0_T1_T2_jT3_P12ihipStream_tbPNSt15iterator_traitsISJ_E10value_typeEPNSP_ISK_E10value_typeEPSL_NS1_7vsmem_tEENKUlT_SJ_SK_SL_E_clIPfSE_SF_SF_EESI_SY_SJ_SK_SL_EUlSY_E0_NS1_11comp_targetILNS1_3genE2ELNS1_11target_archE906ELNS1_3gpuE6ELNS1_3repE0EEENS1_38merge_mergepath_config_static_selectorELNS0_4arch9wavefront6targetE1EEEvSK_
; %bb.0:
	.section	.rodata,"a",@progbits
	.p2align	6, 0x0
	.amdhsa_kernel _ZN7rocprim17ROCPRIM_400000_NS6detail17trampoline_kernelINS0_14default_configENS1_38merge_sort_block_merge_config_selectorIfNS0_10empty_typeEEEZZNS1_27merge_sort_block_merge_implIS3_N6thrust23THRUST_200600_302600_NS6detail15normal_iteratorINS9_10device_ptrIfEEEEPS5_m14custom_greaterIfEEE10hipError_tT0_T1_T2_jT3_P12ihipStream_tbPNSt15iterator_traitsISJ_E10value_typeEPNSP_ISK_E10value_typeEPSL_NS1_7vsmem_tEENKUlT_SJ_SK_SL_E_clIPfSE_SF_SF_EESI_SY_SJ_SK_SL_EUlSY_E0_NS1_11comp_targetILNS1_3genE2ELNS1_11target_archE906ELNS1_3gpuE6ELNS1_3repE0EEENS1_38merge_mergepath_config_static_selectorELNS0_4arch9wavefront6targetE1EEEvSK_
		.amdhsa_group_segment_fixed_size 0
		.amdhsa_private_segment_fixed_size 0
		.amdhsa_kernarg_size 72
		.amdhsa_user_sgpr_count 6
		.amdhsa_user_sgpr_private_segment_buffer 1
		.amdhsa_user_sgpr_dispatch_ptr 0
		.amdhsa_user_sgpr_queue_ptr 0
		.amdhsa_user_sgpr_kernarg_segment_ptr 1
		.amdhsa_user_sgpr_dispatch_id 0
		.amdhsa_user_sgpr_flat_scratch_init 0
		.amdhsa_user_sgpr_kernarg_preload_length 0
		.amdhsa_user_sgpr_kernarg_preload_offset 0
		.amdhsa_user_sgpr_private_segment_size 0
		.amdhsa_uses_dynamic_stack 0
		.amdhsa_system_sgpr_private_segment_wavefront_offset 0
		.amdhsa_system_sgpr_workgroup_id_x 1
		.amdhsa_system_sgpr_workgroup_id_y 0
		.amdhsa_system_sgpr_workgroup_id_z 0
		.amdhsa_system_sgpr_workgroup_info 0
		.amdhsa_system_vgpr_workitem_id 0
		.amdhsa_next_free_vgpr 1
		.amdhsa_next_free_sgpr 0
		.amdhsa_accum_offset 4
		.amdhsa_reserve_vcc 0
		.amdhsa_reserve_flat_scratch 0
		.amdhsa_float_round_mode_32 0
		.amdhsa_float_round_mode_16_64 0
		.amdhsa_float_denorm_mode_32 3
		.amdhsa_float_denorm_mode_16_64 3
		.amdhsa_dx10_clamp 1
		.amdhsa_ieee_mode 1
		.amdhsa_fp16_overflow 0
		.amdhsa_tg_split 0
		.amdhsa_exception_fp_ieee_invalid_op 0
		.amdhsa_exception_fp_denorm_src 0
		.amdhsa_exception_fp_ieee_div_zero 0
		.amdhsa_exception_fp_ieee_overflow 0
		.amdhsa_exception_fp_ieee_underflow 0
		.amdhsa_exception_fp_ieee_inexact 0
		.amdhsa_exception_int_div_zero 0
	.end_amdhsa_kernel
	.section	.text._ZN7rocprim17ROCPRIM_400000_NS6detail17trampoline_kernelINS0_14default_configENS1_38merge_sort_block_merge_config_selectorIfNS0_10empty_typeEEEZZNS1_27merge_sort_block_merge_implIS3_N6thrust23THRUST_200600_302600_NS6detail15normal_iteratorINS9_10device_ptrIfEEEEPS5_m14custom_greaterIfEEE10hipError_tT0_T1_T2_jT3_P12ihipStream_tbPNSt15iterator_traitsISJ_E10value_typeEPNSP_ISK_E10value_typeEPSL_NS1_7vsmem_tEENKUlT_SJ_SK_SL_E_clIPfSE_SF_SF_EESI_SY_SJ_SK_SL_EUlSY_E0_NS1_11comp_targetILNS1_3genE2ELNS1_11target_archE906ELNS1_3gpuE6ELNS1_3repE0EEENS1_38merge_mergepath_config_static_selectorELNS0_4arch9wavefront6targetE1EEEvSK_,"axG",@progbits,_ZN7rocprim17ROCPRIM_400000_NS6detail17trampoline_kernelINS0_14default_configENS1_38merge_sort_block_merge_config_selectorIfNS0_10empty_typeEEEZZNS1_27merge_sort_block_merge_implIS3_N6thrust23THRUST_200600_302600_NS6detail15normal_iteratorINS9_10device_ptrIfEEEEPS5_m14custom_greaterIfEEE10hipError_tT0_T1_T2_jT3_P12ihipStream_tbPNSt15iterator_traitsISJ_E10value_typeEPNSP_ISK_E10value_typeEPSL_NS1_7vsmem_tEENKUlT_SJ_SK_SL_E_clIPfSE_SF_SF_EESI_SY_SJ_SK_SL_EUlSY_E0_NS1_11comp_targetILNS1_3genE2ELNS1_11target_archE906ELNS1_3gpuE6ELNS1_3repE0EEENS1_38merge_mergepath_config_static_selectorELNS0_4arch9wavefront6targetE1EEEvSK_,comdat
.Lfunc_end3551:
	.size	_ZN7rocprim17ROCPRIM_400000_NS6detail17trampoline_kernelINS0_14default_configENS1_38merge_sort_block_merge_config_selectorIfNS0_10empty_typeEEEZZNS1_27merge_sort_block_merge_implIS3_N6thrust23THRUST_200600_302600_NS6detail15normal_iteratorINS9_10device_ptrIfEEEEPS5_m14custom_greaterIfEEE10hipError_tT0_T1_T2_jT3_P12ihipStream_tbPNSt15iterator_traitsISJ_E10value_typeEPNSP_ISK_E10value_typeEPSL_NS1_7vsmem_tEENKUlT_SJ_SK_SL_E_clIPfSE_SF_SF_EESI_SY_SJ_SK_SL_EUlSY_E0_NS1_11comp_targetILNS1_3genE2ELNS1_11target_archE906ELNS1_3gpuE6ELNS1_3repE0EEENS1_38merge_mergepath_config_static_selectorELNS0_4arch9wavefront6targetE1EEEvSK_, .Lfunc_end3551-_ZN7rocprim17ROCPRIM_400000_NS6detail17trampoline_kernelINS0_14default_configENS1_38merge_sort_block_merge_config_selectorIfNS0_10empty_typeEEEZZNS1_27merge_sort_block_merge_implIS3_N6thrust23THRUST_200600_302600_NS6detail15normal_iteratorINS9_10device_ptrIfEEEEPS5_m14custom_greaterIfEEE10hipError_tT0_T1_T2_jT3_P12ihipStream_tbPNSt15iterator_traitsISJ_E10value_typeEPNSP_ISK_E10value_typeEPSL_NS1_7vsmem_tEENKUlT_SJ_SK_SL_E_clIPfSE_SF_SF_EESI_SY_SJ_SK_SL_EUlSY_E0_NS1_11comp_targetILNS1_3genE2ELNS1_11target_archE906ELNS1_3gpuE6ELNS1_3repE0EEENS1_38merge_mergepath_config_static_selectorELNS0_4arch9wavefront6targetE1EEEvSK_
                                        ; -- End function
	.section	.AMDGPU.csdata,"",@progbits
; Kernel info:
; codeLenInByte = 0
; NumSgprs: 4
; NumVgprs: 0
; NumAgprs: 0
; TotalNumVgprs: 0
; ScratchSize: 0
; MemoryBound: 0
; FloatMode: 240
; IeeeMode: 1
; LDSByteSize: 0 bytes/workgroup (compile time only)
; SGPRBlocks: 0
; VGPRBlocks: 0
; NumSGPRsForWavesPerEU: 4
; NumVGPRsForWavesPerEU: 1
; AccumOffset: 4
; Occupancy: 8
; WaveLimiterHint : 0
; COMPUTE_PGM_RSRC2:SCRATCH_EN: 0
; COMPUTE_PGM_RSRC2:USER_SGPR: 6
; COMPUTE_PGM_RSRC2:TRAP_HANDLER: 0
; COMPUTE_PGM_RSRC2:TGID_X_EN: 1
; COMPUTE_PGM_RSRC2:TGID_Y_EN: 0
; COMPUTE_PGM_RSRC2:TGID_Z_EN: 0
; COMPUTE_PGM_RSRC2:TIDIG_COMP_CNT: 0
; COMPUTE_PGM_RSRC3_GFX90A:ACCUM_OFFSET: 0
; COMPUTE_PGM_RSRC3_GFX90A:TG_SPLIT: 0
	.section	.text._ZN7rocprim17ROCPRIM_400000_NS6detail17trampoline_kernelINS0_14default_configENS1_38merge_sort_block_merge_config_selectorIfNS0_10empty_typeEEEZZNS1_27merge_sort_block_merge_implIS3_N6thrust23THRUST_200600_302600_NS6detail15normal_iteratorINS9_10device_ptrIfEEEEPS5_m14custom_greaterIfEEE10hipError_tT0_T1_T2_jT3_P12ihipStream_tbPNSt15iterator_traitsISJ_E10value_typeEPNSP_ISK_E10value_typeEPSL_NS1_7vsmem_tEENKUlT_SJ_SK_SL_E_clIPfSE_SF_SF_EESI_SY_SJ_SK_SL_EUlSY_E0_NS1_11comp_targetILNS1_3genE9ELNS1_11target_archE1100ELNS1_3gpuE3ELNS1_3repE0EEENS1_38merge_mergepath_config_static_selectorELNS0_4arch9wavefront6targetE1EEEvSK_,"axG",@progbits,_ZN7rocprim17ROCPRIM_400000_NS6detail17trampoline_kernelINS0_14default_configENS1_38merge_sort_block_merge_config_selectorIfNS0_10empty_typeEEEZZNS1_27merge_sort_block_merge_implIS3_N6thrust23THRUST_200600_302600_NS6detail15normal_iteratorINS9_10device_ptrIfEEEEPS5_m14custom_greaterIfEEE10hipError_tT0_T1_T2_jT3_P12ihipStream_tbPNSt15iterator_traitsISJ_E10value_typeEPNSP_ISK_E10value_typeEPSL_NS1_7vsmem_tEENKUlT_SJ_SK_SL_E_clIPfSE_SF_SF_EESI_SY_SJ_SK_SL_EUlSY_E0_NS1_11comp_targetILNS1_3genE9ELNS1_11target_archE1100ELNS1_3gpuE3ELNS1_3repE0EEENS1_38merge_mergepath_config_static_selectorELNS0_4arch9wavefront6targetE1EEEvSK_,comdat
	.protected	_ZN7rocprim17ROCPRIM_400000_NS6detail17trampoline_kernelINS0_14default_configENS1_38merge_sort_block_merge_config_selectorIfNS0_10empty_typeEEEZZNS1_27merge_sort_block_merge_implIS3_N6thrust23THRUST_200600_302600_NS6detail15normal_iteratorINS9_10device_ptrIfEEEEPS5_m14custom_greaterIfEEE10hipError_tT0_T1_T2_jT3_P12ihipStream_tbPNSt15iterator_traitsISJ_E10value_typeEPNSP_ISK_E10value_typeEPSL_NS1_7vsmem_tEENKUlT_SJ_SK_SL_E_clIPfSE_SF_SF_EESI_SY_SJ_SK_SL_EUlSY_E0_NS1_11comp_targetILNS1_3genE9ELNS1_11target_archE1100ELNS1_3gpuE3ELNS1_3repE0EEENS1_38merge_mergepath_config_static_selectorELNS0_4arch9wavefront6targetE1EEEvSK_ ; -- Begin function _ZN7rocprim17ROCPRIM_400000_NS6detail17trampoline_kernelINS0_14default_configENS1_38merge_sort_block_merge_config_selectorIfNS0_10empty_typeEEEZZNS1_27merge_sort_block_merge_implIS3_N6thrust23THRUST_200600_302600_NS6detail15normal_iteratorINS9_10device_ptrIfEEEEPS5_m14custom_greaterIfEEE10hipError_tT0_T1_T2_jT3_P12ihipStream_tbPNSt15iterator_traitsISJ_E10value_typeEPNSP_ISK_E10value_typeEPSL_NS1_7vsmem_tEENKUlT_SJ_SK_SL_E_clIPfSE_SF_SF_EESI_SY_SJ_SK_SL_EUlSY_E0_NS1_11comp_targetILNS1_3genE9ELNS1_11target_archE1100ELNS1_3gpuE3ELNS1_3repE0EEENS1_38merge_mergepath_config_static_selectorELNS0_4arch9wavefront6targetE1EEEvSK_
	.globl	_ZN7rocprim17ROCPRIM_400000_NS6detail17trampoline_kernelINS0_14default_configENS1_38merge_sort_block_merge_config_selectorIfNS0_10empty_typeEEEZZNS1_27merge_sort_block_merge_implIS3_N6thrust23THRUST_200600_302600_NS6detail15normal_iteratorINS9_10device_ptrIfEEEEPS5_m14custom_greaterIfEEE10hipError_tT0_T1_T2_jT3_P12ihipStream_tbPNSt15iterator_traitsISJ_E10value_typeEPNSP_ISK_E10value_typeEPSL_NS1_7vsmem_tEENKUlT_SJ_SK_SL_E_clIPfSE_SF_SF_EESI_SY_SJ_SK_SL_EUlSY_E0_NS1_11comp_targetILNS1_3genE9ELNS1_11target_archE1100ELNS1_3gpuE3ELNS1_3repE0EEENS1_38merge_mergepath_config_static_selectorELNS0_4arch9wavefront6targetE1EEEvSK_
	.p2align	8
	.type	_ZN7rocprim17ROCPRIM_400000_NS6detail17trampoline_kernelINS0_14default_configENS1_38merge_sort_block_merge_config_selectorIfNS0_10empty_typeEEEZZNS1_27merge_sort_block_merge_implIS3_N6thrust23THRUST_200600_302600_NS6detail15normal_iteratorINS9_10device_ptrIfEEEEPS5_m14custom_greaterIfEEE10hipError_tT0_T1_T2_jT3_P12ihipStream_tbPNSt15iterator_traitsISJ_E10value_typeEPNSP_ISK_E10value_typeEPSL_NS1_7vsmem_tEENKUlT_SJ_SK_SL_E_clIPfSE_SF_SF_EESI_SY_SJ_SK_SL_EUlSY_E0_NS1_11comp_targetILNS1_3genE9ELNS1_11target_archE1100ELNS1_3gpuE3ELNS1_3repE0EEENS1_38merge_mergepath_config_static_selectorELNS0_4arch9wavefront6targetE1EEEvSK_,@function
_ZN7rocprim17ROCPRIM_400000_NS6detail17trampoline_kernelINS0_14default_configENS1_38merge_sort_block_merge_config_selectorIfNS0_10empty_typeEEEZZNS1_27merge_sort_block_merge_implIS3_N6thrust23THRUST_200600_302600_NS6detail15normal_iteratorINS9_10device_ptrIfEEEEPS5_m14custom_greaterIfEEE10hipError_tT0_T1_T2_jT3_P12ihipStream_tbPNSt15iterator_traitsISJ_E10value_typeEPNSP_ISK_E10value_typeEPSL_NS1_7vsmem_tEENKUlT_SJ_SK_SL_E_clIPfSE_SF_SF_EESI_SY_SJ_SK_SL_EUlSY_E0_NS1_11comp_targetILNS1_3genE9ELNS1_11target_archE1100ELNS1_3gpuE3ELNS1_3repE0EEENS1_38merge_mergepath_config_static_selectorELNS0_4arch9wavefront6targetE1EEEvSK_: ; @_ZN7rocprim17ROCPRIM_400000_NS6detail17trampoline_kernelINS0_14default_configENS1_38merge_sort_block_merge_config_selectorIfNS0_10empty_typeEEEZZNS1_27merge_sort_block_merge_implIS3_N6thrust23THRUST_200600_302600_NS6detail15normal_iteratorINS9_10device_ptrIfEEEEPS5_m14custom_greaterIfEEE10hipError_tT0_T1_T2_jT3_P12ihipStream_tbPNSt15iterator_traitsISJ_E10value_typeEPNSP_ISK_E10value_typeEPSL_NS1_7vsmem_tEENKUlT_SJ_SK_SL_E_clIPfSE_SF_SF_EESI_SY_SJ_SK_SL_EUlSY_E0_NS1_11comp_targetILNS1_3genE9ELNS1_11target_archE1100ELNS1_3gpuE3ELNS1_3repE0EEENS1_38merge_mergepath_config_static_selectorELNS0_4arch9wavefront6targetE1EEEvSK_
; %bb.0:
	.section	.rodata,"a",@progbits
	.p2align	6, 0x0
	.amdhsa_kernel _ZN7rocprim17ROCPRIM_400000_NS6detail17trampoline_kernelINS0_14default_configENS1_38merge_sort_block_merge_config_selectorIfNS0_10empty_typeEEEZZNS1_27merge_sort_block_merge_implIS3_N6thrust23THRUST_200600_302600_NS6detail15normal_iteratorINS9_10device_ptrIfEEEEPS5_m14custom_greaterIfEEE10hipError_tT0_T1_T2_jT3_P12ihipStream_tbPNSt15iterator_traitsISJ_E10value_typeEPNSP_ISK_E10value_typeEPSL_NS1_7vsmem_tEENKUlT_SJ_SK_SL_E_clIPfSE_SF_SF_EESI_SY_SJ_SK_SL_EUlSY_E0_NS1_11comp_targetILNS1_3genE9ELNS1_11target_archE1100ELNS1_3gpuE3ELNS1_3repE0EEENS1_38merge_mergepath_config_static_selectorELNS0_4arch9wavefront6targetE1EEEvSK_
		.amdhsa_group_segment_fixed_size 0
		.amdhsa_private_segment_fixed_size 0
		.amdhsa_kernarg_size 72
		.amdhsa_user_sgpr_count 6
		.amdhsa_user_sgpr_private_segment_buffer 1
		.amdhsa_user_sgpr_dispatch_ptr 0
		.amdhsa_user_sgpr_queue_ptr 0
		.amdhsa_user_sgpr_kernarg_segment_ptr 1
		.amdhsa_user_sgpr_dispatch_id 0
		.amdhsa_user_sgpr_flat_scratch_init 0
		.amdhsa_user_sgpr_kernarg_preload_length 0
		.amdhsa_user_sgpr_kernarg_preload_offset 0
		.amdhsa_user_sgpr_private_segment_size 0
		.amdhsa_uses_dynamic_stack 0
		.amdhsa_system_sgpr_private_segment_wavefront_offset 0
		.amdhsa_system_sgpr_workgroup_id_x 1
		.amdhsa_system_sgpr_workgroup_id_y 0
		.amdhsa_system_sgpr_workgroup_id_z 0
		.amdhsa_system_sgpr_workgroup_info 0
		.amdhsa_system_vgpr_workitem_id 0
		.amdhsa_next_free_vgpr 1
		.amdhsa_next_free_sgpr 0
		.amdhsa_accum_offset 4
		.amdhsa_reserve_vcc 0
		.amdhsa_reserve_flat_scratch 0
		.amdhsa_float_round_mode_32 0
		.amdhsa_float_round_mode_16_64 0
		.amdhsa_float_denorm_mode_32 3
		.amdhsa_float_denorm_mode_16_64 3
		.amdhsa_dx10_clamp 1
		.amdhsa_ieee_mode 1
		.amdhsa_fp16_overflow 0
		.amdhsa_tg_split 0
		.amdhsa_exception_fp_ieee_invalid_op 0
		.amdhsa_exception_fp_denorm_src 0
		.amdhsa_exception_fp_ieee_div_zero 0
		.amdhsa_exception_fp_ieee_overflow 0
		.amdhsa_exception_fp_ieee_underflow 0
		.amdhsa_exception_fp_ieee_inexact 0
		.amdhsa_exception_int_div_zero 0
	.end_amdhsa_kernel
	.section	.text._ZN7rocprim17ROCPRIM_400000_NS6detail17trampoline_kernelINS0_14default_configENS1_38merge_sort_block_merge_config_selectorIfNS0_10empty_typeEEEZZNS1_27merge_sort_block_merge_implIS3_N6thrust23THRUST_200600_302600_NS6detail15normal_iteratorINS9_10device_ptrIfEEEEPS5_m14custom_greaterIfEEE10hipError_tT0_T1_T2_jT3_P12ihipStream_tbPNSt15iterator_traitsISJ_E10value_typeEPNSP_ISK_E10value_typeEPSL_NS1_7vsmem_tEENKUlT_SJ_SK_SL_E_clIPfSE_SF_SF_EESI_SY_SJ_SK_SL_EUlSY_E0_NS1_11comp_targetILNS1_3genE9ELNS1_11target_archE1100ELNS1_3gpuE3ELNS1_3repE0EEENS1_38merge_mergepath_config_static_selectorELNS0_4arch9wavefront6targetE1EEEvSK_,"axG",@progbits,_ZN7rocprim17ROCPRIM_400000_NS6detail17trampoline_kernelINS0_14default_configENS1_38merge_sort_block_merge_config_selectorIfNS0_10empty_typeEEEZZNS1_27merge_sort_block_merge_implIS3_N6thrust23THRUST_200600_302600_NS6detail15normal_iteratorINS9_10device_ptrIfEEEEPS5_m14custom_greaterIfEEE10hipError_tT0_T1_T2_jT3_P12ihipStream_tbPNSt15iterator_traitsISJ_E10value_typeEPNSP_ISK_E10value_typeEPSL_NS1_7vsmem_tEENKUlT_SJ_SK_SL_E_clIPfSE_SF_SF_EESI_SY_SJ_SK_SL_EUlSY_E0_NS1_11comp_targetILNS1_3genE9ELNS1_11target_archE1100ELNS1_3gpuE3ELNS1_3repE0EEENS1_38merge_mergepath_config_static_selectorELNS0_4arch9wavefront6targetE1EEEvSK_,comdat
.Lfunc_end3552:
	.size	_ZN7rocprim17ROCPRIM_400000_NS6detail17trampoline_kernelINS0_14default_configENS1_38merge_sort_block_merge_config_selectorIfNS0_10empty_typeEEEZZNS1_27merge_sort_block_merge_implIS3_N6thrust23THRUST_200600_302600_NS6detail15normal_iteratorINS9_10device_ptrIfEEEEPS5_m14custom_greaterIfEEE10hipError_tT0_T1_T2_jT3_P12ihipStream_tbPNSt15iterator_traitsISJ_E10value_typeEPNSP_ISK_E10value_typeEPSL_NS1_7vsmem_tEENKUlT_SJ_SK_SL_E_clIPfSE_SF_SF_EESI_SY_SJ_SK_SL_EUlSY_E0_NS1_11comp_targetILNS1_3genE9ELNS1_11target_archE1100ELNS1_3gpuE3ELNS1_3repE0EEENS1_38merge_mergepath_config_static_selectorELNS0_4arch9wavefront6targetE1EEEvSK_, .Lfunc_end3552-_ZN7rocprim17ROCPRIM_400000_NS6detail17trampoline_kernelINS0_14default_configENS1_38merge_sort_block_merge_config_selectorIfNS0_10empty_typeEEEZZNS1_27merge_sort_block_merge_implIS3_N6thrust23THRUST_200600_302600_NS6detail15normal_iteratorINS9_10device_ptrIfEEEEPS5_m14custom_greaterIfEEE10hipError_tT0_T1_T2_jT3_P12ihipStream_tbPNSt15iterator_traitsISJ_E10value_typeEPNSP_ISK_E10value_typeEPSL_NS1_7vsmem_tEENKUlT_SJ_SK_SL_E_clIPfSE_SF_SF_EESI_SY_SJ_SK_SL_EUlSY_E0_NS1_11comp_targetILNS1_3genE9ELNS1_11target_archE1100ELNS1_3gpuE3ELNS1_3repE0EEENS1_38merge_mergepath_config_static_selectorELNS0_4arch9wavefront6targetE1EEEvSK_
                                        ; -- End function
	.section	.AMDGPU.csdata,"",@progbits
; Kernel info:
; codeLenInByte = 0
; NumSgprs: 4
; NumVgprs: 0
; NumAgprs: 0
; TotalNumVgprs: 0
; ScratchSize: 0
; MemoryBound: 0
; FloatMode: 240
; IeeeMode: 1
; LDSByteSize: 0 bytes/workgroup (compile time only)
; SGPRBlocks: 0
; VGPRBlocks: 0
; NumSGPRsForWavesPerEU: 4
; NumVGPRsForWavesPerEU: 1
; AccumOffset: 4
; Occupancy: 8
; WaveLimiterHint : 0
; COMPUTE_PGM_RSRC2:SCRATCH_EN: 0
; COMPUTE_PGM_RSRC2:USER_SGPR: 6
; COMPUTE_PGM_RSRC2:TRAP_HANDLER: 0
; COMPUTE_PGM_RSRC2:TGID_X_EN: 1
; COMPUTE_PGM_RSRC2:TGID_Y_EN: 0
; COMPUTE_PGM_RSRC2:TGID_Z_EN: 0
; COMPUTE_PGM_RSRC2:TIDIG_COMP_CNT: 0
; COMPUTE_PGM_RSRC3_GFX90A:ACCUM_OFFSET: 0
; COMPUTE_PGM_RSRC3_GFX90A:TG_SPLIT: 0
	.section	.text._ZN7rocprim17ROCPRIM_400000_NS6detail17trampoline_kernelINS0_14default_configENS1_38merge_sort_block_merge_config_selectorIfNS0_10empty_typeEEEZZNS1_27merge_sort_block_merge_implIS3_N6thrust23THRUST_200600_302600_NS6detail15normal_iteratorINS9_10device_ptrIfEEEEPS5_m14custom_greaterIfEEE10hipError_tT0_T1_T2_jT3_P12ihipStream_tbPNSt15iterator_traitsISJ_E10value_typeEPNSP_ISK_E10value_typeEPSL_NS1_7vsmem_tEENKUlT_SJ_SK_SL_E_clIPfSE_SF_SF_EESI_SY_SJ_SK_SL_EUlSY_E0_NS1_11comp_targetILNS1_3genE8ELNS1_11target_archE1030ELNS1_3gpuE2ELNS1_3repE0EEENS1_38merge_mergepath_config_static_selectorELNS0_4arch9wavefront6targetE1EEEvSK_,"axG",@progbits,_ZN7rocprim17ROCPRIM_400000_NS6detail17trampoline_kernelINS0_14default_configENS1_38merge_sort_block_merge_config_selectorIfNS0_10empty_typeEEEZZNS1_27merge_sort_block_merge_implIS3_N6thrust23THRUST_200600_302600_NS6detail15normal_iteratorINS9_10device_ptrIfEEEEPS5_m14custom_greaterIfEEE10hipError_tT0_T1_T2_jT3_P12ihipStream_tbPNSt15iterator_traitsISJ_E10value_typeEPNSP_ISK_E10value_typeEPSL_NS1_7vsmem_tEENKUlT_SJ_SK_SL_E_clIPfSE_SF_SF_EESI_SY_SJ_SK_SL_EUlSY_E0_NS1_11comp_targetILNS1_3genE8ELNS1_11target_archE1030ELNS1_3gpuE2ELNS1_3repE0EEENS1_38merge_mergepath_config_static_selectorELNS0_4arch9wavefront6targetE1EEEvSK_,comdat
	.protected	_ZN7rocprim17ROCPRIM_400000_NS6detail17trampoline_kernelINS0_14default_configENS1_38merge_sort_block_merge_config_selectorIfNS0_10empty_typeEEEZZNS1_27merge_sort_block_merge_implIS3_N6thrust23THRUST_200600_302600_NS6detail15normal_iteratorINS9_10device_ptrIfEEEEPS5_m14custom_greaterIfEEE10hipError_tT0_T1_T2_jT3_P12ihipStream_tbPNSt15iterator_traitsISJ_E10value_typeEPNSP_ISK_E10value_typeEPSL_NS1_7vsmem_tEENKUlT_SJ_SK_SL_E_clIPfSE_SF_SF_EESI_SY_SJ_SK_SL_EUlSY_E0_NS1_11comp_targetILNS1_3genE8ELNS1_11target_archE1030ELNS1_3gpuE2ELNS1_3repE0EEENS1_38merge_mergepath_config_static_selectorELNS0_4arch9wavefront6targetE1EEEvSK_ ; -- Begin function _ZN7rocprim17ROCPRIM_400000_NS6detail17trampoline_kernelINS0_14default_configENS1_38merge_sort_block_merge_config_selectorIfNS0_10empty_typeEEEZZNS1_27merge_sort_block_merge_implIS3_N6thrust23THRUST_200600_302600_NS6detail15normal_iteratorINS9_10device_ptrIfEEEEPS5_m14custom_greaterIfEEE10hipError_tT0_T1_T2_jT3_P12ihipStream_tbPNSt15iterator_traitsISJ_E10value_typeEPNSP_ISK_E10value_typeEPSL_NS1_7vsmem_tEENKUlT_SJ_SK_SL_E_clIPfSE_SF_SF_EESI_SY_SJ_SK_SL_EUlSY_E0_NS1_11comp_targetILNS1_3genE8ELNS1_11target_archE1030ELNS1_3gpuE2ELNS1_3repE0EEENS1_38merge_mergepath_config_static_selectorELNS0_4arch9wavefront6targetE1EEEvSK_
	.globl	_ZN7rocprim17ROCPRIM_400000_NS6detail17trampoline_kernelINS0_14default_configENS1_38merge_sort_block_merge_config_selectorIfNS0_10empty_typeEEEZZNS1_27merge_sort_block_merge_implIS3_N6thrust23THRUST_200600_302600_NS6detail15normal_iteratorINS9_10device_ptrIfEEEEPS5_m14custom_greaterIfEEE10hipError_tT0_T1_T2_jT3_P12ihipStream_tbPNSt15iterator_traitsISJ_E10value_typeEPNSP_ISK_E10value_typeEPSL_NS1_7vsmem_tEENKUlT_SJ_SK_SL_E_clIPfSE_SF_SF_EESI_SY_SJ_SK_SL_EUlSY_E0_NS1_11comp_targetILNS1_3genE8ELNS1_11target_archE1030ELNS1_3gpuE2ELNS1_3repE0EEENS1_38merge_mergepath_config_static_selectorELNS0_4arch9wavefront6targetE1EEEvSK_
	.p2align	8
	.type	_ZN7rocprim17ROCPRIM_400000_NS6detail17trampoline_kernelINS0_14default_configENS1_38merge_sort_block_merge_config_selectorIfNS0_10empty_typeEEEZZNS1_27merge_sort_block_merge_implIS3_N6thrust23THRUST_200600_302600_NS6detail15normal_iteratorINS9_10device_ptrIfEEEEPS5_m14custom_greaterIfEEE10hipError_tT0_T1_T2_jT3_P12ihipStream_tbPNSt15iterator_traitsISJ_E10value_typeEPNSP_ISK_E10value_typeEPSL_NS1_7vsmem_tEENKUlT_SJ_SK_SL_E_clIPfSE_SF_SF_EESI_SY_SJ_SK_SL_EUlSY_E0_NS1_11comp_targetILNS1_3genE8ELNS1_11target_archE1030ELNS1_3gpuE2ELNS1_3repE0EEENS1_38merge_mergepath_config_static_selectorELNS0_4arch9wavefront6targetE1EEEvSK_,@function
_ZN7rocprim17ROCPRIM_400000_NS6detail17trampoline_kernelINS0_14default_configENS1_38merge_sort_block_merge_config_selectorIfNS0_10empty_typeEEEZZNS1_27merge_sort_block_merge_implIS3_N6thrust23THRUST_200600_302600_NS6detail15normal_iteratorINS9_10device_ptrIfEEEEPS5_m14custom_greaterIfEEE10hipError_tT0_T1_T2_jT3_P12ihipStream_tbPNSt15iterator_traitsISJ_E10value_typeEPNSP_ISK_E10value_typeEPSL_NS1_7vsmem_tEENKUlT_SJ_SK_SL_E_clIPfSE_SF_SF_EESI_SY_SJ_SK_SL_EUlSY_E0_NS1_11comp_targetILNS1_3genE8ELNS1_11target_archE1030ELNS1_3gpuE2ELNS1_3repE0EEENS1_38merge_mergepath_config_static_selectorELNS0_4arch9wavefront6targetE1EEEvSK_: ; @_ZN7rocprim17ROCPRIM_400000_NS6detail17trampoline_kernelINS0_14default_configENS1_38merge_sort_block_merge_config_selectorIfNS0_10empty_typeEEEZZNS1_27merge_sort_block_merge_implIS3_N6thrust23THRUST_200600_302600_NS6detail15normal_iteratorINS9_10device_ptrIfEEEEPS5_m14custom_greaterIfEEE10hipError_tT0_T1_T2_jT3_P12ihipStream_tbPNSt15iterator_traitsISJ_E10value_typeEPNSP_ISK_E10value_typeEPSL_NS1_7vsmem_tEENKUlT_SJ_SK_SL_E_clIPfSE_SF_SF_EESI_SY_SJ_SK_SL_EUlSY_E0_NS1_11comp_targetILNS1_3genE8ELNS1_11target_archE1030ELNS1_3gpuE2ELNS1_3repE0EEENS1_38merge_mergepath_config_static_selectorELNS0_4arch9wavefront6targetE1EEEvSK_
; %bb.0:
	.section	.rodata,"a",@progbits
	.p2align	6, 0x0
	.amdhsa_kernel _ZN7rocprim17ROCPRIM_400000_NS6detail17trampoline_kernelINS0_14default_configENS1_38merge_sort_block_merge_config_selectorIfNS0_10empty_typeEEEZZNS1_27merge_sort_block_merge_implIS3_N6thrust23THRUST_200600_302600_NS6detail15normal_iteratorINS9_10device_ptrIfEEEEPS5_m14custom_greaterIfEEE10hipError_tT0_T1_T2_jT3_P12ihipStream_tbPNSt15iterator_traitsISJ_E10value_typeEPNSP_ISK_E10value_typeEPSL_NS1_7vsmem_tEENKUlT_SJ_SK_SL_E_clIPfSE_SF_SF_EESI_SY_SJ_SK_SL_EUlSY_E0_NS1_11comp_targetILNS1_3genE8ELNS1_11target_archE1030ELNS1_3gpuE2ELNS1_3repE0EEENS1_38merge_mergepath_config_static_selectorELNS0_4arch9wavefront6targetE1EEEvSK_
		.amdhsa_group_segment_fixed_size 0
		.amdhsa_private_segment_fixed_size 0
		.amdhsa_kernarg_size 72
		.amdhsa_user_sgpr_count 6
		.amdhsa_user_sgpr_private_segment_buffer 1
		.amdhsa_user_sgpr_dispatch_ptr 0
		.amdhsa_user_sgpr_queue_ptr 0
		.amdhsa_user_sgpr_kernarg_segment_ptr 1
		.amdhsa_user_sgpr_dispatch_id 0
		.amdhsa_user_sgpr_flat_scratch_init 0
		.amdhsa_user_sgpr_kernarg_preload_length 0
		.amdhsa_user_sgpr_kernarg_preload_offset 0
		.amdhsa_user_sgpr_private_segment_size 0
		.amdhsa_uses_dynamic_stack 0
		.amdhsa_system_sgpr_private_segment_wavefront_offset 0
		.amdhsa_system_sgpr_workgroup_id_x 1
		.amdhsa_system_sgpr_workgroup_id_y 0
		.amdhsa_system_sgpr_workgroup_id_z 0
		.amdhsa_system_sgpr_workgroup_info 0
		.amdhsa_system_vgpr_workitem_id 0
		.amdhsa_next_free_vgpr 1
		.amdhsa_next_free_sgpr 0
		.amdhsa_accum_offset 4
		.amdhsa_reserve_vcc 0
		.amdhsa_reserve_flat_scratch 0
		.amdhsa_float_round_mode_32 0
		.amdhsa_float_round_mode_16_64 0
		.amdhsa_float_denorm_mode_32 3
		.amdhsa_float_denorm_mode_16_64 3
		.amdhsa_dx10_clamp 1
		.amdhsa_ieee_mode 1
		.amdhsa_fp16_overflow 0
		.amdhsa_tg_split 0
		.amdhsa_exception_fp_ieee_invalid_op 0
		.amdhsa_exception_fp_denorm_src 0
		.amdhsa_exception_fp_ieee_div_zero 0
		.amdhsa_exception_fp_ieee_overflow 0
		.amdhsa_exception_fp_ieee_underflow 0
		.amdhsa_exception_fp_ieee_inexact 0
		.amdhsa_exception_int_div_zero 0
	.end_amdhsa_kernel
	.section	.text._ZN7rocprim17ROCPRIM_400000_NS6detail17trampoline_kernelINS0_14default_configENS1_38merge_sort_block_merge_config_selectorIfNS0_10empty_typeEEEZZNS1_27merge_sort_block_merge_implIS3_N6thrust23THRUST_200600_302600_NS6detail15normal_iteratorINS9_10device_ptrIfEEEEPS5_m14custom_greaterIfEEE10hipError_tT0_T1_T2_jT3_P12ihipStream_tbPNSt15iterator_traitsISJ_E10value_typeEPNSP_ISK_E10value_typeEPSL_NS1_7vsmem_tEENKUlT_SJ_SK_SL_E_clIPfSE_SF_SF_EESI_SY_SJ_SK_SL_EUlSY_E0_NS1_11comp_targetILNS1_3genE8ELNS1_11target_archE1030ELNS1_3gpuE2ELNS1_3repE0EEENS1_38merge_mergepath_config_static_selectorELNS0_4arch9wavefront6targetE1EEEvSK_,"axG",@progbits,_ZN7rocprim17ROCPRIM_400000_NS6detail17trampoline_kernelINS0_14default_configENS1_38merge_sort_block_merge_config_selectorIfNS0_10empty_typeEEEZZNS1_27merge_sort_block_merge_implIS3_N6thrust23THRUST_200600_302600_NS6detail15normal_iteratorINS9_10device_ptrIfEEEEPS5_m14custom_greaterIfEEE10hipError_tT0_T1_T2_jT3_P12ihipStream_tbPNSt15iterator_traitsISJ_E10value_typeEPNSP_ISK_E10value_typeEPSL_NS1_7vsmem_tEENKUlT_SJ_SK_SL_E_clIPfSE_SF_SF_EESI_SY_SJ_SK_SL_EUlSY_E0_NS1_11comp_targetILNS1_3genE8ELNS1_11target_archE1030ELNS1_3gpuE2ELNS1_3repE0EEENS1_38merge_mergepath_config_static_selectorELNS0_4arch9wavefront6targetE1EEEvSK_,comdat
.Lfunc_end3553:
	.size	_ZN7rocprim17ROCPRIM_400000_NS6detail17trampoline_kernelINS0_14default_configENS1_38merge_sort_block_merge_config_selectorIfNS0_10empty_typeEEEZZNS1_27merge_sort_block_merge_implIS3_N6thrust23THRUST_200600_302600_NS6detail15normal_iteratorINS9_10device_ptrIfEEEEPS5_m14custom_greaterIfEEE10hipError_tT0_T1_T2_jT3_P12ihipStream_tbPNSt15iterator_traitsISJ_E10value_typeEPNSP_ISK_E10value_typeEPSL_NS1_7vsmem_tEENKUlT_SJ_SK_SL_E_clIPfSE_SF_SF_EESI_SY_SJ_SK_SL_EUlSY_E0_NS1_11comp_targetILNS1_3genE8ELNS1_11target_archE1030ELNS1_3gpuE2ELNS1_3repE0EEENS1_38merge_mergepath_config_static_selectorELNS0_4arch9wavefront6targetE1EEEvSK_, .Lfunc_end3553-_ZN7rocprim17ROCPRIM_400000_NS6detail17trampoline_kernelINS0_14default_configENS1_38merge_sort_block_merge_config_selectorIfNS0_10empty_typeEEEZZNS1_27merge_sort_block_merge_implIS3_N6thrust23THRUST_200600_302600_NS6detail15normal_iteratorINS9_10device_ptrIfEEEEPS5_m14custom_greaterIfEEE10hipError_tT0_T1_T2_jT3_P12ihipStream_tbPNSt15iterator_traitsISJ_E10value_typeEPNSP_ISK_E10value_typeEPSL_NS1_7vsmem_tEENKUlT_SJ_SK_SL_E_clIPfSE_SF_SF_EESI_SY_SJ_SK_SL_EUlSY_E0_NS1_11comp_targetILNS1_3genE8ELNS1_11target_archE1030ELNS1_3gpuE2ELNS1_3repE0EEENS1_38merge_mergepath_config_static_selectorELNS0_4arch9wavefront6targetE1EEEvSK_
                                        ; -- End function
	.section	.AMDGPU.csdata,"",@progbits
; Kernel info:
; codeLenInByte = 0
; NumSgprs: 4
; NumVgprs: 0
; NumAgprs: 0
; TotalNumVgprs: 0
; ScratchSize: 0
; MemoryBound: 0
; FloatMode: 240
; IeeeMode: 1
; LDSByteSize: 0 bytes/workgroup (compile time only)
; SGPRBlocks: 0
; VGPRBlocks: 0
; NumSGPRsForWavesPerEU: 4
; NumVGPRsForWavesPerEU: 1
; AccumOffset: 4
; Occupancy: 8
; WaveLimiterHint : 0
; COMPUTE_PGM_RSRC2:SCRATCH_EN: 0
; COMPUTE_PGM_RSRC2:USER_SGPR: 6
; COMPUTE_PGM_RSRC2:TRAP_HANDLER: 0
; COMPUTE_PGM_RSRC2:TGID_X_EN: 1
; COMPUTE_PGM_RSRC2:TGID_Y_EN: 0
; COMPUTE_PGM_RSRC2:TGID_Z_EN: 0
; COMPUTE_PGM_RSRC2:TIDIG_COMP_CNT: 0
; COMPUTE_PGM_RSRC3_GFX90A:ACCUM_OFFSET: 0
; COMPUTE_PGM_RSRC3_GFX90A:TG_SPLIT: 0
	.section	.text._ZN7rocprim17ROCPRIM_400000_NS6detail17trampoline_kernelINS0_14default_configENS1_38merge_sort_block_merge_config_selectorIfNS0_10empty_typeEEEZZNS1_27merge_sort_block_merge_implIS3_N6thrust23THRUST_200600_302600_NS6detail15normal_iteratorINS9_10device_ptrIfEEEEPS5_m14custom_greaterIfEEE10hipError_tT0_T1_T2_jT3_P12ihipStream_tbPNSt15iterator_traitsISJ_E10value_typeEPNSP_ISK_E10value_typeEPSL_NS1_7vsmem_tEENKUlT_SJ_SK_SL_E_clIPfSE_SF_SF_EESI_SY_SJ_SK_SL_EUlSY_E1_NS1_11comp_targetILNS1_3genE0ELNS1_11target_archE4294967295ELNS1_3gpuE0ELNS1_3repE0EEENS1_36merge_oddeven_config_static_selectorELNS0_4arch9wavefront6targetE1EEEvSK_,"axG",@progbits,_ZN7rocprim17ROCPRIM_400000_NS6detail17trampoline_kernelINS0_14default_configENS1_38merge_sort_block_merge_config_selectorIfNS0_10empty_typeEEEZZNS1_27merge_sort_block_merge_implIS3_N6thrust23THRUST_200600_302600_NS6detail15normal_iteratorINS9_10device_ptrIfEEEEPS5_m14custom_greaterIfEEE10hipError_tT0_T1_T2_jT3_P12ihipStream_tbPNSt15iterator_traitsISJ_E10value_typeEPNSP_ISK_E10value_typeEPSL_NS1_7vsmem_tEENKUlT_SJ_SK_SL_E_clIPfSE_SF_SF_EESI_SY_SJ_SK_SL_EUlSY_E1_NS1_11comp_targetILNS1_3genE0ELNS1_11target_archE4294967295ELNS1_3gpuE0ELNS1_3repE0EEENS1_36merge_oddeven_config_static_selectorELNS0_4arch9wavefront6targetE1EEEvSK_,comdat
	.protected	_ZN7rocprim17ROCPRIM_400000_NS6detail17trampoline_kernelINS0_14default_configENS1_38merge_sort_block_merge_config_selectorIfNS0_10empty_typeEEEZZNS1_27merge_sort_block_merge_implIS3_N6thrust23THRUST_200600_302600_NS6detail15normal_iteratorINS9_10device_ptrIfEEEEPS5_m14custom_greaterIfEEE10hipError_tT0_T1_T2_jT3_P12ihipStream_tbPNSt15iterator_traitsISJ_E10value_typeEPNSP_ISK_E10value_typeEPSL_NS1_7vsmem_tEENKUlT_SJ_SK_SL_E_clIPfSE_SF_SF_EESI_SY_SJ_SK_SL_EUlSY_E1_NS1_11comp_targetILNS1_3genE0ELNS1_11target_archE4294967295ELNS1_3gpuE0ELNS1_3repE0EEENS1_36merge_oddeven_config_static_selectorELNS0_4arch9wavefront6targetE1EEEvSK_ ; -- Begin function _ZN7rocprim17ROCPRIM_400000_NS6detail17trampoline_kernelINS0_14default_configENS1_38merge_sort_block_merge_config_selectorIfNS0_10empty_typeEEEZZNS1_27merge_sort_block_merge_implIS3_N6thrust23THRUST_200600_302600_NS6detail15normal_iteratorINS9_10device_ptrIfEEEEPS5_m14custom_greaterIfEEE10hipError_tT0_T1_T2_jT3_P12ihipStream_tbPNSt15iterator_traitsISJ_E10value_typeEPNSP_ISK_E10value_typeEPSL_NS1_7vsmem_tEENKUlT_SJ_SK_SL_E_clIPfSE_SF_SF_EESI_SY_SJ_SK_SL_EUlSY_E1_NS1_11comp_targetILNS1_3genE0ELNS1_11target_archE4294967295ELNS1_3gpuE0ELNS1_3repE0EEENS1_36merge_oddeven_config_static_selectorELNS0_4arch9wavefront6targetE1EEEvSK_
	.globl	_ZN7rocprim17ROCPRIM_400000_NS6detail17trampoline_kernelINS0_14default_configENS1_38merge_sort_block_merge_config_selectorIfNS0_10empty_typeEEEZZNS1_27merge_sort_block_merge_implIS3_N6thrust23THRUST_200600_302600_NS6detail15normal_iteratorINS9_10device_ptrIfEEEEPS5_m14custom_greaterIfEEE10hipError_tT0_T1_T2_jT3_P12ihipStream_tbPNSt15iterator_traitsISJ_E10value_typeEPNSP_ISK_E10value_typeEPSL_NS1_7vsmem_tEENKUlT_SJ_SK_SL_E_clIPfSE_SF_SF_EESI_SY_SJ_SK_SL_EUlSY_E1_NS1_11comp_targetILNS1_3genE0ELNS1_11target_archE4294967295ELNS1_3gpuE0ELNS1_3repE0EEENS1_36merge_oddeven_config_static_selectorELNS0_4arch9wavefront6targetE1EEEvSK_
	.p2align	8
	.type	_ZN7rocprim17ROCPRIM_400000_NS6detail17trampoline_kernelINS0_14default_configENS1_38merge_sort_block_merge_config_selectorIfNS0_10empty_typeEEEZZNS1_27merge_sort_block_merge_implIS3_N6thrust23THRUST_200600_302600_NS6detail15normal_iteratorINS9_10device_ptrIfEEEEPS5_m14custom_greaterIfEEE10hipError_tT0_T1_T2_jT3_P12ihipStream_tbPNSt15iterator_traitsISJ_E10value_typeEPNSP_ISK_E10value_typeEPSL_NS1_7vsmem_tEENKUlT_SJ_SK_SL_E_clIPfSE_SF_SF_EESI_SY_SJ_SK_SL_EUlSY_E1_NS1_11comp_targetILNS1_3genE0ELNS1_11target_archE4294967295ELNS1_3gpuE0ELNS1_3repE0EEENS1_36merge_oddeven_config_static_selectorELNS0_4arch9wavefront6targetE1EEEvSK_,@function
_ZN7rocprim17ROCPRIM_400000_NS6detail17trampoline_kernelINS0_14default_configENS1_38merge_sort_block_merge_config_selectorIfNS0_10empty_typeEEEZZNS1_27merge_sort_block_merge_implIS3_N6thrust23THRUST_200600_302600_NS6detail15normal_iteratorINS9_10device_ptrIfEEEEPS5_m14custom_greaterIfEEE10hipError_tT0_T1_T2_jT3_P12ihipStream_tbPNSt15iterator_traitsISJ_E10value_typeEPNSP_ISK_E10value_typeEPSL_NS1_7vsmem_tEENKUlT_SJ_SK_SL_E_clIPfSE_SF_SF_EESI_SY_SJ_SK_SL_EUlSY_E1_NS1_11comp_targetILNS1_3genE0ELNS1_11target_archE4294967295ELNS1_3gpuE0ELNS1_3repE0EEENS1_36merge_oddeven_config_static_selectorELNS0_4arch9wavefront6targetE1EEEvSK_: ; @_ZN7rocprim17ROCPRIM_400000_NS6detail17trampoline_kernelINS0_14default_configENS1_38merge_sort_block_merge_config_selectorIfNS0_10empty_typeEEEZZNS1_27merge_sort_block_merge_implIS3_N6thrust23THRUST_200600_302600_NS6detail15normal_iteratorINS9_10device_ptrIfEEEEPS5_m14custom_greaterIfEEE10hipError_tT0_T1_T2_jT3_P12ihipStream_tbPNSt15iterator_traitsISJ_E10value_typeEPNSP_ISK_E10value_typeEPSL_NS1_7vsmem_tEENKUlT_SJ_SK_SL_E_clIPfSE_SF_SF_EESI_SY_SJ_SK_SL_EUlSY_E1_NS1_11comp_targetILNS1_3genE0ELNS1_11target_archE4294967295ELNS1_3gpuE0ELNS1_3repE0EEENS1_36merge_oddeven_config_static_selectorELNS0_4arch9wavefront6targetE1EEEvSK_
; %bb.0:
	.section	.rodata,"a",@progbits
	.p2align	6, 0x0
	.amdhsa_kernel _ZN7rocprim17ROCPRIM_400000_NS6detail17trampoline_kernelINS0_14default_configENS1_38merge_sort_block_merge_config_selectorIfNS0_10empty_typeEEEZZNS1_27merge_sort_block_merge_implIS3_N6thrust23THRUST_200600_302600_NS6detail15normal_iteratorINS9_10device_ptrIfEEEEPS5_m14custom_greaterIfEEE10hipError_tT0_T1_T2_jT3_P12ihipStream_tbPNSt15iterator_traitsISJ_E10value_typeEPNSP_ISK_E10value_typeEPSL_NS1_7vsmem_tEENKUlT_SJ_SK_SL_E_clIPfSE_SF_SF_EESI_SY_SJ_SK_SL_EUlSY_E1_NS1_11comp_targetILNS1_3genE0ELNS1_11target_archE4294967295ELNS1_3gpuE0ELNS1_3repE0EEENS1_36merge_oddeven_config_static_selectorELNS0_4arch9wavefront6targetE1EEEvSK_
		.amdhsa_group_segment_fixed_size 0
		.amdhsa_private_segment_fixed_size 0
		.amdhsa_kernarg_size 56
		.amdhsa_user_sgpr_count 6
		.amdhsa_user_sgpr_private_segment_buffer 1
		.amdhsa_user_sgpr_dispatch_ptr 0
		.amdhsa_user_sgpr_queue_ptr 0
		.amdhsa_user_sgpr_kernarg_segment_ptr 1
		.amdhsa_user_sgpr_dispatch_id 0
		.amdhsa_user_sgpr_flat_scratch_init 0
		.amdhsa_user_sgpr_kernarg_preload_length 0
		.amdhsa_user_sgpr_kernarg_preload_offset 0
		.amdhsa_user_sgpr_private_segment_size 0
		.amdhsa_uses_dynamic_stack 0
		.amdhsa_system_sgpr_private_segment_wavefront_offset 0
		.amdhsa_system_sgpr_workgroup_id_x 1
		.amdhsa_system_sgpr_workgroup_id_y 0
		.amdhsa_system_sgpr_workgroup_id_z 0
		.amdhsa_system_sgpr_workgroup_info 0
		.amdhsa_system_vgpr_workitem_id 0
		.amdhsa_next_free_vgpr 1
		.amdhsa_next_free_sgpr 0
		.amdhsa_accum_offset 4
		.amdhsa_reserve_vcc 0
		.amdhsa_reserve_flat_scratch 0
		.amdhsa_float_round_mode_32 0
		.amdhsa_float_round_mode_16_64 0
		.amdhsa_float_denorm_mode_32 3
		.amdhsa_float_denorm_mode_16_64 3
		.amdhsa_dx10_clamp 1
		.amdhsa_ieee_mode 1
		.amdhsa_fp16_overflow 0
		.amdhsa_tg_split 0
		.amdhsa_exception_fp_ieee_invalid_op 0
		.amdhsa_exception_fp_denorm_src 0
		.amdhsa_exception_fp_ieee_div_zero 0
		.amdhsa_exception_fp_ieee_overflow 0
		.amdhsa_exception_fp_ieee_underflow 0
		.amdhsa_exception_fp_ieee_inexact 0
		.amdhsa_exception_int_div_zero 0
	.end_amdhsa_kernel
	.section	.text._ZN7rocprim17ROCPRIM_400000_NS6detail17trampoline_kernelINS0_14default_configENS1_38merge_sort_block_merge_config_selectorIfNS0_10empty_typeEEEZZNS1_27merge_sort_block_merge_implIS3_N6thrust23THRUST_200600_302600_NS6detail15normal_iteratorINS9_10device_ptrIfEEEEPS5_m14custom_greaterIfEEE10hipError_tT0_T1_T2_jT3_P12ihipStream_tbPNSt15iterator_traitsISJ_E10value_typeEPNSP_ISK_E10value_typeEPSL_NS1_7vsmem_tEENKUlT_SJ_SK_SL_E_clIPfSE_SF_SF_EESI_SY_SJ_SK_SL_EUlSY_E1_NS1_11comp_targetILNS1_3genE0ELNS1_11target_archE4294967295ELNS1_3gpuE0ELNS1_3repE0EEENS1_36merge_oddeven_config_static_selectorELNS0_4arch9wavefront6targetE1EEEvSK_,"axG",@progbits,_ZN7rocprim17ROCPRIM_400000_NS6detail17trampoline_kernelINS0_14default_configENS1_38merge_sort_block_merge_config_selectorIfNS0_10empty_typeEEEZZNS1_27merge_sort_block_merge_implIS3_N6thrust23THRUST_200600_302600_NS6detail15normal_iteratorINS9_10device_ptrIfEEEEPS5_m14custom_greaterIfEEE10hipError_tT0_T1_T2_jT3_P12ihipStream_tbPNSt15iterator_traitsISJ_E10value_typeEPNSP_ISK_E10value_typeEPSL_NS1_7vsmem_tEENKUlT_SJ_SK_SL_E_clIPfSE_SF_SF_EESI_SY_SJ_SK_SL_EUlSY_E1_NS1_11comp_targetILNS1_3genE0ELNS1_11target_archE4294967295ELNS1_3gpuE0ELNS1_3repE0EEENS1_36merge_oddeven_config_static_selectorELNS0_4arch9wavefront6targetE1EEEvSK_,comdat
.Lfunc_end3554:
	.size	_ZN7rocprim17ROCPRIM_400000_NS6detail17trampoline_kernelINS0_14default_configENS1_38merge_sort_block_merge_config_selectorIfNS0_10empty_typeEEEZZNS1_27merge_sort_block_merge_implIS3_N6thrust23THRUST_200600_302600_NS6detail15normal_iteratorINS9_10device_ptrIfEEEEPS5_m14custom_greaterIfEEE10hipError_tT0_T1_T2_jT3_P12ihipStream_tbPNSt15iterator_traitsISJ_E10value_typeEPNSP_ISK_E10value_typeEPSL_NS1_7vsmem_tEENKUlT_SJ_SK_SL_E_clIPfSE_SF_SF_EESI_SY_SJ_SK_SL_EUlSY_E1_NS1_11comp_targetILNS1_3genE0ELNS1_11target_archE4294967295ELNS1_3gpuE0ELNS1_3repE0EEENS1_36merge_oddeven_config_static_selectorELNS0_4arch9wavefront6targetE1EEEvSK_, .Lfunc_end3554-_ZN7rocprim17ROCPRIM_400000_NS6detail17trampoline_kernelINS0_14default_configENS1_38merge_sort_block_merge_config_selectorIfNS0_10empty_typeEEEZZNS1_27merge_sort_block_merge_implIS3_N6thrust23THRUST_200600_302600_NS6detail15normal_iteratorINS9_10device_ptrIfEEEEPS5_m14custom_greaterIfEEE10hipError_tT0_T1_T2_jT3_P12ihipStream_tbPNSt15iterator_traitsISJ_E10value_typeEPNSP_ISK_E10value_typeEPSL_NS1_7vsmem_tEENKUlT_SJ_SK_SL_E_clIPfSE_SF_SF_EESI_SY_SJ_SK_SL_EUlSY_E1_NS1_11comp_targetILNS1_3genE0ELNS1_11target_archE4294967295ELNS1_3gpuE0ELNS1_3repE0EEENS1_36merge_oddeven_config_static_selectorELNS0_4arch9wavefront6targetE1EEEvSK_
                                        ; -- End function
	.section	.AMDGPU.csdata,"",@progbits
; Kernel info:
; codeLenInByte = 0
; NumSgprs: 4
; NumVgprs: 0
; NumAgprs: 0
; TotalNumVgprs: 0
; ScratchSize: 0
; MemoryBound: 0
; FloatMode: 240
; IeeeMode: 1
; LDSByteSize: 0 bytes/workgroup (compile time only)
; SGPRBlocks: 0
; VGPRBlocks: 0
; NumSGPRsForWavesPerEU: 4
; NumVGPRsForWavesPerEU: 1
; AccumOffset: 4
; Occupancy: 8
; WaveLimiterHint : 0
; COMPUTE_PGM_RSRC2:SCRATCH_EN: 0
; COMPUTE_PGM_RSRC2:USER_SGPR: 6
; COMPUTE_PGM_RSRC2:TRAP_HANDLER: 0
; COMPUTE_PGM_RSRC2:TGID_X_EN: 1
; COMPUTE_PGM_RSRC2:TGID_Y_EN: 0
; COMPUTE_PGM_RSRC2:TGID_Z_EN: 0
; COMPUTE_PGM_RSRC2:TIDIG_COMP_CNT: 0
; COMPUTE_PGM_RSRC3_GFX90A:ACCUM_OFFSET: 0
; COMPUTE_PGM_RSRC3_GFX90A:TG_SPLIT: 0
	.section	.text._ZN7rocprim17ROCPRIM_400000_NS6detail17trampoline_kernelINS0_14default_configENS1_38merge_sort_block_merge_config_selectorIfNS0_10empty_typeEEEZZNS1_27merge_sort_block_merge_implIS3_N6thrust23THRUST_200600_302600_NS6detail15normal_iteratorINS9_10device_ptrIfEEEEPS5_m14custom_greaterIfEEE10hipError_tT0_T1_T2_jT3_P12ihipStream_tbPNSt15iterator_traitsISJ_E10value_typeEPNSP_ISK_E10value_typeEPSL_NS1_7vsmem_tEENKUlT_SJ_SK_SL_E_clIPfSE_SF_SF_EESI_SY_SJ_SK_SL_EUlSY_E1_NS1_11comp_targetILNS1_3genE10ELNS1_11target_archE1201ELNS1_3gpuE5ELNS1_3repE0EEENS1_36merge_oddeven_config_static_selectorELNS0_4arch9wavefront6targetE1EEEvSK_,"axG",@progbits,_ZN7rocprim17ROCPRIM_400000_NS6detail17trampoline_kernelINS0_14default_configENS1_38merge_sort_block_merge_config_selectorIfNS0_10empty_typeEEEZZNS1_27merge_sort_block_merge_implIS3_N6thrust23THRUST_200600_302600_NS6detail15normal_iteratorINS9_10device_ptrIfEEEEPS5_m14custom_greaterIfEEE10hipError_tT0_T1_T2_jT3_P12ihipStream_tbPNSt15iterator_traitsISJ_E10value_typeEPNSP_ISK_E10value_typeEPSL_NS1_7vsmem_tEENKUlT_SJ_SK_SL_E_clIPfSE_SF_SF_EESI_SY_SJ_SK_SL_EUlSY_E1_NS1_11comp_targetILNS1_3genE10ELNS1_11target_archE1201ELNS1_3gpuE5ELNS1_3repE0EEENS1_36merge_oddeven_config_static_selectorELNS0_4arch9wavefront6targetE1EEEvSK_,comdat
	.protected	_ZN7rocprim17ROCPRIM_400000_NS6detail17trampoline_kernelINS0_14default_configENS1_38merge_sort_block_merge_config_selectorIfNS0_10empty_typeEEEZZNS1_27merge_sort_block_merge_implIS3_N6thrust23THRUST_200600_302600_NS6detail15normal_iteratorINS9_10device_ptrIfEEEEPS5_m14custom_greaterIfEEE10hipError_tT0_T1_T2_jT3_P12ihipStream_tbPNSt15iterator_traitsISJ_E10value_typeEPNSP_ISK_E10value_typeEPSL_NS1_7vsmem_tEENKUlT_SJ_SK_SL_E_clIPfSE_SF_SF_EESI_SY_SJ_SK_SL_EUlSY_E1_NS1_11comp_targetILNS1_3genE10ELNS1_11target_archE1201ELNS1_3gpuE5ELNS1_3repE0EEENS1_36merge_oddeven_config_static_selectorELNS0_4arch9wavefront6targetE1EEEvSK_ ; -- Begin function _ZN7rocprim17ROCPRIM_400000_NS6detail17trampoline_kernelINS0_14default_configENS1_38merge_sort_block_merge_config_selectorIfNS0_10empty_typeEEEZZNS1_27merge_sort_block_merge_implIS3_N6thrust23THRUST_200600_302600_NS6detail15normal_iteratorINS9_10device_ptrIfEEEEPS5_m14custom_greaterIfEEE10hipError_tT0_T1_T2_jT3_P12ihipStream_tbPNSt15iterator_traitsISJ_E10value_typeEPNSP_ISK_E10value_typeEPSL_NS1_7vsmem_tEENKUlT_SJ_SK_SL_E_clIPfSE_SF_SF_EESI_SY_SJ_SK_SL_EUlSY_E1_NS1_11comp_targetILNS1_3genE10ELNS1_11target_archE1201ELNS1_3gpuE5ELNS1_3repE0EEENS1_36merge_oddeven_config_static_selectorELNS0_4arch9wavefront6targetE1EEEvSK_
	.globl	_ZN7rocprim17ROCPRIM_400000_NS6detail17trampoline_kernelINS0_14default_configENS1_38merge_sort_block_merge_config_selectorIfNS0_10empty_typeEEEZZNS1_27merge_sort_block_merge_implIS3_N6thrust23THRUST_200600_302600_NS6detail15normal_iteratorINS9_10device_ptrIfEEEEPS5_m14custom_greaterIfEEE10hipError_tT0_T1_T2_jT3_P12ihipStream_tbPNSt15iterator_traitsISJ_E10value_typeEPNSP_ISK_E10value_typeEPSL_NS1_7vsmem_tEENKUlT_SJ_SK_SL_E_clIPfSE_SF_SF_EESI_SY_SJ_SK_SL_EUlSY_E1_NS1_11comp_targetILNS1_3genE10ELNS1_11target_archE1201ELNS1_3gpuE5ELNS1_3repE0EEENS1_36merge_oddeven_config_static_selectorELNS0_4arch9wavefront6targetE1EEEvSK_
	.p2align	8
	.type	_ZN7rocprim17ROCPRIM_400000_NS6detail17trampoline_kernelINS0_14default_configENS1_38merge_sort_block_merge_config_selectorIfNS0_10empty_typeEEEZZNS1_27merge_sort_block_merge_implIS3_N6thrust23THRUST_200600_302600_NS6detail15normal_iteratorINS9_10device_ptrIfEEEEPS5_m14custom_greaterIfEEE10hipError_tT0_T1_T2_jT3_P12ihipStream_tbPNSt15iterator_traitsISJ_E10value_typeEPNSP_ISK_E10value_typeEPSL_NS1_7vsmem_tEENKUlT_SJ_SK_SL_E_clIPfSE_SF_SF_EESI_SY_SJ_SK_SL_EUlSY_E1_NS1_11comp_targetILNS1_3genE10ELNS1_11target_archE1201ELNS1_3gpuE5ELNS1_3repE0EEENS1_36merge_oddeven_config_static_selectorELNS0_4arch9wavefront6targetE1EEEvSK_,@function
_ZN7rocprim17ROCPRIM_400000_NS6detail17trampoline_kernelINS0_14default_configENS1_38merge_sort_block_merge_config_selectorIfNS0_10empty_typeEEEZZNS1_27merge_sort_block_merge_implIS3_N6thrust23THRUST_200600_302600_NS6detail15normal_iteratorINS9_10device_ptrIfEEEEPS5_m14custom_greaterIfEEE10hipError_tT0_T1_T2_jT3_P12ihipStream_tbPNSt15iterator_traitsISJ_E10value_typeEPNSP_ISK_E10value_typeEPSL_NS1_7vsmem_tEENKUlT_SJ_SK_SL_E_clIPfSE_SF_SF_EESI_SY_SJ_SK_SL_EUlSY_E1_NS1_11comp_targetILNS1_3genE10ELNS1_11target_archE1201ELNS1_3gpuE5ELNS1_3repE0EEENS1_36merge_oddeven_config_static_selectorELNS0_4arch9wavefront6targetE1EEEvSK_: ; @_ZN7rocprim17ROCPRIM_400000_NS6detail17trampoline_kernelINS0_14default_configENS1_38merge_sort_block_merge_config_selectorIfNS0_10empty_typeEEEZZNS1_27merge_sort_block_merge_implIS3_N6thrust23THRUST_200600_302600_NS6detail15normal_iteratorINS9_10device_ptrIfEEEEPS5_m14custom_greaterIfEEE10hipError_tT0_T1_T2_jT3_P12ihipStream_tbPNSt15iterator_traitsISJ_E10value_typeEPNSP_ISK_E10value_typeEPSL_NS1_7vsmem_tEENKUlT_SJ_SK_SL_E_clIPfSE_SF_SF_EESI_SY_SJ_SK_SL_EUlSY_E1_NS1_11comp_targetILNS1_3genE10ELNS1_11target_archE1201ELNS1_3gpuE5ELNS1_3repE0EEENS1_36merge_oddeven_config_static_selectorELNS0_4arch9wavefront6targetE1EEEvSK_
; %bb.0:
	.section	.rodata,"a",@progbits
	.p2align	6, 0x0
	.amdhsa_kernel _ZN7rocprim17ROCPRIM_400000_NS6detail17trampoline_kernelINS0_14default_configENS1_38merge_sort_block_merge_config_selectorIfNS0_10empty_typeEEEZZNS1_27merge_sort_block_merge_implIS3_N6thrust23THRUST_200600_302600_NS6detail15normal_iteratorINS9_10device_ptrIfEEEEPS5_m14custom_greaterIfEEE10hipError_tT0_T1_T2_jT3_P12ihipStream_tbPNSt15iterator_traitsISJ_E10value_typeEPNSP_ISK_E10value_typeEPSL_NS1_7vsmem_tEENKUlT_SJ_SK_SL_E_clIPfSE_SF_SF_EESI_SY_SJ_SK_SL_EUlSY_E1_NS1_11comp_targetILNS1_3genE10ELNS1_11target_archE1201ELNS1_3gpuE5ELNS1_3repE0EEENS1_36merge_oddeven_config_static_selectorELNS0_4arch9wavefront6targetE1EEEvSK_
		.amdhsa_group_segment_fixed_size 0
		.amdhsa_private_segment_fixed_size 0
		.amdhsa_kernarg_size 56
		.amdhsa_user_sgpr_count 6
		.amdhsa_user_sgpr_private_segment_buffer 1
		.amdhsa_user_sgpr_dispatch_ptr 0
		.amdhsa_user_sgpr_queue_ptr 0
		.amdhsa_user_sgpr_kernarg_segment_ptr 1
		.amdhsa_user_sgpr_dispatch_id 0
		.amdhsa_user_sgpr_flat_scratch_init 0
		.amdhsa_user_sgpr_kernarg_preload_length 0
		.amdhsa_user_sgpr_kernarg_preload_offset 0
		.amdhsa_user_sgpr_private_segment_size 0
		.amdhsa_uses_dynamic_stack 0
		.amdhsa_system_sgpr_private_segment_wavefront_offset 0
		.amdhsa_system_sgpr_workgroup_id_x 1
		.amdhsa_system_sgpr_workgroup_id_y 0
		.amdhsa_system_sgpr_workgroup_id_z 0
		.amdhsa_system_sgpr_workgroup_info 0
		.amdhsa_system_vgpr_workitem_id 0
		.amdhsa_next_free_vgpr 1
		.amdhsa_next_free_sgpr 0
		.amdhsa_accum_offset 4
		.amdhsa_reserve_vcc 0
		.amdhsa_reserve_flat_scratch 0
		.amdhsa_float_round_mode_32 0
		.amdhsa_float_round_mode_16_64 0
		.amdhsa_float_denorm_mode_32 3
		.amdhsa_float_denorm_mode_16_64 3
		.amdhsa_dx10_clamp 1
		.amdhsa_ieee_mode 1
		.amdhsa_fp16_overflow 0
		.amdhsa_tg_split 0
		.amdhsa_exception_fp_ieee_invalid_op 0
		.amdhsa_exception_fp_denorm_src 0
		.amdhsa_exception_fp_ieee_div_zero 0
		.amdhsa_exception_fp_ieee_overflow 0
		.amdhsa_exception_fp_ieee_underflow 0
		.amdhsa_exception_fp_ieee_inexact 0
		.amdhsa_exception_int_div_zero 0
	.end_amdhsa_kernel
	.section	.text._ZN7rocprim17ROCPRIM_400000_NS6detail17trampoline_kernelINS0_14default_configENS1_38merge_sort_block_merge_config_selectorIfNS0_10empty_typeEEEZZNS1_27merge_sort_block_merge_implIS3_N6thrust23THRUST_200600_302600_NS6detail15normal_iteratorINS9_10device_ptrIfEEEEPS5_m14custom_greaterIfEEE10hipError_tT0_T1_T2_jT3_P12ihipStream_tbPNSt15iterator_traitsISJ_E10value_typeEPNSP_ISK_E10value_typeEPSL_NS1_7vsmem_tEENKUlT_SJ_SK_SL_E_clIPfSE_SF_SF_EESI_SY_SJ_SK_SL_EUlSY_E1_NS1_11comp_targetILNS1_3genE10ELNS1_11target_archE1201ELNS1_3gpuE5ELNS1_3repE0EEENS1_36merge_oddeven_config_static_selectorELNS0_4arch9wavefront6targetE1EEEvSK_,"axG",@progbits,_ZN7rocprim17ROCPRIM_400000_NS6detail17trampoline_kernelINS0_14default_configENS1_38merge_sort_block_merge_config_selectorIfNS0_10empty_typeEEEZZNS1_27merge_sort_block_merge_implIS3_N6thrust23THRUST_200600_302600_NS6detail15normal_iteratorINS9_10device_ptrIfEEEEPS5_m14custom_greaterIfEEE10hipError_tT0_T1_T2_jT3_P12ihipStream_tbPNSt15iterator_traitsISJ_E10value_typeEPNSP_ISK_E10value_typeEPSL_NS1_7vsmem_tEENKUlT_SJ_SK_SL_E_clIPfSE_SF_SF_EESI_SY_SJ_SK_SL_EUlSY_E1_NS1_11comp_targetILNS1_3genE10ELNS1_11target_archE1201ELNS1_3gpuE5ELNS1_3repE0EEENS1_36merge_oddeven_config_static_selectorELNS0_4arch9wavefront6targetE1EEEvSK_,comdat
.Lfunc_end3555:
	.size	_ZN7rocprim17ROCPRIM_400000_NS6detail17trampoline_kernelINS0_14default_configENS1_38merge_sort_block_merge_config_selectorIfNS0_10empty_typeEEEZZNS1_27merge_sort_block_merge_implIS3_N6thrust23THRUST_200600_302600_NS6detail15normal_iteratorINS9_10device_ptrIfEEEEPS5_m14custom_greaterIfEEE10hipError_tT0_T1_T2_jT3_P12ihipStream_tbPNSt15iterator_traitsISJ_E10value_typeEPNSP_ISK_E10value_typeEPSL_NS1_7vsmem_tEENKUlT_SJ_SK_SL_E_clIPfSE_SF_SF_EESI_SY_SJ_SK_SL_EUlSY_E1_NS1_11comp_targetILNS1_3genE10ELNS1_11target_archE1201ELNS1_3gpuE5ELNS1_3repE0EEENS1_36merge_oddeven_config_static_selectorELNS0_4arch9wavefront6targetE1EEEvSK_, .Lfunc_end3555-_ZN7rocprim17ROCPRIM_400000_NS6detail17trampoline_kernelINS0_14default_configENS1_38merge_sort_block_merge_config_selectorIfNS0_10empty_typeEEEZZNS1_27merge_sort_block_merge_implIS3_N6thrust23THRUST_200600_302600_NS6detail15normal_iteratorINS9_10device_ptrIfEEEEPS5_m14custom_greaterIfEEE10hipError_tT0_T1_T2_jT3_P12ihipStream_tbPNSt15iterator_traitsISJ_E10value_typeEPNSP_ISK_E10value_typeEPSL_NS1_7vsmem_tEENKUlT_SJ_SK_SL_E_clIPfSE_SF_SF_EESI_SY_SJ_SK_SL_EUlSY_E1_NS1_11comp_targetILNS1_3genE10ELNS1_11target_archE1201ELNS1_3gpuE5ELNS1_3repE0EEENS1_36merge_oddeven_config_static_selectorELNS0_4arch9wavefront6targetE1EEEvSK_
                                        ; -- End function
	.section	.AMDGPU.csdata,"",@progbits
; Kernel info:
; codeLenInByte = 0
; NumSgprs: 4
; NumVgprs: 0
; NumAgprs: 0
; TotalNumVgprs: 0
; ScratchSize: 0
; MemoryBound: 0
; FloatMode: 240
; IeeeMode: 1
; LDSByteSize: 0 bytes/workgroup (compile time only)
; SGPRBlocks: 0
; VGPRBlocks: 0
; NumSGPRsForWavesPerEU: 4
; NumVGPRsForWavesPerEU: 1
; AccumOffset: 4
; Occupancy: 8
; WaveLimiterHint : 0
; COMPUTE_PGM_RSRC2:SCRATCH_EN: 0
; COMPUTE_PGM_RSRC2:USER_SGPR: 6
; COMPUTE_PGM_RSRC2:TRAP_HANDLER: 0
; COMPUTE_PGM_RSRC2:TGID_X_EN: 1
; COMPUTE_PGM_RSRC2:TGID_Y_EN: 0
; COMPUTE_PGM_RSRC2:TGID_Z_EN: 0
; COMPUTE_PGM_RSRC2:TIDIG_COMP_CNT: 0
; COMPUTE_PGM_RSRC3_GFX90A:ACCUM_OFFSET: 0
; COMPUTE_PGM_RSRC3_GFX90A:TG_SPLIT: 0
	.section	.text._ZN7rocprim17ROCPRIM_400000_NS6detail17trampoline_kernelINS0_14default_configENS1_38merge_sort_block_merge_config_selectorIfNS0_10empty_typeEEEZZNS1_27merge_sort_block_merge_implIS3_N6thrust23THRUST_200600_302600_NS6detail15normal_iteratorINS9_10device_ptrIfEEEEPS5_m14custom_greaterIfEEE10hipError_tT0_T1_T2_jT3_P12ihipStream_tbPNSt15iterator_traitsISJ_E10value_typeEPNSP_ISK_E10value_typeEPSL_NS1_7vsmem_tEENKUlT_SJ_SK_SL_E_clIPfSE_SF_SF_EESI_SY_SJ_SK_SL_EUlSY_E1_NS1_11comp_targetILNS1_3genE5ELNS1_11target_archE942ELNS1_3gpuE9ELNS1_3repE0EEENS1_36merge_oddeven_config_static_selectorELNS0_4arch9wavefront6targetE1EEEvSK_,"axG",@progbits,_ZN7rocprim17ROCPRIM_400000_NS6detail17trampoline_kernelINS0_14default_configENS1_38merge_sort_block_merge_config_selectorIfNS0_10empty_typeEEEZZNS1_27merge_sort_block_merge_implIS3_N6thrust23THRUST_200600_302600_NS6detail15normal_iteratorINS9_10device_ptrIfEEEEPS5_m14custom_greaterIfEEE10hipError_tT0_T1_T2_jT3_P12ihipStream_tbPNSt15iterator_traitsISJ_E10value_typeEPNSP_ISK_E10value_typeEPSL_NS1_7vsmem_tEENKUlT_SJ_SK_SL_E_clIPfSE_SF_SF_EESI_SY_SJ_SK_SL_EUlSY_E1_NS1_11comp_targetILNS1_3genE5ELNS1_11target_archE942ELNS1_3gpuE9ELNS1_3repE0EEENS1_36merge_oddeven_config_static_selectorELNS0_4arch9wavefront6targetE1EEEvSK_,comdat
	.protected	_ZN7rocprim17ROCPRIM_400000_NS6detail17trampoline_kernelINS0_14default_configENS1_38merge_sort_block_merge_config_selectorIfNS0_10empty_typeEEEZZNS1_27merge_sort_block_merge_implIS3_N6thrust23THRUST_200600_302600_NS6detail15normal_iteratorINS9_10device_ptrIfEEEEPS5_m14custom_greaterIfEEE10hipError_tT0_T1_T2_jT3_P12ihipStream_tbPNSt15iterator_traitsISJ_E10value_typeEPNSP_ISK_E10value_typeEPSL_NS1_7vsmem_tEENKUlT_SJ_SK_SL_E_clIPfSE_SF_SF_EESI_SY_SJ_SK_SL_EUlSY_E1_NS1_11comp_targetILNS1_3genE5ELNS1_11target_archE942ELNS1_3gpuE9ELNS1_3repE0EEENS1_36merge_oddeven_config_static_selectorELNS0_4arch9wavefront6targetE1EEEvSK_ ; -- Begin function _ZN7rocprim17ROCPRIM_400000_NS6detail17trampoline_kernelINS0_14default_configENS1_38merge_sort_block_merge_config_selectorIfNS0_10empty_typeEEEZZNS1_27merge_sort_block_merge_implIS3_N6thrust23THRUST_200600_302600_NS6detail15normal_iteratorINS9_10device_ptrIfEEEEPS5_m14custom_greaterIfEEE10hipError_tT0_T1_T2_jT3_P12ihipStream_tbPNSt15iterator_traitsISJ_E10value_typeEPNSP_ISK_E10value_typeEPSL_NS1_7vsmem_tEENKUlT_SJ_SK_SL_E_clIPfSE_SF_SF_EESI_SY_SJ_SK_SL_EUlSY_E1_NS1_11comp_targetILNS1_3genE5ELNS1_11target_archE942ELNS1_3gpuE9ELNS1_3repE0EEENS1_36merge_oddeven_config_static_selectorELNS0_4arch9wavefront6targetE1EEEvSK_
	.globl	_ZN7rocprim17ROCPRIM_400000_NS6detail17trampoline_kernelINS0_14default_configENS1_38merge_sort_block_merge_config_selectorIfNS0_10empty_typeEEEZZNS1_27merge_sort_block_merge_implIS3_N6thrust23THRUST_200600_302600_NS6detail15normal_iteratorINS9_10device_ptrIfEEEEPS5_m14custom_greaterIfEEE10hipError_tT0_T1_T2_jT3_P12ihipStream_tbPNSt15iterator_traitsISJ_E10value_typeEPNSP_ISK_E10value_typeEPSL_NS1_7vsmem_tEENKUlT_SJ_SK_SL_E_clIPfSE_SF_SF_EESI_SY_SJ_SK_SL_EUlSY_E1_NS1_11comp_targetILNS1_3genE5ELNS1_11target_archE942ELNS1_3gpuE9ELNS1_3repE0EEENS1_36merge_oddeven_config_static_selectorELNS0_4arch9wavefront6targetE1EEEvSK_
	.p2align	8
	.type	_ZN7rocprim17ROCPRIM_400000_NS6detail17trampoline_kernelINS0_14default_configENS1_38merge_sort_block_merge_config_selectorIfNS0_10empty_typeEEEZZNS1_27merge_sort_block_merge_implIS3_N6thrust23THRUST_200600_302600_NS6detail15normal_iteratorINS9_10device_ptrIfEEEEPS5_m14custom_greaterIfEEE10hipError_tT0_T1_T2_jT3_P12ihipStream_tbPNSt15iterator_traitsISJ_E10value_typeEPNSP_ISK_E10value_typeEPSL_NS1_7vsmem_tEENKUlT_SJ_SK_SL_E_clIPfSE_SF_SF_EESI_SY_SJ_SK_SL_EUlSY_E1_NS1_11comp_targetILNS1_3genE5ELNS1_11target_archE942ELNS1_3gpuE9ELNS1_3repE0EEENS1_36merge_oddeven_config_static_selectorELNS0_4arch9wavefront6targetE1EEEvSK_,@function
_ZN7rocprim17ROCPRIM_400000_NS6detail17trampoline_kernelINS0_14default_configENS1_38merge_sort_block_merge_config_selectorIfNS0_10empty_typeEEEZZNS1_27merge_sort_block_merge_implIS3_N6thrust23THRUST_200600_302600_NS6detail15normal_iteratorINS9_10device_ptrIfEEEEPS5_m14custom_greaterIfEEE10hipError_tT0_T1_T2_jT3_P12ihipStream_tbPNSt15iterator_traitsISJ_E10value_typeEPNSP_ISK_E10value_typeEPSL_NS1_7vsmem_tEENKUlT_SJ_SK_SL_E_clIPfSE_SF_SF_EESI_SY_SJ_SK_SL_EUlSY_E1_NS1_11comp_targetILNS1_3genE5ELNS1_11target_archE942ELNS1_3gpuE9ELNS1_3repE0EEENS1_36merge_oddeven_config_static_selectorELNS0_4arch9wavefront6targetE1EEEvSK_: ; @_ZN7rocprim17ROCPRIM_400000_NS6detail17trampoline_kernelINS0_14default_configENS1_38merge_sort_block_merge_config_selectorIfNS0_10empty_typeEEEZZNS1_27merge_sort_block_merge_implIS3_N6thrust23THRUST_200600_302600_NS6detail15normal_iteratorINS9_10device_ptrIfEEEEPS5_m14custom_greaterIfEEE10hipError_tT0_T1_T2_jT3_P12ihipStream_tbPNSt15iterator_traitsISJ_E10value_typeEPNSP_ISK_E10value_typeEPSL_NS1_7vsmem_tEENKUlT_SJ_SK_SL_E_clIPfSE_SF_SF_EESI_SY_SJ_SK_SL_EUlSY_E1_NS1_11comp_targetILNS1_3genE5ELNS1_11target_archE942ELNS1_3gpuE9ELNS1_3repE0EEENS1_36merge_oddeven_config_static_selectorELNS0_4arch9wavefront6targetE1EEEvSK_
; %bb.0:
	.section	.rodata,"a",@progbits
	.p2align	6, 0x0
	.amdhsa_kernel _ZN7rocprim17ROCPRIM_400000_NS6detail17trampoline_kernelINS0_14default_configENS1_38merge_sort_block_merge_config_selectorIfNS0_10empty_typeEEEZZNS1_27merge_sort_block_merge_implIS3_N6thrust23THRUST_200600_302600_NS6detail15normal_iteratorINS9_10device_ptrIfEEEEPS5_m14custom_greaterIfEEE10hipError_tT0_T1_T2_jT3_P12ihipStream_tbPNSt15iterator_traitsISJ_E10value_typeEPNSP_ISK_E10value_typeEPSL_NS1_7vsmem_tEENKUlT_SJ_SK_SL_E_clIPfSE_SF_SF_EESI_SY_SJ_SK_SL_EUlSY_E1_NS1_11comp_targetILNS1_3genE5ELNS1_11target_archE942ELNS1_3gpuE9ELNS1_3repE0EEENS1_36merge_oddeven_config_static_selectorELNS0_4arch9wavefront6targetE1EEEvSK_
		.amdhsa_group_segment_fixed_size 0
		.amdhsa_private_segment_fixed_size 0
		.amdhsa_kernarg_size 56
		.amdhsa_user_sgpr_count 6
		.amdhsa_user_sgpr_private_segment_buffer 1
		.amdhsa_user_sgpr_dispatch_ptr 0
		.amdhsa_user_sgpr_queue_ptr 0
		.amdhsa_user_sgpr_kernarg_segment_ptr 1
		.amdhsa_user_sgpr_dispatch_id 0
		.amdhsa_user_sgpr_flat_scratch_init 0
		.amdhsa_user_sgpr_kernarg_preload_length 0
		.amdhsa_user_sgpr_kernarg_preload_offset 0
		.amdhsa_user_sgpr_private_segment_size 0
		.amdhsa_uses_dynamic_stack 0
		.amdhsa_system_sgpr_private_segment_wavefront_offset 0
		.amdhsa_system_sgpr_workgroup_id_x 1
		.amdhsa_system_sgpr_workgroup_id_y 0
		.amdhsa_system_sgpr_workgroup_id_z 0
		.amdhsa_system_sgpr_workgroup_info 0
		.amdhsa_system_vgpr_workitem_id 0
		.amdhsa_next_free_vgpr 1
		.amdhsa_next_free_sgpr 0
		.amdhsa_accum_offset 4
		.amdhsa_reserve_vcc 0
		.amdhsa_reserve_flat_scratch 0
		.amdhsa_float_round_mode_32 0
		.amdhsa_float_round_mode_16_64 0
		.amdhsa_float_denorm_mode_32 3
		.amdhsa_float_denorm_mode_16_64 3
		.amdhsa_dx10_clamp 1
		.amdhsa_ieee_mode 1
		.amdhsa_fp16_overflow 0
		.amdhsa_tg_split 0
		.amdhsa_exception_fp_ieee_invalid_op 0
		.amdhsa_exception_fp_denorm_src 0
		.amdhsa_exception_fp_ieee_div_zero 0
		.amdhsa_exception_fp_ieee_overflow 0
		.amdhsa_exception_fp_ieee_underflow 0
		.amdhsa_exception_fp_ieee_inexact 0
		.amdhsa_exception_int_div_zero 0
	.end_amdhsa_kernel
	.section	.text._ZN7rocprim17ROCPRIM_400000_NS6detail17trampoline_kernelINS0_14default_configENS1_38merge_sort_block_merge_config_selectorIfNS0_10empty_typeEEEZZNS1_27merge_sort_block_merge_implIS3_N6thrust23THRUST_200600_302600_NS6detail15normal_iteratorINS9_10device_ptrIfEEEEPS5_m14custom_greaterIfEEE10hipError_tT0_T1_T2_jT3_P12ihipStream_tbPNSt15iterator_traitsISJ_E10value_typeEPNSP_ISK_E10value_typeEPSL_NS1_7vsmem_tEENKUlT_SJ_SK_SL_E_clIPfSE_SF_SF_EESI_SY_SJ_SK_SL_EUlSY_E1_NS1_11comp_targetILNS1_3genE5ELNS1_11target_archE942ELNS1_3gpuE9ELNS1_3repE0EEENS1_36merge_oddeven_config_static_selectorELNS0_4arch9wavefront6targetE1EEEvSK_,"axG",@progbits,_ZN7rocprim17ROCPRIM_400000_NS6detail17trampoline_kernelINS0_14default_configENS1_38merge_sort_block_merge_config_selectorIfNS0_10empty_typeEEEZZNS1_27merge_sort_block_merge_implIS3_N6thrust23THRUST_200600_302600_NS6detail15normal_iteratorINS9_10device_ptrIfEEEEPS5_m14custom_greaterIfEEE10hipError_tT0_T1_T2_jT3_P12ihipStream_tbPNSt15iterator_traitsISJ_E10value_typeEPNSP_ISK_E10value_typeEPSL_NS1_7vsmem_tEENKUlT_SJ_SK_SL_E_clIPfSE_SF_SF_EESI_SY_SJ_SK_SL_EUlSY_E1_NS1_11comp_targetILNS1_3genE5ELNS1_11target_archE942ELNS1_3gpuE9ELNS1_3repE0EEENS1_36merge_oddeven_config_static_selectorELNS0_4arch9wavefront6targetE1EEEvSK_,comdat
.Lfunc_end3556:
	.size	_ZN7rocprim17ROCPRIM_400000_NS6detail17trampoline_kernelINS0_14default_configENS1_38merge_sort_block_merge_config_selectorIfNS0_10empty_typeEEEZZNS1_27merge_sort_block_merge_implIS3_N6thrust23THRUST_200600_302600_NS6detail15normal_iteratorINS9_10device_ptrIfEEEEPS5_m14custom_greaterIfEEE10hipError_tT0_T1_T2_jT3_P12ihipStream_tbPNSt15iterator_traitsISJ_E10value_typeEPNSP_ISK_E10value_typeEPSL_NS1_7vsmem_tEENKUlT_SJ_SK_SL_E_clIPfSE_SF_SF_EESI_SY_SJ_SK_SL_EUlSY_E1_NS1_11comp_targetILNS1_3genE5ELNS1_11target_archE942ELNS1_3gpuE9ELNS1_3repE0EEENS1_36merge_oddeven_config_static_selectorELNS0_4arch9wavefront6targetE1EEEvSK_, .Lfunc_end3556-_ZN7rocprim17ROCPRIM_400000_NS6detail17trampoline_kernelINS0_14default_configENS1_38merge_sort_block_merge_config_selectorIfNS0_10empty_typeEEEZZNS1_27merge_sort_block_merge_implIS3_N6thrust23THRUST_200600_302600_NS6detail15normal_iteratorINS9_10device_ptrIfEEEEPS5_m14custom_greaterIfEEE10hipError_tT0_T1_T2_jT3_P12ihipStream_tbPNSt15iterator_traitsISJ_E10value_typeEPNSP_ISK_E10value_typeEPSL_NS1_7vsmem_tEENKUlT_SJ_SK_SL_E_clIPfSE_SF_SF_EESI_SY_SJ_SK_SL_EUlSY_E1_NS1_11comp_targetILNS1_3genE5ELNS1_11target_archE942ELNS1_3gpuE9ELNS1_3repE0EEENS1_36merge_oddeven_config_static_selectorELNS0_4arch9wavefront6targetE1EEEvSK_
                                        ; -- End function
	.section	.AMDGPU.csdata,"",@progbits
; Kernel info:
; codeLenInByte = 0
; NumSgprs: 4
; NumVgprs: 0
; NumAgprs: 0
; TotalNumVgprs: 0
; ScratchSize: 0
; MemoryBound: 0
; FloatMode: 240
; IeeeMode: 1
; LDSByteSize: 0 bytes/workgroup (compile time only)
; SGPRBlocks: 0
; VGPRBlocks: 0
; NumSGPRsForWavesPerEU: 4
; NumVGPRsForWavesPerEU: 1
; AccumOffset: 4
; Occupancy: 8
; WaveLimiterHint : 0
; COMPUTE_PGM_RSRC2:SCRATCH_EN: 0
; COMPUTE_PGM_RSRC2:USER_SGPR: 6
; COMPUTE_PGM_RSRC2:TRAP_HANDLER: 0
; COMPUTE_PGM_RSRC2:TGID_X_EN: 1
; COMPUTE_PGM_RSRC2:TGID_Y_EN: 0
; COMPUTE_PGM_RSRC2:TGID_Z_EN: 0
; COMPUTE_PGM_RSRC2:TIDIG_COMP_CNT: 0
; COMPUTE_PGM_RSRC3_GFX90A:ACCUM_OFFSET: 0
; COMPUTE_PGM_RSRC3_GFX90A:TG_SPLIT: 0
	.section	.text._ZN7rocprim17ROCPRIM_400000_NS6detail17trampoline_kernelINS0_14default_configENS1_38merge_sort_block_merge_config_selectorIfNS0_10empty_typeEEEZZNS1_27merge_sort_block_merge_implIS3_N6thrust23THRUST_200600_302600_NS6detail15normal_iteratorINS9_10device_ptrIfEEEEPS5_m14custom_greaterIfEEE10hipError_tT0_T1_T2_jT3_P12ihipStream_tbPNSt15iterator_traitsISJ_E10value_typeEPNSP_ISK_E10value_typeEPSL_NS1_7vsmem_tEENKUlT_SJ_SK_SL_E_clIPfSE_SF_SF_EESI_SY_SJ_SK_SL_EUlSY_E1_NS1_11comp_targetILNS1_3genE4ELNS1_11target_archE910ELNS1_3gpuE8ELNS1_3repE0EEENS1_36merge_oddeven_config_static_selectorELNS0_4arch9wavefront6targetE1EEEvSK_,"axG",@progbits,_ZN7rocprim17ROCPRIM_400000_NS6detail17trampoline_kernelINS0_14default_configENS1_38merge_sort_block_merge_config_selectorIfNS0_10empty_typeEEEZZNS1_27merge_sort_block_merge_implIS3_N6thrust23THRUST_200600_302600_NS6detail15normal_iteratorINS9_10device_ptrIfEEEEPS5_m14custom_greaterIfEEE10hipError_tT0_T1_T2_jT3_P12ihipStream_tbPNSt15iterator_traitsISJ_E10value_typeEPNSP_ISK_E10value_typeEPSL_NS1_7vsmem_tEENKUlT_SJ_SK_SL_E_clIPfSE_SF_SF_EESI_SY_SJ_SK_SL_EUlSY_E1_NS1_11comp_targetILNS1_3genE4ELNS1_11target_archE910ELNS1_3gpuE8ELNS1_3repE0EEENS1_36merge_oddeven_config_static_selectorELNS0_4arch9wavefront6targetE1EEEvSK_,comdat
	.protected	_ZN7rocprim17ROCPRIM_400000_NS6detail17trampoline_kernelINS0_14default_configENS1_38merge_sort_block_merge_config_selectorIfNS0_10empty_typeEEEZZNS1_27merge_sort_block_merge_implIS3_N6thrust23THRUST_200600_302600_NS6detail15normal_iteratorINS9_10device_ptrIfEEEEPS5_m14custom_greaterIfEEE10hipError_tT0_T1_T2_jT3_P12ihipStream_tbPNSt15iterator_traitsISJ_E10value_typeEPNSP_ISK_E10value_typeEPSL_NS1_7vsmem_tEENKUlT_SJ_SK_SL_E_clIPfSE_SF_SF_EESI_SY_SJ_SK_SL_EUlSY_E1_NS1_11comp_targetILNS1_3genE4ELNS1_11target_archE910ELNS1_3gpuE8ELNS1_3repE0EEENS1_36merge_oddeven_config_static_selectorELNS0_4arch9wavefront6targetE1EEEvSK_ ; -- Begin function _ZN7rocprim17ROCPRIM_400000_NS6detail17trampoline_kernelINS0_14default_configENS1_38merge_sort_block_merge_config_selectorIfNS0_10empty_typeEEEZZNS1_27merge_sort_block_merge_implIS3_N6thrust23THRUST_200600_302600_NS6detail15normal_iteratorINS9_10device_ptrIfEEEEPS5_m14custom_greaterIfEEE10hipError_tT0_T1_T2_jT3_P12ihipStream_tbPNSt15iterator_traitsISJ_E10value_typeEPNSP_ISK_E10value_typeEPSL_NS1_7vsmem_tEENKUlT_SJ_SK_SL_E_clIPfSE_SF_SF_EESI_SY_SJ_SK_SL_EUlSY_E1_NS1_11comp_targetILNS1_3genE4ELNS1_11target_archE910ELNS1_3gpuE8ELNS1_3repE0EEENS1_36merge_oddeven_config_static_selectorELNS0_4arch9wavefront6targetE1EEEvSK_
	.globl	_ZN7rocprim17ROCPRIM_400000_NS6detail17trampoline_kernelINS0_14default_configENS1_38merge_sort_block_merge_config_selectorIfNS0_10empty_typeEEEZZNS1_27merge_sort_block_merge_implIS3_N6thrust23THRUST_200600_302600_NS6detail15normal_iteratorINS9_10device_ptrIfEEEEPS5_m14custom_greaterIfEEE10hipError_tT0_T1_T2_jT3_P12ihipStream_tbPNSt15iterator_traitsISJ_E10value_typeEPNSP_ISK_E10value_typeEPSL_NS1_7vsmem_tEENKUlT_SJ_SK_SL_E_clIPfSE_SF_SF_EESI_SY_SJ_SK_SL_EUlSY_E1_NS1_11comp_targetILNS1_3genE4ELNS1_11target_archE910ELNS1_3gpuE8ELNS1_3repE0EEENS1_36merge_oddeven_config_static_selectorELNS0_4arch9wavefront6targetE1EEEvSK_
	.p2align	8
	.type	_ZN7rocprim17ROCPRIM_400000_NS6detail17trampoline_kernelINS0_14default_configENS1_38merge_sort_block_merge_config_selectorIfNS0_10empty_typeEEEZZNS1_27merge_sort_block_merge_implIS3_N6thrust23THRUST_200600_302600_NS6detail15normal_iteratorINS9_10device_ptrIfEEEEPS5_m14custom_greaterIfEEE10hipError_tT0_T1_T2_jT3_P12ihipStream_tbPNSt15iterator_traitsISJ_E10value_typeEPNSP_ISK_E10value_typeEPSL_NS1_7vsmem_tEENKUlT_SJ_SK_SL_E_clIPfSE_SF_SF_EESI_SY_SJ_SK_SL_EUlSY_E1_NS1_11comp_targetILNS1_3genE4ELNS1_11target_archE910ELNS1_3gpuE8ELNS1_3repE0EEENS1_36merge_oddeven_config_static_selectorELNS0_4arch9wavefront6targetE1EEEvSK_,@function
_ZN7rocprim17ROCPRIM_400000_NS6detail17trampoline_kernelINS0_14default_configENS1_38merge_sort_block_merge_config_selectorIfNS0_10empty_typeEEEZZNS1_27merge_sort_block_merge_implIS3_N6thrust23THRUST_200600_302600_NS6detail15normal_iteratorINS9_10device_ptrIfEEEEPS5_m14custom_greaterIfEEE10hipError_tT0_T1_T2_jT3_P12ihipStream_tbPNSt15iterator_traitsISJ_E10value_typeEPNSP_ISK_E10value_typeEPSL_NS1_7vsmem_tEENKUlT_SJ_SK_SL_E_clIPfSE_SF_SF_EESI_SY_SJ_SK_SL_EUlSY_E1_NS1_11comp_targetILNS1_3genE4ELNS1_11target_archE910ELNS1_3gpuE8ELNS1_3repE0EEENS1_36merge_oddeven_config_static_selectorELNS0_4arch9wavefront6targetE1EEEvSK_: ; @_ZN7rocprim17ROCPRIM_400000_NS6detail17trampoline_kernelINS0_14default_configENS1_38merge_sort_block_merge_config_selectorIfNS0_10empty_typeEEEZZNS1_27merge_sort_block_merge_implIS3_N6thrust23THRUST_200600_302600_NS6detail15normal_iteratorINS9_10device_ptrIfEEEEPS5_m14custom_greaterIfEEE10hipError_tT0_T1_T2_jT3_P12ihipStream_tbPNSt15iterator_traitsISJ_E10value_typeEPNSP_ISK_E10value_typeEPSL_NS1_7vsmem_tEENKUlT_SJ_SK_SL_E_clIPfSE_SF_SF_EESI_SY_SJ_SK_SL_EUlSY_E1_NS1_11comp_targetILNS1_3genE4ELNS1_11target_archE910ELNS1_3gpuE8ELNS1_3repE0EEENS1_36merge_oddeven_config_static_selectorELNS0_4arch9wavefront6targetE1EEEvSK_
; %bb.0:
	s_load_dword s18, s[4:5], 0x20
	s_waitcnt lgkmcnt(0)
	s_lshr_b32 s0, s18, 8
	s_cmp_lg_u32 s6, s0
	s_cselect_b64 s[14:15], -1, 0
	s_cmp_eq_u32 s6, s0
	s_cselect_b64 s[12:13], -1, 0
	s_lshl_b32 s16, s6, 8
	s_sub_i32 s0, s18, s16
	v_cmp_gt_u32_e64 s[2:3], s0, v0
	s_or_b64 s[0:1], s[14:15], s[2:3]
	s_and_saveexec_b64 s[8:9], s[0:1]
	s_cbranch_execz .LBB3557_20
; %bb.1:
	s_load_dwordx4 s[8:11], s[4:5], 0x0
	s_load_dword s19, s[4:5], 0x28
	s_mov_b32 s17, 0
	s_lshl_b64 s[0:1], s[16:17], 2
	v_lshlrev_b32_e32 v1, 2, v0
	s_waitcnt lgkmcnt(0)
	s_add_u32 s0, s8, s0
	s_addc_u32 s1, s9, s1
	global_load_dword v2, v1, s[0:1]
	s_lshr_b32 s0, s19, 8
	s_sub_i32 s1, 0, s0
	s_and_b32 s1, s6, s1
	s_and_b32 s0, s1, s0
	s_lshl_b32 s20, s1, 8
	s_sub_i32 s6, 0, s19
	s_cmp_eq_u32 s0, 0
	s_cselect_b64 s[0:1], -1, 0
	s_and_b64 s[4:5], s[0:1], exec
	s_cselect_b32 s17, s19, s6
	s_add_i32 s17, s17, s20
	s_cmp_lt_u32 s17, s18
	v_add_u32_e32 v0, s16, v0
	s_cbranch_scc1 .LBB3557_3
; %bb.2:
	v_cmp_gt_u32_e32 vcc, s18, v0
	s_or_b64 s[4:5], vcc, s[14:15]
	s_and_b64 s[4:5], s[4:5], exec
	s_cbranch_execz .LBB3557_4
	s_branch .LBB3557_18
.LBB3557_3:
	s_mov_b64 s[4:5], 0
.LBB3557_4:
	s_min_u32 s14, s17, s18
	s_add_i32 s6, s14, s19
	s_min_u32 s15, s6, s18
	s_min_u32 s6, s20, s14
	s_add_i32 s20, s20, s14
	v_subrev_u32_e32 v0, s20, v0
	v_add_u32_e32 v3, s6, v0
	s_and_b64 vcc, exec, s[12:13]
	s_cbranch_vccz .LBB3557_12
; %bb.5:
                                        ; implicit-def: $vgpr0
	s_and_saveexec_b64 s[6:7], s[2:3]
	s_cbranch_execz .LBB3557_11
; %bb.6:
	s_cmp_ge_u32 s17, s15
	v_mov_b32_e32 v4, s14
	s_cbranch_scc1 .LBB3557_10
; %bb.7:
	s_mov_b64 s[2:3], 0
	v_mov_b32_e32 v5, s15
	v_mov_b32_e32 v4, s14
	;; [unrolled: 1-line block ×4, first 2 shown]
.LBB3557_8:                             ; =>This Inner Loop Header: Depth=1
	v_add_u32_e32 v0, v4, v5
	v_lshrrev_b32_e32 v0, 1, v0
	v_lshlrev_b64 v[8:9], 2, v[0:1]
	v_add_co_u32_e32 v8, vcc, s8, v8
	v_addc_co_u32_e32 v9, vcc, v6, v9, vcc
	global_load_dword v7, v[8:9], off
	v_add_u32_e32 v8, 1, v0
	s_waitcnt vmcnt(0)
	v_cmp_gt_f32_e32 vcc, v2, v7
	v_cndmask_b32_e64 v9, 0, 1, vcc
	v_cmp_ngt_f32_e32 vcc, v7, v2
	v_cndmask_b32_e64 v7, 0, 1, vcc
	v_cndmask_b32_e64 v7, v7, v9, s[0:1]
	v_and_b32_e32 v7, 1, v7
	v_cmp_eq_u32_e32 vcc, 1, v7
	v_cndmask_b32_e32 v5, v0, v5, vcc
	v_cndmask_b32_e32 v4, v4, v8, vcc
	v_cmp_ge_u32_e32 vcc, v4, v5
	s_or_b64 s[2:3], vcc, s[2:3]
	s_andn2_b64 exec, exec, s[2:3]
	s_cbranch_execnz .LBB3557_8
; %bb.9:
	s_or_b64 exec, exec, s[2:3]
.LBB3557_10:
	v_add_u32_e32 v0, v4, v3
	s_or_b64 s[4:5], s[4:5], exec
.LBB3557_11:
	s_or_b64 exec, exec, s[6:7]
	s_branch .LBB3557_18
.LBB3557_12:
                                        ; implicit-def: $vgpr0
	s_cbranch_execz .LBB3557_18
; %bb.13:
	s_cmp_ge_u32 s17, s15
	v_mov_b32_e32 v4, s14
	s_cbranch_scc1 .LBB3557_17
; %bb.14:
	s_mov_b64 s[2:3], 0
	v_mov_b32_e32 v5, s15
	v_mov_b32_e32 v4, s14
	;; [unrolled: 1-line block ×4, first 2 shown]
.LBB3557_15:                            ; =>This Inner Loop Header: Depth=1
	v_add_u32_e32 v0, v4, v5
	v_lshrrev_b32_e32 v0, 1, v0
	v_lshlrev_b64 v[8:9], 2, v[0:1]
	v_add_co_u32_e32 v8, vcc, s8, v8
	v_addc_co_u32_e32 v9, vcc, v6, v9, vcc
	global_load_dword v7, v[8:9], off
	v_add_u32_e32 v8, 1, v0
	s_waitcnt vmcnt(0)
	v_cmp_gt_f32_e32 vcc, v2, v7
	v_cndmask_b32_e64 v9, 0, 1, vcc
	v_cmp_ngt_f32_e32 vcc, v7, v2
	v_cndmask_b32_e64 v7, 0, 1, vcc
	v_cndmask_b32_e64 v7, v7, v9, s[0:1]
	v_and_b32_e32 v7, 1, v7
	v_cmp_eq_u32_e32 vcc, 1, v7
	v_cndmask_b32_e32 v5, v0, v5, vcc
	v_cndmask_b32_e32 v4, v4, v8, vcc
	v_cmp_ge_u32_e32 vcc, v4, v5
	s_or_b64 s[2:3], vcc, s[2:3]
	s_andn2_b64 exec, exec, s[2:3]
	s_cbranch_execnz .LBB3557_15
; %bb.16:
	s_or_b64 exec, exec, s[2:3]
.LBB3557_17:
	v_add_u32_e32 v0, v4, v3
	s_mov_b64 s[4:5], -1
.LBB3557_18:
	s_and_b64 exec, exec, s[4:5]
	s_cbranch_execz .LBB3557_20
; %bb.19:
	v_mov_b32_e32 v1, 0
	v_lshlrev_b64 v[0:1], 2, v[0:1]
	v_mov_b32_e32 v3, s11
	v_add_co_u32_e32 v0, vcc, s10, v0
	v_addc_co_u32_e32 v1, vcc, v3, v1, vcc
	s_waitcnt vmcnt(0)
	global_store_dword v[0:1], v2, off
.LBB3557_20:
	s_endpgm
	.section	.rodata,"a",@progbits
	.p2align	6, 0x0
	.amdhsa_kernel _ZN7rocprim17ROCPRIM_400000_NS6detail17trampoline_kernelINS0_14default_configENS1_38merge_sort_block_merge_config_selectorIfNS0_10empty_typeEEEZZNS1_27merge_sort_block_merge_implIS3_N6thrust23THRUST_200600_302600_NS6detail15normal_iteratorINS9_10device_ptrIfEEEEPS5_m14custom_greaterIfEEE10hipError_tT0_T1_T2_jT3_P12ihipStream_tbPNSt15iterator_traitsISJ_E10value_typeEPNSP_ISK_E10value_typeEPSL_NS1_7vsmem_tEENKUlT_SJ_SK_SL_E_clIPfSE_SF_SF_EESI_SY_SJ_SK_SL_EUlSY_E1_NS1_11comp_targetILNS1_3genE4ELNS1_11target_archE910ELNS1_3gpuE8ELNS1_3repE0EEENS1_36merge_oddeven_config_static_selectorELNS0_4arch9wavefront6targetE1EEEvSK_
		.amdhsa_group_segment_fixed_size 0
		.amdhsa_private_segment_fixed_size 0
		.amdhsa_kernarg_size 56
		.amdhsa_user_sgpr_count 6
		.amdhsa_user_sgpr_private_segment_buffer 1
		.amdhsa_user_sgpr_dispatch_ptr 0
		.amdhsa_user_sgpr_queue_ptr 0
		.amdhsa_user_sgpr_kernarg_segment_ptr 1
		.amdhsa_user_sgpr_dispatch_id 0
		.amdhsa_user_sgpr_flat_scratch_init 0
		.amdhsa_user_sgpr_kernarg_preload_length 0
		.amdhsa_user_sgpr_kernarg_preload_offset 0
		.amdhsa_user_sgpr_private_segment_size 0
		.amdhsa_uses_dynamic_stack 0
		.amdhsa_system_sgpr_private_segment_wavefront_offset 0
		.amdhsa_system_sgpr_workgroup_id_x 1
		.amdhsa_system_sgpr_workgroup_id_y 0
		.amdhsa_system_sgpr_workgroup_id_z 0
		.amdhsa_system_sgpr_workgroup_info 0
		.amdhsa_system_vgpr_workitem_id 0
		.amdhsa_next_free_vgpr 10
		.amdhsa_next_free_sgpr 21
		.amdhsa_accum_offset 12
		.amdhsa_reserve_vcc 1
		.amdhsa_reserve_flat_scratch 0
		.amdhsa_float_round_mode_32 0
		.amdhsa_float_round_mode_16_64 0
		.amdhsa_float_denorm_mode_32 3
		.amdhsa_float_denorm_mode_16_64 3
		.amdhsa_dx10_clamp 1
		.amdhsa_ieee_mode 1
		.amdhsa_fp16_overflow 0
		.amdhsa_tg_split 0
		.amdhsa_exception_fp_ieee_invalid_op 0
		.amdhsa_exception_fp_denorm_src 0
		.amdhsa_exception_fp_ieee_div_zero 0
		.amdhsa_exception_fp_ieee_overflow 0
		.amdhsa_exception_fp_ieee_underflow 0
		.amdhsa_exception_fp_ieee_inexact 0
		.amdhsa_exception_int_div_zero 0
	.end_amdhsa_kernel
	.section	.text._ZN7rocprim17ROCPRIM_400000_NS6detail17trampoline_kernelINS0_14default_configENS1_38merge_sort_block_merge_config_selectorIfNS0_10empty_typeEEEZZNS1_27merge_sort_block_merge_implIS3_N6thrust23THRUST_200600_302600_NS6detail15normal_iteratorINS9_10device_ptrIfEEEEPS5_m14custom_greaterIfEEE10hipError_tT0_T1_T2_jT3_P12ihipStream_tbPNSt15iterator_traitsISJ_E10value_typeEPNSP_ISK_E10value_typeEPSL_NS1_7vsmem_tEENKUlT_SJ_SK_SL_E_clIPfSE_SF_SF_EESI_SY_SJ_SK_SL_EUlSY_E1_NS1_11comp_targetILNS1_3genE4ELNS1_11target_archE910ELNS1_3gpuE8ELNS1_3repE0EEENS1_36merge_oddeven_config_static_selectorELNS0_4arch9wavefront6targetE1EEEvSK_,"axG",@progbits,_ZN7rocprim17ROCPRIM_400000_NS6detail17trampoline_kernelINS0_14default_configENS1_38merge_sort_block_merge_config_selectorIfNS0_10empty_typeEEEZZNS1_27merge_sort_block_merge_implIS3_N6thrust23THRUST_200600_302600_NS6detail15normal_iteratorINS9_10device_ptrIfEEEEPS5_m14custom_greaterIfEEE10hipError_tT0_T1_T2_jT3_P12ihipStream_tbPNSt15iterator_traitsISJ_E10value_typeEPNSP_ISK_E10value_typeEPSL_NS1_7vsmem_tEENKUlT_SJ_SK_SL_E_clIPfSE_SF_SF_EESI_SY_SJ_SK_SL_EUlSY_E1_NS1_11comp_targetILNS1_3genE4ELNS1_11target_archE910ELNS1_3gpuE8ELNS1_3repE0EEENS1_36merge_oddeven_config_static_selectorELNS0_4arch9wavefront6targetE1EEEvSK_,comdat
.Lfunc_end3557:
	.size	_ZN7rocprim17ROCPRIM_400000_NS6detail17trampoline_kernelINS0_14default_configENS1_38merge_sort_block_merge_config_selectorIfNS0_10empty_typeEEEZZNS1_27merge_sort_block_merge_implIS3_N6thrust23THRUST_200600_302600_NS6detail15normal_iteratorINS9_10device_ptrIfEEEEPS5_m14custom_greaterIfEEE10hipError_tT0_T1_T2_jT3_P12ihipStream_tbPNSt15iterator_traitsISJ_E10value_typeEPNSP_ISK_E10value_typeEPSL_NS1_7vsmem_tEENKUlT_SJ_SK_SL_E_clIPfSE_SF_SF_EESI_SY_SJ_SK_SL_EUlSY_E1_NS1_11comp_targetILNS1_3genE4ELNS1_11target_archE910ELNS1_3gpuE8ELNS1_3repE0EEENS1_36merge_oddeven_config_static_selectorELNS0_4arch9wavefront6targetE1EEEvSK_, .Lfunc_end3557-_ZN7rocprim17ROCPRIM_400000_NS6detail17trampoline_kernelINS0_14default_configENS1_38merge_sort_block_merge_config_selectorIfNS0_10empty_typeEEEZZNS1_27merge_sort_block_merge_implIS3_N6thrust23THRUST_200600_302600_NS6detail15normal_iteratorINS9_10device_ptrIfEEEEPS5_m14custom_greaterIfEEE10hipError_tT0_T1_T2_jT3_P12ihipStream_tbPNSt15iterator_traitsISJ_E10value_typeEPNSP_ISK_E10value_typeEPSL_NS1_7vsmem_tEENKUlT_SJ_SK_SL_E_clIPfSE_SF_SF_EESI_SY_SJ_SK_SL_EUlSY_E1_NS1_11comp_targetILNS1_3genE4ELNS1_11target_archE910ELNS1_3gpuE8ELNS1_3repE0EEENS1_36merge_oddeven_config_static_selectorELNS0_4arch9wavefront6targetE1EEEvSK_
                                        ; -- End function
	.section	.AMDGPU.csdata,"",@progbits
; Kernel info:
; codeLenInByte = 588
; NumSgprs: 25
; NumVgprs: 10
; NumAgprs: 0
; TotalNumVgprs: 10
; ScratchSize: 0
; MemoryBound: 0
; FloatMode: 240
; IeeeMode: 1
; LDSByteSize: 0 bytes/workgroup (compile time only)
; SGPRBlocks: 3
; VGPRBlocks: 1
; NumSGPRsForWavesPerEU: 25
; NumVGPRsForWavesPerEU: 10
; AccumOffset: 12
; Occupancy: 8
; WaveLimiterHint : 0
; COMPUTE_PGM_RSRC2:SCRATCH_EN: 0
; COMPUTE_PGM_RSRC2:USER_SGPR: 6
; COMPUTE_PGM_RSRC2:TRAP_HANDLER: 0
; COMPUTE_PGM_RSRC2:TGID_X_EN: 1
; COMPUTE_PGM_RSRC2:TGID_Y_EN: 0
; COMPUTE_PGM_RSRC2:TGID_Z_EN: 0
; COMPUTE_PGM_RSRC2:TIDIG_COMP_CNT: 0
; COMPUTE_PGM_RSRC3_GFX90A:ACCUM_OFFSET: 2
; COMPUTE_PGM_RSRC3_GFX90A:TG_SPLIT: 0
	.section	.text._ZN7rocprim17ROCPRIM_400000_NS6detail17trampoline_kernelINS0_14default_configENS1_38merge_sort_block_merge_config_selectorIfNS0_10empty_typeEEEZZNS1_27merge_sort_block_merge_implIS3_N6thrust23THRUST_200600_302600_NS6detail15normal_iteratorINS9_10device_ptrIfEEEEPS5_m14custom_greaterIfEEE10hipError_tT0_T1_T2_jT3_P12ihipStream_tbPNSt15iterator_traitsISJ_E10value_typeEPNSP_ISK_E10value_typeEPSL_NS1_7vsmem_tEENKUlT_SJ_SK_SL_E_clIPfSE_SF_SF_EESI_SY_SJ_SK_SL_EUlSY_E1_NS1_11comp_targetILNS1_3genE3ELNS1_11target_archE908ELNS1_3gpuE7ELNS1_3repE0EEENS1_36merge_oddeven_config_static_selectorELNS0_4arch9wavefront6targetE1EEEvSK_,"axG",@progbits,_ZN7rocprim17ROCPRIM_400000_NS6detail17trampoline_kernelINS0_14default_configENS1_38merge_sort_block_merge_config_selectorIfNS0_10empty_typeEEEZZNS1_27merge_sort_block_merge_implIS3_N6thrust23THRUST_200600_302600_NS6detail15normal_iteratorINS9_10device_ptrIfEEEEPS5_m14custom_greaterIfEEE10hipError_tT0_T1_T2_jT3_P12ihipStream_tbPNSt15iterator_traitsISJ_E10value_typeEPNSP_ISK_E10value_typeEPSL_NS1_7vsmem_tEENKUlT_SJ_SK_SL_E_clIPfSE_SF_SF_EESI_SY_SJ_SK_SL_EUlSY_E1_NS1_11comp_targetILNS1_3genE3ELNS1_11target_archE908ELNS1_3gpuE7ELNS1_3repE0EEENS1_36merge_oddeven_config_static_selectorELNS0_4arch9wavefront6targetE1EEEvSK_,comdat
	.protected	_ZN7rocprim17ROCPRIM_400000_NS6detail17trampoline_kernelINS0_14default_configENS1_38merge_sort_block_merge_config_selectorIfNS0_10empty_typeEEEZZNS1_27merge_sort_block_merge_implIS3_N6thrust23THRUST_200600_302600_NS6detail15normal_iteratorINS9_10device_ptrIfEEEEPS5_m14custom_greaterIfEEE10hipError_tT0_T1_T2_jT3_P12ihipStream_tbPNSt15iterator_traitsISJ_E10value_typeEPNSP_ISK_E10value_typeEPSL_NS1_7vsmem_tEENKUlT_SJ_SK_SL_E_clIPfSE_SF_SF_EESI_SY_SJ_SK_SL_EUlSY_E1_NS1_11comp_targetILNS1_3genE3ELNS1_11target_archE908ELNS1_3gpuE7ELNS1_3repE0EEENS1_36merge_oddeven_config_static_selectorELNS0_4arch9wavefront6targetE1EEEvSK_ ; -- Begin function _ZN7rocprim17ROCPRIM_400000_NS6detail17trampoline_kernelINS0_14default_configENS1_38merge_sort_block_merge_config_selectorIfNS0_10empty_typeEEEZZNS1_27merge_sort_block_merge_implIS3_N6thrust23THRUST_200600_302600_NS6detail15normal_iteratorINS9_10device_ptrIfEEEEPS5_m14custom_greaterIfEEE10hipError_tT0_T1_T2_jT3_P12ihipStream_tbPNSt15iterator_traitsISJ_E10value_typeEPNSP_ISK_E10value_typeEPSL_NS1_7vsmem_tEENKUlT_SJ_SK_SL_E_clIPfSE_SF_SF_EESI_SY_SJ_SK_SL_EUlSY_E1_NS1_11comp_targetILNS1_3genE3ELNS1_11target_archE908ELNS1_3gpuE7ELNS1_3repE0EEENS1_36merge_oddeven_config_static_selectorELNS0_4arch9wavefront6targetE1EEEvSK_
	.globl	_ZN7rocprim17ROCPRIM_400000_NS6detail17trampoline_kernelINS0_14default_configENS1_38merge_sort_block_merge_config_selectorIfNS0_10empty_typeEEEZZNS1_27merge_sort_block_merge_implIS3_N6thrust23THRUST_200600_302600_NS6detail15normal_iteratorINS9_10device_ptrIfEEEEPS5_m14custom_greaterIfEEE10hipError_tT0_T1_T2_jT3_P12ihipStream_tbPNSt15iterator_traitsISJ_E10value_typeEPNSP_ISK_E10value_typeEPSL_NS1_7vsmem_tEENKUlT_SJ_SK_SL_E_clIPfSE_SF_SF_EESI_SY_SJ_SK_SL_EUlSY_E1_NS1_11comp_targetILNS1_3genE3ELNS1_11target_archE908ELNS1_3gpuE7ELNS1_3repE0EEENS1_36merge_oddeven_config_static_selectorELNS0_4arch9wavefront6targetE1EEEvSK_
	.p2align	8
	.type	_ZN7rocprim17ROCPRIM_400000_NS6detail17trampoline_kernelINS0_14default_configENS1_38merge_sort_block_merge_config_selectorIfNS0_10empty_typeEEEZZNS1_27merge_sort_block_merge_implIS3_N6thrust23THRUST_200600_302600_NS6detail15normal_iteratorINS9_10device_ptrIfEEEEPS5_m14custom_greaterIfEEE10hipError_tT0_T1_T2_jT3_P12ihipStream_tbPNSt15iterator_traitsISJ_E10value_typeEPNSP_ISK_E10value_typeEPSL_NS1_7vsmem_tEENKUlT_SJ_SK_SL_E_clIPfSE_SF_SF_EESI_SY_SJ_SK_SL_EUlSY_E1_NS1_11comp_targetILNS1_3genE3ELNS1_11target_archE908ELNS1_3gpuE7ELNS1_3repE0EEENS1_36merge_oddeven_config_static_selectorELNS0_4arch9wavefront6targetE1EEEvSK_,@function
_ZN7rocprim17ROCPRIM_400000_NS6detail17trampoline_kernelINS0_14default_configENS1_38merge_sort_block_merge_config_selectorIfNS0_10empty_typeEEEZZNS1_27merge_sort_block_merge_implIS3_N6thrust23THRUST_200600_302600_NS6detail15normal_iteratorINS9_10device_ptrIfEEEEPS5_m14custom_greaterIfEEE10hipError_tT0_T1_T2_jT3_P12ihipStream_tbPNSt15iterator_traitsISJ_E10value_typeEPNSP_ISK_E10value_typeEPSL_NS1_7vsmem_tEENKUlT_SJ_SK_SL_E_clIPfSE_SF_SF_EESI_SY_SJ_SK_SL_EUlSY_E1_NS1_11comp_targetILNS1_3genE3ELNS1_11target_archE908ELNS1_3gpuE7ELNS1_3repE0EEENS1_36merge_oddeven_config_static_selectorELNS0_4arch9wavefront6targetE1EEEvSK_: ; @_ZN7rocprim17ROCPRIM_400000_NS6detail17trampoline_kernelINS0_14default_configENS1_38merge_sort_block_merge_config_selectorIfNS0_10empty_typeEEEZZNS1_27merge_sort_block_merge_implIS3_N6thrust23THRUST_200600_302600_NS6detail15normal_iteratorINS9_10device_ptrIfEEEEPS5_m14custom_greaterIfEEE10hipError_tT0_T1_T2_jT3_P12ihipStream_tbPNSt15iterator_traitsISJ_E10value_typeEPNSP_ISK_E10value_typeEPSL_NS1_7vsmem_tEENKUlT_SJ_SK_SL_E_clIPfSE_SF_SF_EESI_SY_SJ_SK_SL_EUlSY_E1_NS1_11comp_targetILNS1_3genE3ELNS1_11target_archE908ELNS1_3gpuE7ELNS1_3repE0EEENS1_36merge_oddeven_config_static_selectorELNS0_4arch9wavefront6targetE1EEEvSK_
; %bb.0:
	.section	.rodata,"a",@progbits
	.p2align	6, 0x0
	.amdhsa_kernel _ZN7rocprim17ROCPRIM_400000_NS6detail17trampoline_kernelINS0_14default_configENS1_38merge_sort_block_merge_config_selectorIfNS0_10empty_typeEEEZZNS1_27merge_sort_block_merge_implIS3_N6thrust23THRUST_200600_302600_NS6detail15normal_iteratorINS9_10device_ptrIfEEEEPS5_m14custom_greaterIfEEE10hipError_tT0_T1_T2_jT3_P12ihipStream_tbPNSt15iterator_traitsISJ_E10value_typeEPNSP_ISK_E10value_typeEPSL_NS1_7vsmem_tEENKUlT_SJ_SK_SL_E_clIPfSE_SF_SF_EESI_SY_SJ_SK_SL_EUlSY_E1_NS1_11comp_targetILNS1_3genE3ELNS1_11target_archE908ELNS1_3gpuE7ELNS1_3repE0EEENS1_36merge_oddeven_config_static_selectorELNS0_4arch9wavefront6targetE1EEEvSK_
		.amdhsa_group_segment_fixed_size 0
		.amdhsa_private_segment_fixed_size 0
		.amdhsa_kernarg_size 56
		.amdhsa_user_sgpr_count 6
		.amdhsa_user_sgpr_private_segment_buffer 1
		.amdhsa_user_sgpr_dispatch_ptr 0
		.amdhsa_user_sgpr_queue_ptr 0
		.amdhsa_user_sgpr_kernarg_segment_ptr 1
		.amdhsa_user_sgpr_dispatch_id 0
		.amdhsa_user_sgpr_flat_scratch_init 0
		.amdhsa_user_sgpr_kernarg_preload_length 0
		.amdhsa_user_sgpr_kernarg_preload_offset 0
		.amdhsa_user_sgpr_private_segment_size 0
		.amdhsa_uses_dynamic_stack 0
		.amdhsa_system_sgpr_private_segment_wavefront_offset 0
		.amdhsa_system_sgpr_workgroup_id_x 1
		.amdhsa_system_sgpr_workgroup_id_y 0
		.amdhsa_system_sgpr_workgroup_id_z 0
		.amdhsa_system_sgpr_workgroup_info 0
		.amdhsa_system_vgpr_workitem_id 0
		.amdhsa_next_free_vgpr 1
		.amdhsa_next_free_sgpr 0
		.amdhsa_accum_offset 4
		.amdhsa_reserve_vcc 0
		.amdhsa_reserve_flat_scratch 0
		.amdhsa_float_round_mode_32 0
		.amdhsa_float_round_mode_16_64 0
		.amdhsa_float_denorm_mode_32 3
		.amdhsa_float_denorm_mode_16_64 3
		.amdhsa_dx10_clamp 1
		.amdhsa_ieee_mode 1
		.amdhsa_fp16_overflow 0
		.amdhsa_tg_split 0
		.amdhsa_exception_fp_ieee_invalid_op 0
		.amdhsa_exception_fp_denorm_src 0
		.amdhsa_exception_fp_ieee_div_zero 0
		.amdhsa_exception_fp_ieee_overflow 0
		.amdhsa_exception_fp_ieee_underflow 0
		.amdhsa_exception_fp_ieee_inexact 0
		.amdhsa_exception_int_div_zero 0
	.end_amdhsa_kernel
	.section	.text._ZN7rocprim17ROCPRIM_400000_NS6detail17trampoline_kernelINS0_14default_configENS1_38merge_sort_block_merge_config_selectorIfNS0_10empty_typeEEEZZNS1_27merge_sort_block_merge_implIS3_N6thrust23THRUST_200600_302600_NS6detail15normal_iteratorINS9_10device_ptrIfEEEEPS5_m14custom_greaterIfEEE10hipError_tT0_T1_T2_jT3_P12ihipStream_tbPNSt15iterator_traitsISJ_E10value_typeEPNSP_ISK_E10value_typeEPSL_NS1_7vsmem_tEENKUlT_SJ_SK_SL_E_clIPfSE_SF_SF_EESI_SY_SJ_SK_SL_EUlSY_E1_NS1_11comp_targetILNS1_3genE3ELNS1_11target_archE908ELNS1_3gpuE7ELNS1_3repE0EEENS1_36merge_oddeven_config_static_selectorELNS0_4arch9wavefront6targetE1EEEvSK_,"axG",@progbits,_ZN7rocprim17ROCPRIM_400000_NS6detail17trampoline_kernelINS0_14default_configENS1_38merge_sort_block_merge_config_selectorIfNS0_10empty_typeEEEZZNS1_27merge_sort_block_merge_implIS3_N6thrust23THRUST_200600_302600_NS6detail15normal_iteratorINS9_10device_ptrIfEEEEPS5_m14custom_greaterIfEEE10hipError_tT0_T1_T2_jT3_P12ihipStream_tbPNSt15iterator_traitsISJ_E10value_typeEPNSP_ISK_E10value_typeEPSL_NS1_7vsmem_tEENKUlT_SJ_SK_SL_E_clIPfSE_SF_SF_EESI_SY_SJ_SK_SL_EUlSY_E1_NS1_11comp_targetILNS1_3genE3ELNS1_11target_archE908ELNS1_3gpuE7ELNS1_3repE0EEENS1_36merge_oddeven_config_static_selectorELNS0_4arch9wavefront6targetE1EEEvSK_,comdat
.Lfunc_end3558:
	.size	_ZN7rocprim17ROCPRIM_400000_NS6detail17trampoline_kernelINS0_14default_configENS1_38merge_sort_block_merge_config_selectorIfNS0_10empty_typeEEEZZNS1_27merge_sort_block_merge_implIS3_N6thrust23THRUST_200600_302600_NS6detail15normal_iteratorINS9_10device_ptrIfEEEEPS5_m14custom_greaterIfEEE10hipError_tT0_T1_T2_jT3_P12ihipStream_tbPNSt15iterator_traitsISJ_E10value_typeEPNSP_ISK_E10value_typeEPSL_NS1_7vsmem_tEENKUlT_SJ_SK_SL_E_clIPfSE_SF_SF_EESI_SY_SJ_SK_SL_EUlSY_E1_NS1_11comp_targetILNS1_3genE3ELNS1_11target_archE908ELNS1_3gpuE7ELNS1_3repE0EEENS1_36merge_oddeven_config_static_selectorELNS0_4arch9wavefront6targetE1EEEvSK_, .Lfunc_end3558-_ZN7rocprim17ROCPRIM_400000_NS6detail17trampoline_kernelINS0_14default_configENS1_38merge_sort_block_merge_config_selectorIfNS0_10empty_typeEEEZZNS1_27merge_sort_block_merge_implIS3_N6thrust23THRUST_200600_302600_NS6detail15normal_iteratorINS9_10device_ptrIfEEEEPS5_m14custom_greaterIfEEE10hipError_tT0_T1_T2_jT3_P12ihipStream_tbPNSt15iterator_traitsISJ_E10value_typeEPNSP_ISK_E10value_typeEPSL_NS1_7vsmem_tEENKUlT_SJ_SK_SL_E_clIPfSE_SF_SF_EESI_SY_SJ_SK_SL_EUlSY_E1_NS1_11comp_targetILNS1_3genE3ELNS1_11target_archE908ELNS1_3gpuE7ELNS1_3repE0EEENS1_36merge_oddeven_config_static_selectorELNS0_4arch9wavefront6targetE1EEEvSK_
                                        ; -- End function
	.section	.AMDGPU.csdata,"",@progbits
; Kernel info:
; codeLenInByte = 0
; NumSgprs: 4
; NumVgprs: 0
; NumAgprs: 0
; TotalNumVgprs: 0
; ScratchSize: 0
; MemoryBound: 0
; FloatMode: 240
; IeeeMode: 1
; LDSByteSize: 0 bytes/workgroup (compile time only)
; SGPRBlocks: 0
; VGPRBlocks: 0
; NumSGPRsForWavesPerEU: 4
; NumVGPRsForWavesPerEU: 1
; AccumOffset: 4
; Occupancy: 8
; WaveLimiterHint : 0
; COMPUTE_PGM_RSRC2:SCRATCH_EN: 0
; COMPUTE_PGM_RSRC2:USER_SGPR: 6
; COMPUTE_PGM_RSRC2:TRAP_HANDLER: 0
; COMPUTE_PGM_RSRC2:TGID_X_EN: 1
; COMPUTE_PGM_RSRC2:TGID_Y_EN: 0
; COMPUTE_PGM_RSRC2:TGID_Z_EN: 0
; COMPUTE_PGM_RSRC2:TIDIG_COMP_CNT: 0
; COMPUTE_PGM_RSRC3_GFX90A:ACCUM_OFFSET: 0
; COMPUTE_PGM_RSRC3_GFX90A:TG_SPLIT: 0
	.section	.text._ZN7rocprim17ROCPRIM_400000_NS6detail17trampoline_kernelINS0_14default_configENS1_38merge_sort_block_merge_config_selectorIfNS0_10empty_typeEEEZZNS1_27merge_sort_block_merge_implIS3_N6thrust23THRUST_200600_302600_NS6detail15normal_iteratorINS9_10device_ptrIfEEEEPS5_m14custom_greaterIfEEE10hipError_tT0_T1_T2_jT3_P12ihipStream_tbPNSt15iterator_traitsISJ_E10value_typeEPNSP_ISK_E10value_typeEPSL_NS1_7vsmem_tEENKUlT_SJ_SK_SL_E_clIPfSE_SF_SF_EESI_SY_SJ_SK_SL_EUlSY_E1_NS1_11comp_targetILNS1_3genE2ELNS1_11target_archE906ELNS1_3gpuE6ELNS1_3repE0EEENS1_36merge_oddeven_config_static_selectorELNS0_4arch9wavefront6targetE1EEEvSK_,"axG",@progbits,_ZN7rocprim17ROCPRIM_400000_NS6detail17trampoline_kernelINS0_14default_configENS1_38merge_sort_block_merge_config_selectorIfNS0_10empty_typeEEEZZNS1_27merge_sort_block_merge_implIS3_N6thrust23THRUST_200600_302600_NS6detail15normal_iteratorINS9_10device_ptrIfEEEEPS5_m14custom_greaterIfEEE10hipError_tT0_T1_T2_jT3_P12ihipStream_tbPNSt15iterator_traitsISJ_E10value_typeEPNSP_ISK_E10value_typeEPSL_NS1_7vsmem_tEENKUlT_SJ_SK_SL_E_clIPfSE_SF_SF_EESI_SY_SJ_SK_SL_EUlSY_E1_NS1_11comp_targetILNS1_3genE2ELNS1_11target_archE906ELNS1_3gpuE6ELNS1_3repE0EEENS1_36merge_oddeven_config_static_selectorELNS0_4arch9wavefront6targetE1EEEvSK_,comdat
	.protected	_ZN7rocprim17ROCPRIM_400000_NS6detail17trampoline_kernelINS0_14default_configENS1_38merge_sort_block_merge_config_selectorIfNS0_10empty_typeEEEZZNS1_27merge_sort_block_merge_implIS3_N6thrust23THRUST_200600_302600_NS6detail15normal_iteratorINS9_10device_ptrIfEEEEPS5_m14custom_greaterIfEEE10hipError_tT0_T1_T2_jT3_P12ihipStream_tbPNSt15iterator_traitsISJ_E10value_typeEPNSP_ISK_E10value_typeEPSL_NS1_7vsmem_tEENKUlT_SJ_SK_SL_E_clIPfSE_SF_SF_EESI_SY_SJ_SK_SL_EUlSY_E1_NS1_11comp_targetILNS1_3genE2ELNS1_11target_archE906ELNS1_3gpuE6ELNS1_3repE0EEENS1_36merge_oddeven_config_static_selectorELNS0_4arch9wavefront6targetE1EEEvSK_ ; -- Begin function _ZN7rocprim17ROCPRIM_400000_NS6detail17trampoline_kernelINS0_14default_configENS1_38merge_sort_block_merge_config_selectorIfNS0_10empty_typeEEEZZNS1_27merge_sort_block_merge_implIS3_N6thrust23THRUST_200600_302600_NS6detail15normal_iteratorINS9_10device_ptrIfEEEEPS5_m14custom_greaterIfEEE10hipError_tT0_T1_T2_jT3_P12ihipStream_tbPNSt15iterator_traitsISJ_E10value_typeEPNSP_ISK_E10value_typeEPSL_NS1_7vsmem_tEENKUlT_SJ_SK_SL_E_clIPfSE_SF_SF_EESI_SY_SJ_SK_SL_EUlSY_E1_NS1_11comp_targetILNS1_3genE2ELNS1_11target_archE906ELNS1_3gpuE6ELNS1_3repE0EEENS1_36merge_oddeven_config_static_selectorELNS0_4arch9wavefront6targetE1EEEvSK_
	.globl	_ZN7rocprim17ROCPRIM_400000_NS6detail17trampoline_kernelINS0_14default_configENS1_38merge_sort_block_merge_config_selectorIfNS0_10empty_typeEEEZZNS1_27merge_sort_block_merge_implIS3_N6thrust23THRUST_200600_302600_NS6detail15normal_iteratorINS9_10device_ptrIfEEEEPS5_m14custom_greaterIfEEE10hipError_tT0_T1_T2_jT3_P12ihipStream_tbPNSt15iterator_traitsISJ_E10value_typeEPNSP_ISK_E10value_typeEPSL_NS1_7vsmem_tEENKUlT_SJ_SK_SL_E_clIPfSE_SF_SF_EESI_SY_SJ_SK_SL_EUlSY_E1_NS1_11comp_targetILNS1_3genE2ELNS1_11target_archE906ELNS1_3gpuE6ELNS1_3repE0EEENS1_36merge_oddeven_config_static_selectorELNS0_4arch9wavefront6targetE1EEEvSK_
	.p2align	8
	.type	_ZN7rocprim17ROCPRIM_400000_NS6detail17trampoline_kernelINS0_14default_configENS1_38merge_sort_block_merge_config_selectorIfNS0_10empty_typeEEEZZNS1_27merge_sort_block_merge_implIS3_N6thrust23THRUST_200600_302600_NS6detail15normal_iteratorINS9_10device_ptrIfEEEEPS5_m14custom_greaterIfEEE10hipError_tT0_T1_T2_jT3_P12ihipStream_tbPNSt15iterator_traitsISJ_E10value_typeEPNSP_ISK_E10value_typeEPSL_NS1_7vsmem_tEENKUlT_SJ_SK_SL_E_clIPfSE_SF_SF_EESI_SY_SJ_SK_SL_EUlSY_E1_NS1_11comp_targetILNS1_3genE2ELNS1_11target_archE906ELNS1_3gpuE6ELNS1_3repE0EEENS1_36merge_oddeven_config_static_selectorELNS0_4arch9wavefront6targetE1EEEvSK_,@function
_ZN7rocprim17ROCPRIM_400000_NS6detail17trampoline_kernelINS0_14default_configENS1_38merge_sort_block_merge_config_selectorIfNS0_10empty_typeEEEZZNS1_27merge_sort_block_merge_implIS3_N6thrust23THRUST_200600_302600_NS6detail15normal_iteratorINS9_10device_ptrIfEEEEPS5_m14custom_greaterIfEEE10hipError_tT0_T1_T2_jT3_P12ihipStream_tbPNSt15iterator_traitsISJ_E10value_typeEPNSP_ISK_E10value_typeEPSL_NS1_7vsmem_tEENKUlT_SJ_SK_SL_E_clIPfSE_SF_SF_EESI_SY_SJ_SK_SL_EUlSY_E1_NS1_11comp_targetILNS1_3genE2ELNS1_11target_archE906ELNS1_3gpuE6ELNS1_3repE0EEENS1_36merge_oddeven_config_static_selectorELNS0_4arch9wavefront6targetE1EEEvSK_: ; @_ZN7rocprim17ROCPRIM_400000_NS6detail17trampoline_kernelINS0_14default_configENS1_38merge_sort_block_merge_config_selectorIfNS0_10empty_typeEEEZZNS1_27merge_sort_block_merge_implIS3_N6thrust23THRUST_200600_302600_NS6detail15normal_iteratorINS9_10device_ptrIfEEEEPS5_m14custom_greaterIfEEE10hipError_tT0_T1_T2_jT3_P12ihipStream_tbPNSt15iterator_traitsISJ_E10value_typeEPNSP_ISK_E10value_typeEPSL_NS1_7vsmem_tEENKUlT_SJ_SK_SL_E_clIPfSE_SF_SF_EESI_SY_SJ_SK_SL_EUlSY_E1_NS1_11comp_targetILNS1_3genE2ELNS1_11target_archE906ELNS1_3gpuE6ELNS1_3repE0EEENS1_36merge_oddeven_config_static_selectorELNS0_4arch9wavefront6targetE1EEEvSK_
; %bb.0:
	.section	.rodata,"a",@progbits
	.p2align	6, 0x0
	.amdhsa_kernel _ZN7rocprim17ROCPRIM_400000_NS6detail17trampoline_kernelINS0_14default_configENS1_38merge_sort_block_merge_config_selectorIfNS0_10empty_typeEEEZZNS1_27merge_sort_block_merge_implIS3_N6thrust23THRUST_200600_302600_NS6detail15normal_iteratorINS9_10device_ptrIfEEEEPS5_m14custom_greaterIfEEE10hipError_tT0_T1_T2_jT3_P12ihipStream_tbPNSt15iterator_traitsISJ_E10value_typeEPNSP_ISK_E10value_typeEPSL_NS1_7vsmem_tEENKUlT_SJ_SK_SL_E_clIPfSE_SF_SF_EESI_SY_SJ_SK_SL_EUlSY_E1_NS1_11comp_targetILNS1_3genE2ELNS1_11target_archE906ELNS1_3gpuE6ELNS1_3repE0EEENS1_36merge_oddeven_config_static_selectorELNS0_4arch9wavefront6targetE1EEEvSK_
		.amdhsa_group_segment_fixed_size 0
		.amdhsa_private_segment_fixed_size 0
		.amdhsa_kernarg_size 56
		.amdhsa_user_sgpr_count 6
		.amdhsa_user_sgpr_private_segment_buffer 1
		.amdhsa_user_sgpr_dispatch_ptr 0
		.amdhsa_user_sgpr_queue_ptr 0
		.amdhsa_user_sgpr_kernarg_segment_ptr 1
		.amdhsa_user_sgpr_dispatch_id 0
		.amdhsa_user_sgpr_flat_scratch_init 0
		.amdhsa_user_sgpr_kernarg_preload_length 0
		.amdhsa_user_sgpr_kernarg_preload_offset 0
		.amdhsa_user_sgpr_private_segment_size 0
		.amdhsa_uses_dynamic_stack 0
		.amdhsa_system_sgpr_private_segment_wavefront_offset 0
		.amdhsa_system_sgpr_workgroup_id_x 1
		.amdhsa_system_sgpr_workgroup_id_y 0
		.amdhsa_system_sgpr_workgroup_id_z 0
		.amdhsa_system_sgpr_workgroup_info 0
		.amdhsa_system_vgpr_workitem_id 0
		.amdhsa_next_free_vgpr 1
		.amdhsa_next_free_sgpr 0
		.amdhsa_accum_offset 4
		.amdhsa_reserve_vcc 0
		.amdhsa_reserve_flat_scratch 0
		.amdhsa_float_round_mode_32 0
		.amdhsa_float_round_mode_16_64 0
		.amdhsa_float_denorm_mode_32 3
		.amdhsa_float_denorm_mode_16_64 3
		.amdhsa_dx10_clamp 1
		.amdhsa_ieee_mode 1
		.amdhsa_fp16_overflow 0
		.amdhsa_tg_split 0
		.amdhsa_exception_fp_ieee_invalid_op 0
		.amdhsa_exception_fp_denorm_src 0
		.amdhsa_exception_fp_ieee_div_zero 0
		.amdhsa_exception_fp_ieee_overflow 0
		.amdhsa_exception_fp_ieee_underflow 0
		.amdhsa_exception_fp_ieee_inexact 0
		.amdhsa_exception_int_div_zero 0
	.end_amdhsa_kernel
	.section	.text._ZN7rocprim17ROCPRIM_400000_NS6detail17trampoline_kernelINS0_14default_configENS1_38merge_sort_block_merge_config_selectorIfNS0_10empty_typeEEEZZNS1_27merge_sort_block_merge_implIS3_N6thrust23THRUST_200600_302600_NS6detail15normal_iteratorINS9_10device_ptrIfEEEEPS5_m14custom_greaterIfEEE10hipError_tT0_T1_T2_jT3_P12ihipStream_tbPNSt15iterator_traitsISJ_E10value_typeEPNSP_ISK_E10value_typeEPSL_NS1_7vsmem_tEENKUlT_SJ_SK_SL_E_clIPfSE_SF_SF_EESI_SY_SJ_SK_SL_EUlSY_E1_NS1_11comp_targetILNS1_3genE2ELNS1_11target_archE906ELNS1_3gpuE6ELNS1_3repE0EEENS1_36merge_oddeven_config_static_selectorELNS0_4arch9wavefront6targetE1EEEvSK_,"axG",@progbits,_ZN7rocprim17ROCPRIM_400000_NS6detail17trampoline_kernelINS0_14default_configENS1_38merge_sort_block_merge_config_selectorIfNS0_10empty_typeEEEZZNS1_27merge_sort_block_merge_implIS3_N6thrust23THRUST_200600_302600_NS6detail15normal_iteratorINS9_10device_ptrIfEEEEPS5_m14custom_greaterIfEEE10hipError_tT0_T1_T2_jT3_P12ihipStream_tbPNSt15iterator_traitsISJ_E10value_typeEPNSP_ISK_E10value_typeEPSL_NS1_7vsmem_tEENKUlT_SJ_SK_SL_E_clIPfSE_SF_SF_EESI_SY_SJ_SK_SL_EUlSY_E1_NS1_11comp_targetILNS1_3genE2ELNS1_11target_archE906ELNS1_3gpuE6ELNS1_3repE0EEENS1_36merge_oddeven_config_static_selectorELNS0_4arch9wavefront6targetE1EEEvSK_,comdat
.Lfunc_end3559:
	.size	_ZN7rocprim17ROCPRIM_400000_NS6detail17trampoline_kernelINS0_14default_configENS1_38merge_sort_block_merge_config_selectorIfNS0_10empty_typeEEEZZNS1_27merge_sort_block_merge_implIS3_N6thrust23THRUST_200600_302600_NS6detail15normal_iteratorINS9_10device_ptrIfEEEEPS5_m14custom_greaterIfEEE10hipError_tT0_T1_T2_jT3_P12ihipStream_tbPNSt15iterator_traitsISJ_E10value_typeEPNSP_ISK_E10value_typeEPSL_NS1_7vsmem_tEENKUlT_SJ_SK_SL_E_clIPfSE_SF_SF_EESI_SY_SJ_SK_SL_EUlSY_E1_NS1_11comp_targetILNS1_3genE2ELNS1_11target_archE906ELNS1_3gpuE6ELNS1_3repE0EEENS1_36merge_oddeven_config_static_selectorELNS0_4arch9wavefront6targetE1EEEvSK_, .Lfunc_end3559-_ZN7rocprim17ROCPRIM_400000_NS6detail17trampoline_kernelINS0_14default_configENS1_38merge_sort_block_merge_config_selectorIfNS0_10empty_typeEEEZZNS1_27merge_sort_block_merge_implIS3_N6thrust23THRUST_200600_302600_NS6detail15normal_iteratorINS9_10device_ptrIfEEEEPS5_m14custom_greaterIfEEE10hipError_tT0_T1_T2_jT3_P12ihipStream_tbPNSt15iterator_traitsISJ_E10value_typeEPNSP_ISK_E10value_typeEPSL_NS1_7vsmem_tEENKUlT_SJ_SK_SL_E_clIPfSE_SF_SF_EESI_SY_SJ_SK_SL_EUlSY_E1_NS1_11comp_targetILNS1_3genE2ELNS1_11target_archE906ELNS1_3gpuE6ELNS1_3repE0EEENS1_36merge_oddeven_config_static_selectorELNS0_4arch9wavefront6targetE1EEEvSK_
                                        ; -- End function
	.section	.AMDGPU.csdata,"",@progbits
; Kernel info:
; codeLenInByte = 0
; NumSgprs: 4
; NumVgprs: 0
; NumAgprs: 0
; TotalNumVgprs: 0
; ScratchSize: 0
; MemoryBound: 0
; FloatMode: 240
; IeeeMode: 1
; LDSByteSize: 0 bytes/workgroup (compile time only)
; SGPRBlocks: 0
; VGPRBlocks: 0
; NumSGPRsForWavesPerEU: 4
; NumVGPRsForWavesPerEU: 1
; AccumOffset: 4
; Occupancy: 8
; WaveLimiterHint : 0
; COMPUTE_PGM_RSRC2:SCRATCH_EN: 0
; COMPUTE_PGM_RSRC2:USER_SGPR: 6
; COMPUTE_PGM_RSRC2:TRAP_HANDLER: 0
; COMPUTE_PGM_RSRC2:TGID_X_EN: 1
; COMPUTE_PGM_RSRC2:TGID_Y_EN: 0
; COMPUTE_PGM_RSRC2:TGID_Z_EN: 0
; COMPUTE_PGM_RSRC2:TIDIG_COMP_CNT: 0
; COMPUTE_PGM_RSRC3_GFX90A:ACCUM_OFFSET: 0
; COMPUTE_PGM_RSRC3_GFX90A:TG_SPLIT: 0
	.section	.text._ZN7rocprim17ROCPRIM_400000_NS6detail17trampoline_kernelINS0_14default_configENS1_38merge_sort_block_merge_config_selectorIfNS0_10empty_typeEEEZZNS1_27merge_sort_block_merge_implIS3_N6thrust23THRUST_200600_302600_NS6detail15normal_iteratorINS9_10device_ptrIfEEEEPS5_m14custom_greaterIfEEE10hipError_tT0_T1_T2_jT3_P12ihipStream_tbPNSt15iterator_traitsISJ_E10value_typeEPNSP_ISK_E10value_typeEPSL_NS1_7vsmem_tEENKUlT_SJ_SK_SL_E_clIPfSE_SF_SF_EESI_SY_SJ_SK_SL_EUlSY_E1_NS1_11comp_targetILNS1_3genE9ELNS1_11target_archE1100ELNS1_3gpuE3ELNS1_3repE0EEENS1_36merge_oddeven_config_static_selectorELNS0_4arch9wavefront6targetE1EEEvSK_,"axG",@progbits,_ZN7rocprim17ROCPRIM_400000_NS6detail17trampoline_kernelINS0_14default_configENS1_38merge_sort_block_merge_config_selectorIfNS0_10empty_typeEEEZZNS1_27merge_sort_block_merge_implIS3_N6thrust23THRUST_200600_302600_NS6detail15normal_iteratorINS9_10device_ptrIfEEEEPS5_m14custom_greaterIfEEE10hipError_tT0_T1_T2_jT3_P12ihipStream_tbPNSt15iterator_traitsISJ_E10value_typeEPNSP_ISK_E10value_typeEPSL_NS1_7vsmem_tEENKUlT_SJ_SK_SL_E_clIPfSE_SF_SF_EESI_SY_SJ_SK_SL_EUlSY_E1_NS1_11comp_targetILNS1_3genE9ELNS1_11target_archE1100ELNS1_3gpuE3ELNS1_3repE0EEENS1_36merge_oddeven_config_static_selectorELNS0_4arch9wavefront6targetE1EEEvSK_,comdat
	.protected	_ZN7rocprim17ROCPRIM_400000_NS6detail17trampoline_kernelINS0_14default_configENS1_38merge_sort_block_merge_config_selectorIfNS0_10empty_typeEEEZZNS1_27merge_sort_block_merge_implIS3_N6thrust23THRUST_200600_302600_NS6detail15normal_iteratorINS9_10device_ptrIfEEEEPS5_m14custom_greaterIfEEE10hipError_tT0_T1_T2_jT3_P12ihipStream_tbPNSt15iterator_traitsISJ_E10value_typeEPNSP_ISK_E10value_typeEPSL_NS1_7vsmem_tEENKUlT_SJ_SK_SL_E_clIPfSE_SF_SF_EESI_SY_SJ_SK_SL_EUlSY_E1_NS1_11comp_targetILNS1_3genE9ELNS1_11target_archE1100ELNS1_3gpuE3ELNS1_3repE0EEENS1_36merge_oddeven_config_static_selectorELNS0_4arch9wavefront6targetE1EEEvSK_ ; -- Begin function _ZN7rocprim17ROCPRIM_400000_NS6detail17trampoline_kernelINS0_14default_configENS1_38merge_sort_block_merge_config_selectorIfNS0_10empty_typeEEEZZNS1_27merge_sort_block_merge_implIS3_N6thrust23THRUST_200600_302600_NS6detail15normal_iteratorINS9_10device_ptrIfEEEEPS5_m14custom_greaterIfEEE10hipError_tT0_T1_T2_jT3_P12ihipStream_tbPNSt15iterator_traitsISJ_E10value_typeEPNSP_ISK_E10value_typeEPSL_NS1_7vsmem_tEENKUlT_SJ_SK_SL_E_clIPfSE_SF_SF_EESI_SY_SJ_SK_SL_EUlSY_E1_NS1_11comp_targetILNS1_3genE9ELNS1_11target_archE1100ELNS1_3gpuE3ELNS1_3repE0EEENS1_36merge_oddeven_config_static_selectorELNS0_4arch9wavefront6targetE1EEEvSK_
	.globl	_ZN7rocprim17ROCPRIM_400000_NS6detail17trampoline_kernelINS0_14default_configENS1_38merge_sort_block_merge_config_selectorIfNS0_10empty_typeEEEZZNS1_27merge_sort_block_merge_implIS3_N6thrust23THRUST_200600_302600_NS6detail15normal_iteratorINS9_10device_ptrIfEEEEPS5_m14custom_greaterIfEEE10hipError_tT0_T1_T2_jT3_P12ihipStream_tbPNSt15iterator_traitsISJ_E10value_typeEPNSP_ISK_E10value_typeEPSL_NS1_7vsmem_tEENKUlT_SJ_SK_SL_E_clIPfSE_SF_SF_EESI_SY_SJ_SK_SL_EUlSY_E1_NS1_11comp_targetILNS1_3genE9ELNS1_11target_archE1100ELNS1_3gpuE3ELNS1_3repE0EEENS1_36merge_oddeven_config_static_selectorELNS0_4arch9wavefront6targetE1EEEvSK_
	.p2align	8
	.type	_ZN7rocprim17ROCPRIM_400000_NS6detail17trampoline_kernelINS0_14default_configENS1_38merge_sort_block_merge_config_selectorIfNS0_10empty_typeEEEZZNS1_27merge_sort_block_merge_implIS3_N6thrust23THRUST_200600_302600_NS6detail15normal_iteratorINS9_10device_ptrIfEEEEPS5_m14custom_greaterIfEEE10hipError_tT0_T1_T2_jT3_P12ihipStream_tbPNSt15iterator_traitsISJ_E10value_typeEPNSP_ISK_E10value_typeEPSL_NS1_7vsmem_tEENKUlT_SJ_SK_SL_E_clIPfSE_SF_SF_EESI_SY_SJ_SK_SL_EUlSY_E1_NS1_11comp_targetILNS1_3genE9ELNS1_11target_archE1100ELNS1_3gpuE3ELNS1_3repE0EEENS1_36merge_oddeven_config_static_selectorELNS0_4arch9wavefront6targetE1EEEvSK_,@function
_ZN7rocprim17ROCPRIM_400000_NS6detail17trampoline_kernelINS0_14default_configENS1_38merge_sort_block_merge_config_selectorIfNS0_10empty_typeEEEZZNS1_27merge_sort_block_merge_implIS3_N6thrust23THRUST_200600_302600_NS6detail15normal_iteratorINS9_10device_ptrIfEEEEPS5_m14custom_greaterIfEEE10hipError_tT0_T1_T2_jT3_P12ihipStream_tbPNSt15iterator_traitsISJ_E10value_typeEPNSP_ISK_E10value_typeEPSL_NS1_7vsmem_tEENKUlT_SJ_SK_SL_E_clIPfSE_SF_SF_EESI_SY_SJ_SK_SL_EUlSY_E1_NS1_11comp_targetILNS1_3genE9ELNS1_11target_archE1100ELNS1_3gpuE3ELNS1_3repE0EEENS1_36merge_oddeven_config_static_selectorELNS0_4arch9wavefront6targetE1EEEvSK_: ; @_ZN7rocprim17ROCPRIM_400000_NS6detail17trampoline_kernelINS0_14default_configENS1_38merge_sort_block_merge_config_selectorIfNS0_10empty_typeEEEZZNS1_27merge_sort_block_merge_implIS3_N6thrust23THRUST_200600_302600_NS6detail15normal_iteratorINS9_10device_ptrIfEEEEPS5_m14custom_greaterIfEEE10hipError_tT0_T1_T2_jT3_P12ihipStream_tbPNSt15iterator_traitsISJ_E10value_typeEPNSP_ISK_E10value_typeEPSL_NS1_7vsmem_tEENKUlT_SJ_SK_SL_E_clIPfSE_SF_SF_EESI_SY_SJ_SK_SL_EUlSY_E1_NS1_11comp_targetILNS1_3genE9ELNS1_11target_archE1100ELNS1_3gpuE3ELNS1_3repE0EEENS1_36merge_oddeven_config_static_selectorELNS0_4arch9wavefront6targetE1EEEvSK_
; %bb.0:
	.section	.rodata,"a",@progbits
	.p2align	6, 0x0
	.amdhsa_kernel _ZN7rocprim17ROCPRIM_400000_NS6detail17trampoline_kernelINS0_14default_configENS1_38merge_sort_block_merge_config_selectorIfNS0_10empty_typeEEEZZNS1_27merge_sort_block_merge_implIS3_N6thrust23THRUST_200600_302600_NS6detail15normal_iteratorINS9_10device_ptrIfEEEEPS5_m14custom_greaterIfEEE10hipError_tT0_T1_T2_jT3_P12ihipStream_tbPNSt15iterator_traitsISJ_E10value_typeEPNSP_ISK_E10value_typeEPSL_NS1_7vsmem_tEENKUlT_SJ_SK_SL_E_clIPfSE_SF_SF_EESI_SY_SJ_SK_SL_EUlSY_E1_NS1_11comp_targetILNS1_3genE9ELNS1_11target_archE1100ELNS1_3gpuE3ELNS1_3repE0EEENS1_36merge_oddeven_config_static_selectorELNS0_4arch9wavefront6targetE1EEEvSK_
		.amdhsa_group_segment_fixed_size 0
		.amdhsa_private_segment_fixed_size 0
		.amdhsa_kernarg_size 56
		.amdhsa_user_sgpr_count 6
		.amdhsa_user_sgpr_private_segment_buffer 1
		.amdhsa_user_sgpr_dispatch_ptr 0
		.amdhsa_user_sgpr_queue_ptr 0
		.amdhsa_user_sgpr_kernarg_segment_ptr 1
		.amdhsa_user_sgpr_dispatch_id 0
		.amdhsa_user_sgpr_flat_scratch_init 0
		.amdhsa_user_sgpr_kernarg_preload_length 0
		.amdhsa_user_sgpr_kernarg_preload_offset 0
		.amdhsa_user_sgpr_private_segment_size 0
		.amdhsa_uses_dynamic_stack 0
		.amdhsa_system_sgpr_private_segment_wavefront_offset 0
		.amdhsa_system_sgpr_workgroup_id_x 1
		.amdhsa_system_sgpr_workgroup_id_y 0
		.amdhsa_system_sgpr_workgroup_id_z 0
		.amdhsa_system_sgpr_workgroup_info 0
		.amdhsa_system_vgpr_workitem_id 0
		.amdhsa_next_free_vgpr 1
		.amdhsa_next_free_sgpr 0
		.amdhsa_accum_offset 4
		.amdhsa_reserve_vcc 0
		.amdhsa_reserve_flat_scratch 0
		.amdhsa_float_round_mode_32 0
		.amdhsa_float_round_mode_16_64 0
		.amdhsa_float_denorm_mode_32 3
		.amdhsa_float_denorm_mode_16_64 3
		.amdhsa_dx10_clamp 1
		.amdhsa_ieee_mode 1
		.amdhsa_fp16_overflow 0
		.amdhsa_tg_split 0
		.amdhsa_exception_fp_ieee_invalid_op 0
		.amdhsa_exception_fp_denorm_src 0
		.amdhsa_exception_fp_ieee_div_zero 0
		.amdhsa_exception_fp_ieee_overflow 0
		.amdhsa_exception_fp_ieee_underflow 0
		.amdhsa_exception_fp_ieee_inexact 0
		.amdhsa_exception_int_div_zero 0
	.end_amdhsa_kernel
	.section	.text._ZN7rocprim17ROCPRIM_400000_NS6detail17trampoline_kernelINS0_14default_configENS1_38merge_sort_block_merge_config_selectorIfNS0_10empty_typeEEEZZNS1_27merge_sort_block_merge_implIS3_N6thrust23THRUST_200600_302600_NS6detail15normal_iteratorINS9_10device_ptrIfEEEEPS5_m14custom_greaterIfEEE10hipError_tT0_T1_T2_jT3_P12ihipStream_tbPNSt15iterator_traitsISJ_E10value_typeEPNSP_ISK_E10value_typeEPSL_NS1_7vsmem_tEENKUlT_SJ_SK_SL_E_clIPfSE_SF_SF_EESI_SY_SJ_SK_SL_EUlSY_E1_NS1_11comp_targetILNS1_3genE9ELNS1_11target_archE1100ELNS1_3gpuE3ELNS1_3repE0EEENS1_36merge_oddeven_config_static_selectorELNS0_4arch9wavefront6targetE1EEEvSK_,"axG",@progbits,_ZN7rocprim17ROCPRIM_400000_NS6detail17trampoline_kernelINS0_14default_configENS1_38merge_sort_block_merge_config_selectorIfNS0_10empty_typeEEEZZNS1_27merge_sort_block_merge_implIS3_N6thrust23THRUST_200600_302600_NS6detail15normal_iteratorINS9_10device_ptrIfEEEEPS5_m14custom_greaterIfEEE10hipError_tT0_T1_T2_jT3_P12ihipStream_tbPNSt15iterator_traitsISJ_E10value_typeEPNSP_ISK_E10value_typeEPSL_NS1_7vsmem_tEENKUlT_SJ_SK_SL_E_clIPfSE_SF_SF_EESI_SY_SJ_SK_SL_EUlSY_E1_NS1_11comp_targetILNS1_3genE9ELNS1_11target_archE1100ELNS1_3gpuE3ELNS1_3repE0EEENS1_36merge_oddeven_config_static_selectorELNS0_4arch9wavefront6targetE1EEEvSK_,comdat
.Lfunc_end3560:
	.size	_ZN7rocprim17ROCPRIM_400000_NS6detail17trampoline_kernelINS0_14default_configENS1_38merge_sort_block_merge_config_selectorIfNS0_10empty_typeEEEZZNS1_27merge_sort_block_merge_implIS3_N6thrust23THRUST_200600_302600_NS6detail15normal_iteratorINS9_10device_ptrIfEEEEPS5_m14custom_greaterIfEEE10hipError_tT0_T1_T2_jT3_P12ihipStream_tbPNSt15iterator_traitsISJ_E10value_typeEPNSP_ISK_E10value_typeEPSL_NS1_7vsmem_tEENKUlT_SJ_SK_SL_E_clIPfSE_SF_SF_EESI_SY_SJ_SK_SL_EUlSY_E1_NS1_11comp_targetILNS1_3genE9ELNS1_11target_archE1100ELNS1_3gpuE3ELNS1_3repE0EEENS1_36merge_oddeven_config_static_selectorELNS0_4arch9wavefront6targetE1EEEvSK_, .Lfunc_end3560-_ZN7rocprim17ROCPRIM_400000_NS6detail17trampoline_kernelINS0_14default_configENS1_38merge_sort_block_merge_config_selectorIfNS0_10empty_typeEEEZZNS1_27merge_sort_block_merge_implIS3_N6thrust23THRUST_200600_302600_NS6detail15normal_iteratorINS9_10device_ptrIfEEEEPS5_m14custom_greaterIfEEE10hipError_tT0_T1_T2_jT3_P12ihipStream_tbPNSt15iterator_traitsISJ_E10value_typeEPNSP_ISK_E10value_typeEPSL_NS1_7vsmem_tEENKUlT_SJ_SK_SL_E_clIPfSE_SF_SF_EESI_SY_SJ_SK_SL_EUlSY_E1_NS1_11comp_targetILNS1_3genE9ELNS1_11target_archE1100ELNS1_3gpuE3ELNS1_3repE0EEENS1_36merge_oddeven_config_static_selectorELNS0_4arch9wavefront6targetE1EEEvSK_
                                        ; -- End function
	.section	.AMDGPU.csdata,"",@progbits
; Kernel info:
; codeLenInByte = 0
; NumSgprs: 4
; NumVgprs: 0
; NumAgprs: 0
; TotalNumVgprs: 0
; ScratchSize: 0
; MemoryBound: 0
; FloatMode: 240
; IeeeMode: 1
; LDSByteSize: 0 bytes/workgroup (compile time only)
; SGPRBlocks: 0
; VGPRBlocks: 0
; NumSGPRsForWavesPerEU: 4
; NumVGPRsForWavesPerEU: 1
; AccumOffset: 4
; Occupancy: 8
; WaveLimiterHint : 0
; COMPUTE_PGM_RSRC2:SCRATCH_EN: 0
; COMPUTE_PGM_RSRC2:USER_SGPR: 6
; COMPUTE_PGM_RSRC2:TRAP_HANDLER: 0
; COMPUTE_PGM_RSRC2:TGID_X_EN: 1
; COMPUTE_PGM_RSRC2:TGID_Y_EN: 0
; COMPUTE_PGM_RSRC2:TGID_Z_EN: 0
; COMPUTE_PGM_RSRC2:TIDIG_COMP_CNT: 0
; COMPUTE_PGM_RSRC3_GFX90A:ACCUM_OFFSET: 0
; COMPUTE_PGM_RSRC3_GFX90A:TG_SPLIT: 0
	.section	.text._ZN7rocprim17ROCPRIM_400000_NS6detail17trampoline_kernelINS0_14default_configENS1_38merge_sort_block_merge_config_selectorIfNS0_10empty_typeEEEZZNS1_27merge_sort_block_merge_implIS3_N6thrust23THRUST_200600_302600_NS6detail15normal_iteratorINS9_10device_ptrIfEEEEPS5_m14custom_greaterIfEEE10hipError_tT0_T1_T2_jT3_P12ihipStream_tbPNSt15iterator_traitsISJ_E10value_typeEPNSP_ISK_E10value_typeEPSL_NS1_7vsmem_tEENKUlT_SJ_SK_SL_E_clIPfSE_SF_SF_EESI_SY_SJ_SK_SL_EUlSY_E1_NS1_11comp_targetILNS1_3genE8ELNS1_11target_archE1030ELNS1_3gpuE2ELNS1_3repE0EEENS1_36merge_oddeven_config_static_selectorELNS0_4arch9wavefront6targetE1EEEvSK_,"axG",@progbits,_ZN7rocprim17ROCPRIM_400000_NS6detail17trampoline_kernelINS0_14default_configENS1_38merge_sort_block_merge_config_selectorIfNS0_10empty_typeEEEZZNS1_27merge_sort_block_merge_implIS3_N6thrust23THRUST_200600_302600_NS6detail15normal_iteratorINS9_10device_ptrIfEEEEPS5_m14custom_greaterIfEEE10hipError_tT0_T1_T2_jT3_P12ihipStream_tbPNSt15iterator_traitsISJ_E10value_typeEPNSP_ISK_E10value_typeEPSL_NS1_7vsmem_tEENKUlT_SJ_SK_SL_E_clIPfSE_SF_SF_EESI_SY_SJ_SK_SL_EUlSY_E1_NS1_11comp_targetILNS1_3genE8ELNS1_11target_archE1030ELNS1_3gpuE2ELNS1_3repE0EEENS1_36merge_oddeven_config_static_selectorELNS0_4arch9wavefront6targetE1EEEvSK_,comdat
	.protected	_ZN7rocprim17ROCPRIM_400000_NS6detail17trampoline_kernelINS0_14default_configENS1_38merge_sort_block_merge_config_selectorIfNS0_10empty_typeEEEZZNS1_27merge_sort_block_merge_implIS3_N6thrust23THRUST_200600_302600_NS6detail15normal_iteratorINS9_10device_ptrIfEEEEPS5_m14custom_greaterIfEEE10hipError_tT0_T1_T2_jT3_P12ihipStream_tbPNSt15iterator_traitsISJ_E10value_typeEPNSP_ISK_E10value_typeEPSL_NS1_7vsmem_tEENKUlT_SJ_SK_SL_E_clIPfSE_SF_SF_EESI_SY_SJ_SK_SL_EUlSY_E1_NS1_11comp_targetILNS1_3genE8ELNS1_11target_archE1030ELNS1_3gpuE2ELNS1_3repE0EEENS1_36merge_oddeven_config_static_selectorELNS0_4arch9wavefront6targetE1EEEvSK_ ; -- Begin function _ZN7rocprim17ROCPRIM_400000_NS6detail17trampoline_kernelINS0_14default_configENS1_38merge_sort_block_merge_config_selectorIfNS0_10empty_typeEEEZZNS1_27merge_sort_block_merge_implIS3_N6thrust23THRUST_200600_302600_NS6detail15normal_iteratorINS9_10device_ptrIfEEEEPS5_m14custom_greaterIfEEE10hipError_tT0_T1_T2_jT3_P12ihipStream_tbPNSt15iterator_traitsISJ_E10value_typeEPNSP_ISK_E10value_typeEPSL_NS1_7vsmem_tEENKUlT_SJ_SK_SL_E_clIPfSE_SF_SF_EESI_SY_SJ_SK_SL_EUlSY_E1_NS1_11comp_targetILNS1_3genE8ELNS1_11target_archE1030ELNS1_3gpuE2ELNS1_3repE0EEENS1_36merge_oddeven_config_static_selectorELNS0_4arch9wavefront6targetE1EEEvSK_
	.globl	_ZN7rocprim17ROCPRIM_400000_NS6detail17trampoline_kernelINS0_14default_configENS1_38merge_sort_block_merge_config_selectorIfNS0_10empty_typeEEEZZNS1_27merge_sort_block_merge_implIS3_N6thrust23THRUST_200600_302600_NS6detail15normal_iteratorINS9_10device_ptrIfEEEEPS5_m14custom_greaterIfEEE10hipError_tT0_T1_T2_jT3_P12ihipStream_tbPNSt15iterator_traitsISJ_E10value_typeEPNSP_ISK_E10value_typeEPSL_NS1_7vsmem_tEENKUlT_SJ_SK_SL_E_clIPfSE_SF_SF_EESI_SY_SJ_SK_SL_EUlSY_E1_NS1_11comp_targetILNS1_3genE8ELNS1_11target_archE1030ELNS1_3gpuE2ELNS1_3repE0EEENS1_36merge_oddeven_config_static_selectorELNS0_4arch9wavefront6targetE1EEEvSK_
	.p2align	8
	.type	_ZN7rocprim17ROCPRIM_400000_NS6detail17trampoline_kernelINS0_14default_configENS1_38merge_sort_block_merge_config_selectorIfNS0_10empty_typeEEEZZNS1_27merge_sort_block_merge_implIS3_N6thrust23THRUST_200600_302600_NS6detail15normal_iteratorINS9_10device_ptrIfEEEEPS5_m14custom_greaterIfEEE10hipError_tT0_T1_T2_jT3_P12ihipStream_tbPNSt15iterator_traitsISJ_E10value_typeEPNSP_ISK_E10value_typeEPSL_NS1_7vsmem_tEENKUlT_SJ_SK_SL_E_clIPfSE_SF_SF_EESI_SY_SJ_SK_SL_EUlSY_E1_NS1_11comp_targetILNS1_3genE8ELNS1_11target_archE1030ELNS1_3gpuE2ELNS1_3repE0EEENS1_36merge_oddeven_config_static_selectorELNS0_4arch9wavefront6targetE1EEEvSK_,@function
_ZN7rocprim17ROCPRIM_400000_NS6detail17trampoline_kernelINS0_14default_configENS1_38merge_sort_block_merge_config_selectorIfNS0_10empty_typeEEEZZNS1_27merge_sort_block_merge_implIS3_N6thrust23THRUST_200600_302600_NS6detail15normal_iteratorINS9_10device_ptrIfEEEEPS5_m14custom_greaterIfEEE10hipError_tT0_T1_T2_jT3_P12ihipStream_tbPNSt15iterator_traitsISJ_E10value_typeEPNSP_ISK_E10value_typeEPSL_NS1_7vsmem_tEENKUlT_SJ_SK_SL_E_clIPfSE_SF_SF_EESI_SY_SJ_SK_SL_EUlSY_E1_NS1_11comp_targetILNS1_3genE8ELNS1_11target_archE1030ELNS1_3gpuE2ELNS1_3repE0EEENS1_36merge_oddeven_config_static_selectorELNS0_4arch9wavefront6targetE1EEEvSK_: ; @_ZN7rocprim17ROCPRIM_400000_NS6detail17trampoline_kernelINS0_14default_configENS1_38merge_sort_block_merge_config_selectorIfNS0_10empty_typeEEEZZNS1_27merge_sort_block_merge_implIS3_N6thrust23THRUST_200600_302600_NS6detail15normal_iteratorINS9_10device_ptrIfEEEEPS5_m14custom_greaterIfEEE10hipError_tT0_T1_T2_jT3_P12ihipStream_tbPNSt15iterator_traitsISJ_E10value_typeEPNSP_ISK_E10value_typeEPSL_NS1_7vsmem_tEENKUlT_SJ_SK_SL_E_clIPfSE_SF_SF_EESI_SY_SJ_SK_SL_EUlSY_E1_NS1_11comp_targetILNS1_3genE8ELNS1_11target_archE1030ELNS1_3gpuE2ELNS1_3repE0EEENS1_36merge_oddeven_config_static_selectorELNS0_4arch9wavefront6targetE1EEEvSK_
; %bb.0:
	.section	.rodata,"a",@progbits
	.p2align	6, 0x0
	.amdhsa_kernel _ZN7rocprim17ROCPRIM_400000_NS6detail17trampoline_kernelINS0_14default_configENS1_38merge_sort_block_merge_config_selectorIfNS0_10empty_typeEEEZZNS1_27merge_sort_block_merge_implIS3_N6thrust23THRUST_200600_302600_NS6detail15normal_iteratorINS9_10device_ptrIfEEEEPS5_m14custom_greaterIfEEE10hipError_tT0_T1_T2_jT3_P12ihipStream_tbPNSt15iterator_traitsISJ_E10value_typeEPNSP_ISK_E10value_typeEPSL_NS1_7vsmem_tEENKUlT_SJ_SK_SL_E_clIPfSE_SF_SF_EESI_SY_SJ_SK_SL_EUlSY_E1_NS1_11comp_targetILNS1_3genE8ELNS1_11target_archE1030ELNS1_3gpuE2ELNS1_3repE0EEENS1_36merge_oddeven_config_static_selectorELNS0_4arch9wavefront6targetE1EEEvSK_
		.amdhsa_group_segment_fixed_size 0
		.amdhsa_private_segment_fixed_size 0
		.amdhsa_kernarg_size 56
		.amdhsa_user_sgpr_count 6
		.amdhsa_user_sgpr_private_segment_buffer 1
		.amdhsa_user_sgpr_dispatch_ptr 0
		.amdhsa_user_sgpr_queue_ptr 0
		.amdhsa_user_sgpr_kernarg_segment_ptr 1
		.amdhsa_user_sgpr_dispatch_id 0
		.amdhsa_user_sgpr_flat_scratch_init 0
		.amdhsa_user_sgpr_kernarg_preload_length 0
		.amdhsa_user_sgpr_kernarg_preload_offset 0
		.amdhsa_user_sgpr_private_segment_size 0
		.amdhsa_uses_dynamic_stack 0
		.amdhsa_system_sgpr_private_segment_wavefront_offset 0
		.amdhsa_system_sgpr_workgroup_id_x 1
		.amdhsa_system_sgpr_workgroup_id_y 0
		.amdhsa_system_sgpr_workgroup_id_z 0
		.amdhsa_system_sgpr_workgroup_info 0
		.amdhsa_system_vgpr_workitem_id 0
		.amdhsa_next_free_vgpr 1
		.amdhsa_next_free_sgpr 0
		.amdhsa_accum_offset 4
		.amdhsa_reserve_vcc 0
		.amdhsa_reserve_flat_scratch 0
		.amdhsa_float_round_mode_32 0
		.amdhsa_float_round_mode_16_64 0
		.amdhsa_float_denorm_mode_32 3
		.amdhsa_float_denorm_mode_16_64 3
		.amdhsa_dx10_clamp 1
		.amdhsa_ieee_mode 1
		.amdhsa_fp16_overflow 0
		.amdhsa_tg_split 0
		.amdhsa_exception_fp_ieee_invalid_op 0
		.amdhsa_exception_fp_denorm_src 0
		.amdhsa_exception_fp_ieee_div_zero 0
		.amdhsa_exception_fp_ieee_overflow 0
		.amdhsa_exception_fp_ieee_underflow 0
		.amdhsa_exception_fp_ieee_inexact 0
		.amdhsa_exception_int_div_zero 0
	.end_amdhsa_kernel
	.section	.text._ZN7rocprim17ROCPRIM_400000_NS6detail17trampoline_kernelINS0_14default_configENS1_38merge_sort_block_merge_config_selectorIfNS0_10empty_typeEEEZZNS1_27merge_sort_block_merge_implIS3_N6thrust23THRUST_200600_302600_NS6detail15normal_iteratorINS9_10device_ptrIfEEEEPS5_m14custom_greaterIfEEE10hipError_tT0_T1_T2_jT3_P12ihipStream_tbPNSt15iterator_traitsISJ_E10value_typeEPNSP_ISK_E10value_typeEPSL_NS1_7vsmem_tEENKUlT_SJ_SK_SL_E_clIPfSE_SF_SF_EESI_SY_SJ_SK_SL_EUlSY_E1_NS1_11comp_targetILNS1_3genE8ELNS1_11target_archE1030ELNS1_3gpuE2ELNS1_3repE0EEENS1_36merge_oddeven_config_static_selectorELNS0_4arch9wavefront6targetE1EEEvSK_,"axG",@progbits,_ZN7rocprim17ROCPRIM_400000_NS6detail17trampoline_kernelINS0_14default_configENS1_38merge_sort_block_merge_config_selectorIfNS0_10empty_typeEEEZZNS1_27merge_sort_block_merge_implIS3_N6thrust23THRUST_200600_302600_NS6detail15normal_iteratorINS9_10device_ptrIfEEEEPS5_m14custom_greaterIfEEE10hipError_tT0_T1_T2_jT3_P12ihipStream_tbPNSt15iterator_traitsISJ_E10value_typeEPNSP_ISK_E10value_typeEPSL_NS1_7vsmem_tEENKUlT_SJ_SK_SL_E_clIPfSE_SF_SF_EESI_SY_SJ_SK_SL_EUlSY_E1_NS1_11comp_targetILNS1_3genE8ELNS1_11target_archE1030ELNS1_3gpuE2ELNS1_3repE0EEENS1_36merge_oddeven_config_static_selectorELNS0_4arch9wavefront6targetE1EEEvSK_,comdat
.Lfunc_end3561:
	.size	_ZN7rocprim17ROCPRIM_400000_NS6detail17trampoline_kernelINS0_14default_configENS1_38merge_sort_block_merge_config_selectorIfNS0_10empty_typeEEEZZNS1_27merge_sort_block_merge_implIS3_N6thrust23THRUST_200600_302600_NS6detail15normal_iteratorINS9_10device_ptrIfEEEEPS5_m14custom_greaterIfEEE10hipError_tT0_T1_T2_jT3_P12ihipStream_tbPNSt15iterator_traitsISJ_E10value_typeEPNSP_ISK_E10value_typeEPSL_NS1_7vsmem_tEENKUlT_SJ_SK_SL_E_clIPfSE_SF_SF_EESI_SY_SJ_SK_SL_EUlSY_E1_NS1_11comp_targetILNS1_3genE8ELNS1_11target_archE1030ELNS1_3gpuE2ELNS1_3repE0EEENS1_36merge_oddeven_config_static_selectorELNS0_4arch9wavefront6targetE1EEEvSK_, .Lfunc_end3561-_ZN7rocprim17ROCPRIM_400000_NS6detail17trampoline_kernelINS0_14default_configENS1_38merge_sort_block_merge_config_selectorIfNS0_10empty_typeEEEZZNS1_27merge_sort_block_merge_implIS3_N6thrust23THRUST_200600_302600_NS6detail15normal_iteratorINS9_10device_ptrIfEEEEPS5_m14custom_greaterIfEEE10hipError_tT0_T1_T2_jT3_P12ihipStream_tbPNSt15iterator_traitsISJ_E10value_typeEPNSP_ISK_E10value_typeEPSL_NS1_7vsmem_tEENKUlT_SJ_SK_SL_E_clIPfSE_SF_SF_EESI_SY_SJ_SK_SL_EUlSY_E1_NS1_11comp_targetILNS1_3genE8ELNS1_11target_archE1030ELNS1_3gpuE2ELNS1_3repE0EEENS1_36merge_oddeven_config_static_selectorELNS0_4arch9wavefront6targetE1EEEvSK_
                                        ; -- End function
	.section	.AMDGPU.csdata,"",@progbits
; Kernel info:
; codeLenInByte = 0
; NumSgprs: 4
; NumVgprs: 0
; NumAgprs: 0
; TotalNumVgprs: 0
; ScratchSize: 0
; MemoryBound: 0
; FloatMode: 240
; IeeeMode: 1
; LDSByteSize: 0 bytes/workgroup (compile time only)
; SGPRBlocks: 0
; VGPRBlocks: 0
; NumSGPRsForWavesPerEU: 4
; NumVGPRsForWavesPerEU: 1
; AccumOffset: 4
; Occupancy: 8
; WaveLimiterHint : 0
; COMPUTE_PGM_RSRC2:SCRATCH_EN: 0
; COMPUTE_PGM_RSRC2:USER_SGPR: 6
; COMPUTE_PGM_RSRC2:TRAP_HANDLER: 0
; COMPUTE_PGM_RSRC2:TGID_X_EN: 1
; COMPUTE_PGM_RSRC2:TGID_Y_EN: 0
; COMPUTE_PGM_RSRC2:TGID_Z_EN: 0
; COMPUTE_PGM_RSRC2:TIDIG_COMP_CNT: 0
; COMPUTE_PGM_RSRC3_GFX90A:ACCUM_OFFSET: 0
; COMPUTE_PGM_RSRC3_GFX90A:TG_SPLIT: 0
	.section	.text._ZN7rocprim17ROCPRIM_400000_NS6detail17trampoline_kernelINS0_14default_configENS1_38merge_sort_block_merge_config_selectorIfNS0_10empty_typeEEEZZNS1_27merge_sort_block_merge_implIS3_N6thrust23THRUST_200600_302600_NS6detail15normal_iteratorINS9_10device_ptrIfEEEEPS5_m14custom_greaterIfEEE10hipError_tT0_T1_T2_jT3_P12ihipStream_tbPNSt15iterator_traitsISJ_E10value_typeEPNSP_ISK_E10value_typeEPSL_NS1_7vsmem_tEENKUlT_SJ_SK_SL_E_clISE_PfSF_SF_EESI_SY_SJ_SK_SL_EUlSY_E_NS1_11comp_targetILNS1_3genE0ELNS1_11target_archE4294967295ELNS1_3gpuE0ELNS1_3repE0EEENS1_48merge_mergepath_partition_config_static_selectorELNS0_4arch9wavefront6targetE1EEEvSK_,"axG",@progbits,_ZN7rocprim17ROCPRIM_400000_NS6detail17trampoline_kernelINS0_14default_configENS1_38merge_sort_block_merge_config_selectorIfNS0_10empty_typeEEEZZNS1_27merge_sort_block_merge_implIS3_N6thrust23THRUST_200600_302600_NS6detail15normal_iteratorINS9_10device_ptrIfEEEEPS5_m14custom_greaterIfEEE10hipError_tT0_T1_T2_jT3_P12ihipStream_tbPNSt15iterator_traitsISJ_E10value_typeEPNSP_ISK_E10value_typeEPSL_NS1_7vsmem_tEENKUlT_SJ_SK_SL_E_clISE_PfSF_SF_EESI_SY_SJ_SK_SL_EUlSY_E_NS1_11comp_targetILNS1_3genE0ELNS1_11target_archE4294967295ELNS1_3gpuE0ELNS1_3repE0EEENS1_48merge_mergepath_partition_config_static_selectorELNS0_4arch9wavefront6targetE1EEEvSK_,comdat
	.protected	_ZN7rocprim17ROCPRIM_400000_NS6detail17trampoline_kernelINS0_14default_configENS1_38merge_sort_block_merge_config_selectorIfNS0_10empty_typeEEEZZNS1_27merge_sort_block_merge_implIS3_N6thrust23THRUST_200600_302600_NS6detail15normal_iteratorINS9_10device_ptrIfEEEEPS5_m14custom_greaterIfEEE10hipError_tT0_T1_T2_jT3_P12ihipStream_tbPNSt15iterator_traitsISJ_E10value_typeEPNSP_ISK_E10value_typeEPSL_NS1_7vsmem_tEENKUlT_SJ_SK_SL_E_clISE_PfSF_SF_EESI_SY_SJ_SK_SL_EUlSY_E_NS1_11comp_targetILNS1_3genE0ELNS1_11target_archE4294967295ELNS1_3gpuE0ELNS1_3repE0EEENS1_48merge_mergepath_partition_config_static_selectorELNS0_4arch9wavefront6targetE1EEEvSK_ ; -- Begin function _ZN7rocprim17ROCPRIM_400000_NS6detail17trampoline_kernelINS0_14default_configENS1_38merge_sort_block_merge_config_selectorIfNS0_10empty_typeEEEZZNS1_27merge_sort_block_merge_implIS3_N6thrust23THRUST_200600_302600_NS6detail15normal_iteratorINS9_10device_ptrIfEEEEPS5_m14custom_greaterIfEEE10hipError_tT0_T1_T2_jT3_P12ihipStream_tbPNSt15iterator_traitsISJ_E10value_typeEPNSP_ISK_E10value_typeEPSL_NS1_7vsmem_tEENKUlT_SJ_SK_SL_E_clISE_PfSF_SF_EESI_SY_SJ_SK_SL_EUlSY_E_NS1_11comp_targetILNS1_3genE0ELNS1_11target_archE4294967295ELNS1_3gpuE0ELNS1_3repE0EEENS1_48merge_mergepath_partition_config_static_selectorELNS0_4arch9wavefront6targetE1EEEvSK_
	.globl	_ZN7rocprim17ROCPRIM_400000_NS6detail17trampoline_kernelINS0_14default_configENS1_38merge_sort_block_merge_config_selectorIfNS0_10empty_typeEEEZZNS1_27merge_sort_block_merge_implIS3_N6thrust23THRUST_200600_302600_NS6detail15normal_iteratorINS9_10device_ptrIfEEEEPS5_m14custom_greaterIfEEE10hipError_tT0_T1_T2_jT3_P12ihipStream_tbPNSt15iterator_traitsISJ_E10value_typeEPNSP_ISK_E10value_typeEPSL_NS1_7vsmem_tEENKUlT_SJ_SK_SL_E_clISE_PfSF_SF_EESI_SY_SJ_SK_SL_EUlSY_E_NS1_11comp_targetILNS1_3genE0ELNS1_11target_archE4294967295ELNS1_3gpuE0ELNS1_3repE0EEENS1_48merge_mergepath_partition_config_static_selectorELNS0_4arch9wavefront6targetE1EEEvSK_
	.p2align	8
	.type	_ZN7rocprim17ROCPRIM_400000_NS6detail17trampoline_kernelINS0_14default_configENS1_38merge_sort_block_merge_config_selectorIfNS0_10empty_typeEEEZZNS1_27merge_sort_block_merge_implIS3_N6thrust23THRUST_200600_302600_NS6detail15normal_iteratorINS9_10device_ptrIfEEEEPS5_m14custom_greaterIfEEE10hipError_tT0_T1_T2_jT3_P12ihipStream_tbPNSt15iterator_traitsISJ_E10value_typeEPNSP_ISK_E10value_typeEPSL_NS1_7vsmem_tEENKUlT_SJ_SK_SL_E_clISE_PfSF_SF_EESI_SY_SJ_SK_SL_EUlSY_E_NS1_11comp_targetILNS1_3genE0ELNS1_11target_archE4294967295ELNS1_3gpuE0ELNS1_3repE0EEENS1_48merge_mergepath_partition_config_static_selectorELNS0_4arch9wavefront6targetE1EEEvSK_,@function
_ZN7rocprim17ROCPRIM_400000_NS6detail17trampoline_kernelINS0_14default_configENS1_38merge_sort_block_merge_config_selectorIfNS0_10empty_typeEEEZZNS1_27merge_sort_block_merge_implIS3_N6thrust23THRUST_200600_302600_NS6detail15normal_iteratorINS9_10device_ptrIfEEEEPS5_m14custom_greaterIfEEE10hipError_tT0_T1_T2_jT3_P12ihipStream_tbPNSt15iterator_traitsISJ_E10value_typeEPNSP_ISK_E10value_typeEPSL_NS1_7vsmem_tEENKUlT_SJ_SK_SL_E_clISE_PfSF_SF_EESI_SY_SJ_SK_SL_EUlSY_E_NS1_11comp_targetILNS1_3genE0ELNS1_11target_archE4294967295ELNS1_3gpuE0ELNS1_3repE0EEENS1_48merge_mergepath_partition_config_static_selectorELNS0_4arch9wavefront6targetE1EEEvSK_: ; @_ZN7rocprim17ROCPRIM_400000_NS6detail17trampoline_kernelINS0_14default_configENS1_38merge_sort_block_merge_config_selectorIfNS0_10empty_typeEEEZZNS1_27merge_sort_block_merge_implIS3_N6thrust23THRUST_200600_302600_NS6detail15normal_iteratorINS9_10device_ptrIfEEEEPS5_m14custom_greaterIfEEE10hipError_tT0_T1_T2_jT3_P12ihipStream_tbPNSt15iterator_traitsISJ_E10value_typeEPNSP_ISK_E10value_typeEPSL_NS1_7vsmem_tEENKUlT_SJ_SK_SL_E_clISE_PfSF_SF_EESI_SY_SJ_SK_SL_EUlSY_E_NS1_11comp_targetILNS1_3genE0ELNS1_11target_archE4294967295ELNS1_3gpuE0ELNS1_3repE0EEENS1_48merge_mergepath_partition_config_static_selectorELNS0_4arch9wavefront6targetE1EEEvSK_
; %bb.0:
	.section	.rodata,"a",@progbits
	.p2align	6, 0x0
	.amdhsa_kernel _ZN7rocprim17ROCPRIM_400000_NS6detail17trampoline_kernelINS0_14default_configENS1_38merge_sort_block_merge_config_selectorIfNS0_10empty_typeEEEZZNS1_27merge_sort_block_merge_implIS3_N6thrust23THRUST_200600_302600_NS6detail15normal_iteratorINS9_10device_ptrIfEEEEPS5_m14custom_greaterIfEEE10hipError_tT0_T1_T2_jT3_P12ihipStream_tbPNSt15iterator_traitsISJ_E10value_typeEPNSP_ISK_E10value_typeEPSL_NS1_7vsmem_tEENKUlT_SJ_SK_SL_E_clISE_PfSF_SF_EESI_SY_SJ_SK_SL_EUlSY_E_NS1_11comp_targetILNS1_3genE0ELNS1_11target_archE4294967295ELNS1_3gpuE0ELNS1_3repE0EEENS1_48merge_mergepath_partition_config_static_selectorELNS0_4arch9wavefront6targetE1EEEvSK_
		.amdhsa_group_segment_fixed_size 0
		.amdhsa_private_segment_fixed_size 0
		.amdhsa_kernarg_size 48
		.amdhsa_user_sgpr_count 6
		.amdhsa_user_sgpr_private_segment_buffer 1
		.amdhsa_user_sgpr_dispatch_ptr 0
		.amdhsa_user_sgpr_queue_ptr 0
		.amdhsa_user_sgpr_kernarg_segment_ptr 1
		.amdhsa_user_sgpr_dispatch_id 0
		.amdhsa_user_sgpr_flat_scratch_init 0
		.amdhsa_user_sgpr_kernarg_preload_length 0
		.amdhsa_user_sgpr_kernarg_preload_offset 0
		.amdhsa_user_sgpr_private_segment_size 0
		.amdhsa_uses_dynamic_stack 0
		.amdhsa_system_sgpr_private_segment_wavefront_offset 0
		.amdhsa_system_sgpr_workgroup_id_x 1
		.amdhsa_system_sgpr_workgroup_id_y 0
		.amdhsa_system_sgpr_workgroup_id_z 0
		.amdhsa_system_sgpr_workgroup_info 0
		.amdhsa_system_vgpr_workitem_id 0
		.amdhsa_next_free_vgpr 1
		.amdhsa_next_free_sgpr 0
		.amdhsa_accum_offset 4
		.amdhsa_reserve_vcc 0
		.amdhsa_reserve_flat_scratch 0
		.amdhsa_float_round_mode_32 0
		.amdhsa_float_round_mode_16_64 0
		.amdhsa_float_denorm_mode_32 3
		.amdhsa_float_denorm_mode_16_64 3
		.amdhsa_dx10_clamp 1
		.amdhsa_ieee_mode 1
		.amdhsa_fp16_overflow 0
		.amdhsa_tg_split 0
		.amdhsa_exception_fp_ieee_invalid_op 0
		.amdhsa_exception_fp_denorm_src 0
		.amdhsa_exception_fp_ieee_div_zero 0
		.amdhsa_exception_fp_ieee_overflow 0
		.amdhsa_exception_fp_ieee_underflow 0
		.amdhsa_exception_fp_ieee_inexact 0
		.amdhsa_exception_int_div_zero 0
	.end_amdhsa_kernel
	.section	.text._ZN7rocprim17ROCPRIM_400000_NS6detail17trampoline_kernelINS0_14default_configENS1_38merge_sort_block_merge_config_selectorIfNS0_10empty_typeEEEZZNS1_27merge_sort_block_merge_implIS3_N6thrust23THRUST_200600_302600_NS6detail15normal_iteratorINS9_10device_ptrIfEEEEPS5_m14custom_greaterIfEEE10hipError_tT0_T1_T2_jT3_P12ihipStream_tbPNSt15iterator_traitsISJ_E10value_typeEPNSP_ISK_E10value_typeEPSL_NS1_7vsmem_tEENKUlT_SJ_SK_SL_E_clISE_PfSF_SF_EESI_SY_SJ_SK_SL_EUlSY_E_NS1_11comp_targetILNS1_3genE0ELNS1_11target_archE4294967295ELNS1_3gpuE0ELNS1_3repE0EEENS1_48merge_mergepath_partition_config_static_selectorELNS0_4arch9wavefront6targetE1EEEvSK_,"axG",@progbits,_ZN7rocprim17ROCPRIM_400000_NS6detail17trampoline_kernelINS0_14default_configENS1_38merge_sort_block_merge_config_selectorIfNS0_10empty_typeEEEZZNS1_27merge_sort_block_merge_implIS3_N6thrust23THRUST_200600_302600_NS6detail15normal_iteratorINS9_10device_ptrIfEEEEPS5_m14custom_greaterIfEEE10hipError_tT0_T1_T2_jT3_P12ihipStream_tbPNSt15iterator_traitsISJ_E10value_typeEPNSP_ISK_E10value_typeEPSL_NS1_7vsmem_tEENKUlT_SJ_SK_SL_E_clISE_PfSF_SF_EESI_SY_SJ_SK_SL_EUlSY_E_NS1_11comp_targetILNS1_3genE0ELNS1_11target_archE4294967295ELNS1_3gpuE0ELNS1_3repE0EEENS1_48merge_mergepath_partition_config_static_selectorELNS0_4arch9wavefront6targetE1EEEvSK_,comdat
.Lfunc_end3562:
	.size	_ZN7rocprim17ROCPRIM_400000_NS6detail17trampoline_kernelINS0_14default_configENS1_38merge_sort_block_merge_config_selectorIfNS0_10empty_typeEEEZZNS1_27merge_sort_block_merge_implIS3_N6thrust23THRUST_200600_302600_NS6detail15normal_iteratorINS9_10device_ptrIfEEEEPS5_m14custom_greaterIfEEE10hipError_tT0_T1_T2_jT3_P12ihipStream_tbPNSt15iterator_traitsISJ_E10value_typeEPNSP_ISK_E10value_typeEPSL_NS1_7vsmem_tEENKUlT_SJ_SK_SL_E_clISE_PfSF_SF_EESI_SY_SJ_SK_SL_EUlSY_E_NS1_11comp_targetILNS1_3genE0ELNS1_11target_archE4294967295ELNS1_3gpuE0ELNS1_3repE0EEENS1_48merge_mergepath_partition_config_static_selectorELNS0_4arch9wavefront6targetE1EEEvSK_, .Lfunc_end3562-_ZN7rocprim17ROCPRIM_400000_NS6detail17trampoline_kernelINS0_14default_configENS1_38merge_sort_block_merge_config_selectorIfNS0_10empty_typeEEEZZNS1_27merge_sort_block_merge_implIS3_N6thrust23THRUST_200600_302600_NS6detail15normal_iteratorINS9_10device_ptrIfEEEEPS5_m14custom_greaterIfEEE10hipError_tT0_T1_T2_jT3_P12ihipStream_tbPNSt15iterator_traitsISJ_E10value_typeEPNSP_ISK_E10value_typeEPSL_NS1_7vsmem_tEENKUlT_SJ_SK_SL_E_clISE_PfSF_SF_EESI_SY_SJ_SK_SL_EUlSY_E_NS1_11comp_targetILNS1_3genE0ELNS1_11target_archE4294967295ELNS1_3gpuE0ELNS1_3repE0EEENS1_48merge_mergepath_partition_config_static_selectorELNS0_4arch9wavefront6targetE1EEEvSK_
                                        ; -- End function
	.section	.AMDGPU.csdata,"",@progbits
; Kernel info:
; codeLenInByte = 0
; NumSgprs: 4
; NumVgprs: 0
; NumAgprs: 0
; TotalNumVgprs: 0
; ScratchSize: 0
; MemoryBound: 0
; FloatMode: 240
; IeeeMode: 1
; LDSByteSize: 0 bytes/workgroup (compile time only)
; SGPRBlocks: 0
; VGPRBlocks: 0
; NumSGPRsForWavesPerEU: 4
; NumVGPRsForWavesPerEU: 1
; AccumOffset: 4
; Occupancy: 8
; WaveLimiterHint : 0
; COMPUTE_PGM_RSRC2:SCRATCH_EN: 0
; COMPUTE_PGM_RSRC2:USER_SGPR: 6
; COMPUTE_PGM_RSRC2:TRAP_HANDLER: 0
; COMPUTE_PGM_RSRC2:TGID_X_EN: 1
; COMPUTE_PGM_RSRC2:TGID_Y_EN: 0
; COMPUTE_PGM_RSRC2:TGID_Z_EN: 0
; COMPUTE_PGM_RSRC2:TIDIG_COMP_CNT: 0
; COMPUTE_PGM_RSRC3_GFX90A:ACCUM_OFFSET: 0
; COMPUTE_PGM_RSRC3_GFX90A:TG_SPLIT: 0
	.section	.text._ZN7rocprim17ROCPRIM_400000_NS6detail17trampoline_kernelINS0_14default_configENS1_38merge_sort_block_merge_config_selectorIfNS0_10empty_typeEEEZZNS1_27merge_sort_block_merge_implIS3_N6thrust23THRUST_200600_302600_NS6detail15normal_iteratorINS9_10device_ptrIfEEEEPS5_m14custom_greaterIfEEE10hipError_tT0_T1_T2_jT3_P12ihipStream_tbPNSt15iterator_traitsISJ_E10value_typeEPNSP_ISK_E10value_typeEPSL_NS1_7vsmem_tEENKUlT_SJ_SK_SL_E_clISE_PfSF_SF_EESI_SY_SJ_SK_SL_EUlSY_E_NS1_11comp_targetILNS1_3genE10ELNS1_11target_archE1201ELNS1_3gpuE5ELNS1_3repE0EEENS1_48merge_mergepath_partition_config_static_selectorELNS0_4arch9wavefront6targetE1EEEvSK_,"axG",@progbits,_ZN7rocprim17ROCPRIM_400000_NS6detail17trampoline_kernelINS0_14default_configENS1_38merge_sort_block_merge_config_selectorIfNS0_10empty_typeEEEZZNS1_27merge_sort_block_merge_implIS3_N6thrust23THRUST_200600_302600_NS6detail15normal_iteratorINS9_10device_ptrIfEEEEPS5_m14custom_greaterIfEEE10hipError_tT0_T1_T2_jT3_P12ihipStream_tbPNSt15iterator_traitsISJ_E10value_typeEPNSP_ISK_E10value_typeEPSL_NS1_7vsmem_tEENKUlT_SJ_SK_SL_E_clISE_PfSF_SF_EESI_SY_SJ_SK_SL_EUlSY_E_NS1_11comp_targetILNS1_3genE10ELNS1_11target_archE1201ELNS1_3gpuE5ELNS1_3repE0EEENS1_48merge_mergepath_partition_config_static_selectorELNS0_4arch9wavefront6targetE1EEEvSK_,comdat
	.protected	_ZN7rocprim17ROCPRIM_400000_NS6detail17trampoline_kernelINS0_14default_configENS1_38merge_sort_block_merge_config_selectorIfNS0_10empty_typeEEEZZNS1_27merge_sort_block_merge_implIS3_N6thrust23THRUST_200600_302600_NS6detail15normal_iteratorINS9_10device_ptrIfEEEEPS5_m14custom_greaterIfEEE10hipError_tT0_T1_T2_jT3_P12ihipStream_tbPNSt15iterator_traitsISJ_E10value_typeEPNSP_ISK_E10value_typeEPSL_NS1_7vsmem_tEENKUlT_SJ_SK_SL_E_clISE_PfSF_SF_EESI_SY_SJ_SK_SL_EUlSY_E_NS1_11comp_targetILNS1_3genE10ELNS1_11target_archE1201ELNS1_3gpuE5ELNS1_3repE0EEENS1_48merge_mergepath_partition_config_static_selectorELNS0_4arch9wavefront6targetE1EEEvSK_ ; -- Begin function _ZN7rocprim17ROCPRIM_400000_NS6detail17trampoline_kernelINS0_14default_configENS1_38merge_sort_block_merge_config_selectorIfNS0_10empty_typeEEEZZNS1_27merge_sort_block_merge_implIS3_N6thrust23THRUST_200600_302600_NS6detail15normal_iteratorINS9_10device_ptrIfEEEEPS5_m14custom_greaterIfEEE10hipError_tT0_T1_T2_jT3_P12ihipStream_tbPNSt15iterator_traitsISJ_E10value_typeEPNSP_ISK_E10value_typeEPSL_NS1_7vsmem_tEENKUlT_SJ_SK_SL_E_clISE_PfSF_SF_EESI_SY_SJ_SK_SL_EUlSY_E_NS1_11comp_targetILNS1_3genE10ELNS1_11target_archE1201ELNS1_3gpuE5ELNS1_3repE0EEENS1_48merge_mergepath_partition_config_static_selectorELNS0_4arch9wavefront6targetE1EEEvSK_
	.globl	_ZN7rocprim17ROCPRIM_400000_NS6detail17trampoline_kernelINS0_14default_configENS1_38merge_sort_block_merge_config_selectorIfNS0_10empty_typeEEEZZNS1_27merge_sort_block_merge_implIS3_N6thrust23THRUST_200600_302600_NS6detail15normal_iteratorINS9_10device_ptrIfEEEEPS5_m14custom_greaterIfEEE10hipError_tT0_T1_T2_jT3_P12ihipStream_tbPNSt15iterator_traitsISJ_E10value_typeEPNSP_ISK_E10value_typeEPSL_NS1_7vsmem_tEENKUlT_SJ_SK_SL_E_clISE_PfSF_SF_EESI_SY_SJ_SK_SL_EUlSY_E_NS1_11comp_targetILNS1_3genE10ELNS1_11target_archE1201ELNS1_3gpuE5ELNS1_3repE0EEENS1_48merge_mergepath_partition_config_static_selectorELNS0_4arch9wavefront6targetE1EEEvSK_
	.p2align	8
	.type	_ZN7rocprim17ROCPRIM_400000_NS6detail17trampoline_kernelINS0_14default_configENS1_38merge_sort_block_merge_config_selectorIfNS0_10empty_typeEEEZZNS1_27merge_sort_block_merge_implIS3_N6thrust23THRUST_200600_302600_NS6detail15normal_iteratorINS9_10device_ptrIfEEEEPS5_m14custom_greaterIfEEE10hipError_tT0_T1_T2_jT3_P12ihipStream_tbPNSt15iterator_traitsISJ_E10value_typeEPNSP_ISK_E10value_typeEPSL_NS1_7vsmem_tEENKUlT_SJ_SK_SL_E_clISE_PfSF_SF_EESI_SY_SJ_SK_SL_EUlSY_E_NS1_11comp_targetILNS1_3genE10ELNS1_11target_archE1201ELNS1_3gpuE5ELNS1_3repE0EEENS1_48merge_mergepath_partition_config_static_selectorELNS0_4arch9wavefront6targetE1EEEvSK_,@function
_ZN7rocprim17ROCPRIM_400000_NS6detail17trampoline_kernelINS0_14default_configENS1_38merge_sort_block_merge_config_selectorIfNS0_10empty_typeEEEZZNS1_27merge_sort_block_merge_implIS3_N6thrust23THRUST_200600_302600_NS6detail15normal_iteratorINS9_10device_ptrIfEEEEPS5_m14custom_greaterIfEEE10hipError_tT0_T1_T2_jT3_P12ihipStream_tbPNSt15iterator_traitsISJ_E10value_typeEPNSP_ISK_E10value_typeEPSL_NS1_7vsmem_tEENKUlT_SJ_SK_SL_E_clISE_PfSF_SF_EESI_SY_SJ_SK_SL_EUlSY_E_NS1_11comp_targetILNS1_3genE10ELNS1_11target_archE1201ELNS1_3gpuE5ELNS1_3repE0EEENS1_48merge_mergepath_partition_config_static_selectorELNS0_4arch9wavefront6targetE1EEEvSK_: ; @_ZN7rocprim17ROCPRIM_400000_NS6detail17trampoline_kernelINS0_14default_configENS1_38merge_sort_block_merge_config_selectorIfNS0_10empty_typeEEEZZNS1_27merge_sort_block_merge_implIS3_N6thrust23THRUST_200600_302600_NS6detail15normal_iteratorINS9_10device_ptrIfEEEEPS5_m14custom_greaterIfEEE10hipError_tT0_T1_T2_jT3_P12ihipStream_tbPNSt15iterator_traitsISJ_E10value_typeEPNSP_ISK_E10value_typeEPSL_NS1_7vsmem_tEENKUlT_SJ_SK_SL_E_clISE_PfSF_SF_EESI_SY_SJ_SK_SL_EUlSY_E_NS1_11comp_targetILNS1_3genE10ELNS1_11target_archE1201ELNS1_3gpuE5ELNS1_3repE0EEENS1_48merge_mergepath_partition_config_static_selectorELNS0_4arch9wavefront6targetE1EEEvSK_
; %bb.0:
	.section	.rodata,"a",@progbits
	.p2align	6, 0x0
	.amdhsa_kernel _ZN7rocprim17ROCPRIM_400000_NS6detail17trampoline_kernelINS0_14default_configENS1_38merge_sort_block_merge_config_selectorIfNS0_10empty_typeEEEZZNS1_27merge_sort_block_merge_implIS3_N6thrust23THRUST_200600_302600_NS6detail15normal_iteratorINS9_10device_ptrIfEEEEPS5_m14custom_greaterIfEEE10hipError_tT0_T1_T2_jT3_P12ihipStream_tbPNSt15iterator_traitsISJ_E10value_typeEPNSP_ISK_E10value_typeEPSL_NS1_7vsmem_tEENKUlT_SJ_SK_SL_E_clISE_PfSF_SF_EESI_SY_SJ_SK_SL_EUlSY_E_NS1_11comp_targetILNS1_3genE10ELNS1_11target_archE1201ELNS1_3gpuE5ELNS1_3repE0EEENS1_48merge_mergepath_partition_config_static_selectorELNS0_4arch9wavefront6targetE1EEEvSK_
		.amdhsa_group_segment_fixed_size 0
		.amdhsa_private_segment_fixed_size 0
		.amdhsa_kernarg_size 48
		.amdhsa_user_sgpr_count 6
		.amdhsa_user_sgpr_private_segment_buffer 1
		.amdhsa_user_sgpr_dispatch_ptr 0
		.amdhsa_user_sgpr_queue_ptr 0
		.amdhsa_user_sgpr_kernarg_segment_ptr 1
		.amdhsa_user_sgpr_dispatch_id 0
		.amdhsa_user_sgpr_flat_scratch_init 0
		.amdhsa_user_sgpr_kernarg_preload_length 0
		.amdhsa_user_sgpr_kernarg_preload_offset 0
		.amdhsa_user_sgpr_private_segment_size 0
		.amdhsa_uses_dynamic_stack 0
		.amdhsa_system_sgpr_private_segment_wavefront_offset 0
		.amdhsa_system_sgpr_workgroup_id_x 1
		.amdhsa_system_sgpr_workgroup_id_y 0
		.amdhsa_system_sgpr_workgroup_id_z 0
		.amdhsa_system_sgpr_workgroup_info 0
		.amdhsa_system_vgpr_workitem_id 0
		.amdhsa_next_free_vgpr 1
		.amdhsa_next_free_sgpr 0
		.amdhsa_accum_offset 4
		.amdhsa_reserve_vcc 0
		.amdhsa_reserve_flat_scratch 0
		.amdhsa_float_round_mode_32 0
		.amdhsa_float_round_mode_16_64 0
		.amdhsa_float_denorm_mode_32 3
		.amdhsa_float_denorm_mode_16_64 3
		.amdhsa_dx10_clamp 1
		.amdhsa_ieee_mode 1
		.amdhsa_fp16_overflow 0
		.amdhsa_tg_split 0
		.amdhsa_exception_fp_ieee_invalid_op 0
		.amdhsa_exception_fp_denorm_src 0
		.amdhsa_exception_fp_ieee_div_zero 0
		.amdhsa_exception_fp_ieee_overflow 0
		.amdhsa_exception_fp_ieee_underflow 0
		.amdhsa_exception_fp_ieee_inexact 0
		.amdhsa_exception_int_div_zero 0
	.end_amdhsa_kernel
	.section	.text._ZN7rocprim17ROCPRIM_400000_NS6detail17trampoline_kernelINS0_14default_configENS1_38merge_sort_block_merge_config_selectorIfNS0_10empty_typeEEEZZNS1_27merge_sort_block_merge_implIS3_N6thrust23THRUST_200600_302600_NS6detail15normal_iteratorINS9_10device_ptrIfEEEEPS5_m14custom_greaterIfEEE10hipError_tT0_T1_T2_jT3_P12ihipStream_tbPNSt15iterator_traitsISJ_E10value_typeEPNSP_ISK_E10value_typeEPSL_NS1_7vsmem_tEENKUlT_SJ_SK_SL_E_clISE_PfSF_SF_EESI_SY_SJ_SK_SL_EUlSY_E_NS1_11comp_targetILNS1_3genE10ELNS1_11target_archE1201ELNS1_3gpuE5ELNS1_3repE0EEENS1_48merge_mergepath_partition_config_static_selectorELNS0_4arch9wavefront6targetE1EEEvSK_,"axG",@progbits,_ZN7rocprim17ROCPRIM_400000_NS6detail17trampoline_kernelINS0_14default_configENS1_38merge_sort_block_merge_config_selectorIfNS0_10empty_typeEEEZZNS1_27merge_sort_block_merge_implIS3_N6thrust23THRUST_200600_302600_NS6detail15normal_iteratorINS9_10device_ptrIfEEEEPS5_m14custom_greaterIfEEE10hipError_tT0_T1_T2_jT3_P12ihipStream_tbPNSt15iterator_traitsISJ_E10value_typeEPNSP_ISK_E10value_typeEPSL_NS1_7vsmem_tEENKUlT_SJ_SK_SL_E_clISE_PfSF_SF_EESI_SY_SJ_SK_SL_EUlSY_E_NS1_11comp_targetILNS1_3genE10ELNS1_11target_archE1201ELNS1_3gpuE5ELNS1_3repE0EEENS1_48merge_mergepath_partition_config_static_selectorELNS0_4arch9wavefront6targetE1EEEvSK_,comdat
.Lfunc_end3563:
	.size	_ZN7rocprim17ROCPRIM_400000_NS6detail17trampoline_kernelINS0_14default_configENS1_38merge_sort_block_merge_config_selectorIfNS0_10empty_typeEEEZZNS1_27merge_sort_block_merge_implIS3_N6thrust23THRUST_200600_302600_NS6detail15normal_iteratorINS9_10device_ptrIfEEEEPS5_m14custom_greaterIfEEE10hipError_tT0_T1_T2_jT3_P12ihipStream_tbPNSt15iterator_traitsISJ_E10value_typeEPNSP_ISK_E10value_typeEPSL_NS1_7vsmem_tEENKUlT_SJ_SK_SL_E_clISE_PfSF_SF_EESI_SY_SJ_SK_SL_EUlSY_E_NS1_11comp_targetILNS1_3genE10ELNS1_11target_archE1201ELNS1_3gpuE5ELNS1_3repE0EEENS1_48merge_mergepath_partition_config_static_selectorELNS0_4arch9wavefront6targetE1EEEvSK_, .Lfunc_end3563-_ZN7rocprim17ROCPRIM_400000_NS6detail17trampoline_kernelINS0_14default_configENS1_38merge_sort_block_merge_config_selectorIfNS0_10empty_typeEEEZZNS1_27merge_sort_block_merge_implIS3_N6thrust23THRUST_200600_302600_NS6detail15normal_iteratorINS9_10device_ptrIfEEEEPS5_m14custom_greaterIfEEE10hipError_tT0_T1_T2_jT3_P12ihipStream_tbPNSt15iterator_traitsISJ_E10value_typeEPNSP_ISK_E10value_typeEPSL_NS1_7vsmem_tEENKUlT_SJ_SK_SL_E_clISE_PfSF_SF_EESI_SY_SJ_SK_SL_EUlSY_E_NS1_11comp_targetILNS1_3genE10ELNS1_11target_archE1201ELNS1_3gpuE5ELNS1_3repE0EEENS1_48merge_mergepath_partition_config_static_selectorELNS0_4arch9wavefront6targetE1EEEvSK_
                                        ; -- End function
	.section	.AMDGPU.csdata,"",@progbits
; Kernel info:
; codeLenInByte = 0
; NumSgprs: 4
; NumVgprs: 0
; NumAgprs: 0
; TotalNumVgprs: 0
; ScratchSize: 0
; MemoryBound: 0
; FloatMode: 240
; IeeeMode: 1
; LDSByteSize: 0 bytes/workgroup (compile time only)
; SGPRBlocks: 0
; VGPRBlocks: 0
; NumSGPRsForWavesPerEU: 4
; NumVGPRsForWavesPerEU: 1
; AccumOffset: 4
; Occupancy: 8
; WaveLimiterHint : 0
; COMPUTE_PGM_RSRC2:SCRATCH_EN: 0
; COMPUTE_PGM_RSRC2:USER_SGPR: 6
; COMPUTE_PGM_RSRC2:TRAP_HANDLER: 0
; COMPUTE_PGM_RSRC2:TGID_X_EN: 1
; COMPUTE_PGM_RSRC2:TGID_Y_EN: 0
; COMPUTE_PGM_RSRC2:TGID_Z_EN: 0
; COMPUTE_PGM_RSRC2:TIDIG_COMP_CNT: 0
; COMPUTE_PGM_RSRC3_GFX90A:ACCUM_OFFSET: 0
; COMPUTE_PGM_RSRC3_GFX90A:TG_SPLIT: 0
	.section	.text._ZN7rocprim17ROCPRIM_400000_NS6detail17trampoline_kernelINS0_14default_configENS1_38merge_sort_block_merge_config_selectorIfNS0_10empty_typeEEEZZNS1_27merge_sort_block_merge_implIS3_N6thrust23THRUST_200600_302600_NS6detail15normal_iteratorINS9_10device_ptrIfEEEEPS5_m14custom_greaterIfEEE10hipError_tT0_T1_T2_jT3_P12ihipStream_tbPNSt15iterator_traitsISJ_E10value_typeEPNSP_ISK_E10value_typeEPSL_NS1_7vsmem_tEENKUlT_SJ_SK_SL_E_clISE_PfSF_SF_EESI_SY_SJ_SK_SL_EUlSY_E_NS1_11comp_targetILNS1_3genE5ELNS1_11target_archE942ELNS1_3gpuE9ELNS1_3repE0EEENS1_48merge_mergepath_partition_config_static_selectorELNS0_4arch9wavefront6targetE1EEEvSK_,"axG",@progbits,_ZN7rocprim17ROCPRIM_400000_NS6detail17trampoline_kernelINS0_14default_configENS1_38merge_sort_block_merge_config_selectorIfNS0_10empty_typeEEEZZNS1_27merge_sort_block_merge_implIS3_N6thrust23THRUST_200600_302600_NS6detail15normal_iteratorINS9_10device_ptrIfEEEEPS5_m14custom_greaterIfEEE10hipError_tT0_T1_T2_jT3_P12ihipStream_tbPNSt15iterator_traitsISJ_E10value_typeEPNSP_ISK_E10value_typeEPSL_NS1_7vsmem_tEENKUlT_SJ_SK_SL_E_clISE_PfSF_SF_EESI_SY_SJ_SK_SL_EUlSY_E_NS1_11comp_targetILNS1_3genE5ELNS1_11target_archE942ELNS1_3gpuE9ELNS1_3repE0EEENS1_48merge_mergepath_partition_config_static_selectorELNS0_4arch9wavefront6targetE1EEEvSK_,comdat
	.protected	_ZN7rocprim17ROCPRIM_400000_NS6detail17trampoline_kernelINS0_14default_configENS1_38merge_sort_block_merge_config_selectorIfNS0_10empty_typeEEEZZNS1_27merge_sort_block_merge_implIS3_N6thrust23THRUST_200600_302600_NS6detail15normal_iteratorINS9_10device_ptrIfEEEEPS5_m14custom_greaterIfEEE10hipError_tT0_T1_T2_jT3_P12ihipStream_tbPNSt15iterator_traitsISJ_E10value_typeEPNSP_ISK_E10value_typeEPSL_NS1_7vsmem_tEENKUlT_SJ_SK_SL_E_clISE_PfSF_SF_EESI_SY_SJ_SK_SL_EUlSY_E_NS1_11comp_targetILNS1_3genE5ELNS1_11target_archE942ELNS1_3gpuE9ELNS1_3repE0EEENS1_48merge_mergepath_partition_config_static_selectorELNS0_4arch9wavefront6targetE1EEEvSK_ ; -- Begin function _ZN7rocprim17ROCPRIM_400000_NS6detail17trampoline_kernelINS0_14default_configENS1_38merge_sort_block_merge_config_selectorIfNS0_10empty_typeEEEZZNS1_27merge_sort_block_merge_implIS3_N6thrust23THRUST_200600_302600_NS6detail15normal_iteratorINS9_10device_ptrIfEEEEPS5_m14custom_greaterIfEEE10hipError_tT0_T1_T2_jT3_P12ihipStream_tbPNSt15iterator_traitsISJ_E10value_typeEPNSP_ISK_E10value_typeEPSL_NS1_7vsmem_tEENKUlT_SJ_SK_SL_E_clISE_PfSF_SF_EESI_SY_SJ_SK_SL_EUlSY_E_NS1_11comp_targetILNS1_3genE5ELNS1_11target_archE942ELNS1_3gpuE9ELNS1_3repE0EEENS1_48merge_mergepath_partition_config_static_selectorELNS0_4arch9wavefront6targetE1EEEvSK_
	.globl	_ZN7rocprim17ROCPRIM_400000_NS6detail17trampoline_kernelINS0_14default_configENS1_38merge_sort_block_merge_config_selectorIfNS0_10empty_typeEEEZZNS1_27merge_sort_block_merge_implIS3_N6thrust23THRUST_200600_302600_NS6detail15normal_iteratorINS9_10device_ptrIfEEEEPS5_m14custom_greaterIfEEE10hipError_tT0_T1_T2_jT3_P12ihipStream_tbPNSt15iterator_traitsISJ_E10value_typeEPNSP_ISK_E10value_typeEPSL_NS1_7vsmem_tEENKUlT_SJ_SK_SL_E_clISE_PfSF_SF_EESI_SY_SJ_SK_SL_EUlSY_E_NS1_11comp_targetILNS1_3genE5ELNS1_11target_archE942ELNS1_3gpuE9ELNS1_3repE0EEENS1_48merge_mergepath_partition_config_static_selectorELNS0_4arch9wavefront6targetE1EEEvSK_
	.p2align	8
	.type	_ZN7rocprim17ROCPRIM_400000_NS6detail17trampoline_kernelINS0_14default_configENS1_38merge_sort_block_merge_config_selectorIfNS0_10empty_typeEEEZZNS1_27merge_sort_block_merge_implIS3_N6thrust23THRUST_200600_302600_NS6detail15normal_iteratorINS9_10device_ptrIfEEEEPS5_m14custom_greaterIfEEE10hipError_tT0_T1_T2_jT3_P12ihipStream_tbPNSt15iterator_traitsISJ_E10value_typeEPNSP_ISK_E10value_typeEPSL_NS1_7vsmem_tEENKUlT_SJ_SK_SL_E_clISE_PfSF_SF_EESI_SY_SJ_SK_SL_EUlSY_E_NS1_11comp_targetILNS1_3genE5ELNS1_11target_archE942ELNS1_3gpuE9ELNS1_3repE0EEENS1_48merge_mergepath_partition_config_static_selectorELNS0_4arch9wavefront6targetE1EEEvSK_,@function
_ZN7rocprim17ROCPRIM_400000_NS6detail17trampoline_kernelINS0_14default_configENS1_38merge_sort_block_merge_config_selectorIfNS0_10empty_typeEEEZZNS1_27merge_sort_block_merge_implIS3_N6thrust23THRUST_200600_302600_NS6detail15normal_iteratorINS9_10device_ptrIfEEEEPS5_m14custom_greaterIfEEE10hipError_tT0_T1_T2_jT3_P12ihipStream_tbPNSt15iterator_traitsISJ_E10value_typeEPNSP_ISK_E10value_typeEPSL_NS1_7vsmem_tEENKUlT_SJ_SK_SL_E_clISE_PfSF_SF_EESI_SY_SJ_SK_SL_EUlSY_E_NS1_11comp_targetILNS1_3genE5ELNS1_11target_archE942ELNS1_3gpuE9ELNS1_3repE0EEENS1_48merge_mergepath_partition_config_static_selectorELNS0_4arch9wavefront6targetE1EEEvSK_: ; @_ZN7rocprim17ROCPRIM_400000_NS6detail17trampoline_kernelINS0_14default_configENS1_38merge_sort_block_merge_config_selectorIfNS0_10empty_typeEEEZZNS1_27merge_sort_block_merge_implIS3_N6thrust23THRUST_200600_302600_NS6detail15normal_iteratorINS9_10device_ptrIfEEEEPS5_m14custom_greaterIfEEE10hipError_tT0_T1_T2_jT3_P12ihipStream_tbPNSt15iterator_traitsISJ_E10value_typeEPNSP_ISK_E10value_typeEPSL_NS1_7vsmem_tEENKUlT_SJ_SK_SL_E_clISE_PfSF_SF_EESI_SY_SJ_SK_SL_EUlSY_E_NS1_11comp_targetILNS1_3genE5ELNS1_11target_archE942ELNS1_3gpuE9ELNS1_3repE0EEENS1_48merge_mergepath_partition_config_static_selectorELNS0_4arch9wavefront6targetE1EEEvSK_
; %bb.0:
	.section	.rodata,"a",@progbits
	.p2align	6, 0x0
	.amdhsa_kernel _ZN7rocprim17ROCPRIM_400000_NS6detail17trampoline_kernelINS0_14default_configENS1_38merge_sort_block_merge_config_selectorIfNS0_10empty_typeEEEZZNS1_27merge_sort_block_merge_implIS3_N6thrust23THRUST_200600_302600_NS6detail15normal_iteratorINS9_10device_ptrIfEEEEPS5_m14custom_greaterIfEEE10hipError_tT0_T1_T2_jT3_P12ihipStream_tbPNSt15iterator_traitsISJ_E10value_typeEPNSP_ISK_E10value_typeEPSL_NS1_7vsmem_tEENKUlT_SJ_SK_SL_E_clISE_PfSF_SF_EESI_SY_SJ_SK_SL_EUlSY_E_NS1_11comp_targetILNS1_3genE5ELNS1_11target_archE942ELNS1_3gpuE9ELNS1_3repE0EEENS1_48merge_mergepath_partition_config_static_selectorELNS0_4arch9wavefront6targetE1EEEvSK_
		.amdhsa_group_segment_fixed_size 0
		.amdhsa_private_segment_fixed_size 0
		.amdhsa_kernarg_size 48
		.amdhsa_user_sgpr_count 6
		.amdhsa_user_sgpr_private_segment_buffer 1
		.amdhsa_user_sgpr_dispatch_ptr 0
		.amdhsa_user_sgpr_queue_ptr 0
		.amdhsa_user_sgpr_kernarg_segment_ptr 1
		.amdhsa_user_sgpr_dispatch_id 0
		.amdhsa_user_sgpr_flat_scratch_init 0
		.amdhsa_user_sgpr_kernarg_preload_length 0
		.amdhsa_user_sgpr_kernarg_preload_offset 0
		.amdhsa_user_sgpr_private_segment_size 0
		.amdhsa_uses_dynamic_stack 0
		.amdhsa_system_sgpr_private_segment_wavefront_offset 0
		.amdhsa_system_sgpr_workgroup_id_x 1
		.amdhsa_system_sgpr_workgroup_id_y 0
		.amdhsa_system_sgpr_workgroup_id_z 0
		.amdhsa_system_sgpr_workgroup_info 0
		.amdhsa_system_vgpr_workitem_id 0
		.amdhsa_next_free_vgpr 1
		.amdhsa_next_free_sgpr 0
		.amdhsa_accum_offset 4
		.amdhsa_reserve_vcc 0
		.amdhsa_reserve_flat_scratch 0
		.amdhsa_float_round_mode_32 0
		.amdhsa_float_round_mode_16_64 0
		.amdhsa_float_denorm_mode_32 3
		.amdhsa_float_denorm_mode_16_64 3
		.amdhsa_dx10_clamp 1
		.amdhsa_ieee_mode 1
		.amdhsa_fp16_overflow 0
		.amdhsa_tg_split 0
		.amdhsa_exception_fp_ieee_invalid_op 0
		.amdhsa_exception_fp_denorm_src 0
		.amdhsa_exception_fp_ieee_div_zero 0
		.amdhsa_exception_fp_ieee_overflow 0
		.amdhsa_exception_fp_ieee_underflow 0
		.amdhsa_exception_fp_ieee_inexact 0
		.amdhsa_exception_int_div_zero 0
	.end_amdhsa_kernel
	.section	.text._ZN7rocprim17ROCPRIM_400000_NS6detail17trampoline_kernelINS0_14default_configENS1_38merge_sort_block_merge_config_selectorIfNS0_10empty_typeEEEZZNS1_27merge_sort_block_merge_implIS3_N6thrust23THRUST_200600_302600_NS6detail15normal_iteratorINS9_10device_ptrIfEEEEPS5_m14custom_greaterIfEEE10hipError_tT0_T1_T2_jT3_P12ihipStream_tbPNSt15iterator_traitsISJ_E10value_typeEPNSP_ISK_E10value_typeEPSL_NS1_7vsmem_tEENKUlT_SJ_SK_SL_E_clISE_PfSF_SF_EESI_SY_SJ_SK_SL_EUlSY_E_NS1_11comp_targetILNS1_3genE5ELNS1_11target_archE942ELNS1_3gpuE9ELNS1_3repE0EEENS1_48merge_mergepath_partition_config_static_selectorELNS0_4arch9wavefront6targetE1EEEvSK_,"axG",@progbits,_ZN7rocprim17ROCPRIM_400000_NS6detail17trampoline_kernelINS0_14default_configENS1_38merge_sort_block_merge_config_selectorIfNS0_10empty_typeEEEZZNS1_27merge_sort_block_merge_implIS3_N6thrust23THRUST_200600_302600_NS6detail15normal_iteratorINS9_10device_ptrIfEEEEPS5_m14custom_greaterIfEEE10hipError_tT0_T1_T2_jT3_P12ihipStream_tbPNSt15iterator_traitsISJ_E10value_typeEPNSP_ISK_E10value_typeEPSL_NS1_7vsmem_tEENKUlT_SJ_SK_SL_E_clISE_PfSF_SF_EESI_SY_SJ_SK_SL_EUlSY_E_NS1_11comp_targetILNS1_3genE5ELNS1_11target_archE942ELNS1_3gpuE9ELNS1_3repE0EEENS1_48merge_mergepath_partition_config_static_selectorELNS0_4arch9wavefront6targetE1EEEvSK_,comdat
.Lfunc_end3564:
	.size	_ZN7rocprim17ROCPRIM_400000_NS6detail17trampoline_kernelINS0_14default_configENS1_38merge_sort_block_merge_config_selectorIfNS0_10empty_typeEEEZZNS1_27merge_sort_block_merge_implIS3_N6thrust23THRUST_200600_302600_NS6detail15normal_iteratorINS9_10device_ptrIfEEEEPS5_m14custom_greaterIfEEE10hipError_tT0_T1_T2_jT3_P12ihipStream_tbPNSt15iterator_traitsISJ_E10value_typeEPNSP_ISK_E10value_typeEPSL_NS1_7vsmem_tEENKUlT_SJ_SK_SL_E_clISE_PfSF_SF_EESI_SY_SJ_SK_SL_EUlSY_E_NS1_11comp_targetILNS1_3genE5ELNS1_11target_archE942ELNS1_3gpuE9ELNS1_3repE0EEENS1_48merge_mergepath_partition_config_static_selectorELNS0_4arch9wavefront6targetE1EEEvSK_, .Lfunc_end3564-_ZN7rocprim17ROCPRIM_400000_NS6detail17trampoline_kernelINS0_14default_configENS1_38merge_sort_block_merge_config_selectorIfNS0_10empty_typeEEEZZNS1_27merge_sort_block_merge_implIS3_N6thrust23THRUST_200600_302600_NS6detail15normal_iteratorINS9_10device_ptrIfEEEEPS5_m14custom_greaterIfEEE10hipError_tT0_T1_T2_jT3_P12ihipStream_tbPNSt15iterator_traitsISJ_E10value_typeEPNSP_ISK_E10value_typeEPSL_NS1_7vsmem_tEENKUlT_SJ_SK_SL_E_clISE_PfSF_SF_EESI_SY_SJ_SK_SL_EUlSY_E_NS1_11comp_targetILNS1_3genE5ELNS1_11target_archE942ELNS1_3gpuE9ELNS1_3repE0EEENS1_48merge_mergepath_partition_config_static_selectorELNS0_4arch9wavefront6targetE1EEEvSK_
                                        ; -- End function
	.section	.AMDGPU.csdata,"",@progbits
; Kernel info:
; codeLenInByte = 0
; NumSgprs: 4
; NumVgprs: 0
; NumAgprs: 0
; TotalNumVgprs: 0
; ScratchSize: 0
; MemoryBound: 0
; FloatMode: 240
; IeeeMode: 1
; LDSByteSize: 0 bytes/workgroup (compile time only)
; SGPRBlocks: 0
; VGPRBlocks: 0
; NumSGPRsForWavesPerEU: 4
; NumVGPRsForWavesPerEU: 1
; AccumOffset: 4
; Occupancy: 8
; WaveLimiterHint : 0
; COMPUTE_PGM_RSRC2:SCRATCH_EN: 0
; COMPUTE_PGM_RSRC2:USER_SGPR: 6
; COMPUTE_PGM_RSRC2:TRAP_HANDLER: 0
; COMPUTE_PGM_RSRC2:TGID_X_EN: 1
; COMPUTE_PGM_RSRC2:TGID_Y_EN: 0
; COMPUTE_PGM_RSRC2:TGID_Z_EN: 0
; COMPUTE_PGM_RSRC2:TIDIG_COMP_CNT: 0
; COMPUTE_PGM_RSRC3_GFX90A:ACCUM_OFFSET: 0
; COMPUTE_PGM_RSRC3_GFX90A:TG_SPLIT: 0
	.section	.text._ZN7rocprim17ROCPRIM_400000_NS6detail17trampoline_kernelINS0_14default_configENS1_38merge_sort_block_merge_config_selectorIfNS0_10empty_typeEEEZZNS1_27merge_sort_block_merge_implIS3_N6thrust23THRUST_200600_302600_NS6detail15normal_iteratorINS9_10device_ptrIfEEEEPS5_m14custom_greaterIfEEE10hipError_tT0_T1_T2_jT3_P12ihipStream_tbPNSt15iterator_traitsISJ_E10value_typeEPNSP_ISK_E10value_typeEPSL_NS1_7vsmem_tEENKUlT_SJ_SK_SL_E_clISE_PfSF_SF_EESI_SY_SJ_SK_SL_EUlSY_E_NS1_11comp_targetILNS1_3genE4ELNS1_11target_archE910ELNS1_3gpuE8ELNS1_3repE0EEENS1_48merge_mergepath_partition_config_static_selectorELNS0_4arch9wavefront6targetE1EEEvSK_,"axG",@progbits,_ZN7rocprim17ROCPRIM_400000_NS6detail17trampoline_kernelINS0_14default_configENS1_38merge_sort_block_merge_config_selectorIfNS0_10empty_typeEEEZZNS1_27merge_sort_block_merge_implIS3_N6thrust23THRUST_200600_302600_NS6detail15normal_iteratorINS9_10device_ptrIfEEEEPS5_m14custom_greaterIfEEE10hipError_tT0_T1_T2_jT3_P12ihipStream_tbPNSt15iterator_traitsISJ_E10value_typeEPNSP_ISK_E10value_typeEPSL_NS1_7vsmem_tEENKUlT_SJ_SK_SL_E_clISE_PfSF_SF_EESI_SY_SJ_SK_SL_EUlSY_E_NS1_11comp_targetILNS1_3genE4ELNS1_11target_archE910ELNS1_3gpuE8ELNS1_3repE0EEENS1_48merge_mergepath_partition_config_static_selectorELNS0_4arch9wavefront6targetE1EEEvSK_,comdat
	.protected	_ZN7rocprim17ROCPRIM_400000_NS6detail17trampoline_kernelINS0_14default_configENS1_38merge_sort_block_merge_config_selectorIfNS0_10empty_typeEEEZZNS1_27merge_sort_block_merge_implIS3_N6thrust23THRUST_200600_302600_NS6detail15normal_iteratorINS9_10device_ptrIfEEEEPS5_m14custom_greaterIfEEE10hipError_tT0_T1_T2_jT3_P12ihipStream_tbPNSt15iterator_traitsISJ_E10value_typeEPNSP_ISK_E10value_typeEPSL_NS1_7vsmem_tEENKUlT_SJ_SK_SL_E_clISE_PfSF_SF_EESI_SY_SJ_SK_SL_EUlSY_E_NS1_11comp_targetILNS1_3genE4ELNS1_11target_archE910ELNS1_3gpuE8ELNS1_3repE0EEENS1_48merge_mergepath_partition_config_static_selectorELNS0_4arch9wavefront6targetE1EEEvSK_ ; -- Begin function _ZN7rocprim17ROCPRIM_400000_NS6detail17trampoline_kernelINS0_14default_configENS1_38merge_sort_block_merge_config_selectorIfNS0_10empty_typeEEEZZNS1_27merge_sort_block_merge_implIS3_N6thrust23THRUST_200600_302600_NS6detail15normal_iteratorINS9_10device_ptrIfEEEEPS5_m14custom_greaterIfEEE10hipError_tT0_T1_T2_jT3_P12ihipStream_tbPNSt15iterator_traitsISJ_E10value_typeEPNSP_ISK_E10value_typeEPSL_NS1_7vsmem_tEENKUlT_SJ_SK_SL_E_clISE_PfSF_SF_EESI_SY_SJ_SK_SL_EUlSY_E_NS1_11comp_targetILNS1_3genE4ELNS1_11target_archE910ELNS1_3gpuE8ELNS1_3repE0EEENS1_48merge_mergepath_partition_config_static_selectorELNS0_4arch9wavefront6targetE1EEEvSK_
	.globl	_ZN7rocprim17ROCPRIM_400000_NS6detail17trampoline_kernelINS0_14default_configENS1_38merge_sort_block_merge_config_selectorIfNS0_10empty_typeEEEZZNS1_27merge_sort_block_merge_implIS3_N6thrust23THRUST_200600_302600_NS6detail15normal_iteratorINS9_10device_ptrIfEEEEPS5_m14custom_greaterIfEEE10hipError_tT0_T1_T2_jT3_P12ihipStream_tbPNSt15iterator_traitsISJ_E10value_typeEPNSP_ISK_E10value_typeEPSL_NS1_7vsmem_tEENKUlT_SJ_SK_SL_E_clISE_PfSF_SF_EESI_SY_SJ_SK_SL_EUlSY_E_NS1_11comp_targetILNS1_3genE4ELNS1_11target_archE910ELNS1_3gpuE8ELNS1_3repE0EEENS1_48merge_mergepath_partition_config_static_selectorELNS0_4arch9wavefront6targetE1EEEvSK_
	.p2align	8
	.type	_ZN7rocprim17ROCPRIM_400000_NS6detail17trampoline_kernelINS0_14default_configENS1_38merge_sort_block_merge_config_selectorIfNS0_10empty_typeEEEZZNS1_27merge_sort_block_merge_implIS3_N6thrust23THRUST_200600_302600_NS6detail15normal_iteratorINS9_10device_ptrIfEEEEPS5_m14custom_greaterIfEEE10hipError_tT0_T1_T2_jT3_P12ihipStream_tbPNSt15iterator_traitsISJ_E10value_typeEPNSP_ISK_E10value_typeEPSL_NS1_7vsmem_tEENKUlT_SJ_SK_SL_E_clISE_PfSF_SF_EESI_SY_SJ_SK_SL_EUlSY_E_NS1_11comp_targetILNS1_3genE4ELNS1_11target_archE910ELNS1_3gpuE8ELNS1_3repE0EEENS1_48merge_mergepath_partition_config_static_selectorELNS0_4arch9wavefront6targetE1EEEvSK_,@function
_ZN7rocprim17ROCPRIM_400000_NS6detail17trampoline_kernelINS0_14default_configENS1_38merge_sort_block_merge_config_selectorIfNS0_10empty_typeEEEZZNS1_27merge_sort_block_merge_implIS3_N6thrust23THRUST_200600_302600_NS6detail15normal_iteratorINS9_10device_ptrIfEEEEPS5_m14custom_greaterIfEEE10hipError_tT0_T1_T2_jT3_P12ihipStream_tbPNSt15iterator_traitsISJ_E10value_typeEPNSP_ISK_E10value_typeEPSL_NS1_7vsmem_tEENKUlT_SJ_SK_SL_E_clISE_PfSF_SF_EESI_SY_SJ_SK_SL_EUlSY_E_NS1_11comp_targetILNS1_3genE4ELNS1_11target_archE910ELNS1_3gpuE8ELNS1_3repE0EEENS1_48merge_mergepath_partition_config_static_selectorELNS0_4arch9wavefront6targetE1EEEvSK_: ; @_ZN7rocprim17ROCPRIM_400000_NS6detail17trampoline_kernelINS0_14default_configENS1_38merge_sort_block_merge_config_selectorIfNS0_10empty_typeEEEZZNS1_27merge_sort_block_merge_implIS3_N6thrust23THRUST_200600_302600_NS6detail15normal_iteratorINS9_10device_ptrIfEEEEPS5_m14custom_greaterIfEEE10hipError_tT0_T1_T2_jT3_P12ihipStream_tbPNSt15iterator_traitsISJ_E10value_typeEPNSP_ISK_E10value_typeEPSL_NS1_7vsmem_tEENKUlT_SJ_SK_SL_E_clISE_PfSF_SF_EESI_SY_SJ_SK_SL_EUlSY_E_NS1_11comp_targetILNS1_3genE4ELNS1_11target_archE910ELNS1_3gpuE8ELNS1_3repE0EEENS1_48merge_mergepath_partition_config_static_selectorELNS0_4arch9wavefront6targetE1EEEvSK_
; %bb.0:
	s_load_dword s0, s[4:5], 0x0
	v_lshl_or_b32 v0, s6, 7, v0
	s_waitcnt lgkmcnt(0)
	v_cmp_gt_u32_e32 vcc, s0, v0
	s_and_saveexec_b64 s[0:1], vcc
	s_cbranch_execz .LBB3565_6
; %bb.1:
	s_load_dwordx4 s[0:3], s[4:5], 0x8
	s_load_dwordx2 s[6:7], s[4:5], 0x28
	v_mov_b32_e32 v5, 0
	s_waitcnt lgkmcnt(0)
	v_mov_b32_e32 v1, s0
	v_alignbit_b32 v1, s1, v1, 9
	v_and_b32_e32 v1, -2, v1
	v_add_u32_e32 v2, -1, v1
	v_sub_u32_e32 v1, 0, v1
	v_and_b32_e32 v4, v0, v1
	v_lshlrev_b64 v[8:9], 10, v[4:5]
	v_mov_b32_e32 v1, s3
	v_cmp_lt_u64_e32 vcc, s[2:3], v[8:9]
	v_mov_b32_e32 v4, s2
	v_and_b32_e32 v6, v2, v0
	v_cndmask_b32_e32 v3, v9, v1, vcc
	v_cndmask_b32_e32 v2, v8, v4, vcc
	v_mov_b32_e32 v7, s1
	v_add_co_u32_e32 v8, vcc, s0, v8
	v_addc_co_u32_e32 v9, vcc, v9, v7, vcc
	v_cmp_lt_u64_e32 vcc, s[2:3], v[8:9]
	v_cndmask_b32_e32 v8, v8, v4, vcc
	v_cndmask_b32_e32 v9, v9, v1, vcc
	v_add_co_u32_e32 v10, vcc, s0, v8
	v_addc_co_u32_e32 v11, vcc, v9, v7, vcc
	v_cmp_lt_u64_e32 vcc, s[2:3], v[10:11]
	v_cndmask_b32_e32 v12, v10, v4, vcc
	v_cndmask_b32_e32 v1, v11, v1, vcc
	v_sub_co_u32_e32 v10, vcc, v12, v2
	v_mov_b32_e32 v7, v5
	v_subb_co_u32_e32 v11, vcc, v1, v3, vcc
	v_lshlrev_b64 v[4:5], 10, v[6:7]
	v_cmp_lt_u64_e32 vcc, v[10:11], v[4:5]
	v_cndmask_b32_e32 v11, v5, v11, vcc
	v_cndmask_b32_e32 v10, v4, v10, vcc
	v_sub_co_u32_e32 v6, vcc, v8, v2
	v_subb_co_u32_e32 v7, vcc, v9, v3, vcc
	v_sub_co_u32_e32 v4, vcc, v8, v12
	v_subb_co_u32_e32 v1, vcc, v9, v1, vcc
	v_add_co_u32_e32 v4, vcc, v10, v4
	v_addc_co_u32_e32 v5, vcc, v11, v1, vcc
	v_cmp_gt_u64_e32 vcc, v[4:5], v[10:11]
	v_cndmask_b32_e64 v5, v5, 0, vcc
	v_cndmask_b32_e64 v4, v4, 0, vcc
	v_cmp_lt_u64_e32 vcc, v[10:11], v[6:7]
	v_cndmask_b32_e32 v7, v7, v11, vcc
	v_cndmask_b32_e32 v6, v6, v10, vcc
	v_cmp_lt_u64_e32 vcc, v[4:5], v[6:7]
	s_and_saveexec_b64 s[0:1], vcc
	s_cbranch_execz .LBB3565_5
; %bb.2:
	s_load_dwordx2 s[2:3], s[4:5], 0x18
	v_lshlrev_b64 v[12:13], 2, v[2:3]
	v_lshlrev_b64 v[8:9], 2, v[8:9]
	s_waitcnt lgkmcnt(0)
	v_mov_b32_e32 v14, s3
	v_add_co_u32_e32 v1, vcc, s2, v12
	v_addc_co_u32_e32 v12, vcc, v14, v13, vcc
	v_add_co_u32_e32 v13, vcc, s2, v8
	v_addc_co_u32_e32 v14, vcc, v14, v9, vcc
	v_lshlrev_b64 v[8:9], 2, v[10:11]
	v_add_co_u32_e32 v8, vcc, v13, v8
	v_addc_co_u32_e32 v9, vcc, v14, v9, vcc
	s_mov_b64 s[2:3], 0
.LBB3565_3:                             ; =>This Inner Loop Header: Depth=1
	v_add_co_u32_e32 v10, vcc, v6, v4
	v_addc_co_u32_e32 v11, vcc, v7, v5, vcc
	v_lshrrev_b64 v[10:11], 1, v[10:11]
	v_lshlrev_b64 v[16:17], 2, v[10:11]
	v_not_b32_e32 v15, v11
	v_not_b32_e32 v14, v10
	v_add_co_u32_e32 v16, vcc, v1, v16
	v_addc_co_u32_e32 v17, vcc, v12, v17, vcc
	v_lshlrev_b64 v[14:15], 2, v[14:15]
	v_add_co_u32_e32 v14, vcc, v8, v14
	v_addc_co_u32_e32 v15, vcc, v9, v15, vcc
	flat_load_dword v13, v[16:17]
	flat_load_dword v18, v[14:15]
	v_add_co_u32_e32 v14, vcc, 1, v10
	v_addc_co_u32_e32 v15, vcc, 0, v11, vcc
	s_waitcnt vmcnt(0) lgkmcnt(0)
	v_cmp_gt_f32_e32 vcc, v13, v18
	v_cndmask_b32_e32 v7, v7, v11, vcc
	v_cndmask_b32_e32 v6, v6, v10, vcc
	;; [unrolled: 1-line block ×4, first 2 shown]
	v_cmp_ge_u64_e32 vcc, v[4:5], v[6:7]
	s_or_b64 s[2:3], vcc, s[2:3]
	s_andn2_b64 exec, exec, s[2:3]
	s_cbranch_execnz .LBB3565_3
; %bb.4:
	s_or_b64 exec, exec, s[2:3]
.LBB3565_5:
	s_or_b64 exec, exec, s[0:1]
	v_add_co_u32_e32 v2, vcc, v4, v2
	v_mov_b32_e32 v1, 0
	v_addc_co_u32_e32 v3, vcc, v5, v3, vcc
	v_lshlrev_b64 v[0:1], 3, v[0:1]
	v_mov_b32_e32 v4, s7
	v_add_co_u32_e32 v0, vcc, s6, v0
	v_addc_co_u32_e32 v1, vcc, v4, v1, vcc
	global_store_dwordx2 v[0:1], v[2:3], off
.LBB3565_6:
	s_endpgm
	.section	.rodata,"a",@progbits
	.p2align	6, 0x0
	.amdhsa_kernel _ZN7rocprim17ROCPRIM_400000_NS6detail17trampoline_kernelINS0_14default_configENS1_38merge_sort_block_merge_config_selectorIfNS0_10empty_typeEEEZZNS1_27merge_sort_block_merge_implIS3_N6thrust23THRUST_200600_302600_NS6detail15normal_iteratorINS9_10device_ptrIfEEEEPS5_m14custom_greaterIfEEE10hipError_tT0_T1_T2_jT3_P12ihipStream_tbPNSt15iterator_traitsISJ_E10value_typeEPNSP_ISK_E10value_typeEPSL_NS1_7vsmem_tEENKUlT_SJ_SK_SL_E_clISE_PfSF_SF_EESI_SY_SJ_SK_SL_EUlSY_E_NS1_11comp_targetILNS1_3genE4ELNS1_11target_archE910ELNS1_3gpuE8ELNS1_3repE0EEENS1_48merge_mergepath_partition_config_static_selectorELNS0_4arch9wavefront6targetE1EEEvSK_
		.amdhsa_group_segment_fixed_size 0
		.amdhsa_private_segment_fixed_size 0
		.amdhsa_kernarg_size 48
		.amdhsa_user_sgpr_count 6
		.amdhsa_user_sgpr_private_segment_buffer 1
		.amdhsa_user_sgpr_dispatch_ptr 0
		.amdhsa_user_sgpr_queue_ptr 0
		.amdhsa_user_sgpr_kernarg_segment_ptr 1
		.amdhsa_user_sgpr_dispatch_id 0
		.amdhsa_user_sgpr_flat_scratch_init 0
		.amdhsa_user_sgpr_kernarg_preload_length 0
		.amdhsa_user_sgpr_kernarg_preload_offset 0
		.amdhsa_user_sgpr_private_segment_size 0
		.amdhsa_uses_dynamic_stack 0
		.amdhsa_system_sgpr_private_segment_wavefront_offset 0
		.amdhsa_system_sgpr_workgroup_id_x 1
		.amdhsa_system_sgpr_workgroup_id_y 0
		.amdhsa_system_sgpr_workgroup_id_z 0
		.amdhsa_system_sgpr_workgroup_info 0
		.amdhsa_system_vgpr_workitem_id 0
		.amdhsa_next_free_vgpr 19
		.amdhsa_next_free_sgpr 8
		.amdhsa_accum_offset 20
		.amdhsa_reserve_vcc 1
		.amdhsa_reserve_flat_scratch 0
		.amdhsa_float_round_mode_32 0
		.amdhsa_float_round_mode_16_64 0
		.amdhsa_float_denorm_mode_32 3
		.amdhsa_float_denorm_mode_16_64 3
		.amdhsa_dx10_clamp 1
		.amdhsa_ieee_mode 1
		.amdhsa_fp16_overflow 0
		.amdhsa_tg_split 0
		.amdhsa_exception_fp_ieee_invalid_op 0
		.amdhsa_exception_fp_denorm_src 0
		.amdhsa_exception_fp_ieee_div_zero 0
		.amdhsa_exception_fp_ieee_overflow 0
		.amdhsa_exception_fp_ieee_underflow 0
		.amdhsa_exception_fp_ieee_inexact 0
		.amdhsa_exception_int_div_zero 0
	.end_amdhsa_kernel
	.section	.text._ZN7rocprim17ROCPRIM_400000_NS6detail17trampoline_kernelINS0_14default_configENS1_38merge_sort_block_merge_config_selectorIfNS0_10empty_typeEEEZZNS1_27merge_sort_block_merge_implIS3_N6thrust23THRUST_200600_302600_NS6detail15normal_iteratorINS9_10device_ptrIfEEEEPS5_m14custom_greaterIfEEE10hipError_tT0_T1_T2_jT3_P12ihipStream_tbPNSt15iterator_traitsISJ_E10value_typeEPNSP_ISK_E10value_typeEPSL_NS1_7vsmem_tEENKUlT_SJ_SK_SL_E_clISE_PfSF_SF_EESI_SY_SJ_SK_SL_EUlSY_E_NS1_11comp_targetILNS1_3genE4ELNS1_11target_archE910ELNS1_3gpuE8ELNS1_3repE0EEENS1_48merge_mergepath_partition_config_static_selectorELNS0_4arch9wavefront6targetE1EEEvSK_,"axG",@progbits,_ZN7rocprim17ROCPRIM_400000_NS6detail17trampoline_kernelINS0_14default_configENS1_38merge_sort_block_merge_config_selectorIfNS0_10empty_typeEEEZZNS1_27merge_sort_block_merge_implIS3_N6thrust23THRUST_200600_302600_NS6detail15normal_iteratorINS9_10device_ptrIfEEEEPS5_m14custom_greaterIfEEE10hipError_tT0_T1_T2_jT3_P12ihipStream_tbPNSt15iterator_traitsISJ_E10value_typeEPNSP_ISK_E10value_typeEPSL_NS1_7vsmem_tEENKUlT_SJ_SK_SL_E_clISE_PfSF_SF_EESI_SY_SJ_SK_SL_EUlSY_E_NS1_11comp_targetILNS1_3genE4ELNS1_11target_archE910ELNS1_3gpuE8ELNS1_3repE0EEENS1_48merge_mergepath_partition_config_static_selectorELNS0_4arch9wavefront6targetE1EEEvSK_,comdat
.Lfunc_end3565:
	.size	_ZN7rocprim17ROCPRIM_400000_NS6detail17trampoline_kernelINS0_14default_configENS1_38merge_sort_block_merge_config_selectorIfNS0_10empty_typeEEEZZNS1_27merge_sort_block_merge_implIS3_N6thrust23THRUST_200600_302600_NS6detail15normal_iteratorINS9_10device_ptrIfEEEEPS5_m14custom_greaterIfEEE10hipError_tT0_T1_T2_jT3_P12ihipStream_tbPNSt15iterator_traitsISJ_E10value_typeEPNSP_ISK_E10value_typeEPSL_NS1_7vsmem_tEENKUlT_SJ_SK_SL_E_clISE_PfSF_SF_EESI_SY_SJ_SK_SL_EUlSY_E_NS1_11comp_targetILNS1_3genE4ELNS1_11target_archE910ELNS1_3gpuE8ELNS1_3repE0EEENS1_48merge_mergepath_partition_config_static_selectorELNS0_4arch9wavefront6targetE1EEEvSK_, .Lfunc_end3565-_ZN7rocprim17ROCPRIM_400000_NS6detail17trampoline_kernelINS0_14default_configENS1_38merge_sort_block_merge_config_selectorIfNS0_10empty_typeEEEZZNS1_27merge_sort_block_merge_implIS3_N6thrust23THRUST_200600_302600_NS6detail15normal_iteratorINS9_10device_ptrIfEEEEPS5_m14custom_greaterIfEEE10hipError_tT0_T1_T2_jT3_P12ihipStream_tbPNSt15iterator_traitsISJ_E10value_typeEPNSP_ISK_E10value_typeEPSL_NS1_7vsmem_tEENKUlT_SJ_SK_SL_E_clISE_PfSF_SF_EESI_SY_SJ_SK_SL_EUlSY_E_NS1_11comp_targetILNS1_3genE4ELNS1_11target_archE910ELNS1_3gpuE8ELNS1_3repE0EEENS1_48merge_mergepath_partition_config_static_selectorELNS0_4arch9wavefront6targetE1EEEvSK_
                                        ; -- End function
	.section	.AMDGPU.csdata,"",@progbits
; Kernel info:
; codeLenInByte = 500
; NumSgprs: 12
; NumVgprs: 19
; NumAgprs: 0
; TotalNumVgprs: 19
; ScratchSize: 0
; MemoryBound: 0
; FloatMode: 240
; IeeeMode: 1
; LDSByteSize: 0 bytes/workgroup (compile time only)
; SGPRBlocks: 1
; VGPRBlocks: 2
; NumSGPRsForWavesPerEU: 12
; NumVGPRsForWavesPerEU: 19
; AccumOffset: 20
; Occupancy: 8
; WaveLimiterHint : 0
; COMPUTE_PGM_RSRC2:SCRATCH_EN: 0
; COMPUTE_PGM_RSRC2:USER_SGPR: 6
; COMPUTE_PGM_RSRC2:TRAP_HANDLER: 0
; COMPUTE_PGM_RSRC2:TGID_X_EN: 1
; COMPUTE_PGM_RSRC2:TGID_Y_EN: 0
; COMPUTE_PGM_RSRC2:TGID_Z_EN: 0
; COMPUTE_PGM_RSRC2:TIDIG_COMP_CNT: 0
; COMPUTE_PGM_RSRC3_GFX90A:ACCUM_OFFSET: 4
; COMPUTE_PGM_RSRC3_GFX90A:TG_SPLIT: 0
	.section	.text._ZN7rocprim17ROCPRIM_400000_NS6detail17trampoline_kernelINS0_14default_configENS1_38merge_sort_block_merge_config_selectorIfNS0_10empty_typeEEEZZNS1_27merge_sort_block_merge_implIS3_N6thrust23THRUST_200600_302600_NS6detail15normal_iteratorINS9_10device_ptrIfEEEEPS5_m14custom_greaterIfEEE10hipError_tT0_T1_T2_jT3_P12ihipStream_tbPNSt15iterator_traitsISJ_E10value_typeEPNSP_ISK_E10value_typeEPSL_NS1_7vsmem_tEENKUlT_SJ_SK_SL_E_clISE_PfSF_SF_EESI_SY_SJ_SK_SL_EUlSY_E_NS1_11comp_targetILNS1_3genE3ELNS1_11target_archE908ELNS1_3gpuE7ELNS1_3repE0EEENS1_48merge_mergepath_partition_config_static_selectorELNS0_4arch9wavefront6targetE1EEEvSK_,"axG",@progbits,_ZN7rocprim17ROCPRIM_400000_NS6detail17trampoline_kernelINS0_14default_configENS1_38merge_sort_block_merge_config_selectorIfNS0_10empty_typeEEEZZNS1_27merge_sort_block_merge_implIS3_N6thrust23THRUST_200600_302600_NS6detail15normal_iteratorINS9_10device_ptrIfEEEEPS5_m14custom_greaterIfEEE10hipError_tT0_T1_T2_jT3_P12ihipStream_tbPNSt15iterator_traitsISJ_E10value_typeEPNSP_ISK_E10value_typeEPSL_NS1_7vsmem_tEENKUlT_SJ_SK_SL_E_clISE_PfSF_SF_EESI_SY_SJ_SK_SL_EUlSY_E_NS1_11comp_targetILNS1_3genE3ELNS1_11target_archE908ELNS1_3gpuE7ELNS1_3repE0EEENS1_48merge_mergepath_partition_config_static_selectorELNS0_4arch9wavefront6targetE1EEEvSK_,comdat
	.protected	_ZN7rocprim17ROCPRIM_400000_NS6detail17trampoline_kernelINS0_14default_configENS1_38merge_sort_block_merge_config_selectorIfNS0_10empty_typeEEEZZNS1_27merge_sort_block_merge_implIS3_N6thrust23THRUST_200600_302600_NS6detail15normal_iteratorINS9_10device_ptrIfEEEEPS5_m14custom_greaterIfEEE10hipError_tT0_T1_T2_jT3_P12ihipStream_tbPNSt15iterator_traitsISJ_E10value_typeEPNSP_ISK_E10value_typeEPSL_NS1_7vsmem_tEENKUlT_SJ_SK_SL_E_clISE_PfSF_SF_EESI_SY_SJ_SK_SL_EUlSY_E_NS1_11comp_targetILNS1_3genE3ELNS1_11target_archE908ELNS1_3gpuE7ELNS1_3repE0EEENS1_48merge_mergepath_partition_config_static_selectorELNS0_4arch9wavefront6targetE1EEEvSK_ ; -- Begin function _ZN7rocprim17ROCPRIM_400000_NS6detail17trampoline_kernelINS0_14default_configENS1_38merge_sort_block_merge_config_selectorIfNS0_10empty_typeEEEZZNS1_27merge_sort_block_merge_implIS3_N6thrust23THRUST_200600_302600_NS6detail15normal_iteratorINS9_10device_ptrIfEEEEPS5_m14custom_greaterIfEEE10hipError_tT0_T1_T2_jT3_P12ihipStream_tbPNSt15iterator_traitsISJ_E10value_typeEPNSP_ISK_E10value_typeEPSL_NS1_7vsmem_tEENKUlT_SJ_SK_SL_E_clISE_PfSF_SF_EESI_SY_SJ_SK_SL_EUlSY_E_NS1_11comp_targetILNS1_3genE3ELNS1_11target_archE908ELNS1_3gpuE7ELNS1_3repE0EEENS1_48merge_mergepath_partition_config_static_selectorELNS0_4arch9wavefront6targetE1EEEvSK_
	.globl	_ZN7rocprim17ROCPRIM_400000_NS6detail17trampoline_kernelINS0_14default_configENS1_38merge_sort_block_merge_config_selectorIfNS0_10empty_typeEEEZZNS1_27merge_sort_block_merge_implIS3_N6thrust23THRUST_200600_302600_NS6detail15normal_iteratorINS9_10device_ptrIfEEEEPS5_m14custom_greaterIfEEE10hipError_tT0_T1_T2_jT3_P12ihipStream_tbPNSt15iterator_traitsISJ_E10value_typeEPNSP_ISK_E10value_typeEPSL_NS1_7vsmem_tEENKUlT_SJ_SK_SL_E_clISE_PfSF_SF_EESI_SY_SJ_SK_SL_EUlSY_E_NS1_11comp_targetILNS1_3genE3ELNS1_11target_archE908ELNS1_3gpuE7ELNS1_3repE0EEENS1_48merge_mergepath_partition_config_static_selectorELNS0_4arch9wavefront6targetE1EEEvSK_
	.p2align	8
	.type	_ZN7rocprim17ROCPRIM_400000_NS6detail17trampoline_kernelINS0_14default_configENS1_38merge_sort_block_merge_config_selectorIfNS0_10empty_typeEEEZZNS1_27merge_sort_block_merge_implIS3_N6thrust23THRUST_200600_302600_NS6detail15normal_iteratorINS9_10device_ptrIfEEEEPS5_m14custom_greaterIfEEE10hipError_tT0_T1_T2_jT3_P12ihipStream_tbPNSt15iterator_traitsISJ_E10value_typeEPNSP_ISK_E10value_typeEPSL_NS1_7vsmem_tEENKUlT_SJ_SK_SL_E_clISE_PfSF_SF_EESI_SY_SJ_SK_SL_EUlSY_E_NS1_11comp_targetILNS1_3genE3ELNS1_11target_archE908ELNS1_3gpuE7ELNS1_3repE0EEENS1_48merge_mergepath_partition_config_static_selectorELNS0_4arch9wavefront6targetE1EEEvSK_,@function
_ZN7rocprim17ROCPRIM_400000_NS6detail17trampoline_kernelINS0_14default_configENS1_38merge_sort_block_merge_config_selectorIfNS0_10empty_typeEEEZZNS1_27merge_sort_block_merge_implIS3_N6thrust23THRUST_200600_302600_NS6detail15normal_iteratorINS9_10device_ptrIfEEEEPS5_m14custom_greaterIfEEE10hipError_tT0_T1_T2_jT3_P12ihipStream_tbPNSt15iterator_traitsISJ_E10value_typeEPNSP_ISK_E10value_typeEPSL_NS1_7vsmem_tEENKUlT_SJ_SK_SL_E_clISE_PfSF_SF_EESI_SY_SJ_SK_SL_EUlSY_E_NS1_11comp_targetILNS1_3genE3ELNS1_11target_archE908ELNS1_3gpuE7ELNS1_3repE0EEENS1_48merge_mergepath_partition_config_static_selectorELNS0_4arch9wavefront6targetE1EEEvSK_: ; @_ZN7rocprim17ROCPRIM_400000_NS6detail17trampoline_kernelINS0_14default_configENS1_38merge_sort_block_merge_config_selectorIfNS0_10empty_typeEEEZZNS1_27merge_sort_block_merge_implIS3_N6thrust23THRUST_200600_302600_NS6detail15normal_iteratorINS9_10device_ptrIfEEEEPS5_m14custom_greaterIfEEE10hipError_tT0_T1_T2_jT3_P12ihipStream_tbPNSt15iterator_traitsISJ_E10value_typeEPNSP_ISK_E10value_typeEPSL_NS1_7vsmem_tEENKUlT_SJ_SK_SL_E_clISE_PfSF_SF_EESI_SY_SJ_SK_SL_EUlSY_E_NS1_11comp_targetILNS1_3genE3ELNS1_11target_archE908ELNS1_3gpuE7ELNS1_3repE0EEENS1_48merge_mergepath_partition_config_static_selectorELNS0_4arch9wavefront6targetE1EEEvSK_
; %bb.0:
	.section	.rodata,"a",@progbits
	.p2align	6, 0x0
	.amdhsa_kernel _ZN7rocprim17ROCPRIM_400000_NS6detail17trampoline_kernelINS0_14default_configENS1_38merge_sort_block_merge_config_selectorIfNS0_10empty_typeEEEZZNS1_27merge_sort_block_merge_implIS3_N6thrust23THRUST_200600_302600_NS6detail15normal_iteratorINS9_10device_ptrIfEEEEPS5_m14custom_greaterIfEEE10hipError_tT0_T1_T2_jT3_P12ihipStream_tbPNSt15iterator_traitsISJ_E10value_typeEPNSP_ISK_E10value_typeEPSL_NS1_7vsmem_tEENKUlT_SJ_SK_SL_E_clISE_PfSF_SF_EESI_SY_SJ_SK_SL_EUlSY_E_NS1_11comp_targetILNS1_3genE3ELNS1_11target_archE908ELNS1_3gpuE7ELNS1_3repE0EEENS1_48merge_mergepath_partition_config_static_selectorELNS0_4arch9wavefront6targetE1EEEvSK_
		.amdhsa_group_segment_fixed_size 0
		.amdhsa_private_segment_fixed_size 0
		.amdhsa_kernarg_size 48
		.amdhsa_user_sgpr_count 6
		.amdhsa_user_sgpr_private_segment_buffer 1
		.amdhsa_user_sgpr_dispatch_ptr 0
		.amdhsa_user_sgpr_queue_ptr 0
		.amdhsa_user_sgpr_kernarg_segment_ptr 1
		.amdhsa_user_sgpr_dispatch_id 0
		.amdhsa_user_sgpr_flat_scratch_init 0
		.amdhsa_user_sgpr_kernarg_preload_length 0
		.amdhsa_user_sgpr_kernarg_preload_offset 0
		.amdhsa_user_sgpr_private_segment_size 0
		.amdhsa_uses_dynamic_stack 0
		.amdhsa_system_sgpr_private_segment_wavefront_offset 0
		.amdhsa_system_sgpr_workgroup_id_x 1
		.amdhsa_system_sgpr_workgroup_id_y 0
		.amdhsa_system_sgpr_workgroup_id_z 0
		.amdhsa_system_sgpr_workgroup_info 0
		.amdhsa_system_vgpr_workitem_id 0
		.amdhsa_next_free_vgpr 1
		.amdhsa_next_free_sgpr 0
		.amdhsa_accum_offset 4
		.amdhsa_reserve_vcc 0
		.amdhsa_reserve_flat_scratch 0
		.amdhsa_float_round_mode_32 0
		.amdhsa_float_round_mode_16_64 0
		.amdhsa_float_denorm_mode_32 3
		.amdhsa_float_denorm_mode_16_64 3
		.amdhsa_dx10_clamp 1
		.amdhsa_ieee_mode 1
		.amdhsa_fp16_overflow 0
		.amdhsa_tg_split 0
		.amdhsa_exception_fp_ieee_invalid_op 0
		.amdhsa_exception_fp_denorm_src 0
		.amdhsa_exception_fp_ieee_div_zero 0
		.amdhsa_exception_fp_ieee_overflow 0
		.amdhsa_exception_fp_ieee_underflow 0
		.amdhsa_exception_fp_ieee_inexact 0
		.amdhsa_exception_int_div_zero 0
	.end_amdhsa_kernel
	.section	.text._ZN7rocprim17ROCPRIM_400000_NS6detail17trampoline_kernelINS0_14default_configENS1_38merge_sort_block_merge_config_selectorIfNS0_10empty_typeEEEZZNS1_27merge_sort_block_merge_implIS3_N6thrust23THRUST_200600_302600_NS6detail15normal_iteratorINS9_10device_ptrIfEEEEPS5_m14custom_greaterIfEEE10hipError_tT0_T1_T2_jT3_P12ihipStream_tbPNSt15iterator_traitsISJ_E10value_typeEPNSP_ISK_E10value_typeEPSL_NS1_7vsmem_tEENKUlT_SJ_SK_SL_E_clISE_PfSF_SF_EESI_SY_SJ_SK_SL_EUlSY_E_NS1_11comp_targetILNS1_3genE3ELNS1_11target_archE908ELNS1_3gpuE7ELNS1_3repE0EEENS1_48merge_mergepath_partition_config_static_selectorELNS0_4arch9wavefront6targetE1EEEvSK_,"axG",@progbits,_ZN7rocprim17ROCPRIM_400000_NS6detail17trampoline_kernelINS0_14default_configENS1_38merge_sort_block_merge_config_selectorIfNS0_10empty_typeEEEZZNS1_27merge_sort_block_merge_implIS3_N6thrust23THRUST_200600_302600_NS6detail15normal_iteratorINS9_10device_ptrIfEEEEPS5_m14custom_greaterIfEEE10hipError_tT0_T1_T2_jT3_P12ihipStream_tbPNSt15iterator_traitsISJ_E10value_typeEPNSP_ISK_E10value_typeEPSL_NS1_7vsmem_tEENKUlT_SJ_SK_SL_E_clISE_PfSF_SF_EESI_SY_SJ_SK_SL_EUlSY_E_NS1_11comp_targetILNS1_3genE3ELNS1_11target_archE908ELNS1_3gpuE7ELNS1_3repE0EEENS1_48merge_mergepath_partition_config_static_selectorELNS0_4arch9wavefront6targetE1EEEvSK_,comdat
.Lfunc_end3566:
	.size	_ZN7rocprim17ROCPRIM_400000_NS6detail17trampoline_kernelINS0_14default_configENS1_38merge_sort_block_merge_config_selectorIfNS0_10empty_typeEEEZZNS1_27merge_sort_block_merge_implIS3_N6thrust23THRUST_200600_302600_NS6detail15normal_iteratorINS9_10device_ptrIfEEEEPS5_m14custom_greaterIfEEE10hipError_tT0_T1_T2_jT3_P12ihipStream_tbPNSt15iterator_traitsISJ_E10value_typeEPNSP_ISK_E10value_typeEPSL_NS1_7vsmem_tEENKUlT_SJ_SK_SL_E_clISE_PfSF_SF_EESI_SY_SJ_SK_SL_EUlSY_E_NS1_11comp_targetILNS1_3genE3ELNS1_11target_archE908ELNS1_3gpuE7ELNS1_3repE0EEENS1_48merge_mergepath_partition_config_static_selectorELNS0_4arch9wavefront6targetE1EEEvSK_, .Lfunc_end3566-_ZN7rocprim17ROCPRIM_400000_NS6detail17trampoline_kernelINS0_14default_configENS1_38merge_sort_block_merge_config_selectorIfNS0_10empty_typeEEEZZNS1_27merge_sort_block_merge_implIS3_N6thrust23THRUST_200600_302600_NS6detail15normal_iteratorINS9_10device_ptrIfEEEEPS5_m14custom_greaterIfEEE10hipError_tT0_T1_T2_jT3_P12ihipStream_tbPNSt15iterator_traitsISJ_E10value_typeEPNSP_ISK_E10value_typeEPSL_NS1_7vsmem_tEENKUlT_SJ_SK_SL_E_clISE_PfSF_SF_EESI_SY_SJ_SK_SL_EUlSY_E_NS1_11comp_targetILNS1_3genE3ELNS1_11target_archE908ELNS1_3gpuE7ELNS1_3repE0EEENS1_48merge_mergepath_partition_config_static_selectorELNS0_4arch9wavefront6targetE1EEEvSK_
                                        ; -- End function
	.section	.AMDGPU.csdata,"",@progbits
; Kernel info:
; codeLenInByte = 0
; NumSgprs: 4
; NumVgprs: 0
; NumAgprs: 0
; TotalNumVgprs: 0
; ScratchSize: 0
; MemoryBound: 0
; FloatMode: 240
; IeeeMode: 1
; LDSByteSize: 0 bytes/workgroup (compile time only)
; SGPRBlocks: 0
; VGPRBlocks: 0
; NumSGPRsForWavesPerEU: 4
; NumVGPRsForWavesPerEU: 1
; AccumOffset: 4
; Occupancy: 8
; WaveLimiterHint : 0
; COMPUTE_PGM_RSRC2:SCRATCH_EN: 0
; COMPUTE_PGM_RSRC2:USER_SGPR: 6
; COMPUTE_PGM_RSRC2:TRAP_HANDLER: 0
; COMPUTE_PGM_RSRC2:TGID_X_EN: 1
; COMPUTE_PGM_RSRC2:TGID_Y_EN: 0
; COMPUTE_PGM_RSRC2:TGID_Z_EN: 0
; COMPUTE_PGM_RSRC2:TIDIG_COMP_CNT: 0
; COMPUTE_PGM_RSRC3_GFX90A:ACCUM_OFFSET: 0
; COMPUTE_PGM_RSRC3_GFX90A:TG_SPLIT: 0
	.section	.text._ZN7rocprim17ROCPRIM_400000_NS6detail17trampoline_kernelINS0_14default_configENS1_38merge_sort_block_merge_config_selectorIfNS0_10empty_typeEEEZZNS1_27merge_sort_block_merge_implIS3_N6thrust23THRUST_200600_302600_NS6detail15normal_iteratorINS9_10device_ptrIfEEEEPS5_m14custom_greaterIfEEE10hipError_tT0_T1_T2_jT3_P12ihipStream_tbPNSt15iterator_traitsISJ_E10value_typeEPNSP_ISK_E10value_typeEPSL_NS1_7vsmem_tEENKUlT_SJ_SK_SL_E_clISE_PfSF_SF_EESI_SY_SJ_SK_SL_EUlSY_E_NS1_11comp_targetILNS1_3genE2ELNS1_11target_archE906ELNS1_3gpuE6ELNS1_3repE0EEENS1_48merge_mergepath_partition_config_static_selectorELNS0_4arch9wavefront6targetE1EEEvSK_,"axG",@progbits,_ZN7rocprim17ROCPRIM_400000_NS6detail17trampoline_kernelINS0_14default_configENS1_38merge_sort_block_merge_config_selectorIfNS0_10empty_typeEEEZZNS1_27merge_sort_block_merge_implIS3_N6thrust23THRUST_200600_302600_NS6detail15normal_iteratorINS9_10device_ptrIfEEEEPS5_m14custom_greaterIfEEE10hipError_tT0_T1_T2_jT3_P12ihipStream_tbPNSt15iterator_traitsISJ_E10value_typeEPNSP_ISK_E10value_typeEPSL_NS1_7vsmem_tEENKUlT_SJ_SK_SL_E_clISE_PfSF_SF_EESI_SY_SJ_SK_SL_EUlSY_E_NS1_11comp_targetILNS1_3genE2ELNS1_11target_archE906ELNS1_3gpuE6ELNS1_3repE0EEENS1_48merge_mergepath_partition_config_static_selectorELNS0_4arch9wavefront6targetE1EEEvSK_,comdat
	.protected	_ZN7rocprim17ROCPRIM_400000_NS6detail17trampoline_kernelINS0_14default_configENS1_38merge_sort_block_merge_config_selectorIfNS0_10empty_typeEEEZZNS1_27merge_sort_block_merge_implIS3_N6thrust23THRUST_200600_302600_NS6detail15normal_iteratorINS9_10device_ptrIfEEEEPS5_m14custom_greaterIfEEE10hipError_tT0_T1_T2_jT3_P12ihipStream_tbPNSt15iterator_traitsISJ_E10value_typeEPNSP_ISK_E10value_typeEPSL_NS1_7vsmem_tEENKUlT_SJ_SK_SL_E_clISE_PfSF_SF_EESI_SY_SJ_SK_SL_EUlSY_E_NS1_11comp_targetILNS1_3genE2ELNS1_11target_archE906ELNS1_3gpuE6ELNS1_3repE0EEENS1_48merge_mergepath_partition_config_static_selectorELNS0_4arch9wavefront6targetE1EEEvSK_ ; -- Begin function _ZN7rocprim17ROCPRIM_400000_NS6detail17trampoline_kernelINS0_14default_configENS1_38merge_sort_block_merge_config_selectorIfNS0_10empty_typeEEEZZNS1_27merge_sort_block_merge_implIS3_N6thrust23THRUST_200600_302600_NS6detail15normal_iteratorINS9_10device_ptrIfEEEEPS5_m14custom_greaterIfEEE10hipError_tT0_T1_T2_jT3_P12ihipStream_tbPNSt15iterator_traitsISJ_E10value_typeEPNSP_ISK_E10value_typeEPSL_NS1_7vsmem_tEENKUlT_SJ_SK_SL_E_clISE_PfSF_SF_EESI_SY_SJ_SK_SL_EUlSY_E_NS1_11comp_targetILNS1_3genE2ELNS1_11target_archE906ELNS1_3gpuE6ELNS1_3repE0EEENS1_48merge_mergepath_partition_config_static_selectorELNS0_4arch9wavefront6targetE1EEEvSK_
	.globl	_ZN7rocprim17ROCPRIM_400000_NS6detail17trampoline_kernelINS0_14default_configENS1_38merge_sort_block_merge_config_selectorIfNS0_10empty_typeEEEZZNS1_27merge_sort_block_merge_implIS3_N6thrust23THRUST_200600_302600_NS6detail15normal_iteratorINS9_10device_ptrIfEEEEPS5_m14custom_greaterIfEEE10hipError_tT0_T1_T2_jT3_P12ihipStream_tbPNSt15iterator_traitsISJ_E10value_typeEPNSP_ISK_E10value_typeEPSL_NS1_7vsmem_tEENKUlT_SJ_SK_SL_E_clISE_PfSF_SF_EESI_SY_SJ_SK_SL_EUlSY_E_NS1_11comp_targetILNS1_3genE2ELNS1_11target_archE906ELNS1_3gpuE6ELNS1_3repE0EEENS1_48merge_mergepath_partition_config_static_selectorELNS0_4arch9wavefront6targetE1EEEvSK_
	.p2align	8
	.type	_ZN7rocprim17ROCPRIM_400000_NS6detail17trampoline_kernelINS0_14default_configENS1_38merge_sort_block_merge_config_selectorIfNS0_10empty_typeEEEZZNS1_27merge_sort_block_merge_implIS3_N6thrust23THRUST_200600_302600_NS6detail15normal_iteratorINS9_10device_ptrIfEEEEPS5_m14custom_greaterIfEEE10hipError_tT0_T1_T2_jT3_P12ihipStream_tbPNSt15iterator_traitsISJ_E10value_typeEPNSP_ISK_E10value_typeEPSL_NS1_7vsmem_tEENKUlT_SJ_SK_SL_E_clISE_PfSF_SF_EESI_SY_SJ_SK_SL_EUlSY_E_NS1_11comp_targetILNS1_3genE2ELNS1_11target_archE906ELNS1_3gpuE6ELNS1_3repE0EEENS1_48merge_mergepath_partition_config_static_selectorELNS0_4arch9wavefront6targetE1EEEvSK_,@function
_ZN7rocprim17ROCPRIM_400000_NS6detail17trampoline_kernelINS0_14default_configENS1_38merge_sort_block_merge_config_selectorIfNS0_10empty_typeEEEZZNS1_27merge_sort_block_merge_implIS3_N6thrust23THRUST_200600_302600_NS6detail15normal_iteratorINS9_10device_ptrIfEEEEPS5_m14custom_greaterIfEEE10hipError_tT0_T1_T2_jT3_P12ihipStream_tbPNSt15iterator_traitsISJ_E10value_typeEPNSP_ISK_E10value_typeEPSL_NS1_7vsmem_tEENKUlT_SJ_SK_SL_E_clISE_PfSF_SF_EESI_SY_SJ_SK_SL_EUlSY_E_NS1_11comp_targetILNS1_3genE2ELNS1_11target_archE906ELNS1_3gpuE6ELNS1_3repE0EEENS1_48merge_mergepath_partition_config_static_selectorELNS0_4arch9wavefront6targetE1EEEvSK_: ; @_ZN7rocprim17ROCPRIM_400000_NS6detail17trampoline_kernelINS0_14default_configENS1_38merge_sort_block_merge_config_selectorIfNS0_10empty_typeEEEZZNS1_27merge_sort_block_merge_implIS3_N6thrust23THRUST_200600_302600_NS6detail15normal_iteratorINS9_10device_ptrIfEEEEPS5_m14custom_greaterIfEEE10hipError_tT0_T1_T2_jT3_P12ihipStream_tbPNSt15iterator_traitsISJ_E10value_typeEPNSP_ISK_E10value_typeEPSL_NS1_7vsmem_tEENKUlT_SJ_SK_SL_E_clISE_PfSF_SF_EESI_SY_SJ_SK_SL_EUlSY_E_NS1_11comp_targetILNS1_3genE2ELNS1_11target_archE906ELNS1_3gpuE6ELNS1_3repE0EEENS1_48merge_mergepath_partition_config_static_selectorELNS0_4arch9wavefront6targetE1EEEvSK_
; %bb.0:
	.section	.rodata,"a",@progbits
	.p2align	6, 0x0
	.amdhsa_kernel _ZN7rocprim17ROCPRIM_400000_NS6detail17trampoline_kernelINS0_14default_configENS1_38merge_sort_block_merge_config_selectorIfNS0_10empty_typeEEEZZNS1_27merge_sort_block_merge_implIS3_N6thrust23THRUST_200600_302600_NS6detail15normal_iteratorINS9_10device_ptrIfEEEEPS5_m14custom_greaterIfEEE10hipError_tT0_T1_T2_jT3_P12ihipStream_tbPNSt15iterator_traitsISJ_E10value_typeEPNSP_ISK_E10value_typeEPSL_NS1_7vsmem_tEENKUlT_SJ_SK_SL_E_clISE_PfSF_SF_EESI_SY_SJ_SK_SL_EUlSY_E_NS1_11comp_targetILNS1_3genE2ELNS1_11target_archE906ELNS1_3gpuE6ELNS1_3repE0EEENS1_48merge_mergepath_partition_config_static_selectorELNS0_4arch9wavefront6targetE1EEEvSK_
		.amdhsa_group_segment_fixed_size 0
		.amdhsa_private_segment_fixed_size 0
		.amdhsa_kernarg_size 48
		.amdhsa_user_sgpr_count 6
		.amdhsa_user_sgpr_private_segment_buffer 1
		.amdhsa_user_sgpr_dispatch_ptr 0
		.amdhsa_user_sgpr_queue_ptr 0
		.amdhsa_user_sgpr_kernarg_segment_ptr 1
		.amdhsa_user_sgpr_dispatch_id 0
		.amdhsa_user_sgpr_flat_scratch_init 0
		.amdhsa_user_sgpr_kernarg_preload_length 0
		.amdhsa_user_sgpr_kernarg_preload_offset 0
		.amdhsa_user_sgpr_private_segment_size 0
		.amdhsa_uses_dynamic_stack 0
		.amdhsa_system_sgpr_private_segment_wavefront_offset 0
		.amdhsa_system_sgpr_workgroup_id_x 1
		.amdhsa_system_sgpr_workgroup_id_y 0
		.amdhsa_system_sgpr_workgroup_id_z 0
		.amdhsa_system_sgpr_workgroup_info 0
		.amdhsa_system_vgpr_workitem_id 0
		.amdhsa_next_free_vgpr 1
		.amdhsa_next_free_sgpr 0
		.amdhsa_accum_offset 4
		.amdhsa_reserve_vcc 0
		.amdhsa_reserve_flat_scratch 0
		.amdhsa_float_round_mode_32 0
		.amdhsa_float_round_mode_16_64 0
		.amdhsa_float_denorm_mode_32 3
		.amdhsa_float_denorm_mode_16_64 3
		.amdhsa_dx10_clamp 1
		.amdhsa_ieee_mode 1
		.amdhsa_fp16_overflow 0
		.amdhsa_tg_split 0
		.amdhsa_exception_fp_ieee_invalid_op 0
		.amdhsa_exception_fp_denorm_src 0
		.amdhsa_exception_fp_ieee_div_zero 0
		.amdhsa_exception_fp_ieee_overflow 0
		.amdhsa_exception_fp_ieee_underflow 0
		.amdhsa_exception_fp_ieee_inexact 0
		.amdhsa_exception_int_div_zero 0
	.end_amdhsa_kernel
	.section	.text._ZN7rocprim17ROCPRIM_400000_NS6detail17trampoline_kernelINS0_14default_configENS1_38merge_sort_block_merge_config_selectorIfNS0_10empty_typeEEEZZNS1_27merge_sort_block_merge_implIS3_N6thrust23THRUST_200600_302600_NS6detail15normal_iteratorINS9_10device_ptrIfEEEEPS5_m14custom_greaterIfEEE10hipError_tT0_T1_T2_jT3_P12ihipStream_tbPNSt15iterator_traitsISJ_E10value_typeEPNSP_ISK_E10value_typeEPSL_NS1_7vsmem_tEENKUlT_SJ_SK_SL_E_clISE_PfSF_SF_EESI_SY_SJ_SK_SL_EUlSY_E_NS1_11comp_targetILNS1_3genE2ELNS1_11target_archE906ELNS1_3gpuE6ELNS1_3repE0EEENS1_48merge_mergepath_partition_config_static_selectorELNS0_4arch9wavefront6targetE1EEEvSK_,"axG",@progbits,_ZN7rocprim17ROCPRIM_400000_NS6detail17trampoline_kernelINS0_14default_configENS1_38merge_sort_block_merge_config_selectorIfNS0_10empty_typeEEEZZNS1_27merge_sort_block_merge_implIS3_N6thrust23THRUST_200600_302600_NS6detail15normal_iteratorINS9_10device_ptrIfEEEEPS5_m14custom_greaterIfEEE10hipError_tT0_T1_T2_jT3_P12ihipStream_tbPNSt15iterator_traitsISJ_E10value_typeEPNSP_ISK_E10value_typeEPSL_NS1_7vsmem_tEENKUlT_SJ_SK_SL_E_clISE_PfSF_SF_EESI_SY_SJ_SK_SL_EUlSY_E_NS1_11comp_targetILNS1_3genE2ELNS1_11target_archE906ELNS1_3gpuE6ELNS1_3repE0EEENS1_48merge_mergepath_partition_config_static_selectorELNS0_4arch9wavefront6targetE1EEEvSK_,comdat
.Lfunc_end3567:
	.size	_ZN7rocprim17ROCPRIM_400000_NS6detail17trampoline_kernelINS0_14default_configENS1_38merge_sort_block_merge_config_selectorIfNS0_10empty_typeEEEZZNS1_27merge_sort_block_merge_implIS3_N6thrust23THRUST_200600_302600_NS6detail15normal_iteratorINS9_10device_ptrIfEEEEPS5_m14custom_greaterIfEEE10hipError_tT0_T1_T2_jT3_P12ihipStream_tbPNSt15iterator_traitsISJ_E10value_typeEPNSP_ISK_E10value_typeEPSL_NS1_7vsmem_tEENKUlT_SJ_SK_SL_E_clISE_PfSF_SF_EESI_SY_SJ_SK_SL_EUlSY_E_NS1_11comp_targetILNS1_3genE2ELNS1_11target_archE906ELNS1_3gpuE6ELNS1_3repE0EEENS1_48merge_mergepath_partition_config_static_selectorELNS0_4arch9wavefront6targetE1EEEvSK_, .Lfunc_end3567-_ZN7rocprim17ROCPRIM_400000_NS6detail17trampoline_kernelINS0_14default_configENS1_38merge_sort_block_merge_config_selectorIfNS0_10empty_typeEEEZZNS1_27merge_sort_block_merge_implIS3_N6thrust23THRUST_200600_302600_NS6detail15normal_iteratorINS9_10device_ptrIfEEEEPS5_m14custom_greaterIfEEE10hipError_tT0_T1_T2_jT3_P12ihipStream_tbPNSt15iterator_traitsISJ_E10value_typeEPNSP_ISK_E10value_typeEPSL_NS1_7vsmem_tEENKUlT_SJ_SK_SL_E_clISE_PfSF_SF_EESI_SY_SJ_SK_SL_EUlSY_E_NS1_11comp_targetILNS1_3genE2ELNS1_11target_archE906ELNS1_3gpuE6ELNS1_3repE0EEENS1_48merge_mergepath_partition_config_static_selectorELNS0_4arch9wavefront6targetE1EEEvSK_
                                        ; -- End function
	.section	.AMDGPU.csdata,"",@progbits
; Kernel info:
; codeLenInByte = 0
; NumSgprs: 4
; NumVgprs: 0
; NumAgprs: 0
; TotalNumVgprs: 0
; ScratchSize: 0
; MemoryBound: 0
; FloatMode: 240
; IeeeMode: 1
; LDSByteSize: 0 bytes/workgroup (compile time only)
; SGPRBlocks: 0
; VGPRBlocks: 0
; NumSGPRsForWavesPerEU: 4
; NumVGPRsForWavesPerEU: 1
; AccumOffset: 4
; Occupancy: 8
; WaveLimiterHint : 0
; COMPUTE_PGM_RSRC2:SCRATCH_EN: 0
; COMPUTE_PGM_RSRC2:USER_SGPR: 6
; COMPUTE_PGM_RSRC2:TRAP_HANDLER: 0
; COMPUTE_PGM_RSRC2:TGID_X_EN: 1
; COMPUTE_PGM_RSRC2:TGID_Y_EN: 0
; COMPUTE_PGM_RSRC2:TGID_Z_EN: 0
; COMPUTE_PGM_RSRC2:TIDIG_COMP_CNT: 0
; COMPUTE_PGM_RSRC3_GFX90A:ACCUM_OFFSET: 0
; COMPUTE_PGM_RSRC3_GFX90A:TG_SPLIT: 0
	.section	.text._ZN7rocprim17ROCPRIM_400000_NS6detail17trampoline_kernelINS0_14default_configENS1_38merge_sort_block_merge_config_selectorIfNS0_10empty_typeEEEZZNS1_27merge_sort_block_merge_implIS3_N6thrust23THRUST_200600_302600_NS6detail15normal_iteratorINS9_10device_ptrIfEEEEPS5_m14custom_greaterIfEEE10hipError_tT0_T1_T2_jT3_P12ihipStream_tbPNSt15iterator_traitsISJ_E10value_typeEPNSP_ISK_E10value_typeEPSL_NS1_7vsmem_tEENKUlT_SJ_SK_SL_E_clISE_PfSF_SF_EESI_SY_SJ_SK_SL_EUlSY_E_NS1_11comp_targetILNS1_3genE9ELNS1_11target_archE1100ELNS1_3gpuE3ELNS1_3repE0EEENS1_48merge_mergepath_partition_config_static_selectorELNS0_4arch9wavefront6targetE1EEEvSK_,"axG",@progbits,_ZN7rocprim17ROCPRIM_400000_NS6detail17trampoline_kernelINS0_14default_configENS1_38merge_sort_block_merge_config_selectorIfNS0_10empty_typeEEEZZNS1_27merge_sort_block_merge_implIS3_N6thrust23THRUST_200600_302600_NS6detail15normal_iteratorINS9_10device_ptrIfEEEEPS5_m14custom_greaterIfEEE10hipError_tT0_T1_T2_jT3_P12ihipStream_tbPNSt15iterator_traitsISJ_E10value_typeEPNSP_ISK_E10value_typeEPSL_NS1_7vsmem_tEENKUlT_SJ_SK_SL_E_clISE_PfSF_SF_EESI_SY_SJ_SK_SL_EUlSY_E_NS1_11comp_targetILNS1_3genE9ELNS1_11target_archE1100ELNS1_3gpuE3ELNS1_3repE0EEENS1_48merge_mergepath_partition_config_static_selectorELNS0_4arch9wavefront6targetE1EEEvSK_,comdat
	.protected	_ZN7rocprim17ROCPRIM_400000_NS6detail17trampoline_kernelINS0_14default_configENS1_38merge_sort_block_merge_config_selectorIfNS0_10empty_typeEEEZZNS1_27merge_sort_block_merge_implIS3_N6thrust23THRUST_200600_302600_NS6detail15normal_iteratorINS9_10device_ptrIfEEEEPS5_m14custom_greaterIfEEE10hipError_tT0_T1_T2_jT3_P12ihipStream_tbPNSt15iterator_traitsISJ_E10value_typeEPNSP_ISK_E10value_typeEPSL_NS1_7vsmem_tEENKUlT_SJ_SK_SL_E_clISE_PfSF_SF_EESI_SY_SJ_SK_SL_EUlSY_E_NS1_11comp_targetILNS1_3genE9ELNS1_11target_archE1100ELNS1_3gpuE3ELNS1_3repE0EEENS1_48merge_mergepath_partition_config_static_selectorELNS0_4arch9wavefront6targetE1EEEvSK_ ; -- Begin function _ZN7rocprim17ROCPRIM_400000_NS6detail17trampoline_kernelINS0_14default_configENS1_38merge_sort_block_merge_config_selectorIfNS0_10empty_typeEEEZZNS1_27merge_sort_block_merge_implIS3_N6thrust23THRUST_200600_302600_NS6detail15normal_iteratorINS9_10device_ptrIfEEEEPS5_m14custom_greaterIfEEE10hipError_tT0_T1_T2_jT3_P12ihipStream_tbPNSt15iterator_traitsISJ_E10value_typeEPNSP_ISK_E10value_typeEPSL_NS1_7vsmem_tEENKUlT_SJ_SK_SL_E_clISE_PfSF_SF_EESI_SY_SJ_SK_SL_EUlSY_E_NS1_11comp_targetILNS1_3genE9ELNS1_11target_archE1100ELNS1_3gpuE3ELNS1_3repE0EEENS1_48merge_mergepath_partition_config_static_selectorELNS0_4arch9wavefront6targetE1EEEvSK_
	.globl	_ZN7rocprim17ROCPRIM_400000_NS6detail17trampoline_kernelINS0_14default_configENS1_38merge_sort_block_merge_config_selectorIfNS0_10empty_typeEEEZZNS1_27merge_sort_block_merge_implIS3_N6thrust23THRUST_200600_302600_NS6detail15normal_iteratorINS9_10device_ptrIfEEEEPS5_m14custom_greaterIfEEE10hipError_tT0_T1_T2_jT3_P12ihipStream_tbPNSt15iterator_traitsISJ_E10value_typeEPNSP_ISK_E10value_typeEPSL_NS1_7vsmem_tEENKUlT_SJ_SK_SL_E_clISE_PfSF_SF_EESI_SY_SJ_SK_SL_EUlSY_E_NS1_11comp_targetILNS1_3genE9ELNS1_11target_archE1100ELNS1_3gpuE3ELNS1_3repE0EEENS1_48merge_mergepath_partition_config_static_selectorELNS0_4arch9wavefront6targetE1EEEvSK_
	.p2align	8
	.type	_ZN7rocprim17ROCPRIM_400000_NS6detail17trampoline_kernelINS0_14default_configENS1_38merge_sort_block_merge_config_selectorIfNS0_10empty_typeEEEZZNS1_27merge_sort_block_merge_implIS3_N6thrust23THRUST_200600_302600_NS6detail15normal_iteratorINS9_10device_ptrIfEEEEPS5_m14custom_greaterIfEEE10hipError_tT0_T1_T2_jT3_P12ihipStream_tbPNSt15iterator_traitsISJ_E10value_typeEPNSP_ISK_E10value_typeEPSL_NS1_7vsmem_tEENKUlT_SJ_SK_SL_E_clISE_PfSF_SF_EESI_SY_SJ_SK_SL_EUlSY_E_NS1_11comp_targetILNS1_3genE9ELNS1_11target_archE1100ELNS1_3gpuE3ELNS1_3repE0EEENS1_48merge_mergepath_partition_config_static_selectorELNS0_4arch9wavefront6targetE1EEEvSK_,@function
_ZN7rocprim17ROCPRIM_400000_NS6detail17trampoline_kernelINS0_14default_configENS1_38merge_sort_block_merge_config_selectorIfNS0_10empty_typeEEEZZNS1_27merge_sort_block_merge_implIS3_N6thrust23THRUST_200600_302600_NS6detail15normal_iteratorINS9_10device_ptrIfEEEEPS5_m14custom_greaterIfEEE10hipError_tT0_T1_T2_jT3_P12ihipStream_tbPNSt15iterator_traitsISJ_E10value_typeEPNSP_ISK_E10value_typeEPSL_NS1_7vsmem_tEENKUlT_SJ_SK_SL_E_clISE_PfSF_SF_EESI_SY_SJ_SK_SL_EUlSY_E_NS1_11comp_targetILNS1_3genE9ELNS1_11target_archE1100ELNS1_3gpuE3ELNS1_3repE0EEENS1_48merge_mergepath_partition_config_static_selectorELNS0_4arch9wavefront6targetE1EEEvSK_: ; @_ZN7rocprim17ROCPRIM_400000_NS6detail17trampoline_kernelINS0_14default_configENS1_38merge_sort_block_merge_config_selectorIfNS0_10empty_typeEEEZZNS1_27merge_sort_block_merge_implIS3_N6thrust23THRUST_200600_302600_NS6detail15normal_iteratorINS9_10device_ptrIfEEEEPS5_m14custom_greaterIfEEE10hipError_tT0_T1_T2_jT3_P12ihipStream_tbPNSt15iterator_traitsISJ_E10value_typeEPNSP_ISK_E10value_typeEPSL_NS1_7vsmem_tEENKUlT_SJ_SK_SL_E_clISE_PfSF_SF_EESI_SY_SJ_SK_SL_EUlSY_E_NS1_11comp_targetILNS1_3genE9ELNS1_11target_archE1100ELNS1_3gpuE3ELNS1_3repE0EEENS1_48merge_mergepath_partition_config_static_selectorELNS0_4arch9wavefront6targetE1EEEvSK_
; %bb.0:
	.section	.rodata,"a",@progbits
	.p2align	6, 0x0
	.amdhsa_kernel _ZN7rocprim17ROCPRIM_400000_NS6detail17trampoline_kernelINS0_14default_configENS1_38merge_sort_block_merge_config_selectorIfNS0_10empty_typeEEEZZNS1_27merge_sort_block_merge_implIS3_N6thrust23THRUST_200600_302600_NS6detail15normal_iteratorINS9_10device_ptrIfEEEEPS5_m14custom_greaterIfEEE10hipError_tT0_T1_T2_jT3_P12ihipStream_tbPNSt15iterator_traitsISJ_E10value_typeEPNSP_ISK_E10value_typeEPSL_NS1_7vsmem_tEENKUlT_SJ_SK_SL_E_clISE_PfSF_SF_EESI_SY_SJ_SK_SL_EUlSY_E_NS1_11comp_targetILNS1_3genE9ELNS1_11target_archE1100ELNS1_3gpuE3ELNS1_3repE0EEENS1_48merge_mergepath_partition_config_static_selectorELNS0_4arch9wavefront6targetE1EEEvSK_
		.amdhsa_group_segment_fixed_size 0
		.amdhsa_private_segment_fixed_size 0
		.amdhsa_kernarg_size 48
		.amdhsa_user_sgpr_count 6
		.amdhsa_user_sgpr_private_segment_buffer 1
		.amdhsa_user_sgpr_dispatch_ptr 0
		.amdhsa_user_sgpr_queue_ptr 0
		.amdhsa_user_sgpr_kernarg_segment_ptr 1
		.amdhsa_user_sgpr_dispatch_id 0
		.amdhsa_user_sgpr_flat_scratch_init 0
		.amdhsa_user_sgpr_kernarg_preload_length 0
		.amdhsa_user_sgpr_kernarg_preload_offset 0
		.amdhsa_user_sgpr_private_segment_size 0
		.amdhsa_uses_dynamic_stack 0
		.amdhsa_system_sgpr_private_segment_wavefront_offset 0
		.amdhsa_system_sgpr_workgroup_id_x 1
		.amdhsa_system_sgpr_workgroup_id_y 0
		.amdhsa_system_sgpr_workgroup_id_z 0
		.amdhsa_system_sgpr_workgroup_info 0
		.amdhsa_system_vgpr_workitem_id 0
		.amdhsa_next_free_vgpr 1
		.amdhsa_next_free_sgpr 0
		.amdhsa_accum_offset 4
		.amdhsa_reserve_vcc 0
		.amdhsa_reserve_flat_scratch 0
		.amdhsa_float_round_mode_32 0
		.amdhsa_float_round_mode_16_64 0
		.amdhsa_float_denorm_mode_32 3
		.amdhsa_float_denorm_mode_16_64 3
		.amdhsa_dx10_clamp 1
		.amdhsa_ieee_mode 1
		.amdhsa_fp16_overflow 0
		.amdhsa_tg_split 0
		.amdhsa_exception_fp_ieee_invalid_op 0
		.amdhsa_exception_fp_denorm_src 0
		.amdhsa_exception_fp_ieee_div_zero 0
		.amdhsa_exception_fp_ieee_overflow 0
		.amdhsa_exception_fp_ieee_underflow 0
		.amdhsa_exception_fp_ieee_inexact 0
		.amdhsa_exception_int_div_zero 0
	.end_amdhsa_kernel
	.section	.text._ZN7rocprim17ROCPRIM_400000_NS6detail17trampoline_kernelINS0_14default_configENS1_38merge_sort_block_merge_config_selectorIfNS0_10empty_typeEEEZZNS1_27merge_sort_block_merge_implIS3_N6thrust23THRUST_200600_302600_NS6detail15normal_iteratorINS9_10device_ptrIfEEEEPS5_m14custom_greaterIfEEE10hipError_tT0_T1_T2_jT3_P12ihipStream_tbPNSt15iterator_traitsISJ_E10value_typeEPNSP_ISK_E10value_typeEPSL_NS1_7vsmem_tEENKUlT_SJ_SK_SL_E_clISE_PfSF_SF_EESI_SY_SJ_SK_SL_EUlSY_E_NS1_11comp_targetILNS1_3genE9ELNS1_11target_archE1100ELNS1_3gpuE3ELNS1_3repE0EEENS1_48merge_mergepath_partition_config_static_selectorELNS0_4arch9wavefront6targetE1EEEvSK_,"axG",@progbits,_ZN7rocprim17ROCPRIM_400000_NS6detail17trampoline_kernelINS0_14default_configENS1_38merge_sort_block_merge_config_selectorIfNS0_10empty_typeEEEZZNS1_27merge_sort_block_merge_implIS3_N6thrust23THRUST_200600_302600_NS6detail15normal_iteratorINS9_10device_ptrIfEEEEPS5_m14custom_greaterIfEEE10hipError_tT0_T1_T2_jT3_P12ihipStream_tbPNSt15iterator_traitsISJ_E10value_typeEPNSP_ISK_E10value_typeEPSL_NS1_7vsmem_tEENKUlT_SJ_SK_SL_E_clISE_PfSF_SF_EESI_SY_SJ_SK_SL_EUlSY_E_NS1_11comp_targetILNS1_3genE9ELNS1_11target_archE1100ELNS1_3gpuE3ELNS1_3repE0EEENS1_48merge_mergepath_partition_config_static_selectorELNS0_4arch9wavefront6targetE1EEEvSK_,comdat
.Lfunc_end3568:
	.size	_ZN7rocprim17ROCPRIM_400000_NS6detail17trampoline_kernelINS0_14default_configENS1_38merge_sort_block_merge_config_selectorIfNS0_10empty_typeEEEZZNS1_27merge_sort_block_merge_implIS3_N6thrust23THRUST_200600_302600_NS6detail15normal_iteratorINS9_10device_ptrIfEEEEPS5_m14custom_greaterIfEEE10hipError_tT0_T1_T2_jT3_P12ihipStream_tbPNSt15iterator_traitsISJ_E10value_typeEPNSP_ISK_E10value_typeEPSL_NS1_7vsmem_tEENKUlT_SJ_SK_SL_E_clISE_PfSF_SF_EESI_SY_SJ_SK_SL_EUlSY_E_NS1_11comp_targetILNS1_3genE9ELNS1_11target_archE1100ELNS1_3gpuE3ELNS1_3repE0EEENS1_48merge_mergepath_partition_config_static_selectorELNS0_4arch9wavefront6targetE1EEEvSK_, .Lfunc_end3568-_ZN7rocprim17ROCPRIM_400000_NS6detail17trampoline_kernelINS0_14default_configENS1_38merge_sort_block_merge_config_selectorIfNS0_10empty_typeEEEZZNS1_27merge_sort_block_merge_implIS3_N6thrust23THRUST_200600_302600_NS6detail15normal_iteratorINS9_10device_ptrIfEEEEPS5_m14custom_greaterIfEEE10hipError_tT0_T1_T2_jT3_P12ihipStream_tbPNSt15iterator_traitsISJ_E10value_typeEPNSP_ISK_E10value_typeEPSL_NS1_7vsmem_tEENKUlT_SJ_SK_SL_E_clISE_PfSF_SF_EESI_SY_SJ_SK_SL_EUlSY_E_NS1_11comp_targetILNS1_3genE9ELNS1_11target_archE1100ELNS1_3gpuE3ELNS1_3repE0EEENS1_48merge_mergepath_partition_config_static_selectorELNS0_4arch9wavefront6targetE1EEEvSK_
                                        ; -- End function
	.section	.AMDGPU.csdata,"",@progbits
; Kernel info:
; codeLenInByte = 0
; NumSgprs: 4
; NumVgprs: 0
; NumAgprs: 0
; TotalNumVgprs: 0
; ScratchSize: 0
; MemoryBound: 0
; FloatMode: 240
; IeeeMode: 1
; LDSByteSize: 0 bytes/workgroup (compile time only)
; SGPRBlocks: 0
; VGPRBlocks: 0
; NumSGPRsForWavesPerEU: 4
; NumVGPRsForWavesPerEU: 1
; AccumOffset: 4
; Occupancy: 8
; WaveLimiterHint : 0
; COMPUTE_PGM_RSRC2:SCRATCH_EN: 0
; COMPUTE_PGM_RSRC2:USER_SGPR: 6
; COMPUTE_PGM_RSRC2:TRAP_HANDLER: 0
; COMPUTE_PGM_RSRC2:TGID_X_EN: 1
; COMPUTE_PGM_RSRC2:TGID_Y_EN: 0
; COMPUTE_PGM_RSRC2:TGID_Z_EN: 0
; COMPUTE_PGM_RSRC2:TIDIG_COMP_CNT: 0
; COMPUTE_PGM_RSRC3_GFX90A:ACCUM_OFFSET: 0
; COMPUTE_PGM_RSRC3_GFX90A:TG_SPLIT: 0
	.section	.text._ZN7rocprim17ROCPRIM_400000_NS6detail17trampoline_kernelINS0_14default_configENS1_38merge_sort_block_merge_config_selectorIfNS0_10empty_typeEEEZZNS1_27merge_sort_block_merge_implIS3_N6thrust23THRUST_200600_302600_NS6detail15normal_iteratorINS9_10device_ptrIfEEEEPS5_m14custom_greaterIfEEE10hipError_tT0_T1_T2_jT3_P12ihipStream_tbPNSt15iterator_traitsISJ_E10value_typeEPNSP_ISK_E10value_typeEPSL_NS1_7vsmem_tEENKUlT_SJ_SK_SL_E_clISE_PfSF_SF_EESI_SY_SJ_SK_SL_EUlSY_E_NS1_11comp_targetILNS1_3genE8ELNS1_11target_archE1030ELNS1_3gpuE2ELNS1_3repE0EEENS1_48merge_mergepath_partition_config_static_selectorELNS0_4arch9wavefront6targetE1EEEvSK_,"axG",@progbits,_ZN7rocprim17ROCPRIM_400000_NS6detail17trampoline_kernelINS0_14default_configENS1_38merge_sort_block_merge_config_selectorIfNS0_10empty_typeEEEZZNS1_27merge_sort_block_merge_implIS3_N6thrust23THRUST_200600_302600_NS6detail15normal_iteratorINS9_10device_ptrIfEEEEPS5_m14custom_greaterIfEEE10hipError_tT0_T1_T2_jT3_P12ihipStream_tbPNSt15iterator_traitsISJ_E10value_typeEPNSP_ISK_E10value_typeEPSL_NS1_7vsmem_tEENKUlT_SJ_SK_SL_E_clISE_PfSF_SF_EESI_SY_SJ_SK_SL_EUlSY_E_NS1_11comp_targetILNS1_3genE8ELNS1_11target_archE1030ELNS1_3gpuE2ELNS1_3repE0EEENS1_48merge_mergepath_partition_config_static_selectorELNS0_4arch9wavefront6targetE1EEEvSK_,comdat
	.protected	_ZN7rocprim17ROCPRIM_400000_NS6detail17trampoline_kernelINS0_14default_configENS1_38merge_sort_block_merge_config_selectorIfNS0_10empty_typeEEEZZNS1_27merge_sort_block_merge_implIS3_N6thrust23THRUST_200600_302600_NS6detail15normal_iteratorINS9_10device_ptrIfEEEEPS5_m14custom_greaterIfEEE10hipError_tT0_T1_T2_jT3_P12ihipStream_tbPNSt15iterator_traitsISJ_E10value_typeEPNSP_ISK_E10value_typeEPSL_NS1_7vsmem_tEENKUlT_SJ_SK_SL_E_clISE_PfSF_SF_EESI_SY_SJ_SK_SL_EUlSY_E_NS1_11comp_targetILNS1_3genE8ELNS1_11target_archE1030ELNS1_3gpuE2ELNS1_3repE0EEENS1_48merge_mergepath_partition_config_static_selectorELNS0_4arch9wavefront6targetE1EEEvSK_ ; -- Begin function _ZN7rocprim17ROCPRIM_400000_NS6detail17trampoline_kernelINS0_14default_configENS1_38merge_sort_block_merge_config_selectorIfNS0_10empty_typeEEEZZNS1_27merge_sort_block_merge_implIS3_N6thrust23THRUST_200600_302600_NS6detail15normal_iteratorINS9_10device_ptrIfEEEEPS5_m14custom_greaterIfEEE10hipError_tT0_T1_T2_jT3_P12ihipStream_tbPNSt15iterator_traitsISJ_E10value_typeEPNSP_ISK_E10value_typeEPSL_NS1_7vsmem_tEENKUlT_SJ_SK_SL_E_clISE_PfSF_SF_EESI_SY_SJ_SK_SL_EUlSY_E_NS1_11comp_targetILNS1_3genE8ELNS1_11target_archE1030ELNS1_3gpuE2ELNS1_3repE0EEENS1_48merge_mergepath_partition_config_static_selectorELNS0_4arch9wavefront6targetE1EEEvSK_
	.globl	_ZN7rocprim17ROCPRIM_400000_NS6detail17trampoline_kernelINS0_14default_configENS1_38merge_sort_block_merge_config_selectorIfNS0_10empty_typeEEEZZNS1_27merge_sort_block_merge_implIS3_N6thrust23THRUST_200600_302600_NS6detail15normal_iteratorINS9_10device_ptrIfEEEEPS5_m14custom_greaterIfEEE10hipError_tT0_T1_T2_jT3_P12ihipStream_tbPNSt15iterator_traitsISJ_E10value_typeEPNSP_ISK_E10value_typeEPSL_NS1_7vsmem_tEENKUlT_SJ_SK_SL_E_clISE_PfSF_SF_EESI_SY_SJ_SK_SL_EUlSY_E_NS1_11comp_targetILNS1_3genE8ELNS1_11target_archE1030ELNS1_3gpuE2ELNS1_3repE0EEENS1_48merge_mergepath_partition_config_static_selectorELNS0_4arch9wavefront6targetE1EEEvSK_
	.p2align	8
	.type	_ZN7rocprim17ROCPRIM_400000_NS6detail17trampoline_kernelINS0_14default_configENS1_38merge_sort_block_merge_config_selectorIfNS0_10empty_typeEEEZZNS1_27merge_sort_block_merge_implIS3_N6thrust23THRUST_200600_302600_NS6detail15normal_iteratorINS9_10device_ptrIfEEEEPS5_m14custom_greaterIfEEE10hipError_tT0_T1_T2_jT3_P12ihipStream_tbPNSt15iterator_traitsISJ_E10value_typeEPNSP_ISK_E10value_typeEPSL_NS1_7vsmem_tEENKUlT_SJ_SK_SL_E_clISE_PfSF_SF_EESI_SY_SJ_SK_SL_EUlSY_E_NS1_11comp_targetILNS1_3genE8ELNS1_11target_archE1030ELNS1_3gpuE2ELNS1_3repE0EEENS1_48merge_mergepath_partition_config_static_selectorELNS0_4arch9wavefront6targetE1EEEvSK_,@function
_ZN7rocprim17ROCPRIM_400000_NS6detail17trampoline_kernelINS0_14default_configENS1_38merge_sort_block_merge_config_selectorIfNS0_10empty_typeEEEZZNS1_27merge_sort_block_merge_implIS3_N6thrust23THRUST_200600_302600_NS6detail15normal_iteratorINS9_10device_ptrIfEEEEPS5_m14custom_greaterIfEEE10hipError_tT0_T1_T2_jT3_P12ihipStream_tbPNSt15iterator_traitsISJ_E10value_typeEPNSP_ISK_E10value_typeEPSL_NS1_7vsmem_tEENKUlT_SJ_SK_SL_E_clISE_PfSF_SF_EESI_SY_SJ_SK_SL_EUlSY_E_NS1_11comp_targetILNS1_3genE8ELNS1_11target_archE1030ELNS1_3gpuE2ELNS1_3repE0EEENS1_48merge_mergepath_partition_config_static_selectorELNS0_4arch9wavefront6targetE1EEEvSK_: ; @_ZN7rocprim17ROCPRIM_400000_NS6detail17trampoline_kernelINS0_14default_configENS1_38merge_sort_block_merge_config_selectorIfNS0_10empty_typeEEEZZNS1_27merge_sort_block_merge_implIS3_N6thrust23THRUST_200600_302600_NS6detail15normal_iteratorINS9_10device_ptrIfEEEEPS5_m14custom_greaterIfEEE10hipError_tT0_T1_T2_jT3_P12ihipStream_tbPNSt15iterator_traitsISJ_E10value_typeEPNSP_ISK_E10value_typeEPSL_NS1_7vsmem_tEENKUlT_SJ_SK_SL_E_clISE_PfSF_SF_EESI_SY_SJ_SK_SL_EUlSY_E_NS1_11comp_targetILNS1_3genE8ELNS1_11target_archE1030ELNS1_3gpuE2ELNS1_3repE0EEENS1_48merge_mergepath_partition_config_static_selectorELNS0_4arch9wavefront6targetE1EEEvSK_
; %bb.0:
	.section	.rodata,"a",@progbits
	.p2align	6, 0x0
	.amdhsa_kernel _ZN7rocprim17ROCPRIM_400000_NS6detail17trampoline_kernelINS0_14default_configENS1_38merge_sort_block_merge_config_selectorIfNS0_10empty_typeEEEZZNS1_27merge_sort_block_merge_implIS3_N6thrust23THRUST_200600_302600_NS6detail15normal_iteratorINS9_10device_ptrIfEEEEPS5_m14custom_greaterIfEEE10hipError_tT0_T1_T2_jT3_P12ihipStream_tbPNSt15iterator_traitsISJ_E10value_typeEPNSP_ISK_E10value_typeEPSL_NS1_7vsmem_tEENKUlT_SJ_SK_SL_E_clISE_PfSF_SF_EESI_SY_SJ_SK_SL_EUlSY_E_NS1_11comp_targetILNS1_3genE8ELNS1_11target_archE1030ELNS1_3gpuE2ELNS1_3repE0EEENS1_48merge_mergepath_partition_config_static_selectorELNS0_4arch9wavefront6targetE1EEEvSK_
		.amdhsa_group_segment_fixed_size 0
		.amdhsa_private_segment_fixed_size 0
		.amdhsa_kernarg_size 48
		.amdhsa_user_sgpr_count 6
		.amdhsa_user_sgpr_private_segment_buffer 1
		.amdhsa_user_sgpr_dispatch_ptr 0
		.amdhsa_user_sgpr_queue_ptr 0
		.amdhsa_user_sgpr_kernarg_segment_ptr 1
		.amdhsa_user_sgpr_dispatch_id 0
		.amdhsa_user_sgpr_flat_scratch_init 0
		.amdhsa_user_sgpr_kernarg_preload_length 0
		.amdhsa_user_sgpr_kernarg_preload_offset 0
		.amdhsa_user_sgpr_private_segment_size 0
		.amdhsa_uses_dynamic_stack 0
		.amdhsa_system_sgpr_private_segment_wavefront_offset 0
		.amdhsa_system_sgpr_workgroup_id_x 1
		.amdhsa_system_sgpr_workgroup_id_y 0
		.amdhsa_system_sgpr_workgroup_id_z 0
		.amdhsa_system_sgpr_workgroup_info 0
		.amdhsa_system_vgpr_workitem_id 0
		.amdhsa_next_free_vgpr 1
		.amdhsa_next_free_sgpr 0
		.amdhsa_accum_offset 4
		.amdhsa_reserve_vcc 0
		.amdhsa_reserve_flat_scratch 0
		.amdhsa_float_round_mode_32 0
		.amdhsa_float_round_mode_16_64 0
		.amdhsa_float_denorm_mode_32 3
		.amdhsa_float_denorm_mode_16_64 3
		.amdhsa_dx10_clamp 1
		.amdhsa_ieee_mode 1
		.amdhsa_fp16_overflow 0
		.amdhsa_tg_split 0
		.amdhsa_exception_fp_ieee_invalid_op 0
		.amdhsa_exception_fp_denorm_src 0
		.amdhsa_exception_fp_ieee_div_zero 0
		.amdhsa_exception_fp_ieee_overflow 0
		.amdhsa_exception_fp_ieee_underflow 0
		.amdhsa_exception_fp_ieee_inexact 0
		.amdhsa_exception_int_div_zero 0
	.end_amdhsa_kernel
	.section	.text._ZN7rocprim17ROCPRIM_400000_NS6detail17trampoline_kernelINS0_14default_configENS1_38merge_sort_block_merge_config_selectorIfNS0_10empty_typeEEEZZNS1_27merge_sort_block_merge_implIS3_N6thrust23THRUST_200600_302600_NS6detail15normal_iteratorINS9_10device_ptrIfEEEEPS5_m14custom_greaterIfEEE10hipError_tT0_T1_T2_jT3_P12ihipStream_tbPNSt15iterator_traitsISJ_E10value_typeEPNSP_ISK_E10value_typeEPSL_NS1_7vsmem_tEENKUlT_SJ_SK_SL_E_clISE_PfSF_SF_EESI_SY_SJ_SK_SL_EUlSY_E_NS1_11comp_targetILNS1_3genE8ELNS1_11target_archE1030ELNS1_3gpuE2ELNS1_3repE0EEENS1_48merge_mergepath_partition_config_static_selectorELNS0_4arch9wavefront6targetE1EEEvSK_,"axG",@progbits,_ZN7rocprim17ROCPRIM_400000_NS6detail17trampoline_kernelINS0_14default_configENS1_38merge_sort_block_merge_config_selectorIfNS0_10empty_typeEEEZZNS1_27merge_sort_block_merge_implIS3_N6thrust23THRUST_200600_302600_NS6detail15normal_iteratorINS9_10device_ptrIfEEEEPS5_m14custom_greaterIfEEE10hipError_tT0_T1_T2_jT3_P12ihipStream_tbPNSt15iterator_traitsISJ_E10value_typeEPNSP_ISK_E10value_typeEPSL_NS1_7vsmem_tEENKUlT_SJ_SK_SL_E_clISE_PfSF_SF_EESI_SY_SJ_SK_SL_EUlSY_E_NS1_11comp_targetILNS1_3genE8ELNS1_11target_archE1030ELNS1_3gpuE2ELNS1_3repE0EEENS1_48merge_mergepath_partition_config_static_selectorELNS0_4arch9wavefront6targetE1EEEvSK_,comdat
.Lfunc_end3569:
	.size	_ZN7rocprim17ROCPRIM_400000_NS6detail17trampoline_kernelINS0_14default_configENS1_38merge_sort_block_merge_config_selectorIfNS0_10empty_typeEEEZZNS1_27merge_sort_block_merge_implIS3_N6thrust23THRUST_200600_302600_NS6detail15normal_iteratorINS9_10device_ptrIfEEEEPS5_m14custom_greaterIfEEE10hipError_tT0_T1_T2_jT3_P12ihipStream_tbPNSt15iterator_traitsISJ_E10value_typeEPNSP_ISK_E10value_typeEPSL_NS1_7vsmem_tEENKUlT_SJ_SK_SL_E_clISE_PfSF_SF_EESI_SY_SJ_SK_SL_EUlSY_E_NS1_11comp_targetILNS1_3genE8ELNS1_11target_archE1030ELNS1_3gpuE2ELNS1_3repE0EEENS1_48merge_mergepath_partition_config_static_selectorELNS0_4arch9wavefront6targetE1EEEvSK_, .Lfunc_end3569-_ZN7rocprim17ROCPRIM_400000_NS6detail17trampoline_kernelINS0_14default_configENS1_38merge_sort_block_merge_config_selectorIfNS0_10empty_typeEEEZZNS1_27merge_sort_block_merge_implIS3_N6thrust23THRUST_200600_302600_NS6detail15normal_iteratorINS9_10device_ptrIfEEEEPS5_m14custom_greaterIfEEE10hipError_tT0_T1_T2_jT3_P12ihipStream_tbPNSt15iterator_traitsISJ_E10value_typeEPNSP_ISK_E10value_typeEPSL_NS1_7vsmem_tEENKUlT_SJ_SK_SL_E_clISE_PfSF_SF_EESI_SY_SJ_SK_SL_EUlSY_E_NS1_11comp_targetILNS1_3genE8ELNS1_11target_archE1030ELNS1_3gpuE2ELNS1_3repE0EEENS1_48merge_mergepath_partition_config_static_selectorELNS0_4arch9wavefront6targetE1EEEvSK_
                                        ; -- End function
	.section	.AMDGPU.csdata,"",@progbits
; Kernel info:
; codeLenInByte = 0
; NumSgprs: 4
; NumVgprs: 0
; NumAgprs: 0
; TotalNumVgprs: 0
; ScratchSize: 0
; MemoryBound: 0
; FloatMode: 240
; IeeeMode: 1
; LDSByteSize: 0 bytes/workgroup (compile time only)
; SGPRBlocks: 0
; VGPRBlocks: 0
; NumSGPRsForWavesPerEU: 4
; NumVGPRsForWavesPerEU: 1
; AccumOffset: 4
; Occupancy: 8
; WaveLimiterHint : 0
; COMPUTE_PGM_RSRC2:SCRATCH_EN: 0
; COMPUTE_PGM_RSRC2:USER_SGPR: 6
; COMPUTE_PGM_RSRC2:TRAP_HANDLER: 0
; COMPUTE_PGM_RSRC2:TGID_X_EN: 1
; COMPUTE_PGM_RSRC2:TGID_Y_EN: 0
; COMPUTE_PGM_RSRC2:TGID_Z_EN: 0
; COMPUTE_PGM_RSRC2:TIDIG_COMP_CNT: 0
; COMPUTE_PGM_RSRC3_GFX90A:ACCUM_OFFSET: 0
; COMPUTE_PGM_RSRC3_GFX90A:TG_SPLIT: 0
	.section	.text._ZN7rocprim17ROCPRIM_400000_NS6detail17trampoline_kernelINS0_14default_configENS1_38merge_sort_block_merge_config_selectorIfNS0_10empty_typeEEEZZNS1_27merge_sort_block_merge_implIS3_N6thrust23THRUST_200600_302600_NS6detail15normal_iteratorINS9_10device_ptrIfEEEEPS5_m14custom_greaterIfEEE10hipError_tT0_T1_T2_jT3_P12ihipStream_tbPNSt15iterator_traitsISJ_E10value_typeEPNSP_ISK_E10value_typeEPSL_NS1_7vsmem_tEENKUlT_SJ_SK_SL_E_clISE_PfSF_SF_EESI_SY_SJ_SK_SL_EUlSY_E0_NS1_11comp_targetILNS1_3genE0ELNS1_11target_archE4294967295ELNS1_3gpuE0ELNS1_3repE0EEENS1_38merge_mergepath_config_static_selectorELNS0_4arch9wavefront6targetE1EEEvSK_,"axG",@progbits,_ZN7rocprim17ROCPRIM_400000_NS6detail17trampoline_kernelINS0_14default_configENS1_38merge_sort_block_merge_config_selectorIfNS0_10empty_typeEEEZZNS1_27merge_sort_block_merge_implIS3_N6thrust23THRUST_200600_302600_NS6detail15normal_iteratorINS9_10device_ptrIfEEEEPS5_m14custom_greaterIfEEE10hipError_tT0_T1_T2_jT3_P12ihipStream_tbPNSt15iterator_traitsISJ_E10value_typeEPNSP_ISK_E10value_typeEPSL_NS1_7vsmem_tEENKUlT_SJ_SK_SL_E_clISE_PfSF_SF_EESI_SY_SJ_SK_SL_EUlSY_E0_NS1_11comp_targetILNS1_3genE0ELNS1_11target_archE4294967295ELNS1_3gpuE0ELNS1_3repE0EEENS1_38merge_mergepath_config_static_selectorELNS0_4arch9wavefront6targetE1EEEvSK_,comdat
	.protected	_ZN7rocprim17ROCPRIM_400000_NS6detail17trampoline_kernelINS0_14default_configENS1_38merge_sort_block_merge_config_selectorIfNS0_10empty_typeEEEZZNS1_27merge_sort_block_merge_implIS3_N6thrust23THRUST_200600_302600_NS6detail15normal_iteratorINS9_10device_ptrIfEEEEPS5_m14custom_greaterIfEEE10hipError_tT0_T1_T2_jT3_P12ihipStream_tbPNSt15iterator_traitsISJ_E10value_typeEPNSP_ISK_E10value_typeEPSL_NS1_7vsmem_tEENKUlT_SJ_SK_SL_E_clISE_PfSF_SF_EESI_SY_SJ_SK_SL_EUlSY_E0_NS1_11comp_targetILNS1_3genE0ELNS1_11target_archE4294967295ELNS1_3gpuE0ELNS1_3repE0EEENS1_38merge_mergepath_config_static_selectorELNS0_4arch9wavefront6targetE1EEEvSK_ ; -- Begin function _ZN7rocprim17ROCPRIM_400000_NS6detail17trampoline_kernelINS0_14default_configENS1_38merge_sort_block_merge_config_selectorIfNS0_10empty_typeEEEZZNS1_27merge_sort_block_merge_implIS3_N6thrust23THRUST_200600_302600_NS6detail15normal_iteratorINS9_10device_ptrIfEEEEPS5_m14custom_greaterIfEEE10hipError_tT0_T1_T2_jT3_P12ihipStream_tbPNSt15iterator_traitsISJ_E10value_typeEPNSP_ISK_E10value_typeEPSL_NS1_7vsmem_tEENKUlT_SJ_SK_SL_E_clISE_PfSF_SF_EESI_SY_SJ_SK_SL_EUlSY_E0_NS1_11comp_targetILNS1_3genE0ELNS1_11target_archE4294967295ELNS1_3gpuE0ELNS1_3repE0EEENS1_38merge_mergepath_config_static_selectorELNS0_4arch9wavefront6targetE1EEEvSK_
	.globl	_ZN7rocprim17ROCPRIM_400000_NS6detail17trampoline_kernelINS0_14default_configENS1_38merge_sort_block_merge_config_selectorIfNS0_10empty_typeEEEZZNS1_27merge_sort_block_merge_implIS3_N6thrust23THRUST_200600_302600_NS6detail15normal_iteratorINS9_10device_ptrIfEEEEPS5_m14custom_greaterIfEEE10hipError_tT0_T1_T2_jT3_P12ihipStream_tbPNSt15iterator_traitsISJ_E10value_typeEPNSP_ISK_E10value_typeEPSL_NS1_7vsmem_tEENKUlT_SJ_SK_SL_E_clISE_PfSF_SF_EESI_SY_SJ_SK_SL_EUlSY_E0_NS1_11comp_targetILNS1_3genE0ELNS1_11target_archE4294967295ELNS1_3gpuE0ELNS1_3repE0EEENS1_38merge_mergepath_config_static_selectorELNS0_4arch9wavefront6targetE1EEEvSK_
	.p2align	8
	.type	_ZN7rocprim17ROCPRIM_400000_NS6detail17trampoline_kernelINS0_14default_configENS1_38merge_sort_block_merge_config_selectorIfNS0_10empty_typeEEEZZNS1_27merge_sort_block_merge_implIS3_N6thrust23THRUST_200600_302600_NS6detail15normal_iteratorINS9_10device_ptrIfEEEEPS5_m14custom_greaterIfEEE10hipError_tT0_T1_T2_jT3_P12ihipStream_tbPNSt15iterator_traitsISJ_E10value_typeEPNSP_ISK_E10value_typeEPSL_NS1_7vsmem_tEENKUlT_SJ_SK_SL_E_clISE_PfSF_SF_EESI_SY_SJ_SK_SL_EUlSY_E0_NS1_11comp_targetILNS1_3genE0ELNS1_11target_archE4294967295ELNS1_3gpuE0ELNS1_3repE0EEENS1_38merge_mergepath_config_static_selectorELNS0_4arch9wavefront6targetE1EEEvSK_,@function
_ZN7rocprim17ROCPRIM_400000_NS6detail17trampoline_kernelINS0_14default_configENS1_38merge_sort_block_merge_config_selectorIfNS0_10empty_typeEEEZZNS1_27merge_sort_block_merge_implIS3_N6thrust23THRUST_200600_302600_NS6detail15normal_iteratorINS9_10device_ptrIfEEEEPS5_m14custom_greaterIfEEE10hipError_tT0_T1_T2_jT3_P12ihipStream_tbPNSt15iterator_traitsISJ_E10value_typeEPNSP_ISK_E10value_typeEPSL_NS1_7vsmem_tEENKUlT_SJ_SK_SL_E_clISE_PfSF_SF_EESI_SY_SJ_SK_SL_EUlSY_E0_NS1_11comp_targetILNS1_3genE0ELNS1_11target_archE4294967295ELNS1_3gpuE0ELNS1_3repE0EEENS1_38merge_mergepath_config_static_selectorELNS0_4arch9wavefront6targetE1EEEvSK_: ; @_ZN7rocprim17ROCPRIM_400000_NS6detail17trampoline_kernelINS0_14default_configENS1_38merge_sort_block_merge_config_selectorIfNS0_10empty_typeEEEZZNS1_27merge_sort_block_merge_implIS3_N6thrust23THRUST_200600_302600_NS6detail15normal_iteratorINS9_10device_ptrIfEEEEPS5_m14custom_greaterIfEEE10hipError_tT0_T1_T2_jT3_P12ihipStream_tbPNSt15iterator_traitsISJ_E10value_typeEPNSP_ISK_E10value_typeEPSL_NS1_7vsmem_tEENKUlT_SJ_SK_SL_E_clISE_PfSF_SF_EESI_SY_SJ_SK_SL_EUlSY_E0_NS1_11comp_targetILNS1_3genE0ELNS1_11target_archE4294967295ELNS1_3gpuE0ELNS1_3repE0EEENS1_38merge_mergepath_config_static_selectorELNS0_4arch9wavefront6targetE1EEEvSK_
; %bb.0:
	.section	.rodata,"a",@progbits
	.p2align	6, 0x0
	.amdhsa_kernel _ZN7rocprim17ROCPRIM_400000_NS6detail17trampoline_kernelINS0_14default_configENS1_38merge_sort_block_merge_config_selectorIfNS0_10empty_typeEEEZZNS1_27merge_sort_block_merge_implIS3_N6thrust23THRUST_200600_302600_NS6detail15normal_iteratorINS9_10device_ptrIfEEEEPS5_m14custom_greaterIfEEE10hipError_tT0_T1_T2_jT3_P12ihipStream_tbPNSt15iterator_traitsISJ_E10value_typeEPNSP_ISK_E10value_typeEPSL_NS1_7vsmem_tEENKUlT_SJ_SK_SL_E_clISE_PfSF_SF_EESI_SY_SJ_SK_SL_EUlSY_E0_NS1_11comp_targetILNS1_3genE0ELNS1_11target_archE4294967295ELNS1_3gpuE0ELNS1_3repE0EEENS1_38merge_mergepath_config_static_selectorELNS0_4arch9wavefront6targetE1EEEvSK_
		.amdhsa_group_segment_fixed_size 0
		.amdhsa_private_segment_fixed_size 0
		.amdhsa_kernarg_size 72
		.amdhsa_user_sgpr_count 6
		.amdhsa_user_sgpr_private_segment_buffer 1
		.amdhsa_user_sgpr_dispatch_ptr 0
		.amdhsa_user_sgpr_queue_ptr 0
		.amdhsa_user_sgpr_kernarg_segment_ptr 1
		.amdhsa_user_sgpr_dispatch_id 0
		.amdhsa_user_sgpr_flat_scratch_init 0
		.amdhsa_user_sgpr_kernarg_preload_length 0
		.amdhsa_user_sgpr_kernarg_preload_offset 0
		.amdhsa_user_sgpr_private_segment_size 0
		.amdhsa_uses_dynamic_stack 0
		.amdhsa_system_sgpr_private_segment_wavefront_offset 0
		.amdhsa_system_sgpr_workgroup_id_x 1
		.amdhsa_system_sgpr_workgroup_id_y 0
		.amdhsa_system_sgpr_workgroup_id_z 0
		.amdhsa_system_sgpr_workgroup_info 0
		.amdhsa_system_vgpr_workitem_id 0
		.amdhsa_next_free_vgpr 1
		.amdhsa_next_free_sgpr 0
		.amdhsa_accum_offset 4
		.amdhsa_reserve_vcc 0
		.amdhsa_reserve_flat_scratch 0
		.amdhsa_float_round_mode_32 0
		.amdhsa_float_round_mode_16_64 0
		.amdhsa_float_denorm_mode_32 3
		.amdhsa_float_denorm_mode_16_64 3
		.amdhsa_dx10_clamp 1
		.amdhsa_ieee_mode 1
		.amdhsa_fp16_overflow 0
		.amdhsa_tg_split 0
		.amdhsa_exception_fp_ieee_invalid_op 0
		.amdhsa_exception_fp_denorm_src 0
		.amdhsa_exception_fp_ieee_div_zero 0
		.amdhsa_exception_fp_ieee_overflow 0
		.amdhsa_exception_fp_ieee_underflow 0
		.amdhsa_exception_fp_ieee_inexact 0
		.amdhsa_exception_int_div_zero 0
	.end_amdhsa_kernel
	.section	.text._ZN7rocprim17ROCPRIM_400000_NS6detail17trampoline_kernelINS0_14default_configENS1_38merge_sort_block_merge_config_selectorIfNS0_10empty_typeEEEZZNS1_27merge_sort_block_merge_implIS3_N6thrust23THRUST_200600_302600_NS6detail15normal_iteratorINS9_10device_ptrIfEEEEPS5_m14custom_greaterIfEEE10hipError_tT0_T1_T2_jT3_P12ihipStream_tbPNSt15iterator_traitsISJ_E10value_typeEPNSP_ISK_E10value_typeEPSL_NS1_7vsmem_tEENKUlT_SJ_SK_SL_E_clISE_PfSF_SF_EESI_SY_SJ_SK_SL_EUlSY_E0_NS1_11comp_targetILNS1_3genE0ELNS1_11target_archE4294967295ELNS1_3gpuE0ELNS1_3repE0EEENS1_38merge_mergepath_config_static_selectorELNS0_4arch9wavefront6targetE1EEEvSK_,"axG",@progbits,_ZN7rocprim17ROCPRIM_400000_NS6detail17trampoline_kernelINS0_14default_configENS1_38merge_sort_block_merge_config_selectorIfNS0_10empty_typeEEEZZNS1_27merge_sort_block_merge_implIS3_N6thrust23THRUST_200600_302600_NS6detail15normal_iteratorINS9_10device_ptrIfEEEEPS5_m14custom_greaterIfEEE10hipError_tT0_T1_T2_jT3_P12ihipStream_tbPNSt15iterator_traitsISJ_E10value_typeEPNSP_ISK_E10value_typeEPSL_NS1_7vsmem_tEENKUlT_SJ_SK_SL_E_clISE_PfSF_SF_EESI_SY_SJ_SK_SL_EUlSY_E0_NS1_11comp_targetILNS1_3genE0ELNS1_11target_archE4294967295ELNS1_3gpuE0ELNS1_3repE0EEENS1_38merge_mergepath_config_static_selectorELNS0_4arch9wavefront6targetE1EEEvSK_,comdat
.Lfunc_end3570:
	.size	_ZN7rocprim17ROCPRIM_400000_NS6detail17trampoline_kernelINS0_14default_configENS1_38merge_sort_block_merge_config_selectorIfNS0_10empty_typeEEEZZNS1_27merge_sort_block_merge_implIS3_N6thrust23THRUST_200600_302600_NS6detail15normal_iteratorINS9_10device_ptrIfEEEEPS5_m14custom_greaterIfEEE10hipError_tT0_T1_T2_jT3_P12ihipStream_tbPNSt15iterator_traitsISJ_E10value_typeEPNSP_ISK_E10value_typeEPSL_NS1_7vsmem_tEENKUlT_SJ_SK_SL_E_clISE_PfSF_SF_EESI_SY_SJ_SK_SL_EUlSY_E0_NS1_11comp_targetILNS1_3genE0ELNS1_11target_archE4294967295ELNS1_3gpuE0ELNS1_3repE0EEENS1_38merge_mergepath_config_static_selectorELNS0_4arch9wavefront6targetE1EEEvSK_, .Lfunc_end3570-_ZN7rocprim17ROCPRIM_400000_NS6detail17trampoline_kernelINS0_14default_configENS1_38merge_sort_block_merge_config_selectorIfNS0_10empty_typeEEEZZNS1_27merge_sort_block_merge_implIS3_N6thrust23THRUST_200600_302600_NS6detail15normal_iteratorINS9_10device_ptrIfEEEEPS5_m14custom_greaterIfEEE10hipError_tT0_T1_T2_jT3_P12ihipStream_tbPNSt15iterator_traitsISJ_E10value_typeEPNSP_ISK_E10value_typeEPSL_NS1_7vsmem_tEENKUlT_SJ_SK_SL_E_clISE_PfSF_SF_EESI_SY_SJ_SK_SL_EUlSY_E0_NS1_11comp_targetILNS1_3genE0ELNS1_11target_archE4294967295ELNS1_3gpuE0ELNS1_3repE0EEENS1_38merge_mergepath_config_static_selectorELNS0_4arch9wavefront6targetE1EEEvSK_
                                        ; -- End function
	.section	.AMDGPU.csdata,"",@progbits
; Kernel info:
; codeLenInByte = 0
; NumSgprs: 4
; NumVgprs: 0
; NumAgprs: 0
; TotalNumVgprs: 0
; ScratchSize: 0
; MemoryBound: 0
; FloatMode: 240
; IeeeMode: 1
; LDSByteSize: 0 bytes/workgroup (compile time only)
; SGPRBlocks: 0
; VGPRBlocks: 0
; NumSGPRsForWavesPerEU: 4
; NumVGPRsForWavesPerEU: 1
; AccumOffset: 4
; Occupancy: 8
; WaveLimiterHint : 0
; COMPUTE_PGM_RSRC2:SCRATCH_EN: 0
; COMPUTE_PGM_RSRC2:USER_SGPR: 6
; COMPUTE_PGM_RSRC2:TRAP_HANDLER: 0
; COMPUTE_PGM_RSRC2:TGID_X_EN: 1
; COMPUTE_PGM_RSRC2:TGID_Y_EN: 0
; COMPUTE_PGM_RSRC2:TGID_Z_EN: 0
; COMPUTE_PGM_RSRC2:TIDIG_COMP_CNT: 0
; COMPUTE_PGM_RSRC3_GFX90A:ACCUM_OFFSET: 0
; COMPUTE_PGM_RSRC3_GFX90A:TG_SPLIT: 0
	.section	.text._ZN7rocprim17ROCPRIM_400000_NS6detail17trampoline_kernelINS0_14default_configENS1_38merge_sort_block_merge_config_selectorIfNS0_10empty_typeEEEZZNS1_27merge_sort_block_merge_implIS3_N6thrust23THRUST_200600_302600_NS6detail15normal_iteratorINS9_10device_ptrIfEEEEPS5_m14custom_greaterIfEEE10hipError_tT0_T1_T2_jT3_P12ihipStream_tbPNSt15iterator_traitsISJ_E10value_typeEPNSP_ISK_E10value_typeEPSL_NS1_7vsmem_tEENKUlT_SJ_SK_SL_E_clISE_PfSF_SF_EESI_SY_SJ_SK_SL_EUlSY_E0_NS1_11comp_targetILNS1_3genE10ELNS1_11target_archE1201ELNS1_3gpuE5ELNS1_3repE0EEENS1_38merge_mergepath_config_static_selectorELNS0_4arch9wavefront6targetE1EEEvSK_,"axG",@progbits,_ZN7rocprim17ROCPRIM_400000_NS6detail17trampoline_kernelINS0_14default_configENS1_38merge_sort_block_merge_config_selectorIfNS0_10empty_typeEEEZZNS1_27merge_sort_block_merge_implIS3_N6thrust23THRUST_200600_302600_NS6detail15normal_iteratorINS9_10device_ptrIfEEEEPS5_m14custom_greaterIfEEE10hipError_tT0_T1_T2_jT3_P12ihipStream_tbPNSt15iterator_traitsISJ_E10value_typeEPNSP_ISK_E10value_typeEPSL_NS1_7vsmem_tEENKUlT_SJ_SK_SL_E_clISE_PfSF_SF_EESI_SY_SJ_SK_SL_EUlSY_E0_NS1_11comp_targetILNS1_3genE10ELNS1_11target_archE1201ELNS1_3gpuE5ELNS1_3repE0EEENS1_38merge_mergepath_config_static_selectorELNS0_4arch9wavefront6targetE1EEEvSK_,comdat
	.protected	_ZN7rocprim17ROCPRIM_400000_NS6detail17trampoline_kernelINS0_14default_configENS1_38merge_sort_block_merge_config_selectorIfNS0_10empty_typeEEEZZNS1_27merge_sort_block_merge_implIS3_N6thrust23THRUST_200600_302600_NS6detail15normal_iteratorINS9_10device_ptrIfEEEEPS5_m14custom_greaterIfEEE10hipError_tT0_T1_T2_jT3_P12ihipStream_tbPNSt15iterator_traitsISJ_E10value_typeEPNSP_ISK_E10value_typeEPSL_NS1_7vsmem_tEENKUlT_SJ_SK_SL_E_clISE_PfSF_SF_EESI_SY_SJ_SK_SL_EUlSY_E0_NS1_11comp_targetILNS1_3genE10ELNS1_11target_archE1201ELNS1_3gpuE5ELNS1_3repE0EEENS1_38merge_mergepath_config_static_selectorELNS0_4arch9wavefront6targetE1EEEvSK_ ; -- Begin function _ZN7rocprim17ROCPRIM_400000_NS6detail17trampoline_kernelINS0_14default_configENS1_38merge_sort_block_merge_config_selectorIfNS0_10empty_typeEEEZZNS1_27merge_sort_block_merge_implIS3_N6thrust23THRUST_200600_302600_NS6detail15normal_iteratorINS9_10device_ptrIfEEEEPS5_m14custom_greaterIfEEE10hipError_tT0_T1_T2_jT3_P12ihipStream_tbPNSt15iterator_traitsISJ_E10value_typeEPNSP_ISK_E10value_typeEPSL_NS1_7vsmem_tEENKUlT_SJ_SK_SL_E_clISE_PfSF_SF_EESI_SY_SJ_SK_SL_EUlSY_E0_NS1_11comp_targetILNS1_3genE10ELNS1_11target_archE1201ELNS1_3gpuE5ELNS1_3repE0EEENS1_38merge_mergepath_config_static_selectorELNS0_4arch9wavefront6targetE1EEEvSK_
	.globl	_ZN7rocprim17ROCPRIM_400000_NS6detail17trampoline_kernelINS0_14default_configENS1_38merge_sort_block_merge_config_selectorIfNS0_10empty_typeEEEZZNS1_27merge_sort_block_merge_implIS3_N6thrust23THRUST_200600_302600_NS6detail15normal_iteratorINS9_10device_ptrIfEEEEPS5_m14custom_greaterIfEEE10hipError_tT0_T1_T2_jT3_P12ihipStream_tbPNSt15iterator_traitsISJ_E10value_typeEPNSP_ISK_E10value_typeEPSL_NS1_7vsmem_tEENKUlT_SJ_SK_SL_E_clISE_PfSF_SF_EESI_SY_SJ_SK_SL_EUlSY_E0_NS1_11comp_targetILNS1_3genE10ELNS1_11target_archE1201ELNS1_3gpuE5ELNS1_3repE0EEENS1_38merge_mergepath_config_static_selectorELNS0_4arch9wavefront6targetE1EEEvSK_
	.p2align	8
	.type	_ZN7rocprim17ROCPRIM_400000_NS6detail17trampoline_kernelINS0_14default_configENS1_38merge_sort_block_merge_config_selectorIfNS0_10empty_typeEEEZZNS1_27merge_sort_block_merge_implIS3_N6thrust23THRUST_200600_302600_NS6detail15normal_iteratorINS9_10device_ptrIfEEEEPS5_m14custom_greaterIfEEE10hipError_tT0_T1_T2_jT3_P12ihipStream_tbPNSt15iterator_traitsISJ_E10value_typeEPNSP_ISK_E10value_typeEPSL_NS1_7vsmem_tEENKUlT_SJ_SK_SL_E_clISE_PfSF_SF_EESI_SY_SJ_SK_SL_EUlSY_E0_NS1_11comp_targetILNS1_3genE10ELNS1_11target_archE1201ELNS1_3gpuE5ELNS1_3repE0EEENS1_38merge_mergepath_config_static_selectorELNS0_4arch9wavefront6targetE1EEEvSK_,@function
_ZN7rocprim17ROCPRIM_400000_NS6detail17trampoline_kernelINS0_14default_configENS1_38merge_sort_block_merge_config_selectorIfNS0_10empty_typeEEEZZNS1_27merge_sort_block_merge_implIS3_N6thrust23THRUST_200600_302600_NS6detail15normal_iteratorINS9_10device_ptrIfEEEEPS5_m14custom_greaterIfEEE10hipError_tT0_T1_T2_jT3_P12ihipStream_tbPNSt15iterator_traitsISJ_E10value_typeEPNSP_ISK_E10value_typeEPSL_NS1_7vsmem_tEENKUlT_SJ_SK_SL_E_clISE_PfSF_SF_EESI_SY_SJ_SK_SL_EUlSY_E0_NS1_11comp_targetILNS1_3genE10ELNS1_11target_archE1201ELNS1_3gpuE5ELNS1_3repE0EEENS1_38merge_mergepath_config_static_selectorELNS0_4arch9wavefront6targetE1EEEvSK_: ; @_ZN7rocprim17ROCPRIM_400000_NS6detail17trampoline_kernelINS0_14default_configENS1_38merge_sort_block_merge_config_selectorIfNS0_10empty_typeEEEZZNS1_27merge_sort_block_merge_implIS3_N6thrust23THRUST_200600_302600_NS6detail15normal_iteratorINS9_10device_ptrIfEEEEPS5_m14custom_greaterIfEEE10hipError_tT0_T1_T2_jT3_P12ihipStream_tbPNSt15iterator_traitsISJ_E10value_typeEPNSP_ISK_E10value_typeEPSL_NS1_7vsmem_tEENKUlT_SJ_SK_SL_E_clISE_PfSF_SF_EESI_SY_SJ_SK_SL_EUlSY_E0_NS1_11comp_targetILNS1_3genE10ELNS1_11target_archE1201ELNS1_3gpuE5ELNS1_3repE0EEENS1_38merge_mergepath_config_static_selectorELNS0_4arch9wavefront6targetE1EEEvSK_
; %bb.0:
	.section	.rodata,"a",@progbits
	.p2align	6, 0x0
	.amdhsa_kernel _ZN7rocprim17ROCPRIM_400000_NS6detail17trampoline_kernelINS0_14default_configENS1_38merge_sort_block_merge_config_selectorIfNS0_10empty_typeEEEZZNS1_27merge_sort_block_merge_implIS3_N6thrust23THRUST_200600_302600_NS6detail15normal_iteratorINS9_10device_ptrIfEEEEPS5_m14custom_greaterIfEEE10hipError_tT0_T1_T2_jT3_P12ihipStream_tbPNSt15iterator_traitsISJ_E10value_typeEPNSP_ISK_E10value_typeEPSL_NS1_7vsmem_tEENKUlT_SJ_SK_SL_E_clISE_PfSF_SF_EESI_SY_SJ_SK_SL_EUlSY_E0_NS1_11comp_targetILNS1_3genE10ELNS1_11target_archE1201ELNS1_3gpuE5ELNS1_3repE0EEENS1_38merge_mergepath_config_static_selectorELNS0_4arch9wavefront6targetE1EEEvSK_
		.amdhsa_group_segment_fixed_size 0
		.amdhsa_private_segment_fixed_size 0
		.amdhsa_kernarg_size 72
		.amdhsa_user_sgpr_count 6
		.amdhsa_user_sgpr_private_segment_buffer 1
		.amdhsa_user_sgpr_dispatch_ptr 0
		.amdhsa_user_sgpr_queue_ptr 0
		.amdhsa_user_sgpr_kernarg_segment_ptr 1
		.amdhsa_user_sgpr_dispatch_id 0
		.amdhsa_user_sgpr_flat_scratch_init 0
		.amdhsa_user_sgpr_kernarg_preload_length 0
		.amdhsa_user_sgpr_kernarg_preload_offset 0
		.amdhsa_user_sgpr_private_segment_size 0
		.amdhsa_uses_dynamic_stack 0
		.amdhsa_system_sgpr_private_segment_wavefront_offset 0
		.amdhsa_system_sgpr_workgroup_id_x 1
		.amdhsa_system_sgpr_workgroup_id_y 0
		.amdhsa_system_sgpr_workgroup_id_z 0
		.amdhsa_system_sgpr_workgroup_info 0
		.amdhsa_system_vgpr_workitem_id 0
		.amdhsa_next_free_vgpr 1
		.amdhsa_next_free_sgpr 0
		.amdhsa_accum_offset 4
		.amdhsa_reserve_vcc 0
		.amdhsa_reserve_flat_scratch 0
		.amdhsa_float_round_mode_32 0
		.amdhsa_float_round_mode_16_64 0
		.amdhsa_float_denorm_mode_32 3
		.amdhsa_float_denorm_mode_16_64 3
		.amdhsa_dx10_clamp 1
		.amdhsa_ieee_mode 1
		.amdhsa_fp16_overflow 0
		.amdhsa_tg_split 0
		.amdhsa_exception_fp_ieee_invalid_op 0
		.amdhsa_exception_fp_denorm_src 0
		.amdhsa_exception_fp_ieee_div_zero 0
		.amdhsa_exception_fp_ieee_overflow 0
		.amdhsa_exception_fp_ieee_underflow 0
		.amdhsa_exception_fp_ieee_inexact 0
		.amdhsa_exception_int_div_zero 0
	.end_amdhsa_kernel
	.section	.text._ZN7rocprim17ROCPRIM_400000_NS6detail17trampoline_kernelINS0_14default_configENS1_38merge_sort_block_merge_config_selectorIfNS0_10empty_typeEEEZZNS1_27merge_sort_block_merge_implIS3_N6thrust23THRUST_200600_302600_NS6detail15normal_iteratorINS9_10device_ptrIfEEEEPS5_m14custom_greaterIfEEE10hipError_tT0_T1_T2_jT3_P12ihipStream_tbPNSt15iterator_traitsISJ_E10value_typeEPNSP_ISK_E10value_typeEPSL_NS1_7vsmem_tEENKUlT_SJ_SK_SL_E_clISE_PfSF_SF_EESI_SY_SJ_SK_SL_EUlSY_E0_NS1_11comp_targetILNS1_3genE10ELNS1_11target_archE1201ELNS1_3gpuE5ELNS1_3repE0EEENS1_38merge_mergepath_config_static_selectorELNS0_4arch9wavefront6targetE1EEEvSK_,"axG",@progbits,_ZN7rocprim17ROCPRIM_400000_NS6detail17trampoline_kernelINS0_14default_configENS1_38merge_sort_block_merge_config_selectorIfNS0_10empty_typeEEEZZNS1_27merge_sort_block_merge_implIS3_N6thrust23THRUST_200600_302600_NS6detail15normal_iteratorINS9_10device_ptrIfEEEEPS5_m14custom_greaterIfEEE10hipError_tT0_T1_T2_jT3_P12ihipStream_tbPNSt15iterator_traitsISJ_E10value_typeEPNSP_ISK_E10value_typeEPSL_NS1_7vsmem_tEENKUlT_SJ_SK_SL_E_clISE_PfSF_SF_EESI_SY_SJ_SK_SL_EUlSY_E0_NS1_11comp_targetILNS1_3genE10ELNS1_11target_archE1201ELNS1_3gpuE5ELNS1_3repE0EEENS1_38merge_mergepath_config_static_selectorELNS0_4arch9wavefront6targetE1EEEvSK_,comdat
.Lfunc_end3571:
	.size	_ZN7rocprim17ROCPRIM_400000_NS6detail17trampoline_kernelINS0_14default_configENS1_38merge_sort_block_merge_config_selectorIfNS0_10empty_typeEEEZZNS1_27merge_sort_block_merge_implIS3_N6thrust23THRUST_200600_302600_NS6detail15normal_iteratorINS9_10device_ptrIfEEEEPS5_m14custom_greaterIfEEE10hipError_tT0_T1_T2_jT3_P12ihipStream_tbPNSt15iterator_traitsISJ_E10value_typeEPNSP_ISK_E10value_typeEPSL_NS1_7vsmem_tEENKUlT_SJ_SK_SL_E_clISE_PfSF_SF_EESI_SY_SJ_SK_SL_EUlSY_E0_NS1_11comp_targetILNS1_3genE10ELNS1_11target_archE1201ELNS1_3gpuE5ELNS1_3repE0EEENS1_38merge_mergepath_config_static_selectorELNS0_4arch9wavefront6targetE1EEEvSK_, .Lfunc_end3571-_ZN7rocprim17ROCPRIM_400000_NS6detail17trampoline_kernelINS0_14default_configENS1_38merge_sort_block_merge_config_selectorIfNS0_10empty_typeEEEZZNS1_27merge_sort_block_merge_implIS3_N6thrust23THRUST_200600_302600_NS6detail15normal_iteratorINS9_10device_ptrIfEEEEPS5_m14custom_greaterIfEEE10hipError_tT0_T1_T2_jT3_P12ihipStream_tbPNSt15iterator_traitsISJ_E10value_typeEPNSP_ISK_E10value_typeEPSL_NS1_7vsmem_tEENKUlT_SJ_SK_SL_E_clISE_PfSF_SF_EESI_SY_SJ_SK_SL_EUlSY_E0_NS1_11comp_targetILNS1_3genE10ELNS1_11target_archE1201ELNS1_3gpuE5ELNS1_3repE0EEENS1_38merge_mergepath_config_static_selectorELNS0_4arch9wavefront6targetE1EEEvSK_
                                        ; -- End function
	.section	.AMDGPU.csdata,"",@progbits
; Kernel info:
; codeLenInByte = 0
; NumSgprs: 4
; NumVgprs: 0
; NumAgprs: 0
; TotalNumVgprs: 0
; ScratchSize: 0
; MemoryBound: 0
; FloatMode: 240
; IeeeMode: 1
; LDSByteSize: 0 bytes/workgroup (compile time only)
; SGPRBlocks: 0
; VGPRBlocks: 0
; NumSGPRsForWavesPerEU: 4
; NumVGPRsForWavesPerEU: 1
; AccumOffset: 4
; Occupancy: 8
; WaveLimiterHint : 0
; COMPUTE_PGM_RSRC2:SCRATCH_EN: 0
; COMPUTE_PGM_RSRC2:USER_SGPR: 6
; COMPUTE_PGM_RSRC2:TRAP_HANDLER: 0
; COMPUTE_PGM_RSRC2:TGID_X_EN: 1
; COMPUTE_PGM_RSRC2:TGID_Y_EN: 0
; COMPUTE_PGM_RSRC2:TGID_Z_EN: 0
; COMPUTE_PGM_RSRC2:TIDIG_COMP_CNT: 0
; COMPUTE_PGM_RSRC3_GFX90A:ACCUM_OFFSET: 0
; COMPUTE_PGM_RSRC3_GFX90A:TG_SPLIT: 0
	.section	.text._ZN7rocprim17ROCPRIM_400000_NS6detail17trampoline_kernelINS0_14default_configENS1_38merge_sort_block_merge_config_selectorIfNS0_10empty_typeEEEZZNS1_27merge_sort_block_merge_implIS3_N6thrust23THRUST_200600_302600_NS6detail15normal_iteratorINS9_10device_ptrIfEEEEPS5_m14custom_greaterIfEEE10hipError_tT0_T1_T2_jT3_P12ihipStream_tbPNSt15iterator_traitsISJ_E10value_typeEPNSP_ISK_E10value_typeEPSL_NS1_7vsmem_tEENKUlT_SJ_SK_SL_E_clISE_PfSF_SF_EESI_SY_SJ_SK_SL_EUlSY_E0_NS1_11comp_targetILNS1_3genE5ELNS1_11target_archE942ELNS1_3gpuE9ELNS1_3repE0EEENS1_38merge_mergepath_config_static_selectorELNS0_4arch9wavefront6targetE1EEEvSK_,"axG",@progbits,_ZN7rocprim17ROCPRIM_400000_NS6detail17trampoline_kernelINS0_14default_configENS1_38merge_sort_block_merge_config_selectorIfNS0_10empty_typeEEEZZNS1_27merge_sort_block_merge_implIS3_N6thrust23THRUST_200600_302600_NS6detail15normal_iteratorINS9_10device_ptrIfEEEEPS5_m14custom_greaterIfEEE10hipError_tT0_T1_T2_jT3_P12ihipStream_tbPNSt15iterator_traitsISJ_E10value_typeEPNSP_ISK_E10value_typeEPSL_NS1_7vsmem_tEENKUlT_SJ_SK_SL_E_clISE_PfSF_SF_EESI_SY_SJ_SK_SL_EUlSY_E0_NS1_11comp_targetILNS1_3genE5ELNS1_11target_archE942ELNS1_3gpuE9ELNS1_3repE0EEENS1_38merge_mergepath_config_static_selectorELNS0_4arch9wavefront6targetE1EEEvSK_,comdat
	.protected	_ZN7rocprim17ROCPRIM_400000_NS6detail17trampoline_kernelINS0_14default_configENS1_38merge_sort_block_merge_config_selectorIfNS0_10empty_typeEEEZZNS1_27merge_sort_block_merge_implIS3_N6thrust23THRUST_200600_302600_NS6detail15normal_iteratorINS9_10device_ptrIfEEEEPS5_m14custom_greaterIfEEE10hipError_tT0_T1_T2_jT3_P12ihipStream_tbPNSt15iterator_traitsISJ_E10value_typeEPNSP_ISK_E10value_typeEPSL_NS1_7vsmem_tEENKUlT_SJ_SK_SL_E_clISE_PfSF_SF_EESI_SY_SJ_SK_SL_EUlSY_E0_NS1_11comp_targetILNS1_3genE5ELNS1_11target_archE942ELNS1_3gpuE9ELNS1_3repE0EEENS1_38merge_mergepath_config_static_selectorELNS0_4arch9wavefront6targetE1EEEvSK_ ; -- Begin function _ZN7rocprim17ROCPRIM_400000_NS6detail17trampoline_kernelINS0_14default_configENS1_38merge_sort_block_merge_config_selectorIfNS0_10empty_typeEEEZZNS1_27merge_sort_block_merge_implIS3_N6thrust23THRUST_200600_302600_NS6detail15normal_iteratorINS9_10device_ptrIfEEEEPS5_m14custom_greaterIfEEE10hipError_tT0_T1_T2_jT3_P12ihipStream_tbPNSt15iterator_traitsISJ_E10value_typeEPNSP_ISK_E10value_typeEPSL_NS1_7vsmem_tEENKUlT_SJ_SK_SL_E_clISE_PfSF_SF_EESI_SY_SJ_SK_SL_EUlSY_E0_NS1_11comp_targetILNS1_3genE5ELNS1_11target_archE942ELNS1_3gpuE9ELNS1_3repE0EEENS1_38merge_mergepath_config_static_selectorELNS0_4arch9wavefront6targetE1EEEvSK_
	.globl	_ZN7rocprim17ROCPRIM_400000_NS6detail17trampoline_kernelINS0_14default_configENS1_38merge_sort_block_merge_config_selectorIfNS0_10empty_typeEEEZZNS1_27merge_sort_block_merge_implIS3_N6thrust23THRUST_200600_302600_NS6detail15normal_iteratorINS9_10device_ptrIfEEEEPS5_m14custom_greaterIfEEE10hipError_tT0_T1_T2_jT3_P12ihipStream_tbPNSt15iterator_traitsISJ_E10value_typeEPNSP_ISK_E10value_typeEPSL_NS1_7vsmem_tEENKUlT_SJ_SK_SL_E_clISE_PfSF_SF_EESI_SY_SJ_SK_SL_EUlSY_E0_NS1_11comp_targetILNS1_3genE5ELNS1_11target_archE942ELNS1_3gpuE9ELNS1_3repE0EEENS1_38merge_mergepath_config_static_selectorELNS0_4arch9wavefront6targetE1EEEvSK_
	.p2align	8
	.type	_ZN7rocprim17ROCPRIM_400000_NS6detail17trampoline_kernelINS0_14default_configENS1_38merge_sort_block_merge_config_selectorIfNS0_10empty_typeEEEZZNS1_27merge_sort_block_merge_implIS3_N6thrust23THRUST_200600_302600_NS6detail15normal_iteratorINS9_10device_ptrIfEEEEPS5_m14custom_greaterIfEEE10hipError_tT0_T1_T2_jT3_P12ihipStream_tbPNSt15iterator_traitsISJ_E10value_typeEPNSP_ISK_E10value_typeEPSL_NS1_7vsmem_tEENKUlT_SJ_SK_SL_E_clISE_PfSF_SF_EESI_SY_SJ_SK_SL_EUlSY_E0_NS1_11comp_targetILNS1_3genE5ELNS1_11target_archE942ELNS1_3gpuE9ELNS1_3repE0EEENS1_38merge_mergepath_config_static_selectorELNS0_4arch9wavefront6targetE1EEEvSK_,@function
_ZN7rocprim17ROCPRIM_400000_NS6detail17trampoline_kernelINS0_14default_configENS1_38merge_sort_block_merge_config_selectorIfNS0_10empty_typeEEEZZNS1_27merge_sort_block_merge_implIS3_N6thrust23THRUST_200600_302600_NS6detail15normal_iteratorINS9_10device_ptrIfEEEEPS5_m14custom_greaterIfEEE10hipError_tT0_T1_T2_jT3_P12ihipStream_tbPNSt15iterator_traitsISJ_E10value_typeEPNSP_ISK_E10value_typeEPSL_NS1_7vsmem_tEENKUlT_SJ_SK_SL_E_clISE_PfSF_SF_EESI_SY_SJ_SK_SL_EUlSY_E0_NS1_11comp_targetILNS1_3genE5ELNS1_11target_archE942ELNS1_3gpuE9ELNS1_3repE0EEENS1_38merge_mergepath_config_static_selectorELNS0_4arch9wavefront6targetE1EEEvSK_: ; @_ZN7rocprim17ROCPRIM_400000_NS6detail17trampoline_kernelINS0_14default_configENS1_38merge_sort_block_merge_config_selectorIfNS0_10empty_typeEEEZZNS1_27merge_sort_block_merge_implIS3_N6thrust23THRUST_200600_302600_NS6detail15normal_iteratorINS9_10device_ptrIfEEEEPS5_m14custom_greaterIfEEE10hipError_tT0_T1_T2_jT3_P12ihipStream_tbPNSt15iterator_traitsISJ_E10value_typeEPNSP_ISK_E10value_typeEPSL_NS1_7vsmem_tEENKUlT_SJ_SK_SL_E_clISE_PfSF_SF_EESI_SY_SJ_SK_SL_EUlSY_E0_NS1_11comp_targetILNS1_3genE5ELNS1_11target_archE942ELNS1_3gpuE9ELNS1_3repE0EEENS1_38merge_mergepath_config_static_selectorELNS0_4arch9wavefront6targetE1EEEvSK_
; %bb.0:
	.section	.rodata,"a",@progbits
	.p2align	6, 0x0
	.amdhsa_kernel _ZN7rocprim17ROCPRIM_400000_NS6detail17trampoline_kernelINS0_14default_configENS1_38merge_sort_block_merge_config_selectorIfNS0_10empty_typeEEEZZNS1_27merge_sort_block_merge_implIS3_N6thrust23THRUST_200600_302600_NS6detail15normal_iteratorINS9_10device_ptrIfEEEEPS5_m14custom_greaterIfEEE10hipError_tT0_T1_T2_jT3_P12ihipStream_tbPNSt15iterator_traitsISJ_E10value_typeEPNSP_ISK_E10value_typeEPSL_NS1_7vsmem_tEENKUlT_SJ_SK_SL_E_clISE_PfSF_SF_EESI_SY_SJ_SK_SL_EUlSY_E0_NS1_11comp_targetILNS1_3genE5ELNS1_11target_archE942ELNS1_3gpuE9ELNS1_3repE0EEENS1_38merge_mergepath_config_static_selectorELNS0_4arch9wavefront6targetE1EEEvSK_
		.amdhsa_group_segment_fixed_size 0
		.amdhsa_private_segment_fixed_size 0
		.amdhsa_kernarg_size 72
		.amdhsa_user_sgpr_count 6
		.amdhsa_user_sgpr_private_segment_buffer 1
		.amdhsa_user_sgpr_dispatch_ptr 0
		.amdhsa_user_sgpr_queue_ptr 0
		.amdhsa_user_sgpr_kernarg_segment_ptr 1
		.amdhsa_user_sgpr_dispatch_id 0
		.amdhsa_user_sgpr_flat_scratch_init 0
		.amdhsa_user_sgpr_kernarg_preload_length 0
		.amdhsa_user_sgpr_kernarg_preload_offset 0
		.amdhsa_user_sgpr_private_segment_size 0
		.amdhsa_uses_dynamic_stack 0
		.amdhsa_system_sgpr_private_segment_wavefront_offset 0
		.amdhsa_system_sgpr_workgroup_id_x 1
		.amdhsa_system_sgpr_workgroup_id_y 0
		.amdhsa_system_sgpr_workgroup_id_z 0
		.amdhsa_system_sgpr_workgroup_info 0
		.amdhsa_system_vgpr_workitem_id 0
		.amdhsa_next_free_vgpr 1
		.amdhsa_next_free_sgpr 0
		.amdhsa_accum_offset 4
		.amdhsa_reserve_vcc 0
		.amdhsa_reserve_flat_scratch 0
		.amdhsa_float_round_mode_32 0
		.amdhsa_float_round_mode_16_64 0
		.amdhsa_float_denorm_mode_32 3
		.amdhsa_float_denorm_mode_16_64 3
		.amdhsa_dx10_clamp 1
		.amdhsa_ieee_mode 1
		.amdhsa_fp16_overflow 0
		.amdhsa_tg_split 0
		.amdhsa_exception_fp_ieee_invalid_op 0
		.amdhsa_exception_fp_denorm_src 0
		.amdhsa_exception_fp_ieee_div_zero 0
		.amdhsa_exception_fp_ieee_overflow 0
		.amdhsa_exception_fp_ieee_underflow 0
		.amdhsa_exception_fp_ieee_inexact 0
		.amdhsa_exception_int_div_zero 0
	.end_amdhsa_kernel
	.section	.text._ZN7rocprim17ROCPRIM_400000_NS6detail17trampoline_kernelINS0_14default_configENS1_38merge_sort_block_merge_config_selectorIfNS0_10empty_typeEEEZZNS1_27merge_sort_block_merge_implIS3_N6thrust23THRUST_200600_302600_NS6detail15normal_iteratorINS9_10device_ptrIfEEEEPS5_m14custom_greaterIfEEE10hipError_tT0_T1_T2_jT3_P12ihipStream_tbPNSt15iterator_traitsISJ_E10value_typeEPNSP_ISK_E10value_typeEPSL_NS1_7vsmem_tEENKUlT_SJ_SK_SL_E_clISE_PfSF_SF_EESI_SY_SJ_SK_SL_EUlSY_E0_NS1_11comp_targetILNS1_3genE5ELNS1_11target_archE942ELNS1_3gpuE9ELNS1_3repE0EEENS1_38merge_mergepath_config_static_selectorELNS0_4arch9wavefront6targetE1EEEvSK_,"axG",@progbits,_ZN7rocprim17ROCPRIM_400000_NS6detail17trampoline_kernelINS0_14default_configENS1_38merge_sort_block_merge_config_selectorIfNS0_10empty_typeEEEZZNS1_27merge_sort_block_merge_implIS3_N6thrust23THRUST_200600_302600_NS6detail15normal_iteratorINS9_10device_ptrIfEEEEPS5_m14custom_greaterIfEEE10hipError_tT0_T1_T2_jT3_P12ihipStream_tbPNSt15iterator_traitsISJ_E10value_typeEPNSP_ISK_E10value_typeEPSL_NS1_7vsmem_tEENKUlT_SJ_SK_SL_E_clISE_PfSF_SF_EESI_SY_SJ_SK_SL_EUlSY_E0_NS1_11comp_targetILNS1_3genE5ELNS1_11target_archE942ELNS1_3gpuE9ELNS1_3repE0EEENS1_38merge_mergepath_config_static_selectorELNS0_4arch9wavefront6targetE1EEEvSK_,comdat
.Lfunc_end3572:
	.size	_ZN7rocprim17ROCPRIM_400000_NS6detail17trampoline_kernelINS0_14default_configENS1_38merge_sort_block_merge_config_selectorIfNS0_10empty_typeEEEZZNS1_27merge_sort_block_merge_implIS3_N6thrust23THRUST_200600_302600_NS6detail15normal_iteratorINS9_10device_ptrIfEEEEPS5_m14custom_greaterIfEEE10hipError_tT0_T1_T2_jT3_P12ihipStream_tbPNSt15iterator_traitsISJ_E10value_typeEPNSP_ISK_E10value_typeEPSL_NS1_7vsmem_tEENKUlT_SJ_SK_SL_E_clISE_PfSF_SF_EESI_SY_SJ_SK_SL_EUlSY_E0_NS1_11comp_targetILNS1_3genE5ELNS1_11target_archE942ELNS1_3gpuE9ELNS1_3repE0EEENS1_38merge_mergepath_config_static_selectorELNS0_4arch9wavefront6targetE1EEEvSK_, .Lfunc_end3572-_ZN7rocprim17ROCPRIM_400000_NS6detail17trampoline_kernelINS0_14default_configENS1_38merge_sort_block_merge_config_selectorIfNS0_10empty_typeEEEZZNS1_27merge_sort_block_merge_implIS3_N6thrust23THRUST_200600_302600_NS6detail15normal_iteratorINS9_10device_ptrIfEEEEPS5_m14custom_greaterIfEEE10hipError_tT0_T1_T2_jT3_P12ihipStream_tbPNSt15iterator_traitsISJ_E10value_typeEPNSP_ISK_E10value_typeEPSL_NS1_7vsmem_tEENKUlT_SJ_SK_SL_E_clISE_PfSF_SF_EESI_SY_SJ_SK_SL_EUlSY_E0_NS1_11comp_targetILNS1_3genE5ELNS1_11target_archE942ELNS1_3gpuE9ELNS1_3repE0EEENS1_38merge_mergepath_config_static_selectorELNS0_4arch9wavefront6targetE1EEEvSK_
                                        ; -- End function
	.section	.AMDGPU.csdata,"",@progbits
; Kernel info:
; codeLenInByte = 0
; NumSgprs: 4
; NumVgprs: 0
; NumAgprs: 0
; TotalNumVgprs: 0
; ScratchSize: 0
; MemoryBound: 0
; FloatMode: 240
; IeeeMode: 1
; LDSByteSize: 0 bytes/workgroup (compile time only)
; SGPRBlocks: 0
; VGPRBlocks: 0
; NumSGPRsForWavesPerEU: 4
; NumVGPRsForWavesPerEU: 1
; AccumOffset: 4
; Occupancy: 8
; WaveLimiterHint : 0
; COMPUTE_PGM_RSRC2:SCRATCH_EN: 0
; COMPUTE_PGM_RSRC2:USER_SGPR: 6
; COMPUTE_PGM_RSRC2:TRAP_HANDLER: 0
; COMPUTE_PGM_RSRC2:TGID_X_EN: 1
; COMPUTE_PGM_RSRC2:TGID_Y_EN: 0
; COMPUTE_PGM_RSRC2:TGID_Z_EN: 0
; COMPUTE_PGM_RSRC2:TIDIG_COMP_CNT: 0
; COMPUTE_PGM_RSRC3_GFX90A:ACCUM_OFFSET: 0
; COMPUTE_PGM_RSRC3_GFX90A:TG_SPLIT: 0
	.section	.text._ZN7rocprim17ROCPRIM_400000_NS6detail17trampoline_kernelINS0_14default_configENS1_38merge_sort_block_merge_config_selectorIfNS0_10empty_typeEEEZZNS1_27merge_sort_block_merge_implIS3_N6thrust23THRUST_200600_302600_NS6detail15normal_iteratorINS9_10device_ptrIfEEEEPS5_m14custom_greaterIfEEE10hipError_tT0_T1_T2_jT3_P12ihipStream_tbPNSt15iterator_traitsISJ_E10value_typeEPNSP_ISK_E10value_typeEPSL_NS1_7vsmem_tEENKUlT_SJ_SK_SL_E_clISE_PfSF_SF_EESI_SY_SJ_SK_SL_EUlSY_E0_NS1_11comp_targetILNS1_3genE4ELNS1_11target_archE910ELNS1_3gpuE8ELNS1_3repE0EEENS1_38merge_mergepath_config_static_selectorELNS0_4arch9wavefront6targetE1EEEvSK_,"axG",@progbits,_ZN7rocprim17ROCPRIM_400000_NS6detail17trampoline_kernelINS0_14default_configENS1_38merge_sort_block_merge_config_selectorIfNS0_10empty_typeEEEZZNS1_27merge_sort_block_merge_implIS3_N6thrust23THRUST_200600_302600_NS6detail15normal_iteratorINS9_10device_ptrIfEEEEPS5_m14custom_greaterIfEEE10hipError_tT0_T1_T2_jT3_P12ihipStream_tbPNSt15iterator_traitsISJ_E10value_typeEPNSP_ISK_E10value_typeEPSL_NS1_7vsmem_tEENKUlT_SJ_SK_SL_E_clISE_PfSF_SF_EESI_SY_SJ_SK_SL_EUlSY_E0_NS1_11comp_targetILNS1_3genE4ELNS1_11target_archE910ELNS1_3gpuE8ELNS1_3repE0EEENS1_38merge_mergepath_config_static_selectorELNS0_4arch9wavefront6targetE1EEEvSK_,comdat
	.protected	_ZN7rocprim17ROCPRIM_400000_NS6detail17trampoline_kernelINS0_14default_configENS1_38merge_sort_block_merge_config_selectorIfNS0_10empty_typeEEEZZNS1_27merge_sort_block_merge_implIS3_N6thrust23THRUST_200600_302600_NS6detail15normal_iteratorINS9_10device_ptrIfEEEEPS5_m14custom_greaterIfEEE10hipError_tT0_T1_T2_jT3_P12ihipStream_tbPNSt15iterator_traitsISJ_E10value_typeEPNSP_ISK_E10value_typeEPSL_NS1_7vsmem_tEENKUlT_SJ_SK_SL_E_clISE_PfSF_SF_EESI_SY_SJ_SK_SL_EUlSY_E0_NS1_11comp_targetILNS1_3genE4ELNS1_11target_archE910ELNS1_3gpuE8ELNS1_3repE0EEENS1_38merge_mergepath_config_static_selectorELNS0_4arch9wavefront6targetE1EEEvSK_ ; -- Begin function _ZN7rocprim17ROCPRIM_400000_NS6detail17trampoline_kernelINS0_14default_configENS1_38merge_sort_block_merge_config_selectorIfNS0_10empty_typeEEEZZNS1_27merge_sort_block_merge_implIS3_N6thrust23THRUST_200600_302600_NS6detail15normal_iteratorINS9_10device_ptrIfEEEEPS5_m14custom_greaterIfEEE10hipError_tT0_T1_T2_jT3_P12ihipStream_tbPNSt15iterator_traitsISJ_E10value_typeEPNSP_ISK_E10value_typeEPSL_NS1_7vsmem_tEENKUlT_SJ_SK_SL_E_clISE_PfSF_SF_EESI_SY_SJ_SK_SL_EUlSY_E0_NS1_11comp_targetILNS1_3genE4ELNS1_11target_archE910ELNS1_3gpuE8ELNS1_3repE0EEENS1_38merge_mergepath_config_static_selectorELNS0_4arch9wavefront6targetE1EEEvSK_
	.globl	_ZN7rocprim17ROCPRIM_400000_NS6detail17trampoline_kernelINS0_14default_configENS1_38merge_sort_block_merge_config_selectorIfNS0_10empty_typeEEEZZNS1_27merge_sort_block_merge_implIS3_N6thrust23THRUST_200600_302600_NS6detail15normal_iteratorINS9_10device_ptrIfEEEEPS5_m14custom_greaterIfEEE10hipError_tT0_T1_T2_jT3_P12ihipStream_tbPNSt15iterator_traitsISJ_E10value_typeEPNSP_ISK_E10value_typeEPSL_NS1_7vsmem_tEENKUlT_SJ_SK_SL_E_clISE_PfSF_SF_EESI_SY_SJ_SK_SL_EUlSY_E0_NS1_11comp_targetILNS1_3genE4ELNS1_11target_archE910ELNS1_3gpuE8ELNS1_3repE0EEENS1_38merge_mergepath_config_static_selectorELNS0_4arch9wavefront6targetE1EEEvSK_
	.p2align	8
	.type	_ZN7rocprim17ROCPRIM_400000_NS6detail17trampoline_kernelINS0_14default_configENS1_38merge_sort_block_merge_config_selectorIfNS0_10empty_typeEEEZZNS1_27merge_sort_block_merge_implIS3_N6thrust23THRUST_200600_302600_NS6detail15normal_iteratorINS9_10device_ptrIfEEEEPS5_m14custom_greaterIfEEE10hipError_tT0_T1_T2_jT3_P12ihipStream_tbPNSt15iterator_traitsISJ_E10value_typeEPNSP_ISK_E10value_typeEPSL_NS1_7vsmem_tEENKUlT_SJ_SK_SL_E_clISE_PfSF_SF_EESI_SY_SJ_SK_SL_EUlSY_E0_NS1_11comp_targetILNS1_3genE4ELNS1_11target_archE910ELNS1_3gpuE8ELNS1_3repE0EEENS1_38merge_mergepath_config_static_selectorELNS0_4arch9wavefront6targetE1EEEvSK_,@function
_ZN7rocprim17ROCPRIM_400000_NS6detail17trampoline_kernelINS0_14default_configENS1_38merge_sort_block_merge_config_selectorIfNS0_10empty_typeEEEZZNS1_27merge_sort_block_merge_implIS3_N6thrust23THRUST_200600_302600_NS6detail15normal_iteratorINS9_10device_ptrIfEEEEPS5_m14custom_greaterIfEEE10hipError_tT0_T1_T2_jT3_P12ihipStream_tbPNSt15iterator_traitsISJ_E10value_typeEPNSP_ISK_E10value_typeEPSL_NS1_7vsmem_tEENKUlT_SJ_SK_SL_E_clISE_PfSF_SF_EESI_SY_SJ_SK_SL_EUlSY_E0_NS1_11comp_targetILNS1_3genE4ELNS1_11target_archE910ELNS1_3gpuE8ELNS1_3repE0EEENS1_38merge_mergepath_config_static_selectorELNS0_4arch9wavefront6targetE1EEEvSK_: ; @_ZN7rocprim17ROCPRIM_400000_NS6detail17trampoline_kernelINS0_14default_configENS1_38merge_sort_block_merge_config_selectorIfNS0_10empty_typeEEEZZNS1_27merge_sort_block_merge_implIS3_N6thrust23THRUST_200600_302600_NS6detail15normal_iteratorINS9_10device_ptrIfEEEEPS5_m14custom_greaterIfEEE10hipError_tT0_T1_T2_jT3_P12ihipStream_tbPNSt15iterator_traitsISJ_E10value_typeEPNSP_ISK_E10value_typeEPSL_NS1_7vsmem_tEENKUlT_SJ_SK_SL_E_clISE_PfSF_SF_EESI_SY_SJ_SK_SL_EUlSY_E0_NS1_11comp_targetILNS1_3genE4ELNS1_11target_archE910ELNS1_3gpuE8ELNS1_3repE0EEENS1_38merge_mergepath_config_static_selectorELNS0_4arch9wavefront6targetE1EEEvSK_
; %bb.0:
	s_load_dwordx2 s[22:23], s[4:5], 0x48
	s_load_dword s0, s[4:5], 0x38
	s_add_u32 s10, s4, 0x48
	s_addc_u32 s11, s5, 0
	s_waitcnt lgkmcnt(0)
	s_mul_i32 s1, s23, s8
	s_add_i32 s1, s1, s7
	s_mul_i32 s1, s1, s22
	s_add_i32 s8, s1, s6
	s_cmp_ge_u32 s8, s0
	s_cbranch_scc1 .LBB3573_45
; %bb.1:
	s_load_dwordx2 s[0:1], s[4:5], 0x40
	s_load_dwordx4 s[12:15], s[4:5], 0x8
	s_load_dwordx4 s[16:19], s[4:5], 0x28
	s_mov_b32 s9, 0
	s_lshl_b64 s[2:3], s[8:9], 3
	s_waitcnt lgkmcnt(0)
	s_add_u32 s0, s0, s2
	s_addc_u32 s1, s1, s3
	v_mov_b32_e32 v1, s18
	v_alignbit_b32 v1, s19, v1, 9
	v_readfirstlane_b32 s4, v1
	s_and_b32 s4, s4, -2
	s_sub_i32 s30, 0, s4
	s_and_b32 s24, s8, s30
	s_mov_b32 s25, s9
	s_lshl_b64 s[4:5], s[24:25], 10
	s_lshl_b64 s[20:21], s[8:9], 10
	s_sub_u32 s7, s20, s4
	s_load_dwordx4 s[0:3], s[0:1], 0x0
	s_subb_u32 s23, s21, s5
	s_lshl_b64 s[24:25], s[24:25], 11
	s_add_u32 s24, s24, s18
	s_addc_u32 s25, s25, s19
	s_add_u32 s7, s24, s7
	s_addc_u32 s23, s25, s23
	s_waitcnt lgkmcnt(0)
	s_sub_u32 s26, s7, s2
	s_subb_u32 s3, s23, s3
	s_add_u32 s26, s26, 0x400
	s_addc_u32 s27, s3, 0
	v_pk_mov_b32 v[2:3], s[26:27], s[26:27] op_sel:[0,1]
	v_cmp_lt_u64_e32 vcc, s[16:17], v[2:3]
	s_and_b64 s[28:29], vcc, exec
	s_cselect_b32 s3, s16, s26
	s_or_b32 s26, s8, s30
	s_cmp_lg_u32 s26, -1
	s_cbranch_scc1 .LBB3573_3
; %bb.2:
	s_sub_u32 s4, s24, s4
	s_subb_u32 s5, s25, s5
	v_pk_mov_b32 v[2:3], s[4:5], s[4:5] op_sel:[0,1]
	v_cmp_lt_u64_e32 vcc, s[16:17], v[2:3]
	s_and_b64 s[2:3], vcc, exec
	s_cselect_b32 s2, s16, s4
	s_add_u32 s4, s4, s18
	s_addc_u32 s5, s5, s19
	v_pk_mov_b32 v[2:3], s[4:5], s[4:5] op_sel:[0,1]
	v_cmp_lt_u64_e32 vcc, s[16:17], v[2:3]
	s_and_b64 s[18:19], vcc, exec
	s_cselect_b32 s3, s16, s4
.LBB3573_3:
	s_lshr_b64 s[24:25], s[16:17], 10
	s_cmp_lg_u64 s[24:25], s[8:9]
	s_cselect_b64 s[18:19], -1, 0
	s_sub_u32 s4, s7, s0
	s_subb_u32 s5, s23, s1
	v_pk_mov_b32 v[2:3], s[4:5], s[4:5] op_sel:[0,1]
	v_cmp_lt_u64_e32 vcc, s[16:17], v[2:3]
	s_and_b64 s[26:27], vcc, exec
	s_cselect_b32 s26, s16, s4
	s_cselect_b32 s27, s17, s5
	s_sub_i32 s17, s2, s0
	s_sub_i32 s4, s3, s26
	s_lshl_b64 s[0:1], s[0:1], 2
	s_add_u32 s5, s12, s0
	s_addc_u32 s7, s13, s1
	s_lshl_b64 s[0:1], s[26:27], 2
	s_add_u32 s12, s12, s0
	s_addc_u32 s13, s13, s1
	s_cmp_lt_u32 s6, s22
	v_mov_b32_e32 v9, 0
	s_cselect_b32 s0, 12, 18
	global_load_dword v1, v9, s[10:11] offset:14
	s_add_u32 s0, s10, s0
	s_addc_u32 s1, s11, 0
	global_load_ushort v2, v9, s[0:1]
	s_cmp_eq_u64 s[24:25], s[8:9]
	s_waitcnt vmcnt(1)
	v_lshrrev_b32_e32 v3, 16, v1
	v_and_b32_e32 v1, 0xffff, v1
	v_mul_lo_u32 v1, v1, v3
	s_waitcnt vmcnt(0)
	v_mul_lo_u32 v15, v1, v2
	v_add_u32_e32 v12, v15, v0
	v_lshlrev_b32_e32 v1, 2, v0
	v_add_u32_e32 v10, v12, v15
	s_cbranch_scc1 .LBB3573_5
; %bb.4:
	v_subrev_u32_e32 v8, s17, v0
	v_lshlrev_b64 v[2:3], 2, v[8:9]
	v_mov_b32_e32 v4, s13
	v_add_co_u32_e32 v2, vcc, s12, v2
	v_addc_co_u32_e32 v3, vcc, v4, v3, vcc
	v_mov_b32_e32 v4, s7
	v_add_co_u32_e32 v5, vcc, s5, v1
	v_addc_co_u32_e32 v4, vcc, 0, v4, vcc
	v_cmp_gt_u32_e32 vcc, s17, v0
	v_subrev_u32_e32 v8, s17, v12
	v_cndmask_b32_e32 v3, v3, v4, vcc
	v_cndmask_b32_e32 v2, v2, v5, vcc
	v_lshlrev_b64 v[4:5], 2, v[8:9]
	global_load_dword v2, v[2:3], off
	v_mov_b32_e32 v3, s13
	v_add_co_u32_e32 v6, vcc, s12, v4
	v_mov_b32_e32 v13, v9
	v_addc_co_u32_e32 v3, vcc, v3, v5, vcc
	v_lshlrev_b64 v[4:5], 2, v[12:13]
	v_mov_b32_e32 v7, s7
	v_add_co_u32_e32 v4, vcc, s5, v4
	v_addc_co_u32_e32 v5, vcc, v7, v5, vcc
	v_cmp_gt_u32_e32 vcc, s17, v12
	v_cndmask_b32_e32 v5, v3, v5, vcc
	v_cndmask_b32_e32 v4, v6, v4, vcc
	v_subrev_u32_e32 v8, s17, v10
	global_load_dword v3, v[4:5], off
	v_lshlrev_b64 v[4:5], 2, v[8:9]
	v_mov_b32_e32 v6, s13
	v_add_co_u32_e32 v7, vcc, s12, v4
	v_mov_b32_e32 v11, v9
	v_addc_co_u32_e32 v6, vcc, v6, v5, vcc
	v_lshlrev_b64 v[4:5], 2, v[10:11]
	v_mov_b32_e32 v8, s7
	v_add_co_u32_e32 v4, vcc, s5, v4
	v_addc_co_u32_e32 v5, vcc, v8, v5, vcc
	v_cmp_gt_u32_e32 vcc, s17, v10
	v_cndmask_b32_e32 v5, v6, v5, vcc
	v_add_u32_e32 v6, v10, v15
	v_subrev_u32_e32 v8, s17, v6
	v_cndmask_b32_e32 v4, v7, v4, vcc
	v_lshlrev_b64 v[16:17], 2, v[8:9]
	global_load_dword v4, v[4:5], off
	v_mov_b32_e32 v5, s13
	v_add_co_u32_e32 v8, vcc, s12, v16
	v_mov_b32_e32 v7, v9
	v_addc_co_u32_e32 v5, vcc, v5, v17, vcc
	v_lshlrev_b64 v[16:17], 2, v[6:7]
	v_mov_b32_e32 v7, s7
	v_add_co_u32_e32 v11, vcc, s5, v16
	v_addc_co_u32_e32 v7, vcc, v7, v17, vcc
	v_cmp_gt_u32_e32 vcc, s17, v6
	v_cndmask_b32_e32 v17, v5, v7, vcc
	v_cndmask_b32_e32 v16, v8, v11, vcc
	global_load_dword v5, v[16:17], off
	v_add_u32_e32 v16, v6, v15
	v_subrev_u32_e32 v8, s17, v16
	v_lshlrev_b64 v[6:7], 2, v[8:9]
	v_mov_b32_e32 v8, s13
	v_add_co_u32_e32 v11, vcc, s12, v6
	v_mov_b32_e32 v17, v9
	v_addc_co_u32_e32 v8, vcc, v8, v7, vcc
	v_lshlrev_b64 v[6:7], 2, v[16:17]
	v_mov_b32_e32 v13, s7
	v_add_co_u32_e32 v6, vcc, s5, v6
	v_addc_co_u32_e32 v7, vcc, v13, v7, vcc
	v_cmp_gt_u32_e32 vcc, s17, v16
	v_add_u32_e32 v16, v16, v15
	v_cndmask_b32_e32 v7, v8, v7, vcc
	v_subrev_u32_e32 v8, s17, v16
	v_cndmask_b32_e32 v6, v11, v6, vcc
	v_lshlrev_b64 v[18:19], 2, v[8:9]
	global_load_dword v6, v[6:7], off
	v_mov_b32_e32 v7, s13
	v_add_co_u32_e32 v8, vcc, s12, v18
	v_addc_co_u32_e32 v7, vcc, v7, v19, vcc
	v_lshlrev_b64 v[18:19], 2, v[16:17]
	v_mov_b32_e32 v11, s7
	v_add_co_u32_e32 v13, vcc, s5, v18
	v_addc_co_u32_e32 v11, vcc, v11, v19, vcc
	v_cmp_gt_u32_e32 vcc, s17, v16
	v_add_u32_e32 v16, v16, v15
	v_cndmask_b32_e32 v19, v7, v11, vcc
	v_cndmask_b32_e32 v18, v8, v13, vcc
	v_subrev_u32_e32 v8, s17, v16
	global_load_dword v7, v[18:19], off
	v_lshlrev_b64 v[18:19], 2, v[8:9]
	v_mov_b32_e32 v8, s13
	v_add_co_u32_e32 v11, vcc, s12, v18
	v_addc_co_u32_e32 v13, vcc, v8, v19, vcc
	v_lshlrev_b64 v[8:9], 2, v[16:17]
	v_mov_b32_e32 v14, s7
	v_add_co_u32_e32 v8, vcc, s5, v8
	v_addc_co_u32_e32 v9, vcc, v14, v9, vcc
	v_cmp_gt_u32_e32 vcc, s17, v16
	v_cndmask_b32_e32 v9, v13, v9, vcc
	v_cndmask_b32_e32 v8, v11, v8, vcc
	global_load_dword v8, v[8:9], off
	v_add_u32_e32 v14, v16, v15
	s_add_i32 s6, s17, s4
	s_mov_b64 s[0:1], -1
	s_cbranch_execz .LBB3573_6
	s_branch .LBB3573_19
.LBB3573_5:
	s_mov_b64 s[0:1], 0
                                        ; implicit-def: $vgpr14
                                        ; implicit-def: $vgpr2_vgpr3_vgpr4_vgpr5_vgpr6_vgpr7_vgpr8_vgpr9
                                        ; implicit-def: $sgpr6
.LBB3573_6:
	s_add_i32 s6, s17, s4
	v_cmp_gt_u32_e32 vcc, s6, v0
                                        ; implicit-def: $vgpr2_vgpr3_vgpr4_vgpr5_vgpr6_vgpr7_vgpr8_vgpr9
	s_and_saveexec_b64 s[0:1], vcc
	s_cbranch_execnz .LBB3573_46
; %bb.7:
	s_or_b64 exec, exec, s[0:1]
	v_cmp_gt_u32_e32 vcc, s6, v12
	s_and_saveexec_b64 s[2:3], vcc
	s_cbranch_execnz .LBB3573_47
.LBB3573_8:
	s_or_b64 exec, exec, s[2:3]
	v_cmp_gt_u32_e32 vcc, s6, v10
	s_and_saveexec_b64 s[0:1], vcc
	s_cbranch_execz .LBB3573_10
.LBB3573_9:
	v_mov_b32_e32 v11, 0
	v_lshlrev_b64 v[12:13], 2, v[10:11]
	s_waitcnt vmcnt(4)
	v_mov_b32_e32 v4, s7
	v_add_co_u32_e32 v14, vcc, s5, v12
	v_addc_co_u32_e32 v4, vcc, v4, v13, vcc
	v_subrev_u32_e32 v12, s17, v10
	v_mov_b32_e32 v13, v11
	v_lshlrev_b64 v[12:13], 2, v[12:13]
	v_mov_b32_e32 v11, s13
	v_add_co_u32_e32 v12, vcc, s12, v12
	v_addc_co_u32_e32 v11, vcc, v11, v13, vcc
	v_cmp_gt_u32_e32 vcc, s17, v10
	v_cndmask_b32_e32 v13, v11, v4, vcc
	v_cndmask_b32_e32 v12, v12, v14, vcc
	global_load_dword v4, v[12:13], off
.LBB3573_10:
	s_or_b64 exec, exec, s[0:1]
	v_add_u32_e32 v10, v10, v15
	v_cmp_gt_u32_e32 vcc, s6, v10
	s_and_saveexec_b64 s[0:1], vcc
	s_cbranch_execz .LBB3573_12
; %bb.11:
	v_mov_b32_e32 v11, 0
	v_lshlrev_b64 v[12:13], 2, v[10:11]
	s_waitcnt vmcnt(3)
	v_mov_b32_e32 v5, s7
	v_add_co_u32_e32 v14, vcc, s5, v12
	v_addc_co_u32_e32 v5, vcc, v5, v13, vcc
	v_subrev_u32_e32 v12, s17, v10
	v_mov_b32_e32 v13, v11
	v_lshlrev_b64 v[12:13], 2, v[12:13]
	v_mov_b32_e32 v11, s13
	v_add_co_u32_e32 v12, vcc, s12, v12
	v_addc_co_u32_e32 v11, vcc, v11, v13, vcc
	v_cmp_gt_u32_e32 vcc, s17, v10
	v_cndmask_b32_e32 v13, v11, v5, vcc
	v_cndmask_b32_e32 v12, v12, v14, vcc
	global_load_dword v5, v[12:13], off
.LBB3573_12:
	s_or_b64 exec, exec, s[0:1]
	v_add_u32_e32 v10, v10, v15
	v_cmp_gt_u32_e32 vcc, s6, v10
	s_and_saveexec_b64 s[0:1], vcc
	s_cbranch_execz .LBB3573_14
; %bb.13:
	v_mov_b32_e32 v11, 0
	v_lshlrev_b64 v[12:13], 2, v[10:11]
	s_waitcnt vmcnt(2)
	v_mov_b32_e32 v6, s7
	v_add_co_u32_e32 v14, vcc, s5, v12
	v_addc_co_u32_e32 v6, vcc, v6, v13, vcc
	v_subrev_u32_e32 v12, s17, v10
	v_mov_b32_e32 v13, v11
	v_lshlrev_b64 v[12:13], 2, v[12:13]
	v_mov_b32_e32 v11, s13
	v_add_co_u32_e32 v12, vcc, s12, v12
	v_addc_co_u32_e32 v11, vcc, v11, v13, vcc
	v_cmp_gt_u32_e32 vcc, s17, v10
	v_cndmask_b32_e32 v13, v11, v6, vcc
	v_cndmask_b32_e32 v12, v12, v14, vcc
	global_load_dword v6, v[12:13], off
.LBB3573_14:
	;; [unrolled: 23-line block ×4, first 2 shown]
	s_or_b64 exec, exec, s[0:1]
	v_add_u32_e32 v14, v10, v15
	v_cmp_gt_u32_e64 s[0:1], s6, v14
.LBB3573_19:
	v_mov_b32_e32 v11, s6
	s_and_saveexec_b64 s[2:3], s[0:1]
	s_cbranch_execz .LBB3573_21
; %bb.20:
	v_subrev_u32_e32 v10, s17, v14
	v_mov_b32_e32 v11, 0
	v_lshlrev_b64 v[12:13], 2, v[10:11]
	v_mov_b32_e32 v9, s13
	v_add_co_u32_e32 v12, vcc, s12, v12
	v_mov_b32_e32 v15, v11
	v_addc_co_u32_e32 v9, vcc, v9, v13, vcc
	v_lshlrev_b64 v[10:11], 2, v[14:15]
	v_mov_b32_e32 v13, s7
	v_add_co_u32_e32 v10, vcc, s5, v10
	v_addc_co_u32_e32 v11, vcc, v13, v11, vcc
	v_cmp_gt_u32_e32 vcc, s17, v14
	v_cndmask_b32_e32 v11, v9, v11, vcc
	v_cndmask_b32_e32 v10, v12, v10, vcc
	global_load_dword v9, v[10:11], off
	v_mov_b32_e32 v11, s6
.LBB3573_21:
	s_or_b64 exec, exec, s[2:3]
	v_lshlrev_b32_e32 v10, 3, v0
	v_min_u32_e32 v13, v11, v10
	v_sub_u32_e64 v12, v13, s4 clamp
	v_min_u32_e32 v14, s17, v13
	v_cmp_lt_u32_e32 vcc, v12, v14
	s_waitcnt vmcnt(0)
	ds_write2st64_b32 v1, v2, v3 offset1:2
	ds_write2st64_b32 v1, v4, v5 offset0:4 offset1:6
	ds_write2st64_b32 v1, v6, v7 offset0:8 offset1:10
	;; [unrolled: 1-line block ×3, first 2 shown]
	s_waitcnt lgkmcnt(0)
	s_barrier
	s_and_saveexec_b64 s[0:1], vcc
	s_cbranch_execz .LBB3573_25
; %bb.22:
	v_lshlrev_b32_e32 v15, 2, v13
	v_lshl_add_u32 v15, s17, 2, v15
	s_mov_b64 s[2:3], 0
.LBB3573_23:                            ; =>This Inner Loop Header: Depth=1
	v_add_u32_e32 v16, v14, v12
	v_lshrrev_b32_e32 v16, 1, v16
	v_not_b32_e32 v17, v16
	v_lshlrev_b32_e32 v18, 2, v16
	v_lshl_add_u32 v17, v17, 2, v15
	ds_read_b32 v18, v18
	ds_read_b32 v17, v17
	v_add_u32_e32 v19, 1, v16
	s_waitcnt lgkmcnt(0)
	v_cmp_gt_f32_e32 vcc, v18, v17
	v_cndmask_b32_e32 v14, v14, v16, vcc
	v_cndmask_b32_e32 v12, v19, v12, vcc
	v_cmp_ge_u32_e32 vcc, v12, v14
	s_or_b64 s[2:3], vcc, s[2:3]
	s_andn2_b64 exec, exec, s[2:3]
	s_cbranch_execnz .LBB3573_23
; %bb.24:
	s_or_b64 exec, exec, s[2:3]
.LBB3573_25:
	s_or_b64 exec, exec, s[0:1]
	v_sub_u32_e32 v13, v13, v12
	v_add_u32_e32 v13, s17, v13
	v_cmp_ge_u32_e32 vcc, s17, v12
	v_cmp_le_u32_e64 s[0:1], v13, v11
	s_or_b64 s[0:1], vcc, s[0:1]
	s_and_saveexec_b64 s[22:23], s[0:1]
	s_cbranch_execz .LBB3573_31
; %bb.26:
	v_cmp_gt_u32_e32 vcc, s17, v12
                                        ; implicit-def: $vgpr2
	s_and_saveexec_b64 s[0:1], vcc
	s_cbranch_execz .LBB3573_28
; %bb.27:
	v_lshlrev_b32_e32 v2, 2, v12
	ds_read_b32 v2, v2
.LBB3573_28:
	s_or_b64 exec, exec, s[0:1]
	v_cmp_ge_u32_e64 s[0:1], v13, v11
	v_cmp_lt_u32_e64 s[2:3], v13, v11
                                        ; implicit-def: $vgpr3
	s_and_saveexec_b64 s[4:5], s[2:3]
	s_cbranch_execz .LBB3573_30
; %bb.29:
	v_lshlrev_b32_e32 v3, 2, v13
	ds_read_b32 v3, v3
.LBB3573_30:
	s_or_b64 exec, exec, s[4:5]
	s_waitcnt lgkmcnt(0)
	v_cmp_ngt_f32_e64 s[2:3], v2, v3
	s_and_b64 s[2:3], vcc, s[2:3]
	s_or_b64 vcc, s[0:1], s[2:3]
	v_mov_b32_e32 v5, s17
	v_cndmask_b32_e32 v4, v13, v12, vcc
	v_cndmask_b32_e32 v6, v11, v5, vcc
	v_add_u32_e32 v4, 1, v4
	v_add_u32_e32 v6, -1, v6
	v_min_u32_e32 v6, v4, v6
	v_lshlrev_b32_e32 v6, 2, v6
	ds_read_b32 v6, v6
	v_cndmask_b32_e32 v8, v4, v13, vcc
	v_cndmask_b32_e32 v4, v12, v4, vcc
	v_cmp_gt_u32_e64 s[2:3], s17, v4
	v_cmp_ge_u32_e64 s[0:1], v8, v11
	s_waitcnt lgkmcnt(0)
	v_cndmask_b32_e32 v7, v6, v3, vcc
	v_cndmask_b32_e32 v6, v2, v6, vcc
	v_cmp_ngt_f32_e64 s[4:5], v6, v7
	s_and_b64 s[2:3], s[2:3], s[4:5]
	s_or_b64 s[0:1], s[0:1], s[2:3]
	v_cndmask_b32_e64 v9, v8, v4, s[0:1]
	v_cndmask_b32_e64 v12, v11, v5, s[0:1]
	v_add_u32_e32 v9, 1, v9
	v_add_u32_e32 v12, -1, v12
	v_min_u32_e32 v12, v9, v12
	v_lshlrev_b32_e32 v12, 2, v12
	ds_read_b32 v12, v12
	v_cndmask_b32_e64 v4, v4, v9, s[0:1]
	v_cndmask_b32_e64 v8, v9, v8, s[0:1]
	v_cmp_gt_u32_e64 s[4:5], s17, v4
	v_cmp_ge_u32_e64 s[2:3], v8, v11
	s_waitcnt lgkmcnt(0)
	v_cndmask_b32_e64 v13, v12, v7, s[0:1]
	v_cndmask_b32_e64 v12, v6, v12, s[0:1]
	v_cmp_ngt_f32_e64 s[6:7], v12, v13
	s_and_b64 s[4:5], s[4:5], s[6:7]
	s_or_b64 s[2:3], s[2:3], s[4:5]
	v_cndmask_b32_e64 v9, v8, v4, s[2:3]
	v_cndmask_b32_e64 v14, v11, v5, s[2:3]
	v_add_u32_e32 v9, 1, v9
	v_add_u32_e32 v14, -1, v14
	v_min_u32_e32 v14, v9, v14
	v_lshlrev_b32_e32 v14, 2, v14
	ds_read_b32 v14, v14
	v_cndmask_b32_e64 v4, v4, v9, s[2:3]
	v_cndmask_b32_e64 v8, v9, v8, s[2:3]
	v_cmp_gt_u32_e64 s[6:7], s17, v4
	v_cmp_ge_u32_e64 s[4:5], v8, v11
	s_waitcnt lgkmcnt(0)
	v_cndmask_b32_e64 v15, v14, v13, s[2:3]
	v_cndmask_b32_e64 v14, v12, v14, s[2:3]
	;; [unrolled: 17-line block ×4, first 2 shown]
	v_cmp_ngt_f32_e64 s[12:13], v18, v19
	s_and_b64 s[10:11], s[10:11], s[12:13]
	s_or_b64 s[8:9], s[8:9], s[10:11]
	v_cndmask_b32_e64 v4, v8, v9, s[8:9]
	v_cndmask_b32_e64 v20, v11, v5, s[8:9]
	v_add_u32_e32 v21, 1, v4
	v_add_u32_e32 v4, -1, v20
	v_min_u32_e32 v4, v21, v4
	v_lshlrev_b32_e32 v4, 2, v4
	ds_read_b32 v20, v4
	v_cndmask_b32_e64 v4, v13, v12, s[2:3]
	v_cndmask_b32_e64 v9, v9, v21, s[8:9]
	v_cndmask_b32_e32 v2, v3, v2, vcc
	v_cndmask_b32_e64 v3, v7, v6, s[0:1]
	s_waitcnt lgkmcnt(0)
	v_cndmask_b32_e64 v12, v20, v19, s[8:9]
	v_cndmask_b32_e64 v13, v18, v20, s[8:9]
	;; [unrolled: 1-line block ×3, first 2 shown]
	v_cmp_gt_u32_e64 s[0:1], s17, v9
	v_cmp_ngt_f32_e64 s[2:3], v13, v12
	v_cmp_ge_u32_e32 vcc, v20, v11
	s_and_b64 s[0:1], s[0:1], s[2:3]
	s_or_b64 vcc, vcc, s[0:1]
	v_cndmask_b32_e32 v6, v20, v9, vcc
	v_cndmask_b32_e32 v5, v11, v5, vcc
	v_add_u32_e32 v21, 1, v6
	v_add_u32_e32 v5, -1, v5
	v_min_u32_e32 v5, v21, v5
	v_lshlrev_b32_e32 v5, 2, v5
	ds_read_b32 v22, v5
	v_cndmask_b32_e32 v8, v12, v13, vcc
	v_cndmask_b32_e32 v9, v9, v21, vcc
	v_cndmask_b32_e64 v5, v15, v14, s[4:5]
	v_cndmask_b32_e32 v14, v21, v20, vcc
	s_waitcnt lgkmcnt(0)
	v_cndmask_b32_e32 v12, v22, v12, vcc
	v_cndmask_b32_e32 v13, v13, v22, vcc
	v_cmp_gt_u32_e64 s[0:1], s17, v9
	v_cmp_ngt_f32_e64 s[2:3], v13, v12
	v_cmp_ge_u32_e32 vcc, v14, v11
	s_and_b64 s[0:1], s[0:1], s[2:3]
	s_or_b64 vcc, vcc, s[0:1]
	v_cndmask_b32_e64 v6, v17, v16, s[6:7]
	v_cndmask_b32_e64 v7, v19, v18, s[8:9]
	v_cndmask_b32_e32 v9, v12, v13, vcc
.LBB3573_31:
	s_or_b64 exec, exec, s[22:23]
	v_and_b32_e32 v11, 0x7c, v0
	v_lshl_add_u32 v10, v10, 2, v11
	s_barrier
	s_barrier
	ds_write2_b32 v10, v2, v3 offset1:1
	ds_write2_b32 v10, v4, v5 offset0:2 offset1:3
	ds_write2_b32 v10, v6, v7 offset0:4 offset1:5
	ds_write2_b32 v10, v8, v9 offset0:6 offset1:7
	v_lshrrev_b32_e32 v2, 3, v0
	v_and_b32_e32 v2, 12, v2
	v_or_b32_e32 v10, 0x80, v0
	v_add_u32_e32 v11, v1, v2
	v_lshrrev_b32_e32 v2, 3, v10
	v_and_b32_e32 v2, 28, v2
	v_or_b32_e32 v9, 0x100, v0
	v_add_u32_e32 v12, v1, v2
	;; [unrolled: 4-line block ×6, first 2 shown]
	v_lshrrev_b32_e32 v2, 3, v5
	s_lshl_b64 s[0:1], s[20:21], 2
	v_and_b32_e32 v2, 0x6c, v2
	v_or_b32_e32 v4, 0x380, v0
	s_add_u32 s0, s14, s0
	v_add_u32_e32 v17, v1, v2
	v_lshrrev_b32_e32 v2, 3, v4
	s_addc_u32 s1, s15, s1
	v_and_b32_e32 v2, 0x7c, v2
	v_add_u32_e32 v18, v1, v2
	v_mov_b32_e32 v3, s1
	v_add_co_u32_e32 v2, vcc, s0, v1
	v_addc_co_u32_e32 v3, vcc, 0, v3, vcc
	s_and_b64 vcc, exec, s[18:19]
	s_waitcnt lgkmcnt(0)
	s_cbranch_vccz .LBB3573_33
; %bb.32:
	s_barrier
	ds_read_b32 v19, v11
	ds_read_b32 v20, v12 offset:512
	ds_read_b32 v21, v13 offset:1024
	;; [unrolled: 1-line block ×7, first 2 shown]
	s_waitcnt lgkmcnt(7)
	global_store_dword v[2:3], v19, off
	s_waitcnt lgkmcnt(6)
	global_store_dword v[2:3], v20, off offset:512
	s_waitcnt lgkmcnt(5)
	global_store_dword v[2:3], v21, off offset:1024
	;; [unrolled: 2-line block ×6, first 2 shown]
	s_mov_b64 s[0:1], -1
	s_cbranch_execz .LBB3573_34
	s_branch .LBB3573_43
.LBB3573_33:
	s_mov_b64 s[0:1], 0
                                        ; implicit-def: $vgpr1
.LBB3573_34:
	s_barrier
	s_waitcnt lgkmcnt(0)
	ds_read_b32 v21, v12 offset:512
	ds_read_b32 v20, v13 offset:1024
	;; [unrolled: 1-line block ×7, first 2 shown]
	s_sub_i32 s2, s16, s20
	v_cmp_gt_u32_e32 vcc, s2, v0
	s_and_saveexec_b64 s[0:1], vcc
	s_cbranch_execnz .LBB3573_48
; %bb.35:
	s_or_b64 exec, exec, s[0:1]
	v_cmp_gt_u32_e32 vcc, s2, v10
	s_and_saveexec_b64 s[0:1], vcc
	s_cbranch_execnz .LBB3573_49
.LBB3573_36:
	s_or_b64 exec, exec, s[0:1]
	v_cmp_gt_u32_e32 vcc, s2, v9
	s_and_saveexec_b64 s[0:1], vcc
	s_cbranch_execnz .LBB3573_50
.LBB3573_37:
	s_or_b64 exec, exec, s[0:1]
	v_cmp_gt_u32_e32 vcc, s2, v8
	s_and_saveexec_b64 s[0:1], vcc
	s_cbranch_execnz .LBB3573_51
.LBB3573_38:
	s_or_b64 exec, exec, s[0:1]
	v_cmp_gt_u32_e32 vcc, s2, v7
	s_and_saveexec_b64 s[0:1], vcc
	s_cbranch_execnz .LBB3573_52
.LBB3573_39:
	s_or_b64 exec, exec, s[0:1]
	v_cmp_gt_u32_e32 vcc, s2, v6
	s_and_saveexec_b64 s[0:1], vcc
	s_cbranch_execnz .LBB3573_53
.LBB3573_40:
	s_or_b64 exec, exec, s[0:1]
	v_cmp_gt_u32_e32 vcc, s2, v5
	s_and_saveexec_b64 s[0:1], vcc
	s_cbranch_execz .LBB3573_42
.LBB3573_41:
	s_waitcnt lgkmcnt(1)
	global_store_dword v[2:3], v12, off offset:3072
.LBB3573_42:
	s_or_b64 exec, exec, s[0:1]
	v_cmp_gt_u32_e64 s[0:1], s2, v4
.LBB3573_43:
	s_and_saveexec_b64 s[2:3], s[0:1]
	s_cbranch_execz .LBB3573_45
; %bb.44:
	s_waitcnt lgkmcnt(0)
	global_store_dword v[2:3], v1, off offset:3584
.LBB3573_45:
	s_endpgm
.LBB3573_46:
	s_waitcnt vmcnt(6)
	v_mov_b32_e32 v2, s7
	s_waitcnt vmcnt(4)
	v_add_co_u32_e32 v4, vcc, s5, v1
	v_mov_b32_e32 v3, 0
	s_waitcnt vmcnt(3)
	v_addc_co_u32_e32 v5, vcc, 0, v2, vcc
	v_subrev_u32_e32 v2, s17, v0
	v_lshlrev_b64 v[2:3], 2, v[2:3]
	s_waitcnt vmcnt(2)
	v_mov_b32_e32 v6, s13
	v_add_co_u32_e32 v2, vcc, s12, v2
	v_addc_co_u32_e32 v3, vcc, v6, v3, vcc
	v_cmp_gt_u32_e32 vcc, s17, v0
	v_cndmask_b32_e32 v3, v3, v5, vcc
	v_cndmask_b32_e32 v2, v2, v4, vcc
	global_load_dword v2, v[2:3], off
	s_or_b64 exec, exec, s[0:1]
	v_cmp_gt_u32_e32 vcc, s6, v12
	s_and_saveexec_b64 s[2:3], vcc
	s_cbranch_execz .LBB3573_8
.LBB3573_47:
	v_mov_b32_e32 v13, 0
	v_lshlrev_b64 v[16:17], 2, v[12:13]
	s_waitcnt vmcnt(5)
	v_mov_b32_e32 v3, s7
	v_add_co_u32_e32 v11, vcc, s5, v16
	v_addc_co_u32_e32 v3, vcc, v3, v17, vcc
	v_cmp_gt_u32_e32 vcc, s17, v12
	v_subrev_u32_e32 v12, s17, v12
	v_lshlrev_b64 v[12:13], 2, v[12:13]
	v_mov_b32_e32 v14, s13
	v_add_co_u32_e64 v12, s[0:1], s12, v12
	v_addc_co_u32_e64 v13, s[0:1], v14, v13, s[0:1]
	v_cndmask_b32_e32 v13, v13, v3, vcc
	v_cndmask_b32_e32 v12, v12, v11, vcc
	global_load_dword v3, v[12:13], off
	s_or_b64 exec, exec, s[2:3]
	v_cmp_gt_u32_e32 vcc, s6, v10
	s_and_saveexec_b64 s[0:1], vcc
	s_cbranch_execnz .LBB3573_9
	s_branch .LBB3573_10
.LBB3573_48:
	ds_read_b32 v0, v11
	s_waitcnt lgkmcnt(0)
	global_store_dword v[2:3], v0, off
	s_or_b64 exec, exec, s[0:1]
	v_cmp_gt_u32_e32 vcc, s2, v10
	s_and_saveexec_b64 s[0:1], vcc
	s_cbranch_execz .LBB3573_36
.LBB3573_49:
	s_waitcnt lgkmcnt(6)
	global_store_dword v[2:3], v21, off offset:512
	s_or_b64 exec, exec, s[0:1]
	v_cmp_gt_u32_e32 vcc, s2, v9
	s_and_saveexec_b64 s[0:1], vcc
	s_cbranch_execz .LBB3573_37
.LBB3573_50:
	s_waitcnt lgkmcnt(5)
	global_store_dword v[2:3], v20, off offset:1024
	s_or_b64 exec, exec, s[0:1]
	v_cmp_gt_u32_e32 vcc, s2, v8
	s_and_saveexec_b64 s[0:1], vcc
	s_cbranch_execz .LBB3573_38
.LBB3573_51:
	s_waitcnt lgkmcnt(4)
	global_store_dword v[2:3], v19, off offset:1536
	s_or_b64 exec, exec, s[0:1]
	v_cmp_gt_u32_e32 vcc, s2, v7
	s_and_saveexec_b64 s[0:1], vcc
	s_cbranch_execz .LBB3573_39
.LBB3573_52:
	s_waitcnt lgkmcnt(3)
	global_store_dword v[2:3], v14, off offset:2048
	s_or_b64 exec, exec, s[0:1]
	v_cmp_gt_u32_e32 vcc, s2, v6
	s_and_saveexec_b64 s[0:1], vcc
	s_cbranch_execz .LBB3573_40
.LBB3573_53:
	s_waitcnt lgkmcnt(2)
	global_store_dword v[2:3], v13, off offset:2560
	s_or_b64 exec, exec, s[0:1]
	v_cmp_gt_u32_e32 vcc, s2, v5
	s_and_saveexec_b64 s[0:1], vcc
	s_cbranch_execnz .LBB3573_41
	s_branch .LBB3573_42
	.section	.rodata,"a",@progbits
	.p2align	6, 0x0
	.amdhsa_kernel _ZN7rocprim17ROCPRIM_400000_NS6detail17trampoline_kernelINS0_14default_configENS1_38merge_sort_block_merge_config_selectorIfNS0_10empty_typeEEEZZNS1_27merge_sort_block_merge_implIS3_N6thrust23THRUST_200600_302600_NS6detail15normal_iteratorINS9_10device_ptrIfEEEEPS5_m14custom_greaterIfEEE10hipError_tT0_T1_T2_jT3_P12ihipStream_tbPNSt15iterator_traitsISJ_E10value_typeEPNSP_ISK_E10value_typeEPSL_NS1_7vsmem_tEENKUlT_SJ_SK_SL_E_clISE_PfSF_SF_EESI_SY_SJ_SK_SL_EUlSY_E0_NS1_11comp_targetILNS1_3genE4ELNS1_11target_archE910ELNS1_3gpuE8ELNS1_3repE0EEENS1_38merge_mergepath_config_static_selectorELNS0_4arch9wavefront6targetE1EEEvSK_
		.amdhsa_group_segment_fixed_size 4224
		.amdhsa_private_segment_fixed_size 0
		.amdhsa_kernarg_size 328
		.amdhsa_user_sgpr_count 6
		.amdhsa_user_sgpr_private_segment_buffer 1
		.amdhsa_user_sgpr_dispatch_ptr 0
		.amdhsa_user_sgpr_queue_ptr 0
		.amdhsa_user_sgpr_kernarg_segment_ptr 1
		.amdhsa_user_sgpr_dispatch_id 0
		.amdhsa_user_sgpr_flat_scratch_init 0
		.amdhsa_user_sgpr_kernarg_preload_length 0
		.amdhsa_user_sgpr_kernarg_preload_offset 0
		.amdhsa_user_sgpr_private_segment_size 0
		.amdhsa_uses_dynamic_stack 0
		.amdhsa_system_sgpr_private_segment_wavefront_offset 0
		.amdhsa_system_sgpr_workgroup_id_x 1
		.amdhsa_system_sgpr_workgroup_id_y 1
		.amdhsa_system_sgpr_workgroup_id_z 1
		.amdhsa_system_sgpr_workgroup_info 0
		.amdhsa_system_vgpr_workitem_id 0
		.amdhsa_next_free_vgpr 26
		.amdhsa_next_free_sgpr 31
		.amdhsa_accum_offset 28
		.amdhsa_reserve_vcc 1
		.amdhsa_reserve_flat_scratch 0
		.amdhsa_float_round_mode_32 0
		.amdhsa_float_round_mode_16_64 0
		.amdhsa_float_denorm_mode_32 3
		.amdhsa_float_denorm_mode_16_64 3
		.amdhsa_dx10_clamp 1
		.amdhsa_ieee_mode 1
		.amdhsa_fp16_overflow 0
		.amdhsa_tg_split 0
		.amdhsa_exception_fp_ieee_invalid_op 0
		.amdhsa_exception_fp_denorm_src 0
		.amdhsa_exception_fp_ieee_div_zero 0
		.amdhsa_exception_fp_ieee_overflow 0
		.amdhsa_exception_fp_ieee_underflow 0
		.amdhsa_exception_fp_ieee_inexact 0
		.amdhsa_exception_int_div_zero 0
	.end_amdhsa_kernel
	.section	.text._ZN7rocprim17ROCPRIM_400000_NS6detail17trampoline_kernelINS0_14default_configENS1_38merge_sort_block_merge_config_selectorIfNS0_10empty_typeEEEZZNS1_27merge_sort_block_merge_implIS3_N6thrust23THRUST_200600_302600_NS6detail15normal_iteratorINS9_10device_ptrIfEEEEPS5_m14custom_greaterIfEEE10hipError_tT0_T1_T2_jT3_P12ihipStream_tbPNSt15iterator_traitsISJ_E10value_typeEPNSP_ISK_E10value_typeEPSL_NS1_7vsmem_tEENKUlT_SJ_SK_SL_E_clISE_PfSF_SF_EESI_SY_SJ_SK_SL_EUlSY_E0_NS1_11comp_targetILNS1_3genE4ELNS1_11target_archE910ELNS1_3gpuE8ELNS1_3repE0EEENS1_38merge_mergepath_config_static_selectorELNS0_4arch9wavefront6targetE1EEEvSK_,"axG",@progbits,_ZN7rocprim17ROCPRIM_400000_NS6detail17trampoline_kernelINS0_14default_configENS1_38merge_sort_block_merge_config_selectorIfNS0_10empty_typeEEEZZNS1_27merge_sort_block_merge_implIS3_N6thrust23THRUST_200600_302600_NS6detail15normal_iteratorINS9_10device_ptrIfEEEEPS5_m14custom_greaterIfEEE10hipError_tT0_T1_T2_jT3_P12ihipStream_tbPNSt15iterator_traitsISJ_E10value_typeEPNSP_ISK_E10value_typeEPSL_NS1_7vsmem_tEENKUlT_SJ_SK_SL_E_clISE_PfSF_SF_EESI_SY_SJ_SK_SL_EUlSY_E0_NS1_11comp_targetILNS1_3genE4ELNS1_11target_archE910ELNS1_3gpuE8ELNS1_3repE0EEENS1_38merge_mergepath_config_static_selectorELNS0_4arch9wavefront6targetE1EEEvSK_,comdat
.Lfunc_end3573:
	.size	_ZN7rocprim17ROCPRIM_400000_NS6detail17trampoline_kernelINS0_14default_configENS1_38merge_sort_block_merge_config_selectorIfNS0_10empty_typeEEEZZNS1_27merge_sort_block_merge_implIS3_N6thrust23THRUST_200600_302600_NS6detail15normal_iteratorINS9_10device_ptrIfEEEEPS5_m14custom_greaterIfEEE10hipError_tT0_T1_T2_jT3_P12ihipStream_tbPNSt15iterator_traitsISJ_E10value_typeEPNSP_ISK_E10value_typeEPSL_NS1_7vsmem_tEENKUlT_SJ_SK_SL_E_clISE_PfSF_SF_EESI_SY_SJ_SK_SL_EUlSY_E0_NS1_11comp_targetILNS1_3genE4ELNS1_11target_archE910ELNS1_3gpuE8ELNS1_3repE0EEENS1_38merge_mergepath_config_static_selectorELNS0_4arch9wavefront6targetE1EEEvSK_, .Lfunc_end3573-_ZN7rocprim17ROCPRIM_400000_NS6detail17trampoline_kernelINS0_14default_configENS1_38merge_sort_block_merge_config_selectorIfNS0_10empty_typeEEEZZNS1_27merge_sort_block_merge_implIS3_N6thrust23THRUST_200600_302600_NS6detail15normal_iteratorINS9_10device_ptrIfEEEEPS5_m14custom_greaterIfEEE10hipError_tT0_T1_T2_jT3_P12ihipStream_tbPNSt15iterator_traitsISJ_E10value_typeEPNSP_ISK_E10value_typeEPSL_NS1_7vsmem_tEENKUlT_SJ_SK_SL_E_clISE_PfSF_SF_EESI_SY_SJ_SK_SL_EUlSY_E0_NS1_11comp_targetILNS1_3genE4ELNS1_11target_archE910ELNS1_3gpuE8ELNS1_3repE0EEENS1_38merge_mergepath_config_static_selectorELNS0_4arch9wavefront6targetE1EEEvSK_
                                        ; -- End function
	.section	.AMDGPU.csdata,"",@progbits
; Kernel info:
; codeLenInByte = 3648
; NumSgprs: 35
; NumVgprs: 26
; NumAgprs: 0
; TotalNumVgprs: 26
; ScratchSize: 0
; MemoryBound: 0
; FloatMode: 240
; IeeeMode: 1
; LDSByteSize: 4224 bytes/workgroup (compile time only)
; SGPRBlocks: 4
; VGPRBlocks: 3
; NumSGPRsForWavesPerEU: 35
; NumVGPRsForWavesPerEU: 26
; AccumOffset: 28
; Occupancy: 8
; WaveLimiterHint : 1
; COMPUTE_PGM_RSRC2:SCRATCH_EN: 0
; COMPUTE_PGM_RSRC2:USER_SGPR: 6
; COMPUTE_PGM_RSRC2:TRAP_HANDLER: 0
; COMPUTE_PGM_RSRC2:TGID_X_EN: 1
; COMPUTE_PGM_RSRC2:TGID_Y_EN: 1
; COMPUTE_PGM_RSRC2:TGID_Z_EN: 1
; COMPUTE_PGM_RSRC2:TIDIG_COMP_CNT: 0
; COMPUTE_PGM_RSRC3_GFX90A:ACCUM_OFFSET: 6
; COMPUTE_PGM_RSRC3_GFX90A:TG_SPLIT: 0
	.section	.text._ZN7rocprim17ROCPRIM_400000_NS6detail17trampoline_kernelINS0_14default_configENS1_38merge_sort_block_merge_config_selectorIfNS0_10empty_typeEEEZZNS1_27merge_sort_block_merge_implIS3_N6thrust23THRUST_200600_302600_NS6detail15normal_iteratorINS9_10device_ptrIfEEEEPS5_m14custom_greaterIfEEE10hipError_tT0_T1_T2_jT3_P12ihipStream_tbPNSt15iterator_traitsISJ_E10value_typeEPNSP_ISK_E10value_typeEPSL_NS1_7vsmem_tEENKUlT_SJ_SK_SL_E_clISE_PfSF_SF_EESI_SY_SJ_SK_SL_EUlSY_E0_NS1_11comp_targetILNS1_3genE3ELNS1_11target_archE908ELNS1_3gpuE7ELNS1_3repE0EEENS1_38merge_mergepath_config_static_selectorELNS0_4arch9wavefront6targetE1EEEvSK_,"axG",@progbits,_ZN7rocprim17ROCPRIM_400000_NS6detail17trampoline_kernelINS0_14default_configENS1_38merge_sort_block_merge_config_selectorIfNS0_10empty_typeEEEZZNS1_27merge_sort_block_merge_implIS3_N6thrust23THRUST_200600_302600_NS6detail15normal_iteratorINS9_10device_ptrIfEEEEPS5_m14custom_greaterIfEEE10hipError_tT0_T1_T2_jT3_P12ihipStream_tbPNSt15iterator_traitsISJ_E10value_typeEPNSP_ISK_E10value_typeEPSL_NS1_7vsmem_tEENKUlT_SJ_SK_SL_E_clISE_PfSF_SF_EESI_SY_SJ_SK_SL_EUlSY_E0_NS1_11comp_targetILNS1_3genE3ELNS1_11target_archE908ELNS1_3gpuE7ELNS1_3repE0EEENS1_38merge_mergepath_config_static_selectorELNS0_4arch9wavefront6targetE1EEEvSK_,comdat
	.protected	_ZN7rocprim17ROCPRIM_400000_NS6detail17trampoline_kernelINS0_14default_configENS1_38merge_sort_block_merge_config_selectorIfNS0_10empty_typeEEEZZNS1_27merge_sort_block_merge_implIS3_N6thrust23THRUST_200600_302600_NS6detail15normal_iteratorINS9_10device_ptrIfEEEEPS5_m14custom_greaterIfEEE10hipError_tT0_T1_T2_jT3_P12ihipStream_tbPNSt15iterator_traitsISJ_E10value_typeEPNSP_ISK_E10value_typeEPSL_NS1_7vsmem_tEENKUlT_SJ_SK_SL_E_clISE_PfSF_SF_EESI_SY_SJ_SK_SL_EUlSY_E0_NS1_11comp_targetILNS1_3genE3ELNS1_11target_archE908ELNS1_3gpuE7ELNS1_3repE0EEENS1_38merge_mergepath_config_static_selectorELNS0_4arch9wavefront6targetE1EEEvSK_ ; -- Begin function _ZN7rocprim17ROCPRIM_400000_NS6detail17trampoline_kernelINS0_14default_configENS1_38merge_sort_block_merge_config_selectorIfNS0_10empty_typeEEEZZNS1_27merge_sort_block_merge_implIS3_N6thrust23THRUST_200600_302600_NS6detail15normal_iteratorINS9_10device_ptrIfEEEEPS5_m14custom_greaterIfEEE10hipError_tT0_T1_T2_jT3_P12ihipStream_tbPNSt15iterator_traitsISJ_E10value_typeEPNSP_ISK_E10value_typeEPSL_NS1_7vsmem_tEENKUlT_SJ_SK_SL_E_clISE_PfSF_SF_EESI_SY_SJ_SK_SL_EUlSY_E0_NS1_11comp_targetILNS1_3genE3ELNS1_11target_archE908ELNS1_3gpuE7ELNS1_3repE0EEENS1_38merge_mergepath_config_static_selectorELNS0_4arch9wavefront6targetE1EEEvSK_
	.globl	_ZN7rocprim17ROCPRIM_400000_NS6detail17trampoline_kernelINS0_14default_configENS1_38merge_sort_block_merge_config_selectorIfNS0_10empty_typeEEEZZNS1_27merge_sort_block_merge_implIS3_N6thrust23THRUST_200600_302600_NS6detail15normal_iteratorINS9_10device_ptrIfEEEEPS5_m14custom_greaterIfEEE10hipError_tT0_T1_T2_jT3_P12ihipStream_tbPNSt15iterator_traitsISJ_E10value_typeEPNSP_ISK_E10value_typeEPSL_NS1_7vsmem_tEENKUlT_SJ_SK_SL_E_clISE_PfSF_SF_EESI_SY_SJ_SK_SL_EUlSY_E0_NS1_11comp_targetILNS1_3genE3ELNS1_11target_archE908ELNS1_3gpuE7ELNS1_3repE0EEENS1_38merge_mergepath_config_static_selectorELNS0_4arch9wavefront6targetE1EEEvSK_
	.p2align	8
	.type	_ZN7rocprim17ROCPRIM_400000_NS6detail17trampoline_kernelINS0_14default_configENS1_38merge_sort_block_merge_config_selectorIfNS0_10empty_typeEEEZZNS1_27merge_sort_block_merge_implIS3_N6thrust23THRUST_200600_302600_NS6detail15normal_iteratorINS9_10device_ptrIfEEEEPS5_m14custom_greaterIfEEE10hipError_tT0_T1_T2_jT3_P12ihipStream_tbPNSt15iterator_traitsISJ_E10value_typeEPNSP_ISK_E10value_typeEPSL_NS1_7vsmem_tEENKUlT_SJ_SK_SL_E_clISE_PfSF_SF_EESI_SY_SJ_SK_SL_EUlSY_E0_NS1_11comp_targetILNS1_3genE3ELNS1_11target_archE908ELNS1_3gpuE7ELNS1_3repE0EEENS1_38merge_mergepath_config_static_selectorELNS0_4arch9wavefront6targetE1EEEvSK_,@function
_ZN7rocprim17ROCPRIM_400000_NS6detail17trampoline_kernelINS0_14default_configENS1_38merge_sort_block_merge_config_selectorIfNS0_10empty_typeEEEZZNS1_27merge_sort_block_merge_implIS3_N6thrust23THRUST_200600_302600_NS6detail15normal_iteratorINS9_10device_ptrIfEEEEPS5_m14custom_greaterIfEEE10hipError_tT0_T1_T2_jT3_P12ihipStream_tbPNSt15iterator_traitsISJ_E10value_typeEPNSP_ISK_E10value_typeEPSL_NS1_7vsmem_tEENKUlT_SJ_SK_SL_E_clISE_PfSF_SF_EESI_SY_SJ_SK_SL_EUlSY_E0_NS1_11comp_targetILNS1_3genE3ELNS1_11target_archE908ELNS1_3gpuE7ELNS1_3repE0EEENS1_38merge_mergepath_config_static_selectorELNS0_4arch9wavefront6targetE1EEEvSK_: ; @_ZN7rocprim17ROCPRIM_400000_NS6detail17trampoline_kernelINS0_14default_configENS1_38merge_sort_block_merge_config_selectorIfNS0_10empty_typeEEEZZNS1_27merge_sort_block_merge_implIS3_N6thrust23THRUST_200600_302600_NS6detail15normal_iteratorINS9_10device_ptrIfEEEEPS5_m14custom_greaterIfEEE10hipError_tT0_T1_T2_jT3_P12ihipStream_tbPNSt15iterator_traitsISJ_E10value_typeEPNSP_ISK_E10value_typeEPSL_NS1_7vsmem_tEENKUlT_SJ_SK_SL_E_clISE_PfSF_SF_EESI_SY_SJ_SK_SL_EUlSY_E0_NS1_11comp_targetILNS1_3genE3ELNS1_11target_archE908ELNS1_3gpuE7ELNS1_3repE0EEENS1_38merge_mergepath_config_static_selectorELNS0_4arch9wavefront6targetE1EEEvSK_
; %bb.0:
	.section	.rodata,"a",@progbits
	.p2align	6, 0x0
	.amdhsa_kernel _ZN7rocprim17ROCPRIM_400000_NS6detail17trampoline_kernelINS0_14default_configENS1_38merge_sort_block_merge_config_selectorIfNS0_10empty_typeEEEZZNS1_27merge_sort_block_merge_implIS3_N6thrust23THRUST_200600_302600_NS6detail15normal_iteratorINS9_10device_ptrIfEEEEPS5_m14custom_greaterIfEEE10hipError_tT0_T1_T2_jT3_P12ihipStream_tbPNSt15iterator_traitsISJ_E10value_typeEPNSP_ISK_E10value_typeEPSL_NS1_7vsmem_tEENKUlT_SJ_SK_SL_E_clISE_PfSF_SF_EESI_SY_SJ_SK_SL_EUlSY_E0_NS1_11comp_targetILNS1_3genE3ELNS1_11target_archE908ELNS1_3gpuE7ELNS1_3repE0EEENS1_38merge_mergepath_config_static_selectorELNS0_4arch9wavefront6targetE1EEEvSK_
		.amdhsa_group_segment_fixed_size 0
		.amdhsa_private_segment_fixed_size 0
		.amdhsa_kernarg_size 72
		.amdhsa_user_sgpr_count 6
		.amdhsa_user_sgpr_private_segment_buffer 1
		.amdhsa_user_sgpr_dispatch_ptr 0
		.amdhsa_user_sgpr_queue_ptr 0
		.amdhsa_user_sgpr_kernarg_segment_ptr 1
		.amdhsa_user_sgpr_dispatch_id 0
		.amdhsa_user_sgpr_flat_scratch_init 0
		.amdhsa_user_sgpr_kernarg_preload_length 0
		.amdhsa_user_sgpr_kernarg_preload_offset 0
		.amdhsa_user_sgpr_private_segment_size 0
		.amdhsa_uses_dynamic_stack 0
		.amdhsa_system_sgpr_private_segment_wavefront_offset 0
		.amdhsa_system_sgpr_workgroup_id_x 1
		.amdhsa_system_sgpr_workgroup_id_y 0
		.amdhsa_system_sgpr_workgroup_id_z 0
		.amdhsa_system_sgpr_workgroup_info 0
		.amdhsa_system_vgpr_workitem_id 0
		.amdhsa_next_free_vgpr 1
		.amdhsa_next_free_sgpr 0
		.amdhsa_accum_offset 4
		.amdhsa_reserve_vcc 0
		.amdhsa_reserve_flat_scratch 0
		.amdhsa_float_round_mode_32 0
		.amdhsa_float_round_mode_16_64 0
		.amdhsa_float_denorm_mode_32 3
		.amdhsa_float_denorm_mode_16_64 3
		.amdhsa_dx10_clamp 1
		.amdhsa_ieee_mode 1
		.amdhsa_fp16_overflow 0
		.amdhsa_tg_split 0
		.amdhsa_exception_fp_ieee_invalid_op 0
		.amdhsa_exception_fp_denorm_src 0
		.amdhsa_exception_fp_ieee_div_zero 0
		.amdhsa_exception_fp_ieee_overflow 0
		.amdhsa_exception_fp_ieee_underflow 0
		.amdhsa_exception_fp_ieee_inexact 0
		.amdhsa_exception_int_div_zero 0
	.end_amdhsa_kernel
	.section	.text._ZN7rocprim17ROCPRIM_400000_NS6detail17trampoline_kernelINS0_14default_configENS1_38merge_sort_block_merge_config_selectorIfNS0_10empty_typeEEEZZNS1_27merge_sort_block_merge_implIS3_N6thrust23THRUST_200600_302600_NS6detail15normal_iteratorINS9_10device_ptrIfEEEEPS5_m14custom_greaterIfEEE10hipError_tT0_T1_T2_jT3_P12ihipStream_tbPNSt15iterator_traitsISJ_E10value_typeEPNSP_ISK_E10value_typeEPSL_NS1_7vsmem_tEENKUlT_SJ_SK_SL_E_clISE_PfSF_SF_EESI_SY_SJ_SK_SL_EUlSY_E0_NS1_11comp_targetILNS1_3genE3ELNS1_11target_archE908ELNS1_3gpuE7ELNS1_3repE0EEENS1_38merge_mergepath_config_static_selectorELNS0_4arch9wavefront6targetE1EEEvSK_,"axG",@progbits,_ZN7rocprim17ROCPRIM_400000_NS6detail17trampoline_kernelINS0_14default_configENS1_38merge_sort_block_merge_config_selectorIfNS0_10empty_typeEEEZZNS1_27merge_sort_block_merge_implIS3_N6thrust23THRUST_200600_302600_NS6detail15normal_iteratorINS9_10device_ptrIfEEEEPS5_m14custom_greaterIfEEE10hipError_tT0_T1_T2_jT3_P12ihipStream_tbPNSt15iterator_traitsISJ_E10value_typeEPNSP_ISK_E10value_typeEPSL_NS1_7vsmem_tEENKUlT_SJ_SK_SL_E_clISE_PfSF_SF_EESI_SY_SJ_SK_SL_EUlSY_E0_NS1_11comp_targetILNS1_3genE3ELNS1_11target_archE908ELNS1_3gpuE7ELNS1_3repE0EEENS1_38merge_mergepath_config_static_selectorELNS0_4arch9wavefront6targetE1EEEvSK_,comdat
.Lfunc_end3574:
	.size	_ZN7rocprim17ROCPRIM_400000_NS6detail17trampoline_kernelINS0_14default_configENS1_38merge_sort_block_merge_config_selectorIfNS0_10empty_typeEEEZZNS1_27merge_sort_block_merge_implIS3_N6thrust23THRUST_200600_302600_NS6detail15normal_iteratorINS9_10device_ptrIfEEEEPS5_m14custom_greaterIfEEE10hipError_tT0_T1_T2_jT3_P12ihipStream_tbPNSt15iterator_traitsISJ_E10value_typeEPNSP_ISK_E10value_typeEPSL_NS1_7vsmem_tEENKUlT_SJ_SK_SL_E_clISE_PfSF_SF_EESI_SY_SJ_SK_SL_EUlSY_E0_NS1_11comp_targetILNS1_3genE3ELNS1_11target_archE908ELNS1_3gpuE7ELNS1_3repE0EEENS1_38merge_mergepath_config_static_selectorELNS0_4arch9wavefront6targetE1EEEvSK_, .Lfunc_end3574-_ZN7rocprim17ROCPRIM_400000_NS6detail17trampoline_kernelINS0_14default_configENS1_38merge_sort_block_merge_config_selectorIfNS0_10empty_typeEEEZZNS1_27merge_sort_block_merge_implIS3_N6thrust23THRUST_200600_302600_NS6detail15normal_iteratorINS9_10device_ptrIfEEEEPS5_m14custom_greaterIfEEE10hipError_tT0_T1_T2_jT3_P12ihipStream_tbPNSt15iterator_traitsISJ_E10value_typeEPNSP_ISK_E10value_typeEPSL_NS1_7vsmem_tEENKUlT_SJ_SK_SL_E_clISE_PfSF_SF_EESI_SY_SJ_SK_SL_EUlSY_E0_NS1_11comp_targetILNS1_3genE3ELNS1_11target_archE908ELNS1_3gpuE7ELNS1_3repE0EEENS1_38merge_mergepath_config_static_selectorELNS0_4arch9wavefront6targetE1EEEvSK_
                                        ; -- End function
	.section	.AMDGPU.csdata,"",@progbits
; Kernel info:
; codeLenInByte = 0
; NumSgprs: 4
; NumVgprs: 0
; NumAgprs: 0
; TotalNumVgprs: 0
; ScratchSize: 0
; MemoryBound: 0
; FloatMode: 240
; IeeeMode: 1
; LDSByteSize: 0 bytes/workgroup (compile time only)
; SGPRBlocks: 0
; VGPRBlocks: 0
; NumSGPRsForWavesPerEU: 4
; NumVGPRsForWavesPerEU: 1
; AccumOffset: 4
; Occupancy: 8
; WaveLimiterHint : 0
; COMPUTE_PGM_RSRC2:SCRATCH_EN: 0
; COMPUTE_PGM_RSRC2:USER_SGPR: 6
; COMPUTE_PGM_RSRC2:TRAP_HANDLER: 0
; COMPUTE_PGM_RSRC2:TGID_X_EN: 1
; COMPUTE_PGM_RSRC2:TGID_Y_EN: 0
; COMPUTE_PGM_RSRC2:TGID_Z_EN: 0
; COMPUTE_PGM_RSRC2:TIDIG_COMP_CNT: 0
; COMPUTE_PGM_RSRC3_GFX90A:ACCUM_OFFSET: 0
; COMPUTE_PGM_RSRC3_GFX90A:TG_SPLIT: 0
	.section	.text._ZN7rocprim17ROCPRIM_400000_NS6detail17trampoline_kernelINS0_14default_configENS1_38merge_sort_block_merge_config_selectorIfNS0_10empty_typeEEEZZNS1_27merge_sort_block_merge_implIS3_N6thrust23THRUST_200600_302600_NS6detail15normal_iteratorINS9_10device_ptrIfEEEEPS5_m14custom_greaterIfEEE10hipError_tT0_T1_T2_jT3_P12ihipStream_tbPNSt15iterator_traitsISJ_E10value_typeEPNSP_ISK_E10value_typeEPSL_NS1_7vsmem_tEENKUlT_SJ_SK_SL_E_clISE_PfSF_SF_EESI_SY_SJ_SK_SL_EUlSY_E0_NS1_11comp_targetILNS1_3genE2ELNS1_11target_archE906ELNS1_3gpuE6ELNS1_3repE0EEENS1_38merge_mergepath_config_static_selectorELNS0_4arch9wavefront6targetE1EEEvSK_,"axG",@progbits,_ZN7rocprim17ROCPRIM_400000_NS6detail17trampoline_kernelINS0_14default_configENS1_38merge_sort_block_merge_config_selectorIfNS0_10empty_typeEEEZZNS1_27merge_sort_block_merge_implIS3_N6thrust23THRUST_200600_302600_NS6detail15normal_iteratorINS9_10device_ptrIfEEEEPS5_m14custom_greaterIfEEE10hipError_tT0_T1_T2_jT3_P12ihipStream_tbPNSt15iterator_traitsISJ_E10value_typeEPNSP_ISK_E10value_typeEPSL_NS1_7vsmem_tEENKUlT_SJ_SK_SL_E_clISE_PfSF_SF_EESI_SY_SJ_SK_SL_EUlSY_E0_NS1_11comp_targetILNS1_3genE2ELNS1_11target_archE906ELNS1_3gpuE6ELNS1_3repE0EEENS1_38merge_mergepath_config_static_selectorELNS0_4arch9wavefront6targetE1EEEvSK_,comdat
	.protected	_ZN7rocprim17ROCPRIM_400000_NS6detail17trampoline_kernelINS0_14default_configENS1_38merge_sort_block_merge_config_selectorIfNS0_10empty_typeEEEZZNS1_27merge_sort_block_merge_implIS3_N6thrust23THRUST_200600_302600_NS6detail15normal_iteratorINS9_10device_ptrIfEEEEPS5_m14custom_greaterIfEEE10hipError_tT0_T1_T2_jT3_P12ihipStream_tbPNSt15iterator_traitsISJ_E10value_typeEPNSP_ISK_E10value_typeEPSL_NS1_7vsmem_tEENKUlT_SJ_SK_SL_E_clISE_PfSF_SF_EESI_SY_SJ_SK_SL_EUlSY_E0_NS1_11comp_targetILNS1_3genE2ELNS1_11target_archE906ELNS1_3gpuE6ELNS1_3repE0EEENS1_38merge_mergepath_config_static_selectorELNS0_4arch9wavefront6targetE1EEEvSK_ ; -- Begin function _ZN7rocprim17ROCPRIM_400000_NS6detail17trampoline_kernelINS0_14default_configENS1_38merge_sort_block_merge_config_selectorIfNS0_10empty_typeEEEZZNS1_27merge_sort_block_merge_implIS3_N6thrust23THRUST_200600_302600_NS6detail15normal_iteratorINS9_10device_ptrIfEEEEPS5_m14custom_greaterIfEEE10hipError_tT0_T1_T2_jT3_P12ihipStream_tbPNSt15iterator_traitsISJ_E10value_typeEPNSP_ISK_E10value_typeEPSL_NS1_7vsmem_tEENKUlT_SJ_SK_SL_E_clISE_PfSF_SF_EESI_SY_SJ_SK_SL_EUlSY_E0_NS1_11comp_targetILNS1_3genE2ELNS1_11target_archE906ELNS1_3gpuE6ELNS1_3repE0EEENS1_38merge_mergepath_config_static_selectorELNS0_4arch9wavefront6targetE1EEEvSK_
	.globl	_ZN7rocprim17ROCPRIM_400000_NS6detail17trampoline_kernelINS0_14default_configENS1_38merge_sort_block_merge_config_selectorIfNS0_10empty_typeEEEZZNS1_27merge_sort_block_merge_implIS3_N6thrust23THRUST_200600_302600_NS6detail15normal_iteratorINS9_10device_ptrIfEEEEPS5_m14custom_greaterIfEEE10hipError_tT0_T1_T2_jT3_P12ihipStream_tbPNSt15iterator_traitsISJ_E10value_typeEPNSP_ISK_E10value_typeEPSL_NS1_7vsmem_tEENKUlT_SJ_SK_SL_E_clISE_PfSF_SF_EESI_SY_SJ_SK_SL_EUlSY_E0_NS1_11comp_targetILNS1_3genE2ELNS1_11target_archE906ELNS1_3gpuE6ELNS1_3repE0EEENS1_38merge_mergepath_config_static_selectorELNS0_4arch9wavefront6targetE1EEEvSK_
	.p2align	8
	.type	_ZN7rocprim17ROCPRIM_400000_NS6detail17trampoline_kernelINS0_14default_configENS1_38merge_sort_block_merge_config_selectorIfNS0_10empty_typeEEEZZNS1_27merge_sort_block_merge_implIS3_N6thrust23THRUST_200600_302600_NS6detail15normal_iteratorINS9_10device_ptrIfEEEEPS5_m14custom_greaterIfEEE10hipError_tT0_T1_T2_jT3_P12ihipStream_tbPNSt15iterator_traitsISJ_E10value_typeEPNSP_ISK_E10value_typeEPSL_NS1_7vsmem_tEENKUlT_SJ_SK_SL_E_clISE_PfSF_SF_EESI_SY_SJ_SK_SL_EUlSY_E0_NS1_11comp_targetILNS1_3genE2ELNS1_11target_archE906ELNS1_3gpuE6ELNS1_3repE0EEENS1_38merge_mergepath_config_static_selectorELNS0_4arch9wavefront6targetE1EEEvSK_,@function
_ZN7rocprim17ROCPRIM_400000_NS6detail17trampoline_kernelINS0_14default_configENS1_38merge_sort_block_merge_config_selectorIfNS0_10empty_typeEEEZZNS1_27merge_sort_block_merge_implIS3_N6thrust23THRUST_200600_302600_NS6detail15normal_iteratorINS9_10device_ptrIfEEEEPS5_m14custom_greaterIfEEE10hipError_tT0_T1_T2_jT3_P12ihipStream_tbPNSt15iterator_traitsISJ_E10value_typeEPNSP_ISK_E10value_typeEPSL_NS1_7vsmem_tEENKUlT_SJ_SK_SL_E_clISE_PfSF_SF_EESI_SY_SJ_SK_SL_EUlSY_E0_NS1_11comp_targetILNS1_3genE2ELNS1_11target_archE906ELNS1_3gpuE6ELNS1_3repE0EEENS1_38merge_mergepath_config_static_selectorELNS0_4arch9wavefront6targetE1EEEvSK_: ; @_ZN7rocprim17ROCPRIM_400000_NS6detail17trampoline_kernelINS0_14default_configENS1_38merge_sort_block_merge_config_selectorIfNS0_10empty_typeEEEZZNS1_27merge_sort_block_merge_implIS3_N6thrust23THRUST_200600_302600_NS6detail15normal_iteratorINS9_10device_ptrIfEEEEPS5_m14custom_greaterIfEEE10hipError_tT0_T1_T2_jT3_P12ihipStream_tbPNSt15iterator_traitsISJ_E10value_typeEPNSP_ISK_E10value_typeEPSL_NS1_7vsmem_tEENKUlT_SJ_SK_SL_E_clISE_PfSF_SF_EESI_SY_SJ_SK_SL_EUlSY_E0_NS1_11comp_targetILNS1_3genE2ELNS1_11target_archE906ELNS1_3gpuE6ELNS1_3repE0EEENS1_38merge_mergepath_config_static_selectorELNS0_4arch9wavefront6targetE1EEEvSK_
; %bb.0:
	.section	.rodata,"a",@progbits
	.p2align	6, 0x0
	.amdhsa_kernel _ZN7rocprim17ROCPRIM_400000_NS6detail17trampoline_kernelINS0_14default_configENS1_38merge_sort_block_merge_config_selectorIfNS0_10empty_typeEEEZZNS1_27merge_sort_block_merge_implIS3_N6thrust23THRUST_200600_302600_NS6detail15normal_iteratorINS9_10device_ptrIfEEEEPS5_m14custom_greaterIfEEE10hipError_tT0_T1_T2_jT3_P12ihipStream_tbPNSt15iterator_traitsISJ_E10value_typeEPNSP_ISK_E10value_typeEPSL_NS1_7vsmem_tEENKUlT_SJ_SK_SL_E_clISE_PfSF_SF_EESI_SY_SJ_SK_SL_EUlSY_E0_NS1_11comp_targetILNS1_3genE2ELNS1_11target_archE906ELNS1_3gpuE6ELNS1_3repE0EEENS1_38merge_mergepath_config_static_selectorELNS0_4arch9wavefront6targetE1EEEvSK_
		.amdhsa_group_segment_fixed_size 0
		.amdhsa_private_segment_fixed_size 0
		.amdhsa_kernarg_size 72
		.amdhsa_user_sgpr_count 6
		.amdhsa_user_sgpr_private_segment_buffer 1
		.amdhsa_user_sgpr_dispatch_ptr 0
		.amdhsa_user_sgpr_queue_ptr 0
		.amdhsa_user_sgpr_kernarg_segment_ptr 1
		.amdhsa_user_sgpr_dispatch_id 0
		.amdhsa_user_sgpr_flat_scratch_init 0
		.amdhsa_user_sgpr_kernarg_preload_length 0
		.amdhsa_user_sgpr_kernarg_preload_offset 0
		.amdhsa_user_sgpr_private_segment_size 0
		.amdhsa_uses_dynamic_stack 0
		.amdhsa_system_sgpr_private_segment_wavefront_offset 0
		.amdhsa_system_sgpr_workgroup_id_x 1
		.amdhsa_system_sgpr_workgroup_id_y 0
		.amdhsa_system_sgpr_workgroup_id_z 0
		.amdhsa_system_sgpr_workgroup_info 0
		.amdhsa_system_vgpr_workitem_id 0
		.amdhsa_next_free_vgpr 1
		.amdhsa_next_free_sgpr 0
		.amdhsa_accum_offset 4
		.amdhsa_reserve_vcc 0
		.amdhsa_reserve_flat_scratch 0
		.amdhsa_float_round_mode_32 0
		.amdhsa_float_round_mode_16_64 0
		.amdhsa_float_denorm_mode_32 3
		.amdhsa_float_denorm_mode_16_64 3
		.amdhsa_dx10_clamp 1
		.amdhsa_ieee_mode 1
		.amdhsa_fp16_overflow 0
		.amdhsa_tg_split 0
		.amdhsa_exception_fp_ieee_invalid_op 0
		.amdhsa_exception_fp_denorm_src 0
		.amdhsa_exception_fp_ieee_div_zero 0
		.amdhsa_exception_fp_ieee_overflow 0
		.amdhsa_exception_fp_ieee_underflow 0
		.amdhsa_exception_fp_ieee_inexact 0
		.amdhsa_exception_int_div_zero 0
	.end_amdhsa_kernel
	.section	.text._ZN7rocprim17ROCPRIM_400000_NS6detail17trampoline_kernelINS0_14default_configENS1_38merge_sort_block_merge_config_selectorIfNS0_10empty_typeEEEZZNS1_27merge_sort_block_merge_implIS3_N6thrust23THRUST_200600_302600_NS6detail15normal_iteratorINS9_10device_ptrIfEEEEPS5_m14custom_greaterIfEEE10hipError_tT0_T1_T2_jT3_P12ihipStream_tbPNSt15iterator_traitsISJ_E10value_typeEPNSP_ISK_E10value_typeEPSL_NS1_7vsmem_tEENKUlT_SJ_SK_SL_E_clISE_PfSF_SF_EESI_SY_SJ_SK_SL_EUlSY_E0_NS1_11comp_targetILNS1_3genE2ELNS1_11target_archE906ELNS1_3gpuE6ELNS1_3repE0EEENS1_38merge_mergepath_config_static_selectorELNS0_4arch9wavefront6targetE1EEEvSK_,"axG",@progbits,_ZN7rocprim17ROCPRIM_400000_NS6detail17trampoline_kernelINS0_14default_configENS1_38merge_sort_block_merge_config_selectorIfNS0_10empty_typeEEEZZNS1_27merge_sort_block_merge_implIS3_N6thrust23THRUST_200600_302600_NS6detail15normal_iteratorINS9_10device_ptrIfEEEEPS5_m14custom_greaterIfEEE10hipError_tT0_T1_T2_jT3_P12ihipStream_tbPNSt15iterator_traitsISJ_E10value_typeEPNSP_ISK_E10value_typeEPSL_NS1_7vsmem_tEENKUlT_SJ_SK_SL_E_clISE_PfSF_SF_EESI_SY_SJ_SK_SL_EUlSY_E0_NS1_11comp_targetILNS1_3genE2ELNS1_11target_archE906ELNS1_3gpuE6ELNS1_3repE0EEENS1_38merge_mergepath_config_static_selectorELNS0_4arch9wavefront6targetE1EEEvSK_,comdat
.Lfunc_end3575:
	.size	_ZN7rocprim17ROCPRIM_400000_NS6detail17trampoline_kernelINS0_14default_configENS1_38merge_sort_block_merge_config_selectorIfNS0_10empty_typeEEEZZNS1_27merge_sort_block_merge_implIS3_N6thrust23THRUST_200600_302600_NS6detail15normal_iteratorINS9_10device_ptrIfEEEEPS5_m14custom_greaterIfEEE10hipError_tT0_T1_T2_jT3_P12ihipStream_tbPNSt15iterator_traitsISJ_E10value_typeEPNSP_ISK_E10value_typeEPSL_NS1_7vsmem_tEENKUlT_SJ_SK_SL_E_clISE_PfSF_SF_EESI_SY_SJ_SK_SL_EUlSY_E0_NS1_11comp_targetILNS1_3genE2ELNS1_11target_archE906ELNS1_3gpuE6ELNS1_3repE0EEENS1_38merge_mergepath_config_static_selectorELNS0_4arch9wavefront6targetE1EEEvSK_, .Lfunc_end3575-_ZN7rocprim17ROCPRIM_400000_NS6detail17trampoline_kernelINS0_14default_configENS1_38merge_sort_block_merge_config_selectorIfNS0_10empty_typeEEEZZNS1_27merge_sort_block_merge_implIS3_N6thrust23THRUST_200600_302600_NS6detail15normal_iteratorINS9_10device_ptrIfEEEEPS5_m14custom_greaterIfEEE10hipError_tT0_T1_T2_jT3_P12ihipStream_tbPNSt15iterator_traitsISJ_E10value_typeEPNSP_ISK_E10value_typeEPSL_NS1_7vsmem_tEENKUlT_SJ_SK_SL_E_clISE_PfSF_SF_EESI_SY_SJ_SK_SL_EUlSY_E0_NS1_11comp_targetILNS1_3genE2ELNS1_11target_archE906ELNS1_3gpuE6ELNS1_3repE0EEENS1_38merge_mergepath_config_static_selectorELNS0_4arch9wavefront6targetE1EEEvSK_
                                        ; -- End function
	.section	.AMDGPU.csdata,"",@progbits
; Kernel info:
; codeLenInByte = 0
; NumSgprs: 4
; NumVgprs: 0
; NumAgprs: 0
; TotalNumVgprs: 0
; ScratchSize: 0
; MemoryBound: 0
; FloatMode: 240
; IeeeMode: 1
; LDSByteSize: 0 bytes/workgroup (compile time only)
; SGPRBlocks: 0
; VGPRBlocks: 0
; NumSGPRsForWavesPerEU: 4
; NumVGPRsForWavesPerEU: 1
; AccumOffset: 4
; Occupancy: 8
; WaveLimiterHint : 0
; COMPUTE_PGM_RSRC2:SCRATCH_EN: 0
; COMPUTE_PGM_RSRC2:USER_SGPR: 6
; COMPUTE_PGM_RSRC2:TRAP_HANDLER: 0
; COMPUTE_PGM_RSRC2:TGID_X_EN: 1
; COMPUTE_PGM_RSRC2:TGID_Y_EN: 0
; COMPUTE_PGM_RSRC2:TGID_Z_EN: 0
; COMPUTE_PGM_RSRC2:TIDIG_COMP_CNT: 0
; COMPUTE_PGM_RSRC3_GFX90A:ACCUM_OFFSET: 0
; COMPUTE_PGM_RSRC3_GFX90A:TG_SPLIT: 0
	.section	.text._ZN7rocprim17ROCPRIM_400000_NS6detail17trampoline_kernelINS0_14default_configENS1_38merge_sort_block_merge_config_selectorIfNS0_10empty_typeEEEZZNS1_27merge_sort_block_merge_implIS3_N6thrust23THRUST_200600_302600_NS6detail15normal_iteratorINS9_10device_ptrIfEEEEPS5_m14custom_greaterIfEEE10hipError_tT0_T1_T2_jT3_P12ihipStream_tbPNSt15iterator_traitsISJ_E10value_typeEPNSP_ISK_E10value_typeEPSL_NS1_7vsmem_tEENKUlT_SJ_SK_SL_E_clISE_PfSF_SF_EESI_SY_SJ_SK_SL_EUlSY_E0_NS1_11comp_targetILNS1_3genE9ELNS1_11target_archE1100ELNS1_3gpuE3ELNS1_3repE0EEENS1_38merge_mergepath_config_static_selectorELNS0_4arch9wavefront6targetE1EEEvSK_,"axG",@progbits,_ZN7rocprim17ROCPRIM_400000_NS6detail17trampoline_kernelINS0_14default_configENS1_38merge_sort_block_merge_config_selectorIfNS0_10empty_typeEEEZZNS1_27merge_sort_block_merge_implIS3_N6thrust23THRUST_200600_302600_NS6detail15normal_iteratorINS9_10device_ptrIfEEEEPS5_m14custom_greaterIfEEE10hipError_tT0_T1_T2_jT3_P12ihipStream_tbPNSt15iterator_traitsISJ_E10value_typeEPNSP_ISK_E10value_typeEPSL_NS1_7vsmem_tEENKUlT_SJ_SK_SL_E_clISE_PfSF_SF_EESI_SY_SJ_SK_SL_EUlSY_E0_NS1_11comp_targetILNS1_3genE9ELNS1_11target_archE1100ELNS1_3gpuE3ELNS1_3repE0EEENS1_38merge_mergepath_config_static_selectorELNS0_4arch9wavefront6targetE1EEEvSK_,comdat
	.protected	_ZN7rocprim17ROCPRIM_400000_NS6detail17trampoline_kernelINS0_14default_configENS1_38merge_sort_block_merge_config_selectorIfNS0_10empty_typeEEEZZNS1_27merge_sort_block_merge_implIS3_N6thrust23THRUST_200600_302600_NS6detail15normal_iteratorINS9_10device_ptrIfEEEEPS5_m14custom_greaterIfEEE10hipError_tT0_T1_T2_jT3_P12ihipStream_tbPNSt15iterator_traitsISJ_E10value_typeEPNSP_ISK_E10value_typeEPSL_NS1_7vsmem_tEENKUlT_SJ_SK_SL_E_clISE_PfSF_SF_EESI_SY_SJ_SK_SL_EUlSY_E0_NS1_11comp_targetILNS1_3genE9ELNS1_11target_archE1100ELNS1_3gpuE3ELNS1_3repE0EEENS1_38merge_mergepath_config_static_selectorELNS0_4arch9wavefront6targetE1EEEvSK_ ; -- Begin function _ZN7rocprim17ROCPRIM_400000_NS6detail17trampoline_kernelINS0_14default_configENS1_38merge_sort_block_merge_config_selectorIfNS0_10empty_typeEEEZZNS1_27merge_sort_block_merge_implIS3_N6thrust23THRUST_200600_302600_NS6detail15normal_iteratorINS9_10device_ptrIfEEEEPS5_m14custom_greaterIfEEE10hipError_tT0_T1_T2_jT3_P12ihipStream_tbPNSt15iterator_traitsISJ_E10value_typeEPNSP_ISK_E10value_typeEPSL_NS1_7vsmem_tEENKUlT_SJ_SK_SL_E_clISE_PfSF_SF_EESI_SY_SJ_SK_SL_EUlSY_E0_NS1_11comp_targetILNS1_3genE9ELNS1_11target_archE1100ELNS1_3gpuE3ELNS1_3repE0EEENS1_38merge_mergepath_config_static_selectorELNS0_4arch9wavefront6targetE1EEEvSK_
	.globl	_ZN7rocprim17ROCPRIM_400000_NS6detail17trampoline_kernelINS0_14default_configENS1_38merge_sort_block_merge_config_selectorIfNS0_10empty_typeEEEZZNS1_27merge_sort_block_merge_implIS3_N6thrust23THRUST_200600_302600_NS6detail15normal_iteratorINS9_10device_ptrIfEEEEPS5_m14custom_greaterIfEEE10hipError_tT0_T1_T2_jT3_P12ihipStream_tbPNSt15iterator_traitsISJ_E10value_typeEPNSP_ISK_E10value_typeEPSL_NS1_7vsmem_tEENKUlT_SJ_SK_SL_E_clISE_PfSF_SF_EESI_SY_SJ_SK_SL_EUlSY_E0_NS1_11comp_targetILNS1_3genE9ELNS1_11target_archE1100ELNS1_3gpuE3ELNS1_3repE0EEENS1_38merge_mergepath_config_static_selectorELNS0_4arch9wavefront6targetE1EEEvSK_
	.p2align	8
	.type	_ZN7rocprim17ROCPRIM_400000_NS6detail17trampoline_kernelINS0_14default_configENS1_38merge_sort_block_merge_config_selectorIfNS0_10empty_typeEEEZZNS1_27merge_sort_block_merge_implIS3_N6thrust23THRUST_200600_302600_NS6detail15normal_iteratorINS9_10device_ptrIfEEEEPS5_m14custom_greaterIfEEE10hipError_tT0_T1_T2_jT3_P12ihipStream_tbPNSt15iterator_traitsISJ_E10value_typeEPNSP_ISK_E10value_typeEPSL_NS1_7vsmem_tEENKUlT_SJ_SK_SL_E_clISE_PfSF_SF_EESI_SY_SJ_SK_SL_EUlSY_E0_NS1_11comp_targetILNS1_3genE9ELNS1_11target_archE1100ELNS1_3gpuE3ELNS1_3repE0EEENS1_38merge_mergepath_config_static_selectorELNS0_4arch9wavefront6targetE1EEEvSK_,@function
_ZN7rocprim17ROCPRIM_400000_NS6detail17trampoline_kernelINS0_14default_configENS1_38merge_sort_block_merge_config_selectorIfNS0_10empty_typeEEEZZNS1_27merge_sort_block_merge_implIS3_N6thrust23THRUST_200600_302600_NS6detail15normal_iteratorINS9_10device_ptrIfEEEEPS5_m14custom_greaterIfEEE10hipError_tT0_T1_T2_jT3_P12ihipStream_tbPNSt15iterator_traitsISJ_E10value_typeEPNSP_ISK_E10value_typeEPSL_NS1_7vsmem_tEENKUlT_SJ_SK_SL_E_clISE_PfSF_SF_EESI_SY_SJ_SK_SL_EUlSY_E0_NS1_11comp_targetILNS1_3genE9ELNS1_11target_archE1100ELNS1_3gpuE3ELNS1_3repE0EEENS1_38merge_mergepath_config_static_selectorELNS0_4arch9wavefront6targetE1EEEvSK_: ; @_ZN7rocprim17ROCPRIM_400000_NS6detail17trampoline_kernelINS0_14default_configENS1_38merge_sort_block_merge_config_selectorIfNS0_10empty_typeEEEZZNS1_27merge_sort_block_merge_implIS3_N6thrust23THRUST_200600_302600_NS6detail15normal_iteratorINS9_10device_ptrIfEEEEPS5_m14custom_greaterIfEEE10hipError_tT0_T1_T2_jT3_P12ihipStream_tbPNSt15iterator_traitsISJ_E10value_typeEPNSP_ISK_E10value_typeEPSL_NS1_7vsmem_tEENKUlT_SJ_SK_SL_E_clISE_PfSF_SF_EESI_SY_SJ_SK_SL_EUlSY_E0_NS1_11comp_targetILNS1_3genE9ELNS1_11target_archE1100ELNS1_3gpuE3ELNS1_3repE0EEENS1_38merge_mergepath_config_static_selectorELNS0_4arch9wavefront6targetE1EEEvSK_
; %bb.0:
	.section	.rodata,"a",@progbits
	.p2align	6, 0x0
	.amdhsa_kernel _ZN7rocprim17ROCPRIM_400000_NS6detail17trampoline_kernelINS0_14default_configENS1_38merge_sort_block_merge_config_selectorIfNS0_10empty_typeEEEZZNS1_27merge_sort_block_merge_implIS3_N6thrust23THRUST_200600_302600_NS6detail15normal_iteratorINS9_10device_ptrIfEEEEPS5_m14custom_greaterIfEEE10hipError_tT0_T1_T2_jT3_P12ihipStream_tbPNSt15iterator_traitsISJ_E10value_typeEPNSP_ISK_E10value_typeEPSL_NS1_7vsmem_tEENKUlT_SJ_SK_SL_E_clISE_PfSF_SF_EESI_SY_SJ_SK_SL_EUlSY_E0_NS1_11comp_targetILNS1_3genE9ELNS1_11target_archE1100ELNS1_3gpuE3ELNS1_3repE0EEENS1_38merge_mergepath_config_static_selectorELNS0_4arch9wavefront6targetE1EEEvSK_
		.amdhsa_group_segment_fixed_size 0
		.amdhsa_private_segment_fixed_size 0
		.amdhsa_kernarg_size 72
		.amdhsa_user_sgpr_count 6
		.amdhsa_user_sgpr_private_segment_buffer 1
		.amdhsa_user_sgpr_dispatch_ptr 0
		.amdhsa_user_sgpr_queue_ptr 0
		.amdhsa_user_sgpr_kernarg_segment_ptr 1
		.amdhsa_user_sgpr_dispatch_id 0
		.amdhsa_user_sgpr_flat_scratch_init 0
		.amdhsa_user_sgpr_kernarg_preload_length 0
		.amdhsa_user_sgpr_kernarg_preload_offset 0
		.amdhsa_user_sgpr_private_segment_size 0
		.amdhsa_uses_dynamic_stack 0
		.amdhsa_system_sgpr_private_segment_wavefront_offset 0
		.amdhsa_system_sgpr_workgroup_id_x 1
		.amdhsa_system_sgpr_workgroup_id_y 0
		.amdhsa_system_sgpr_workgroup_id_z 0
		.amdhsa_system_sgpr_workgroup_info 0
		.amdhsa_system_vgpr_workitem_id 0
		.amdhsa_next_free_vgpr 1
		.amdhsa_next_free_sgpr 0
		.amdhsa_accum_offset 4
		.amdhsa_reserve_vcc 0
		.amdhsa_reserve_flat_scratch 0
		.amdhsa_float_round_mode_32 0
		.amdhsa_float_round_mode_16_64 0
		.amdhsa_float_denorm_mode_32 3
		.amdhsa_float_denorm_mode_16_64 3
		.amdhsa_dx10_clamp 1
		.amdhsa_ieee_mode 1
		.amdhsa_fp16_overflow 0
		.amdhsa_tg_split 0
		.amdhsa_exception_fp_ieee_invalid_op 0
		.amdhsa_exception_fp_denorm_src 0
		.amdhsa_exception_fp_ieee_div_zero 0
		.amdhsa_exception_fp_ieee_overflow 0
		.amdhsa_exception_fp_ieee_underflow 0
		.amdhsa_exception_fp_ieee_inexact 0
		.amdhsa_exception_int_div_zero 0
	.end_amdhsa_kernel
	.section	.text._ZN7rocprim17ROCPRIM_400000_NS6detail17trampoline_kernelINS0_14default_configENS1_38merge_sort_block_merge_config_selectorIfNS0_10empty_typeEEEZZNS1_27merge_sort_block_merge_implIS3_N6thrust23THRUST_200600_302600_NS6detail15normal_iteratorINS9_10device_ptrIfEEEEPS5_m14custom_greaterIfEEE10hipError_tT0_T1_T2_jT3_P12ihipStream_tbPNSt15iterator_traitsISJ_E10value_typeEPNSP_ISK_E10value_typeEPSL_NS1_7vsmem_tEENKUlT_SJ_SK_SL_E_clISE_PfSF_SF_EESI_SY_SJ_SK_SL_EUlSY_E0_NS1_11comp_targetILNS1_3genE9ELNS1_11target_archE1100ELNS1_3gpuE3ELNS1_3repE0EEENS1_38merge_mergepath_config_static_selectorELNS0_4arch9wavefront6targetE1EEEvSK_,"axG",@progbits,_ZN7rocprim17ROCPRIM_400000_NS6detail17trampoline_kernelINS0_14default_configENS1_38merge_sort_block_merge_config_selectorIfNS0_10empty_typeEEEZZNS1_27merge_sort_block_merge_implIS3_N6thrust23THRUST_200600_302600_NS6detail15normal_iteratorINS9_10device_ptrIfEEEEPS5_m14custom_greaterIfEEE10hipError_tT0_T1_T2_jT3_P12ihipStream_tbPNSt15iterator_traitsISJ_E10value_typeEPNSP_ISK_E10value_typeEPSL_NS1_7vsmem_tEENKUlT_SJ_SK_SL_E_clISE_PfSF_SF_EESI_SY_SJ_SK_SL_EUlSY_E0_NS1_11comp_targetILNS1_3genE9ELNS1_11target_archE1100ELNS1_3gpuE3ELNS1_3repE0EEENS1_38merge_mergepath_config_static_selectorELNS0_4arch9wavefront6targetE1EEEvSK_,comdat
.Lfunc_end3576:
	.size	_ZN7rocprim17ROCPRIM_400000_NS6detail17trampoline_kernelINS0_14default_configENS1_38merge_sort_block_merge_config_selectorIfNS0_10empty_typeEEEZZNS1_27merge_sort_block_merge_implIS3_N6thrust23THRUST_200600_302600_NS6detail15normal_iteratorINS9_10device_ptrIfEEEEPS5_m14custom_greaterIfEEE10hipError_tT0_T1_T2_jT3_P12ihipStream_tbPNSt15iterator_traitsISJ_E10value_typeEPNSP_ISK_E10value_typeEPSL_NS1_7vsmem_tEENKUlT_SJ_SK_SL_E_clISE_PfSF_SF_EESI_SY_SJ_SK_SL_EUlSY_E0_NS1_11comp_targetILNS1_3genE9ELNS1_11target_archE1100ELNS1_3gpuE3ELNS1_3repE0EEENS1_38merge_mergepath_config_static_selectorELNS0_4arch9wavefront6targetE1EEEvSK_, .Lfunc_end3576-_ZN7rocprim17ROCPRIM_400000_NS6detail17trampoline_kernelINS0_14default_configENS1_38merge_sort_block_merge_config_selectorIfNS0_10empty_typeEEEZZNS1_27merge_sort_block_merge_implIS3_N6thrust23THRUST_200600_302600_NS6detail15normal_iteratorINS9_10device_ptrIfEEEEPS5_m14custom_greaterIfEEE10hipError_tT0_T1_T2_jT3_P12ihipStream_tbPNSt15iterator_traitsISJ_E10value_typeEPNSP_ISK_E10value_typeEPSL_NS1_7vsmem_tEENKUlT_SJ_SK_SL_E_clISE_PfSF_SF_EESI_SY_SJ_SK_SL_EUlSY_E0_NS1_11comp_targetILNS1_3genE9ELNS1_11target_archE1100ELNS1_3gpuE3ELNS1_3repE0EEENS1_38merge_mergepath_config_static_selectorELNS0_4arch9wavefront6targetE1EEEvSK_
                                        ; -- End function
	.section	.AMDGPU.csdata,"",@progbits
; Kernel info:
; codeLenInByte = 0
; NumSgprs: 4
; NumVgprs: 0
; NumAgprs: 0
; TotalNumVgprs: 0
; ScratchSize: 0
; MemoryBound: 0
; FloatMode: 240
; IeeeMode: 1
; LDSByteSize: 0 bytes/workgroup (compile time only)
; SGPRBlocks: 0
; VGPRBlocks: 0
; NumSGPRsForWavesPerEU: 4
; NumVGPRsForWavesPerEU: 1
; AccumOffset: 4
; Occupancy: 8
; WaveLimiterHint : 0
; COMPUTE_PGM_RSRC2:SCRATCH_EN: 0
; COMPUTE_PGM_RSRC2:USER_SGPR: 6
; COMPUTE_PGM_RSRC2:TRAP_HANDLER: 0
; COMPUTE_PGM_RSRC2:TGID_X_EN: 1
; COMPUTE_PGM_RSRC2:TGID_Y_EN: 0
; COMPUTE_PGM_RSRC2:TGID_Z_EN: 0
; COMPUTE_PGM_RSRC2:TIDIG_COMP_CNT: 0
; COMPUTE_PGM_RSRC3_GFX90A:ACCUM_OFFSET: 0
; COMPUTE_PGM_RSRC3_GFX90A:TG_SPLIT: 0
	.section	.text._ZN7rocprim17ROCPRIM_400000_NS6detail17trampoline_kernelINS0_14default_configENS1_38merge_sort_block_merge_config_selectorIfNS0_10empty_typeEEEZZNS1_27merge_sort_block_merge_implIS3_N6thrust23THRUST_200600_302600_NS6detail15normal_iteratorINS9_10device_ptrIfEEEEPS5_m14custom_greaterIfEEE10hipError_tT0_T1_T2_jT3_P12ihipStream_tbPNSt15iterator_traitsISJ_E10value_typeEPNSP_ISK_E10value_typeEPSL_NS1_7vsmem_tEENKUlT_SJ_SK_SL_E_clISE_PfSF_SF_EESI_SY_SJ_SK_SL_EUlSY_E0_NS1_11comp_targetILNS1_3genE8ELNS1_11target_archE1030ELNS1_3gpuE2ELNS1_3repE0EEENS1_38merge_mergepath_config_static_selectorELNS0_4arch9wavefront6targetE1EEEvSK_,"axG",@progbits,_ZN7rocprim17ROCPRIM_400000_NS6detail17trampoline_kernelINS0_14default_configENS1_38merge_sort_block_merge_config_selectorIfNS0_10empty_typeEEEZZNS1_27merge_sort_block_merge_implIS3_N6thrust23THRUST_200600_302600_NS6detail15normal_iteratorINS9_10device_ptrIfEEEEPS5_m14custom_greaterIfEEE10hipError_tT0_T1_T2_jT3_P12ihipStream_tbPNSt15iterator_traitsISJ_E10value_typeEPNSP_ISK_E10value_typeEPSL_NS1_7vsmem_tEENKUlT_SJ_SK_SL_E_clISE_PfSF_SF_EESI_SY_SJ_SK_SL_EUlSY_E0_NS1_11comp_targetILNS1_3genE8ELNS1_11target_archE1030ELNS1_3gpuE2ELNS1_3repE0EEENS1_38merge_mergepath_config_static_selectorELNS0_4arch9wavefront6targetE1EEEvSK_,comdat
	.protected	_ZN7rocprim17ROCPRIM_400000_NS6detail17trampoline_kernelINS0_14default_configENS1_38merge_sort_block_merge_config_selectorIfNS0_10empty_typeEEEZZNS1_27merge_sort_block_merge_implIS3_N6thrust23THRUST_200600_302600_NS6detail15normal_iteratorINS9_10device_ptrIfEEEEPS5_m14custom_greaterIfEEE10hipError_tT0_T1_T2_jT3_P12ihipStream_tbPNSt15iterator_traitsISJ_E10value_typeEPNSP_ISK_E10value_typeEPSL_NS1_7vsmem_tEENKUlT_SJ_SK_SL_E_clISE_PfSF_SF_EESI_SY_SJ_SK_SL_EUlSY_E0_NS1_11comp_targetILNS1_3genE8ELNS1_11target_archE1030ELNS1_3gpuE2ELNS1_3repE0EEENS1_38merge_mergepath_config_static_selectorELNS0_4arch9wavefront6targetE1EEEvSK_ ; -- Begin function _ZN7rocprim17ROCPRIM_400000_NS6detail17trampoline_kernelINS0_14default_configENS1_38merge_sort_block_merge_config_selectorIfNS0_10empty_typeEEEZZNS1_27merge_sort_block_merge_implIS3_N6thrust23THRUST_200600_302600_NS6detail15normal_iteratorINS9_10device_ptrIfEEEEPS5_m14custom_greaterIfEEE10hipError_tT0_T1_T2_jT3_P12ihipStream_tbPNSt15iterator_traitsISJ_E10value_typeEPNSP_ISK_E10value_typeEPSL_NS1_7vsmem_tEENKUlT_SJ_SK_SL_E_clISE_PfSF_SF_EESI_SY_SJ_SK_SL_EUlSY_E0_NS1_11comp_targetILNS1_3genE8ELNS1_11target_archE1030ELNS1_3gpuE2ELNS1_3repE0EEENS1_38merge_mergepath_config_static_selectorELNS0_4arch9wavefront6targetE1EEEvSK_
	.globl	_ZN7rocprim17ROCPRIM_400000_NS6detail17trampoline_kernelINS0_14default_configENS1_38merge_sort_block_merge_config_selectorIfNS0_10empty_typeEEEZZNS1_27merge_sort_block_merge_implIS3_N6thrust23THRUST_200600_302600_NS6detail15normal_iteratorINS9_10device_ptrIfEEEEPS5_m14custom_greaterIfEEE10hipError_tT0_T1_T2_jT3_P12ihipStream_tbPNSt15iterator_traitsISJ_E10value_typeEPNSP_ISK_E10value_typeEPSL_NS1_7vsmem_tEENKUlT_SJ_SK_SL_E_clISE_PfSF_SF_EESI_SY_SJ_SK_SL_EUlSY_E0_NS1_11comp_targetILNS1_3genE8ELNS1_11target_archE1030ELNS1_3gpuE2ELNS1_3repE0EEENS1_38merge_mergepath_config_static_selectorELNS0_4arch9wavefront6targetE1EEEvSK_
	.p2align	8
	.type	_ZN7rocprim17ROCPRIM_400000_NS6detail17trampoline_kernelINS0_14default_configENS1_38merge_sort_block_merge_config_selectorIfNS0_10empty_typeEEEZZNS1_27merge_sort_block_merge_implIS3_N6thrust23THRUST_200600_302600_NS6detail15normal_iteratorINS9_10device_ptrIfEEEEPS5_m14custom_greaterIfEEE10hipError_tT0_T1_T2_jT3_P12ihipStream_tbPNSt15iterator_traitsISJ_E10value_typeEPNSP_ISK_E10value_typeEPSL_NS1_7vsmem_tEENKUlT_SJ_SK_SL_E_clISE_PfSF_SF_EESI_SY_SJ_SK_SL_EUlSY_E0_NS1_11comp_targetILNS1_3genE8ELNS1_11target_archE1030ELNS1_3gpuE2ELNS1_3repE0EEENS1_38merge_mergepath_config_static_selectorELNS0_4arch9wavefront6targetE1EEEvSK_,@function
_ZN7rocprim17ROCPRIM_400000_NS6detail17trampoline_kernelINS0_14default_configENS1_38merge_sort_block_merge_config_selectorIfNS0_10empty_typeEEEZZNS1_27merge_sort_block_merge_implIS3_N6thrust23THRUST_200600_302600_NS6detail15normal_iteratorINS9_10device_ptrIfEEEEPS5_m14custom_greaterIfEEE10hipError_tT0_T1_T2_jT3_P12ihipStream_tbPNSt15iterator_traitsISJ_E10value_typeEPNSP_ISK_E10value_typeEPSL_NS1_7vsmem_tEENKUlT_SJ_SK_SL_E_clISE_PfSF_SF_EESI_SY_SJ_SK_SL_EUlSY_E0_NS1_11comp_targetILNS1_3genE8ELNS1_11target_archE1030ELNS1_3gpuE2ELNS1_3repE0EEENS1_38merge_mergepath_config_static_selectorELNS0_4arch9wavefront6targetE1EEEvSK_: ; @_ZN7rocprim17ROCPRIM_400000_NS6detail17trampoline_kernelINS0_14default_configENS1_38merge_sort_block_merge_config_selectorIfNS0_10empty_typeEEEZZNS1_27merge_sort_block_merge_implIS3_N6thrust23THRUST_200600_302600_NS6detail15normal_iteratorINS9_10device_ptrIfEEEEPS5_m14custom_greaterIfEEE10hipError_tT0_T1_T2_jT3_P12ihipStream_tbPNSt15iterator_traitsISJ_E10value_typeEPNSP_ISK_E10value_typeEPSL_NS1_7vsmem_tEENKUlT_SJ_SK_SL_E_clISE_PfSF_SF_EESI_SY_SJ_SK_SL_EUlSY_E0_NS1_11comp_targetILNS1_3genE8ELNS1_11target_archE1030ELNS1_3gpuE2ELNS1_3repE0EEENS1_38merge_mergepath_config_static_selectorELNS0_4arch9wavefront6targetE1EEEvSK_
; %bb.0:
	.section	.rodata,"a",@progbits
	.p2align	6, 0x0
	.amdhsa_kernel _ZN7rocprim17ROCPRIM_400000_NS6detail17trampoline_kernelINS0_14default_configENS1_38merge_sort_block_merge_config_selectorIfNS0_10empty_typeEEEZZNS1_27merge_sort_block_merge_implIS3_N6thrust23THRUST_200600_302600_NS6detail15normal_iteratorINS9_10device_ptrIfEEEEPS5_m14custom_greaterIfEEE10hipError_tT0_T1_T2_jT3_P12ihipStream_tbPNSt15iterator_traitsISJ_E10value_typeEPNSP_ISK_E10value_typeEPSL_NS1_7vsmem_tEENKUlT_SJ_SK_SL_E_clISE_PfSF_SF_EESI_SY_SJ_SK_SL_EUlSY_E0_NS1_11comp_targetILNS1_3genE8ELNS1_11target_archE1030ELNS1_3gpuE2ELNS1_3repE0EEENS1_38merge_mergepath_config_static_selectorELNS0_4arch9wavefront6targetE1EEEvSK_
		.amdhsa_group_segment_fixed_size 0
		.amdhsa_private_segment_fixed_size 0
		.amdhsa_kernarg_size 72
		.amdhsa_user_sgpr_count 6
		.amdhsa_user_sgpr_private_segment_buffer 1
		.amdhsa_user_sgpr_dispatch_ptr 0
		.amdhsa_user_sgpr_queue_ptr 0
		.amdhsa_user_sgpr_kernarg_segment_ptr 1
		.amdhsa_user_sgpr_dispatch_id 0
		.amdhsa_user_sgpr_flat_scratch_init 0
		.amdhsa_user_sgpr_kernarg_preload_length 0
		.amdhsa_user_sgpr_kernarg_preload_offset 0
		.amdhsa_user_sgpr_private_segment_size 0
		.amdhsa_uses_dynamic_stack 0
		.amdhsa_system_sgpr_private_segment_wavefront_offset 0
		.amdhsa_system_sgpr_workgroup_id_x 1
		.amdhsa_system_sgpr_workgroup_id_y 0
		.amdhsa_system_sgpr_workgroup_id_z 0
		.amdhsa_system_sgpr_workgroup_info 0
		.amdhsa_system_vgpr_workitem_id 0
		.amdhsa_next_free_vgpr 1
		.amdhsa_next_free_sgpr 0
		.amdhsa_accum_offset 4
		.amdhsa_reserve_vcc 0
		.amdhsa_reserve_flat_scratch 0
		.amdhsa_float_round_mode_32 0
		.amdhsa_float_round_mode_16_64 0
		.amdhsa_float_denorm_mode_32 3
		.amdhsa_float_denorm_mode_16_64 3
		.amdhsa_dx10_clamp 1
		.amdhsa_ieee_mode 1
		.amdhsa_fp16_overflow 0
		.amdhsa_tg_split 0
		.amdhsa_exception_fp_ieee_invalid_op 0
		.amdhsa_exception_fp_denorm_src 0
		.amdhsa_exception_fp_ieee_div_zero 0
		.amdhsa_exception_fp_ieee_overflow 0
		.amdhsa_exception_fp_ieee_underflow 0
		.amdhsa_exception_fp_ieee_inexact 0
		.amdhsa_exception_int_div_zero 0
	.end_amdhsa_kernel
	.section	.text._ZN7rocprim17ROCPRIM_400000_NS6detail17trampoline_kernelINS0_14default_configENS1_38merge_sort_block_merge_config_selectorIfNS0_10empty_typeEEEZZNS1_27merge_sort_block_merge_implIS3_N6thrust23THRUST_200600_302600_NS6detail15normal_iteratorINS9_10device_ptrIfEEEEPS5_m14custom_greaterIfEEE10hipError_tT0_T1_T2_jT3_P12ihipStream_tbPNSt15iterator_traitsISJ_E10value_typeEPNSP_ISK_E10value_typeEPSL_NS1_7vsmem_tEENKUlT_SJ_SK_SL_E_clISE_PfSF_SF_EESI_SY_SJ_SK_SL_EUlSY_E0_NS1_11comp_targetILNS1_3genE8ELNS1_11target_archE1030ELNS1_3gpuE2ELNS1_3repE0EEENS1_38merge_mergepath_config_static_selectorELNS0_4arch9wavefront6targetE1EEEvSK_,"axG",@progbits,_ZN7rocprim17ROCPRIM_400000_NS6detail17trampoline_kernelINS0_14default_configENS1_38merge_sort_block_merge_config_selectorIfNS0_10empty_typeEEEZZNS1_27merge_sort_block_merge_implIS3_N6thrust23THRUST_200600_302600_NS6detail15normal_iteratorINS9_10device_ptrIfEEEEPS5_m14custom_greaterIfEEE10hipError_tT0_T1_T2_jT3_P12ihipStream_tbPNSt15iterator_traitsISJ_E10value_typeEPNSP_ISK_E10value_typeEPSL_NS1_7vsmem_tEENKUlT_SJ_SK_SL_E_clISE_PfSF_SF_EESI_SY_SJ_SK_SL_EUlSY_E0_NS1_11comp_targetILNS1_3genE8ELNS1_11target_archE1030ELNS1_3gpuE2ELNS1_3repE0EEENS1_38merge_mergepath_config_static_selectorELNS0_4arch9wavefront6targetE1EEEvSK_,comdat
.Lfunc_end3577:
	.size	_ZN7rocprim17ROCPRIM_400000_NS6detail17trampoline_kernelINS0_14default_configENS1_38merge_sort_block_merge_config_selectorIfNS0_10empty_typeEEEZZNS1_27merge_sort_block_merge_implIS3_N6thrust23THRUST_200600_302600_NS6detail15normal_iteratorINS9_10device_ptrIfEEEEPS5_m14custom_greaterIfEEE10hipError_tT0_T1_T2_jT3_P12ihipStream_tbPNSt15iterator_traitsISJ_E10value_typeEPNSP_ISK_E10value_typeEPSL_NS1_7vsmem_tEENKUlT_SJ_SK_SL_E_clISE_PfSF_SF_EESI_SY_SJ_SK_SL_EUlSY_E0_NS1_11comp_targetILNS1_3genE8ELNS1_11target_archE1030ELNS1_3gpuE2ELNS1_3repE0EEENS1_38merge_mergepath_config_static_selectorELNS0_4arch9wavefront6targetE1EEEvSK_, .Lfunc_end3577-_ZN7rocprim17ROCPRIM_400000_NS6detail17trampoline_kernelINS0_14default_configENS1_38merge_sort_block_merge_config_selectorIfNS0_10empty_typeEEEZZNS1_27merge_sort_block_merge_implIS3_N6thrust23THRUST_200600_302600_NS6detail15normal_iteratorINS9_10device_ptrIfEEEEPS5_m14custom_greaterIfEEE10hipError_tT0_T1_T2_jT3_P12ihipStream_tbPNSt15iterator_traitsISJ_E10value_typeEPNSP_ISK_E10value_typeEPSL_NS1_7vsmem_tEENKUlT_SJ_SK_SL_E_clISE_PfSF_SF_EESI_SY_SJ_SK_SL_EUlSY_E0_NS1_11comp_targetILNS1_3genE8ELNS1_11target_archE1030ELNS1_3gpuE2ELNS1_3repE0EEENS1_38merge_mergepath_config_static_selectorELNS0_4arch9wavefront6targetE1EEEvSK_
                                        ; -- End function
	.section	.AMDGPU.csdata,"",@progbits
; Kernel info:
; codeLenInByte = 0
; NumSgprs: 4
; NumVgprs: 0
; NumAgprs: 0
; TotalNumVgprs: 0
; ScratchSize: 0
; MemoryBound: 0
; FloatMode: 240
; IeeeMode: 1
; LDSByteSize: 0 bytes/workgroup (compile time only)
; SGPRBlocks: 0
; VGPRBlocks: 0
; NumSGPRsForWavesPerEU: 4
; NumVGPRsForWavesPerEU: 1
; AccumOffset: 4
; Occupancy: 8
; WaveLimiterHint : 0
; COMPUTE_PGM_RSRC2:SCRATCH_EN: 0
; COMPUTE_PGM_RSRC2:USER_SGPR: 6
; COMPUTE_PGM_RSRC2:TRAP_HANDLER: 0
; COMPUTE_PGM_RSRC2:TGID_X_EN: 1
; COMPUTE_PGM_RSRC2:TGID_Y_EN: 0
; COMPUTE_PGM_RSRC2:TGID_Z_EN: 0
; COMPUTE_PGM_RSRC2:TIDIG_COMP_CNT: 0
; COMPUTE_PGM_RSRC3_GFX90A:ACCUM_OFFSET: 0
; COMPUTE_PGM_RSRC3_GFX90A:TG_SPLIT: 0
	.section	.text._ZN7rocprim17ROCPRIM_400000_NS6detail17trampoline_kernelINS0_14default_configENS1_38merge_sort_block_merge_config_selectorIfNS0_10empty_typeEEEZZNS1_27merge_sort_block_merge_implIS3_N6thrust23THRUST_200600_302600_NS6detail15normal_iteratorINS9_10device_ptrIfEEEEPS5_m14custom_greaterIfEEE10hipError_tT0_T1_T2_jT3_P12ihipStream_tbPNSt15iterator_traitsISJ_E10value_typeEPNSP_ISK_E10value_typeEPSL_NS1_7vsmem_tEENKUlT_SJ_SK_SL_E_clISE_PfSF_SF_EESI_SY_SJ_SK_SL_EUlSY_E1_NS1_11comp_targetILNS1_3genE0ELNS1_11target_archE4294967295ELNS1_3gpuE0ELNS1_3repE0EEENS1_36merge_oddeven_config_static_selectorELNS0_4arch9wavefront6targetE1EEEvSK_,"axG",@progbits,_ZN7rocprim17ROCPRIM_400000_NS6detail17trampoline_kernelINS0_14default_configENS1_38merge_sort_block_merge_config_selectorIfNS0_10empty_typeEEEZZNS1_27merge_sort_block_merge_implIS3_N6thrust23THRUST_200600_302600_NS6detail15normal_iteratorINS9_10device_ptrIfEEEEPS5_m14custom_greaterIfEEE10hipError_tT0_T1_T2_jT3_P12ihipStream_tbPNSt15iterator_traitsISJ_E10value_typeEPNSP_ISK_E10value_typeEPSL_NS1_7vsmem_tEENKUlT_SJ_SK_SL_E_clISE_PfSF_SF_EESI_SY_SJ_SK_SL_EUlSY_E1_NS1_11comp_targetILNS1_3genE0ELNS1_11target_archE4294967295ELNS1_3gpuE0ELNS1_3repE0EEENS1_36merge_oddeven_config_static_selectorELNS0_4arch9wavefront6targetE1EEEvSK_,comdat
	.protected	_ZN7rocprim17ROCPRIM_400000_NS6detail17trampoline_kernelINS0_14default_configENS1_38merge_sort_block_merge_config_selectorIfNS0_10empty_typeEEEZZNS1_27merge_sort_block_merge_implIS3_N6thrust23THRUST_200600_302600_NS6detail15normal_iteratorINS9_10device_ptrIfEEEEPS5_m14custom_greaterIfEEE10hipError_tT0_T1_T2_jT3_P12ihipStream_tbPNSt15iterator_traitsISJ_E10value_typeEPNSP_ISK_E10value_typeEPSL_NS1_7vsmem_tEENKUlT_SJ_SK_SL_E_clISE_PfSF_SF_EESI_SY_SJ_SK_SL_EUlSY_E1_NS1_11comp_targetILNS1_3genE0ELNS1_11target_archE4294967295ELNS1_3gpuE0ELNS1_3repE0EEENS1_36merge_oddeven_config_static_selectorELNS0_4arch9wavefront6targetE1EEEvSK_ ; -- Begin function _ZN7rocprim17ROCPRIM_400000_NS6detail17trampoline_kernelINS0_14default_configENS1_38merge_sort_block_merge_config_selectorIfNS0_10empty_typeEEEZZNS1_27merge_sort_block_merge_implIS3_N6thrust23THRUST_200600_302600_NS6detail15normal_iteratorINS9_10device_ptrIfEEEEPS5_m14custom_greaterIfEEE10hipError_tT0_T1_T2_jT3_P12ihipStream_tbPNSt15iterator_traitsISJ_E10value_typeEPNSP_ISK_E10value_typeEPSL_NS1_7vsmem_tEENKUlT_SJ_SK_SL_E_clISE_PfSF_SF_EESI_SY_SJ_SK_SL_EUlSY_E1_NS1_11comp_targetILNS1_3genE0ELNS1_11target_archE4294967295ELNS1_3gpuE0ELNS1_3repE0EEENS1_36merge_oddeven_config_static_selectorELNS0_4arch9wavefront6targetE1EEEvSK_
	.globl	_ZN7rocprim17ROCPRIM_400000_NS6detail17trampoline_kernelINS0_14default_configENS1_38merge_sort_block_merge_config_selectorIfNS0_10empty_typeEEEZZNS1_27merge_sort_block_merge_implIS3_N6thrust23THRUST_200600_302600_NS6detail15normal_iteratorINS9_10device_ptrIfEEEEPS5_m14custom_greaterIfEEE10hipError_tT0_T1_T2_jT3_P12ihipStream_tbPNSt15iterator_traitsISJ_E10value_typeEPNSP_ISK_E10value_typeEPSL_NS1_7vsmem_tEENKUlT_SJ_SK_SL_E_clISE_PfSF_SF_EESI_SY_SJ_SK_SL_EUlSY_E1_NS1_11comp_targetILNS1_3genE0ELNS1_11target_archE4294967295ELNS1_3gpuE0ELNS1_3repE0EEENS1_36merge_oddeven_config_static_selectorELNS0_4arch9wavefront6targetE1EEEvSK_
	.p2align	8
	.type	_ZN7rocprim17ROCPRIM_400000_NS6detail17trampoline_kernelINS0_14default_configENS1_38merge_sort_block_merge_config_selectorIfNS0_10empty_typeEEEZZNS1_27merge_sort_block_merge_implIS3_N6thrust23THRUST_200600_302600_NS6detail15normal_iteratorINS9_10device_ptrIfEEEEPS5_m14custom_greaterIfEEE10hipError_tT0_T1_T2_jT3_P12ihipStream_tbPNSt15iterator_traitsISJ_E10value_typeEPNSP_ISK_E10value_typeEPSL_NS1_7vsmem_tEENKUlT_SJ_SK_SL_E_clISE_PfSF_SF_EESI_SY_SJ_SK_SL_EUlSY_E1_NS1_11comp_targetILNS1_3genE0ELNS1_11target_archE4294967295ELNS1_3gpuE0ELNS1_3repE0EEENS1_36merge_oddeven_config_static_selectorELNS0_4arch9wavefront6targetE1EEEvSK_,@function
_ZN7rocprim17ROCPRIM_400000_NS6detail17trampoline_kernelINS0_14default_configENS1_38merge_sort_block_merge_config_selectorIfNS0_10empty_typeEEEZZNS1_27merge_sort_block_merge_implIS3_N6thrust23THRUST_200600_302600_NS6detail15normal_iteratorINS9_10device_ptrIfEEEEPS5_m14custom_greaterIfEEE10hipError_tT0_T1_T2_jT3_P12ihipStream_tbPNSt15iterator_traitsISJ_E10value_typeEPNSP_ISK_E10value_typeEPSL_NS1_7vsmem_tEENKUlT_SJ_SK_SL_E_clISE_PfSF_SF_EESI_SY_SJ_SK_SL_EUlSY_E1_NS1_11comp_targetILNS1_3genE0ELNS1_11target_archE4294967295ELNS1_3gpuE0ELNS1_3repE0EEENS1_36merge_oddeven_config_static_selectorELNS0_4arch9wavefront6targetE1EEEvSK_: ; @_ZN7rocprim17ROCPRIM_400000_NS6detail17trampoline_kernelINS0_14default_configENS1_38merge_sort_block_merge_config_selectorIfNS0_10empty_typeEEEZZNS1_27merge_sort_block_merge_implIS3_N6thrust23THRUST_200600_302600_NS6detail15normal_iteratorINS9_10device_ptrIfEEEEPS5_m14custom_greaterIfEEE10hipError_tT0_T1_T2_jT3_P12ihipStream_tbPNSt15iterator_traitsISJ_E10value_typeEPNSP_ISK_E10value_typeEPSL_NS1_7vsmem_tEENKUlT_SJ_SK_SL_E_clISE_PfSF_SF_EESI_SY_SJ_SK_SL_EUlSY_E1_NS1_11comp_targetILNS1_3genE0ELNS1_11target_archE4294967295ELNS1_3gpuE0ELNS1_3repE0EEENS1_36merge_oddeven_config_static_selectorELNS0_4arch9wavefront6targetE1EEEvSK_
; %bb.0:
	.section	.rodata,"a",@progbits
	.p2align	6, 0x0
	.amdhsa_kernel _ZN7rocprim17ROCPRIM_400000_NS6detail17trampoline_kernelINS0_14default_configENS1_38merge_sort_block_merge_config_selectorIfNS0_10empty_typeEEEZZNS1_27merge_sort_block_merge_implIS3_N6thrust23THRUST_200600_302600_NS6detail15normal_iteratorINS9_10device_ptrIfEEEEPS5_m14custom_greaterIfEEE10hipError_tT0_T1_T2_jT3_P12ihipStream_tbPNSt15iterator_traitsISJ_E10value_typeEPNSP_ISK_E10value_typeEPSL_NS1_7vsmem_tEENKUlT_SJ_SK_SL_E_clISE_PfSF_SF_EESI_SY_SJ_SK_SL_EUlSY_E1_NS1_11comp_targetILNS1_3genE0ELNS1_11target_archE4294967295ELNS1_3gpuE0ELNS1_3repE0EEENS1_36merge_oddeven_config_static_selectorELNS0_4arch9wavefront6targetE1EEEvSK_
		.amdhsa_group_segment_fixed_size 0
		.amdhsa_private_segment_fixed_size 0
		.amdhsa_kernarg_size 56
		.amdhsa_user_sgpr_count 6
		.amdhsa_user_sgpr_private_segment_buffer 1
		.amdhsa_user_sgpr_dispatch_ptr 0
		.amdhsa_user_sgpr_queue_ptr 0
		.amdhsa_user_sgpr_kernarg_segment_ptr 1
		.amdhsa_user_sgpr_dispatch_id 0
		.amdhsa_user_sgpr_flat_scratch_init 0
		.amdhsa_user_sgpr_kernarg_preload_length 0
		.amdhsa_user_sgpr_kernarg_preload_offset 0
		.amdhsa_user_sgpr_private_segment_size 0
		.amdhsa_uses_dynamic_stack 0
		.amdhsa_system_sgpr_private_segment_wavefront_offset 0
		.amdhsa_system_sgpr_workgroup_id_x 1
		.amdhsa_system_sgpr_workgroup_id_y 0
		.amdhsa_system_sgpr_workgroup_id_z 0
		.amdhsa_system_sgpr_workgroup_info 0
		.amdhsa_system_vgpr_workitem_id 0
		.amdhsa_next_free_vgpr 1
		.amdhsa_next_free_sgpr 0
		.amdhsa_accum_offset 4
		.amdhsa_reserve_vcc 0
		.amdhsa_reserve_flat_scratch 0
		.amdhsa_float_round_mode_32 0
		.amdhsa_float_round_mode_16_64 0
		.amdhsa_float_denorm_mode_32 3
		.amdhsa_float_denorm_mode_16_64 3
		.amdhsa_dx10_clamp 1
		.amdhsa_ieee_mode 1
		.amdhsa_fp16_overflow 0
		.amdhsa_tg_split 0
		.amdhsa_exception_fp_ieee_invalid_op 0
		.amdhsa_exception_fp_denorm_src 0
		.amdhsa_exception_fp_ieee_div_zero 0
		.amdhsa_exception_fp_ieee_overflow 0
		.amdhsa_exception_fp_ieee_underflow 0
		.amdhsa_exception_fp_ieee_inexact 0
		.amdhsa_exception_int_div_zero 0
	.end_amdhsa_kernel
	.section	.text._ZN7rocprim17ROCPRIM_400000_NS6detail17trampoline_kernelINS0_14default_configENS1_38merge_sort_block_merge_config_selectorIfNS0_10empty_typeEEEZZNS1_27merge_sort_block_merge_implIS3_N6thrust23THRUST_200600_302600_NS6detail15normal_iteratorINS9_10device_ptrIfEEEEPS5_m14custom_greaterIfEEE10hipError_tT0_T1_T2_jT3_P12ihipStream_tbPNSt15iterator_traitsISJ_E10value_typeEPNSP_ISK_E10value_typeEPSL_NS1_7vsmem_tEENKUlT_SJ_SK_SL_E_clISE_PfSF_SF_EESI_SY_SJ_SK_SL_EUlSY_E1_NS1_11comp_targetILNS1_3genE0ELNS1_11target_archE4294967295ELNS1_3gpuE0ELNS1_3repE0EEENS1_36merge_oddeven_config_static_selectorELNS0_4arch9wavefront6targetE1EEEvSK_,"axG",@progbits,_ZN7rocprim17ROCPRIM_400000_NS6detail17trampoline_kernelINS0_14default_configENS1_38merge_sort_block_merge_config_selectorIfNS0_10empty_typeEEEZZNS1_27merge_sort_block_merge_implIS3_N6thrust23THRUST_200600_302600_NS6detail15normal_iteratorINS9_10device_ptrIfEEEEPS5_m14custom_greaterIfEEE10hipError_tT0_T1_T2_jT3_P12ihipStream_tbPNSt15iterator_traitsISJ_E10value_typeEPNSP_ISK_E10value_typeEPSL_NS1_7vsmem_tEENKUlT_SJ_SK_SL_E_clISE_PfSF_SF_EESI_SY_SJ_SK_SL_EUlSY_E1_NS1_11comp_targetILNS1_3genE0ELNS1_11target_archE4294967295ELNS1_3gpuE0ELNS1_3repE0EEENS1_36merge_oddeven_config_static_selectorELNS0_4arch9wavefront6targetE1EEEvSK_,comdat
.Lfunc_end3578:
	.size	_ZN7rocprim17ROCPRIM_400000_NS6detail17trampoline_kernelINS0_14default_configENS1_38merge_sort_block_merge_config_selectorIfNS0_10empty_typeEEEZZNS1_27merge_sort_block_merge_implIS3_N6thrust23THRUST_200600_302600_NS6detail15normal_iteratorINS9_10device_ptrIfEEEEPS5_m14custom_greaterIfEEE10hipError_tT0_T1_T2_jT3_P12ihipStream_tbPNSt15iterator_traitsISJ_E10value_typeEPNSP_ISK_E10value_typeEPSL_NS1_7vsmem_tEENKUlT_SJ_SK_SL_E_clISE_PfSF_SF_EESI_SY_SJ_SK_SL_EUlSY_E1_NS1_11comp_targetILNS1_3genE0ELNS1_11target_archE4294967295ELNS1_3gpuE0ELNS1_3repE0EEENS1_36merge_oddeven_config_static_selectorELNS0_4arch9wavefront6targetE1EEEvSK_, .Lfunc_end3578-_ZN7rocprim17ROCPRIM_400000_NS6detail17trampoline_kernelINS0_14default_configENS1_38merge_sort_block_merge_config_selectorIfNS0_10empty_typeEEEZZNS1_27merge_sort_block_merge_implIS3_N6thrust23THRUST_200600_302600_NS6detail15normal_iteratorINS9_10device_ptrIfEEEEPS5_m14custom_greaterIfEEE10hipError_tT0_T1_T2_jT3_P12ihipStream_tbPNSt15iterator_traitsISJ_E10value_typeEPNSP_ISK_E10value_typeEPSL_NS1_7vsmem_tEENKUlT_SJ_SK_SL_E_clISE_PfSF_SF_EESI_SY_SJ_SK_SL_EUlSY_E1_NS1_11comp_targetILNS1_3genE0ELNS1_11target_archE4294967295ELNS1_3gpuE0ELNS1_3repE0EEENS1_36merge_oddeven_config_static_selectorELNS0_4arch9wavefront6targetE1EEEvSK_
                                        ; -- End function
	.section	.AMDGPU.csdata,"",@progbits
; Kernel info:
; codeLenInByte = 0
; NumSgprs: 4
; NumVgprs: 0
; NumAgprs: 0
; TotalNumVgprs: 0
; ScratchSize: 0
; MemoryBound: 0
; FloatMode: 240
; IeeeMode: 1
; LDSByteSize: 0 bytes/workgroup (compile time only)
; SGPRBlocks: 0
; VGPRBlocks: 0
; NumSGPRsForWavesPerEU: 4
; NumVGPRsForWavesPerEU: 1
; AccumOffset: 4
; Occupancy: 8
; WaveLimiterHint : 0
; COMPUTE_PGM_RSRC2:SCRATCH_EN: 0
; COMPUTE_PGM_RSRC2:USER_SGPR: 6
; COMPUTE_PGM_RSRC2:TRAP_HANDLER: 0
; COMPUTE_PGM_RSRC2:TGID_X_EN: 1
; COMPUTE_PGM_RSRC2:TGID_Y_EN: 0
; COMPUTE_PGM_RSRC2:TGID_Z_EN: 0
; COMPUTE_PGM_RSRC2:TIDIG_COMP_CNT: 0
; COMPUTE_PGM_RSRC3_GFX90A:ACCUM_OFFSET: 0
; COMPUTE_PGM_RSRC3_GFX90A:TG_SPLIT: 0
	.section	.text._ZN7rocprim17ROCPRIM_400000_NS6detail17trampoline_kernelINS0_14default_configENS1_38merge_sort_block_merge_config_selectorIfNS0_10empty_typeEEEZZNS1_27merge_sort_block_merge_implIS3_N6thrust23THRUST_200600_302600_NS6detail15normal_iteratorINS9_10device_ptrIfEEEEPS5_m14custom_greaterIfEEE10hipError_tT0_T1_T2_jT3_P12ihipStream_tbPNSt15iterator_traitsISJ_E10value_typeEPNSP_ISK_E10value_typeEPSL_NS1_7vsmem_tEENKUlT_SJ_SK_SL_E_clISE_PfSF_SF_EESI_SY_SJ_SK_SL_EUlSY_E1_NS1_11comp_targetILNS1_3genE10ELNS1_11target_archE1201ELNS1_3gpuE5ELNS1_3repE0EEENS1_36merge_oddeven_config_static_selectorELNS0_4arch9wavefront6targetE1EEEvSK_,"axG",@progbits,_ZN7rocprim17ROCPRIM_400000_NS6detail17trampoline_kernelINS0_14default_configENS1_38merge_sort_block_merge_config_selectorIfNS0_10empty_typeEEEZZNS1_27merge_sort_block_merge_implIS3_N6thrust23THRUST_200600_302600_NS6detail15normal_iteratorINS9_10device_ptrIfEEEEPS5_m14custom_greaterIfEEE10hipError_tT0_T1_T2_jT3_P12ihipStream_tbPNSt15iterator_traitsISJ_E10value_typeEPNSP_ISK_E10value_typeEPSL_NS1_7vsmem_tEENKUlT_SJ_SK_SL_E_clISE_PfSF_SF_EESI_SY_SJ_SK_SL_EUlSY_E1_NS1_11comp_targetILNS1_3genE10ELNS1_11target_archE1201ELNS1_3gpuE5ELNS1_3repE0EEENS1_36merge_oddeven_config_static_selectorELNS0_4arch9wavefront6targetE1EEEvSK_,comdat
	.protected	_ZN7rocprim17ROCPRIM_400000_NS6detail17trampoline_kernelINS0_14default_configENS1_38merge_sort_block_merge_config_selectorIfNS0_10empty_typeEEEZZNS1_27merge_sort_block_merge_implIS3_N6thrust23THRUST_200600_302600_NS6detail15normal_iteratorINS9_10device_ptrIfEEEEPS5_m14custom_greaterIfEEE10hipError_tT0_T1_T2_jT3_P12ihipStream_tbPNSt15iterator_traitsISJ_E10value_typeEPNSP_ISK_E10value_typeEPSL_NS1_7vsmem_tEENKUlT_SJ_SK_SL_E_clISE_PfSF_SF_EESI_SY_SJ_SK_SL_EUlSY_E1_NS1_11comp_targetILNS1_3genE10ELNS1_11target_archE1201ELNS1_3gpuE5ELNS1_3repE0EEENS1_36merge_oddeven_config_static_selectorELNS0_4arch9wavefront6targetE1EEEvSK_ ; -- Begin function _ZN7rocprim17ROCPRIM_400000_NS6detail17trampoline_kernelINS0_14default_configENS1_38merge_sort_block_merge_config_selectorIfNS0_10empty_typeEEEZZNS1_27merge_sort_block_merge_implIS3_N6thrust23THRUST_200600_302600_NS6detail15normal_iteratorINS9_10device_ptrIfEEEEPS5_m14custom_greaterIfEEE10hipError_tT0_T1_T2_jT3_P12ihipStream_tbPNSt15iterator_traitsISJ_E10value_typeEPNSP_ISK_E10value_typeEPSL_NS1_7vsmem_tEENKUlT_SJ_SK_SL_E_clISE_PfSF_SF_EESI_SY_SJ_SK_SL_EUlSY_E1_NS1_11comp_targetILNS1_3genE10ELNS1_11target_archE1201ELNS1_3gpuE5ELNS1_3repE0EEENS1_36merge_oddeven_config_static_selectorELNS0_4arch9wavefront6targetE1EEEvSK_
	.globl	_ZN7rocprim17ROCPRIM_400000_NS6detail17trampoline_kernelINS0_14default_configENS1_38merge_sort_block_merge_config_selectorIfNS0_10empty_typeEEEZZNS1_27merge_sort_block_merge_implIS3_N6thrust23THRUST_200600_302600_NS6detail15normal_iteratorINS9_10device_ptrIfEEEEPS5_m14custom_greaterIfEEE10hipError_tT0_T1_T2_jT3_P12ihipStream_tbPNSt15iterator_traitsISJ_E10value_typeEPNSP_ISK_E10value_typeEPSL_NS1_7vsmem_tEENKUlT_SJ_SK_SL_E_clISE_PfSF_SF_EESI_SY_SJ_SK_SL_EUlSY_E1_NS1_11comp_targetILNS1_3genE10ELNS1_11target_archE1201ELNS1_3gpuE5ELNS1_3repE0EEENS1_36merge_oddeven_config_static_selectorELNS0_4arch9wavefront6targetE1EEEvSK_
	.p2align	8
	.type	_ZN7rocprim17ROCPRIM_400000_NS6detail17trampoline_kernelINS0_14default_configENS1_38merge_sort_block_merge_config_selectorIfNS0_10empty_typeEEEZZNS1_27merge_sort_block_merge_implIS3_N6thrust23THRUST_200600_302600_NS6detail15normal_iteratorINS9_10device_ptrIfEEEEPS5_m14custom_greaterIfEEE10hipError_tT0_T1_T2_jT3_P12ihipStream_tbPNSt15iterator_traitsISJ_E10value_typeEPNSP_ISK_E10value_typeEPSL_NS1_7vsmem_tEENKUlT_SJ_SK_SL_E_clISE_PfSF_SF_EESI_SY_SJ_SK_SL_EUlSY_E1_NS1_11comp_targetILNS1_3genE10ELNS1_11target_archE1201ELNS1_3gpuE5ELNS1_3repE0EEENS1_36merge_oddeven_config_static_selectorELNS0_4arch9wavefront6targetE1EEEvSK_,@function
_ZN7rocprim17ROCPRIM_400000_NS6detail17trampoline_kernelINS0_14default_configENS1_38merge_sort_block_merge_config_selectorIfNS0_10empty_typeEEEZZNS1_27merge_sort_block_merge_implIS3_N6thrust23THRUST_200600_302600_NS6detail15normal_iteratorINS9_10device_ptrIfEEEEPS5_m14custom_greaterIfEEE10hipError_tT0_T1_T2_jT3_P12ihipStream_tbPNSt15iterator_traitsISJ_E10value_typeEPNSP_ISK_E10value_typeEPSL_NS1_7vsmem_tEENKUlT_SJ_SK_SL_E_clISE_PfSF_SF_EESI_SY_SJ_SK_SL_EUlSY_E1_NS1_11comp_targetILNS1_3genE10ELNS1_11target_archE1201ELNS1_3gpuE5ELNS1_3repE0EEENS1_36merge_oddeven_config_static_selectorELNS0_4arch9wavefront6targetE1EEEvSK_: ; @_ZN7rocprim17ROCPRIM_400000_NS6detail17trampoline_kernelINS0_14default_configENS1_38merge_sort_block_merge_config_selectorIfNS0_10empty_typeEEEZZNS1_27merge_sort_block_merge_implIS3_N6thrust23THRUST_200600_302600_NS6detail15normal_iteratorINS9_10device_ptrIfEEEEPS5_m14custom_greaterIfEEE10hipError_tT0_T1_T2_jT3_P12ihipStream_tbPNSt15iterator_traitsISJ_E10value_typeEPNSP_ISK_E10value_typeEPSL_NS1_7vsmem_tEENKUlT_SJ_SK_SL_E_clISE_PfSF_SF_EESI_SY_SJ_SK_SL_EUlSY_E1_NS1_11comp_targetILNS1_3genE10ELNS1_11target_archE1201ELNS1_3gpuE5ELNS1_3repE0EEENS1_36merge_oddeven_config_static_selectorELNS0_4arch9wavefront6targetE1EEEvSK_
; %bb.0:
	.section	.rodata,"a",@progbits
	.p2align	6, 0x0
	.amdhsa_kernel _ZN7rocprim17ROCPRIM_400000_NS6detail17trampoline_kernelINS0_14default_configENS1_38merge_sort_block_merge_config_selectorIfNS0_10empty_typeEEEZZNS1_27merge_sort_block_merge_implIS3_N6thrust23THRUST_200600_302600_NS6detail15normal_iteratorINS9_10device_ptrIfEEEEPS5_m14custom_greaterIfEEE10hipError_tT0_T1_T2_jT3_P12ihipStream_tbPNSt15iterator_traitsISJ_E10value_typeEPNSP_ISK_E10value_typeEPSL_NS1_7vsmem_tEENKUlT_SJ_SK_SL_E_clISE_PfSF_SF_EESI_SY_SJ_SK_SL_EUlSY_E1_NS1_11comp_targetILNS1_3genE10ELNS1_11target_archE1201ELNS1_3gpuE5ELNS1_3repE0EEENS1_36merge_oddeven_config_static_selectorELNS0_4arch9wavefront6targetE1EEEvSK_
		.amdhsa_group_segment_fixed_size 0
		.amdhsa_private_segment_fixed_size 0
		.amdhsa_kernarg_size 56
		.amdhsa_user_sgpr_count 6
		.amdhsa_user_sgpr_private_segment_buffer 1
		.amdhsa_user_sgpr_dispatch_ptr 0
		.amdhsa_user_sgpr_queue_ptr 0
		.amdhsa_user_sgpr_kernarg_segment_ptr 1
		.amdhsa_user_sgpr_dispatch_id 0
		.amdhsa_user_sgpr_flat_scratch_init 0
		.amdhsa_user_sgpr_kernarg_preload_length 0
		.amdhsa_user_sgpr_kernarg_preload_offset 0
		.amdhsa_user_sgpr_private_segment_size 0
		.amdhsa_uses_dynamic_stack 0
		.amdhsa_system_sgpr_private_segment_wavefront_offset 0
		.amdhsa_system_sgpr_workgroup_id_x 1
		.amdhsa_system_sgpr_workgroup_id_y 0
		.amdhsa_system_sgpr_workgroup_id_z 0
		.amdhsa_system_sgpr_workgroup_info 0
		.amdhsa_system_vgpr_workitem_id 0
		.amdhsa_next_free_vgpr 1
		.amdhsa_next_free_sgpr 0
		.amdhsa_accum_offset 4
		.amdhsa_reserve_vcc 0
		.amdhsa_reserve_flat_scratch 0
		.amdhsa_float_round_mode_32 0
		.amdhsa_float_round_mode_16_64 0
		.amdhsa_float_denorm_mode_32 3
		.amdhsa_float_denorm_mode_16_64 3
		.amdhsa_dx10_clamp 1
		.amdhsa_ieee_mode 1
		.amdhsa_fp16_overflow 0
		.amdhsa_tg_split 0
		.amdhsa_exception_fp_ieee_invalid_op 0
		.amdhsa_exception_fp_denorm_src 0
		.amdhsa_exception_fp_ieee_div_zero 0
		.amdhsa_exception_fp_ieee_overflow 0
		.amdhsa_exception_fp_ieee_underflow 0
		.amdhsa_exception_fp_ieee_inexact 0
		.amdhsa_exception_int_div_zero 0
	.end_amdhsa_kernel
	.section	.text._ZN7rocprim17ROCPRIM_400000_NS6detail17trampoline_kernelINS0_14default_configENS1_38merge_sort_block_merge_config_selectorIfNS0_10empty_typeEEEZZNS1_27merge_sort_block_merge_implIS3_N6thrust23THRUST_200600_302600_NS6detail15normal_iteratorINS9_10device_ptrIfEEEEPS5_m14custom_greaterIfEEE10hipError_tT0_T1_T2_jT3_P12ihipStream_tbPNSt15iterator_traitsISJ_E10value_typeEPNSP_ISK_E10value_typeEPSL_NS1_7vsmem_tEENKUlT_SJ_SK_SL_E_clISE_PfSF_SF_EESI_SY_SJ_SK_SL_EUlSY_E1_NS1_11comp_targetILNS1_3genE10ELNS1_11target_archE1201ELNS1_3gpuE5ELNS1_3repE0EEENS1_36merge_oddeven_config_static_selectorELNS0_4arch9wavefront6targetE1EEEvSK_,"axG",@progbits,_ZN7rocprim17ROCPRIM_400000_NS6detail17trampoline_kernelINS0_14default_configENS1_38merge_sort_block_merge_config_selectorIfNS0_10empty_typeEEEZZNS1_27merge_sort_block_merge_implIS3_N6thrust23THRUST_200600_302600_NS6detail15normal_iteratorINS9_10device_ptrIfEEEEPS5_m14custom_greaterIfEEE10hipError_tT0_T1_T2_jT3_P12ihipStream_tbPNSt15iterator_traitsISJ_E10value_typeEPNSP_ISK_E10value_typeEPSL_NS1_7vsmem_tEENKUlT_SJ_SK_SL_E_clISE_PfSF_SF_EESI_SY_SJ_SK_SL_EUlSY_E1_NS1_11comp_targetILNS1_3genE10ELNS1_11target_archE1201ELNS1_3gpuE5ELNS1_3repE0EEENS1_36merge_oddeven_config_static_selectorELNS0_4arch9wavefront6targetE1EEEvSK_,comdat
.Lfunc_end3579:
	.size	_ZN7rocprim17ROCPRIM_400000_NS6detail17trampoline_kernelINS0_14default_configENS1_38merge_sort_block_merge_config_selectorIfNS0_10empty_typeEEEZZNS1_27merge_sort_block_merge_implIS3_N6thrust23THRUST_200600_302600_NS6detail15normal_iteratorINS9_10device_ptrIfEEEEPS5_m14custom_greaterIfEEE10hipError_tT0_T1_T2_jT3_P12ihipStream_tbPNSt15iterator_traitsISJ_E10value_typeEPNSP_ISK_E10value_typeEPSL_NS1_7vsmem_tEENKUlT_SJ_SK_SL_E_clISE_PfSF_SF_EESI_SY_SJ_SK_SL_EUlSY_E1_NS1_11comp_targetILNS1_3genE10ELNS1_11target_archE1201ELNS1_3gpuE5ELNS1_3repE0EEENS1_36merge_oddeven_config_static_selectorELNS0_4arch9wavefront6targetE1EEEvSK_, .Lfunc_end3579-_ZN7rocprim17ROCPRIM_400000_NS6detail17trampoline_kernelINS0_14default_configENS1_38merge_sort_block_merge_config_selectorIfNS0_10empty_typeEEEZZNS1_27merge_sort_block_merge_implIS3_N6thrust23THRUST_200600_302600_NS6detail15normal_iteratorINS9_10device_ptrIfEEEEPS5_m14custom_greaterIfEEE10hipError_tT0_T1_T2_jT3_P12ihipStream_tbPNSt15iterator_traitsISJ_E10value_typeEPNSP_ISK_E10value_typeEPSL_NS1_7vsmem_tEENKUlT_SJ_SK_SL_E_clISE_PfSF_SF_EESI_SY_SJ_SK_SL_EUlSY_E1_NS1_11comp_targetILNS1_3genE10ELNS1_11target_archE1201ELNS1_3gpuE5ELNS1_3repE0EEENS1_36merge_oddeven_config_static_selectorELNS0_4arch9wavefront6targetE1EEEvSK_
                                        ; -- End function
	.section	.AMDGPU.csdata,"",@progbits
; Kernel info:
; codeLenInByte = 0
; NumSgprs: 4
; NumVgprs: 0
; NumAgprs: 0
; TotalNumVgprs: 0
; ScratchSize: 0
; MemoryBound: 0
; FloatMode: 240
; IeeeMode: 1
; LDSByteSize: 0 bytes/workgroup (compile time only)
; SGPRBlocks: 0
; VGPRBlocks: 0
; NumSGPRsForWavesPerEU: 4
; NumVGPRsForWavesPerEU: 1
; AccumOffset: 4
; Occupancy: 8
; WaveLimiterHint : 0
; COMPUTE_PGM_RSRC2:SCRATCH_EN: 0
; COMPUTE_PGM_RSRC2:USER_SGPR: 6
; COMPUTE_PGM_RSRC2:TRAP_HANDLER: 0
; COMPUTE_PGM_RSRC2:TGID_X_EN: 1
; COMPUTE_PGM_RSRC2:TGID_Y_EN: 0
; COMPUTE_PGM_RSRC2:TGID_Z_EN: 0
; COMPUTE_PGM_RSRC2:TIDIG_COMP_CNT: 0
; COMPUTE_PGM_RSRC3_GFX90A:ACCUM_OFFSET: 0
; COMPUTE_PGM_RSRC3_GFX90A:TG_SPLIT: 0
	.section	.text._ZN7rocprim17ROCPRIM_400000_NS6detail17trampoline_kernelINS0_14default_configENS1_38merge_sort_block_merge_config_selectorIfNS0_10empty_typeEEEZZNS1_27merge_sort_block_merge_implIS3_N6thrust23THRUST_200600_302600_NS6detail15normal_iteratorINS9_10device_ptrIfEEEEPS5_m14custom_greaterIfEEE10hipError_tT0_T1_T2_jT3_P12ihipStream_tbPNSt15iterator_traitsISJ_E10value_typeEPNSP_ISK_E10value_typeEPSL_NS1_7vsmem_tEENKUlT_SJ_SK_SL_E_clISE_PfSF_SF_EESI_SY_SJ_SK_SL_EUlSY_E1_NS1_11comp_targetILNS1_3genE5ELNS1_11target_archE942ELNS1_3gpuE9ELNS1_3repE0EEENS1_36merge_oddeven_config_static_selectorELNS0_4arch9wavefront6targetE1EEEvSK_,"axG",@progbits,_ZN7rocprim17ROCPRIM_400000_NS6detail17trampoline_kernelINS0_14default_configENS1_38merge_sort_block_merge_config_selectorIfNS0_10empty_typeEEEZZNS1_27merge_sort_block_merge_implIS3_N6thrust23THRUST_200600_302600_NS6detail15normal_iteratorINS9_10device_ptrIfEEEEPS5_m14custom_greaterIfEEE10hipError_tT0_T1_T2_jT3_P12ihipStream_tbPNSt15iterator_traitsISJ_E10value_typeEPNSP_ISK_E10value_typeEPSL_NS1_7vsmem_tEENKUlT_SJ_SK_SL_E_clISE_PfSF_SF_EESI_SY_SJ_SK_SL_EUlSY_E1_NS1_11comp_targetILNS1_3genE5ELNS1_11target_archE942ELNS1_3gpuE9ELNS1_3repE0EEENS1_36merge_oddeven_config_static_selectorELNS0_4arch9wavefront6targetE1EEEvSK_,comdat
	.protected	_ZN7rocprim17ROCPRIM_400000_NS6detail17trampoline_kernelINS0_14default_configENS1_38merge_sort_block_merge_config_selectorIfNS0_10empty_typeEEEZZNS1_27merge_sort_block_merge_implIS3_N6thrust23THRUST_200600_302600_NS6detail15normal_iteratorINS9_10device_ptrIfEEEEPS5_m14custom_greaterIfEEE10hipError_tT0_T1_T2_jT3_P12ihipStream_tbPNSt15iterator_traitsISJ_E10value_typeEPNSP_ISK_E10value_typeEPSL_NS1_7vsmem_tEENKUlT_SJ_SK_SL_E_clISE_PfSF_SF_EESI_SY_SJ_SK_SL_EUlSY_E1_NS1_11comp_targetILNS1_3genE5ELNS1_11target_archE942ELNS1_3gpuE9ELNS1_3repE0EEENS1_36merge_oddeven_config_static_selectorELNS0_4arch9wavefront6targetE1EEEvSK_ ; -- Begin function _ZN7rocprim17ROCPRIM_400000_NS6detail17trampoline_kernelINS0_14default_configENS1_38merge_sort_block_merge_config_selectorIfNS0_10empty_typeEEEZZNS1_27merge_sort_block_merge_implIS3_N6thrust23THRUST_200600_302600_NS6detail15normal_iteratorINS9_10device_ptrIfEEEEPS5_m14custom_greaterIfEEE10hipError_tT0_T1_T2_jT3_P12ihipStream_tbPNSt15iterator_traitsISJ_E10value_typeEPNSP_ISK_E10value_typeEPSL_NS1_7vsmem_tEENKUlT_SJ_SK_SL_E_clISE_PfSF_SF_EESI_SY_SJ_SK_SL_EUlSY_E1_NS1_11comp_targetILNS1_3genE5ELNS1_11target_archE942ELNS1_3gpuE9ELNS1_3repE0EEENS1_36merge_oddeven_config_static_selectorELNS0_4arch9wavefront6targetE1EEEvSK_
	.globl	_ZN7rocprim17ROCPRIM_400000_NS6detail17trampoline_kernelINS0_14default_configENS1_38merge_sort_block_merge_config_selectorIfNS0_10empty_typeEEEZZNS1_27merge_sort_block_merge_implIS3_N6thrust23THRUST_200600_302600_NS6detail15normal_iteratorINS9_10device_ptrIfEEEEPS5_m14custom_greaterIfEEE10hipError_tT0_T1_T2_jT3_P12ihipStream_tbPNSt15iterator_traitsISJ_E10value_typeEPNSP_ISK_E10value_typeEPSL_NS1_7vsmem_tEENKUlT_SJ_SK_SL_E_clISE_PfSF_SF_EESI_SY_SJ_SK_SL_EUlSY_E1_NS1_11comp_targetILNS1_3genE5ELNS1_11target_archE942ELNS1_3gpuE9ELNS1_3repE0EEENS1_36merge_oddeven_config_static_selectorELNS0_4arch9wavefront6targetE1EEEvSK_
	.p2align	8
	.type	_ZN7rocprim17ROCPRIM_400000_NS6detail17trampoline_kernelINS0_14default_configENS1_38merge_sort_block_merge_config_selectorIfNS0_10empty_typeEEEZZNS1_27merge_sort_block_merge_implIS3_N6thrust23THRUST_200600_302600_NS6detail15normal_iteratorINS9_10device_ptrIfEEEEPS5_m14custom_greaterIfEEE10hipError_tT0_T1_T2_jT3_P12ihipStream_tbPNSt15iterator_traitsISJ_E10value_typeEPNSP_ISK_E10value_typeEPSL_NS1_7vsmem_tEENKUlT_SJ_SK_SL_E_clISE_PfSF_SF_EESI_SY_SJ_SK_SL_EUlSY_E1_NS1_11comp_targetILNS1_3genE5ELNS1_11target_archE942ELNS1_3gpuE9ELNS1_3repE0EEENS1_36merge_oddeven_config_static_selectorELNS0_4arch9wavefront6targetE1EEEvSK_,@function
_ZN7rocprim17ROCPRIM_400000_NS6detail17trampoline_kernelINS0_14default_configENS1_38merge_sort_block_merge_config_selectorIfNS0_10empty_typeEEEZZNS1_27merge_sort_block_merge_implIS3_N6thrust23THRUST_200600_302600_NS6detail15normal_iteratorINS9_10device_ptrIfEEEEPS5_m14custom_greaterIfEEE10hipError_tT0_T1_T2_jT3_P12ihipStream_tbPNSt15iterator_traitsISJ_E10value_typeEPNSP_ISK_E10value_typeEPSL_NS1_7vsmem_tEENKUlT_SJ_SK_SL_E_clISE_PfSF_SF_EESI_SY_SJ_SK_SL_EUlSY_E1_NS1_11comp_targetILNS1_3genE5ELNS1_11target_archE942ELNS1_3gpuE9ELNS1_3repE0EEENS1_36merge_oddeven_config_static_selectorELNS0_4arch9wavefront6targetE1EEEvSK_: ; @_ZN7rocprim17ROCPRIM_400000_NS6detail17trampoline_kernelINS0_14default_configENS1_38merge_sort_block_merge_config_selectorIfNS0_10empty_typeEEEZZNS1_27merge_sort_block_merge_implIS3_N6thrust23THRUST_200600_302600_NS6detail15normal_iteratorINS9_10device_ptrIfEEEEPS5_m14custom_greaterIfEEE10hipError_tT0_T1_T2_jT3_P12ihipStream_tbPNSt15iterator_traitsISJ_E10value_typeEPNSP_ISK_E10value_typeEPSL_NS1_7vsmem_tEENKUlT_SJ_SK_SL_E_clISE_PfSF_SF_EESI_SY_SJ_SK_SL_EUlSY_E1_NS1_11comp_targetILNS1_3genE5ELNS1_11target_archE942ELNS1_3gpuE9ELNS1_3repE0EEENS1_36merge_oddeven_config_static_selectorELNS0_4arch9wavefront6targetE1EEEvSK_
; %bb.0:
	.section	.rodata,"a",@progbits
	.p2align	6, 0x0
	.amdhsa_kernel _ZN7rocprim17ROCPRIM_400000_NS6detail17trampoline_kernelINS0_14default_configENS1_38merge_sort_block_merge_config_selectorIfNS0_10empty_typeEEEZZNS1_27merge_sort_block_merge_implIS3_N6thrust23THRUST_200600_302600_NS6detail15normal_iteratorINS9_10device_ptrIfEEEEPS5_m14custom_greaterIfEEE10hipError_tT0_T1_T2_jT3_P12ihipStream_tbPNSt15iterator_traitsISJ_E10value_typeEPNSP_ISK_E10value_typeEPSL_NS1_7vsmem_tEENKUlT_SJ_SK_SL_E_clISE_PfSF_SF_EESI_SY_SJ_SK_SL_EUlSY_E1_NS1_11comp_targetILNS1_3genE5ELNS1_11target_archE942ELNS1_3gpuE9ELNS1_3repE0EEENS1_36merge_oddeven_config_static_selectorELNS0_4arch9wavefront6targetE1EEEvSK_
		.amdhsa_group_segment_fixed_size 0
		.amdhsa_private_segment_fixed_size 0
		.amdhsa_kernarg_size 56
		.amdhsa_user_sgpr_count 6
		.amdhsa_user_sgpr_private_segment_buffer 1
		.amdhsa_user_sgpr_dispatch_ptr 0
		.amdhsa_user_sgpr_queue_ptr 0
		.amdhsa_user_sgpr_kernarg_segment_ptr 1
		.amdhsa_user_sgpr_dispatch_id 0
		.amdhsa_user_sgpr_flat_scratch_init 0
		.amdhsa_user_sgpr_kernarg_preload_length 0
		.amdhsa_user_sgpr_kernarg_preload_offset 0
		.amdhsa_user_sgpr_private_segment_size 0
		.amdhsa_uses_dynamic_stack 0
		.amdhsa_system_sgpr_private_segment_wavefront_offset 0
		.amdhsa_system_sgpr_workgroup_id_x 1
		.amdhsa_system_sgpr_workgroup_id_y 0
		.amdhsa_system_sgpr_workgroup_id_z 0
		.amdhsa_system_sgpr_workgroup_info 0
		.amdhsa_system_vgpr_workitem_id 0
		.amdhsa_next_free_vgpr 1
		.amdhsa_next_free_sgpr 0
		.amdhsa_accum_offset 4
		.amdhsa_reserve_vcc 0
		.amdhsa_reserve_flat_scratch 0
		.amdhsa_float_round_mode_32 0
		.amdhsa_float_round_mode_16_64 0
		.amdhsa_float_denorm_mode_32 3
		.amdhsa_float_denorm_mode_16_64 3
		.amdhsa_dx10_clamp 1
		.amdhsa_ieee_mode 1
		.amdhsa_fp16_overflow 0
		.amdhsa_tg_split 0
		.amdhsa_exception_fp_ieee_invalid_op 0
		.amdhsa_exception_fp_denorm_src 0
		.amdhsa_exception_fp_ieee_div_zero 0
		.amdhsa_exception_fp_ieee_overflow 0
		.amdhsa_exception_fp_ieee_underflow 0
		.amdhsa_exception_fp_ieee_inexact 0
		.amdhsa_exception_int_div_zero 0
	.end_amdhsa_kernel
	.section	.text._ZN7rocprim17ROCPRIM_400000_NS6detail17trampoline_kernelINS0_14default_configENS1_38merge_sort_block_merge_config_selectorIfNS0_10empty_typeEEEZZNS1_27merge_sort_block_merge_implIS3_N6thrust23THRUST_200600_302600_NS6detail15normal_iteratorINS9_10device_ptrIfEEEEPS5_m14custom_greaterIfEEE10hipError_tT0_T1_T2_jT3_P12ihipStream_tbPNSt15iterator_traitsISJ_E10value_typeEPNSP_ISK_E10value_typeEPSL_NS1_7vsmem_tEENKUlT_SJ_SK_SL_E_clISE_PfSF_SF_EESI_SY_SJ_SK_SL_EUlSY_E1_NS1_11comp_targetILNS1_3genE5ELNS1_11target_archE942ELNS1_3gpuE9ELNS1_3repE0EEENS1_36merge_oddeven_config_static_selectorELNS0_4arch9wavefront6targetE1EEEvSK_,"axG",@progbits,_ZN7rocprim17ROCPRIM_400000_NS6detail17trampoline_kernelINS0_14default_configENS1_38merge_sort_block_merge_config_selectorIfNS0_10empty_typeEEEZZNS1_27merge_sort_block_merge_implIS3_N6thrust23THRUST_200600_302600_NS6detail15normal_iteratorINS9_10device_ptrIfEEEEPS5_m14custom_greaterIfEEE10hipError_tT0_T1_T2_jT3_P12ihipStream_tbPNSt15iterator_traitsISJ_E10value_typeEPNSP_ISK_E10value_typeEPSL_NS1_7vsmem_tEENKUlT_SJ_SK_SL_E_clISE_PfSF_SF_EESI_SY_SJ_SK_SL_EUlSY_E1_NS1_11comp_targetILNS1_3genE5ELNS1_11target_archE942ELNS1_3gpuE9ELNS1_3repE0EEENS1_36merge_oddeven_config_static_selectorELNS0_4arch9wavefront6targetE1EEEvSK_,comdat
.Lfunc_end3580:
	.size	_ZN7rocprim17ROCPRIM_400000_NS6detail17trampoline_kernelINS0_14default_configENS1_38merge_sort_block_merge_config_selectorIfNS0_10empty_typeEEEZZNS1_27merge_sort_block_merge_implIS3_N6thrust23THRUST_200600_302600_NS6detail15normal_iteratorINS9_10device_ptrIfEEEEPS5_m14custom_greaterIfEEE10hipError_tT0_T1_T2_jT3_P12ihipStream_tbPNSt15iterator_traitsISJ_E10value_typeEPNSP_ISK_E10value_typeEPSL_NS1_7vsmem_tEENKUlT_SJ_SK_SL_E_clISE_PfSF_SF_EESI_SY_SJ_SK_SL_EUlSY_E1_NS1_11comp_targetILNS1_3genE5ELNS1_11target_archE942ELNS1_3gpuE9ELNS1_3repE0EEENS1_36merge_oddeven_config_static_selectorELNS0_4arch9wavefront6targetE1EEEvSK_, .Lfunc_end3580-_ZN7rocprim17ROCPRIM_400000_NS6detail17trampoline_kernelINS0_14default_configENS1_38merge_sort_block_merge_config_selectorIfNS0_10empty_typeEEEZZNS1_27merge_sort_block_merge_implIS3_N6thrust23THRUST_200600_302600_NS6detail15normal_iteratorINS9_10device_ptrIfEEEEPS5_m14custom_greaterIfEEE10hipError_tT0_T1_T2_jT3_P12ihipStream_tbPNSt15iterator_traitsISJ_E10value_typeEPNSP_ISK_E10value_typeEPSL_NS1_7vsmem_tEENKUlT_SJ_SK_SL_E_clISE_PfSF_SF_EESI_SY_SJ_SK_SL_EUlSY_E1_NS1_11comp_targetILNS1_3genE5ELNS1_11target_archE942ELNS1_3gpuE9ELNS1_3repE0EEENS1_36merge_oddeven_config_static_selectorELNS0_4arch9wavefront6targetE1EEEvSK_
                                        ; -- End function
	.section	.AMDGPU.csdata,"",@progbits
; Kernel info:
; codeLenInByte = 0
; NumSgprs: 4
; NumVgprs: 0
; NumAgprs: 0
; TotalNumVgprs: 0
; ScratchSize: 0
; MemoryBound: 0
; FloatMode: 240
; IeeeMode: 1
; LDSByteSize: 0 bytes/workgroup (compile time only)
; SGPRBlocks: 0
; VGPRBlocks: 0
; NumSGPRsForWavesPerEU: 4
; NumVGPRsForWavesPerEU: 1
; AccumOffset: 4
; Occupancy: 8
; WaveLimiterHint : 0
; COMPUTE_PGM_RSRC2:SCRATCH_EN: 0
; COMPUTE_PGM_RSRC2:USER_SGPR: 6
; COMPUTE_PGM_RSRC2:TRAP_HANDLER: 0
; COMPUTE_PGM_RSRC2:TGID_X_EN: 1
; COMPUTE_PGM_RSRC2:TGID_Y_EN: 0
; COMPUTE_PGM_RSRC2:TGID_Z_EN: 0
; COMPUTE_PGM_RSRC2:TIDIG_COMP_CNT: 0
; COMPUTE_PGM_RSRC3_GFX90A:ACCUM_OFFSET: 0
; COMPUTE_PGM_RSRC3_GFX90A:TG_SPLIT: 0
	.section	.text._ZN7rocprim17ROCPRIM_400000_NS6detail17trampoline_kernelINS0_14default_configENS1_38merge_sort_block_merge_config_selectorIfNS0_10empty_typeEEEZZNS1_27merge_sort_block_merge_implIS3_N6thrust23THRUST_200600_302600_NS6detail15normal_iteratorINS9_10device_ptrIfEEEEPS5_m14custom_greaterIfEEE10hipError_tT0_T1_T2_jT3_P12ihipStream_tbPNSt15iterator_traitsISJ_E10value_typeEPNSP_ISK_E10value_typeEPSL_NS1_7vsmem_tEENKUlT_SJ_SK_SL_E_clISE_PfSF_SF_EESI_SY_SJ_SK_SL_EUlSY_E1_NS1_11comp_targetILNS1_3genE4ELNS1_11target_archE910ELNS1_3gpuE8ELNS1_3repE0EEENS1_36merge_oddeven_config_static_selectorELNS0_4arch9wavefront6targetE1EEEvSK_,"axG",@progbits,_ZN7rocprim17ROCPRIM_400000_NS6detail17trampoline_kernelINS0_14default_configENS1_38merge_sort_block_merge_config_selectorIfNS0_10empty_typeEEEZZNS1_27merge_sort_block_merge_implIS3_N6thrust23THRUST_200600_302600_NS6detail15normal_iteratorINS9_10device_ptrIfEEEEPS5_m14custom_greaterIfEEE10hipError_tT0_T1_T2_jT3_P12ihipStream_tbPNSt15iterator_traitsISJ_E10value_typeEPNSP_ISK_E10value_typeEPSL_NS1_7vsmem_tEENKUlT_SJ_SK_SL_E_clISE_PfSF_SF_EESI_SY_SJ_SK_SL_EUlSY_E1_NS1_11comp_targetILNS1_3genE4ELNS1_11target_archE910ELNS1_3gpuE8ELNS1_3repE0EEENS1_36merge_oddeven_config_static_selectorELNS0_4arch9wavefront6targetE1EEEvSK_,comdat
	.protected	_ZN7rocprim17ROCPRIM_400000_NS6detail17trampoline_kernelINS0_14default_configENS1_38merge_sort_block_merge_config_selectorIfNS0_10empty_typeEEEZZNS1_27merge_sort_block_merge_implIS3_N6thrust23THRUST_200600_302600_NS6detail15normal_iteratorINS9_10device_ptrIfEEEEPS5_m14custom_greaterIfEEE10hipError_tT0_T1_T2_jT3_P12ihipStream_tbPNSt15iterator_traitsISJ_E10value_typeEPNSP_ISK_E10value_typeEPSL_NS1_7vsmem_tEENKUlT_SJ_SK_SL_E_clISE_PfSF_SF_EESI_SY_SJ_SK_SL_EUlSY_E1_NS1_11comp_targetILNS1_3genE4ELNS1_11target_archE910ELNS1_3gpuE8ELNS1_3repE0EEENS1_36merge_oddeven_config_static_selectorELNS0_4arch9wavefront6targetE1EEEvSK_ ; -- Begin function _ZN7rocprim17ROCPRIM_400000_NS6detail17trampoline_kernelINS0_14default_configENS1_38merge_sort_block_merge_config_selectorIfNS0_10empty_typeEEEZZNS1_27merge_sort_block_merge_implIS3_N6thrust23THRUST_200600_302600_NS6detail15normal_iteratorINS9_10device_ptrIfEEEEPS5_m14custom_greaterIfEEE10hipError_tT0_T1_T2_jT3_P12ihipStream_tbPNSt15iterator_traitsISJ_E10value_typeEPNSP_ISK_E10value_typeEPSL_NS1_7vsmem_tEENKUlT_SJ_SK_SL_E_clISE_PfSF_SF_EESI_SY_SJ_SK_SL_EUlSY_E1_NS1_11comp_targetILNS1_3genE4ELNS1_11target_archE910ELNS1_3gpuE8ELNS1_3repE0EEENS1_36merge_oddeven_config_static_selectorELNS0_4arch9wavefront6targetE1EEEvSK_
	.globl	_ZN7rocprim17ROCPRIM_400000_NS6detail17trampoline_kernelINS0_14default_configENS1_38merge_sort_block_merge_config_selectorIfNS0_10empty_typeEEEZZNS1_27merge_sort_block_merge_implIS3_N6thrust23THRUST_200600_302600_NS6detail15normal_iteratorINS9_10device_ptrIfEEEEPS5_m14custom_greaterIfEEE10hipError_tT0_T1_T2_jT3_P12ihipStream_tbPNSt15iterator_traitsISJ_E10value_typeEPNSP_ISK_E10value_typeEPSL_NS1_7vsmem_tEENKUlT_SJ_SK_SL_E_clISE_PfSF_SF_EESI_SY_SJ_SK_SL_EUlSY_E1_NS1_11comp_targetILNS1_3genE4ELNS1_11target_archE910ELNS1_3gpuE8ELNS1_3repE0EEENS1_36merge_oddeven_config_static_selectorELNS0_4arch9wavefront6targetE1EEEvSK_
	.p2align	8
	.type	_ZN7rocprim17ROCPRIM_400000_NS6detail17trampoline_kernelINS0_14default_configENS1_38merge_sort_block_merge_config_selectorIfNS0_10empty_typeEEEZZNS1_27merge_sort_block_merge_implIS3_N6thrust23THRUST_200600_302600_NS6detail15normal_iteratorINS9_10device_ptrIfEEEEPS5_m14custom_greaterIfEEE10hipError_tT0_T1_T2_jT3_P12ihipStream_tbPNSt15iterator_traitsISJ_E10value_typeEPNSP_ISK_E10value_typeEPSL_NS1_7vsmem_tEENKUlT_SJ_SK_SL_E_clISE_PfSF_SF_EESI_SY_SJ_SK_SL_EUlSY_E1_NS1_11comp_targetILNS1_3genE4ELNS1_11target_archE910ELNS1_3gpuE8ELNS1_3repE0EEENS1_36merge_oddeven_config_static_selectorELNS0_4arch9wavefront6targetE1EEEvSK_,@function
_ZN7rocprim17ROCPRIM_400000_NS6detail17trampoline_kernelINS0_14default_configENS1_38merge_sort_block_merge_config_selectorIfNS0_10empty_typeEEEZZNS1_27merge_sort_block_merge_implIS3_N6thrust23THRUST_200600_302600_NS6detail15normal_iteratorINS9_10device_ptrIfEEEEPS5_m14custom_greaterIfEEE10hipError_tT0_T1_T2_jT3_P12ihipStream_tbPNSt15iterator_traitsISJ_E10value_typeEPNSP_ISK_E10value_typeEPSL_NS1_7vsmem_tEENKUlT_SJ_SK_SL_E_clISE_PfSF_SF_EESI_SY_SJ_SK_SL_EUlSY_E1_NS1_11comp_targetILNS1_3genE4ELNS1_11target_archE910ELNS1_3gpuE8ELNS1_3repE0EEENS1_36merge_oddeven_config_static_selectorELNS0_4arch9wavefront6targetE1EEEvSK_: ; @_ZN7rocprim17ROCPRIM_400000_NS6detail17trampoline_kernelINS0_14default_configENS1_38merge_sort_block_merge_config_selectorIfNS0_10empty_typeEEEZZNS1_27merge_sort_block_merge_implIS3_N6thrust23THRUST_200600_302600_NS6detail15normal_iteratorINS9_10device_ptrIfEEEEPS5_m14custom_greaterIfEEE10hipError_tT0_T1_T2_jT3_P12ihipStream_tbPNSt15iterator_traitsISJ_E10value_typeEPNSP_ISK_E10value_typeEPSL_NS1_7vsmem_tEENKUlT_SJ_SK_SL_E_clISE_PfSF_SF_EESI_SY_SJ_SK_SL_EUlSY_E1_NS1_11comp_targetILNS1_3genE4ELNS1_11target_archE910ELNS1_3gpuE8ELNS1_3repE0EEENS1_36merge_oddeven_config_static_selectorELNS0_4arch9wavefront6targetE1EEEvSK_
; %bb.0:
	s_load_dword s18, s[4:5], 0x20
	s_waitcnt lgkmcnt(0)
	s_lshr_b32 s0, s18, 8
	s_cmp_lg_u32 s6, s0
	s_cselect_b64 s[14:15], -1, 0
	s_cmp_eq_u32 s6, s0
	s_cselect_b64 s[12:13], -1, 0
	s_lshl_b32 s16, s6, 8
	s_sub_i32 s0, s18, s16
	v_cmp_gt_u32_e64 s[2:3], s0, v0
	s_or_b64 s[0:1], s[14:15], s[2:3]
	s_and_saveexec_b64 s[8:9], s[0:1]
	s_cbranch_execz .LBB3581_20
; %bb.1:
	s_load_dwordx4 s[8:11], s[4:5], 0x0
	s_load_dword s19, s[4:5], 0x28
	s_mov_b32 s17, 0
	s_lshl_b64 s[0:1], s[16:17], 2
	v_lshlrev_b32_e32 v1, 2, v0
	s_waitcnt lgkmcnt(0)
	s_add_u32 s0, s8, s0
	s_addc_u32 s1, s9, s1
	global_load_dword v2, v1, s[0:1]
	s_lshr_b32 s0, s19, 8
	s_sub_i32 s1, 0, s0
	s_and_b32 s1, s6, s1
	s_and_b32 s0, s1, s0
	s_lshl_b32 s20, s1, 8
	s_sub_i32 s6, 0, s19
	s_cmp_eq_u32 s0, 0
	s_cselect_b64 s[0:1], -1, 0
	s_and_b64 s[4:5], s[0:1], exec
	s_cselect_b32 s17, s19, s6
	s_add_i32 s17, s17, s20
	s_cmp_lt_u32 s17, s18
	v_add_u32_e32 v0, s16, v0
	s_cbranch_scc1 .LBB3581_3
; %bb.2:
	v_cmp_gt_u32_e32 vcc, s18, v0
	s_or_b64 s[4:5], vcc, s[14:15]
	s_and_b64 s[4:5], s[4:5], exec
	s_cbranch_execz .LBB3581_4
	s_branch .LBB3581_18
.LBB3581_3:
	s_mov_b64 s[4:5], 0
.LBB3581_4:
	s_min_u32 s14, s17, s18
	s_add_i32 s6, s14, s19
	s_min_u32 s15, s6, s18
	s_min_u32 s6, s20, s14
	s_add_i32 s20, s20, s14
	v_subrev_u32_e32 v0, s20, v0
	v_add_u32_e32 v3, s6, v0
	s_and_b64 vcc, exec, s[12:13]
	s_cbranch_vccz .LBB3581_12
; %bb.5:
                                        ; implicit-def: $vgpr0
	s_and_saveexec_b64 s[6:7], s[2:3]
	s_cbranch_execz .LBB3581_11
; %bb.6:
	s_cmp_ge_u32 s17, s15
	v_mov_b32_e32 v4, s14
	s_cbranch_scc1 .LBB3581_10
; %bb.7:
	s_mov_b64 s[2:3], 0
	v_mov_b32_e32 v5, s15
	v_mov_b32_e32 v4, s14
	;; [unrolled: 1-line block ×4, first 2 shown]
.LBB3581_8:                             ; =>This Inner Loop Header: Depth=1
	v_add_u32_e32 v0, v4, v5
	v_lshrrev_b32_e32 v0, 1, v0
	v_lshlrev_b64 v[8:9], 2, v[0:1]
	v_add_co_u32_e32 v8, vcc, s8, v8
	v_addc_co_u32_e32 v9, vcc, v6, v9, vcc
	global_load_dword v7, v[8:9], off
	v_add_u32_e32 v8, 1, v0
	s_waitcnt vmcnt(0)
	v_cmp_gt_f32_e32 vcc, v2, v7
	v_cndmask_b32_e64 v9, 0, 1, vcc
	v_cmp_ngt_f32_e32 vcc, v7, v2
	v_cndmask_b32_e64 v7, 0, 1, vcc
	v_cndmask_b32_e64 v7, v7, v9, s[0:1]
	v_and_b32_e32 v7, 1, v7
	v_cmp_eq_u32_e32 vcc, 1, v7
	v_cndmask_b32_e32 v5, v0, v5, vcc
	v_cndmask_b32_e32 v4, v4, v8, vcc
	v_cmp_ge_u32_e32 vcc, v4, v5
	s_or_b64 s[2:3], vcc, s[2:3]
	s_andn2_b64 exec, exec, s[2:3]
	s_cbranch_execnz .LBB3581_8
; %bb.9:
	s_or_b64 exec, exec, s[2:3]
.LBB3581_10:
	v_add_u32_e32 v0, v4, v3
	s_or_b64 s[4:5], s[4:5], exec
.LBB3581_11:
	s_or_b64 exec, exec, s[6:7]
	s_branch .LBB3581_18
.LBB3581_12:
                                        ; implicit-def: $vgpr0
	s_cbranch_execz .LBB3581_18
; %bb.13:
	s_cmp_ge_u32 s17, s15
	v_mov_b32_e32 v4, s14
	s_cbranch_scc1 .LBB3581_17
; %bb.14:
	s_mov_b64 s[2:3], 0
	v_mov_b32_e32 v5, s15
	v_mov_b32_e32 v4, s14
	;; [unrolled: 1-line block ×4, first 2 shown]
.LBB3581_15:                            ; =>This Inner Loop Header: Depth=1
	v_add_u32_e32 v0, v4, v5
	v_lshrrev_b32_e32 v0, 1, v0
	v_lshlrev_b64 v[8:9], 2, v[0:1]
	v_add_co_u32_e32 v8, vcc, s8, v8
	v_addc_co_u32_e32 v9, vcc, v6, v9, vcc
	global_load_dword v7, v[8:9], off
	v_add_u32_e32 v8, 1, v0
	s_waitcnt vmcnt(0)
	v_cmp_gt_f32_e32 vcc, v2, v7
	v_cndmask_b32_e64 v9, 0, 1, vcc
	v_cmp_ngt_f32_e32 vcc, v7, v2
	v_cndmask_b32_e64 v7, 0, 1, vcc
	v_cndmask_b32_e64 v7, v7, v9, s[0:1]
	v_and_b32_e32 v7, 1, v7
	v_cmp_eq_u32_e32 vcc, 1, v7
	v_cndmask_b32_e32 v5, v0, v5, vcc
	v_cndmask_b32_e32 v4, v4, v8, vcc
	v_cmp_ge_u32_e32 vcc, v4, v5
	s_or_b64 s[2:3], vcc, s[2:3]
	s_andn2_b64 exec, exec, s[2:3]
	s_cbranch_execnz .LBB3581_15
; %bb.16:
	s_or_b64 exec, exec, s[2:3]
.LBB3581_17:
	v_add_u32_e32 v0, v4, v3
	s_mov_b64 s[4:5], -1
.LBB3581_18:
	s_and_b64 exec, exec, s[4:5]
	s_cbranch_execz .LBB3581_20
; %bb.19:
	v_mov_b32_e32 v1, 0
	v_lshlrev_b64 v[0:1], 2, v[0:1]
	v_mov_b32_e32 v3, s11
	v_add_co_u32_e32 v0, vcc, s10, v0
	v_addc_co_u32_e32 v1, vcc, v3, v1, vcc
	s_waitcnt vmcnt(0)
	global_store_dword v[0:1], v2, off
.LBB3581_20:
	s_endpgm
	.section	.rodata,"a",@progbits
	.p2align	6, 0x0
	.amdhsa_kernel _ZN7rocprim17ROCPRIM_400000_NS6detail17trampoline_kernelINS0_14default_configENS1_38merge_sort_block_merge_config_selectorIfNS0_10empty_typeEEEZZNS1_27merge_sort_block_merge_implIS3_N6thrust23THRUST_200600_302600_NS6detail15normal_iteratorINS9_10device_ptrIfEEEEPS5_m14custom_greaterIfEEE10hipError_tT0_T1_T2_jT3_P12ihipStream_tbPNSt15iterator_traitsISJ_E10value_typeEPNSP_ISK_E10value_typeEPSL_NS1_7vsmem_tEENKUlT_SJ_SK_SL_E_clISE_PfSF_SF_EESI_SY_SJ_SK_SL_EUlSY_E1_NS1_11comp_targetILNS1_3genE4ELNS1_11target_archE910ELNS1_3gpuE8ELNS1_3repE0EEENS1_36merge_oddeven_config_static_selectorELNS0_4arch9wavefront6targetE1EEEvSK_
		.amdhsa_group_segment_fixed_size 0
		.amdhsa_private_segment_fixed_size 0
		.amdhsa_kernarg_size 56
		.amdhsa_user_sgpr_count 6
		.amdhsa_user_sgpr_private_segment_buffer 1
		.amdhsa_user_sgpr_dispatch_ptr 0
		.amdhsa_user_sgpr_queue_ptr 0
		.amdhsa_user_sgpr_kernarg_segment_ptr 1
		.amdhsa_user_sgpr_dispatch_id 0
		.amdhsa_user_sgpr_flat_scratch_init 0
		.amdhsa_user_sgpr_kernarg_preload_length 0
		.amdhsa_user_sgpr_kernarg_preload_offset 0
		.amdhsa_user_sgpr_private_segment_size 0
		.amdhsa_uses_dynamic_stack 0
		.amdhsa_system_sgpr_private_segment_wavefront_offset 0
		.amdhsa_system_sgpr_workgroup_id_x 1
		.amdhsa_system_sgpr_workgroup_id_y 0
		.amdhsa_system_sgpr_workgroup_id_z 0
		.amdhsa_system_sgpr_workgroup_info 0
		.amdhsa_system_vgpr_workitem_id 0
		.amdhsa_next_free_vgpr 10
		.amdhsa_next_free_sgpr 21
		.amdhsa_accum_offset 12
		.amdhsa_reserve_vcc 1
		.amdhsa_reserve_flat_scratch 0
		.amdhsa_float_round_mode_32 0
		.amdhsa_float_round_mode_16_64 0
		.amdhsa_float_denorm_mode_32 3
		.amdhsa_float_denorm_mode_16_64 3
		.amdhsa_dx10_clamp 1
		.amdhsa_ieee_mode 1
		.amdhsa_fp16_overflow 0
		.amdhsa_tg_split 0
		.amdhsa_exception_fp_ieee_invalid_op 0
		.amdhsa_exception_fp_denorm_src 0
		.amdhsa_exception_fp_ieee_div_zero 0
		.amdhsa_exception_fp_ieee_overflow 0
		.amdhsa_exception_fp_ieee_underflow 0
		.amdhsa_exception_fp_ieee_inexact 0
		.amdhsa_exception_int_div_zero 0
	.end_amdhsa_kernel
	.section	.text._ZN7rocprim17ROCPRIM_400000_NS6detail17trampoline_kernelINS0_14default_configENS1_38merge_sort_block_merge_config_selectorIfNS0_10empty_typeEEEZZNS1_27merge_sort_block_merge_implIS3_N6thrust23THRUST_200600_302600_NS6detail15normal_iteratorINS9_10device_ptrIfEEEEPS5_m14custom_greaterIfEEE10hipError_tT0_T1_T2_jT3_P12ihipStream_tbPNSt15iterator_traitsISJ_E10value_typeEPNSP_ISK_E10value_typeEPSL_NS1_7vsmem_tEENKUlT_SJ_SK_SL_E_clISE_PfSF_SF_EESI_SY_SJ_SK_SL_EUlSY_E1_NS1_11comp_targetILNS1_3genE4ELNS1_11target_archE910ELNS1_3gpuE8ELNS1_3repE0EEENS1_36merge_oddeven_config_static_selectorELNS0_4arch9wavefront6targetE1EEEvSK_,"axG",@progbits,_ZN7rocprim17ROCPRIM_400000_NS6detail17trampoline_kernelINS0_14default_configENS1_38merge_sort_block_merge_config_selectorIfNS0_10empty_typeEEEZZNS1_27merge_sort_block_merge_implIS3_N6thrust23THRUST_200600_302600_NS6detail15normal_iteratorINS9_10device_ptrIfEEEEPS5_m14custom_greaterIfEEE10hipError_tT0_T1_T2_jT3_P12ihipStream_tbPNSt15iterator_traitsISJ_E10value_typeEPNSP_ISK_E10value_typeEPSL_NS1_7vsmem_tEENKUlT_SJ_SK_SL_E_clISE_PfSF_SF_EESI_SY_SJ_SK_SL_EUlSY_E1_NS1_11comp_targetILNS1_3genE4ELNS1_11target_archE910ELNS1_3gpuE8ELNS1_3repE0EEENS1_36merge_oddeven_config_static_selectorELNS0_4arch9wavefront6targetE1EEEvSK_,comdat
.Lfunc_end3581:
	.size	_ZN7rocprim17ROCPRIM_400000_NS6detail17trampoline_kernelINS0_14default_configENS1_38merge_sort_block_merge_config_selectorIfNS0_10empty_typeEEEZZNS1_27merge_sort_block_merge_implIS3_N6thrust23THRUST_200600_302600_NS6detail15normal_iteratorINS9_10device_ptrIfEEEEPS5_m14custom_greaterIfEEE10hipError_tT0_T1_T2_jT3_P12ihipStream_tbPNSt15iterator_traitsISJ_E10value_typeEPNSP_ISK_E10value_typeEPSL_NS1_7vsmem_tEENKUlT_SJ_SK_SL_E_clISE_PfSF_SF_EESI_SY_SJ_SK_SL_EUlSY_E1_NS1_11comp_targetILNS1_3genE4ELNS1_11target_archE910ELNS1_3gpuE8ELNS1_3repE0EEENS1_36merge_oddeven_config_static_selectorELNS0_4arch9wavefront6targetE1EEEvSK_, .Lfunc_end3581-_ZN7rocprim17ROCPRIM_400000_NS6detail17trampoline_kernelINS0_14default_configENS1_38merge_sort_block_merge_config_selectorIfNS0_10empty_typeEEEZZNS1_27merge_sort_block_merge_implIS3_N6thrust23THRUST_200600_302600_NS6detail15normal_iteratorINS9_10device_ptrIfEEEEPS5_m14custom_greaterIfEEE10hipError_tT0_T1_T2_jT3_P12ihipStream_tbPNSt15iterator_traitsISJ_E10value_typeEPNSP_ISK_E10value_typeEPSL_NS1_7vsmem_tEENKUlT_SJ_SK_SL_E_clISE_PfSF_SF_EESI_SY_SJ_SK_SL_EUlSY_E1_NS1_11comp_targetILNS1_3genE4ELNS1_11target_archE910ELNS1_3gpuE8ELNS1_3repE0EEENS1_36merge_oddeven_config_static_selectorELNS0_4arch9wavefront6targetE1EEEvSK_
                                        ; -- End function
	.section	.AMDGPU.csdata,"",@progbits
; Kernel info:
; codeLenInByte = 588
; NumSgprs: 25
; NumVgprs: 10
; NumAgprs: 0
; TotalNumVgprs: 10
; ScratchSize: 0
; MemoryBound: 0
; FloatMode: 240
; IeeeMode: 1
; LDSByteSize: 0 bytes/workgroup (compile time only)
; SGPRBlocks: 3
; VGPRBlocks: 1
; NumSGPRsForWavesPerEU: 25
; NumVGPRsForWavesPerEU: 10
; AccumOffset: 12
; Occupancy: 8
; WaveLimiterHint : 0
; COMPUTE_PGM_RSRC2:SCRATCH_EN: 0
; COMPUTE_PGM_RSRC2:USER_SGPR: 6
; COMPUTE_PGM_RSRC2:TRAP_HANDLER: 0
; COMPUTE_PGM_RSRC2:TGID_X_EN: 1
; COMPUTE_PGM_RSRC2:TGID_Y_EN: 0
; COMPUTE_PGM_RSRC2:TGID_Z_EN: 0
; COMPUTE_PGM_RSRC2:TIDIG_COMP_CNT: 0
; COMPUTE_PGM_RSRC3_GFX90A:ACCUM_OFFSET: 2
; COMPUTE_PGM_RSRC3_GFX90A:TG_SPLIT: 0
	.section	.text._ZN7rocprim17ROCPRIM_400000_NS6detail17trampoline_kernelINS0_14default_configENS1_38merge_sort_block_merge_config_selectorIfNS0_10empty_typeEEEZZNS1_27merge_sort_block_merge_implIS3_N6thrust23THRUST_200600_302600_NS6detail15normal_iteratorINS9_10device_ptrIfEEEEPS5_m14custom_greaterIfEEE10hipError_tT0_T1_T2_jT3_P12ihipStream_tbPNSt15iterator_traitsISJ_E10value_typeEPNSP_ISK_E10value_typeEPSL_NS1_7vsmem_tEENKUlT_SJ_SK_SL_E_clISE_PfSF_SF_EESI_SY_SJ_SK_SL_EUlSY_E1_NS1_11comp_targetILNS1_3genE3ELNS1_11target_archE908ELNS1_3gpuE7ELNS1_3repE0EEENS1_36merge_oddeven_config_static_selectorELNS0_4arch9wavefront6targetE1EEEvSK_,"axG",@progbits,_ZN7rocprim17ROCPRIM_400000_NS6detail17trampoline_kernelINS0_14default_configENS1_38merge_sort_block_merge_config_selectorIfNS0_10empty_typeEEEZZNS1_27merge_sort_block_merge_implIS3_N6thrust23THRUST_200600_302600_NS6detail15normal_iteratorINS9_10device_ptrIfEEEEPS5_m14custom_greaterIfEEE10hipError_tT0_T1_T2_jT3_P12ihipStream_tbPNSt15iterator_traitsISJ_E10value_typeEPNSP_ISK_E10value_typeEPSL_NS1_7vsmem_tEENKUlT_SJ_SK_SL_E_clISE_PfSF_SF_EESI_SY_SJ_SK_SL_EUlSY_E1_NS1_11comp_targetILNS1_3genE3ELNS1_11target_archE908ELNS1_3gpuE7ELNS1_3repE0EEENS1_36merge_oddeven_config_static_selectorELNS0_4arch9wavefront6targetE1EEEvSK_,comdat
	.protected	_ZN7rocprim17ROCPRIM_400000_NS6detail17trampoline_kernelINS0_14default_configENS1_38merge_sort_block_merge_config_selectorIfNS0_10empty_typeEEEZZNS1_27merge_sort_block_merge_implIS3_N6thrust23THRUST_200600_302600_NS6detail15normal_iteratorINS9_10device_ptrIfEEEEPS5_m14custom_greaterIfEEE10hipError_tT0_T1_T2_jT3_P12ihipStream_tbPNSt15iterator_traitsISJ_E10value_typeEPNSP_ISK_E10value_typeEPSL_NS1_7vsmem_tEENKUlT_SJ_SK_SL_E_clISE_PfSF_SF_EESI_SY_SJ_SK_SL_EUlSY_E1_NS1_11comp_targetILNS1_3genE3ELNS1_11target_archE908ELNS1_3gpuE7ELNS1_3repE0EEENS1_36merge_oddeven_config_static_selectorELNS0_4arch9wavefront6targetE1EEEvSK_ ; -- Begin function _ZN7rocprim17ROCPRIM_400000_NS6detail17trampoline_kernelINS0_14default_configENS1_38merge_sort_block_merge_config_selectorIfNS0_10empty_typeEEEZZNS1_27merge_sort_block_merge_implIS3_N6thrust23THRUST_200600_302600_NS6detail15normal_iteratorINS9_10device_ptrIfEEEEPS5_m14custom_greaterIfEEE10hipError_tT0_T1_T2_jT3_P12ihipStream_tbPNSt15iterator_traitsISJ_E10value_typeEPNSP_ISK_E10value_typeEPSL_NS1_7vsmem_tEENKUlT_SJ_SK_SL_E_clISE_PfSF_SF_EESI_SY_SJ_SK_SL_EUlSY_E1_NS1_11comp_targetILNS1_3genE3ELNS1_11target_archE908ELNS1_3gpuE7ELNS1_3repE0EEENS1_36merge_oddeven_config_static_selectorELNS0_4arch9wavefront6targetE1EEEvSK_
	.globl	_ZN7rocprim17ROCPRIM_400000_NS6detail17trampoline_kernelINS0_14default_configENS1_38merge_sort_block_merge_config_selectorIfNS0_10empty_typeEEEZZNS1_27merge_sort_block_merge_implIS3_N6thrust23THRUST_200600_302600_NS6detail15normal_iteratorINS9_10device_ptrIfEEEEPS5_m14custom_greaterIfEEE10hipError_tT0_T1_T2_jT3_P12ihipStream_tbPNSt15iterator_traitsISJ_E10value_typeEPNSP_ISK_E10value_typeEPSL_NS1_7vsmem_tEENKUlT_SJ_SK_SL_E_clISE_PfSF_SF_EESI_SY_SJ_SK_SL_EUlSY_E1_NS1_11comp_targetILNS1_3genE3ELNS1_11target_archE908ELNS1_3gpuE7ELNS1_3repE0EEENS1_36merge_oddeven_config_static_selectorELNS0_4arch9wavefront6targetE1EEEvSK_
	.p2align	8
	.type	_ZN7rocprim17ROCPRIM_400000_NS6detail17trampoline_kernelINS0_14default_configENS1_38merge_sort_block_merge_config_selectorIfNS0_10empty_typeEEEZZNS1_27merge_sort_block_merge_implIS3_N6thrust23THRUST_200600_302600_NS6detail15normal_iteratorINS9_10device_ptrIfEEEEPS5_m14custom_greaterIfEEE10hipError_tT0_T1_T2_jT3_P12ihipStream_tbPNSt15iterator_traitsISJ_E10value_typeEPNSP_ISK_E10value_typeEPSL_NS1_7vsmem_tEENKUlT_SJ_SK_SL_E_clISE_PfSF_SF_EESI_SY_SJ_SK_SL_EUlSY_E1_NS1_11comp_targetILNS1_3genE3ELNS1_11target_archE908ELNS1_3gpuE7ELNS1_3repE0EEENS1_36merge_oddeven_config_static_selectorELNS0_4arch9wavefront6targetE1EEEvSK_,@function
_ZN7rocprim17ROCPRIM_400000_NS6detail17trampoline_kernelINS0_14default_configENS1_38merge_sort_block_merge_config_selectorIfNS0_10empty_typeEEEZZNS1_27merge_sort_block_merge_implIS3_N6thrust23THRUST_200600_302600_NS6detail15normal_iteratorINS9_10device_ptrIfEEEEPS5_m14custom_greaterIfEEE10hipError_tT0_T1_T2_jT3_P12ihipStream_tbPNSt15iterator_traitsISJ_E10value_typeEPNSP_ISK_E10value_typeEPSL_NS1_7vsmem_tEENKUlT_SJ_SK_SL_E_clISE_PfSF_SF_EESI_SY_SJ_SK_SL_EUlSY_E1_NS1_11comp_targetILNS1_3genE3ELNS1_11target_archE908ELNS1_3gpuE7ELNS1_3repE0EEENS1_36merge_oddeven_config_static_selectorELNS0_4arch9wavefront6targetE1EEEvSK_: ; @_ZN7rocprim17ROCPRIM_400000_NS6detail17trampoline_kernelINS0_14default_configENS1_38merge_sort_block_merge_config_selectorIfNS0_10empty_typeEEEZZNS1_27merge_sort_block_merge_implIS3_N6thrust23THRUST_200600_302600_NS6detail15normal_iteratorINS9_10device_ptrIfEEEEPS5_m14custom_greaterIfEEE10hipError_tT0_T1_T2_jT3_P12ihipStream_tbPNSt15iterator_traitsISJ_E10value_typeEPNSP_ISK_E10value_typeEPSL_NS1_7vsmem_tEENKUlT_SJ_SK_SL_E_clISE_PfSF_SF_EESI_SY_SJ_SK_SL_EUlSY_E1_NS1_11comp_targetILNS1_3genE3ELNS1_11target_archE908ELNS1_3gpuE7ELNS1_3repE0EEENS1_36merge_oddeven_config_static_selectorELNS0_4arch9wavefront6targetE1EEEvSK_
; %bb.0:
	.section	.rodata,"a",@progbits
	.p2align	6, 0x0
	.amdhsa_kernel _ZN7rocprim17ROCPRIM_400000_NS6detail17trampoline_kernelINS0_14default_configENS1_38merge_sort_block_merge_config_selectorIfNS0_10empty_typeEEEZZNS1_27merge_sort_block_merge_implIS3_N6thrust23THRUST_200600_302600_NS6detail15normal_iteratorINS9_10device_ptrIfEEEEPS5_m14custom_greaterIfEEE10hipError_tT0_T1_T2_jT3_P12ihipStream_tbPNSt15iterator_traitsISJ_E10value_typeEPNSP_ISK_E10value_typeEPSL_NS1_7vsmem_tEENKUlT_SJ_SK_SL_E_clISE_PfSF_SF_EESI_SY_SJ_SK_SL_EUlSY_E1_NS1_11comp_targetILNS1_3genE3ELNS1_11target_archE908ELNS1_3gpuE7ELNS1_3repE0EEENS1_36merge_oddeven_config_static_selectorELNS0_4arch9wavefront6targetE1EEEvSK_
		.amdhsa_group_segment_fixed_size 0
		.amdhsa_private_segment_fixed_size 0
		.amdhsa_kernarg_size 56
		.amdhsa_user_sgpr_count 6
		.amdhsa_user_sgpr_private_segment_buffer 1
		.amdhsa_user_sgpr_dispatch_ptr 0
		.amdhsa_user_sgpr_queue_ptr 0
		.amdhsa_user_sgpr_kernarg_segment_ptr 1
		.amdhsa_user_sgpr_dispatch_id 0
		.amdhsa_user_sgpr_flat_scratch_init 0
		.amdhsa_user_sgpr_kernarg_preload_length 0
		.amdhsa_user_sgpr_kernarg_preload_offset 0
		.amdhsa_user_sgpr_private_segment_size 0
		.amdhsa_uses_dynamic_stack 0
		.amdhsa_system_sgpr_private_segment_wavefront_offset 0
		.amdhsa_system_sgpr_workgroup_id_x 1
		.amdhsa_system_sgpr_workgroup_id_y 0
		.amdhsa_system_sgpr_workgroup_id_z 0
		.amdhsa_system_sgpr_workgroup_info 0
		.amdhsa_system_vgpr_workitem_id 0
		.amdhsa_next_free_vgpr 1
		.amdhsa_next_free_sgpr 0
		.amdhsa_accum_offset 4
		.amdhsa_reserve_vcc 0
		.amdhsa_reserve_flat_scratch 0
		.amdhsa_float_round_mode_32 0
		.amdhsa_float_round_mode_16_64 0
		.amdhsa_float_denorm_mode_32 3
		.amdhsa_float_denorm_mode_16_64 3
		.amdhsa_dx10_clamp 1
		.amdhsa_ieee_mode 1
		.amdhsa_fp16_overflow 0
		.amdhsa_tg_split 0
		.amdhsa_exception_fp_ieee_invalid_op 0
		.amdhsa_exception_fp_denorm_src 0
		.amdhsa_exception_fp_ieee_div_zero 0
		.amdhsa_exception_fp_ieee_overflow 0
		.amdhsa_exception_fp_ieee_underflow 0
		.amdhsa_exception_fp_ieee_inexact 0
		.amdhsa_exception_int_div_zero 0
	.end_amdhsa_kernel
	.section	.text._ZN7rocprim17ROCPRIM_400000_NS6detail17trampoline_kernelINS0_14default_configENS1_38merge_sort_block_merge_config_selectorIfNS0_10empty_typeEEEZZNS1_27merge_sort_block_merge_implIS3_N6thrust23THRUST_200600_302600_NS6detail15normal_iteratorINS9_10device_ptrIfEEEEPS5_m14custom_greaterIfEEE10hipError_tT0_T1_T2_jT3_P12ihipStream_tbPNSt15iterator_traitsISJ_E10value_typeEPNSP_ISK_E10value_typeEPSL_NS1_7vsmem_tEENKUlT_SJ_SK_SL_E_clISE_PfSF_SF_EESI_SY_SJ_SK_SL_EUlSY_E1_NS1_11comp_targetILNS1_3genE3ELNS1_11target_archE908ELNS1_3gpuE7ELNS1_3repE0EEENS1_36merge_oddeven_config_static_selectorELNS0_4arch9wavefront6targetE1EEEvSK_,"axG",@progbits,_ZN7rocprim17ROCPRIM_400000_NS6detail17trampoline_kernelINS0_14default_configENS1_38merge_sort_block_merge_config_selectorIfNS0_10empty_typeEEEZZNS1_27merge_sort_block_merge_implIS3_N6thrust23THRUST_200600_302600_NS6detail15normal_iteratorINS9_10device_ptrIfEEEEPS5_m14custom_greaterIfEEE10hipError_tT0_T1_T2_jT3_P12ihipStream_tbPNSt15iterator_traitsISJ_E10value_typeEPNSP_ISK_E10value_typeEPSL_NS1_7vsmem_tEENKUlT_SJ_SK_SL_E_clISE_PfSF_SF_EESI_SY_SJ_SK_SL_EUlSY_E1_NS1_11comp_targetILNS1_3genE3ELNS1_11target_archE908ELNS1_3gpuE7ELNS1_3repE0EEENS1_36merge_oddeven_config_static_selectorELNS0_4arch9wavefront6targetE1EEEvSK_,comdat
.Lfunc_end3582:
	.size	_ZN7rocprim17ROCPRIM_400000_NS6detail17trampoline_kernelINS0_14default_configENS1_38merge_sort_block_merge_config_selectorIfNS0_10empty_typeEEEZZNS1_27merge_sort_block_merge_implIS3_N6thrust23THRUST_200600_302600_NS6detail15normal_iteratorINS9_10device_ptrIfEEEEPS5_m14custom_greaterIfEEE10hipError_tT0_T1_T2_jT3_P12ihipStream_tbPNSt15iterator_traitsISJ_E10value_typeEPNSP_ISK_E10value_typeEPSL_NS1_7vsmem_tEENKUlT_SJ_SK_SL_E_clISE_PfSF_SF_EESI_SY_SJ_SK_SL_EUlSY_E1_NS1_11comp_targetILNS1_3genE3ELNS1_11target_archE908ELNS1_3gpuE7ELNS1_3repE0EEENS1_36merge_oddeven_config_static_selectorELNS0_4arch9wavefront6targetE1EEEvSK_, .Lfunc_end3582-_ZN7rocprim17ROCPRIM_400000_NS6detail17trampoline_kernelINS0_14default_configENS1_38merge_sort_block_merge_config_selectorIfNS0_10empty_typeEEEZZNS1_27merge_sort_block_merge_implIS3_N6thrust23THRUST_200600_302600_NS6detail15normal_iteratorINS9_10device_ptrIfEEEEPS5_m14custom_greaterIfEEE10hipError_tT0_T1_T2_jT3_P12ihipStream_tbPNSt15iterator_traitsISJ_E10value_typeEPNSP_ISK_E10value_typeEPSL_NS1_7vsmem_tEENKUlT_SJ_SK_SL_E_clISE_PfSF_SF_EESI_SY_SJ_SK_SL_EUlSY_E1_NS1_11comp_targetILNS1_3genE3ELNS1_11target_archE908ELNS1_3gpuE7ELNS1_3repE0EEENS1_36merge_oddeven_config_static_selectorELNS0_4arch9wavefront6targetE1EEEvSK_
                                        ; -- End function
	.section	.AMDGPU.csdata,"",@progbits
; Kernel info:
; codeLenInByte = 0
; NumSgprs: 4
; NumVgprs: 0
; NumAgprs: 0
; TotalNumVgprs: 0
; ScratchSize: 0
; MemoryBound: 0
; FloatMode: 240
; IeeeMode: 1
; LDSByteSize: 0 bytes/workgroup (compile time only)
; SGPRBlocks: 0
; VGPRBlocks: 0
; NumSGPRsForWavesPerEU: 4
; NumVGPRsForWavesPerEU: 1
; AccumOffset: 4
; Occupancy: 8
; WaveLimiterHint : 0
; COMPUTE_PGM_RSRC2:SCRATCH_EN: 0
; COMPUTE_PGM_RSRC2:USER_SGPR: 6
; COMPUTE_PGM_RSRC2:TRAP_HANDLER: 0
; COMPUTE_PGM_RSRC2:TGID_X_EN: 1
; COMPUTE_PGM_RSRC2:TGID_Y_EN: 0
; COMPUTE_PGM_RSRC2:TGID_Z_EN: 0
; COMPUTE_PGM_RSRC2:TIDIG_COMP_CNT: 0
; COMPUTE_PGM_RSRC3_GFX90A:ACCUM_OFFSET: 0
; COMPUTE_PGM_RSRC3_GFX90A:TG_SPLIT: 0
	.section	.text._ZN7rocprim17ROCPRIM_400000_NS6detail17trampoline_kernelINS0_14default_configENS1_38merge_sort_block_merge_config_selectorIfNS0_10empty_typeEEEZZNS1_27merge_sort_block_merge_implIS3_N6thrust23THRUST_200600_302600_NS6detail15normal_iteratorINS9_10device_ptrIfEEEEPS5_m14custom_greaterIfEEE10hipError_tT0_T1_T2_jT3_P12ihipStream_tbPNSt15iterator_traitsISJ_E10value_typeEPNSP_ISK_E10value_typeEPSL_NS1_7vsmem_tEENKUlT_SJ_SK_SL_E_clISE_PfSF_SF_EESI_SY_SJ_SK_SL_EUlSY_E1_NS1_11comp_targetILNS1_3genE2ELNS1_11target_archE906ELNS1_3gpuE6ELNS1_3repE0EEENS1_36merge_oddeven_config_static_selectorELNS0_4arch9wavefront6targetE1EEEvSK_,"axG",@progbits,_ZN7rocprim17ROCPRIM_400000_NS6detail17trampoline_kernelINS0_14default_configENS1_38merge_sort_block_merge_config_selectorIfNS0_10empty_typeEEEZZNS1_27merge_sort_block_merge_implIS3_N6thrust23THRUST_200600_302600_NS6detail15normal_iteratorINS9_10device_ptrIfEEEEPS5_m14custom_greaterIfEEE10hipError_tT0_T1_T2_jT3_P12ihipStream_tbPNSt15iterator_traitsISJ_E10value_typeEPNSP_ISK_E10value_typeEPSL_NS1_7vsmem_tEENKUlT_SJ_SK_SL_E_clISE_PfSF_SF_EESI_SY_SJ_SK_SL_EUlSY_E1_NS1_11comp_targetILNS1_3genE2ELNS1_11target_archE906ELNS1_3gpuE6ELNS1_3repE0EEENS1_36merge_oddeven_config_static_selectorELNS0_4arch9wavefront6targetE1EEEvSK_,comdat
	.protected	_ZN7rocprim17ROCPRIM_400000_NS6detail17trampoline_kernelINS0_14default_configENS1_38merge_sort_block_merge_config_selectorIfNS0_10empty_typeEEEZZNS1_27merge_sort_block_merge_implIS3_N6thrust23THRUST_200600_302600_NS6detail15normal_iteratorINS9_10device_ptrIfEEEEPS5_m14custom_greaterIfEEE10hipError_tT0_T1_T2_jT3_P12ihipStream_tbPNSt15iterator_traitsISJ_E10value_typeEPNSP_ISK_E10value_typeEPSL_NS1_7vsmem_tEENKUlT_SJ_SK_SL_E_clISE_PfSF_SF_EESI_SY_SJ_SK_SL_EUlSY_E1_NS1_11comp_targetILNS1_3genE2ELNS1_11target_archE906ELNS1_3gpuE6ELNS1_3repE0EEENS1_36merge_oddeven_config_static_selectorELNS0_4arch9wavefront6targetE1EEEvSK_ ; -- Begin function _ZN7rocprim17ROCPRIM_400000_NS6detail17trampoline_kernelINS0_14default_configENS1_38merge_sort_block_merge_config_selectorIfNS0_10empty_typeEEEZZNS1_27merge_sort_block_merge_implIS3_N6thrust23THRUST_200600_302600_NS6detail15normal_iteratorINS9_10device_ptrIfEEEEPS5_m14custom_greaterIfEEE10hipError_tT0_T1_T2_jT3_P12ihipStream_tbPNSt15iterator_traitsISJ_E10value_typeEPNSP_ISK_E10value_typeEPSL_NS1_7vsmem_tEENKUlT_SJ_SK_SL_E_clISE_PfSF_SF_EESI_SY_SJ_SK_SL_EUlSY_E1_NS1_11comp_targetILNS1_3genE2ELNS1_11target_archE906ELNS1_3gpuE6ELNS1_3repE0EEENS1_36merge_oddeven_config_static_selectorELNS0_4arch9wavefront6targetE1EEEvSK_
	.globl	_ZN7rocprim17ROCPRIM_400000_NS6detail17trampoline_kernelINS0_14default_configENS1_38merge_sort_block_merge_config_selectorIfNS0_10empty_typeEEEZZNS1_27merge_sort_block_merge_implIS3_N6thrust23THRUST_200600_302600_NS6detail15normal_iteratorINS9_10device_ptrIfEEEEPS5_m14custom_greaterIfEEE10hipError_tT0_T1_T2_jT3_P12ihipStream_tbPNSt15iterator_traitsISJ_E10value_typeEPNSP_ISK_E10value_typeEPSL_NS1_7vsmem_tEENKUlT_SJ_SK_SL_E_clISE_PfSF_SF_EESI_SY_SJ_SK_SL_EUlSY_E1_NS1_11comp_targetILNS1_3genE2ELNS1_11target_archE906ELNS1_3gpuE6ELNS1_3repE0EEENS1_36merge_oddeven_config_static_selectorELNS0_4arch9wavefront6targetE1EEEvSK_
	.p2align	8
	.type	_ZN7rocprim17ROCPRIM_400000_NS6detail17trampoline_kernelINS0_14default_configENS1_38merge_sort_block_merge_config_selectorIfNS0_10empty_typeEEEZZNS1_27merge_sort_block_merge_implIS3_N6thrust23THRUST_200600_302600_NS6detail15normal_iteratorINS9_10device_ptrIfEEEEPS5_m14custom_greaterIfEEE10hipError_tT0_T1_T2_jT3_P12ihipStream_tbPNSt15iterator_traitsISJ_E10value_typeEPNSP_ISK_E10value_typeEPSL_NS1_7vsmem_tEENKUlT_SJ_SK_SL_E_clISE_PfSF_SF_EESI_SY_SJ_SK_SL_EUlSY_E1_NS1_11comp_targetILNS1_3genE2ELNS1_11target_archE906ELNS1_3gpuE6ELNS1_3repE0EEENS1_36merge_oddeven_config_static_selectorELNS0_4arch9wavefront6targetE1EEEvSK_,@function
_ZN7rocprim17ROCPRIM_400000_NS6detail17trampoline_kernelINS0_14default_configENS1_38merge_sort_block_merge_config_selectorIfNS0_10empty_typeEEEZZNS1_27merge_sort_block_merge_implIS3_N6thrust23THRUST_200600_302600_NS6detail15normal_iteratorINS9_10device_ptrIfEEEEPS5_m14custom_greaterIfEEE10hipError_tT0_T1_T2_jT3_P12ihipStream_tbPNSt15iterator_traitsISJ_E10value_typeEPNSP_ISK_E10value_typeEPSL_NS1_7vsmem_tEENKUlT_SJ_SK_SL_E_clISE_PfSF_SF_EESI_SY_SJ_SK_SL_EUlSY_E1_NS1_11comp_targetILNS1_3genE2ELNS1_11target_archE906ELNS1_3gpuE6ELNS1_3repE0EEENS1_36merge_oddeven_config_static_selectorELNS0_4arch9wavefront6targetE1EEEvSK_: ; @_ZN7rocprim17ROCPRIM_400000_NS6detail17trampoline_kernelINS0_14default_configENS1_38merge_sort_block_merge_config_selectorIfNS0_10empty_typeEEEZZNS1_27merge_sort_block_merge_implIS3_N6thrust23THRUST_200600_302600_NS6detail15normal_iteratorINS9_10device_ptrIfEEEEPS5_m14custom_greaterIfEEE10hipError_tT0_T1_T2_jT3_P12ihipStream_tbPNSt15iterator_traitsISJ_E10value_typeEPNSP_ISK_E10value_typeEPSL_NS1_7vsmem_tEENKUlT_SJ_SK_SL_E_clISE_PfSF_SF_EESI_SY_SJ_SK_SL_EUlSY_E1_NS1_11comp_targetILNS1_3genE2ELNS1_11target_archE906ELNS1_3gpuE6ELNS1_3repE0EEENS1_36merge_oddeven_config_static_selectorELNS0_4arch9wavefront6targetE1EEEvSK_
; %bb.0:
	.section	.rodata,"a",@progbits
	.p2align	6, 0x0
	.amdhsa_kernel _ZN7rocprim17ROCPRIM_400000_NS6detail17trampoline_kernelINS0_14default_configENS1_38merge_sort_block_merge_config_selectorIfNS0_10empty_typeEEEZZNS1_27merge_sort_block_merge_implIS3_N6thrust23THRUST_200600_302600_NS6detail15normal_iteratorINS9_10device_ptrIfEEEEPS5_m14custom_greaterIfEEE10hipError_tT0_T1_T2_jT3_P12ihipStream_tbPNSt15iterator_traitsISJ_E10value_typeEPNSP_ISK_E10value_typeEPSL_NS1_7vsmem_tEENKUlT_SJ_SK_SL_E_clISE_PfSF_SF_EESI_SY_SJ_SK_SL_EUlSY_E1_NS1_11comp_targetILNS1_3genE2ELNS1_11target_archE906ELNS1_3gpuE6ELNS1_3repE0EEENS1_36merge_oddeven_config_static_selectorELNS0_4arch9wavefront6targetE1EEEvSK_
		.amdhsa_group_segment_fixed_size 0
		.amdhsa_private_segment_fixed_size 0
		.amdhsa_kernarg_size 56
		.amdhsa_user_sgpr_count 6
		.amdhsa_user_sgpr_private_segment_buffer 1
		.amdhsa_user_sgpr_dispatch_ptr 0
		.amdhsa_user_sgpr_queue_ptr 0
		.amdhsa_user_sgpr_kernarg_segment_ptr 1
		.amdhsa_user_sgpr_dispatch_id 0
		.amdhsa_user_sgpr_flat_scratch_init 0
		.amdhsa_user_sgpr_kernarg_preload_length 0
		.amdhsa_user_sgpr_kernarg_preload_offset 0
		.amdhsa_user_sgpr_private_segment_size 0
		.amdhsa_uses_dynamic_stack 0
		.amdhsa_system_sgpr_private_segment_wavefront_offset 0
		.amdhsa_system_sgpr_workgroup_id_x 1
		.amdhsa_system_sgpr_workgroup_id_y 0
		.amdhsa_system_sgpr_workgroup_id_z 0
		.amdhsa_system_sgpr_workgroup_info 0
		.amdhsa_system_vgpr_workitem_id 0
		.amdhsa_next_free_vgpr 1
		.amdhsa_next_free_sgpr 0
		.amdhsa_accum_offset 4
		.amdhsa_reserve_vcc 0
		.amdhsa_reserve_flat_scratch 0
		.amdhsa_float_round_mode_32 0
		.amdhsa_float_round_mode_16_64 0
		.amdhsa_float_denorm_mode_32 3
		.amdhsa_float_denorm_mode_16_64 3
		.amdhsa_dx10_clamp 1
		.amdhsa_ieee_mode 1
		.amdhsa_fp16_overflow 0
		.amdhsa_tg_split 0
		.amdhsa_exception_fp_ieee_invalid_op 0
		.amdhsa_exception_fp_denorm_src 0
		.amdhsa_exception_fp_ieee_div_zero 0
		.amdhsa_exception_fp_ieee_overflow 0
		.amdhsa_exception_fp_ieee_underflow 0
		.amdhsa_exception_fp_ieee_inexact 0
		.amdhsa_exception_int_div_zero 0
	.end_amdhsa_kernel
	.section	.text._ZN7rocprim17ROCPRIM_400000_NS6detail17trampoline_kernelINS0_14default_configENS1_38merge_sort_block_merge_config_selectorIfNS0_10empty_typeEEEZZNS1_27merge_sort_block_merge_implIS3_N6thrust23THRUST_200600_302600_NS6detail15normal_iteratorINS9_10device_ptrIfEEEEPS5_m14custom_greaterIfEEE10hipError_tT0_T1_T2_jT3_P12ihipStream_tbPNSt15iterator_traitsISJ_E10value_typeEPNSP_ISK_E10value_typeEPSL_NS1_7vsmem_tEENKUlT_SJ_SK_SL_E_clISE_PfSF_SF_EESI_SY_SJ_SK_SL_EUlSY_E1_NS1_11comp_targetILNS1_3genE2ELNS1_11target_archE906ELNS1_3gpuE6ELNS1_3repE0EEENS1_36merge_oddeven_config_static_selectorELNS0_4arch9wavefront6targetE1EEEvSK_,"axG",@progbits,_ZN7rocprim17ROCPRIM_400000_NS6detail17trampoline_kernelINS0_14default_configENS1_38merge_sort_block_merge_config_selectorIfNS0_10empty_typeEEEZZNS1_27merge_sort_block_merge_implIS3_N6thrust23THRUST_200600_302600_NS6detail15normal_iteratorINS9_10device_ptrIfEEEEPS5_m14custom_greaterIfEEE10hipError_tT0_T1_T2_jT3_P12ihipStream_tbPNSt15iterator_traitsISJ_E10value_typeEPNSP_ISK_E10value_typeEPSL_NS1_7vsmem_tEENKUlT_SJ_SK_SL_E_clISE_PfSF_SF_EESI_SY_SJ_SK_SL_EUlSY_E1_NS1_11comp_targetILNS1_3genE2ELNS1_11target_archE906ELNS1_3gpuE6ELNS1_3repE0EEENS1_36merge_oddeven_config_static_selectorELNS0_4arch9wavefront6targetE1EEEvSK_,comdat
.Lfunc_end3583:
	.size	_ZN7rocprim17ROCPRIM_400000_NS6detail17trampoline_kernelINS0_14default_configENS1_38merge_sort_block_merge_config_selectorIfNS0_10empty_typeEEEZZNS1_27merge_sort_block_merge_implIS3_N6thrust23THRUST_200600_302600_NS6detail15normal_iteratorINS9_10device_ptrIfEEEEPS5_m14custom_greaterIfEEE10hipError_tT0_T1_T2_jT3_P12ihipStream_tbPNSt15iterator_traitsISJ_E10value_typeEPNSP_ISK_E10value_typeEPSL_NS1_7vsmem_tEENKUlT_SJ_SK_SL_E_clISE_PfSF_SF_EESI_SY_SJ_SK_SL_EUlSY_E1_NS1_11comp_targetILNS1_3genE2ELNS1_11target_archE906ELNS1_3gpuE6ELNS1_3repE0EEENS1_36merge_oddeven_config_static_selectorELNS0_4arch9wavefront6targetE1EEEvSK_, .Lfunc_end3583-_ZN7rocprim17ROCPRIM_400000_NS6detail17trampoline_kernelINS0_14default_configENS1_38merge_sort_block_merge_config_selectorIfNS0_10empty_typeEEEZZNS1_27merge_sort_block_merge_implIS3_N6thrust23THRUST_200600_302600_NS6detail15normal_iteratorINS9_10device_ptrIfEEEEPS5_m14custom_greaterIfEEE10hipError_tT0_T1_T2_jT3_P12ihipStream_tbPNSt15iterator_traitsISJ_E10value_typeEPNSP_ISK_E10value_typeEPSL_NS1_7vsmem_tEENKUlT_SJ_SK_SL_E_clISE_PfSF_SF_EESI_SY_SJ_SK_SL_EUlSY_E1_NS1_11comp_targetILNS1_3genE2ELNS1_11target_archE906ELNS1_3gpuE6ELNS1_3repE0EEENS1_36merge_oddeven_config_static_selectorELNS0_4arch9wavefront6targetE1EEEvSK_
                                        ; -- End function
	.section	.AMDGPU.csdata,"",@progbits
; Kernel info:
; codeLenInByte = 0
; NumSgprs: 4
; NumVgprs: 0
; NumAgprs: 0
; TotalNumVgprs: 0
; ScratchSize: 0
; MemoryBound: 0
; FloatMode: 240
; IeeeMode: 1
; LDSByteSize: 0 bytes/workgroup (compile time only)
; SGPRBlocks: 0
; VGPRBlocks: 0
; NumSGPRsForWavesPerEU: 4
; NumVGPRsForWavesPerEU: 1
; AccumOffset: 4
; Occupancy: 8
; WaveLimiterHint : 0
; COMPUTE_PGM_RSRC2:SCRATCH_EN: 0
; COMPUTE_PGM_RSRC2:USER_SGPR: 6
; COMPUTE_PGM_RSRC2:TRAP_HANDLER: 0
; COMPUTE_PGM_RSRC2:TGID_X_EN: 1
; COMPUTE_PGM_RSRC2:TGID_Y_EN: 0
; COMPUTE_PGM_RSRC2:TGID_Z_EN: 0
; COMPUTE_PGM_RSRC2:TIDIG_COMP_CNT: 0
; COMPUTE_PGM_RSRC3_GFX90A:ACCUM_OFFSET: 0
; COMPUTE_PGM_RSRC3_GFX90A:TG_SPLIT: 0
	.section	.text._ZN7rocprim17ROCPRIM_400000_NS6detail17trampoline_kernelINS0_14default_configENS1_38merge_sort_block_merge_config_selectorIfNS0_10empty_typeEEEZZNS1_27merge_sort_block_merge_implIS3_N6thrust23THRUST_200600_302600_NS6detail15normal_iteratorINS9_10device_ptrIfEEEEPS5_m14custom_greaterIfEEE10hipError_tT0_T1_T2_jT3_P12ihipStream_tbPNSt15iterator_traitsISJ_E10value_typeEPNSP_ISK_E10value_typeEPSL_NS1_7vsmem_tEENKUlT_SJ_SK_SL_E_clISE_PfSF_SF_EESI_SY_SJ_SK_SL_EUlSY_E1_NS1_11comp_targetILNS1_3genE9ELNS1_11target_archE1100ELNS1_3gpuE3ELNS1_3repE0EEENS1_36merge_oddeven_config_static_selectorELNS0_4arch9wavefront6targetE1EEEvSK_,"axG",@progbits,_ZN7rocprim17ROCPRIM_400000_NS6detail17trampoline_kernelINS0_14default_configENS1_38merge_sort_block_merge_config_selectorIfNS0_10empty_typeEEEZZNS1_27merge_sort_block_merge_implIS3_N6thrust23THRUST_200600_302600_NS6detail15normal_iteratorINS9_10device_ptrIfEEEEPS5_m14custom_greaterIfEEE10hipError_tT0_T1_T2_jT3_P12ihipStream_tbPNSt15iterator_traitsISJ_E10value_typeEPNSP_ISK_E10value_typeEPSL_NS1_7vsmem_tEENKUlT_SJ_SK_SL_E_clISE_PfSF_SF_EESI_SY_SJ_SK_SL_EUlSY_E1_NS1_11comp_targetILNS1_3genE9ELNS1_11target_archE1100ELNS1_3gpuE3ELNS1_3repE0EEENS1_36merge_oddeven_config_static_selectorELNS0_4arch9wavefront6targetE1EEEvSK_,comdat
	.protected	_ZN7rocprim17ROCPRIM_400000_NS6detail17trampoline_kernelINS0_14default_configENS1_38merge_sort_block_merge_config_selectorIfNS0_10empty_typeEEEZZNS1_27merge_sort_block_merge_implIS3_N6thrust23THRUST_200600_302600_NS6detail15normal_iteratorINS9_10device_ptrIfEEEEPS5_m14custom_greaterIfEEE10hipError_tT0_T1_T2_jT3_P12ihipStream_tbPNSt15iterator_traitsISJ_E10value_typeEPNSP_ISK_E10value_typeEPSL_NS1_7vsmem_tEENKUlT_SJ_SK_SL_E_clISE_PfSF_SF_EESI_SY_SJ_SK_SL_EUlSY_E1_NS1_11comp_targetILNS1_3genE9ELNS1_11target_archE1100ELNS1_3gpuE3ELNS1_3repE0EEENS1_36merge_oddeven_config_static_selectorELNS0_4arch9wavefront6targetE1EEEvSK_ ; -- Begin function _ZN7rocprim17ROCPRIM_400000_NS6detail17trampoline_kernelINS0_14default_configENS1_38merge_sort_block_merge_config_selectorIfNS0_10empty_typeEEEZZNS1_27merge_sort_block_merge_implIS3_N6thrust23THRUST_200600_302600_NS6detail15normal_iteratorINS9_10device_ptrIfEEEEPS5_m14custom_greaterIfEEE10hipError_tT0_T1_T2_jT3_P12ihipStream_tbPNSt15iterator_traitsISJ_E10value_typeEPNSP_ISK_E10value_typeEPSL_NS1_7vsmem_tEENKUlT_SJ_SK_SL_E_clISE_PfSF_SF_EESI_SY_SJ_SK_SL_EUlSY_E1_NS1_11comp_targetILNS1_3genE9ELNS1_11target_archE1100ELNS1_3gpuE3ELNS1_3repE0EEENS1_36merge_oddeven_config_static_selectorELNS0_4arch9wavefront6targetE1EEEvSK_
	.globl	_ZN7rocprim17ROCPRIM_400000_NS6detail17trampoline_kernelINS0_14default_configENS1_38merge_sort_block_merge_config_selectorIfNS0_10empty_typeEEEZZNS1_27merge_sort_block_merge_implIS3_N6thrust23THRUST_200600_302600_NS6detail15normal_iteratorINS9_10device_ptrIfEEEEPS5_m14custom_greaterIfEEE10hipError_tT0_T1_T2_jT3_P12ihipStream_tbPNSt15iterator_traitsISJ_E10value_typeEPNSP_ISK_E10value_typeEPSL_NS1_7vsmem_tEENKUlT_SJ_SK_SL_E_clISE_PfSF_SF_EESI_SY_SJ_SK_SL_EUlSY_E1_NS1_11comp_targetILNS1_3genE9ELNS1_11target_archE1100ELNS1_3gpuE3ELNS1_3repE0EEENS1_36merge_oddeven_config_static_selectorELNS0_4arch9wavefront6targetE1EEEvSK_
	.p2align	8
	.type	_ZN7rocprim17ROCPRIM_400000_NS6detail17trampoline_kernelINS0_14default_configENS1_38merge_sort_block_merge_config_selectorIfNS0_10empty_typeEEEZZNS1_27merge_sort_block_merge_implIS3_N6thrust23THRUST_200600_302600_NS6detail15normal_iteratorINS9_10device_ptrIfEEEEPS5_m14custom_greaterIfEEE10hipError_tT0_T1_T2_jT3_P12ihipStream_tbPNSt15iterator_traitsISJ_E10value_typeEPNSP_ISK_E10value_typeEPSL_NS1_7vsmem_tEENKUlT_SJ_SK_SL_E_clISE_PfSF_SF_EESI_SY_SJ_SK_SL_EUlSY_E1_NS1_11comp_targetILNS1_3genE9ELNS1_11target_archE1100ELNS1_3gpuE3ELNS1_3repE0EEENS1_36merge_oddeven_config_static_selectorELNS0_4arch9wavefront6targetE1EEEvSK_,@function
_ZN7rocprim17ROCPRIM_400000_NS6detail17trampoline_kernelINS0_14default_configENS1_38merge_sort_block_merge_config_selectorIfNS0_10empty_typeEEEZZNS1_27merge_sort_block_merge_implIS3_N6thrust23THRUST_200600_302600_NS6detail15normal_iteratorINS9_10device_ptrIfEEEEPS5_m14custom_greaterIfEEE10hipError_tT0_T1_T2_jT3_P12ihipStream_tbPNSt15iterator_traitsISJ_E10value_typeEPNSP_ISK_E10value_typeEPSL_NS1_7vsmem_tEENKUlT_SJ_SK_SL_E_clISE_PfSF_SF_EESI_SY_SJ_SK_SL_EUlSY_E1_NS1_11comp_targetILNS1_3genE9ELNS1_11target_archE1100ELNS1_3gpuE3ELNS1_3repE0EEENS1_36merge_oddeven_config_static_selectorELNS0_4arch9wavefront6targetE1EEEvSK_: ; @_ZN7rocprim17ROCPRIM_400000_NS6detail17trampoline_kernelINS0_14default_configENS1_38merge_sort_block_merge_config_selectorIfNS0_10empty_typeEEEZZNS1_27merge_sort_block_merge_implIS3_N6thrust23THRUST_200600_302600_NS6detail15normal_iteratorINS9_10device_ptrIfEEEEPS5_m14custom_greaterIfEEE10hipError_tT0_T1_T2_jT3_P12ihipStream_tbPNSt15iterator_traitsISJ_E10value_typeEPNSP_ISK_E10value_typeEPSL_NS1_7vsmem_tEENKUlT_SJ_SK_SL_E_clISE_PfSF_SF_EESI_SY_SJ_SK_SL_EUlSY_E1_NS1_11comp_targetILNS1_3genE9ELNS1_11target_archE1100ELNS1_3gpuE3ELNS1_3repE0EEENS1_36merge_oddeven_config_static_selectorELNS0_4arch9wavefront6targetE1EEEvSK_
; %bb.0:
	.section	.rodata,"a",@progbits
	.p2align	6, 0x0
	.amdhsa_kernel _ZN7rocprim17ROCPRIM_400000_NS6detail17trampoline_kernelINS0_14default_configENS1_38merge_sort_block_merge_config_selectorIfNS0_10empty_typeEEEZZNS1_27merge_sort_block_merge_implIS3_N6thrust23THRUST_200600_302600_NS6detail15normal_iteratorINS9_10device_ptrIfEEEEPS5_m14custom_greaterIfEEE10hipError_tT0_T1_T2_jT3_P12ihipStream_tbPNSt15iterator_traitsISJ_E10value_typeEPNSP_ISK_E10value_typeEPSL_NS1_7vsmem_tEENKUlT_SJ_SK_SL_E_clISE_PfSF_SF_EESI_SY_SJ_SK_SL_EUlSY_E1_NS1_11comp_targetILNS1_3genE9ELNS1_11target_archE1100ELNS1_3gpuE3ELNS1_3repE0EEENS1_36merge_oddeven_config_static_selectorELNS0_4arch9wavefront6targetE1EEEvSK_
		.amdhsa_group_segment_fixed_size 0
		.amdhsa_private_segment_fixed_size 0
		.amdhsa_kernarg_size 56
		.amdhsa_user_sgpr_count 6
		.amdhsa_user_sgpr_private_segment_buffer 1
		.amdhsa_user_sgpr_dispatch_ptr 0
		.amdhsa_user_sgpr_queue_ptr 0
		.amdhsa_user_sgpr_kernarg_segment_ptr 1
		.amdhsa_user_sgpr_dispatch_id 0
		.amdhsa_user_sgpr_flat_scratch_init 0
		.amdhsa_user_sgpr_kernarg_preload_length 0
		.amdhsa_user_sgpr_kernarg_preload_offset 0
		.amdhsa_user_sgpr_private_segment_size 0
		.amdhsa_uses_dynamic_stack 0
		.amdhsa_system_sgpr_private_segment_wavefront_offset 0
		.amdhsa_system_sgpr_workgroup_id_x 1
		.amdhsa_system_sgpr_workgroup_id_y 0
		.amdhsa_system_sgpr_workgroup_id_z 0
		.amdhsa_system_sgpr_workgroup_info 0
		.amdhsa_system_vgpr_workitem_id 0
		.amdhsa_next_free_vgpr 1
		.amdhsa_next_free_sgpr 0
		.amdhsa_accum_offset 4
		.amdhsa_reserve_vcc 0
		.amdhsa_reserve_flat_scratch 0
		.amdhsa_float_round_mode_32 0
		.amdhsa_float_round_mode_16_64 0
		.amdhsa_float_denorm_mode_32 3
		.amdhsa_float_denorm_mode_16_64 3
		.amdhsa_dx10_clamp 1
		.amdhsa_ieee_mode 1
		.amdhsa_fp16_overflow 0
		.amdhsa_tg_split 0
		.amdhsa_exception_fp_ieee_invalid_op 0
		.amdhsa_exception_fp_denorm_src 0
		.amdhsa_exception_fp_ieee_div_zero 0
		.amdhsa_exception_fp_ieee_overflow 0
		.amdhsa_exception_fp_ieee_underflow 0
		.amdhsa_exception_fp_ieee_inexact 0
		.amdhsa_exception_int_div_zero 0
	.end_amdhsa_kernel
	.section	.text._ZN7rocprim17ROCPRIM_400000_NS6detail17trampoline_kernelINS0_14default_configENS1_38merge_sort_block_merge_config_selectorIfNS0_10empty_typeEEEZZNS1_27merge_sort_block_merge_implIS3_N6thrust23THRUST_200600_302600_NS6detail15normal_iteratorINS9_10device_ptrIfEEEEPS5_m14custom_greaterIfEEE10hipError_tT0_T1_T2_jT3_P12ihipStream_tbPNSt15iterator_traitsISJ_E10value_typeEPNSP_ISK_E10value_typeEPSL_NS1_7vsmem_tEENKUlT_SJ_SK_SL_E_clISE_PfSF_SF_EESI_SY_SJ_SK_SL_EUlSY_E1_NS1_11comp_targetILNS1_3genE9ELNS1_11target_archE1100ELNS1_3gpuE3ELNS1_3repE0EEENS1_36merge_oddeven_config_static_selectorELNS0_4arch9wavefront6targetE1EEEvSK_,"axG",@progbits,_ZN7rocprim17ROCPRIM_400000_NS6detail17trampoline_kernelINS0_14default_configENS1_38merge_sort_block_merge_config_selectorIfNS0_10empty_typeEEEZZNS1_27merge_sort_block_merge_implIS3_N6thrust23THRUST_200600_302600_NS6detail15normal_iteratorINS9_10device_ptrIfEEEEPS5_m14custom_greaterIfEEE10hipError_tT0_T1_T2_jT3_P12ihipStream_tbPNSt15iterator_traitsISJ_E10value_typeEPNSP_ISK_E10value_typeEPSL_NS1_7vsmem_tEENKUlT_SJ_SK_SL_E_clISE_PfSF_SF_EESI_SY_SJ_SK_SL_EUlSY_E1_NS1_11comp_targetILNS1_3genE9ELNS1_11target_archE1100ELNS1_3gpuE3ELNS1_3repE0EEENS1_36merge_oddeven_config_static_selectorELNS0_4arch9wavefront6targetE1EEEvSK_,comdat
.Lfunc_end3584:
	.size	_ZN7rocprim17ROCPRIM_400000_NS6detail17trampoline_kernelINS0_14default_configENS1_38merge_sort_block_merge_config_selectorIfNS0_10empty_typeEEEZZNS1_27merge_sort_block_merge_implIS3_N6thrust23THRUST_200600_302600_NS6detail15normal_iteratorINS9_10device_ptrIfEEEEPS5_m14custom_greaterIfEEE10hipError_tT0_T1_T2_jT3_P12ihipStream_tbPNSt15iterator_traitsISJ_E10value_typeEPNSP_ISK_E10value_typeEPSL_NS1_7vsmem_tEENKUlT_SJ_SK_SL_E_clISE_PfSF_SF_EESI_SY_SJ_SK_SL_EUlSY_E1_NS1_11comp_targetILNS1_3genE9ELNS1_11target_archE1100ELNS1_3gpuE3ELNS1_3repE0EEENS1_36merge_oddeven_config_static_selectorELNS0_4arch9wavefront6targetE1EEEvSK_, .Lfunc_end3584-_ZN7rocprim17ROCPRIM_400000_NS6detail17trampoline_kernelINS0_14default_configENS1_38merge_sort_block_merge_config_selectorIfNS0_10empty_typeEEEZZNS1_27merge_sort_block_merge_implIS3_N6thrust23THRUST_200600_302600_NS6detail15normal_iteratorINS9_10device_ptrIfEEEEPS5_m14custom_greaterIfEEE10hipError_tT0_T1_T2_jT3_P12ihipStream_tbPNSt15iterator_traitsISJ_E10value_typeEPNSP_ISK_E10value_typeEPSL_NS1_7vsmem_tEENKUlT_SJ_SK_SL_E_clISE_PfSF_SF_EESI_SY_SJ_SK_SL_EUlSY_E1_NS1_11comp_targetILNS1_3genE9ELNS1_11target_archE1100ELNS1_3gpuE3ELNS1_3repE0EEENS1_36merge_oddeven_config_static_selectorELNS0_4arch9wavefront6targetE1EEEvSK_
                                        ; -- End function
	.section	.AMDGPU.csdata,"",@progbits
; Kernel info:
; codeLenInByte = 0
; NumSgprs: 4
; NumVgprs: 0
; NumAgprs: 0
; TotalNumVgprs: 0
; ScratchSize: 0
; MemoryBound: 0
; FloatMode: 240
; IeeeMode: 1
; LDSByteSize: 0 bytes/workgroup (compile time only)
; SGPRBlocks: 0
; VGPRBlocks: 0
; NumSGPRsForWavesPerEU: 4
; NumVGPRsForWavesPerEU: 1
; AccumOffset: 4
; Occupancy: 8
; WaveLimiterHint : 0
; COMPUTE_PGM_RSRC2:SCRATCH_EN: 0
; COMPUTE_PGM_RSRC2:USER_SGPR: 6
; COMPUTE_PGM_RSRC2:TRAP_HANDLER: 0
; COMPUTE_PGM_RSRC2:TGID_X_EN: 1
; COMPUTE_PGM_RSRC2:TGID_Y_EN: 0
; COMPUTE_PGM_RSRC2:TGID_Z_EN: 0
; COMPUTE_PGM_RSRC2:TIDIG_COMP_CNT: 0
; COMPUTE_PGM_RSRC3_GFX90A:ACCUM_OFFSET: 0
; COMPUTE_PGM_RSRC3_GFX90A:TG_SPLIT: 0
	.section	.text._ZN7rocprim17ROCPRIM_400000_NS6detail17trampoline_kernelINS0_14default_configENS1_38merge_sort_block_merge_config_selectorIfNS0_10empty_typeEEEZZNS1_27merge_sort_block_merge_implIS3_N6thrust23THRUST_200600_302600_NS6detail15normal_iteratorINS9_10device_ptrIfEEEEPS5_m14custom_greaterIfEEE10hipError_tT0_T1_T2_jT3_P12ihipStream_tbPNSt15iterator_traitsISJ_E10value_typeEPNSP_ISK_E10value_typeEPSL_NS1_7vsmem_tEENKUlT_SJ_SK_SL_E_clISE_PfSF_SF_EESI_SY_SJ_SK_SL_EUlSY_E1_NS1_11comp_targetILNS1_3genE8ELNS1_11target_archE1030ELNS1_3gpuE2ELNS1_3repE0EEENS1_36merge_oddeven_config_static_selectorELNS0_4arch9wavefront6targetE1EEEvSK_,"axG",@progbits,_ZN7rocprim17ROCPRIM_400000_NS6detail17trampoline_kernelINS0_14default_configENS1_38merge_sort_block_merge_config_selectorIfNS0_10empty_typeEEEZZNS1_27merge_sort_block_merge_implIS3_N6thrust23THRUST_200600_302600_NS6detail15normal_iteratorINS9_10device_ptrIfEEEEPS5_m14custom_greaterIfEEE10hipError_tT0_T1_T2_jT3_P12ihipStream_tbPNSt15iterator_traitsISJ_E10value_typeEPNSP_ISK_E10value_typeEPSL_NS1_7vsmem_tEENKUlT_SJ_SK_SL_E_clISE_PfSF_SF_EESI_SY_SJ_SK_SL_EUlSY_E1_NS1_11comp_targetILNS1_3genE8ELNS1_11target_archE1030ELNS1_3gpuE2ELNS1_3repE0EEENS1_36merge_oddeven_config_static_selectorELNS0_4arch9wavefront6targetE1EEEvSK_,comdat
	.protected	_ZN7rocprim17ROCPRIM_400000_NS6detail17trampoline_kernelINS0_14default_configENS1_38merge_sort_block_merge_config_selectorIfNS0_10empty_typeEEEZZNS1_27merge_sort_block_merge_implIS3_N6thrust23THRUST_200600_302600_NS6detail15normal_iteratorINS9_10device_ptrIfEEEEPS5_m14custom_greaterIfEEE10hipError_tT0_T1_T2_jT3_P12ihipStream_tbPNSt15iterator_traitsISJ_E10value_typeEPNSP_ISK_E10value_typeEPSL_NS1_7vsmem_tEENKUlT_SJ_SK_SL_E_clISE_PfSF_SF_EESI_SY_SJ_SK_SL_EUlSY_E1_NS1_11comp_targetILNS1_3genE8ELNS1_11target_archE1030ELNS1_3gpuE2ELNS1_3repE0EEENS1_36merge_oddeven_config_static_selectorELNS0_4arch9wavefront6targetE1EEEvSK_ ; -- Begin function _ZN7rocprim17ROCPRIM_400000_NS6detail17trampoline_kernelINS0_14default_configENS1_38merge_sort_block_merge_config_selectorIfNS0_10empty_typeEEEZZNS1_27merge_sort_block_merge_implIS3_N6thrust23THRUST_200600_302600_NS6detail15normal_iteratorINS9_10device_ptrIfEEEEPS5_m14custom_greaterIfEEE10hipError_tT0_T1_T2_jT3_P12ihipStream_tbPNSt15iterator_traitsISJ_E10value_typeEPNSP_ISK_E10value_typeEPSL_NS1_7vsmem_tEENKUlT_SJ_SK_SL_E_clISE_PfSF_SF_EESI_SY_SJ_SK_SL_EUlSY_E1_NS1_11comp_targetILNS1_3genE8ELNS1_11target_archE1030ELNS1_3gpuE2ELNS1_3repE0EEENS1_36merge_oddeven_config_static_selectorELNS0_4arch9wavefront6targetE1EEEvSK_
	.globl	_ZN7rocprim17ROCPRIM_400000_NS6detail17trampoline_kernelINS0_14default_configENS1_38merge_sort_block_merge_config_selectorIfNS0_10empty_typeEEEZZNS1_27merge_sort_block_merge_implIS3_N6thrust23THRUST_200600_302600_NS6detail15normal_iteratorINS9_10device_ptrIfEEEEPS5_m14custom_greaterIfEEE10hipError_tT0_T1_T2_jT3_P12ihipStream_tbPNSt15iterator_traitsISJ_E10value_typeEPNSP_ISK_E10value_typeEPSL_NS1_7vsmem_tEENKUlT_SJ_SK_SL_E_clISE_PfSF_SF_EESI_SY_SJ_SK_SL_EUlSY_E1_NS1_11comp_targetILNS1_3genE8ELNS1_11target_archE1030ELNS1_3gpuE2ELNS1_3repE0EEENS1_36merge_oddeven_config_static_selectorELNS0_4arch9wavefront6targetE1EEEvSK_
	.p2align	8
	.type	_ZN7rocprim17ROCPRIM_400000_NS6detail17trampoline_kernelINS0_14default_configENS1_38merge_sort_block_merge_config_selectorIfNS0_10empty_typeEEEZZNS1_27merge_sort_block_merge_implIS3_N6thrust23THRUST_200600_302600_NS6detail15normal_iteratorINS9_10device_ptrIfEEEEPS5_m14custom_greaterIfEEE10hipError_tT0_T1_T2_jT3_P12ihipStream_tbPNSt15iterator_traitsISJ_E10value_typeEPNSP_ISK_E10value_typeEPSL_NS1_7vsmem_tEENKUlT_SJ_SK_SL_E_clISE_PfSF_SF_EESI_SY_SJ_SK_SL_EUlSY_E1_NS1_11comp_targetILNS1_3genE8ELNS1_11target_archE1030ELNS1_3gpuE2ELNS1_3repE0EEENS1_36merge_oddeven_config_static_selectorELNS0_4arch9wavefront6targetE1EEEvSK_,@function
_ZN7rocprim17ROCPRIM_400000_NS6detail17trampoline_kernelINS0_14default_configENS1_38merge_sort_block_merge_config_selectorIfNS0_10empty_typeEEEZZNS1_27merge_sort_block_merge_implIS3_N6thrust23THRUST_200600_302600_NS6detail15normal_iteratorINS9_10device_ptrIfEEEEPS5_m14custom_greaterIfEEE10hipError_tT0_T1_T2_jT3_P12ihipStream_tbPNSt15iterator_traitsISJ_E10value_typeEPNSP_ISK_E10value_typeEPSL_NS1_7vsmem_tEENKUlT_SJ_SK_SL_E_clISE_PfSF_SF_EESI_SY_SJ_SK_SL_EUlSY_E1_NS1_11comp_targetILNS1_3genE8ELNS1_11target_archE1030ELNS1_3gpuE2ELNS1_3repE0EEENS1_36merge_oddeven_config_static_selectorELNS0_4arch9wavefront6targetE1EEEvSK_: ; @_ZN7rocprim17ROCPRIM_400000_NS6detail17trampoline_kernelINS0_14default_configENS1_38merge_sort_block_merge_config_selectorIfNS0_10empty_typeEEEZZNS1_27merge_sort_block_merge_implIS3_N6thrust23THRUST_200600_302600_NS6detail15normal_iteratorINS9_10device_ptrIfEEEEPS5_m14custom_greaterIfEEE10hipError_tT0_T1_T2_jT3_P12ihipStream_tbPNSt15iterator_traitsISJ_E10value_typeEPNSP_ISK_E10value_typeEPSL_NS1_7vsmem_tEENKUlT_SJ_SK_SL_E_clISE_PfSF_SF_EESI_SY_SJ_SK_SL_EUlSY_E1_NS1_11comp_targetILNS1_3genE8ELNS1_11target_archE1030ELNS1_3gpuE2ELNS1_3repE0EEENS1_36merge_oddeven_config_static_selectorELNS0_4arch9wavefront6targetE1EEEvSK_
; %bb.0:
	.section	.rodata,"a",@progbits
	.p2align	6, 0x0
	.amdhsa_kernel _ZN7rocprim17ROCPRIM_400000_NS6detail17trampoline_kernelINS0_14default_configENS1_38merge_sort_block_merge_config_selectorIfNS0_10empty_typeEEEZZNS1_27merge_sort_block_merge_implIS3_N6thrust23THRUST_200600_302600_NS6detail15normal_iteratorINS9_10device_ptrIfEEEEPS5_m14custom_greaterIfEEE10hipError_tT0_T1_T2_jT3_P12ihipStream_tbPNSt15iterator_traitsISJ_E10value_typeEPNSP_ISK_E10value_typeEPSL_NS1_7vsmem_tEENKUlT_SJ_SK_SL_E_clISE_PfSF_SF_EESI_SY_SJ_SK_SL_EUlSY_E1_NS1_11comp_targetILNS1_3genE8ELNS1_11target_archE1030ELNS1_3gpuE2ELNS1_3repE0EEENS1_36merge_oddeven_config_static_selectorELNS0_4arch9wavefront6targetE1EEEvSK_
		.amdhsa_group_segment_fixed_size 0
		.amdhsa_private_segment_fixed_size 0
		.amdhsa_kernarg_size 56
		.amdhsa_user_sgpr_count 6
		.amdhsa_user_sgpr_private_segment_buffer 1
		.amdhsa_user_sgpr_dispatch_ptr 0
		.amdhsa_user_sgpr_queue_ptr 0
		.amdhsa_user_sgpr_kernarg_segment_ptr 1
		.amdhsa_user_sgpr_dispatch_id 0
		.amdhsa_user_sgpr_flat_scratch_init 0
		.amdhsa_user_sgpr_kernarg_preload_length 0
		.amdhsa_user_sgpr_kernarg_preload_offset 0
		.amdhsa_user_sgpr_private_segment_size 0
		.amdhsa_uses_dynamic_stack 0
		.amdhsa_system_sgpr_private_segment_wavefront_offset 0
		.amdhsa_system_sgpr_workgroup_id_x 1
		.amdhsa_system_sgpr_workgroup_id_y 0
		.amdhsa_system_sgpr_workgroup_id_z 0
		.amdhsa_system_sgpr_workgroup_info 0
		.amdhsa_system_vgpr_workitem_id 0
		.amdhsa_next_free_vgpr 1
		.amdhsa_next_free_sgpr 0
		.amdhsa_accum_offset 4
		.amdhsa_reserve_vcc 0
		.amdhsa_reserve_flat_scratch 0
		.amdhsa_float_round_mode_32 0
		.amdhsa_float_round_mode_16_64 0
		.amdhsa_float_denorm_mode_32 3
		.amdhsa_float_denorm_mode_16_64 3
		.amdhsa_dx10_clamp 1
		.amdhsa_ieee_mode 1
		.amdhsa_fp16_overflow 0
		.amdhsa_tg_split 0
		.amdhsa_exception_fp_ieee_invalid_op 0
		.amdhsa_exception_fp_denorm_src 0
		.amdhsa_exception_fp_ieee_div_zero 0
		.amdhsa_exception_fp_ieee_overflow 0
		.amdhsa_exception_fp_ieee_underflow 0
		.amdhsa_exception_fp_ieee_inexact 0
		.amdhsa_exception_int_div_zero 0
	.end_amdhsa_kernel
	.section	.text._ZN7rocprim17ROCPRIM_400000_NS6detail17trampoline_kernelINS0_14default_configENS1_38merge_sort_block_merge_config_selectorIfNS0_10empty_typeEEEZZNS1_27merge_sort_block_merge_implIS3_N6thrust23THRUST_200600_302600_NS6detail15normal_iteratorINS9_10device_ptrIfEEEEPS5_m14custom_greaterIfEEE10hipError_tT0_T1_T2_jT3_P12ihipStream_tbPNSt15iterator_traitsISJ_E10value_typeEPNSP_ISK_E10value_typeEPSL_NS1_7vsmem_tEENKUlT_SJ_SK_SL_E_clISE_PfSF_SF_EESI_SY_SJ_SK_SL_EUlSY_E1_NS1_11comp_targetILNS1_3genE8ELNS1_11target_archE1030ELNS1_3gpuE2ELNS1_3repE0EEENS1_36merge_oddeven_config_static_selectorELNS0_4arch9wavefront6targetE1EEEvSK_,"axG",@progbits,_ZN7rocprim17ROCPRIM_400000_NS6detail17trampoline_kernelINS0_14default_configENS1_38merge_sort_block_merge_config_selectorIfNS0_10empty_typeEEEZZNS1_27merge_sort_block_merge_implIS3_N6thrust23THRUST_200600_302600_NS6detail15normal_iteratorINS9_10device_ptrIfEEEEPS5_m14custom_greaterIfEEE10hipError_tT0_T1_T2_jT3_P12ihipStream_tbPNSt15iterator_traitsISJ_E10value_typeEPNSP_ISK_E10value_typeEPSL_NS1_7vsmem_tEENKUlT_SJ_SK_SL_E_clISE_PfSF_SF_EESI_SY_SJ_SK_SL_EUlSY_E1_NS1_11comp_targetILNS1_3genE8ELNS1_11target_archE1030ELNS1_3gpuE2ELNS1_3repE0EEENS1_36merge_oddeven_config_static_selectorELNS0_4arch9wavefront6targetE1EEEvSK_,comdat
.Lfunc_end3585:
	.size	_ZN7rocprim17ROCPRIM_400000_NS6detail17trampoline_kernelINS0_14default_configENS1_38merge_sort_block_merge_config_selectorIfNS0_10empty_typeEEEZZNS1_27merge_sort_block_merge_implIS3_N6thrust23THRUST_200600_302600_NS6detail15normal_iteratorINS9_10device_ptrIfEEEEPS5_m14custom_greaterIfEEE10hipError_tT0_T1_T2_jT3_P12ihipStream_tbPNSt15iterator_traitsISJ_E10value_typeEPNSP_ISK_E10value_typeEPSL_NS1_7vsmem_tEENKUlT_SJ_SK_SL_E_clISE_PfSF_SF_EESI_SY_SJ_SK_SL_EUlSY_E1_NS1_11comp_targetILNS1_3genE8ELNS1_11target_archE1030ELNS1_3gpuE2ELNS1_3repE0EEENS1_36merge_oddeven_config_static_selectorELNS0_4arch9wavefront6targetE1EEEvSK_, .Lfunc_end3585-_ZN7rocprim17ROCPRIM_400000_NS6detail17trampoline_kernelINS0_14default_configENS1_38merge_sort_block_merge_config_selectorIfNS0_10empty_typeEEEZZNS1_27merge_sort_block_merge_implIS3_N6thrust23THRUST_200600_302600_NS6detail15normal_iteratorINS9_10device_ptrIfEEEEPS5_m14custom_greaterIfEEE10hipError_tT0_T1_T2_jT3_P12ihipStream_tbPNSt15iterator_traitsISJ_E10value_typeEPNSP_ISK_E10value_typeEPSL_NS1_7vsmem_tEENKUlT_SJ_SK_SL_E_clISE_PfSF_SF_EESI_SY_SJ_SK_SL_EUlSY_E1_NS1_11comp_targetILNS1_3genE8ELNS1_11target_archE1030ELNS1_3gpuE2ELNS1_3repE0EEENS1_36merge_oddeven_config_static_selectorELNS0_4arch9wavefront6targetE1EEEvSK_
                                        ; -- End function
	.section	.AMDGPU.csdata,"",@progbits
; Kernel info:
; codeLenInByte = 0
; NumSgprs: 4
; NumVgprs: 0
; NumAgprs: 0
; TotalNumVgprs: 0
; ScratchSize: 0
; MemoryBound: 0
; FloatMode: 240
; IeeeMode: 1
; LDSByteSize: 0 bytes/workgroup (compile time only)
; SGPRBlocks: 0
; VGPRBlocks: 0
; NumSGPRsForWavesPerEU: 4
; NumVGPRsForWavesPerEU: 1
; AccumOffset: 4
; Occupancy: 8
; WaveLimiterHint : 0
; COMPUTE_PGM_RSRC2:SCRATCH_EN: 0
; COMPUTE_PGM_RSRC2:USER_SGPR: 6
; COMPUTE_PGM_RSRC2:TRAP_HANDLER: 0
; COMPUTE_PGM_RSRC2:TGID_X_EN: 1
; COMPUTE_PGM_RSRC2:TGID_Y_EN: 0
; COMPUTE_PGM_RSRC2:TGID_Z_EN: 0
; COMPUTE_PGM_RSRC2:TIDIG_COMP_CNT: 0
; COMPUTE_PGM_RSRC3_GFX90A:ACCUM_OFFSET: 0
; COMPUTE_PGM_RSRC3_GFX90A:TG_SPLIT: 0
	.section	.text._ZN7rocprim17ROCPRIM_400000_NS6detail17trampoline_kernelINS0_14default_configENS1_25transform_config_selectorIfLb0EEEZNS1_14transform_implILb0ES3_S5_PfN6thrust23THRUST_200600_302600_NS6detail15normal_iteratorINS9_10device_ptrIfEEEENS0_8identityIfEEEE10hipError_tT2_T3_mT4_P12ihipStream_tbEUlT_E_NS1_11comp_targetILNS1_3genE0ELNS1_11target_archE4294967295ELNS1_3gpuE0ELNS1_3repE0EEENS1_30default_config_static_selectorELNS0_4arch9wavefront6targetE1EEEvT1_,"axG",@progbits,_ZN7rocprim17ROCPRIM_400000_NS6detail17trampoline_kernelINS0_14default_configENS1_25transform_config_selectorIfLb0EEEZNS1_14transform_implILb0ES3_S5_PfN6thrust23THRUST_200600_302600_NS6detail15normal_iteratorINS9_10device_ptrIfEEEENS0_8identityIfEEEE10hipError_tT2_T3_mT4_P12ihipStream_tbEUlT_E_NS1_11comp_targetILNS1_3genE0ELNS1_11target_archE4294967295ELNS1_3gpuE0ELNS1_3repE0EEENS1_30default_config_static_selectorELNS0_4arch9wavefront6targetE1EEEvT1_,comdat
	.protected	_ZN7rocprim17ROCPRIM_400000_NS6detail17trampoline_kernelINS0_14default_configENS1_25transform_config_selectorIfLb0EEEZNS1_14transform_implILb0ES3_S5_PfN6thrust23THRUST_200600_302600_NS6detail15normal_iteratorINS9_10device_ptrIfEEEENS0_8identityIfEEEE10hipError_tT2_T3_mT4_P12ihipStream_tbEUlT_E_NS1_11comp_targetILNS1_3genE0ELNS1_11target_archE4294967295ELNS1_3gpuE0ELNS1_3repE0EEENS1_30default_config_static_selectorELNS0_4arch9wavefront6targetE1EEEvT1_ ; -- Begin function _ZN7rocprim17ROCPRIM_400000_NS6detail17trampoline_kernelINS0_14default_configENS1_25transform_config_selectorIfLb0EEEZNS1_14transform_implILb0ES3_S5_PfN6thrust23THRUST_200600_302600_NS6detail15normal_iteratorINS9_10device_ptrIfEEEENS0_8identityIfEEEE10hipError_tT2_T3_mT4_P12ihipStream_tbEUlT_E_NS1_11comp_targetILNS1_3genE0ELNS1_11target_archE4294967295ELNS1_3gpuE0ELNS1_3repE0EEENS1_30default_config_static_selectorELNS0_4arch9wavefront6targetE1EEEvT1_
	.globl	_ZN7rocprim17ROCPRIM_400000_NS6detail17trampoline_kernelINS0_14default_configENS1_25transform_config_selectorIfLb0EEEZNS1_14transform_implILb0ES3_S5_PfN6thrust23THRUST_200600_302600_NS6detail15normal_iteratorINS9_10device_ptrIfEEEENS0_8identityIfEEEE10hipError_tT2_T3_mT4_P12ihipStream_tbEUlT_E_NS1_11comp_targetILNS1_3genE0ELNS1_11target_archE4294967295ELNS1_3gpuE0ELNS1_3repE0EEENS1_30default_config_static_selectorELNS0_4arch9wavefront6targetE1EEEvT1_
	.p2align	8
	.type	_ZN7rocprim17ROCPRIM_400000_NS6detail17trampoline_kernelINS0_14default_configENS1_25transform_config_selectorIfLb0EEEZNS1_14transform_implILb0ES3_S5_PfN6thrust23THRUST_200600_302600_NS6detail15normal_iteratorINS9_10device_ptrIfEEEENS0_8identityIfEEEE10hipError_tT2_T3_mT4_P12ihipStream_tbEUlT_E_NS1_11comp_targetILNS1_3genE0ELNS1_11target_archE4294967295ELNS1_3gpuE0ELNS1_3repE0EEENS1_30default_config_static_selectorELNS0_4arch9wavefront6targetE1EEEvT1_,@function
_ZN7rocprim17ROCPRIM_400000_NS6detail17trampoline_kernelINS0_14default_configENS1_25transform_config_selectorIfLb0EEEZNS1_14transform_implILb0ES3_S5_PfN6thrust23THRUST_200600_302600_NS6detail15normal_iteratorINS9_10device_ptrIfEEEENS0_8identityIfEEEE10hipError_tT2_T3_mT4_P12ihipStream_tbEUlT_E_NS1_11comp_targetILNS1_3genE0ELNS1_11target_archE4294967295ELNS1_3gpuE0ELNS1_3repE0EEENS1_30default_config_static_selectorELNS0_4arch9wavefront6targetE1EEEvT1_: ; @_ZN7rocprim17ROCPRIM_400000_NS6detail17trampoline_kernelINS0_14default_configENS1_25transform_config_selectorIfLb0EEEZNS1_14transform_implILb0ES3_S5_PfN6thrust23THRUST_200600_302600_NS6detail15normal_iteratorINS9_10device_ptrIfEEEENS0_8identityIfEEEE10hipError_tT2_T3_mT4_P12ihipStream_tbEUlT_E_NS1_11comp_targetILNS1_3genE0ELNS1_11target_archE4294967295ELNS1_3gpuE0ELNS1_3repE0EEENS1_30default_config_static_selectorELNS0_4arch9wavefront6targetE1EEEvT1_
; %bb.0:
	.section	.rodata,"a",@progbits
	.p2align	6, 0x0
	.amdhsa_kernel _ZN7rocprim17ROCPRIM_400000_NS6detail17trampoline_kernelINS0_14default_configENS1_25transform_config_selectorIfLb0EEEZNS1_14transform_implILb0ES3_S5_PfN6thrust23THRUST_200600_302600_NS6detail15normal_iteratorINS9_10device_ptrIfEEEENS0_8identityIfEEEE10hipError_tT2_T3_mT4_P12ihipStream_tbEUlT_E_NS1_11comp_targetILNS1_3genE0ELNS1_11target_archE4294967295ELNS1_3gpuE0ELNS1_3repE0EEENS1_30default_config_static_selectorELNS0_4arch9wavefront6targetE1EEEvT1_
		.amdhsa_group_segment_fixed_size 0
		.amdhsa_private_segment_fixed_size 0
		.amdhsa_kernarg_size 40
		.amdhsa_user_sgpr_count 6
		.amdhsa_user_sgpr_private_segment_buffer 1
		.amdhsa_user_sgpr_dispatch_ptr 0
		.amdhsa_user_sgpr_queue_ptr 0
		.amdhsa_user_sgpr_kernarg_segment_ptr 1
		.amdhsa_user_sgpr_dispatch_id 0
		.amdhsa_user_sgpr_flat_scratch_init 0
		.amdhsa_user_sgpr_kernarg_preload_length 0
		.amdhsa_user_sgpr_kernarg_preload_offset 0
		.amdhsa_user_sgpr_private_segment_size 0
		.amdhsa_uses_dynamic_stack 0
		.amdhsa_system_sgpr_private_segment_wavefront_offset 0
		.amdhsa_system_sgpr_workgroup_id_x 1
		.amdhsa_system_sgpr_workgroup_id_y 0
		.amdhsa_system_sgpr_workgroup_id_z 0
		.amdhsa_system_sgpr_workgroup_info 0
		.amdhsa_system_vgpr_workitem_id 0
		.amdhsa_next_free_vgpr 1
		.amdhsa_next_free_sgpr 0
		.amdhsa_accum_offset 4
		.amdhsa_reserve_vcc 0
		.amdhsa_reserve_flat_scratch 0
		.amdhsa_float_round_mode_32 0
		.amdhsa_float_round_mode_16_64 0
		.amdhsa_float_denorm_mode_32 3
		.amdhsa_float_denorm_mode_16_64 3
		.amdhsa_dx10_clamp 1
		.amdhsa_ieee_mode 1
		.amdhsa_fp16_overflow 0
		.amdhsa_tg_split 0
		.amdhsa_exception_fp_ieee_invalid_op 0
		.amdhsa_exception_fp_denorm_src 0
		.amdhsa_exception_fp_ieee_div_zero 0
		.amdhsa_exception_fp_ieee_overflow 0
		.amdhsa_exception_fp_ieee_underflow 0
		.amdhsa_exception_fp_ieee_inexact 0
		.amdhsa_exception_int_div_zero 0
	.end_amdhsa_kernel
	.section	.text._ZN7rocprim17ROCPRIM_400000_NS6detail17trampoline_kernelINS0_14default_configENS1_25transform_config_selectorIfLb0EEEZNS1_14transform_implILb0ES3_S5_PfN6thrust23THRUST_200600_302600_NS6detail15normal_iteratorINS9_10device_ptrIfEEEENS0_8identityIfEEEE10hipError_tT2_T3_mT4_P12ihipStream_tbEUlT_E_NS1_11comp_targetILNS1_3genE0ELNS1_11target_archE4294967295ELNS1_3gpuE0ELNS1_3repE0EEENS1_30default_config_static_selectorELNS0_4arch9wavefront6targetE1EEEvT1_,"axG",@progbits,_ZN7rocprim17ROCPRIM_400000_NS6detail17trampoline_kernelINS0_14default_configENS1_25transform_config_selectorIfLb0EEEZNS1_14transform_implILb0ES3_S5_PfN6thrust23THRUST_200600_302600_NS6detail15normal_iteratorINS9_10device_ptrIfEEEENS0_8identityIfEEEE10hipError_tT2_T3_mT4_P12ihipStream_tbEUlT_E_NS1_11comp_targetILNS1_3genE0ELNS1_11target_archE4294967295ELNS1_3gpuE0ELNS1_3repE0EEENS1_30default_config_static_selectorELNS0_4arch9wavefront6targetE1EEEvT1_,comdat
.Lfunc_end3586:
	.size	_ZN7rocprim17ROCPRIM_400000_NS6detail17trampoline_kernelINS0_14default_configENS1_25transform_config_selectorIfLb0EEEZNS1_14transform_implILb0ES3_S5_PfN6thrust23THRUST_200600_302600_NS6detail15normal_iteratorINS9_10device_ptrIfEEEENS0_8identityIfEEEE10hipError_tT2_T3_mT4_P12ihipStream_tbEUlT_E_NS1_11comp_targetILNS1_3genE0ELNS1_11target_archE4294967295ELNS1_3gpuE0ELNS1_3repE0EEENS1_30default_config_static_selectorELNS0_4arch9wavefront6targetE1EEEvT1_, .Lfunc_end3586-_ZN7rocprim17ROCPRIM_400000_NS6detail17trampoline_kernelINS0_14default_configENS1_25transform_config_selectorIfLb0EEEZNS1_14transform_implILb0ES3_S5_PfN6thrust23THRUST_200600_302600_NS6detail15normal_iteratorINS9_10device_ptrIfEEEENS0_8identityIfEEEE10hipError_tT2_T3_mT4_P12ihipStream_tbEUlT_E_NS1_11comp_targetILNS1_3genE0ELNS1_11target_archE4294967295ELNS1_3gpuE0ELNS1_3repE0EEENS1_30default_config_static_selectorELNS0_4arch9wavefront6targetE1EEEvT1_
                                        ; -- End function
	.section	.AMDGPU.csdata,"",@progbits
; Kernel info:
; codeLenInByte = 0
; NumSgprs: 4
; NumVgprs: 0
; NumAgprs: 0
; TotalNumVgprs: 0
; ScratchSize: 0
; MemoryBound: 0
; FloatMode: 240
; IeeeMode: 1
; LDSByteSize: 0 bytes/workgroup (compile time only)
; SGPRBlocks: 0
; VGPRBlocks: 0
; NumSGPRsForWavesPerEU: 4
; NumVGPRsForWavesPerEU: 1
; AccumOffset: 4
; Occupancy: 8
; WaveLimiterHint : 0
; COMPUTE_PGM_RSRC2:SCRATCH_EN: 0
; COMPUTE_PGM_RSRC2:USER_SGPR: 6
; COMPUTE_PGM_RSRC2:TRAP_HANDLER: 0
; COMPUTE_PGM_RSRC2:TGID_X_EN: 1
; COMPUTE_PGM_RSRC2:TGID_Y_EN: 0
; COMPUTE_PGM_RSRC2:TGID_Z_EN: 0
; COMPUTE_PGM_RSRC2:TIDIG_COMP_CNT: 0
; COMPUTE_PGM_RSRC3_GFX90A:ACCUM_OFFSET: 0
; COMPUTE_PGM_RSRC3_GFX90A:TG_SPLIT: 0
	.section	.text._ZN7rocprim17ROCPRIM_400000_NS6detail17trampoline_kernelINS0_14default_configENS1_25transform_config_selectorIfLb0EEEZNS1_14transform_implILb0ES3_S5_PfN6thrust23THRUST_200600_302600_NS6detail15normal_iteratorINS9_10device_ptrIfEEEENS0_8identityIfEEEE10hipError_tT2_T3_mT4_P12ihipStream_tbEUlT_E_NS1_11comp_targetILNS1_3genE5ELNS1_11target_archE942ELNS1_3gpuE9ELNS1_3repE0EEENS1_30default_config_static_selectorELNS0_4arch9wavefront6targetE1EEEvT1_,"axG",@progbits,_ZN7rocprim17ROCPRIM_400000_NS6detail17trampoline_kernelINS0_14default_configENS1_25transform_config_selectorIfLb0EEEZNS1_14transform_implILb0ES3_S5_PfN6thrust23THRUST_200600_302600_NS6detail15normal_iteratorINS9_10device_ptrIfEEEENS0_8identityIfEEEE10hipError_tT2_T3_mT4_P12ihipStream_tbEUlT_E_NS1_11comp_targetILNS1_3genE5ELNS1_11target_archE942ELNS1_3gpuE9ELNS1_3repE0EEENS1_30default_config_static_selectorELNS0_4arch9wavefront6targetE1EEEvT1_,comdat
	.protected	_ZN7rocprim17ROCPRIM_400000_NS6detail17trampoline_kernelINS0_14default_configENS1_25transform_config_selectorIfLb0EEEZNS1_14transform_implILb0ES3_S5_PfN6thrust23THRUST_200600_302600_NS6detail15normal_iteratorINS9_10device_ptrIfEEEENS0_8identityIfEEEE10hipError_tT2_T3_mT4_P12ihipStream_tbEUlT_E_NS1_11comp_targetILNS1_3genE5ELNS1_11target_archE942ELNS1_3gpuE9ELNS1_3repE0EEENS1_30default_config_static_selectorELNS0_4arch9wavefront6targetE1EEEvT1_ ; -- Begin function _ZN7rocprim17ROCPRIM_400000_NS6detail17trampoline_kernelINS0_14default_configENS1_25transform_config_selectorIfLb0EEEZNS1_14transform_implILb0ES3_S5_PfN6thrust23THRUST_200600_302600_NS6detail15normal_iteratorINS9_10device_ptrIfEEEENS0_8identityIfEEEE10hipError_tT2_T3_mT4_P12ihipStream_tbEUlT_E_NS1_11comp_targetILNS1_3genE5ELNS1_11target_archE942ELNS1_3gpuE9ELNS1_3repE0EEENS1_30default_config_static_selectorELNS0_4arch9wavefront6targetE1EEEvT1_
	.globl	_ZN7rocprim17ROCPRIM_400000_NS6detail17trampoline_kernelINS0_14default_configENS1_25transform_config_selectorIfLb0EEEZNS1_14transform_implILb0ES3_S5_PfN6thrust23THRUST_200600_302600_NS6detail15normal_iteratorINS9_10device_ptrIfEEEENS0_8identityIfEEEE10hipError_tT2_T3_mT4_P12ihipStream_tbEUlT_E_NS1_11comp_targetILNS1_3genE5ELNS1_11target_archE942ELNS1_3gpuE9ELNS1_3repE0EEENS1_30default_config_static_selectorELNS0_4arch9wavefront6targetE1EEEvT1_
	.p2align	8
	.type	_ZN7rocprim17ROCPRIM_400000_NS6detail17trampoline_kernelINS0_14default_configENS1_25transform_config_selectorIfLb0EEEZNS1_14transform_implILb0ES3_S5_PfN6thrust23THRUST_200600_302600_NS6detail15normal_iteratorINS9_10device_ptrIfEEEENS0_8identityIfEEEE10hipError_tT2_T3_mT4_P12ihipStream_tbEUlT_E_NS1_11comp_targetILNS1_3genE5ELNS1_11target_archE942ELNS1_3gpuE9ELNS1_3repE0EEENS1_30default_config_static_selectorELNS0_4arch9wavefront6targetE1EEEvT1_,@function
_ZN7rocprim17ROCPRIM_400000_NS6detail17trampoline_kernelINS0_14default_configENS1_25transform_config_selectorIfLb0EEEZNS1_14transform_implILb0ES3_S5_PfN6thrust23THRUST_200600_302600_NS6detail15normal_iteratorINS9_10device_ptrIfEEEENS0_8identityIfEEEE10hipError_tT2_T3_mT4_P12ihipStream_tbEUlT_E_NS1_11comp_targetILNS1_3genE5ELNS1_11target_archE942ELNS1_3gpuE9ELNS1_3repE0EEENS1_30default_config_static_selectorELNS0_4arch9wavefront6targetE1EEEvT1_: ; @_ZN7rocprim17ROCPRIM_400000_NS6detail17trampoline_kernelINS0_14default_configENS1_25transform_config_selectorIfLb0EEEZNS1_14transform_implILb0ES3_S5_PfN6thrust23THRUST_200600_302600_NS6detail15normal_iteratorINS9_10device_ptrIfEEEENS0_8identityIfEEEE10hipError_tT2_T3_mT4_P12ihipStream_tbEUlT_E_NS1_11comp_targetILNS1_3genE5ELNS1_11target_archE942ELNS1_3gpuE9ELNS1_3repE0EEENS1_30default_config_static_selectorELNS0_4arch9wavefront6targetE1EEEvT1_
; %bb.0:
	.section	.rodata,"a",@progbits
	.p2align	6, 0x0
	.amdhsa_kernel _ZN7rocprim17ROCPRIM_400000_NS6detail17trampoline_kernelINS0_14default_configENS1_25transform_config_selectorIfLb0EEEZNS1_14transform_implILb0ES3_S5_PfN6thrust23THRUST_200600_302600_NS6detail15normal_iteratorINS9_10device_ptrIfEEEENS0_8identityIfEEEE10hipError_tT2_T3_mT4_P12ihipStream_tbEUlT_E_NS1_11comp_targetILNS1_3genE5ELNS1_11target_archE942ELNS1_3gpuE9ELNS1_3repE0EEENS1_30default_config_static_selectorELNS0_4arch9wavefront6targetE1EEEvT1_
		.amdhsa_group_segment_fixed_size 0
		.amdhsa_private_segment_fixed_size 0
		.amdhsa_kernarg_size 40
		.amdhsa_user_sgpr_count 6
		.amdhsa_user_sgpr_private_segment_buffer 1
		.amdhsa_user_sgpr_dispatch_ptr 0
		.amdhsa_user_sgpr_queue_ptr 0
		.amdhsa_user_sgpr_kernarg_segment_ptr 1
		.amdhsa_user_sgpr_dispatch_id 0
		.amdhsa_user_sgpr_flat_scratch_init 0
		.amdhsa_user_sgpr_kernarg_preload_length 0
		.amdhsa_user_sgpr_kernarg_preload_offset 0
		.amdhsa_user_sgpr_private_segment_size 0
		.amdhsa_uses_dynamic_stack 0
		.amdhsa_system_sgpr_private_segment_wavefront_offset 0
		.amdhsa_system_sgpr_workgroup_id_x 1
		.amdhsa_system_sgpr_workgroup_id_y 0
		.amdhsa_system_sgpr_workgroup_id_z 0
		.amdhsa_system_sgpr_workgroup_info 0
		.amdhsa_system_vgpr_workitem_id 0
		.amdhsa_next_free_vgpr 1
		.amdhsa_next_free_sgpr 0
		.amdhsa_accum_offset 4
		.amdhsa_reserve_vcc 0
		.amdhsa_reserve_flat_scratch 0
		.amdhsa_float_round_mode_32 0
		.amdhsa_float_round_mode_16_64 0
		.amdhsa_float_denorm_mode_32 3
		.amdhsa_float_denorm_mode_16_64 3
		.amdhsa_dx10_clamp 1
		.amdhsa_ieee_mode 1
		.amdhsa_fp16_overflow 0
		.amdhsa_tg_split 0
		.amdhsa_exception_fp_ieee_invalid_op 0
		.amdhsa_exception_fp_denorm_src 0
		.amdhsa_exception_fp_ieee_div_zero 0
		.amdhsa_exception_fp_ieee_overflow 0
		.amdhsa_exception_fp_ieee_underflow 0
		.amdhsa_exception_fp_ieee_inexact 0
		.amdhsa_exception_int_div_zero 0
	.end_amdhsa_kernel
	.section	.text._ZN7rocprim17ROCPRIM_400000_NS6detail17trampoline_kernelINS0_14default_configENS1_25transform_config_selectorIfLb0EEEZNS1_14transform_implILb0ES3_S5_PfN6thrust23THRUST_200600_302600_NS6detail15normal_iteratorINS9_10device_ptrIfEEEENS0_8identityIfEEEE10hipError_tT2_T3_mT4_P12ihipStream_tbEUlT_E_NS1_11comp_targetILNS1_3genE5ELNS1_11target_archE942ELNS1_3gpuE9ELNS1_3repE0EEENS1_30default_config_static_selectorELNS0_4arch9wavefront6targetE1EEEvT1_,"axG",@progbits,_ZN7rocprim17ROCPRIM_400000_NS6detail17trampoline_kernelINS0_14default_configENS1_25transform_config_selectorIfLb0EEEZNS1_14transform_implILb0ES3_S5_PfN6thrust23THRUST_200600_302600_NS6detail15normal_iteratorINS9_10device_ptrIfEEEENS0_8identityIfEEEE10hipError_tT2_T3_mT4_P12ihipStream_tbEUlT_E_NS1_11comp_targetILNS1_3genE5ELNS1_11target_archE942ELNS1_3gpuE9ELNS1_3repE0EEENS1_30default_config_static_selectorELNS0_4arch9wavefront6targetE1EEEvT1_,comdat
.Lfunc_end3587:
	.size	_ZN7rocprim17ROCPRIM_400000_NS6detail17trampoline_kernelINS0_14default_configENS1_25transform_config_selectorIfLb0EEEZNS1_14transform_implILb0ES3_S5_PfN6thrust23THRUST_200600_302600_NS6detail15normal_iteratorINS9_10device_ptrIfEEEENS0_8identityIfEEEE10hipError_tT2_T3_mT4_P12ihipStream_tbEUlT_E_NS1_11comp_targetILNS1_3genE5ELNS1_11target_archE942ELNS1_3gpuE9ELNS1_3repE0EEENS1_30default_config_static_selectorELNS0_4arch9wavefront6targetE1EEEvT1_, .Lfunc_end3587-_ZN7rocprim17ROCPRIM_400000_NS6detail17trampoline_kernelINS0_14default_configENS1_25transform_config_selectorIfLb0EEEZNS1_14transform_implILb0ES3_S5_PfN6thrust23THRUST_200600_302600_NS6detail15normal_iteratorINS9_10device_ptrIfEEEENS0_8identityIfEEEE10hipError_tT2_T3_mT4_P12ihipStream_tbEUlT_E_NS1_11comp_targetILNS1_3genE5ELNS1_11target_archE942ELNS1_3gpuE9ELNS1_3repE0EEENS1_30default_config_static_selectorELNS0_4arch9wavefront6targetE1EEEvT1_
                                        ; -- End function
	.section	.AMDGPU.csdata,"",@progbits
; Kernel info:
; codeLenInByte = 0
; NumSgprs: 4
; NumVgprs: 0
; NumAgprs: 0
; TotalNumVgprs: 0
; ScratchSize: 0
; MemoryBound: 0
; FloatMode: 240
; IeeeMode: 1
; LDSByteSize: 0 bytes/workgroup (compile time only)
; SGPRBlocks: 0
; VGPRBlocks: 0
; NumSGPRsForWavesPerEU: 4
; NumVGPRsForWavesPerEU: 1
; AccumOffset: 4
; Occupancy: 8
; WaveLimiterHint : 0
; COMPUTE_PGM_RSRC2:SCRATCH_EN: 0
; COMPUTE_PGM_RSRC2:USER_SGPR: 6
; COMPUTE_PGM_RSRC2:TRAP_HANDLER: 0
; COMPUTE_PGM_RSRC2:TGID_X_EN: 1
; COMPUTE_PGM_RSRC2:TGID_Y_EN: 0
; COMPUTE_PGM_RSRC2:TGID_Z_EN: 0
; COMPUTE_PGM_RSRC2:TIDIG_COMP_CNT: 0
; COMPUTE_PGM_RSRC3_GFX90A:ACCUM_OFFSET: 0
; COMPUTE_PGM_RSRC3_GFX90A:TG_SPLIT: 0
	.section	.text._ZN7rocprim17ROCPRIM_400000_NS6detail17trampoline_kernelINS0_14default_configENS1_25transform_config_selectorIfLb0EEEZNS1_14transform_implILb0ES3_S5_PfN6thrust23THRUST_200600_302600_NS6detail15normal_iteratorINS9_10device_ptrIfEEEENS0_8identityIfEEEE10hipError_tT2_T3_mT4_P12ihipStream_tbEUlT_E_NS1_11comp_targetILNS1_3genE4ELNS1_11target_archE910ELNS1_3gpuE8ELNS1_3repE0EEENS1_30default_config_static_selectorELNS0_4arch9wavefront6targetE1EEEvT1_,"axG",@progbits,_ZN7rocprim17ROCPRIM_400000_NS6detail17trampoline_kernelINS0_14default_configENS1_25transform_config_selectorIfLb0EEEZNS1_14transform_implILb0ES3_S5_PfN6thrust23THRUST_200600_302600_NS6detail15normal_iteratorINS9_10device_ptrIfEEEENS0_8identityIfEEEE10hipError_tT2_T3_mT4_P12ihipStream_tbEUlT_E_NS1_11comp_targetILNS1_3genE4ELNS1_11target_archE910ELNS1_3gpuE8ELNS1_3repE0EEENS1_30default_config_static_selectorELNS0_4arch9wavefront6targetE1EEEvT1_,comdat
	.protected	_ZN7rocprim17ROCPRIM_400000_NS6detail17trampoline_kernelINS0_14default_configENS1_25transform_config_selectorIfLb0EEEZNS1_14transform_implILb0ES3_S5_PfN6thrust23THRUST_200600_302600_NS6detail15normal_iteratorINS9_10device_ptrIfEEEENS0_8identityIfEEEE10hipError_tT2_T3_mT4_P12ihipStream_tbEUlT_E_NS1_11comp_targetILNS1_3genE4ELNS1_11target_archE910ELNS1_3gpuE8ELNS1_3repE0EEENS1_30default_config_static_selectorELNS0_4arch9wavefront6targetE1EEEvT1_ ; -- Begin function _ZN7rocprim17ROCPRIM_400000_NS6detail17trampoline_kernelINS0_14default_configENS1_25transform_config_selectorIfLb0EEEZNS1_14transform_implILb0ES3_S5_PfN6thrust23THRUST_200600_302600_NS6detail15normal_iteratorINS9_10device_ptrIfEEEENS0_8identityIfEEEE10hipError_tT2_T3_mT4_P12ihipStream_tbEUlT_E_NS1_11comp_targetILNS1_3genE4ELNS1_11target_archE910ELNS1_3gpuE8ELNS1_3repE0EEENS1_30default_config_static_selectorELNS0_4arch9wavefront6targetE1EEEvT1_
	.globl	_ZN7rocprim17ROCPRIM_400000_NS6detail17trampoline_kernelINS0_14default_configENS1_25transform_config_selectorIfLb0EEEZNS1_14transform_implILb0ES3_S5_PfN6thrust23THRUST_200600_302600_NS6detail15normal_iteratorINS9_10device_ptrIfEEEENS0_8identityIfEEEE10hipError_tT2_T3_mT4_P12ihipStream_tbEUlT_E_NS1_11comp_targetILNS1_3genE4ELNS1_11target_archE910ELNS1_3gpuE8ELNS1_3repE0EEENS1_30default_config_static_selectorELNS0_4arch9wavefront6targetE1EEEvT1_
	.p2align	8
	.type	_ZN7rocprim17ROCPRIM_400000_NS6detail17trampoline_kernelINS0_14default_configENS1_25transform_config_selectorIfLb0EEEZNS1_14transform_implILb0ES3_S5_PfN6thrust23THRUST_200600_302600_NS6detail15normal_iteratorINS9_10device_ptrIfEEEENS0_8identityIfEEEE10hipError_tT2_T3_mT4_P12ihipStream_tbEUlT_E_NS1_11comp_targetILNS1_3genE4ELNS1_11target_archE910ELNS1_3gpuE8ELNS1_3repE0EEENS1_30default_config_static_selectorELNS0_4arch9wavefront6targetE1EEEvT1_,@function
_ZN7rocprim17ROCPRIM_400000_NS6detail17trampoline_kernelINS0_14default_configENS1_25transform_config_selectorIfLb0EEEZNS1_14transform_implILb0ES3_S5_PfN6thrust23THRUST_200600_302600_NS6detail15normal_iteratorINS9_10device_ptrIfEEEENS0_8identityIfEEEE10hipError_tT2_T3_mT4_P12ihipStream_tbEUlT_E_NS1_11comp_targetILNS1_3genE4ELNS1_11target_archE910ELNS1_3gpuE8ELNS1_3repE0EEENS1_30default_config_static_selectorELNS0_4arch9wavefront6targetE1EEEvT1_: ; @_ZN7rocprim17ROCPRIM_400000_NS6detail17trampoline_kernelINS0_14default_configENS1_25transform_config_selectorIfLb0EEEZNS1_14transform_implILb0ES3_S5_PfN6thrust23THRUST_200600_302600_NS6detail15normal_iteratorINS9_10device_ptrIfEEEENS0_8identityIfEEEE10hipError_tT2_T3_mT4_P12ihipStream_tbEUlT_E_NS1_11comp_targetILNS1_3genE4ELNS1_11target_archE910ELNS1_3gpuE8ELNS1_3repE0EEENS1_30default_config_static_selectorELNS0_4arch9wavefront6targetE1EEEvT1_
; %bb.0:
	s_load_dwordx8 s[8:15], s[4:5], 0x0
	s_load_dword s2, s[4:5], 0x28
	v_lshlrev_b32_e32 v1, 2, v0
	s_waitcnt lgkmcnt(0)
	s_lshl_b64 s[0:1], s[10:11], 2
	s_add_u32 s4, s8, s0
	s_addc_u32 s5, s9, s1
	s_add_u32 s10, s14, s0
	s_addc_u32 s11, s15, s1
	s_lshl_b32 s0, s6, 11
	s_mov_b32 s1, 0
	s_add_i32 s7, s2, -1
	s_lshl_b64 s[2:3], s[0:1], 2
	s_add_u32 s8, s4, s2
	s_addc_u32 s9, s5, s3
	s_cmp_lg_u32 s6, s7
	s_cbranch_scc0 .LBB3588_2
; %bb.1:
	v_mov_b32_e32 v2, s9
	v_add_co_u32_e32 v3, vcc, s8, v1
	v_addc_co_u32_e32 v4, vcc, 0, v2, vcc
	v_add_co_u32_e32 v2, vcc, 0x1000, v3
	global_load_dword v6, v1, s[8:9]
	v_addc_co_u32_e32 v3, vcc, 0, v4, vcc
	global_load_dword v3, v[2:3], off
	s_add_u32 s1, s10, s2
	s_addc_u32 s4, s11, s3
	v_mov_b32_e32 v2, s4
	v_add_co_u32_e32 v4, vcc, s1, v1
	v_addc_co_u32_e32 v5, vcc, 0, v2, vcc
	s_mov_b64 s[4:5], -1
	s_waitcnt vmcnt(1)
	flat_store_dword v[4:5], v6
	s_cbranch_execz .LBB3588_3
	s_branch .LBB3588_12
.LBB3588_2:
	s_mov_b64 s[4:5], 0
                                        ; implicit-def: $vgpr3
                                        ; implicit-def: $vgpr4_vgpr5
.LBB3588_3:
	s_sub_i32 s6, s12, s0
	v_cmp_gt_u32_e32 vcc, s6, v0
                                        ; implicit-def: $vgpr2_vgpr3
	s_and_saveexec_b64 s[0:1], vcc
	s_cbranch_execz .LBB3588_5
; %bb.4:
	global_load_dword v2, v1, s[8:9]
.LBB3588_5:
	s_or_b64 exec, exec, s[0:1]
	v_or_b32_e32 v0, 0x400, v0
	v_cmp_gt_u32_e64 s[0:1], s6, v0
	s_and_saveexec_b64 s[6:7], s[0:1]
	s_cbranch_execz .LBB3588_7
; %bb.6:
	v_lshlrev_b32_e32 v0, 2, v0
	global_load_dword v3, v0, s[8:9]
.LBB3588_7:
	s_or_b64 exec, exec, s[6:7]
	s_add_u32 s2, s10, s2
	s_addc_u32 s3, s11, s3
	v_mov_b32_e32 v0, s3
	v_add_co_u32_e64 v4, s[2:3], s2, v1
	v_addc_co_u32_e64 v5, s[2:3], 0, v0, s[2:3]
	s_and_saveexec_b64 s[2:3], vcc
	s_cbranch_execz .LBB3588_9
; %bb.8:
	s_waitcnt vmcnt(0)
	flat_store_dword v[4:5], v2
.LBB3588_9:
	s_or_b64 exec, exec, s[2:3]
	s_and_saveexec_b64 s[2:3], s[0:1]
; %bb.10:
	s_or_b64 s[4:5], s[4:5], exec
; %bb.11:
	s_or_b64 exec, exec, s[2:3]
.LBB3588_12:
	s_and_saveexec_b64 s[0:1], s[4:5]
	s_cbranch_execnz .LBB3588_14
; %bb.13:
	s_endpgm
.LBB3588_14:
	v_add_co_u32_e32 v0, vcc, 0x1000, v4
	v_addc_co_u32_e32 v1, vcc, 0, v5, vcc
	s_waitcnt vmcnt(0)
	flat_store_dword v[0:1], v3
	s_endpgm
	.section	.rodata,"a",@progbits
	.p2align	6, 0x0
	.amdhsa_kernel _ZN7rocprim17ROCPRIM_400000_NS6detail17trampoline_kernelINS0_14default_configENS1_25transform_config_selectorIfLb0EEEZNS1_14transform_implILb0ES3_S5_PfN6thrust23THRUST_200600_302600_NS6detail15normal_iteratorINS9_10device_ptrIfEEEENS0_8identityIfEEEE10hipError_tT2_T3_mT4_P12ihipStream_tbEUlT_E_NS1_11comp_targetILNS1_3genE4ELNS1_11target_archE910ELNS1_3gpuE8ELNS1_3repE0EEENS1_30default_config_static_selectorELNS0_4arch9wavefront6targetE1EEEvT1_
		.amdhsa_group_segment_fixed_size 0
		.amdhsa_private_segment_fixed_size 0
		.amdhsa_kernarg_size 296
		.amdhsa_user_sgpr_count 6
		.amdhsa_user_sgpr_private_segment_buffer 1
		.amdhsa_user_sgpr_dispatch_ptr 0
		.amdhsa_user_sgpr_queue_ptr 0
		.amdhsa_user_sgpr_kernarg_segment_ptr 1
		.amdhsa_user_sgpr_dispatch_id 0
		.amdhsa_user_sgpr_flat_scratch_init 0
		.amdhsa_user_sgpr_kernarg_preload_length 0
		.amdhsa_user_sgpr_kernarg_preload_offset 0
		.amdhsa_user_sgpr_private_segment_size 0
		.amdhsa_uses_dynamic_stack 0
		.amdhsa_system_sgpr_private_segment_wavefront_offset 0
		.amdhsa_system_sgpr_workgroup_id_x 1
		.amdhsa_system_sgpr_workgroup_id_y 0
		.amdhsa_system_sgpr_workgroup_id_z 0
		.amdhsa_system_sgpr_workgroup_info 0
		.amdhsa_system_vgpr_workitem_id 0
		.amdhsa_next_free_vgpr 7
		.amdhsa_next_free_sgpr 16
		.amdhsa_accum_offset 8
		.amdhsa_reserve_vcc 1
		.amdhsa_reserve_flat_scratch 0
		.amdhsa_float_round_mode_32 0
		.amdhsa_float_round_mode_16_64 0
		.amdhsa_float_denorm_mode_32 3
		.amdhsa_float_denorm_mode_16_64 3
		.amdhsa_dx10_clamp 1
		.amdhsa_ieee_mode 1
		.amdhsa_fp16_overflow 0
		.amdhsa_tg_split 0
		.amdhsa_exception_fp_ieee_invalid_op 0
		.amdhsa_exception_fp_denorm_src 0
		.amdhsa_exception_fp_ieee_div_zero 0
		.amdhsa_exception_fp_ieee_overflow 0
		.amdhsa_exception_fp_ieee_underflow 0
		.amdhsa_exception_fp_ieee_inexact 0
		.amdhsa_exception_int_div_zero 0
	.end_amdhsa_kernel
	.section	.text._ZN7rocprim17ROCPRIM_400000_NS6detail17trampoline_kernelINS0_14default_configENS1_25transform_config_selectorIfLb0EEEZNS1_14transform_implILb0ES3_S5_PfN6thrust23THRUST_200600_302600_NS6detail15normal_iteratorINS9_10device_ptrIfEEEENS0_8identityIfEEEE10hipError_tT2_T3_mT4_P12ihipStream_tbEUlT_E_NS1_11comp_targetILNS1_3genE4ELNS1_11target_archE910ELNS1_3gpuE8ELNS1_3repE0EEENS1_30default_config_static_selectorELNS0_4arch9wavefront6targetE1EEEvT1_,"axG",@progbits,_ZN7rocprim17ROCPRIM_400000_NS6detail17trampoline_kernelINS0_14default_configENS1_25transform_config_selectorIfLb0EEEZNS1_14transform_implILb0ES3_S5_PfN6thrust23THRUST_200600_302600_NS6detail15normal_iteratorINS9_10device_ptrIfEEEENS0_8identityIfEEEE10hipError_tT2_T3_mT4_P12ihipStream_tbEUlT_E_NS1_11comp_targetILNS1_3genE4ELNS1_11target_archE910ELNS1_3gpuE8ELNS1_3repE0EEENS1_30default_config_static_selectorELNS0_4arch9wavefront6targetE1EEEvT1_,comdat
.Lfunc_end3588:
	.size	_ZN7rocprim17ROCPRIM_400000_NS6detail17trampoline_kernelINS0_14default_configENS1_25transform_config_selectorIfLb0EEEZNS1_14transform_implILb0ES3_S5_PfN6thrust23THRUST_200600_302600_NS6detail15normal_iteratorINS9_10device_ptrIfEEEENS0_8identityIfEEEE10hipError_tT2_T3_mT4_P12ihipStream_tbEUlT_E_NS1_11comp_targetILNS1_3genE4ELNS1_11target_archE910ELNS1_3gpuE8ELNS1_3repE0EEENS1_30default_config_static_selectorELNS0_4arch9wavefront6targetE1EEEvT1_, .Lfunc_end3588-_ZN7rocprim17ROCPRIM_400000_NS6detail17trampoline_kernelINS0_14default_configENS1_25transform_config_selectorIfLb0EEEZNS1_14transform_implILb0ES3_S5_PfN6thrust23THRUST_200600_302600_NS6detail15normal_iteratorINS9_10device_ptrIfEEEENS0_8identityIfEEEE10hipError_tT2_T3_mT4_P12ihipStream_tbEUlT_E_NS1_11comp_targetILNS1_3genE4ELNS1_11target_archE910ELNS1_3gpuE8ELNS1_3repE0EEENS1_30default_config_static_selectorELNS0_4arch9wavefront6targetE1EEEvT1_
                                        ; -- End function
	.section	.AMDGPU.csdata,"",@progbits
; Kernel info:
; codeLenInByte = 336
; NumSgprs: 20
; NumVgprs: 7
; NumAgprs: 0
; TotalNumVgprs: 7
; ScratchSize: 0
; MemoryBound: 0
; FloatMode: 240
; IeeeMode: 1
; LDSByteSize: 0 bytes/workgroup (compile time only)
; SGPRBlocks: 2
; VGPRBlocks: 0
; NumSGPRsForWavesPerEU: 20
; NumVGPRsForWavesPerEU: 7
; AccumOffset: 8
; Occupancy: 8
; WaveLimiterHint : 1
; COMPUTE_PGM_RSRC2:SCRATCH_EN: 0
; COMPUTE_PGM_RSRC2:USER_SGPR: 6
; COMPUTE_PGM_RSRC2:TRAP_HANDLER: 0
; COMPUTE_PGM_RSRC2:TGID_X_EN: 1
; COMPUTE_PGM_RSRC2:TGID_Y_EN: 0
; COMPUTE_PGM_RSRC2:TGID_Z_EN: 0
; COMPUTE_PGM_RSRC2:TIDIG_COMP_CNT: 0
; COMPUTE_PGM_RSRC3_GFX90A:ACCUM_OFFSET: 1
; COMPUTE_PGM_RSRC3_GFX90A:TG_SPLIT: 0
	.section	.text._ZN7rocprim17ROCPRIM_400000_NS6detail17trampoline_kernelINS0_14default_configENS1_25transform_config_selectorIfLb0EEEZNS1_14transform_implILb0ES3_S5_PfN6thrust23THRUST_200600_302600_NS6detail15normal_iteratorINS9_10device_ptrIfEEEENS0_8identityIfEEEE10hipError_tT2_T3_mT4_P12ihipStream_tbEUlT_E_NS1_11comp_targetILNS1_3genE3ELNS1_11target_archE908ELNS1_3gpuE7ELNS1_3repE0EEENS1_30default_config_static_selectorELNS0_4arch9wavefront6targetE1EEEvT1_,"axG",@progbits,_ZN7rocprim17ROCPRIM_400000_NS6detail17trampoline_kernelINS0_14default_configENS1_25transform_config_selectorIfLb0EEEZNS1_14transform_implILb0ES3_S5_PfN6thrust23THRUST_200600_302600_NS6detail15normal_iteratorINS9_10device_ptrIfEEEENS0_8identityIfEEEE10hipError_tT2_T3_mT4_P12ihipStream_tbEUlT_E_NS1_11comp_targetILNS1_3genE3ELNS1_11target_archE908ELNS1_3gpuE7ELNS1_3repE0EEENS1_30default_config_static_selectorELNS0_4arch9wavefront6targetE1EEEvT1_,comdat
	.protected	_ZN7rocprim17ROCPRIM_400000_NS6detail17trampoline_kernelINS0_14default_configENS1_25transform_config_selectorIfLb0EEEZNS1_14transform_implILb0ES3_S5_PfN6thrust23THRUST_200600_302600_NS6detail15normal_iteratorINS9_10device_ptrIfEEEENS0_8identityIfEEEE10hipError_tT2_T3_mT4_P12ihipStream_tbEUlT_E_NS1_11comp_targetILNS1_3genE3ELNS1_11target_archE908ELNS1_3gpuE7ELNS1_3repE0EEENS1_30default_config_static_selectorELNS0_4arch9wavefront6targetE1EEEvT1_ ; -- Begin function _ZN7rocprim17ROCPRIM_400000_NS6detail17trampoline_kernelINS0_14default_configENS1_25transform_config_selectorIfLb0EEEZNS1_14transform_implILb0ES3_S5_PfN6thrust23THRUST_200600_302600_NS6detail15normal_iteratorINS9_10device_ptrIfEEEENS0_8identityIfEEEE10hipError_tT2_T3_mT4_P12ihipStream_tbEUlT_E_NS1_11comp_targetILNS1_3genE3ELNS1_11target_archE908ELNS1_3gpuE7ELNS1_3repE0EEENS1_30default_config_static_selectorELNS0_4arch9wavefront6targetE1EEEvT1_
	.globl	_ZN7rocprim17ROCPRIM_400000_NS6detail17trampoline_kernelINS0_14default_configENS1_25transform_config_selectorIfLb0EEEZNS1_14transform_implILb0ES3_S5_PfN6thrust23THRUST_200600_302600_NS6detail15normal_iteratorINS9_10device_ptrIfEEEENS0_8identityIfEEEE10hipError_tT2_T3_mT4_P12ihipStream_tbEUlT_E_NS1_11comp_targetILNS1_3genE3ELNS1_11target_archE908ELNS1_3gpuE7ELNS1_3repE0EEENS1_30default_config_static_selectorELNS0_4arch9wavefront6targetE1EEEvT1_
	.p2align	8
	.type	_ZN7rocprim17ROCPRIM_400000_NS6detail17trampoline_kernelINS0_14default_configENS1_25transform_config_selectorIfLb0EEEZNS1_14transform_implILb0ES3_S5_PfN6thrust23THRUST_200600_302600_NS6detail15normal_iteratorINS9_10device_ptrIfEEEENS0_8identityIfEEEE10hipError_tT2_T3_mT4_P12ihipStream_tbEUlT_E_NS1_11comp_targetILNS1_3genE3ELNS1_11target_archE908ELNS1_3gpuE7ELNS1_3repE0EEENS1_30default_config_static_selectorELNS0_4arch9wavefront6targetE1EEEvT1_,@function
_ZN7rocprim17ROCPRIM_400000_NS6detail17trampoline_kernelINS0_14default_configENS1_25transform_config_selectorIfLb0EEEZNS1_14transform_implILb0ES3_S5_PfN6thrust23THRUST_200600_302600_NS6detail15normal_iteratorINS9_10device_ptrIfEEEENS0_8identityIfEEEE10hipError_tT2_T3_mT4_P12ihipStream_tbEUlT_E_NS1_11comp_targetILNS1_3genE3ELNS1_11target_archE908ELNS1_3gpuE7ELNS1_3repE0EEENS1_30default_config_static_selectorELNS0_4arch9wavefront6targetE1EEEvT1_: ; @_ZN7rocprim17ROCPRIM_400000_NS6detail17trampoline_kernelINS0_14default_configENS1_25transform_config_selectorIfLb0EEEZNS1_14transform_implILb0ES3_S5_PfN6thrust23THRUST_200600_302600_NS6detail15normal_iteratorINS9_10device_ptrIfEEEENS0_8identityIfEEEE10hipError_tT2_T3_mT4_P12ihipStream_tbEUlT_E_NS1_11comp_targetILNS1_3genE3ELNS1_11target_archE908ELNS1_3gpuE7ELNS1_3repE0EEENS1_30default_config_static_selectorELNS0_4arch9wavefront6targetE1EEEvT1_
; %bb.0:
	.section	.rodata,"a",@progbits
	.p2align	6, 0x0
	.amdhsa_kernel _ZN7rocprim17ROCPRIM_400000_NS6detail17trampoline_kernelINS0_14default_configENS1_25transform_config_selectorIfLb0EEEZNS1_14transform_implILb0ES3_S5_PfN6thrust23THRUST_200600_302600_NS6detail15normal_iteratorINS9_10device_ptrIfEEEENS0_8identityIfEEEE10hipError_tT2_T3_mT4_P12ihipStream_tbEUlT_E_NS1_11comp_targetILNS1_3genE3ELNS1_11target_archE908ELNS1_3gpuE7ELNS1_3repE0EEENS1_30default_config_static_selectorELNS0_4arch9wavefront6targetE1EEEvT1_
		.amdhsa_group_segment_fixed_size 0
		.amdhsa_private_segment_fixed_size 0
		.amdhsa_kernarg_size 40
		.amdhsa_user_sgpr_count 6
		.amdhsa_user_sgpr_private_segment_buffer 1
		.amdhsa_user_sgpr_dispatch_ptr 0
		.amdhsa_user_sgpr_queue_ptr 0
		.amdhsa_user_sgpr_kernarg_segment_ptr 1
		.amdhsa_user_sgpr_dispatch_id 0
		.amdhsa_user_sgpr_flat_scratch_init 0
		.amdhsa_user_sgpr_kernarg_preload_length 0
		.amdhsa_user_sgpr_kernarg_preload_offset 0
		.amdhsa_user_sgpr_private_segment_size 0
		.amdhsa_uses_dynamic_stack 0
		.amdhsa_system_sgpr_private_segment_wavefront_offset 0
		.amdhsa_system_sgpr_workgroup_id_x 1
		.amdhsa_system_sgpr_workgroup_id_y 0
		.amdhsa_system_sgpr_workgroup_id_z 0
		.amdhsa_system_sgpr_workgroup_info 0
		.amdhsa_system_vgpr_workitem_id 0
		.amdhsa_next_free_vgpr 1
		.amdhsa_next_free_sgpr 0
		.amdhsa_accum_offset 4
		.amdhsa_reserve_vcc 0
		.amdhsa_reserve_flat_scratch 0
		.amdhsa_float_round_mode_32 0
		.amdhsa_float_round_mode_16_64 0
		.amdhsa_float_denorm_mode_32 3
		.amdhsa_float_denorm_mode_16_64 3
		.amdhsa_dx10_clamp 1
		.amdhsa_ieee_mode 1
		.amdhsa_fp16_overflow 0
		.amdhsa_tg_split 0
		.amdhsa_exception_fp_ieee_invalid_op 0
		.amdhsa_exception_fp_denorm_src 0
		.amdhsa_exception_fp_ieee_div_zero 0
		.amdhsa_exception_fp_ieee_overflow 0
		.amdhsa_exception_fp_ieee_underflow 0
		.amdhsa_exception_fp_ieee_inexact 0
		.amdhsa_exception_int_div_zero 0
	.end_amdhsa_kernel
	.section	.text._ZN7rocprim17ROCPRIM_400000_NS6detail17trampoline_kernelINS0_14default_configENS1_25transform_config_selectorIfLb0EEEZNS1_14transform_implILb0ES3_S5_PfN6thrust23THRUST_200600_302600_NS6detail15normal_iteratorINS9_10device_ptrIfEEEENS0_8identityIfEEEE10hipError_tT2_T3_mT4_P12ihipStream_tbEUlT_E_NS1_11comp_targetILNS1_3genE3ELNS1_11target_archE908ELNS1_3gpuE7ELNS1_3repE0EEENS1_30default_config_static_selectorELNS0_4arch9wavefront6targetE1EEEvT1_,"axG",@progbits,_ZN7rocprim17ROCPRIM_400000_NS6detail17trampoline_kernelINS0_14default_configENS1_25transform_config_selectorIfLb0EEEZNS1_14transform_implILb0ES3_S5_PfN6thrust23THRUST_200600_302600_NS6detail15normal_iteratorINS9_10device_ptrIfEEEENS0_8identityIfEEEE10hipError_tT2_T3_mT4_P12ihipStream_tbEUlT_E_NS1_11comp_targetILNS1_3genE3ELNS1_11target_archE908ELNS1_3gpuE7ELNS1_3repE0EEENS1_30default_config_static_selectorELNS0_4arch9wavefront6targetE1EEEvT1_,comdat
.Lfunc_end3589:
	.size	_ZN7rocprim17ROCPRIM_400000_NS6detail17trampoline_kernelINS0_14default_configENS1_25transform_config_selectorIfLb0EEEZNS1_14transform_implILb0ES3_S5_PfN6thrust23THRUST_200600_302600_NS6detail15normal_iteratorINS9_10device_ptrIfEEEENS0_8identityIfEEEE10hipError_tT2_T3_mT4_P12ihipStream_tbEUlT_E_NS1_11comp_targetILNS1_3genE3ELNS1_11target_archE908ELNS1_3gpuE7ELNS1_3repE0EEENS1_30default_config_static_selectorELNS0_4arch9wavefront6targetE1EEEvT1_, .Lfunc_end3589-_ZN7rocprim17ROCPRIM_400000_NS6detail17trampoline_kernelINS0_14default_configENS1_25transform_config_selectorIfLb0EEEZNS1_14transform_implILb0ES3_S5_PfN6thrust23THRUST_200600_302600_NS6detail15normal_iteratorINS9_10device_ptrIfEEEENS0_8identityIfEEEE10hipError_tT2_T3_mT4_P12ihipStream_tbEUlT_E_NS1_11comp_targetILNS1_3genE3ELNS1_11target_archE908ELNS1_3gpuE7ELNS1_3repE0EEENS1_30default_config_static_selectorELNS0_4arch9wavefront6targetE1EEEvT1_
                                        ; -- End function
	.section	.AMDGPU.csdata,"",@progbits
; Kernel info:
; codeLenInByte = 0
; NumSgprs: 4
; NumVgprs: 0
; NumAgprs: 0
; TotalNumVgprs: 0
; ScratchSize: 0
; MemoryBound: 0
; FloatMode: 240
; IeeeMode: 1
; LDSByteSize: 0 bytes/workgroup (compile time only)
; SGPRBlocks: 0
; VGPRBlocks: 0
; NumSGPRsForWavesPerEU: 4
; NumVGPRsForWavesPerEU: 1
; AccumOffset: 4
; Occupancy: 8
; WaveLimiterHint : 0
; COMPUTE_PGM_RSRC2:SCRATCH_EN: 0
; COMPUTE_PGM_RSRC2:USER_SGPR: 6
; COMPUTE_PGM_RSRC2:TRAP_HANDLER: 0
; COMPUTE_PGM_RSRC2:TGID_X_EN: 1
; COMPUTE_PGM_RSRC2:TGID_Y_EN: 0
; COMPUTE_PGM_RSRC2:TGID_Z_EN: 0
; COMPUTE_PGM_RSRC2:TIDIG_COMP_CNT: 0
; COMPUTE_PGM_RSRC3_GFX90A:ACCUM_OFFSET: 0
; COMPUTE_PGM_RSRC3_GFX90A:TG_SPLIT: 0
	.section	.text._ZN7rocprim17ROCPRIM_400000_NS6detail17trampoline_kernelINS0_14default_configENS1_25transform_config_selectorIfLb0EEEZNS1_14transform_implILb0ES3_S5_PfN6thrust23THRUST_200600_302600_NS6detail15normal_iteratorINS9_10device_ptrIfEEEENS0_8identityIfEEEE10hipError_tT2_T3_mT4_P12ihipStream_tbEUlT_E_NS1_11comp_targetILNS1_3genE2ELNS1_11target_archE906ELNS1_3gpuE6ELNS1_3repE0EEENS1_30default_config_static_selectorELNS0_4arch9wavefront6targetE1EEEvT1_,"axG",@progbits,_ZN7rocprim17ROCPRIM_400000_NS6detail17trampoline_kernelINS0_14default_configENS1_25transform_config_selectorIfLb0EEEZNS1_14transform_implILb0ES3_S5_PfN6thrust23THRUST_200600_302600_NS6detail15normal_iteratorINS9_10device_ptrIfEEEENS0_8identityIfEEEE10hipError_tT2_T3_mT4_P12ihipStream_tbEUlT_E_NS1_11comp_targetILNS1_3genE2ELNS1_11target_archE906ELNS1_3gpuE6ELNS1_3repE0EEENS1_30default_config_static_selectorELNS0_4arch9wavefront6targetE1EEEvT1_,comdat
	.protected	_ZN7rocprim17ROCPRIM_400000_NS6detail17trampoline_kernelINS0_14default_configENS1_25transform_config_selectorIfLb0EEEZNS1_14transform_implILb0ES3_S5_PfN6thrust23THRUST_200600_302600_NS6detail15normal_iteratorINS9_10device_ptrIfEEEENS0_8identityIfEEEE10hipError_tT2_T3_mT4_P12ihipStream_tbEUlT_E_NS1_11comp_targetILNS1_3genE2ELNS1_11target_archE906ELNS1_3gpuE6ELNS1_3repE0EEENS1_30default_config_static_selectorELNS0_4arch9wavefront6targetE1EEEvT1_ ; -- Begin function _ZN7rocprim17ROCPRIM_400000_NS6detail17trampoline_kernelINS0_14default_configENS1_25transform_config_selectorIfLb0EEEZNS1_14transform_implILb0ES3_S5_PfN6thrust23THRUST_200600_302600_NS6detail15normal_iteratorINS9_10device_ptrIfEEEENS0_8identityIfEEEE10hipError_tT2_T3_mT4_P12ihipStream_tbEUlT_E_NS1_11comp_targetILNS1_3genE2ELNS1_11target_archE906ELNS1_3gpuE6ELNS1_3repE0EEENS1_30default_config_static_selectorELNS0_4arch9wavefront6targetE1EEEvT1_
	.globl	_ZN7rocprim17ROCPRIM_400000_NS6detail17trampoline_kernelINS0_14default_configENS1_25transform_config_selectorIfLb0EEEZNS1_14transform_implILb0ES3_S5_PfN6thrust23THRUST_200600_302600_NS6detail15normal_iteratorINS9_10device_ptrIfEEEENS0_8identityIfEEEE10hipError_tT2_T3_mT4_P12ihipStream_tbEUlT_E_NS1_11comp_targetILNS1_3genE2ELNS1_11target_archE906ELNS1_3gpuE6ELNS1_3repE0EEENS1_30default_config_static_selectorELNS0_4arch9wavefront6targetE1EEEvT1_
	.p2align	8
	.type	_ZN7rocprim17ROCPRIM_400000_NS6detail17trampoline_kernelINS0_14default_configENS1_25transform_config_selectorIfLb0EEEZNS1_14transform_implILb0ES3_S5_PfN6thrust23THRUST_200600_302600_NS6detail15normal_iteratorINS9_10device_ptrIfEEEENS0_8identityIfEEEE10hipError_tT2_T3_mT4_P12ihipStream_tbEUlT_E_NS1_11comp_targetILNS1_3genE2ELNS1_11target_archE906ELNS1_3gpuE6ELNS1_3repE0EEENS1_30default_config_static_selectorELNS0_4arch9wavefront6targetE1EEEvT1_,@function
_ZN7rocprim17ROCPRIM_400000_NS6detail17trampoline_kernelINS0_14default_configENS1_25transform_config_selectorIfLb0EEEZNS1_14transform_implILb0ES3_S5_PfN6thrust23THRUST_200600_302600_NS6detail15normal_iteratorINS9_10device_ptrIfEEEENS0_8identityIfEEEE10hipError_tT2_T3_mT4_P12ihipStream_tbEUlT_E_NS1_11comp_targetILNS1_3genE2ELNS1_11target_archE906ELNS1_3gpuE6ELNS1_3repE0EEENS1_30default_config_static_selectorELNS0_4arch9wavefront6targetE1EEEvT1_: ; @_ZN7rocprim17ROCPRIM_400000_NS6detail17trampoline_kernelINS0_14default_configENS1_25transform_config_selectorIfLb0EEEZNS1_14transform_implILb0ES3_S5_PfN6thrust23THRUST_200600_302600_NS6detail15normal_iteratorINS9_10device_ptrIfEEEENS0_8identityIfEEEE10hipError_tT2_T3_mT4_P12ihipStream_tbEUlT_E_NS1_11comp_targetILNS1_3genE2ELNS1_11target_archE906ELNS1_3gpuE6ELNS1_3repE0EEENS1_30default_config_static_selectorELNS0_4arch9wavefront6targetE1EEEvT1_
; %bb.0:
	.section	.rodata,"a",@progbits
	.p2align	6, 0x0
	.amdhsa_kernel _ZN7rocprim17ROCPRIM_400000_NS6detail17trampoline_kernelINS0_14default_configENS1_25transform_config_selectorIfLb0EEEZNS1_14transform_implILb0ES3_S5_PfN6thrust23THRUST_200600_302600_NS6detail15normal_iteratorINS9_10device_ptrIfEEEENS0_8identityIfEEEE10hipError_tT2_T3_mT4_P12ihipStream_tbEUlT_E_NS1_11comp_targetILNS1_3genE2ELNS1_11target_archE906ELNS1_3gpuE6ELNS1_3repE0EEENS1_30default_config_static_selectorELNS0_4arch9wavefront6targetE1EEEvT1_
		.amdhsa_group_segment_fixed_size 0
		.amdhsa_private_segment_fixed_size 0
		.amdhsa_kernarg_size 40
		.amdhsa_user_sgpr_count 6
		.amdhsa_user_sgpr_private_segment_buffer 1
		.amdhsa_user_sgpr_dispatch_ptr 0
		.amdhsa_user_sgpr_queue_ptr 0
		.amdhsa_user_sgpr_kernarg_segment_ptr 1
		.amdhsa_user_sgpr_dispatch_id 0
		.amdhsa_user_sgpr_flat_scratch_init 0
		.amdhsa_user_sgpr_kernarg_preload_length 0
		.amdhsa_user_sgpr_kernarg_preload_offset 0
		.amdhsa_user_sgpr_private_segment_size 0
		.amdhsa_uses_dynamic_stack 0
		.amdhsa_system_sgpr_private_segment_wavefront_offset 0
		.amdhsa_system_sgpr_workgroup_id_x 1
		.amdhsa_system_sgpr_workgroup_id_y 0
		.amdhsa_system_sgpr_workgroup_id_z 0
		.amdhsa_system_sgpr_workgroup_info 0
		.amdhsa_system_vgpr_workitem_id 0
		.amdhsa_next_free_vgpr 1
		.amdhsa_next_free_sgpr 0
		.amdhsa_accum_offset 4
		.amdhsa_reserve_vcc 0
		.amdhsa_reserve_flat_scratch 0
		.amdhsa_float_round_mode_32 0
		.amdhsa_float_round_mode_16_64 0
		.amdhsa_float_denorm_mode_32 3
		.amdhsa_float_denorm_mode_16_64 3
		.amdhsa_dx10_clamp 1
		.amdhsa_ieee_mode 1
		.amdhsa_fp16_overflow 0
		.amdhsa_tg_split 0
		.amdhsa_exception_fp_ieee_invalid_op 0
		.amdhsa_exception_fp_denorm_src 0
		.amdhsa_exception_fp_ieee_div_zero 0
		.amdhsa_exception_fp_ieee_overflow 0
		.amdhsa_exception_fp_ieee_underflow 0
		.amdhsa_exception_fp_ieee_inexact 0
		.amdhsa_exception_int_div_zero 0
	.end_amdhsa_kernel
	.section	.text._ZN7rocprim17ROCPRIM_400000_NS6detail17trampoline_kernelINS0_14default_configENS1_25transform_config_selectorIfLb0EEEZNS1_14transform_implILb0ES3_S5_PfN6thrust23THRUST_200600_302600_NS6detail15normal_iteratorINS9_10device_ptrIfEEEENS0_8identityIfEEEE10hipError_tT2_T3_mT4_P12ihipStream_tbEUlT_E_NS1_11comp_targetILNS1_3genE2ELNS1_11target_archE906ELNS1_3gpuE6ELNS1_3repE0EEENS1_30default_config_static_selectorELNS0_4arch9wavefront6targetE1EEEvT1_,"axG",@progbits,_ZN7rocprim17ROCPRIM_400000_NS6detail17trampoline_kernelINS0_14default_configENS1_25transform_config_selectorIfLb0EEEZNS1_14transform_implILb0ES3_S5_PfN6thrust23THRUST_200600_302600_NS6detail15normal_iteratorINS9_10device_ptrIfEEEENS0_8identityIfEEEE10hipError_tT2_T3_mT4_P12ihipStream_tbEUlT_E_NS1_11comp_targetILNS1_3genE2ELNS1_11target_archE906ELNS1_3gpuE6ELNS1_3repE0EEENS1_30default_config_static_selectorELNS0_4arch9wavefront6targetE1EEEvT1_,comdat
.Lfunc_end3590:
	.size	_ZN7rocprim17ROCPRIM_400000_NS6detail17trampoline_kernelINS0_14default_configENS1_25transform_config_selectorIfLb0EEEZNS1_14transform_implILb0ES3_S5_PfN6thrust23THRUST_200600_302600_NS6detail15normal_iteratorINS9_10device_ptrIfEEEENS0_8identityIfEEEE10hipError_tT2_T3_mT4_P12ihipStream_tbEUlT_E_NS1_11comp_targetILNS1_3genE2ELNS1_11target_archE906ELNS1_3gpuE6ELNS1_3repE0EEENS1_30default_config_static_selectorELNS0_4arch9wavefront6targetE1EEEvT1_, .Lfunc_end3590-_ZN7rocprim17ROCPRIM_400000_NS6detail17trampoline_kernelINS0_14default_configENS1_25transform_config_selectorIfLb0EEEZNS1_14transform_implILb0ES3_S5_PfN6thrust23THRUST_200600_302600_NS6detail15normal_iteratorINS9_10device_ptrIfEEEENS0_8identityIfEEEE10hipError_tT2_T3_mT4_P12ihipStream_tbEUlT_E_NS1_11comp_targetILNS1_3genE2ELNS1_11target_archE906ELNS1_3gpuE6ELNS1_3repE0EEENS1_30default_config_static_selectorELNS0_4arch9wavefront6targetE1EEEvT1_
                                        ; -- End function
	.section	.AMDGPU.csdata,"",@progbits
; Kernel info:
; codeLenInByte = 0
; NumSgprs: 4
; NumVgprs: 0
; NumAgprs: 0
; TotalNumVgprs: 0
; ScratchSize: 0
; MemoryBound: 0
; FloatMode: 240
; IeeeMode: 1
; LDSByteSize: 0 bytes/workgroup (compile time only)
; SGPRBlocks: 0
; VGPRBlocks: 0
; NumSGPRsForWavesPerEU: 4
; NumVGPRsForWavesPerEU: 1
; AccumOffset: 4
; Occupancy: 8
; WaveLimiterHint : 0
; COMPUTE_PGM_RSRC2:SCRATCH_EN: 0
; COMPUTE_PGM_RSRC2:USER_SGPR: 6
; COMPUTE_PGM_RSRC2:TRAP_HANDLER: 0
; COMPUTE_PGM_RSRC2:TGID_X_EN: 1
; COMPUTE_PGM_RSRC2:TGID_Y_EN: 0
; COMPUTE_PGM_RSRC2:TGID_Z_EN: 0
; COMPUTE_PGM_RSRC2:TIDIG_COMP_CNT: 0
; COMPUTE_PGM_RSRC3_GFX90A:ACCUM_OFFSET: 0
; COMPUTE_PGM_RSRC3_GFX90A:TG_SPLIT: 0
	.section	.text._ZN7rocprim17ROCPRIM_400000_NS6detail17trampoline_kernelINS0_14default_configENS1_25transform_config_selectorIfLb0EEEZNS1_14transform_implILb0ES3_S5_PfN6thrust23THRUST_200600_302600_NS6detail15normal_iteratorINS9_10device_ptrIfEEEENS0_8identityIfEEEE10hipError_tT2_T3_mT4_P12ihipStream_tbEUlT_E_NS1_11comp_targetILNS1_3genE10ELNS1_11target_archE1201ELNS1_3gpuE5ELNS1_3repE0EEENS1_30default_config_static_selectorELNS0_4arch9wavefront6targetE1EEEvT1_,"axG",@progbits,_ZN7rocprim17ROCPRIM_400000_NS6detail17trampoline_kernelINS0_14default_configENS1_25transform_config_selectorIfLb0EEEZNS1_14transform_implILb0ES3_S5_PfN6thrust23THRUST_200600_302600_NS6detail15normal_iteratorINS9_10device_ptrIfEEEENS0_8identityIfEEEE10hipError_tT2_T3_mT4_P12ihipStream_tbEUlT_E_NS1_11comp_targetILNS1_3genE10ELNS1_11target_archE1201ELNS1_3gpuE5ELNS1_3repE0EEENS1_30default_config_static_selectorELNS0_4arch9wavefront6targetE1EEEvT1_,comdat
	.protected	_ZN7rocprim17ROCPRIM_400000_NS6detail17trampoline_kernelINS0_14default_configENS1_25transform_config_selectorIfLb0EEEZNS1_14transform_implILb0ES3_S5_PfN6thrust23THRUST_200600_302600_NS6detail15normal_iteratorINS9_10device_ptrIfEEEENS0_8identityIfEEEE10hipError_tT2_T3_mT4_P12ihipStream_tbEUlT_E_NS1_11comp_targetILNS1_3genE10ELNS1_11target_archE1201ELNS1_3gpuE5ELNS1_3repE0EEENS1_30default_config_static_selectorELNS0_4arch9wavefront6targetE1EEEvT1_ ; -- Begin function _ZN7rocprim17ROCPRIM_400000_NS6detail17trampoline_kernelINS0_14default_configENS1_25transform_config_selectorIfLb0EEEZNS1_14transform_implILb0ES3_S5_PfN6thrust23THRUST_200600_302600_NS6detail15normal_iteratorINS9_10device_ptrIfEEEENS0_8identityIfEEEE10hipError_tT2_T3_mT4_P12ihipStream_tbEUlT_E_NS1_11comp_targetILNS1_3genE10ELNS1_11target_archE1201ELNS1_3gpuE5ELNS1_3repE0EEENS1_30default_config_static_selectorELNS0_4arch9wavefront6targetE1EEEvT1_
	.globl	_ZN7rocprim17ROCPRIM_400000_NS6detail17trampoline_kernelINS0_14default_configENS1_25transform_config_selectorIfLb0EEEZNS1_14transform_implILb0ES3_S5_PfN6thrust23THRUST_200600_302600_NS6detail15normal_iteratorINS9_10device_ptrIfEEEENS0_8identityIfEEEE10hipError_tT2_T3_mT4_P12ihipStream_tbEUlT_E_NS1_11comp_targetILNS1_3genE10ELNS1_11target_archE1201ELNS1_3gpuE5ELNS1_3repE0EEENS1_30default_config_static_selectorELNS0_4arch9wavefront6targetE1EEEvT1_
	.p2align	8
	.type	_ZN7rocprim17ROCPRIM_400000_NS6detail17trampoline_kernelINS0_14default_configENS1_25transform_config_selectorIfLb0EEEZNS1_14transform_implILb0ES3_S5_PfN6thrust23THRUST_200600_302600_NS6detail15normal_iteratorINS9_10device_ptrIfEEEENS0_8identityIfEEEE10hipError_tT2_T3_mT4_P12ihipStream_tbEUlT_E_NS1_11comp_targetILNS1_3genE10ELNS1_11target_archE1201ELNS1_3gpuE5ELNS1_3repE0EEENS1_30default_config_static_selectorELNS0_4arch9wavefront6targetE1EEEvT1_,@function
_ZN7rocprim17ROCPRIM_400000_NS6detail17trampoline_kernelINS0_14default_configENS1_25transform_config_selectorIfLb0EEEZNS1_14transform_implILb0ES3_S5_PfN6thrust23THRUST_200600_302600_NS6detail15normal_iteratorINS9_10device_ptrIfEEEENS0_8identityIfEEEE10hipError_tT2_T3_mT4_P12ihipStream_tbEUlT_E_NS1_11comp_targetILNS1_3genE10ELNS1_11target_archE1201ELNS1_3gpuE5ELNS1_3repE0EEENS1_30default_config_static_selectorELNS0_4arch9wavefront6targetE1EEEvT1_: ; @_ZN7rocprim17ROCPRIM_400000_NS6detail17trampoline_kernelINS0_14default_configENS1_25transform_config_selectorIfLb0EEEZNS1_14transform_implILb0ES3_S5_PfN6thrust23THRUST_200600_302600_NS6detail15normal_iteratorINS9_10device_ptrIfEEEENS0_8identityIfEEEE10hipError_tT2_T3_mT4_P12ihipStream_tbEUlT_E_NS1_11comp_targetILNS1_3genE10ELNS1_11target_archE1201ELNS1_3gpuE5ELNS1_3repE0EEENS1_30default_config_static_selectorELNS0_4arch9wavefront6targetE1EEEvT1_
; %bb.0:
	.section	.rodata,"a",@progbits
	.p2align	6, 0x0
	.amdhsa_kernel _ZN7rocprim17ROCPRIM_400000_NS6detail17trampoline_kernelINS0_14default_configENS1_25transform_config_selectorIfLb0EEEZNS1_14transform_implILb0ES3_S5_PfN6thrust23THRUST_200600_302600_NS6detail15normal_iteratorINS9_10device_ptrIfEEEENS0_8identityIfEEEE10hipError_tT2_T3_mT4_P12ihipStream_tbEUlT_E_NS1_11comp_targetILNS1_3genE10ELNS1_11target_archE1201ELNS1_3gpuE5ELNS1_3repE0EEENS1_30default_config_static_selectorELNS0_4arch9wavefront6targetE1EEEvT1_
		.amdhsa_group_segment_fixed_size 0
		.amdhsa_private_segment_fixed_size 0
		.amdhsa_kernarg_size 40
		.amdhsa_user_sgpr_count 6
		.amdhsa_user_sgpr_private_segment_buffer 1
		.amdhsa_user_sgpr_dispatch_ptr 0
		.amdhsa_user_sgpr_queue_ptr 0
		.amdhsa_user_sgpr_kernarg_segment_ptr 1
		.amdhsa_user_sgpr_dispatch_id 0
		.amdhsa_user_sgpr_flat_scratch_init 0
		.amdhsa_user_sgpr_kernarg_preload_length 0
		.amdhsa_user_sgpr_kernarg_preload_offset 0
		.amdhsa_user_sgpr_private_segment_size 0
		.amdhsa_uses_dynamic_stack 0
		.amdhsa_system_sgpr_private_segment_wavefront_offset 0
		.amdhsa_system_sgpr_workgroup_id_x 1
		.amdhsa_system_sgpr_workgroup_id_y 0
		.amdhsa_system_sgpr_workgroup_id_z 0
		.amdhsa_system_sgpr_workgroup_info 0
		.amdhsa_system_vgpr_workitem_id 0
		.amdhsa_next_free_vgpr 1
		.amdhsa_next_free_sgpr 0
		.amdhsa_accum_offset 4
		.amdhsa_reserve_vcc 0
		.amdhsa_reserve_flat_scratch 0
		.amdhsa_float_round_mode_32 0
		.amdhsa_float_round_mode_16_64 0
		.amdhsa_float_denorm_mode_32 3
		.amdhsa_float_denorm_mode_16_64 3
		.amdhsa_dx10_clamp 1
		.amdhsa_ieee_mode 1
		.amdhsa_fp16_overflow 0
		.amdhsa_tg_split 0
		.amdhsa_exception_fp_ieee_invalid_op 0
		.amdhsa_exception_fp_denorm_src 0
		.amdhsa_exception_fp_ieee_div_zero 0
		.amdhsa_exception_fp_ieee_overflow 0
		.amdhsa_exception_fp_ieee_underflow 0
		.amdhsa_exception_fp_ieee_inexact 0
		.amdhsa_exception_int_div_zero 0
	.end_amdhsa_kernel
	.section	.text._ZN7rocprim17ROCPRIM_400000_NS6detail17trampoline_kernelINS0_14default_configENS1_25transform_config_selectorIfLb0EEEZNS1_14transform_implILb0ES3_S5_PfN6thrust23THRUST_200600_302600_NS6detail15normal_iteratorINS9_10device_ptrIfEEEENS0_8identityIfEEEE10hipError_tT2_T3_mT4_P12ihipStream_tbEUlT_E_NS1_11comp_targetILNS1_3genE10ELNS1_11target_archE1201ELNS1_3gpuE5ELNS1_3repE0EEENS1_30default_config_static_selectorELNS0_4arch9wavefront6targetE1EEEvT1_,"axG",@progbits,_ZN7rocprim17ROCPRIM_400000_NS6detail17trampoline_kernelINS0_14default_configENS1_25transform_config_selectorIfLb0EEEZNS1_14transform_implILb0ES3_S5_PfN6thrust23THRUST_200600_302600_NS6detail15normal_iteratorINS9_10device_ptrIfEEEENS0_8identityIfEEEE10hipError_tT2_T3_mT4_P12ihipStream_tbEUlT_E_NS1_11comp_targetILNS1_3genE10ELNS1_11target_archE1201ELNS1_3gpuE5ELNS1_3repE0EEENS1_30default_config_static_selectorELNS0_4arch9wavefront6targetE1EEEvT1_,comdat
.Lfunc_end3591:
	.size	_ZN7rocprim17ROCPRIM_400000_NS6detail17trampoline_kernelINS0_14default_configENS1_25transform_config_selectorIfLb0EEEZNS1_14transform_implILb0ES3_S5_PfN6thrust23THRUST_200600_302600_NS6detail15normal_iteratorINS9_10device_ptrIfEEEENS0_8identityIfEEEE10hipError_tT2_T3_mT4_P12ihipStream_tbEUlT_E_NS1_11comp_targetILNS1_3genE10ELNS1_11target_archE1201ELNS1_3gpuE5ELNS1_3repE0EEENS1_30default_config_static_selectorELNS0_4arch9wavefront6targetE1EEEvT1_, .Lfunc_end3591-_ZN7rocprim17ROCPRIM_400000_NS6detail17trampoline_kernelINS0_14default_configENS1_25transform_config_selectorIfLb0EEEZNS1_14transform_implILb0ES3_S5_PfN6thrust23THRUST_200600_302600_NS6detail15normal_iteratorINS9_10device_ptrIfEEEENS0_8identityIfEEEE10hipError_tT2_T3_mT4_P12ihipStream_tbEUlT_E_NS1_11comp_targetILNS1_3genE10ELNS1_11target_archE1201ELNS1_3gpuE5ELNS1_3repE0EEENS1_30default_config_static_selectorELNS0_4arch9wavefront6targetE1EEEvT1_
                                        ; -- End function
	.section	.AMDGPU.csdata,"",@progbits
; Kernel info:
; codeLenInByte = 0
; NumSgprs: 4
; NumVgprs: 0
; NumAgprs: 0
; TotalNumVgprs: 0
; ScratchSize: 0
; MemoryBound: 0
; FloatMode: 240
; IeeeMode: 1
; LDSByteSize: 0 bytes/workgroup (compile time only)
; SGPRBlocks: 0
; VGPRBlocks: 0
; NumSGPRsForWavesPerEU: 4
; NumVGPRsForWavesPerEU: 1
; AccumOffset: 4
; Occupancy: 8
; WaveLimiterHint : 0
; COMPUTE_PGM_RSRC2:SCRATCH_EN: 0
; COMPUTE_PGM_RSRC2:USER_SGPR: 6
; COMPUTE_PGM_RSRC2:TRAP_HANDLER: 0
; COMPUTE_PGM_RSRC2:TGID_X_EN: 1
; COMPUTE_PGM_RSRC2:TGID_Y_EN: 0
; COMPUTE_PGM_RSRC2:TGID_Z_EN: 0
; COMPUTE_PGM_RSRC2:TIDIG_COMP_CNT: 0
; COMPUTE_PGM_RSRC3_GFX90A:ACCUM_OFFSET: 0
; COMPUTE_PGM_RSRC3_GFX90A:TG_SPLIT: 0
	.section	.text._ZN7rocprim17ROCPRIM_400000_NS6detail17trampoline_kernelINS0_14default_configENS1_25transform_config_selectorIfLb0EEEZNS1_14transform_implILb0ES3_S5_PfN6thrust23THRUST_200600_302600_NS6detail15normal_iteratorINS9_10device_ptrIfEEEENS0_8identityIfEEEE10hipError_tT2_T3_mT4_P12ihipStream_tbEUlT_E_NS1_11comp_targetILNS1_3genE10ELNS1_11target_archE1200ELNS1_3gpuE4ELNS1_3repE0EEENS1_30default_config_static_selectorELNS0_4arch9wavefront6targetE1EEEvT1_,"axG",@progbits,_ZN7rocprim17ROCPRIM_400000_NS6detail17trampoline_kernelINS0_14default_configENS1_25transform_config_selectorIfLb0EEEZNS1_14transform_implILb0ES3_S5_PfN6thrust23THRUST_200600_302600_NS6detail15normal_iteratorINS9_10device_ptrIfEEEENS0_8identityIfEEEE10hipError_tT2_T3_mT4_P12ihipStream_tbEUlT_E_NS1_11comp_targetILNS1_3genE10ELNS1_11target_archE1200ELNS1_3gpuE4ELNS1_3repE0EEENS1_30default_config_static_selectorELNS0_4arch9wavefront6targetE1EEEvT1_,comdat
	.protected	_ZN7rocprim17ROCPRIM_400000_NS6detail17trampoline_kernelINS0_14default_configENS1_25transform_config_selectorIfLb0EEEZNS1_14transform_implILb0ES3_S5_PfN6thrust23THRUST_200600_302600_NS6detail15normal_iteratorINS9_10device_ptrIfEEEENS0_8identityIfEEEE10hipError_tT2_T3_mT4_P12ihipStream_tbEUlT_E_NS1_11comp_targetILNS1_3genE10ELNS1_11target_archE1200ELNS1_3gpuE4ELNS1_3repE0EEENS1_30default_config_static_selectorELNS0_4arch9wavefront6targetE1EEEvT1_ ; -- Begin function _ZN7rocprim17ROCPRIM_400000_NS6detail17trampoline_kernelINS0_14default_configENS1_25transform_config_selectorIfLb0EEEZNS1_14transform_implILb0ES3_S5_PfN6thrust23THRUST_200600_302600_NS6detail15normal_iteratorINS9_10device_ptrIfEEEENS0_8identityIfEEEE10hipError_tT2_T3_mT4_P12ihipStream_tbEUlT_E_NS1_11comp_targetILNS1_3genE10ELNS1_11target_archE1200ELNS1_3gpuE4ELNS1_3repE0EEENS1_30default_config_static_selectorELNS0_4arch9wavefront6targetE1EEEvT1_
	.globl	_ZN7rocprim17ROCPRIM_400000_NS6detail17trampoline_kernelINS0_14default_configENS1_25transform_config_selectorIfLb0EEEZNS1_14transform_implILb0ES3_S5_PfN6thrust23THRUST_200600_302600_NS6detail15normal_iteratorINS9_10device_ptrIfEEEENS0_8identityIfEEEE10hipError_tT2_T3_mT4_P12ihipStream_tbEUlT_E_NS1_11comp_targetILNS1_3genE10ELNS1_11target_archE1200ELNS1_3gpuE4ELNS1_3repE0EEENS1_30default_config_static_selectorELNS0_4arch9wavefront6targetE1EEEvT1_
	.p2align	8
	.type	_ZN7rocprim17ROCPRIM_400000_NS6detail17trampoline_kernelINS0_14default_configENS1_25transform_config_selectorIfLb0EEEZNS1_14transform_implILb0ES3_S5_PfN6thrust23THRUST_200600_302600_NS6detail15normal_iteratorINS9_10device_ptrIfEEEENS0_8identityIfEEEE10hipError_tT2_T3_mT4_P12ihipStream_tbEUlT_E_NS1_11comp_targetILNS1_3genE10ELNS1_11target_archE1200ELNS1_3gpuE4ELNS1_3repE0EEENS1_30default_config_static_selectorELNS0_4arch9wavefront6targetE1EEEvT1_,@function
_ZN7rocprim17ROCPRIM_400000_NS6detail17trampoline_kernelINS0_14default_configENS1_25transform_config_selectorIfLb0EEEZNS1_14transform_implILb0ES3_S5_PfN6thrust23THRUST_200600_302600_NS6detail15normal_iteratorINS9_10device_ptrIfEEEENS0_8identityIfEEEE10hipError_tT2_T3_mT4_P12ihipStream_tbEUlT_E_NS1_11comp_targetILNS1_3genE10ELNS1_11target_archE1200ELNS1_3gpuE4ELNS1_3repE0EEENS1_30default_config_static_selectorELNS0_4arch9wavefront6targetE1EEEvT1_: ; @_ZN7rocprim17ROCPRIM_400000_NS6detail17trampoline_kernelINS0_14default_configENS1_25transform_config_selectorIfLb0EEEZNS1_14transform_implILb0ES3_S5_PfN6thrust23THRUST_200600_302600_NS6detail15normal_iteratorINS9_10device_ptrIfEEEENS0_8identityIfEEEE10hipError_tT2_T3_mT4_P12ihipStream_tbEUlT_E_NS1_11comp_targetILNS1_3genE10ELNS1_11target_archE1200ELNS1_3gpuE4ELNS1_3repE0EEENS1_30default_config_static_selectorELNS0_4arch9wavefront6targetE1EEEvT1_
; %bb.0:
	.section	.rodata,"a",@progbits
	.p2align	6, 0x0
	.amdhsa_kernel _ZN7rocprim17ROCPRIM_400000_NS6detail17trampoline_kernelINS0_14default_configENS1_25transform_config_selectorIfLb0EEEZNS1_14transform_implILb0ES3_S5_PfN6thrust23THRUST_200600_302600_NS6detail15normal_iteratorINS9_10device_ptrIfEEEENS0_8identityIfEEEE10hipError_tT2_T3_mT4_P12ihipStream_tbEUlT_E_NS1_11comp_targetILNS1_3genE10ELNS1_11target_archE1200ELNS1_3gpuE4ELNS1_3repE0EEENS1_30default_config_static_selectorELNS0_4arch9wavefront6targetE1EEEvT1_
		.amdhsa_group_segment_fixed_size 0
		.amdhsa_private_segment_fixed_size 0
		.amdhsa_kernarg_size 40
		.amdhsa_user_sgpr_count 6
		.amdhsa_user_sgpr_private_segment_buffer 1
		.amdhsa_user_sgpr_dispatch_ptr 0
		.amdhsa_user_sgpr_queue_ptr 0
		.amdhsa_user_sgpr_kernarg_segment_ptr 1
		.amdhsa_user_sgpr_dispatch_id 0
		.amdhsa_user_sgpr_flat_scratch_init 0
		.amdhsa_user_sgpr_kernarg_preload_length 0
		.amdhsa_user_sgpr_kernarg_preload_offset 0
		.amdhsa_user_sgpr_private_segment_size 0
		.amdhsa_uses_dynamic_stack 0
		.amdhsa_system_sgpr_private_segment_wavefront_offset 0
		.amdhsa_system_sgpr_workgroup_id_x 1
		.amdhsa_system_sgpr_workgroup_id_y 0
		.amdhsa_system_sgpr_workgroup_id_z 0
		.amdhsa_system_sgpr_workgroup_info 0
		.amdhsa_system_vgpr_workitem_id 0
		.amdhsa_next_free_vgpr 1
		.amdhsa_next_free_sgpr 0
		.amdhsa_accum_offset 4
		.amdhsa_reserve_vcc 0
		.amdhsa_reserve_flat_scratch 0
		.amdhsa_float_round_mode_32 0
		.amdhsa_float_round_mode_16_64 0
		.amdhsa_float_denorm_mode_32 3
		.amdhsa_float_denorm_mode_16_64 3
		.amdhsa_dx10_clamp 1
		.amdhsa_ieee_mode 1
		.amdhsa_fp16_overflow 0
		.amdhsa_tg_split 0
		.amdhsa_exception_fp_ieee_invalid_op 0
		.amdhsa_exception_fp_denorm_src 0
		.amdhsa_exception_fp_ieee_div_zero 0
		.amdhsa_exception_fp_ieee_overflow 0
		.amdhsa_exception_fp_ieee_underflow 0
		.amdhsa_exception_fp_ieee_inexact 0
		.amdhsa_exception_int_div_zero 0
	.end_amdhsa_kernel
	.section	.text._ZN7rocprim17ROCPRIM_400000_NS6detail17trampoline_kernelINS0_14default_configENS1_25transform_config_selectorIfLb0EEEZNS1_14transform_implILb0ES3_S5_PfN6thrust23THRUST_200600_302600_NS6detail15normal_iteratorINS9_10device_ptrIfEEEENS0_8identityIfEEEE10hipError_tT2_T3_mT4_P12ihipStream_tbEUlT_E_NS1_11comp_targetILNS1_3genE10ELNS1_11target_archE1200ELNS1_3gpuE4ELNS1_3repE0EEENS1_30default_config_static_selectorELNS0_4arch9wavefront6targetE1EEEvT1_,"axG",@progbits,_ZN7rocprim17ROCPRIM_400000_NS6detail17trampoline_kernelINS0_14default_configENS1_25transform_config_selectorIfLb0EEEZNS1_14transform_implILb0ES3_S5_PfN6thrust23THRUST_200600_302600_NS6detail15normal_iteratorINS9_10device_ptrIfEEEENS0_8identityIfEEEE10hipError_tT2_T3_mT4_P12ihipStream_tbEUlT_E_NS1_11comp_targetILNS1_3genE10ELNS1_11target_archE1200ELNS1_3gpuE4ELNS1_3repE0EEENS1_30default_config_static_selectorELNS0_4arch9wavefront6targetE1EEEvT1_,comdat
.Lfunc_end3592:
	.size	_ZN7rocprim17ROCPRIM_400000_NS6detail17trampoline_kernelINS0_14default_configENS1_25transform_config_selectorIfLb0EEEZNS1_14transform_implILb0ES3_S5_PfN6thrust23THRUST_200600_302600_NS6detail15normal_iteratorINS9_10device_ptrIfEEEENS0_8identityIfEEEE10hipError_tT2_T3_mT4_P12ihipStream_tbEUlT_E_NS1_11comp_targetILNS1_3genE10ELNS1_11target_archE1200ELNS1_3gpuE4ELNS1_3repE0EEENS1_30default_config_static_selectorELNS0_4arch9wavefront6targetE1EEEvT1_, .Lfunc_end3592-_ZN7rocprim17ROCPRIM_400000_NS6detail17trampoline_kernelINS0_14default_configENS1_25transform_config_selectorIfLb0EEEZNS1_14transform_implILb0ES3_S5_PfN6thrust23THRUST_200600_302600_NS6detail15normal_iteratorINS9_10device_ptrIfEEEENS0_8identityIfEEEE10hipError_tT2_T3_mT4_P12ihipStream_tbEUlT_E_NS1_11comp_targetILNS1_3genE10ELNS1_11target_archE1200ELNS1_3gpuE4ELNS1_3repE0EEENS1_30default_config_static_selectorELNS0_4arch9wavefront6targetE1EEEvT1_
                                        ; -- End function
	.section	.AMDGPU.csdata,"",@progbits
; Kernel info:
; codeLenInByte = 0
; NumSgprs: 4
; NumVgprs: 0
; NumAgprs: 0
; TotalNumVgprs: 0
; ScratchSize: 0
; MemoryBound: 0
; FloatMode: 240
; IeeeMode: 1
; LDSByteSize: 0 bytes/workgroup (compile time only)
; SGPRBlocks: 0
; VGPRBlocks: 0
; NumSGPRsForWavesPerEU: 4
; NumVGPRsForWavesPerEU: 1
; AccumOffset: 4
; Occupancy: 8
; WaveLimiterHint : 0
; COMPUTE_PGM_RSRC2:SCRATCH_EN: 0
; COMPUTE_PGM_RSRC2:USER_SGPR: 6
; COMPUTE_PGM_RSRC2:TRAP_HANDLER: 0
; COMPUTE_PGM_RSRC2:TGID_X_EN: 1
; COMPUTE_PGM_RSRC2:TGID_Y_EN: 0
; COMPUTE_PGM_RSRC2:TGID_Z_EN: 0
; COMPUTE_PGM_RSRC2:TIDIG_COMP_CNT: 0
; COMPUTE_PGM_RSRC3_GFX90A:ACCUM_OFFSET: 0
; COMPUTE_PGM_RSRC3_GFX90A:TG_SPLIT: 0
	.section	.text._ZN7rocprim17ROCPRIM_400000_NS6detail17trampoline_kernelINS0_14default_configENS1_25transform_config_selectorIfLb0EEEZNS1_14transform_implILb0ES3_S5_PfN6thrust23THRUST_200600_302600_NS6detail15normal_iteratorINS9_10device_ptrIfEEEENS0_8identityIfEEEE10hipError_tT2_T3_mT4_P12ihipStream_tbEUlT_E_NS1_11comp_targetILNS1_3genE9ELNS1_11target_archE1100ELNS1_3gpuE3ELNS1_3repE0EEENS1_30default_config_static_selectorELNS0_4arch9wavefront6targetE1EEEvT1_,"axG",@progbits,_ZN7rocprim17ROCPRIM_400000_NS6detail17trampoline_kernelINS0_14default_configENS1_25transform_config_selectorIfLb0EEEZNS1_14transform_implILb0ES3_S5_PfN6thrust23THRUST_200600_302600_NS6detail15normal_iteratorINS9_10device_ptrIfEEEENS0_8identityIfEEEE10hipError_tT2_T3_mT4_P12ihipStream_tbEUlT_E_NS1_11comp_targetILNS1_3genE9ELNS1_11target_archE1100ELNS1_3gpuE3ELNS1_3repE0EEENS1_30default_config_static_selectorELNS0_4arch9wavefront6targetE1EEEvT1_,comdat
	.protected	_ZN7rocprim17ROCPRIM_400000_NS6detail17trampoline_kernelINS0_14default_configENS1_25transform_config_selectorIfLb0EEEZNS1_14transform_implILb0ES3_S5_PfN6thrust23THRUST_200600_302600_NS6detail15normal_iteratorINS9_10device_ptrIfEEEENS0_8identityIfEEEE10hipError_tT2_T3_mT4_P12ihipStream_tbEUlT_E_NS1_11comp_targetILNS1_3genE9ELNS1_11target_archE1100ELNS1_3gpuE3ELNS1_3repE0EEENS1_30default_config_static_selectorELNS0_4arch9wavefront6targetE1EEEvT1_ ; -- Begin function _ZN7rocprim17ROCPRIM_400000_NS6detail17trampoline_kernelINS0_14default_configENS1_25transform_config_selectorIfLb0EEEZNS1_14transform_implILb0ES3_S5_PfN6thrust23THRUST_200600_302600_NS6detail15normal_iteratorINS9_10device_ptrIfEEEENS0_8identityIfEEEE10hipError_tT2_T3_mT4_P12ihipStream_tbEUlT_E_NS1_11comp_targetILNS1_3genE9ELNS1_11target_archE1100ELNS1_3gpuE3ELNS1_3repE0EEENS1_30default_config_static_selectorELNS0_4arch9wavefront6targetE1EEEvT1_
	.globl	_ZN7rocprim17ROCPRIM_400000_NS6detail17trampoline_kernelINS0_14default_configENS1_25transform_config_selectorIfLb0EEEZNS1_14transform_implILb0ES3_S5_PfN6thrust23THRUST_200600_302600_NS6detail15normal_iteratorINS9_10device_ptrIfEEEENS0_8identityIfEEEE10hipError_tT2_T3_mT4_P12ihipStream_tbEUlT_E_NS1_11comp_targetILNS1_3genE9ELNS1_11target_archE1100ELNS1_3gpuE3ELNS1_3repE0EEENS1_30default_config_static_selectorELNS0_4arch9wavefront6targetE1EEEvT1_
	.p2align	8
	.type	_ZN7rocprim17ROCPRIM_400000_NS6detail17trampoline_kernelINS0_14default_configENS1_25transform_config_selectorIfLb0EEEZNS1_14transform_implILb0ES3_S5_PfN6thrust23THRUST_200600_302600_NS6detail15normal_iteratorINS9_10device_ptrIfEEEENS0_8identityIfEEEE10hipError_tT2_T3_mT4_P12ihipStream_tbEUlT_E_NS1_11comp_targetILNS1_3genE9ELNS1_11target_archE1100ELNS1_3gpuE3ELNS1_3repE0EEENS1_30default_config_static_selectorELNS0_4arch9wavefront6targetE1EEEvT1_,@function
_ZN7rocprim17ROCPRIM_400000_NS6detail17trampoline_kernelINS0_14default_configENS1_25transform_config_selectorIfLb0EEEZNS1_14transform_implILb0ES3_S5_PfN6thrust23THRUST_200600_302600_NS6detail15normal_iteratorINS9_10device_ptrIfEEEENS0_8identityIfEEEE10hipError_tT2_T3_mT4_P12ihipStream_tbEUlT_E_NS1_11comp_targetILNS1_3genE9ELNS1_11target_archE1100ELNS1_3gpuE3ELNS1_3repE0EEENS1_30default_config_static_selectorELNS0_4arch9wavefront6targetE1EEEvT1_: ; @_ZN7rocprim17ROCPRIM_400000_NS6detail17trampoline_kernelINS0_14default_configENS1_25transform_config_selectorIfLb0EEEZNS1_14transform_implILb0ES3_S5_PfN6thrust23THRUST_200600_302600_NS6detail15normal_iteratorINS9_10device_ptrIfEEEENS0_8identityIfEEEE10hipError_tT2_T3_mT4_P12ihipStream_tbEUlT_E_NS1_11comp_targetILNS1_3genE9ELNS1_11target_archE1100ELNS1_3gpuE3ELNS1_3repE0EEENS1_30default_config_static_selectorELNS0_4arch9wavefront6targetE1EEEvT1_
; %bb.0:
	.section	.rodata,"a",@progbits
	.p2align	6, 0x0
	.amdhsa_kernel _ZN7rocprim17ROCPRIM_400000_NS6detail17trampoline_kernelINS0_14default_configENS1_25transform_config_selectorIfLb0EEEZNS1_14transform_implILb0ES3_S5_PfN6thrust23THRUST_200600_302600_NS6detail15normal_iteratorINS9_10device_ptrIfEEEENS0_8identityIfEEEE10hipError_tT2_T3_mT4_P12ihipStream_tbEUlT_E_NS1_11comp_targetILNS1_3genE9ELNS1_11target_archE1100ELNS1_3gpuE3ELNS1_3repE0EEENS1_30default_config_static_selectorELNS0_4arch9wavefront6targetE1EEEvT1_
		.amdhsa_group_segment_fixed_size 0
		.amdhsa_private_segment_fixed_size 0
		.amdhsa_kernarg_size 40
		.amdhsa_user_sgpr_count 6
		.amdhsa_user_sgpr_private_segment_buffer 1
		.amdhsa_user_sgpr_dispatch_ptr 0
		.amdhsa_user_sgpr_queue_ptr 0
		.amdhsa_user_sgpr_kernarg_segment_ptr 1
		.amdhsa_user_sgpr_dispatch_id 0
		.amdhsa_user_sgpr_flat_scratch_init 0
		.amdhsa_user_sgpr_kernarg_preload_length 0
		.amdhsa_user_sgpr_kernarg_preload_offset 0
		.amdhsa_user_sgpr_private_segment_size 0
		.amdhsa_uses_dynamic_stack 0
		.amdhsa_system_sgpr_private_segment_wavefront_offset 0
		.amdhsa_system_sgpr_workgroup_id_x 1
		.amdhsa_system_sgpr_workgroup_id_y 0
		.amdhsa_system_sgpr_workgroup_id_z 0
		.amdhsa_system_sgpr_workgroup_info 0
		.amdhsa_system_vgpr_workitem_id 0
		.amdhsa_next_free_vgpr 1
		.amdhsa_next_free_sgpr 0
		.amdhsa_accum_offset 4
		.amdhsa_reserve_vcc 0
		.amdhsa_reserve_flat_scratch 0
		.amdhsa_float_round_mode_32 0
		.amdhsa_float_round_mode_16_64 0
		.amdhsa_float_denorm_mode_32 3
		.amdhsa_float_denorm_mode_16_64 3
		.amdhsa_dx10_clamp 1
		.amdhsa_ieee_mode 1
		.amdhsa_fp16_overflow 0
		.amdhsa_tg_split 0
		.amdhsa_exception_fp_ieee_invalid_op 0
		.amdhsa_exception_fp_denorm_src 0
		.amdhsa_exception_fp_ieee_div_zero 0
		.amdhsa_exception_fp_ieee_overflow 0
		.amdhsa_exception_fp_ieee_underflow 0
		.amdhsa_exception_fp_ieee_inexact 0
		.amdhsa_exception_int_div_zero 0
	.end_amdhsa_kernel
	.section	.text._ZN7rocprim17ROCPRIM_400000_NS6detail17trampoline_kernelINS0_14default_configENS1_25transform_config_selectorIfLb0EEEZNS1_14transform_implILb0ES3_S5_PfN6thrust23THRUST_200600_302600_NS6detail15normal_iteratorINS9_10device_ptrIfEEEENS0_8identityIfEEEE10hipError_tT2_T3_mT4_P12ihipStream_tbEUlT_E_NS1_11comp_targetILNS1_3genE9ELNS1_11target_archE1100ELNS1_3gpuE3ELNS1_3repE0EEENS1_30default_config_static_selectorELNS0_4arch9wavefront6targetE1EEEvT1_,"axG",@progbits,_ZN7rocprim17ROCPRIM_400000_NS6detail17trampoline_kernelINS0_14default_configENS1_25transform_config_selectorIfLb0EEEZNS1_14transform_implILb0ES3_S5_PfN6thrust23THRUST_200600_302600_NS6detail15normal_iteratorINS9_10device_ptrIfEEEENS0_8identityIfEEEE10hipError_tT2_T3_mT4_P12ihipStream_tbEUlT_E_NS1_11comp_targetILNS1_3genE9ELNS1_11target_archE1100ELNS1_3gpuE3ELNS1_3repE0EEENS1_30default_config_static_selectorELNS0_4arch9wavefront6targetE1EEEvT1_,comdat
.Lfunc_end3593:
	.size	_ZN7rocprim17ROCPRIM_400000_NS6detail17trampoline_kernelINS0_14default_configENS1_25transform_config_selectorIfLb0EEEZNS1_14transform_implILb0ES3_S5_PfN6thrust23THRUST_200600_302600_NS6detail15normal_iteratorINS9_10device_ptrIfEEEENS0_8identityIfEEEE10hipError_tT2_T3_mT4_P12ihipStream_tbEUlT_E_NS1_11comp_targetILNS1_3genE9ELNS1_11target_archE1100ELNS1_3gpuE3ELNS1_3repE0EEENS1_30default_config_static_selectorELNS0_4arch9wavefront6targetE1EEEvT1_, .Lfunc_end3593-_ZN7rocprim17ROCPRIM_400000_NS6detail17trampoline_kernelINS0_14default_configENS1_25transform_config_selectorIfLb0EEEZNS1_14transform_implILb0ES3_S5_PfN6thrust23THRUST_200600_302600_NS6detail15normal_iteratorINS9_10device_ptrIfEEEENS0_8identityIfEEEE10hipError_tT2_T3_mT4_P12ihipStream_tbEUlT_E_NS1_11comp_targetILNS1_3genE9ELNS1_11target_archE1100ELNS1_3gpuE3ELNS1_3repE0EEENS1_30default_config_static_selectorELNS0_4arch9wavefront6targetE1EEEvT1_
                                        ; -- End function
	.section	.AMDGPU.csdata,"",@progbits
; Kernel info:
; codeLenInByte = 0
; NumSgprs: 4
; NumVgprs: 0
; NumAgprs: 0
; TotalNumVgprs: 0
; ScratchSize: 0
; MemoryBound: 0
; FloatMode: 240
; IeeeMode: 1
; LDSByteSize: 0 bytes/workgroup (compile time only)
; SGPRBlocks: 0
; VGPRBlocks: 0
; NumSGPRsForWavesPerEU: 4
; NumVGPRsForWavesPerEU: 1
; AccumOffset: 4
; Occupancy: 8
; WaveLimiterHint : 0
; COMPUTE_PGM_RSRC2:SCRATCH_EN: 0
; COMPUTE_PGM_RSRC2:USER_SGPR: 6
; COMPUTE_PGM_RSRC2:TRAP_HANDLER: 0
; COMPUTE_PGM_RSRC2:TGID_X_EN: 1
; COMPUTE_PGM_RSRC2:TGID_Y_EN: 0
; COMPUTE_PGM_RSRC2:TGID_Z_EN: 0
; COMPUTE_PGM_RSRC2:TIDIG_COMP_CNT: 0
; COMPUTE_PGM_RSRC3_GFX90A:ACCUM_OFFSET: 0
; COMPUTE_PGM_RSRC3_GFX90A:TG_SPLIT: 0
	.section	.text._ZN7rocprim17ROCPRIM_400000_NS6detail17trampoline_kernelINS0_14default_configENS1_25transform_config_selectorIfLb0EEEZNS1_14transform_implILb0ES3_S5_PfN6thrust23THRUST_200600_302600_NS6detail15normal_iteratorINS9_10device_ptrIfEEEENS0_8identityIfEEEE10hipError_tT2_T3_mT4_P12ihipStream_tbEUlT_E_NS1_11comp_targetILNS1_3genE8ELNS1_11target_archE1030ELNS1_3gpuE2ELNS1_3repE0EEENS1_30default_config_static_selectorELNS0_4arch9wavefront6targetE1EEEvT1_,"axG",@progbits,_ZN7rocprim17ROCPRIM_400000_NS6detail17trampoline_kernelINS0_14default_configENS1_25transform_config_selectorIfLb0EEEZNS1_14transform_implILb0ES3_S5_PfN6thrust23THRUST_200600_302600_NS6detail15normal_iteratorINS9_10device_ptrIfEEEENS0_8identityIfEEEE10hipError_tT2_T3_mT4_P12ihipStream_tbEUlT_E_NS1_11comp_targetILNS1_3genE8ELNS1_11target_archE1030ELNS1_3gpuE2ELNS1_3repE0EEENS1_30default_config_static_selectorELNS0_4arch9wavefront6targetE1EEEvT1_,comdat
	.protected	_ZN7rocprim17ROCPRIM_400000_NS6detail17trampoline_kernelINS0_14default_configENS1_25transform_config_selectorIfLb0EEEZNS1_14transform_implILb0ES3_S5_PfN6thrust23THRUST_200600_302600_NS6detail15normal_iteratorINS9_10device_ptrIfEEEENS0_8identityIfEEEE10hipError_tT2_T3_mT4_P12ihipStream_tbEUlT_E_NS1_11comp_targetILNS1_3genE8ELNS1_11target_archE1030ELNS1_3gpuE2ELNS1_3repE0EEENS1_30default_config_static_selectorELNS0_4arch9wavefront6targetE1EEEvT1_ ; -- Begin function _ZN7rocprim17ROCPRIM_400000_NS6detail17trampoline_kernelINS0_14default_configENS1_25transform_config_selectorIfLb0EEEZNS1_14transform_implILb0ES3_S5_PfN6thrust23THRUST_200600_302600_NS6detail15normal_iteratorINS9_10device_ptrIfEEEENS0_8identityIfEEEE10hipError_tT2_T3_mT4_P12ihipStream_tbEUlT_E_NS1_11comp_targetILNS1_3genE8ELNS1_11target_archE1030ELNS1_3gpuE2ELNS1_3repE0EEENS1_30default_config_static_selectorELNS0_4arch9wavefront6targetE1EEEvT1_
	.globl	_ZN7rocprim17ROCPRIM_400000_NS6detail17trampoline_kernelINS0_14default_configENS1_25transform_config_selectorIfLb0EEEZNS1_14transform_implILb0ES3_S5_PfN6thrust23THRUST_200600_302600_NS6detail15normal_iteratorINS9_10device_ptrIfEEEENS0_8identityIfEEEE10hipError_tT2_T3_mT4_P12ihipStream_tbEUlT_E_NS1_11comp_targetILNS1_3genE8ELNS1_11target_archE1030ELNS1_3gpuE2ELNS1_3repE0EEENS1_30default_config_static_selectorELNS0_4arch9wavefront6targetE1EEEvT1_
	.p2align	8
	.type	_ZN7rocprim17ROCPRIM_400000_NS6detail17trampoline_kernelINS0_14default_configENS1_25transform_config_selectorIfLb0EEEZNS1_14transform_implILb0ES3_S5_PfN6thrust23THRUST_200600_302600_NS6detail15normal_iteratorINS9_10device_ptrIfEEEENS0_8identityIfEEEE10hipError_tT2_T3_mT4_P12ihipStream_tbEUlT_E_NS1_11comp_targetILNS1_3genE8ELNS1_11target_archE1030ELNS1_3gpuE2ELNS1_3repE0EEENS1_30default_config_static_selectorELNS0_4arch9wavefront6targetE1EEEvT1_,@function
_ZN7rocprim17ROCPRIM_400000_NS6detail17trampoline_kernelINS0_14default_configENS1_25transform_config_selectorIfLb0EEEZNS1_14transform_implILb0ES3_S5_PfN6thrust23THRUST_200600_302600_NS6detail15normal_iteratorINS9_10device_ptrIfEEEENS0_8identityIfEEEE10hipError_tT2_T3_mT4_P12ihipStream_tbEUlT_E_NS1_11comp_targetILNS1_3genE8ELNS1_11target_archE1030ELNS1_3gpuE2ELNS1_3repE0EEENS1_30default_config_static_selectorELNS0_4arch9wavefront6targetE1EEEvT1_: ; @_ZN7rocprim17ROCPRIM_400000_NS6detail17trampoline_kernelINS0_14default_configENS1_25transform_config_selectorIfLb0EEEZNS1_14transform_implILb0ES3_S5_PfN6thrust23THRUST_200600_302600_NS6detail15normal_iteratorINS9_10device_ptrIfEEEENS0_8identityIfEEEE10hipError_tT2_T3_mT4_P12ihipStream_tbEUlT_E_NS1_11comp_targetILNS1_3genE8ELNS1_11target_archE1030ELNS1_3gpuE2ELNS1_3repE0EEENS1_30default_config_static_selectorELNS0_4arch9wavefront6targetE1EEEvT1_
; %bb.0:
	.section	.rodata,"a",@progbits
	.p2align	6, 0x0
	.amdhsa_kernel _ZN7rocprim17ROCPRIM_400000_NS6detail17trampoline_kernelINS0_14default_configENS1_25transform_config_selectorIfLb0EEEZNS1_14transform_implILb0ES3_S5_PfN6thrust23THRUST_200600_302600_NS6detail15normal_iteratorINS9_10device_ptrIfEEEENS0_8identityIfEEEE10hipError_tT2_T3_mT4_P12ihipStream_tbEUlT_E_NS1_11comp_targetILNS1_3genE8ELNS1_11target_archE1030ELNS1_3gpuE2ELNS1_3repE0EEENS1_30default_config_static_selectorELNS0_4arch9wavefront6targetE1EEEvT1_
		.amdhsa_group_segment_fixed_size 0
		.amdhsa_private_segment_fixed_size 0
		.amdhsa_kernarg_size 40
		.amdhsa_user_sgpr_count 6
		.amdhsa_user_sgpr_private_segment_buffer 1
		.amdhsa_user_sgpr_dispatch_ptr 0
		.amdhsa_user_sgpr_queue_ptr 0
		.amdhsa_user_sgpr_kernarg_segment_ptr 1
		.amdhsa_user_sgpr_dispatch_id 0
		.amdhsa_user_sgpr_flat_scratch_init 0
		.amdhsa_user_sgpr_kernarg_preload_length 0
		.amdhsa_user_sgpr_kernarg_preload_offset 0
		.amdhsa_user_sgpr_private_segment_size 0
		.amdhsa_uses_dynamic_stack 0
		.amdhsa_system_sgpr_private_segment_wavefront_offset 0
		.amdhsa_system_sgpr_workgroup_id_x 1
		.amdhsa_system_sgpr_workgroup_id_y 0
		.amdhsa_system_sgpr_workgroup_id_z 0
		.amdhsa_system_sgpr_workgroup_info 0
		.amdhsa_system_vgpr_workitem_id 0
		.amdhsa_next_free_vgpr 1
		.amdhsa_next_free_sgpr 0
		.amdhsa_accum_offset 4
		.amdhsa_reserve_vcc 0
		.amdhsa_reserve_flat_scratch 0
		.amdhsa_float_round_mode_32 0
		.amdhsa_float_round_mode_16_64 0
		.amdhsa_float_denorm_mode_32 3
		.amdhsa_float_denorm_mode_16_64 3
		.amdhsa_dx10_clamp 1
		.amdhsa_ieee_mode 1
		.amdhsa_fp16_overflow 0
		.amdhsa_tg_split 0
		.amdhsa_exception_fp_ieee_invalid_op 0
		.amdhsa_exception_fp_denorm_src 0
		.amdhsa_exception_fp_ieee_div_zero 0
		.amdhsa_exception_fp_ieee_overflow 0
		.amdhsa_exception_fp_ieee_underflow 0
		.amdhsa_exception_fp_ieee_inexact 0
		.amdhsa_exception_int_div_zero 0
	.end_amdhsa_kernel
	.section	.text._ZN7rocprim17ROCPRIM_400000_NS6detail17trampoline_kernelINS0_14default_configENS1_25transform_config_selectorIfLb0EEEZNS1_14transform_implILb0ES3_S5_PfN6thrust23THRUST_200600_302600_NS6detail15normal_iteratorINS9_10device_ptrIfEEEENS0_8identityIfEEEE10hipError_tT2_T3_mT4_P12ihipStream_tbEUlT_E_NS1_11comp_targetILNS1_3genE8ELNS1_11target_archE1030ELNS1_3gpuE2ELNS1_3repE0EEENS1_30default_config_static_selectorELNS0_4arch9wavefront6targetE1EEEvT1_,"axG",@progbits,_ZN7rocprim17ROCPRIM_400000_NS6detail17trampoline_kernelINS0_14default_configENS1_25transform_config_selectorIfLb0EEEZNS1_14transform_implILb0ES3_S5_PfN6thrust23THRUST_200600_302600_NS6detail15normal_iteratorINS9_10device_ptrIfEEEENS0_8identityIfEEEE10hipError_tT2_T3_mT4_P12ihipStream_tbEUlT_E_NS1_11comp_targetILNS1_3genE8ELNS1_11target_archE1030ELNS1_3gpuE2ELNS1_3repE0EEENS1_30default_config_static_selectorELNS0_4arch9wavefront6targetE1EEEvT1_,comdat
.Lfunc_end3594:
	.size	_ZN7rocprim17ROCPRIM_400000_NS6detail17trampoline_kernelINS0_14default_configENS1_25transform_config_selectorIfLb0EEEZNS1_14transform_implILb0ES3_S5_PfN6thrust23THRUST_200600_302600_NS6detail15normal_iteratorINS9_10device_ptrIfEEEENS0_8identityIfEEEE10hipError_tT2_T3_mT4_P12ihipStream_tbEUlT_E_NS1_11comp_targetILNS1_3genE8ELNS1_11target_archE1030ELNS1_3gpuE2ELNS1_3repE0EEENS1_30default_config_static_selectorELNS0_4arch9wavefront6targetE1EEEvT1_, .Lfunc_end3594-_ZN7rocprim17ROCPRIM_400000_NS6detail17trampoline_kernelINS0_14default_configENS1_25transform_config_selectorIfLb0EEEZNS1_14transform_implILb0ES3_S5_PfN6thrust23THRUST_200600_302600_NS6detail15normal_iteratorINS9_10device_ptrIfEEEENS0_8identityIfEEEE10hipError_tT2_T3_mT4_P12ihipStream_tbEUlT_E_NS1_11comp_targetILNS1_3genE8ELNS1_11target_archE1030ELNS1_3gpuE2ELNS1_3repE0EEENS1_30default_config_static_selectorELNS0_4arch9wavefront6targetE1EEEvT1_
                                        ; -- End function
	.section	.AMDGPU.csdata,"",@progbits
; Kernel info:
; codeLenInByte = 0
; NumSgprs: 4
; NumVgprs: 0
; NumAgprs: 0
; TotalNumVgprs: 0
; ScratchSize: 0
; MemoryBound: 0
; FloatMode: 240
; IeeeMode: 1
; LDSByteSize: 0 bytes/workgroup (compile time only)
; SGPRBlocks: 0
; VGPRBlocks: 0
; NumSGPRsForWavesPerEU: 4
; NumVGPRsForWavesPerEU: 1
; AccumOffset: 4
; Occupancy: 8
; WaveLimiterHint : 0
; COMPUTE_PGM_RSRC2:SCRATCH_EN: 0
; COMPUTE_PGM_RSRC2:USER_SGPR: 6
; COMPUTE_PGM_RSRC2:TRAP_HANDLER: 0
; COMPUTE_PGM_RSRC2:TGID_X_EN: 1
; COMPUTE_PGM_RSRC2:TGID_Y_EN: 0
; COMPUTE_PGM_RSRC2:TGID_Z_EN: 0
; COMPUTE_PGM_RSRC2:TIDIG_COMP_CNT: 0
; COMPUTE_PGM_RSRC3_GFX90A:ACCUM_OFFSET: 0
; COMPUTE_PGM_RSRC3_GFX90A:TG_SPLIT: 0
	.section	.text._ZN7rocprim17ROCPRIM_400000_NS6detail44device_merge_sort_compile_time_verifier_archINS1_11comp_targetILNS1_3genE0ELNS1_11target_archE4294967295ELNS1_3gpuE0ELNS1_3repE0EEES8_NS0_14default_configES9_NS1_37merge_sort_block_sort_config_selectorIdNS0_10empty_typeEEENS1_38merge_sort_block_merge_config_selectorIdSB_EEEEvv,"axG",@progbits,_ZN7rocprim17ROCPRIM_400000_NS6detail44device_merge_sort_compile_time_verifier_archINS1_11comp_targetILNS1_3genE0ELNS1_11target_archE4294967295ELNS1_3gpuE0ELNS1_3repE0EEES8_NS0_14default_configES9_NS1_37merge_sort_block_sort_config_selectorIdNS0_10empty_typeEEENS1_38merge_sort_block_merge_config_selectorIdSB_EEEEvv,comdat
	.protected	_ZN7rocprim17ROCPRIM_400000_NS6detail44device_merge_sort_compile_time_verifier_archINS1_11comp_targetILNS1_3genE0ELNS1_11target_archE4294967295ELNS1_3gpuE0ELNS1_3repE0EEES8_NS0_14default_configES9_NS1_37merge_sort_block_sort_config_selectorIdNS0_10empty_typeEEENS1_38merge_sort_block_merge_config_selectorIdSB_EEEEvv ; -- Begin function _ZN7rocprim17ROCPRIM_400000_NS6detail44device_merge_sort_compile_time_verifier_archINS1_11comp_targetILNS1_3genE0ELNS1_11target_archE4294967295ELNS1_3gpuE0ELNS1_3repE0EEES8_NS0_14default_configES9_NS1_37merge_sort_block_sort_config_selectorIdNS0_10empty_typeEEENS1_38merge_sort_block_merge_config_selectorIdSB_EEEEvv
	.globl	_ZN7rocprim17ROCPRIM_400000_NS6detail44device_merge_sort_compile_time_verifier_archINS1_11comp_targetILNS1_3genE0ELNS1_11target_archE4294967295ELNS1_3gpuE0ELNS1_3repE0EEES8_NS0_14default_configES9_NS1_37merge_sort_block_sort_config_selectorIdNS0_10empty_typeEEENS1_38merge_sort_block_merge_config_selectorIdSB_EEEEvv
	.p2align	8
	.type	_ZN7rocprim17ROCPRIM_400000_NS6detail44device_merge_sort_compile_time_verifier_archINS1_11comp_targetILNS1_3genE0ELNS1_11target_archE4294967295ELNS1_3gpuE0ELNS1_3repE0EEES8_NS0_14default_configES9_NS1_37merge_sort_block_sort_config_selectorIdNS0_10empty_typeEEENS1_38merge_sort_block_merge_config_selectorIdSB_EEEEvv,@function
_ZN7rocprim17ROCPRIM_400000_NS6detail44device_merge_sort_compile_time_verifier_archINS1_11comp_targetILNS1_3genE0ELNS1_11target_archE4294967295ELNS1_3gpuE0ELNS1_3repE0EEES8_NS0_14default_configES9_NS1_37merge_sort_block_sort_config_selectorIdNS0_10empty_typeEEENS1_38merge_sort_block_merge_config_selectorIdSB_EEEEvv: ; @_ZN7rocprim17ROCPRIM_400000_NS6detail44device_merge_sort_compile_time_verifier_archINS1_11comp_targetILNS1_3genE0ELNS1_11target_archE4294967295ELNS1_3gpuE0ELNS1_3repE0EEES8_NS0_14default_configES9_NS1_37merge_sort_block_sort_config_selectorIdNS0_10empty_typeEEENS1_38merge_sort_block_merge_config_selectorIdSB_EEEEvv
; %bb.0:
	s_endpgm
	.section	.rodata,"a",@progbits
	.p2align	6, 0x0
	.amdhsa_kernel _ZN7rocprim17ROCPRIM_400000_NS6detail44device_merge_sort_compile_time_verifier_archINS1_11comp_targetILNS1_3genE0ELNS1_11target_archE4294967295ELNS1_3gpuE0ELNS1_3repE0EEES8_NS0_14default_configES9_NS1_37merge_sort_block_sort_config_selectorIdNS0_10empty_typeEEENS1_38merge_sort_block_merge_config_selectorIdSB_EEEEvv
		.amdhsa_group_segment_fixed_size 0
		.amdhsa_private_segment_fixed_size 0
		.amdhsa_kernarg_size 0
		.amdhsa_user_sgpr_count 4
		.amdhsa_user_sgpr_private_segment_buffer 1
		.amdhsa_user_sgpr_dispatch_ptr 0
		.amdhsa_user_sgpr_queue_ptr 0
		.amdhsa_user_sgpr_kernarg_segment_ptr 0
		.amdhsa_user_sgpr_dispatch_id 0
		.amdhsa_user_sgpr_flat_scratch_init 0
		.amdhsa_user_sgpr_kernarg_preload_length 0
		.amdhsa_user_sgpr_kernarg_preload_offset 0
		.amdhsa_user_sgpr_private_segment_size 0
		.amdhsa_uses_dynamic_stack 0
		.amdhsa_system_sgpr_private_segment_wavefront_offset 0
		.amdhsa_system_sgpr_workgroup_id_x 1
		.amdhsa_system_sgpr_workgroup_id_y 0
		.amdhsa_system_sgpr_workgroup_id_z 0
		.amdhsa_system_sgpr_workgroup_info 0
		.amdhsa_system_vgpr_workitem_id 0
		.amdhsa_next_free_vgpr 1
		.amdhsa_next_free_sgpr 0
		.amdhsa_accum_offset 4
		.amdhsa_reserve_vcc 0
		.amdhsa_reserve_flat_scratch 0
		.amdhsa_float_round_mode_32 0
		.amdhsa_float_round_mode_16_64 0
		.amdhsa_float_denorm_mode_32 3
		.amdhsa_float_denorm_mode_16_64 3
		.amdhsa_dx10_clamp 1
		.amdhsa_ieee_mode 1
		.amdhsa_fp16_overflow 0
		.amdhsa_tg_split 0
		.amdhsa_exception_fp_ieee_invalid_op 0
		.amdhsa_exception_fp_denorm_src 0
		.amdhsa_exception_fp_ieee_div_zero 0
		.amdhsa_exception_fp_ieee_overflow 0
		.amdhsa_exception_fp_ieee_underflow 0
		.amdhsa_exception_fp_ieee_inexact 0
		.amdhsa_exception_int_div_zero 0
	.end_amdhsa_kernel
	.section	.text._ZN7rocprim17ROCPRIM_400000_NS6detail44device_merge_sort_compile_time_verifier_archINS1_11comp_targetILNS1_3genE0ELNS1_11target_archE4294967295ELNS1_3gpuE0ELNS1_3repE0EEES8_NS0_14default_configES9_NS1_37merge_sort_block_sort_config_selectorIdNS0_10empty_typeEEENS1_38merge_sort_block_merge_config_selectorIdSB_EEEEvv,"axG",@progbits,_ZN7rocprim17ROCPRIM_400000_NS6detail44device_merge_sort_compile_time_verifier_archINS1_11comp_targetILNS1_3genE0ELNS1_11target_archE4294967295ELNS1_3gpuE0ELNS1_3repE0EEES8_NS0_14default_configES9_NS1_37merge_sort_block_sort_config_selectorIdNS0_10empty_typeEEENS1_38merge_sort_block_merge_config_selectorIdSB_EEEEvv,comdat
.Lfunc_end3595:
	.size	_ZN7rocprim17ROCPRIM_400000_NS6detail44device_merge_sort_compile_time_verifier_archINS1_11comp_targetILNS1_3genE0ELNS1_11target_archE4294967295ELNS1_3gpuE0ELNS1_3repE0EEES8_NS0_14default_configES9_NS1_37merge_sort_block_sort_config_selectorIdNS0_10empty_typeEEENS1_38merge_sort_block_merge_config_selectorIdSB_EEEEvv, .Lfunc_end3595-_ZN7rocprim17ROCPRIM_400000_NS6detail44device_merge_sort_compile_time_verifier_archINS1_11comp_targetILNS1_3genE0ELNS1_11target_archE4294967295ELNS1_3gpuE0ELNS1_3repE0EEES8_NS0_14default_configES9_NS1_37merge_sort_block_sort_config_selectorIdNS0_10empty_typeEEENS1_38merge_sort_block_merge_config_selectorIdSB_EEEEvv
                                        ; -- End function
	.section	.AMDGPU.csdata,"",@progbits
; Kernel info:
; codeLenInByte = 4
; NumSgprs: 4
; NumVgprs: 0
; NumAgprs: 0
; TotalNumVgprs: 0
; ScratchSize: 0
; MemoryBound: 0
; FloatMode: 240
; IeeeMode: 1
; LDSByteSize: 0 bytes/workgroup (compile time only)
; SGPRBlocks: 0
; VGPRBlocks: 0
; NumSGPRsForWavesPerEU: 4
; NumVGPRsForWavesPerEU: 1
; AccumOffset: 4
; Occupancy: 8
; WaveLimiterHint : 0
; COMPUTE_PGM_RSRC2:SCRATCH_EN: 0
; COMPUTE_PGM_RSRC2:USER_SGPR: 4
; COMPUTE_PGM_RSRC2:TRAP_HANDLER: 0
; COMPUTE_PGM_RSRC2:TGID_X_EN: 1
; COMPUTE_PGM_RSRC2:TGID_Y_EN: 0
; COMPUTE_PGM_RSRC2:TGID_Z_EN: 0
; COMPUTE_PGM_RSRC2:TIDIG_COMP_CNT: 0
; COMPUTE_PGM_RSRC3_GFX90A:ACCUM_OFFSET: 0
; COMPUTE_PGM_RSRC3_GFX90A:TG_SPLIT: 0
	.section	.text._ZN7rocprim17ROCPRIM_400000_NS6detail44device_merge_sort_compile_time_verifier_archINS1_11comp_targetILNS1_3genE5ELNS1_11target_archE942ELNS1_3gpuE9ELNS1_3repE0EEES8_NS0_14default_configES9_NS1_37merge_sort_block_sort_config_selectorIdNS0_10empty_typeEEENS1_38merge_sort_block_merge_config_selectorIdSB_EEEEvv,"axG",@progbits,_ZN7rocprim17ROCPRIM_400000_NS6detail44device_merge_sort_compile_time_verifier_archINS1_11comp_targetILNS1_3genE5ELNS1_11target_archE942ELNS1_3gpuE9ELNS1_3repE0EEES8_NS0_14default_configES9_NS1_37merge_sort_block_sort_config_selectorIdNS0_10empty_typeEEENS1_38merge_sort_block_merge_config_selectorIdSB_EEEEvv,comdat
	.protected	_ZN7rocprim17ROCPRIM_400000_NS6detail44device_merge_sort_compile_time_verifier_archINS1_11comp_targetILNS1_3genE5ELNS1_11target_archE942ELNS1_3gpuE9ELNS1_3repE0EEES8_NS0_14default_configES9_NS1_37merge_sort_block_sort_config_selectorIdNS0_10empty_typeEEENS1_38merge_sort_block_merge_config_selectorIdSB_EEEEvv ; -- Begin function _ZN7rocprim17ROCPRIM_400000_NS6detail44device_merge_sort_compile_time_verifier_archINS1_11comp_targetILNS1_3genE5ELNS1_11target_archE942ELNS1_3gpuE9ELNS1_3repE0EEES8_NS0_14default_configES9_NS1_37merge_sort_block_sort_config_selectorIdNS0_10empty_typeEEENS1_38merge_sort_block_merge_config_selectorIdSB_EEEEvv
	.globl	_ZN7rocprim17ROCPRIM_400000_NS6detail44device_merge_sort_compile_time_verifier_archINS1_11comp_targetILNS1_3genE5ELNS1_11target_archE942ELNS1_3gpuE9ELNS1_3repE0EEES8_NS0_14default_configES9_NS1_37merge_sort_block_sort_config_selectorIdNS0_10empty_typeEEENS1_38merge_sort_block_merge_config_selectorIdSB_EEEEvv
	.p2align	8
	.type	_ZN7rocprim17ROCPRIM_400000_NS6detail44device_merge_sort_compile_time_verifier_archINS1_11comp_targetILNS1_3genE5ELNS1_11target_archE942ELNS1_3gpuE9ELNS1_3repE0EEES8_NS0_14default_configES9_NS1_37merge_sort_block_sort_config_selectorIdNS0_10empty_typeEEENS1_38merge_sort_block_merge_config_selectorIdSB_EEEEvv,@function
_ZN7rocprim17ROCPRIM_400000_NS6detail44device_merge_sort_compile_time_verifier_archINS1_11comp_targetILNS1_3genE5ELNS1_11target_archE942ELNS1_3gpuE9ELNS1_3repE0EEES8_NS0_14default_configES9_NS1_37merge_sort_block_sort_config_selectorIdNS0_10empty_typeEEENS1_38merge_sort_block_merge_config_selectorIdSB_EEEEvv: ; @_ZN7rocprim17ROCPRIM_400000_NS6detail44device_merge_sort_compile_time_verifier_archINS1_11comp_targetILNS1_3genE5ELNS1_11target_archE942ELNS1_3gpuE9ELNS1_3repE0EEES8_NS0_14default_configES9_NS1_37merge_sort_block_sort_config_selectorIdNS0_10empty_typeEEENS1_38merge_sort_block_merge_config_selectorIdSB_EEEEvv
; %bb.0:
	s_endpgm
	.section	.rodata,"a",@progbits
	.p2align	6, 0x0
	.amdhsa_kernel _ZN7rocprim17ROCPRIM_400000_NS6detail44device_merge_sort_compile_time_verifier_archINS1_11comp_targetILNS1_3genE5ELNS1_11target_archE942ELNS1_3gpuE9ELNS1_3repE0EEES8_NS0_14default_configES9_NS1_37merge_sort_block_sort_config_selectorIdNS0_10empty_typeEEENS1_38merge_sort_block_merge_config_selectorIdSB_EEEEvv
		.amdhsa_group_segment_fixed_size 0
		.amdhsa_private_segment_fixed_size 0
		.amdhsa_kernarg_size 0
		.amdhsa_user_sgpr_count 4
		.amdhsa_user_sgpr_private_segment_buffer 1
		.amdhsa_user_sgpr_dispatch_ptr 0
		.amdhsa_user_sgpr_queue_ptr 0
		.amdhsa_user_sgpr_kernarg_segment_ptr 0
		.amdhsa_user_sgpr_dispatch_id 0
		.amdhsa_user_sgpr_flat_scratch_init 0
		.amdhsa_user_sgpr_kernarg_preload_length 0
		.amdhsa_user_sgpr_kernarg_preload_offset 0
		.amdhsa_user_sgpr_private_segment_size 0
		.amdhsa_uses_dynamic_stack 0
		.amdhsa_system_sgpr_private_segment_wavefront_offset 0
		.amdhsa_system_sgpr_workgroup_id_x 1
		.amdhsa_system_sgpr_workgroup_id_y 0
		.amdhsa_system_sgpr_workgroup_id_z 0
		.amdhsa_system_sgpr_workgroup_info 0
		.amdhsa_system_vgpr_workitem_id 0
		.amdhsa_next_free_vgpr 1
		.amdhsa_next_free_sgpr 0
		.amdhsa_accum_offset 4
		.amdhsa_reserve_vcc 0
		.amdhsa_reserve_flat_scratch 0
		.amdhsa_float_round_mode_32 0
		.amdhsa_float_round_mode_16_64 0
		.amdhsa_float_denorm_mode_32 3
		.amdhsa_float_denorm_mode_16_64 3
		.amdhsa_dx10_clamp 1
		.amdhsa_ieee_mode 1
		.amdhsa_fp16_overflow 0
		.amdhsa_tg_split 0
		.amdhsa_exception_fp_ieee_invalid_op 0
		.amdhsa_exception_fp_denorm_src 0
		.amdhsa_exception_fp_ieee_div_zero 0
		.amdhsa_exception_fp_ieee_overflow 0
		.amdhsa_exception_fp_ieee_underflow 0
		.amdhsa_exception_fp_ieee_inexact 0
		.amdhsa_exception_int_div_zero 0
	.end_amdhsa_kernel
	.section	.text._ZN7rocprim17ROCPRIM_400000_NS6detail44device_merge_sort_compile_time_verifier_archINS1_11comp_targetILNS1_3genE5ELNS1_11target_archE942ELNS1_3gpuE9ELNS1_3repE0EEES8_NS0_14default_configES9_NS1_37merge_sort_block_sort_config_selectorIdNS0_10empty_typeEEENS1_38merge_sort_block_merge_config_selectorIdSB_EEEEvv,"axG",@progbits,_ZN7rocprim17ROCPRIM_400000_NS6detail44device_merge_sort_compile_time_verifier_archINS1_11comp_targetILNS1_3genE5ELNS1_11target_archE942ELNS1_3gpuE9ELNS1_3repE0EEES8_NS0_14default_configES9_NS1_37merge_sort_block_sort_config_selectorIdNS0_10empty_typeEEENS1_38merge_sort_block_merge_config_selectorIdSB_EEEEvv,comdat
.Lfunc_end3596:
	.size	_ZN7rocprim17ROCPRIM_400000_NS6detail44device_merge_sort_compile_time_verifier_archINS1_11comp_targetILNS1_3genE5ELNS1_11target_archE942ELNS1_3gpuE9ELNS1_3repE0EEES8_NS0_14default_configES9_NS1_37merge_sort_block_sort_config_selectorIdNS0_10empty_typeEEENS1_38merge_sort_block_merge_config_selectorIdSB_EEEEvv, .Lfunc_end3596-_ZN7rocprim17ROCPRIM_400000_NS6detail44device_merge_sort_compile_time_verifier_archINS1_11comp_targetILNS1_3genE5ELNS1_11target_archE942ELNS1_3gpuE9ELNS1_3repE0EEES8_NS0_14default_configES9_NS1_37merge_sort_block_sort_config_selectorIdNS0_10empty_typeEEENS1_38merge_sort_block_merge_config_selectorIdSB_EEEEvv
                                        ; -- End function
	.section	.AMDGPU.csdata,"",@progbits
; Kernel info:
; codeLenInByte = 4
; NumSgprs: 4
; NumVgprs: 0
; NumAgprs: 0
; TotalNumVgprs: 0
; ScratchSize: 0
; MemoryBound: 0
; FloatMode: 240
; IeeeMode: 1
; LDSByteSize: 0 bytes/workgroup (compile time only)
; SGPRBlocks: 0
; VGPRBlocks: 0
; NumSGPRsForWavesPerEU: 4
; NumVGPRsForWavesPerEU: 1
; AccumOffset: 4
; Occupancy: 8
; WaveLimiterHint : 0
; COMPUTE_PGM_RSRC2:SCRATCH_EN: 0
; COMPUTE_PGM_RSRC2:USER_SGPR: 4
; COMPUTE_PGM_RSRC2:TRAP_HANDLER: 0
; COMPUTE_PGM_RSRC2:TGID_X_EN: 1
; COMPUTE_PGM_RSRC2:TGID_Y_EN: 0
; COMPUTE_PGM_RSRC2:TGID_Z_EN: 0
; COMPUTE_PGM_RSRC2:TIDIG_COMP_CNT: 0
; COMPUTE_PGM_RSRC3_GFX90A:ACCUM_OFFSET: 0
; COMPUTE_PGM_RSRC3_GFX90A:TG_SPLIT: 0
	.section	.text._ZN7rocprim17ROCPRIM_400000_NS6detail44device_merge_sort_compile_time_verifier_archINS1_11comp_targetILNS1_3genE4ELNS1_11target_archE910ELNS1_3gpuE8ELNS1_3repE0EEES8_NS0_14default_configES9_NS1_37merge_sort_block_sort_config_selectorIdNS0_10empty_typeEEENS1_38merge_sort_block_merge_config_selectorIdSB_EEEEvv,"axG",@progbits,_ZN7rocprim17ROCPRIM_400000_NS6detail44device_merge_sort_compile_time_verifier_archINS1_11comp_targetILNS1_3genE4ELNS1_11target_archE910ELNS1_3gpuE8ELNS1_3repE0EEES8_NS0_14default_configES9_NS1_37merge_sort_block_sort_config_selectorIdNS0_10empty_typeEEENS1_38merge_sort_block_merge_config_selectorIdSB_EEEEvv,comdat
	.protected	_ZN7rocprim17ROCPRIM_400000_NS6detail44device_merge_sort_compile_time_verifier_archINS1_11comp_targetILNS1_3genE4ELNS1_11target_archE910ELNS1_3gpuE8ELNS1_3repE0EEES8_NS0_14default_configES9_NS1_37merge_sort_block_sort_config_selectorIdNS0_10empty_typeEEENS1_38merge_sort_block_merge_config_selectorIdSB_EEEEvv ; -- Begin function _ZN7rocprim17ROCPRIM_400000_NS6detail44device_merge_sort_compile_time_verifier_archINS1_11comp_targetILNS1_3genE4ELNS1_11target_archE910ELNS1_3gpuE8ELNS1_3repE0EEES8_NS0_14default_configES9_NS1_37merge_sort_block_sort_config_selectorIdNS0_10empty_typeEEENS1_38merge_sort_block_merge_config_selectorIdSB_EEEEvv
	.globl	_ZN7rocprim17ROCPRIM_400000_NS6detail44device_merge_sort_compile_time_verifier_archINS1_11comp_targetILNS1_3genE4ELNS1_11target_archE910ELNS1_3gpuE8ELNS1_3repE0EEES8_NS0_14default_configES9_NS1_37merge_sort_block_sort_config_selectorIdNS0_10empty_typeEEENS1_38merge_sort_block_merge_config_selectorIdSB_EEEEvv
	.p2align	8
	.type	_ZN7rocprim17ROCPRIM_400000_NS6detail44device_merge_sort_compile_time_verifier_archINS1_11comp_targetILNS1_3genE4ELNS1_11target_archE910ELNS1_3gpuE8ELNS1_3repE0EEES8_NS0_14default_configES9_NS1_37merge_sort_block_sort_config_selectorIdNS0_10empty_typeEEENS1_38merge_sort_block_merge_config_selectorIdSB_EEEEvv,@function
_ZN7rocprim17ROCPRIM_400000_NS6detail44device_merge_sort_compile_time_verifier_archINS1_11comp_targetILNS1_3genE4ELNS1_11target_archE910ELNS1_3gpuE8ELNS1_3repE0EEES8_NS0_14default_configES9_NS1_37merge_sort_block_sort_config_selectorIdNS0_10empty_typeEEENS1_38merge_sort_block_merge_config_selectorIdSB_EEEEvv: ; @_ZN7rocprim17ROCPRIM_400000_NS6detail44device_merge_sort_compile_time_verifier_archINS1_11comp_targetILNS1_3genE4ELNS1_11target_archE910ELNS1_3gpuE8ELNS1_3repE0EEES8_NS0_14default_configES9_NS1_37merge_sort_block_sort_config_selectorIdNS0_10empty_typeEEENS1_38merge_sort_block_merge_config_selectorIdSB_EEEEvv
; %bb.0:
	s_endpgm
	.section	.rodata,"a",@progbits
	.p2align	6, 0x0
	.amdhsa_kernel _ZN7rocprim17ROCPRIM_400000_NS6detail44device_merge_sort_compile_time_verifier_archINS1_11comp_targetILNS1_3genE4ELNS1_11target_archE910ELNS1_3gpuE8ELNS1_3repE0EEES8_NS0_14default_configES9_NS1_37merge_sort_block_sort_config_selectorIdNS0_10empty_typeEEENS1_38merge_sort_block_merge_config_selectorIdSB_EEEEvv
		.amdhsa_group_segment_fixed_size 0
		.amdhsa_private_segment_fixed_size 0
		.amdhsa_kernarg_size 0
		.amdhsa_user_sgpr_count 4
		.amdhsa_user_sgpr_private_segment_buffer 1
		.amdhsa_user_sgpr_dispatch_ptr 0
		.amdhsa_user_sgpr_queue_ptr 0
		.amdhsa_user_sgpr_kernarg_segment_ptr 0
		.amdhsa_user_sgpr_dispatch_id 0
		.amdhsa_user_sgpr_flat_scratch_init 0
		.amdhsa_user_sgpr_kernarg_preload_length 0
		.amdhsa_user_sgpr_kernarg_preload_offset 0
		.amdhsa_user_sgpr_private_segment_size 0
		.amdhsa_uses_dynamic_stack 0
		.amdhsa_system_sgpr_private_segment_wavefront_offset 0
		.amdhsa_system_sgpr_workgroup_id_x 1
		.amdhsa_system_sgpr_workgroup_id_y 0
		.amdhsa_system_sgpr_workgroup_id_z 0
		.amdhsa_system_sgpr_workgroup_info 0
		.amdhsa_system_vgpr_workitem_id 0
		.amdhsa_next_free_vgpr 1
		.amdhsa_next_free_sgpr 0
		.amdhsa_accum_offset 4
		.amdhsa_reserve_vcc 0
		.amdhsa_reserve_flat_scratch 0
		.amdhsa_float_round_mode_32 0
		.amdhsa_float_round_mode_16_64 0
		.amdhsa_float_denorm_mode_32 3
		.amdhsa_float_denorm_mode_16_64 3
		.amdhsa_dx10_clamp 1
		.amdhsa_ieee_mode 1
		.amdhsa_fp16_overflow 0
		.amdhsa_tg_split 0
		.amdhsa_exception_fp_ieee_invalid_op 0
		.amdhsa_exception_fp_denorm_src 0
		.amdhsa_exception_fp_ieee_div_zero 0
		.amdhsa_exception_fp_ieee_overflow 0
		.amdhsa_exception_fp_ieee_underflow 0
		.amdhsa_exception_fp_ieee_inexact 0
		.amdhsa_exception_int_div_zero 0
	.end_amdhsa_kernel
	.section	.text._ZN7rocprim17ROCPRIM_400000_NS6detail44device_merge_sort_compile_time_verifier_archINS1_11comp_targetILNS1_3genE4ELNS1_11target_archE910ELNS1_3gpuE8ELNS1_3repE0EEES8_NS0_14default_configES9_NS1_37merge_sort_block_sort_config_selectorIdNS0_10empty_typeEEENS1_38merge_sort_block_merge_config_selectorIdSB_EEEEvv,"axG",@progbits,_ZN7rocprim17ROCPRIM_400000_NS6detail44device_merge_sort_compile_time_verifier_archINS1_11comp_targetILNS1_3genE4ELNS1_11target_archE910ELNS1_3gpuE8ELNS1_3repE0EEES8_NS0_14default_configES9_NS1_37merge_sort_block_sort_config_selectorIdNS0_10empty_typeEEENS1_38merge_sort_block_merge_config_selectorIdSB_EEEEvv,comdat
.Lfunc_end3597:
	.size	_ZN7rocprim17ROCPRIM_400000_NS6detail44device_merge_sort_compile_time_verifier_archINS1_11comp_targetILNS1_3genE4ELNS1_11target_archE910ELNS1_3gpuE8ELNS1_3repE0EEES8_NS0_14default_configES9_NS1_37merge_sort_block_sort_config_selectorIdNS0_10empty_typeEEENS1_38merge_sort_block_merge_config_selectorIdSB_EEEEvv, .Lfunc_end3597-_ZN7rocprim17ROCPRIM_400000_NS6detail44device_merge_sort_compile_time_verifier_archINS1_11comp_targetILNS1_3genE4ELNS1_11target_archE910ELNS1_3gpuE8ELNS1_3repE0EEES8_NS0_14default_configES9_NS1_37merge_sort_block_sort_config_selectorIdNS0_10empty_typeEEENS1_38merge_sort_block_merge_config_selectorIdSB_EEEEvv
                                        ; -- End function
	.section	.AMDGPU.csdata,"",@progbits
; Kernel info:
; codeLenInByte = 4
; NumSgprs: 4
; NumVgprs: 0
; NumAgprs: 0
; TotalNumVgprs: 0
; ScratchSize: 0
; MemoryBound: 0
; FloatMode: 240
; IeeeMode: 1
; LDSByteSize: 0 bytes/workgroup (compile time only)
; SGPRBlocks: 0
; VGPRBlocks: 0
; NumSGPRsForWavesPerEU: 4
; NumVGPRsForWavesPerEU: 1
; AccumOffset: 4
; Occupancy: 8
; WaveLimiterHint : 0
; COMPUTE_PGM_RSRC2:SCRATCH_EN: 0
; COMPUTE_PGM_RSRC2:USER_SGPR: 4
; COMPUTE_PGM_RSRC2:TRAP_HANDLER: 0
; COMPUTE_PGM_RSRC2:TGID_X_EN: 1
; COMPUTE_PGM_RSRC2:TGID_Y_EN: 0
; COMPUTE_PGM_RSRC2:TGID_Z_EN: 0
; COMPUTE_PGM_RSRC2:TIDIG_COMP_CNT: 0
; COMPUTE_PGM_RSRC3_GFX90A:ACCUM_OFFSET: 0
; COMPUTE_PGM_RSRC3_GFX90A:TG_SPLIT: 0
	.section	.text._ZN7rocprim17ROCPRIM_400000_NS6detail44device_merge_sort_compile_time_verifier_archINS1_11comp_targetILNS1_3genE3ELNS1_11target_archE908ELNS1_3gpuE7ELNS1_3repE0EEES8_NS0_14default_configES9_NS1_37merge_sort_block_sort_config_selectorIdNS0_10empty_typeEEENS1_38merge_sort_block_merge_config_selectorIdSB_EEEEvv,"axG",@progbits,_ZN7rocprim17ROCPRIM_400000_NS6detail44device_merge_sort_compile_time_verifier_archINS1_11comp_targetILNS1_3genE3ELNS1_11target_archE908ELNS1_3gpuE7ELNS1_3repE0EEES8_NS0_14default_configES9_NS1_37merge_sort_block_sort_config_selectorIdNS0_10empty_typeEEENS1_38merge_sort_block_merge_config_selectorIdSB_EEEEvv,comdat
	.protected	_ZN7rocprim17ROCPRIM_400000_NS6detail44device_merge_sort_compile_time_verifier_archINS1_11comp_targetILNS1_3genE3ELNS1_11target_archE908ELNS1_3gpuE7ELNS1_3repE0EEES8_NS0_14default_configES9_NS1_37merge_sort_block_sort_config_selectorIdNS0_10empty_typeEEENS1_38merge_sort_block_merge_config_selectorIdSB_EEEEvv ; -- Begin function _ZN7rocprim17ROCPRIM_400000_NS6detail44device_merge_sort_compile_time_verifier_archINS1_11comp_targetILNS1_3genE3ELNS1_11target_archE908ELNS1_3gpuE7ELNS1_3repE0EEES8_NS0_14default_configES9_NS1_37merge_sort_block_sort_config_selectorIdNS0_10empty_typeEEENS1_38merge_sort_block_merge_config_selectorIdSB_EEEEvv
	.globl	_ZN7rocprim17ROCPRIM_400000_NS6detail44device_merge_sort_compile_time_verifier_archINS1_11comp_targetILNS1_3genE3ELNS1_11target_archE908ELNS1_3gpuE7ELNS1_3repE0EEES8_NS0_14default_configES9_NS1_37merge_sort_block_sort_config_selectorIdNS0_10empty_typeEEENS1_38merge_sort_block_merge_config_selectorIdSB_EEEEvv
	.p2align	8
	.type	_ZN7rocprim17ROCPRIM_400000_NS6detail44device_merge_sort_compile_time_verifier_archINS1_11comp_targetILNS1_3genE3ELNS1_11target_archE908ELNS1_3gpuE7ELNS1_3repE0EEES8_NS0_14default_configES9_NS1_37merge_sort_block_sort_config_selectorIdNS0_10empty_typeEEENS1_38merge_sort_block_merge_config_selectorIdSB_EEEEvv,@function
_ZN7rocprim17ROCPRIM_400000_NS6detail44device_merge_sort_compile_time_verifier_archINS1_11comp_targetILNS1_3genE3ELNS1_11target_archE908ELNS1_3gpuE7ELNS1_3repE0EEES8_NS0_14default_configES9_NS1_37merge_sort_block_sort_config_selectorIdNS0_10empty_typeEEENS1_38merge_sort_block_merge_config_selectorIdSB_EEEEvv: ; @_ZN7rocprim17ROCPRIM_400000_NS6detail44device_merge_sort_compile_time_verifier_archINS1_11comp_targetILNS1_3genE3ELNS1_11target_archE908ELNS1_3gpuE7ELNS1_3repE0EEES8_NS0_14default_configES9_NS1_37merge_sort_block_sort_config_selectorIdNS0_10empty_typeEEENS1_38merge_sort_block_merge_config_selectorIdSB_EEEEvv
; %bb.0:
	s_endpgm
	.section	.rodata,"a",@progbits
	.p2align	6, 0x0
	.amdhsa_kernel _ZN7rocprim17ROCPRIM_400000_NS6detail44device_merge_sort_compile_time_verifier_archINS1_11comp_targetILNS1_3genE3ELNS1_11target_archE908ELNS1_3gpuE7ELNS1_3repE0EEES8_NS0_14default_configES9_NS1_37merge_sort_block_sort_config_selectorIdNS0_10empty_typeEEENS1_38merge_sort_block_merge_config_selectorIdSB_EEEEvv
		.amdhsa_group_segment_fixed_size 0
		.amdhsa_private_segment_fixed_size 0
		.amdhsa_kernarg_size 0
		.amdhsa_user_sgpr_count 4
		.amdhsa_user_sgpr_private_segment_buffer 1
		.amdhsa_user_sgpr_dispatch_ptr 0
		.amdhsa_user_sgpr_queue_ptr 0
		.amdhsa_user_sgpr_kernarg_segment_ptr 0
		.amdhsa_user_sgpr_dispatch_id 0
		.amdhsa_user_sgpr_flat_scratch_init 0
		.amdhsa_user_sgpr_kernarg_preload_length 0
		.amdhsa_user_sgpr_kernarg_preload_offset 0
		.amdhsa_user_sgpr_private_segment_size 0
		.amdhsa_uses_dynamic_stack 0
		.amdhsa_system_sgpr_private_segment_wavefront_offset 0
		.amdhsa_system_sgpr_workgroup_id_x 1
		.amdhsa_system_sgpr_workgroup_id_y 0
		.amdhsa_system_sgpr_workgroup_id_z 0
		.amdhsa_system_sgpr_workgroup_info 0
		.amdhsa_system_vgpr_workitem_id 0
		.amdhsa_next_free_vgpr 1
		.amdhsa_next_free_sgpr 0
		.amdhsa_accum_offset 4
		.amdhsa_reserve_vcc 0
		.amdhsa_reserve_flat_scratch 0
		.amdhsa_float_round_mode_32 0
		.amdhsa_float_round_mode_16_64 0
		.amdhsa_float_denorm_mode_32 3
		.amdhsa_float_denorm_mode_16_64 3
		.amdhsa_dx10_clamp 1
		.amdhsa_ieee_mode 1
		.amdhsa_fp16_overflow 0
		.amdhsa_tg_split 0
		.amdhsa_exception_fp_ieee_invalid_op 0
		.amdhsa_exception_fp_denorm_src 0
		.amdhsa_exception_fp_ieee_div_zero 0
		.amdhsa_exception_fp_ieee_overflow 0
		.amdhsa_exception_fp_ieee_underflow 0
		.amdhsa_exception_fp_ieee_inexact 0
		.amdhsa_exception_int_div_zero 0
	.end_amdhsa_kernel
	.section	.text._ZN7rocprim17ROCPRIM_400000_NS6detail44device_merge_sort_compile_time_verifier_archINS1_11comp_targetILNS1_3genE3ELNS1_11target_archE908ELNS1_3gpuE7ELNS1_3repE0EEES8_NS0_14default_configES9_NS1_37merge_sort_block_sort_config_selectorIdNS0_10empty_typeEEENS1_38merge_sort_block_merge_config_selectorIdSB_EEEEvv,"axG",@progbits,_ZN7rocprim17ROCPRIM_400000_NS6detail44device_merge_sort_compile_time_verifier_archINS1_11comp_targetILNS1_3genE3ELNS1_11target_archE908ELNS1_3gpuE7ELNS1_3repE0EEES8_NS0_14default_configES9_NS1_37merge_sort_block_sort_config_selectorIdNS0_10empty_typeEEENS1_38merge_sort_block_merge_config_selectorIdSB_EEEEvv,comdat
.Lfunc_end3598:
	.size	_ZN7rocprim17ROCPRIM_400000_NS6detail44device_merge_sort_compile_time_verifier_archINS1_11comp_targetILNS1_3genE3ELNS1_11target_archE908ELNS1_3gpuE7ELNS1_3repE0EEES8_NS0_14default_configES9_NS1_37merge_sort_block_sort_config_selectorIdNS0_10empty_typeEEENS1_38merge_sort_block_merge_config_selectorIdSB_EEEEvv, .Lfunc_end3598-_ZN7rocprim17ROCPRIM_400000_NS6detail44device_merge_sort_compile_time_verifier_archINS1_11comp_targetILNS1_3genE3ELNS1_11target_archE908ELNS1_3gpuE7ELNS1_3repE0EEES8_NS0_14default_configES9_NS1_37merge_sort_block_sort_config_selectorIdNS0_10empty_typeEEENS1_38merge_sort_block_merge_config_selectorIdSB_EEEEvv
                                        ; -- End function
	.section	.AMDGPU.csdata,"",@progbits
; Kernel info:
; codeLenInByte = 4
; NumSgprs: 4
; NumVgprs: 0
; NumAgprs: 0
; TotalNumVgprs: 0
; ScratchSize: 0
; MemoryBound: 0
; FloatMode: 240
; IeeeMode: 1
; LDSByteSize: 0 bytes/workgroup (compile time only)
; SGPRBlocks: 0
; VGPRBlocks: 0
; NumSGPRsForWavesPerEU: 4
; NumVGPRsForWavesPerEU: 1
; AccumOffset: 4
; Occupancy: 8
; WaveLimiterHint : 0
; COMPUTE_PGM_RSRC2:SCRATCH_EN: 0
; COMPUTE_PGM_RSRC2:USER_SGPR: 4
; COMPUTE_PGM_RSRC2:TRAP_HANDLER: 0
; COMPUTE_PGM_RSRC2:TGID_X_EN: 1
; COMPUTE_PGM_RSRC2:TGID_Y_EN: 0
; COMPUTE_PGM_RSRC2:TGID_Z_EN: 0
; COMPUTE_PGM_RSRC2:TIDIG_COMP_CNT: 0
; COMPUTE_PGM_RSRC3_GFX90A:ACCUM_OFFSET: 0
; COMPUTE_PGM_RSRC3_GFX90A:TG_SPLIT: 0
	.section	.text._ZN7rocprim17ROCPRIM_400000_NS6detail44device_merge_sort_compile_time_verifier_archINS1_11comp_targetILNS1_3genE2ELNS1_11target_archE906ELNS1_3gpuE6ELNS1_3repE0EEES8_NS0_14default_configES9_NS1_37merge_sort_block_sort_config_selectorIdNS0_10empty_typeEEENS1_38merge_sort_block_merge_config_selectorIdSB_EEEEvv,"axG",@progbits,_ZN7rocprim17ROCPRIM_400000_NS6detail44device_merge_sort_compile_time_verifier_archINS1_11comp_targetILNS1_3genE2ELNS1_11target_archE906ELNS1_3gpuE6ELNS1_3repE0EEES8_NS0_14default_configES9_NS1_37merge_sort_block_sort_config_selectorIdNS0_10empty_typeEEENS1_38merge_sort_block_merge_config_selectorIdSB_EEEEvv,comdat
	.protected	_ZN7rocprim17ROCPRIM_400000_NS6detail44device_merge_sort_compile_time_verifier_archINS1_11comp_targetILNS1_3genE2ELNS1_11target_archE906ELNS1_3gpuE6ELNS1_3repE0EEES8_NS0_14default_configES9_NS1_37merge_sort_block_sort_config_selectorIdNS0_10empty_typeEEENS1_38merge_sort_block_merge_config_selectorIdSB_EEEEvv ; -- Begin function _ZN7rocprim17ROCPRIM_400000_NS6detail44device_merge_sort_compile_time_verifier_archINS1_11comp_targetILNS1_3genE2ELNS1_11target_archE906ELNS1_3gpuE6ELNS1_3repE0EEES8_NS0_14default_configES9_NS1_37merge_sort_block_sort_config_selectorIdNS0_10empty_typeEEENS1_38merge_sort_block_merge_config_selectorIdSB_EEEEvv
	.globl	_ZN7rocprim17ROCPRIM_400000_NS6detail44device_merge_sort_compile_time_verifier_archINS1_11comp_targetILNS1_3genE2ELNS1_11target_archE906ELNS1_3gpuE6ELNS1_3repE0EEES8_NS0_14default_configES9_NS1_37merge_sort_block_sort_config_selectorIdNS0_10empty_typeEEENS1_38merge_sort_block_merge_config_selectorIdSB_EEEEvv
	.p2align	8
	.type	_ZN7rocprim17ROCPRIM_400000_NS6detail44device_merge_sort_compile_time_verifier_archINS1_11comp_targetILNS1_3genE2ELNS1_11target_archE906ELNS1_3gpuE6ELNS1_3repE0EEES8_NS0_14default_configES9_NS1_37merge_sort_block_sort_config_selectorIdNS0_10empty_typeEEENS1_38merge_sort_block_merge_config_selectorIdSB_EEEEvv,@function
_ZN7rocprim17ROCPRIM_400000_NS6detail44device_merge_sort_compile_time_verifier_archINS1_11comp_targetILNS1_3genE2ELNS1_11target_archE906ELNS1_3gpuE6ELNS1_3repE0EEES8_NS0_14default_configES9_NS1_37merge_sort_block_sort_config_selectorIdNS0_10empty_typeEEENS1_38merge_sort_block_merge_config_selectorIdSB_EEEEvv: ; @_ZN7rocprim17ROCPRIM_400000_NS6detail44device_merge_sort_compile_time_verifier_archINS1_11comp_targetILNS1_3genE2ELNS1_11target_archE906ELNS1_3gpuE6ELNS1_3repE0EEES8_NS0_14default_configES9_NS1_37merge_sort_block_sort_config_selectorIdNS0_10empty_typeEEENS1_38merge_sort_block_merge_config_selectorIdSB_EEEEvv
; %bb.0:
	s_endpgm
	.section	.rodata,"a",@progbits
	.p2align	6, 0x0
	.amdhsa_kernel _ZN7rocprim17ROCPRIM_400000_NS6detail44device_merge_sort_compile_time_verifier_archINS1_11comp_targetILNS1_3genE2ELNS1_11target_archE906ELNS1_3gpuE6ELNS1_3repE0EEES8_NS0_14default_configES9_NS1_37merge_sort_block_sort_config_selectorIdNS0_10empty_typeEEENS1_38merge_sort_block_merge_config_selectorIdSB_EEEEvv
		.amdhsa_group_segment_fixed_size 0
		.amdhsa_private_segment_fixed_size 0
		.amdhsa_kernarg_size 0
		.amdhsa_user_sgpr_count 4
		.amdhsa_user_sgpr_private_segment_buffer 1
		.amdhsa_user_sgpr_dispatch_ptr 0
		.amdhsa_user_sgpr_queue_ptr 0
		.amdhsa_user_sgpr_kernarg_segment_ptr 0
		.amdhsa_user_sgpr_dispatch_id 0
		.amdhsa_user_sgpr_flat_scratch_init 0
		.amdhsa_user_sgpr_kernarg_preload_length 0
		.amdhsa_user_sgpr_kernarg_preload_offset 0
		.amdhsa_user_sgpr_private_segment_size 0
		.amdhsa_uses_dynamic_stack 0
		.amdhsa_system_sgpr_private_segment_wavefront_offset 0
		.amdhsa_system_sgpr_workgroup_id_x 1
		.amdhsa_system_sgpr_workgroup_id_y 0
		.amdhsa_system_sgpr_workgroup_id_z 0
		.amdhsa_system_sgpr_workgroup_info 0
		.amdhsa_system_vgpr_workitem_id 0
		.amdhsa_next_free_vgpr 1
		.amdhsa_next_free_sgpr 0
		.amdhsa_accum_offset 4
		.amdhsa_reserve_vcc 0
		.amdhsa_reserve_flat_scratch 0
		.amdhsa_float_round_mode_32 0
		.amdhsa_float_round_mode_16_64 0
		.amdhsa_float_denorm_mode_32 3
		.amdhsa_float_denorm_mode_16_64 3
		.amdhsa_dx10_clamp 1
		.amdhsa_ieee_mode 1
		.amdhsa_fp16_overflow 0
		.amdhsa_tg_split 0
		.amdhsa_exception_fp_ieee_invalid_op 0
		.amdhsa_exception_fp_denorm_src 0
		.amdhsa_exception_fp_ieee_div_zero 0
		.amdhsa_exception_fp_ieee_overflow 0
		.amdhsa_exception_fp_ieee_underflow 0
		.amdhsa_exception_fp_ieee_inexact 0
		.amdhsa_exception_int_div_zero 0
	.end_amdhsa_kernel
	.section	.text._ZN7rocprim17ROCPRIM_400000_NS6detail44device_merge_sort_compile_time_verifier_archINS1_11comp_targetILNS1_3genE2ELNS1_11target_archE906ELNS1_3gpuE6ELNS1_3repE0EEES8_NS0_14default_configES9_NS1_37merge_sort_block_sort_config_selectorIdNS0_10empty_typeEEENS1_38merge_sort_block_merge_config_selectorIdSB_EEEEvv,"axG",@progbits,_ZN7rocprim17ROCPRIM_400000_NS6detail44device_merge_sort_compile_time_verifier_archINS1_11comp_targetILNS1_3genE2ELNS1_11target_archE906ELNS1_3gpuE6ELNS1_3repE0EEES8_NS0_14default_configES9_NS1_37merge_sort_block_sort_config_selectorIdNS0_10empty_typeEEENS1_38merge_sort_block_merge_config_selectorIdSB_EEEEvv,comdat
.Lfunc_end3599:
	.size	_ZN7rocprim17ROCPRIM_400000_NS6detail44device_merge_sort_compile_time_verifier_archINS1_11comp_targetILNS1_3genE2ELNS1_11target_archE906ELNS1_3gpuE6ELNS1_3repE0EEES8_NS0_14default_configES9_NS1_37merge_sort_block_sort_config_selectorIdNS0_10empty_typeEEENS1_38merge_sort_block_merge_config_selectorIdSB_EEEEvv, .Lfunc_end3599-_ZN7rocprim17ROCPRIM_400000_NS6detail44device_merge_sort_compile_time_verifier_archINS1_11comp_targetILNS1_3genE2ELNS1_11target_archE906ELNS1_3gpuE6ELNS1_3repE0EEES8_NS0_14default_configES9_NS1_37merge_sort_block_sort_config_selectorIdNS0_10empty_typeEEENS1_38merge_sort_block_merge_config_selectorIdSB_EEEEvv
                                        ; -- End function
	.section	.AMDGPU.csdata,"",@progbits
; Kernel info:
; codeLenInByte = 4
; NumSgprs: 4
; NumVgprs: 0
; NumAgprs: 0
; TotalNumVgprs: 0
; ScratchSize: 0
; MemoryBound: 0
; FloatMode: 240
; IeeeMode: 1
; LDSByteSize: 0 bytes/workgroup (compile time only)
; SGPRBlocks: 0
; VGPRBlocks: 0
; NumSGPRsForWavesPerEU: 4
; NumVGPRsForWavesPerEU: 1
; AccumOffset: 4
; Occupancy: 8
; WaveLimiterHint : 0
; COMPUTE_PGM_RSRC2:SCRATCH_EN: 0
; COMPUTE_PGM_RSRC2:USER_SGPR: 4
; COMPUTE_PGM_RSRC2:TRAP_HANDLER: 0
; COMPUTE_PGM_RSRC2:TGID_X_EN: 1
; COMPUTE_PGM_RSRC2:TGID_Y_EN: 0
; COMPUTE_PGM_RSRC2:TGID_Z_EN: 0
; COMPUTE_PGM_RSRC2:TIDIG_COMP_CNT: 0
; COMPUTE_PGM_RSRC3_GFX90A:ACCUM_OFFSET: 0
; COMPUTE_PGM_RSRC3_GFX90A:TG_SPLIT: 0
	.section	.text._ZN7rocprim17ROCPRIM_400000_NS6detail44device_merge_sort_compile_time_verifier_archINS1_11comp_targetILNS1_3genE10ELNS1_11target_archE1201ELNS1_3gpuE5ELNS1_3repE0EEES8_NS0_14default_configES9_NS1_37merge_sort_block_sort_config_selectorIdNS0_10empty_typeEEENS1_38merge_sort_block_merge_config_selectorIdSB_EEEEvv,"axG",@progbits,_ZN7rocprim17ROCPRIM_400000_NS6detail44device_merge_sort_compile_time_verifier_archINS1_11comp_targetILNS1_3genE10ELNS1_11target_archE1201ELNS1_3gpuE5ELNS1_3repE0EEES8_NS0_14default_configES9_NS1_37merge_sort_block_sort_config_selectorIdNS0_10empty_typeEEENS1_38merge_sort_block_merge_config_selectorIdSB_EEEEvv,comdat
	.protected	_ZN7rocprim17ROCPRIM_400000_NS6detail44device_merge_sort_compile_time_verifier_archINS1_11comp_targetILNS1_3genE10ELNS1_11target_archE1201ELNS1_3gpuE5ELNS1_3repE0EEES8_NS0_14default_configES9_NS1_37merge_sort_block_sort_config_selectorIdNS0_10empty_typeEEENS1_38merge_sort_block_merge_config_selectorIdSB_EEEEvv ; -- Begin function _ZN7rocprim17ROCPRIM_400000_NS6detail44device_merge_sort_compile_time_verifier_archINS1_11comp_targetILNS1_3genE10ELNS1_11target_archE1201ELNS1_3gpuE5ELNS1_3repE0EEES8_NS0_14default_configES9_NS1_37merge_sort_block_sort_config_selectorIdNS0_10empty_typeEEENS1_38merge_sort_block_merge_config_selectorIdSB_EEEEvv
	.globl	_ZN7rocprim17ROCPRIM_400000_NS6detail44device_merge_sort_compile_time_verifier_archINS1_11comp_targetILNS1_3genE10ELNS1_11target_archE1201ELNS1_3gpuE5ELNS1_3repE0EEES8_NS0_14default_configES9_NS1_37merge_sort_block_sort_config_selectorIdNS0_10empty_typeEEENS1_38merge_sort_block_merge_config_selectorIdSB_EEEEvv
	.p2align	8
	.type	_ZN7rocprim17ROCPRIM_400000_NS6detail44device_merge_sort_compile_time_verifier_archINS1_11comp_targetILNS1_3genE10ELNS1_11target_archE1201ELNS1_3gpuE5ELNS1_3repE0EEES8_NS0_14default_configES9_NS1_37merge_sort_block_sort_config_selectorIdNS0_10empty_typeEEENS1_38merge_sort_block_merge_config_selectorIdSB_EEEEvv,@function
_ZN7rocprim17ROCPRIM_400000_NS6detail44device_merge_sort_compile_time_verifier_archINS1_11comp_targetILNS1_3genE10ELNS1_11target_archE1201ELNS1_3gpuE5ELNS1_3repE0EEES8_NS0_14default_configES9_NS1_37merge_sort_block_sort_config_selectorIdNS0_10empty_typeEEENS1_38merge_sort_block_merge_config_selectorIdSB_EEEEvv: ; @_ZN7rocprim17ROCPRIM_400000_NS6detail44device_merge_sort_compile_time_verifier_archINS1_11comp_targetILNS1_3genE10ELNS1_11target_archE1201ELNS1_3gpuE5ELNS1_3repE0EEES8_NS0_14default_configES9_NS1_37merge_sort_block_sort_config_selectorIdNS0_10empty_typeEEENS1_38merge_sort_block_merge_config_selectorIdSB_EEEEvv
; %bb.0:
	s_endpgm
	.section	.rodata,"a",@progbits
	.p2align	6, 0x0
	.amdhsa_kernel _ZN7rocprim17ROCPRIM_400000_NS6detail44device_merge_sort_compile_time_verifier_archINS1_11comp_targetILNS1_3genE10ELNS1_11target_archE1201ELNS1_3gpuE5ELNS1_3repE0EEES8_NS0_14default_configES9_NS1_37merge_sort_block_sort_config_selectorIdNS0_10empty_typeEEENS1_38merge_sort_block_merge_config_selectorIdSB_EEEEvv
		.amdhsa_group_segment_fixed_size 0
		.amdhsa_private_segment_fixed_size 0
		.amdhsa_kernarg_size 0
		.amdhsa_user_sgpr_count 4
		.amdhsa_user_sgpr_private_segment_buffer 1
		.amdhsa_user_sgpr_dispatch_ptr 0
		.amdhsa_user_sgpr_queue_ptr 0
		.amdhsa_user_sgpr_kernarg_segment_ptr 0
		.amdhsa_user_sgpr_dispatch_id 0
		.amdhsa_user_sgpr_flat_scratch_init 0
		.amdhsa_user_sgpr_kernarg_preload_length 0
		.amdhsa_user_sgpr_kernarg_preload_offset 0
		.amdhsa_user_sgpr_private_segment_size 0
		.amdhsa_uses_dynamic_stack 0
		.amdhsa_system_sgpr_private_segment_wavefront_offset 0
		.amdhsa_system_sgpr_workgroup_id_x 1
		.amdhsa_system_sgpr_workgroup_id_y 0
		.amdhsa_system_sgpr_workgroup_id_z 0
		.amdhsa_system_sgpr_workgroup_info 0
		.amdhsa_system_vgpr_workitem_id 0
		.amdhsa_next_free_vgpr 1
		.amdhsa_next_free_sgpr 0
		.amdhsa_accum_offset 4
		.amdhsa_reserve_vcc 0
		.amdhsa_reserve_flat_scratch 0
		.amdhsa_float_round_mode_32 0
		.amdhsa_float_round_mode_16_64 0
		.amdhsa_float_denorm_mode_32 3
		.amdhsa_float_denorm_mode_16_64 3
		.amdhsa_dx10_clamp 1
		.amdhsa_ieee_mode 1
		.amdhsa_fp16_overflow 0
		.amdhsa_tg_split 0
		.amdhsa_exception_fp_ieee_invalid_op 0
		.amdhsa_exception_fp_denorm_src 0
		.amdhsa_exception_fp_ieee_div_zero 0
		.amdhsa_exception_fp_ieee_overflow 0
		.amdhsa_exception_fp_ieee_underflow 0
		.amdhsa_exception_fp_ieee_inexact 0
		.amdhsa_exception_int_div_zero 0
	.end_amdhsa_kernel
	.section	.text._ZN7rocprim17ROCPRIM_400000_NS6detail44device_merge_sort_compile_time_verifier_archINS1_11comp_targetILNS1_3genE10ELNS1_11target_archE1201ELNS1_3gpuE5ELNS1_3repE0EEES8_NS0_14default_configES9_NS1_37merge_sort_block_sort_config_selectorIdNS0_10empty_typeEEENS1_38merge_sort_block_merge_config_selectorIdSB_EEEEvv,"axG",@progbits,_ZN7rocprim17ROCPRIM_400000_NS6detail44device_merge_sort_compile_time_verifier_archINS1_11comp_targetILNS1_3genE10ELNS1_11target_archE1201ELNS1_3gpuE5ELNS1_3repE0EEES8_NS0_14default_configES9_NS1_37merge_sort_block_sort_config_selectorIdNS0_10empty_typeEEENS1_38merge_sort_block_merge_config_selectorIdSB_EEEEvv,comdat
.Lfunc_end3600:
	.size	_ZN7rocprim17ROCPRIM_400000_NS6detail44device_merge_sort_compile_time_verifier_archINS1_11comp_targetILNS1_3genE10ELNS1_11target_archE1201ELNS1_3gpuE5ELNS1_3repE0EEES8_NS0_14default_configES9_NS1_37merge_sort_block_sort_config_selectorIdNS0_10empty_typeEEENS1_38merge_sort_block_merge_config_selectorIdSB_EEEEvv, .Lfunc_end3600-_ZN7rocprim17ROCPRIM_400000_NS6detail44device_merge_sort_compile_time_verifier_archINS1_11comp_targetILNS1_3genE10ELNS1_11target_archE1201ELNS1_3gpuE5ELNS1_3repE0EEES8_NS0_14default_configES9_NS1_37merge_sort_block_sort_config_selectorIdNS0_10empty_typeEEENS1_38merge_sort_block_merge_config_selectorIdSB_EEEEvv
                                        ; -- End function
	.section	.AMDGPU.csdata,"",@progbits
; Kernel info:
; codeLenInByte = 4
; NumSgprs: 4
; NumVgprs: 0
; NumAgprs: 0
; TotalNumVgprs: 0
; ScratchSize: 0
; MemoryBound: 0
; FloatMode: 240
; IeeeMode: 1
; LDSByteSize: 0 bytes/workgroup (compile time only)
; SGPRBlocks: 0
; VGPRBlocks: 0
; NumSGPRsForWavesPerEU: 4
; NumVGPRsForWavesPerEU: 1
; AccumOffset: 4
; Occupancy: 8
; WaveLimiterHint : 0
; COMPUTE_PGM_RSRC2:SCRATCH_EN: 0
; COMPUTE_PGM_RSRC2:USER_SGPR: 4
; COMPUTE_PGM_RSRC2:TRAP_HANDLER: 0
; COMPUTE_PGM_RSRC2:TGID_X_EN: 1
; COMPUTE_PGM_RSRC2:TGID_Y_EN: 0
; COMPUTE_PGM_RSRC2:TGID_Z_EN: 0
; COMPUTE_PGM_RSRC2:TIDIG_COMP_CNT: 0
; COMPUTE_PGM_RSRC3_GFX90A:ACCUM_OFFSET: 0
; COMPUTE_PGM_RSRC3_GFX90A:TG_SPLIT: 0
	.section	.text._ZN7rocprim17ROCPRIM_400000_NS6detail44device_merge_sort_compile_time_verifier_archINS1_11comp_targetILNS1_3genE10ELNS1_11target_archE1200ELNS1_3gpuE4ELNS1_3repE0EEENS3_ILS4_10ELS5_1201ELS6_5ELS7_0EEENS0_14default_configESA_NS1_37merge_sort_block_sort_config_selectorIdNS0_10empty_typeEEENS1_38merge_sort_block_merge_config_selectorIdSC_EEEEvv,"axG",@progbits,_ZN7rocprim17ROCPRIM_400000_NS6detail44device_merge_sort_compile_time_verifier_archINS1_11comp_targetILNS1_3genE10ELNS1_11target_archE1200ELNS1_3gpuE4ELNS1_3repE0EEENS3_ILS4_10ELS5_1201ELS6_5ELS7_0EEENS0_14default_configESA_NS1_37merge_sort_block_sort_config_selectorIdNS0_10empty_typeEEENS1_38merge_sort_block_merge_config_selectorIdSC_EEEEvv,comdat
	.protected	_ZN7rocprim17ROCPRIM_400000_NS6detail44device_merge_sort_compile_time_verifier_archINS1_11comp_targetILNS1_3genE10ELNS1_11target_archE1200ELNS1_3gpuE4ELNS1_3repE0EEENS3_ILS4_10ELS5_1201ELS6_5ELS7_0EEENS0_14default_configESA_NS1_37merge_sort_block_sort_config_selectorIdNS0_10empty_typeEEENS1_38merge_sort_block_merge_config_selectorIdSC_EEEEvv ; -- Begin function _ZN7rocprim17ROCPRIM_400000_NS6detail44device_merge_sort_compile_time_verifier_archINS1_11comp_targetILNS1_3genE10ELNS1_11target_archE1200ELNS1_3gpuE4ELNS1_3repE0EEENS3_ILS4_10ELS5_1201ELS6_5ELS7_0EEENS0_14default_configESA_NS1_37merge_sort_block_sort_config_selectorIdNS0_10empty_typeEEENS1_38merge_sort_block_merge_config_selectorIdSC_EEEEvv
	.globl	_ZN7rocprim17ROCPRIM_400000_NS6detail44device_merge_sort_compile_time_verifier_archINS1_11comp_targetILNS1_3genE10ELNS1_11target_archE1200ELNS1_3gpuE4ELNS1_3repE0EEENS3_ILS4_10ELS5_1201ELS6_5ELS7_0EEENS0_14default_configESA_NS1_37merge_sort_block_sort_config_selectorIdNS0_10empty_typeEEENS1_38merge_sort_block_merge_config_selectorIdSC_EEEEvv
	.p2align	8
	.type	_ZN7rocprim17ROCPRIM_400000_NS6detail44device_merge_sort_compile_time_verifier_archINS1_11comp_targetILNS1_3genE10ELNS1_11target_archE1200ELNS1_3gpuE4ELNS1_3repE0EEENS3_ILS4_10ELS5_1201ELS6_5ELS7_0EEENS0_14default_configESA_NS1_37merge_sort_block_sort_config_selectorIdNS0_10empty_typeEEENS1_38merge_sort_block_merge_config_selectorIdSC_EEEEvv,@function
_ZN7rocprim17ROCPRIM_400000_NS6detail44device_merge_sort_compile_time_verifier_archINS1_11comp_targetILNS1_3genE10ELNS1_11target_archE1200ELNS1_3gpuE4ELNS1_3repE0EEENS3_ILS4_10ELS5_1201ELS6_5ELS7_0EEENS0_14default_configESA_NS1_37merge_sort_block_sort_config_selectorIdNS0_10empty_typeEEENS1_38merge_sort_block_merge_config_selectorIdSC_EEEEvv: ; @_ZN7rocprim17ROCPRIM_400000_NS6detail44device_merge_sort_compile_time_verifier_archINS1_11comp_targetILNS1_3genE10ELNS1_11target_archE1200ELNS1_3gpuE4ELNS1_3repE0EEENS3_ILS4_10ELS5_1201ELS6_5ELS7_0EEENS0_14default_configESA_NS1_37merge_sort_block_sort_config_selectorIdNS0_10empty_typeEEENS1_38merge_sort_block_merge_config_selectorIdSC_EEEEvv
; %bb.0:
	s_endpgm
	.section	.rodata,"a",@progbits
	.p2align	6, 0x0
	.amdhsa_kernel _ZN7rocprim17ROCPRIM_400000_NS6detail44device_merge_sort_compile_time_verifier_archINS1_11comp_targetILNS1_3genE10ELNS1_11target_archE1200ELNS1_3gpuE4ELNS1_3repE0EEENS3_ILS4_10ELS5_1201ELS6_5ELS7_0EEENS0_14default_configESA_NS1_37merge_sort_block_sort_config_selectorIdNS0_10empty_typeEEENS1_38merge_sort_block_merge_config_selectorIdSC_EEEEvv
		.amdhsa_group_segment_fixed_size 0
		.amdhsa_private_segment_fixed_size 0
		.amdhsa_kernarg_size 0
		.amdhsa_user_sgpr_count 4
		.amdhsa_user_sgpr_private_segment_buffer 1
		.amdhsa_user_sgpr_dispatch_ptr 0
		.amdhsa_user_sgpr_queue_ptr 0
		.amdhsa_user_sgpr_kernarg_segment_ptr 0
		.amdhsa_user_sgpr_dispatch_id 0
		.amdhsa_user_sgpr_flat_scratch_init 0
		.amdhsa_user_sgpr_kernarg_preload_length 0
		.amdhsa_user_sgpr_kernarg_preload_offset 0
		.amdhsa_user_sgpr_private_segment_size 0
		.amdhsa_uses_dynamic_stack 0
		.amdhsa_system_sgpr_private_segment_wavefront_offset 0
		.amdhsa_system_sgpr_workgroup_id_x 1
		.amdhsa_system_sgpr_workgroup_id_y 0
		.amdhsa_system_sgpr_workgroup_id_z 0
		.amdhsa_system_sgpr_workgroup_info 0
		.amdhsa_system_vgpr_workitem_id 0
		.amdhsa_next_free_vgpr 1
		.amdhsa_next_free_sgpr 0
		.amdhsa_accum_offset 4
		.amdhsa_reserve_vcc 0
		.amdhsa_reserve_flat_scratch 0
		.amdhsa_float_round_mode_32 0
		.amdhsa_float_round_mode_16_64 0
		.amdhsa_float_denorm_mode_32 3
		.amdhsa_float_denorm_mode_16_64 3
		.amdhsa_dx10_clamp 1
		.amdhsa_ieee_mode 1
		.amdhsa_fp16_overflow 0
		.amdhsa_tg_split 0
		.amdhsa_exception_fp_ieee_invalid_op 0
		.amdhsa_exception_fp_denorm_src 0
		.amdhsa_exception_fp_ieee_div_zero 0
		.amdhsa_exception_fp_ieee_overflow 0
		.amdhsa_exception_fp_ieee_underflow 0
		.amdhsa_exception_fp_ieee_inexact 0
		.amdhsa_exception_int_div_zero 0
	.end_amdhsa_kernel
	.section	.text._ZN7rocprim17ROCPRIM_400000_NS6detail44device_merge_sort_compile_time_verifier_archINS1_11comp_targetILNS1_3genE10ELNS1_11target_archE1200ELNS1_3gpuE4ELNS1_3repE0EEENS3_ILS4_10ELS5_1201ELS6_5ELS7_0EEENS0_14default_configESA_NS1_37merge_sort_block_sort_config_selectorIdNS0_10empty_typeEEENS1_38merge_sort_block_merge_config_selectorIdSC_EEEEvv,"axG",@progbits,_ZN7rocprim17ROCPRIM_400000_NS6detail44device_merge_sort_compile_time_verifier_archINS1_11comp_targetILNS1_3genE10ELNS1_11target_archE1200ELNS1_3gpuE4ELNS1_3repE0EEENS3_ILS4_10ELS5_1201ELS6_5ELS7_0EEENS0_14default_configESA_NS1_37merge_sort_block_sort_config_selectorIdNS0_10empty_typeEEENS1_38merge_sort_block_merge_config_selectorIdSC_EEEEvv,comdat
.Lfunc_end3601:
	.size	_ZN7rocprim17ROCPRIM_400000_NS6detail44device_merge_sort_compile_time_verifier_archINS1_11comp_targetILNS1_3genE10ELNS1_11target_archE1200ELNS1_3gpuE4ELNS1_3repE0EEENS3_ILS4_10ELS5_1201ELS6_5ELS7_0EEENS0_14default_configESA_NS1_37merge_sort_block_sort_config_selectorIdNS0_10empty_typeEEENS1_38merge_sort_block_merge_config_selectorIdSC_EEEEvv, .Lfunc_end3601-_ZN7rocprim17ROCPRIM_400000_NS6detail44device_merge_sort_compile_time_verifier_archINS1_11comp_targetILNS1_3genE10ELNS1_11target_archE1200ELNS1_3gpuE4ELNS1_3repE0EEENS3_ILS4_10ELS5_1201ELS6_5ELS7_0EEENS0_14default_configESA_NS1_37merge_sort_block_sort_config_selectorIdNS0_10empty_typeEEENS1_38merge_sort_block_merge_config_selectorIdSC_EEEEvv
                                        ; -- End function
	.section	.AMDGPU.csdata,"",@progbits
; Kernel info:
; codeLenInByte = 4
; NumSgprs: 4
; NumVgprs: 0
; NumAgprs: 0
; TotalNumVgprs: 0
; ScratchSize: 0
; MemoryBound: 0
; FloatMode: 240
; IeeeMode: 1
; LDSByteSize: 0 bytes/workgroup (compile time only)
; SGPRBlocks: 0
; VGPRBlocks: 0
; NumSGPRsForWavesPerEU: 4
; NumVGPRsForWavesPerEU: 1
; AccumOffset: 4
; Occupancy: 8
; WaveLimiterHint : 0
; COMPUTE_PGM_RSRC2:SCRATCH_EN: 0
; COMPUTE_PGM_RSRC2:USER_SGPR: 4
; COMPUTE_PGM_RSRC2:TRAP_HANDLER: 0
; COMPUTE_PGM_RSRC2:TGID_X_EN: 1
; COMPUTE_PGM_RSRC2:TGID_Y_EN: 0
; COMPUTE_PGM_RSRC2:TGID_Z_EN: 0
; COMPUTE_PGM_RSRC2:TIDIG_COMP_CNT: 0
; COMPUTE_PGM_RSRC3_GFX90A:ACCUM_OFFSET: 0
; COMPUTE_PGM_RSRC3_GFX90A:TG_SPLIT: 0
	.section	.text._ZN7rocprim17ROCPRIM_400000_NS6detail44device_merge_sort_compile_time_verifier_archINS1_11comp_targetILNS1_3genE9ELNS1_11target_archE1100ELNS1_3gpuE3ELNS1_3repE0EEES8_NS0_14default_configES9_NS1_37merge_sort_block_sort_config_selectorIdNS0_10empty_typeEEENS1_38merge_sort_block_merge_config_selectorIdSB_EEEEvv,"axG",@progbits,_ZN7rocprim17ROCPRIM_400000_NS6detail44device_merge_sort_compile_time_verifier_archINS1_11comp_targetILNS1_3genE9ELNS1_11target_archE1100ELNS1_3gpuE3ELNS1_3repE0EEES8_NS0_14default_configES9_NS1_37merge_sort_block_sort_config_selectorIdNS0_10empty_typeEEENS1_38merge_sort_block_merge_config_selectorIdSB_EEEEvv,comdat
	.protected	_ZN7rocprim17ROCPRIM_400000_NS6detail44device_merge_sort_compile_time_verifier_archINS1_11comp_targetILNS1_3genE9ELNS1_11target_archE1100ELNS1_3gpuE3ELNS1_3repE0EEES8_NS0_14default_configES9_NS1_37merge_sort_block_sort_config_selectorIdNS0_10empty_typeEEENS1_38merge_sort_block_merge_config_selectorIdSB_EEEEvv ; -- Begin function _ZN7rocprim17ROCPRIM_400000_NS6detail44device_merge_sort_compile_time_verifier_archINS1_11comp_targetILNS1_3genE9ELNS1_11target_archE1100ELNS1_3gpuE3ELNS1_3repE0EEES8_NS0_14default_configES9_NS1_37merge_sort_block_sort_config_selectorIdNS0_10empty_typeEEENS1_38merge_sort_block_merge_config_selectorIdSB_EEEEvv
	.globl	_ZN7rocprim17ROCPRIM_400000_NS6detail44device_merge_sort_compile_time_verifier_archINS1_11comp_targetILNS1_3genE9ELNS1_11target_archE1100ELNS1_3gpuE3ELNS1_3repE0EEES8_NS0_14default_configES9_NS1_37merge_sort_block_sort_config_selectorIdNS0_10empty_typeEEENS1_38merge_sort_block_merge_config_selectorIdSB_EEEEvv
	.p2align	8
	.type	_ZN7rocprim17ROCPRIM_400000_NS6detail44device_merge_sort_compile_time_verifier_archINS1_11comp_targetILNS1_3genE9ELNS1_11target_archE1100ELNS1_3gpuE3ELNS1_3repE0EEES8_NS0_14default_configES9_NS1_37merge_sort_block_sort_config_selectorIdNS0_10empty_typeEEENS1_38merge_sort_block_merge_config_selectorIdSB_EEEEvv,@function
_ZN7rocprim17ROCPRIM_400000_NS6detail44device_merge_sort_compile_time_verifier_archINS1_11comp_targetILNS1_3genE9ELNS1_11target_archE1100ELNS1_3gpuE3ELNS1_3repE0EEES8_NS0_14default_configES9_NS1_37merge_sort_block_sort_config_selectorIdNS0_10empty_typeEEENS1_38merge_sort_block_merge_config_selectorIdSB_EEEEvv: ; @_ZN7rocprim17ROCPRIM_400000_NS6detail44device_merge_sort_compile_time_verifier_archINS1_11comp_targetILNS1_3genE9ELNS1_11target_archE1100ELNS1_3gpuE3ELNS1_3repE0EEES8_NS0_14default_configES9_NS1_37merge_sort_block_sort_config_selectorIdNS0_10empty_typeEEENS1_38merge_sort_block_merge_config_selectorIdSB_EEEEvv
; %bb.0:
	s_endpgm
	.section	.rodata,"a",@progbits
	.p2align	6, 0x0
	.amdhsa_kernel _ZN7rocprim17ROCPRIM_400000_NS6detail44device_merge_sort_compile_time_verifier_archINS1_11comp_targetILNS1_3genE9ELNS1_11target_archE1100ELNS1_3gpuE3ELNS1_3repE0EEES8_NS0_14default_configES9_NS1_37merge_sort_block_sort_config_selectorIdNS0_10empty_typeEEENS1_38merge_sort_block_merge_config_selectorIdSB_EEEEvv
		.amdhsa_group_segment_fixed_size 0
		.amdhsa_private_segment_fixed_size 0
		.amdhsa_kernarg_size 0
		.amdhsa_user_sgpr_count 4
		.amdhsa_user_sgpr_private_segment_buffer 1
		.amdhsa_user_sgpr_dispatch_ptr 0
		.amdhsa_user_sgpr_queue_ptr 0
		.amdhsa_user_sgpr_kernarg_segment_ptr 0
		.amdhsa_user_sgpr_dispatch_id 0
		.amdhsa_user_sgpr_flat_scratch_init 0
		.amdhsa_user_sgpr_kernarg_preload_length 0
		.amdhsa_user_sgpr_kernarg_preload_offset 0
		.amdhsa_user_sgpr_private_segment_size 0
		.amdhsa_uses_dynamic_stack 0
		.amdhsa_system_sgpr_private_segment_wavefront_offset 0
		.amdhsa_system_sgpr_workgroup_id_x 1
		.amdhsa_system_sgpr_workgroup_id_y 0
		.amdhsa_system_sgpr_workgroup_id_z 0
		.amdhsa_system_sgpr_workgroup_info 0
		.amdhsa_system_vgpr_workitem_id 0
		.amdhsa_next_free_vgpr 1
		.amdhsa_next_free_sgpr 0
		.amdhsa_accum_offset 4
		.amdhsa_reserve_vcc 0
		.amdhsa_reserve_flat_scratch 0
		.amdhsa_float_round_mode_32 0
		.amdhsa_float_round_mode_16_64 0
		.amdhsa_float_denorm_mode_32 3
		.amdhsa_float_denorm_mode_16_64 3
		.amdhsa_dx10_clamp 1
		.amdhsa_ieee_mode 1
		.amdhsa_fp16_overflow 0
		.amdhsa_tg_split 0
		.amdhsa_exception_fp_ieee_invalid_op 0
		.amdhsa_exception_fp_denorm_src 0
		.amdhsa_exception_fp_ieee_div_zero 0
		.amdhsa_exception_fp_ieee_overflow 0
		.amdhsa_exception_fp_ieee_underflow 0
		.amdhsa_exception_fp_ieee_inexact 0
		.amdhsa_exception_int_div_zero 0
	.end_amdhsa_kernel
	.section	.text._ZN7rocprim17ROCPRIM_400000_NS6detail44device_merge_sort_compile_time_verifier_archINS1_11comp_targetILNS1_3genE9ELNS1_11target_archE1100ELNS1_3gpuE3ELNS1_3repE0EEES8_NS0_14default_configES9_NS1_37merge_sort_block_sort_config_selectorIdNS0_10empty_typeEEENS1_38merge_sort_block_merge_config_selectorIdSB_EEEEvv,"axG",@progbits,_ZN7rocprim17ROCPRIM_400000_NS6detail44device_merge_sort_compile_time_verifier_archINS1_11comp_targetILNS1_3genE9ELNS1_11target_archE1100ELNS1_3gpuE3ELNS1_3repE0EEES8_NS0_14default_configES9_NS1_37merge_sort_block_sort_config_selectorIdNS0_10empty_typeEEENS1_38merge_sort_block_merge_config_selectorIdSB_EEEEvv,comdat
.Lfunc_end3602:
	.size	_ZN7rocprim17ROCPRIM_400000_NS6detail44device_merge_sort_compile_time_verifier_archINS1_11comp_targetILNS1_3genE9ELNS1_11target_archE1100ELNS1_3gpuE3ELNS1_3repE0EEES8_NS0_14default_configES9_NS1_37merge_sort_block_sort_config_selectorIdNS0_10empty_typeEEENS1_38merge_sort_block_merge_config_selectorIdSB_EEEEvv, .Lfunc_end3602-_ZN7rocprim17ROCPRIM_400000_NS6detail44device_merge_sort_compile_time_verifier_archINS1_11comp_targetILNS1_3genE9ELNS1_11target_archE1100ELNS1_3gpuE3ELNS1_3repE0EEES8_NS0_14default_configES9_NS1_37merge_sort_block_sort_config_selectorIdNS0_10empty_typeEEENS1_38merge_sort_block_merge_config_selectorIdSB_EEEEvv
                                        ; -- End function
	.section	.AMDGPU.csdata,"",@progbits
; Kernel info:
; codeLenInByte = 4
; NumSgprs: 4
; NumVgprs: 0
; NumAgprs: 0
; TotalNumVgprs: 0
; ScratchSize: 0
; MemoryBound: 0
; FloatMode: 240
; IeeeMode: 1
; LDSByteSize: 0 bytes/workgroup (compile time only)
; SGPRBlocks: 0
; VGPRBlocks: 0
; NumSGPRsForWavesPerEU: 4
; NumVGPRsForWavesPerEU: 1
; AccumOffset: 4
; Occupancy: 8
; WaveLimiterHint : 0
; COMPUTE_PGM_RSRC2:SCRATCH_EN: 0
; COMPUTE_PGM_RSRC2:USER_SGPR: 4
; COMPUTE_PGM_RSRC2:TRAP_HANDLER: 0
; COMPUTE_PGM_RSRC2:TGID_X_EN: 1
; COMPUTE_PGM_RSRC2:TGID_Y_EN: 0
; COMPUTE_PGM_RSRC2:TGID_Z_EN: 0
; COMPUTE_PGM_RSRC2:TIDIG_COMP_CNT: 0
; COMPUTE_PGM_RSRC3_GFX90A:ACCUM_OFFSET: 0
; COMPUTE_PGM_RSRC3_GFX90A:TG_SPLIT: 0
	.section	.text._ZN7rocprim17ROCPRIM_400000_NS6detail44device_merge_sort_compile_time_verifier_archINS1_11comp_targetILNS1_3genE8ELNS1_11target_archE1030ELNS1_3gpuE2ELNS1_3repE0EEES8_NS0_14default_configES9_NS1_37merge_sort_block_sort_config_selectorIdNS0_10empty_typeEEENS1_38merge_sort_block_merge_config_selectorIdSB_EEEEvv,"axG",@progbits,_ZN7rocprim17ROCPRIM_400000_NS6detail44device_merge_sort_compile_time_verifier_archINS1_11comp_targetILNS1_3genE8ELNS1_11target_archE1030ELNS1_3gpuE2ELNS1_3repE0EEES8_NS0_14default_configES9_NS1_37merge_sort_block_sort_config_selectorIdNS0_10empty_typeEEENS1_38merge_sort_block_merge_config_selectorIdSB_EEEEvv,comdat
	.protected	_ZN7rocprim17ROCPRIM_400000_NS6detail44device_merge_sort_compile_time_verifier_archINS1_11comp_targetILNS1_3genE8ELNS1_11target_archE1030ELNS1_3gpuE2ELNS1_3repE0EEES8_NS0_14default_configES9_NS1_37merge_sort_block_sort_config_selectorIdNS0_10empty_typeEEENS1_38merge_sort_block_merge_config_selectorIdSB_EEEEvv ; -- Begin function _ZN7rocprim17ROCPRIM_400000_NS6detail44device_merge_sort_compile_time_verifier_archINS1_11comp_targetILNS1_3genE8ELNS1_11target_archE1030ELNS1_3gpuE2ELNS1_3repE0EEES8_NS0_14default_configES9_NS1_37merge_sort_block_sort_config_selectorIdNS0_10empty_typeEEENS1_38merge_sort_block_merge_config_selectorIdSB_EEEEvv
	.globl	_ZN7rocprim17ROCPRIM_400000_NS6detail44device_merge_sort_compile_time_verifier_archINS1_11comp_targetILNS1_3genE8ELNS1_11target_archE1030ELNS1_3gpuE2ELNS1_3repE0EEES8_NS0_14default_configES9_NS1_37merge_sort_block_sort_config_selectorIdNS0_10empty_typeEEENS1_38merge_sort_block_merge_config_selectorIdSB_EEEEvv
	.p2align	8
	.type	_ZN7rocprim17ROCPRIM_400000_NS6detail44device_merge_sort_compile_time_verifier_archINS1_11comp_targetILNS1_3genE8ELNS1_11target_archE1030ELNS1_3gpuE2ELNS1_3repE0EEES8_NS0_14default_configES9_NS1_37merge_sort_block_sort_config_selectorIdNS0_10empty_typeEEENS1_38merge_sort_block_merge_config_selectorIdSB_EEEEvv,@function
_ZN7rocprim17ROCPRIM_400000_NS6detail44device_merge_sort_compile_time_verifier_archINS1_11comp_targetILNS1_3genE8ELNS1_11target_archE1030ELNS1_3gpuE2ELNS1_3repE0EEES8_NS0_14default_configES9_NS1_37merge_sort_block_sort_config_selectorIdNS0_10empty_typeEEENS1_38merge_sort_block_merge_config_selectorIdSB_EEEEvv: ; @_ZN7rocprim17ROCPRIM_400000_NS6detail44device_merge_sort_compile_time_verifier_archINS1_11comp_targetILNS1_3genE8ELNS1_11target_archE1030ELNS1_3gpuE2ELNS1_3repE0EEES8_NS0_14default_configES9_NS1_37merge_sort_block_sort_config_selectorIdNS0_10empty_typeEEENS1_38merge_sort_block_merge_config_selectorIdSB_EEEEvv
; %bb.0:
	s_endpgm
	.section	.rodata,"a",@progbits
	.p2align	6, 0x0
	.amdhsa_kernel _ZN7rocprim17ROCPRIM_400000_NS6detail44device_merge_sort_compile_time_verifier_archINS1_11comp_targetILNS1_3genE8ELNS1_11target_archE1030ELNS1_3gpuE2ELNS1_3repE0EEES8_NS0_14default_configES9_NS1_37merge_sort_block_sort_config_selectorIdNS0_10empty_typeEEENS1_38merge_sort_block_merge_config_selectorIdSB_EEEEvv
		.amdhsa_group_segment_fixed_size 0
		.amdhsa_private_segment_fixed_size 0
		.amdhsa_kernarg_size 0
		.amdhsa_user_sgpr_count 4
		.amdhsa_user_sgpr_private_segment_buffer 1
		.amdhsa_user_sgpr_dispatch_ptr 0
		.amdhsa_user_sgpr_queue_ptr 0
		.amdhsa_user_sgpr_kernarg_segment_ptr 0
		.amdhsa_user_sgpr_dispatch_id 0
		.amdhsa_user_sgpr_flat_scratch_init 0
		.amdhsa_user_sgpr_kernarg_preload_length 0
		.amdhsa_user_sgpr_kernarg_preload_offset 0
		.amdhsa_user_sgpr_private_segment_size 0
		.amdhsa_uses_dynamic_stack 0
		.amdhsa_system_sgpr_private_segment_wavefront_offset 0
		.amdhsa_system_sgpr_workgroup_id_x 1
		.amdhsa_system_sgpr_workgroup_id_y 0
		.amdhsa_system_sgpr_workgroup_id_z 0
		.amdhsa_system_sgpr_workgroup_info 0
		.amdhsa_system_vgpr_workitem_id 0
		.amdhsa_next_free_vgpr 1
		.amdhsa_next_free_sgpr 0
		.amdhsa_accum_offset 4
		.amdhsa_reserve_vcc 0
		.amdhsa_reserve_flat_scratch 0
		.amdhsa_float_round_mode_32 0
		.amdhsa_float_round_mode_16_64 0
		.amdhsa_float_denorm_mode_32 3
		.amdhsa_float_denorm_mode_16_64 3
		.amdhsa_dx10_clamp 1
		.amdhsa_ieee_mode 1
		.amdhsa_fp16_overflow 0
		.amdhsa_tg_split 0
		.amdhsa_exception_fp_ieee_invalid_op 0
		.amdhsa_exception_fp_denorm_src 0
		.amdhsa_exception_fp_ieee_div_zero 0
		.amdhsa_exception_fp_ieee_overflow 0
		.amdhsa_exception_fp_ieee_underflow 0
		.amdhsa_exception_fp_ieee_inexact 0
		.amdhsa_exception_int_div_zero 0
	.end_amdhsa_kernel
	.section	.text._ZN7rocprim17ROCPRIM_400000_NS6detail44device_merge_sort_compile_time_verifier_archINS1_11comp_targetILNS1_3genE8ELNS1_11target_archE1030ELNS1_3gpuE2ELNS1_3repE0EEES8_NS0_14default_configES9_NS1_37merge_sort_block_sort_config_selectorIdNS0_10empty_typeEEENS1_38merge_sort_block_merge_config_selectorIdSB_EEEEvv,"axG",@progbits,_ZN7rocprim17ROCPRIM_400000_NS6detail44device_merge_sort_compile_time_verifier_archINS1_11comp_targetILNS1_3genE8ELNS1_11target_archE1030ELNS1_3gpuE2ELNS1_3repE0EEES8_NS0_14default_configES9_NS1_37merge_sort_block_sort_config_selectorIdNS0_10empty_typeEEENS1_38merge_sort_block_merge_config_selectorIdSB_EEEEvv,comdat
.Lfunc_end3603:
	.size	_ZN7rocprim17ROCPRIM_400000_NS6detail44device_merge_sort_compile_time_verifier_archINS1_11comp_targetILNS1_3genE8ELNS1_11target_archE1030ELNS1_3gpuE2ELNS1_3repE0EEES8_NS0_14default_configES9_NS1_37merge_sort_block_sort_config_selectorIdNS0_10empty_typeEEENS1_38merge_sort_block_merge_config_selectorIdSB_EEEEvv, .Lfunc_end3603-_ZN7rocprim17ROCPRIM_400000_NS6detail44device_merge_sort_compile_time_verifier_archINS1_11comp_targetILNS1_3genE8ELNS1_11target_archE1030ELNS1_3gpuE2ELNS1_3repE0EEES8_NS0_14default_configES9_NS1_37merge_sort_block_sort_config_selectorIdNS0_10empty_typeEEENS1_38merge_sort_block_merge_config_selectorIdSB_EEEEvv
                                        ; -- End function
	.section	.AMDGPU.csdata,"",@progbits
; Kernel info:
; codeLenInByte = 4
; NumSgprs: 4
; NumVgprs: 0
; NumAgprs: 0
; TotalNumVgprs: 0
; ScratchSize: 0
; MemoryBound: 0
; FloatMode: 240
; IeeeMode: 1
; LDSByteSize: 0 bytes/workgroup (compile time only)
; SGPRBlocks: 0
; VGPRBlocks: 0
; NumSGPRsForWavesPerEU: 4
; NumVGPRsForWavesPerEU: 1
; AccumOffset: 4
; Occupancy: 8
; WaveLimiterHint : 0
; COMPUTE_PGM_RSRC2:SCRATCH_EN: 0
; COMPUTE_PGM_RSRC2:USER_SGPR: 4
; COMPUTE_PGM_RSRC2:TRAP_HANDLER: 0
; COMPUTE_PGM_RSRC2:TGID_X_EN: 1
; COMPUTE_PGM_RSRC2:TGID_Y_EN: 0
; COMPUTE_PGM_RSRC2:TGID_Z_EN: 0
; COMPUTE_PGM_RSRC2:TIDIG_COMP_CNT: 0
; COMPUTE_PGM_RSRC3_GFX90A:ACCUM_OFFSET: 0
; COMPUTE_PGM_RSRC3_GFX90A:TG_SPLIT: 0
	.section	.text._ZN7rocprim17ROCPRIM_400000_NS6detail17trampoline_kernelINS0_14default_configENS1_37merge_sort_block_sort_config_selectorIdNS0_10empty_typeEEEZNS1_21merge_sort_block_sortIS3_N6thrust23THRUST_200600_302600_NS6detail15normal_iteratorINS9_10device_ptrIdEEEESE_PS5_SF_14custom_greaterIdEEE10hipError_tT0_T1_T2_T3_mRjT4_P12ihipStream_tbNS1_7vsmem_tEEUlT_E_NS1_11comp_targetILNS1_3genE0ELNS1_11target_archE4294967295ELNS1_3gpuE0ELNS1_3repE0EEENS1_30default_config_static_selectorELNS0_4arch9wavefront6targetE1EEEvSK_,"axG",@progbits,_ZN7rocprim17ROCPRIM_400000_NS6detail17trampoline_kernelINS0_14default_configENS1_37merge_sort_block_sort_config_selectorIdNS0_10empty_typeEEEZNS1_21merge_sort_block_sortIS3_N6thrust23THRUST_200600_302600_NS6detail15normal_iteratorINS9_10device_ptrIdEEEESE_PS5_SF_14custom_greaterIdEEE10hipError_tT0_T1_T2_T3_mRjT4_P12ihipStream_tbNS1_7vsmem_tEEUlT_E_NS1_11comp_targetILNS1_3genE0ELNS1_11target_archE4294967295ELNS1_3gpuE0ELNS1_3repE0EEENS1_30default_config_static_selectorELNS0_4arch9wavefront6targetE1EEEvSK_,comdat
	.protected	_ZN7rocprim17ROCPRIM_400000_NS6detail17trampoline_kernelINS0_14default_configENS1_37merge_sort_block_sort_config_selectorIdNS0_10empty_typeEEEZNS1_21merge_sort_block_sortIS3_N6thrust23THRUST_200600_302600_NS6detail15normal_iteratorINS9_10device_ptrIdEEEESE_PS5_SF_14custom_greaterIdEEE10hipError_tT0_T1_T2_T3_mRjT4_P12ihipStream_tbNS1_7vsmem_tEEUlT_E_NS1_11comp_targetILNS1_3genE0ELNS1_11target_archE4294967295ELNS1_3gpuE0ELNS1_3repE0EEENS1_30default_config_static_selectorELNS0_4arch9wavefront6targetE1EEEvSK_ ; -- Begin function _ZN7rocprim17ROCPRIM_400000_NS6detail17trampoline_kernelINS0_14default_configENS1_37merge_sort_block_sort_config_selectorIdNS0_10empty_typeEEEZNS1_21merge_sort_block_sortIS3_N6thrust23THRUST_200600_302600_NS6detail15normal_iteratorINS9_10device_ptrIdEEEESE_PS5_SF_14custom_greaterIdEEE10hipError_tT0_T1_T2_T3_mRjT4_P12ihipStream_tbNS1_7vsmem_tEEUlT_E_NS1_11comp_targetILNS1_3genE0ELNS1_11target_archE4294967295ELNS1_3gpuE0ELNS1_3repE0EEENS1_30default_config_static_selectorELNS0_4arch9wavefront6targetE1EEEvSK_
	.globl	_ZN7rocprim17ROCPRIM_400000_NS6detail17trampoline_kernelINS0_14default_configENS1_37merge_sort_block_sort_config_selectorIdNS0_10empty_typeEEEZNS1_21merge_sort_block_sortIS3_N6thrust23THRUST_200600_302600_NS6detail15normal_iteratorINS9_10device_ptrIdEEEESE_PS5_SF_14custom_greaterIdEEE10hipError_tT0_T1_T2_T3_mRjT4_P12ihipStream_tbNS1_7vsmem_tEEUlT_E_NS1_11comp_targetILNS1_3genE0ELNS1_11target_archE4294967295ELNS1_3gpuE0ELNS1_3repE0EEENS1_30default_config_static_selectorELNS0_4arch9wavefront6targetE1EEEvSK_
	.p2align	8
	.type	_ZN7rocprim17ROCPRIM_400000_NS6detail17trampoline_kernelINS0_14default_configENS1_37merge_sort_block_sort_config_selectorIdNS0_10empty_typeEEEZNS1_21merge_sort_block_sortIS3_N6thrust23THRUST_200600_302600_NS6detail15normal_iteratorINS9_10device_ptrIdEEEESE_PS5_SF_14custom_greaterIdEEE10hipError_tT0_T1_T2_T3_mRjT4_P12ihipStream_tbNS1_7vsmem_tEEUlT_E_NS1_11comp_targetILNS1_3genE0ELNS1_11target_archE4294967295ELNS1_3gpuE0ELNS1_3repE0EEENS1_30default_config_static_selectorELNS0_4arch9wavefront6targetE1EEEvSK_,@function
_ZN7rocprim17ROCPRIM_400000_NS6detail17trampoline_kernelINS0_14default_configENS1_37merge_sort_block_sort_config_selectorIdNS0_10empty_typeEEEZNS1_21merge_sort_block_sortIS3_N6thrust23THRUST_200600_302600_NS6detail15normal_iteratorINS9_10device_ptrIdEEEESE_PS5_SF_14custom_greaterIdEEE10hipError_tT0_T1_T2_T3_mRjT4_P12ihipStream_tbNS1_7vsmem_tEEUlT_E_NS1_11comp_targetILNS1_3genE0ELNS1_11target_archE4294967295ELNS1_3gpuE0ELNS1_3repE0EEENS1_30default_config_static_selectorELNS0_4arch9wavefront6targetE1EEEvSK_: ; @_ZN7rocprim17ROCPRIM_400000_NS6detail17trampoline_kernelINS0_14default_configENS1_37merge_sort_block_sort_config_selectorIdNS0_10empty_typeEEEZNS1_21merge_sort_block_sortIS3_N6thrust23THRUST_200600_302600_NS6detail15normal_iteratorINS9_10device_ptrIdEEEESE_PS5_SF_14custom_greaterIdEEE10hipError_tT0_T1_T2_T3_mRjT4_P12ihipStream_tbNS1_7vsmem_tEEUlT_E_NS1_11comp_targetILNS1_3genE0ELNS1_11target_archE4294967295ELNS1_3gpuE0ELNS1_3repE0EEENS1_30default_config_static_selectorELNS0_4arch9wavefront6targetE1EEEvSK_
; %bb.0:
	.section	.rodata,"a",@progbits
	.p2align	6, 0x0
	.amdhsa_kernel _ZN7rocprim17ROCPRIM_400000_NS6detail17trampoline_kernelINS0_14default_configENS1_37merge_sort_block_sort_config_selectorIdNS0_10empty_typeEEEZNS1_21merge_sort_block_sortIS3_N6thrust23THRUST_200600_302600_NS6detail15normal_iteratorINS9_10device_ptrIdEEEESE_PS5_SF_14custom_greaterIdEEE10hipError_tT0_T1_T2_T3_mRjT4_P12ihipStream_tbNS1_7vsmem_tEEUlT_E_NS1_11comp_targetILNS1_3genE0ELNS1_11target_archE4294967295ELNS1_3gpuE0ELNS1_3repE0EEENS1_30default_config_static_selectorELNS0_4arch9wavefront6targetE1EEEvSK_
		.amdhsa_group_segment_fixed_size 0
		.amdhsa_private_segment_fixed_size 0
		.amdhsa_kernarg_size 64
		.amdhsa_user_sgpr_count 6
		.amdhsa_user_sgpr_private_segment_buffer 1
		.amdhsa_user_sgpr_dispatch_ptr 0
		.amdhsa_user_sgpr_queue_ptr 0
		.amdhsa_user_sgpr_kernarg_segment_ptr 1
		.amdhsa_user_sgpr_dispatch_id 0
		.amdhsa_user_sgpr_flat_scratch_init 0
		.amdhsa_user_sgpr_kernarg_preload_length 0
		.amdhsa_user_sgpr_kernarg_preload_offset 0
		.amdhsa_user_sgpr_private_segment_size 0
		.amdhsa_uses_dynamic_stack 0
		.amdhsa_system_sgpr_private_segment_wavefront_offset 0
		.amdhsa_system_sgpr_workgroup_id_x 1
		.amdhsa_system_sgpr_workgroup_id_y 0
		.amdhsa_system_sgpr_workgroup_id_z 0
		.amdhsa_system_sgpr_workgroup_info 0
		.amdhsa_system_vgpr_workitem_id 0
		.amdhsa_next_free_vgpr 1
		.amdhsa_next_free_sgpr 0
		.amdhsa_accum_offset 4
		.amdhsa_reserve_vcc 0
		.amdhsa_reserve_flat_scratch 0
		.amdhsa_float_round_mode_32 0
		.amdhsa_float_round_mode_16_64 0
		.amdhsa_float_denorm_mode_32 3
		.amdhsa_float_denorm_mode_16_64 3
		.amdhsa_dx10_clamp 1
		.amdhsa_ieee_mode 1
		.amdhsa_fp16_overflow 0
		.amdhsa_tg_split 0
		.amdhsa_exception_fp_ieee_invalid_op 0
		.amdhsa_exception_fp_denorm_src 0
		.amdhsa_exception_fp_ieee_div_zero 0
		.amdhsa_exception_fp_ieee_overflow 0
		.amdhsa_exception_fp_ieee_underflow 0
		.amdhsa_exception_fp_ieee_inexact 0
		.amdhsa_exception_int_div_zero 0
	.end_amdhsa_kernel
	.section	.text._ZN7rocprim17ROCPRIM_400000_NS6detail17trampoline_kernelINS0_14default_configENS1_37merge_sort_block_sort_config_selectorIdNS0_10empty_typeEEEZNS1_21merge_sort_block_sortIS3_N6thrust23THRUST_200600_302600_NS6detail15normal_iteratorINS9_10device_ptrIdEEEESE_PS5_SF_14custom_greaterIdEEE10hipError_tT0_T1_T2_T3_mRjT4_P12ihipStream_tbNS1_7vsmem_tEEUlT_E_NS1_11comp_targetILNS1_3genE0ELNS1_11target_archE4294967295ELNS1_3gpuE0ELNS1_3repE0EEENS1_30default_config_static_selectorELNS0_4arch9wavefront6targetE1EEEvSK_,"axG",@progbits,_ZN7rocprim17ROCPRIM_400000_NS6detail17trampoline_kernelINS0_14default_configENS1_37merge_sort_block_sort_config_selectorIdNS0_10empty_typeEEEZNS1_21merge_sort_block_sortIS3_N6thrust23THRUST_200600_302600_NS6detail15normal_iteratorINS9_10device_ptrIdEEEESE_PS5_SF_14custom_greaterIdEEE10hipError_tT0_T1_T2_T3_mRjT4_P12ihipStream_tbNS1_7vsmem_tEEUlT_E_NS1_11comp_targetILNS1_3genE0ELNS1_11target_archE4294967295ELNS1_3gpuE0ELNS1_3repE0EEENS1_30default_config_static_selectorELNS0_4arch9wavefront6targetE1EEEvSK_,comdat
.Lfunc_end3604:
	.size	_ZN7rocprim17ROCPRIM_400000_NS6detail17trampoline_kernelINS0_14default_configENS1_37merge_sort_block_sort_config_selectorIdNS0_10empty_typeEEEZNS1_21merge_sort_block_sortIS3_N6thrust23THRUST_200600_302600_NS6detail15normal_iteratorINS9_10device_ptrIdEEEESE_PS5_SF_14custom_greaterIdEEE10hipError_tT0_T1_T2_T3_mRjT4_P12ihipStream_tbNS1_7vsmem_tEEUlT_E_NS1_11comp_targetILNS1_3genE0ELNS1_11target_archE4294967295ELNS1_3gpuE0ELNS1_3repE0EEENS1_30default_config_static_selectorELNS0_4arch9wavefront6targetE1EEEvSK_, .Lfunc_end3604-_ZN7rocprim17ROCPRIM_400000_NS6detail17trampoline_kernelINS0_14default_configENS1_37merge_sort_block_sort_config_selectorIdNS0_10empty_typeEEEZNS1_21merge_sort_block_sortIS3_N6thrust23THRUST_200600_302600_NS6detail15normal_iteratorINS9_10device_ptrIdEEEESE_PS5_SF_14custom_greaterIdEEE10hipError_tT0_T1_T2_T3_mRjT4_P12ihipStream_tbNS1_7vsmem_tEEUlT_E_NS1_11comp_targetILNS1_3genE0ELNS1_11target_archE4294967295ELNS1_3gpuE0ELNS1_3repE0EEENS1_30default_config_static_selectorELNS0_4arch9wavefront6targetE1EEEvSK_
                                        ; -- End function
	.section	.AMDGPU.csdata,"",@progbits
; Kernel info:
; codeLenInByte = 0
; NumSgprs: 4
; NumVgprs: 0
; NumAgprs: 0
; TotalNumVgprs: 0
; ScratchSize: 0
; MemoryBound: 0
; FloatMode: 240
; IeeeMode: 1
; LDSByteSize: 0 bytes/workgroup (compile time only)
; SGPRBlocks: 0
; VGPRBlocks: 0
; NumSGPRsForWavesPerEU: 4
; NumVGPRsForWavesPerEU: 1
; AccumOffset: 4
; Occupancy: 8
; WaveLimiterHint : 0
; COMPUTE_PGM_RSRC2:SCRATCH_EN: 0
; COMPUTE_PGM_RSRC2:USER_SGPR: 6
; COMPUTE_PGM_RSRC2:TRAP_HANDLER: 0
; COMPUTE_PGM_RSRC2:TGID_X_EN: 1
; COMPUTE_PGM_RSRC2:TGID_Y_EN: 0
; COMPUTE_PGM_RSRC2:TGID_Z_EN: 0
; COMPUTE_PGM_RSRC2:TIDIG_COMP_CNT: 0
; COMPUTE_PGM_RSRC3_GFX90A:ACCUM_OFFSET: 0
; COMPUTE_PGM_RSRC3_GFX90A:TG_SPLIT: 0
	.section	.text._ZN7rocprim17ROCPRIM_400000_NS6detail17trampoline_kernelINS0_14default_configENS1_37merge_sort_block_sort_config_selectorIdNS0_10empty_typeEEEZNS1_21merge_sort_block_sortIS3_N6thrust23THRUST_200600_302600_NS6detail15normal_iteratorINS9_10device_ptrIdEEEESE_PS5_SF_14custom_greaterIdEEE10hipError_tT0_T1_T2_T3_mRjT4_P12ihipStream_tbNS1_7vsmem_tEEUlT_E_NS1_11comp_targetILNS1_3genE5ELNS1_11target_archE942ELNS1_3gpuE9ELNS1_3repE0EEENS1_30default_config_static_selectorELNS0_4arch9wavefront6targetE1EEEvSK_,"axG",@progbits,_ZN7rocprim17ROCPRIM_400000_NS6detail17trampoline_kernelINS0_14default_configENS1_37merge_sort_block_sort_config_selectorIdNS0_10empty_typeEEEZNS1_21merge_sort_block_sortIS3_N6thrust23THRUST_200600_302600_NS6detail15normal_iteratorINS9_10device_ptrIdEEEESE_PS5_SF_14custom_greaterIdEEE10hipError_tT0_T1_T2_T3_mRjT4_P12ihipStream_tbNS1_7vsmem_tEEUlT_E_NS1_11comp_targetILNS1_3genE5ELNS1_11target_archE942ELNS1_3gpuE9ELNS1_3repE0EEENS1_30default_config_static_selectorELNS0_4arch9wavefront6targetE1EEEvSK_,comdat
	.protected	_ZN7rocprim17ROCPRIM_400000_NS6detail17trampoline_kernelINS0_14default_configENS1_37merge_sort_block_sort_config_selectorIdNS0_10empty_typeEEEZNS1_21merge_sort_block_sortIS3_N6thrust23THRUST_200600_302600_NS6detail15normal_iteratorINS9_10device_ptrIdEEEESE_PS5_SF_14custom_greaterIdEEE10hipError_tT0_T1_T2_T3_mRjT4_P12ihipStream_tbNS1_7vsmem_tEEUlT_E_NS1_11comp_targetILNS1_3genE5ELNS1_11target_archE942ELNS1_3gpuE9ELNS1_3repE0EEENS1_30default_config_static_selectorELNS0_4arch9wavefront6targetE1EEEvSK_ ; -- Begin function _ZN7rocprim17ROCPRIM_400000_NS6detail17trampoline_kernelINS0_14default_configENS1_37merge_sort_block_sort_config_selectorIdNS0_10empty_typeEEEZNS1_21merge_sort_block_sortIS3_N6thrust23THRUST_200600_302600_NS6detail15normal_iteratorINS9_10device_ptrIdEEEESE_PS5_SF_14custom_greaterIdEEE10hipError_tT0_T1_T2_T3_mRjT4_P12ihipStream_tbNS1_7vsmem_tEEUlT_E_NS1_11comp_targetILNS1_3genE5ELNS1_11target_archE942ELNS1_3gpuE9ELNS1_3repE0EEENS1_30default_config_static_selectorELNS0_4arch9wavefront6targetE1EEEvSK_
	.globl	_ZN7rocprim17ROCPRIM_400000_NS6detail17trampoline_kernelINS0_14default_configENS1_37merge_sort_block_sort_config_selectorIdNS0_10empty_typeEEEZNS1_21merge_sort_block_sortIS3_N6thrust23THRUST_200600_302600_NS6detail15normal_iteratorINS9_10device_ptrIdEEEESE_PS5_SF_14custom_greaterIdEEE10hipError_tT0_T1_T2_T3_mRjT4_P12ihipStream_tbNS1_7vsmem_tEEUlT_E_NS1_11comp_targetILNS1_3genE5ELNS1_11target_archE942ELNS1_3gpuE9ELNS1_3repE0EEENS1_30default_config_static_selectorELNS0_4arch9wavefront6targetE1EEEvSK_
	.p2align	8
	.type	_ZN7rocprim17ROCPRIM_400000_NS6detail17trampoline_kernelINS0_14default_configENS1_37merge_sort_block_sort_config_selectorIdNS0_10empty_typeEEEZNS1_21merge_sort_block_sortIS3_N6thrust23THRUST_200600_302600_NS6detail15normal_iteratorINS9_10device_ptrIdEEEESE_PS5_SF_14custom_greaterIdEEE10hipError_tT0_T1_T2_T3_mRjT4_P12ihipStream_tbNS1_7vsmem_tEEUlT_E_NS1_11comp_targetILNS1_3genE5ELNS1_11target_archE942ELNS1_3gpuE9ELNS1_3repE0EEENS1_30default_config_static_selectorELNS0_4arch9wavefront6targetE1EEEvSK_,@function
_ZN7rocprim17ROCPRIM_400000_NS6detail17trampoline_kernelINS0_14default_configENS1_37merge_sort_block_sort_config_selectorIdNS0_10empty_typeEEEZNS1_21merge_sort_block_sortIS3_N6thrust23THRUST_200600_302600_NS6detail15normal_iteratorINS9_10device_ptrIdEEEESE_PS5_SF_14custom_greaterIdEEE10hipError_tT0_T1_T2_T3_mRjT4_P12ihipStream_tbNS1_7vsmem_tEEUlT_E_NS1_11comp_targetILNS1_3genE5ELNS1_11target_archE942ELNS1_3gpuE9ELNS1_3repE0EEENS1_30default_config_static_selectorELNS0_4arch9wavefront6targetE1EEEvSK_: ; @_ZN7rocprim17ROCPRIM_400000_NS6detail17trampoline_kernelINS0_14default_configENS1_37merge_sort_block_sort_config_selectorIdNS0_10empty_typeEEEZNS1_21merge_sort_block_sortIS3_N6thrust23THRUST_200600_302600_NS6detail15normal_iteratorINS9_10device_ptrIdEEEESE_PS5_SF_14custom_greaterIdEEE10hipError_tT0_T1_T2_T3_mRjT4_P12ihipStream_tbNS1_7vsmem_tEEUlT_E_NS1_11comp_targetILNS1_3genE5ELNS1_11target_archE942ELNS1_3gpuE9ELNS1_3repE0EEENS1_30default_config_static_selectorELNS0_4arch9wavefront6targetE1EEEvSK_
; %bb.0:
	.section	.rodata,"a",@progbits
	.p2align	6, 0x0
	.amdhsa_kernel _ZN7rocprim17ROCPRIM_400000_NS6detail17trampoline_kernelINS0_14default_configENS1_37merge_sort_block_sort_config_selectorIdNS0_10empty_typeEEEZNS1_21merge_sort_block_sortIS3_N6thrust23THRUST_200600_302600_NS6detail15normal_iteratorINS9_10device_ptrIdEEEESE_PS5_SF_14custom_greaterIdEEE10hipError_tT0_T1_T2_T3_mRjT4_P12ihipStream_tbNS1_7vsmem_tEEUlT_E_NS1_11comp_targetILNS1_3genE5ELNS1_11target_archE942ELNS1_3gpuE9ELNS1_3repE0EEENS1_30default_config_static_selectorELNS0_4arch9wavefront6targetE1EEEvSK_
		.amdhsa_group_segment_fixed_size 0
		.amdhsa_private_segment_fixed_size 0
		.amdhsa_kernarg_size 64
		.amdhsa_user_sgpr_count 6
		.amdhsa_user_sgpr_private_segment_buffer 1
		.amdhsa_user_sgpr_dispatch_ptr 0
		.amdhsa_user_sgpr_queue_ptr 0
		.amdhsa_user_sgpr_kernarg_segment_ptr 1
		.amdhsa_user_sgpr_dispatch_id 0
		.amdhsa_user_sgpr_flat_scratch_init 0
		.amdhsa_user_sgpr_kernarg_preload_length 0
		.amdhsa_user_sgpr_kernarg_preload_offset 0
		.amdhsa_user_sgpr_private_segment_size 0
		.amdhsa_uses_dynamic_stack 0
		.amdhsa_system_sgpr_private_segment_wavefront_offset 0
		.amdhsa_system_sgpr_workgroup_id_x 1
		.amdhsa_system_sgpr_workgroup_id_y 0
		.amdhsa_system_sgpr_workgroup_id_z 0
		.amdhsa_system_sgpr_workgroup_info 0
		.amdhsa_system_vgpr_workitem_id 0
		.amdhsa_next_free_vgpr 1
		.amdhsa_next_free_sgpr 0
		.amdhsa_accum_offset 4
		.amdhsa_reserve_vcc 0
		.amdhsa_reserve_flat_scratch 0
		.amdhsa_float_round_mode_32 0
		.amdhsa_float_round_mode_16_64 0
		.amdhsa_float_denorm_mode_32 3
		.amdhsa_float_denorm_mode_16_64 3
		.amdhsa_dx10_clamp 1
		.amdhsa_ieee_mode 1
		.amdhsa_fp16_overflow 0
		.amdhsa_tg_split 0
		.amdhsa_exception_fp_ieee_invalid_op 0
		.amdhsa_exception_fp_denorm_src 0
		.amdhsa_exception_fp_ieee_div_zero 0
		.amdhsa_exception_fp_ieee_overflow 0
		.amdhsa_exception_fp_ieee_underflow 0
		.amdhsa_exception_fp_ieee_inexact 0
		.amdhsa_exception_int_div_zero 0
	.end_amdhsa_kernel
	.section	.text._ZN7rocprim17ROCPRIM_400000_NS6detail17trampoline_kernelINS0_14default_configENS1_37merge_sort_block_sort_config_selectorIdNS0_10empty_typeEEEZNS1_21merge_sort_block_sortIS3_N6thrust23THRUST_200600_302600_NS6detail15normal_iteratorINS9_10device_ptrIdEEEESE_PS5_SF_14custom_greaterIdEEE10hipError_tT0_T1_T2_T3_mRjT4_P12ihipStream_tbNS1_7vsmem_tEEUlT_E_NS1_11comp_targetILNS1_3genE5ELNS1_11target_archE942ELNS1_3gpuE9ELNS1_3repE0EEENS1_30default_config_static_selectorELNS0_4arch9wavefront6targetE1EEEvSK_,"axG",@progbits,_ZN7rocprim17ROCPRIM_400000_NS6detail17trampoline_kernelINS0_14default_configENS1_37merge_sort_block_sort_config_selectorIdNS0_10empty_typeEEEZNS1_21merge_sort_block_sortIS3_N6thrust23THRUST_200600_302600_NS6detail15normal_iteratorINS9_10device_ptrIdEEEESE_PS5_SF_14custom_greaterIdEEE10hipError_tT0_T1_T2_T3_mRjT4_P12ihipStream_tbNS1_7vsmem_tEEUlT_E_NS1_11comp_targetILNS1_3genE5ELNS1_11target_archE942ELNS1_3gpuE9ELNS1_3repE0EEENS1_30default_config_static_selectorELNS0_4arch9wavefront6targetE1EEEvSK_,comdat
.Lfunc_end3605:
	.size	_ZN7rocprim17ROCPRIM_400000_NS6detail17trampoline_kernelINS0_14default_configENS1_37merge_sort_block_sort_config_selectorIdNS0_10empty_typeEEEZNS1_21merge_sort_block_sortIS3_N6thrust23THRUST_200600_302600_NS6detail15normal_iteratorINS9_10device_ptrIdEEEESE_PS5_SF_14custom_greaterIdEEE10hipError_tT0_T1_T2_T3_mRjT4_P12ihipStream_tbNS1_7vsmem_tEEUlT_E_NS1_11comp_targetILNS1_3genE5ELNS1_11target_archE942ELNS1_3gpuE9ELNS1_3repE0EEENS1_30default_config_static_selectorELNS0_4arch9wavefront6targetE1EEEvSK_, .Lfunc_end3605-_ZN7rocprim17ROCPRIM_400000_NS6detail17trampoline_kernelINS0_14default_configENS1_37merge_sort_block_sort_config_selectorIdNS0_10empty_typeEEEZNS1_21merge_sort_block_sortIS3_N6thrust23THRUST_200600_302600_NS6detail15normal_iteratorINS9_10device_ptrIdEEEESE_PS5_SF_14custom_greaterIdEEE10hipError_tT0_T1_T2_T3_mRjT4_P12ihipStream_tbNS1_7vsmem_tEEUlT_E_NS1_11comp_targetILNS1_3genE5ELNS1_11target_archE942ELNS1_3gpuE9ELNS1_3repE0EEENS1_30default_config_static_selectorELNS0_4arch9wavefront6targetE1EEEvSK_
                                        ; -- End function
	.section	.AMDGPU.csdata,"",@progbits
; Kernel info:
; codeLenInByte = 0
; NumSgprs: 4
; NumVgprs: 0
; NumAgprs: 0
; TotalNumVgprs: 0
; ScratchSize: 0
; MemoryBound: 0
; FloatMode: 240
; IeeeMode: 1
; LDSByteSize: 0 bytes/workgroup (compile time only)
; SGPRBlocks: 0
; VGPRBlocks: 0
; NumSGPRsForWavesPerEU: 4
; NumVGPRsForWavesPerEU: 1
; AccumOffset: 4
; Occupancy: 8
; WaveLimiterHint : 0
; COMPUTE_PGM_RSRC2:SCRATCH_EN: 0
; COMPUTE_PGM_RSRC2:USER_SGPR: 6
; COMPUTE_PGM_RSRC2:TRAP_HANDLER: 0
; COMPUTE_PGM_RSRC2:TGID_X_EN: 1
; COMPUTE_PGM_RSRC2:TGID_Y_EN: 0
; COMPUTE_PGM_RSRC2:TGID_Z_EN: 0
; COMPUTE_PGM_RSRC2:TIDIG_COMP_CNT: 0
; COMPUTE_PGM_RSRC3_GFX90A:ACCUM_OFFSET: 0
; COMPUTE_PGM_RSRC3_GFX90A:TG_SPLIT: 0
	.section	.text._ZN7rocprim17ROCPRIM_400000_NS6detail17trampoline_kernelINS0_14default_configENS1_37merge_sort_block_sort_config_selectorIdNS0_10empty_typeEEEZNS1_21merge_sort_block_sortIS3_N6thrust23THRUST_200600_302600_NS6detail15normal_iteratorINS9_10device_ptrIdEEEESE_PS5_SF_14custom_greaterIdEEE10hipError_tT0_T1_T2_T3_mRjT4_P12ihipStream_tbNS1_7vsmem_tEEUlT_E_NS1_11comp_targetILNS1_3genE4ELNS1_11target_archE910ELNS1_3gpuE8ELNS1_3repE0EEENS1_30default_config_static_selectorELNS0_4arch9wavefront6targetE1EEEvSK_,"axG",@progbits,_ZN7rocprim17ROCPRIM_400000_NS6detail17trampoline_kernelINS0_14default_configENS1_37merge_sort_block_sort_config_selectorIdNS0_10empty_typeEEEZNS1_21merge_sort_block_sortIS3_N6thrust23THRUST_200600_302600_NS6detail15normal_iteratorINS9_10device_ptrIdEEEESE_PS5_SF_14custom_greaterIdEEE10hipError_tT0_T1_T2_T3_mRjT4_P12ihipStream_tbNS1_7vsmem_tEEUlT_E_NS1_11comp_targetILNS1_3genE4ELNS1_11target_archE910ELNS1_3gpuE8ELNS1_3repE0EEENS1_30default_config_static_selectorELNS0_4arch9wavefront6targetE1EEEvSK_,comdat
	.protected	_ZN7rocprim17ROCPRIM_400000_NS6detail17trampoline_kernelINS0_14default_configENS1_37merge_sort_block_sort_config_selectorIdNS0_10empty_typeEEEZNS1_21merge_sort_block_sortIS3_N6thrust23THRUST_200600_302600_NS6detail15normal_iteratorINS9_10device_ptrIdEEEESE_PS5_SF_14custom_greaterIdEEE10hipError_tT0_T1_T2_T3_mRjT4_P12ihipStream_tbNS1_7vsmem_tEEUlT_E_NS1_11comp_targetILNS1_3genE4ELNS1_11target_archE910ELNS1_3gpuE8ELNS1_3repE0EEENS1_30default_config_static_selectorELNS0_4arch9wavefront6targetE1EEEvSK_ ; -- Begin function _ZN7rocprim17ROCPRIM_400000_NS6detail17trampoline_kernelINS0_14default_configENS1_37merge_sort_block_sort_config_selectorIdNS0_10empty_typeEEEZNS1_21merge_sort_block_sortIS3_N6thrust23THRUST_200600_302600_NS6detail15normal_iteratorINS9_10device_ptrIdEEEESE_PS5_SF_14custom_greaterIdEEE10hipError_tT0_T1_T2_T3_mRjT4_P12ihipStream_tbNS1_7vsmem_tEEUlT_E_NS1_11comp_targetILNS1_3genE4ELNS1_11target_archE910ELNS1_3gpuE8ELNS1_3repE0EEENS1_30default_config_static_selectorELNS0_4arch9wavefront6targetE1EEEvSK_
	.globl	_ZN7rocprim17ROCPRIM_400000_NS6detail17trampoline_kernelINS0_14default_configENS1_37merge_sort_block_sort_config_selectorIdNS0_10empty_typeEEEZNS1_21merge_sort_block_sortIS3_N6thrust23THRUST_200600_302600_NS6detail15normal_iteratorINS9_10device_ptrIdEEEESE_PS5_SF_14custom_greaterIdEEE10hipError_tT0_T1_T2_T3_mRjT4_P12ihipStream_tbNS1_7vsmem_tEEUlT_E_NS1_11comp_targetILNS1_3genE4ELNS1_11target_archE910ELNS1_3gpuE8ELNS1_3repE0EEENS1_30default_config_static_selectorELNS0_4arch9wavefront6targetE1EEEvSK_
	.p2align	8
	.type	_ZN7rocprim17ROCPRIM_400000_NS6detail17trampoline_kernelINS0_14default_configENS1_37merge_sort_block_sort_config_selectorIdNS0_10empty_typeEEEZNS1_21merge_sort_block_sortIS3_N6thrust23THRUST_200600_302600_NS6detail15normal_iteratorINS9_10device_ptrIdEEEESE_PS5_SF_14custom_greaterIdEEE10hipError_tT0_T1_T2_T3_mRjT4_P12ihipStream_tbNS1_7vsmem_tEEUlT_E_NS1_11comp_targetILNS1_3genE4ELNS1_11target_archE910ELNS1_3gpuE8ELNS1_3repE0EEENS1_30default_config_static_selectorELNS0_4arch9wavefront6targetE1EEEvSK_,@function
_ZN7rocprim17ROCPRIM_400000_NS6detail17trampoline_kernelINS0_14default_configENS1_37merge_sort_block_sort_config_selectorIdNS0_10empty_typeEEEZNS1_21merge_sort_block_sortIS3_N6thrust23THRUST_200600_302600_NS6detail15normal_iteratorINS9_10device_ptrIdEEEESE_PS5_SF_14custom_greaterIdEEE10hipError_tT0_T1_T2_T3_mRjT4_P12ihipStream_tbNS1_7vsmem_tEEUlT_E_NS1_11comp_targetILNS1_3genE4ELNS1_11target_archE910ELNS1_3gpuE8ELNS1_3repE0EEENS1_30default_config_static_selectorELNS0_4arch9wavefront6targetE1EEEvSK_: ; @_ZN7rocprim17ROCPRIM_400000_NS6detail17trampoline_kernelINS0_14default_configENS1_37merge_sort_block_sort_config_selectorIdNS0_10empty_typeEEEZNS1_21merge_sort_block_sortIS3_N6thrust23THRUST_200600_302600_NS6detail15normal_iteratorINS9_10device_ptrIdEEEESE_PS5_SF_14custom_greaterIdEEE10hipError_tT0_T1_T2_T3_mRjT4_P12ihipStream_tbNS1_7vsmem_tEEUlT_E_NS1_11comp_targetILNS1_3genE4ELNS1_11target_archE910ELNS1_3gpuE8ELNS1_3repE0EEENS1_30default_config_static_selectorELNS0_4arch9wavefront6targetE1EEEvSK_
; %bb.0:
	s_load_dwordx2 s[12:13], s[4:5], 0x40
	s_load_dword s0, s[4:5], 0x0
	s_add_u32 s10, s4, 64
	s_addc_u32 s11, s5, 0
	s_waitcnt lgkmcnt(0)
	s_mul_i32 s1, s13, s8
	s_add_i32 s1, s1, s7
	s_mul_i32 s1, s1, s12
	s_add_i32 s8, s1, s6
	s_cmp_ge_u32 s8, s0
	s_cbranch_scc1 .LBB3606_156
; %bb.1:
	s_load_dwordx2 s[14:15], s[4:5], 0x8
	s_load_dwordx4 s[0:3], s[4:5], 0x18
	s_mov_b32 s9, 0
	s_lshl_b64 s[4:5], s[8:9], 13
	v_and_b32_e32 v8, 0x3ff, v0
	s_waitcnt lgkmcnt(0)
	s_lshr_b64 s[16:17], s[14:15], 10
	s_add_u32 s7, s0, s4
	s_addc_u32 s13, s1, s5
	s_add_u32 s15, s2, s4
	s_addc_u32 s18, s3, s5
	s_cmp_lg_u64 s[16:17], s[8:9]
	v_bfe_u32 v12, v0, 10, 10
	v_bfe_u32 v13, v0, 20, 10
	v_lshlrev_b32_e32 v10, 3, v8
	v_lshrrev_b32_e32 v15, 2, v8
	v_lshlrev_b32_e32 v11, 2, v8
	v_lshrrev_b32_e32 v14, 3, v8
	s_cbranch_scc0 .LBB3606_87
; %bb.2:
	v_mov_b32_e32 v1, s13
	v_add_co_u32_e32 v0, vcc, s7, v10
	v_addc_co_u32_e32 v1, vcc, 0, v1, vcc
	v_add_co_u32_e32 v2, vcc, 0x1000, v0
	v_addc_co_u32_e32 v3, vcc, 0, v1, vcc
	flat_load_dwordx2 v[4:5], v[0:1]
	flat_load_dwordx2 v[6:7], v[0:1] offset:2048
	flat_load_dwordx2 v[22:23], v[2:3]
	flat_load_dwordx2 v[24:25], v[2:3] offset:2048
	v_and_b32_e32 v0, 0xf8, v15
	v_add_u32_e32 v1, 0x100, v8
	v_add_u32_e32 v2, 0x200, v8
	;; [unrolled: 1-line block ×4, first 2 shown]
	v_lshrrev_b32_e32 v0, 2, v1
	v_lshrrev_b32_e32 v1, 2, v2
	;; [unrolled: 1-line block ×3, first 2 shown]
	v_add_lshl_u32 v17, v14, v11, 3
	v_and_b32_e32 v0, 0x1f8, v0
	v_and_b32_e32 v1, 0x1f8, v1
	;; [unrolled: 1-line block ×3, first 2 shown]
	v_add_u32_e32 v18, v0, v10
	v_add_u32_e32 v19, v1, v10
	;; [unrolled: 1-line block ×3, first 2 shown]
	v_mov_b32_e32 v9, 0
	s_movk_i32 s4, 0x400
	s_waitcnt vmcnt(0) lgkmcnt(0)
	ds_write_b64 v16, v[4:5]
	ds_write_b64 v18, v[6:7] offset:2048
	ds_write_b64 v19, v[22:23] offset:4096
	ds_write_b64 v20, v[24:25] offset:6144
	s_waitcnt lgkmcnt(0)
	s_barrier
	ds_read2_b64 v[0:3], v17 offset1:1
	ds_read2_b64 v[4:7], v17 offset0:2 offset1:3
	s_waitcnt lgkmcnt(0)
	s_barrier
	s_load_dword s0, s[10:11], 0xc
	s_waitcnt lgkmcnt(0)
	s_lshr_b32 s2, s0, 16
	s_cmp_lt_u32 s6, s12
	s_cselect_b32 s0, 12, 18
	s_add_u32 s0, s10, s0
	s_addc_u32 s1, s11, 0
	global_load_ushort v21, v9, s[0:1]
	v_mad_u32_u24 v22, v13, s2, v12
	s_waitcnt vmcnt(0)
	v_mul_lo_u32 v21, v22, v21
	v_add_lshl_u32 v21, v21, v8, 2
	v_cmp_gt_u32_e32 vcc, s4, v21
	s_and_saveexec_b64 s[0:1], vcc
	s_cbranch_execz .LBB3606_6
; %bb.3:
	v_cmp_gt_f64_e32 vcc, v[0:1], v[2:3]
	v_cndmask_b32_e32 v23, v1, v3, vcc
	v_cndmask_b32_e32 v22, v0, v2, vcc
	v_cndmask_b32_e32 v1, v3, v1, vcc
	v_cndmask_b32_e32 v0, v2, v0, vcc
	v_cmp_gt_f64_e32 vcc, v[4:5], v[6:7]
	v_cndmask_b32_e32 v3, v5, v7, vcc
	v_cndmask_b32_e32 v2, v4, v6, vcc
	v_cndmask_b32_e32 v25, v7, v5, vcc
	v_cndmask_b32_e32 v24, v6, v4, vcc
	;; [unrolled: 5-line block ×5, first 2 shown]
	v_cmp_gt_f64_e32 vcc, v[2:3], v[4:5]
	s_and_saveexec_b64 s[2:3], vcc
; %bb.4:
	v_pk_mov_b32 v[22:23], v[4:5], v[4:5] op_sel:[0,1]
	v_pk_mov_b32 v[4:5], v[2:3], v[2:3] op_sel:[0,1]
	;; [unrolled: 1-line block ×3, first 2 shown]
; %bb.5:
	s_or_b64 exec, exec, s[2:3]
.LBB3606_6:
	s_or_b64 exec, exec, s[0:1]
	v_mbcnt_lo_u32_b32 v22, -1, 0
	v_mbcnt_hi_u32_b32 v24, -1, v22
	v_and_b32_e32 v21, 0xffffff00, v21
	v_lshlrev_b32_e32 v23, 5, v24
	v_lshlrev_b32_e32 v24, 2, v24
	v_sub_u32_e64 v22, s4, v21 clamp
	v_or_b32_e32 v25, 4, v24
	v_min_u32_e32 v26, v22, v25
	v_add_u32_e32 v25, 4, v26
	v_and_b32_e32 v29, 0x1f8, v24
	v_min_u32_e32 v25, v22, v25
	v_and_b32_e32 v27, 4, v24
	v_min_u32_e32 v30, v22, v27
	v_sub_u32_e32 v31, v26, v29
	v_sub_u32_e32 v28, v25, v26
	v_lshlrev_b32_e32 v21, 3, v21
	v_sub_u32_e64 v28, v30, v28 clamp
	v_min_u32_e32 v31, v30, v31
	v_add_u32_e32 v23, v21, v23
	v_lshl_add_u32 v27, v29, 3, v21
	v_cmp_lt_u32_e32 vcc, v28, v31
	ds_write_b128 v23, v[0:3]
	ds_write_b128 v23, v[4:7] offset:16
	; wave barrier
	s_and_saveexec_b64 s[0:1], vcc
	s_cbranch_execz .LBB3606_10
; %bb.7:
	v_lshlrev_b32_e32 v32, 3, v26
	v_lshlrev_b32_e32 v33, 3, v30
	v_add3_u32 v32, v21, v32, v33
	s_mov_b64 s[2:3], 0
.LBB3606_8:                             ; =>This Inner Loop Header: Depth=1
	v_add_u32_e32 v33, v31, v28
	v_lshrrev_b32_e32 v33, 1, v33
	v_not_b32_e32 v34, v33
	v_lshl_add_u32 v35, v33, 3, v27
	v_lshl_add_u32 v36, v34, 3, v32
	ds_read_b64 v[34:35], v35
	ds_read_b64 v[36:37], v36
	v_add_u32_e32 v38, 1, v33
	s_waitcnt lgkmcnt(0)
	v_cmp_gt_f64_e32 vcc, v[34:35], v[36:37]
	v_cndmask_b32_e32 v31, v31, v33, vcc
	v_cndmask_b32_e32 v28, v38, v28, vcc
	v_cmp_ge_u32_e32 vcc, v28, v31
	s_or_b64 s[2:3], vcc, s[2:3]
	s_andn2_b64 exec, exec, s[2:3]
	s_cbranch_execnz .LBB3606_8
; %bb.9:
	s_or_b64 exec, exec, s[2:3]
.LBB3606_10:
	s_or_b64 exec, exec, s[0:1]
	v_add_u32_e32 v30, v26, v30
	v_add_u32_e32 v29, v28, v29
	v_sub_u32_e32 v30, v30, v28
	v_cmp_le_u32_e32 vcc, v29, v26
	v_cmp_le_u32_e64 s[0:1], v30, v25
	s_or_b64 s[0:1], vcc, s[0:1]
	s_and_saveexec_b64 s[16:17], s[0:1]
	s_cbranch_execz .LBB3606_16
; %bb.11:
	v_cmp_lt_u32_e32 vcc, v29, v26
                                        ; implicit-def: $vgpr0_vgpr1
	s_and_saveexec_b64 s[0:1], vcc
	s_cbranch_execz .LBB3606_13
; %bb.12:
	v_lshl_add_u32 v0, v28, 3, v27
	ds_read_b64 v[0:1], v0
.LBB3606_13:
	s_or_b64 exec, exec, s[0:1]
	v_cmp_ge_u32_e64 s[0:1], v30, v25
	v_cmp_lt_u32_e64 s[2:3], v30, v25
                                        ; implicit-def: $vgpr2_vgpr3
	s_and_saveexec_b64 s[4:5], s[2:3]
	s_cbranch_execz .LBB3606_15
; %bb.14:
	v_lshl_add_u32 v2, v30, 3, v21
	ds_read_b64 v[2:3], v2
.LBB3606_15:
	s_or_b64 exec, exec, s[4:5]
	s_waitcnt lgkmcnt(0)
	v_cmp_ngt_f64_e64 s[2:3], v[0:1], v[2:3]
	s_and_b64 s[2:3], vcc, s[2:3]
	s_or_b64 vcc, s[0:1], s[2:3]
	v_cndmask_b32_e32 v4, v30, v29, vcc
	v_cndmask_b32_e32 v5, v25, v26, vcc
	v_add_u32_e32 v27, 1, v4
	v_add_u32_e32 v4, -1, v5
	v_min_u32_e32 v4, v27, v4
	v_lshl_add_u32 v4, v4, 3, v21
	ds_read_b64 v[4:5], v4
	v_cndmask_b32_e32 v32, v27, v30, vcc
	v_cndmask_b32_e32 v27, v29, v27, vcc
	v_cmp_lt_u32_e64 s[2:3], v27, v26
	v_cmp_ge_u32_e64 s[0:1], v32, v25
	s_waitcnt lgkmcnt(0)
	v_cndmask_b32_e32 v7, v5, v3, vcc
	v_cndmask_b32_e32 v6, v4, v2, vcc
	;; [unrolled: 1-line block ×4, first 2 shown]
	v_cmp_ngt_f64_e64 s[4:5], v[4:5], v[6:7]
	s_and_b64 s[2:3], s[2:3], s[4:5]
	s_or_b64 s[0:1], s[0:1], s[2:3]
	v_cndmask_b32_e64 v28, v32, v27, s[0:1]
	v_cndmask_b32_e64 v29, v25, v26, s[0:1]
	v_add_u32_e32 v33, 1, v28
	v_add_u32_e32 v28, -1, v29
	v_min_u32_e32 v28, v33, v28
	v_lshl_add_u32 v28, v28, 3, v21
	ds_read_b64 v[28:29], v28
	v_cndmask_b32_e64 v27, v27, v33, s[0:1]
	v_cndmask_b32_e64 v34, v33, v32, s[0:1]
	v_cmp_lt_u32_e64 s[2:3], v27, v26
	v_cndmask_b32_e32 v1, v3, v1, vcc
	s_waitcnt lgkmcnt(0)
	v_cndmask_b32_e64 v31, v29, v7, s[0:1]
	v_cndmask_b32_e64 v30, v28, v6, s[0:1]
	;; [unrolled: 1-line block ×4, first 2 shown]
	v_cmp_ngt_f64_e64 s[4:5], v[28:29], v[30:31]
	v_cndmask_b32_e32 v0, v2, v0, vcc
	v_cmp_ge_u32_e32 vcc, v34, v25
	s_and_b64 s[2:3], s[2:3], s[4:5]
	s_or_b64 vcc, vcc, s[2:3]
	v_cndmask_b32_e32 v2, v34, v27, vcc
	v_cndmask_b32_e32 v3, v25, v26, vcc
	v_add_u32_e32 v35, 1, v2
	v_add_u32_e32 v2, -1, v3
	v_min_u32_e32 v2, v35, v2
	v_lshl_add_u32 v2, v2, 3, v21
	ds_read_b64 v[32:33], v2
	v_cndmask_b32_e64 v3, v7, v5, s[0:1]
	v_cndmask_b32_e64 v2, v6, v4, s[0:1]
	v_cndmask_b32_e32 v5, v31, v29, vcc
	v_cndmask_b32_e32 v4, v30, v28, vcc
	s_waitcnt lgkmcnt(0)
	v_cndmask_b32_e32 v7, v29, v33, vcc
	v_cndmask_b32_e32 v6, v28, v32, vcc
	;; [unrolled: 1-line block ×6, first 2 shown]
	v_cmp_lt_u32_e32 vcc, v27, v26
	v_cmp_ngt_f64_e64 s[0:1], v[6:7], v[28:29]
	s_and_b64 vcc, vcc, s[0:1]
	v_cndmask_b32_e32 v26, v28, v6, vcc
	v_cndmask_b32_e32 v27, v29, v7, vcc
	v_cmp_lt_u32_e32 vcc, v34, v25
	v_cndmask_b32_e32 v7, v7, v27, vcc
	v_cndmask_b32_e32 v6, v6, v26, vcc
.LBB3606_16:
	s_or_b64 exec, exec, s[16:17]
	v_and_b32_e32 v29, 0x1f0, v24
	v_or_b32_e32 v25, 8, v29
	v_min_u32_e32 v26, v22, v25
	v_add_u32_e32 v25, 8, v26
	v_min_u32_e32 v25, v22, v25
	v_and_b32_e32 v27, 12, v24
	v_min_u32_e32 v30, v22, v27
	v_sub_u32_e32 v31, v26, v29
	v_sub_u32_e32 v28, v25, v26
	v_sub_u32_e64 v28, v30, v28 clamp
	v_min_u32_e32 v31, v30, v31
	v_lshl_add_u32 v27, v29, 3, v21
	v_cmp_lt_u32_e32 vcc, v28, v31
	; wave barrier
	ds_write_b128 v23, v[0:3]
	ds_write_b128 v23, v[4:7] offset:16
	; wave barrier
	s_and_saveexec_b64 s[0:1], vcc
	s_cbranch_execz .LBB3606_20
; %bb.17:
	v_lshlrev_b32_e32 v32, 3, v26
	v_lshlrev_b32_e32 v33, 3, v30
	v_add3_u32 v32, v21, v32, v33
	s_mov_b64 s[2:3], 0
.LBB3606_18:                            ; =>This Inner Loop Header: Depth=1
	v_add_u32_e32 v33, v31, v28
	v_lshrrev_b32_e32 v33, 1, v33
	v_not_b32_e32 v34, v33
	v_lshl_add_u32 v35, v33, 3, v27
	v_lshl_add_u32 v36, v34, 3, v32
	ds_read_b64 v[34:35], v35
	ds_read_b64 v[36:37], v36
	v_add_u32_e32 v38, 1, v33
	s_waitcnt lgkmcnt(0)
	v_cmp_gt_f64_e32 vcc, v[34:35], v[36:37]
	v_cndmask_b32_e32 v31, v31, v33, vcc
	v_cndmask_b32_e32 v28, v38, v28, vcc
	v_cmp_ge_u32_e32 vcc, v28, v31
	s_or_b64 s[2:3], vcc, s[2:3]
	s_andn2_b64 exec, exec, s[2:3]
	s_cbranch_execnz .LBB3606_18
; %bb.19:
	s_or_b64 exec, exec, s[2:3]
.LBB3606_20:
	s_or_b64 exec, exec, s[0:1]
	v_add_u32_e32 v30, v26, v30
	v_add_u32_e32 v29, v28, v29
	v_sub_u32_e32 v30, v30, v28
	v_cmp_le_u32_e32 vcc, v29, v26
	v_cmp_le_u32_e64 s[0:1], v30, v25
	s_or_b64 s[0:1], vcc, s[0:1]
	s_and_saveexec_b64 s[16:17], s[0:1]
	s_cbranch_execz .LBB3606_26
; %bb.21:
	v_cmp_lt_u32_e32 vcc, v29, v26
                                        ; implicit-def: $vgpr0_vgpr1
	s_and_saveexec_b64 s[0:1], vcc
	s_cbranch_execz .LBB3606_23
; %bb.22:
	v_lshl_add_u32 v0, v28, 3, v27
	ds_read_b64 v[0:1], v0
.LBB3606_23:
	s_or_b64 exec, exec, s[0:1]
	v_cmp_ge_u32_e64 s[0:1], v30, v25
	v_cmp_lt_u32_e64 s[2:3], v30, v25
                                        ; implicit-def: $vgpr2_vgpr3
	s_and_saveexec_b64 s[4:5], s[2:3]
	s_cbranch_execz .LBB3606_25
; %bb.24:
	v_lshl_add_u32 v2, v30, 3, v21
	ds_read_b64 v[2:3], v2
.LBB3606_25:
	s_or_b64 exec, exec, s[4:5]
	s_waitcnt lgkmcnt(0)
	v_cmp_ngt_f64_e64 s[2:3], v[0:1], v[2:3]
	s_and_b64 s[2:3], vcc, s[2:3]
	s_or_b64 vcc, s[0:1], s[2:3]
	v_cndmask_b32_e32 v4, v30, v29, vcc
	v_cndmask_b32_e32 v5, v25, v26, vcc
	v_add_u32_e32 v27, 1, v4
	v_add_u32_e32 v4, -1, v5
	v_min_u32_e32 v4, v27, v4
	v_lshl_add_u32 v4, v4, 3, v21
	ds_read_b64 v[4:5], v4
	v_cndmask_b32_e32 v32, v27, v30, vcc
	v_cndmask_b32_e32 v27, v29, v27, vcc
	v_cmp_lt_u32_e64 s[2:3], v27, v26
	v_cmp_ge_u32_e64 s[0:1], v32, v25
	s_waitcnt lgkmcnt(0)
	v_cndmask_b32_e32 v7, v5, v3, vcc
	v_cndmask_b32_e32 v6, v4, v2, vcc
	;; [unrolled: 1-line block ×4, first 2 shown]
	v_cmp_ngt_f64_e64 s[4:5], v[4:5], v[6:7]
	s_and_b64 s[2:3], s[2:3], s[4:5]
	s_or_b64 s[0:1], s[0:1], s[2:3]
	v_cndmask_b32_e64 v28, v32, v27, s[0:1]
	v_cndmask_b32_e64 v29, v25, v26, s[0:1]
	v_add_u32_e32 v33, 1, v28
	v_add_u32_e32 v28, -1, v29
	v_min_u32_e32 v28, v33, v28
	v_lshl_add_u32 v28, v28, 3, v21
	ds_read_b64 v[28:29], v28
	v_cndmask_b32_e64 v27, v27, v33, s[0:1]
	v_cndmask_b32_e64 v34, v33, v32, s[0:1]
	v_cmp_lt_u32_e64 s[2:3], v27, v26
	v_cndmask_b32_e32 v1, v3, v1, vcc
	s_waitcnt lgkmcnt(0)
	v_cndmask_b32_e64 v31, v29, v7, s[0:1]
	v_cndmask_b32_e64 v30, v28, v6, s[0:1]
	v_cndmask_b32_e64 v29, v5, v29, s[0:1]
	v_cndmask_b32_e64 v28, v4, v28, s[0:1]
	v_cmp_ngt_f64_e64 s[4:5], v[28:29], v[30:31]
	v_cndmask_b32_e32 v0, v2, v0, vcc
	v_cmp_ge_u32_e32 vcc, v34, v25
	s_and_b64 s[2:3], s[2:3], s[4:5]
	s_or_b64 vcc, vcc, s[2:3]
	v_cndmask_b32_e32 v2, v34, v27, vcc
	v_cndmask_b32_e32 v3, v25, v26, vcc
	v_add_u32_e32 v35, 1, v2
	v_add_u32_e32 v2, -1, v3
	v_min_u32_e32 v2, v35, v2
	v_lshl_add_u32 v2, v2, 3, v21
	ds_read_b64 v[32:33], v2
	v_cndmask_b32_e64 v3, v7, v5, s[0:1]
	v_cndmask_b32_e64 v2, v6, v4, s[0:1]
	v_cndmask_b32_e32 v5, v31, v29, vcc
	v_cndmask_b32_e32 v4, v30, v28, vcc
	s_waitcnt lgkmcnt(0)
	v_cndmask_b32_e32 v7, v29, v33, vcc
	v_cndmask_b32_e32 v6, v28, v32, vcc
	;; [unrolled: 1-line block ×6, first 2 shown]
	v_cmp_lt_u32_e32 vcc, v27, v26
	v_cmp_ngt_f64_e64 s[0:1], v[6:7], v[28:29]
	s_and_b64 vcc, vcc, s[0:1]
	v_cndmask_b32_e32 v26, v28, v6, vcc
	v_cndmask_b32_e32 v27, v29, v7, vcc
	v_cmp_lt_u32_e32 vcc, v34, v25
	v_cndmask_b32_e32 v7, v7, v27, vcc
	v_cndmask_b32_e32 v6, v6, v26, vcc
.LBB3606_26:
	s_or_b64 exec, exec, s[16:17]
	v_and_b32_e32 v29, 0x1e0, v24
	v_or_b32_e32 v25, 16, v29
	v_min_u32_e32 v26, v22, v25
	v_add_u32_e32 v25, 16, v26
	v_min_u32_e32 v25, v22, v25
	v_and_b32_e32 v27, 28, v24
	v_min_u32_e32 v30, v22, v27
	v_sub_u32_e32 v31, v26, v29
	v_sub_u32_e32 v28, v25, v26
	v_sub_u32_e64 v28, v30, v28 clamp
	v_min_u32_e32 v31, v30, v31
	v_lshl_add_u32 v27, v29, 3, v21
	v_cmp_lt_u32_e32 vcc, v28, v31
	; wave barrier
	ds_write_b128 v23, v[0:3]
	ds_write_b128 v23, v[4:7] offset:16
	; wave barrier
	s_and_saveexec_b64 s[0:1], vcc
	s_cbranch_execz .LBB3606_30
; %bb.27:
	v_lshlrev_b32_e32 v32, 3, v26
	v_lshlrev_b32_e32 v33, 3, v30
	v_add3_u32 v32, v21, v32, v33
	s_mov_b64 s[2:3], 0
.LBB3606_28:                            ; =>This Inner Loop Header: Depth=1
	v_add_u32_e32 v33, v31, v28
	v_lshrrev_b32_e32 v33, 1, v33
	v_not_b32_e32 v34, v33
	v_lshl_add_u32 v35, v33, 3, v27
	v_lshl_add_u32 v36, v34, 3, v32
	ds_read_b64 v[34:35], v35
	ds_read_b64 v[36:37], v36
	v_add_u32_e32 v38, 1, v33
	s_waitcnt lgkmcnt(0)
	v_cmp_gt_f64_e32 vcc, v[34:35], v[36:37]
	v_cndmask_b32_e32 v31, v31, v33, vcc
	v_cndmask_b32_e32 v28, v38, v28, vcc
	v_cmp_ge_u32_e32 vcc, v28, v31
	s_or_b64 s[2:3], vcc, s[2:3]
	s_andn2_b64 exec, exec, s[2:3]
	s_cbranch_execnz .LBB3606_28
; %bb.29:
	s_or_b64 exec, exec, s[2:3]
.LBB3606_30:
	s_or_b64 exec, exec, s[0:1]
	v_add_u32_e32 v30, v26, v30
	v_add_u32_e32 v29, v28, v29
	v_sub_u32_e32 v30, v30, v28
	v_cmp_le_u32_e32 vcc, v29, v26
	v_cmp_le_u32_e64 s[0:1], v30, v25
	s_or_b64 s[0:1], vcc, s[0:1]
	s_and_saveexec_b64 s[16:17], s[0:1]
	s_cbranch_execz .LBB3606_36
; %bb.31:
	v_cmp_lt_u32_e32 vcc, v29, v26
                                        ; implicit-def: $vgpr0_vgpr1
	s_and_saveexec_b64 s[0:1], vcc
	s_cbranch_execz .LBB3606_33
; %bb.32:
	v_lshl_add_u32 v0, v28, 3, v27
	ds_read_b64 v[0:1], v0
.LBB3606_33:
	s_or_b64 exec, exec, s[0:1]
	v_cmp_ge_u32_e64 s[0:1], v30, v25
	v_cmp_lt_u32_e64 s[2:3], v30, v25
                                        ; implicit-def: $vgpr2_vgpr3
	s_and_saveexec_b64 s[4:5], s[2:3]
	s_cbranch_execz .LBB3606_35
; %bb.34:
	v_lshl_add_u32 v2, v30, 3, v21
	ds_read_b64 v[2:3], v2
.LBB3606_35:
	s_or_b64 exec, exec, s[4:5]
	s_waitcnt lgkmcnt(0)
	v_cmp_ngt_f64_e64 s[2:3], v[0:1], v[2:3]
	s_and_b64 s[2:3], vcc, s[2:3]
	s_or_b64 vcc, s[0:1], s[2:3]
	v_cndmask_b32_e32 v4, v30, v29, vcc
	v_cndmask_b32_e32 v5, v25, v26, vcc
	v_add_u32_e32 v27, 1, v4
	v_add_u32_e32 v4, -1, v5
	v_min_u32_e32 v4, v27, v4
	v_lshl_add_u32 v4, v4, 3, v21
	ds_read_b64 v[4:5], v4
	v_cndmask_b32_e32 v32, v27, v30, vcc
	v_cndmask_b32_e32 v27, v29, v27, vcc
	v_cmp_lt_u32_e64 s[2:3], v27, v26
	v_cmp_ge_u32_e64 s[0:1], v32, v25
	s_waitcnt lgkmcnt(0)
	v_cndmask_b32_e32 v7, v5, v3, vcc
	v_cndmask_b32_e32 v6, v4, v2, vcc
	;; [unrolled: 1-line block ×4, first 2 shown]
	v_cmp_ngt_f64_e64 s[4:5], v[4:5], v[6:7]
	s_and_b64 s[2:3], s[2:3], s[4:5]
	s_or_b64 s[0:1], s[0:1], s[2:3]
	v_cndmask_b32_e64 v28, v32, v27, s[0:1]
	v_cndmask_b32_e64 v29, v25, v26, s[0:1]
	v_add_u32_e32 v33, 1, v28
	v_add_u32_e32 v28, -1, v29
	v_min_u32_e32 v28, v33, v28
	v_lshl_add_u32 v28, v28, 3, v21
	ds_read_b64 v[28:29], v28
	v_cndmask_b32_e64 v27, v27, v33, s[0:1]
	v_cndmask_b32_e64 v34, v33, v32, s[0:1]
	v_cmp_lt_u32_e64 s[2:3], v27, v26
	v_cndmask_b32_e32 v1, v3, v1, vcc
	s_waitcnt lgkmcnt(0)
	v_cndmask_b32_e64 v31, v29, v7, s[0:1]
	v_cndmask_b32_e64 v30, v28, v6, s[0:1]
	;; [unrolled: 1-line block ×4, first 2 shown]
	v_cmp_ngt_f64_e64 s[4:5], v[28:29], v[30:31]
	v_cndmask_b32_e32 v0, v2, v0, vcc
	v_cmp_ge_u32_e32 vcc, v34, v25
	s_and_b64 s[2:3], s[2:3], s[4:5]
	s_or_b64 vcc, vcc, s[2:3]
	v_cndmask_b32_e32 v2, v34, v27, vcc
	v_cndmask_b32_e32 v3, v25, v26, vcc
	v_add_u32_e32 v35, 1, v2
	v_add_u32_e32 v2, -1, v3
	v_min_u32_e32 v2, v35, v2
	v_lshl_add_u32 v2, v2, 3, v21
	ds_read_b64 v[32:33], v2
	v_cndmask_b32_e64 v3, v7, v5, s[0:1]
	v_cndmask_b32_e64 v2, v6, v4, s[0:1]
	v_cndmask_b32_e32 v5, v31, v29, vcc
	v_cndmask_b32_e32 v4, v30, v28, vcc
	s_waitcnt lgkmcnt(0)
	v_cndmask_b32_e32 v7, v29, v33, vcc
	v_cndmask_b32_e32 v6, v28, v32, vcc
	;; [unrolled: 1-line block ×6, first 2 shown]
	v_cmp_lt_u32_e32 vcc, v27, v26
	v_cmp_ngt_f64_e64 s[0:1], v[6:7], v[28:29]
	s_and_b64 vcc, vcc, s[0:1]
	v_cndmask_b32_e32 v26, v28, v6, vcc
	v_cndmask_b32_e32 v27, v29, v7, vcc
	v_cmp_lt_u32_e32 vcc, v34, v25
	v_cndmask_b32_e32 v7, v7, v27, vcc
	v_cndmask_b32_e32 v6, v6, v26, vcc
.LBB3606_36:
	s_or_b64 exec, exec, s[16:17]
	v_and_b32_e32 v26, 0x1c0, v24
	; wave barrier
	ds_write_b128 v23, v[0:3]
	ds_write_b128 v23, v[4:7] offset:16
	v_or_b32_e32 v23, 32, v26
	v_min_u32_e32 v25, v22, v23
	v_add_u32_e32 v23, 32, v25
	v_min_u32_e32 v23, v22, v23
	v_and_b32_e32 v24, 60, v24
	v_min_u32_e32 v27, v22, v24
	v_sub_u32_e32 v28, v25, v26
	v_sub_u32_e32 v24, v23, v25
	v_sub_u32_e64 v24, v27, v24 clamp
	v_min_u32_e32 v28, v27, v28
	v_lshl_add_u32 v22, v26, 3, v21
	v_cmp_lt_u32_e32 vcc, v24, v28
	; wave barrier
	s_and_saveexec_b64 s[0:1], vcc
	s_cbranch_execz .LBB3606_40
; %bb.37:
	v_lshlrev_b32_e32 v29, 3, v25
	v_lshlrev_b32_e32 v30, 3, v27
	v_add3_u32 v29, v21, v29, v30
	s_mov_b64 s[2:3], 0
.LBB3606_38:                            ; =>This Inner Loop Header: Depth=1
	v_add_u32_e32 v30, v28, v24
	v_lshrrev_b32_e32 v34, 1, v30
	v_not_b32_e32 v30, v34
	v_lshl_add_u32 v31, v34, 3, v22
	v_lshl_add_u32 v32, v30, 3, v29
	ds_read_b64 v[30:31], v31
	ds_read_b64 v[32:33], v32
	v_add_u32_e32 v35, 1, v34
	s_waitcnt lgkmcnt(0)
	v_cmp_gt_f64_e32 vcc, v[30:31], v[32:33]
	v_cndmask_b32_e32 v28, v28, v34, vcc
	v_cndmask_b32_e32 v24, v35, v24, vcc
	v_cmp_ge_u32_e32 vcc, v24, v28
	s_or_b64 s[2:3], vcc, s[2:3]
	s_andn2_b64 exec, exec, s[2:3]
	s_cbranch_execnz .LBB3606_38
; %bb.39:
	s_or_b64 exec, exec, s[2:3]
.LBB3606_40:
	s_or_b64 exec, exec, s[0:1]
	v_add_u32_e32 v27, v25, v27
	v_add_u32_e32 v26, v24, v26
	v_sub_u32_e32 v27, v27, v24
	v_cmp_le_u32_e32 vcc, v26, v25
	v_cmp_le_u32_e64 s[0:1], v27, v23
	s_or_b64 s[0:1], vcc, s[0:1]
	s_and_saveexec_b64 s[16:17], s[0:1]
	s_cbranch_execz .LBB3606_46
; %bb.41:
	v_cmp_lt_u32_e32 vcc, v26, v25
                                        ; implicit-def: $vgpr0_vgpr1
	s_and_saveexec_b64 s[0:1], vcc
	s_cbranch_execz .LBB3606_43
; %bb.42:
	v_lshl_add_u32 v0, v24, 3, v22
	ds_read_b64 v[0:1], v0
.LBB3606_43:
	s_or_b64 exec, exec, s[0:1]
	v_cmp_ge_u32_e64 s[0:1], v27, v23
	v_cmp_lt_u32_e64 s[2:3], v27, v23
                                        ; implicit-def: $vgpr2_vgpr3
	s_and_saveexec_b64 s[4:5], s[2:3]
	s_cbranch_execz .LBB3606_45
; %bb.44:
	v_lshl_add_u32 v2, v27, 3, v21
	ds_read_b64 v[2:3], v2
.LBB3606_45:
	s_or_b64 exec, exec, s[4:5]
	s_waitcnt lgkmcnt(0)
	v_cmp_ngt_f64_e64 s[2:3], v[0:1], v[2:3]
	s_and_b64 s[2:3], vcc, s[2:3]
	s_or_b64 vcc, s[0:1], s[2:3]
	v_cndmask_b32_e32 v4, v27, v26, vcc
	v_cndmask_b32_e32 v5, v23, v25, vcc
	v_add_u32_e32 v22, 1, v4
	v_add_u32_e32 v4, -1, v5
	v_min_u32_e32 v4, v22, v4
	v_lshl_add_u32 v4, v4, 3, v21
	ds_read_b64 v[4:5], v4
	v_cndmask_b32_e32 v24, v22, v27, vcc
	v_cndmask_b32_e32 v22, v26, v22, vcc
	v_cmp_lt_u32_e64 s[2:3], v22, v25
	v_cmp_ge_u32_e64 s[0:1], v24, v23
	s_waitcnt lgkmcnt(0)
	v_cndmask_b32_e32 v7, v5, v3, vcc
	v_cndmask_b32_e32 v6, v4, v2, vcc
	;; [unrolled: 1-line block ×4, first 2 shown]
	v_cmp_ngt_f64_e64 s[4:5], v[4:5], v[6:7]
	s_and_b64 s[2:3], s[2:3], s[4:5]
	s_or_b64 s[0:1], s[0:1], s[2:3]
	v_cndmask_b32_e64 v26, v24, v22, s[0:1]
	v_cndmask_b32_e64 v27, v23, v25, s[0:1]
	v_add_u32_e32 v30, 1, v26
	v_add_u32_e32 v26, -1, v27
	v_min_u32_e32 v26, v30, v26
	v_lshl_add_u32 v26, v26, 3, v21
	ds_read_b64 v[26:27], v26
	v_cndmask_b32_e64 v22, v22, v30, s[0:1]
	v_cndmask_b32_e64 v24, v30, v24, s[0:1]
	v_cmp_lt_u32_e64 s[2:3], v22, v25
	v_cndmask_b32_e32 v1, v3, v1, vcc
	s_waitcnt lgkmcnt(0)
	v_cndmask_b32_e64 v29, v27, v7, s[0:1]
	v_cndmask_b32_e64 v28, v26, v6, s[0:1]
	;; [unrolled: 1-line block ×4, first 2 shown]
	v_cmp_ngt_f64_e64 s[4:5], v[26:27], v[28:29]
	v_cndmask_b32_e32 v0, v2, v0, vcc
	v_cmp_ge_u32_e32 vcc, v24, v23
	s_and_b64 s[2:3], s[2:3], s[4:5]
	s_or_b64 vcc, vcc, s[2:3]
	v_cndmask_b32_e32 v2, v24, v22, vcc
	v_cndmask_b32_e32 v3, v23, v25, vcc
	v_add_u32_e32 v32, 1, v2
	v_add_u32_e32 v2, -1, v3
	v_min_u32_e32 v2, v32, v2
	v_lshl_add_u32 v2, v2, 3, v21
	ds_read_b64 v[30:31], v2
	v_cndmask_b32_e64 v3, v7, v5, s[0:1]
	v_cndmask_b32_e64 v2, v6, v4, s[0:1]
	v_cndmask_b32_e32 v5, v29, v27, vcc
	v_cndmask_b32_e32 v4, v28, v26, vcc
	s_waitcnt lgkmcnt(0)
	v_cndmask_b32_e32 v7, v27, v31, vcc
	v_cndmask_b32_e32 v6, v26, v30, vcc
	;; [unrolled: 1-line block ×6, first 2 shown]
	v_cmp_lt_u32_e32 vcc, v22, v25
	v_cmp_ngt_f64_e64 s[0:1], v[6:7], v[26:27]
	s_and_b64 vcc, vcc, s[0:1]
	v_cndmask_b32_e32 v22, v26, v6, vcc
	v_cndmask_b32_e32 v24, v27, v7, vcc
	v_cmp_lt_u32_e32 vcc, v21, v23
	v_cndmask_b32_e32 v7, v7, v24, vcc
	v_cndmask_b32_e32 v6, v6, v22, vcc
.LBB3606_46:
	s_or_b64 exec, exec, s[16:17]
	v_and_b32_e32 v26, 0xf80, v11
	v_or_b32_e32 v22, 64, v26
	v_min_u32_e32 v23, 0x400, v22
	v_min_u32_e32 v22, 0x3c0, v22
	v_add_u32_e32 v22, 64, v22
	v_and_b32_e32 v27, 0x7c, v11
	v_sub_u32_e32 v28, v23, v26
	v_sub_u32_e32 v25, v22, v23
	v_sub_u32_e64 v25, v27, v25 clamp
	v_min_u32_e32 v28, v27, v28
	v_lshlrev_b32_e32 v21, 5, v8
	v_lshlrev_b32_e32 v24, 3, v26
	v_cmp_lt_u32_e32 vcc, v25, v28
	; wave barrier
	s_waitcnt lgkmcnt(0)
	s_barrier
	ds_write_b128 v21, v[0:3]
	ds_write_b128 v21, v[4:7] offset:16
	s_waitcnt lgkmcnt(0)
	s_barrier
	s_and_saveexec_b64 s[0:1], vcc
	s_cbranch_execz .LBB3606_50
; %bb.47:
	v_lshlrev_b32_e32 v29, 3, v27
	v_lshl_add_u32 v29, v23, 3, v29
	s_mov_b64 s[2:3], 0
.LBB3606_48:                            ; =>This Inner Loop Header: Depth=1
	v_add_u32_e32 v30, v28, v25
	v_lshrrev_b32_e32 v34, 1, v30
	v_not_b32_e32 v30, v34
	v_lshl_add_u32 v31, v34, 3, v24
	v_lshl_add_u32 v32, v30, 3, v29
	ds_read_b64 v[30:31], v31
	ds_read_b64 v[32:33], v32
	v_add_u32_e32 v35, 1, v34
	s_waitcnt lgkmcnt(0)
	v_cmp_gt_f64_e32 vcc, v[30:31], v[32:33]
	v_cndmask_b32_e32 v28, v28, v34, vcc
	v_cndmask_b32_e32 v25, v35, v25, vcc
	v_cmp_ge_u32_e32 vcc, v25, v28
	s_or_b64 s[2:3], vcc, s[2:3]
	s_andn2_b64 exec, exec, s[2:3]
	s_cbranch_execnz .LBB3606_48
; %bb.49:
	s_or_b64 exec, exec, s[2:3]
.LBB3606_50:
	s_or_b64 exec, exec, s[0:1]
	v_sub_u32_e32 v27, v27, v25
	v_add_u32_e32 v26, v25, v26
	v_add_u32_e32 v27, v27, v23
	v_cmp_le_u32_e32 vcc, v26, v23
	v_cmp_le_u32_e64 s[0:1], v27, v22
	s_or_b64 s[0:1], vcc, s[0:1]
	s_and_saveexec_b64 s[16:17], s[0:1]
	s_cbranch_execz .LBB3606_56
; %bb.51:
	v_cmp_lt_u32_e32 vcc, v26, v23
                                        ; implicit-def: $vgpr0_vgpr1
	s_and_saveexec_b64 s[0:1], vcc
	s_cbranch_execz .LBB3606_53
; %bb.52:
	v_lshl_add_u32 v0, v25, 3, v24
	ds_read_b64 v[0:1], v0
.LBB3606_53:
	s_or_b64 exec, exec, s[0:1]
	v_cmp_ge_u32_e64 s[0:1], v27, v22
	v_cmp_lt_u32_e64 s[2:3], v27, v22
                                        ; implicit-def: $vgpr2_vgpr3
	s_and_saveexec_b64 s[4:5], s[2:3]
	s_cbranch_execz .LBB3606_55
; %bb.54:
	v_lshlrev_b32_e32 v2, 3, v27
	ds_read_b64 v[2:3], v2
.LBB3606_55:
	s_or_b64 exec, exec, s[4:5]
	s_waitcnt lgkmcnt(0)
	v_cmp_ngt_f64_e64 s[2:3], v[0:1], v[2:3]
	s_and_b64 s[2:3], vcc, s[2:3]
	s_or_b64 vcc, s[0:1], s[2:3]
	v_cndmask_b32_e32 v4, v27, v26, vcc
	v_cndmask_b32_e32 v5, v22, v23, vcc
	v_add_u32_e32 v24, 1, v4
	v_add_u32_e32 v4, -1, v5
	v_min_u32_e32 v4, v24, v4
	v_lshlrev_b32_e32 v4, 3, v4
	ds_read_b64 v[4:5], v4
	v_cndmask_b32_e32 v29, v26, v24, vcc
	v_cndmask_b32_e32 v28, v24, v27, vcc
	v_cmp_lt_u32_e64 s[2:3], v29, v23
	v_cmp_ge_u32_e64 s[0:1], v28, v22
	s_waitcnt lgkmcnt(0)
	v_cndmask_b32_e32 v7, v5, v3, vcc
	v_cndmask_b32_e32 v6, v4, v2, vcc
	;; [unrolled: 1-line block ×4, first 2 shown]
	v_cmp_ngt_f64_e64 s[4:5], v[4:5], v[6:7]
	s_and_b64 s[2:3], s[2:3], s[4:5]
	s_or_b64 s[0:1], s[0:1], s[2:3]
	v_cndmask_b32_e64 v24, v28, v29, s[0:1]
	v_cndmask_b32_e64 v25, v22, v23, s[0:1]
	v_add_u32_e32 v30, 1, v24
	v_add_u32_e32 v24, -1, v25
	v_min_u32_e32 v24, v30, v24
	v_lshlrev_b32_e32 v24, 3, v24
	ds_read_b64 v[24:25], v24
	v_cndmask_b32_e64 v31, v30, v28, s[0:1]
	v_cndmask_b32_e64 v30, v29, v30, s[0:1]
	v_cmp_lt_u32_e64 s[2:3], v30, v23
	v_cndmask_b32_e32 v1, v3, v1, vcc
	s_waitcnt lgkmcnt(0)
	v_cndmask_b32_e64 v27, v25, v7, s[0:1]
	v_cndmask_b32_e64 v26, v24, v6, s[0:1]
	;; [unrolled: 1-line block ×4, first 2 shown]
	v_cmp_ngt_f64_e64 s[4:5], v[24:25], v[26:27]
	v_cndmask_b32_e32 v0, v2, v0, vcc
	v_cmp_ge_u32_e32 vcc, v31, v22
	s_and_b64 s[2:3], s[2:3], s[4:5]
	s_or_b64 vcc, vcc, s[2:3]
	v_cndmask_b32_e32 v2, v31, v30, vcc
	v_cndmask_b32_e32 v3, v22, v23, vcc
	v_add_u32_e32 v32, 1, v2
	v_add_u32_e32 v2, -1, v3
	v_min_u32_e32 v2, v32, v2
	v_lshlrev_b32_e32 v2, 3, v2
	ds_read_b64 v[28:29], v2
	v_cndmask_b32_e64 v3, v7, v5, s[0:1]
	v_cndmask_b32_e64 v2, v6, v4, s[0:1]
	v_cndmask_b32_e32 v5, v27, v25, vcc
	v_cndmask_b32_e32 v4, v26, v24, vcc
	s_waitcnt lgkmcnt(0)
	v_cndmask_b32_e32 v7, v25, v29, vcc
	v_cndmask_b32_e32 v6, v24, v28, vcc
	;; [unrolled: 1-line block ×6, first 2 shown]
	v_cmp_lt_u32_e32 vcc, v26, v23
	v_cmp_ngt_f64_e64 s[0:1], v[6:7], v[24:25]
	s_and_b64 vcc, vcc, s[0:1]
	v_cndmask_b32_e32 v23, v24, v6, vcc
	v_cndmask_b32_e32 v24, v25, v7, vcc
	v_cmp_lt_u32_e32 vcc, v31, v22
	v_cndmask_b32_e32 v7, v7, v24, vcc
	v_cndmask_b32_e32 v6, v6, v23, vcc
.LBB3606_56:
	s_or_b64 exec, exec, s[16:17]
	v_and_b32_e32 v26, 0xf00, v11
	v_or_b32_e32 v22, 0x80, v26
	v_min_u32_e32 v23, 0x400, v22
	v_min_u32_e32 v22, 0x380, v22
	v_add_u32_e32 v22, 0x80, v22
	v_and_b32_e32 v27, 0xfc, v11
	v_sub_u32_e32 v28, v23, v26
	v_sub_u32_e32 v25, v22, v23
	v_sub_u32_e64 v25, v27, v25 clamp
	v_min_u32_e32 v28, v27, v28
	v_lshlrev_b32_e32 v24, 3, v26
	v_cmp_lt_u32_e32 vcc, v25, v28
	s_barrier
	ds_write_b128 v21, v[0:3]
	ds_write_b128 v21, v[4:7] offset:16
	s_waitcnt lgkmcnt(0)
	s_barrier
	s_and_saveexec_b64 s[0:1], vcc
	s_cbranch_execz .LBB3606_60
; %bb.57:
	v_lshlrev_b32_e32 v29, 3, v27
	v_lshl_add_u32 v29, v23, 3, v29
	s_mov_b64 s[2:3], 0
.LBB3606_58:                            ; =>This Inner Loop Header: Depth=1
	v_add_u32_e32 v30, v28, v25
	v_lshrrev_b32_e32 v34, 1, v30
	v_not_b32_e32 v30, v34
	v_lshl_add_u32 v31, v34, 3, v24
	v_lshl_add_u32 v32, v30, 3, v29
	ds_read_b64 v[30:31], v31
	ds_read_b64 v[32:33], v32
	v_add_u32_e32 v35, 1, v34
	s_waitcnt lgkmcnt(0)
	v_cmp_gt_f64_e32 vcc, v[30:31], v[32:33]
	v_cndmask_b32_e32 v28, v28, v34, vcc
	v_cndmask_b32_e32 v25, v35, v25, vcc
	v_cmp_ge_u32_e32 vcc, v25, v28
	s_or_b64 s[2:3], vcc, s[2:3]
	s_andn2_b64 exec, exec, s[2:3]
	s_cbranch_execnz .LBB3606_58
; %bb.59:
	s_or_b64 exec, exec, s[2:3]
.LBB3606_60:
	s_or_b64 exec, exec, s[0:1]
	v_sub_u32_e32 v27, v27, v25
	v_add_u32_e32 v26, v25, v26
	v_add_u32_e32 v27, v27, v23
	v_cmp_le_u32_e32 vcc, v26, v23
	v_cmp_le_u32_e64 s[0:1], v27, v22
	s_or_b64 s[0:1], vcc, s[0:1]
	s_and_saveexec_b64 s[16:17], s[0:1]
	s_cbranch_execz .LBB3606_66
; %bb.61:
	v_cmp_lt_u32_e32 vcc, v26, v23
                                        ; implicit-def: $vgpr0_vgpr1
	s_and_saveexec_b64 s[0:1], vcc
	s_cbranch_execz .LBB3606_63
; %bb.62:
	v_lshl_add_u32 v0, v25, 3, v24
	ds_read_b64 v[0:1], v0
.LBB3606_63:
	s_or_b64 exec, exec, s[0:1]
	v_cmp_ge_u32_e64 s[0:1], v27, v22
	v_cmp_lt_u32_e64 s[2:3], v27, v22
                                        ; implicit-def: $vgpr2_vgpr3
	s_and_saveexec_b64 s[4:5], s[2:3]
	s_cbranch_execz .LBB3606_65
; %bb.64:
	v_lshlrev_b32_e32 v2, 3, v27
	ds_read_b64 v[2:3], v2
.LBB3606_65:
	s_or_b64 exec, exec, s[4:5]
	s_waitcnt lgkmcnt(0)
	v_cmp_ngt_f64_e64 s[2:3], v[0:1], v[2:3]
	s_and_b64 s[2:3], vcc, s[2:3]
	s_or_b64 vcc, s[0:1], s[2:3]
	v_cndmask_b32_e32 v4, v27, v26, vcc
	v_cndmask_b32_e32 v5, v22, v23, vcc
	v_add_u32_e32 v24, 1, v4
	v_add_u32_e32 v4, -1, v5
	v_min_u32_e32 v4, v24, v4
	v_lshlrev_b32_e32 v4, 3, v4
	ds_read_b64 v[4:5], v4
	v_cndmask_b32_e32 v29, v26, v24, vcc
	v_cndmask_b32_e32 v28, v24, v27, vcc
	v_cmp_lt_u32_e64 s[2:3], v29, v23
	v_cmp_ge_u32_e64 s[0:1], v28, v22
	s_waitcnt lgkmcnt(0)
	v_cndmask_b32_e32 v7, v5, v3, vcc
	v_cndmask_b32_e32 v6, v4, v2, vcc
	;; [unrolled: 1-line block ×4, first 2 shown]
	v_cmp_ngt_f64_e64 s[4:5], v[4:5], v[6:7]
	s_and_b64 s[2:3], s[2:3], s[4:5]
	s_or_b64 s[0:1], s[0:1], s[2:3]
	v_cndmask_b32_e64 v24, v28, v29, s[0:1]
	v_cndmask_b32_e64 v25, v22, v23, s[0:1]
	v_add_u32_e32 v30, 1, v24
	v_add_u32_e32 v24, -1, v25
	v_min_u32_e32 v24, v30, v24
	v_lshlrev_b32_e32 v24, 3, v24
	ds_read_b64 v[24:25], v24
	v_cndmask_b32_e64 v31, v30, v28, s[0:1]
	v_cndmask_b32_e64 v30, v29, v30, s[0:1]
	v_cmp_lt_u32_e64 s[2:3], v30, v23
	v_cndmask_b32_e32 v1, v3, v1, vcc
	s_waitcnt lgkmcnt(0)
	v_cndmask_b32_e64 v27, v25, v7, s[0:1]
	v_cndmask_b32_e64 v26, v24, v6, s[0:1]
	;; [unrolled: 1-line block ×4, first 2 shown]
	v_cmp_ngt_f64_e64 s[4:5], v[24:25], v[26:27]
	v_cndmask_b32_e32 v0, v2, v0, vcc
	v_cmp_ge_u32_e32 vcc, v31, v22
	s_and_b64 s[2:3], s[2:3], s[4:5]
	s_or_b64 vcc, vcc, s[2:3]
	v_cndmask_b32_e32 v2, v31, v30, vcc
	v_cndmask_b32_e32 v3, v22, v23, vcc
	v_add_u32_e32 v32, 1, v2
	v_add_u32_e32 v2, -1, v3
	v_min_u32_e32 v2, v32, v2
	v_lshlrev_b32_e32 v2, 3, v2
	ds_read_b64 v[28:29], v2
	v_cndmask_b32_e64 v3, v7, v5, s[0:1]
	v_cndmask_b32_e64 v2, v6, v4, s[0:1]
	v_cndmask_b32_e32 v5, v27, v25, vcc
	v_cndmask_b32_e32 v4, v26, v24, vcc
	s_waitcnt lgkmcnt(0)
	v_cndmask_b32_e32 v7, v25, v29, vcc
	v_cndmask_b32_e32 v6, v24, v28, vcc
	;; [unrolled: 1-line block ×6, first 2 shown]
	v_cmp_lt_u32_e32 vcc, v26, v23
	v_cmp_ngt_f64_e64 s[0:1], v[6:7], v[24:25]
	s_and_b64 vcc, vcc, s[0:1]
	v_cndmask_b32_e32 v23, v24, v6, vcc
	v_cndmask_b32_e32 v24, v25, v7, vcc
	v_cmp_lt_u32_e32 vcc, v31, v22
	v_cndmask_b32_e32 v7, v7, v24, vcc
	v_cndmask_b32_e32 v6, v6, v23, vcc
.LBB3606_66:
	s_or_b64 exec, exec, s[16:17]
	v_and_b32_e32 v26, 0xe00, v11
	v_or_b32_e32 v22, 0x100, v26
	v_min_u32_e32 v23, 0x400, v22
	v_min_u32_e32 v22, 0x300, v22
	v_add_u32_e32 v22, 0x100, v22
	v_and_b32_e32 v27, 0x1fc, v11
	v_sub_u32_e32 v28, v23, v26
	v_sub_u32_e32 v25, v22, v23
	v_sub_u32_e64 v25, v27, v25 clamp
	v_min_u32_e32 v28, v27, v28
	v_lshlrev_b32_e32 v24, 3, v26
	v_cmp_lt_u32_e32 vcc, v25, v28
	s_barrier
	ds_write_b128 v21, v[0:3]
	ds_write_b128 v21, v[4:7] offset:16
	s_waitcnt lgkmcnt(0)
	s_barrier
	s_and_saveexec_b64 s[0:1], vcc
	s_cbranch_execz .LBB3606_70
; %bb.67:
	v_lshlrev_b32_e32 v29, 3, v27
	v_lshl_add_u32 v29, v23, 3, v29
	s_mov_b64 s[2:3], 0
.LBB3606_68:                            ; =>This Inner Loop Header: Depth=1
	v_add_u32_e32 v30, v28, v25
	v_lshrrev_b32_e32 v34, 1, v30
	v_not_b32_e32 v30, v34
	v_lshl_add_u32 v31, v34, 3, v24
	v_lshl_add_u32 v32, v30, 3, v29
	ds_read_b64 v[30:31], v31
	ds_read_b64 v[32:33], v32
	v_add_u32_e32 v35, 1, v34
	s_waitcnt lgkmcnt(0)
	v_cmp_gt_f64_e32 vcc, v[30:31], v[32:33]
	v_cndmask_b32_e32 v28, v28, v34, vcc
	v_cndmask_b32_e32 v25, v35, v25, vcc
	v_cmp_ge_u32_e32 vcc, v25, v28
	s_or_b64 s[2:3], vcc, s[2:3]
	s_andn2_b64 exec, exec, s[2:3]
	s_cbranch_execnz .LBB3606_68
; %bb.69:
	s_or_b64 exec, exec, s[2:3]
.LBB3606_70:
	s_or_b64 exec, exec, s[0:1]
	v_sub_u32_e32 v27, v27, v25
	v_add_u32_e32 v26, v25, v26
	v_add_u32_e32 v27, v27, v23
	v_cmp_le_u32_e32 vcc, v26, v23
	v_cmp_le_u32_e64 s[0:1], v27, v22
	s_or_b64 s[0:1], vcc, s[0:1]
	s_and_saveexec_b64 s[16:17], s[0:1]
	s_cbranch_execz .LBB3606_76
; %bb.71:
	v_cmp_lt_u32_e32 vcc, v26, v23
                                        ; implicit-def: $vgpr0_vgpr1
	s_and_saveexec_b64 s[0:1], vcc
	s_cbranch_execz .LBB3606_73
; %bb.72:
	v_lshl_add_u32 v0, v25, 3, v24
	ds_read_b64 v[0:1], v0
.LBB3606_73:
	s_or_b64 exec, exec, s[0:1]
	v_cmp_ge_u32_e64 s[0:1], v27, v22
	v_cmp_lt_u32_e64 s[2:3], v27, v22
                                        ; implicit-def: $vgpr2_vgpr3
	s_and_saveexec_b64 s[4:5], s[2:3]
	s_cbranch_execz .LBB3606_75
; %bb.74:
	v_lshlrev_b32_e32 v2, 3, v27
	ds_read_b64 v[2:3], v2
.LBB3606_75:
	s_or_b64 exec, exec, s[4:5]
	s_waitcnt lgkmcnt(0)
	v_cmp_ngt_f64_e64 s[2:3], v[0:1], v[2:3]
	s_and_b64 s[2:3], vcc, s[2:3]
	s_or_b64 vcc, s[0:1], s[2:3]
	v_cndmask_b32_e32 v4, v27, v26, vcc
	v_cndmask_b32_e32 v5, v22, v23, vcc
	v_add_u32_e32 v24, 1, v4
	v_add_u32_e32 v4, -1, v5
	v_min_u32_e32 v4, v24, v4
	v_lshlrev_b32_e32 v4, 3, v4
	ds_read_b64 v[4:5], v4
	v_cndmask_b32_e32 v29, v26, v24, vcc
	v_cndmask_b32_e32 v28, v24, v27, vcc
	v_cmp_lt_u32_e64 s[2:3], v29, v23
	v_cmp_ge_u32_e64 s[0:1], v28, v22
	s_waitcnt lgkmcnt(0)
	v_cndmask_b32_e32 v7, v5, v3, vcc
	v_cndmask_b32_e32 v6, v4, v2, vcc
	;; [unrolled: 1-line block ×4, first 2 shown]
	v_cmp_ngt_f64_e64 s[4:5], v[4:5], v[6:7]
	s_and_b64 s[2:3], s[2:3], s[4:5]
	s_or_b64 s[0:1], s[0:1], s[2:3]
	v_cndmask_b32_e64 v24, v28, v29, s[0:1]
	v_cndmask_b32_e64 v25, v22, v23, s[0:1]
	v_add_u32_e32 v30, 1, v24
	v_add_u32_e32 v24, -1, v25
	v_min_u32_e32 v24, v30, v24
	v_lshlrev_b32_e32 v24, 3, v24
	ds_read_b64 v[24:25], v24
	v_cndmask_b32_e64 v31, v30, v28, s[0:1]
	v_cndmask_b32_e64 v30, v29, v30, s[0:1]
	v_cmp_lt_u32_e64 s[2:3], v30, v23
	v_cndmask_b32_e32 v1, v3, v1, vcc
	s_waitcnt lgkmcnt(0)
	v_cndmask_b32_e64 v27, v25, v7, s[0:1]
	v_cndmask_b32_e64 v26, v24, v6, s[0:1]
	;; [unrolled: 1-line block ×4, first 2 shown]
	v_cmp_ngt_f64_e64 s[4:5], v[24:25], v[26:27]
	v_cndmask_b32_e32 v0, v2, v0, vcc
	v_cmp_ge_u32_e32 vcc, v31, v22
	s_and_b64 s[2:3], s[2:3], s[4:5]
	s_or_b64 vcc, vcc, s[2:3]
	v_cndmask_b32_e32 v2, v31, v30, vcc
	v_cndmask_b32_e32 v3, v22, v23, vcc
	v_add_u32_e32 v32, 1, v2
	v_add_u32_e32 v2, -1, v3
	v_min_u32_e32 v2, v32, v2
	v_lshlrev_b32_e32 v2, 3, v2
	ds_read_b64 v[28:29], v2
	v_cndmask_b32_e64 v3, v7, v5, s[0:1]
	v_cndmask_b32_e64 v2, v6, v4, s[0:1]
	v_cndmask_b32_e32 v5, v27, v25, vcc
	v_cndmask_b32_e32 v4, v26, v24, vcc
	s_waitcnt lgkmcnt(0)
	v_cndmask_b32_e32 v7, v25, v29, vcc
	v_cndmask_b32_e32 v6, v24, v28, vcc
	;; [unrolled: 1-line block ×6, first 2 shown]
	v_cmp_lt_u32_e32 vcc, v26, v23
	v_cmp_ngt_f64_e64 s[0:1], v[6:7], v[24:25]
	s_and_b64 vcc, vcc, s[0:1]
	v_cndmask_b32_e32 v23, v24, v6, vcc
	v_cndmask_b32_e32 v24, v25, v7, vcc
	v_cmp_lt_u32_e32 vcc, v31, v22
	v_cndmask_b32_e32 v7, v7, v24, vcc
	v_cndmask_b32_e32 v6, v6, v23, vcc
.LBB3606_76:
	s_or_b64 exec, exec, s[16:17]
	v_and_b32_e32 v24, 0xc00, v11
	s_barrier
	ds_write_b128 v21, v[0:3]
	ds_write_b128 v21, v[4:7] offset:16
	v_or_b32_e32 v21, 0x200, v24
	v_min_u32_e32 v21, 0x400, v21
	v_and_b32_e32 v25, 0x3fc, v11
	v_sub_u32_e32 v26, v21, v24
	v_sub_u32_e32 v23, 0x400, v21
	v_sub_u32_e64 v23, v25, v23 clamp
	v_min_u32_e32 v26, v25, v26
	v_lshlrev_b32_e32 v22, 3, v24
	v_cmp_lt_u32_e32 vcc, v23, v26
	s_waitcnt lgkmcnt(0)
	s_barrier
	s_and_saveexec_b64 s[0:1], vcc
	s_cbranch_execz .LBB3606_80
; %bb.77:
	v_lshlrev_b32_e32 v27, 3, v25
	v_lshl_add_u32 v27, v21, 3, v27
	s_mov_b64 s[2:3], 0
.LBB3606_78:                            ; =>This Inner Loop Header: Depth=1
	v_add_u32_e32 v28, v26, v23
	v_lshrrev_b32_e32 v32, 1, v28
	v_not_b32_e32 v28, v32
	v_lshl_add_u32 v29, v32, 3, v22
	v_lshl_add_u32 v30, v28, 3, v27
	ds_read_b64 v[28:29], v29
	ds_read_b64 v[30:31], v30
	v_add_u32_e32 v33, 1, v32
	s_waitcnt lgkmcnt(0)
	v_cmp_gt_f64_e32 vcc, v[28:29], v[30:31]
	v_cndmask_b32_e32 v26, v26, v32, vcc
	v_cndmask_b32_e32 v23, v33, v23, vcc
	v_cmp_ge_u32_e32 vcc, v23, v26
	s_or_b64 s[2:3], vcc, s[2:3]
	s_andn2_b64 exec, exec, s[2:3]
	s_cbranch_execnz .LBB3606_78
; %bb.79:
	s_or_b64 exec, exec, s[2:3]
.LBB3606_80:
	s_or_b64 exec, exec, s[0:1]
	v_sub_u32_e32 v25, v25, v23
	v_add_u32_e32 v24, v23, v24
	v_add_u32_e32 v25, v25, v21
	s_movk_i32 s0, 0x401
	v_cmp_le_u32_e32 vcc, v24, v21
	v_cmp_gt_u32_e64 s[0:1], s0, v25
	s_or_b64 s[0:1], vcc, s[0:1]
	s_and_saveexec_b64 s[16:17], s[0:1]
	s_cbranch_execz .LBB3606_86
; %bb.81:
	v_cmp_lt_u32_e32 vcc, v24, v21
                                        ; implicit-def: $vgpr0_vgpr1
	s_and_saveexec_b64 s[0:1], vcc
	s_cbranch_execz .LBB3606_83
; %bb.82:
	v_lshl_add_u32 v0, v23, 3, v22
	ds_read_b64 v[0:1], v0
.LBB3606_83:
	s_or_b64 exec, exec, s[0:1]
	s_movk_i32 s20, 0x3ff
	s_movk_i32 s19, 0x400
	v_cmp_lt_u32_e64 s[0:1], s20, v25
	v_cmp_gt_u32_e64 s[2:3], s19, v25
                                        ; implicit-def: $vgpr2_vgpr3
	s_and_saveexec_b64 s[4:5], s[2:3]
	s_cbranch_execz .LBB3606_85
; %bb.84:
	v_lshlrev_b32_e32 v2, 3, v25
	ds_read_b64 v[2:3], v2
.LBB3606_85:
	s_or_b64 exec, exec, s[4:5]
	s_waitcnt lgkmcnt(0)
	v_cmp_ngt_f64_e64 s[2:3], v[0:1], v[2:3]
	s_and_b64 s[2:3], vcc, s[2:3]
	s_or_b64 vcc, s[0:1], s[2:3]
	v_cndmask_b32_e32 v4, v25, v24, vcc
	v_add_u32_e32 v26, -1, v21
	v_mov_b32_e32 v27, 0x3ff
	v_add_u32_e32 v22, 1, v4
	v_cndmask_b32_e32 v4, v27, v26, vcc
	v_min_u32_e32 v4, v22, v4
	v_lshlrev_b32_e32 v4, 3, v4
	ds_read_b64 v[4:5], v4
	v_cndmask_b32_e32 v29, v24, v22, vcc
	v_cndmask_b32_e32 v28, v22, v25, vcc
	v_cmp_lt_u32_e64 s[2:3], v29, v21
	v_cmp_lt_u32_e64 s[0:1], s20, v28
	s_waitcnt lgkmcnt(0)
	v_cndmask_b32_e32 v7, v5, v3, vcc
	v_cndmask_b32_e32 v6, v4, v2, vcc
	;; [unrolled: 1-line block ×4, first 2 shown]
	v_cmp_ngt_f64_e64 s[4:5], v[4:5], v[6:7]
	s_and_b64 s[2:3], s[2:3], s[4:5]
	s_or_b64 s[0:1], s[0:1], s[2:3]
	v_cndmask_b32_e64 v22, v28, v29, s[0:1]
	v_add_u32_e32 v30, 1, v22
	v_cndmask_b32_e64 v22, v27, v26, s[0:1]
	v_min_u32_e32 v22, v30, v22
	v_lshlrev_b32_e32 v22, 3, v22
	ds_read_b64 v[22:23], v22
	v_cndmask_b32_e64 v29, v29, v30, s[0:1]
	v_cndmask_b32_e64 v28, v30, v28, s[0:1]
	v_cmp_lt_u32_e64 s[2:3], v29, v21
	v_cndmask_b32_e32 v1, v3, v1, vcc
	s_waitcnt lgkmcnt(0)
	v_cndmask_b32_e64 v25, v23, v7, s[0:1]
	v_cndmask_b32_e64 v24, v22, v6, s[0:1]
	;; [unrolled: 1-line block ×4, first 2 shown]
	v_cmp_ngt_f64_e64 s[4:5], v[22:23], v[24:25]
	v_cndmask_b32_e32 v0, v2, v0, vcc
	v_cmp_lt_u32_e32 vcc, s20, v28
	s_and_b64 s[2:3], s[2:3], s[4:5]
	s_or_b64 vcc, vcc, s[2:3]
	v_cndmask_b32_e32 v2, v28, v29, vcc
	v_add_u32_e32 v30, 1, v2
	v_cndmask_b32_e32 v2, v27, v26, vcc
	v_min_u32_e32 v2, v30, v2
	v_lshlrev_b32_e32 v2, 3, v2
	ds_read_b64 v[26:27], v2
	v_cndmask_b32_e64 v3, v7, v5, s[0:1]
	v_cndmask_b32_e64 v2, v6, v4, s[0:1]
	v_cndmask_b32_e32 v5, v25, v23, vcc
	v_cndmask_b32_e32 v4, v24, v22, vcc
	s_waitcnt lgkmcnt(0)
	v_cndmask_b32_e32 v7, v23, v27, vcc
	v_cndmask_b32_e32 v6, v22, v26, vcc
	;; [unrolled: 1-line block ×6, first 2 shown]
	v_cmp_lt_u32_e32 vcc, v24, v21
	v_cmp_ngt_f64_e64 s[0:1], v[6:7], v[22:23]
	s_and_b64 vcc, vcc, s[0:1]
	v_cndmask_b32_e32 v21, v22, v6, vcc
	v_cndmask_b32_e32 v22, v23, v7, vcc
	v_cmp_gt_u32_e32 vcc, s19, v28
	v_cndmask_b32_e32 v7, v7, v22, vcc
	v_cndmask_b32_e32 v6, v6, v21, vcc
.LBB3606_86:
	s_or_b64 exec, exec, s[16:17]
	s_barrier
	s_barrier
	ds_write2_b64 v17, v[0:1], v[2:3] offset1:1
	ds_write2_b64 v17, v[4:5], v[6:7] offset0:2 offset1:3
	s_waitcnt lgkmcnt(0)
	s_barrier
	ds_read_b64 v[2:3], v16
	ds_read_b64 v[4:5], v18 offset:2048
	ds_read_b64 v[6:7], v19 offset:4096
	;; [unrolled: 1-line block ×3, first 2 shown]
	v_mov_b32_e32 v17, s18
	v_add_co_u32_e32 v16, vcc, s15, v10
	v_addc_co_u32_e32 v17, vcc, 0, v17, vcc
	s_waitcnt lgkmcnt(3)
	flat_store_dwordx2 v[16:17], v[2:3]
	s_waitcnt lgkmcnt(0)
	flat_store_dwordx2 v[16:17], v[4:5] offset:2048
	v_add_co_u32_e32 v2, vcc, 0x1000, v16
	v_addc_co_u32_e32 v3, vcc, 0, v17, vcc
	flat_store_dwordx2 v[2:3], v[6:7]
	s_mov_b64 s[16:17], -1
	s_branch .LBB3606_154
.LBB3606_87:
	s_mov_b64 s[16:17], 0
                                        ; implicit-def: $vgpr0_vgpr1
	s_cbranch_execz .LBB3606_154
; %bb.88:
	s_lshl_b64 s[0:1], s[8:9], 10
	s_sub_i32 s14, s14, s0
	v_cmp_gt_u32_e32 vcc, s14, v8
                                        ; implicit-def: $vgpr0_vgpr1_vgpr2_vgpr3_vgpr4_vgpr5_vgpr6_vgpr7
	s_and_saveexec_b64 s[2:3], vcc
	s_cbranch_execz .LBB3606_90
; %bb.89:
	v_mov_b32_e32 v1, s13
	v_add_co_u32_e64 v0, s[0:1], s7, v10
	v_addc_co_u32_e64 v1, s[0:1], 0, v1, s[0:1]
	flat_load_dwordx2 v[0:1], v[0:1]
.LBB3606_90:
	s_or_b64 exec, exec, s[2:3]
	v_add_u32_e32 v9, 0x100, v8
	v_cmp_gt_u32_e64 s[0:1], s14, v9
	s_and_saveexec_b64 s[4:5], s[0:1]
	s_cbranch_execz .LBB3606_92
; %bb.91:
	v_mov_b32_e32 v3, s13
	v_add_co_u32_e64 v2, s[2:3], s7, v10
	v_addc_co_u32_e64 v3, s[2:3], 0, v3, s[2:3]
	flat_load_dwordx2 v[2:3], v[2:3] offset:2048
.LBB3606_92:
	s_or_b64 exec, exec, s[4:5]
	v_add_u32_e32 v16, 0x200, v8
	v_cmp_gt_u32_e64 s[2:3], s14, v16
	s_and_saveexec_b64 s[8:9], s[2:3]
	s_cbranch_execz .LBB3606_94
; %bb.93:
	v_lshlrev_b32_e32 v4, 3, v16
	v_mov_b32_e32 v5, s13
	v_add_co_u32_e64 v4, s[4:5], s7, v4
	v_addc_co_u32_e64 v5, s[4:5], 0, v5, s[4:5]
	flat_load_dwordx2 v[4:5], v[4:5]
.LBB3606_94:
	s_or_b64 exec, exec, s[8:9]
	v_add_u32_e32 v17, 0x300, v8
	v_cmp_gt_u32_e64 s[16:17], s14, v17
	s_and_saveexec_b64 s[8:9], s[16:17]
	s_cbranch_execz .LBB3606_96
; %bb.95:
	v_lshlrev_b32_e32 v6, 3, v17
	v_mov_b32_e32 v7, s13
	v_add_co_u32_e64 v6, s[4:5], s7, v6
	v_addc_co_u32_e64 v7, s[4:5], 0, v7, s[4:5]
	flat_load_dwordx2 v[6:7], v[6:7]
.LBB3606_96:
	s_or_b64 exec, exec, s[8:9]
	v_and_b32_e32 v15, 0xf8, v15
	v_add_u32_e32 v15, v15, v10
	s_waitcnt vmcnt(0) lgkmcnt(0)
	ds_write_b64 v15, v[0:1]
	v_lshrrev_b32_e32 v0, 2, v9
	v_and_b32_e32 v0, 0x1f8, v0
	v_add_u32_e32 v9, v0, v10
	v_lshrrev_b32_e32 v0, 2, v16
	v_and_b32_e32 v0, 0x1f8, v0
	v_add_u32_e32 v16, v0, v10
	v_lshrrev_b32_e32 v0, 2, v17
	v_and_b32_e32 v0, 0x1f8, v0
	v_add_u32_e32 v17, v0, v10
	v_add_lshl_u32 v14, v14, v11, 3
	ds_write_b64 v9, v[2:3] offset:2048
	ds_write_b64 v16, v[4:5] offset:4096
	;; [unrolled: 1-line block ×3, first 2 shown]
	s_waitcnt lgkmcnt(0)
	s_barrier
	ds_read2_b64 v[0:3], v14 offset1:1
	ds_read2_b64 v[4:7], v14 offset0:2 offset1:3
	s_waitcnt lgkmcnt(0)
	s_barrier
	s_load_dword s4, s[10:11], 0xc
	v_mov_b32_e32 v18, 0
	s_waitcnt lgkmcnt(0)
	s_lshr_b32 s8, s4, 16
	s_cmp_lt_u32 s6, s12
	s_cselect_b32 s4, 12, 18
	s_add_u32 s4, s10, s4
	s_addc_u32 s5, s11, 0
	global_load_ushort v19, v18, s[4:5]
	v_mad_u32_u24 v12, v13, s8, v12
	v_mbcnt_lo_u32_b32 v18, -1, 0
	v_mbcnt_hi_u32_b32 v18, -1, v18
	v_cmp_gt_f64_e64 s[4:5], v[0:1], v[2:3]
	v_cmp_gt_f64_e64 s[6:7], v[4:5], v[6:7]
	v_lshlrev_b32_e32 v20, 5, v18
	v_lshlrev_b32_e32 v18, 2, v18
	v_or_b32_e32 v21, 4, v18
	v_and_b32_e32 v22, 0x1f8, v18
	v_and_b32_e32 v23, 4, v18
	s_waitcnt vmcnt(0)
	v_mul_lo_u32 v12, v12, v19
	v_add_lshl_u32 v12, v12, v8, 2
	v_sub_u32_e64 v13, s14, v12 clamp
	v_cmp_lt_u32_e64 s[8:9], 1, v13
	v_cmp_lt_u32_e64 s[10:11], 3, v13
	v_and_b32_e32 v12, 0xffffff00, v12
	s_and_b64 s[4:5], s[8:9], s[4:5]
	s_and_b64 s[6:7], s[10:11], s[6:7]
	v_cmp_lt_u32_e64 s[12:13], 2, v13
	v_sub_u32_e64 v13, s14, v12 clamp
	v_lshlrev_b32_e32 v12, 3, v12
	v_cndmask_b32_e64 v29, v1, v3, s[4:5]
	v_cndmask_b32_e64 v28, v0, v2, s[4:5]
	;; [unrolled: 1-line block ×6, first 2 shown]
	v_add_u32_e32 v19, v12, v20
	v_min_u32_e32 v20, v13, v21
	v_cmp_gt_f64_e64 s[4:5], v[0:1], v[2:3]
	v_cndmask_b32_e64 v31, v7, v5, s[6:7]
	v_min_u32_e32 v25, v13, v23
	v_cndmask_b32_e64 v30, v6, v4, s[6:7]
	v_add_u32_e32 v4, 4, v20
	v_sub_u32_e32 v5, v20, v22
	s_and_b64 s[4:5], s[12:13], s[4:5]
	v_min_u32_e32 v21, v13, v4
	v_min_u32_e32 v26, v25, v5
	v_cndmask_b32_e64 v5, v3, v1, s[4:5]
	v_cndmask_b32_e64 v4, v2, v0, s[4:5]
	;; [unrolled: 1-line block ×4, first 2 shown]
	v_cmp_gt_f64_e64 s[4:5], v[28:29], v[2:3]
	v_cmp_gt_f64_e64 s[6:7], v[4:5], v[30:31]
	v_sub_u32_e32 v6, v21, v20
	s_and_b64 s[4:5], s[8:9], s[4:5]
	s_and_b64 s[6:7], s[10:11], s[6:7]
	v_sub_u32_e64 v24, v25, v6 clamp
	v_cndmask_b32_e64 v1, v29, v3, s[4:5]
	v_cndmask_b32_e64 v7, v31, v5, s[6:7]
	;; [unrolled: 1-line block ×8, first 2 shown]
	v_cmp_gt_f64_e64 s[4:5], v[28:29], v[4:5]
	s_and_b64 s[4:5], s[12:13], s[4:5]
	v_lshl_add_u32 v23, v22, 3, v12
	v_cndmask_b32_e64 v3, v29, v5, s[4:5]
	v_cndmask_b32_e64 v2, v28, v4, s[4:5]
	;; [unrolled: 1-line block ×4, first 2 shown]
	v_cmp_lt_u32_e64 s[4:5], v24, v26
	ds_write_b128 v19, v[0:3]
	ds_write_b128 v19, v[4:7] offset:16
	; wave barrier
	s_and_saveexec_b64 s[6:7], s[4:5]
	s_cbranch_execz .LBB3606_100
; %bb.97:
	v_lshlrev_b32_e32 v27, 3, v20
	v_lshlrev_b32_e32 v28, 3, v25
	v_add3_u32 v27, v12, v27, v28
	s_mov_b64 s[8:9], 0
.LBB3606_98:                            ; =>This Inner Loop Header: Depth=1
	v_add_u32_e32 v28, v26, v24
	v_lshrrev_b32_e32 v32, 1, v28
	v_not_b32_e32 v28, v32
	v_lshl_add_u32 v29, v32, 3, v23
	v_lshl_add_u32 v30, v28, 3, v27
	ds_read_b64 v[28:29], v29
	ds_read_b64 v[30:31], v30
	v_add_u32_e32 v33, 1, v32
	s_waitcnt lgkmcnt(0)
	v_cmp_gt_f64_e64 s[4:5], v[28:29], v[30:31]
	v_cndmask_b32_e64 v26, v26, v32, s[4:5]
	v_cndmask_b32_e64 v24, v33, v24, s[4:5]
	v_cmp_ge_u32_e64 s[4:5], v24, v26
	s_or_b64 s[8:9], s[4:5], s[8:9]
	s_andn2_b64 exec, exec, s[8:9]
	s_cbranch_execnz .LBB3606_98
; %bb.99:
	s_or_b64 exec, exec, s[8:9]
.LBB3606_100:
	s_or_b64 exec, exec, s[6:7]
	v_add_u32_e32 v25, v20, v25
	v_add_u32_e32 v22, v24, v22
	v_sub_u32_e32 v25, v25, v24
	v_cmp_le_u32_e64 s[4:5], v22, v20
	v_cmp_le_u32_e64 s[6:7], v25, v21
	s_or_b64 s[4:5], s[4:5], s[6:7]
	s_and_saveexec_b64 s[12:13], s[4:5]
	s_cbranch_execz .LBB3606_106
; %bb.101:
	v_cmp_lt_u32_e64 s[4:5], v22, v20
                                        ; implicit-def: $vgpr0_vgpr1
	s_and_saveexec_b64 s[6:7], s[4:5]
	s_cbranch_execz .LBB3606_103
; %bb.102:
	v_lshl_add_u32 v0, v24, 3, v23
	ds_read_b64 v[0:1], v0
.LBB3606_103:
	s_or_b64 exec, exec, s[6:7]
	v_cmp_ge_u32_e64 s[6:7], v25, v21
	v_cmp_lt_u32_e64 s[8:9], v25, v21
                                        ; implicit-def: $vgpr2_vgpr3
	s_and_saveexec_b64 s[10:11], s[8:9]
	s_cbranch_execz .LBB3606_105
; %bb.104:
	v_lshl_add_u32 v2, v25, 3, v12
	ds_read_b64 v[2:3], v2
.LBB3606_105:
	s_or_b64 exec, exec, s[10:11]
	s_waitcnt lgkmcnt(0)
	v_cmp_ngt_f64_e64 s[8:9], v[0:1], v[2:3]
	s_and_b64 s[4:5], s[4:5], s[8:9]
	s_or_b64 s[4:5], s[6:7], s[4:5]
	v_cndmask_b32_e64 v4, v25, v22, s[4:5]
	v_cndmask_b32_e64 v5, v21, v20, s[4:5]
	v_add_u32_e32 v23, 1, v4
	v_add_u32_e32 v4, -1, v5
	v_min_u32_e32 v4, v23, v4
	v_lshl_add_u32 v4, v4, 3, v12
	ds_read_b64 v[4:5], v4
	v_cndmask_b32_e64 v27, v22, v23, s[4:5]
	v_cndmask_b32_e64 v26, v23, v25, s[4:5]
	v_cmp_lt_u32_e64 s[8:9], v27, v20
	v_cmp_ge_u32_e64 s[6:7], v26, v21
	s_waitcnt lgkmcnt(0)
	v_cndmask_b32_e64 v7, v5, v3, s[4:5]
	v_cndmask_b32_e64 v6, v4, v2, s[4:5]
	;; [unrolled: 1-line block ×4, first 2 shown]
	v_cmp_ngt_f64_e64 s[10:11], v[4:5], v[6:7]
	s_and_b64 s[8:9], s[8:9], s[10:11]
	s_or_b64 s[6:7], s[6:7], s[8:9]
	v_cndmask_b32_e64 v22, v26, v27, s[6:7]
	v_cndmask_b32_e64 v23, v21, v20, s[6:7]
	v_add_u32_e32 v28, 1, v22
	v_add_u32_e32 v22, -1, v23
	v_min_u32_e32 v22, v28, v22
	v_lshl_add_u32 v22, v22, 3, v12
	ds_read_b64 v[22:23], v22
	v_cndmask_b32_e64 v29, v28, v26, s[6:7]
	v_cndmask_b32_e64 v28, v27, v28, s[6:7]
	v_cmp_lt_u32_e64 s[8:9], v28, v20
	v_cndmask_b32_e64 v1, v3, v1, s[4:5]
	s_waitcnt lgkmcnt(0)
	v_cndmask_b32_e64 v25, v23, v7, s[6:7]
	v_cndmask_b32_e64 v24, v22, v6, s[6:7]
	;; [unrolled: 1-line block ×4, first 2 shown]
	v_cmp_ngt_f64_e64 s[10:11], v[22:23], v[24:25]
	v_cndmask_b32_e64 v0, v2, v0, s[4:5]
	v_cmp_ge_u32_e64 s[4:5], v29, v21
	s_and_b64 s[8:9], s[8:9], s[10:11]
	s_or_b64 s[4:5], s[4:5], s[8:9]
	v_cndmask_b32_e64 v2, v29, v28, s[4:5]
	v_cndmask_b32_e64 v3, v21, v20, s[4:5]
	v_add_u32_e32 v30, 1, v2
	v_add_u32_e32 v2, -1, v3
	v_min_u32_e32 v2, v30, v2
	v_lshl_add_u32 v2, v2, 3, v12
	ds_read_b64 v[26:27], v2
	v_cndmask_b32_e64 v3, v7, v5, s[6:7]
	v_cndmask_b32_e64 v2, v6, v4, s[6:7]
	;; [unrolled: 1-line block ×4, first 2 shown]
	s_waitcnt lgkmcnt(0)
	v_cndmask_b32_e64 v7, v23, v27, s[4:5]
	v_cndmask_b32_e64 v6, v22, v26, s[4:5]
	v_cndmask_b32_e64 v23, v27, v25, s[4:5]
	v_cndmask_b32_e64 v22, v26, v24, s[4:5]
	v_cndmask_b32_e64 v24, v28, v30, s[4:5]
	v_cndmask_b32_e64 v29, v30, v29, s[4:5]
	v_cmp_lt_u32_e64 s[4:5], v24, v20
	v_cmp_ngt_f64_e64 s[6:7], v[6:7], v[22:23]
	s_and_b64 s[4:5], s[4:5], s[6:7]
	v_cndmask_b32_e64 v20, v22, v6, s[4:5]
	v_cndmask_b32_e64 v22, v23, v7, s[4:5]
	v_cmp_lt_u32_e64 s[4:5], v29, v21
	v_cndmask_b32_e64 v7, v7, v22, s[4:5]
	v_cndmask_b32_e64 v6, v6, v20, s[4:5]
.LBB3606_106:
	s_or_b64 exec, exec, s[12:13]
	v_and_b32_e32 v24, 0x1f0, v18
	v_or_b32_e32 v20, 8, v24
	v_min_u32_e32 v21, v13, v20
	v_add_u32_e32 v20, 8, v21
	v_min_u32_e32 v20, v13, v20
	v_and_b32_e32 v22, 12, v18
	v_min_u32_e32 v25, v13, v22
	v_sub_u32_e32 v26, v21, v24
	v_sub_u32_e32 v23, v20, v21
	v_sub_u32_e64 v23, v25, v23 clamp
	v_min_u32_e32 v26, v25, v26
	v_lshl_add_u32 v22, v24, 3, v12
	v_cmp_lt_u32_e64 s[4:5], v23, v26
	; wave barrier
	ds_write_b128 v19, v[0:3]
	ds_write_b128 v19, v[4:7] offset:16
	; wave barrier
	s_and_saveexec_b64 s[6:7], s[4:5]
	s_cbranch_execz .LBB3606_110
; %bb.107:
	v_lshlrev_b32_e32 v27, 3, v21
	v_lshlrev_b32_e32 v28, 3, v25
	v_add3_u32 v27, v12, v27, v28
	s_mov_b64 s[8:9], 0
.LBB3606_108:                           ; =>This Inner Loop Header: Depth=1
	v_add_u32_e32 v28, v26, v23
	v_lshrrev_b32_e32 v32, 1, v28
	v_not_b32_e32 v28, v32
	v_lshl_add_u32 v29, v32, 3, v22
	v_lshl_add_u32 v30, v28, 3, v27
	ds_read_b64 v[28:29], v29
	ds_read_b64 v[30:31], v30
	v_add_u32_e32 v33, 1, v32
	s_waitcnt lgkmcnt(0)
	v_cmp_gt_f64_e64 s[4:5], v[28:29], v[30:31]
	v_cndmask_b32_e64 v26, v26, v32, s[4:5]
	v_cndmask_b32_e64 v23, v33, v23, s[4:5]
	v_cmp_ge_u32_e64 s[4:5], v23, v26
	s_or_b64 s[8:9], s[4:5], s[8:9]
	s_andn2_b64 exec, exec, s[8:9]
	s_cbranch_execnz .LBB3606_108
; %bb.109:
	s_or_b64 exec, exec, s[8:9]
.LBB3606_110:
	s_or_b64 exec, exec, s[6:7]
	v_add_u32_e32 v25, v21, v25
	v_add_u32_e32 v24, v23, v24
	v_sub_u32_e32 v25, v25, v23
	v_cmp_le_u32_e64 s[4:5], v24, v21
	v_cmp_le_u32_e64 s[6:7], v25, v20
	s_or_b64 s[4:5], s[4:5], s[6:7]
	s_and_saveexec_b64 s[12:13], s[4:5]
	s_cbranch_execz .LBB3606_116
; %bb.111:
	v_cmp_lt_u32_e64 s[4:5], v24, v21
                                        ; implicit-def: $vgpr0_vgpr1
	s_and_saveexec_b64 s[6:7], s[4:5]
	s_cbranch_execz .LBB3606_113
; %bb.112:
	v_lshl_add_u32 v0, v23, 3, v22
	ds_read_b64 v[0:1], v0
.LBB3606_113:
	s_or_b64 exec, exec, s[6:7]
	v_cmp_ge_u32_e64 s[6:7], v25, v20
	v_cmp_lt_u32_e64 s[8:9], v25, v20
                                        ; implicit-def: $vgpr2_vgpr3
	s_and_saveexec_b64 s[10:11], s[8:9]
	s_cbranch_execz .LBB3606_115
; %bb.114:
	v_lshl_add_u32 v2, v25, 3, v12
	ds_read_b64 v[2:3], v2
.LBB3606_115:
	s_or_b64 exec, exec, s[10:11]
	s_waitcnt lgkmcnt(0)
	v_cmp_ngt_f64_e64 s[8:9], v[0:1], v[2:3]
	s_and_b64 s[4:5], s[4:5], s[8:9]
	s_or_b64 s[4:5], s[6:7], s[4:5]
	v_cndmask_b32_e64 v4, v25, v24, s[4:5]
	v_cndmask_b32_e64 v5, v20, v21, s[4:5]
	v_add_u32_e32 v22, 1, v4
	v_add_u32_e32 v4, -1, v5
	v_min_u32_e32 v4, v22, v4
	v_lshl_add_u32 v4, v4, 3, v12
	ds_read_b64 v[4:5], v4
	v_cndmask_b32_e64 v27, v24, v22, s[4:5]
	v_cndmask_b32_e64 v26, v22, v25, s[4:5]
	v_cmp_lt_u32_e64 s[8:9], v27, v21
	v_cmp_ge_u32_e64 s[6:7], v26, v20
	s_waitcnt lgkmcnt(0)
	v_cndmask_b32_e64 v7, v5, v3, s[4:5]
	v_cndmask_b32_e64 v6, v4, v2, s[4:5]
	;; [unrolled: 1-line block ×4, first 2 shown]
	v_cmp_ngt_f64_e64 s[10:11], v[4:5], v[6:7]
	s_and_b64 s[8:9], s[8:9], s[10:11]
	s_or_b64 s[6:7], s[6:7], s[8:9]
	v_cndmask_b32_e64 v22, v26, v27, s[6:7]
	v_cndmask_b32_e64 v23, v20, v21, s[6:7]
	v_add_u32_e32 v28, 1, v22
	v_add_u32_e32 v22, -1, v23
	v_min_u32_e32 v22, v28, v22
	v_lshl_add_u32 v22, v22, 3, v12
	ds_read_b64 v[22:23], v22
	v_cndmask_b32_e64 v29, v28, v26, s[6:7]
	v_cndmask_b32_e64 v28, v27, v28, s[6:7]
	v_cmp_lt_u32_e64 s[8:9], v28, v21
	v_cndmask_b32_e64 v1, v3, v1, s[4:5]
	s_waitcnt lgkmcnt(0)
	v_cndmask_b32_e64 v25, v23, v7, s[6:7]
	v_cndmask_b32_e64 v24, v22, v6, s[6:7]
	;; [unrolled: 1-line block ×4, first 2 shown]
	v_cmp_ngt_f64_e64 s[10:11], v[22:23], v[24:25]
	v_cndmask_b32_e64 v0, v2, v0, s[4:5]
	v_cmp_ge_u32_e64 s[4:5], v29, v20
	s_and_b64 s[8:9], s[8:9], s[10:11]
	s_or_b64 s[4:5], s[4:5], s[8:9]
	v_cndmask_b32_e64 v2, v29, v28, s[4:5]
	v_cndmask_b32_e64 v3, v20, v21, s[4:5]
	v_add_u32_e32 v30, 1, v2
	v_add_u32_e32 v2, -1, v3
	v_min_u32_e32 v2, v30, v2
	v_lshl_add_u32 v2, v2, 3, v12
	ds_read_b64 v[26:27], v2
	v_cndmask_b32_e64 v3, v7, v5, s[6:7]
	v_cndmask_b32_e64 v2, v6, v4, s[6:7]
	;; [unrolled: 1-line block ×4, first 2 shown]
	s_waitcnt lgkmcnt(0)
	v_cndmask_b32_e64 v7, v23, v27, s[4:5]
	v_cndmask_b32_e64 v6, v22, v26, s[4:5]
	;; [unrolled: 1-line block ×6, first 2 shown]
	v_cmp_lt_u32_e64 s[4:5], v24, v21
	v_cmp_ngt_f64_e64 s[6:7], v[6:7], v[22:23]
	s_and_b64 s[4:5], s[4:5], s[6:7]
	v_cndmask_b32_e64 v21, v22, v6, s[4:5]
	v_cndmask_b32_e64 v22, v23, v7, s[4:5]
	v_cmp_lt_u32_e64 s[4:5], v29, v20
	v_cndmask_b32_e64 v7, v7, v22, s[4:5]
	v_cndmask_b32_e64 v6, v6, v21, s[4:5]
.LBB3606_116:
	s_or_b64 exec, exec, s[12:13]
	v_and_b32_e32 v24, 0x1e0, v18
	v_or_b32_e32 v20, 16, v24
	v_min_u32_e32 v21, v13, v20
	v_add_u32_e32 v20, 16, v21
	v_min_u32_e32 v20, v13, v20
	v_and_b32_e32 v22, 28, v18
	v_min_u32_e32 v25, v13, v22
	v_sub_u32_e32 v26, v21, v24
	v_sub_u32_e32 v23, v20, v21
	v_sub_u32_e64 v23, v25, v23 clamp
	v_min_u32_e32 v26, v25, v26
	v_lshl_add_u32 v22, v24, 3, v12
	v_cmp_lt_u32_e64 s[4:5], v23, v26
	; wave barrier
	ds_write_b128 v19, v[0:3]
	ds_write_b128 v19, v[4:7] offset:16
	; wave barrier
	s_and_saveexec_b64 s[6:7], s[4:5]
	s_cbranch_execz .LBB3606_120
; %bb.117:
	v_lshlrev_b32_e32 v27, 3, v21
	v_lshlrev_b32_e32 v28, 3, v25
	v_add3_u32 v27, v12, v27, v28
	s_mov_b64 s[8:9], 0
.LBB3606_118:                           ; =>This Inner Loop Header: Depth=1
	v_add_u32_e32 v28, v26, v23
	v_lshrrev_b32_e32 v32, 1, v28
	v_not_b32_e32 v28, v32
	v_lshl_add_u32 v29, v32, 3, v22
	v_lshl_add_u32 v30, v28, 3, v27
	ds_read_b64 v[28:29], v29
	ds_read_b64 v[30:31], v30
	v_add_u32_e32 v33, 1, v32
	s_waitcnt lgkmcnt(0)
	v_cmp_gt_f64_e64 s[4:5], v[28:29], v[30:31]
	v_cndmask_b32_e64 v26, v26, v32, s[4:5]
	v_cndmask_b32_e64 v23, v33, v23, s[4:5]
	v_cmp_ge_u32_e64 s[4:5], v23, v26
	s_or_b64 s[8:9], s[4:5], s[8:9]
	s_andn2_b64 exec, exec, s[8:9]
	s_cbranch_execnz .LBB3606_118
; %bb.119:
	s_or_b64 exec, exec, s[8:9]
.LBB3606_120:
	s_or_b64 exec, exec, s[6:7]
	v_add_u32_e32 v25, v21, v25
	v_add_u32_e32 v24, v23, v24
	v_sub_u32_e32 v25, v25, v23
	v_cmp_le_u32_e64 s[4:5], v24, v21
	v_cmp_le_u32_e64 s[6:7], v25, v20
	s_or_b64 s[4:5], s[4:5], s[6:7]
	s_and_saveexec_b64 s[12:13], s[4:5]
	s_cbranch_execz .LBB3606_126
; %bb.121:
	v_cmp_lt_u32_e64 s[4:5], v24, v21
                                        ; implicit-def: $vgpr0_vgpr1
	s_and_saveexec_b64 s[6:7], s[4:5]
	s_cbranch_execz .LBB3606_123
; %bb.122:
	v_lshl_add_u32 v0, v23, 3, v22
	ds_read_b64 v[0:1], v0
.LBB3606_123:
	s_or_b64 exec, exec, s[6:7]
	v_cmp_ge_u32_e64 s[6:7], v25, v20
	v_cmp_lt_u32_e64 s[8:9], v25, v20
                                        ; implicit-def: $vgpr2_vgpr3
	s_and_saveexec_b64 s[10:11], s[8:9]
	s_cbranch_execz .LBB3606_125
; %bb.124:
	v_lshl_add_u32 v2, v25, 3, v12
	ds_read_b64 v[2:3], v2
.LBB3606_125:
	s_or_b64 exec, exec, s[10:11]
	s_waitcnt lgkmcnt(0)
	v_cmp_ngt_f64_e64 s[8:9], v[0:1], v[2:3]
	s_and_b64 s[4:5], s[4:5], s[8:9]
	s_or_b64 s[4:5], s[6:7], s[4:5]
	v_cndmask_b32_e64 v4, v25, v24, s[4:5]
	v_cndmask_b32_e64 v5, v20, v21, s[4:5]
	v_add_u32_e32 v22, 1, v4
	v_add_u32_e32 v4, -1, v5
	v_min_u32_e32 v4, v22, v4
	v_lshl_add_u32 v4, v4, 3, v12
	ds_read_b64 v[4:5], v4
	v_cndmask_b32_e64 v27, v24, v22, s[4:5]
	v_cndmask_b32_e64 v26, v22, v25, s[4:5]
	v_cmp_lt_u32_e64 s[8:9], v27, v21
	v_cmp_ge_u32_e64 s[6:7], v26, v20
	s_waitcnt lgkmcnt(0)
	v_cndmask_b32_e64 v7, v5, v3, s[4:5]
	v_cndmask_b32_e64 v6, v4, v2, s[4:5]
	v_cndmask_b32_e64 v5, v1, v5, s[4:5]
	v_cndmask_b32_e64 v4, v0, v4, s[4:5]
	v_cmp_ngt_f64_e64 s[10:11], v[4:5], v[6:7]
	s_and_b64 s[8:9], s[8:9], s[10:11]
	s_or_b64 s[6:7], s[6:7], s[8:9]
	v_cndmask_b32_e64 v22, v26, v27, s[6:7]
	v_cndmask_b32_e64 v23, v20, v21, s[6:7]
	v_add_u32_e32 v28, 1, v22
	v_add_u32_e32 v22, -1, v23
	v_min_u32_e32 v22, v28, v22
	v_lshl_add_u32 v22, v22, 3, v12
	ds_read_b64 v[22:23], v22
	v_cndmask_b32_e64 v29, v28, v26, s[6:7]
	v_cndmask_b32_e64 v28, v27, v28, s[6:7]
	v_cmp_lt_u32_e64 s[8:9], v28, v21
	v_cndmask_b32_e64 v1, v3, v1, s[4:5]
	s_waitcnt lgkmcnt(0)
	v_cndmask_b32_e64 v25, v23, v7, s[6:7]
	v_cndmask_b32_e64 v24, v22, v6, s[6:7]
	;; [unrolled: 1-line block ×4, first 2 shown]
	v_cmp_ngt_f64_e64 s[10:11], v[22:23], v[24:25]
	v_cndmask_b32_e64 v0, v2, v0, s[4:5]
	v_cmp_ge_u32_e64 s[4:5], v29, v20
	s_and_b64 s[8:9], s[8:9], s[10:11]
	s_or_b64 s[4:5], s[4:5], s[8:9]
	v_cndmask_b32_e64 v2, v29, v28, s[4:5]
	v_cndmask_b32_e64 v3, v20, v21, s[4:5]
	v_add_u32_e32 v30, 1, v2
	v_add_u32_e32 v2, -1, v3
	v_min_u32_e32 v2, v30, v2
	v_lshl_add_u32 v2, v2, 3, v12
	ds_read_b64 v[26:27], v2
	v_cndmask_b32_e64 v3, v7, v5, s[6:7]
	v_cndmask_b32_e64 v2, v6, v4, s[6:7]
	;; [unrolled: 1-line block ×4, first 2 shown]
	s_waitcnt lgkmcnt(0)
	v_cndmask_b32_e64 v7, v23, v27, s[4:5]
	v_cndmask_b32_e64 v6, v22, v26, s[4:5]
	;; [unrolled: 1-line block ×6, first 2 shown]
	v_cmp_lt_u32_e64 s[4:5], v24, v21
	v_cmp_ngt_f64_e64 s[6:7], v[6:7], v[22:23]
	s_and_b64 s[4:5], s[4:5], s[6:7]
	v_cndmask_b32_e64 v21, v22, v6, s[4:5]
	v_cndmask_b32_e64 v22, v23, v7, s[4:5]
	v_cmp_lt_u32_e64 s[4:5], v29, v20
	v_cndmask_b32_e64 v7, v7, v22, s[4:5]
	v_cndmask_b32_e64 v6, v6, v21, s[4:5]
.LBB3606_126:
	s_or_b64 exec, exec, s[12:13]
	v_and_b32_e32 v21, 0x1c0, v18
	; wave barrier
	ds_write_b128 v19, v[0:3]
	ds_write_b128 v19, v[4:7] offset:16
	v_or_b32_e32 v19, 32, v21
	v_min_u32_e32 v20, v13, v19
	v_add_u32_e32 v19, 32, v20
	v_min_u32_e32 v19, v13, v19
	v_and_b32_e32 v18, 60, v18
	v_min_u32_e32 v22, v13, v18
	v_sub_u32_e32 v23, v20, v21
	v_sub_u32_e32 v18, v19, v20
	v_sub_u32_e64 v18, v22, v18 clamp
	v_min_u32_e32 v23, v22, v23
	v_lshl_add_u32 v13, v21, 3, v12
	v_cmp_lt_u32_e64 s[4:5], v18, v23
	; wave barrier
	s_and_saveexec_b64 s[6:7], s[4:5]
	s_cbranch_execz .LBB3606_130
; %bb.127:
	v_lshlrev_b32_e32 v24, 3, v20
	v_lshlrev_b32_e32 v25, 3, v22
	v_add3_u32 v24, v12, v24, v25
	s_mov_b64 s[8:9], 0
.LBB3606_128:                           ; =>This Inner Loop Header: Depth=1
	v_add_u32_e32 v25, v23, v18
	v_lshrrev_b32_e32 v25, 1, v25
	v_not_b32_e32 v26, v25
	v_lshl_add_u32 v27, v25, 3, v13
	v_lshl_add_u32 v28, v26, 3, v24
	ds_read_b64 v[26:27], v27
	ds_read_b64 v[28:29], v28
	v_add_u32_e32 v30, 1, v25
	s_waitcnt lgkmcnt(0)
	v_cmp_gt_f64_e64 s[4:5], v[26:27], v[28:29]
	v_cndmask_b32_e64 v23, v23, v25, s[4:5]
	v_cndmask_b32_e64 v18, v30, v18, s[4:5]
	v_cmp_ge_u32_e64 s[4:5], v18, v23
	s_or_b64 s[8:9], s[4:5], s[8:9]
	s_andn2_b64 exec, exec, s[8:9]
	s_cbranch_execnz .LBB3606_128
; %bb.129:
	s_or_b64 exec, exec, s[8:9]
.LBB3606_130:
	s_or_b64 exec, exec, s[6:7]
	v_add_u32_e32 v22, v20, v22
	v_add_u32_e32 v21, v18, v21
	v_sub_u32_e32 v22, v22, v18
	v_cmp_le_u32_e64 s[4:5], v21, v20
	v_cmp_le_u32_e64 s[6:7], v22, v19
	s_or_b64 s[4:5], s[4:5], s[6:7]
	s_and_saveexec_b64 s[12:13], s[4:5]
	s_cbranch_execz .LBB3606_136
; %bb.131:
	v_cmp_lt_u32_e64 s[4:5], v21, v20
                                        ; implicit-def: $vgpr0_vgpr1
	s_and_saveexec_b64 s[6:7], s[4:5]
	s_cbranch_execz .LBB3606_133
; %bb.132:
	v_lshl_add_u32 v0, v18, 3, v13
	ds_read_b64 v[0:1], v0
.LBB3606_133:
	s_or_b64 exec, exec, s[6:7]
	v_cmp_ge_u32_e64 s[6:7], v22, v19
	v_cmp_lt_u32_e64 s[8:9], v22, v19
                                        ; implicit-def: $vgpr2_vgpr3
	s_and_saveexec_b64 s[10:11], s[8:9]
	s_cbranch_execz .LBB3606_135
; %bb.134:
	v_lshl_add_u32 v2, v22, 3, v12
	ds_read_b64 v[2:3], v2
.LBB3606_135:
	s_or_b64 exec, exec, s[10:11]
	s_waitcnt lgkmcnt(0)
	v_cmp_ngt_f64_e64 s[8:9], v[0:1], v[2:3]
	s_and_b64 s[4:5], s[4:5], s[8:9]
	s_or_b64 s[4:5], s[6:7], s[4:5]
	v_cndmask_b32_e64 v4, v22, v21, s[4:5]
	v_cndmask_b32_e64 v5, v19, v20, s[4:5]
	v_add_u32_e32 v13, 1, v4
	v_add_u32_e32 v4, -1, v5
	v_min_u32_e32 v4, v13, v4
	v_lshl_add_u32 v4, v4, 3, v12
	ds_read_b64 v[4:5], v4
	v_cndmask_b32_e64 v18, v13, v22, s[4:5]
	v_cndmask_b32_e64 v13, v21, v13, s[4:5]
	v_cmp_lt_u32_e64 s[8:9], v13, v20
	v_cmp_ge_u32_e64 s[6:7], v18, v19
	s_waitcnt lgkmcnt(0)
	v_cndmask_b32_e64 v7, v5, v3, s[4:5]
	v_cndmask_b32_e64 v6, v4, v2, s[4:5]
	;; [unrolled: 1-line block ×4, first 2 shown]
	v_cmp_ngt_f64_e64 s[10:11], v[4:5], v[6:7]
	s_and_b64 s[8:9], s[8:9], s[10:11]
	s_or_b64 s[6:7], s[6:7], s[8:9]
	v_cndmask_b32_e64 v21, v18, v13, s[6:7]
	v_cndmask_b32_e64 v22, v19, v20, s[6:7]
	v_add_u32_e32 v21, 1, v21
	v_add_u32_e32 v22, -1, v22
	v_min_u32_e32 v22, v21, v22
	v_lshl_add_u32 v22, v22, 3, v12
	ds_read_b64 v[22:23], v22
	v_cndmask_b32_e64 v18, v21, v18, s[6:7]
	v_cndmask_b32_e64 v21, v13, v21, s[6:7]
	v_cmp_lt_u32_e64 s[8:9], v21, v20
	v_cndmask_b32_e64 v1, v3, v1, s[4:5]
	s_waitcnt lgkmcnt(0)
	v_cndmask_b32_e64 v25, v23, v7, s[6:7]
	v_cndmask_b32_e64 v24, v22, v6, s[6:7]
	;; [unrolled: 1-line block ×4, first 2 shown]
	v_cmp_ngt_f64_e64 s[10:11], v[22:23], v[24:25]
	v_cndmask_b32_e64 v0, v2, v0, s[4:5]
	v_cmp_ge_u32_e64 s[4:5], v18, v19
	s_and_b64 s[8:9], s[8:9], s[10:11]
	s_or_b64 s[4:5], s[4:5], s[8:9]
	v_cndmask_b32_e64 v2, v18, v21, s[4:5]
	v_cndmask_b32_e64 v3, v19, v20, s[4:5]
	v_add_u32_e32 v26, 1, v2
	v_add_u32_e32 v2, -1, v3
	v_min_u32_e32 v2, v26, v2
	v_lshl_add_u32 v2, v2, 3, v12
	ds_read_b64 v[12:13], v2
	v_cndmask_b32_e64 v3, v7, v5, s[6:7]
	v_cndmask_b32_e64 v2, v6, v4, s[6:7]
	;; [unrolled: 1-line block ×4, first 2 shown]
	s_waitcnt lgkmcnt(0)
	v_cndmask_b32_e64 v7, v23, v13, s[4:5]
	v_cndmask_b32_e64 v6, v22, v12, s[4:5]
	;; [unrolled: 1-line block ×6, first 2 shown]
	v_cmp_lt_u32_e64 s[4:5], v21, v20
	v_cmp_ngt_f64_e64 s[6:7], v[6:7], v[12:13]
	s_and_b64 s[4:5], s[4:5], s[6:7]
	v_cndmask_b32_e64 v12, v12, v6, s[4:5]
	v_cndmask_b32_e64 v13, v13, v7, s[4:5]
	v_cmp_lt_u32_e64 s[4:5], v18, v19
	v_cndmask_b32_e64 v7, v7, v13, s[4:5]
	v_cndmask_b32_e64 v6, v6, v12, s[4:5]
.LBB3606_136:
	s_or_b64 exec, exec, s[12:13]
	s_cmpk_lt_u32 s14, 0x41
	; wave barrier
	s_waitcnt lgkmcnt(0)
	s_barrier
	s_cbranch_scc1 .LBB3606_149
; %bb.137:
	v_lshlrev_b32_e32 v12, 5, v8
	s_mov_b32 s19, 64
	s_branch .LBB3606_140
.LBB3606_138:                           ;   in Loop: Header=BB3606_140 Depth=1
	s_or_b64 exec, exec, s[10:11]
	s_waitcnt lgkmcnt(0)
	v_cmp_ngt_f64_e64 s[8:9], v[0:1], v[2:3]
	s_and_b64 s[4:5], s[4:5], s[8:9]
	s_or_b64 s[4:5], s[6:7], s[4:5]
	v_cndmask_b32_e64 v4, v22, v21, s[4:5]
	v_cndmask_b32_e64 v5, v13, v18, s[4:5]
	v_add_u32_e32 v19, 1, v4
	v_add_u32_e32 v4, -1, v5
	v_min_u32_e32 v4, v19, v4
	v_lshlrev_b32_e32 v4, 3, v4
	ds_read_b64 v[4:5], v4
	v_cndmask_b32_e64 v24, v19, v22, s[4:5]
	v_cndmask_b32_e64 v19, v21, v19, s[4:5]
	v_cmp_lt_u32_e64 s[8:9], v19, v18
	v_cmp_ge_u32_e64 s[6:7], v24, v13
	s_waitcnt lgkmcnt(0)
	v_cndmask_b32_e64 v7, v5, v3, s[4:5]
	v_cndmask_b32_e64 v6, v4, v2, s[4:5]
	;; [unrolled: 1-line block ×4, first 2 shown]
	v_cmp_ngt_f64_e64 s[10:11], v[4:5], v[6:7]
	s_and_b64 s[8:9], s[8:9], s[10:11]
	s_or_b64 s[6:7], s[6:7], s[8:9]
	v_cndmask_b32_e64 v20, v24, v19, s[6:7]
	v_cndmask_b32_e64 v21, v13, v18, s[6:7]
	v_add_u32_e32 v25, 1, v20
	v_add_u32_e32 v20, -1, v21
	v_min_u32_e32 v20, v25, v20
	v_lshlrev_b32_e32 v20, 3, v20
	ds_read_b64 v[20:21], v20
	v_cndmask_b32_e64 v19, v19, v25, s[6:7]
	v_cndmask_b32_e64 v26, v25, v24, s[6:7]
	v_cmp_lt_u32_e64 s[8:9], v19, v18
	v_cndmask_b32_e64 v1, v3, v1, s[4:5]
	s_waitcnt lgkmcnt(0)
	v_cndmask_b32_e64 v23, v21, v7, s[6:7]
	v_cndmask_b32_e64 v22, v20, v6, s[6:7]
	;; [unrolled: 1-line block ×4, first 2 shown]
	v_cmp_ngt_f64_e64 s[10:11], v[20:21], v[22:23]
	v_cndmask_b32_e64 v0, v2, v0, s[4:5]
	v_cmp_ge_u32_e64 s[4:5], v26, v13
	s_and_b64 s[8:9], s[8:9], s[10:11]
	s_or_b64 s[4:5], s[4:5], s[8:9]
	v_cndmask_b32_e64 v2, v26, v19, s[4:5]
	v_cndmask_b32_e64 v3, v13, v18, s[4:5]
	v_add_u32_e32 v27, 1, v2
	v_add_u32_e32 v2, -1, v3
	v_min_u32_e32 v2, v27, v2
	v_lshlrev_b32_e32 v2, 3, v2
	ds_read_b64 v[24:25], v2
	v_cndmask_b32_e64 v3, v7, v5, s[6:7]
	v_cndmask_b32_e64 v2, v6, v4, s[6:7]
	;; [unrolled: 1-line block ×4, first 2 shown]
	s_waitcnt lgkmcnt(0)
	v_cndmask_b32_e64 v7, v21, v25, s[4:5]
	v_cndmask_b32_e64 v6, v20, v24, s[4:5]
	;; [unrolled: 1-line block ×6, first 2 shown]
	v_cmp_lt_u32_e64 s[4:5], v19, v18
	v_cmp_ngt_f64_e64 s[6:7], v[6:7], v[20:21]
	s_and_b64 s[4:5], s[4:5], s[6:7]
	v_cndmask_b32_e64 v18, v20, v6, s[4:5]
	v_cndmask_b32_e64 v19, v21, v7, s[4:5]
	v_cmp_lt_u32_e64 s[4:5], v26, v13
	v_cndmask_b32_e64 v7, v7, v19, s[4:5]
	v_cndmask_b32_e64 v6, v6, v18, s[4:5]
.LBB3606_139:                           ;   in Loop: Header=BB3606_140 Depth=1
	s_or_b64 exec, exec, s[12:13]
	s_cmp_lt_u32 s19, s14
	s_barrier
	s_cbranch_scc0 .LBB3606_149
.LBB3606_140:                           ; =>This Loop Header: Depth=1
                                        ;     Child Loop BB3606_142 Depth 2
	s_mov_b32 s4, s19
	s_lshl_b32 s19, s19, 1
	s_sub_i32 s6, 0, s19
	v_and_b32_e32 v21, s6, v11
	v_add_u32_e32 v13, s4, v21
	v_min_u32_e32 v18, s14, v13
	s_add_i32 s5, s19, -1
	v_add_u32_e32 v13, s4, v18
	v_min_u32_e32 v13, s14, v13
	v_and_b32_e32 v19, s5, v11
	v_min_u32_e32 v22, s14, v19
	v_sub_u32_e32 v23, v18, v21
	v_sub_u32_e32 v20, v13, v18
	v_sub_u32_e64 v20, v22, v20 clamp
	v_min_u32_e32 v23, v22, v23
	v_lshlrev_b32_e32 v19, 3, v21
	v_cmp_lt_u32_e64 s[4:5], v20, v23
	ds_write_b128 v12, v[0:3]
	ds_write_b128 v12, v[4:7] offset:16
	s_waitcnt lgkmcnt(0)
	s_barrier
	s_and_saveexec_b64 s[6:7], s[4:5]
	s_cbranch_execz .LBB3606_144
; %bb.141:                              ;   in Loop: Header=BB3606_140 Depth=1
	v_lshlrev_b32_e32 v24, 3, v22
	v_lshl_add_u32 v24, v18, 3, v24
	s_mov_b64 s[8:9], 0
.LBB3606_142:                           ;   Parent Loop BB3606_140 Depth=1
                                        ; =>  This Inner Loop Header: Depth=2
	v_add_u32_e32 v25, v23, v20
	v_lshrrev_b32_e32 v25, 1, v25
	v_not_b32_e32 v26, v25
	v_lshl_add_u32 v27, v25, 3, v19
	v_lshl_add_u32 v28, v26, 3, v24
	ds_read_b64 v[26:27], v27
	ds_read_b64 v[28:29], v28
	v_add_u32_e32 v30, 1, v25
	s_waitcnt lgkmcnt(0)
	v_cmp_gt_f64_e64 s[4:5], v[26:27], v[28:29]
	v_cndmask_b32_e64 v23, v23, v25, s[4:5]
	v_cndmask_b32_e64 v20, v30, v20, s[4:5]
	v_cmp_ge_u32_e64 s[4:5], v20, v23
	s_or_b64 s[8:9], s[4:5], s[8:9]
	s_andn2_b64 exec, exec, s[8:9]
	s_cbranch_execnz .LBB3606_142
; %bb.143:                              ;   in Loop: Header=BB3606_140 Depth=1
	s_or_b64 exec, exec, s[8:9]
.LBB3606_144:                           ;   in Loop: Header=BB3606_140 Depth=1
	s_or_b64 exec, exec, s[6:7]
	v_sub_u32_e32 v22, v22, v20
	v_add_u32_e32 v21, v20, v21
	v_add_u32_e32 v22, v22, v18
	v_cmp_le_u32_e64 s[4:5], v21, v18
	v_cmp_le_u32_e64 s[6:7], v22, v13
	s_or_b64 s[4:5], s[4:5], s[6:7]
	s_and_saveexec_b64 s[12:13], s[4:5]
	s_cbranch_execz .LBB3606_139
; %bb.145:                              ;   in Loop: Header=BB3606_140 Depth=1
	v_cmp_lt_u32_e64 s[4:5], v21, v18
                                        ; implicit-def: $vgpr0_vgpr1
	s_and_saveexec_b64 s[6:7], s[4:5]
	s_cbranch_execz .LBB3606_147
; %bb.146:                              ;   in Loop: Header=BB3606_140 Depth=1
	v_lshl_add_u32 v0, v20, 3, v19
	ds_read_b64 v[0:1], v0
.LBB3606_147:                           ;   in Loop: Header=BB3606_140 Depth=1
	s_or_b64 exec, exec, s[6:7]
	v_cmp_ge_u32_e64 s[6:7], v22, v13
	v_cmp_lt_u32_e64 s[8:9], v22, v13
                                        ; implicit-def: $vgpr2_vgpr3
	s_and_saveexec_b64 s[10:11], s[8:9]
	s_cbranch_execz .LBB3606_138
; %bb.148:                              ;   in Loop: Header=BB3606_140 Depth=1
	v_lshlrev_b32_e32 v2, 3, v22
	ds_read_b64 v[2:3], v2
	s_branch .LBB3606_138
.LBB3606_149:
	s_barrier
	ds_write2_b64 v14, v[0:1], v[2:3] offset1:1
	ds_write2_b64 v14, v[4:5], v[6:7] offset0:2 offset1:3
	s_waitcnt lgkmcnt(0)
	s_barrier
	ds_read_b64 v[6:7], v9 offset:2048
	ds_read_b64 v[2:3], v16 offset:4096
	;; [unrolled: 1-line block ×3, first 2 shown]
	v_mov_b32_e32 v5, s18
	v_add_co_u32_e64 v4, s[4:5], s15, v10
	v_mov_b32_e32 v9, 0
	v_addc_co_u32_e64 v5, s[4:5], 0, v5, s[4:5]
	s_and_saveexec_b64 s[4:5], vcc
	s_cbranch_execz .LBB3606_157
; %bb.150:
	ds_read_b64 v[10:11], v15
	s_waitcnt lgkmcnt(0)
	flat_store_dwordx2 v[4:5], v[10:11]
	s_or_b64 exec, exec, s[4:5]
	s_and_saveexec_b64 s[4:5], s[0:1]
	s_cbranch_execnz .LBB3606_158
.LBB3606_151:
	s_or_b64 exec, exec, s[4:5]
	s_and_saveexec_b64 s[0:1], s[2:3]
	s_cbranch_execz .LBB3606_153
.LBB3606_152:
	v_add_co_u32_e32 v4, vcc, 0x1000, v4
	v_addc_co_u32_e32 v5, vcc, 0, v5, vcc
	s_waitcnt lgkmcnt(0)
	flat_store_dwordx2 v[4:5], v[2:3]
.LBB3606_153:
	s_or_b64 exec, exec, s[0:1]
.LBB3606_154:
	s_and_saveexec_b64 s[0:1], s[16:17]
	s_cbranch_execz .LBB3606_156
; %bb.155:
	s_waitcnt lgkmcnt(0)
	v_lshlrev_b64 v[2:3], 3, v[8:9]
	v_mov_b32_e32 v4, s18
	v_add_co_u32_e32 v2, vcc, s15, v2
	v_addc_co_u32_e32 v3, vcc, v4, v3, vcc
	v_add_co_u32_e32 v2, vcc, 0x1000, v2
	v_addc_co_u32_e32 v3, vcc, 0, v3, vcc
	flat_store_dwordx2 v[2:3], v[0:1] offset:2048
.LBB3606_156:
	s_endpgm
.LBB3606_157:
	s_or_b64 exec, exec, s[4:5]
	s_and_saveexec_b64 s[4:5], s[0:1]
	s_cbranch_execz .LBB3606_151
.LBB3606_158:
	s_waitcnt lgkmcnt(0)
	flat_store_dwordx2 v[4:5], v[6:7] offset:2048
	s_or_b64 exec, exec, s[4:5]
	s_and_saveexec_b64 s[0:1], s[2:3]
	s_cbranch_execnz .LBB3606_152
	s_branch .LBB3606_153
	.section	.rodata,"a",@progbits
	.p2align	6, 0x0
	.amdhsa_kernel _ZN7rocprim17ROCPRIM_400000_NS6detail17trampoline_kernelINS0_14default_configENS1_37merge_sort_block_sort_config_selectorIdNS0_10empty_typeEEEZNS1_21merge_sort_block_sortIS3_N6thrust23THRUST_200600_302600_NS6detail15normal_iteratorINS9_10device_ptrIdEEEESE_PS5_SF_14custom_greaterIdEEE10hipError_tT0_T1_T2_T3_mRjT4_P12ihipStream_tbNS1_7vsmem_tEEUlT_E_NS1_11comp_targetILNS1_3genE4ELNS1_11target_archE910ELNS1_3gpuE8ELNS1_3repE0EEENS1_30default_config_static_selectorELNS0_4arch9wavefront6targetE1EEEvSK_
		.amdhsa_group_segment_fixed_size 8448
		.amdhsa_private_segment_fixed_size 0
		.amdhsa_kernarg_size 320
		.amdhsa_user_sgpr_count 6
		.amdhsa_user_sgpr_private_segment_buffer 1
		.amdhsa_user_sgpr_dispatch_ptr 0
		.amdhsa_user_sgpr_queue_ptr 0
		.amdhsa_user_sgpr_kernarg_segment_ptr 1
		.amdhsa_user_sgpr_dispatch_id 0
		.amdhsa_user_sgpr_flat_scratch_init 0
		.amdhsa_user_sgpr_kernarg_preload_length 0
		.amdhsa_user_sgpr_kernarg_preload_offset 0
		.amdhsa_user_sgpr_private_segment_size 0
		.amdhsa_uses_dynamic_stack 0
		.amdhsa_system_sgpr_private_segment_wavefront_offset 0
		.amdhsa_system_sgpr_workgroup_id_x 1
		.amdhsa_system_sgpr_workgroup_id_y 1
		.amdhsa_system_sgpr_workgroup_id_z 1
		.amdhsa_system_sgpr_workgroup_info 0
		.amdhsa_system_vgpr_workitem_id 2
		.amdhsa_next_free_vgpr 39
		.amdhsa_next_free_sgpr 21
		.amdhsa_accum_offset 40
		.amdhsa_reserve_vcc 1
		.amdhsa_reserve_flat_scratch 0
		.amdhsa_float_round_mode_32 0
		.amdhsa_float_round_mode_16_64 0
		.amdhsa_float_denorm_mode_32 3
		.amdhsa_float_denorm_mode_16_64 3
		.amdhsa_dx10_clamp 1
		.amdhsa_ieee_mode 1
		.amdhsa_fp16_overflow 0
		.amdhsa_tg_split 0
		.amdhsa_exception_fp_ieee_invalid_op 0
		.amdhsa_exception_fp_denorm_src 0
		.amdhsa_exception_fp_ieee_div_zero 0
		.amdhsa_exception_fp_ieee_overflow 0
		.amdhsa_exception_fp_ieee_underflow 0
		.amdhsa_exception_fp_ieee_inexact 0
		.amdhsa_exception_int_div_zero 0
	.end_amdhsa_kernel
	.section	.text._ZN7rocprim17ROCPRIM_400000_NS6detail17trampoline_kernelINS0_14default_configENS1_37merge_sort_block_sort_config_selectorIdNS0_10empty_typeEEEZNS1_21merge_sort_block_sortIS3_N6thrust23THRUST_200600_302600_NS6detail15normal_iteratorINS9_10device_ptrIdEEEESE_PS5_SF_14custom_greaterIdEEE10hipError_tT0_T1_T2_T3_mRjT4_P12ihipStream_tbNS1_7vsmem_tEEUlT_E_NS1_11comp_targetILNS1_3genE4ELNS1_11target_archE910ELNS1_3gpuE8ELNS1_3repE0EEENS1_30default_config_static_selectorELNS0_4arch9wavefront6targetE1EEEvSK_,"axG",@progbits,_ZN7rocprim17ROCPRIM_400000_NS6detail17trampoline_kernelINS0_14default_configENS1_37merge_sort_block_sort_config_selectorIdNS0_10empty_typeEEEZNS1_21merge_sort_block_sortIS3_N6thrust23THRUST_200600_302600_NS6detail15normal_iteratorINS9_10device_ptrIdEEEESE_PS5_SF_14custom_greaterIdEEE10hipError_tT0_T1_T2_T3_mRjT4_P12ihipStream_tbNS1_7vsmem_tEEUlT_E_NS1_11comp_targetILNS1_3genE4ELNS1_11target_archE910ELNS1_3gpuE8ELNS1_3repE0EEENS1_30default_config_static_selectorELNS0_4arch9wavefront6targetE1EEEvSK_,comdat
.Lfunc_end3606:
	.size	_ZN7rocprim17ROCPRIM_400000_NS6detail17trampoline_kernelINS0_14default_configENS1_37merge_sort_block_sort_config_selectorIdNS0_10empty_typeEEEZNS1_21merge_sort_block_sortIS3_N6thrust23THRUST_200600_302600_NS6detail15normal_iteratorINS9_10device_ptrIdEEEESE_PS5_SF_14custom_greaterIdEEE10hipError_tT0_T1_T2_T3_mRjT4_P12ihipStream_tbNS1_7vsmem_tEEUlT_E_NS1_11comp_targetILNS1_3genE4ELNS1_11target_archE910ELNS1_3gpuE8ELNS1_3repE0EEENS1_30default_config_static_selectorELNS0_4arch9wavefront6targetE1EEEvSK_, .Lfunc_end3606-_ZN7rocprim17ROCPRIM_400000_NS6detail17trampoline_kernelINS0_14default_configENS1_37merge_sort_block_sort_config_selectorIdNS0_10empty_typeEEEZNS1_21merge_sort_block_sortIS3_N6thrust23THRUST_200600_302600_NS6detail15normal_iteratorINS9_10device_ptrIdEEEESE_PS5_SF_14custom_greaterIdEEE10hipError_tT0_T1_T2_T3_mRjT4_P12ihipStream_tbNS1_7vsmem_tEEUlT_E_NS1_11comp_targetILNS1_3genE4ELNS1_11target_archE910ELNS1_3gpuE8ELNS1_3repE0EEENS1_30default_config_static_selectorELNS0_4arch9wavefront6targetE1EEEvSK_
                                        ; -- End function
	.section	.AMDGPU.csdata,"",@progbits
; Kernel info:
; codeLenInByte = 11436
; NumSgprs: 25
; NumVgprs: 39
; NumAgprs: 0
; TotalNumVgprs: 39
; ScratchSize: 0
; MemoryBound: 0
; FloatMode: 240
; IeeeMode: 1
; LDSByteSize: 8448 bytes/workgroup (compile time only)
; SGPRBlocks: 3
; VGPRBlocks: 4
; NumSGPRsForWavesPerEU: 25
; NumVGPRsForWavesPerEU: 39
; AccumOffset: 40
; Occupancy: 7
; WaveLimiterHint : 1
; COMPUTE_PGM_RSRC2:SCRATCH_EN: 0
; COMPUTE_PGM_RSRC2:USER_SGPR: 6
; COMPUTE_PGM_RSRC2:TRAP_HANDLER: 0
; COMPUTE_PGM_RSRC2:TGID_X_EN: 1
; COMPUTE_PGM_RSRC2:TGID_Y_EN: 1
; COMPUTE_PGM_RSRC2:TGID_Z_EN: 1
; COMPUTE_PGM_RSRC2:TIDIG_COMP_CNT: 2
; COMPUTE_PGM_RSRC3_GFX90A:ACCUM_OFFSET: 9
; COMPUTE_PGM_RSRC3_GFX90A:TG_SPLIT: 0
	.section	.text._ZN7rocprim17ROCPRIM_400000_NS6detail17trampoline_kernelINS0_14default_configENS1_37merge_sort_block_sort_config_selectorIdNS0_10empty_typeEEEZNS1_21merge_sort_block_sortIS3_N6thrust23THRUST_200600_302600_NS6detail15normal_iteratorINS9_10device_ptrIdEEEESE_PS5_SF_14custom_greaterIdEEE10hipError_tT0_T1_T2_T3_mRjT4_P12ihipStream_tbNS1_7vsmem_tEEUlT_E_NS1_11comp_targetILNS1_3genE3ELNS1_11target_archE908ELNS1_3gpuE7ELNS1_3repE0EEENS1_30default_config_static_selectorELNS0_4arch9wavefront6targetE1EEEvSK_,"axG",@progbits,_ZN7rocprim17ROCPRIM_400000_NS6detail17trampoline_kernelINS0_14default_configENS1_37merge_sort_block_sort_config_selectorIdNS0_10empty_typeEEEZNS1_21merge_sort_block_sortIS3_N6thrust23THRUST_200600_302600_NS6detail15normal_iteratorINS9_10device_ptrIdEEEESE_PS5_SF_14custom_greaterIdEEE10hipError_tT0_T1_T2_T3_mRjT4_P12ihipStream_tbNS1_7vsmem_tEEUlT_E_NS1_11comp_targetILNS1_3genE3ELNS1_11target_archE908ELNS1_3gpuE7ELNS1_3repE0EEENS1_30default_config_static_selectorELNS0_4arch9wavefront6targetE1EEEvSK_,comdat
	.protected	_ZN7rocprim17ROCPRIM_400000_NS6detail17trampoline_kernelINS0_14default_configENS1_37merge_sort_block_sort_config_selectorIdNS0_10empty_typeEEEZNS1_21merge_sort_block_sortIS3_N6thrust23THRUST_200600_302600_NS6detail15normal_iteratorINS9_10device_ptrIdEEEESE_PS5_SF_14custom_greaterIdEEE10hipError_tT0_T1_T2_T3_mRjT4_P12ihipStream_tbNS1_7vsmem_tEEUlT_E_NS1_11comp_targetILNS1_3genE3ELNS1_11target_archE908ELNS1_3gpuE7ELNS1_3repE0EEENS1_30default_config_static_selectorELNS0_4arch9wavefront6targetE1EEEvSK_ ; -- Begin function _ZN7rocprim17ROCPRIM_400000_NS6detail17trampoline_kernelINS0_14default_configENS1_37merge_sort_block_sort_config_selectorIdNS0_10empty_typeEEEZNS1_21merge_sort_block_sortIS3_N6thrust23THRUST_200600_302600_NS6detail15normal_iteratorINS9_10device_ptrIdEEEESE_PS5_SF_14custom_greaterIdEEE10hipError_tT0_T1_T2_T3_mRjT4_P12ihipStream_tbNS1_7vsmem_tEEUlT_E_NS1_11comp_targetILNS1_3genE3ELNS1_11target_archE908ELNS1_3gpuE7ELNS1_3repE0EEENS1_30default_config_static_selectorELNS0_4arch9wavefront6targetE1EEEvSK_
	.globl	_ZN7rocprim17ROCPRIM_400000_NS6detail17trampoline_kernelINS0_14default_configENS1_37merge_sort_block_sort_config_selectorIdNS0_10empty_typeEEEZNS1_21merge_sort_block_sortIS3_N6thrust23THRUST_200600_302600_NS6detail15normal_iteratorINS9_10device_ptrIdEEEESE_PS5_SF_14custom_greaterIdEEE10hipError_tT0_T1_T2_T3_mRjT4_P12ihipStream_tbNS1_7vsmem_tEEUlT_E_NS1_11comp_targetILNS1_3genE3ELNS1_11target_archE908ELNS1_3gpuE7ELNS1_3repE0EEENS1_30default_config_static_selectorELNS0_4arch9wavefront6targetE1EEEvSK_
	.p2align	8
	.type	_ZN7rocprim17ROCPRIM_400000_NS6detail17trampoline_kernelINS0_14default_configENS1_37merge_sort_block_sort_config_selectorIdNS0_10empty_typeEEEZNS1_21merge_sort_block_sortIS3_N6thrust23THRUST_200600_302600_NS6detail15normal_iteratorINS9_10device_ptrIdEEEESE_PS5_SF_14custom_greaterIdEEE10hipError_tT0_T1_T2_T3_mRjT4_P12ihipStream_tbNS1_7vsmem_tEEUlT_E_NS1_11comp_targetILNS1_3genE3ELNS1_11target_archE908ELNS1_3gpuE7ELNS1_3repE0EEENS1_30default_config_static_selectorELNS0_4arch9wavefront6targetE1EEEvSK_,@function
_ZN7rocprim17ROCPRIM_400000_NS6detail17trampoline_kernelINS0_14default_configENS1_37merge_sort_block_sort_config_selectorIdNS0_10empty_typeEEEZNS1_21merge_sort_block_sortIS3_N6thrust23THRUST_200600_302600_NS6detail15normal_iteratorINS9_10device_ptrIdEEEESE_PS5_SF_14custom_greaterIdEEE10hipError_tT0_T1_T2_T3_mRjT4_P12ihipStream_tbNS1_7vsmem_tEEUlT_E_NS1_11comp_targetILNS1_3genE3ELNS1_11target_archE908ELNS1_3gpuE7ELNS1_3repE0EEENS1_30default_config_static_selectorELNS0_4arch9wavefront6targetE1EEEvSK_: ; @_ZN7rocprim17ROCPRIM_400000_NS6detail17trampoline_kernelINS0_14default_configENS1_37merge_sort_block_sort_config_selectorIdNS0_10empty_typeEEEZNS1_21merge_sort_block_sortIS3_N6thrust23THRUST_200600_302600_NS6detail15normal_iteratorINS9_10device_ptrIdEEEESE_PS5_SF_14custom_greaterIdEEE10hipError_tT0_T1_T2_T3_mRjT4_P12ihipStream_tbNS1_7vsmem_tEEUlT_E_NS1_11comp_targetILNS1_3genE3ELNS1_11target_archE908ELNS1_3gpuE7ELNS1_3repE0EEENS1_30default_config_static_selectorELNS0_4arch9wavefront6targetE1EEEvSK_
; %bb.0:
	.section	.rodata,"a",@progbits
	.p2align	6, 0x0
	.amdhsa_kernel _ZN7rocprim17ROCPRIM_400000_NS6detail17trampoline_kernelINS0_14default_configENS1_37merge_sort_block_sort_config_selectorIdNS0_10empty_typeEEEZNS1_21merge_sort_block_sortIS3_N6thrust23THRUST_200600_302600_NS6detail15normal_iteratorINS9_10device_ptrIdEEEESE_PS5_SF_14custom_greaterIdEEE10hipError_tT0_T1_T2_T3_mRjT4_P12ihipStream_tbNS1_7vsmem_tEEUlT_E_NS1_11comp_targetILNS1_3genE3ELNS1_11target_archE908ELNS1_3gpuE7ELNS1_3repE0EEENS1_30default_config_static_selectorELNS0_4arch9wavefront6targetE1EEEvSK_
		.amdhsa_group_segment_fixed_size 0
		.amdhsa_private_segment_fixed_size 0
		.amdhsa_kernarg_size 64
		.amdhsa_user_sgpr_count 6
		.amdhsa_user_sgpr_private_segment_buffer 1
		.amdhsa_user_sgpr_dispatch_ptr 0
		.amdhsa_user_sgpr_queue_ptr 0
		.amdhsa_user_sgpr_kernarg_segment_ptr 1
		.amdhsa_user_sgpr_dispatch_id 0
		.amdhsa_user_sgpr_flat_scratch_init 0
		.amdhsa_user_sgpr_kernarg_preload_length 0
		.amdhsa_user_sgpr_kernarg_preload_offset 0
		.amdhsa_user_sgpr_private_segment_size 0
		.amdhsa_uses_dynamic_stack 0
		.amdhsa_system_sgpr_private_segment_wavefront_offset 0
		.amdhsa_system_sgpr_workgroup_id_x 1
		.amdhsa_system_sgpr_workgroup_id_y 0
		.amdhsa_system_sgpr_workgroup_id_z 0
		.amdhsa_system_sgpr_workgroup_info 0
		.amdhsa_system_vgpr_workitem_id 0
		.amdhsa_next_free_vgpr 1
		.amdhsa_next_free_sgpr 0
		.amdhsa_accum_offset 4
		.amdhsa_reserve_vcc 0
		.amdhsa_reserve_flat_scratch 0
		.amdhsa_float_round_mode_32 0
		.amdhsa_float_round_mode_16_64 0
		.amdhsa_float_denorm_mode_32 3
		.amdhsa_float_denorm_mode_16_64 3
		.amdhsa_dx10_clamp 1
		.amdhsa_ieee_mode 1
		.amdhsa_fp16_overflow 0
		.amdhsa_tg_split 0
		.amdhsa_exception_fp_ieee_invalid_op 0
		.amdhsa_exception_fp_denorm_src 0
		.amdhsa_exception_fp_ieee_div_zero 0
		.amdhsa_exception_fp_ieee_overflow 0
		.amdhsa_exception_fp_ieee_underflow 0
		.amdhsa_exception_fp_ieee_inexact 0
		.amdhsa_exception_int_div_zero 0
	.end_amdhsa_kernel
	.section	.text._ZN7rocprim17ROCPRIM_400000_NS6detail17trampoline_kernelINS0_14default_configENS1_37merge_sort_block_sort_config_selectorIdNS0_10empty_typeEEEZNS1_21merge_sort_block_sortIS3_N6thrust23THRUST_200600_302600_NS6detail15normal_iteratorINS9_10device_ptrIdEEEESE_PS5_SF_14custom_greaterIdEEE10hipError_tT0_T1_T2_T3_mRjT4_P12ihipStream_tbNS1_7vsmem_tEEUlT_E_NS1_11comp_targetILNS1_3genE3ELNS1_11target_archE908ELNS1_3gpuE7ELNS1_3repE0EEENS1_30default_config_static_selectorELNS0_4arch9wavefront6targetE1EEEvSK_,"axG",@progbits,_ZN7rocprim17ROCPRIM_400000_NS6detail17trampoline_kernelINS0_14default_configENS1_37merge_sort_block_sort_config_selectorIdNS0_10empty_typeEEEZNS1_21merge_sort_block_sortIS3_N6thrust23THRUST_200600_302600_NS6detail15normal_iteratorINS9_10device_ptrIdEEEESE_PS5_SF_14custom_greaterIdEEE10hipError_tT0_T1_T2_T3_mRjT4_P12ihipStream_tbNS1_7vsmem_tEEUlT_E_NS1_11comp_targetILNS1_3genE3ELNS1_11target_archE908ELNS1_3gpuE7ELNS1_3repE0EEENS1_30default_config_static_selectorELNS0_4arch9wavefront6targetE1EEEvSK_,comdat
.Lfunc_end3607:
	.size	_ZN7rocprim17ROCPRIM_400000_NS6detail17trampoline_kernelINS0_14default_configENS1_37merge_sort_block_sort_config_selectorIdNS0_10empty_typeEEEZNS1_21merge_sort_block_sortIS3_N6thrust23THRUST_200600_302600_NS6detail15normal_iteratorINS9_10device_ptrIdEEEESE_PS5_SF_14custom_greaterIdEEE10hipError_tT0_T1_T2_T3_mRjT4_P12ihipStream_tbNS1_7vsmem_tEEUlT_E_NS1_11comp_targetILNS1_3genE3ELNS1_11target_archE908ELNS1_3gpuE7ELNS1_3repE0EEENS1_30default_config_static_selectorELNS0_4arch9wavefront6targetE1EEEvSK_, .Lfunc_end3607-_ZN7rocprim17ROCPRIM_400000_NS6detail17trampoline_kernelINS0_14default_configENS1_37merge_sort_block_sort_config_selectorIdNS0_10empty_typeEEEZNS1_21merge_sort_block_sortIS3_N6thrust23THRUST_200600_302600_NS6detail15normal_iteratorINS9_10device_ptrIdEEEESE_PS5_SF_14custom_greaterIdEEE10hipError_tT0_T1_T2_T3_mRjT4_P12ihipStream_tbNS1_7vsmem_tEEUlT_E_NS1_11comp_targetILNS1_3genE3ELNS1_11target_archE908ELNS1_3gpuE7ELNS1_3repE0EEENS1_30default_config_static_selectorELNS0_4arch9wavefront6targetE1EEEvSK_
                                        ; -- End function
	.section	.AMDGPU.csdata,"",@progbits
; Kernel info:
; codeLenInByte = 0
; NumSgprs: 4
; NumVgprs: 0
; NumAgprs: 0
; TotalNumVgprs: 0
; ScratchSize: 0
; MemoryBound: 0
; FloatMode: 240
; IeeeMode: 1
; LDSByteSize: 0 bytes/workgroup (compile time only)
; SGPRBlocks: 0
; VGPRBlocks: 0
; NumSGPRsForWavesPerEU: 4
; NumVGPRsForWavesPerEU: 1
; AccumOffset: 4
; Occupancy: 8
; WaveLimiterHint : 0
; COMPUTE_PGM_RSRC2:SCRATCH_EN: 0
; COMPUTE_PGM_RSRC2:USER_SGPR: 6
; COMPUTE_PGM_RSRC2:TRAP_HANDLER: 0
; COMPUTE_PGM_RSRC2:TGID_X_EN: 1
; COMPUTE_PGM_RSRC2:TGID_Y_EN: 0
; COMPUTE_PGM_RSRC2:TGID_Z_EN: 0
; COMPUTE_PGM_RSRC2:TIDIG_COMP_CNT: 0
; COMPUTE_PGM_RSRC3_GFX90A:ACCUM_OFFSET: 0
; COMPUTE_PGM_RSRC3_GFX90A:TG_SPLIT: 0
	.section	.text._ZN7rocprim17ROCPRIM_400000_NS6detail17trampoline_kernelINS0_14default_configENS1_37merge_sort_block_sort_config_selectorIdNS0_10empty_typeEEEZNS1_21merge_sort_block_sortIS3_N6thrust23THRUST_200600_302600_NS6detail15normal_iteratorINS9_10device_ptrIdEEEESE_PS5_SF_14custom_greaterIdEEE10hipError_tT0_T1_T2_T3_mRjT4_P12ihipStream_tbNS1_7vsmem_tEEUlT_E_NS1_11comp_targetILNS1_3genE2ELNS1_11target_archE906ELNS1_3gpuE6ELNS1_3repE0EEENS1_30default_config_static_selectorELNS0_4arch9wavefront6targetE1EEEvSK_,"axG",@progbits,_ZN7rocprim17ROCPRIM_400000_NS6detail17trampoline_kernelINS0_14default_configENS1_37merge_sort_block_sort_config_selectorIdNS0_10empty_typeEEEZNS1_21merge_sort_block_sortIS3_N6thrust23THRUST_200600_302600_NS6detail15normal_iteratorINS9_10device_ptrIdEEEESE_PS5_SF_14custom_greaterIdEEE10hipError_tT0_T1_T2_T3_mRjT4_P12ihipStream_tbNS1_7vsmem_tEEUlT_E_NS1_11comp_targetILNS1_3genE2ELNS1_11target_archE906ELNS1_3gpuE6ELNS1_3repE0EEENS1_30default_config_static_selectorELNS0_4arch9wavefront6targetE1EEEvSK_,comdat
	.protected	_ZN7rocprim17ROCPRIM_400000_NS6detail17trampoline_kernelINS0_14default_configENS1_37merge_sort_block_sort_config_selectorIdNS0_10empty_typeEEEZNS1_21merge_sort_block_sortIS3_N6thrust23THRUST_200600_302600_NS6detail15normal_iteratorINS9_10device_ptrIdEEEESE_PS5_SF_14custom_greaterIdEEE10hipError_tT0_T1_T2_T3_mRjT4_P12ihipStream_tbNS1_7vsmem_tEEUlT_E_NS1_11comp_targetILNS1_3genE2ELNS1_11target_archE906ELNS1_3gpuE6ELNS1_3repE0EEENS1_30default_config_static_selectorELNS0_4arch9wavefront6targetE1EEEvSK_ ; -- Begin function _ZN7rocprim17ROCPRIM_400000_NS6detail17trampoline_kernelINS0_14default_configENS1_37merge_sort_block_sort_config_selectorIdNS0_10empty_typeEEEZNS1_21merge_sort_block_sortIS3_N6thrust23THRUST_200600_302600_NS6detail15normal_iteratorINS9_10device_ptrIdEEEESE_PS5_SF_14custom_greaterIdEEE10hipError_tT0_T1_T2_T3_mRjT4_P12ihipStream_tbNS1_7vsmem_tEEUlT_E_NS1_11comp_targetILNS1_3genE2ELNS1_11target_archE906ELNS1_3gpuE6ELNS1_3repE0EEENS1_30default_config_static_selectorELNS0_4arch9wavefront6targetE1EEEvSK_
	.globl	_ZN7rocprim17ROCPRIM_400000_NS6detail17trampoline_kernelINS0_14default_configENS1_37merge_sort_block_sort_config_selectorIdNS0_10empty_typeEEEZNS1_21merge_sort_block_sortIS3_N6thrust23THRUST_200600_302600_NS6detail15normal_iteratorINS9_10device_ptrIdEEEESE_PS5_SF_14custom_greaterIdEEE10hipError_tT0_T1_T2_T3_mRjT4_P12ihipStream_tbNS1_7vsmem_tEEUlT_E_NS1_11comp_targetILNS1_3genE2ELNS1_11target_archE906ELNS1_3gpuE6ELNS1_3repE0EEENS1_30default_config_static_selectorELNS0_4arch9wavefront6targetE1EEEvSK_
	.p2align	8
	.type	_ZN7rocprim17ROCPRIM_400000_NS6detail17trampoline_kernelINS0_14default_configENS1_37merge_sort_block_sort_config_selectorIdNS0_10empty_typeEEEZNS1_21merge_sort_block_sortIS3_N6thrust23THRUST_200600_302600_NS6detail15normal_iteratorINS9_10device_ptrIdEEEESE_PS5_SF_14custom_greaterIdEEE10hipError_tT0_T1_T2_T3_mRjT4_P12ihipStream_tbNS1_7vsmem_tEEUlT_E_NS1_11comp_targetILNS1_3genE2ELNS1_11target_archE906ELNS1_3gpuE6ELNS1_3repE0EEENS1_30default_config_static_selectorELNS0_4arch9wavefront6targetE1EEEvSK_,@function
_ZN7rocprim17ROCPRIM_400000_NS6detail17trampoline_kernelINS0_14default_configENS1_37merge_sort_block_sort_config_selectorIdNS0_10empty_typeEEEZNS1_21merge_sort_block_sortIS3_N6thrust23THRUST_200600_302600_NS6detail15normal_iteratorINS9_10device_ptrIdEEEESE_PS5_SF_14custom_greaterIdEEE10hipError_tT0_T1_T2_T3_mRjT4_P12ihipStream_tbNS1_7vsmem_tEEUlT_E_NS1_11comp_targetILNS1_3genE2ELNS1_11target_archE906ELNS1_3gpuE6ELNS1_3repE0EEENS1_30default_config_static_selectorELNS0_4arch9wavefront6targetE1EEEvSK_: ; @_ZN7rocprim17ROCPRIM_400000_NS6detail17trampoline_kernelINS0_14default_configENS1_37merge_sort_block_sort_config_selectorIdNS0_10empty_typeEEEZNS1_21merge_sort_block_sortIS3_N6thrust23THRUST_200600_302600_NS6detail15normal_iteratorINS9_10device_ptrIdEEEESE_PS5_SF_14custom_greaterIdEEE10hipError_tT0_T1_T2_T3_mRjT4_P12ihipStream_tbNS1_7vsmem_tEEUlT_E_NS1_11comp_targetILNS1_3genE2ELNS1_11target_archE906ELNS1_3gpuE6ELNS1_3repE0EEENS1_30default_config_static_selectorELNS0_4arch9wavefront6targetE1EEEvSK_
; %bb.0:
	.section	.rodata,"a",@progbits
	.p2align	6, 0x0
	.amdhsa_kernel _ZN7rocprim17ROCPRIM_400000_NS6detail17trampoline_kernelINS0_14default_configENS1_37merge_sort_block_sort_config_selectorIdNS0_10empty_typeEEEZNS1_21merge_sort_block_sortIS3_N6thrust23THRUST_200600_302600_NS6detail15normal_iteratorINS9_10device_ptrIdEEEESE_PS5_SF_14custom_greaterIdEEE10hipError_tT0_T1_T2_T3_mRjT4_P12ihipStream_tbNS1_7vsmem_tEEUlT_E_NS1_11comp_targetILNS1_3genE2ELNS1_11target_archE906ELNS1_3gpuE6ELNS1_3repE0EEENS1_30default_config_static_selectorELNS0_4arch9wavefront6targetE1EEEvSK_
		.amdhsa_group_segment_fixed_size 0
		.amdhsa_private_segment_fixed_size 0
		.amdhsa_kernarg_size 64
		.amdhsa_user_sgpr_count 6
		.amdhsa_user_sgpr_private_segment_buffer 1
		.amdhsa_user_sgpr_dispatch_ptr 0
		.amdhsa_user_sgpr_queue_ptr 0
		.amdhsa_user_sgpr_kernarg_segment_ptr 1
		.amdhsa_user_sgpr_dispatch_id 0
		.amdhsa_user_sgpr_flat_scratch_init 0
		.amdhsa_user_sgpr_kernarg_preload_length 0
		.amdhsa_user_sgpr_kernarg_preload_offset 0
		.amdhsa_user_sgpr_private_segment_size 0
		.amdhsa_uses_dynamic_stack 0
		.amdhsa_system_sgpr_private_segment_wavefront_offset 0
		.amdhsa_system_sgpr_workgroup_id_x 1
		.amdhsa_system_sgpr_workgroup_id_y 0
		.amdhsa_system_sgpr_workgroup_id_z 0
		.amdhsa_system_sgpr_workgroup_info 0
		.amdhsa_system_vgpr_workitem_id 0
		.amdhsa_next_free_vgpr 1
		.amdhsa_next_free_sgpr 0
		.amdhsa_accum_offset 4
		.amdhsa_reserve_vcc 0
		.amdhsa_reserve_flat_scratch 0
		.amdhsa_float_round_mode_32 0
		.amdhsa_float_round_mode_16_64 0
		.amdhsa_float_denorm_mode_32 3
		.amdhsa_float_denorm_mode_16_64 3
		.amdhsa_dx10_clamp 1
		.amdhsa_ieee_mode 1
		.amdhsa_fp16_overflow 0
		.amdhsa_tg_split 0
		.amdhsa_exception_fp_ieee_invalid_op 0
		.amdhsa_exception_fp_denorm_src 0
		.amdhsa_exception_fp_ieee_div_zero 0
		.amdhsa_exception_fp_ieee_overflow 0
		.amdhsa_exception_fp_ieee_underflow 0
		.amdhsa_exception_fp_ieee_inexact 0
		.amdhsa_exception_int_div_zero 0
	.end_amdhsa_kernel
	.section	.text._ZN7rocprim17ROCPRIM_400000_NS6detail17trampoline_kernelINS0_14default_configENS1_37merge_sort_block_sort_config_selectorIdNS0_10empty_typeEEEZNS1_21merge_sort_block_sortIS3_N6thrust23THRUST_200600_302600_NS6detail15normal_iteratorINS9_10device_ptrIdEEEESE_PS5_SF_14custom_greaterIdEEE10hipError_tT0_T1_T2_T3_mRjT4_P12ihipStream_tbNS1_7vsmem_tEEUlT_E_NS1_11comp_targetILNS1_3genE2ELNS1_11target_archE906ELNS1_3gpuE6ELNS1_3repE0EEENS1_30default_config_static_selectorELNS0_4arch9wavefront6targetE1EEEvSK_,"axG",@progbits,_ZN7rocprim17ROCPRIM_400000_NS6detail17trampoline_kernelINS0_14default_configENS1_37merge_sort_block_sort_config_selectorIdNS0_10empty_typeEEEZNS1_21merge_sort_block_sortIS3_N6thrust23THRUST_200600_302600_NS6detail15normal_iteratorINS9_10device_ptrIdEEEESE_PS5_SF_14custom_greaterIdEEE10hipError_tT0_T1_T2_T3_mRjT4_P12ihipStream_tbNS1_7vsmem_tEEUlT_E_NS1_11comp_targetILNS1_3genE2ELNS1_11target_archE906ELNS1_3gpuE6ELNS1_3repE0EEENS1_30default_config_static_selectorELNS0_4arch9wavefront6targetE1EEEvSK_,comdat
.Lfunc_end3608:
	.size	_ZN7rocprim17ROCPRIM_400000_NS6detail17trampoline_kernelINS0_14default_configENS1_37merge_sort_block_sort_config_selectorIdNS0_10empty_typeEEEZNS1_21merge_sort_block_sortIS3_N6thrust23THRUST_200600_302600_NS6detail15normal_iteratorINS9_10device_ptrIdEEEESE_PS5_SF_14custom_greaterIdEEE10hipError_tT0_T1_T2_T3_mRjT4_P12ihipStream_tbNS1_7vsmem_tEEUlT_E_NS1_11comp_targetILNS1_3genE2ELNS1_11target_archE906ELNS1_3gpuE6ELNS1_3repE0EEENS1_30default_config_static_selectorELNS0_4arch9wavefront6targetE1EEEvSK_, .Lfunc_end3608-_ZN7rocprim17ROCPRIM_400000_NS6detail17trampoline_kernelINS0_14default_configENS1_37merge_sort_block_sort_config_selectorIdNS0_10empty_typeEEEZNS1_21merge_sort_block_sortIS3_N6thrust23THRUST_200600_302600_NS6detail15normal_iteratorINS9_10device_ptrIdEEEESE_PS5_SF_14custom_greaterIdEEE10hipError_tT0_T1_T2_T3_mRjT4_P12ihipStream_tbNS1_7vsmem_tEEUlT_E_NS1_11comp_targetILNS1_3genE2ELNS1_11target_archE906ELNS1_3gpuE6ELNS1_3repE0EEENS1_30default_config_static_selectorELNS0_4arch9wavefront6targetE1EEEvSK_
                                        ; -- End function
	.section	.AMDGPU.csdata,"",@progbits
; Kernel info:
; codeLenInByte = 0
; NumSgprs: 4
; NumVgprs: 0
; NumAgprs: 0
; TotalNumVgprs: 0
; ScratchSize: 0
; MemoryBound: 0
; FloatMode: 240
; IeeeMode: 1
; LDSByteSize: 0 bytes/workgroup (compile time only)
; SGPRBlocks: 0
; VGPRBlocks: 0
; NumSGPRsForWavesPerEU: 4
; NumVGPRsForWavesPerEU: 1
; AccumOffset: 4
; Occupancy: 8
; WaveLimiterHint : 0
; COMPUTE_PGM_RSRC2:SCRATCH_EN: 0
; COMPUTE_PGM_RSRC2:USER_SGPR: 6
; COMPUTE_PGM_RSRC2:TRAP_HANDLER: 0
; COMPUTE_PGM_RSRC2:TGID_X_EN: 1
; COMPUTE_PGM_RSRC2:TGID_Y_EN: 0
; COMPUTE_PGM_RSRC2:TGID_Z_EN: 0
; COMPUTE_PGM_RSRC2:TIDIG_COMP_CNT: 0
; COMPUTE_PGM_RSRC3_GFX90A:ACCUM_OFFSET: 0
; COMPUTE_PGM_RSRC3_GFX90A:TG_SPLIT: 0
	.section	.text._ZN7rocprim17ROCPRIM_400000_NS6detail17trampoline_kernelINS0_14default_configENS1_37merge_sort_block_sort_config_selectorIdNS0_10empty_typeEEEZNS1_21merge_sort_block_sortIS3_N6thrust23THRUST_200600_302600_NS6detail15normal_iteratorINS9_10device_ptrIdEEEESE_PS5_SF_14custom_greaterIdEEE10hipError_tT0_T1_T2_T3_mRjT4_P12ihipStream_tbNS1_7vsmem_tEEUlT_E_NS1_11comp_targetILNS1_3genE10ELNS1_11target_archE1201ELNS1_3gpuE5ELNS1_3repE0EEENS1_30default_config_static_selectorELNS0_4arch9wavefront6targetE1EEEvSK_,"axG",@progbits,_ZN7rocprim17ROCPRIM_400000_NS6detail17trampoline_kernelINS0_14default_configENS1_37merge_sort_block_sort_config_selectorIdNS0_10empty_typeEEEZNS1_21merge_sort_block_sortIS3_N6thrust23THRUST_200600_302600_NS6detail15normal_iteratorINS9_10device_ptrIdEEEESE_PS5_SF_14custom_greaterIdEEE10hipError_tT0_T1_T2_T3_mRjT4_P12ihipStream_tbNS1_7vsmem_tEEUlT_E_NS1_11comp_targetILNS1_3genE10ELNS1_11target_archE1201ELNS1_3gpuE5ELNS1_3repE0EEENS1_30default_config_static_selectorELNS0_4arch9wavefront6targetE1EEEvSK_,comdat
	.protected	_ZN7rocprim17ROCPRIM_400000_NS6detail17trampoline_kernelINS0_14default_configENS1_37merge_sort_block_sort_config_selectorIdNS0_10empty_typeEEEZNS1_21merge_sort_block_sortIS3_N6thrust23THRUST_200600_302600_NS6detail15normal_iteratorINS9_10device_ptrIdEEEESE_PS5_SF_14custom_greaterIdEEE10hipError_tT0_T1_T2_T3_mRjT4_P12ihipStream_tbNS1_7vsmem_tEEUlT_E_NS1_11comp_targetILNS1_3genE10ELNS1_11target_archE1201ELNS1_3gpuE5ELNS1_3repE0EEENS1_30default_config_static_selectorELNS0_4arch9wavefront6targetE1EEEvSK_ ; -- Begin function _ZN7rocprim17ROCPRIM_400000_NS6detail17trampoline_kernelINS0_14default_configENS1_37merge_sort_block_sort_config_selectorIdNS0_10empty_typeEEEZNS1_21merge_sort_block_sortIS3_N6thrust23THRUST_200600_302600_NS6detail15normal_iteratorINS9_10device_ptrIdEEEESE_PS5_SF_14custom_greaterIdEEE10hipError_tT0_T1_T2_T3_mRjT4_P12ihipStream_tbNS1_7vsmem_tEEUlT_E_NS1_11comp_targetILNS1_3genE10ELNS1_11target_archE1201ELNS1_3gpuE5ELNS1_3repE0EEENS1_30default_config_static_selectorELNS0_4arch9wavefront6targetE1EEEvSK_
	.globl	_ZN7rocprim17ROCPRIM_400000_NS6detail17trampoline_kernelINS0_14default_configENS1_37merge_sort_block_sort_config_selectorIdNS0_10empty_typeEEEZNS1_21merge_sort_block_sortIS3_N6thrust23THRUST_200600_302600_NS6detail15normal_iteratorINS9_10device_ptrIdEEEESE_PS5_SF_14custom_greaterIdEEE10hipError_tT0_T1_T2_T3_mRjT4_P12ihipStream_tbNS1_7vsmem_tEEUlT_E_NS1_11comp_targetILNS1_3genE10ELNS1_11target_archE1201ELNS1_3gpuE5ELNS1_3repE0EEENS1_30default_config_static_selectorELNS0_4arch9wavefront6targetE1EEEvSK_
	.p2align	8
	.type	_ZN7rocprim17ROCPRIM_400000_NS6detail17trampoline_kernelINS0_14default_configENS1_37merge_sort_block_sort_config_selectorIdNS0_10empty_typeEEEZNS1_21merge_sort_block_sortIS3_N6thrust23THRUST_200600_302600_NS6detail15normal_iteratorINS9_10device_ptrIdEEEESE_PS5_SF_14custom_greaterIdEEE10hipError_tT0_T1_T2_T3_mRjT4_P12ihipStream_tbNS1_7vsmem_tEEUlT_E_NS1_11comp_targetILNS1_3genE10ELNS1_11target_archE1201ELNS1_3gpuE5ELNS1_3repE0EEENS1_30default_config_static_selectorELNS0_4arch9wavefront6targetE1EEEvSK_,@function
_ZN7rocprim17ROCPRIM_400000_NS6detail17trampoline_kernelINS0_14default_configENS1_37merge_sort_block_sort_config_selectorIdNS0_10empty_typeEEEZNS1_21merge_sort_block_sortIS3_N6thrust23THRUST_200600_302600_NS6detail15normal_iteratorINS9_10device_ptrIdEEEESE_PS5_SF_14custom_greaterIdEEE10hipError_tT0_T1_T2_T3_mRjT4_P12ihipStream_tbNS1_7vsmem_tEEUlT_E_NS1_11comp_targetILNS1_3genE10ELNS1_11target_archE1201ELNS1_3gpuE5ELNS1_3repE0EEENS1_30default_config_static_selectorELNS0_4arch9wavefront6targetE1EEEvSK_: ; @_ZN7rocprim17ROCPRIM_400000_NS6detail17trampoline_kernelINS0_14default_configENS1_37merge_sort_block_sort_config_selectorIdNS0_10empty_typeEEEZNS1_21merge_sort_block_sortIS3_N6thrust23THRUST_200600_302600_NS6detail15normal_iteratorINS9_10device_ptrIdEEEESE_PS5_SF_14custom_greaterIdEEE10hipError_tT0_T1_T2_T3_mRjT4_P12ihipStream_tbNS1_7vsmem_tEEUlT_E_NS1_11comp_targetILNS1_3genE10ELNS1_11target_archE1201ELNS1_3gpuE5ELNS1_3repE0EEENS1_30default_config_static_selectorELNS0_4arch9wavefront6targetE1EEEvSK_
; %bb.0:
	.section	.rodata,"a",@progbits
	.p2align	6, 0x0
	.amdhsa_kernel _ZN7rocprim17ROCPRIM_400000_NS6detail17trampoline_kernelINS0_14default_configENS1_37merge_sort_block_sort_config_selectorIdNS0_10empty_typeEEEZNS1_21merge_sort_block_sortIS3_N6thrust23THRUST_200600_302600_NS6detail15normal_iteratorINS9_10device_ptrIdEEEESE_PS5_SF_14custom_greaterIdEEE10hipError_tT0_T1_T2_T3_mRjT4_P12ihipStream_tbNS1_7vsmem_tEEUlT_E_NS1_11comp_targetILNS1_3genE10ELNS1_11target_archE1201ELNS1_3gpuE5ELNS1_3repE0EEENS1_30default_config_static_selectorELNS0_4arch9wavefront6targetE1EEEvSK_
		.amdhsa_group_segment_fixed_size 0
		.amdhsa_private_segment_fixed_size 0
		.amdhsa_kernarg_size 64
		.amdhsa_user_sgpr_count 6
		.amdhsa_user_sgpr_private_segment_buffer 1
		.amdhsa_user_sgpr_dispatch_ptr 0
		.amdhsa_user_sgpr_queue_ptr 0
		.amdhsa_user_sgpr_kernarg_segment_ptr 1
		.amdhsa_user_sgpr_dispatch_id 0
		.amdhsa_user_sgpr_flat_scratch_init 0
		.amdhsa_user_sgpr_kernarg_preload_length 0
		.amdhsa_user_sgpr_kernarg_preload_offset 0
		.amdhsa_user_sgpr_private_segment_size 0
		.amdhsa_uses_dynamic_stack 0
		.amdhsa_system_sgpr_private_segment_wavefront_offset 0
		.amdhsa_system_sgpr_workgroup_id_x 1
		.amdhsa_system_sgpr_workgroup_id_y 0
		.amdhsa_system_sgpr_workgroup_id_z 0
		.amdhsa_system_sgpr_workgroup_info 0
		.amdhsa_system_vgpr_workitem_id 0
		.amdhsa_next_free_vgpr 1
		.amdhsa_next_free_sgpr 0
		.amdhsa_accum_offset 4
		.amdhsa_reserve_vcc 0
		.amdhsa_reserve_flat_scratch 0
		.amdhsa_float_round_mode_32 0
		.amdhsa_float_round_mode_16_64 0
		.amdhsa_float_denorm_mode_32 3
		.amdhsa_float_denorm_mode_16_64 3
		.amdhsa_dx10_clamp 1
		.amdhsa_ieee_mode 1
		.amdhsa_fp16_overflow 0
		.amdhsa_tg_split 0
		.amdhsa_exception_fp_ieee_invalid_op 0
		.amdhsa_exception_fp_denorm_src 0
		.amdhsa_exception_fp_ieee_div_zero 0
		.amdhsa_exception_fp_ieee_overflow 0
		.amdhsa_exception_fp_ieee_underflow 0
		.amdhsa_exception_fp_ieee_inexact 0
		.amdhsa_exception_int_div_zero 0
	.end_amdhsa_kernel
	.section	.text._ZN7rocprim17ROCPRIM_400000_NS6detail17trampoline_kernelINS0_14default_configENS1_37merge_sort_block_sort_config_selectorIdNS0_10empty_typeEEEZNS1_21merge_sort_block_sortIS3_N6thrust23THRUST_200600_302600_NS6detail15normal_iteratorINS9_10device_ptrIdEEEESE_PS5_SF_14custom_greaterIdEEE10hipError_tT0_T1_T2_T3_mRjT4_P12ihipStream_tbNS1_7vsmem_tEEUlT_E_NS1_11comp_targetILNS1_3genE10ELNS1_11target_archE1201ELNS1_3gpuE5ELNS1_3repE0EEENS1_30default_config_static_selectorELNS0_4arch9wavefront6targetE1EEEvSK_,"axG",@progbits,_ZN7rocprim17ROCPRIM_400000_NS6detail17trampoline_kernelINS0_14default_configENS1_37merge_sort_block_sort_config_selectorIdNS0_10empty_typeEEEZNS1_21merge_sort_block_sortIS3_N6thrust23THRUST_200600_302600_NS6detail15normal_iteratorINS9_10device_ptrIdEEEESE_PS5_SF_14custom_greaterIdEEE10hipError_tT0_T1_T2_T3_mRjT4_P12ihipStream_tbNS1_7vsmem_tEEUlT_E_NS1_11comp_targetILNS1_3genE10ELNS1_11target_archE1201ELNS1_3gpuE5ELNS1_3repE0EEENS1_30default_config_static_selectorELNS0_4arch9wavefront6targetE1EEEvSK_,comdat
.Lfunc_end3609:
	.size	_ZN7rocprim17ROCPRIM_400000_NS6detail17trampoline_kernelINS0_14default_configENS1_37merge_sort_block_sort_config_selectorIdNS0_10empty_typeEEEZNS1_21merge_sort_block_sortIS3_N6thrust23THRUST_200600_302600_NS6detail15normal_iteratorINS9_10device_ptrIdEEEESE_PS5_SF_14custom_greaterIdEEE10hipError_tT0_T1_T2_T3_mRjT4_P12ihipStream_tbNS1_7vsmem_tEEUlT_E_NS1_11comp_targetILNS1_3genE10ELNS1_11target_archE1201ELNS1_3gpuE5ELNS1_3repE0EEENS1_30default_config_static_selectorELNS0_4arch9wavefront6targetE1EEEvSK_, .Lfunc_end3609-_ZN7rocprim17ROCPRIM_400000_NS6detail17trampoline_kernelINS0_14default_configENS1_37merge_sort_block_sort_config_selectorIdNS0_10empty_typeEEEZNS1_21merge_sort_block_sortIS3_N6thrust23THRUST_200600_302600_NS6detail15normal_iteratorINS9_10device_ptrIdEEEESE_PS5_SF_14custom_greaterIdEEE10hipError_tT0_T1_T2_T3_mRjT4_P12ihipStream_tbNS1_7vsmem_tEEUlT_E_NS1_11comp_targetILNS1_3genE10ELNS1_11target_archE1201ELNS1_3gpuE5ELNS1_3repE0EEENS1_30default_config_static_selectorELNS0_4arch9wavefront6targetE1EEEvSK_
                                        ; -- End function
	.section	.AMDGPU.csdata,"",@progbits
; Kernel info:
; codeLenInByte = 0
; NumSgprs: 4
; NumVgprs: 0
; NumAgprs: 0
; TotalNumVgprs: 0
; ScratchSize: 0
; MemoryBound: 0
; FloatMode: 240
; IeeeMode: 1
; LDSByteSize: 0 bytes/workgroup (compile time only)
; SGPRBlocks: 0
; VGPRBlocks: 0
; NumSGPRsForWavesPerEU: 4
; NumVGPRsForWavesPerEU: 1
; AccumOffset: 4
; Occupancy: 8
; WaveLimiterHint : 0
; COMPUTE_PGM_RSRC2:SCRATCH_EN: 0
; COMPUTE_PGM_RSRC2:USER_SGPR: 6
; COMPUTE_PGM_RSRC2:TRAP_HANDLER: 0
; COMPUTE_PGM_RSRC2:TGID_X_EN: 1
; COMPUTE_PGM_RSRC2:TGID_Y_EN: 0
; COMPUTE_PGM_RSRC2:TGID_Z_EN: 0
; COMPUTE_PGM_RSRC2:TIDIG_COMP_CNT: 0
; COMPUTE_PGM_RSRC3_GFX90A:ACCUM_OFFSET: 0
; COMPUTE_PGM_RSRC3_GFX90A:TG_SPLIT: 0
	.section	.text._ZN7rocprim17ROCPRIM_400000_NS6detail17trampoline_kernelINS0_14default_configENS1_37merge_sort_block_sort_config_selectorIdNS0_10empty_typeEEEZNS1_21merge_sort_block_sortIS3_N6thrust23THRUST_200600_302600_NS6detail15normal_iteratorINS9_10device_ptrIdEEEESE_PS5_SF_14custom_greaterIdEEE10hipError_tT0_T1_T2_T3_mRjT4_P12ihipStream_tbNS1_7vsmem_tEEUlT_E_NS1_11comp_targetILNS1_3genE10ELNS1_11target_archE1200ELNS1_3gpuE4ELNS1_3repE0EEENS1_30default_config_static_selectorELNS0_4arch9wavefront6targetE1EEEvSK_,"axG",@progbits,_ZN7rocprim17ROCPRIM_400000_NS6detail17trampoline_kernelINS0_14default_configENS1_37merge_sort_block_sort_config_selectorIdNS0_10empty_typeEEEZNS1_21merge_sort_block_sortIS3_N6thrust23THRUST_200600_302600_NS6detail15normal_iteratorINS9_10device_ptrIdEEEESE_PS5_SF_14custom_greaterIdEEE10hipError_tT0_T1_T2_T3_mRjT4_P12ihipStream_tbNS1_7vsmem_tEEUlT_E_NS1_11comp_targetILNS1_3genE10ELNS1_11target_archE1200ELNS1_3gpuE4ELNS1_3repE0EEENS1_30default_config_static_selectorELNS0_4arch9wavefront6targetE1EEEvSK_,comdat
	.protected	_ZN7rocprim17ROCPRIM_400000_NS6detail17trampoline_kernelINS0_14default_configENS1_37merge_sort_block_sort_config_selectorIdNS0_10empty_typeEEEZNS1_21merge_sort_block_sortIS3_N6thrust23THRUST_200600_302600_NS6detail15normal_iteratorINS9_10device_ptrIdEEEESE_PS5_SF_14custom_greaterIdEEE10hipError_tT0_T1_T2_T3_mRjT4_P12ihipStream_tbNS1_7vsmem_tEEUlT_E_NS1_11comp_targetILNS1_3genE10ELNS1_11target_archE1200ELNS1_3gpuE4ELNS1_3repE0EEENS1_30default_config_static_selectorELNS0_4arch9wavefront6targetE1EEEvSK_ ; -- Begin function _ZN7rocprim17ROCPRIM_400000_NS6detail17trampoline_kernelINS0_14default_configENS1_37merge_sort_block_sort_config_selectorIdNS0_10empty_typeEEEZNS1_21merge_sort_block_sortIS3_N6thrust23THRUST_200600_302600_NS6detail15normal_iteratorINS9_10device_ptrIdEEEESE_PS5_SF_14custom_greaterIdEEE10hipError_tT0_T1_T2_T3_mRjT4_P12ihipStream_tbNS1_7vsmem_tEEUlT_E_NS1_11comp_targetILNS1_3genE10ELNS1_11target_archE1200ELNS1_3gpuE4ELNS1_3repE0EEENS1_30default_config_static_selectorELNS0_4arch9wavefront6targetE1EEEvSK_
	.globl	_ZN7rocprim17ROCPRIM_400000_NS6detail17trampoline_kernelINS0_14default_configENS1_37merge_sort_block_sort_config_selectorIdNS0_10empty_typeEEEZNS1_21merge_sort_block_sortIS3_N6thrust23THRUST_200600_302600_NS6detail15normal_iteratorINS9_10device_ptrIdEEEESE_PS5_SF_14custom_greaterIdEEE10hipError_tT0_T1_T2_T3_mRjT4_P12ihipStream_tbNS1_7vsmem_tEEUlT_E_NS1_11comp_targetILNS1_3genE10ELNS1_11target_archE1200ELNS1_3gpuE4ELNS1_3repE0EEENS1_30default_config_static_selectorELNS0_4arch9wavefront6targetE1EEEvSK_
	.p2align	8
	.type	_ZN7rocprim17ROCPRIM_400000_NS6detail17trampoline_kernelINS0_14default_configENS1_37merge_sort_block_sort_config_selectorIdNS0_10empty_typeEEEZNS1_21merge_sort_block_sortIS3_N6thrust23THRUST_200600_302600_NS6detail15normal_iteratorINS9_10device_ptrIdEEEESE_PS5_SF_14custom_greaterIdEEE10hipError_tT0_T1_T2_T3_mRjT4_P12ihipStream_tbNS1_7vsmem_tEEUlT_E_NS1_11comp_targetILNS1_3genE10ELNS1_11target_archE1200ELNS1_3gpuE4ELNS1_3repE0EEENS1_30default_config_static_selectorELNS0_4arch9wavefront6targetE1EEEvSK_,@function
_ZN7rocprim17ROCPRIM_400000_NS6detail17trampoline_kernelINS0_14default_configENS1_37merge_sort_block_sort_config_selectorIdNS0_10empty_typeEEEZNS1_21merge_sort_block_sortIS3_N6thrust23THRUST_200600_302600_NS6detail15normal_iteratorINS9_10device_ptrIdEEEESE_PS5_SF_14custom_greaterIdEEE10hipError_tT0_T1_T2_T3_mRjT4_P12ihipStream_tbNS1_7vsmem_tEEUlT_E_NS1_11comp_targetILNS1_3genE10ELNS1_11target_archE1200ELNS1_3gpuE4ELNS1_3repE0EEENS1_30default_config_static_selectorELNS0_4arch9wavefront6targetE1EEEvSK_: ; @_ZN7rocprim17ROCPRIM_400000_NS6detail17trampoline_kernelINS0_14default_configENS1_37merge_sort_block_sort_config_selectorIdNS0_10empty_typeEEEZNS1_21merge_sort_block_sortIS3_N6thrust23THRUST_200600_302600_NS6detail15normal_iteratorINS9_10device_ptrIdEEEESE_PS5_SF_14custom_greaterIdEEE10hipError_tT0_T1_T2_T3_mRjT4_P12ihipStream_tbNS1_7vsmem_tEEUlT_E_NS1_11comp_targetILNS1_3genE10ELNS1_11target_archE1200ELNS1_3gpuE4ELNS1_3repE0EEENS1_30default_config_static_selectorELNS0_4arch9wavefront6targetE1EEEvSK_
; %bb.0:
	.section	.rodata,"a",@progbits
	.p2align	6, 0x0
	.amdhsa_kernel _ZN7rocprim17ROCPRIM_400000_NS6detail17trampoline_kernelINS0_14default_configENS1_37merge_sort_block_sort_config_selectorIdNS0_10empty_typeEEEZNS1_21merge_sort_block_sortIS3_N6thrust23THRUST_200600_302600_NS6detail15normal_iteratorINS9_10device_ptrIdEEEESE_PS5_SF_14custom_greaterIdEEE10hipError_tT0_T1_T2_T3_mRjT4_P12ihipStream_tbNS1_7vsmem_tEEUlT_E_NS1_11comp_targetILNS1_3genE10ELNS1_11target_archE1200ELNS1_3gpuE4ELNS1_3repE0EEENS1_30default_config_static_selectorELNS0_4arch9wavefront6targetE1EEEvSK_
		.amdhsa_group_segment_fixed_size 0
		.amdhsa_private_segment_fixed_size 0
		.amdhsa_kernarg_size 64
		.amdhsa_user_sgpr_count 6
		.amdhsa_user_sgpr_private_segment_buffer 1
		.amdhsa_user_sgpr_dispatch_ptr 0
		.amdhsa_user_sgpr_queue_ptr 0
		.amdhsa_user_sgpr_kernarg_segment_ptr 1
		.amdhsa_user_sgpr_dispatch_id 0
		.amdhsa_user_sgpr_flat_scratch_init 0
		.amdhsa_user_sgpr_kernarg_preload_length 0
		.amdhsa_user_sgpr_kernarg_preload_offset 0
		.amdhsa_user_sgpr_private_segment_size 0
		.amdhsa_uses_dynamic_stack 0
		.amdhsa_system_sgpr_private_segment_wavefront_offset 0
		.amdhsa_system_sgpr_workgroup_id_x 1
		.amdhsa_system_sgpr_workgroup_id_y 0
		.amdhsa_system_sgpr_workgroup_id_z 0
		.amdhsa_system_sgpr_workgroup_info 0
		.amdhsa_system_vgpr_workitem_id 0
		.amdhsa_next_free_vgpr 1
		.amdhsa_next_free_sgpr 0
		.amdhsa_accum_offset 4
		.amdhsa_reserve_vcc 0
		.amdhsa_reserve_flat_scratch 0
		.amdhsa_float_round_mode_32 0
		.amdhsa_float_round_mode_16_64 0
		.amdhsa_float_denorm_mode_32 3
		.amdhsa_float_denorm_mode_16_64 3
		.amdhsa_dx10_clamp 1
		.amdhsa_ieee_mode 1
		.amdhsa_fp16_overflow 0
		.amdhsa_tg_split 0
		.amdhsa_exception_fp_ieee_invalid_op 0
		.amdhsa_exception_fp_denorm_src 0
		.amdhsa_exception_fp_ieee_div_zero 0
		.amdhsa_exception_fp_ieee_overflow 0
		.amdhsa_exception_fp_ieee_underflow 0
		.amdhsa_exception_fp_ieee_inexact 0
		.amdhsa_exception_int_div_zero 0
	.end_amdhsa_kernel
	.section	.text._ZN7rocprim17ROCPRIM_400000_NS6detail17trampoline_kernelINS0_14default_configENS1_37merge_sort_block_sort_config_selectorIdNS0_10empty_typeEEEZNS1_21merge_sort_block_sortIS3_N6thrust23THRUST_200600_302600_NS6detail15normal_iteratorINS9_10device_ptrIdEEEESE_PS5_SF_14custom_greaterIdEEE10hipError_tT0_T1_T2_T3_mRjT4_P12ihipStream_tbNS1_7vsmem_tEEUlT_E_NS1_11comp_targetILNS1_3genE10ELNS1_11target_archE1200ELNS1_3gpuE4ELNS1_3repE0EEENS1_30default_config_static_selectorELNS0_4arch9wavefront6targetE1EEEvSK_,"axG",@progbits,_ZN7rocprim17ROCPRIM_400000_NS6detail17trampoline_kernelINS0_14default_configENS1_37merge_sort_block_sort_config_selectorIdNS0_10empty_typeEEEZNS1_21merge_sort_block_sortIS3_N6thrust23THRUST_200600_302600_NS6detail15normal_iteratorINS9_10device_ptrIdEEEESE_PS5_SF_14custom_greaterIdEEE10hipError_tT0_T1_T2_T3_mRjT4_P12ihipStream_tbNS1_7vsmem_tEEUlT_E_NS1_11comp_targetILNS1_3genE10ELNS1_11target_archE1200ELNS1_3gpuE4ELNS1_3repE0EEENS1_30default_config_static_selectorELNS0_4arch9wavefront6targetE1EEEvSK_,comdat
.Lfunc_end3610:
	.size	_ZN7rocprim17ROCPRIM_400000_NS6detail17trampoline_kernelINS0_14default_configENS1_37merge_sort_block_sort_config_selectorIdNS0_10empty_typeEEEZNS1_21merge_sort_block_sortIS3_N6thrust23THRUST_200600_302600_NS6detail15normal_iteratorINS9_10device_ptrIdEEEESE_PS5_SF_14custom_greaterIdEEE10hipError_tT0_T1_T2_T3_mRjT4_P12ihipStream_tbNS1_7vsmem_tEEUlT_E_NS1_11comp_targetILNS1_3genE10ELNS1_11target_archE1200ELNS1_3gpuE4ELNS1_3repE0EEENS1_30default_config_static_selectorELNS0_4arch9wavefront6targetE1EEEvSK_, .Lfunc_end3610-_ZN7rocprim17ROCPRIM_400000_NS6detail17trampoline_kernelINS0_14default_configENS1_37merge_sort_block_sort_config_selectorIdNS0_10empty_typeEEEZNS1_21merge_sort_block_sortIS3_N6thrust23THRUST_200600_302600_NS6detail15normal_iteratorINS9_10device_ptrIdEEEESE_PS5_SF_14custom_greaterIdEEE10hipError_tT0_T1_T2_T3_mRjT4_P12ihipStream_tbNS1_7vsmem_tEEUlT_E_NS1_11comp_targetILNS1_3genE10ELNS1_11target_archE1200ELNS1_3gpuE4ELNS1_3repE0EEENS1_30default_config_static_selectorELNS0_4arch9wavefront6targetE1EEEvSK_
                                        ; -- End function
	.section	.AMDGPU.csdata,"",@progbits
; Kernel info:
; codeLenInByte = 0
; NumSgprs: 4
; NumVgprs: 0
; NumAgprs: 0
; TotalNumVgprs: 0
; ScratchSize: 0
; MemoryBound: 0
; FloatMode: 240
; IeeeMode: 1
; LDSByteSize: 0 bytes/workgroup (compile time only)
; SGPRBlocks: 0
; VGPRBlocks: 0
; NumSGPRsForWavesPerEU: 4
; NumVGPRsForWavesPerEU: 1
; AccumOffset: 4
; Occupancy: 8
; WaveLimiterHint : 0
; COMPUTE_PGM_RSRC2:SCRATCH_EN: 0
; COMPUTE_PGM_RSRC2:USER_SGPR: 6
; COMPUTE_PGM_RSRC2:TRAP_HANDLER: 0
; COMPUTE_PGM_RSRC2:TGID_X_EN: 1
; COMPUTE_PGM_RSRC2:TGID_Y_EN: 0
; COMPUTE_PGM_RSRC2:TGID_Z_EN: 0
; COMPUTE_PGM_RSRC2:TIDIG_COMP_CNT: 0
; COMPUTE_PGM_RSRC3_GFX90A:ACCUM_OFFSET: 0
; COMPUTE_PGM_RSRC3_GFX90A:TG_SPLIT: 0
	.section	.text._ZN7rocprim17ROCPRIM_400000_NS6detail17trampoline_kernelINS0_14default_configENS1_37merge_sort_block_sort_config_selectorIdNS0_10empty_typeEEEZNS1_21merge_sort_block_sortIS3_N6thrust23THRUST_200600_302600_NS6detail15normal_iteratorINS9_10device_ptrIdEEEESE_PS5_SF_14custom_greaterIdEEE10hipError_tT0_T1_T2_T3_mRjT4_P12ihipStream_tbNS1_7vsmem_tEEUlT_E_NS1_11comp_targetILNS1_3genE9ELNS1_11target_archE1100ELNS1_3gpuE3ELNS1_3repE0EEENS1_30default_config_static_selectorELNS0_4arch9wavefront6targetE1EEEvSK_,"axG",@progbits,_ZN7rocprim17ROCPRIM_400000_NS6detail17trampoline_kernelINS0_14default_configENS1_37merge_sort_block_sort_config_selectorIdNS0_10empty_typeEEEZNS1_21merge_sort_block_sortIS3_N6thrust23THRUST_200600_302600_NS6detail15normal_iteratorINS9_10device_ptrIdEEEESE_PS5_SF_14custom_greaterIdEEE10hipError_tT0_T1_T2_T3_mRjT4_P12ihipStream_tbNS1_7vsmem_tEEUlT_E_NS1_11comp_targetILNS1_3genE9ELNS1_11target_archE1100ELNS1_3gpuE3ELNS1_3repE0EEENS1_30default_config_static_selectorELNS0_4arch9wavefront6targetE1EEEvSK_,comdat
	.protected	_ZN7rocprim17ROCPRIM_400000_NS6detail17trampoline_kernelINS0_14default_configENS1_37merge_sort_block_sort_config_selectorIdNS0_10empty_typeEEEZNS1_21merge_sort_block_sortIS3_N6thrust23THRUST_200600_302600_NS6detail15normal_iteratorINS9_10device_ptrIdEEEESE_PS5_SF_14custom_greaterIdEEE10hipError_tT0_T1_T2_T3_mRjT4_P12ihipStream_tbNS1_7vsmem_tEEUlT_E_NS1_11comp_targetILNS1_3genE9ELNS1_11target_archE1100ELNS1_3gpuE3ELNS1_3repE0EEENS1_30default_config_static_selectorELNS0_4arch9wavefront6targetE1EEEvSK_ ; -- Begin function _ZN7rocprim17ROCPRIM_400000_NS6detail17trampoline_kernelINS0_14default_configENS1_37merge_sort_block_sort_config_selectorIdNS0_10empty_typeEEEZNS1_21merge_sort_block_sortIS3_N6thrust23THRUST_200600_302600_NS6detail15normal_iteratorINS9_10device_ptrIdEEEESE_PS5_SF_14custom_greaterIdEEE10hipError_tT0_T1_T2_T3_mRjT4_P12ihipStream_tbNS1_7vsmem_tEEUlT_E_NS1_11comp_targetILNS1_3genE9ELNS1_11target_archE1100ELNS1_3gpuE3ELNS1_3repE0EEENS1_30default_config_static_selectorELNS0_4arch9wavefront6targetE1EEEvSK_
	.globl	_ZN7rocprim17ROCPRIM_400000_NS6detail17trampoline_kernelINS0_14default_configENS1_37merge_sort_block_sort_config_selectorIdNS0_10empty_typeEEEZNS1_21merge_sort_block_sortIS3_N6thrust23THRUST_200600_302600_NS6detail15normal_iteratorINS9_10device_ptrIdEEEESE_PS5_SF_14custom_greaterIdEEE10hipError_tT0_T1_T2_T3_mRjT4_P12ihipStream_tbNS1_7vsmem_tEEUlT_E_NS1_11comp_targetILNS1_3genE9ELNS1_11target_archE1100ELNS1_3gpuE3ELNS1_3repE0EEENS1_30default_config_static_selectorELNS0_4arch9wavefront6targetE1EEEvSK_
	.p2align	8
	.type	_ZN7rocprim17ROCPRIM_400000_NS6detail17trampoline_kernelINS0_14default_configENS1_37merge_sort_block_sort_config_selectorIdNS0_10empty_typeEEEZNS1_21merge_sort_block_sortIS3_N6thrust23THRUST_200600_302600_NS6detail15normal_iteratorINS9_10device_ptrIdEEEESE_PS5_SF_14custom_greaterIdEEE10hipError_tT0_T1_T2_T3_mRjT4_P12ihipStream_tbNS1_7vsmem_tEEUlT_E_NS1_11comp_targetILNS1_3genE9ELNS1_11target_archE1100ELNS1_3gpuE3ELNS1_3repE0EEENS1_30default_config_static_selectorELNS0_4arch9wavefront6targetE1EEEvSK_,@function
_ZN7rocprim17ROCPRIM_400000_NS6detail17trampoline_kernelINS0_14default_configENS1_37merge_sort_block_sort_config_selectorIdNS0_10empty_typeEEEZNS1_21merge_sort_block_sortIS3_N6thrust23THRUST_200600_302600_NS6detail15normal_iteratorINS9_10device_ptrIdEEEESE_PS5_SF_14custom_greaterIdEEE10hipError_tT0_T1_T2_T3_mRjT4_P12ihipStream_tbNS1_7vsmem_tEEUlT_E_NS1_11comp_targetILNS1_3genE9ELNS1_11target_archE1100ELNS1_3gpuE3ELNS1_3repE0EEENS1_30default_config_static_selectorELNS0_4arch9wavefront6targetE1EEEvSK_: ; @_ZN7rocprim17ROCPRIM_400000_NS6detail17trampoline_kernelINS0_14default_configENS1_37merge_sort_block_sort_config_selectorIdNS0_10empty_typeEEEZNS1_21merge_sort_block_sortIS3_N6thrust23THRUST_200600_302600_NS6detail15normal_iteratorINS9_10device_ptrIdEEEESE_PS5_SF_14custom_greaterIdEEE10hipError_tT0_T1_T2_T3_mRjT4_P12ihipStream_tbNS1_7vsmem_tEEUlT_E_NS1_11comp_targetILNS1_3genE9ELNS1_11target_archE1100ELNS1_3gpuE3ELNS1_3repE0EEENS1_30default_config_static_selectorELNS0_4arch9wavefront6targetE1EEEvSK_
; %bb.0:
	.section	.rodata,"a",@progbits
	.p2align	6, 0x0
	.amdhsa_kernel _ZN7rocprim17ROCPRIM_400000_NS6detail17trampoline_kernelINS0_14default_configENS1_37merge_sort_block_sort_config_selectorIdNS0_10empty_typeEEEZNS1_21merge_sort_block_sortIS3_N6thrust23THRUST_200600_302600_NS6detail15normal_iteratorINS9_10device_ptrIdEEEESE_PS5_SF_14custom_greaterIdEEE10hipError_tT0_T1_T2_T3_mRjT4_P12ihipStream_tbNS1_7vsmem_tEEUlT_E_NS1_11comp_targetILNS1_3genE9ELNS1_11target_archE1100ELNS1_3gpuE3ELNS1_3repE0EEENS1_30default_config_static_selectorELNS0_4arch9wavefront6targetE1EEEvSK_
		.amdhsa_group_segment_fixed_size 0
		.amdhsa_private_segment_fixed_size 0
		.amdhsa_kernarg_size 64
		.amdhsa_user_sgpr_count 6
		.amdhsa_user_sgpr_private_segment_buffer 1
		.amdhsa_user_sgpr_dispatch_ptr 0
		.amdhsa_user_sgpr_queue_ptr 0
		.amdhsa_user_sgpr_kernarg_segment_ptr 1
		.amdhsa_user_sgpr_dispatch_id 0
		.amdhsa_user_sgpr_flat_scratch_init 0
		.amdhsa_user_sgpr_kernarg_preload_length 0
		.amdhsa_user_sgpr_kernarg_preload_offset 0
		.amdhsa_user_sgpr_private_segment_size 0
		.amdhsa_uses_dynamic_stack 0
		.amdhsa_system_sgpr_private_segment_wavefront_offset 0
		.amdhsa_system_sgpr_workgroup_id_x 1
		.amdhsa_system_sgpr_workgroup_id_y 0
		.amdhsa_system_sgpr_workgroup_id_z 0
		.amdhsa_system_sgpr_workgroup_info 0
		.amdhsa_system_vgpr_workitem_id 0
		.amdhsa_next_free_vgpr 1
		.amdhsa_next_free_sgpr 0
		.amdhsa_accum_offset 4
		.amdhsa_reserve_vcc 0
		.amdhsa_reserve_flat_scratch 0
		.amdhsa_float_round_mode_32 0
		.amdhsa_float_round_mode_16_64 0
		.amdhsa_float_denorm_mode_32 3
		.amdhsa_float_denorm_mode_16_64 3
		.amdhsa_dx10_clamp 1
		.amdhsa_ieee_mode 1
		.amdhsa_fp16_overflow 0
		.amdhsa_tg_split 0
		.amdhsa_exception_fp_ieee_invalid_op 0
		.amdhsa_exception_fp_denorm_src 0
		.amdhsa_exception_fp_ieee_div_zero 0
		.amdhsa_exception_fp_ieee_overflow 0
		.amdhsa_exception_fp_ieee_underflow 0
		.amdhsa_exception_fp_ieee_inexact 0
		.amdhsa_exception_int_div_zero 0
	.end_amdhsa_kernel
	.section	.text._ZN7rocprim17ROCPRIM_400000_NS6detail17trampoline_kernelINS0_14default_configENS1_37merge_sort_block_sort_config_selectorIdNS0_10empty_typeEEEZNS1_21merge_sort_block_sortIS3_N6thrust23THRUST_200600_302600_NS6detail15normal_iteratorINS9_10device_ptrIdEEEESE_PS5_SF_14custom_greaterIdEEE10hipError_tT0_T1_T2_T3_mRjT4_P12ihipStream_tbNS1_7vsmem_tEEUlT_E_NS1_11comp_targetILNS1_3genE9ELNS1_11target_archE1100ELNS1_3gpuE3ELNS1_3repE0EEENS1_30default_config_static_selectorELNS0_4arch9wavefront6targetE1EEEvSK_,"axG",@progbits,_ZN7rocprim17ROCPRIM_400000_NS6detail17trampoline_kernelINS0_14default_configENS1_37merge_sort_block_sort_config_selectorIdNS0_10empty_typeEEEZNS1_21merge_sort_block_sortIS3_N6thrust23THRUST_200600_302600_NS6detail15normal_iteratorINS9_10device_ptrIdEEEESE_PS5_SF_14custom_greaterIdEEE10hipError_tT0_T1_T2_T3_mRjT4_P12ihipStream_tbNS1_7vsmem_tEEUlT_E_NS1_11comp_targetILNS1_3genE9ELNS1_11target_archE1100ELNS1_3gpuE3ELNS1_3repE0EEENS1_30default_config_static_selectorELNS0_4arch9wavefront6targetE1EEEvSK_,comdat
.Lfunc_end3611:
	.size	_ZN7rocprim17ROCPRIM_400000_NS6detail17trampoline_kernelINS0_14default_configENS1_37merge_sort_block_sort_config_selectorIdNS0_10empty_typeEEEZNS1_21merge_sort_block_sortIS3_N6thrust23THRUST_200600_302600_NS6detail15normal_iteratorINS9_10device_ptrIdEEEESE_PS5_SF_14custom_greaterIdEEE10hipError_tT0_T1_T2_T3_mRjT4_P12ihipStream_tbNS1_7vsmem_tEEUlT_E_NS1_11comp_targetILNS1_3genE9ELNS1_11target_archE1100ELNS1_3gpuE3ELNS1_3repE0EEENS1_30default_config_static_selectorELNS0_4arch9wavefront6targetE1EEEvSK_, .Lfunc_end3611-_ZN7rocprim17ROCPRIM_400000_NS6detail17trampoline_kernelINS0_14default_configENS1_37merge_sort_block_sort_config_selectorIdNS0_10empty_typeEEEZNS1_21merge_sort_block_sortIS3_N6thrust23THRUST_200600_302600_NS6detail15normal_iteratorINS9_10device_ptrIdEEEESE_PS5_SF_14custom_greaterIdEEE10hipError_tT0_T1_T2_T3_mRjT4_P12ihipStream_tbNS1_7vsmem_tEEUlT_E_NS1_11comp_targetILNS1_3genE9ELNS1_11target_archE1100ELNS1_3gpuE3ELNS1_3repE0EEENS1_30default_config_static_selectorELNS0_4arch9wavefront6targetE1EEEvSK_
                                        ; -- End function
	.section	.AMDGPU.csdata,"",@progbits
; Kernel info:
; codeLenInByte = 0
; NumSgprs: 4
; NumVgprs: 0
; NumAgprs: 0
; TotalNumVgprs: 0
; ScratchSize: 0
; MemoryBound: 0
; FloatMode: 240
; IeeeMode: 1
; LDSByteSize: 0 bytes/workgroup (compile time only)
; SGPRBlocks: 0
; VGPRBlocks: 0
; NumSGPRsForWavesPerEU: 4
; NumVGPRsForWavesPerEU: 1
; AccumOffset: 4
; Occupancy: 8
; WaveLimiterHint : 0
; COMPUTE_PGM_RSRC2:SCRATCH_EN: 0
; COMPUTE_PGM_RSRC2:USER_SGPR: 6
; COMPUTE_PGM_RSRC2:TRAP_HANDLER: 0
; COMPUTE_PGM_RSRC2:TGID_X_EN: 1
; COMPUTE_PGM_RSRC2:TGID_Y_EN: 0
; COMPUTE_PGM_RSRC2:TGID_Z_EN: 0
; COMPUTE_PGM_RSRC2:TIDIG_COMP_CNT: 0
; COMPUTE_PGM_RSRC3_GFX90A:ACCUM_OFFSET: 0
; COMPUTE_PGM_RSRC3_GFX90A:TG_SPLIT: 0
	.section	.text._ZN7rocprim17ROCPRIM_400000_NS6detail17trampoline_kernelINS0_14default_configENS1_37merge_sort_block_sort_config_selectorIdNS0_10empty_typeEEEZNS1_21merge_sort_block_sortIS3_N6thrust23THRUST_200600_302600_NS6detail15normal_iteratorINS9_10device_ptrIdEEEESE_PS5_SF_14custom_greaterIdEEE10hipError_tT0_T1_T2_T3_mRjT4_P12ihipStream_tbNS1_7vsmem_tEEUlT_E_NS1_11comp_targetILNS1_3genE8ELNS1_11target_archE1030ELNS1_3gpuE2ELNS1_3repE0EEENS1_30default_config_static_selectorELNS0_4arch9wavefront6targetE1EEEvSK_,"axG",@progbits,_ZN7rocprim17ROCPRIM_400000_NS6detail17trampoline_kernelINS0_14default_configENS1_37merge_sort_block_sort_config_selectorIdNS0_10empty_typeEEEZNS1_21merge_sort_block_sortIS3_N6thrust23THRUST_200600_302600_NS6detail15normal_iteratorINS9_10device_ptrIdEEEESE_PS5_SF_14custom_greaterIdEEE10hipError_tT0_T1_T2_T3_mRjT4_P12ihipStream_tbNS1_7vsmem_tEEUlT_E_NS1_11comp_targetILNS1_3genE8ELNS1_11target_archE1030ELNS1_3gpuE2ELNS1_3repE0EEENS1_30default_config_static_selectorELNS0_4arch9wavefront6targetE1EEEvSK_,comdat
	.protected	_ZN7rocprim17ROCPRIM_400000_NS6detail17trampoline_kernelINS0_14default_configENS1_37merge_sort_block_sort_config_selectorIdNS0_10empty_typeEEEZNS1_21merge_sort_block_sortIS3_N6thrust23THRUST_200600_302600_NS6detail15normal_iteratorINS9_10device_ptrIdEEEESE_PS5_SF_14custom_greaterIdEEE10hipError_tT0_T1_T2_T3_mRjT4_P12ihipStream_tbNS1_7vsmem_tEEUlT_E_NS1_11comp_targetILNS1_3genE8ELNS1_11target_archE1030ELNS1_3gpuE2ELNS1_3repE0EEENS1_30default_config_static_selectorELNS0_4arch9wavefront6targetE1EEEvSK_ ; -- Begin function _ZN7rocprim17ROCPRIM_400000_NS6detail17trampoline_kernelINS0_14default_configENS1_37merge_sort_block_sort_config_selectorIdNS0_10empty_typeEEEZNS1_21merge_sort_block_sortIS3_N6thrust23THRUST_200600_302600_NS6detail15normal_iteratorINS9_10device_ptrIdEEEESE_PS5_SF_14custom_greaterIdEEE10hipError_tT0_T1_T2_T3_mRjT4_P12ihipStream_tbNS1_7vsmem_tEEUlT_E_NS1_11comp_targetILNS1_3genE8ELNS1_11target_archE1030ELNS1_3gpuE2ELNS1_3repE0EEENS1_30default_config_static_selectorELNS0_4arch9wavefront6targetE1EEEvSK_
	.globl	_ZN7rocprim17ROCPRIM_400000_NS6detail17trampoline_kernelINS0_14default_configENS1_37merge_sort_block_sort_config_selectorIdNS0_10empty_typeEEEZNS1_21merge_sort_block_sortIS3_N6thrust23THRUST_200600_302600_NS6detail15normal_iteratorINS9_10device_ptrIdEEEESE_PS5_SF_14custom_greaterIdEEE10hipError_tT0_T1_T2_T3_mRjT4_P12ihipStream_tbNS1_7vsmem_tEEUlT_E_NS1_11comp_targetILNS1_3genE8ELNS1_11target_archE1030ELNS1_3gpuE2ELNS1_3repE0EEENS1_30default_config_static_selectorELNS0_4arch9wavefront6targetE1EEEvSK_
	.p2align	8
	.type	_ZN7rocprim17ROCPRIM_400000_NS6detail17trampoline_kernelINS0_14default_configENS1_37merge_sort_block_sort_config_selectorIdNS0_10empty_typeEEEZNS1_21merge_sort_block_sortIS3_N6thrust23THRUST_200600_302600_NS6detail15normal_iteratorINS9_10device_ptrIdEEEESE_PS5_SF_14custom_greaterIdEEE10hipError_tT0_T1_T2_T3_mRjT4_P12ihipStream_tbNS1_7vsmem_tEEUlT_E_NS1_11comp_targetILNS1_3genE8ELNS1_11target_archE1030ELNS1_3gpuE2ELNS1_3repE0EEENS1_30default_config_static_selectorELNS0_4arch9wavefront6targetE1EEEvSK_,@function
_ZN7rocprim17ROCPRIM_400000_NS6detail17trampoline_kernelINS0_14default_configENS1_37merge_sort_block_sort_config_selectorIdNS0_10empty_typeEEEZNS1_21merge_sort_block_sortIS3_N6thrust23THRUST_200600_302600_NS6detail15normal_iteratorINS9_10device_ptrIdEEEESE_PS5_SF_14custom_greaterIdEEE10hipError_tT0_T1_T2_T3_mRjT4_P12ihipStream_tbNS1_7vsmem_tEEUlT_E_NS1_11comp_targetILNS1_3genE8ELNS1_11target_archE1030ELNS1_3gpuE2ELNS1_3repE0EEENS1_30default_config_static_selectorELNS0_4arch9wavefront6targetE1EEEvSK_: ; @_ZN7rocprim17ROCPRIM_400000_NS6detail17trampoline_kernelINS0_14default_configENS1_37merge_sort_block_sort_config_selectorIdNS0_10empty_typeEEEZNS1_21merge_sort_block_sortIS3_N6thrust23THRUST_200600_302600_NS6detail15normal_iteratorINS9_10device_ptrIdEEEESE_PS5_SF_14custom_greaterIdEEE10hipError_tT0_T1_T2_T3_mRjT4_P12ihipStream_tbNS1_7vsmem_tEEUlT_E_NS1_11comp_targetILNS1_3genE8ELNS1_11target_archE1030ELNS1_3gpuE2ELNS1_3repE0EEENS1_30default_config_static_selectorELNS0_4arch9wavefront6targetE1EEEvSK_
; %bb.0:
	.section	.rodata,"a",@progbits
	.p2align	6, 0x0
	.amdhsa_kernel _ZN7rocprim17ROCPRIM_400000_NS6detail17trampoline_kernelINS0_14default_configENS1_37merge_sort_block_sort_config_selectorIdNS0_10empty_typeEEEZNS1_21merge_sort_block_sortIS3_N6thrust23THRUST_200600_302600_NS6detail15normal_iteratorINS9_10device_ptrIdEEEESE_PS5_SF_14custom_greaterIdEEE10hipError_tT0_T1_T2_T3_mRjT4_P12ihipStream_tbNS1_7vsmem_tEEUlT_E_NS1_11comp_targetILNS1_3genE8ELNS1_11target_archE1030ELNS1_3gpuE2ELNS1_3repE0EEENS1_30default_config_static_selectorELNS0_4arch9wavefront6targetE1EEEvSK_
		.amdhsa_group_segment_fixed_size 0
		.amdhsa_private_segment_fixed_size 0
		.amdhsa_kernarg_size 64
		.amdhsa_user_sgpr_count 6
		.amdhsa_user_sgpr_private_segment_buffer 1
		.amdhsa_user_sgpr_dispatch_ptr 0
		.amdhsa_user_sgpr_queue_ptr 0
		.amdhsa_user_sgpr_kernarg_segment_ptr 1
		.amdhsa_user_sgpr_dispatch_id 0
		.amdhsa_user_sgpr_flat_scratch_init 0
		.amdhsa_user_sgpr_kernarg_preload_length 0
		.amdhsa_user_sgpr_kernarg_preload_offset 0
		.amdhsa_user_sgpr_private_segment_size 0
		.amdhsa_uses_dynamic_stack 0
		.amdhsa_system_sgpr_private_segment_wavefront_offset 0
		.amdhsa_system_sgpr_workgroup_id_x 1
		.amdhsa_system_sgpr_workgroup_id_y 0
		.amdhsa_system_sgpr_workgroup_id_z 0
		.amdhsa_system_sgpr_workgroup_info 0
		.amdhsa_system_vgpr_workitem_id 0
		.amdhsa_next_free_vgpr 1
		.amdhsa_next_free_sgpr 0
		.amdhsa_accum_offset 4
		.amdhsa_reserve_vcc 0
		.amdhsa_reserve_flat_scratch 0
		.amdhsa_float_round_mode_32 0
		.amdhsa_float_round_mode_16_64 0
		.amdhsa_float_denorm_mode_32 3
		.amdhsa_float_denorm_mode_16_64 3
		.amdhsa_dx10_clamp 1
		.amdhsa_ieee_mode 1
		.amdhsa_fp16_overflow 0
		.amdhsa_tg_split 0
		.amdhsa_exception_fp_ieee_invalid_op 0
		.amdhsa_exception_fp_denorm_src 0
		.amdhsa_exception_fp_ieee_div_zero 0
		.amdhsa_exception_fp_ieee_overflow 0
		.amdhsa_exception_fp_ieee_underflow 0
		.amdhsa_exception_fp_ieee_inexact 0
		.amdhsa_exception_int_div_zero 0
	.end_amdhsa_kernel
	.section	.text._ZN7rocprim17ROCPRIM_400000_NS6detail17trampoline_kernelINS0_14default_configENS1_37merge_sort_block_sort_config_selectorIdNS0_10empty_typeEEEZNS1_21merge_sort_block_sortIS3_N6thrust23THRUST_200600_302600_NS6detail15normal_iteratorINS9_10device_ptrIdEEEESE_PS5_SF_14custom_greaterIdEEE10hipError_tT0_T1_T2_T3_mRjT4_P12ihipStream_tbNS1_7vsmem_tEEUlT_E_NS1_11comp_targetILNS1_3genE8ELNS1_11target_archE1030ELNS1_3gpuE2ELNS1_3repE0EEENS1_30default_config_static_selectorELNS0_4arch9wavefront6targetE1EEEvSK_,"axG",@progbits,_ZN7rocprim17ROCPRIM_400000_NS6detail17trampoline_kernelINS0_14default_configENS1_37merge_sort_block_sort_config_selectorIdNS0_10empty_typeEEEZNS1_21merge_sort_block_sortIS3_N6thrust23THRUST_200600_302600_NS6detail15normal_iteratorINS9_10device_ptrIdEEEESE_PS5_SF_14custom_greaterIdEEE10hipError_tT0_T1_T2_T3_mRjT4_P12ihipStream_tbNS1_7vsmem_tEEUlT_E_NS1_11comp_targetILNS1_3genE8ELNS1_11target_archE1030ELNS1_3gpuE2ELNS1_3repE0EEENS1_30default_config_static_selectorELNS0_4arch9wavefront6targetE1EEEvSK_,comdat
.Lfunc_end3612:
	.size	_ZN7rocprim17ROCPRIM_400000_NS6detail17trampoline_kernelINS0_14default_configENS1_37merge_sort_block_sort_config_selectorIdNS0_10empty_typeEEEZNS1_21merge_sort_block_sortIS3_N6thrust23THRUST_200600_302600_NS6detail15normal_iteratorINS9_10device_ptrIdEEEESE_PS5_SF_14custom_greaterIdEEE10hipError_tT0_T1_T2_T3_mRjT4_P12ihipStream_tbNS1_7vsmem_tEEUlT_E_NS1_11comp_targetILNS1_3genE8ELNS1_11target_archE1030ELNS1_3gpuE2ELNS1_3repE0EEENS1_30default_config_static_selectorELNS0_4arch9wavefront6targetE1EEEvSK_, .Lfunc_end3612-_ZN7rocprim17ROCPRIM_400000_NS6detail17trampoline_kernelINS0_14default_configENS1_37merge_sort_block_sort_config_selectorIdNS0_10empty_typeEEEZNS1_21merge_sort_block_sortIS3_N6thrust23THRUST_200600_302600_NS6detail15normal_iteratorINS9_10device_ptrIdEEEESE_PS5_SF_14custom_greaterIdEEE10hipError_tT0_T1_T2_T3_mRjT4_P12ihipStream_tbNS1_7vsmem_tEEUlT_E_NS1_11comp_targetILNS1_3genE8ELNS1_11target_archE1030ELNS1_3gpuE2ELNS1_3repE0EEENS1_30default_config_static_selectorELNS0_4arch9wavefront6targetE1EEEvSK_
                                        ; -- End function
	.section	.AMDGPU.csdata,"",@progbits
; Kernel info:
; codeLenInByte = 0
; NumSgprs: 4
; NumVgprs: 0
; NumAgprs: 0
; TotalNumVgprs: 0
; ScratchSize: 0
; MemoryBound: 0
; FloatMode: 240
; IeeeMode: 1
; LDSByteSize: 0 bytes/workgroup (compile time only)
; SGPRBlocks: 0
; VGPRBlocks: 0
; NumSGPRsForWavesPerEU: 4
; NumVGPRsForWavesPerEU: 1
; AccumOffset: 4
; Occupancy: 8
; WaveLimiterHint : 0
; COMPUTE_PGM_RSRC2:SCRATCH_EN: 0
; COMPUTE_PGM_RSRC2:USER_SGPR: 6
; COMPUTE_PGM_RSRC2:TRAP_HANDLER: 0
; COMPUTE_PGM_RSRC2:TGID_X_EN: 1
; COMPUTE_PGM_RSRC2:TGID_Y_EN: 0
; COMPUTE_PGM_RSRC2:TGID_Z_EN: 0
; COMPUTE_PGM_RSRC2:TIDIG_COMP_CNT: 0
; COMPUTE_PGM_RSRC3_GFX90A:ACCUM_OFFSET: 0
; COMPUTE_PGM_RSRC3_GFX90A:TG_SPLIT: 0
	.section	.text._ZN7rocprim17ROCPRIM_400000_NS6detail17trampoline_kernelINS0_14default_configENS1_38merge_sort_block_merge_config_selectorIdNS0_10empty_typeEEEZZNS1_27merge_sort_block_merge_implIS3_N6thrust23THRUST_200600_302600_NS6detail15normal_iteratorINS9_10device_ptrIdEEEEPS5_m14custom_greaterIdEEE10hipError_tT0_T1_T2_jT3_P12ihipStream_tbPNSt15iterator_traitsISJ_E10value_typeEPNSP_ISK_E10value_typeEPSL_NS1_7vsmem_tEENKUlT_SJ_SK_SL_E_clIPdSE_SF_SF_EESI_SY_SJ_SK_SL_EUlSY_E_NS1_11comp_targetILNS1_3genE0ELNS1_11target_archE4294967295ELNS1_3gpuE0ELNS1_3repE0EEENS1_48merge_mergepath_partition_config_static_selectorELNS0_4arch9wavefront6targetE1EEEvSK_,"axG",@progbits,_ZN7rocprim17ROCPRIM_400000_NS6detail17trampoline_kernelINS0_14default_configENS1_38merge_sort_block_merge_config_selectorIdNS0_10empty_typeEEEZZNS1_27merge_sort_block_merge_implIS3_N6thrust23THRUST_200600_302600_NS6detail15normal_iteratorINS9_10device_ptrIdEEEEPS5_m14custom_greaterIdEEE10hipError_tT0_T1_T2_jT3_P12ihipStream_tbPNSt15iterator_traitsISJ_E10value_typeEPNSP_ISK_E10value_typeEPSL_NS1_7vsmem_tEENKUlT_SJ_SK_SL_E_clIPdSE_SF_SF_EESI_SY_SJ_SK_SL_EUlSY_E_NS1_11comp_targetILNS1_3genE0ELNS1_11target_archE4294967295ELNS1_3gpuE0ELNS1_3repE0EEENS1_48merge_mergepath_partition_config_static_selectorELNS0_4arch9wavefront6targetE1EEEvSK_,comdat
	.protected	_ZN7rocprim17ROCPRIM_400000_NS6detail17trampoline_kernelINS0_14default_configENS1_38merge_sort_block_merge_config_selectorIdNS0_10empty_typeEEEZZNS1_27merge_sort_block_merge_implIS3_N6thrust23THRUST_200600_302600_NS6detail15normal_iteratorINS9_10device_ptrIdEEEEPS5_m14custom_greaterIdEEE10hipError_tT0_T1_T2_jT3_P12ihipStream_tbPNSt15iterator_traitsISJ_E10value_typeEPNSP_ISK_E10value_typeEPSL_NS1_7vsmem_tEENKUlT_SJ_SK_SL_E_clIPdSE_SF_SF_EESI_SY_SJ_SK_SL_EUlSY_E_NS1_11comp_targetILNS1_3genE0ELNS1_11target_archE4294967295ELNS1_3gpuE0ELNS1_3repE0EEENS1_48merge_mergepath_partition_config_static_selectorELNS0_4arch9wavefront6targetE1EEEvSK_ ; -- Begin function _ZN7rocprim17ROCPRIM_400000_NS6detail17trampoline_kernelINS0_14default_configENS1_38merge_sort_block_merge_config_selectorIdNS0_10empty_typeEEEZZNS1_27merge_sort_block_merge_implIS3_N6thrust23THRUST_200600_302600_NS6detail15normal_iteratorINS9_10device_ptrIdEEEEPS5_m14custom_greaterIdEEE10hipError_tT0_T1_T2_jT3_P12ihipStream_tbPNSt15iterator_traitsISJ_E10value_typeEPNSP_ISK_E10value_typeEPSL_NS1_7vsmem_tEENKUlT_SJ_SK_SL_E_clIPdSE_SF_SF_EESI_SY_SJ_SK_SL_EUlSY_E_NS1_11comp_targetILNS1_3genE0ELNS1_11target_archE4294967295ELNS1_3gpuE0ELNS1_3repE0EEENS1_48merge_mergepath_partition_config_static_selectorELNS0_4arch9wavefront6targetE1EEEvSK_
	.globl	_ZN7rocprim17ROCPRIM_400000_NS6detail17trampoline_kernelINS0_14default_configENS1_38merge_sort_block_merge_config_selectorIdNS0_10empty_typeEEEZZNS1_27merge_sort_block_merge_implIS3_N6thrust23THRUST_200600_302600_NS6detail15normal_iteratorINS9_10device_ptrIdEEEEPS5_m14custom_greaterIdEEE10hipError_tT0_T1_T2_jT3_P12ihipStream_tbPNSt15iterator_traitsISJ_E10value_typeEPNSP_ISK_E10value_typeEPSL_NS1_7vsmem_tEENKUlT_SJ_SK_SL_E_clIPdSE_SF_SF_EESI_SY_SJ_SK_SL_EUlSY_E_NS1_11comp_targetILNS1_3genE0ELNS1_11target_archE4294967295ELNS1_3gpuE0ELNS1_3repE0EEENS1_48merge_mergepath_partition_config_static_selectorELNS0_4arch9wavefront6targetE1EEEvSK_
	.p2align	8
	.type	_ZN7rocprim17ROCPRIM_400000_NS6detail17trampoline_kernelINS0_14default_configENS1_38merge_sort_block_merge_config_selectorIdNS0_10empty_typeEEEZZNS1_27merge_sort_block_merge_implIS3_N6thrust23THRUST_200600_302600_NS6detail15normal_iteratorINS9_10device_ptrIdEEEEPS5_m14custom_greaterIdEEE10hipError_tT0_T1_T2_jT3_P12ihipStream_tbPNSt15iterator_traitsISJ_E10value_typeEPNSP_ISK_E10value_typeEPSL_NS1_7vsmem_tEENKUlT_SJ_SK_SL_E_clIPdSE_SF_SF_EESI_SY_SJ_SK_SL_EUlSY_E_NS1_11comp_targetILNS1_3genE0ELNS1_11target_archE4294967295ELNS1_3gpuE0ELNS1_3repE0EEENS1_48merge_mergepath_partition_config_static_selectorELNS0_4arch9wavefront6targetE1EEEvSK_,@function
_ZN7rocprim17ROCPRIM_400000_NS6detail17trampoline_kernelINS0_14default_configENS1_38merge_sort_block_merge_config_selectorIdNS0_10empty_typeEEEZZNS1_27merge_sort_block_merge_implIS3_N6thrust23THRUST_200600_302600_NS6detail15normal_iteratorINS9_10device_ptrIdEEEEPS5_m14custom_greaterIdEEE10hipError_tT0_T1_T2_jT3_P12ihipStream_tbPNSt15iterator_traitsISJ_E10value_typeEPNSP_ISK_E10value_typeEPSL_NS1_7vsmem_tEENKUlT_SJ_SK_SL_E_clIPdSE_SF_SF_EESI_SY_SJ_SK_SL_EUlSY_E_NS1_11comp_targetILNS1_3genE0ELNS1_11target_archE4294967295ELNS1_3gpuE0ELNS1_3repE0EEENS1_48merge_mergepath_partition_config_static_selectorELNS0_4arch9wavefront6targetE1EEEvSK_: ; @_ZN7rocprim17ROCPRIM_400000_NS6detail17trampoline_kernelINS0_14default_configENS1_38merge_sort_block_merge_config_selectorIdNS0_10empty_typeEEEZZNS1_27merge_sort_block_merge_implIS3_N6thrust23THRUST_200600_302600_NS6detail15normal_iteratorINS9_10device_ptrIdEEEEPS5_m14custom_greaterIdEEE10hipError_tT0_T1_T2_jT3_P12ihipStream_tbPNSt15iterator_traitsISJ_E10value_typeEPNSP_ISK_E10value_typeEPSL_NS1_7vsmem_tEENKUlT_SJ_SK_SL_E_clIPdSE_SF_SF_EESI_SY_SJ_SK_SL_EUlSY_E_NS1_11comp_targetILNS1_3genE0ELNS1_11target_archE4294967295ELNS1_3gpuE0ELNS1_3repE0EEENS1_48merge_mergepath_partition_config_static_selectorELNS0_4arch9wavefront6targetE1EEEvSK_
; %bb.0:
	.section	.rodata,"a",@progbits
	.p2align	6, 0x0
	.amdhsa_kernel _ZN7rocprim17ROCPRIM_400000_NS6detail17trampoline_kernelINS0_14default_configENS1_38merge_sort_block_merge_config_selectorIdNS0_10empty_typeEEEZZNS1_27merge_sort_block_merge_implIS3_N6thrust23THRUST_200600_302600_NS6detail15normal_iteratorINS9_10device_ptrIdEEEEPS5_m14custom_greaterIdEEE10hipError_tT0_T1_T2_jT3_P12ihipStream_tbPNSt15iterator_traitsISJ_E10value_typeEPNSP_ISK_E10value_typeEPSL_NS1_7vsmem_tEENKUlT_SJ_SK_SL_E_clIPdSE_SF_SF_EESI_SY_SJ_SK_SL_EUlSY_E_NS1_11comp_targetILNS1_3genE0ELNS1_11target_archE4294967295ELNS1_3gpuE0ELNS1_3repE0EEENS1_48merge_mergepath_partition_config_static_selectorELNS0_4arch9wavefront6targetE1EEEvSK_
		.amdhsa_group_segment_fixed_size 0
		.amdhsa_private_segment_fixed_size 0
		.amdhsa_kernarg_size 48
		.amdhsa_user_sgpr_count 6
		.amdhsa_user_sgpr_private_segment_buffer 1
		.amdhsa_user_sgpr_dispatch_ptr 0
		.amdhsa_user_sgpr_queue_ptr 0
		.amdhsa_user_sgpr_kernarg_segment_ptr 1
		.amdhsa_user_sgpr_dispatch_id 0
		.amdhsa_user_sgpr_flat_scratch_init 0
		.amdhsa_user_sgpr_kernarg_preload_length 0
		.amdhsa_user_sgpr_kernarg_preload_offset 0
		.amdhsa_user_sgpr_private_segment_size 0
		.amdhsa_uses_dynamic_stack 0
		.amdhsa_system_sgpr_private_segment_wavefront_offset 0
		.amdhsa_system_sgpr_workgroup_id_x 1
		.amdhsa_system_sgpr_workgroup_id_y 0
		.amdhsa_system_sgpr_workgroup_id_z 0
		.amdhsa_system_sgpr_workgroup_info 0
		.amdhsa_system_vgpr_workitem_id 0
		.amdhsa_next_free_vgpr 1
		.amdhsa_next_free_sgpr 0
		.amdhsa_accum_offset 4
		.amdhsa_reserve_vcc 0
		.amdhsa_reserve_flat_scratch 0
		.amdhsa_float_round_mode_32 0
		.amdhsa_float_round_mode_16_64 0
		.amdhsa_float_denorm_mode_32 3
		.amdhsa_float_denorm_mode_16_64 3
		.amdhsa_dx10_clamp 1
		.amdhsa_ieee_mode 1
		.amdhsa_fp16_overflow 0
		.amdhsa_tg_split 0
		.amdhsa_exception_fp_ieee_invalid_op 0
		.amdhsa_exception_fp_denorm_src 0
		.amdhsa_exception_fp_ieee_div_zero 0
		.amdhsa_exception_fp_ieee_overflow 0
		.amdhsa_exception_fp_ieee_underflow 0
		.amdhsa_exception_fp_ieee_inexact 0
		.amdhsa_exception_int_div_zero 0
	.end_amdhsa_kernel
	.section	.text._ZN7rocprim17ROCPRIM_400000_NS6detail17trampoline_kernelINS0_14default_configENS1_38merge_sort_block_merge_config_selectorIdNS0_10empty_typeEEEZZNS1_27merge_sort_block_merge_implIS3_N6thrust23THRUST_200600_302600_NS6detail15normal_iteratorINS9_10device_ptrIdEEEEPS5_m14custom_greaterIdEEE10hipError_tT0_T1_T2_jT3_P12ihipStream_tbPNSt15iterator_traitsISJ_E10value_typeEPNSP_ISK_E10value_typeEPSL_NS1_7vsmem_tEENKUlT_SJ_SK_SL_E_clIPdSE_SF_SF_EESI_SY_SJ_SK_SL_EUlSY_E_NS1_11comp_targetILNS1_3genE0ELNS1_11target_archE4294967295ELNS1_3gpuE0ELNS1_3repE0EEENS1_48merge_mergepath_partition_config_static_selectorELNS0_4arch9wavefront6targetE1EEEvSK_,"axG",@progbits,_ZN7rocprim17ROCPRIM_400000_NS6detail17trampoline_kernelINS0_14default_configENS1_38merge_sort_block_merge_config_selectorIdNS0_10empty_typeEEEZZNS1_27merge_sort_block_merge_implIS3_N6thrust23THRUST_200600_302600_NS6detail15normal_iteratorINS9_10device_ptrIdEEEEPS5_m14custom_greaterIdEEE10hipError_tT0_T1_T2_jT3_P12ihipStream_tbPNSt15iterator_traitsISJ_E10value_typeEPNSP_ISK_E10value_typeEPSL_NS1_7vsmem_tEENKUlT_SJ_SK_SL_E_clIPdSE_SF_SF_EESI_SY_SJ_SK_SL_EUlSY_E_NS1_11comp_targetILNS1_3genE0ELNS1_11target_archE4294967295ELNS1_3gpuE0ELNS1_3repE0EEENS1_48merge_mergepath_partition_config_static_selectorELNS0_4arch9wavefront6targetE1EEEvSK_,comdat
.Lfunc_end3613:
	.size	_ZN7rocprim17ROCPRIM_400000_NS6detail17trampoline_kernelINS0_14default_configENS1_38merge_sort_block_merge_config_selectorIdNS0_10empty_typeEEEZZNS1_27merge_sort_block_merge_implIS3_N6thrust23THRUST_200600_302600_NS6detail15normal_iteratorINS9_10device_ptrIdEEEEPS5_m14custom_greaterIdEEE10hipError_tT0_T1_T2_jT3_P12ihipStream_tbPNSt15iterator_traitsISJ_E10value_typeEPNSP_ISK_E10value_typeEPSL_NS1_7vsmem_tEENKUlT_SJ_SK_SL_E_clIPdSE_SF_SF_EESI_SY_SJ_SK_SL_EUlSY_E_NS1_11comp_targetILNS1_3genE0ELNS1_11target_archE4294967295ELNS1_3gpuE0ELNS1_3repE0EEENS1_48merge_mergepath_partition_config_static_selectorELNS0_4arch9wavefront6targetE1EEEvSK_, .Lfunc_end3613-_ZN7rocprim17ROCPRIM_400000_NS6detail17trampoline_kernelINS0_14default_configENS1_38merge_sort_block_merge_config_selectorIdNS0_10empty_typeEEEZZNS1_27merge_sort_block_merge_implIS3_N6thrust23THRUST_200600_302600_NS6detail15normal_iteratorINS9_10device_ptrIdEEEEPS5_m14custom_greaterIdEEE10hipError_tT0_T1_T2_jT3_P12ihipStream_tbPNSt15iterator_traitsISJ_E10value_typeEPNSP_ISK_E10value_typeEPSL_NS1_7vsmem_tEENKUlT_SJ_SK_SL_E_clIPdSE_SF_SF_EESI_SY_SJ_SK_SL_EUlSY_E_NS1_11comp_targetILNS1_3genE0ELNS1_11target_archE4294967295ELNS1_3gpuE0ELNS1_3repE0EEENS1_48merge_mergepath_partition_config_static_selectorELNS0_4arch9wavefront6targetE1EEEvSK_
                                        ; -- End function
	.section	.AMDGPU.csdata,"",@progbits
; Kernel info:
; codeLenInByte = 0
; NumSgprs: 4
; NumVgprs: 0
; NumAgprs: 0
; TotalNumVgprs: 0
; ScratchSize: 0
; MemoryBound: 0
; FloatMode: 240
; IeeeMode: 1
; LDSByteSize: 0 bytes/workgroup (compile time only)
; SGPRBlocks: 0
; VGPRBlocks: 0
; NumSGPRsForWavesPerEU: 4
; NumVGPRsForWavesPerEU: 1
; AccumOffset: 4
; Occupancy: 8
; WaveLimiterHint : 0
; COMPUTE_PGM_RSRC2:SCRATCH_EN: 0
; COMPUTE_PGM_RSRC2:USER_SGPR: 6
; COMPUTE_PGM_RSRC2:TRAP_HANDLER: 0
; COMPUTE_PGM_RSRC2:TGID_X_EN: 1
; COMPUTE_PGM_RSRC2:TGID_Y_EN: 0
; COMPUTE_PGM_RSRC2:TGID_Z_EN: 0
; COMPUTE_PGM_RSRC2:TIDIG_COMP_CNT: 0
; COMPUTE_PGM_RSRC3_GFX90A:ACCUM_OFFSET: 0
; COMPUTE_PGM_RSRC3_GFX90A:TG_SPLIT: 0
	.section	.text._ZN7rocprim17ROCPRIM_400000_NS6detail17trampoline_kernelINS0_14default_configENS1_38merge_sort_block_merge_config_selectorIdNS0_10empty_typeEEEZZNS1_27merge_sort_block_merge_implIS3_N6thrust23THRUST_200600_302600_NS6detail15normal_iteratorINS9_10device_ptrIdEEEEPS5_m14custom_greaterIdEEE10hipError_tT0_T1_T2_jT3_P12ihipStream_tbPNSt15iterator_traitsISJ_E10value_typeEPNSP_ISK_E10value_typeEPSL_NS1_7vsmem_tEENKUlT_SJ_SK_SL_E_clIPdSE_SF_SF_EESI_SY_SJ_SK_SL_EUlSY_E_NS1_11comp_targetILNS1_3genE10ELNS1_11target_archE1201ELNS1_3gpuE5ELNS1_3repE0EEENS1_48merge_mergepath_partition_config_static_selectorELNS0_4arch9wavefront6targetE1EEEvSK_,"axG",@progbits,_ZN7rocprim17ROCPRIM_400000_NS6detail17trampoline_kernelINS0_14default_configENS1_38merge_sort_block_merge_config_selectorIdNS0_10empty_typeEEEZZNS1_27merge_sort_block_merge_implIS3_N6thrust23THRUST_200600_302600_NS6detail15normal_iteratorINS9_10device_ptrIdEEEEPS5_m14custom_greaterIdEEE10hipError_tT0_T1_T2_jT3_P12ihipStream_tbPNSt15iterator_traitsISJ_E10value_typeEPNSP_ISK_E10value_typeEPSL_NS1_7vsmem_tEENKUlT_SJ_SK_SL_E_clIPdSE_SF_SF_EESI_SY_SJ_SK_SL_EUlSY_E_NS1_11comp_targetILNS1_3genE10ELNS1_11target_archE1201ELNS1_3gpuE5ELNS1_3repE0EEENS1_48merge_mergepath_partition_config_static_selectorELNS0_4arch9wavefront6targetE1EEEvSK_,comdat
	.protected	_ZN7rocprim17ROCPRIM_400000_NS6detail17trampoline_kernelINS0_14default_configENS1_38merge_sort_block_merge_config_selectorIdNS0_10empty_typeEEEZZNS1_27merge_sort_block_merge_implIS3_N6thrust23THRUST_200600_302600_NS6detail15normal_iteratorINS9_10device_ptrIdEEEEPS5_m14custom_greaterIdEEE10hipError_tT0_T1_T2_jT3_P12ihipStream_tbPNSt15iterator_traitsISJ_E10value_typeEPNSP_ISK_E10value_typeEPSL_NS1_7vsmem_tEENKUlT_SJ_SK_SL_E_clIPdSE_SF_SF_EESI_SY_SJ_SK_SL_EUlSY_E_NS1_11comp_targetILNS1_3genE10ELNS1_11target_archE1201ELNS1_3gpuE5ELNS1_3repE0EEENS1_48merge_mergepath_partition_config_static_selectorELNS0_4arch9wavefront6targetE1EEEvSK_ ; -- Begin function _ZN7rocprim17ROCPRIM_400000_NS6detail17trampoline_kernelINS0_14default_configENS1_38merge_sort_block_merge_config_selectorIdNS0_10empty_typeEEEZZNS1_27merge_sort_block_merge_implIS3_N6thrust23THRUST_200600_302600_NS6detail15normal_iteratorINS9_10device_ptrIdEEEEPS5_m14custom_greaterIdEEE10hipError_tT0_T1_T2_jT3_P12ihipStream_tbPNSt15iterator_traitsISJ_E10value_typeEPNSP_ISK_E10value_typeEPSL_NS1_7vsmem_tEENKUlT_SJ_SK_SL_E_clIPdSE_SF_SF_EESI_SY_SJ_SK_SL_EUlSY_E_NS1_11comp_targetILNS1_3genE10ELNS1_11target_archE1201ELNS1_3gpuE5ELNS1_3repE0EEENS1_48merge_mergepath_partition_config_static_selectorELNS0_4arch9wavefront6targetE1EEEvSK_
	.globl	_ZN7rocprim17ROCPRIM_400000_NS6detail17trampoline_kernelINS0_14default_configENS1_38merge_sort_block_merge_config_selectorIdNS0_10empty_typeEEEZZNS1_27merge_sort_block_merge_implIS3_N6thrust23THRUST_200600_302600_NS6detail15normal_iteratorINS9_10device_ptrIdEEEEPS5_m14custom_greaterIdEEE10hipError_tT0_T1_T2_jT3_P12ihipStream_tbPNSt15iterator_traitsISJ_E10value_typeEPNSP_ISK_E10value_typeEPSL_NS1_7vsmem_tEENKUlT_SJ_SK_SL_E_clIPdSE_SF_SF_EESI_SY_SJ_SK_SL_EUlSY_E_NS1_11comp_targetILNS1_3genE10ELNS1_11target_archE1201ELNS1_3gpuE5ELNS1_3repE0EEENS1_48merge_mergepath_partition_config_static_selectorELNS0_4arch9wavefront6targetE1EEEvSK_
	.p2align	8
	.type	_ZN7rocprim17ROCPRIM_400000_NS6detail17trampoline_kernelINS0_14default_configENS1_38merge_sort_block_merge_config_selectorIdNS0_10empty_typeEEEZZNS1_27merge_sort_block_merge_implIS3_N6thrust23THRUST_200600_302600_NS6detail15normal_iteratorINS9_10device_ptrIdEEEEPS5_m14custom_greaterIdEEE10hipError_tT0_T1_T2_jT3_P12ihipStream_tbPNSt15iterator_traitsISJ_E10value_typeEPNSP_ISK_E10value_typeEPSL_NS1_7vsmem_tEENKUlT_SJ_SK_SL_E_clIPdSE_SF_SF_EESI_SY_SJ_SK_SL_EUlSY_E_NS1_11comp_targetILNS1_3genE10ELNS1_11target_archE1201ELNS1_3gpuE5ELNS1_3repE0EEENS1_48merge_mergepath_partition_config_static_selectorELNS0_4arch9wavefront6targetE1EEEvSK_,@function
_ZN7rocprim17ROCPRIM_400000_NS6detail17trampoline_kernelINS0_14default_configENS1_38merge_sort_block_merge_config_selectorIdNS0_10empty_typeEEEZZNS1_27merge_sort_block_merge_implIS3_N6thrust23THRUST_200600_302600_NS6detail15normal_iteratorINS9_10device_ptrIdEEEEPS5_m14custom_greaterIdEEE10hipError_tT0_T1_T2_jT3_P12ihipStream_tbPNSt15iterator_traitsISJ_E10value_typeEPNSP_ISK_E10value_typeEPSL_NS1_7vsmem_tEENKUlT_SJ_SK_SL_E_clIPdSE_SF_SF_EESI_SY_SJ_SK_SL_EUlSY_E_NS1_11comp_targetILNS1_3genE10ELNS1_11target_archE1201ELNS1_3gpuE5ELNS1_3repE0EEENS1_48merge_mergepath_partition_config_static_selectorELNS0_4arch9wavefront6targetE1EEEvSK_: ; @_ZN7rocprim17ROCPRIM_400000_NS6detail17trampoline_kernelINS0_14default_configENS1_38merge_sort_block_merge_config_selectorIdNS0_10empty_typeEEEZZNS1_27merge_sort_block_merge_implIS3_N6thrust23THRUST_200600_302600_NS6detail15normal_iteratorINS9_10device_ptrIdEEEEPS5_m14custom_greaterIdEEE10hipError_tT0_T1_T2_jT3_P12ihipStream_tbPNSt15iterator_traitsISJ_E10value_typeEPNSP_ISK_E10value_typeEPSL_NS1_7vsmem_tEENKUlT_SJ_SK_SL_E_clIPdSE_SF_SF_EESI_SY_SJ_SK_SL_EUlSY_E_NS1_11comp_targetILNS1_3genE10ELNS1_11target_archE1201ELNS1_3gpuE5ELNS1_3repE0EEENS1_48merge_mergepath_partition_config_static_selectorELNS0_4arch9wavefront6targetE1EEEvSK_
; %bb.0:
	.section	.rodata,"a",@progbits
	.p2align	6, 0x0
	.amdhsa_kernel _ZN7rocprim17ROCPRIM_400000_NS6detail17trampoline_kernelINS0_14default_configENS1_38merge_sort_block_merge_config_selectorIdNS0_10empty_typeEEEZZNS1_27merge_sort_block_merge_implIS3_N6thrust23THRUST_200600_302600_NS6detail15normal_iteratorINS9_10device_ptrIdEEEEPS5_m14custom_greaterIdEEE10hipError_tT0_T1_T2_jT3_P12ihipStream_tbPNSt15iterator_traitsISJ_E10value_typeEPNSP_ISK_E10value_typeEPSL_NS1_7vsmem_tEENKUlT_SJ_SK_SL_E_clIPdSE_SF_SF_EESI_SY_SJ_SK_SL_EUlSY_E_NS1_11comp_targetILNS1_3genE10ELNS1_11target_archE1201ELNS1_3gpuE5ELNS1_3repE0EEENS1_48merge_mergepath_partition_config_static_selectorELNS0_4arch9wavefront6targetE1EEEvSK_
		.amdhsa_group_segment_fixed_size 0
		.amdhsa_private_segment_fixed_size 0
		.amdhsa_kernarg_size 48
		.amdhsa_user_sgpr_count 6
		.amdhsa_user_sgpr_private_segment_buffer 1
		.amdhsa_user_sgpr_dispatch_ptr 0
		.amdhsa_user_sgpr_queue_ptr 0
		.amdhsa_user_sgpr_kernarg_segment_ptr 1
		.amdhsa_user_sgpr_dispatch_id 0
		.amdhsa_user_sgpr_flat_scratch_init 0
		.amdhsa_user_sgpr_kernarg_preload_length 0
		.amdhsa_user_sgpr_kernarg_preload_offset 0
		.amdhsa_user_sgpr_private_segment_size 0
		.amdhsa_uses_dynamic_stack 0
		.amdhsa_system_sgpr_private_segment_wavefront_offset 0
		.amdhsa_system_sgpr_workgroup_id_x 1
		.amdhsa_system_sgpr_workgroup_id_y 0
		.amdhsa_system_sgpr_workgroup_id_z 0
		.amdhsa_system_sgpr_workgroup_info 0
		.amdhsa_system_vgpr_workitem_id 0
		.amdhsa_next_free_vgpr 1
		.amdhsa_next_free_sgpr 0
		.amdhsa_accum_offset 4
		.amdhsa_reserve_vcc 0
		.amdhsa_reserve_flat_scratch 0
		.amdhsa_float_round_mode_32 0
		.amdhsa_float_round_mode_16_64 0
		.amdhsa_float_denorm_mode_32 3
		.amdhsa_float_denorm_mode_16_64 3
		.amdhsa_dx10_clamp 1
		.amdhsa_ieee_mode 1
		.amdhsa_fp16_overflow 0
		.amdhsa_tg_split 0
		.amdhsa_exception_fp_ieee_invalid_op 0
		.amdhsa_exception_fp_denorm_src 0
		.amdhsa_exception_fp_ieee_div_zero 0
		.amdhsa_exception_fp_ieee_overflow 0
		.amdhsa_exception_fp_ieee_underflow 0
		.amdhsa_exception_fp_ieee_inexact 0
		.amdhsa_exception_int_div_zero 0
	.end_amdhsa_kernel
	.section	.text._ZN7rocprim17ROCPRIM_400000_NS6detail17trampoline_kernelINS0_14default_configENS1_38merge_sort_block_merge_config_selectorIdNS0_10empty_typeEEEZZNS1_27merge_sort_block_merge_implIS3_N6thrust23THRUST_200600_302600_NS6detail15normal_iteratorINS9_10device_ptrIdEEEEPS5_m14custom_greaterIdEEE10hipError_tT0_T1_T2_jT3_P12ihipStream_tbPNSt15iterator_traitsISJ_E10value_typeEPNSP_ISK_E10value_typeEPSL_NS1_7vsmem_tEENKUlT_SJ_SK_SL_E_clIPdSE_SF_SF_EESI_SY_SJ_SK_SL_EUlSY_E_NS1_11comp_targetILNS1_3genE10ELNS1_11target_archE1201ELNS1_3gpuE5ELNS1_3repE0EEENS1_48merge_mergepath_partition_config_static_selectorELNS0_4arch9wavefront6targetE1EEEvSK_,"axG",@progbits,_ZN7rocprim17ROCPRIM_400000_NS6detail17trampoline_kernelINS0_14default_configENS1_38merge_sort_block_merge_config_selectorIdNS0_10empty_typeEEEZZNS1_27merge_sort_block_merge_implIS3_N6thrust23THRUST_200600_302600_NS6detail15normal_iteratorINS9_10device_ptrIdEEEEPS5_m14custom_greaterIdEEE10hipError_tT0_T1_T2_jT3_P12ihipStream_tbPNSt15iterator_traitsISJ_E10value_typeEPNSP_ISK_E10value_typeEPSL_NS1_7vsmem_tEENKUlT_SJ_SK_SL_E_clIPdSE_SF_SF_EESI_SY_SJ_SK_SL_EUlSY_E_NS1_11comp_targetILNS1_3genE10ELNS1_11target_archE1201ELNS1_3gpuE5ELNS1_3repE0EEENS1_48merge_mergepath_partition_config_static_selectorELNS0_4arch9wavefront6targetE1EEEvSK_,comdat
.Lfunc_end3614:
	.size	_ZN7rocprim17ROCPRIM_400000_NS6detail17trampoline_kernelINS0_14default_configENS1_38merge_sort_block_merge_config_selectorIdNS0_10empty_typeEEEZZNS1_27merge_sort_block_merge_implIS3_N6thrust23THRUST_200600_302600_NS6detail15normal_iteratorINS9_10device_ptrIdEEEEPS5_m14custom_greaterIdEEE10hipError_tT0_T1_T2_jT3_P12ihipStream_tbPNSt15iterator_traitsISJ_E10value_typeEPNSP_ISK_E10value_typeEPSL_NS1_7vsmem_tEENKUlT_SJ_SK_SL_E_clIPdSE_SF_SF_EESI_SY_SJ_SK_SL_EUlSY_E_NS1_11comp_targetILNS1_3genE10ELNS1_11target_archE1201ELNS1_3gpuE5ELNS1_3repE0EEENS1_48merge_mergepath_partition_config_static_selectorELNS0_4arch9wavefront6targetE1EEEvSK_, .Lfunc_end3614-_ZN7rocprim17ROCPRIM_400000_NS6detail17trampoline_kernelINS0_14default_configENS1_38merge_sort_block_merge_config_selectorIdNS0_10empty_typeEEEZZNS1_27merge_sort_block_merge_implIS3_N6thrust23THRUST_200600_302600_NS6detail15normal_iteratorINS9_10device_ptrIdEEEEPS5_m14custom_greaterIdEEE10hipError_tT0_T1_T2_jT3_P12ihipStream_tbPNSt15iterator_traitsISJ_E10value_typeEPNSP_ISK_E10value_typeEPSL_NS1_7vsmem_tEENKUlT_SJ_SK_SL_E_clIPdSE_SF_SF_EESI_SY_SJ_SK_SL_EUlSY_E_NS1_11comp_targetILNS1_3genE10ELNS1_11target_archE1201ELNS1_3gpuE5ELNS1_3repE0EEENS1_48merge_mergepath_partition_config_static_selectorELNS0_4arch9wavefront6targetE1EEEvSK_
                                        ; -- End function
	.section	.AMDGPU.csdata,"",@progbits
; Kernel info:
; codeLenInByte = 0
; NumSgprs: 4
; NumVgprs: 0
; NumAgprs: 0
; TotalNumVgprs: 0
; ScratchSize: 0
; MemoryBound: 0
; FloatMode: 240
; IeeeMode: 1
; LDSByteSize: 0 bytes/workgroup (compile time only)
; SGPRBlocks: 0
; VGPRBlocks: 0
; NumSGPRsForWavesPerEU: 4
; NumVGPRsForWavesPerEU: 1
; AccumOffset: 4
; Occupancy: 8
; WaveLimiterHint : 0
; COMPUTE_PGM_RSRC2:SCRATCH_EN: 0
; COMPUTE_PGM_RSRC2:USER_SGPR: 6
; COMPUTE_PGM_RSRC2:TRAP_HANDLER: 0
; COMPUTE_PGM_RSRC2:TGID_X_EN: 1
; COMPUTE_PGM_RSRC2:TGID_Y_EN: 0
; COMPUTE_PGM_RSRC2:TGID_Z_EN: 0
; COMPUTE_PGM_RSRC2:TIDIG_COMP_CNT: 0
; COMPUTE_PGM_RSRC3_GFX90A:ACCUM_OFFSET: 0
; COMPUTE_PGM_RSRC3_GFX90A:TG_SPLIT: 0
	.section	.text._ZN7rocprim17ROCPRIM_400000_NS6detail17trampoline_kernelINS0_14default_configENS1_38merge_sort_block_merge_config_selectorIdNS0_10empty_typeEEEZZNS1_27merge_sort_block_merge_implIS3_N6thrust23THRUST_200600_302600_NS6detail15normal_iteratorINS9_10device_ptrIdEEEEPS5_m14custom_greaterIdEEE10hipError_tT0_T1_T2_jT3_P12ihipStream_tbPNSt15iterator_traitsISJ_E10value_typeEPNSP_ISK_E10value_typeEPSL_NS1_7vsmem_tEENKUlT_SJ_SK_SL_E_clIPdSE_SF_SF_EESI_SY_SJ_SK_SL_EUlSY_E_NS1_11comp_targetILNS1_3genE5ELNS1_11target_archE942ELNS1_3gpuE9ELNS1_3repE0EEENS1_48merge_mergepath_partition_config_static_selectorELNS0_4arch9wavefront6targetE1EEEvSK_,"axG",@progbits,_ZN7rocprim17ROCPRIM_400000_NS6detail17trampoline_kernelINS0_14default_configENS1_38merge_sort_block_merge_config_selectorIdNS0_10empty_typeEEEZZNS1_27merge_sort_block_merge_implIS3_N6thrust23THRUST_200600_302600_NS6detail15normal_iteratorINS9_10device_ptrIdEEEEPS5_m14custom_greaterIdEEE10hipError_tT0_T1_T2_jT3_P12ihipStream_tbPNSt15iterator_traitsISJ_E10value_typeEPNSP_ISK_E10value_typeEPSL_NS1_7vsmem_tEENKUlT_SJ_SK_SL_E_clIPdSE_SF_SF_EESI_SY_SJ_SK_SL_EUlSY_E_NS1_11comp_targetILNS1_3genE5ELNS1_11target_archE942ELNS1_3gpuE9ELNS1_3repE0EEENS1_48merge_mergepath_partition_config_static_selectorELNS0_4arch9wavefront6targetE1EEEvSK_,comdat
	.protected	_ZN7rocprim17ROCPRIM_400000_NS6detail17trampoline_kernelINS0_14default_configENS1_38merge_sort_block_merge_config_selectorIdNS0_10empty_typeEEEZZNS1_27merge_sort_block_merge_implIS3_N6thrust23THRUST_200600_302600_NS6detail15normal_iteratorINS9_10device_ptrIdEEEEPS5_m14custom_greaterIdEEE10hipError_tT0_T1_T2_jT3_P12ihipStream_tbPNSt15iterator_traitsISJ_E10value_typeEPNSP_ISK_E10value_typeEPSL_NS1_7vsmem_tEENKUlT_SJ_SK_SL_E_clIPdSE_SF_SF_EESI_SY_SJ_SK_SL_EUlSY_E_NS1_11comp_targetILNS1_3genE5ELNS1_11target_archE942ELNS1_3gpuE9ELNS1_3repE0EEENS1_48merge_mergepath_partition_config_static_selectorELNS0_4arch9wavefront6targetE1EEEvSK_ ; -- Begin function _ZN7rocprim17ROCPRIM_400000_NS6detail17trampoline_kernelINS0_14default_configENS1_38merge_sort_block_merge_config_selectorIdNS0_10empty_typeEEEZZNS1_27merge_sort_block_merge_implIS3_N6thrust23THRUST_200600_302600_NS6detail15normal_iteratorINS9_10device_ptrIdEEEEPS5_m14custom_greaterIdEEE10hipError_tT0_T1_T2_jT3_P12ihipStream_tbPNSt15iterator_traitsISJ_E10value_typeEPNSP_ISK_E10value_typeEPSL_NS1_7vsmem_tEENKUlT_SJ_SK_SL_E_clIPdSE_SF_SF_EESI_SY_SJ_SK_SL_EUlSY_E_NS1_11comp_targetILNS1_3genE5ELNS1_11target_archE942ELNS1_3gpuE9ELNS1_3repE0EEENS1_48merge_mergepath_partition_config_static_selectorELNS0_4arch9wavefront6targetE1EEEvSK_
	.globl	_ZN7rocprim17ROCPRIM_400000_NS6detail17trampoline_kernelINS0_14default_configENS1_38merge_sort_block_merge_config_selectorIdNS0_10empty_typeEEEZZNS1_27merge_sort_block_merge_implIS3_N6thrust23THRUST_200600_302600_NS6detail15normal_iteratorINS9_10device_ptrIdEEEEPS5_m14custom_greaterIdEEE10hipError_tT0_T1_T2_jT3_P12ihipStream_tbPNSt15iterator_traitsISJ_E10value_typeEPNSP_ISK_E10value_typeEPSL_NS1_7vsmem_tEENKUlT_SJ_SK_SL_E_clIPdSE_SF_SF_EESI_SY_SJ_SK_SL_EUlSY_E_NS1_11comp_targetILNS1_3genE5ELNS1_11target_archE942ELNS1_3gpuE9ELNS1_3repE0EEENS1_48merge_mergepath_partition_config_static_selectorELNS0_4arch9wavefront6targetE1EEEvSK_
	.p2align	8
	.type	_ZN7rocprim17ROCPRIM_400000_NS6detail17trampoline_kernelINS0_14default_configENS1_38merge_sort_block_merge_config_selectorIdNS0_10empty_typeEEEZZNS1_27merge_sort_block_merge_implIS3_N6thrust23THRUST_200600_302600_NS6detail15normal_iteratorINS9_10device_ptrIdEEEEPS5_m14custom_greaterIdEEE10hipError_tT0_T1_T2_jT3_P12ihipStream_tbPNSt15iterator_traitsISJ_E10value_typeEPNSP_ISK_E10value_typeEPSL_NS1_7vsmem_tEENKUlT_SJ_SK_SL_E_clIPdSE_SF_SF_EESI_SY_SJ_SK_SL_EUlSY_E_NS1_11comp_targetILNS1_3genE5ELNS1_11target_archE942ELNS1_3gpuE9ELNS1_3repE0EEENS1_48merge_mergepath_partition_config_static_selectorELNS0_4arch9wavefront6targetE1EEEvSK_,@function
_ZN7rocprim17ROCPRIM_400000_NS6detail17trampoline_kernelINS0_14default_configENS1_38merge_sort_block_merge_config_selectorIdNS0_10empty_typeEEEZZNS1_27merge_sort_block_merge_implIS3_N6thrust23THRUST_200600_302600_NS6detail15normal_iteratorINS9_10device_ptrIdEEEEPS5_m14custom_greaterIdEEE10hipError_tT0_T1_T2_jT3_P12ihipStream_tbPNSt15iterator_traitsISJ_E10value_typeEPNSP_ISK_E10value_typeEPSL_NS1_7vsmem_tEENKUlT_SJ_SK_SL_E_clIPdSE_SF_SF_EESI_SY_SJ_SK_SL_EUlSY_E_NS1_11comp_targetILNS1_3genE5ELNS1_11target_archE942ELNS1_3gpuE9ELNS1_3repE0EEENS1_48merge_mergepath_partition_config_static_selectorELNS0_4arch9wavefront6targetE1EEEvSK_: ; @_ZN7rocprim17ROCPRIM_400000_NS6detail17trampoline_kernelINS0_14default_configENS1_38merge_sort_block_merge_config_selectorIdNS0_10empty_typeEEEZZNS1_27merge_sort_block_merge_implIS3_N6thrust23THRUST_200600_302600_NS6detail15normal_iteratorINS9_10device_ptrIdEEEEPS5_m14custom_greaterIdEEE10hipError_tT0_T1_T2_jT3_P12ihipStream_tbPNSt15iterator_traitsISJ_E10value_typeEPNSP_ISK_E10value_typeEPSL_NS1_7vsmem_tEENKUlT_SJ_SK_SL_E_clIPdSE_SF_SF_EESI_SY_SJ_SK_SL_EUlSY_E_NS1_11comp_targetILNS1_3genE5ELNS1_11target_archE942ELNS1_3gpuE9ELNS1_3repE0EEENS1_48merge_mergepath_partition_config_static_selectorELNS0_4arch9wavefront6targetE1EEEvSK_
; %bb.0:
	.section	.rodata,"a",@progbits
	.p2align	6, 0x0
	.amdhsa_kernel _ZN7rocprim17ROCPRIM_400000_NS6detail17trampoline_kernelINS0_14default_configENS1_38merge_sort_block_merge_config_selectorIdNS0_10empty_typeEEEZZNS1_27merge_sort_block_merge_implIS3_N6thrust23THRUST_200600_302600_NS6detail15normal_iteratorINS9_10device_ptrIdEEEEPS5_m14custom_greaterIdEEE10hipError_tT0_T1_T2_jT3_P12ihipStream_tbPNSt15iterator_traitsISJ_E10value_typeEPNSP_ISK_E10value_typeEPSL_NS1_7vsmem_tEENKUlT_SJ_SK_SL_E_clIPdSE_SF_SF_EESI_SY_SJ_SK_SL_EUlSY_E_NS1_11comp_targetILNS1_3genE5ELNS1_11target_archE942ELNS1_3gpuE9ELNS1_3repE0EEENS1_48merge_mergepath_partition_config_static_selectorELNS0_4arch9wavefront6targetE1EEEvSK_
		.amdhsa_group_segment_fixed_size 0
		.amdhsa_private_segment_fixed_size 0
		.amdhsa_kernarg_size 48
		.amdhsa_user_sgpr_count 6
		.amdhsa_user_sgpr_private_segment_buffer 1
		.amdhsa_user_sgpr_dispatch_ptr 0
		.amdhsa_user_sgpr_queue_ptr 0
		.amdhsa_user_sgpr_kernarg_segment_ptr 1
		.amdhsa_user_sgpr_dispatch_id 0
		.amdhsa_user_sgpr_flat_scratch_init 0
		.amdhsa_user_sgpr_kernarg_preload_length 0
		.amdhsa_user_sgpr_kernarg_preload_offset 0
		.amdhsa_user_sgpr_private_segment_size 0
		.amdhsa_uses_dynamic_stack 0
		.amdhsa_system_sgpr_private_segment_wavefront_offset 0
		.amdhsa_system_sgpr_workgroup_id_x 1
		.amdhsa_system_sgpr_workgroup_id_y 0
		.amdhsa_system_sgpr_workgroup_id_z 0
		.amdhsa_system_sgpr_workgroup_info 0
		.amdhsa_system_vgpr_workitem_id 0
		.amdhsa_next_free_vgpr 1
		.amdhsa_next_free_sgpr 0
		.amdhsa_accum_offset 4
		.amdhsa_reserve_vcc 0
		.amdhsa_reserve_flat_scratch 0
		.amdhsa_float_round_mode_32 0
		.amdhsa_float_round_mode_16_64 0
		.amdhsa_float_denorm_mode_32 3
		.amdhsa_float_denorm_mode_16_64 3
		.amdhsa_dx10_clamp 1
		.amdhsa_ieee_mode 1
		.amdhsa_fp16_overflow 0
		.amdhsa_tg_split 0
		.amdhsa_exception_fp_ieee_invalid_op 0
		.amdhsa_exception_fp_denorm_src 0
		.amdhsa_exception_fp_ieee_div_zero 0
		.amdhsa_exception_fp_ieee_overflow 0
		.amdhsa_exception_fp_ieee_underflow 0
		.amdhsa_exception_fp_ieee_inexact 0
		.amdhsa_exception_int_div_zero 0
	.end_amdhsa_kernel
	.section	.text._ZN7rocprim17ROCPRIM_400000_NS6detail17trampoline_kernelINS0_14default_configENS1_38merge_sort_block_merge_config_selectorIdNS0_10empty_typeEEEZZNS1_27merge_sort_block_merge_implIS3_N6thrust23THRUST_200600_302600_NS6detail15normal_iteratorINS9_10device_ptrIdEEEEPS5_m14custom_greaterIdEEE10hipError_tT0_T1_T2_jT3_P12ihipStream_tbPNSt15iterator_traitsISJ_E10value_typeEPNSP_ISK_E10value_typeEPSL_NS1_7vsmem_tEENKUlT_SJ_SK_SL_E_clIPdSE_SF_SF_EESI_SY_SJ_SK_SL_EUlSY_E_NS1_11comp_targetILNS1_3genE5ELNS1_11target_archE942ELNS1_3gpuE9ELNS1_3repE0EEENS1_48merge_mergepath_partition_config_static_selectorELNS0_4arch9wavefront6targetE1EEEvSK_,"axG",@progbits,_ZN7rocprim17ROCPRIM_400000_NS6detail17trampoline_kernelINS0_14default_configENS1_38merge_sort_block_merge_config_selectorIdNS0_10empty_typeEEEZZNS1_27merge_sort_block_merge_implIS3_N6thrust23THRUST_200600_302600_NS6detail15normal_iteratorINS9_10device_ptrIdEEEEPS5_m14custom_greaterIdEEE10hipError_tT0_T1_T2_jT3_P12ihipStream_tbPNSt15iterator_traitsISJ_E10value_typeEPNSP_ISK_E10value_typeEPSL_NS1_7vsmem_tEENKUlT_SJ_SK_SL_E_clIPdSE_SF_SF_EESI_SY_SJ_SK_SL_EUlSY_E_NS1_11comp_targetILNS1_3genE5ELNS1_11target_archE942ELNS1_3gpuE9ELNS1_3repE0EEENS1_48merge_mergepath_partition_config_static_selectorELNS0_4arch9wavefront6targetE1EEEvSK_,comdat
.Lfunc_end3615:
	.size	_ZN7rocprim17ROCPRIM_400000_NS6detail17trampoline_kernelINS0_14default_configENS1_38merge_sort_block_merge_config_selectorIdNS0_10empty_typeEEEZZNS1_27merge_sort_block_merge_implIS3_N6thrust23THRUST_200600_302600_NS6detail15normal_iteratorINS9_10device_ptrIdEEEEPS5_m14custom_greaterIdEEE10hipError_tT0_T1_T2_jT3_P12ihipStream_tbPNSt15iterator_traitsISJ_E10value_typeEPNSP_ISK_E10value_typeEPSL_NS1_7vsmem_tEENKUlT_SJ_SK_SL_E_clIPdSE_SF_SF_EESI_SY_SJ_SK_SL_EUlSY_E_NS1_11comp_targetILNS1_3genE5ELNS1_11target_archE942ELNS1_3gpuE9ELNS1_3repE0EEENS1_48merge_mergepath_partition_config_static_selectorELNS0_4arch9wavefront6targetE1EEEvSK_, .Lfunc_end3615-_ZN7rocprim17ROCPRIM_400000_NS6detail17trampoline_kernelINS0_14default_configENS1_38merge_sort_block_merge_config_selectorIdNS0_10empty_typeEEEZZNS1_27merge_sort_block_merge_implIS3_N6thrust23THRUST_200600_302600_NS6detail15normal_iteratorINS9_10device_ptrIdEEEEPS5_m14custom_greaterIdEEE10hipError_tT0_T1_T2_jT3_P12ihipStream_tbPNSt15iterator_traitsISJ_E10value_typeEPNSP_ISK_E10value_typeEPSL_NS1_7vsmem_tEENKUlT_SJ_SK_SL_E_clIPdSE_SF_SF_EESI_SY_SJ_SK_SL_EUlSY_E_NS1_11comp_targetILNS1_3genE5ELNS1_11target_archE942ELNS1_3gpuE9ELNS1_3repE0EEENS1_48merge_mergepath_partition_config_static_selectorELNS0_4arch9wavefront6targetE1EEEvSK_
                                        ; -- End function
	.section	.AMDGPU.csdata,"",@progbits
; Kernel info:
; codeLenInByte = 0
; NumSgprs: 4
; NumVgprs: 0
; NumAgprs: 0
; TotalNumVgprs: 0
; ScratchSize: 0
; MemoryBound: 0
; FloatMode: 240
; IeeeMode: 1
; LDSByteSize: 0 bytes/workgroup (compile time only)
; SGPRBlocks: 0
; VGPRBlocks: 0
; NumSGPRsForWavesPerEU: 4
; NumVGPRsForWavesPerEU: 1
; AccumOffset: 4
; Occupancy: 8
; WaveLimiterHint : 0
; COMPUTE_PGM_RSRC2:SCRATCH_EN: 0
; COMPUTE_PGM_RSRC2:USER_SGPR: 6
; COMPUTE_PGM_RSRC2:TRAP_HANDLER: 0
; COMPUTE_PGM_RSRC2:TGID_X_EN: 1
; COMPUTE_PGM_RSRC2:TGID_Y_EN: 0
; COMPUTE_PGM_RSRC2:TGID_Z_EN: 0
; COMPUTE_PGM_RSRC2:TIDIG_COMP_CNT: 0
; COMPUTE_PGM_RSRC3_GFX90A:ACCUM_OFFSET: 0
; COMPUTE_PGM_RSRC3_GFX90A:TG_SPLIT: 0
	.section	.text._ZN7rocprim17ROCPRIM_400000_NS6detail17trampoline_kernelINS0_14default_configENS1_38merge_sort_block_merge_config_selectorIdNS0_10empty_typeEEEZZNS1_27merge_sort_block_merge_implIS3_N6thrust23THRUST_200600_302600_NS6detail15normal_iteratorINS9_10device_ptrIdEEEEPS5_m14custom_greaterIdEEE10hipError_tT0_T1_T2_jT3_P12ihipStream_tbPNSt15iterator_traitsISJ_E10value_typeEPNSP_ISK_E10value_typeEPSL_NS1_7vsmem_tEENKUlT_SJ_SK_SL_E_clIPdSE_SF_SF_EESI_SY_SJ_SK_SL_EUlSY_E_NS1_11comp_targetILNS1_3genE4ELNS1_11target_archE910ELNS1_3gpuE8ELNS1_3repE0EEENS1_48merge_mergepath_partition_config_static_selectorELNS0_4arch9wavefront6targetE1EEEvSK_,"axG",@progbits,_ZN7rocprim17ROCPRIM_400000_NS6detail17trampoline_kernelINS0_14default_configENS1_38merge_sort_block_merge_config_selectorIdNS0_10empty_typeEEEZZNS1_27merge_sort_block_merge_implIS3_N6thrust23THRUST_200600_302600_NS6detail15normal_iteratorINS9_10device_ptrIdEEEEPS5_m14custom_greaterIdEEE10hipError_tT0_T1_T2_jT3_P12ihipStream_tbPNSt15iterator_traitsISJ_E10value_typeEPNSP_ISK_E10value_typeEPSL_NS1_7vsmem_tEENKUlT_SJ_SK_SL_E_clIPdSE_SF_SF_EESI_SY_SJ_SK_SL_EUlSY_E_NS1_11comp_targetILNS1_3genE4ELNS1_11target_archE910ELNS1_3gpuE8ELNS1_3repE0EEENS1_48merge_mergepath_partition_config_static_selectorELNS0_4arch9wavefront6targetE1EEEvSK_,comdat
	.protected	_ZN7rocprim17ROCPRIM_400000_NS6detail17trampoline_kernelINS0_14default_configENS1_38merge_sort_block_merge_config_selectorIdNS0_10empty_typeEEEZZNS1_27merge_sort_block_merge_implIS3_N6thrust23THRUST_200600_302600_NS6detail15normal_iteratorINS9_10device_ptrIdEEEEPS5_m14custom_greaterIdEEE10hipError_tT0_T1_T2_jT3_P12ihipStream_tbPNSt15iterator_traitsISJ_E10value_typeEPNSP_ISK_E10value_typeEPSL_NS1_7vsmem_tEENKUlT_SJ_SK_SL_E_clIPdSE_SF_SF_EESI_SY_SJ_SK_SL_EUlSY_E_NS1_11comp_targetILNS1_3genE4ELNS1_11target_archE910ELNS1_3gpuE8ELNS1_3repE0EEENS1_48merge_mergepath_partition_config_static_selectorELNS0_4arch9wavefront6targetE1EEEvSK_ ; -- Begin function _ZN7rocprim17ROCPRIM_400000_NS6detail17trampoline_kernelINS0_14default_configENS1_38merge_sort_block_merge_config_selectorIdNS0_10empty_typeEEEZZNS1_27merge_sort_block_merge_implIS3_N6thrust23THRUST_200600_302600_NS6detail15normal_iteratorINS9_10device_ptrIdEEEEPS5_m14custom_greaterIdEEE10hipError_tT0_T1_T2_jT3_P12ihipStream_tbPNSt15iterator_traitsISJ_E10value_typeEPNSP_ISK_E10value_typeEPSL_NS1_7vsmem_tEENKUlT_SJ_SK_SL_E_clIPdSE_SF_SF_EESI_SY_SJ_SK_SL_EUlSY_E_NS1_11comp_targetILNS1_3genE4ELNS1_11target_archE910ELNS1_3gpuE8ELNS1_3repE0EEENS1_48merge_mergepath_partition_config_static_selectorELNS0_4arch9wavefront6targetE1EEEvSK_
	.globl	_ZN7rocprim17ROCPRIM_400000_NS6detail17trampoline_kernelINS0_14default_configENS1_38merge_sort_block_merge_config_selectorIdNS0_10empty_typeEEEZZNS1_27merge_sort_block_merge_implIS3_N6thrust23THRUST_200600_302600_NS6detail15normal_iteratorINS9_10device_ptrIdEEEEPS5_m14custom_greaterIdEEE10hipError_tT0_T1_T2_jT3_P12ihipStream_tbPNSt15iterator_traitsISJ_E10value_typeEPNSP_ISK_E10value_typeEPSL_NS1_7vsmem_tEENKUlT_SJ_SK_SL_E_clIPdSE_SF_SF_EESI_SY_SJ_SK_SL_EUlSY_E_NS1_11comp_targetILNS1_3genE4ELNS1_11target_archE910ELNS1_3gpuE8ELNS1_3repE0EEENS1_48merge_mergepath_partition_config_static_selectorELNS0_4arch9wavefront6targetE1EEEvSK_
	.p2align	8
	.type	_ZN7rocprim17ROCPRIM_400000_NS6detail17trampoline_kernelINS0_14default_configENS1_38merge_sort_block_merge_config_selectorIdNS0_10empty_typeEEEZZNS1_27merge_sort_block_merge_implIS3_N6thrust23THRUST_200600_302600_NS6detail15normal_iteratorINS9_10device_ptrIdEEEEPS5_m14custom_greaterIdEEE10hipError_tT0_T1_T2_jT3_P12ihipStream_tbPNSt15iterator_traitsISJ_E10value_typeEPNSP_ISK_E10value_typeEPSL_NS1_7vsmem_tEENKUlT_SJ_SK_SL_E_clIPdSE_SF_SF_EESI_SY_SJ_SK_SL_EUlSY_E_NS1_11comp_targetILNS1_3genE4ELNS1_11target_archE910ELNS1_3gpuE8ELNS1_3repE0EEENS1_48merge_mergepath_partition_config_static_selectorELNS0_4arch9wavefront6targetE1EEEvSK_,@function
_ZN7rocprim17ROCPRIM_400000_NS6detail17trampoline_kernelINS0_14default_configENS1_38merge_sort_block_merge_config_selectorIdNS0_10empty_typeEEEZZNS1_27merge_sort_block_merge_implIS3_N6thrust23THRUST_200600_302600_NS6detail15normal_iteratorINS9_10device_ptrIdEEEEPS5_m14custom_greaterIdEEE10hipError_tT0_T1_T2_jT3_P12ihipStream_tbPNSt15iterator_traitsISJ_E10value_typeEPNSP_ISK_E10value_typeEPSL_NS1_7vsmem_tEENKUlT_SJ_SK_SL_E_clIPdSE_SF_SF_EESI_SY_SJ_SK_SL_EUlSY_E_NS1_11comp_targetILNS1_3genE4ELNS1_11target_archE910ELNS1_3gpuE8ELNS1_3repE0EEENS1_48merge_mergepath_partition_config_static_selectorELNS0_4arch9wavefront6targetE1EEEvSK_: ; @_ZN7rocprim17ROCPRIM_400000_NS6detail17trampoline_kernelINS0_14default_configENS1_38merge_sort_block_merge_config_selectorIdNS0_10empty_typeEEEZZNS1_27merge_sort_block_merge_implIS3_N6thrust23THRUST_200600_302600_NS6detail15normal_iteratorINS9_10device_ptrIdEEEEPS5_m14custom_greaterIdEEE10hipError_tT0_T1_T2_jT3_P12ihipStream_tbPNSt15iterator_traitsISJ_E10value_typeEPNSP_ISK_E10value_typeEPSL_NS1_7vsmem_tEENKUlT_SJ_SK_SL_E_clIPdSE_SF_SF_EESI_SY_SJ_SK_SL_EUlSY_E_NS1_11comp_targetILNS1_3genE4ELNS1_11target_archE910ELNS1_3gpuE8ELNS1_3repE0EEENS1_48merge_mergepath_partition_config_static_selectorELNS0_4arch9wavefront6targetE1EEEvSK_
; %bb.0:
	s_load_dword s0, s[4:5], 0x0
	v_lshl_or_b32 v0, s6, 7, v0
	s_waitcnt lgkmcnt(0)
	v_cmp_gt_u32_e32 vcc, s0, v0
	s_and_saveexec_b64 s[0:1], vcc
	s_cbranch_execz .LBB3616_6
; %bb.1:
	s_load_dwordx4 s[0:3], s[4:5], 0x8
	s_load_dwordx2 s[6:7], s[4:5], 0x28
	v_mov_b32_e32 v5, 0
	s_waitcnt lgkmcnt(0)
	v_mov_b32_e32 v1, s0
	v_alignbit_b32 v1, s1, v1, 9
	v_and_b32_e32 v1, -2, v1
	v_add_u32_e32 v2, -1, v1
	v_sub_u32_e32 v1, 0, v1
	v_and_b32_e32 v4, v0, v1
	v_lshlrev_b64 v[8:9], 10, v[4:5]
	v_mov_b32_e32 v1, s3
	v_cmp_lt_u64_e32 vcc, s[2:3], v[8:9]
	v_mov_b32_e32 v4, s2
	v_and_b32_e32 v6, v2, v0
	v_cndmask_b32_e32 v3, v9, v1, vcc
	v_cndmask_b32_e32 v2, v8, v4, vcc
	v_mov_b32_e32 v7, s1
	v_add_co_u32_e32 v8, vcc, s0, v8
	v_addc_co_u32_e32 v9, vcc, v9, v7, vcc
	v_cmp_lt_u64_e32 vcc, s[2:3], v[8:9]
	v_cndmask_b32_e32 v8, v8, v4, vcc
	v_cndmask_b32_e32 v9, v9, v1, vcc
	v_add_co_u32_e32 v10, vcc, s0, v8
	v_addc_co_u32_e32 v11, vcc, v9, v7, vcc
	v_cmp_lt_u64_e32 vcc, s[2:3], v[10:11]
	v_cndmask_b32_e32 v12, v10, v4, vcc
	v_cndmask_b32_e32 v1, v11, v1, vcc
	v_sub_co_u32_e32 v10, vcc, v12, v2
	v_mov_b32_e32 v7, v5
	v_subb_co_u32_e32 v11, vcc, v1, v3, vcc
	v_lshlrev_b64 v[4:5], 10, v[6:7]
	v_cmp_lt_u64_e32 vcc, v[10:11], v[4:5]
	v_cndmask_b32_e32 v11, v5, v11, vcc
	v_cndmask_b32_e32 v10, v4, v10, vcc
	v_sub_co_u32_e32 v6, vcc, v8, v2
	v_subb_co_u32_e32 v7, vcc, v9, v3, vcc
	v_sub_co_u32_e32 v4, vcc, v8, v12
	v_subb_co_u32_e32 v1, vcc, v9, v1, vcc
	v_add_co_u32_e32 v4, vcc, v10, v4
	v_addc_co_u32_e32 v5, vcc, v11, v1, vcc
	v_cmp_gt_u64_e32 vcc, v[4:5], v[10:11]
	v_cndmask_b32_e64 v5, v5, 0, vcc
	v_cndmask_b32_e64 v4, v4, 0, vcc
	v_cmp_lt_u64_e32 vcc, v[10:11], v[6:7]
	v_cndmask_b32_e32 v7, v7, v11, vcc
	v_cndmask_b32_e32 v6, v6, v10, vcc
	v_cmp_lt_u64_e32 vcc, v[4:5], v[6:7]
	s_and_saveexec_b64 s[0:1], vcc
	s_cbranch_execz .LBB3616_5
; %bb.2:
	s_load_dwordx2 s[2:3], s[4:5], 0x18
	v_lshlrev_b64 v[12:13], 3, v[2:3]
	v_lshlrev_b64 v[8:9], 3, v[8:9]
	s_waitcnt lgkmcnt(0)
	v_mov_b32_e32 v14, s3
	v_add_co_u32_e32 v1, vcc, s2, v12
	v_addc_co_u32_e32 v12, vcc, v14, v13, vcc
	v_add_co_u32_e32 v13, vcc, s2, v8
	v_addc_co_u32_e32 v14, vcc, v14, v9, vcc
	v_lshlrev_b64 v[8:9], 3, v[10:11]
	v_add_co_u32_e32 v8, vcc, v13, v8
	v_addc_co_u32_e32 v9, vcc, v14, v9, vcc
	s_mov_b64 s[2:3], 0
.LBB3616_3:                             ; =>This Inner Loop Header: Depth=1
	v_add_co_u32_e32 v10, vcc, v6, v4
	v_addc_co_u32_e32 v11, vcc, v7, v5, vcc
	v_lshrrev_b64 v[10:11], 1, v[10:11]
	v_lshlrev_b64 v[16:17], 3, v[10:11]
	v_not_b32_e32 v15, v11
	v_not_b32_e32 v14, v10
	v_add_co_u32_e32 v16, vcc, v1, v16
	v_addc_co_u32_e32 v17, vcc, v12, v17, vcc
	v_lshlrev_b64 v[14:15], 3, v[14:15]
	v_add_co_u32_e32 v14, vcc, v8, v14
	v_addc_co_u32_e32 v15, vcc, v9, v15, vcc
	global_load_dwordx2 v[18:19], v[16:17], off
	global_load_dwordx2 v[20:21], v[14:15], off
	v_add_co_u32_e32 v13, vcc, 1, v10
	v_addc_co_u32_e32 v14, vcc, 0, v11, vcc
	s_waitcnt vmcnt(0)
	v_cmp_gt_f64_e32 vcc, v[18:19], v[20:21]
	v_cndmask_b32_e32 v7, v7, v11, vcc
	v_cndmask_b32_e32 v6, v6, v10, vcc
	;; [unrolled: 1-line block ×4, first 2 shown]
	v_cmp_ge_u64_e32 vcc, v[4:5], v[6:7]
	s_or_b64 s[2:3], vcc, s[2:3]
	s_andn2_b64 exec, exec, s[2:3]
	s_cbranch_execnz .LBB3616_3
; %bb.4:
	s_or_b64 exec, exec, s[2:3]
.LBB3616_5:
	s_or_b64 exec, exec, s[0:1]
	v_add_co_u32_e32 v2, vcc, v4, v2
	v_mov_b32_e32 v1, 0
	v_addc_co_u32_e32 v3, vcc, v5, v3, vcc
	v_lshlrev_b64 v[0:1], 3, v[0:1]
	v_mov_b32_e32 v4, s7
	v_add_co_u32_e32 v0, vcc, s6, v0
	v_addc_co_u32_e32 v1, vcc, v4, v1, vcc
	global_store_dwordx2 v[0:1], v[2:3], off
.LBB3616_6:
	s_endpgm
	.section	.rodata,"a",@progbits
	.p2align	6, 0x0
	.amdhsa_kernel _ZN7rocprim17ROCPRIM_400000_NS6detail17trampoline_kernelINS0_14default_configENS1_38merge_sort_block_merge_config_selectorIdNS0_10empty_typeEEEZZNS1_27merge_sort_block_merge_implIS3_N6thrust23THRUST_200600_302600_NS6detail15normal_iteratorINS9_10device_ptrIdEEEEPS5_m14custom_greaterIdEEE10hipError_tT0_T1_T2_jT3_P12ihipStream_tbPNSt15iterator_traitsISJ_E10value_typeEPNSP_ISK_E10value_typeEPSL_NS1_7vsmem_tEENKUlT_SJ_SK_SL_E_clIPdSE_SF_SF_EESI_SY_SJ_SK_SL_EUlSY_E_NS1_11comp_targetILNS1_3genE4ELNS1_11target_archE910ELNS1_3gpuE8ELNS1_3repE0EEENS1_48merge_mergepath_partition_config_static_selectorELNS0_4arch9wavefront6targetE1EEEvSK_
		.amdhsa_group_segment_fixed_size 0
		.amdhsa_private_segment_fixed_size 0
		.amdhsa_kernarg_size 48
		.amdhsa_user_sgpr_count 6
		.amdhsa_user_sgpr_private_segment_buffer 1
		.amdhsa_user_sgpr_dispatch_ptr 0
		.amdhsa_user_sgpr_queue_ptr 0
		.amdhsa_user_sgpr_kernarg_segment_ptr 1
		.amdhsa_user_sgpr_dispatch_id 0
		.amdhsa_user_sgpr_flat_scratch_init 0
		.amdhsa_user_sgpr_kernarg_preload_length 0
		.amdhsa_user_sgpr_kernarg_preload_offset 0
		.amdhsa_user_sgpr_private_segment_size 0
		.amdhsa_uses_dynamic_stack 0
		.amdhsa_system_sgpr_private_segment_wavefront_offset 0
		.amdhsa_system_sgpr_workgroup_id_x 1
		.amdhsa_system_sgpr_workgroup_id_y 0
		.amdhsa_system_sgpr_workgroup_id_z 0
		.amdhsa_system_sgpr_workgroup_info 0
		.amdhsa_system_vgpr_workitem_id 0
		.amdhsa_next_free_vgpr 22
		.amdhsa_next_free_sgpr 8
		.amdhsa_accum_offset 24
		.amdhsa_reserve_vcc 1
		.amdhsa_reserve_flat_scratch 0
		.amdhsa_float_round_mode_32 0
		.amdhsa_float_round_mode_16_64 0
		.amdhsa_float_denorm_mode_32 3
		.amdhsa_float_denorm_mode_16_64 3
		.amdhsa_dx10_clamp 1
		.amdhsa_ieee_mode 1
		.amdhsa_fp16_overflow 0
		.amdhsa_tg_split 0
		.amdhsa_exception_fp_ieee_invalid_op 0
		.amdhsa_exception_fp_denorm_src 0
		.amdhsa_exception_fp_ieee_div_zero 0
		.amdhsa_exception_fp_ieee_overflow 0
		.amdhsa_exception_fp_ieee_underflow 0
		.amdhsa_exception_fp_ieee_inexact 0
		.amdhsa_exception_int_div_zero 0
	.end_amdhsa_kernel
	.section	.text._ZN7rocprim17ROCPRIM_400000_NS6detail17trampoline_kernelINS0_14default_configENS1_38merge_sort_block_merge_config_selectorIdNS0_10empty_typeEEEZZNS1_27merge_sort_block_merge_implIS3_N6thrust23THRUST_200600_302600_NS6detail15normal_iteratorINS9_10device_ptrIdEEEEPS5_m14custom_greaterIdEEE10hipError_tT0_T1_T2_jT3_P12ihipStream_tbPNSt15iterator_traitsISJ_E10value_typeEPNSP_ISK_E10value_typeEPSL_NS1_7vsmem_tEENKUlT_SJ_SK_SL_E_clIPdSE_SF_SF_EESI_SY_SJ_SK_SL_EUlSY_E_NS1_11comp_targetILNS1_3genE4ELNS1_11target_archE910ELNS1_3gpuE8ELNS1_3repE0EEENS1_48merge_mergepath_partition_config_static_selectorELNS0_4arch9wavefront6targetE1EEEvSK_,"axG",@progbits,_ZN7rocprim17ROCPRIM_400000_NS6detail17trampoline_kernelINS0_14default_configENS1_38merge_sort_block_merge_config_selectorIdNS0_10empty_typeEEEZZNS1_27merge_sort_block_merge_implIS3_N6thrust23THRUST_200600_302600_NS6detail15normal_iteratorINS9_10device_ptrIdEEEEPS5_m14custom_greaterIdEEE10hipError_tT0_T1_T2_jT3_P12ihipStream_tbPNSt15iterator_traitsISJ_E10value_typeEPNSP_ISK_E10value_typeEPSL_NS1_7vsmem_tEENKUlT_SJ_SK_SL_E_clIPdSE_SF_SF_EESI_SY_SJ_SK_SL_EUlSY_E_NS1_11comp_targetILNS1_3genE4ELNS1_11target_archE910ELNS1_3gpuE8ELNS1_3repE0EEENS1_48merge_mergepath_partition_config_static_selectorELNS0_4arch9wavefront6targetE1EEEvSK_,comdat
.Lfunc_end3616:
	.size	_ZN7rocprim17ROCPRIM_400000_NS6detail17trampoline_kernelINS0_14default_configENS1_38merge_sort_block_merge_config_selectorIdNS0_10empty_typeEEEZZNS1_27merge_sort_block_merge_implIS3_N6thrust23THRUST_200600_302600_NS6detail15normal_iteratorINS9_10device_ptrIdEEEEPS5_m14custom_greaterIdEEE10hipError_tT0_T1_T2_jT3_P12ihipStream_tbPNSt15iterator_traitsISJ_E10value_typeEPNSP_ISK_E10value_typeEPSL_NS1_7vsmem_tEENKUlT_SJ_SK_SL_E_clIPdSE_SF_SF_EESI_SY_SJ_SK_SL_EUlSY_E_NS1_11comp_targetILNS1_3genE4ELNS1_11target_archE910ELNS1_3gpuE8ELNS1_3repE0EEENS1_48merge_mergepath_partition_config_static_selectorELNS0_4arch9wavefront6targetE1EEEvSK_, .Lfunc_end3616-_ZN7rocprim17ROCPRIM_400000_NS6detail17trampoline_kernelINS0_14default_configENS1_38merge_sort_block_merge_config_selectorIdNS0_10empty_typeEEEZZNS1_27merge_sort_block_merge_implIS3_N6thrust23THRUST_200600_302600_NS6detail15normal_iteratorINS9_10device_ptrIdEEEEPS5_m14custom_greaterIdEEE10hipError_tT0_T1_T2_jT3_P12ihipStream_tbPNSt15iterator_traitsISJ_E10value_typeEPNSP_ISK_E10value_typeEPSL_NS1_7vsmem_tEENKUlT_SJ_SK_SL_E_clIPdSE_SF_SF_EESI_SY_SJ_SK_SL_EUlSY_E_NS1_11comp_targetILNS1_3genE4ELNS1_11target_archE910ELNS1_3gpuE8ELNS1_3repE0EEENS1_48merge_mergepath_partition_config_static_selectorELNS0_4arch9wavefront6targetE1EEEvSK_
                                        ; -- End function
	.section	.AMDGPU.csdata,"",@progbits
; Kernel info:
; codeLenInByte = 500
; NumSgprs: 12
; NumVgprs: 22
; NumAgprs: 0
; TotalNumVgprs: 22
; ScratchSize: 0
; MemoryBound: 0
; FloatMode: 240
; IeeeMode: 1
; LDSByteSize: 0 bytes/workgroup (compile time only)
; SGPRBlocks: 1
; VGPRBlocks: 2
; NumSGPRsForWavesPerEU: 12
; NumVGPRsForWavesPerEU: 22
; AccumOffset: 24
; Occupancy: 8
; WaveLimiterHint : 0
; COMPUTE_PGM_RSRC2:SCRATCH_EN: 0
; COMPUTE_PGM_RSRC2:USER_SGPR: 6
; COMPUTE_PGM_RSRC2:TRAP_HANDLER: 0
; COMPUTE_PGM_RSRC2:TGID_X_EN: 1
; COMPUTE_PGM_RSRC2:TGID_Y_EN: 0
; COMPUTE_PGM_RSRC2:TGID_Z_EN: 0
; COMPUTE_PGM_RSRC2:TIDIG_COMP_CNT: 0
; COMPUTE_PGM_RSRC3_GFX90A:ACCUM_OFFSET: 5
; COMPUTE_PGM_RSRC3_GFX90A:TG_SPLIT: 0
	.section	.text._ZN7rocprim17ROCPRIM_400000_NS6detail17trampoline_kernelINS0_14default_configENS1_38merge_sort_block_merge_config_selectorIdNS0_10empty_typeEEEZZNS1_27merge_sort_block_merge_implIS3_N6thrust23THRUST_200600_302600_NS6detail15normal_iteratorINS9_10device_ptrIdEEEEPS5_m14custom_greaterIdEEE10hipError_tT0_T1_T2_jT3_P12ihipStream_tbPNSt15iterator_traitsISJ_E10value_typeEPNSP_ISK_E10value_typeEPSL_NS1_7vsmem_tEENKUlT_SJ_SK_SL_E_clIPdSE_SF_SF_EESI_SY_SJ_SK_SL_EUlSY_E_NS1_11comp_targetILNS1_3genE3ELNS1_11target_archE908ELNS1_3gpuE7ELNS1_3repE0EEENS1_48merge_mergepath_partition_config_static_selectorELNS0_4arch9wavefront6targetE1EEEvSK_,"axG",@progbits,_ZN7rocprim17ROCPRIM_400000_NS6detail17trampoline_kernelINS0_14default_configENS1_38merge_sort_block_merge_config_selectorIdNS0_10empty_typeEEEZZNS1_27merge_sort_block_merge_implIS3_N6thrust23THRUST_200600_302600_NS6detail15normal_iteratorINS9_10device_ptrIdEEEEPS5_m14custom_greaterIdEEE10hipError_tT0_T1_T2_jT3_P12ihipStream_tbPNSt15iterator_traitsISJ_E10value_typeEPNSP_ISK_E10value_typeEPSL_NS1_7vsmem_tEENKUlT_SJ_SK_SL_E_clIPdSE_SF_SF_EESI_SY_SJ_SK_SL_EUlSY_E_NS1_11comp_targetILNS1_3genE3ELNS1_11target_archE908ELNS1_3gpuE7ELNS1_3repE0EEENS1_48merge_mergepath_partition_config_static_selectorELNS0_4arch9wavefront6targetE1EEEvSK_,comdat
	.protected	_ZN7rocprim17ROCPRIM_400000_NS6detail17trampoline_kernelINS0_14default_configENS1_38merge_sort_block_merge_config_selectorIdNS0_10empty_typeEEEZZNS1_27merge_sort_block_merge_implIS3_N6thrust23THRUST_200600_302600_NS6detail15normal_iteratorINS9_10device_ptrIdEEEEPS5_m14custom_greaterIdEEE10hipError_tT0_T1_T2_jT3_P12ihipStream_tbPNSt15iterator_traitsISJ_E10value_typeEPNSP_ISK_E10value_typeEPSL_NS1_7vsmem_tEENKUlT_SJ_SK_SL_E_clIPdSE_SF_SF_EESI_SY_SJ_SK_SL_EUlSY_E_NS1_11comp_targetILNS1_3genE3ELNS1_11target_archE908ELNS1_3gpuE7ELNS1_3repE0EEENS1_48merge_mergepath_partition_config_static_selectorELNS0_4arch9wavefront6targetE1EEEvSK_ ; -- Begin function _ZN7rocprim17ROCPRIM_400000_NS6detail17trampoline_kernelINS0_14default_configENS1_38merge_sort_block_merge_config_selectorIdNS0_10empty_typeEEEZZNS1_27merge_sort_block_merge_implIS3_N6thrust23THRUST_200600_302600_NS6detail15normal_iteratorINS9_10device_ptrIdEEEEPS5_m14custom_greaterIdEEE10hipError_tT0_T1_T2_jT3_P12ihipStream_tbPNSt15iterator_traitsISJ_E10value_typeEPNSP_ISK_E10value_typeEPSL_NS1_7vsmem_tEENKUlT_SJ_SK_SL_E_clIPdSE_SF_SF_EESI_SY_SJ_SK_SL_EUlSY_E_NS1_11comp_targetILNS1_3genE3ELNS1_11target_archE908ELNS1_3gpuE7ELNS1_3repE0EEENS1_48merge_mergepath_partition_config_static_selectorELNS0_4arch9wavefront6targetE1EEEvSK_
	.globl	_ZN7rocprim17ROCPRIM_400000_NS6detail17trampoline_kernelINS0_14default_configENS1_38merge_sort_block_merge_config_selectorIdNS0_10empty_typeEEEZZNS1_27merge_sort_block_merge_implIS3_N6thrust23THRUST_200600_302600_NS6detail15normal_iteratorINS9_10device_ptrIdEEEEPS5_m14custom_greaterIdEEE10hipError_tT0_T1_T2_jT3_P12ihipStream_tbPNSt15iterator_traitsISJ_E10value_typeEPNSP_ISK_E10value_typeEPSL_NS1_7vsmem_tEENKUlT_SJ_SK_SL_E_clIPdSE_SF_SF_EESI_SY_SJ_SK_SL_EUlSY_E_NS1_11comp_targetILNS1_3genE3ELNS1_11target_archE908ELNS1_3gpuE7ELNS1_3repE0EEENS1_48merge_mergepath_partition_config_static_selectorELNS0_4arch9wavefront6targetE1EEEvSK_
	.p2align	8
	.type	_ZN7rocprim17ROCPRIM_400000_NS6detail17trampoline_kernelINS0_14default_configENS1_38merge_sort_block_merge_config_selectorIdNS0_10empty_typeEEEZZNS1_27merge_sort_block_merge_implIS3_N6thrust23THRUST_200600_302600_NS6detail15normal_iteratorINS9_10device_ptrIdEEEEPS5_m14custom_greaterIdEEE10hipError_tT0_T1_T2_jT3_P12ihipStream_tbPNSt15iterator_traitsISJ_E10value_typeEPNSP_ISK_E10value_typeEPSL_NS1_7vsmem_tEENKUlT_SJ_SK_SL_E_clIPdSE_SF_SF_EESI_SY_SJ_SK_SL_EUlSY_E_NS1_11comp_targetILNS1_3genE3ELNS1_11target_archE908ELNS1_3gpuE7ELNS1_3repE0EEENS1_48merge_mergepath_partition_config_static_selectorELNS0_4arch9wavefront6targetE1EEEvSK_,@function
_ZN7rocprim17ROCPRIM_400000_NS6detail17trampoline_kernelINS0_14default_configENS1_38merge_sort_block_merge_config_selectorIdNS0_10empty_typeEEEZZNS1_27merge_sort_block_merge_implIS3_N6thrust23THRUST_200600_302600_NS6detail15normal_iteratorINS9_10device_ptrIdEEEEPS5_m14custom_greaterIdEEE10hipError_tT0_T1_T2_jT3_P12ihipStream_tbPNSt15iterator_traitsISJ_E10value_typeEPNSP_ISK_E10value_typeEPSL_NS1_7vsmem_tEENKUlT_SJ_SK_SL_E_clIPdSE_SF_SF_EESI_SY_SJ_SK_SL_EUlSY_E_NS1_11comp_targetILNS1_3genE3ELNS1_11target_archE908ELNS1_3gpuE7ELNS1_3repE0EEENS1_48merge_mergepath_partition_config_static_selectorELNS0_4arch9wavefront6targetE1EEEvSK_: ; @_ZN7rocprim17ROCPRIM_400000_NS6detail17trampoline_kernelINS0_14default_configENS1_38merge_sort_block_merge_config_selectorIdNS0_10empty_typeEEEZZNS1_27merge_sort_block_merge_implIS3_N6thrust23THRUST_200600_302600_NS6detail15normal_iteratorINS9_10device_ptrIdEEEEPS5_m14custom_greaterIdEEE10hipError_tT0_T1_T2_jT3_P12ihipStream_tbPNSt15iterator_traitsISJ_E10value_typeEPNSP_ISK_E10value_typeEPSL_NS1_7vsmem_tEENKUlT_SJ_SK_SL_E_clIPdSE_SF_SF_EESI_SY_SJ_SK_SL_EUlSY_E_NS1_11comp_targetILNS1_3genE3ELNS1_11target_archE908ELNS1_3gpuE7ELNS1_3repE0EEENS1_48merge_mergepath_partition_config_static_selectorELNS0_4arch9wavefront6targetE1EEEvSK_
; %bb.0:
	.section	.rodata,"a",@progbits
	.p2align	6, 0x0
	.amdhsa_kernel _ZN7rocprim17ROCPRIM_400000_NS6detail17trampoline_kernelINS0_14default_configENS1_38merge_sort_block_merge_config_selectorIdNS0_10empty_typeEEEZZNS1_27merge_sort_block_merge_implIS3_N6thrust23THRUST_200600_302600_NS6detail15normal_iteratorINS9_10device_ptrIdEEEEPS5_m14custom_greaterIdEEE10hipError_tT0_T1_T2_jT3_P12ihipStream_tbPNSt15iterator_traitsISJ_E10value_typeEPNSP_ISK_E10value_typeEPSL_NS1_7vsmem_tEENKUlT_SJ_SK_SL_E_clIPdSE_SF_SF_EESI_SY_SJ_SK_SL_EUlSY_E_NS1_11comp_targetILNS1_3genE3ELNS1_11target_archE908ELNS1_3gpuE7ELNS1_3repE0EEENS1_48merge_mergepath_partition_config_static_selectorELNS0_4arch9wavefront6targetE1EEEvSK_
		.amdhsa_group_segment_fixed_size 0
		.amdhsa_private_segment_fixed_size 0
		.amdhsa_kernarg_size 48
		.amdhsa_user_sgpr_count 6
		.amdhsa_user_sgpr_private_segment_buffer 1
		.amdhsa_user_sgpr_dispatch_ptr 0
		.amdhsa_user_sgpr_queue_ptr 0
		.amdhsa_user_sgpr_kernarg_segment_ptr 1
		.amdhsa_user_sgpr_dispatch_id 0
		.amdhsa_user_sgpr_flat_scratch_init 0
		.amdhsa_user_sgpr_kernarg_preload_length 0
		.amdhsa_user_sgpr_kernarg_preload_offset 0
		.amdhsa_user_sgpr_private_segment_size 0
		.amdhsa_uses_dynamic_stack 0
		.amdhsa_system_sgpr_private_segment_wavefront_offset 0
		.amdhsa_system_sgpr_workgroup_id_x 1
		.amdhsa_system_sgpr_workgroup_id_y 0
		.amdhsa_system_sgpr_workgroup_id_z 0
		.amdhsa_system_sgpr_workgroup_info 0
		.amdhsa_system_vgpr_workitem_id 0
		.amdhsa_next_free_vgpr 1
		.amdhsa_next_free_sgpr 0
		.amdhsa_accum_offset 4
		.amdhsa_reserve_vcc 0
		.amdhsa_reserve_flat_scratch 0
		.amdhsa_float_round_mode_32 0
		.amdhsa_float_round_mode_16_64 0
		.amdhsa_float_denorm_mode_32 3
		.amdhsa_float_denorm_mode_16_64 3
		.amdhsa_dx10_clamp 1
		.amdhsa_ieee_mode 1
		.amdhsa_fp16_overflow 0
		.amdhsa_tg_split 0
		.amdhsa_exception_fp_ieee_invalid_op 0
		.amdhsa_exception_fp_denorm_src 0
		.amdhsa_exception_fp_ieee_div_zero 0
		.amdhsa_exception_fp_ieee_overflow 0
		.amdhsa_exception_fp_ieee_underflow 0
		.amdhsa_exception_fp_ieee_inexact 0
		.amdhsa_exception_int_div_zero 0
	.end_amdhsa_kernel
	.section	.text._ZN7rocprim17ROCPRIM_400000_NS6detail17trampoline_kernelINS0_14default_configENS1_38merge_sort_block_merge_config_selectorIdNS0_10empty_typeEEEZZNS1_27merge_sort_block_merge_implIS3_N6thrust23THRUST_200600_302600_NS6detail15normal_iteratorINS9_10device_ptrIdEEEEPS5_m14custom_greaterIdEEE10hipError_tT0_T1_T2_jT3_P12ihipStream_tbPNSt15iterator_traitsISJ_E10value_typeEPNSP_ISK_E10value_typeEPSL_NS1_7vsmem_tEENKUlT_SJ_SK_SL_E_clIPdSE_SF_SF_EESI_SY_SJ_SK_SL_EUlSY_E_NS1_11comp_targetILNS1_3genE3ELNS1_11target_archE908ELNS1_3gpuE7ELNS1_3repE0EEENS1_48merge_mergepath_partition_config_static_selectorELNS0_4arch9wavefront6targetE1EEEvSK_,"axG",@progbits,_ZN7rocprim17ROCPRIM_400000_NS6detail17trampoline_kernelINS0_14default_configENS1_38merge_sort_block_merge_config_selectorIdNS0_10empty_typeEEEZZNS1_27merge_sort_block_merge_implIS3_N6thrust23THRUST_200600_302600_NS6detail15normal_iteratorINS9_10device_ptrIdEEEEPS5_m14custom_greaterIdEEE10hipError_tT0_T1_T2_jT3_P12ihipStream_tbPNSt15iterator_traitsISJ_E10value_typeEPNSP_ISK_E10value_typeEPSL_NS1_7vsmem_tEENKUlT_SJ_SK_SL_E_clIPdSE_SF_SF_EESI_SY_SJ_SK_SL_EUlSY_E_NS1_11comp_targetILNS1_3genE3ELNS1_11target_archE908ELNS1_3gpuE7ELNS1_3repE0EEENS1_48merge_mergepath_partition_config_static_selectorELNS0_4arch9wavefront6targetE1EEEvSK_,comdat
.Lfunc_end3617:
	.size	_ZN7rocprim17ROCPRIM_400000_NS6detail17trampoline_kernelINS0_14default_configENS1_38merge_sort_block_merge_config_selectorIdNS0_10empty_typeEEEZZNS1_27merge_sort_block_merge_implIS3_N6thrust23THRUST_200600_302600_NS6detail15normal_iteratorINS9_10device_ptrIdEEEEPS5_m14custom_greaterIdEEE10hipError_tT0_T1_T2_jT3_P12ihipStream_tbPNSt15iterator_traitsISJ_E10value_typeEPNSP_ISK_E10value_typeEPSL_NS1_7vsmem_tEENKUlT_SJ_SK_SL_E_clIPdSE_SF_SF_EESI_SY_SJ_SK_SL_EUlSY_E_NS1_11comp_targetILNS1_3genE3ELNS1_11target_archE908ELNS1_3gpuE7ELNS1_3repE0EEENS1_48merge_mergepath_partition_config_static_selectorELNS0_4arch9wavefront6targetE1EEEvSK_, .Lfunc_end3617-_ZN7rocprim17ROCPRIM_400000_NS6detail17trampoline_kernelINS0_14default_configENS1_38merge_sort_block_merge_config_selectorIdNS0_10empty_typeEEEZZNS1_27merge_sort_block_merge_implIS3_N6thrust23THRUST_200600_302600_NS6detail15normal_iteratorINS9_10device_ptrIdEEEEPS5_m14custom_greaterIdEEE10hipError_tT0_T1_T2_jT3_P12ihipStream_tbPNSt15iterator_traitsISJ_E10value_typeEPNSP_ISK_E10value_typeEPSL_NS1_7vsmem_tEENKUlT_SJ_SK_SL_E_clIPdSE_SF_SF_EESI_SY_SJ_SK_SL_EUlSY_E_NS1_11comp_targetILNS1_3genE3ELNS1_11target_archE908ELNS1_3gpuE7ELNS1_3repE0EEENS1_48merge_mergepath_partition_config_static_selectorELNS0_4arch9wavefront6targetE1EEEvSK_
                                        ; -- End function
	.section	.AMDGPU.csdata,"",@progbits
; Kernel info:
; codeLenInByte = 0
; NumSgprs: 4
; NumVgprs: 0
; NumAgprs: 0
; TotalNumVgprs: 0
; ScratchSize: 0
; MemoryBound: 0
; FloatMode: 240
; IeeeMode: 1
; LDSByteSize: 0 bytes/workgroup (compile time only)
; SGPRBlocks: 0
; VGPRBlocks: 0
; NumSGPRsForWavesPerEU: 4
; NumVGPRsForWavesPerEU: 1
; AccumOffset: 4
; Occupancy: 8
; WaveLimiterHint : 0
; COMPUTE_PGM_RSRC2:SCRATCH_EN: 0
; COMPUTE_PGM_RSRC2:USER_SGPR: 6
; COMPUTE_PGM_RSRC2:TRAP_HANDLER: 0
; COMPUTE_PGM_RSRC2:TGID_X_EN: 1
; COMPUTE_PGM_RSRC2:TGID_Y_EN: 0
; COMPUTE_PGM_RSRC2:TGID_Z_EN: 0
; COMPUTE_PGM_RSRC2:TIDIG_COMP_CNT: 0
; COMPUTE_PGM_RSRC3_GFX90A:ACCUM_OFFSET: 0
; COMPUTE_PGM_RSRC3_GFX90A:TG_SPLIT: 0
	.section	.text._ZN7rocprim17ROCPRIM_400000_NS6detail17trampoline_kernelINS0_14default_configENS1_38merge_sort_block_merge_config_selectorIdNS0_10empty_typeEEEZZNS1_27merge_sort_block_merge_implIS3_N6thrust23THRUST_200600_302600_NS6detail15normal_iteratorINS9_10device_ptrIdEEEEPS5_m14custom_greaterIdEEE10hipError_tT0_T1_T2_jT3_P12ihipStream_tbPNSt15iterator_traitsISJ_E10value_typeEPNSP_ISK_E10value_typeEPSL_NS1_7vsmem_tEENKUlT_SJ_SK_SL_E_clIPdSE_SF_SF_EESI_SY_SJ_SK_SL_EUlSY_E_NS1_11comp_targetILNS1_3genE2ELNS1_11target_archE906ELNS1_3gpuE6ELNS1_3repE0EEENS1_48merge_mergepath_partition_config_static_selectorELNS0_4arch9wavefront6targetE1EEEvSK_,"axG",@progbits,_ZN7rocprim17ROCPRIM_400000_NS6detail17trampoline_kernelINS0_14default_configENS1_38merge_sort_block_merge_config_selectorIdNS0_10empty_typeEEEZZNS1_27merge_sort_block_merge_implIS3_N6thrust23THRUST_200600_302600_NS6detail15normal_iteratorINS9_10device_ptrIdEEEEPS5_m14custom_greaterIdEEE10hipError_tT0_T1_T2_jT3_P12ihipStream_tbPNSt15iterator_traitsISJ_E10value_typeEPNSP_ISK_E10value_typeEPSL_NS1_7vsmem_tEENKUlT_SJ_SK_SL_E_clIPdSE_SF_SF_EESI_SY_SJ_SK_SL_EUlSY_E_NS1_11comp_targetILNS1_3genE2ELNS1_11target_archE906ELNS1_3gpuE6ELNS1_3repE0EEENS1_48merge_mergepath_partition_config_static_selectorELNS0_4arch9wavefront6targetE1EEEvSK_,comdat
	.protected	_ZN7rocprim17ROCPRIM_400000_NS6detail17trampoline_kernelINS0_14default_configENS1_38merge_sort_block_merge_config_selectorIdNS0_10empty_typeEEEZZNS1_27merge_sort_block_merge_implIS3_N6thrust23THRUST_200600_302600_NS6detail15normal_iteratorINS9_10device_ptrIdEEEEPS5_m14custom_greaterIdEEE10hipError_tT0_T1_T2_jT3_P12ihipStream_tbPNSt15iterator_traitsISJ_E10value_typeEPNSP_ISK_E10value_typeEPSL_NS1_7vsmem_tEENKUlT_SJ_SK_SL_E_clIPdSE_SF_SF_EESI_SY_SJ_SK_SL_EUlSY_E_NS1_11comp_targetILNS1_3genE2ELNS1_11target_archE906ELNS1_3gpuE6ELNS1_3repE0EEENS1_48merge_mergepath_partition_config_static_selectorELNS0_4arch9wavefront6targetE1EEEvSK_ ; -- Begin function _ZN7rocprim17ROCPRIM_400000_NS6detail17trampoline_kernelINS0_14default_configENS1_38merge_sort_block_merge_config_selectorIdNS0_10empty_typeEEEZZNS1_27merge_sort_block_merge_implIS3_N6thrust23THRUST_200600_302600_NS6detail15normal_iteratorINS9_10device_ptrIdEEEEPS5_m14custom_greaterIdEEE10hipError_tT0_T1_T2_jT3_P12ihipStream_tbPNSt15iterator_traitsISJ_E10value_typeEPNSP_ISK_E10value_typeEPSL_NS1_7vsmem_tEENKUlT_SJ_SK_SL_E_clIPdSE_SF_SF_EESI_SY_SJ_SK_SL_EUlSY_E_NS1_11comp_targetILNS1_3genE2ELNS1_11target_archE906ELNS1_3gpuE6ELNS1_3repE0EEENS1_48merge_mergepath_partition_config_static_selectorELNS0_4arch9wavefront6targetE1EEEvSK_
	.globl	_ZN7rocprim17ROCPRIM_400000_NS6detail17trampoline_kernelINS0_14default_configENS1_38merge_sort_block_merge_config_selectorIdNS0_10empty_typeEEEZZNS1_27merge_sort_block_merge_implIS3_N6thrust23THRUST_200600_302600_NS6detail15normal_iteratorINS9_10device_ptrIdEEEEPS5_m14custom_greaterIdEEE10hipError_tT0_T1_T2_jT3_P12ihipStream_tbPNSt15iterator_traitsISJ_E10value_typeEPNSP_ISK_E10value_typeEPSL_NS1_7vsmem_tEENKUlT_SJ_SK_SL_E_clIPdSE_SF_SF_EESI_SY_SJ_SK_SL_EUlSY_E_NS1_11comp_targetILNS1_3genE2ELNS1_11target_archE906ELNS1_3gpuE6ELNS1_3repE0EEENS1_48merge_mergepath_partition_config_static_selectorELNS0_4arch9wavefront6targetE1EEEvSK_
	.p2align	8
	.type	_ZN7rocprim17ROCPRIM_400000_NS6detail17trampoline_kernelINS0_14default_configENS1_38merge_sort_block_merge_config_selectorIdNS0_10empty_typeEEEZZNS1_27merge_sort_block_merge_implIS3_N6thrust23THRUST_200600_302600_NS6detail15normal_iteratorINS9_10device_ptrIdEEEEPS5_m14custom_greaterIdEEE10hipError_tT0_T1_T2_jT3_P12ihipStream_tbPNSt15iterator_traitsISJ_E10value_typeEPNSP_ISK_E10value_typeEPSL_NS1_7vsmem_tEENKUlT_SJ_SK_SL_E_clIPdSE_SF_SF_EESI_SY_SJ_SK_SL_EUlSY_E_NS1_11comp_targetILNS1_3genE2ELNS1_11target_archE906ELNS1_3gpuE6ELNS1_3repE0EEENS1_48merge_mergepath_partition_config_static_selectorELNS0_4arch9wavefront6targetE1EEEvSK_,@function
_ZN7rocprim17ROCPRIM_400000_NS6detail17trampoline_kernelINS0_14default_configENS1_38merge_sort_block_merge_config_selectorIdNS0_10empty_typeEEEZZNS1_27merge_sort_block_merge_implIS3_N6thrust23THRUST_200600_302600_NS6detail15normal_iteratorINS9_10device_ptrIdEEEEPS5_m14custom_greaterIdEEE10hipError_tT0_T1_T2_jT3_P12ihipStream_tbPNSt15iterator_traitsISJ_E10value_typeEPNSP_ISK_E10value_typeEPSL_NS1_7vsmem_tEENKUlT_SJ_SK_SL_E_clIPdSE_SF_SF_EESI_SY_SJ_SK_SL_EUlSY_E_NS1_11comp_targetILNS1_3genE2ELNS1_11target_archE906ELNS1_3gpuE6ELNS1_3repE0EEENS1_48merge_mergepath_partition_config_static_selectorELNS0_4arch9wavefront6targetE1EEEvSK_: ; @_ZN7rocprim17ROCPRIM_400000_NS6detail17trampoline_kernelINS0_14default_configENS1_38merge_sort_block_merge_config_selectorIdNS0_10empty_typeEEEZZNS1_27merge_sort_block_merge_implIS3_N6thrust23THRUST_200600_302600_NS6detail15normal_iteratorINS9_10device_ptrIdEEEEPS5_m14custom_greaterIdEEE10hipError_tT0_T1_T2_jT3_P12ihipStream_tbPNSt15iterator_traitsISJ_E10value_typeEPNSP_ISK_E10value_typeEPSL_NS1_7vsmem_tEENKUlT_SJ_SK_SL_E_clIPdSE_SF_SF_EESI_SY_SJ_SK_SL_EUlSY_E_NS1_11comp_targetILNS1_3genE2ELNS1_11target_archE906ELNS1_3gpuE6ELNS1_3repE0EEENS1_48merge_mergepath_partition_config_static_selectorELNS0_4arch9wavefront6targetE1EEEvSK_
; %bb.0:
	.section	.rodata,"a",@progbits
	.p2align	6, 0x0
	.amdhsa_kernel _ZN7rocprim17ROCPRIM_400000_NS6detail17trampoline_kernelINS0_14default_configENS1_38merge_sort_block_merge_config_selectorIdNS0_10empty_typeEEEZZNS1_27merge_sort_block_merge_implIS3_N6thrust23THRUST_200600_302600_NS6detail15normal_iteratorINS9_10device_ptrIdEEEEPS5_m14custom_greaterIdEEE10hipError_tT0_T1_T2_jT3_P12ihipStream_tbPNSt15iterator_traitsISJ_E10value_typeEPNSP_ISK_E10value_typeEPSL_NS1_7vsmem_tEENKUlT_SJ_SK_SL_E_clIPdSE_SF_SF_EESI_SY_SJ_SK_SL_EUlSY_E_NS1_11comp_targetILNS1_3genE2ELNS1_11target_archE906ELNS1_3gpuE6ELNS1_3repE0EEENS1_48merge_mergepath_partition_config_static_selectorELNS0_4arch9wavefront6targetE1EEEvSK_
		.amdhsa_group_segment_fixed_size 0
		.amdhsa_private_segment_fixed_size 0
		.amdhsa_kernarg_size 48
		.amdhsa_user_sgpr_count 6
		.amdhsa_user_sgpr_private_segment_buffer 1
		.amdhsa_user_sgpr_dispatch_ptr 0
		.amdhsa_user_sgpr_queue_ptr 0
		.amdhsa_user_sgpr_kernarg_segment_ptr 1
		.amdhsa_user_sgpr_dispatch_id 0
		.amdhsa_user_sgpr_flat_scratch_init 0
		.amdhsa_user_sgpr_kernarg_preload_length 0
		.amdhsa_user_sgpr_kernarg_preload_offset 0
		.amdhsa_user_sgpr_private_segment_size 0
		.amdhsa_uses_dynamic_stack 0
		.amdhsa_system_sgpr_private_segment_wavefront_offset 0
		.amdhsa_system_sgpr_workgroup_id_x 1
		.amdhsa_system_sgpr_workgroup_id_y 0
		.amdhsa_system_sgpr_workgroup_id_z 0
		.amdhsa_system_sgpr_workgroup_info 0
		.amdhsa_system_vgpr_workitem_id 0
		.amdhsa_next_free_vgpr 1
		.amdhsa_next_free_sgpr 0
		.amdhsa_accum_offset 4
		.amdhsa_reserve_vcc 0
		.amdhsa_reserve_flat_scratch 0
		.amdhsa_float_round_mode_32 0
		.amdhsa_float_round_mode_16_64 0
		.amdhsa_float_denorm_mode_32 3
		.amdhsa_float_denorm_mode_16_64 3
		.amdhsa_dx10_clamp 1
		.amdhsa_ieee_mode 1
		.amdhsa_fp16_overflow 0
		.amdhsa_tg_split 0
		.amdhsa_exception_fp_ieee_invalid_op 0
		.amdhsa_exception_fp_denorm_src 0
		.amdhsa_exception_fp_ieee_div_zero 0
		.amdhsa_exception_fp_ieee_overflow 0
		.amdhsa_exception_fp_ieee_underflow 0
		.amdhsa_exception_fp_ieee_inexact 0
		.amdhsa_exception_int_div_zero 0
	.end_amdhsa_kernel
	.section	.text._ZN7rocprim17ROCPRIM_400000_NS6detail17trampoline_kernelINS0_14default_configENS1_38merge_sort_block_merge_config_selectorIdNS0_10empty_typeEEEZZNS1_27merge_sort_block_merge_implIS3_N6thrust23THRUST_200600_302600_NS6detail15normal_iteratorINS9_10device_ptrIdEEEEPS5_m14custom_greaterIdEEE10hipError_tT0_T1_T2_jT3_P12ihipStream_tbPNSt15iterator_traitsISJ_E10value_typeEPNSP_ISK_E10value_typeEPSL_NS1_7vsmem_tEENKUlT_SJ_SK_SL_E_clIPdSE_SF_SF_EESI_SY_SJ_SK_SL_EUlSY_E_NS1_11comp_targetILNS1_3genE2ELNS1_11target_archE906ELNS1_3gpuE6ELNS1_3repE0EEENS1_48merge_mergepath_partition_config_static_selectorELNS0_4arch9wavefront6targetE1EEEvSK_,"axG",@progbits,_ZN7rocprim17ROCPRIM_400000_NS6detail17trampoline_kernelINS0_14default_configENS1_38merge_sort_block_merge_config_selectorIdNS0_10empty_typeEEEZZNS1_27merge_sort_block_merge_implIS3_N6thrust23THRUST_200600_302600_NS6detail15normal_iteratorINS9_10device_ptrIdEEEEPS5_m14custom_greaterIdEEE10hipError_tT0_T1_T2_jT3_P12ihipStream_tbPNSt15iterator_traitsISJ_E10value_typeEPNSP_ISK_E10value_typeEPSL_NS1_7vsmem_tEENKUlT_SJ_SK_SL_E_clIPdSE_SF_SF_EESI_SY_SJ_SK_SL_EUlSY_E_NS1_11comp_targetILNS1_3genE2ELNS1_11target_archE906ELNS1_3gpuE6ELNS1_3repE0EEENS1_48merge_mergepath_partition_config_static_selectorELNS0_4arch9wavefront6targetE1EEEvSK_,comdat
.Lfunc_end3618:
	.size	_ZN7rocprim17ROCPRIM_400000_NS6detail17trampoline_kernelINS0_14default_configENS1_38merge_sort_block_merge_config_selectorIdNS0_10empty_typeEEEZZNS1_27merge_sort_block_merge_implIS3_N6thrust23THRUST_200600_302600_NS6detail15normal_iteratorINS9_10device_ptrIdEEEEPS5_m14custom_greaterIdEEE10hipError_tT0_T1_T2_jT3_P12ihipStream_tbPNSt15iterator_traitsISJ_E10value_typeEPNSP_ISK_E10value_typeEPSL_NS1_7vsmem_tEENKUlT_SJ_SK_SL_E_clIPdSE_SF_SF_EESI_SY_SJ_SK_SL_EUlSY_E_NS1_11comp_targetILNS1_3genE2ELNS1_11target_archE906ELNS1_3gpuE6ELNS1_3repE0EEENS1_48merge_mergepath_partition_config_static_selectorELNS0_4arch9wavefront6targetE1EEEvSK_, .Lfunc_end3618-_ZN7rocprim17ROCPRIM_400000_NS6detail17trampoline_kernelINS0_14default_configENS1_38merge_sort_block_merge_config_selectorIdNS0_10empty_typeEEEZZNS1_27merge_sort_block_merge_implIS3_N6thrust23THRUST_200600_302600_NS6detail15normal_iteratorINS9_10device_ptrIdEEEEPS5_m14custom_greaterIdEEE10hipError_tT0_T1_T2_jT3_P12ihipStream_tbPNSt15iterator_traitsISJ_E10value_typeEPNSP_ISK_E10value_typeEPSL_NS1_7vsmem_tEENKUlT_SJ_SK_SL_E_clIPdSE_SF_SF_EESI_SY_SJ_SK_SL_EUlSY_E_NS1_11comp_targetILNS1_3genE2ELNS1_11target_archE906ELNS1_3gpuE6ELNS1_3repE0EEENS1_48merge_mergepath_partition_config_static_selectorELNS0_4arch9wavefront6targetE1EEEvSK_
                                        ; -- End function
	.section	.AMDGPU.csdata,"",@progbits
; Kernel info:
; codeLenInByte = 0
; NumSgprs: 4
; NumVgprs: 0
; NumAgprs: 0
; TotalNumVgprs: 0
; ScratchSize: 0
; MemoryBound: 0
; FloatMode: 240
; IeeeMode: 1
; LDSByteSize: 0 bytes/workgroup (compile time only)
; SGPRBlocks: 0
; VGPRBlocks: 0
; NumSGPRsForWavesPerEU: 4
; NumVGPRsForWavesPerEU: 1
; AccumOffset: 4
; Occupancy: 8
; WaveLimiterHint : 0
; COMPUTE_PGM_RSRC2:SCRATCH_EN: 0
; COMPUTE_PGM_RSRC2:USER_SGPR: 6
; COMPUTE_PGM_RSRC2:TRAP_HANDLER: 0
; COMPUTE_PGM_RSRC2:TGID_X_EN: 1
; COMPUTE_PGM_RSRC2:TGID_Y_EN: 0
; COMPUTE_PGM_RSRC2:TGID_Z_EN: 0
; COMPUTE_PGM_RSRC2:TIDIG_COMP_CNT: 0
; COMPUTE_PGM_RSRC3_GFX90A:ACCUM_OFFSET: 0
; COMPUTE_PGM_RSRC3_GFX90A:TG_SPLIT: 0
	.section	.text._ZN7rocprim17ROCPRIM_400000_NS6detail17trampoline_kernelINS0_14default_configENS1_38merge_sort_block_merge_config_selectorIdNS0_10empty_typeEEEZZNS1_27merge_sort_block_merge_implIS3_N6thrust23THRUST_200600_302600_NS6detail15normal_iteratorINS9_10device_ptrIdEEEEPS5_m14custom_greaterIdEEE10hipError_tT0_T1_T2_jT3_P12ihipStream_tbPNSt15iterator_traitsISJ_E10value_typeEPNSP_ISK_E10value_typeEPSL_NS1_7vsmem_tEENKUlT_SJ_SK_SL_E_clIPdSE_SF_SF_EESI_SY_SJ_SK_SL_EUlSY_E_NS1_11comp_targetILNS1_3genE9ELNS1_11target_archE1100ELNS1_3gpuE3ELNS1_3repE0EEENS1_48merge_mergepath_partition_config_static_selectorELNS0_4arch9wavefront6targetE1EEEvSK_,"axG",@progbits,_ZN7rocprim17ROCPRIM_400000_NS6detail17trampoline_kernelINS0_14default_configENS1_38merge_sort_block_merge_config_selectorIdNS0_10empty_typeEEEZZNS1_27merge_sort_block_merge_implIS3_N6thrust23THRUST_200600_302600_NS6detail15normal_iteratorINS9_10device_ptrIdEEEEPS5_m14custom_greaterIdEEE10hipError_tT0_T1_T2_jT3_P12ihipStream_tbPNSt15iterator_traitsISJ_E10value_typeEPNSP_ISK_E10value_typeEPSL_NS1_7vsmem_tEENKUlT_SJ_SK_SL_E_clIPdSE_SF_SF_EESI_SY_SJ_SK_SL_EUlSY_E_NS1_11comp_targetILNS1_3genE9ELNS1_11target_archE1100ELNS1_3gpuE3ELNS1_3repE0EEENS1_48merge_mergepath_partition_config_static_selectorELNS0_4arch9wavefront6targetE1EEEvSK_,comdat
	.protected	_ZN7rocprim17ROCPRIM_400000_NS6detail17trampoline_kernelINS0_14default_configENS1_38merge_sort_block_merge_config_selectorIdNS0_10empty_typeEEEZZNS1_27merge_sort_block_merge_implIS3_N6thrust23THRUST_200600_302600_NS6detail15normal_iteratorINS9_10device_ptrIdEEEEPS5_m14custom_greaterIdEEE10hipError_tT0_T1_T2_jT3_P12ihipStream_tbPNSt15iterator_traitsISJ_E10value_typeEPNSP_ISK_E10value_typeEPSL_NS1_7vsmem_tEENKUlT_SJ_SK_SL_E_clIPdSE_SF_SF_EESI_SY_SJ_SK_SL_EUlSY_E_NS1_11comp_targetILNS1_3genE9ELNS1_11target_archE1100ELNS1_3gpuE3ELNS1_3repE0EEENS1_48merge_mergepath_partition_config_static_selectorELNS0_4arch9wavefront6targetE1EEEvSK_ ; -- Begin function _ZN7rocprim17ROCPRIM_400000_NS6detail17trampoline_kernelINS0_14default_configENS1_38merge_sort_block_merge_config_selectorIdNS0_10empty_typeEEEZZNS1_27merge_sort_block_merge_implIS3_N6thrust23THRUST_200600_302600_NS6detail15normal_iteratorINS9_10device_ptrIdEEEEPS5_m14custom_greaterIdEEE10hipError_tT0_T1_T2_jT3_P12ihipStream_tbPNSt15iterator_traitsISJ_E10value_typeEPNSP_ISK_E10value_typeEPSL_NS1_7vsmem_tEENKUlT_SJ_SK_SL_E_clIPdSE_SF_SF_EESI_SY_SJ_SK_SL_EUlSY_E_NS1_11comp_targetILNS1_3genE9ELNS1_11target_archE1100ELNS1_3gpuE3ELNS1_3repE0EEENS1_48merge_mergepath_partition_config_static_selectorELNS0_4arch9wavefront6targetE1EEEvSK_
	.globl	_ZN7rocprim17ROCPRIM_400000_NS6detail17trampoline_kernelINS0_14default_configENS1_38merge_sort_block_merge_config_selectorIdNS0_10empty_typeEEEZZNS1_27merge_sort_block_merge_implIS3_N6thrust23THRUST_200600_302600_NS6detail15normal_iteratorINS9_10device_ptrIdEEEEPS5_m14custom_greaterIdEEE10hipError_tT0_T1_T2_jT3_P12ihipStream_tbPNSt15iterator_traitsISJ_E10value_typeEPNSP_ISK_E10value_typeEPSL_NS1_7vsmem_tEENKUlT_SJ_SK_SL_E_clIPdSE_SF_SF_EESI_SY_SJ_SK_SL_EUlSY_E_NS1_11comp_targetILNS1_3genE9ELNS1_11target_archE1100ELNS1_3gpuE3ELNS1_3repE0EEENS1_48merge_mergepath_partition_config_static_selectorELNS0_4arch9wavefront6targetE1EEEvSK_
	.p2align	8
	.type	_ZN7rocprim17ROCPRIM_400000_NS6detail17trampoline_kernelINS0_14default_configENS1_38merge_sort_block_merge_config_selectorIdNS0_10empty_typeEEEZZNS1_27merge_sort_block_merge_implIS3_N6thrust23THRUST_200600_302600_NS6detail15normal_iteratorINS9_10device_ptrIdEEEEPS5_m14custom_greaterIdEEE10hipError_tT0_T1_T2_jT3_P12ihipStream_tbPNSt15iterator_traitsISJ_E10value_typeEPNSP_ISK_E10value_typeEPSL_NS1_7vsmem_tEENKUlT_SJ_SK_SL_E_clIPdSE_SF_SF_EESI_SY_SJ_SK_SL_EUlSY_E_NS1_11comp_targetILNS1_3genE9ELNS1_11target_archE1100ELNS1_3gpuE3ELNS1_3repE0EEENS1_48merge_mergepath_partition_config_static_selectorELNS0_4arch9wavefront6targetE1EEEvSK_,@function
_ZN7rocprim17ROCPRIM_400000_NS6detail17trampoline_kernelINS0_14default_configENS1_38merge_sort_block_merge_config_selectorIdNS0_10empty_typeEEEZZNS1_27merge_sort_block_merge_implIS3_N6thrust23THRUST_200600_302600_NS6detail15normal_iteratorINS9_10device_ptrIdEEEEPS5_m14custom_greaterIdEEE10hipError_tT0_T1_T2_jT3_P12ihipStream_tbPNSt15iterator_traitsISJ_E10value_typeEPNSP_ISK_E10value_typeEPSL_NS1_7vsmem_tEENKUlT_SJ_SK_SL_E_clIPdSE_SF_SF_EESI_SY_SJ_SK_SL_EUlSY_E_NS1_11comp_targetILNS1_3genE9ELNS1_11target_archE1100ELNS1_3gpuE3ELNS1_3repE0EEENS1_48merge_mergepath_partition_config_static_selectorELNS0_4arch9wavefront6targetE1EEEvSK_: ; @_ZN7rocprim17ROCPRIM_400000_NS6detail17trampoline_kernelINS0_14default_configENS1_38merge_sort_block_merge_config_selectorIdNS0_10empty_typeEEEZZNS1_27merge_sort_block_merge_implIS3_N6thrust23THRUST_200600_302600_NS6detail15normal_iteratorINS9_10device_ptrIdEEEEPS5_m14custom_greaterIdEEE10hipError_tT0_T1_T2_jT3_P12ihipStream_tbPNSt15iterator_traitsISJ_E10value_typeEPNSP_ISK_E10value_typeEPSL_NS1_7vsmem_tEENKUlT_SJ_SK_SL_E_clIPdSE_SF_SF_EESI_SY_SJ_SK_SL_EUlSY_E_NS1_11comp_targetILNS1_3genE9ELNS1_11target_archE1100ELNS1_3gpuE3ELNS1_3repE0EEENS1_48merge_mergepath_partition_config_static_selectorELNS0_4arch9wavefront6targetE1EEEvSK_
; %bb.0:
	.section	.rodata,"a",@progbits
	.p2align	6, 0x0
	.amdhsa_kernel _ZN7rocprim17ROCPRIM_400000_NS6detail17trampoline_kernelINS0_14default_configENS1_38merge_sort_block_merge_config_selectorIdNS0_10empty_typeEEEZZNS1_27merge_sort_block_merge_implIS3_N6thrust23THRUST_200600_302600_NS6detail15normal_iteratorINS9_10device_ptrIdEEEEPS5_m14custom_greaterIdEEE10hipError_tT0_T1_T2_jT3_P12ihipStream_tbPNSt15iterator_traitsISJ_E10value_typeEPNSP_ISK_E10value_typeEPSL_NS1_7vsmem_tEENKUlT_SJ_SK_SL_E_clIPdSE_SF_SF_EESI_SY_SJ_SK_SL_EUlSY_E_NS1_11comp_targetILNS1_3genE9ELNS1_11target_archE1100ELNS1_3gpuE3ELNS1_3repE0EEENS1_48merge_mergepath_partition_config_static_selectorELNS0_4arch9wavefront6targetE1EEEvSK_
		.amdhsa_group_segment_fixed_size 0
		.amdhsa_private_segment_fixed_size 0
		.amdhsa_kernarg_size 48
		.amdhsa_user_sgpr_count 6
		.amdhsa_user_sgpr_private_segment_buffer 1
		.amdhsa_user_sgpr_dispatch_ptr 0
		.amdhsa_user_sgpr_queue_ptr 0
		.amdhsa_user_sgpr_kernarg_segment_ptr 1
		.amdhsa_user_sgpr_dispatch_id 0
		.amdhsa_user_sgpr_flat_scratch_init 0
		.amdhsa_user_sgpr_kernarg_preload_length 0
		.amdhsa_user_sgpr_kernarg_preload_offset 0
		.amdhsa_user_sgpr_private_segment_size 0
		.amdhsa_uses_dynamic_stack 0
		.amdhsa_system_sgpr_private_segment_wavefront_offset 0
		.amdhsa_system_sgpr_workgroup_id_x 1
		.amdhsa_system_sgpr_workgroup_id_y 0
		.amdhsa_system_sgpr_workgroup_id_z 0
		.amdhsa_system_sgpr_workgroup_info 0
		.amdhsa_system_vgpr_workitem_id 0
		.amdhsa_next_free_vgpr 1
		.amdhsa_next_free_sgpr 0
		.amdhsa_accum_offset 4
		.amdhsa_reserve_vcc 0
		.amdhsa_reserve_flat_scratch 0
		.amdhsa_float_round_mode_32 0
		.amdhsa_float_round_mode_16_64 0
		.amdhsa_float_denorm_mode_32 3
		.amdhsa_float_denorm_mode_16_64 3
		.amdhsa_dx10_clamp 1
		.amdhsa_ieee_mode 1
		.amdhsa_fp16_overflow 0
		.amdhsa_tg_split 0
		.amdhsa_exception_fp_ieee_invalid_op 0
		.amdhsa_exception_fp_denorm_src 0
		.amdhsa_exception_fp_ieee_div_zero 0
		.amdhsa_exception_fp_ieee_overflow 0
		.amdhsa_exception_fp_ieee_underflow 0
		.amdhsa_exception_fp_ieee_inexact 0
		.amdhsa_exception_int_div_zero 0
	.end_amdhsa_kernel
	.section	.text._ZN7rocprim17ROCPRIM_400000_NS6detail17trampoline_kernelINS0_14default_configENS1_38merge_sort_block_merge_config_selectorIdNS0_10empty_typeEEEZZNS1_27merge_sort_block_merge_implIS3_N6thrust23THRUST_200600_302600_NS6detail15normal_iteratorINS9_10device_ptrIdEEEEPS5_m14custom_greaterIdEEE10hipError_tT0_T1_T2_jT3_P12ihipStream_tbPNSt15iterator_traitsISJ_E10value_typeEPNSP_ISK_E10value_typeEPSL_NS1_7vsmem_tEENKUlT_SJ_SK_SL_E_clIPdSE_SF_SF_EESI_SY_SJ_SK_SL_EUlSY_E_NS1_11comp_targetILNS1_3genE9ELNS1_11target_archE1100ELNS1_3gpuE3ELNS1_3repE0EEENS1_48merge_mergepath_partition_config_static_selectorELNS0_4arch9wavefront6targetE1EEEvSK_,"axG",@progbits,_ZN7rocprim17ROCPRIM_400000_NS6detail17trampoline_kernelINS0_14default_configENS1_38merge_sort_block_merge_config_selectorIdNS0_10empty_typeEEEZZNS1_27merge_sort_block_merge_implIS3_N6thrust23THRUST_200600_302600_NS6detail15normal_iteratorINS9_10device_ptrIdEEEEPS5_m14custom_greaterIdEEE10hipError_tT0_T1_T2_jT3_P12ihipStream_tbPNSt15iterator_traitsISJ_E10value_typeEPNSP_ISK_E10value_typeEPSL_NS1_7vsmem_tEENKUlT_SJ_SK_SL_E_clIPdSE_SF_SF_EESI_SY_SJ_SK_SL_EUlSY_E_NS1_11comp_targetILNS1_3genE9ELNS1_11target_archE1100ELNS1_3gpuE3ELNS1_3repE0EEENS1_48merge_mergepath_partition_config_static_selectorELNS0_4arch9wavefront6targetE1EEEvSK_,comdat
.Lfunc_end3619:
	.size	_ZN7rocprim17ROCPRIM_400000_NS6detail17trampoline_kernelINS0_14default_configENS1_38merge_sort_block_merge_config_selectorIdNS0_10empty_typeEEEZZNS1_27merge_sort_block_merge_implIS3_N6thrust23THRUST_200600_302600_NS6detail15normal_iteratorINS9_10device_ptrIdEEEEPS5_m14custom_greaterIdEEE10hipError_tT0_T1_T2_jT3_P12ihipStream_tbPNSt15iterator_traitsISJ_E10value_typeEPNSP_ISK_E10value_typeEPSL_NS1_7vsmem_tEENKUlT_SJ_SK_SL_E_clIPdSE_SF_SF_EESI_SY_SJ_SK_SL_EUlSY_E_NS1_11comp_targetILNS1_3genE9ELNS1_11target_archE1100ELNS1_3gpuE3ELNS1_3repE0EEENS1_48merge_mergepath_partition_config_static_selectorELNS0_4arch9wavefront6targetE1EEEvSK_, .Lfunc_end3619-_ZN7rocprim17ROCPRIM_400000_NS6detail17trampoline_kernelINS0_14default_configENS1_38merge_sort_block_merge_config_selectorIdNS0_10empty_typeEEEZZNS1_27merge_sort_block_merge_implIS3_N6thrust23THRUST_200600_302600_NS6detail15normal_iteratorINS9_10device_ptrIdEEEEPS5_m14custom_greaterIdEEE10hipError_tT0_T1_T2_jT3_P12ihipStream_tbPNSt15iterator_traitsISJ_E10value_typeEPNSP_ISK_E10value_typeEPSL_NS1_7vsmem_tEENKUlT_SJ_SK_SL_E_clIPdSE_SF_SF_EESI_SY_SJ_SK_SL_EUlSY_E_NS1_11comp_targetILNS1_3genE9ELNS1_11target_archE1100ELNS1_3gpuE3ELNS1_3repE0EEENS1_48merge_mergepath_partition_config_static_selectorELNS0_4arch9wavefront6targetE1EEEvSK_
                                        ; -- End function
	.section	.AMDGPU.csdata,"",@progbits
; Kernel info:
; codeLenInByte = 0
; NumSgprs: 4
; NumVgprs: 0
; NumAgprs: 0
; TotalNumVgprs: 0
; ScratchSize: 0
; MemoryBound: 0
; FloatMode: 240
; IeeeMode: 1
; LDSByteSize: 0 bytes/workgroup (compile time only)
; SGPRBlocks: 0
; VGPRBlocks: 0
; NumSGPRsForWavesPerEU: 4
; NumVGPRsForWavesPerEU: 1
; AccumOffset: 4
; Occupancy: 8
; WaveLimiterHint : 0
; COMPUTE_PGM_RSRC2:SCRATCH_EN: 0
; COMPUTE_PGM_RSRC2:USER_SGPR: 6
; COMPUTE_PGM_RSRC2:TRAP_HANDLER: 0
; COMPUTE_PGM_RSRC2:TGID_X_EN: 1
; COMPUTE_PGM_RSRC2:TGID_Y_EN: 0
; COMPUTE_PGM_RSRC2:TGID_Z_EN: 0
; COMPUTE_PGM_RSRC2:TIDIG_COMP_CNT: 0
; COMPUTE_PGM_RSRC3_GFX90A:ACCUM_OFFSET: 0
; COMPUTE_PGM_RSRC3_GFX90A:TG_SPLIT: 0
	.section	.text._ZN7rocprim17ROCPRIM_400000_NS6detail17trampoline_kernelINS0_14default_configENS1_38merge_sort_block_merge_config_selectorIdNS0_10empty_typeEEEZZNS1_27merge_sort_block_merge_implIS3_N6thrust23THRUST_200600_302600_NS6detail15normal_iteratorINS9_10device_ptrIdEEEEPS5_m14custom_greaterIdEEE10hipError_tT0_T1_T2_jT3_P12ihipStream_tbPNSt15iterator_traitsISJ_E10value_typeEPNSP_ISK_E10value_typeEPSL_NS1_7vsmem_tEENKUlT_SJ_SK_SL_E_clIPdSE_SF_SF_EESI_SY_SJ_SK_SL_EUlSY_E_NS1_11comp_targetILNS1_3genE8ELNS1_11target_archE1030ELNS1_3gpuE2ELNS1_3repE0EEENS1_48merge_mergepath_partition_config_static_selectorELNS0_4arch9wavefront6targetE1EEEvSK_,"axG",@progbits,_ZN7rocprim17ROCPRIM_400000_NS6detail17trampoline_kernelINS0_14default_configENS1_38merge_sort_block_merge_config_selectorIdNS0_10empty_typeEEEZZNS1_27merge_sort_block_merge_implIS3_N6thrust23THRUST_200600_302600_NS6detail15normal_iteratorINS9_10device_ptrIdEEEEPS5_m14custom_greaterIdEEE10hipError_tT0_T1_T2_jT3_P12ihipStream_tbPNSt15iterator_traitsISJ_E10value_typeEPNSP_ISK_E10value_typeEPSL_NS1_7vsmem_tEENKUlT_SJ_SK_SL_E_clIPdSE_SF_SF_EESI_SY_SJ_SK_SL_EUlSY_E_NS1_11comp_targetILNS1_3genE8ELNS1_11target_archE1030ELNS1_3gpuE2ELNS1_3repE0EEENS1_48merge_mergepath_partition_config_static_selectorELNS0_4arch9wavefront6targetE1EEEvSK_,comdat
	.protected	_ZN7rocprim17ROCPRIM_400000_NS6detail17trampoline_kernelINS0_14default_configENS1_38merge_sort_block_merge_config_selectorIdNS0_10empty_typeEEEZZNS1_27merge_sort_block_merge_implIS3_N6thrust23THRUST_200600_302600_NS6detail15normal_iteratorINS9_10device_ptrIdEEEEPS5_m14custom_greaterIdEEE10hipError_tT0_T1_T2_jT3_P12ihipStream_tbPNSt15iterator_traitsISJ_E10value_typeEPNSP_ISK_E10value_typeEPSL_NS1_7vsmem_tEENKUlT_SJ_SK_SL_E_clIPdSE_SF_SF_EESI_SY_SJ_SK_SL_EUlSY_E_NS1_11comp_targetILNS1_3genE8ELNS1_11target_archE1030ELNS1_3gpuE2ELNS1_3repE0EEENS1_48merge_mergepath_partition_config_static_selectorELNS0_4arch9wavefront6targetE1EEEvSK_ ; -- Begin function _ZN7rocprim17ROCPRIM_400000_NS6detail17trampoline_kernelINS0_14default_configENS1_38merge_sort_block_merge_config_selectorIdNS0_10empty_typeEEEZZNS1_27merge_sort_block_merge_implIS3_N6thrust23THRUST_200600_302600_NS6detail15normal_iteratorINS9_10device_ptrIdEEEEPS5_m14custom_greaterIdEEE10hipError_tT0_T1_T2_jT3_P12ihipStream_tbPNSt15iterator_traitsISJ_E10value_typeEPNSP_ISK_E10value_typeEPSL_NS1_7vsmem_tEENKUlT_SJ_SK_SL_E_clIPdSE_SF_SF_EESI_SY_SJ_SK_SL_EUlSY_E_NS1_11comp_targetILNS1_3genE8ELNS1_11target_archE1030ELNS1_3gpuE2ELNS1_3repE0EEENS1_48merge_mergepath_partition_config_static_selectorELNS0_4arch9wavefront6targetE1EEEvSK_
	.globl	_ZN7rocprim17ROCPRIM_400000_NS6detail17trampoline_kernelINS0_14default_configENS1_38merge_sort_block_merge_config_selectorIdNS0_10empty_typeEEEZZNS1_27merge_sort_block_merge_implIS3_N6thrust23THRUST_200600_302600_NS6detail15normal_iteratorINS9_10device_ptrIdEEEEPS5_m14custom_greaterIdEEE10hipError_tT0_T1_T2_jT3_P12ihipStream_tbPNSt15iterator_traitsISJ_E10value_typeEPNSP_ISK_E10value_typeEPSL_NS1_7vsmem_tEENKUlT_SJ_SK_SL_E_clIPdSE_SF_SF_EESI_SY_SJ_SK_SL_EUlSY_E_NS1_11comp_targetILNS1_3genE8ELNS1_11target_archE1030ELNS1_3gpuE2ELNS1_3repE0EEENS1_48merge_mergepath_partition_config_static_selectorELNS0_4arch9wavefront6targetE1EEEvSK_
	.p2align	8
	.type	_ZN7rocprim17ROCPRIM_400000_NS6detail17trampoline_kernelINS0_14default_configENS1_38merge_sort_block_merge_config_selectorIdNS0_10empty_typeEEEZZNS1_27merge_sort_block_merge_implIS3_N6thrust23THRUST_200600_302600_NS6detail15normal_iteratorINS9_10device_ptrIdEEEEPS5_m14custom_greaterIdEEE10hipError_tT0_T1_T2_jT3_P12ihipStream_tbPNSt15iterator_traitsISJ_E10value_typeEPNSP_ISK_E10value_typeEPSL_NS1_7vsmem_tEENKUlT_SJ_SK_SL_E_clIPdSE_SF_SF_EESI_SY_SJ_SK_SL_EUlSY_E_NS1_11comp_targetILNS1_3genE8ELNS1_11target_archE1030ELNS1_3gpuE2ELNS1_3repE0EEENS1_48merge_mergepath_partition_config_static_selectorELNS0_4arch9wavefront6targetE1EEEvSK_,@function
_ZN7rocprim17ROCPRIM_400000_NS6detail17trampoline_kernelINS0_14default_configENS1_38merge_sort_block_merge_config_selectorIdNS0_10empty_typeEEEZZNS1_27merge_sort_block_merge_implIS3_N6thrust23THRUST_200600_302600_NS6detail15normal_iteratorINS9_10device_ptrIdEEEEPS5_m14custom_greaterIdEEE10hipError_tT0_T1_T2_jT3_P12ihipStream_tbPNSt15iterator_traitsISJ_E10value_typeEPNSP_ISK_E10value_typeEPSL_NS1_7vsmem_tEENKUlT_SJ_SK_SL_E_clIPdSE_SF_SF_EESI_SY_SJ_SK_SL_EUlSY_E_NS1_11comp_targetILNS1_3genE8ELNS1_11target_archE1030ELNS1_3gpuE2ELNS1_3repE0EEENS1_48merge_mergepath_partition_config_static_selectorELNS0_4arch9wavefront6targetE1EEEvSK_: ; @_ZN7rocprim17ROCPRIM_400000_NS6detail17trampoline_kernelINS0_14default_configENS1_38merge_sort_block_merge_config_selectorIdNS0_10empty_typeEEEZZNS1_27merge_sort_block_merge_implIS3_N6thrust23THRUST_200600_302600_NS6detail15normal_iteratorINS9_10device_ptrIdEEEEPS5_m14custom_greaterIdEEE10hipError_tT0_T1_T2_jT3_P12ihipStream_tbPNSt15iterator_traitsISJ_E10value_typeEPNSP_ISK_E10value_typeEPSL_NS1_7vsmem_tEENKUlT_SJ_SK_SL_E_clIPdSE_SF_SF_EESI_SY_SJ_SK_SL_EUlSY_E_NS1_11comp_targetILNS1_3genE8ELNS1_11target_archE1030ELNS1_3gpuE2ELNS1_3repE0EEENS1_48merge_mergepath_partition_config_static_selectorELNS0_4arch9wavefront6targetE1EEEvSK_
; %bb.0:
	.section	.rodata,"a",@progbits
	.p2align	6, 0x0
	.amdhsa_kernel _ZN7rocprim17ROCPRIM_400000_NS6detail17trampoline_kernelINS0_14default_configENS1_38merge_sort_block_merge_config_selectorIdNS0_10empty_typeEEEZZNS1_27merge_sort_block_merge_implIS3_N6thrust23THRUST_200600_302600_NS6detail15normal_iteratorINS9_10device_ptrIdEEEEPS5_m14custom_greaterIdEEE10hipError_tT0_T1_T2_jT3_P12ihipStream_tbPNSt15iterator_traitsISJ_E10value_typeEPNSP_ISK_E10value_typeEPSL_NS1_7vsmem_tEENKUlT_SJ_SK_SL_E_clIPdSE_SF_SF_EESI_SY_SJ_SK_SL_EUlSY_E_NS1_11comp_targetILNS1_3genE8ELNS1_11target_archE1030ELNS1_3gpuE2ELNS1_3repE0EEENS1_48merge_mergepath_partition_config_static_selectorELNS0_4arch9wavefront6targetE1EEEvSK_
		.amdhsa_group_segment_fixed_size 0
		.amdhsa_private_segment_fixed_size 0
		.amdhsa_kernarg_size 48
		.amdhsa_user_sgpr_count 6
		.amdhsa_user_sgpr_private_segment_buffer 1
		.amdhsa_user_sgpr_dispatch_ptr 0
		.amdhsa_user_sgpr_queue_ptr 0
		.amdhsa_user_sgpr_kernarg_segment_ptr 1
		.amdhsa_user_sgpr_dispatch_id 0
		.amdhsa_user_sgpr_flat_scratch_init 0
		.amdhsa_user_sgpr_kernarg_preload_length 0
		.amdhsa_user_sgpr_kernarg_preload_offset 0
		.amdhsa_user_sgpr_private_segment_size 0
		.amdhsa_uses_dynamic_stack 0
		.amdhsa_system_sgpr_private_segment_wavefront_offset 0
		.amdhsa_system_sgpr_workgroup_id_x 1
		.amdhsa_system_sgpr_workgroup_id_y 0
		.amdhsa_system_sgpr_workgroup_id_z 0
		.amdhsa_system_sgpr_workgroup_info 0
		.amdhsa_system_vgpr_workitem_id 0
		.amdhsa_next_free_vgpr 1
		.amdhsa_next_free_sgpr 0
		.amdhsa_accum_offset 4
		.amdhsa_reserve_vcc 0
		.amdhsa_reserve_flat_scratch 0
		.amdhsa_float_round_mode_32 0
		.amdhsa_float_round_mode_16_64 0
		.amdhsa_float_denorm_mode_32 3
		.amdhsa_float_denorm_mode_16_64 3
		.amdhsa_dx10_clamp 1
		.amdhsa_ieee_mode 1
		.amdhsa_fp16_overflow 0
		.amdhsa_tg_split 0
		.amdhsa_exception_fp_ieee_invalid_op 0
		.amdhsa_exception_fp_denorm_src 0
		.amdhsa_exception_fp_ieee_div_zero 0
		.amdhsa_exception_fp_ieee_overflow 0
		.amdhsa_exception_fp_ieee_underflow 0
		.amdhsa_exception_fp_ieee_inexact 0
		.amdhsa_exception_int_div_zero 0
	.end_amdhsa_kernel
	.section	.text._ZN7rocprim17ROCPRIM_400000_NS6detail17trampoline_kernelINS0_14default_configENS1_38merge_sort_block_merge_config_selectorIdNS0_10empty_typeEEEZZNS1_27merge_sort_block_merge_implIS3_N6thrust23THRUST_200600_302600_NS6detail15normal_iteratorINS9_10device_ptrIdEEEEPS5_m14custom_greaterIdEEE10hipError_tT0_T1_T2_jT3_P12ihipStream_tbPNSt15iterator_traitsISJ_E10value_typeEPNSP_ISK_E10value_typeEPSL_NS1_7vsmem_tEENKUlT_SJ_SK_SL_E_clIPdSE_SF_SF_EESI_SY_SJ_SK_SL_EUlSY_E_NS1_11comp_targetILNS1_3genE8ELNS1_11target_archE1030ELNS1_3gpuE2ELNS1_3repE0EEENS1_48merge_mergepath_partition_config_static_selectorELNS0_4arch9wavefront6targetE1EEEvSK_,"axG",@progbits,_ZN7rocprim17ROCPRIM_400000_NS6detail17trampoline_kernelINS0_14default_configENS1_38merge_sort_block_merge_config_selectorIdNS0_10empty_typeEEEZZNS1_27merge_sort_block_merge_implIS3_N6thrust23THRUST_200600_302600_NS6detail15normal_iteratorINS9_10device_ptrIdEEEEPS5_m14custom_greaterIdEEE10hipError_tT0_T1_T2_jT3_P12ihipStream_tbPNSt15iterator_traitsISJ_E10value_typeEPNSP_ISK_E10value_typeEPSL_NS1_7vsmem_tEENKUlT_SJ_SK_SL_E_clIPdSE_SF_SF_EESI_SY_SJ_SK_SL_EUlSY_E_NS1_11comp_targetILNS1_3genE8ELNS1_11target_archE1030ELNS1_3gpuE2ELNS1_3repE0EEENS1_48merge_mergepath_partition_config_static_selectorELNS0_4arch9wavefront6targetE1EEEvSK_,comdat
.Lfunc_end3620:
	.size	_ZN7rocprim17ROCPRIM_400000_NS6detail17trampoline_kernelINS0_14default_configENS1_38merge_sort_block_merge_config_selectorIdNS0_10empty_typeEEEZZNS1_27merge_sort_block_merge_implIS3_N6thrust23THRUST_200600_302600_NS6detail15normal_iteratorINS9_10device_ptrIdEEEEPS5_m14custom_greaterIdEEE10hipError_tT0_T1_T2_jT3_P12ihipStream_tbPNSt15iterator_traitsISJ_E10value_typeEPNSP_ISK_E10value_typeEPSL_NS1_7vsmem_tEENKUlT_SJ_SK_SL_E_clIPdSE_SF_SF_EESI_SY_SJ_SK_SL_EUlSY_E_NS1_11comp_targetILNS1_3genE8ELNS1_11target_archE1030ELNS1_3gpuE2ELNS1_3repE0EEENS1_48merge_mergepath_partition_config_static_selectorELNS0_4arch9wavefront6targetE1EEEvSK_, .Lfunc_end3620-_ZN7rocprim17ROCPRIM_400000_NS6detail17trampoline_kernelINS0_14default_configENS1_38merge_sort_block_merge_config_selectorIdNS0_10empty_typeEEEZZNS1_27merge_sort_block_merge_implIS3_N6thrust23THRUST_200600_302600_NS6detail15normal_iteratorINS9_10device_ptrIdEEEEPS5_m14custom_greaterIdEEE10hipError_tT0_T1_T2_jT3_P12ihipStream_tbPNSt15iterator_traitsISJ_E10value_typeEPNSP_ISK_E10value_typeEPSL_NS1_7vsmem_tEENKUlT_SJ_SK_SL_E_clIPdSE_SF_SF_EESI_SY_SJ_SK_SL_EUlSY_E_NS1_11comp_targetILNS1_3genE8ELNS1_11target_archE1030ELNS1_3gpuE2ELNS1_3repE0EEENS1_48merge_mergepath_partition_config_static_selectorELNS0_4arch9wavefront6targetE1EEEvSK_
                                        ; -- End function
	.section	.AMDGPU.csdata,"",@progbits
; Kernel info:
; codeLenInByte = 0
; NumSgprs: 4
; NumVgprs: 0
; NumAgprs: 0
; TotalNumVgprs: 0
; ScratchSize: 0
; MemoryBound: 0
; FloatMode: 240
; IeeeMode: 1
; LDSByteSize: 0 bytes/workgroup (compile time only)
; SGPRBlocks: 0
; VGPRBlocks: 0
; NumSGPRsForWavesPerEU: 4
; NumVGPRsForWavesPerEU: 1
; AccumOffset: 4
; Occupancy: 8
; WaveLimiterHint : 0
; COMPUTE_PGM_RSRC2:SCRATCH_EN: 0
; COMPUTE_PGM_RSRC2:USER_SGPR: 6
; COMPUTE_PGM_RSRC2:TRAP_HANDLER: 0
; COMPUTE_PGM_RSRC2:TGID_X_EN: 1
; COMPUTE_PGM_RSRC2:TGID_Y_EN: 0
; COMPUTE_PGM_RSRC2:TGID_Z_EN: 0
; COMPUTE_PGM_RSRC2:TIDIG_COMP_CNT: 0
; COMPUTE_PGM_RSRC3_GFX90A:ACCUM_OFFSET: 0
; COMPUTE_PGM_RSRC3_GFX90A:TG_SPLIT: 0
	.section	.text._ZN7rocprim17ROCPRIM_400000_NS6detail17trampoline_kernelINS0_14default_configENS1_38merge_sort_block_merge_config_selectorIdNS0_10empty_typeEEEZZNS1_27merge_sort_block_merge_implIS3_N6thrust23THRUST_200600_302600_NS6detail15normal_iteratorINS9_10device_ptrIdEEEEPS5_m14custom_greaterIdEEE10hipError_tT0_T1_T2_jT3_P12ihipStream_tbPNSt15iterator_traitsISJ_E10value_typeEPNSP_ISK_E10value_typeEPSL_NS1_7vsmem_tEENKUlT_SJ_SK_SL_E_clIPdSE_SF_SF_EESI_SY_SJ_SK_SL_EUlSY_E0_NS1_11comp_targetILNS1_3genE0ELNS1_11target_archE4294967295ELNS1_3gpuE0ELNS1_3repE0EEENS1_38merge_mergepath_config_static_selectorELNS0_4arch9wavefront6targetE1EEEvSK_,"axG",@progbits,_ZN7rocprim17ROCPRIM_400000_NS6detail17trampoline_kernelINS0_14default_configENS1_38merge_sort_block_merge_config_selectorIdNS0_10empty_typeEEEZZNS1_27merge_sort_block_merge_implIS3_N6thrust23THRUST_200600_302600_NS6detail15normal_iteratorINS9_10device_ptrIdEEEEPS5_m14custom_greaterIdEEE10hipError_tT0_T1_T2_jT3_P12ihipStream_tbPNSt15iterator_traitsISJ_E10value_typeEPNSP_ISK_E10value_typeEPSL_NS1_7vsmem_tEENKUlT_SJ_SK_SL_E_clIPdSE_SF_SF_EESI_SY_SJ_SK_SL_EUlSY_E0_NS1_11comp_targetILNS1_3genE0ELNS1_11target_archE4294967295ELNS1_3gpuE0ELNS1_3repE0EEENS1_38merge_mergepath_config_static_selectorELNS0_4arch9wavefront6targetE1EEEvSK_,comdat
	.protected	_ZN7rocprim17ROCPRIM_400000_NS6detail17trampoline_kernelINS0_14default_configENS1_38merge_sort_block_merge_config_selectorIdNS0_10empty_typeEEEZZNS1_27merge_sort_block_merge_implIS3_N6thrust23THRUST_200600_302600_NS6detail15normal_iteratorINS9_10device_ptrIdEEEEPS5_m14custom_greaterIdEEE10hipError_tT0_T1_T2_jT3_P12ihipStream_tbPNSt15iterator_traitsISJ_E10value_typeEPNSP_ISK_E10value_typeEPSL_NS1_7vsmem_tEENKUlT_SJ_SK_SL_E_clIPdSE_SF_SF_EESI_SY_SJ_SK_SL_EUlSY_E0_NS1_11comp_targetILNS1_3genE0ELNS1_11target_archE4294967295ELNS1_3gpuE0ELNS1_3repE0EEENS1_38merge_mergepath_config_static_selectorELNS0_4arch9wavefront6targetE1EEEvSK_ ; -- Begin function _ZN7rocprim17ROCPRIM_400000_NS6detail17trampoline_kernelINS0_14default_configENS1_38merge_sort_block_merge_config_selectorIdNS0_10empty_typeEEEZZNS1_27merge_sort_block_merge_implIS3_N6thrust23THRUST_200600_302600_NS6detail15normal_iteratorINS9_10device_ptrIdEEEEPS5_m14custom_greaterIdEEE10hipError_tT0_T1_T2_jT3_P12ihipStream_tbPNSt15iterator_traitsISJ_E10value_typeEPNSP_ISK_E10value_typeEPSL_NS1_7vsmem_tEENKUlT_SJ_SK_SL_E_clIPdSE_SF_SF_EESI_SY_SJ_SK_SL_EUlSY_E0_NS1_11comp_targetILNS1_3genE0ELNS1_11target_archE4294967295ELNS1_3gpuE0ELNS1_3repE0EEENS1_38merge_mergepath_config_static_selectorELNS0_4arch9wavefront6targetE1EEEvSK_
	.globl	_ZN7rocprim17ROCPRIM_400000_NS6detail17trampoline_kernelINS0_14default_configENS1_38merge_sort_block_merge_config_selectorIdNS0_10empty_typeEEEZZNS1_27merge_sort_block_merge_implIS3_N6thrust23THRUST_200600_302600_NS6detail15normal_iteratorINS9_10device_ptrIdEEEEPS5_m14custom_greaterIdEEE10hipError_tT0_T1_T2_jT3_P12ihipStream_tbPNSt15iterator_traitsISJ_E10value_typeEPNSP_ISK_E10value_typeEPSL_NS1_7vsmem_tEENKUlT_SJ_SK_SL_E_clIPdSE_SF_SF_EESI_SY_SJ_SK_SL_EUlSY_E0_NS1_11comp_targetILNS1_3genE0ELNS1_11target_archE4294967295ELNS1_3gpuE0ELNS1_3repE0EEENS1_38merge_mergepath_config_static_selectorELNS0_4arch9wavefront6targetE1EEEvSK_
	.p2align	8
	.type	_ZN7rocprim17ROCPRIM_400000_NS6detail17trampoline_kernelINS0_14default_configENS1_38merge_sort_block_merge_config_selectorIdNS0_10empty_typeEEEZZNS1_27merge_sort_block_merge_implIS3_N6thrust23THRUST_200600_302600_NS6detail15normal_iteratorINS9_10device_ptrIdEEEEPS5_m14custom_greaterIdEEE10hipError_tT0_T1_T2_jT3_P12ihipStream_tbPNSt15iterator_traitsISJ_E10value_typeEPNSP_ISK_E10value_typeEPSL_NS1_7vsmem_tEENKUlT_SJ_SK_SL_E_clIPdSE_SF_SF_EESI_SY_SJ_SK_SL_EUlSY_E0_NS1_11comp_targetILNS1_3genE0ELNS1_11target_archE4294967295ELNS1_3gpuE0ELNS1_3repE0EEENS1_38merge_mergepath_config_static_selectorELNS0_4arch9wavefront6targetE1EEEvSK_,@function
_ZN7rocprim17ROCPRIM_400000_NS6detail17trampoline_kernelINS0_14default_configENS1_38merge_sort_block_merge_config_selectorIdNS0_10empty_typeEEEZZNS1_27merge_sort_block_merge_implIS3_N6thrust23THRUST_200600_302600_NS6detail15normal_iteratorINS9_10device_ptrIdEEEEPS5_m14custom_greaterIdEEE10hipError_tT0_T1_T2_jT3_P12ihipStream_tbPNSt15iterator_traitsISJ_E10value_typeEPNSP_ISK_E10value_typeEPSL_NS1_7vsmem_tEENKUlT_SJ_SK_SL_E_clIPdSE_SF_SF_EESI_SY_SJ_SK_SL_EUlSY_E0_NS1_11comp_targetILNS1_3genE0ELNS1_11target_archE4294967295ELNS1_3gpuE0ELNS1_3repE0EEENS1_38merge_mergepath_config_static_selectorELNS0_4arch9wavefront6targetE1EEEvSK_: ; @_ZN7rocprim17ROCPRIM_400000_NS6detail17trampoline_kernelINS0_14default_configENS1_38merge_sort_block_merge_config_selectorIdNS0_10empty_typeEEEZZNS1_27merge_sort_block_merge_implIS3_N6thrust23THRUST_200600_302600_NS6detail15normal_iteratorINS9_10device_ptrIdEEEEPS5_m14custom_greaterIdEEE10hipError_tT0_T1_T2_jT3_P12ihipStream_tbPNSt15iterator_traitsISJ_E10value_typeEPNSP_ISK_E10value_typeEPSL_NS1_7vsmem_tEENKUlT_SJ_SK_SL_E_clIPdSE_SF_SF_EESI_SY_SJ_SK_SL_EUlSY_E0_NS1_11comp_targetILNS1_3genE0ELNS1_11target_archE4294967295ELNS1_3gpuE0ELNS1_3repE0EEENS1_38merge_mergepath_config_static_selectorELNS0_4arch9wavefront6targetE1EEEvSK_
; %bb.0:
	.section	.rodata,"a",@progbits
	.p2align	6, 0x0
	.amdhsa_kernel _ZN7rocprim17ROCPRIM_400000_NS6detail17trampoline_kernelINS0_14default_configENS1_38merge_sort_block_merge_config_selectorIdNS0_10empty_typeEEEZZNS1_27merge_sort_block_merge_implIS3_N6thrust23THRUST_200600_302600_NS6detail15normal_iteratorINS9_10device_ptrIdEEEEPS5_m14custom_greaterIdEEE10hipError_tT0_T1_T2_jT3_P12ihipStream_tbPNSt15iterator_traitsISJ_E10value_typeEPNSP_ISK_E10value_typeEPSL_NS1_7vsmem_tEENKUlT_SJ_SK_SL_E_clIPdSE_SF_SF_EESI_SY_SJ_SK_SL_EUlSY_E0_NS1_11comp_targetILNS1_3genE0ELNS1_11target_archE4294967295ELNS1_3gpuE0ELNS1_3repE0EEENS1_38merge_mergepath_config_static_selectorELNS0_4arch9wavefront6targetE1EEEvSK_
		.amdhsa_group_segment_fixed_size 0
		.amdhsa_private_segment_fixed_size 0
		.amdhsa_kernarg_size 72
		.amdhsa_user_sgpr_count 6
		.amdhsa_user_sgpr_private_segment_buffer 1
		.amdhsa_user_sgpr_dispatch_ptr 0
		.amdhsa_user_sgpr_queue_ptr 0
		.amdhsa_user_sgpr_kernarg_segment_ptr 1
		.amdhsa_user_sgpr_dispatch_id 0
		.amdhsa_user_sgpr_flat_scratch_init 0
		.amdhsa_user_sgpr_kernarg_preload_length 0
		.amdhsa_user_sgpr_kernarg_preload_offset 0
		.amdhsa_user_sgpr_private_segment_size 0
		.amdhsa_uses_dynamic_stack 0
		.amdhsa_system_sgpr_private_segment_wavefront_offset 0
		.amdhsa_system_sgpr_workgroup_id_x 1
		.amdhsa_system_sgpr_workgroup_id_y 0
		.amdhsa_system_sgpr_workgroup_id_z 0
		.amdhsa_system_sgpr_workgroup_info 0
		.amdhsa_system_vgpr_workitem_id 0
		.amdhsa_next_free_vgpr 1
		.amdhsa_next_free_sgpr 0
		.amdhsa_accum_offset 4
		.amdhsa_reserve_vcc 0
		.amdhsa_reserve_flat_scratch 0
		.amdhsa_float_round_mode_32 0
		.amdhsa_float_round_mode_16_64 0
		.amdhsa_float_denorm_mode_32 3
		.amdhsa_float_denorm_mode_16_64 3
		.amdhsa_dx10_clamp 1
		.amdhsa_ieee_mode 1
		.amdhsa_fp16_overflow 0
		.amdhsa_tg_split 0
		.amdhsa_exception_fp_ieee_invalid_op 0
		.amdhsa_exception_fp_denorm_src 0
		.amdhsa_exception_fp_ieee_div_zero 0
		.amdhsa_exception_fp_ieee_overflow 0
		.amdhsa_exception_fp_ieee_underflow 0
		.amdhsa_exception_fp_ieee_inexact 0
		.amdhsa_exception_int_div_zero 0
	.end_amdhsa_kernel
	.section	.text._ZN7rocprim17ROCPRIM_400000_NS6detail17trampoline_kernelINS0_14default_configENS1_38merge_sort_block_merge_config_selectorIdNS0_10empty_typeEEEZZNS1_27merge_sort_block_merge_implIS3_N6thrust23THRUST_200600_302600_NS6detail15normal_iteratorINS9_10device_ptrIdEEEEPS5_m14custom_greaterIdEEE10hipError_tT0_T1_T2_jT3_P12ihipStream_tbPNSt15iterator_traitsISJ_E10value_typeEPNSP_ISK_E10value_typeEPSL_NS1_7vsmem_tEENKUlT_SJ_SK_SL_E_clIPdSE_SF_SF_EESI_SY_SJ_SK_SL_EUlSY_E0_NS1_11comp_targetILNS1_3genE0ELNS1_11target_archE4294967295ELNS1_3gpuE0ELNS1_3repE0EEENS1_38merge_mergepath_config_static_selectorELNS0_4arch9wavefront6targetE1EEEvSK_,"axG",@progbits,_ZN7rocprim17ROCPRIM_400000_NS6detail17trampoline_kernelINS0_14default_configENS1_38merge_sort_block_merge_config_selectorIdNS0_10empty_typeEEEZZNS1_27merge_sort_block_merge_implIS3_N6thrust23THRUST_200600_302600_NS6detail15normal_iteratorINS9_10device_ptrIdEEEEPS5_m14custom_greaterIdEEE10hipError_tT0_T1_T2_jT3_P12ihipStream_tbPNSt15iterator_traitsISJ_E10value_typeEPNSP_ISK_E10value_typeEPSL_NS1_7vsmem_tEENKUlT_SJ_SK_SL_E_clIPdSE_SF_SF_EESI_SY_SJ_SK_SL_EUlSY_E0_NS1_11comp_targetILNS1_3genE0ELNS1_11target_archE4294967295ELNS1_3gpuE0ELNS1_3repE0EEENS1_38merge_mergepath_config_static_selectorELNS0_4arch9wavefront6targetE1EEEvSK_,comdat
.Lfunc_end3621:
	.size	_ZN7rocprim17ROCPRIM_400000_NS6detail17trampoline_kernelINS0_14default_configENS1_38merge_sort_block_merge_config_selectorIdNS0_10empty_typeEEEZZNS1_27merge_sort_block_merge_implIS3_N6thrust23THRUST_200600_302600_NS6detail15normal_iteratorINS9_10device_ptrIdEEEEPS5_m14custom_greaterIdEEE10hipError_tT0_T1_T2_jT3_P12ihipStream_tbPNSt15iterator_traitsISJ_E10value_typeEPNSP_ISK_E10value_typeEPSL_NS1_7vsmem_tEENKUlT_SJ_SK_SL_E_clIPdSE_SF_SF_EESI_SY_SJ_SK_SL_EUlSY_E0_NS1_11comp_targetILNS1_3genE0ELNS1_11target_archE4294967295ELNS1_3gpuE0ELNS1_3repE0EEENS1_38merge_mergepath_config_static_selectorELNS0_4arch9wavefront6targetE1EEEvSK_, .Lfunc_end3621-_ZN7rocprim17ROCPRIM_400000_NS6detail17trampoline_kernelINS0_14default_configENS1_38merge_sort_block_merge_config_selectorIdNS0_10empty_typeEEEZZNS1_27merge_sort_block_merge_implIS3_N6thrust23THRUST_200600_302600_NS6detail15normal_iteratorINS9_10device_ptrIdEEEEPS5_m14custom_greaterIdEEE10hipError_tT0_T1_T2_jT3_P12ihipStream_tbPNSt15iterator_traitsISJ_E10value_typeEPNSP_ISK_E10value_typeEPSL_NS1_7vsmem_tEENKUlT_SJ_SK_SL_E_clIPdSE_SF_SF_EESI_SY_SJ_SK_SL_EUlSY_E0_NS1_11comp_targetILNS1_3genE0ELNS1_11target_archE4294967295ELNS1_3gpuE0ELNS1_3repE0EEENS1_38merge_mergepath_config_static_selectorELNS0_4arch9wavefront6targetE1EEEvSK_
                                        ; -- End function
	.section	.AMDGPU.csdata,"",@progbits
; Kernel info:
; codeLenInByte = 0
; NumSgprs: 4
; NumVgprs: 0
; NumAgprs: 0
; TotalNumVgprs: 0
; ScratchSize: 0
; MemoryBound: 0
; FloatMode: 240
; IeeeMode: 1
; LDSByteSize: 0 bytes/workgroup (compile time only)
; SGPRBlocks: 0
; VGPRBlocks: 0
; NumSGPRsForWavesPerEU: 4
; NumVGPRsForWavesPerEU: 1
; AccumOffset: 4
; Occupancy: 8
; WaveLimiterHint : 0
; COMPUTE_PGM_RSRC2:SCRATCH_EN: 0
; COMPUTE_PGM_RSRC2:USER_SGPR: 6
; COMPUTE_PGM_RSRC2:TRAP_HANDLER: 0
; COMPUTE_PGM_RSRC2:TGID_X_EN: 1
; COMPUTE_PGM_RSRC2:TGID_Y_EN: 0
; COMPUTE_PGM_RSRC2:TGID_Z_EN: 0
; COMPUTE_PGM_RSRC2:TIDIG_COMP_CNT: 0
; COMPUTE_PGM_RSRC3_GFX90A:ACCUM_OFFSET: 0
; COMPUTE_PGM_RSRC3_GFX90A:TG_SPLIT: 0
	.section	.text._ZN7rocprim17ROCPRIM_400000_NS6detail17trampoline_kernelINS0_14default_configENS1_38merge_sort_block_merge_config_selectorIdNS0_10empty_typeEEEZZNS1_27merge_sort_block_merge_implIS3_N6thrust23THRUST_200600_302600_NS6detail15normal_iteratorINS9_10device_ptrIdEEEEPS5_m14custom_greaterIdEEE10hipError_tT0_T1_T2_jT3_P12ihipStream_tbPNSt15iterator_traitsISJ_E10value_typeEPNSP_ISK_E10value_typeEPSL_NS1_7vsmem_tEENKUlT_SJ_SK_SL_E_clIPdSE_SF_SF_EESI_SY_SJ_SK_SL_EUlSY_E0_NS1_11comp_targetILNS1_3genE10ELNS1_11target_archE1201ELNS1_3gpuE5ELNS1_3repE0EEENS1_38merge_mergepath_config_static_selectorELNS0_4arch9wavefront6targetE1EEEvSK_,"axG",@progbits,_ZN7rocprim17ROCPRIM_400000_NS6detail17trampoline_kernelINS0_14default_configENS1_38merge_sort_block_merge_config_selectorIdNS0_10empty_typeEEEZZNS1_27merge_sort_block_merge_implIS3_N6thrust23THRUST_200600_302600_NS6detail15normal_iteratorINS9_10device_ptrIdEEEEPS5_m14custom_greaterIdEEE10hipError_tT0_T1_T2_jT3_P12ihipStream_tbPNSt15iterator_traitsISJ_E10value_typeEPNSP_ISK_E10value_typeEPSL_NS1_7vsmem_tEENKUlT_SJ_SK_SL_E_clIPdSE_SF_SF_EESI_SY_SJ_SK_SL_EUlSY_E0_NS1_11comp_targetILNS1_3genE10ELNS1_11target_archE1201ELNS1_3gpuE5ELNS1_3repE0EEENS1_38merge_mergepath_config_static_selectorELNS0_4arch9wavefront6targetE1EEEvSK_,comdat
	.protected	_ZN7rocprim17ROCPRIM_400000_NS6detail17trampoline_kernelINS0_14default_configENS1_38merge_sort_block_merge_config_selectorIdNS0_10empty_typeEEEZZNS1_27merge_sort_block_merge_implIS3_N6thrust23THRUST_200600_302600_NS6detail15normal_iteratorINS9_10device_ptrIdEEEEPS5_m14custom_greaterIdEEE10hipError_tT0_T1_T2_jT3_P12ihipStream_tbPNSt15iterator_traitsISJ_E10value_typeEPNSP_ISK_E10value_typeEPSL_NS1_7vsmem_tEENKUlT_SJ_SK_SL_E_clIPdSE_SF_SF_EESI_SY_SJ_SK_SL_EUlSY_E0_NS1_11comp_targetILNS1_3genE10ELNS1_11target_archE1201ELNS1_3gpuE5ELNS1_3repE0EEENS1_38merge_mergepath_config_static_selectorELNS0_4arch9wavefront6targetE1EEEvSK_ ; -- Begin function _ZN7rocprim17ROCPRIM_400000_NS6detail17trampoline_kernelINS0_14default_configENS1_38merge_sort_block_merge_config_selectorIdNS0_10empty_typeEEEZZNS1_27merge_sort_block_merge_implIS3_N6thrust23THRUST_200600_302600_NS6detail15normal_iteratorINS9_10device_ptrIdEEEEPS5_m14custom_greaterIdEEE10hipError_tT0_T1_T2_jT3_P12ihipStream_tbPNSt15iterator_traitsISJ_E10value_typeEPNSP_ISK_E10value_typeEPSL_NS1_7vsmem_tEENKUlT_SJ_SK_SL_E_clIPdSE_SF_SF_EESI_SY_SJ_SK_SL_EUlSY_E0_NS1_11comp_targetILNS1_3genE10ELNS1_11target_archE1201ELNS1_3gpuE5ELNS1_3repE0EEENS1_38merge_mergepath_config_static_selectorELNS0_4arch9wavefront6targetE1EEEvSK_
	.globl	_ZN7rocprim17ROCPRIM_400000_NS6detail17trampoline_kernelINS0_14default_configENS1_38merge_sort_block_merge_config_selectorIdNS0_10empty_typeEEEZZNS1_27merge_sort_block_merge_implIS3_N6thrust23THRUST_200600_302600_NS6detail15normal_iteratorINS9_10device_ptrIdEEEEPS5_m14custom_greaterIdEEE10hipError_tT0_T1_T2_jT3_P12ihipStream_tbPNSt15iterator_traitsISJ_E10value_typeEPNSP_ISK_E10value_typeEPSL_NS1_7vsmem_tEENKUlT_SJ_SK_SL_E_clIPdSE_SF_SF_EESI_SY_SJ_SK_SL_EUlSY_E0_NS1_11comp_targetILNS1_3genE10ELNS1_11target_archE1201ELNS1_3gpuE5ELNS1_3repE0EEENS1_38merge_mergepath_config_static_selectorELNS0_4arch9wavefront6targetE1EEEvSK_
	.p2align	8
	.type	_ZN7rocprim17ROCPRIM_400000_NS6detail17trampoline_kernelINS0_14default_configENS1_38merge_sort_block_merge_config_selectorIdNS0_10empty_typeEEEZZNS1_27merge_sort_block_merge_implIS3_N6thrust23THRUST_200600_302600_NS6detail15normal_iteratorINS9_10device_ptrIdEEEEPS5_m14custom_greaterIdEEE10hipError_tT0_T1_T2_jT3_P12ihipStream_tbPNSt15iterator_traitsISJ_E10value_typeEPNSP_ISK_E10value_typeEPSL_NS1_7vsmem_tEENKUlT_SJ_SK_SL_E_clIPdSE_SF_SF_EESI_SY_SJ_SK_SL_EUlSY_E0_NS1_11comp_targetILNS1_3genE10ELNS1_11target_archE1201ELNS1_3gpuE5ELNS1_3repE0EEENS1_38merge_mergepath_config_static_selectorELNS0_4arch9wavefront6targetE1EEEvSK_,@function
_ZN7rocprim17ROCPRIM_400000_NS6detail17trampoline_kernelINS0_14default_configENS1_38merge_sort_block_merge_config_selectorIdNS0_10empty_typeEEEZZNS1_27merge_sort_block_merge_implIS3_N6thrust23THRUST_200600_302600_NS6detail15normal_iteratorINS9_10device_ptrIdEEEEPS5_m14custom_greaterIdEEE10hipError_tT0_T1_T2_jT3_P12ihipStream_tbPNSt15iterator_traitsISJ_E10value_typeEPNSP_ISK_E10value_typeEPSL_NS1_7vsmem_tEENKUlT_SJ_SK_SL_E_clIPdSE_SF_SF_EESI_SY_SJ_SK_SL_EUlSY_E0_NS1_11comp_targetILNS1_3genE10ELNS1_11target_archE1201ELNS1_3gpuE5ELNS1_3repE0EEENS1_38merge_mergepath_config_static_selectorELNS0_4arch9wavefront6targetE1EEEvSK_: ; @_ZN7rocprim17ROCPRIM_400000_NS6detail17trampoline_kernelINS0_14default_configENS1_38merge_sort_block_merge_config_selectorIdNS0_10empty_typeEEEZZNS1_27merge_sort_block_merge_implIS3_N6thrust23THRUST_200600_302600_NS6detail15normal_iteratorINS9_10device_ptrIdEEEEPS5_m14custom_greaterIdEEE10hipError_tT0_T1_T2_jT3_P12ihipStream_tbPNSt15iterator_traitsISJ_E10value_typeEPNSP_ISK_E10value_typeEPSL_NS1_7vsmem_tEENKUlT_SJ_SK_SL_E_clIPdSE_SF_SF_EESI_SY_SJ_SK_SL_EUlSY_E0_NS1_11comp_targetILNS1_3genE10ELNS1_11target_archE1201ELNS1_3gpuE5ELNS1_3repE0EEENS1_38merge_mergepath_config_static_selectorELNS0_4arch9wavefront6targetE1EEEvSK_
; %bb.0:
	.section	.rodata,"a",@progbits
	.p2align	6, 0x0
	.amdhsa_kernel _ZN7rocprim17ROCPRIM_400000_NS6detail17trampoline_kernelINS0_14default_configENS1_38merge_sort_block_merge_config_selectorIdNS0_10empty_typeEEEZZNS1_27merge_sort_block_merge_implIS3_N6thrust23THRUST_200600_302600_NS6detail15normal_iteratorINS9_10device_ptrIdEEEEPS5_m14custom_greaterIdEEE10hipError_tT0_T1_T2_jT3_P12ihipStream_tbPNSt15iterator_traitsISJ_E10value_typeEPNSP_ISK_E10value_typeEPSL_NS1_7vsmem_tEENKUlT_SJ_SK_SL_E_clIPdSE_SF_SF_EESI_SY_SJ_SK_SL_EUlSY_E0_NS1_11comp_targetILNS1_3genE10ELNS1_11target_archE1201ELNS1_3gpuE5ELNS1_3repE0EEENS1_38merge_mergepath_config_static_selectorELNS0_4arch9wavefront6targetE1EEEvSK_
		.amdhsa_group_segment_fixed_size 0
		.amdhsa_private_segment_fixed_size 0
		.amdhsa_kernarg_size 72
		.amdhsa_user_sgpr_count 6
		.amdhsa_user_sgpr_private_segment_buffer 1
		.amdhsa_user_sgpr_dispatch_ptr 0
		.amdhsa_user_sgpr_queue_ptr 0
		.amdhsa_user_sgpr_kernarg_segment_ptr 1
		.amdhsa_user_sgpr_dispatch_id 0
		.amdhsa_user_sgpr_flat_scratch_init 0
		.amdhsa_user_sgpr_kernarg_preload_length 0
		.amdhsa_user_sgpr_kernarg_preload_offset 0
		.amdhsa_user_sgpr_private_segment_size 0
		.amdhsa_uses_dynamic_stack 0
		.amdhsa_system_sgpr_private_segment_wavefront_offset 0
		.amdhsa_system_sgpr_workgroup_id_x 1
		.amdhsa_system_sgpr_workgroup_id_y 0
		.amdhsa_system_sgpr_workgroup_id_z 0
		.amdhsa_system_sgpr_workgroup_info 0
		.amdhsa_system_vgpr_workitem_id 0
		.amdhsa_next_free_vgpr 1
		.amdhsa_next_free_sgpr 0
		.amdhsa_accum_offset 4
		.amdhsa_reserve_vcc 0
		.amdhsa_reserve_flat_scratch 0
		.amdhsa_float_round_mode_32 0
		.amdhsa_float_round_mode_16_64 0
		.amdhsa_float_denorm_mode_32 3
		.amdhsa_float_denorm_mode_16_64 3
		.amdhsa_dx10_clamp 1
		.amdhsa_ieee_mode 1
		.amdhsa_fp16_overflow 0
		.amdhsa_tg_split 0
		.amdhsa_exception_fp_ieee_invalid_op 0
		.amdhsa_exception_fp_denorm_src 0
		.amdhsa_exception_fp_ieee_div_zero 0
		.amdhsa_exception_fp_ieee_overflow 0
		.amdhsa_exception_fp_ieee_underflow 0
		.amdhsa_exception_fp_ieee_inexact 0
		.amdhsa_exception_int_div_zero 0
	.end_amdhsa_kernel
	.section	.text._ZN7rocprim17ROCPRIM_400000_NS6detail17trampoline_kernelINS0_14default_configENS1_38merge_sort_block_merge_config_selectorIdNS0_10empty_typeEEEZZNS1_27merge_sort_block_merge_implIS3_N6thrust23THRUST_200600_302600_NS6detail15normal_iteratorINS9_10device_ptrIdEEEEPS5_m14custom_greaterIdEEE10hipError_tT0_T1_T2_jT3_P12ihipStream_tbPNSt15iterator_traitsISJ_E10value_typeEPNSP_ISK_E10value_typeEPSL_NS1_7vsmem_tEENKUlT_SJ_SK_SL_E_clIPdSE_SF_SF_EESI_SY_SJ_SK_SL_EUlSY_E0_NS1_11comp_targetILNS1_3genE10ELNS1_11target_archE1201ELNS1_3gpuE5ELNS1_3repE0EEENS1_38merge_mergepath_config_static_selectorELNS0_4arch9wavefront6targetE1EEEvSK_,"axG",@progbits,_ZN7rocprim17ROCPRIM_400000_NS6detail17trampoline_kernelINS0_14default_configENS1_38merge_sort_block_merge_config_selectorIdNS0_10empty_typeEEEZZNS1_27merge_sort_block_merge_implIS3_N6thrust23THRUST_200600_302600_NS6detail15normal_iteratorINS9_10device_ptrIdEEEEPS5_m14custom_greaterIdEEE10hipError_tT0_T1_T2_jT3_P12ihipStream_tbPNSt15iterator_traitsISJ_E10value_typeEPNSP_ISK_E10value_typeEPSL_NS1_7vsmem_tEENKUlT_SJ_SK_SL_E_clIPdSE_SF_SF_EESI_SY_SJ_SK_SL_EUlSY_E0_NS1_11comp_targetILNS1_3genE10ELNS1_11target_archE1201ELNS1_3gpuE5ELNS1_3repE0EEENS1_38merge_mergepath_config_static_selectorELNS0_4arch9wavefront6targetE1EEEvSK_,comdat
.Lfunc_end3622:
	.size	_ZN7rocprim17ROCPRIM_400000_NS6detail17trampoline_kernelINS0_14default_configENS1_38merge_sort_block_merge_config_selectorIdNS0_10empty_typeEEEZZNS1_27merge_sort_block_merge_implIS3_N6thrust23THRUST_200600_302600_NS6detail15normal_iteratorINS9_10device_ptrIdEEEEPS5_m14custom_greaterIdEEE10hipError_tT0_T1_T2_jT3_P12ihipStream_tbPNSt15iterator_traitsISJ_E10value_typeEPNSP_ISK_E10value_typeEPSL_NS1_7vsmem_tEENKUlT_SJ_SK_SL_E_clIPdSE_SF_SF_EESI_SY_SJ_SK_SL_EUlSY_E0_NS1_11comp_targetILNS1_3genE10ELNS1_11target_archE1201ELNS1_3gpuE5ELNS1_3repE0EEENS1_38merge_mergepath_config_static_selectorELNS0_4arch9wavefront6targetE1EEEvSK_, .Lfunc_end3622-_ZN7rocprim17ROCPRIM_400000_NS6detail17trampoline_kernelINS0_14default_configENS1_38merge_sort_block_merge_config_selectorIdNS0_10empty_typeEEEZZNS1_27merge_sort_block_merge_implIS3_N6thrust23THRUST_200600_302600_NS6detail15normal_iteratorINS9_10device_ptrIdEEEEPS5_m14custom_greaterIdEEE10hipError_tT0_T1_T2_jT3_P12ihipStream_tbPNSt15iterator_traitsISJ_E10value_typeEPNSP_ISK_E10value_typeEPSL_NS1_7vsmem_tEENKUlT_SJ_SK_SL_E_clIPdSE_SF_SF_EESI_SY_SJ_SK_SL_EUlSY_E0_NS1_11comp_targetILNS1_3genE10ELNS1_11target_archE1201ELNS1_3gpuE5ELNS1_3repE0EEENS1_38merge_mergepath_config_static_selectorELNS0_4arch9wavefront6targetE1EEEvSK_
                                        ; -- End function
	.section	.AMDGPU.csdata,"",@progbits
; Kernel info:
; codeLenInByte = 0
; NumSgprs: 4
; NumVgprs: 0
; NumAgprs: 0
; TotalNumVgprs: 0
; ScratchSize: 0
; MemoryBound: 0
; FloatMode: 240
; IeeeMode: 1
; LDSByteSize: 0 bytes/workgroup (compile time only)
; SGPRBlocks: 0
; VGPRBlocks: 0
; NumSGPRsForWavesPerEU: 4
; NumVGPRsForWavesPerEU: 1
; AccumOffset: 4
; Occupancy: 8
; WaveLimiterHint : 0
; COMPUTE_PGM_RSRC2:SCRATCH_EN: 0
; COMPUTE_PGM_RSRC2:USER_SGPR: 6
; COMPUTE_PGM_RSRC2:TRAP_HANDLER: 0
; COMPUTE_PGM_RSRC2:TGID_X_EN: 1
; COMPUTE_PGM_RSRC2:TGID_Y_EN: 0
; COMPUTE_PGM_RSRC2:TGID_Z_EN: 0
; COMPUTE_PGM_RSRC2:TIDIG_COMP_CNT: 0
; COMPUTE_PGM_RSRC3_GFX90A:ACCUM_OFFSET: 0
; COMPUTE_PGM_RSRC3_GFX90A:TG_SPLIT: 0
	.section	.text._ZN7rocprim17ROCPRIM_400000_NS6detail17trampoline_kernelINS0_14default_configENS1_38merge_sort_block_merge_config_selectorIdNS0_10empty_typeEEEZZNS1_27merge_sort_block_merge_implIS3_N6thrust23THRUST_200600_302600_NS6detail15normal_iteratorINS9_10device_ptrIdEEEEPS5_m14custom_greaterIdEEE10hipError_tT0_T1_T2_jT3_P12ihipStream_tbPNSt15iterator_traitsISJ_E10value_typeEPNSP_ISK_E10value_typeEPSL_NS1_7vsmem_tEENKUlT_SJ_SK_SL_E_clIPdSE_SF_SF_EESI_SY_SJ_SK_SL_EUlSY_E0_NS1_11comp_targetILNS1_3genE5ELNS1_11target_archE942ELNS1_3gpuE9ELNS1_3repE0EEENS1_38merge_mergepath_config_static_selectorELNS0_4arch9wavefront6targetE1EEEvSK_,"axG",@progbits,_ZN7rocprim17ROCPRIM_400000_NS6detail17trampoline_kernelINS0_14default_configENS1_38merge_sort_block_merge_config_selectorIdNS0_10empty_typeEEEZZNS1_27merge_sort_block_merge_implIS3_N6thrust23THRUST_200600_302600_NS6detail15normal_iteratorINS9_10device_ptrIdEEEEPS5_m14custom_greaterIdEEE10hipError_tT0_T1_T2_jT3_P12ihipStream_tbPNSt15iterator_traitsISJ_E10value_typeEPNSP_ISK_E10value_typeEPSL_NS1_7vsmem_tEENKUlT_SJ_SK_SL_E_clIPdSE_SF_SF_EESI_SY_SJ_SK_SL_EUlSY_E0_NS1_11comp_targetILNS1_3genE5ELNS1_11target_archE942ELNS1_3gpuE9ELNS1_3repE0EEENS1_38merge_mergepath_config_static_selectorELNS0_4arch9wavefront6targetE1EEEvSK_,comdat
	.protected	_ZN7rocprim17ROCPRIM_400000_NS6detail17trampoline_kernelINS0_14default_configENS1_38merge_sort_block_merge_config_selectorIdNS0_10empty_typeEEEZZNS1_27merge_sort_block_merge_implIS3_N6thrust23THRUST_200600_302600_NS6detail15normal_iteratorINS9_10device_ptrIdEEEEPS5_m14custom_greaterIdEEE10hipError_tT0_T1_T2_jT3_P12ihipStream_tbPNSt15iterator_traitsISJ_E10value_typeEPNSP_ISK_E10value_typeEPSL_NS1_7vsmem_tEENKUlT_SJ_SK_SL_E_clIPdSE_SF_SF_EESI_SY_SJ_SK_SL_EUlSY_E0_NS1_11comp_targetILNS1_3genE5ELNS1_11target_archE942ELNS1_3gpuE9ELNS1_3repE0EEENS1_38merge_mergepath_config_static_selectorELNS0_4arch9wavefront6targetE1EEEvSK_ ; -- Begin function _ZN7rocprim17ROCPRIM_400000_NS6detail17trampoline_kernelINS0_14default_configENS1_38merge_sort_block_merge_config_selectorIdNS0_10empty_typeEEEZZNS1_27merge_sort_block_merge_implIS3_N6thrust23THRUST_200600_302600_NS6detail15normal_iteratorINS9_10device_ptrIdEEEEPS5_m14custom_greaterIdEEE10hipError_tT0_T1_T2_jT3_P12ihipStream_tbPNSt15iterator_traitsISJ_E10value_typeEPNSP_ISK_E10value_typeEPSL_NS1_7vsmem_tEENKUlT_SJ_SK_SL_E_clIPdSE_SF_SF_EESI_SY_SJ_SK_SL_EUlSY_E0_NS1_11comp_targetILNS1_3genE5ELNS1_11target_archE942ELNS1_3gpuE9ELNS1_3repE0EEENS1_38merge_mergepath_config_static_selectorELNS0_4arch9wavefront6targetE1EEEvSK_
	.globl	_ZN7rocprim17ROCPRIM_400000_NS6detail17trampoline_kernelINS0_14default_configENS1_38merge_sort_block_merge_config_selectorIdNS0_10empty_typeEEEZZNS1_27merge_sort_block_merge_implIS3_N6thrust23THRUST_200600_302600_NS6detail15normal_iteratorINS9_10device_ptrIdEEEEPS5_m14custom_greaterIdEEE10hipError_tT0_T1_T2_jT3_P12ihipStream_tbPNSt15iterator_traitsISJ_E10value_typeEPNSP_ISK_E10value_typeEPSL_NS1_7vsmem_tEENKUlT_SJ_SK_SL_E_clIPdSE_SF_SF_EESI_SY_SJ_SK_SL_EUlSY_E0_NS1_11comp_targetILNS1_3genE5ELNS1_11target_archE942ELNS1_3gpuE9ELNS1_3repE0EEENS1_38merge_mergepath_config_static_selectorELNS0_4arch9wavefront6targetE1EEEvSK_
	.p2align	8
	.type	_ZN7rocprim17ROCPRIM_400000_NS6detail17trampoline_kernelINS0_14default_configENS1_38merge_sort_block_merge_config_selectorIdNS0_10empty_typeEEEZZNS1_27merge_sort_block_merge_implIS3_N6thrust23THRUST_200600_302600_NS6detail15normal_iteratorINS9_10device_ptrIdEEEEPS5_m14custom_greaterIdEEE10hipError_tT0_T1_T2_jT3_P12ihipStream_tbPNSt15iterator_traitsISJ_E10value_typeEPNSP_ISK_E10value_typeEPSL_NS1_7vsmem_tEENKUlT_SJ_SK_SL_E_clIPdSE_SF_SF_EESI_SY_SJ_SK_SL_EUlSY_E0_NS1_11comp_targetILNS1_3genE5ELNS1_11target_archE942ELNS1_3gpuE9ELNS1_3repE0EEENS1_38merge_mergepath_config_static_selectorELNS0_4arch9wavefront6targetE1EEEvSK_,@function
_ZN7rocprim17ROCPRIM_400000_NS6detail17trampoline_kernelINS0_14default_configENS1_38merge_sort_block_merge_config_selectorIdNS0_10empty_typeEEEZZNS1_27merge_sort_block_merge_implIS3_N6thrust23THRUST_200600_302600_NS6detail15normal_iteratorINS9_10device_ptrIdEEEEPS5_m14custom_greaterIdEEE10hipError_tT0_T1_T2_jT3_P12ihipStream_tbPNSt15iterator_traitsISJ_E10value_typeEPNSP_ISK_E10value_typeEPSL_NS1_7vsmem_tEENKUlT_SJ_SK_SL_E_clIPdSE_SF_SF_EESI_SY_SJ_SK_SL_EUlSY_E0_NS1_11comp_targetILNS1_3genE5ELNS1_11target_archE942ELNS1_3gpuE9ELNS1_3repE0EEENS1_38merge_mergepath_config_static_selectorELNS0_4arch9wavefront6targetE1EEEvSK_: ; @_ZN7rocprim17ROCPRIM_400000_NS6detail17trampoline_kernelINS0_14default_configENS1_38merge_sort_block_merge_config_selectorIdNS0_10empty_typeEEEZZNS1_27merge_sort_block_merge_implIS3_N6thrust23THRUST_200600_302600_NS6detail15normal_iteratorINS9_10device_ptrIdEEEEPS5_m14custom_greaterIdEEE10hipError_tT0_T1_T2_jT3_P12ihipStream_tbPNSt15iterator_traitsISJ_E10value_typeEPNSP_ISK_E10value_typeEPSL_NS1_7vsmem_tEENKUlT_SJ_SK_SL_E_clIPdSE_SF_SF_EESI_SY_SJ_SK_SL_EUlSY_E0_NS1_11comp_targetILNS1_3genE5ELNS1_11target_archE942ELNS1_3gpuE9ELNS1_3repE0EEENS1_38merge_mergepath_config_static_selectorELNS0_4arch9wavefront6targetE1EEEvSK_
; %bb.0:
	.section	.rodata,"a",@progbits
	.p2align	6, 0x0
	.amdhsa_kernel _ZN7rocprim17ROCPRIM_400000_NS6detail17trampoline_kernelINS0_14default_configENS1_38merge_sort_block_merge_config_selectorIdNS0_10empty_typeEEEZZNS1_27merge_sort_block_merge_implIS3_N6thrust23THRUST_200600_302600_NS6detail15normal_iteratorINS9_10device_ptrIdEEEEPS5_m14custom_greaterIdEEE10hipError_tT0_T1_T2_jT3_P12ihipStream_tbPNSt15iterator_traitsISJ_E10value_typeEPNSP_ISK_E10value_typeEPSL_NS1_7vsmem_tEENKUlT_SJ_SK_SL_E_clIPdSE_SF_SF_EESI_SY_SJ_SK_SL_EUlSY_E0_NS1_11comp_targetILNS1_3genE5ELNS1_11target_archE942ELNS1_3gpuE9ELNS1_3repE0EEENS1_38merge_mergepath_config_static_selectorELNS0_4arch9wavefront6targetE1EEEvSK_
		.amdhsa_group_segment_fixed_size 0
		.amdhsa_private_segment_fixed_size 0
		.amdhsa_kernarg_size 72
		.amdhsa_user_sgpr_count 6
		.amdhsa_user_sgpr_private_segment_buffer 1
		.amdhsa_user_sgpr_dispatch_ptr 0
		.amdhsa_user_sgpr_queue_ptr 0
		.amdhsa_user_sgpr_kernarg_segment_ptr 1
		.amdhsa_user_sgpr_dispatch_id 0
		.amdhsa_user_sgpr_flat_scratch_init 0
		.amdhsa_user_sgpr_kernarg_preload_length 0
		.amdhsa_user_sgpr_kernarg_preload_offset 0
		.amdhsa_user_sgpr_private_segment_size 0
		.amdhsa_uses_dynamic_stack 0
		.amdhsa_system_sgpr_private_segment_wavefront_offset 0
		.amdhsa_system_sgpr_workgroup_id_x 1
		.amdhsa_system_sgpr_workgroup_id_y 0
		.amdhsa_system_sgpr_workgroup_id_z 0
		.amdhsa_system_sgpr_workgroup_info 0
		.amdhsa_system_vgpr_workitem_id 0
		.amdhsa_next_free_vgpr 1
		.amdhsa_next_free_sgpr 0
		.amdhsa_accum_offset 4
		.amdhsa_reserve_vcc 0
		.amdhsa_reserve_flat_scratch 0
		.amdhsa_float_round_mode_32 0
		.amdhsa_float_round_mode_16_64 0
		.amdhsa_float_denorm_mode_32 3
		.amdhsa_float_denorm_mode_16_64 3
		.amdhsa_dx10_clamp 1
		.amdhsa_ieee_mode 1
		.amdhsa_fp16_overflow 0
		.amdhsa_tg_split 0
		.amdhsa_exception_fp_ieee_invalid_op 0
		.amdhsa_exception_fp_denorm_src 0
		.amdhsa_exception_fp_ieee_div_zero 0
		.amdhsa_exception_fp_ieee_overflow 0
		.amdhsa_exception_fp_ieee_underflow 0
		.amdhsa_exception_fp_ieee_inexact 0
		.amdhsa_exception_int_div_zero 0
	.end_amdhsa_kernel
	.section	.text._ZN7rocprim17ROCPRIM_400000_NS6detail17trampoline_kernelINS0_14default_configENS1_38merge_sort_block_merge_config_selectorIdNS0_10empty_typeEEEZZNS1_27merge_sort_block_merge_implIS3_N6thrust23THRUST_200600_302600_NS6detail15normal_iteratorINS9_10device_ptrIdEEEEPS5_m14custom_greaterIdEEE10hipError_tT0_T1_T2_jT3_P12ihipStream_tbPNSt15iterator_traitsISJ_E10value_typeEPNSP_ISK_E10value_typeEPSL_NS1_7vsmem_tEENKUlT_SJ_SK_SL_E_clIPdSE_SF_SF_EESI_SY_SJ_SK_SL_EUlSY_E0_NS1_11comp_targetILNS1_3genE5ELNS1_11target_archE942ELNS1_3gpuE9ELNS1_3repE0EEENS1_38merge_mergepath_config_static_selectorELNS0_4arch9wavefront6targetE1EEEvSK_,"axG",@progbits,_ZN7rocprim17ROCPRIM_400000_NS6detail17trampoline_kernelINS0_14default_configENS1_38merge_sort_block_merge_config_selectorIdNS0_10empty_typeEEEZZNS1_27merge_sort_block_merge_implIS3_N6thrust23THRUST_200600_302600_NS6detail15normal_iteratorINS9_10device_ptrIdEEEEPS5_m14custom_greaterIdEEE10hipError_tT0_T1_T2_jT3_P12ihipStream_tbPNSt15iterator_traitsISJ_E10value_typeEPNSP_ISK_E10value_typeEPSL_NS1_7vsmem_tEENKUlT_SJ_SK_SL_E_clIPdSE_SF_SF_EESI_SY_SJ_SK_SL_EUlSY_E0_NS1_11comp_targetILNS1_3genE5ELNS1_11target_archE942ELNS1_3gpuE9ELNS1_3repE0EEENS1_38merge_mergepath_config_static_selectorELNS0_4arch9wavefront6targetE1EEEvSK_,comdat
.Lfunc_end3623:
	.size	_ZN7rocprim17ROCPRIM_400000_NS6detail17trampoline_kernelINS0_14default_configENS1_38merge_sort_block_merge_config_selectorIdNS0_10empty_typeEEEZZNS1_27merge_sort_block_merge_implIS3_N6thrust23THRUST_200600_302600_NS6detail15normal_iteratorINS9_10device_ptrIdEEEEPS5_m14custom_greaterIdEEE10hipError_tT0_T1_T2_jT3_P12ihipStream_tbPNSt15iterator_traitsISJ_E10value_typeEPNSP_ISK_E10value_typeEPSL_NS1_7vsmem_tEENKUlT_SJ_SK_SL_E_clIPdSE_SF_SF_EESI_SY_SJ_SK_SL_EUlSY_E0_NS1_11comp_targetILNS1_3genE5ELNS1_11target_archE942ELNS1_3gpuE9ELNS1_3repE0EEENS1_38merge_mergepath_config_static_selectorELNS0_4arch9wavefront6targetE1EEEvSK_, .Lfunc_end3623-_ZN7rocprim17ROCPRIM_400000_NS6detail17trampoline_kernelINS0_14default_configENS1_38merge_sort_block_merge_config_selectorIdNS0_10empty_typeEEEZZNS1_27merge_sort_block_merge_implIS3_N6thrust23THRUST_200600_302600_NS6detail15normal_iteratorINS9_10device_ptrIdEEEEPS5_m14custom_greaterIdEEE10hipError_tT0_T1_T2_jT3_P12ihipStream_tbPNSt15iterator_traitsISJ_E10value_typeEPNSP_ISK_E10value_typeEPSL_NS1_7vsmem_tEENKUlT_SJ_SK_SL_E_clIPdSE_SF_SF_EESI_SY_SJ_SK_SL_EUlSY_E0_NS1_11comp_targetILNS1_3genE5ELNS1_11target_archE942ELNS1_3gpuE9ELNS1_3repE0EEENS1_38merge_mergepath_config_static_selectorELNS0_4arch9wavefront6targetE1EEEvSK_
                                        ; -- End function
	.section	.AMDGPU.csdata,"",@progbits
; Kernel info:
; codeLenInByte = 0
; NumSgprs: 4
; NumVgprs: 0
; NumAgprs: 0
; TotalNumVgprs: 0
; ScratchSize: 0
; MemoryBound: 0
; FloatMode: 240
; IeeeMode: 1
; LDSByteSize: 0 bytes/workgroup (compile time only)
; SGPRBlocks: 0
; VGPRBlocks: 0
; NumSGPRsForWavesPerEU: 4
; NumVGPRsForWavesPerEU: 1
; AccumOffset: 4
; Occupancy: 8
; WaveLimiterHint : 0
; COMPUTE_PGM_RSRC2:SCRATCH_EN: 0
; COMPUTE_PGM_RSRC2:USER_SGPR: 6
; COMPUTE_PGM_RSRC2:TRAP_HANDLER: 0
; COMPUTE_PGM_RSRC2:TGID_X_EN: 1
; COMPUTE_PGM_RSRC2:TGID_Y_EN: 0
; COMPUTE_PGM_RSRC2:TGID_Z_EN: 0
; COMPUTE_PGM_RSRC2:TIDIG_COMP_CNT: 0
; COMPUTE_PGM_RSRC3_GFX90A:ACCUM_OFFSET: 0
; COMPUTE_PGM_RSRC3_GFX90A:TG_SPLIT: 0
	.section	.text._ZN7rocprim17ROCPRIM_400000_NS6detail17trampoline_kernelINS0_14default_configENS1_38merge_sort_block_merge_config_selectorIdNS0_10empty_typeEEEZZNS1_27merge_sort_block_merge_implIS3_N6thrust23THRUST_200600_302600_NS6detail15normal_iteratorINS9_10device_ptrIdEEEEPS5_m14custom_greaterIdEEE10hipError_tT0_T1_T2_jT3_P12ihipStream_tbPNSt15iterator_traitsISJ_E10value_typeEPNSP_ISK_E10value_typeEPSL_NS1_7vsmem_tEENKUlT_SJ_SK_SL_E_clIPdSE_SF_SF_EESI_SY_SJ_SK_SL_EUlSY_E0_NS1_11comp_targetILNS1_3genE4ELNS1_11target_archE910ELNS1_3gpuE8ELNS1_3repE0EEENS1_38merge_mergepath_config_static_selectorELNS0_4arch9wavefront6targetE1EEEvSK_,"axG",@progbits,_ZN7rocprim17ROCPRIM_400000_NS6detail17trampoline_kernelINS0_14default_configENS1_38merge_sort_block_merge_config_selectorIdNS0_10empty_typeEEEZZNS1_27merge_sort_block_merge_implIS3_N6thrust23THRUST_200600_302600_NS6detail15normal_iteratorINS9_10device_ptrIdEEEEPS5_m14custom_greaterIdEEE10hipError_tT0_T1_T2_jT3_P12ihipStream_tbPNSt15iterator_traitsISJ_E10value_typeEPNSP_ISK_E10value_typeEPSL_NS1_7vsmem_tEENKUlT_SJ_SK_SL_E_clIPdSE_SF_SF_EESI_SY_SJ_SK_SL_EUlSY_E0_NS1_11comp_targetILNS1_3genE4ELNS1_11target_archE910ELNS1_3gpuE8ELNS1_3repE0EEENS1_38merge_mergepath_config_static_selectorELNS0_4arch9wavefront6targetE1EEEvSK_,comdat
	.protected	_ZN7rocprim17ROCPRIM_400000_NS6detail17trampoline_kernelINS0_14default_configENS1_38merge_sort_block_merge_config_selectorIdNS0_10empty_typeEEEZZNS1_27merge_sort_block_merge_implIS3_N6thrust23THRUST_200600_302600_NS6detail15normal_iteratorINS9_10device_ptrIdEEEEPS5_m14custom_greaterIdEEE10hipError_tT0_T1_T2_jT3_P12ihipStream_tbPNSt15iterator_traitsISJ_E10value_typeEPNSP_ISK_E10value_typeEPSL_NS1_7vsmem_tEENKUlT_SJ_SK_SL_E_clIPdSE_SF_SF_EESI_SY_SJ_SK_SL_EUlSY_E0_NS1_11comp_targetILNS1_3genE4ELNS1_11target_archE910ELNS1_3gpuE8ELNS1_3repE0EEENS1_38merge_mergepath_config_static_selectorELNS0_4arch9wavefront6targetE1EEEvSK_ ; -- Begin function _ZN7rocprim17ROCPRIM_400000_NS6detail17trampoline_kernelINS0_14default_configENS1_38merge_sort_block_merge_config_selectorIdNS0_10empty_typeEEEZZNS1_27merge_sort_block_merge_implIS3_N6thrust23THRUST_200600_302600_NS6detail15normal_iteratorINS9_10device_ptrIdEEEEPS5_m14custom_greaterIdEEE10hipError_tT0_T1_T2_jT3_P12ihipStream_tbPNSt15iterator_traitsISJ_E10value_typeEPNSP_ISK_E10value_typeEPSL_NS1_7vsmem_tEENKUlT_SJ_SK_SL_E_clIPdSE_SF_SF_EESI_SY_SJ_SK_SL_EUlSY_E0_NS1_11comp_targetILNS1_3genE4ELNS1_11target_archE910ELNS1_3gpuE8ELNS1_3repE0EEENS1_38merge_mergepath_config_static_selectorELNS0_4arch9wavefront6targetE1EEEvSK_
	.globl	_ZN7rocprim17ROCPRIM_400000_NS6detail17trampoline_kernelINS0_14default_configENS1_38merge_sort_block_merge_config_selectorIdNS0_10empty_typeEEEZZNS1_27merge_sort_block_merge_implIS3_N6thrust23THRUST_200600_302600_NS6detail15normal_iteratorINS9_10device_ptrIdEEEEPS5_m14custom_greaterIdEEE10hipError_tT0_T1_T2_jT3_P12ihipStream_tbPNSt15iterator_traitsISJ_E10value_typeEPNSP_ISK_E10value_typeEPSL_NS1_7vsmem_tEENKUlT_SJ_SK_SL_E_clIPdSE_SF_SF_EESI_SY_SJ_SK_SL_EUlSY_E0_NS1_11comp_targetILNS1_3genE4ELNS1_11target_archE910ELNS1_3gpuE8ELNS1_3repE0EEENS1_38merge_mergepath_config_static_selectorELNS0_4arch9wavefront6targetE1EEEvSK_
	.p2align	8
	.type	_ZN7rocprim17ROCPRIM_400000_NS6detail17trampoline_kernelINS0_14default_configENS1_38merge_sort_block_merge_config_selectorIdNS0_10empty_typeEEEZZNS1_27merge_sort_block_merge_implIS3_N6thrust23THRUST_200600_302600_NS6detail15normal_iteratorINS9_10device_ptrIdEEEEPS5_m14custom_greaterIdEEE10hipError_tT0_T1_T2_jT3_P12ihipStream_tbPNSt15iterator_traitsISJ_E10value_typeEPNSP_ISK_E10value_typeEPSL_NS1_7vsmem_tEENKUlT_SJ_SK_SL_E_clIPdSE_SF_SF_EESI_SY_SJ_SK_SL_EUlSY_E0_NS1_11comp_targetILNS1_3genE4ELNS1_11target_archE910ELNS1_3gpuE8ELNS1_3repE0EEENS1_38merge_mergepath_config_static_selectorELNS0_4arch9wavefront6targetE1EEEvSK_,@function
_ZN7rocprim17ROCPRIM_400000_NS6detail17trampoline_kernelINS0_14default_configENS1_38merge_sort_block_merge_config_selectorIdNS0_10empty_typeEEEZZNS1_27merge_sort_block_merge_implIS3_N6thrust23THRUST_200600_302600_NS6detail15normal_iteratorINS9_10device_ptrIdEEEEPS5_m14custom_greaterIdEEE10hipError_tT0_T1_T2_jT3_P12ihipStream_tbPNSt15iterator_traitsISJ_E10value_typeEPNSP_ISK_E10value_typeEPSL_NS1_7vsmem_tEENKUlT_SJ_SK_SL_E_clIPdSE_SF_SF_EESI_SY_SJ_SK_SL_EUlSY_E0_NS1_11comp_targetILNS1_3genE4ELNS1_11target_archE910ELNS1_3gpuE8ELNS1_3repE0EEENS1_38merge_mergepath_config_static_selectorELNS0_4arch9wavefront6targetE1EEEvSK_: ; @_ZN7rocprim17ROCPRIM_400000_NS6detail17trampoline_kernelINS0_14default_configENS1_38merge_sort_block_merge_config_selectorIdNS0_10empty_typeEEEZZNS1_27merge_sort_block_merge_implIS3_N6thrust23THRUST_200600_302600_NS6detail15normal_iteratorINS9_10device_ptrIdEEEEPS5_m14custom_greaterIdEEE10hipError_tT0_T1_T2_jT3_P12ihipStream_tbPNSt15iterator_traitsISJ_E10value_typeEPNSP_ISK_E10value_typeEPSL_NS1_7vsmem_tEENKUlT_SJ_SK_SL_E_clIPdSE_SF_SF_EESI_SY_SJ_SK_SL_EUlSY_E0_NS1_11comp_targetILNS1_3genE4ELNS1_11target_archE910ELNS1_3gpuE8ELNS1_3repE0EEENS1_38merge_mergepath_config_static_selectorELNS0_4arch9wavefront6targetE1EEEvSK_
; %bb.0:
	s_load_dwordx2 s[22:23], s[4:5], 0x48
	s_load_dword s0, s[4:5], 0x38
	s_add_u32 s18, s4, 0x48
	s_addc_u32 s19, s5, 0
	s_waitcnt lgkmcnt(0)
	s_mul_i32 s1, s23, s8
	s_add_i32 s1, s1, s7
	s_mul_i32 s1, s1, s22
	s_add_i32 s20, s1, s6
	s_cmp_ge_u32 s20, s0
	s_cbranch_scc1 .LBB3624_33
; %bb.1:
	s_load_dwordx2 s[0:1], s[4:5], 0x40
	s_load_dwordx4 s[12:15], s[4:5], 0x8
	s_load_dwordx4 s[8:11], s[4:5], 0x28
	s_mov_b32 s21, 0
	s_lshl_b64 s[2:3], s[20:21], 3
	s_waitcnt lgkmcnt(0)
	s_add_u32 s0, s0, s2
	s_addc_u32 s1, s1, s3
	v_mov_b32_e32 v1, s10
	v_alignbit_b32 v1, s11, v1, 9
	v_readfirstlane_b32 s4, v1
	s_and_b32 s4, s4, -2
	s_sub_i32 s30, 0, s4
	s_and_b32 s24, s20, s30
	s_mov_b32 s25, s21
	s_lshl_b64 s[4:5], s[24:25], 10
	s_lshl_b64 s[16:17], s[20:21], 10
	s_sub_u32 s7, s16, s4
	s_load_dwordx4 s[0:3], s[0:1], 0x0
	s_subb_u32 s23, s17, s5
	s_lshl_b64 s[24:25], s[24:25], 11
	s_add_u32 s24, s24, s10
	s_addc_u32 s25, s25, s11
	s_add_u32 s7, s24, s7
	s_addc_u32 s23, s25, s23
	s_waitcnt lgkmcnt(0)
	s_sub_u32 s26, s7, s2
	s_subb_u32 s3, s23, s3
	s_add_u32 s26, s26, 0x400
	s_addc_u32 s27, s3, 0
	v_pk_mov_b32 v[2:3], s[26:27], s[26:27] op_sel:[0,1]
	v_cmp_lt_u64_e32 vcc, s[8:9], v[2:3]
	s_and_b64 s[28:29], vcc, exec
	s_cselect_b32 s3, s8, s26
	s_or_b32 s26, s20, s30
	s_cmp_lg_u32 s26, -1
	s_cbranch_scc1 .LBB3624_3
; %bb.2:
	s_sub_u32 s4, s24, s4
	s_subb_u32 s5, s25, s5
	v_pk_mov_b32 v[2:3], s[4:5], s[4:5] op_sel:[0,1]
	v_cmp_lt_u64_e32 vcc, s[8:9], v[2:3]
	s_and_b64 s[2:3], vcc, exec
	s_cselect_b32 s2, s8, s4
	s_add_u32 s4, s4, s10
	s_addc_u32 s5, s5, s11
	v_pk_mov_b32 v[2:3], s[4:5], s[4:5] op_sel:[0,1]
	v_cmp_lt_u64_e32 vcc, s[8:9], v[2:3]
	s_and_b64 s[10:11], vcc, exec
	s_cselect_b32 s3, s8, s4
.LBB3624_3:
	s_lshr_b64 s[26:27], s[8:9], 10
	s_cmp_lg_u64 s[26:27], s[20:21]
	s_cselect_b64 s[10:11], -1, 0
	s_sub_u32 s4, s7, s0
	s_subb_u32 s5, s23, s1
	v_pk_mov_b32 v[2:3], s[4:5], s[4:5] op_sel:[0,1]
	v_cmp_lt_u64_e32 vcc, s[8:9], v[2:3]
	s_and_b64 s[24:25], vcc, exec
	s_cselect_b32 s28, s8, s4
	s_cselect_b32 s29, s9, s5
	s_sub_i32 s9, s2, s0
	s_sub_i32 s4, s3, s28
	s_lshl_b64 s[0:1], s[0:1], 3
	s_add_u32 s23, s12, s0
	s_addc_u32 s24, s13, s1
	s_lshl_b64 s[0:1], s[28:29], 3
	s_add_u32 s5, s12, s0
	s_addc_u32 s7, s13, s1
	s_cmp_lt_u32 s6, s22
	v_mov_b32_e32 v9, 0
	s_cselect_b32 s0, 12, 18
	global_load_dword v1, v9, s[18:19] offset:14
	s_add_u32 s0, s18, s0
	s_addc_u32 s1, s19, 0
	global_load_ushort v2, v9, s[0:1]
	s_cmp_eq_u64 s[26:27], s[20:21]
	s_waitcnt vmcnt(1)
	v_lshrrev_b32_e32 v3, 16, v1
	v_and_b32_e32 v1, 0xffff, v1
	v_mul_lo_u32 v1, v1, v3
	s_waitcnt vmcnt(0)
	v_mul_lo_u32 v14, v1, v2
	v_add_u32_e32 v12, v14, v0
	v_lshlrev_b32_e32 v1, 3, v0
	v_add_u32_e32 v10, v12, v14
	s_cbranch_scc1 .LBB3624_5
; %bb.4:
	v_mov_b32_e32 v2, s24
	v_add_co_u32_e32 v4, vcc, s23, v1
	v_subrev_u32_e32 v8, s9, v0
	v_addc_co_u32_e32 v5, vcc, 0, v2, vcc
	v_lshlrev_b64 v[2:3], 3, v[8:9]
	v_mov_b32_e32 v6, s7
	v_add_co_u32_e32 v2, vcc, s5, v2
	v_addc_co_u32_e32 v3, vcc, v6, v3, vcc
	v_cmp_gt_u32_e32 vcc, s9, v0
	v_mov_b32_e32 v13, v9
	v_cndmask_b32_e32 v3, v3, v5, vcc
	v_cndmask_b32_e32 v2, v2, v4, vcc
	v_lshlrev_b64 v[4:5], 3, v[12:13]
	v_mov_b32_e32 v6, s24
	v_add_co_u32_e32 v7, vcc, s23, v4
	v_subrev_u32_e32 v8, s9, v12
	v_addc_co_u32_e32 v6, vcc, v6, v5, vcc
	v_lshlrev_b64 v[4:5], 3, v[8:9]
	v_mov_b32_e32 v8, s7
	v_add_co_u32_e32 v4, vcc, s5, v4
	v_addc_co_u32_e32 v5, vcc, v8, v5, vcc
	v_cmp_gt_u32_e32 vcc, s9, v12
	v_mov_b32_e32 v11, v9
	v_cndmask_b32_e32 v5, v5, v6, vcc
	v_cndmask_b32_e32 v4, v4, v7, vcc
	v_lshlrev_b64 v[6:7], 3, v[10:11]
	v_mov_b32_e32 v8, s24
	v_add_co_u32_e32 v11, vcc, s23, v6
	v_addc_co_u32_e32 v13, vcc, v8, v7, vcc
	v_subrev_u32_e32 v8, s9, v10
	v_lshlrev_b64 v[6:7], 3, v[8:9]
	v_mov_b32_e32 v8, s7
	v_add_co_u32_e32 v6, vcc, s5, v6
	v_addc_co_u32_e32 v7, vcc, v8, v7, vcc
	v_add_u32_e32 v8, v10, v14
	v_cmp_gt_u32_e32 vcc, s9, v10
	v_lshlrev_b64 v[16:17], 3, v[8:9]
	v_cndmask_b32_e32 v7, v7, v13, vcc
	v_cndmask_b32_e32 v6, v6, v11, vcc
	v_mov_b32_e32 v11, s24
	v_add_co_u32_e32 v13, vcc, s23, v16
	v_addc_co_u32_e32 v11, vcc, v11, v17, vcc
	v_cmp_gt_u32_e32 vcc, s9, v8
	v_subrev_u32_e32 v8, s9, v8
	v_lshlrev_b64 v[8:9], 3, v[8:9]
	v_mov_b32_e32 v15, s7
	v_add_co_u32_e64 v8, s[0:1], s5, v8
	v_addc_co_u32_e64 v9, s[0:1], v15, v9, s[0:1]
	v_cndmask_b32_e32 v9, v9, v11, vcc
	v_cndmask_b32_e32 v8, v8, v13, vcc
	global_load_dwordx2 v[2:3], v[2:3], off
	s_add_i32 s12, s9, s4
	global_load_dwordx2 v[4:5], v[4:5], off
	s_nop 0
	global_load_dwordx2 v[6:7], v[6:7], off
	s_nop 0
	global_load_dwordx2 v[8:9], v[8:9], off
	s_cbranch_execz .LBB3624_6
	s_branch .LBB3624_13
.LBB3624_5:
                                        ; implicit-def: $vgpr2_vgpr3_vgpr4_vgpr5_vgpr6_vgpr7_vgpr8_vgpr9
                                        ; implicit-def: $sgpr12
.LBB3624_6:
	s_add_i32 s12, s9, s4
	v_cmp_gt_u32_e32 vcc, s12, v0
                                        ; implicit-def: $vgpr2_vgpr3_vgpr4_vgpr5_vgpr6_vgpr7_vgpr8_vgpr9
	s_and_saveexec_b64 s[0:1], vcc
	s_cbranch_execnz .LBB3624_34
; %bb.7:
	s_or_b64 exec, exec, s[0:1]
	v_cmp_gt_u32_e32 vcc, s12, v12
	s_and_saveexec_b64 s[2:3], vcc
	s_cbranch_execnz .LBB3624_35
.LBB3624_8:
	s_or_b64 exec, exec, s[2:3]
	v_cmp_gt_u32_e32 vcc, s12, v10
	s_and_saveexec_b64 s[0:1], vcc
	s_cbranch_execz .LBB3624_10
.LBB3624_9:
	v_mov_b32_e32 v11, 0
	s_waitcnt vmcnt(1)
	v_lshlrev_b64 v[6:7], 3, v[10:11]
	v_mov_b32_e32 v12, s24
	v_add_co_u32_e32 v13, vcc, s23, v6
	v_addc_co_u32_e32 v12, vcc, v12, v7, vcc
	v_subrev_u32_e32 v6, s9, v10
	v_mov_b32_e32 v7, v11
	v_lshlrev_b64 v[6:7], 3, v[6:7]
	v_mov_b32_e32 v11, s7
	v_add_co_u32_e32 v6, vcc, s5, v6
	v_addc_co_u32_e32 v7, vcc, v11, v7, vcc
	v_cmp_gt_u32_e32 vcc, s9, v10
	v_cndmask_b32_e32 v7, v7, v12, vcc
	v_cndmask_b32_e32 v6, v6, v13, vcc
	global_load_dwordx2 v[6:7], v[6:7], off
.LBB3624_10:
	s_or_b64 exec, exec, s[0:1]
	v_add_u32_e32 v10, v10, v14
	v_cmp_gt_u32_e32 vcc, s12, v10
	s_and_saveexec_b64 s[2:3], vcc
	s_cbranch_execz .LBB3624_12
; %bb.11:
	v_mov_b32_e32 v11, 0
	s_waitcnt vmcnt(0)
	v_lshlrev_b64 v[8:9], 3, v[10:11]
	v_mov_b32_e32 v12, s24
	v_add_co_u32_e32 v13, vcc, s23, v8
	v_addc_co_u32_e32 v12, vcc, v12, v9, vcc
	v_cmp_gt_u32_e32 vcc, s9, v10
	v_subrev_u32_e32 v10, s9, v10
	v_lshlrev_b64 v[8:9], 3, v[10:11]
	v_mov_b32_e32 v10, s7
	v_add_co_u32_e64 v8, s[0:1], s5, v8
	v_addc_co_u32_e64 v9, s[0:1], v10, v9, s[0:1]
	v_cndmask_b32_e32 v9, v9, v12, vcc
	v_cndmask_b32_e32 v8, v8, v13, vcc
	global_load_dwordx2 v[8:9], v[8:9], off
.LBB3624_12:
	s_or_b64 exec, exec, s[2:3]
.LBB3624_13:
	v_lshlrev_b32_e32 v10, 2, v0
	v_min_u32_e32 v12, s12, v10
	v_sub_u32_e64 v11, v12, s4 clamp
	v_min_u32_e32 v13, s9, v12
	v_cmp_lt_u32_e32 vcc, v11, v13
	s_waitcnt vmcnt(0)
	ds_write2st64_b64 v1, v[2:3], v[4:5] offset1:4
	ds_write2st64_b64 v1, v[6:7], v[8:9] offset0:8 offset1:12
	s_waitcnt lgkmcnt(0)
	s_barrier
	s_and_saveexec_b64 s[0:1], vcc
	s_cbranch_execz .LBB3624_17
; %bb.14:
	v_lshlrev_b32_e32 v14, 3, v12
	v_lshl_add_u32 v14, s9, 3, v14
	s_mov_b64 s[2:3], 0
.LBB3624_15:                            ; =>This Inner Loop Header: Depth=1
	v_add_u32_e32 v15, v13, v11
	v_lshrrev_b32_e32 v15, 1, v15
	v_not_b32_e32 v16, v15
	v_lshlrev_b32_e32 v17, 3, v15
	v_lshl_add_u32 v18, v16, 3, v14
	ds_read_b64 v[16:17], v17
	ds_read_b64 v[18:19], v18
	v_add_u32_e32 v20, 1, v15
	s_waitcnt lgkmcnt(0)
	v_cmp_gt_f64_e32 vcc, v[16:17], v[18:19]
	v_cndmask_b32_e32 v13, v13, v15, vcc
	v_cndmask_b32_e32 v11, v20, v11, vcc
	v_cmp_ge_u32_e32 vcc, v11, v13
	s_or_b64 s[2:3], vcc, s[2:3]
	s_andn2_b64 exec, exec, s[2:3]
	s_cbranch_execnz .LBB3624_15
; %bb.16:
	s_or_b64 exec, exec, s[2:3]
.LBB3624_17:
	s_or_b64 exec, exec, s[0:1]
	v_sub_u32_e32 v12, v12, v11
	v_add_u32_e32 v12, s9, v12
	v_cmp_ge_u32_e32 vcc, s9, v11
	v_cmp_ge_u32_e64 s[0:1], s12, v12
	s_or_b64 s[0:1], vcc, s[0:1]
	s_and_saveexec_b64 s[6:7], s[0:1]
	s_cbranch_execz .LBB3624_23
; %bb.18:
	v_cmp_gt_u32_e32 vcc, s9, v11
                                        ; implicit-def: $vgpr2_vgpr3
	s_and_saveexec_b64 s[0:1], vcc
	s_cbranch_execz .LBB3624_20
; %bb.19:
	v_lshlrev_b32_e32 v2, 3, v11
	ds_read_b64 v[2:3], v2
.LBB3624_20:
	s_or_b64 exec, exec, s[0:1]
	v_cmp_le_u32_e64 s[0:1], s12, v12
	v_cmp_gt_u32_e64 s[2:3], s12, v12
                                        ; implicit-def: $vgpr4_vgpr5
	s_and_saveexec_b64 s[4:5], s[2:3]
	s_cbranch_execz .LBB3624_22
; %bb.21:
	v_lshlrev_b32_e32 v4, 3, v12
	ds_read_b64 v[4:5], v4
.LBB3624_22:
	s_or_b64 exec, exec, s[4:5]
	s_waitcnt lgkmcnt(0)
	v_cmp_ngt_f64_e64 s[2:3], v[2:3], v[4:5]
	s_and_b64 s[2:3], vcc, s[2:3]
	s_or_b64 vcc, s[0:1], s[2:3]
	v_mov_b32_e32 v16, s12
	v_mov_b32_e32 v17, s9
	v_cndmask_b32_e32 v6, v12, v11, vcc
	v_cndmask_b32_e32 v7, v16, v17, vcc
	v_add_u32_e32 v13, 1, v6
	v_add_u32_e32 v6, -1, v7
	v_min_u32_e32 v6, v13, v6
	v_lshlrev_b32_e32 v6, 3, v6
	ds_read_b64 v[6:7], v6
	v_cndmask_b32_e32 v11, v11, v13, vcc
	v_cndmask_b32_e32 v18, v13, v12, vcc
	v_cmp_gt_u32_e64 s[2:3], s9, v11
	v_cmp_le_u32_e64 s[0:1], s12, v18
	s_waitcnt lgkmcnt(0)
	v_cndmask_b32_e32 v9, v7, v5, vcc
	v_cndmask_b32_e32 v8, v6, v4, vcc
	;; [unrolled: 1-line block ×4, first 2 shown]
	v_cmp_ngt_f64_e64 s[4:5], v[6:7], v[8:9]
	s_and_b64 s[2:3], s[2:3], s[4:5]
	s_or_b64 s[0:1], s[0:1], s[2:3]
	v_cndmask_b32_e64 v12, v18, v11, s[0:1]
	v_cndmask_b32_e64 v13, v16, v17, s[0:1]
	v_add_u32_e32 v19, 1, v12
	v_add_u32_e32 v12, -1, v13
	v_min_u32_e32 v12, v19, v12
	v_lshlrev_b32_e32 v12, 3, v12
	ds_read_b64 v[12:13], v12
	v_cndmask_b32_e64 v11, v11, v19, s[0:1]
	v_cndmask_b32_e64 v18, v19, v18, s[0:1]
	v_cmp_gt_u32_e64 s[2:3], s9, v11
	v_cndmask_b32_e32 v3, v5, v3, vcc
	s_waitcnt lgkmcnt(0)
	v_cndmask_b32_e64 v15, v13, v9, s[0:1]
	v_cndmask_b32_e64 v14, v12, v8, s[0:1]
	;; [unrolled: 1-line block ×4, first 2 shown]
	v_cmp_ngt_f64_e64 s[4:5], v[12:13], v[14:15]
	v_cndmask_b32_e32 v2, v4, v2, vcc
	v_cmp_le_u32_e32 vcc, s12, v18
	s_and_b64 s[2:3], s[2:3], s[4:5]
	s_or_b64 vcc, vcc, s[2:3]
	v_cndmask_b32_e32 v4, v18, v11, vcc
	v_cndmask_b32_e32 v5, v16, v17, vcc
	v_add_u32_e32 v19, 1, v4
	v_add_u32_e32 v4, -1, v5
	v_min_u32_e32 v4, v19, v4
	v_lshlrev_b32_e32 v4, 3, v4
	ds_read_b64 v[16:17], v4
	v_cndmask_b32_e64 v5, v9, v7, s[0:1]
	v_cndmask_b32_e64 v4, v8, v6, s[0:1]
	v_cndmask_b32_e32 v7, v15, v13, vcc
	v_cndmask_b32_e32 v6, v14, v12, vcc
	s_waitcnt lgkmcnt(0)
	v_cndmask_b32_e32 v9, v17, v15, vcc
	v_cndmask_b32_e32 v8, v16, v14, vcc
	;; [unrolled: 1-line block ×6, first 2 shown]
	v_cmp_gt_u32_e64 s[0:1], s9, v11
	v_cmp_ngt_f64_e64 s[2:3], v[12:13], v[8:9]
	v_cmp_le_u32_e32 vcc, s12, v14
	s_and_b64 s[0:1], s[0:1], s[2:3]
	s_or_b64 vcc, vcc, s[0:1]
	v_cndmask_b32_e32 v9, v9, v13, vcc
	v_cndmask_b32_e32 v8, v8, v12, vcc
.LBB3624_23:
	s_or_b64 exec, exec, s[6:7]
	v_and_b32_e32 v11, 0xf8, v0
	v_lshl_add_u32 v10, v10, 3, v11
	s_barrier
	s_barrier
	ds_write2_b64 v10, v[2:3], v[4:5] offset1:1
	ds_write2_b64 v10, v[6:7], v[8:9] offset0:2 offset1:3
	v_lshrrev_b32_e32 v2, 2, v0
	v_and_b32_e32 v2, 56, v2
	v_or_b32_e32 v12, 0x100, v0
	v_add_u32_e32 v13, v1, v2
	v_lshrrev_b32_e32 v2, 2, v12
	v_and_b32_e32 v2, 0x78, v2
	v_or_b32_e32 v11, 0x200, v0
	v_add_u32_e32 v6, v1, v2
	v_lshrrev_b32_e32 v2, 2, v11
	s_lshl_b64 s[0:1], s[16:17], 3
	v_and_b32_e32 v2, 0xb8, v2
	v_or_b32_e32 v10, 0x300, v0
	s_add_u32 s0, s14, s0
	v_add_u32_e32 v7, v1, v2
	v_lshrrev_b32_e32 v2, 2, v10
	s_addc_u32 s1, s15, s1
	v_and_b32_e32 v2, 0xf8, v2
	v_add_u32_e32 v14, v1, v2
	v_mov_b32_e32 v3, s1
	v_add_co_u32_e32 v2, vcc, s0, v1
	v_addc_co_u32_e32 v3, vcc, 0, v3, vcc
	s_and_b64 vcc, exec, s[10:11]
	s_waitcnt lgkmcnt(0)
	s_cbranch_vccz .LBB3624_25
; %bb.24:
	s_barrier
	ds_read_b64 v[8:9], v13
	ds_read_b64 v[16:17], v6 offset:2048
	ds_read_b64 v[18:19], v7 offset:4096
	;; [unrolled: 1-line block ×3, first 2 shown]
	s_waitcnt lgkmcnt(3)
	global_store_dwordx2 v[2:3], v[8:9], off
	s_waitcnt lgkmcnt(2)
	global_store_dwordx2 v[2:3], v[16:17], off offset:2048
	v_add_co_u32_e32 v8, vcc, 0x1000, v2
	v_addc_co_u32_e32 v9, vcc, 0, v3, vcc
	s_waitcnt lgkmcnt(1)
	global_store_dwordx2 v[8:9], v[18:19], off
	s_mov_b64 s[0:1], -1
	s_cbranch_execz .LBB3624_26
	s_branch .LBB3624_31
.LBB3624_25:
	s_mov_b64 s[0:1], 0
                                        ; implicit-def: $vgpr4_vgpr5
.LBB3624_26:
	s_barrier
	s_waitcnt lgkmcnt(0)
	ds_read_b64 v[8:9], v6 offset:2048
	ds_read_b64 v[6:7], v7 offset:4096
	;; [unrolled: 1-line block ×3, first 2 shown]
	s_sub_i32 s2, s8, s16
	v_cmp_gt_u32_e32 vcc, s2, v0
	s_and_saveexec_b64 s[0:1], vcc
	s_cbranch_execnz .LBB3624_36
; %bb.27:
	s_or_b64 exec, exec, s[0:1]
	v_cmp_gt_u32_e32 vcc, s2, v12
	s_and_saveexec_b64 s[0:1], vcc
	s_cbranch_execnz .LBB3624_37
.LBB3624_28:
	s_or_b64 exec, exec, s[0:1]
	v_cmp_gt_u32_e32 vcc, s2, v11
	s_and_saveexec_b64 s[0:1], vcc
	s_cbranch_execz .LBB3624_30
.LBB3624_29:
	v_add_co_u32_e32 v0, vcc, 0x1000, v2
	v_addc_co_u32_e32 v1, vcc, 0, v3, vcc
	s_waitcnt lgkmcnt(1)
	global_store_dwordx2 v[0:1], v[6:7], off
.LBB3624_30:
	s_or_b64 exec, exec, s[0:1]
	v_cmp_gt_u32_e64 s[0:1], s2, v10
.LBB3624_31:
	s_and_saveexec_b64 s[2:3], s[0:1]
	s_cbranch_execz .LBB3624_33
; %bb.32:
	v_add_co_u32_e32 v0, vcc, 0x1000, v2
	v_addc_co_u32_e32 v1, vcc, 0, v3, vcc
	s_waitcnt lgkmcnt(0)
	global_store_dwordx2 v[0:1], v[4:5], off offset:2048
.LBB3624_33:
	s_endpgm
.LBB3624_34:
	s_waitcnt vmcnt(3)
	v_mov_b32_e32 v2, s24
	s_waitcnt vmcnt(2)
	v_add_co_u32_e32 v4, vcc, s23, v1
	v_mov_b32_e32 v3, 0
	v_addc_co_u32_e32 v5, vcc, 0, v2, vcc
	v_subrev_u32_e32 v2, s9, v0
	v_lshlrev_b64 v[2:3], 3, v[2:3]
	s_waitcnt vmcnt(1)
	v_mov_b32_e32 v6, s7
	v_add_co_u32_e32 v2, vcc, s5, v2
	v_addc_co_u32_e32 v3, vcc, v6, v3, vcc
	v_cmp_gt_u32_e32 vcc, s9, v0
	v_cndmask_b32_e32 v3, v3, v5, vcc
	v_cndmask_b32_e32 v2, v2, v4, vcc
	global_load_dwordx2 v[2:3], v[2:3], off
	s_or_b64 exec, exec, s[0:1]
	v_cmp_gt_u32_e32 vcc, s12, v12
	s_and_saveexec_b64 s[2:3], vcc
	s_cbranch_execz .LBB3624_8
.LBB3624_35:
	v_mov_b32_e32 v13, 0
	s_waitcnt vmcnt(2)
	v_lshlrev_b64 v[4:5], 3, v[12:13]
	v_mov_b32_e32 v11, s24
	v_add_co_u32_e32 v15, vcc, s23, v4
	v_addc_co_u32_e32 v11, vcc, v11, v5, vcc
	v_cmp_gt_u32_e32 vcc, s9, v12
	v_subrev_u32_e32 v12, s9, v12
	v_lshlrev_b64 v[4:5], 3, v[12:13]
	v_mov_b32_e32 v12, s7
	v_add_co_u32_e64 v4, s[0:1], s5, v4
	v_addc_co_u32_e64 v5, s[0:1], v12, v5, s[0:1]
	v_cndmask_b32_e32 v5, v5, v11, vcc
	v_cndmask_b32_e32 v4, v4, v15, vcc
	global_load_dwordx2 v[4:5], v[4:5], off
	s_or_b64 exec, exec, s[2:3]
	v_cmp_gt_u32_e32 vcc, s12, v10
	s_and_saveexec_b64 s[0:1], vcc
	s_cbranch_execnz .LBB3624_9
	s_branch .LBB3624_10
.LBB3624_36:
	ds_read_b64 v[0:1], v13
	s_waitcnt lgkmcnt(0)
	global_store_dwordx2 v[2:3], v[0:1], off
	s_or_b64 exec, exec, s[0:1]
	v_cmp_gt_u32_e32 vcc, s2, v12
	s_and_saveexec_b64 s[0:1], vcc
	s_cbranch_execz .LBB3624_28
.LBB3624_37:
	s_waitcnt lgkmcnt(2)
	global_store_dwordx2 v[2:3], v[8:9], off offset:2048
	s_or_b64 exec, exec, s[0:1]
	v_cmp_gt_u32_e32 vcc, s2, v11
	s_and_saveexec_b64 s[0:1], vcc
	s_cbranch_execnz .LBB3624_29
	s_branch .LBB3624_30
	.section	.rodata,"a",@progbits
	.p2align	6, 0x0
	.amdhsa_kernel _ZN7rocprim17ROCPRIM_400000_NS6detail17trampoline_kernelINS0_14default_configENS1_38merge_sort_block_merge_config_selectorIdNS0_10empty_typeEEEZZNS1_27merge_sort_block_merge_implIS3_N6thrust23THRUST_200600_302600_NS6detail15normal_iteratorINS9_10device_ptrIdEEEEPS5_m14custom_greaterIdEEE10hipError_tT0_T1_T2_jT3_P12ihipStream_tbPNSt15iterator_traitsISJ_E10value_typeEPNSP_ISK_E10value_typeEPSL_NS1_7vsmem_tEENKUlT_SJ_SK_SL_E_clIPdSE_SF_SF_EESI_SY_SJ_SK_SL_EUlSY_E0_NS1_11comp_targetILNS1_3genE4ELNS1_11target_archE910ELNS1_3gpuE8ELNS1_3repE0EEENS1_38merge_mergepath_config_static_selectorELNS0_4arch9wavefront6targetE1EEEvSK_
		.amdhsa_group_segment_fixed_size 8448
		.amdhsa_private_segment_fixed_size 0
		.amdhsa_kernarg_size 328
		.amdhsa_user_sgpr_count 6
		.amdhsa_user_sgpr_private_segment_buffer 1
		.amdhsa_user_sgpr_dispatch_ptr 0
		.amdhsa_user_sgpr_queue_ptr 0
		.amdhsa_user_sgpr_kernarg_segment_ptr 1
		.amdhsa_user_sgpr_dispatch_id 0
		.amdhsa_user_sgpr_flat_scratch_init 0
		.amdhsa_user_sgpr_kernarg_preload_length 0
		.amdhsa_user_sgpr_kernarg_preload_offset 0
		.amdhsa_user_sgpr_private_segment_size 0
		.amdhsa_uses_dynamic_stack 0
		.amdhsa_system_sgpr_private_segment_wavefront_offset 0
		.amdhsa_system_sgpr_workgroup_id_x 1
		.amdhsa_system_sgpr_workgroup_id_y 1
		.amdhsa_system_sgpr_workgroup_id_z 1
		.amdhsa_system_sgpr_workgroup_info 0
		.amdhsa_system_vgpr_workitem_id 0
		.amdhsa_next_free_vgpr 21
		.amdhsa_next_free_sgpr 31
		.amdhsa_accum_offset 24
		.amdhsa_reserve_vcc 1
		.amdhsa_reserve_flat_scratch 0
		.amdhsa_float_round_mode_32 0
		.amdhsa_float_round_mode_16_64 0
		.amdhsa_float_denorm_mode_32 3
		.amdhsa_float_denorm_mode_16_64 3
		.amdhsa_dx10_clamp 1
		.amdhsa_ieee_mode 1
		.amdhsa_fp16_overflow 0
		.amdhsa_tg_split 0
		.amdhsa_exception_fp_ieee_invalid_op 0
		.amdhsa_exception_fp_denorm_src 0
		.amdhsa_exception_fp_ieee_div_zero 0
		.amdhsa_exception_fp_ieee_overflow 0
		.amdhsa_exception_fp_ieee_underflow 0
		.amdhsa_exception_fp_ieee_inexact 0
		.amdhsa_exception_int_div_zero 0
	.end_amdhsa_kernel
	.section	.text._ZN7rocprim17ROCPRIM_400000_NS6detail17trampoline_kernelINS0_14default_configENS1_38merge_sort_block_merge_config_selectorIdNS0_10empty_typeEEEZZNS1_27merge_sort_block_merge_implIS3_N6thrust23THRUST_200600_302600_NS6detail15normal_iteratorINS9_10device_ptrIdEEEEPS5_m14custom_greaterIdEEE10hipError_tT0_T1_T2_jT3_P12ihipStream_tbPNSt15iterator_traitsISJ_E10value_typeEPNSP_ISK_E10value_typeEPSL_NS1_7vsmem_tEENKUlT_SJ_SK_SL_E_clIPdSE_SF_SF_EESI_SY_SJ_SK_SL_EUlSY_E0_NS1_11comp_targetILNS1_3genE4ELNS1_11target_archE910ELNS1_3gpuE8ELNS1_3repE0EEENS1_38merge_mergepath_config_static_selectorELNS0_4arch9wavefront6targetE1EEEvSK_,"axG",@progbits,_ZN7rocprim17ROCPRIM_400000_NS6detail17trampoline_kernelINS0_14default_configENS1_38merge_sort_block_merge_config_selectorIdNS0_10empty_typeEEEZZNS1_27merge_sort_block_merge_implIS3_N6thrust23THRUST_200600_302600_NS6detail15normal_iteratorINS9_10device_ptrIdEEEEPS5_m14custom_greaterIdEEE10hipError_tT0_T1_T2_jT3_P12ihipStream_tbPNSt15iterator_traitsISJ_E10value_typeEPNSP_ISK_E10value_typeEPSL_NS1_7vsmem_tEENKUlT_SJ_SK_SL_E_clIPdSE_SF_SF_EESI_SY_SJ_SK_SL_EUlSY_E0_NS1_11comp_targetILNS1_3genE4ELNS1_11target_archE910ELNS1_3gpuE8ELNS1_3repE0EEENS1_38merge_mergepath_config_static_selectorELNS0_4arch9wavefront6targetE1EEEvSK_,comdat
.Lfunc_end3624:
	.size	_ZN7rocprim17ROCPRIM_400000_NS6detail17trampoline_kernelINS0_14default_configENS1_38merge_sort_block_merge_config_selectorIdNS0_10empty_typeEEEZZNS1_27merge_sort_block_merge_implIS3_N6thrust23THRUST_200600_302600_NS6detail15normal_iteratorINS9_10device_ptrIdEEEEPS5_m14custom_greaterIdEEE10hipError_tT0_T1_T2_jT3_P12ihipStream_tbPNSt15iterator_traitsISJ_E10value_typeEPNSP_ISK_E10value_typeEPSL_NS1_7vsmem_tEENKUlT_SJ_SK_SL_E_clIPdSE_SF_SF_EESI_SY_SJ_SK_SL_EUlSY_E0_NS1_11comp_targetILNS1_3genE4ELNS1_11target_archE910ELNS1_3gpuE8ELNS1_3repE0EEENS1_38merge_mergepath_config_static_selectorELNS0_4arch9wavefront6targetE1EEEvSK_, .Lfunc_end3624-_ZN7rocprim17ROCPRIM_400000_NS6detail17trampoline_kernelINS0_14default_configENS1_38merge_sort_block_merge_config_selectorIdNS0_10empty_typeEEEZZNS1_27merge_sort_block_merge_implIS3_N6thrust23THRUST_200600_302600_NS6detail15normal_iteratorINS9_10device_ptrIdEEEEPS5_m14custom_greaterIdEEE10hipError_tT0_T1_T2_jT3_P12ihipStream_tbPNSt15iterator_traitsISJ_E10value_typeEPNSP_ISK_E10value_typeEPSL_NS1_7vsmem_tEENKUlT_SJ_SK_SL_E_clIPdSE_SF_SF_EESI_SY_SJ_SK_SL_EUlSY_E0_NS1_11comp_targetILNS1_3genE4ELNS1_11target_archE910ELNS1_3gpuE8ELNS1_3repE0EEENS1_38merge_mergepath_config_static_selectorELNS0_4arch9wavefront6targetE1EEEvSK_
                                        ; -- End function
	.section	.AMDGPU.csdata,"",@progbits
; Kernel info:
; codeLenInByte = 2272
; NumSgprs: 35
; NumVgprs: 21
; NumAgprs: 0
; TotalNumVgprs: 21
; ScratchSize: 0
; MemoryBound: 0
; FloatMode: 240
; IeeeMode: 1
; LDSByteSize: 8448 bytes/workgroup (compile time only)
; SGPRBlocks: 4
; VGPRBlocks: 2
; NumSGPRsForWavesPerEU: 35
; NumVGPRsForWavesPerEU: 21
; AccumOffset: 24
; Occupancy: 7
; WaveLimiterHint : 1
; COMPUTE_PGM_RSRC2:SCRATCH_EN: 0
; COMPUTE_PGM_RSRC2:USER_SGPR: 6
; COMPUTE_PGM_RSRC2:TRAP_HANDLER: 0
; COMPUTE_PGM_RSRC2:TGID_X_EN: 1
; COMPUTE_PGM_RSRC2:TGID_Y_EN: 1
; COMPUTE_PGM_RSRC2:TGID_Z_EN: 1
; COMPUTE_PGM_RSRC2:TIDIG_COMP_CNT: 0
; COMPUTE_PGM_RSRC3_GFX90A:ACCUM_OFFSET: 5
; COMPUTE_PGM_RSRC3_GFX90A:TG_SPLIT: 0
	.section	.text._ZN7rocprim17ROCPRIM_400000_NS6detail17trampoline_kernelINS0_14default_configENS1_38merge_sort_block_merge_config_selectorIdNS0_10empty_typeEEEZZNS1_27merge_sort_block_merge_implIS3_N6thrust23THRUST_200600_302600_NS6detail15normal_iteratorINS9_10device_ptrIdEEEEPS5_m14custom_greaterIdEEE10hipError_tT0_T1_T2_jT3_P12ihipStream_tbPNSt15iterator_traitsISJ_E10value_typeEPNSP_ISK_E10value_typeEPSL_NS1_7vsmem_tEENKUlT_SJ_SK_SL_E_clIPdSE_SF_SF_EESI_SY_SJ_SK_SL_EUlSY_E0_NS1_11comp_targetILNS1_3genE3ELNS1_11target_archE908ELNS1_3gpuE7ELNS1_3repE0EEENS1_38merge_mergepath_config_static_selectorELNS0_4arch9wavefront6targetE1EEEvSK_,"axG",@progbits,_ZN7rocprim17ROCPRIM_400000_NS6detail17trampoline_kernelINS0_14default_configENS1_38merge_sort_block_merge_config_selectorIdNS0_10empty_typeEEEZZNS1_27merge_sort_block_merge_implIS3_N6thrust23THRUST_200600_302600_NS6detail15normal_iteratorINS9_10device_ptrIdEEEEPS5_m14custom_greaterIdEEE10hipError_tT0_T1_T2_jT3_P12ihipStream_tbPNSt15iterator_traitsISJ_E10value_typeEPNSP_ISK_E10value_typeEPSL_NS1_7vsmem_tEENKUlT_SJ_SK_SL_E_clIPdSE_SF_SF_EESI_SY_SJ_SK_SL_EUlSY_E0_NS1_11comp_targetILNS1_3genE3ELNS1_11target_archE908ELNS1_3gpuE7ELNS1_3repE0EEENS1_38merge_mergepath_config_static_selectorELNS0_4arch9wavefront6targetE1EEEvSK_,comdat
	.protected	_ZN7rocprim17ROCPRIM_400000_NS6detail17trampoline_kernelINS0_14default_configENS1_38merge_sort_block_merge_config_selectorIdNS0_10empty_typeEEEZZNS1_27merge_sort_block_merge_implIS3_N6thrust23THRUST_200600_302600_NS6detail15normal_iteratorINS9_10device_ptrIdEEEEPS5_m14custom_greaterIdEEE10hipError_tT0_T1_T2_jT3_P12ihipStream_tbPNSt15iterator_traitsISJ_E10value_typeEPNSP_ISK_E10value_typeEPSL_NS1_7vsmem_tEENKUlT_SJ_SK_SL_E_clIPdSE_SF_SF_EESI_SY_SJ_SK_SL_EUlSY_E0_NS1_11comp_targetILNS1_3genE3ELNS1_11target_archE908ELNS1_3gpuE7ELNS1_3repE0EEENS1_38merge_mergepath_config_static_selectorELNS0_4arch9wavefront6targetE1EEEvSK_ ; -- Begin function _ZN7rocprim17ROCPRIM_400000_NS6detail17trampoline_kernelINS0_14default_configENS1_38merge_sort_block_merge_config_selectorIdNS0_10empty_typeEEEZZNS1_27merge_sort_block_merge_implIS3_N6thrust23THRUST_200600_302600_NS6detail15normal_iteratorINS9_10device_ptrIdEEEEPS5_m14custom_greaterIdEEE10hipError_tT0_T1_T2_jT3_P12ihipStream_tbPNSt15iterator_traitsISJ_E10value_typeEPNSP_ISK_E10value_typeEPSL_NS1_7vsmem_tEENKUlT_SJ_SK_SL_E_clIPdSE_SF_SF_EESI_SY_SJ_SK_SL_EUlSY_E0_NS1_11comp_targetILNS1_3genE3ELNS1_11target_archE908ELNS1_3gpuE7ELNS1_3repE0EEENS1_38merge_mergepath_config_static_selectorELNS0_4arch9wavefront6targetE1EEEvSK_
	.globl	_ZN7rocprim17ROCPRIM_400000_NS6detail17trampoline_kernelINS0_14default_configENS1_38merge_sort_block_merge_config_selectorIdNS0_10empty_typeEEEZZNS1_27merge_sort_block_merge_implIS3_N6thrust23THRUST_200600_302600_NS6detail15normal_iteratorINS9_10device_ptrIdEEEEPS5_m14custom_greaterIdEEE10hipError_tT0_T1_T2_jT3_P12ihipStream_tbPNSt15iterator_traitsISJ_E10value_typeEPNSP_ISK_E10value_typeEPSL_NS1_7vsmem_tEENKUlT_SJ_SK_SL_E_clIPdSE_SF_SF_EESI_SY_SJ_SK_SL_EUlSY_E0_NS1_11comp_targetILNS1_3genE3ELNS1_11target_archE908ELNS1_3gpuE7ELNS1_3repE0EEENS1_38merge_mergepath_config_static_selectorELNS0_4arch9wavefront6targetE1EEEvSK_
	.p2align	8
	.type	_ZN7rocprim17ROCPRIM_400000_NS6detail17trampoline_kernelINS0_14default_configENS1_38merge_sort_block_merge_config_selectorIdNS0_10empty_typeEEEZZNS1_27merge_sort_block_merge_implIS3_N6thrust23THRUST_200600_302600_NS6detail15normal_iteratorINS9_10device_ptrIdEEEEPS5_m14custom_greaterIdEEE10hipError_tT0_T1_T2_jT3_P12ihipStream_tbPNSt15iterator_traitsISJ_E10value_typeEPNSP_ISK_E10value_typeEPSL_NS1_7vsmem_tEENKUlT_SJ_SK_SL_E_clIPdSE_SF_SF_EESI_SY_SJ_SK_SL_EUlSY_E0_NS1_11comp_targetILNS1_3genE3ELNS1_11target_archE908ELNS1_3gpuE7ELNS1_3repE0EEENS1_38merge_mergepath_config_static_selectorELNS0_4arch9wavefront6targetE1EEEvSK_,@function
_ZN7rocprim17ROCPRIM_400000_NS6detail17trampoline_kernelINS0_14default_configENS1_38merge_sort_block_merge_config_selectorIdNS0_10empty_typeEEEZZNS1_27merge_sort_block_merge_implIS3_N6thrust23THRUST_200600_302600_NS6detail15normal_iteratorINS9_10device_ptrIdEEEEPS5_m14custom_greaterIdEEE10hipError_tT0_T1_T2_jT3_P12ihipStream_tbPNSt15iterator_traitsISJ_E10value_typeEPNSP_ISK_E10value_typeEPSL_NS1_7vsmem_tEENKUlT_SJ_SK_SL_E_clIPdSE_SF_SF_EESI_SY_SJ_SK_SL_EUlSY_E0_NS1_11comp_targetILNS1_3genE3ELNS1_11target_archE908ELNS1_3gpuE7ELNS1_3repE0EEENS1_38merge_mergepath_config_static_selectorELNS0_4arch9wavefront6targetE1EEEvSK_: ; @_ZN7rocprim17ROCPRIM_400000_NS6detail17trampoline_kernelINS0_14default_configENS1_38merge_sort_block_merge_config_selectorIdNS0_10empty_typeEEEZZNS1_27merge_sort_block_merge_implIS3_N6thrust23THRUST_200600_302600_NS6detail15normal_iteratorINS9_10device_ptrIdEEEEPS5_m14custom_greaterIdEEE10hipError_tT0_T1_T2_jT3_P12ihipStream_tbPNSt15iterator_traitsISJ_E10value_typeEPNSP_ISK_E10value_typeEPSL_NS1_7vsmem_tEENKUlT_SJ_SK_SL_E_clIPdSE_SF_SF_EESI_SY_SJ_SK_SL_EUlSY_E0_NS1_11comp_targetILNS1_3genE3ELNS1_11target_archE908ELNS1_3gpuE7ELNS1_3repE0EEENS1_38merge_mergepath_config_static_selectorELNS0_4arch9wavefront6targetE1EEEvSK_
; %bb.0:
	.section	.rodata,"a",@progbits
	.p2align	6, 0x0
	.amdhsa_kernel _ZN7rocprim17ROCPRIM_400000_NS6detail17trampoline_kernelINS0_14default_configENS1_38merge_sort_block_merge_config_selectorIdNS0_10empty_typeEEEZZNS1_27merge_sort_block_merge_implIS3_N6thrust23THRUST_200600_302600_NS6detail15normal_iteratorINS9_10device_ptrIdEEEEPS5_m14custom_greaterIdEEE10hipError_tT0_T1_T2_jT3_P12ihipStream_tbPNSt15iterator_traitsISJ_E10value_typeEPNSP_ISK_E10value_typeEPSL_NS1_7vsmem_tEENKUlT_SJ_SK_SL_E_clIPdSE_SF_SF_EESI_SY_SJ_SK_SL_EUlSY_E0_NS1_11comp_targetILNS1_3genE3ELNS1_11target_archE908ELNS1_3gpuE7ELNS1_3repE0EEENS1_38merge_mergepath_config_static_selectorELNS0_4arch9wavefront6targetE1EEEvSK_
		.amdhsa_group_segment_fixed_size 0
		.amdhsa_private_segment_fixed_size 0
		.amdhsa_kernarg_size 72
		.amdhsa_user_sgpr_count 6
		.amdhsa_user_sgpr_private_segment_buffer 1
		.amdhsa_user_sgpr_dispatch_ptr 0
		.amdhsa_user_sgpr_queue_ptr 0
		.amdhsa_user_sgpr_kernarg_segment_ptr 1
		.amdhsa_user_sgpr_dispatch_id 0
		.amdhsa_user_sgpr_flat_scratch_init 0
		.amdhsa_user_sgpr_kernarg_preload_length 0
		.amdhsa_user_sgpr_kernarg_preload_offset 0
		.amdhsa_user_sgpr_private_segment_size 0
		.amdhsa_uses_dynamic_stack 0
		.amdhsa_system_sgpr_private_segment_wavefront_offset 0
		.amdhsa_system_sgpr_workgroup_id_x 1
		.amdhsa_system_sgpr_workgroup_id_y 0
		.amdhsa_system_sgpr_workgroup_id_z 0
		.amdhsa_system_sgpr_workgroup_info 0
		.amdhsa_system_vgpr_workitem_id 0
		.amdhsa_next_free_vgpr 1
		.amdhsa_next_free_sgpr 0
		.amdhsa_accum_offset 4
		.amdhsa_reserve_vcc 0
		.amdhsa_reserve_flat_scratch 0
		.amdhsa_float_round_mode_32 0
		.amdhsa_float_round_mode_16_64 0
		.amdhsa_float_denorm_mode_32 3
		.amdhsa_float_denorm_mode_16_64 3
		.amdhsa_dx10_clamp 1
		.amdhsa_ieee_mode 1
		.amdhsa_fp16_overflow 0
		.amdhsa_tg_split 0
		.amdhsa_exception_fp_ieee_invalid_op 0
		.amdhsa_exception_fp_denorm_src 0
		.amdhsa_exception_fp_ieee_div_zero 0
		.amdhsa_exception_fp_ieee_overflow 0
		.amdhsa_exception_fp_ieee_underflow 0
		.amdhsa_exception_fp_ieee_inexact 0
		.amdhsa_exception_int_div_zero 0
	.end_amdhsa_kernel
	.section	.text._ZN7rocprim17ROCPRIM_400000_NS6detail17trampoline_kernelINS0_14default_configENS1_38merge_sort_block_merge_config_selectorIdNS0_10empty_typeEEEZZNS1_27merge_sort_block_merge_implIS3_N6thrust23THRUST_200600_302600_NS6detail15normal_iteratorINS9_10device_ptrIdEEEEPS5_m14custom_greaterIdEEE10hipError_tT0_T1_T2_jT3_P12ihipStream_tbPNSt15iterator_traitsISJ_E10value_typeEPNSP_ISK_E10value_typeEPSL_NS1_7vsmem_tEENKUlT_SJ_SK_SL_E_clIPdSE_SF_SF_EESI_SY_SJ_SK_SL_EUlSY_E0_NS1_11comp_targetILNS1_3genE3ELNS1_11target_archE908ELNS1_3gpuE7ELNS1_3repE0EEENS1_38merge_mergepath_config_static_selectorELNS0_4arch9wavefront6targetE1EEEvSK_,"axG",@progbits,_ZN7rocprim17ROCPRIM_400000_NS6detail17trampoline_kernelINS0_14default_configENS1_38merge_sort_block_merge_config_selectorIdNS0_10empty_typeEEEZZNS1_27merge_sort_block_merge_implIS3_N6thrust23THRUST_200600_302600_NS6detail15normal_iteratorINS9_10device_ptrIdEEEEPS5_m14custom_greaterIdEEE10hipError_tT0_T1_T2_jT3_P12ihipStream_tbPNSt15iterator_traitsISJ_E10value_typeEPNSP_ISK_E10value_typeEPSL_NS1_7vsmem_tEENKUlT_SJ_SK_SL_E_clIPdSE_SF_SF_EESI_SY_SJ_SK_SL_EUlSY_E0_NS1_11comp_targetILNS1_3genE3ELNS1_11target_archE908ELNS1_3gpuE7ELNS1_3repE0EEENS1_38merge_mergepath_config_static_selectorELNS0_4arch9wavefront6targetE1EEEvSK_,comdat
.Lfunc_end3625:
	.size	_ZN7rocprim17ROCPRIM_400000_NS6detail17trampoline_kernelINS0_14default_configENS1_38merge_sort_block_merge_config_selectorIdNS0_10empty_typeEEEZZNS1_27merge_sort_block_merge_implIS3_N6thrust23THRUST_200600_302600_NS6detail15normal_iteratorINS9_10device_ptrIdEEEEPS5_m14custom_greaterIdEEE10hipError_tT0_T1_T2_jT3_P12ihipStream_tbPNSt15iterator_traitsISJ_E10value_typeEPNSP_ISK_E10value_typeEPSL_NS1_7vsmem_tEENKUlT_SJ_SK_SL_E_clIPdSE_SF_SF_EESI_SY_SJ_SK_SL_EUlSY_E0_NS1_11comp_targetILNS1_3genE3ELNS1_11target_archE908ELNS1_3gpuE7ELNS1_3repE0EEENS1_38merge_mergepath_config_static_selectorELNS0_4arch9wavefront6targetE1EEEvSK_, .Lfunc_end3625-_ZN7rocprim17ROCPRIM_400000_NS6detail17trampoline_kernelINS0_14default_configENS1_38merge_sort_block_merge_config_selectorIdNS0_10empty_typeEEEZZNS1_27merge_sort_block_merge_implIS3_N6thrust23THRUST_200600_302600_NS6detail15normal_iteratorINS9_10device_ptrIdEEEEPS5_m14custom_greaterIdEEE10hipError_tT0_T1_T2_jT3_P12ihipStream_tbPNSt15iterator_traitsISJ_E10value_typeEPNSP_ISK_E10value_typeEPSL_NS1_7vsmem_tEENKUlT_SJ_SK_SL_E_clIPdSE_SF_SF_EESI_SY_SJ_SK_SL_EUlSY_E0_NS1_11comp_targetILNS1_3genE3ELNS1_11target_archE908ELNS1_3gpuE7ELNS1_3repE0EEENS1_38merge_mergepath_config_static_selectorELNS0_4arch9wavefront6targetE1EEEvSK_
                                        ; -- End function
	.section	.AMDGPU.csdata,"",@progbits
; Kernel info:
; codeLenInByte = 0
; NumSgprs: 4
; NumVgprs: 0
; NumAgprs: 0
; TotalNumVgprs: 0
; ScratchSize: 0
; MemoryBound: 0
; FloatMode: 240
; IeeeMode: 1
; LDSByteSize: 0 bytes/workgroup (compile time only)
; SGPRBlocks: 0
; VGPRBlocks: 0
; NumSGPRsForWavesPerEU: 4
; NumVGPRsForWavesPerEU: 1
; AccumOffset: 4
; Occupancy: 8
; WaveLimiterHint : 0
; COMPUTE_PGM_RSRC2:SCRATCH_EN: 0
; COMPUTE_PGM_RSRC2:USER_SGPR: 6
; COMPUTE_PGM_RSRC2:TRAP_HANDLER: 0
; COMPUTE_PGM_RSRC2:TGID_X_EN: 1
; COMPUTE_PGM_RSRC2:TGID_Y_EN: 0
; COMPUTE_PGM_RSRC2:TGID_Z_EN: 0
; COMPUTE_PGM_RSRC2:TIDIG_COMP_CNT: 0
; COMPUTE_PGM_RSRC3_GFX90A:ACCUM_OFFSET: 0
; COMPUTE_PGM_RSRC3_GFX90A:TG_SPLIT: 0
	.section	.text._ZN7rocprim17ROCPRIM_400000_NS6detail17trampoline_kernelINS0_14default_configENS1_38merge_sort_block_merge_config_selectorIdNS0_10empty_typeEEEZZNS1_27merge_sort_block_merge_implIS3_N6thrust23THRUST_200600_302600_NS6detail15normal_iteratorINS9_10device_ptrIdEEEEPS5_m14custom_greaterIdEEE10hipError_tT0_T1_T2_jT3_P12ihipStream_tbPNSt15iterator_traitsISJ_E10value_typeEPNSP_ISK_E10value_typeEPSL_NS1_7vsmem_tEENKUlT_SJ_SK_SL_E_clIPdSE_SF_SF_EESI_SY_SJ_SK_SL_EUlSY_E0_NS1_11comp_targetILNS1_3genE2ELNS1_11target_archE906ELNS1_3gpuE6ELNS1_3repE0EEENS1_38merge_mergepath_config_static_selectorELNS0_4arch9wavefront6targetE1EEEvSK_,"axG",@progbits,_ZN7rocprim17ROCPRIM_400000_NS6detail17trampoline_kernelINS0_14default_configENS1_38merge_sort_block_merge_config_selectorIdNS0_10empty_typeEEEZZNS1_27merge_sort_block_merge_implIS3_N6thrust23THRUST_200600_302600_NS6detail15normal_iteratorINS9_10device_ptrIdEEEEPS5_m14custom_greaterIdEEE10hipError_tT0_T1_T2_jT3_P12ihipStream_tbPNSt15iterator_traitsISJ_E10value_typeEPNSP_ISK_E10value_typeEPSL_NS1_7vsmem_tEENKUlT_SJ_SK_SL_E_clIPdSE_SF_SF_EESI_SY_SJ_SK_SL_EUlSY_E0_NS1_11comp_targetILNS1_3genE2ELNS1_11target_archE906ELNS1_3gpuE6ELNS1_3repE0EEENS1_38merge_mergepath_config_static_selectorELNS0_4arch9wavefront6targetE1EEEvSK_,comdat
	.protected	_ZN7rocprim17ROCPRIM_400000_NS6detail17trampoline_kernelINS0_14default_configENS1_38merge_sort_block_merge_config_selectorIdNS0_10empty_typeEEEZZNS1_27merge_sort_block_merge_implIS3_N6thrust23THRUST_200600_302600_NS6detail15normal_iteratorINS9_10device_ptrIdEEEEPS5_m14custom_greaterIdEEE10hipError_tT0_T1_T2_jT3_P12ihipStream_tbPNSt15iterator_traitsISJ_E10value_typeEPNSP_ISK_E10value_typeEPSL_NS1_7vsmem_tEENKUlT_SJ_SK_SL_E_clIPdSE_SF_SF_EESI_SY_SJ_SK_SL_EUlSY_E0_NS1_11comp_targetILNS1_3genE2ELNS1_11target_archE906ELNS1_3gpuE6ELNS1_3repE0EEENS1_38merge_mergepath_config_static_selectorELNS0_4arch9wavefront6targetE1EEEvSK_ ; -- Begin function _ZN7rocprim17ROCPRIM_400000_NS6detail17trampoline_kernelINS0_14default_configENS1_38merge_sort_block_merge_config_selectorIdNS0_10empty_typeEEEZZNS1_27merge_sort_block_merge_implIS3_N6thrust23THRUST_200600_302600_NS6detail15normal_iteratorINS9_10device_ptrIdEEEEPS5_m14custom_greaterIdEEE10hipError_tT0_T1_T2_jT3_P12ihipStream_tbPNSt15iterator_traitsISJ_E10value_typeEPNSP_ISK_E10value_typeEPSL_NS1_7vsmem_tEENKUlT_SJ_SK_SL_E_clIPdSE_SF_SF_EESI_SY_SJ_SK_SL_EUlSY_E0_NS1_11comp_targetILNS1_3genE2ELNS1_11target_archE906ELNS1_3gpuE6ELNS1_3repE0EEENS1_38merge_mergepath_config_static_selectorELNS0_4arch9wavefront6targetE1EEEvSK_
	.globl	_ZN7rocprim17ROCPRIM_400000_NS6detail17trampoline_kernelINS0_14default_configENS1_38merge_sort_block_merge_config_selectorIdNS0_10empty_typeEEEZZNS1_27merge_sort_block_merge_implIS3_N6thrust23THRUST_200600_302600_NS6detail15normal_iteratorINS9_10device_ptrIdEEEEPS5_m14custom_greaterIdEEE10hipError_tT0_T1_T2_jT3_P12ihipStream_tbPNSt15iterator_traitsISJ_E10value_typeEPNSP_ISK_E10value_typeEPSL_NS1_7vsmem_tEENKUlT_SJ_SK_SL_E_clIPdSE_SF_SF_EESI_SY_SJ_SK_SL_EUlSY_E0_NS1_11comp_targetILNS1_3genE2ELNS1_11target_archE906ELNS1_3gpuE6ELNS1_3repE0EEENS1_38merge_mergepath_config_static_selectorELNS0_4arch9wavefront6targetE1EEEvSK_
	.p2align	8
	.type	_ZN7rocprim17ROCPRIM_400000_NS6detail17trampoline_kernelINS0_14default_configENS1_38merge_sort_block_merge_config_selectorIdNS0_10empty_typeEEEZZNS1_27merge_sort_block_merge_implIS3_N6thrust23THRUST_200600_302600_NS6detail15normal_iteratorINS9_10device_ptrIdEEEEPS5_m14custom_greaterIdEEE10hipError_tT0_T1_T2_jT3_P12ihipStream_tbPNSt15iterator_traitsISJ_E10value_typeEPNSP_ISK_E10value_typeEPSL_NS1_7vsmem_tEENKUlT_SJ_SK_SL_E_clIPdSE_SF_SF_EESI_SY_SJ_SK_SL_EUlSY_E0_NS1_11comp_targetILNS1_3genE2ELNS1_11target_archE906ELNS1_3gpuE6ELNS1_3repE0EEENS1_38merge_mergepath_config_static_selectorELNS0_4arch9wavefront6targetE1EEEvSK_,@function
_ZN7rocprim17ROCPRIM_400000_NS6detail17trampoline_kernelINS0_14default_configENS1_38merge_sort_block_merge_config_selectorIdNS0_10empty_typeEEEZZNS1_27merge_sort_block_merge_implIS3_N6thrust23THRUST_200600_302600_NS6detail15normal_iteratorINS9_10device_ptrIdEEEEPS5_m14custom_greaterIdEEE10hipError_tT0_T1_T2_jT3_P12ihipStream_tbPNSt15iterator_traitsISJ_E10value_typeEPNSP_ISK_E10value_typeEPSL_NS1_7vsmem_tEENKUlT_SJ_SK_SL_E_clIPdSE_SF_SF_EESI_SY_SJ_SK_SL_EUlSY_E0_NS1_11comp_targetILNS1_3genE2ELNS1_11target_archE906ELNS1_3gpuE6ELNS1_3repE0EEENS1_38merge_mergepath_config_static_selectorELNS0_4arch9wavefront6targetE1EEEvSK_: ; @_ZN7rocprim17ROCPRIM_400000_NS6detail17trampoline_kernelINS0_14default_configENS1_38merge_sort_block_merge_config_selectorIdNS0_10empty_typeEEEZZNS1_27merge_sort_block_merge_implIS3_N6thrust23THRUST_200600_302600_NS6detail15normal_iteratorINS9_10device_ptrIdEEEEPS5_m14custom_greaterIdEEE10hipError_tT0_T1_T2_jT3_P12ihipStream_tbPNSt15iterator_traitsISJ_E10value_typeEPNSP_ISK_E10value_typeEPSL_NS1_7vsmem_tEENKUlT_SJ_SK_SL_E_clIPdSE_SF_SF_EESI_SY_SJ_SK_SL_EUlSY_E0_NS1_11comp_targetILNS1_3genE2ELNS1_11target_archE906ELNS1_3gpuE6ELNS1_3repE0EEENS1_38merge_mergepath_config_static_selectorELNS0_4arch9wavefront6targetE1EEEvSK_
; %bb.0:
	.section	.rodata,"a",@progbits
	.p2align	6, 0x0
	.amdhsa_kernel _ZN7rocprim17ROCPRIM_400000_NS6detail17trampoline_kernelINS0_14default_configENS1_38merge_sort_block_merge_config_selectorIdNS0_10empty_typeEEEZZNS1_27merge_sort_block_merge_implIS3_N6thrust23THRUST_200600_302600_NS6detail15normal_iteratorINS9_10device_ptrIdEEEEPS5_m14custom_greaterIdEEE10hipError_tT0_T1_T2_jT3_P12ihipStream_tbPNSt15iterator_traitsISJ_E10value_typeEPNSP_ISK_E10value_typeEPSL_NS1_7vsmem_tEENKUlT_SJ_SK_SL_E_clIPdSE_SF_SF_EESI_SY_SJ_SK_SL_EUlSY_E0_NS1_11comp_targetILNS1_3genE2ELNS1_11target_archE906ELNS1_3gpuE6ELNS1_3repE0EEENS1_38merge_mergepath_config_static_selectorELNS0_4arch9wavefront6targetE1EEEvSK_
		.amdhsa_group_segment_fixed_size 0
		.amdhsa_private_segment_fixed_size 0
		.amdhsa_kernarg_size 72
		.amdhsa_user_sgpr_count 6
		.amdhsa_user_sgpr_private_segment_buffer 1
		.amdhsa_user_sgpr_dispatch_ptr 0
		.amdhsa_user_sgpr_queue_ptr 0
		.amdhsa_user_sgpr_kernarg_segment_ptr 1
		.amdhsa_user_sgpr_dispatch_id 0
		.amdhsa_user_sgpr_flat_scratch_init 0
		.amdhsa_user_sgpr_kernarg_preload_length 0
		.amdhsa_user_sgpr_kernarg_preload_offset 0
		.amdhsa_user_sgpr_private_segment_size 0
		.amdhsa_uses_dynamic_stack 0
		.amdhsa_system_sgpr_private_segment_wavefront_offset 0
		.amdhsa_system_sgpr_workgroup_id_x 1
		.amdhsa_system_sgpr_workgroup_id_y 0
		.amdhsa_system_sgpr_workgroup_id_z 0
		.amdhsa_system_sgpr_workgroup_info 0
		.amdhsa_system_vgpr_workitem_id 0
		.amdhsa_next_free_vgpr 1
		.amdhsa_next_free_sgpr 0
		.amdhsa_accum_offset 4
		.amdhsa_reserve_vcc 0
		.amdhsa_reserve_flat_scratch 0
		.amdhsa_float_round_mode_32 0
		.amdhsa_float_round_mode_16_64 0
		.amdhsa_float_denorm_mode_32 3
		.amdhsa_float_denorm_mode_16_64 3
		.amdhsa_dx10_clamp 1
		.amdhsa_ieee_mode 1
		.amdhsa_fp16_overflow 0
		.amdhsa_tg_split 0
		.amdhsa_exception_fp_ieee_invalid_op 0
		.amdhsa_exception_fp_denorm_src 0
		.amdhsa_exception_fp_ieee_div_zero 0
		.amdhsa_exception_fp_ieee_overflow 0
		.amdhsa_exception_fp_ieee_underflow 0
		.amdhsa_exception_fp_ieee_inexact 0
		.amdhsa_exception_int_div_zero 0
	.end_amdhsa_kernel
	.section	.text._ZN7rocprim17ROCPRIM_400000_NS6detail17trampoline_kernelINS0_14default_configENS1_38merge_sort_block_merge_config_selectorIdNS0_10empty_typeEEEZZNS1_27merge_sort_block_merge_implIS3_N6thrust23THRUST_200600_302600_NS6detail15normal_iteratorINS9_10device_ptrIdEEEEPS5_m14custom_greaterIdEEE10hipError_tT0_T1_T2_jT3_P12ihipStream_tbPNSt15iterator_traitsISJ_E10value_typeEPNSP_ISK_E10value_typeEPSL_NS1_7vsmem_tEENKUlT_SJ_SK_SL_E_clIPdSE_SF_SF_EESI_SY_SJ_SK_SL_EUlSY_E0_NS1_11comp_targetILNS1_3genE2ELNS1_11target_archE906ELNS1_3gpuE6ELNS1_3repE0EEENS1_38merge_mergepath_config_static_selectorELNS0_4arch9wavefront6targetE1EEEvSK_,"axG",@progbits,_ZN7rocprim17ROCPRIM_400000_NS6detail17trampoline_kernelINS0_14default_configENS1_38merge_sort_block_merge_config_selectorIdNS0_10empty_typeEEEZZNS1_27merge_sort_block_merge_implIS3_N6thrust23THRUST_200600_302600_NS6detail15normal_iteratorINS9_10device_ptrIdEEEEPS5_m14custom_greaterIdEEE10hipError_tT0_T1_T2_jT3_P12ihipStream_tbPNSt15iterator_traitsISJ_E10value_typeEPNSP_ISK_E10value_typeEPSL_NS1_7vsmem_tEENKUlT_SJ_SK_SL_E_clIPdSE_SF_SF_EESI_SY_SJ_SK_SL_EUlSY_E0_NS1_11comp_targetILNS1_3genE2ELNS1_11target_archE906ELNS1_3gpuE6ELNS1_3repE0EEENS1_38merge_mergepath_config_static_selectorELNS0_4arch9wavefront6targetE1EEEvSK_,comdat
.Lfunc_end3626:
	.size	_ZN7rocprim17ROCPRIM_400000_NS6detail17trampoline_kernelINS0_14default_configENS1_38merge_sort_block_merge_config_selectorIdNS0_10empty_typeEEEZZNS1_27merge_sort_block_merge_implIS3_N6thrust23THRUST_200600_302600_NS6detail15normal_iteratorINS9_10device_ptrIdEEEEPS5_m14custom_greaterIdEEE10hipError_tT0_T1_T2_jT3_P12ihipStream_tbPNSt15iterator_traitsISJ_E10value_typeEPNSP_ISK_E10value_typeEPSL_NS1_7vsmem_tEENKUlT_SJ_SK_SL_E_clIPdSE_SF_SF_EESI_SY_SJ_SK_SL_EUlSY_E0_NS1_11comp_targetILNS1_3genE2ELNS1_11target_archE906ELNS1_3gpuE6ELNS1_3repE0EEENS1_38merge_mergepath_config_static_selectorELNS0_4arch9wavefront6targetE1EEEvSK_, .Lfunc_end3626-_ZN7rocprim17ROCPRIM_400000_NS6detail17trampoline_kernelINS0_14default_configENS1_38merge_sort_block_merge_config_selectorIdNS0_10empty_typeEEEZZNS1_27merge_sort_block_merge_implIS3_N6thrust23THRUST_200600_302600_NS6detail15normal_iteratorINS9_10device_ptrIdEEEEPS5_m14custom_greaterIdEEE10hipError_tT0_T1_T2_jT3_P12ihipStream_tbPNSt15iterator_traitsISJ_E10value_typeEPNSP_ISK_E10value_typeEPSL_NS1_7vsmem_tEENKUlT_SJ_SK_SL_E_clIPdSE_SF_SF_EESI_SY_SJ_SK_SL_EUlSY_E0_NS1_11comp_targetILNS1_3genE2ELNS1_11target_archE906ELNS1_3gpuE6ELNS1_3repE0EEENS1_38merge_mergepath_config_static_selectorELNS0_4arch9wavefront6targetE1EEEvSK_
                                        ; -- End function
	.section	.AMDGPU.csdata,"",@progbits
; Kernel info:
; codeLenInByte = 0
; NumSgprs: 4
; NumVgprs: 0
; NumAgprs: 0
; TotalNumVgprs: 0
; ScratchSize: 0
; MemoryBound: 0
; FloatMode: 240
; IeeeMode: 1
; LDSByteSize: 0 bytes/workgroup (compile time only)
; SGPRBlocks: 0
; VGPRBlocks: 0
; NumSGPRsForWavesPerEU: 4
; NumVGPRsForWavesPerEU: 1
; AccumOffset: 4
; Occupancy: 8
; WaveLimiterHint : 0
; COMPUTE_PGM_RSRC2:SCRATCH_EN: 0
; COMPUTE_PGM_RSRC2:USER_SGPR: 6
; COMPUTE_PGM_RSRC2:TRAP_HANDLER: 0
; COMPUTE_PGM_RSRC2:TGID_X_EN: 1
; COMPUTE_PGM_RSRC2:TGID_Y_EN: 0
; COMPUTE_PGM_RSRC2:TGID_Z_EN: 0
; COMPUTE_PGM_RSRC2:TIDIG_COMP_CNT: 0
; COMPUTE_PGM_RSRC3_GFX90A:ACCUM_OFFSET: 0
; COMPUTE_PGM_RSRC3_GFX90A:TG_SPLIT: 0
	.section	.text._ZN7rocprim17ROCPRIM_400000_NS6detail17trampoline_kernelINS0_14default_configENS1_38merge_sort_block_merge_config_selectorIdNS0_10empty_typeEEEZZNS1_27merge_sort_block_merge_implIS3_N6thrust23THRUST_200600_302600_NS6detail15normal_iteratorINS9_10device_ptrIdEEEEPS5_m14custom_greaterIdEEE10hipError_tT0_T1_T2_jT3_P12ihipStream_tbPNSt15iterator_traitsISJ_E10value_typeEPNSP_ISK_E10value_typeEPSL_NS1_7vsmem_tEENKUlT_SJ_SK_SL_E_clIPdSE_SF_SF_EESI_SY_SJ_SK_SL_EUlSY_E0_NS1_11comp_targetILNS1_3genE9ELNS1_11target_archE1100ELNS1_3gpuE3ELNS1_3repE0EEENS1_38merge_mergepath_config_static_selectorELNS0_4arch9wavefront6targetE1EEEvSK_,"axG",@progbits,_ZN7rocprim17ROCPRIM_400000_NS6detail17trampoline_kernelINS0_14default_configENS1_38merge_sort_block_merge_config_selectorIdNS0_10empty_typeEEEZZNS1_27merge_sort_block_merge_implIS3_N6thrust23THRUST_200600_302600_NS6detail15normal_iteratorINS9_10device_ptrIdEEEEPS5_m14custom_greaterIdEEE10hipError_tT0_T1_T2_jT3_P12ihipStream_tbPNSt15iterator_traitsISJ_E10value_typeEPNSP_ISK_E10value_typeEPSL_NS1_7vsmem_tEENKUlT_SJ_SK_SL_E_clIPdSE_SF_SF_EESI_SY_SJ_SK_SL_EUlSY_E0_NS1_11comp_targetILNS1_3genE9ELNS1_11target_archE1100ELNS1_3gpuE3ELNS1_3repE0EEENS1_38merge_mergepath_config_static_selectorELNS0_4arch9wavefront6targetE1EEEvSK_,comdat
	.protected	_ZN7rocprim17ROCPRIM_400000_NS6detail17trampoline_kernelINS0_14default_configENS1_38merge_sort_block_merge_config_selectorIdNS0_10empty_typeEEEZZNS1_27merge_sort_block_merge_implIS3_N6thrust23THRUST_200600_302600_NS6detail15normal_iteratorINS9_10device_ptrIdEEEEPS5_m14custom_greaterIdEEE10hipError_tT0_T1_T2_jT3_P12ihipStream_tbPNSt15iterator_traitsISJ_E10value_typeEPNSP_ISK_E10value_typeEPSL_NS1_7vsmem_tEENKUlT_SJ_SK_SL_E_clIPdSE_SF_SF_EESI_SY_SJ_SK_SL_EUlSY_E0_NS1_11comp_targetILNS1_3genE9ELNS1_11target_archE1100ELNS1_3gpuE3ELNS1_3repE0EEENS1_38merge_mergepath_config_static_selectorELNS0_4arch9wavefront6targetE1EEEvSK_ ; -- Begin function _ZN7rocprim17ROCPRIM_400000_NS6detail17trampoline_kernelINS0_14default_configENS1_38merge_sort_block_merge_config_selectorIdNS0_10empty_typeEEEZZNS1_27merge_sort_block_merge_implIS3_N6thrust23THRUST_200600_302600_NS6detail15normal_iteratorINS9_10device_ptrIdEEEEPS5_m14custom_greaterIdEEE10hipError_tT0_T1_T2_jT3_P12ihipStream_tbPNSt15iterator_traitsISJ_E10value_typeEPNSP_ISK_E10value_typeEPSL_NS1_7vsmem_tEENKUlT_SJ_SK_SL_E_clIPdSE_SF_SF_EESI_SY_SJ_SK_SL_EUlSY_E0_NS1_11comp_targetILNS1_3genE9ELNS1_11target_archE1100ELNS1_3gpuE3ELNS1_3repE0EEENS1_38merge_mergepath_config_static_selectorELNS0_4arch9wavefront6targetE1EEEvSK_
	.globl	_ZN7rocprim17ROCPRIM_400000_NS6detail17trampoline_kernelINS0_14default_configENS1_38merge_sort_block_merge_config_selectorIdNS0_10empty_typeEEEZZNS1_27merge_sort_block_merge_implIS3_N6thrust23THRUST_200600_302600_NS6detail15normal_iteratorINS9_10device_ptrIdEEEEPS5_m14custom_greaterIdEEE10hipError_tT0_T1_T2_jT3_P12ihipStream_tbPNSt15iterator_traitsISJ_E10value_typeEPNSP_ISK_E10value_typeEPSL_NS1_7vsmem_tEENKUlT_SJ_SK_SL_E_clIPdSE_SF_SF_EESI_SY_SJ_SK_SL_EUlSY_E0_NS1_11comp_targetILNS1_3genE9ELNS1_11target_archE1100ELNS1_3gpuE3ELNS1_3repE0EEENS1_38merge_mergepath_config_static_selectorELNS0_4arch9wavefront6targetE1EEEvSK_
	.p2align	8
	.type	_ZN7rocprim17ROCPRIM_400000_NS6detail17trampoline_kernelINS0_14default_configENS1_38merge_sort_block_merge_config_selectorIdNS0_10empty_typeEEEZZNS1_27merge_sort_block_merge_implIS3_N6thrust23THRUST_200600_302600_NS6detail15normal_iteratorINS9_10device_ptrIdEEEEPS5_m14custom_greaterIdEEE10hipError_tT0_T1_T2_jT3_P12ihipStream_tbPNSt15iterator_traitsISJ_E10value_typeEPNSP_ISK_E10value_typeEPSL_NS1_7vsmem_tEENKUlT_SJ_SK_SL_E_clIPdSE_SF_SF_EESI_SY_SJ_SK_SL_EUlSY_E0_NS1_11comp_targetILNS1_3genE9ELNS1_11target_archE1100ELNS1_3gpuE3ELNS1_3repE0EEENS1_38merge_mergepath_config_static_selectorELNS0_4arch9wavefront6targetE1EEEvSK_,@function
_ZN7rocprim17ROCPRIM_400000_NS6detail17trampoline_kernelINS0_14default_configENS1_38merge_sort_block_merge_config_selectorIdNS0_10empty_typeEEEZZNS1_27merge_sort_block_merge_implIS3_N6thrust23THRUST_200600_302600_NS6detail15normal_iteratorINS9_10device_ptrIdEEEEPS5_m14custom_greaterIdEEE10hipError_tT0_T1_T2_jT3_P12ihipStream_tbPNSt15iterator_traitsISJ_E10value_typeEPNSP_ISK_E10value_typeEPSL_NS1_7vsmem_tEENKUlT_SJ_SK_SL_E_clIPdSE_SF_SF_EESI_SY_SJ_SK_SL_EUlSY_E0_NS1_11comp_targetILNS1_3genE9ELNS1_11target_archE1100ELNS1_3gpuE3ELNS1_3repE0EEENS1_38merge_mergepath_config_static_selectorELNS0_4arch9wavefront6targetE1EEEvSK_: ; @_ZN7rocprim17ROCPRIM_400000_NS6detail17trampoline_kernelINS0_14default_configENS1_38merge_sort_block_merge_config_selectorIdNS0_10empty_typeEEEZZNS1_27merge_sort_block_merge_implIS3_N6thrust23THRUST_200600_302600_NS6detail15normal_iteratorINS9_10device_ptrIdEEEEPS5_m14custom_greaterIdEEE10hipError_tT0_T1_T2_jT3_P12ihipStream_tbPNSt15iterator_traitsISJ_E10value_typeEPNSP_ISK_E10value_typeEPSL_NS1_7vsmem_tEENKUlT_SJ_SK_SL_E_clIPdSE_SF_SF_EESI_SY_SJ_SK_SL_EUlSY_E0_NS1_11comp_targetILNS1_3genE9ELNS1_11target_archE1100ELNS1_3gpuE3ELNS1_3repE0EEENS1_38merge_mergepath_config_static_selectorELNS0_4arch9wavefront6targetE1EEEvSK_
; %bb.0:
	.section	.rodata,"a",@progbits
	.p2align	6, 0x0
	.amdhsa_kernel _ZN7rocprim17ROCPRIM_400000_NS6detail17trampoline_kernelINS0_14default_configENS1_38merge_sort_block_merge_config_selectorIdNS0_10empty_typeEEEZZNS1_27merge_sort_block_merge_implIS3_N6thrust23THRUST_200600_302600_NS6detail15normal_iteratorINS9_10device_ptrIdEEEEPS5_m14custom_greaterIdEEE10hipError_tT0_T1_T2_jT3_P12ihipStream_tbPNSt15iterator_traitsISJ_E10value_typeEPNSP_ISK_E10value_typeEPSL_NS1_7vsmem_tEENKUlT_SJ_SK_SL_E_clIPdSE_SF_SF_EESI_SY_SJ_SK_SL_EUlSY_E0_NS1_11comp_targetILNS1_3genE9ELNS1_11target_archE1100ELNS1_3gpuE3ELNS1_3repE0EEENS1_38merge_mergepath_config_static_selectorELNS0_4arch9wavefront6targetE1EEEvSK_
		.amdhsa_group_segment_fixed_size 0
		.amdhsa_private_segment_fixed_size 0
		.amdhsa_kernarg_size 72
		.amdhsa_user_sgpr_count 6
		.amdhsa_user_sgpr_private_segment_buffer 1
		.amdhsa_user_sgpr_dispatch_ptr 0
		.amdhsa_user_sgpr_queue_ptr 0
		.amdhsa_user_sgpr_kernarg_segment_ptr 1
		.amdhsa_user_sgpr_dispatch_id 0
		.amdhsa_user_sgpr_flat_scratch_init 0
		.amdhsa_user_sgpr_kernarg_preload_length 0
		.amdhsa_user_sgpr_kernarg_preload_offset 0
		.amdhsa_user_sgpr_private_segment_size 0
		.amdhsa_uses_dynamic_stack 0
		.amdhsa_system_sgpr_private_segment_wavefront_offset 0
		.amdhsa_system_sgpr_workgroup_id_x 1
		.amdhsa_system_sgpr_workgroup_id_y 0
		.amdhsa_system_sgpr_workgroup_id_z 0
		.amdhsa_system_sgpr_workgroup_info 0
		.amdhsa_system_vgpr_workitem_id 0
		.amdhsa_next_free_vgpr 1
		.amdhsa_next_free_sgpr 0
		.amdhsa_accum_offset 4
		.amdhsa_reserve_vcc 0
		.amdhsa_reserve_flat_scratch 0
		.amdhsa_float_round_mode_32 0
		.amdhsa_float_round_mode_16_64 0
		.amdhsa_float_denorm_mode_32 3
		.amdhsa_float_denorm_mode_16_64 3
		.amdhsa_dx10_clamp 1
		.amdhsa_ieee_mode 1
		.amdhsa_fp16_overflow 0
		.amdhsa_tg_split 0
		.amdhsa_exception_fp_ieee_invalid_op 0
		.amdhsa_exception_fp_denorm_src 0
		.amdhsa_exception_fp_ieee_div_zero 0
		.amdhsa_exception_fp_ieee_overflow 0
		.amdhsa_exception_fp_ieee_underflow 0
		.amdhsa_exception_fp_ieee_inexact 0
		.amdhsa_exception_int_div_zero 0
	.end_amdhsa_kernel
	.section	.text._ZN7rocprim17ROCPRIM_400000_NS6detail17trampoline_kernelINS0_14default_configENS1_38merge_sort_block_merge_config_selectorIdNS0_10empty_typeEEEZZNS1_27merge_sort_block_merge_implIS3_N6thrust23THRUST_200600_302600_NS6detail15normal_iteratorINS9_10device_ptrIdEEEEPS5_m14custom_greaterIdEEE10hipError_tT0_T1_T2_jT3_P12ihipStream_tbPNSt15iterator_traitsISJ_E10value_typeEPNSP_ISK_E10value_typeEPSL_NS1_7vsmem_tEENKUlT_SJ_SK_SL_E_clIPdSE_SF_SF_EESI_SY_SJ_SK_SL_EUlSY_E0_NS1_11comp_targetILNS1_3genE9ELNS1_11target_archE1100ELNS1_3gpuE3ELNS1_3repE0EEENS1_38merge_mergepath_config_static_selectorELNS0_4arch9wavefront6targetE1EEEvSK_,"axG",@progbits,_ZN7rocprim17ROCPRIM_400000_NS6detail17trampoline_kernelINS0_14default_configENS1_38merge_sort_block_merge_config_selectorIdNS0_10empty_typeEEEZZNS1_27merge_sort_block_merge_implIS3_N6thrust23THRUST_200600_302600_NS6detail15normal_iteratorINS9_10device_ptrIdEEEEPS5_m14custom_greaterIdEEE10hipError_tT0_T1_T2_jT3_P12ihipStream_tbPNSt15iterator_traitsISJ_E10value_typeEPNSP_ISK_E10value_typeEPSL_NS1_7vsmem_tEENKUlT_SJ_SK_SL_E_clIPdSE_SF_SF_EESI_SY_SJ_SK_SL_EUlSY_E0_NS1_11comp_targetILNS1_3genE9ELNS1_11target_archE1100ELNS1_3gpuE3ELNS1_3repE0EEENS1_38merge_mergepath_config_static_selectorELNS0_4arch9wavefront6targetE1EEEvSK_,comdat
.Lfunc_end3627:
	.size	_ZN7rocprim17ROCPRIM_400000_NS6detail17trampoline_kernelINS0_14default_configENS1_38merge_sort_block_merge_config_selectorIdNS0_10empty_typeEEEZZNS1_27merge_sort_block_merge_implIS3_N6thrust23THRUST_200600_302600_NS6detail15normal_iteratorINS9_10device_ptrIdEEEEPS5_m14custom_greaterIdEEE10hipError_tT0_T1_T2_jT3_P12ihipStream_tbPNSt15iterator_traitsISJ_E10value_typeEPNSP_ISK_E10value_typeEPSL_NS1_7vsmem_tEENKUlT_SJ_SK_SL_E_clIPdSE_SF_SF_EESI_SY_SJ_SK_SL_EUlSY_E0_NS1_11comp_targetILNS1_3genE9ELNS1_11target_archE1100ELNS1_3gpuE3ELNS1_3repE0EEENS1_38merge_mergepath_config_static_selectorELNS0_4arch9wavefront6targetE1EEEvSK_, .Lfunc_end3627-_ZN7rocprim17ROCPRIM_400000_NS6detail17trampoline_kernelINS0_14default_configENS1_38merge_sort_block_merge_config_selectorIdNS0_10empty_typeEEEZZNS1_27merge_sort_block_merge_implIS3_N6thrust23THRUST_200600_302600_NS6detail15normal_iteratorINS9_10device_ptrIdEEEEPS5_m14custom_greaterIdEEE10hipError_tT0_T1_T2_jT3_P12ihipStream_tbPNSt15iterator_traitsISJ_E10value_typeEPNSP_ISK_E10value_typeEPSL_NS1_7vsmem_tEENKUlT_SJ_SK_SL_E_clIPdSE_SF_SF_EESI_SY_SJ_SK_SL_EUlSY_E0_NS1_11comp_targetILNS1_3genE9ELNS1_11target_archE1100ELNS1_3gpuE3ELNS1_3repE0EEENS1_38merge_mergepath_config_static_selectorELNS0_4arch9wavefront6targetE1EEEvSK_
                                        ; -- End function
	.section	.AMDGPU.csdata,"",@progbits
; Kernel info:
; codeLenInByte = 0
; NumSgprs: 4
; NumVgprs: 0
; NumAgprs: 0
; TotalNumVgprs: 0
; ScratchSize: 0
; MemoryBound: 0
; FloatMode: 240
; IeeeMode: 1
; LDSByteSize: 0 bytes/workgroup (compile time only)
; SGPRBlocks: 0
; VGPRBlocks: 0
; NumSGPRsForWavesPerEU: 4
; NumVGPRsForWavesPerEU: 1
; AccumOffset: 4
; Occupancy: 8
; WaveLimiterHint : 0
; COMPUTE_PGM_RSRC2:SCRATCH_EN: 0
; COMPUTE_PGM_RSRC2:USER_SGPR: 6
; COMPUTE_PGM_RSRC2:TRAP_HANDLER: 0
; COMPUTE_PGM_RSRC2:TGID_X_EN: 1
; COMPUTE_PGM_RSRC2:TGID_Y_EN: 0
; COMPUTE_PGM_RSRC2:TGID_Z_EN: 0
; COMPUTE_PGM_RSRC2:TIDIG_COMP_CNT: 0
; COMPUTE_PGM_RSRC3_GFX90A:ACCUM_OFFSET: 0
; COMPUTE_PGM_RSRC3_GFX90A:TG_SPLIT: 0
	.section	.text._ZN7rocprim17ROCPRIM_400000_NS6detail17trampoline_kernelINS0_14default_configENS1_38merge_sort_block_merge_config_selectorIdNS0_10empty_typeEEEZZNS1_27merge_sort_block_merge_implIS3_N6thrust23THRUST_200600_302600_NS6detail15normal_iteratorINS9_10device_ptrIdEEEEPS5_m14custom_greaterIdEEE10hipError_tT0_T1_T2_jT3_P12ihipStream_tbPNSt15iterator_traitsISJ_E10value_typeEPNSP_ISK_E10value_typeEPSL_NS1_7vsmem_tEENKUlT_SJ_SK_SL_E_clIPdSE_SF_SF_EESI_SY_SJ_SK_SL_EUlSY_E0_NS1_11comp_targetILNS1_3genE8ELNS1_11target_archE1030ELNS1_3gpuE2ELNS1_3repE0EEENS1_38merge_mergepath_config_static_selectorELNS0_4arch9wavefront6targetE1EEEvSK_,"axG",@progbits,_ZN7rocprim17ROCPRIM_400000_NS6detail17trampoline_kernelINS0_14default_configENS1_38merge_sort_block_merge_config_selectorIdNS0_10empty_typeEEEZZNS1_27merge_sort_block_merge_implIS3_N6thrust23THRUST_200600_302600_NS6detail15normal_iteratorINS9_10device_ptrIdEEEEPS5_m14custom_greaterIdEEE10hipError_tT0_T1_T2_jT3_P12ihipStream_tbPNSt15iterator_traitsISJ_E10value_typeEPNSP_ISK_E10value_typeEPSL_NS1_7vsmem_tEENKUlT_SJ_SK_SL_E_clIPdSE_SF_SF_EESI_SY_SJ_SK_SL_EUlSY_E0_NS1_11comp_targetILNS1_3genE8ELNS1_11target_archE1030ELNS1_3gpuE2ELNS1_3repE0EEENS1_38merge_mergepath_config_static_selectorELNS0_4arch9wavefront6targetE1EEEvSK_,comdat
	.protected	_ZN7rocprim17ROCPRIM_400000_NS6detail17trampoline_kernelINS0_14default_configENS1_38merge_sort_block_merge_config_selectorIdNS0_10empty_typeEEEZZNS1_27merge_sort_block_merge_implIS3_N6thrust23THRUST_200600_302600_NS6detail15normal_iteratorINS9_10device_ptrIdEEEEPS5_m14custom_greaterIdEEE10hipError_tT0_T1_T2_jT3_P12ihipStream_tbPNSt15iterator_traitsISJ_E10value_typeEPNSP_ISK_E10value_typeEPSL_NS1_7vsmem_tEENKUlT_SJ_SK_SL_E_clIPdSE_SF_SF_EESI_SY_SJ_SK_SL_EUlSY_E0_NS1_11comp_targetILNS1_3genE8ELNS1_11target_archE1030ELNS1_3gpuE2ELNS1_3repE0EEENS1_38merge_mergepath_config_static_selectorELNS0_4arch9wavefront6targetE1EEEvSK_ ; -- Begin function _ZN7rocprim17ROCPRIM_400000_NS6detail17trampoline_kernelINS0_14default_configENS1_38merge_sort_block_merge_config_selectorIdNS0_10empty_typeEEEZZNS1_27merge_sort_block_merge_implIS3_N6thrust23THRUST_200600_302600_NS6detail15normal_iteratorINS9_10device_ptrIdEEEEPS5_m14custom_greaterIdEEE10hipError_tT0_T1_T2_jT3_P12ihipStream_tbPNSt15iterator_traitsISJ_E10value_typeEPNSP_ISK_E10value_typeEPSL_NS1_7vsmem_tEENKUlT_SJ_SK_SL_E_clIPdSE_SF_SF_EESI_SY_SJ_SK_SL_EUlSY_E0_NS1_11comp_targetILNS1_3genE8ELNS1_11target_archE1030ELNS1_3gpuE2ELNS1_3repE0EEENS1_38merge_mergepath_config_static_selectorELNS0_4arch9wavefront6targetE1EEEvSK_
	.globl	_ZN7rocprim17ROCPRIM_400000_NS6detail17trampoline_kernelINS0_14default_configENS1_38merge_sort_block_merge_config_selectorIdNS0_10empty_typeEEEZZNS1_27merge_sort_block_merge_implIS3_N6thrust23THRUST_200600_302600_NS6detail15normal_iteratorINS9_10device_ptrIdEEEEPS5_m14custom_greaterIdEEE10hipError_tT0_T1_T2_jT3_P12ihipStream_tbPNSt15iterator_traitsISJ_E10value_typeEPNSP_ISK_E10value_typeEPSL_NS1_7vsmem_tEENKUlT_SJ_SK_SL_E_clIPdSE_SF_SF_EESI_SY_SJ_SK_SL_EUlSY_E0_NS1_11comp_targetILNS1_3genE8ELNS1_11target_archE1030ELNS1_3gpuE2ELNS1_3repE0EEENS1_38merge_mergepath_config_static_selectorELNS0_4arch9wavefront6targetE1EEEvSK_
	.p2align	8
	.type	_ZN7rocprim17ROCPRIM_400000_NS6detail17trampoline_kernelINS0_14default_configENS1_38merge_sort_block_merge_config_selectorIdNS0_10empty_typeEEEZZNS1_27merge_sort_block_merge_implIS3_N6thrust23THRUST_200600_302600_NS6detail15normal_iteratorINS9_10device_ptrIdEEEEPS5_m14custom_greaterIdEEE10hipError_tT0_T1_T2_jT3_P12ihipStream_tbPNSt15iterator_traitsISJ_E10value_typeEPNSP_ISK_E10value_typeEPSL_NS1_7vsmem_tEENKUlT_SJ_SK_SL_E_clIPdSE_SF_SF_EESI_SY_SJ_SK_SL_EUlSY_E0_NS1_11comp_targetILNS1_3genE8ELNS1_11target_archE1030ELNS1_3gpuE2ELNS1_3repE0EEENS1_38merge_mergepath_config_static_selectorELNS0_4arch9wavefront6targetE1EEEvSK_,@function
_ZN7rocprim17ROCPRIM_400000_NS6detail17trampoline_kernelINS0_14default_configENS1_38merge_sort_block_merge_config_selectorIdNS0_10empty_typeEEEZZNS1_27merge_sort_block_merge_implIS3_N6thrust23THRUST_200600_302600_NS6detail15normal_iteratorINS9_10device_ptrIdEEEEPS5_m14custom_greaterIdEEE10hipError_tT0_T1_T2_jT3_P12ihipStream_tbPNSt15iterator_traitsISJ_E10value_typeEPNSP_ISK_E10value_typeEPSL_NS1_7vsmem_tEENKUlT_SJ_SK_SL_E_clIPdSE_SF_SF_EESI_SY_SJ_SK_SL_EUlSY_E0_NS1_11comp_targetILNS1_3genE8ELNS1_11target_archE1030ELNS1_3gpuE2ELNS1_3repE0EEENS1_38merge_mergepath_config_static_selectorELNS0_4arch9wavefront6targetE1EEEvSK_: ; @_ZN7rocprim17ROCPRIM_400000_NS6detail17trampoline_kernelINS0_14default_configENS1_38merge_sort_block_merge_config_selectorIdNS0_10empty_typeEEEZZNS1_27merge_sort_block_merge_implIS3_N6thrust23THRUST_200600_302600_NS6detail15normal_iteratorINS9_10device_ptrIdEEEEPS5_m14custom_greaterIdEEE10hipError_tT0_T1_T2_jT3_P12ihipStream_tbPNSt15iterator_traitsISJ_E10value_typeEPNSP_ISK_E10value_typeEPSL_NS1_7vsmem_tEENKUlT_SJ_SK_SL_E_clIPdSE_SF_SF_EESI_SY_SJ_SK_SL_EUlSY_E0_NS1_11comp_targetILNS1_3genE8ELNS1_11target_archE1030ELNS1_3gpuE2ELNS1_3repE0EEENS1_38merge_mergepath_config_static_selectorELNS0_4arch9wavefront6targetE1EEEvSK_
; %bb.0:
	.section	.rodata,"a",@progbits
	.p2align	6, 0x0
	.amdhsa_kernel _ZN7rocprim17ROCPRIM_400000_NS6detail17trampoline_kernelINS0_14default_configENS1_38merge_sort_block_merge_config_selectorIdNS0_10empty_typeEEEZZNS1_27merge_sort_block_merge_implIS3_N6thrust23THRUST_200600_302600_NS6detail15normal_iteratorINS9_10device_ptrIdEEEEPS5_m14custom_greaterIdEEE10hipError_tT0_T1_T2_jT3_P12ihipStream_tbPNSt15iterator_traitsISJ_E10value_typeEPNSP_ISK_E10value_typeEPSL_NS1_7vsmem_tEENKUlT_SJ_SK_SL_E_clIPdSE_SF_SF_EESI_SY_SJ_SK_SL_EUlSY_E0_NS1_11comp_targetILNS1_3genE8ELNS1_11target_archE1030ELNS1_3gpuE2ELNS1_3repE0EEENS1_38merge_mergepath_config_static_selectorELNS0_4arch9wavefront6targetE1EEEvSK_
		.amdhsa_group_segment_fixed_size 0
		.amdhsa_private_segment_fixed_size 0
		.amdhsa_kernarg_size 72
		.amdhsa_user_sgpr_count 6
		.amdhsa_user_sgpr_private_segment_buffer 1
		.amdhsa_user_sgpr_dispatch_ptr 0
		.amdhsa_user_sgpr_queue_ptr 0
		.amdhsa_user_sgpr_kernarg_segment_ptr 1
		.amdhsa_user_sgpr_dispatch_id 0
		.amdhsa_user_sgpr_flat_scratch_init 0
		.amdhsa_user_sgpr_kernarg_preload_length 0
		.amdhsa_user_sgpr_kernarg_preload_offset 0
		.amdhsa_user_sgpr_private_segment_size 0
		.amdhsa_uses_dynamic_stack 0
		.amdhsa_system_sgpr_private_segment_wavefront_offset 0
		.amdhsa_system_sgpr_workgroup_id_x 1
		.amdhsa_system_sgpr_workgroup_id_y 0
		.amdhsa_system_sgpr_workgroup_id_z 0
		.amdhsa_system_sgpr_workgroup_info 0
		.amdhsa_system_vgpr_workitem_id 0
		.amdhsa_next_free_vgpr 1
		.amdhsa_next_free_sgpr 0
		.amdhsa_accum_offset 4
		.amdhsa_reserve_vcc 0
		.amdhsa_reserve_flat_scratch 0
		.amdhsa_float_round_mode_32 0
		.amdhsa_float_round_mode_16_64 0
		.amdhsa_float_denorm_mode_32 3
		.amdhsa_float_denorm_mode_16_64 3
		.amdhsa_dx10_clamp 1
		.amdhsa_ieee_mode 1
		.amdhsa_fp16_overflow 0
		.amdhsa_tg_split 0
		.amdhsa_exception_fp_ieee_invalid_op 0
		.amdhsa_exception_fp_denorm_src 0
		.amdhsa_exception_fp_ieee_div_zero 0
		.amdhsa_exception_fp_ieee_overflow 0
		.amdhsa_exception_fp_ieee_underflow 0
		.amdhsa_exception_fp_ieee_inexact 0
		.amdhsa_exception_int_div_zero 0
	.end_amdhsa_kernel
	.section	.text._ZN7rocprim17ROCPRIM_400000_NS6detail17trampoline_kernelINS0_14default_configENS1_38merge_sort_block_merge_config_selectorIdNS0_10empty_typeEEEZZNS1_27merge_sort_block_merge_implIS3_N6thrust23THRUST_200600_302600_NS6detail15normal_iteratorINS9_10device_ptrIdEEEEPS5_m14custom_greaterIdEEE10hipError_tT0_T1_T2_jT3_P12ihipStream_tbPNSt15iterator_traitsISJ_E10value_typeEPNSP_ISK_E10value_typeEPSL_NS1_7vsmem_tEENKUlT_SJ_SK_SL_E_clIPdSE_SF_SF_EESI_SY_SJ_SK_SL_EUlSY_E0_NS1_11comp_targetILNS1_3genE8ELNS1_11target_archE1030ELNS1_3gpuE2ELNS1_3repE0EEENS1_38merge_mergepath_config_static_selectorELNS0_4arch9wavefront6targetE1EEEvSK_,"axG",@progbits,_ZN7rocprim17ROCPRIM_400000_NS6detail17trampoline_kernelINS0_14default_configENS1_38merge_sort_block_merge_config_selectorIdNS0_10empty_typeEEEZZNS1_27merge_sort_block_merge_implIS3_N6thrust23THRUST_200600_302600_NS6detail15normal_iteratorINS9_10device_ptrIdEEEEPS5_m14custom_greaterIdEEE10hipError_tT0_T1_T2_jT3_P12ihipStream_tbPNSt15iterator_traitsISJ_E10value_typeEPNSP_ISK_E10value_typeEPSL_NS1_7vsmem_tEENKUlT_SJ_SK_SL_E_clIPdSE_SF_SF_EESI_SY_SJ_SK_SL_EUlSY_E0_NS1_11comp_targetILNS1_3genE8ELNS1_11target_archE1030ELNS1_3gpuE2ELNS1_3repE0EEENS1_38merge_mergepath_config_static_selectorELNS0_4arch9wavefront6targetE1EEEvSK_,comdat
.Lfunc_end3628:
	.size	_ZN7rocprim17ROCPRIM_400000_NS6detail17trampoline_kernelINS0_14default_configENS1_38merge_sort_block_merge_config_selectorIdNS0_10empty_typeEEEZZNS1_27merge_sort_block_merge_implIS3_N6thrust23THRUST_200600_302600_NS6detail15normal_iteratorINS9_10device_ptrIdEEEEPS5_m14custom_greaterIdEEE10hipError_tT0_T1_T2_jT3_P12ihipStream_tbPNSt15iterator_traitsISJ_E10value_typeEPNSP_ISK_E10value_typeEPSL_NS1_7vsmem_tEENKUlT_SJ_SK_SL_E_clIPdSE_SF_SF_EESI_SY_SJ_SK_SL_EUlSY_E0_NS1_11comp_targetILNS1_3genE8ELNS1_11target_archE1030ELNS1_3gpuE2ELNS1_3repE0EEENS1_38merge_mergepath_config_static_selectorELNS0_4arch9wavefront6targetE1EEEvSK_, .Lfunc_end3628-_ZN7rocprim17ROCPRIM_400000_NS6detail17trampoline_kernelINS0_14default_configENS1_38merge_sort_block_merge_config_selectorIdNS0_10empty_typeEEEZZNS1_27merge_sort_block_merge_implIS3_N6thrust23THRUST_200600_302600_NS6detail15normal_iteratorINS9_10device_ptrIdEEEEPS5_m14custom_greaterIdEEE10hipError_tT0_T1_T2_jT3_P12ihipStream_tbPNSt15iterator_traitsISJ_E10value_typeEPNSP_ISK_E10value_typeEPSL_NS1_7vsmem_tEENKUlT_SJ_SK_SL_E_clIPdSE_SF_SF_EESI_SY_SJ_SK_SL_EUlSY_E0_NS1_11comp_targetILNS1_3genE8ELNS1_11target_archE1030ELNS1_3gpuE2ELNS1_3repE0EEENS1_38merge_mergepath_config_static_selectorELNS0_4arch9wavefront6targetE1EEEvSK_
                                        ; -- End function
	.section	.AMDGPU.csdata,"",@progbits
; Kernel info:
; codeLenInByte = 0
; NumSgprs: 4
; NumVgprs: 0
; NumAgprs: 0
; TotalNumVgprs: 0
; ScratchSize: 0
; MemoryBound: 0
; FloatMode: 240
; IeeeMode: 1
; LDSByteSize: 0 bytes/workgroup (compile time only)
; SGPRBlocks: 0
; VGPRBlocks: 0
; NumSGPRsForWavesPerEU: 4
; NumVGPRsForWavesPerEU: 1
; AccumOffset: 4
; Occupancy: 8
; WaveLimiterHint : 0
; COMPUTE_PGM_RSRC2:SCRATCH_EN: 0
; COMPUTE_PGM_RSRC2:USER_SGPR: 6
; COMPUTE_PGM_RSRC2:TRAP_HANDLER: 0
; COMPUTE_PGM_RSRC2:TGID_X_EN: 1
; COMPUTE_PGM_RSRC2:TGID_Y_EN: 0
; COMPUTE_PGM_RSRC2:TGID_Z_EN: 0
; COMPUTE_PGM_RSRC2:TIDIG_COMP_CNT: 0
; COMPUTE_PGM_RSRC3_GFX90A:ACCUM_OFFSET: 0
; COMPUTE_PGM_RSRC3_GFX90A:TG_SPLIT: 0
	.section	.text._ZN7rocprim17ROCPRIM_400000_NS6detail17trampoline_kernelINS0_14default_configENS1_38merge_sort_block_merge_config_selectorIdNS0_10empty_typeEEEZZNS1_27merge_sort_block_merge_implIS3_N6thrust23THRUST_200600_302600_NS6detail15normal_iteratorINS9_10device_ptrIdEEEEPS5_m14custom_greaterIdEEE10hipError_tT0_T1_T2_jT3_P12ihipStream_tbPNSt15iterator_traitsISJ_E10value_typeEPNSP_ISK_E10value_typeEPSL_NS1_7vsmem_tEENKUlT_SJ_SK_SL_E_clIPdSE_SF_SF_EESI_SY_SJ_SK_SL_EUlSY_E1_NS1_11comp_targetILNS1_3genE0ELNS1_11target_archE4294967295ELNS1_3gpuE0ELNS1_3repE0EEENS1_36merge_oddeven_config_static_selectorELNS0_4arch9wavefront6targetE1EEEvSK_,"axG",@progbits,_ZN7rocprim17ROCPRIM_400000_NS6detail17trampoline_kernelINS0_14default_configENS1_38merge_sort_block_merge_config_selectorIdNS0_10empty_typeEEEZZNS1_27merge_sort_block_merge_implIS3_N6thrust23THRUST_200600_302600_NS6detail15normal_iteratorINS9_10device_ptrIdEEEEPS5_m14custom_greaterIdEEE10hipError_tT0_T1_T2_jT3_P12ihipStream_tbPNSt15iterator_traitsISJ_E10value_typeEPNSP_ISK_E10value_typeEPSL_NS1_7vsmem_tEENKUlT_SJ_SK_SL_E_clIPdSE_SF_SF_EESI_SY_SJ_SK_SL_EUlSY_E1_NS1_11comp_targetILNS1_3genE0ELNS1_11target_archE4294967295ELNS1_3gpuE0ELNS1_3repE0EEENS1_36merge_oddeven_config_static_selectorELNS0_4arch9wavefront6targetE1EEEvSK_,comdat
	.protected	_ZN7rocprim17ROCPRIM_400000_NS6detail17trampoline_kernelINS0_14default_configENS1_38merge_sort_block_merge_config_selectorIdNS0_10empty_typeEEEZZNS1_27merge_sort_block_merge_implIS3_N6thrust23THRUST_200600_302600_NS6detail15normal_iteratorINS9_10device_ptrIdEEEEPS5_m14custom_greaterIdEEE10hipError_tT0_T1_T2_jT3_P12ihipStream_tbPNSt15iterator_traitsISJ_E10value_typeEPNSP_ISK_E10value_typeEPSL_NS1_7vsmem_tEENKUlT_SJ_SK_SL_E_clIPdSE_SF_SF_EESI_SY_SJ_SK_SL_EUlSY_E1_NS1_11comp_targetILNS1_3genE0ELNS1_11target_archE4294967295ELNS1_3gpuE0ELNS1_3repE0EEENS1_36merge_oddeven_config_static_selectorELNS0_4arch9wavefront6targetE1EEEvSK_ ; -- Begin function _ZN7rocprim17ROCPRIM_400000_NS6detail17trampoline_kernelINS0_14default_configENS1_38merge_sort_block_merge_config_selectorIdNS0_10empty_typeEEEZZNS1_27merge_sort_block_merge_implIS3_N6thrust23THRUST_200600_302600_NS6detail15normal_iteratorINS9_10device_ptrIdEEEEPS5_m14custom_greaterIdEEE10hipError_tT0_T1_T2_jT3_P12ihipStream_tbPNSt15iterator_traitsISJ_E10value_typeEPNSP_ISK_E10value_typeEPSL_NS1_7vsmem_tEENKUlT_SJ_SK_SL_E_clIPdSE_SF_SF_EESI_SY_SJ_SK_SL_EUlSY_E1_NS1_11comp_targetILNS1_3genE0ELNS1_11target_archE4294967295ELNS1_3gpuE0ELNS1_3repE0EEENS1_36merge_oddeven_config_static_selectorELNS0_4arch9wavefront6targetE1EEEvSK_
	.globl	_ZN7rocprim17ROCPRIM_400000_NS6detail17trampoline_kernelINS0_14default_configENS1_38merge_sort_block_merge_config_selectorIdNS0_10empty_typeEEEZZNS1_27merge_sort_block_merge_implIS3_N6thrust23THRUST_200600_302600_NS6detail15normal_iteratorINS9_10device_ptrIdEEEEPS5_m14custom_greaterIdEEE10hipError_tT0_T1_T2_jT3_P12ihipStream_tbPNSt15iterator_traitsISJ_E10value_typeEPNSP_ISK_E10value_typeEPSL_NS1_7vsmem_tEENKUlT_SJ_SK_SL_E_clIPdSE_SF_SF_EESI_SY_SJ_SK_SL_EUlSY_E1_NS1_11comp_targetILNS1_3genE0ELNS1_11target_archE4294967295ELNS1_3gpuE0ELNS1_3repE0EEENS1_36merge_oddeven_config_static_selectorELNS0_4arch9wavefront6targetE1EEEvSK_
	.p2align	8
	.type	_ZN7rocprim17ROCPRIM_400000_NS6detail17trampoline_kernelINS0_14default_configENS1_38merge_sort_block_merge_config_selectorIdNS0_10empty_typeEEEZZNS1_27merge_sort_block_merge_implIS3_N6thrust23THRUST_200600_302600_NS6detail15normal_iteratorINS9_10device_ptrIdEEEEPS5_m14custom_greaterIdEEE10hipError_tT0_T1_T2_jT3_P12ihipStream_tbPNSt15iterator_traitsISJ_E10value_typeEPNSP_ISK_E10value_typeEPSL_NS1_7vsmem_tEENKUlT_SJ_SK_SL_E_clIPdSE_SF_SF_EESI_SY_SJ_SK_SL_EUlSY_E1_NS1_11comp_targetILNS1_3genE0ELNS1_11target_archE4294967295ELNS1_3gpuE0ELNS1_3repE0EEENS1_36merge_oddeven_config_static_selectorELNS0_4arch9wavefront6targetE1EEEvSK_,@function
_ZN7rocprim17ROCPRIM_400000_NS6detail17trampoline_kernelINS0_14default_configENS1_38merge_sort_block_merge_config_selectorIdNS0_10empty_typeEEEZZNS1_27merge_sort_block_merge_implIS3_N6thrust23THRUST_200600_302600_NS6detail15normal_iteratorINS9_10device_ptrIdEEEEPS5_m14custom_greaterIdEEE10hipError_tT0_T1_T2_jT3_P12ihipStream_tbPNSt15iterator_traitsISJ_E10value_typeEPNSP_ISK_E10value_typeEPSL_NS1_7vsmem_tEENKUlT_SJ_SK_SL_E_clIPdSE_SF_SF_EESI_SY_SJ_SK_SL_EUlSY_E1_NS1_11comp_targetILNS1_3genE0ELNS1_11target_archE4294967295ELNS1_3gpuE0ELNS1_3repE0EEENS1_36merge_oddeven_config_static_selectorELNS0_4arch9wavefront6targetE1EEEvSK_: ; @_ZN7rocprim17ROCPRIM_400000_NS6detail17trampoline_kernelINS0_14default_configENS1_38merge_sort_block_merge_config_selectorIdNS0_10empty_typeEEEZZNS1_27merge_sort_block_merge_implIS3_N6thrust23THRUST_200600_302600_NS6detail15normal_iteratorINS9_10device_ptrIdEEEEPS5_m14custom_greaterIdEEE10hipError_tT0_T1_T2_jT3_P12ihipStream_tbPNSt15iterator_traitsISJ_E10value_typeEPNSP_ISK_E10value_typeEPSL_NS1_7vsmem_tEENKUlT_SJ_SK_SL_E_clIPdSE_SF_SF_EESI_SY_SJ_SK_SL_EUlSY_E1_NS1_11comp_targetILNS1_3genE0ELNS1_11target_archE4294967295ELNS1_3gpuE0ELNS1_3repE0EEENS1_36merge_oddeven_config_static_selectorELNS0_4arch9wavefront6targetE1EEEvSK_
; %bb.0:
	.section	.rodata,"a",@progbits
	.p2align	6, 0x0
	.amdhsa_kernel _ZN7rocprim17ROCPRIM_400000_NS6detail17trampoline_kernelINS0_14default_configENS1_38merge_sort_block_merge_config_selectorIdNS0_10empty_typeEEEZZNS1_27merge_sort_block_merge_implIS3_N6thrust23THRUST_200600_302600_NS6detail15normal_iteratorINS9_10device_ptrIdEEEEPS5_m14custom_greaterIdEEE10hipError_tT0_T1_T2_jT3_P12ihipStream_tbPNSt15iterator_traitsISJ_E10value_typeEPNSP_ISK_E10value_typeEPSL_NS1_7vsmem_tEENKUlT_SJ_SK_SL_E_clIPdSE_SF_SF_EESI_SY_SJ_SK_SL_EUlSY_E1_NS1_11comp_targetILNS1_3genE0ELNS1_11target_archE4294967295ELNS1_3gpuE0ELNS1_3repE0EEENS1_36merge_oddeven_config_static_selectorELNS0_4arch9wavefront6targetE1EEEvSK_
		.amdhsa_group_segment_fixed_size 0
		.amdhsa_private_segment_fixed_size 0
		.amdhsa_kernarg_size 56
		.amdhsa_user_sgpr_count 6
		.amdhsa_user_sgpr_private_segment_buffer 1
		.amdhsa_user_sgpr_dispatch_ptr 0
		.amdhsa_user_sgpr_queue_ptr 0
		.amdhsa_user_sgpr_kernarg_segment_ptr 1
		.amdhsa_user_sgpr_dispatch_id 0
		.amdhsa_user_sgpr_flat_scratch_init 0
		.amdhsa_user_sgpr_kernarg_preload_length 0
		.amdhsa_user_sgpr_kernarg_preload_offset 0
		.amdhsa_user_sgpr_private_segment_size 0
		.amdhsa_uses_dynamic_stack 0
		.amdhsa_system_sgpr_private_segment_wavefront_offset 0
		.amdhsa_system_sgpr_workgroup_id_x 1
		.amdhsa_system_sgpr_workgroup_id_y 0
		.amdhsa_system_sgpr_workgroup_id_z 0
		.amdhsa_system_sgpr_workgroup_info 0
		.amdhsa_system_vgpr_workitem_id 0
		.amdhsa_next_free_vgpr 1
		.amdhsa_next_free_sgpr 0
		.amdhsa_accum_offset 4
		.amdhsa_reserve_vcc 0
		.amdhsa_reserve_flat_scratch 0
		.amdhsa_float_round_mode_32 0
		.amdhsa_float_round_mode_16_64 0
		.amdhsa_float_denorm_mode_32 3
		.amdhsa_float_denorm_mode_16_64 3
		.amdhsa_dx10_clamp 1
		.amdhsa_ieee_mode 1
		.amdhsa_fp16_overflow 0
		.amdhsa_tg_split 0
		.amdhsa_exception_fp_ieee_invalid_op 0
		.amdhsa_exception_fp_denorm_src 0
		.amdhsa_exception_fp_ieee_div_zero 0
		.amdhsa_exception_fp_ieee_overflow 0
		.amdhsa_exception_fp_ieee_underflow 0
		.amdhsa_exception_fp_ieee_inexact 0
		.amdhsa_exception_int_div_zero 0
	.end_amdhsa_kernel
	.section	.text._ZN7rocprim17ROCPRIM_400000_NS6detail17trampoline_kernelINS0_14default_configENS1_38merge_sort_block_merge_config_selectorIdNS0_10empty_typeEEEZZNS1_27merge_sort_block_merge_implIS3_N6thrust23THRUST_200600_302600_NS6detail15normal_iteratorINS9_10device_ptrIdEEEEPS5_m14custom_greaterIdEEE10hipError_tT0_T1_T2_jT3_P12ihipStream_tbPNSt15iterator_traitsISJ_E10value_typeEPNSP_ISK_E10value_typeEPSL_NS1_7vsmem_tEENKUlT_SJ_SK_SL_E_clIPdSE_SF_SF_EESI_SY_SJ_SK_SL_EUlSY_E1_NS1_11comp_targetILNS1_3genE0ELNS1_11target_archE4294967295ELNS1_3gpuE0ELNS1_3repE0EEENS1_36merge_oddeven_config_static_selectorELNS0_4arch9wavefront6targetE1EEEvSK_,"axG",@progbits,_ZN7rocprim17ROCPRIM_400000_NS6detail17trampoline_kernelINS0_14default_configENS1_38merge_sort_block_merge_config_selectorIdNS0_10empty_typeEEEZZNS1_27merge_sort_block_merge_implIS3_N6thrust23THRUST_200600_302600_NS6detail15normal_iteratorINS9_10device_ptrIdEEEEPS5_m14custom_greaterIdEEE10hipError_tT0_T1_T2_jT3_P12ihipStream_tbPNSt15iterator_traitsISJ_E10value_typeEPNSP_ISK_E10value_typeEPSL_NS1_7vsmem_tEENKUlT_SJ_SK_SL_E_clIPdSE_SF_SF_EESI_SY_SJ_SK_SL_EUlSY_E1_NS1_11comp_targetILNS1_3genE0ELNS1_11target_archE4294967295ELNS1_3gpuE0ELNS1_3repE0EEENS1_36merge_oddeven_config_static_selectorELNS0_4arch9wavefront6targetE1EEEvSK_,comdat
.Lfunc_end3629:
	.size	_ZN7rocprim17ROCPRIM_400000_NS6detail17trampoline_kernelINS0_14default_configENS1_38merge_sort_block_merge_config_selectorIdNS0_10empty_typeEEEZZNS1_27merge_sort_block_merge_implIS3_N6thrust23THRUST_200600_302600_NS6detail15normal_iteratorINS9_10device_ptrIdEEEEPS5_m14custom_greaterIdEEE10hipError_tT0_T1_T2_jT3_P12ihipStream_tbPNSt15iterator_traitsISJ_E10value_typeEPNSP_ISK_E10value_typeEPSL_NS1_7vsmem_tEENKUlT_SJ_SK_SL_E_clIPdSE_SF_SF_EESI_SY_SJ_SK_SL_EUlSY_E1_NS1_11comp_targetILNS1_3genE0ELNS1_11target_archE4294967295ELNS1_3gpuE0ELNS1_3repE0EEENS1_36merge_oddeven_config_static_selectorELNS0_4arch9wavefront6targetE1EEEvSK_, .Lfunc_end3629-_ZN7rocprim17ROCPRIM_400000_NS6detail17trampoline_kernelINS0_14default_configENS1_38merge_sort_block_merge_config_selectorIdNS0_10empty_typeEEEZZNS1_27merge_sort_block_merge_implIS3_N6thrust23THRUST_200600_302600_NS6detail15normal_iteratorINS9_10device_ptrIdEEEEPS5_m14custom_greaterIdEEE10hipError_tT0_T1_T2_jT3_P12ihipStream_tbPNSt15iterator_traitsISJ_E10value_typeEPNSP_ISK_E10value_typeEPSL_NS1_7vsmem_tEENKUlT_SJ_SK_SL_E_clIPdSE_SF_SF_EESI_SY_SJ_SK_SL_EUlSY_E1_NS1_11comp_targetILNS1_3genE0ELNS1_11target_archE4294967295ELNS1_3gpuE0ELNS1_3repE0EEENS1_36merge_oddeven_config_static_selectorELNS0_4arch9wavefront6targetE1EEEvSK_
                                        ; -- End function
	.section	.AMDGPU.csdata,"",@progbits
; Kernel info:
; codeLenInByte = 0
; NumSgprs: 4
; NumVgprs: 0
; NumAgprs: 0
; TotalNumVgprs: 0
; ScratchSize: 0
; MemoryBound: 0
; FloatMode: 240
; IeeeMode: 1
; LDSByteSize: 0 bytes/workgroup (compile time only)
; SGPRBlocks: 0
; VGPRBlocks: 0
; NumSGPRsForWavesPerEU: 4
; NumVGPRsForWavesPerEU: 1
; AccumOffset: 4
; Occupancy: 8
; WaveLimiterHint : 0
; COMPUTE_PGM_RSRC2:SCRATCH_EN: 0
; COMPUTE_PGM_RSRC2:USER_SGPR: 6
; COMPUTE_PGM_RSRC2:TRAP_HANDLER: 0
; COMPUTE_PGM_RSRC2:TGID_X_EN: 1
; COMPUTE_PGM_RSRC2:TGID_Y_EN: 0
; COMPUTE_PGM_RSRC2:TGID_Z_EN: 0
; COMPUTE_PGM_RSRC2:TIDIG_COMP_CNT: 0
; COMPUTE_PGM_RSRC3_GFX90A:ACCUM_OFFSET: 0
; COMPUTE_PGM_RSRC3_GFX90A:TG_SPLIT: 0
	.section	.text._ZN7rocprim17ROCPRIM_400000_NS6detail17trampoline_kernelINS0_14default_configENS1_38merge_sort_block_merge_config_selectorIdNS0_10empty_typeEEEZZNS1_27merge_sort_block_merge_implIS3_N6thrust23THRUST_200600_302600_NS6detail15normal_iteratorINS9_10device_ptrIdEEEEPS5_m14custom_greaterIdEEE10hipError_tT0_T1_T2_jT3_P12ihipStream_tbPNSt15iterator_traitsISJ_E10value_typeEPNSP_ISK_E10value_typeEPSL_NS1_7vsmem_tEENKUlT_SJ_SK_SL_E_clIPdSE_SF_SF_EESI_SY_SJ_SK_SL_EUlSY_E1_NS1_11comp_targetILNS1_3genE10ELNS1_11target_archE1201ELNS1_3gpuE5ELNS1_3repE0EEENS1_36merge_oddeven_config_static_selectorELNS0_4arch9wavefront6targetE1EEEvSK_,"axG",@progbits,_ZN7rocprim17ROCPRIM_400000_NS6detail17trampoline_kernelINS0_14default_configENS1_38merge_sort_block_merge_config_selectorIdNS0_10empty_typeEEEZZNS1_27merge_sort_block_merge_implIS3_N6thrust23THRUST_200600_302600_NS6detail15normal_iteratorINS9_10device_ptrIdEEEEPS5_m14custom_greaterIdEEE10hipError_tT0_T1_T2_jT3_P12ihipStream_tbPNSt15iterator_traitsISJ_E10value_typeEPNSP_ISK_E10value_typeEPSL_NS1_7vsmem_tEENKUlT_SJ_SK_SL_E_clIPdSE_SF_SF_EESI_SY_SJ_SK_SL_EUlSY_E1_NS1_11comp_targetILNS1_3genE10ELNS1_11target_archE1201ELNS1_3gpuE5ELNS1_3repE0EEENS1_36merge_oddeven_config_static_selectorELNS0_4arch9wavefront6targetE1EEEvSK_,comdat
	.protected	_ZN7rocprim17ROCPRIM_400000_NS6detail17trampoline_kernelINS0_14default_configENS1_38merge_sort_block_merge_config_selectorIdNS0_10empty_typeEEEZZNS1_27merge_sort_block_merge_implIS3_N6thrust23THRUST_200600_302600_NS6detail15normal_iteratorINS9_10device_ptrIdEEEEPS5_m14custom_greaterIdEEE10hipError_tT0_T1_T2_jT3_P12ihipStream_tbPNSt15iterator_traitsISJ_E10value_typeEPNSP_ISK_E10value_typeEPSL_NS1_7vsmem_tEENKUlT_SJ_SK_SL_E_clIPdSE_SF_SF_EESI_SY_SJ_SK_SL_EUlSY_E1_NS1_11comp_targetILNS1_3genE10ELNS1_11target_archE1201ELNS1_3gpuE5ELNS1_3repE0EEENS1_36merge_oddeven_config_static_selectorELNS0_4arch9wavefront6targetE1EEEvSK_ ; -- Begin function _ZN7rocprim17ROCPRIM_400000_NS6detail17trampoline_kernelINS0_14default_configENS1_38merge_sort_block_merge_config_selectorIdNS0_10empty_typeEEEZZNS1_27merge_sort_block_merge_implIS3_N6thrust23THRUST_200600_302600_NS6detail15normal_iteratorINS9_10device_ptrIdEEEEPS5_m14custom_greaterIdEEE10hipError_tT0_T1_T2_jT3_P12ihipStream_tbPNSt15iterator_traitsISJ_E10value_typeEPNSP_ISK_E10value_typeEPSL_NS1_7vsmem_tEENKUlT_SJ_SK_SL_E_clIPdSE_SF_SF_EESI_SY_SJ_SK_SL_EUlSY_E1_NS1_11comp_targetILNS1_3genE10ELNS1_11target_archE1201ELNS1_3gpuE5ELNS1_3repE0EEENS1_36merge_oddeven_config_static_selectorELNS0_4arch9wavefront6targetE1EEEvSK_
	.globl	_ZN7rocprim17ROCPRIM_400000_NS6detail17trampoline_kernelINS0_14default_configENS1_38merge_sort_block_merge_config_selectorIdNS0_10empty_typeEEEZZNS1_27merge_sort_block_merge_implIS3_N6thrust23THRUST_200600_302600_NS6detail15normal_iteratorINS9_10device_ptrIdEEEEPS5_m14custom_greaterIdEEE10hipError_tT0_T1_T2_jT3_P12ihipStream_tbPNSt15iterator_traitsISJ_E10value_typeEPNSP_ISK_E10value_typeEPSL_NS1_7vsmem_tEENKUlT_SJ_SK_SL_E_clIPdSE_SF_SF_EESI_SY_SJ_SK_SL_EUlSY_E1_NS1_11comp_targetILNS1_3genE10ELNS1_11target_archE1201ELNS1_3gpuE5ELNS1_3repE0EEENS1_36merge_oddeven_config_static_selectorELNS0_4arch9wavefront6targetE1EEEvSK_
	.p2align	8
	.type	_ZN7rocprim17ROCPRIM_400000_NS6detail17trampoline_kernelINS0_14default_configENS1_38merge_sort_block_merge_config_selectorIdNS0_10empty_typeEEEZZNS1_27merge_sort_block_merge_implIS3_N6thrust23THRUST_200600_302600_NS6detail15normal_iteratorINS9_10device_ptrIdEEEEPS5_m14custom_greaterIdEEE10hipError_tT0_T1_T2_jT3_P12ihipStream_tbPNSt15iterator_traitsISJ_E10value_typeEPNSP_ISK_E10value_typeEPSL_NS1_7vsmem_tEENKUlT_SJ_SK_SL_E_clIPdSE_SF_SF_EESI_SY_SJ_SK_SL_EUlSY_E1_NS1_11comp_targetILNS1_3genE10ELNS1_11target_archE1201ELNS1_3gpuE5ELNS1_3repE0EEENS1_36merge_oddeven_config_static_selectorELNS0_4arch9wavefront6targetE1EEEvSK_,@function
_ZN7rocprim17ROCPRIM_400000_NS6detail17trampoline_kernelINS0_14default_configENS1_38merge_sort_block_merge_config_selectorIdNS0_10empty_typeEEEZZNS1_27merge_sort_block_merge_implIS3_N6thrust23THRUST_200600_302600_NS6detail15normal_iteratorINS9_10device_ptrIdEEEEPS5_m14custom_greaterIdEEE10hipError_tT0_T1_T2_jT3_P12ihipStream_tbPNSt15iterator_traitsISJ_E10value_typeEPNSP_ISK_E10value_typeEPSL_NS1_7vsmem_tEENKUlT_SJ_SK_SL_E_clIPdSE_SF_SF_EESI_SY_SJ_SK_SL_EUlSY_E1_NS1_11comp_targetILNS1_3genE10ELNS1_11target_archE1201ELNS1_3gpuE5ELNS1_3repE0EEENS1_36merge_oddeven_config_static_selectorELNS0_4arch9wavefront6targetE1EEEvSK_: ; @_ZN7rocprim17ROCPRIM_400000_NS6detail17trampoline_kernelINS0_14default_configENS1_38merge_sort_block_merge_config_selectorIdNS0_10empty_typeEEEZZNS1_27merge_sort_block_merge_implIS3_N6thrust23THRUST_200600_302600_NS6detail15normal_iteratorINS9_10device_ptrIdEEEEPS5_m14custom_greaterIdEEE10hipError_tT0_T1_T2_jT3_P12ihipStream_tbPNSt15iterator_traitsISJ_E10value_typeEPNSP_ISK_E10value_typeEPSL_NS1_7vsmem_tEENKUlT_SJ_SK_SL_E_clIPdSE_SF_SF_EESI_SY_SJ_SK_SL_EUlSY_E1_NS1_11comp_targetILNS1_3genE10ELNS1_11target_archE1201ELNS1_3gpuE5ELNS1_3repE0EEENS1_36merge_oddeven_config_static_selectorELNS0_4arch9wavefront6targetE1EEEvSK_
; %bb.0:
	.section	.rodata,"a",@progbits
	.p2align	6, 0x0
	.amdhsa_kernel _ZN7rocprim17ROCPRIM_400000_NS6detail17trampoline_kernelINS0_14default_configENS1_38merge_sort_block_merge_config_selectorIdNS0_10empty_typeEEEZZNS1_27merge_sort_block_merge_implIS3_N6thrust23THRUST_200600_302600_NS6detail15normal_iteratorINS9_10device_ptrIdEEEEPS5_m14custom_greaterIdEEE10hipError_tT0_T1_T2_jT3_P12ihipStream_tbPNSt15iterator_traitsISJ_E10value_typeEPNSP_ISK_E10value_typeEPSL_NS1_7vsmem_tEENKUlT_SJ_SK_SL_E_clIPdSE_SF_SF_EESI_SY_SJ_SK_SL_EUlSY_E1_NS1_11comp_targetILNS1_3genE10ELNS1_11target_archE1201ELNS1_3gpuE5ELNS1_3repE0EEENS1_36merge_oddeven_config_static_selectorELNS0_4arch9wavefront6targetE1EEEvSK_
		.amdhsa_group_segment_fixed_size 0
		.amdhsa_private_segment_fixed_size 0
		.amdhsa_kernarg_size 56
		.amdhsa_user_sgpr_count 6
		.amdhsa_user_sgpr_private_segment_buffer 1
		.amdhsa_user_sgpr_dispatch_ptr 0
		.amdhsa_user_sgpr_queue_ptr 0
		.amdhsa_user_sgpr_kernarg_segment_ptr 1
		.amdhsa_user_sgpr_dispatch_id 0
		.amdhsa_user_sgpr_flat_scratch_init 0
		.amdhsa_user_sgpr_kernarg_preload_length 0
		.amdhsa_user_sgpr_kernarg_preload_offset 0
		.amdhsa_user_sgpr_private_segment_size 0
		.amdhsa_uses_dynamic_stack 0
		.amdhsa_system_sgpr_private_segment_wavefront_offset 0
		.amdhsa_system_sgpr_workgroup_id_x 1
		.amdhsa_system_sgpr_workgroup_id_y 0
		.amdhsa_system_sgpr_workgroup_id_z 0
		.amdhsa_system_sgpr_workgroup_info 0
		.amdhsa_system_vgpr_workitem_id 0
		.amdhsa_next_free_vgpr 1
		.amdhsa_next_free_sgpr 0
		.amdhsa_accum_offset 4
		.amdhsa_reserve_vcc 0
		.amdhsa_reserve_flat_scratch 0
		.amdhsa_float_round_mode_32 0
		.amdhsa_float_round_mode_16_64 0
		.amdhsa_float_denorm_mode_32 3
		.amdhsa_float_denorm_mode_16_64 3
		.amdhsa_dx10_clamp 1
		.amdhsa_ieee_mode 1
		.amdhsa_fp16_overflow 0
		.amdhsa_tg_split 0
		.amdhsa_exception_fp_ieee_invalid_op 0
		.amdhsa_exception_fp_denorm_src 0
		.amdhsa_exception_fp_ieee_div_zero 0
		.amdhsa_exception_fp_ieee_overflow 0
		.amdhsa_exception_fp_ieee_underflow 0
		.amdhsa_exception_fp_ieee_inexact 0
		.amdhsa_exception_int_div_zero 0
	.end_amdhsa_kernel
	.section	.text._ZN7rocprim17ROCPRIM_400000_NS6detail17trampoline_kernelINS0_14default_configENS1_38merge_sort_block_merge_config_selectorIdNS0_10empty_typeEEEZZNS1_27merge_sort_block_merge_implIS3_N6thrust23THRUST_200600_302600_NS6detail15normal_iteratorINS9_10device_ptrIdEEEEPS5_m14custom_greaterIdEEE10hipError_tT0_T1_T2_jT3_P12ihipStream_tbPNSt15iterator_traitsISJ_E10value_typeEPNSP_ISK_E10value_typeEPSL_NS1_7vsmem_tEENKUlT_SJ_SK_SL_E_clIPdSE_SF_SF_EESI_SY_SJ_SK_SL_EUlSY_E1_NS1_11comp_targetILNS1_3genE10ELNS1_11target_archE1201ELNS1_3gpuE5ELNS1_3repE0EEENS1_36merge_oddeven_config_static_selectorELNS0_4arch9wavefront6targetE1EEEvSK_,"axG",@progbits,_ZN7rocprim17ROCPRIM_400000_NS6detail17trampoline_kernelINS0_14default_configENS1_38merge_sort_block_merge_config_selectorIdNS0_10empty_typeEEEZZNS1_27merge_sort_block_merge_implIS3_N6thrust23THRUST_200600_302600_NS6detail15normal_iteratorINS9_10device_ptrIdEEEEPS5_m14custom_greaterIdEEE10hipError_tT0_T1_T2_jT3_P12ihipStream_tbPNSt15iterator_traitsISJ_E10value_typeEPNSP_ISK_E10value_typeEPSL_NS1_7vsmem_tEENKUlT_SJ_SK_SL_E_clIPdSE_SF_SF_EESI_SY_SJ_SK_SL_EUlSY_E1_NS1_11comp_targetILNS1_3genE10ELNS1_11target_archE1201ELNS1_3gpuE5ELNS1_3repE0EEENS1_36merge_oddeven_config_static_selectorELNS0_4arch9wavefront6targetE1EEEvSK_,comdat
.Lfunc_end3630:
	.size	_ZN7rocprim17ROCPRIM_400000_NS6detail17trampoline_kernelINS0_14default_configENS1_38merge_sort_block_merge_config_selectorIdNS0_10empty_typeEEEZZNS1_27merge_sort_block_merge_implIS3_N6thrust23THRUST_200600_302600_NS6detail15normal_iteratorINS9_10device_ptrIdEEEEPS5_m14custom_greaterIdEEE10hipError_tT0_T1_T2_jT3_P12ihipStream_tbPNSt15iterator_traitsISJ_E10value_typeEPNSP_ISK_E10value_typeEPSL_NS1_7vsmem_tEENKUlT_SJ_SK_SL_E_clIPdSE_SF_SF_EESI_SY_SJ_SK_SL_EUlSY_E1_NS1_11comp_targetILNS1_3genE10ELNS1_11target_archE1201ELNS1_3gpuE5ELNS1_3repE0EEENS1_36merge_oddeven_config_static_selectorELNS0_4arch9wavefront6targetE1EEEvSK_, .Lfunc_end3630-_ZN7rocprim17ROCPRIM_400000_NS6detail17trampoline_kernelINS0_14default_configENS1_38merge_sort_block_merge_config_selectorIdNS0_10empty_typeEEEZZNS1_27merge_sort_block_merge_implIS3_N6thrust23THRUST_200600_302600_NS6detail15normal_iteratorINS9_10device_ptrIdEEEEPS5_m14custom_greaterIdEEE10hipError_tT0_T1_T2_jT3_P12ihipStream_tbPNSt15iterator_traitsISJ_E10value_typeEPNSP_ISK_E10value_typeEPSL_NS1_7vsmem_tEENKUlT_SJ_SK_SL_E_clIPdSE_SF_SF_EESI_SY_SJ_SK_SL_EUlSY_E1_NS1_11comp_targetILNS1_3genE10ELNS1_11target_archE1201ELNS1_3gpuE5ELNS1_3repE0EEENS1_36merge_oddeven_config_static_selectorELNS0_4arch9wavefront6targetE1EEEvSK_
                                        ; -- End function
	.section	.AMDGPU.csdata,"",@progbits
; Kernel info:
; codeLenInByte = 0
; NumSgprs: 4
; NumVgprs: 0
; NumAgprs: 0
; TotalNumVgprs: 0
; ScratchSize: 0
; MemoryBound: 0
; FloatMode: 240
; IeeeMode: 1
; LDSByteSize: 0 bytes/workgroup (compile time only)
; SGPRBlocks: 0
; VGPRBlocks: 0
; NumSGPRsForWavesPerEU: 4
; NumVGPRsForWavesPerEU: 1
; AccumOffset: 4
; Occupancy: 8
; WaveLimiterHint : 0
; COMPUTE_PGM_RSRC2:SCRATCH_EN: 0
; COMPUTE_PGM_RSRC2:USER_SGPR: 6
; COMPUTE_PGM_RSRC2:TRAP_HANDLER: 0
; COMPUTE_PGM_RSRC2:TGID_X_EN: 1
; COMPUTE_PGM_RSRC2:TGID_Y_EN: 0
; COMPUTE_PGM_RSRC2:TGID_Z_EN: 0
; COMPUTE_PGM_RSRC2:TIDIG_COMP_CNT: 0
; COMPUTE_PGM_RSRC3_GFX90A:ACCUM_OFFSET: 0
; COMPUTE_PGM_RSRC3_GFX90A:TG_SPLIT: 0
	.section	.text._ZN7rocprim17ROCPRIM_400000_NS6detail17trampoline_kernelINS0_14default_configENS1_38merge_sort_block_merge_config_selectorIdNS0_10empty_typeEEEZZNS1_27merge_sort_block_merge_implIS3_N6thrust23THRUST_200600_302600_NS6detail15normal_iteratorINS9_10device_ptrIdEEEEPS5_m14custom_greaterIdEEE10hipError_tT0_T1_T2_jT3_P12ihipStream_tbPNSt15iterator_traitsISJ_E10value_typeEPNSP_ISK_E10value_typeEPSL_NS1_7vsmem_tEENKUlT_SJ_SK_SL_E_clIPdSE_SF_SF_EESI_SY_SJ_SK_SL_EUlSY_E1_NS1_11comp_targetILNS1_3genE5ELNS1_11target_archE942ELNS1_3gpuE9ELNS1_3repE0EEENS1_36merge_oddeven_config_static_selectorELNS0_4arch9wavefront6targetE1EEEvSK_,"axG",@progbits,_ZN7rocprim17ROCPRIM_400000_NS6detail17trampoline_kernelINS0_14default_configENS1_38merge_sort_block_merge_config_selectorIdNS0_10empty_typeEEEZZNS1_27merge_sort_block_merge_implIS3_N6thrust23THRUST_200600_302600_NS6detail15normal_iteratorINS9_10device_ptrIdEEEEPS5_m14custom_greaterIdEEE10hipError_tT0_T1_T2_jT3_P12ihipStream_tbPNSt15iterator_traitsISJ_E10value_typeEPNSP_ISK_E10value_typeEPSL_NS1_7vsmem_tEENKUlT_SJ_SK_SL_E_clIPdSE_SF_SF_EESI_SY_SJ_SK_SL_EUlSY_E1_NS1_11comp_targetILNS1_3genE5ELNS1_11target_archE942ELNS1_3gpuE9ELNS1_3repE0EEENS1_36merge_oddeven_config_static_selectorELNS0_4arch9wavefront6targetE1EEEvSK_,comdat
	.protected	_ZN7rocprim17ROCPRIM_400000_NS6detail17trampoline_kernelINS0_14default_configENS1_38merge_sort_block_merge_config_selectorIdNS0_10empty_typeEEEZZNS1_27merge_sort_block_merge_implIS3_N6thrust23THRUST_200600_302600_NS6detail15normal_iteratorINS9_10device_ptrIdEEEEPS5_m14custom_greaterIdEEE10hipError_tT0_T1_T2_jT3_P12ihipStream_tbPNSt15iterator_traitsISJ_E10value_typeEPNSP_ISK_E10value_typeEPSL_NS1_7vsmem_tEENKUlT_SJ_SK_SL_E_clIPdSE_SF_SF_EESI_SY_SJ_SK_SL_EUlSY_E1_NS1_11comp_targetILNS1_3genE5ELNS1_11target_archE942ELNS1_3gpuE9ELNS1_3repE0EEENS1_36merge_oddeven_config_static_selectorELNS0_4arch9wavefront6targetE1EEEvSK_ ; -- Begin function _ZN7rocprim17ROCPRIM_400000_NS6detail17trampoline_kernelINS0_14default_configENS1_38merge_sort_block_merge_config_selectorIdNS0_10empty_typeEEEZZNS1_27merge_sort_block_merge_implIS3_N6thrust23THRUST_200600_302600_NS6detail15normal_iteratorINS9_10device_ptrIdEEEEPS5_m14custom_greaterIdEEE10hipError_tT0_T1_T2_jT3_P12ihipStream_tbPNSt15iterator_traitsISJ_E10value_typeEPNSP_ISK_E10value_typeEPSL_NS1_7vsmem_tEENKUlT_SJ_SK_SL_E_clIPdSE_SF_SF_EESI_SY_SJ_SK_SL_EUlSY_E1_NS1_11comp_targetILNS1_3genE5ELNS1_11target_archE942ELNS1_3gpuE9ELNS1_3repE0EEENS1_36merge_oddeven_config_static_selectorELNS0_4arch9wavefront6targetE1EEEvSK_
	.globl	_ZN7rocprim17ROCPRIM_400000_NS6detail17trampoline_kernelINS0_14default_configENS1_38merge_sort_block_merge_config_selectorIdNS0_10empty_typeEEEZZNS1_27merge_sort_block_merge_implIS3_N6thrust23THRUST_200600_302600_NS6detail15normal_iteratorINS9_10device_ptrIdEEEEPS5_m14custom_greaterIdEEE10hipError_tT0_T1_T2_jT3_P12ihipStream_tbPNSt15iterator_traitsISJ_E10value_typeEPNSP_ISK_E10value_typeEPSL_NS1_7vsmem_tEENKUlT_SJ_SK_SL_E_clIPdSE_SF_SF_EESI_SY_SJ_SK_SL_EUlSY_E1_NS1_11comp_targetILNS1_3genE5ELNS1_11target_archE942ELNS1_3gpuE9ELNS1_3repE0EEENS1_36merge_oddeven_config_static_selectorELNS0_4arch9wavefront6targetE1EEEvSK_
	.p2align	8
	.type	_ZN7rocprim17ROCPRIM_400000_NS6detail17trampoline_kernelINS0_14default_configENS1_38merge_sort_block_merge_config_selectorIdNS0_10empty_typeEEEZZNS1_27merge_sort_block_merge_implIS3_N6thrust23THRUST_200600_302600_NS6detail15normal_iteratorINS9_10device_ptrIdEEEEPS5_m14custom_greaterIdEEE10hipError_tT0_T1_T2_jT3_P12ihipStream_tbPNSt15iterator_traitsISJ_E10value_typeEPNSP_ISK_E10value_typeEPSL_NS1_7vsmem_tEENKUlT_SJ_SK_SL_E_clIPdSE_SF_SF_EESI_SY_SJ_SK_SL_EUlSY_E1_NS1_11comp_targetILNS1_3genE5ELNS1_11target_archE942ELNS1_3gpuE9ELNS1_3repE0EEENS1_36merge_oddeven_config_static_selectorELNS0_4arch9wavefront6targetE1EEEvSK_,@function
_ZN7rocprim17ROCPRIM_400000_NS6detail17trampoline_kernelINS0_14default_configENS1_38merge_sort_block_merge_config_selectorIdNS0_10empty_typeEEEZZNS1_27merge_sort_block_merge_implIS3_N6thrust23THRUST_200600_302600_NS6detail15normal_iteratorINS9_10device_ptrIdEEEEPS5_m14custom_greaterIdEEE10hipError_tT0_T1_T2_jT3_P12ihipStream_tbPNSt15iterator_traitsISJ_E10value_typeEPNSP_ISK_E10value_typeEPSL_NS1_7vsmem_tEENKUlT_SJ_SK_SL_E_clIPdSE_SF_SF_EESI_SY_SJ_SK_SL_EUlSY_E1_NS1_11comp_targetILNS1_3genE5ELNS1_11target_archE942ELNS1_3gpuE9ELNS1_3repE0EEENS1_36merge_oddeven_config_static_selectorELNS0_4arch9wavefront6targetE1EEEvSK_: ; @_ZN7rocprim17ROCPRIM_400000_NS6detail17trampoline_kernelINS0_14default_configENS1_38merge_sort_block_merge_config_selectorIdNS0_10empty_typeEEEZZNS1_27merge_sort_block_merge_implIS3_N6thrust23THRUST_200600_302600_NS6detail15normal_iteratorINS9_10device_ptrIdEEEEPS5_m14custom_greaterIdEEE10hipError_tT0_T1_T2_jT3_P12ihipStream_tbPNSt15iterator_traitsISJ_E10value_typeEPNSP_ISK_E10value_typeEPSL_NS1_7vsmem_tEENKUlT_SJ_SK_SL_E_clIPdSE_SF_SF_EESI_SY_SJ_SK_SL_EUlSY_E1_NS1_11comp_targetILNS1_3genE5ELNS1_11target_archE942ELNS1_3gpuE9ELNS1_3repE0EEENS1_36merge_oddeven_config_static_selectorELNS0_4arch9wavefront6targetE1EEEvSK_
; %bb.0:
	.section	.rodata,"a",@progbits
	.p2align	6, 0x0
	.amdhsa_kernel _ZN7rocprim17ROCPRIM_400000_NS6detail17trampoline_kernelINS0_14default_configENS1_38merge_sort_block_merge_config_selectorIdNS0_10empty_typeEEEZZNS1_27merge_sort_block_merge_implIS3_N6thrust23THRUST_200600_302600_NS6detail15normal_iteratorINS9_10device_ptrIdEEEEPS5_m14custom_greaterIdEEE10hipError_tT0_T1_T2_jT3_P12ihipStream_tbPNSt15iterator_traitsISJ_E10value_typeEPNSP_ISK_E10value_typeEPSL_NS1_7vsmem_tEENKUlT_SJ_SK_SL_E_clIPdSE_SF_SF_EESI_SY_SJ_SK_SL_EUlSY_E1_NS1_11comp_targetILNS1_3genE5ELNS1_11target_archE942ELNS1_3gpuE9ELNS1_3repE0EEENS1_36merge_oddeven_config_static_selectorELNS0_4arch9wavefront6targetE1EEEvSK_
		.amdhsa_group_segment_fixed_size 0
		.amdhsa_private_segment_fixed_size 0
		.amdhsa_kernarg_size 56
		.amdhsa_user_sgpr_count 6
		.amdhsa_user_sgpr_private_segment_buffer 1
		.amdhsa_user_sgpr_dispatch_ptr 0
		.amdhsa_user_sgpr_queue_ptr 0
		.amdhsa_user_sgpr_kernarg_segment_ptr 1
		.amdhsa_user_sgpr_dispatch_id 0
		.amdhsa_user_sgpr_flat_scratch_init 0
		.amdhsa_user_sgpr_kernarg_preload_length 0
		.amdhsa_user_sgpr_kernarg_preload_offset 0
		.amdhsa_user_sgpr_private_segment_size 0
		.amdhsa_uses_dynamic_stack 0
		.amdhsa_system_sgpr_private_segment_wavefront_offset 0
		.amdhsa_system_sgpr_workgroup_id_x 1
		.amdhsa_system_sgpr_workgroup_id_y 0
		.amdhsa_system_sgpr_workgroup_id_z 0
		.amdhsa_system_sgpr_workgroup_info 0
		.amdhsa_system_vgpr_workitem_id 0
		.amdhsa_next_free_vgpr 1
		.amdhsa_next_free_sgpr 0
		.amdhsa_accum_offset 4
		.amdhsa_reserve_vcc 0
		.amdhsa_reserve_flat_scratch 0
		.amdhsa_float_round_mode_32 0
		.amdhsa_float_round_mode_16_64 0
		.amdhsa_float_denorm_mode_32 3
		.amdhsa_float_denorm_mode_16_64 3
		.amdhsa_dx10_clamp 1
		.amdhsa_ieee_mode 1
		.amdhsa_fp16_overflow 0
		.amdhsa_tg_split 0
		.amdhsa_exception_fp_ieee_invalid_op 0
		.amdhsa_exception_fp_denorm_src 0
		.amdhsa_exception_fp_ieee_div_zero 0
		.amdhsa_exception_fp_ieee_overflow 0
		.amdhsa_exception_fp_ieee_underflow 0
		.amdhsa_exception_fp_ieee_inexact 0
		.amdhsa_exception_int_div_zero 0
	.end_amdhsa_kernel
	.section	.text._ZN7rocprim17ROCPRIM_400000_NS6detail17trampoline_kernelINS0_14default_configENS1_38merge_sort_block_merge_config_selectorIdNS0_10empty_typeEEEZZNS1_27merge_sort_block_merge_implIS3_N6thrust23THRUST_200600_302600_NS6detail15normal_iteratorINS9_10device_ptrIdEEEEPS5_m14custom_greaterIdEEE10hipError_tT0_T1_T2_jT3_P12ihipStream_tbPNSt15iterator_traitsISJ_E10value_typeEPNSP_ISK_E10value_typeEPSL_NS1_7vsmem_tEENKUlT_SJ_SK_SL_E_clIPdSE_SF_SF_EESI_SY_SJ_SK_SL_EUlSY_E1_NS1_11comp_targetILNS1_3genE5ELNS1_11target_archE942ELNS1_3gpuE9ELNS1_3repE0EEENS1_36merge_oddeven_config_static_selectorELNS0_4arch9wavefront6targetE1EEEvSK_,"axG",@progbits,_ZN7rocprim17ROCPRIM_400000_NS6detail17trampoline_kernelINS0_14default_configENS1_38merge_sort_block_merge_config_selectorIdNS0_10empty_typeEEEZZNS1_27merge_sort_block_merge_implIS3_N6thrust23THRUST_200600_302600_NS6detail15normal_iteratorINS9_10device_ptrIdEEEEPS5_m14custom_greaterIdEEE10hipError_tT0_T1_T2_jT3_P12ihipStream_tbPNSt15iterator_traitsISJ_E10value_typeEPNSP_ISK_E10value_typeEPSL_NS1_7vsmem_tEENKUlT_SJ_SK_SL_E_clIPdSE_SF_SF_EESI_SY_SJ_SK_SL_EUlSY_E1_NS1_11comp_targetILNS1_3genE5ELNS1_11target_archE942ELNS1_3gpuE9ELNS1_3repE0EEENS1_36merge_oddeven_config_static_selectorELNS0_4arch9wavefront6targetE1EEEvSK_,comdat
.Lfunc_end3631:
	.size	_ZN7rocprim17ROCPRIM_400000_NS6detail17trampoline_kernelINS0_14default_configENS1_38merge_sort_block_merge_config_selectorIdNS0_10empty_typeEEEZZNS1_27merge_sort_block_merge_implIS3_N6thrust23THRUST_200600_302600_NS6detail15normal_iteratorINS9_10device_ptrIdEEEEPS5_m14custom_greaterIdEEE10hipError_tT0_T1_T2_jT3_P12ihipStream_tbPNSt15iterator_traitsISJ_E10value_typeEPNSP_ISK_E10value_typeEPSL_NS1_7vsmem_tEENKUlT_SJ_SK_SL_E_clIPdSE_SF_SF_EESI_SY_SJ_SK_SL_EUlSY_E1_NS1_11comp_targetILNS1_3genE5ELNS1_11target_archE942ELNS1_3gpuE9ELNS1_3repE0EEENS1_36merge_oddeven_config_static_selectorELNS0_4arch9wavefront6targetE1EEEvSK_, .Lfunc_end3631-_ZN7rocprim17ROCPRIM_400000_NS6detail17trampoline_kernelINS0_14default_configENS1_38merge_sort_block_merge_config_selectorIdNS0_10empty_typeEEEZZNS1_27merge_sort_block_merge_implIS3_N6thrust23THRUST_200600_302600_NS6detail15normal_iteratorINS9_10device_ptrIdEEEEPS5_m14custom_greaterIdEEE10hipError_tT0_T1_T2_jT3_P12ihipStream_tbPNSt15iterator_traitsISJ_E10value_typeEPNSP_ISK_E10value_typeEPSL_NS1_7vsmem_tEENKUlT_SJ_SK_SL_E_clIPdSE_SF_SF_EESI_SY_SJ_SK_SL_EUlSY_E1_NS1_11comp_targetILNS1_3genE5ELNS1_11target_archE942ELNS1_3gpuE9ELNS1_3repE0EEENS1_36merge_oddeven_config_static_selectorELNS0_4arch9wavefront6targetE1EEEvSK_
                                        ; -- End function
	.section	.AMDGPU.csdata,"",@progbits
; Kernel info:
; codeLenInByte = 0
; NumSgprs: 4
; NumVgprs: 0
; NumAgprs: 0
; TotalNumVgprs: 0
; ScratchSize: 0
; MemoryBound: 0
; FloatMode: 240
; IeeeMode: 1
; LDSByteSize: 0 bytes/workgroup (compile time only)
; SGPRBlocks: 0
; VGPRBlocks: 0
; NumSGPRsForWavesPerEU: 4
; NumVGPRsForWavesPerEU: 1
; AccumOffset: 4
; Occupancy: 8
; WaveLimiterHint : 0
; COMPUTE_PGM_RSRC2:SCRATCH_EN: 0
; COMPUTE_PGM_RSRC2:USER_SGPR: 6
; COMPUTE_PGM_RSRC2:TRAP_HANDLER: 0
; COMPUTE_PGM_RSRC2:TGID_X_EN: 1
; COMPUTE_PGM_RSRC2:TGID_Y_EN: 0
; COMPUTE_PGM_RSRC2:TGID_Z_EN: 0
; COMPUTE_PGM_RSRC2:TIDIG_COMP_CNT: 0
; COMPUTE_PGM_RSRC3_GFX90A:ACCUM_OFFSET: 0
; COMPUTE_PGM_RSRC3_GFX90A:TG_SPLIT: 0
	.section	.text._ZN7rocprim17ROCPRIM_400000_NS6detail17trampoline_kernelINS0_14default_configENS1_38merge_sort_block_merge_config_selectorIdNS0_10empty_typeEEEZZNS1_27merge_sort_block_merge_implIS3_N6thrust23THRUST_200600_302600_NS6detail15normal_iteratorINS9_10device_ptrIdEEEEPS5_m14custom_greaterIdEEE10hipError_tT0_T1_T2_jT3_P12ihipStream_tbPNSt15iterator_traitsISJ_E10value_typeEPNSP_ISK_E10value_typeEPSL_NS1_7vsmem_tEENKUlT_SJ_SK_SL_E_clIPdSE_SF_SF_EESI_SY_SJ_SK_SL_EUlSY_E1_NS1_11comp_targetILNS1_3genE4ELNS1_11target_archE910ELNS1_3gpuE8ELNS1_3repE0EEENS1_36merge_oddeven_config_static_selectorELNS0_4arch9wavefront6targetE1EEEvSK_,"axG",@progbits,_ZN7rocprim17ROCPRIM_400000_NS6detail17trampoline_kernelINS0_14default_configENS1_38merge_sort_block_merge_config_selectorIdNS0_10empty_typeEEEZZNS1_27merge_sort_block_merge_implIS3_N6thrust23THRUST_200600_302600_NS6detail15normal_iteratorINS9_10device_ptrIdEEEEPS5_m14custom_greaterIdEEE10hipError_tT0_T1_T2_jT3_P12ihipStream_tbPNSt15iterator_traitsISJ_E10value_typeEPNSP_ISK_E10value_typeEPSL_NS1_7vsmem_tEENKUlT_SJ_SK_SL_E_clIPdSE_SF_SF_EESI_SY_SJ_SK_SL_EUlSY_E1_NS1_11comp_targetILNS1_3genE4ELNS1_11target_archE910ELNS1_3gpuE8ELNS1_3repE0EEENS1_36merge_oddeven_config_static_selectorELNS0_4arch9wavefront6targetE1EEEvSK_,comdat
	.protected	_ZN7rocprim17ROCPRIM_400000_NS6detail17trampoline_kernelINS0_14default_configENS1_38merge_sort_block_merge_config_selectorIdNS0_10empty_typeEEEZZNS1_27merge_sort_block_merge_implIS3_N6thrust23THRUST_200600_302600_NS6detail15normal_iteratorINS9_10device_ptrIdEEEEPS5_m14custom_greaterIdEEE10hipError_tT0_T1_T2_jT3_P12ihipStream_tbPNSt15iterator_traitsISJ_E10value_typeEPNSP_ISK_E10value_typeEPSL_NS1_7vsmem_tEENKUlT_SJ_SK_SL_E_clIPdSE_SF_SF_EESI_SY_SJ_SK_SL_EUlSY_E1_NS1_11comp_targetILNS1_3genE4ELNS1_11target_archE910ELNS1_3gpuE8ELNS1_3repE0EEENS1_36merge_oddeven_config_static_selectorELNS0_4arch9wavefront6targetE1EEEvSK_ ; -- Begin function _ZN7rocprim17ROCPRIM_400000_NS6detail17trampoline_kernelINS0_14default_configENS1_38merge_sort_block_merge_config_selectorIdNS0_10empty_typeEEEZZNS1_27merge_sort_block_merge_implIS3_N6thrust23THRUST_200600_302600_NS6detail15normal_iteratorINS9_10device_ptrIdEEEEPS5_m14custom_greaterIdEEE10hipError_tT0_T1_T2_jT3_P12ihipStream_tbPNSt15iterator_traitsISJ_E10value_typeEPNSP_ISK_E10value_typeEPSL_NS1_7vsmem_tEENKUlT_SJ_SK_SL_E_clIPdSE_SF_SF_EESI_SY_SJ_SK_SL_EUlSY_E1_NS1_11comp_targetILNS1_3genE4ELNS1_11target_archE910ELNS1_3gpuE8ELNS1_3repE0EEENS1_36merge_oddeven_config_static_selectorELNS0_4arch9wavefront6targetE1EEEvSK_
	.globl	_ZN7rocprim17ROCPRIM_400000_NS6detail17trampoline_kernelINS0_14default_configENS1_38merge_sort_block_merge_config_selectorIdNS0_10empty_typeEEEZZNS1_27merge_sort_block_merge_implIS3_N6thrust23THRUST_200600_302600_NS6detail15normal_iteratorINS9_10device_ptrIdEEEEPS5_m14custom_greaterIdEEE10hipError_tT0_T1_T2_jT3_P12ihipStream_tbPNSt15iterator_traitsISJ_E10value_typeEPNSP_ISK_E10value_typeEPSL_NS1_7vsmem_tEENKUlT_SJ_SK_SL_E_clIPdSE_SF_SF_EESI_SY_SJ_SK_SL_EUlSY_E1_NS1_11comp_targetILNS1_3genE4ELNS1_11target_archE910ELNS1_3gpuE8ELNS1_3repE0EEENS1_36merge_oddeven_config_static_selectorELNS0_4arch9wavefront6targetE1EEEvSK_
	.p2align	8
	.type	_ZN7rocprim17ROCPRIM_400000_NS6detail17trampoline_kernelINS0_14default_configENS1_38merge_sort_block_merge_config_selectorIdNS0_10empty_typeEEEZZNS1_27merge_sort_block_merge_implIS3_N6thrust23THRUST_200600_302600_NS6detail15normal_iteratorINS9_10device_ptrIdEEEEPS5_m14custom_greaterIdEEE10hipError_tT0_T1_T2_jT3_P12ihipStream_tbPNSt15iterator_traitsISJ_E10value_typeEPNSP_ISK_E10value_typeEPSL_NS1_7vsmem_tEENKUlT_SJ_SK_SL_E_clIPdSE_SF_SF_EESI_SY_SJ_SK_SL_EUlSY_E1_NS1_11comp_targetILNS1_3genE4ELNS1_11target_archE910ELNS1_3gpuE8ELNS1_3repE0EEENS1_36merge_oddeven_config_static_selectorELNS0_4arch9wavefront6targetE1EEEvSK_,@function
_ZN7rocprim17ROCPRIM_400000_NS6detail17trampoline_kernelINS0_14default_configENS1_38merge_sort_block_merge_config_selectorIdNS0_10empty_typeEEEZZNS1_27merge_sort_block_merge_implIS3_N6thrust23THRUST_200600_302600_NS6detail15normal_iteratorINS9_10device_ptrIdEEEEPS5_m14custom_greaterIdEEE10hipError_tT0_T1_T2_jT3_P12ihipStream_tbPNSt15iterator_traitsISJ_E10value_typeEPNSP_ISK_E10value_typeEPSL_NS1_7vsmem_tEENKUlT_SJ_SK_SL_E_clIPdSE_SF_SF_EESI_SY_SJ_SK_SL_EUlSY_E1_NS1_11comp_targetILNS1_3genE4ELNS1_11target_archE910ELNS1_3gpuE8ELNS1_3repE0EEENS1_36merge_oddeven_config_static_selectorELNS0_4arch9wavefront6targetE1EEEvSK_: ; @_ZN7rocprim17ROCPRIM_400000_NS6detail17trampoline_kernelINS0_14default_configENS1_38merge_sort_block_merge_config_selectorIdNS0_10empty_typeEEEZZNS1_27merge_sort_block_merge_implIS3_N6thrust23THRUST_200600_302600_NS6detail15normal_iteratorINS9_10device_ptrIdEEEEPS5_m14custom_greaterIdEEE10hipError_tT0_T1_T2_jT3_P12ihipStream_tbPNSt15iterator_traitsISJ_E10value_typeEPNSP_ISK_E10value_typeEPSL_NS1_7vsmem_tEENKUlT_SJ_SK_SL_E_clIPdSE_SF_SF_EESI_SY_SJ_SK_SL_EUlSY_E1_NS1_11comp_targetILNS1_3genE4ELNS1_11target_archE910ELNS1_3gpuE8ELNS1_3repE0EEENS1_36merge_oddeven_config_static_selectorELNS0_4arch9wavefront6targetE1EEEvSK_
; %bb.0:
	s_load_dword s18, s[4:5], 0x20
	s_waitcnt lgkmcnt(0)
	s_lshr_b32 s0, s18, 8
	s_cmp_lg_u32 s6, s0
	s_cselect_b64 s[14:15], -1, 0
	s_cmp_eq_u32 s6, s0
	s_cselect_b64 s[12:13], -1, 0
	s_lshl_b32 s16, s6, 8
	s_sub_i32 s0, s18, s16
	v_cmp_gt_u32_e64 s[2:3], s0, v0
	s_or_b64 s[0:1], s[14:15], s[2:3]
	s_and_saveexec_b64 s[8:9], s[0:1]
	s_cbranch_execz .LBB3632_20
; %bb.1:
	s_load_dwordx4 s[8:11], s[4:5], 0x0
	s_load_dword s19, s[4:5], 0x28
	s_mov_b32 s17, 0
	s_lshl_b64 s[0:1], s[16:17], 3
	v_lshlrev_b32_e32 v1, 3, v0
	s_waitcnt lgkmcnt(0)
	s_add_u32 s0, s8, s0
	s_addc_u32 s1, s9, s1
	global_load_dwordx2 v[2:3], v1, s[0:1]
	s_lshr_b32 s0, s19, 8
	s_sub_i32 s1, 0, s0
	s_and_b32 s1, s6, s1
	s_and_b32 s0, s1, s0
	s_lshl_b32 s20, s1, 8
	s_sub_i32 s6, 0, s19
	s_cmp_eq_u32 s0, 0
	s_cselect_b64 s[0:1], -1, 0
	s_and_b64 s[4:5], s[0:1], exec
	s_cselect_b32 s17, s19, s6
	s_add_i32 s17, s17, s20
	s_cmp_lt_u32 s17, s18
	v_add_u32_e32 v0, s16, v0
	s_cbranch_scc1 .LBB3632_3
; %bb.2:
	v_cmp_gt_u32_e32 vcc, s18, v0
	s_or_b64 s[4:5], vcc, s[14:15]
	s_and_b64 s[4:5], s[4:5], exec
	s_cbranch_execz .LBB3632_4
	s_branch .LBB3632_18
.LBB3632_3:
	s_mov_b64 s[4:5], 0
.LBB3632_4:
	s_min_u32 s14, s17, s18
	s_add_i32 s6, s14, s19
	s_min_u32 s15, s6, s18
	s_min_u32 s6, s20, s14
	s_add_i32 s20, s20, s14
	v_subrev_u32_e32 v0, s20, v0
	v_add_u32_e32 v4, s6, v0
	s_and_b64 vcc, exec, s[12:13]
	s_cbranch_vccz .LBB3632_12
; %bb.5:
                                        ; implicit-def: $vgpr0
	s_and_saveexec_b64 s[6:7], s[2:3]
	s_cbranch_execz .LBB3632_11
; %bb.6:
	s_cmp_ge_u32 s17, s15
	v_mov_b32_e32 v5, s14
	s_cbranch_scc1 .LBB3632_10
; %bb.7:
	s_mov_b64 s[2:3], 0
	v_mov_b32_e32 v6, s15
	v_mov_b32_e32 v5, s14
	;; [unrolled: 1-line block ×4, first 2 shown]
.LBB3632_8:                             ; =>This Inner Loop Header: Depth=1
	v_add_u32_e32 v0, v5, v6
	v_lshrrev_b32_e32 v0, 1, v0
	v_lshlrev_b64 v[8:9], 3, v[0:1]
	v_add_co_u32_e32 v8, vcc, s8, v8
	v_addc_co_u32_e32 v9, vcc, v7, v9, vcc
	global_load_dwordx2 v[8:9], v[8:9], off
	v_add_u32_e32 v10, 1, v0
	s_waitcnt vmcnt(0)
	v_cmp_gt_f64_e32 vcc, v[2:3], v[8:9]
	v_cndmask_b32_e64 v11, 0, 1, vcc
	v_cmp_ngt_f64_e32 vcc, v[8:9], v[2:3]
	v_cndmask_b32_e64 v8, 0, 1, vcc
	v_cndmask_b32_e64 v8, v8, v11, s[0:1]
	v_and_b32_e32 v8, 1, v8
	v_cmp_eq_u32_e32 vcc, 1, v8
	v_cndmask_b32_e32 v6, v0, v6, vcc
	v_cndmask_b32_e32 v5, v5, v10, vcc
	v_cmp_ge_u32_e32 vcc, v5, v6
	s_or_b64 s[2:3], vcc, s[2:3]
	s_andn2_b64 exec, exec, s[2:3]
	s_cbranch_execnz .LBB3632_8
; %bb.9:
	s_or_b64 exec, exec, s[2:3]
.LBB3632_10:
	v_add_u32_e32 v0, v5, v4
	s_or_b64 s[4:5], s[4:5], exec
.LBB3632_11:
	s_or_b64 exec, exec, s[6:7]
	s_branch .LBB3632_18
.LBB3632_12:
                                        ; implicit-def: $vgpr0
	s_cbranch_execz .LBB3632_18
; %bb.13:
	s_cmp_ge_u32 s17, s15
	v_mov_b32_e32 v5, s14
	s_cbranch_scc1 .LBB3632_17
; %bb.14:
	s_mov_b64 s[2:3], 0
	v_mov_b32_e32 v6, s15
	v_mov_b32_e32 v5, s14
	;; [unrolled: 1-line block ×4, first 2 shown]
.LBB3632_15:                            ; =>This Inner Loop Header: Depth=1
	v_add_u32_e32 v0, v5, v6
	v_lshrrev_b32_e32 v0, 1, v0
	v_lshlrev_b64 v[8:9], 3, v[0:1]
	v_add_co_u32_e32 v8, vcc, s8, v8
	v_addc_co_u32_e32 v9, vcc, v7, v9, vcc
	global_load_dwordx2 v[8:9], v[8:9], off
	v_add_u32_e32 v10, 1, v0
	s_waitcnt vmcnt(0)
	v_cmp_gt_f64_e32 vcc, v[2:3], v[8:9]
	v_cndmask_b32_e64 v11, 0, 1, vcc
	v_cmp_ngt_f64_e32 vcc, v[8:9], v[2:3]
	v_cndmask_b32_e64 v8, 0, 1, vcc
	v_cndmask_b32_e64 v8, v8, v11, s[0:1]
	v_and_b32_e32 v8, 1, v8
	v_cmp_eq_u32_e32 vcc, 1, v8
	v_cndmask_b32_e32 v6, v0, v6, vcc
	v_cndmask_b32_e32 v5, v5, v10, vcc
	v_cmp_ge_u32_e32 vcc, v5, v6
	s_or_b64 s[2:3], vcc, s[2:3]
	s_andn2_b64 exec, exec, s[2:3]
	s_cbranch_execnz .LBB3632_15
; %bb.16:
	s_or_b64 exec, exec, s[2:3]
.LBB3632_17:
	v_add_u32_e32 v0, v5, v4
	s_mov_b64 s[4:5], -1
.LBB3632_18:
	s_and_b64 exec, exec, s[4:5]
	s_cbranch_execz .LBB3632_20
; %bb.19:
	v_mov_b32_e32 v1, 0
	v_lshlrev_b64 v[0:1], 3, v[0:1]
	v_mov_b32_e32 v4, s11
	v_add_co_u32_e32 v0, vcc, s10, v0
	v_addc_co_u32_e32 v1, vcc, v4, v1, vcc
	s_waitcnt vmcnt(0)
	global_store_dwordx2 v[0:1], v[2:3], off
.LBB3632_20:
	s_endpgm
	.section	.rodata,"a",@progbits
	.p2align	6, 0x0
	.amdhsa_kernel _ZN7rocprim17ROCPRIM_400000_NS6detail17trampoline_kernelINS0_14default_configENS1_38merge_sort_block_merge_config_selectorIdNS0_10empty_typeEEEZZNS1_27merge_sort_block_merge_implIS3_N6thrust23THRUST_200600_302600_NS6detail15normal_iteratorINS9_10device_ptrIdEEEEPS5_m14custom_greaterIdEEE10hipError_tT0_T1_T2_jT3_P12ihipStream_tbPNSt15iterator_traitsISJ_E10value_typeEPNSP_ISK_E10value_typeEPSL_NS1_7vsmem_tEENKUlT_SJ_SK_SL_E_clIPdSE_SF_SF_EESI_SY_SJ_SK_SL_EUlSY_E1_NS1_11comp_targetILNS1_3genE4ELNS1_11target_archE910ELNS1_3gpuE8ELNS1_3repE0EEENS1_36merge_oddeven_config_static_selectorELNS0_4arch9wavefront6targetE1EEEvSK_
		.amdhsa_group_segment_fixed_size 0
		.amdhsa_private_segment_fixed_size 0
		.amdhsa_kernarg_size 56
		.amdhsa_user_sgpr_count 6
		.amdhsa_user_sgpr_private_segment_buffer 1
		.amdhsa_user_sgpr_dispatch_ptr 0
		.amdhsa_user_sgpr_queue_ptr 0
		.amdhsa_user_sgpr_kernarg_segment_ptr 1
		.amdhsa_user_sgpr_dispatch_id 0
		.amdhsa_user_sgpr_flat_scratch_init 0
		.amdhsa_user_sgpr_kernarg_preload_length 0
		.amdhsa_user_sgpr_kernarg_preload_offset 0
		.amdhsa_user_sgpr_private_segment_size 0
		.amdhsa_uses_dynamic_stack 0
		.amdhsa_system_sgpr_private_segment_wavefront_offset 0
		.amdhsa_system_sgpr_workgroup_id_x 1
		.amdhsa_system_sgpr_workgroup_id_y 0
		.amdhsa_system_sgpr_workgroup_id_z 0
		.amdhsa_system_sgpr_workgroup_info 0
		.amdhsa_system_vgpr_workitem_id 0
		.amdhsa_next_free_vgpr 12
		.amdhsa_next_free_sgpr 21
		.amdhsa_accum_offset 12
		.amdhsa_reserve_vcc 1
		.amdhsa_reserve_flat_scratch 0
		.amdhsa_float_round_mode_32 0
		.amdhsa_float_round_mode_16_64 0
		.amdhsa_float_denorm_mode_32 3
		.amdhsa_float_denorm_mode_16_64 3
		.amdhsa_dx10_clamp 1
		.amdhsa_ieee_mode 1
		.amdhsa_fp16_overflow 0
		.amdhsa_tg_split 0
		.amdhsa_exception_fp_ieee_invalid_op 0
		.amdhsa_exception_fp_denorm_src 0
		.amdhsa_exception_fp_ieee_div_zero 0
		.amdhsa_exception_fp_ieee_overflow 0
		.amdhsa_exception_fp_ieee_underflow 0
		.amdhsa_exception_fp_ieee_inexact 0
		.amdhsa_exception_int_div_zero 0
	.end_amdhsa_kernel
	.section	.text._ZN7rocprim17ROCPRIM_400000_NS6detail17trampoline_kernelINS0_14default_configENS1_38merge_sort_block_merge_config_selectorIdNS0_10empty_typeEEEZZNS1_27merge_sort_block_merge_implIS3_N6thrust23THRUST_200600_302600_NS6detail15normal_iteratorINS9_10device_ptrIdEEEEPS5_m14custom_greaterIdEEE10hipError_tT0_T1_T2_jT3_P12ihipStream_tbPNSt15iterator_traitsISJ_E10value_typeEPNSP_ISK_E10value_typeEPSL_NS1_7vsmem_tEENKUlT_SJ_SK_SL_E_clIPdSE_SF_SF_EESI_SY_SJ_SK_SL_EUlSY_E1_NS1_11comp_targetILNS1_3genE4ELNS1_11target_archE910ELNS1_3gpuE8ELNS1_3repE0EEENS1_36merge_oddeven_config_static_selectorELNS0_4arch9wavefront6targetE1EEEvSK_,"axG",@progbits,_ZN7rocprim17ROCPRIM_400000_NS6detail17trampoline_kernelINS0_14default_configENS1_38merge_sort_block_merge_config_selectorIdNS0_10empty_typeEEEZZNS1_27merge_sort_block_merge_implIS3_N6thrust23THRUST_200600_302600_NS6detail15normal_iteratorINS9_10device_ptrIdEEEEPS5_m14custom_greaterIdEEE10hipError_tT0_T1_T2_jT3_P12ihipStream_tbPNSt15iterator_traitsISJ_E10value_typeEPNSP_ISK_E10value_typeEPSL_NS1_7vsmem_tEENKUlT_SJ_SK_SL_E_clIPdSE_SF_SF_EESI_SY_SJ_SK_SL_EUlSY_E1_NS1_11comp_targetILNS1_3genE4ELNS1_11target_archE910ELNS1_3gpuE8ELNS1_3repE0EEENS1_36merge_oddeven_config_static_selectorELNS0_4arch9wavefront6targetE1EEEvSK_,comdat
.Lfunc_end3632:
	.size	_ZN7rocprim17ROCPRIM_400000_NS6detail17trampoline_kernelINS0_14default_configENS1_38merge_sort_block_merge_config_selectorIdNS0_10empty_typeEEEZZNS1_27merge_sort_block_merge_implIS3_N6thrust23THRUST_200600_302600_NS6detail15normal_iteratorINS9_10device_ptrIdEEEEPS5_m14custom_greaterIdEEE10hipError_tT0_T1_T2_jT3_P12ihipStream_tbPNSt15iterator_traitsISJ_E10value_typeEPNSP_ISK_E10value_typeEPSL_NS1_7vsmem_tEENKUlT_SJ_SK_SL_E_clIPdSE_SF_SF_EESI_SY_SJ_SK_SL_EUlSY_E1_NS1_11comp_targetILNS1_3genE4ELNS1_11target_archE910ELNS1_3gpuE8ELNS1_3repE0EEENS1_36merge_oddeven_config_static_selectorELNS0_4arch9wavefront6targetE1EEEvSK_, .Lfunc_end3632-_ZN7rocprim17ROCPRIM_400000_NS6detail17trampoline_kernelINS0_14default_configENS1_38merge_sort_block_merge_config_selectorIdNS0_10empty_typeEEEZZNS1_27merge_sort_block_merge_implIS3_N6thrust23THRUST_200600_302600_NS6detail15normal_iteratorINS9_10device_ptrIdEEEEPS5_m14custom_greaterIdEEE10hipError_tT0_T1_T2_jT3_P12ihipStream_tbPNSt15iterator_traitsISJ_E10value_typeEPNSP_ISK_E10value_typeEPSL_NS1_7vsmem_tEENKUlT_SJ_SK_SL_E_clIPdSE_SF_SF_EESI_SY_SJ_SK_SL_EUlSY_E1_NS1_11comp_targetILNS1_3genE4ELNS1_11target_archE910ELNS1_3gpuE8ELNS1_3repE0EEENS1_36merge_oddeven_config_static_selectorELNS0_4arch9wavefront6targetE1EEEvSK_
                                        ; -- End function
	.section	.AMDGPU.csdata,"",@progbits
; Kernel info:
; codeLenInByte = 588
; NumSgprs: 25
; NumVgprs: 12
; NumAgprs: 0
; TotalNumVgprs: 12
; ScratchSize: 0
; MemoryBound: 0
; FloatMode: 240
; IeeeMode: 1
; LDSByteSize: 0 bytes/workgroup (compile time only)
; SGPRBlocks: 3
; VGPRBlocks: 1
; NumSGPRsForWavesPerEU: 25
; NumVGPRsForWavesPerEU: 12
; AccumOffset: 12
; Occupancy: 8
; WaveLimiterHint : 0
; COMPUTE_PGM_RSRC2:SCRATCH_EN: 0
; COMPUTE_PGM_RSRC2:USER_SGPR: 6
; COMPUTE_PGM_RSRC2:TRAP_HANDLER: 0
; COMPUTE_PGM_RSRC2:TGID_X_EN: 1
; COMPUTE_PGM_RSRC2:TGID_Y_EN: 0
; COMPUTE_PGM_RSRC2:TGID_Z_EN: 0
; COMPUTE_PGM_RSRC2:TIDIG_COMP_CNT: 0
; COMPUTE_PGM_RSRC3_GFX90A:ACCUM_OFFSET: 2
; COMPUTE_PGM_RSRC3_GFX90A:TG_SPLIT: 0
	.section	.text._ZN7rocprim17ROCPRIM_400000_NS6detail17trampoline_kernelINS0_14default_configENS1_38merge_sort_block_merge_config_selectorIdNS0_10empty_typeEEEZZNS1_27merge_sort_block_merge_implIS3_N6thrust23THRUST_200600_302600_NS6detail15normal_iteratorINS9_10device_ptrIdEEEEPS5_m14custom_greaterIdEEE10hipError_tT0_T1_T2_jT3_P12ihipStream_tbPNSt15iterator_traitsISJ_E10value_typeEPNSP_ISK_E10value_typeEPSL_NS1_7vsmem_tEENKUlT_SJ_SK_SL_E_clIPdSE_SF_SF_EESI_SY_SJ_SK_SL_EUlSY_E1_NS1_11comp_targetILNS1_3genE3ELNS1_11target_archE908ELNS1_3gpuE7ELNS1_3repE0EEENS1_36merge_oddeven_config_static_selectorELNS0_4arch9wavefront6targetE1EEEvSK_,"axG",@progbits,_ZN7rocprim17ROCPRIM_400000_NS6detail17trampoline_kernelINS0_14default_configENS1_38merge_sort_block_merge_config_selectorIdNS0_10empty_typeEEEZZNS1_27merge_sort_block_merge_implIS3_N6thrust23THRUST_200600_302600_NS6detail15normal_iteratorINS9_10device_ptrIdEEEEPS5_m14custom_greaterIdEEE10hipError_tT0_T1_T2_jT3_P12ihipStream_tbPNSt15iterator_traitsISJ_E10value_typeEPNSP_ISK_E10value_typeEPSL_NS1_7vsmem_tEENKUlT_SJ_SK_SL_E_clIPdSE_SF_SF_EESI_SY_SJ_SK_SL_EUlSY_E1_NS1_11comp_targetILNS1_3genE3ELNS1_11target_archE908ELNS1_3gpuE7ELNS1_3repE0EEENS1_36merge_oddeven_config_static_selectorELNS0_4arch9wavefront6targetE1EEEvSK_,comdat
	.protected	_ZN7rocprim17ROCPRIM_400000_NS6detail17trampoline_kernelINS0_14default_configENS1_38merge_sort_block_merge_config_selectorIdNS0_10empty_typeEEEZZNS1_27merge_sort_block_merge_implIS3_N6thrust23THRUST_200600_302600_NS6detail15normal_iteratorINS9_10device_ptrIdEEEEPS5_m14custom_greaterIdEEE10hipError_tT0_T1_T2_jT3_P12ihipStream_tbPNSt15iterator_traitsISJ_E10value_typeEPNSP_ISK_E10value_typeEPSL_NS1_7vsmem_tEENKUlT_SJ_SK_SL_E_clIPdSE_SF_SF_EESI_SY_SJ_SK_SL_EUlSY_E1_NS1_11comp_targetILNS1_3genE3ELNS1_11target_archE908ELNS1_3gpuE7ELNS1_3repE0EEENS1_36merge_oddeven_config_static_selectorELNS0_4arch9wavefront6targetE1EEEvSK_ ; -- Begin function _ZN7rocprim17ROCPRIM_400000_NS6detail17trampoline_kernelINS0_14default_configENS1_38merge_sort_block_merge_config_selectorIdNS0_10empty_typeEEEZZNS1_27merge_sort_block_merge_implIS3_N6thrust23THRUST_200600_302600_NS6detail15normal_iteratorINS9_10device_ptrIdEEEEPS5_m14custom_greaterIdEEE10hipError_tT0_T1_T2_jT3_P12ihipStream_tbPNSt15iterator_traitsISJ_E10value_typeEPNSP_ISK_E10value_typeEPSL_NS1_7vsmem_tEENKUlT_SJ_SK_SL_E_clIPdSE_SF_SF_EESI_SY_SJ_SK_SL_EUlSY_E1_NS1_11comp_targetILNS1_3genE3ELNS1_11target_archE908ELNS1_3gpuE7ELNS1_3repE0EEENS1_36merge_oddeven_config_static_selectorELNS0_4arch9wavefront6targetE1EEEvSK_
	.globl	_ZN7rocprim17ROCPRIM_400000_NS6detail17trampoline_kernelINS0_14default_configENS1_38merge_sort_block_merge_config_selectorIdNS0_10empty_typeEEEZZNS1_27merge_sort_block_merge_implIS3_N6thrust23THRUST_200600_302600_NS6detail15normal_iteratorINS9_10device_ptrIdEEEEPS5_m14custom_greaterIdEEE10hipError_tT0_T1_T2_jT3_P12ihipStream_tbPNSt15iterator_traitsISJ_E10value_typeEPNSP_ISK_E10value_typeEPSL_NS1_7vsmem_tEENKUlT_SJ_SK_SL_E_clIPdSE_SF_SF_EESI_SY_SJ_SK_SL_EUlSY_E1_NS1_11comp_targetILNS1_3genE3ELNS1_11target_archE908ELNS1_3gpuE7ELNS1_3repE0EEENS1_36merge_oddeven_config_static_selectorELNS0_4arch9wavefront6targetE1EEEvSK_
	.p2align	8
	.type	_ZN7rocprim17ROCPRIM_400000_NS6detail17trampoline_kernelINS0_14default_configENS1_38merge_sort_block_merge_config_selectorIdNS0_10empty_typeEEEZZNS1_27merge_sort_block_merge_implIS3_N6thrust23THRUST_200600_302600_NS6detail15normal_iteratorINS9_10device_ptrIdEEEEPS5_m14custom_greaterIdEEE10hipError_tT0_T1_T2_jT3_P12ihipStream_tbPNSt15iterator_traitsISJ_E10value_typeEPNSP_ISK_E10value_typeEPSL_NS1_7vsmem_tEENKUlT_SJ_SK_SL_E_clIPdSE_SF_SF_EESI_SY_SJ_SK_SL_EUlSY_E1_NS1_11comp_targetILNS1_3genE3ELNS1_11target_archE908ELNS1_3gpuE7ELNS1_3repE0EEENS1_36merge_oddeven_config_static_selectorELNS0_4arch9wavefront6targetE1EEEvSK_,@function
_ZN7rocprim17ROCPRIM_400000_NS6detail17trampoline_kernelINS0_14default_configENS1_38merge_sort_block_merge_config_selectorIdNS0_10empty_typeEEEZZNS1_27merge_sort_block_merge_implIS3_N6thrust23THRUST_200600_302600_NS6detail15normal_iteratorINS9_10device_ptrIdEEEEPS5_m14custom_greaterIdEEE10hipError_tT0_T1_T2_jT3_P12ihipStream_tbPNSt15iterator_traitsISJ_E10value_typeEPNSP_ISK_E10value_typeEPSL_NS1_7vsmem_tEENKUlT_SJ_SK_SL_E_clIPdSE_SF_SF_EESI_SY_SJ_SK_SL_EUlSY_E1_NS1_11comp_targetILNS1_3genE3ELNS1_11target_archE908ELNS1_3gpuE7ELNS1_3repE0EEENS1_36merge_oddeven_config_static_selectorELNS0_4arch9wavefront6targetE1EEEvSK_: ; @_ZN7rocprim17ROCPRIM_400000_NS6detail17trampoline_kernelINS0_14default_configENS1_38merge_sort_block_merge_config_selectorIdNS0_10empty_typeEEEZZNS1_27merge_sort_block_merge_implIS3_N6thrust23THRUST_200600_302600_NS6detail15normal_iteratorINS9_10device_ptrIdEEEEPS5_m14custom_greaterIdEEE10hipError_tT0_T1_T2_jT3_P12ihipStream_tbPNSt15iterator_traitsISJ_E10value_typeEPNSP_ISK_E10value_typeEPSL_NS1_7vsmem_tEENKUlT_SJ_SK_SL_E_clIPdSE_SF_SF_EESI_SY_SJ_SK_SL_EUlSY_E1_NS1_11comp_targetILNS1_3genE3ELNS1_11target_archE908ELNS1_3gpuE7ELNS1_3repE0EEENS1_36merge_oddeven_config_static_selectorELNS0_4arch9wavefront6targetE1EEEvSK_
; %bb.0:
	.section	.rodata,"a",@progbits
	.p2align	6, 0x0
	.amdhsa_kernel _ZN7rocprim17ROCPRIM_400000_NS6detail17trampoline_kernelINS0_14default_configENS1_38merge_sort_block_merge_config_selectorIdNS0_10empty_typeEEEZZNS1_27merge_sort_block_merge_implIS3_N6thrust23THRUST_200600_302600_NS6detail15normal_iteratorINS9_10device_ptrIdEEEEPS5_m14custom_greaterIdEEE10hipError_tT0_T1_T2_jT3_P12ihipStream_tbPNSt15iterator_traitsISJ_E10value_typeEPNSP_ISK_E10value_typeEPSL_NS1_7vsmem_tEENKUlT_SJ_SK_SL_E_clIPdSE_SF_SF_EESI_SY_SJ_SK_SL_EUlSY_E1_NS1_11comp_targetILNS1_3genE3ELNS1_11target_archE908ELNS1_3gpuE7ELNS1_3repE0EEENS1_36merge_oddeven_config_static_selectorELNS0_4arch9wavefront6targetE1EEEvSK_
		.amdhsa_group_segment_fixed_size 0
		.amdhsa_private_segment_fixed_size 0
		.amdhsa_kernarg_size 56
		.amdhsa_user_sgpr_count 6
		.amdhsa_user_sgpr_private_segment_buffer 1
		.amdhsa_user_sgpr_dispatch_ptr 0
		.amdhsa_user_sgpr_queue_ptr 0
		.amdhsa_user_sgpr_kernarg_segment_ptr 1
		.amdhsa_user_sgpr_dispatch_id 0
		.amdhsa_user_sgpr_flat_scratch_init 0
		.amdhsa_user_sgpr_kernarg_preload_length 0
		.amdhsa_user_sgpr_kernarg_preload_offset 0
		.amdhsa_user_sgpr_private_segment_size 0
		.amdhsa_uses_dynamic_stack 0
		.amdhsa_system_sgpr_private_segment_wavefront_offset 0
		.amdhsa_system_sgpr_workgroup_id_x 1
		.amdhsa_system_sgpr_workgroup_id_y 0
		.amdhsa_system_sgpr_workgroup_id_z 0
		.amdhsa_system_sgpr_workgroup_info 0
		.amdhsa_system_vgpr_workitem_id 0
		.amdhsa_next_free_vgpr 1
		.amdhsa_next_free_sgpr 0
		.amdhsa_accum_offset 4
		.amdhsa_reserve_vcc 0
		.amdhsa_reserve_flat_scratch 0
		.amdhsa_float_round_mode_32 0
		.amdhsa_float_round_mode_16_64 0
		.amdhsa_float_denorm_mode_32 3
		.amdhsa_float_denorm_mode_16_64 3
		.amdhsa_dx10_clamp 1
		.amdhsa_ieee_mode 1
		.amdhsa_fp16_overflow 0
		.amdhsa_tg_split 0
		.amdhsa_exception_fp_ieee_invalid_op 0
		.amdhsa_exception_fp_denorm_src 0
		.amdhsa_exception_fp_ieee_div_zero 0
		.amdhsa_exception_fp_ieee_overflow 0
		.amdhsa_exception_fp_ieee_underflow 0
		.amdhsa_exception_fp_ieee_inexact 0
		.amdhsa_exception_int_div_zero 0
	.end_amdhsa_kernel
	.section	.text._ZN7rocprim17ROCPRIM_400000_NS6detail17trampoline_kernelINS0_14default_configENS1_38merge_sort_block_merge_config_selectorIdNS0_10empty_typeEEEZZNS1_27merge_sort_block_merge_implIS3_N6thrust23THRUST_200600_302600_NS6detail15normal_iteratorINS9_10device_ptrIdEEEEPS5_m14custom_greaterIdEEE10hipError_tT0_T1_T2_jT3_P12ihipStream_tbPNSt15iterator_traitsISJ_E10value_typeEPNSP_ISK_E10value_typeEPSL_NS1_7vsmem_tEENKUlT_SJ_SK_SL_E_clIPdSE_SF_SF_EESI_SY_SJ_SK_SL_EUlSY_E1_NS1_11comp_targetILNS1_3genE3ELNS1_11target_archE908ELNS1_3gpuE7ELNS1_3repE0EEENS1_36merge_oddeven_config_static_selectorELNS0_4arch9wavefront6targetE1EEEvSK_,"axG",@progbits,_ZN7rocprim17ROCPRIM_400000_NS6detail17trampoline_kernelINS0_14default_configENS1_38merge_sort_block_merge_config_selectorIdNS0_10empty_typeEEEZZNS1_27merge_sort_block_merge_implIS3_N6thrust23THRUST_200600_302600_NS6detail15normal_iteratorINS9_10device_ptrIdEEEEPS5_m14custom_greaterIdEEE10hipError_tT0_T1_T2_jT3_P12ihipStream_tbPNSt15iterator_traitsISJ_E10value_typeEPNSP_ISK_E10value_typeEPSL_NS1_7vsmem_tEENKUlT_SJ_SK_SL_E_clIPdSE_SF_SF_EESI_SY_SJ_SK_SL_EUlSY_E1_NS1_11comp_targetILNS1_3genE3ELNS1_11target_archE908ELNS1_3gpuE7ELNS1_3repE0EEENS1_36merge_oddeven_config_static_selectorELNS0_4arch9wavefront6targetE1EEEvSK_,comdat
.Lfunc_end3633:
	.size	_ZN7rocprim17ROCPRIM_400000_NS6detail17trampoline_kernelINS0_14default_configENS1_38merge_sort_block_merge_config_selectorIdNS0_10empty_typeEEEZZNS1_27merge_sort_block_merge_implIS3_N6thrust23THRUST_200600_302600_NS6detail15normal_iteratorINS9_10device_ptrIdEEEEPS5_m14custom_greaterIdEEE10hipError_tT0_T1_T2_jT3_P12ihipStream_tbPNSt15iterator_traitsISJ_E10value_typeEPNSP_ISK_E10value_typeEPSL_NS1_7vsmem_tEENKUlT_SJ_SK_SL_E_clIPdSE_SF_SF_EESI_SY_SJ_SK_SL_EUlSY_E1_NS1_11comp_targetILNS1_3genE3ELNS1_11target_archE908ELNS1_3gpuE7ELNS1_3repE0EEENS1_36merge_oddeven_config_static_selectorELNS0_4arch9wavefront6targetE1EEEvSK_, .Lfunc_end3633-_ZN7rocprim17ROCPRIM_400000_NS6detail17trampoline_kernelINS0_14default_configENS1_38merge_sort_block_merge_config_selectorIdNS0_10empty_typeEEEZZNS1_27merge_sort_block_merge_implIS3_N6thrust23THRUST_200600_302600_NS6detail15normal_iteratorINS9_10device_ptrIdEEEEPS5_m14custom_greaterIdEEE10hipError_tT0_T1_T2_jT3_P12ihipStream_tbPNSt15iterator_traitsISJ_E10value_typeEPNSP_ISK_E10value_typeEPSL_NS1_7vsmem_tEENKUlT_SJ_SK_SL_E_clIPdSE_SF_SF_EESI_SY_SJ_SK_SL_EUlSY_E1_NS1_11comp_targetILNS1_3genE3ELNS1_11target_archE908ELNS1_3gpuE7ELNS1_3repE0EEENS1_36merge_oddeven_config_static_selectorELNS0_4arch9wavefront6targetE1EEEvSK_
                                        ; -- End function
	.section	.AMDGPU.csdata,"",@progbits
; Kernel info:
; codeLenInByte = 0
; NumSgprs: 4
; NumVgprs: 0
; NumAgprs: 0
; TotalNumVgprs: 0
; ScratchSize: 0
; MemoryBound: 0
; FloatMode: 240
; IeeeMode: 1
; LDSByteSize: 0 bytes/workgroup (compile time only)
; SGPRBlocks: 0
; VGPRBlocks: 0
; NumSGPRsForWavesPerEU: 4
; NumVGPRsForWavesPerEU: 1
; AccumOffset: 4
; Occupancy: 8
; WaveLimiterHint : 0
; COMPUTE_PGM_RSRC2:SCRATCH_EN: 0
; COMPUTE_PGM_RSRC2:USER_SGPR: 6
; COMPUTE_PGM_RSRC2:TRAP_HANDLER: 0
; COMPUTE_PGM_RSRC2:TGID_X_EN: 1
; COMPUTE_PGM_RSRC2:TGID_Y_EN: 0
; COMPUTE_PGM_RSRC2:TGID_Z_EN: 0
; COMPUTE_PGM_RSRC2:TIDIG_COMP_CNT: 0
; COMPUTE_PGM_RSRC3_GFX90A:ACCUM_OFFSET: 0
; COMPUTE_PGM_RSRC3_GFX90A:TG_SPLIT: 0
	.section	.text._ZN7rocprim17ROCPRIM_400000_NS6detail17trampoline_kernelINS0_14default_configENS1_38merge_sort_block_merge_config_selectorIdNS0_10empty_typeEEEZZNS1_27merge_sort_block_merge_implIS3_N6thrust23THRUST_200600_302600_NS6detail15normal_iteratorINS9_10device_ptrIdEEEEPS5_m14custom_greaterIdEEE10hipError_tT0_T1_T2_jT3_P12ihipStream_tbPNSt15iterator_traitsISJ_E10value_typeEPNSP_ISK_E10value_typeEPSL_NS1_7vsmem_tEENKUlT_SJ_SK_SL_E_clIPdSE_SF_SF_EESI_SY_SJ_SK_SL_EUlSY_E1_NS1_11comp_targetILNS1_3genE2ELNS1_11target_archE906ELNS1_3gpuE6ELNS1_3repE0EEENS1_36merge_oddeven_config_static_selectorELNS0_4arch9wavefront6targetE1EEEvSK_,"axG",@progbits,_ZN7rocprim17ROCPRIM_400000_NS6detail17trampoline_kernelINS0_14default_configENS1_38merge_sort_block_merge_config_selectorIdNS0_10empty_typeEEEZZNS1_27merge_sort_block_merge_implIS3_N6thrust23THRUST_200600_302600_NS6detail15normal_iteratorINS9_10device_ptrIdEEEEPS5_m14custom_greaterIdEEE10hipError_tT0_T1_T2_jT3_P12ihipStream_tbPNSt15iterator_traitsISJ_E10value_typeEPNSP_ISK_E10value_typeEPSL_NS1_7vsmem_tEENKUlT_SJ_SK_SL_E_clIPdSE_SF_SF_EESI_SY_SJ_SK_SL_EUlSY_E1_NS1_11comp_targetILNS1_3genE2ELNS1_11target_archE906ELNS1_3gpuE6ELNS1_3repE0EEENS1_36merge_oddeven_config_static_selectorELNS0_4arch9wavefront6targetE1EEEvSK_,comdat
	.protected	_ZN7rocprim17ROCPRIM_400000_NS6detail17trampoline_kernelINS0_14default_configENS1_38merge_sort_block_merge_config_selectorIdNS0_10empty_typeEEEZZNS1_27merge_sort_block_merge_implIS3_N6thrust23THRUST_200600_302600_NS6detail15normal_iteratorINS9_10device_ptrIdEEEEPS5_m14custom_greaterIdEEE10hipError_tT0_T1_T2_jT3_P12ihipStream_tbPNSt15iterator_traitsISJ_E10value_typeEPNSP_ISK_E10value_typeEPSL_NS1_7vsmem_tEENKUlT_SJ_SK_SL_E_clIPdSE_SF_SF_EESI_SY_SJ_SK_SL_EUlSY_E1_NS1_11comp_targetILNS1_3genE2ELNS1_11target_archE906ELNS1_3gpuE6ELNS1_3repE0EEENS1_36merge_oddeven_config_static_selectorELNS0_4arch9wavefront6targetE1EEEvSK_ ; -- Begin function _ZN7rocprim17ROCPRIM_400000_NS6detail17trampoline_kernelINS0_14default_configENS1_38merge_sort_block_merge_config_selectorIdNS0_10empty_typeEEEZZNS1_27merge_sort_block_merge_implIS3_N6thrust23THRUST_200600_302600_NS6detail15normal_iteratorINS9_10device_ptrIdEEEEPS5_m14custom_greaterIdEEE10hipError_tT0_T1_T2_jT3_P12ihipStream_tbPNSt15iterator_traitsISJ_E10value_typeEPNSP_ISK_E10value_typeEPSL_NS1_7vsmem_tEENKUlT_SJ_SK_SL_E_clIPdSE_SF_SF_EESI_SY_SJ_SK_SL_EUlSY_E1_NS1_11comp_targetILNS1_3genE2ELNS1_11target_archE906ELNS1_3gpuE6ELNS1_3repE0EEENS1_36merge_oddeven_config_static_selectorELNS0_4arch9wavefront6targetE1EEEvSK_
	.globl	_ZN7rocprim17ROCPRIM_400000_NS6detail17trampoline_kernelINS0_14default_configENS1_38merge_sort_block_merge_config_selectorIdNS0_10empty_typeEEEZZNS1_27merge_sort_block_merge_implIS3_N6thrust23THRUST_200600_302600_NS6detail15normal_iteratorINS9_10device_ptrIdEEEEPS5_m14custom_greaterIdEEE10hipError_tT0_T1_T2_jT3_P12ihipStream_tbPNSt15iterator_traitsISJ_E10value_typeEPNSP_ISK_E10value_typeEPSL_NS1_7vsmem_tEENKUlT_SJ_SK_SL_E_clIPdSE_SF_SF_EESI_SY_SJ_SK_SL_EUlSY_E1_NS1_11comp_targetILNS1_3genE2ELNS1_11target_archE906ELNS1_3gpuE6ELNS1_3repE0EEENS1_36merge_oddeven_config_static_selectorELNS0_4arch9wavefront6targetE1EEEvSK_
	.p2align	8
	.type	_ZN7rocprim17ROCPRIM_400000_NS6detail17trampoline_kernelINS0_14default_configENS1_38merge_sort_block_merge_config_selectorIdNS0_10empty_typeEEEZZNS1_27merge_sort_block_merge_implIS3_N6thrust23THRUST_200600_302600_NS6detail15normal_iteratorINS9_10device_ptrIdEEEEPS5_m14custom_greaterIdEEE10hipError_tT0_T1_T2_jT3_P12ihipStream_tbPNSt15iterator_traitsISJ_E10value_typeEPNSP_ISK_E10value_typeEPSL_NS1_7vsmem_tEENKUlT_SJ_SK_SL_E_clIPdSE_SF_SF_EESI_SY_SJ_SK_SL_EUlSY_E1_NS1_11comp_targetILNS1_3genE2ELNS1_11target_archE906ELNS1_3gpuE6ELNS1_3repE0EEENS1_36merge_oddeven_config_static_selectorELNS0_4arch9wavefront6targetE1EEEvSK_,@function
_ZN7rocprim17ROCPRIM_400000_NS6detail17trampoline_kernelINS0_14default_configENS1_38merge_sort_block_merge_config_selectorIdNS0_10empty_typeEEEZZNS1_27merge_sort_block_merge_implIS3_N6thrust23THRUST_200600_302600_NS6detail15normal_iteratorINS9_10device_ptrIdEEEEPS5_m14custom_greaterIdEEE10hipError_tT0_T1_T2_jT3_P12ihipStream_tbPNSt15iterator_traitsISJ_E10value_typeEPNSP_ISK_E10value_typeEPSL_NS1_7vsmem_tEENKUlT_SJ_SK_SL_E_clIPdSE_SF_SF_EESI_SY_SJ_SK_SL_EUlSY_E1_NS1_11comp_targetILNS1_3genE2ELNS1_11target_archE906ELNS1_3gpuE6ELNS1_3repE0EEENS1_36merge_oddeven_config_static_selectorELNS0_4arch9wavefront6targetE1EEEvSK_: ; @_ZN7rocprim17ROCPRIM_400000_NS6detail17trampoline_kernelINS0_14default_configENS1_38merge_sort_block_merge_config_selectorIdNS0_10empty_typeEEEZZNS1_27merge_sort_block_merge_implIS3_N6thrust23THRUST_200600_302600_NS6detail15normal_iteratorINS9_10device_ptrIdEEEEPS5_m14custom_greaterIdEEE10hipError_tT0_T1_T2_jT3_P12ihipStream_tbPNSt15iterator_traitsISJ_E10value_typeEPNSP_ISK_E10value_typeEPSL_NS1_7vsmem_tEENKUlT_SJ_SK_SL_E_clIPdSE_SF_SF_EESI_SY_SJ_SK_SL_EUlSY_E1_NS1_11comp_targetILNS1_3genE2ELNS1_11target_archE906ELNS1_3gpuE6ELNS1_3repE0EEENS1_36merge_oddeven_config_static_selectorELNS0_4arch9wavefront6targetE1EEEvSK_
; %bb.0:
	.section	.rodata,"a",@progbits
	.p2align	6, 0x0
	.amdhsa_kernel _ZN7rocprim17ROCPRIM_400000_NS6detail17trampoline_kernelINS0_14default_configENS1_38merge_sort_block_merge_config_selectorIdNS0_10empty_typeEEEZZNS1_27merge_sort_block_merge_implIS3_N6thrust23THRUST_200600_302600_NS6detail15normal_iteratorINS9_10device_ptrIdEEEEPS5_m14custom_greaterIdEEE10hipError_tT0_T1_T2_jT3_P12ihipStream_tbPNSt15iterator_traitsISJ_E10value_typeEPNSP_ISK_E10value_typeEPSL_NS1_7vsmem_tEENKUlT_SJ_SK_SL_E_clIPdSE_SF_SF_EESI_SY_SJ_SK_SL_EUlSY_E1_NS1_11comp_targetILNS1_3genE2ELNS1_11target_archE906ELNS1_3gpuE6ELNS1_3repE0EEENS1_36merge_oddeven_config_static_selectorELNS0_4arch9wavefront6targetE1EEEvSK_
		.amdhsa_group_segment_fixed_size 0
		.amdhsa_private_segment_fixed_size 0
		.amdhsa_kernarg_size 56
		.amdhsa_user_sgpr_count 6
		.amdhsa_user_sgpr_private_segment_buffer 1
		.amdhsa_user_sgpr_dispatch_ptr 0
		.amdhsa_user_sgpr_queue_ptr 0
		.amdhsa_user_sgpr_kernarg_segment_ptr 1
		.amdhsa_user_sgpr_dispatch_id 0
		.amdhsa_user_sgpr_flat_scratch_init 0
		.amdhsa_user_sgpr_kernarg_preload_length 0
		.amdhsa_user_sgpr_kernarg_preload_offset 0
		.amdhsa_user_sgpr_private_segment_size 0
		.amdhsa_uses_dynamic_stack 0
		.amdhsa_system_sgpr_private_segment_wavefront_offset 0
		.amdhsa_system_sgpr_workgroup_id_x 1
		.amdhsa_system_sgpr_workgroup_id_y 0
		.amdhsa_system_sgpr_workgroup_id_z 0
		.amdhsa_system_sgpr_workgroup_info 0
		.amdhsa_system_vgpr_workitem_id 0
		.amdhsa_next_free_vgpr 1
		.amdhsa_next_free_sgpr 0
		.amdhsa_accum_offset 4
		.amdhsa_reserve_vcc 0
		.amdhsa_reserve_flat_scratch 0
		.amdhsa_float_round_mode_32 0
		.amdhsa_float_round_mode_16_64 0
		.amdhsa_float_denorm_mode_32 3
		.amdhsa_float_denorm_mode_16_64 3
		.amdhsa_dx10_clamp 1
		.amdhsa_ieee_mode 1
		.amdhsa_fp16_overflow 0
		.amdhsa_tg_split 0
		.amdhsa_exception_fp_ieee_invalid_op 0
		.amdhsa_exception_fp_denorm_src 0
		.amdhsa_exception_fp_ieee_div_zero 0
		.amdhsa_exception_fp_ieee_overflow 0
		.amdhsa_exception_fp_ieee_underflow 0
		.amdhsa_exception_fp_ieee_inexact 0
		.amdhsa_exception_int_div_zero 0
	.end_amdhsa_kernel
	.section	.text._ZN7rocprim17ROCPRIM_400000_NS6detail17trampoline_kernelINS0_14default_configENS1_38merge_sort_block_merge_config_selectorIdNS0_10empty_typeEEEZZNS1_27merge_sort_block_merge_implIS3_N6thrust23THRUST_200600_302600_NS6detail15normal_iteratorINS9_10device_ptrIdEEEEPS5_m14custom_greaterIdEEE10hipError_tT0_T1_T2_jT3_P12ihipStream_tbPNSt15iterator_traitsISJ_E10value_typeEPNSP_ISK_E10value_typeEPSL_NS1_7vsmem_tEENKUlT_SJ_SK_SL_E_clIPdSE_SF_SF_EESI_SY_SJ_SK_SL_EUlSY_E1_NS1_11comp_targetILNS1_3genE2ELNS1_11target_archE906ELNS1_3gpuE6ELNS1_3repE0EEENS1_36merge_oddeven_config_static_selectorELNS0_4arch9wavefront6targetE1EEEvSK_,"axG",@progbits,_ZN7rocprim17ROCPRIM_400000_NS6detail17trampoline_kernelINS0_14default_configENS1_38merge_sort_block_merge_config_selectorIdNS0_10empty_typeEEEZZNS1_27merge_sort_block_merge_implIS3_N6thrust23THRUST_200600_302600_NS6detail15normal_iteratorINS9_10device_ptrIdEEEEPS5_m14custom_greaterIdEEE10hipError_tT0_T1_T2_jT3_P12ihipStream_tbPNSt15iterator_traitsISJ_E10value_typeEPNSP_ISK_E10value_typeEPSL_NS1_7vsmem_tEENKUlT_SJ_SK_SL_E_clIPdSE_SF_SF_EESI_SY_SJ_SK_SL_EUlSY_E1_NS1_11comp_targetILNS1_3genE2ELNS1_11target_archE906ELNS1_3gpuE6ELNS1_3repE0EEENS1_36merge_oddeven_config_static_selectorELNS0_4arch9wavefront6targetE1EEEvSK_,comdat
.Lfunc_end3634:
	.size	_ZN7rocprim17ROCPRIM_400000_NS6detail17trampoline_kernelINS0_14default_configENS1_38merge_sort_block_merge_config_selectorIdNS0_10empty_typeEEEZZNS1_27merge_sort_block_merge_implIS3_N6thrust23THRUST_200600_302600_NS6detail15normal_iteratorINS9_10device_ptrIdEEEEPS5_m14custom_greaterIdEEE10hipError_tT0_T1_T2_jT3_P12ihipStream_tbPNSt15iterator_traitsISJ_E10value_typeEPNSP_ISK_E10value_typeEPSL_NS1_7vsmem_tEENKUlT_SJ_SK_SL_E_clIPdSE_SF_SF_EESI_SY_SJ_SK_SL_EUlSY_E1_NS1_11comp_targetILNS1_3genE2ELNS1_11target_archE906ELNS1_3gpuE6ELNS1_3repE0EEENS1_36merge_oddeven_config_static_selectorELNS0_4arch9wavefront6targetE1EEEvSK_, .Lfunc_end3634-_ZN7rocprim17ROCPRIM_400000_NS6detail17trampoline_kernelINS0_14default_configENS1_38merge_sort_block_merge_config_selectorIdNS0_10empty_typeEEEZZNS1_27merge_sort_block_merge_implIS3_N6thrust23THRUST_200600_302600_NS6detail15normal_iteratorINS9_10device_ptrIdEEEEPS5_m14custom_greaterIdEEE10hipError_tT0_T1_T2_jT3_P12ihipStream_tbPNSt15iterator_traitsISJ_E10value_typeEPNSP_ISK_E10value_typeEPSL_NS1_7vsmem_tEENKUlT_SJ_SK_SL_E_clIPdSE_SF_SF_EESI_SY_SJ_SK_SL_EUlSY_E1_NS1_11comp_targetILNS1_3genE2ELNS1_11target_archE906ELNS1_3gpuE6ELNS1_3repE0EEENS1_36merge_oddeven_config_static_selectorELNS0_4arch9wavefront6targetE1EEEvSK_
                                        ; -- End function
	.section	.AMDGPU.csdata,"",@progbits
; Kernel info:
; codeLenInByte = 0
; NumSgprs: 4
; NumVgprs: 0
; NumAgprs: 0
; TotalNumVgprs: 0
; ScratchSize: 0
; MemoryBound: 0
; FloatMode: 240
; IeeeMode: 1
; LDSByteSize: 0 bytes/workgroup (compile time only)
; SGPRBlocks: 0
; VGPRBlocks: 0
; NumSGPRsForWavesPerEU: 4
; NumVGPRsForWavesPerEU: 1
; AccumOffset: 4
; Occupancy: 8
; WaveLimiterHint : 0
; COMPUTE_PGM_RSRC2:SCRATCH_EN: 0
; COMPUTE_PGM_RSRC2:USER_SGPR: 6
; COMPUTE_PGM_RSRC2:TRAP_HANDLER: 0
; COMPUTE_PGM_RSRC2:TGID_X_EN: 1
; COMPUTE_PGM_RSRC2:TGID_Y_EN: 0
; COMPUTE_PGM_RSRC2:TGID_Z_EN: 0
; COMPUTE_PGM_RSRC2:TIDIG_COMP_CNT: 0
; COMPUTE_PGM_RSRC3_GFX90A:ACCUM_OFFSET: 0
; COMPUTE_PGM_RSRC3_GFX90A:TG_SPLIT: 0
	.section	.text._ZN7rocprim17ROCPRIM_400000_NS6detail17trampoline_kernelINS0_14default_configENS1_38merge_sort_block_merge_config_selectorIdNS0_10empty_typeEEEZZNS1_27merge_sort_block_merge_implIS3_N6thrust23THRUST_200600_302600_NS6detail15normal_iteratorINS9_10device_ptrIdEEEEPS5_m14custom_greaterIdEEE10hipError_tT0_T1_T2_jT3_P12ihipStream_tbPNSt15iterator_traitsISJ_E10value_typeEPNSP_ISK_E10value_typeEPSL_NS1_7vsmem_tEENKUlT_SJ_SK_SL_E_clIPdSE_SF_SF_EESI_SY_SJ_SK_SL_EUlSY_E1_NS1_11comp_targetILNS1_3genE9ELNS1_11target_archE1100ELNS1_3gpuE3ELNS1_3repE0EEENS1_36merge_oddeven_config_static_selectorELNS0_4arch9wavefront6targetE1EEEvSK_,"axG",@progbits,_ZN7rocprim17ROCPRIM_400000_NS6detail17trampoline_kernelINS0_14default_configENS1_38merge_sort_block_merge_config_selectorIdNS0_10empty_typeEEEZZNS1_27merge_sort_block_merge_implIS3_N6thrust23THRUST_200600_302600_NS6detail15normal_iteratorINS9_10device_ptrIdEEEEPS5_m14custom_greaterIdEEE10hipError_tT0_T1_T2_jT3_P12ihipStream_tbPNSt15iterator_traitsISJ_E10value_typeEPNSP_ISK_E10value_typeEPSL_NS1_7vsmem_tEENKUlT_SJ_SK_SL_E_clIPdSE_SF_SF_EESI_SY_SJ_SK_SL_EUlSY_E1_NS1_11comp_targetILNS1_3genE9ELNS1_11target_archE1100ELNS1_3gpuE3ELNS1_3repE0EEENS1_36merge_oddeven_config_static_selectorELNS0_4arch9wavefront6targetE1EEEvSK_,comdat
	.protected	_ZN7rocprim17ROCPRIM_400000_NS6detail17trampoline_kernelINS0_14default_configENS1_38merge_sort_block_merge_config_selectorIdNS0_10empty_typeEEEZZNS1_27merge_sort_block_merge_implIS3_N6thrust23THRUST_200600_302600_NS6detail15normal_iteratorINS9_10device_ptrIdEEEEPS5_m14custom_greaterIdEEE10hipError_tT0_T1_T2_jT3_P12ihipStream_tbPNSt15iterator_traitsISJ_E10value_typeEPNSP_ISK_E10value_typeEPSL_NS1_7vsmem_tEENKUlT_SJ_SK_SL_E_clIPdSE_SF_SF_EESI_SY_SJ_SK_SL_EUlSY_E1_NS1_11comp_targetILNS1_3genE9ELNS1_11target_archE1100ELNS1_3gpuE3ELNS1_3repE0EEENS1_36merge_oddeven_config_static_selectorELNS0_4arch9wavefront6targetE1EEEvSK_ ; -- Begin function _ZN7rocprim17ROCPRIM_400000_NS6detail17trampoline_kernelINS0_14default_configENS1_38merge_sort_block_merge_config_selectorIdNS0_10empty_typeEEEZZNS1_27merge_sort_block_merge_implIS3_N6thrust23THRUST_200600_302600_NS6detail15normal_iteratorINS9_10device_ptrIdEEEEPS5_m14custom_greaterIdEEE10hipError_tT0_T1_T2_jT3_P12ihipStream_tbPNSt15iterator_traitsISJ_E10value_typeEPNSP_ISK_E10value_typeEPSL_NS1_7vsmem_tEENKUlT_SJ_SK_SL_E_clIPdSE_SF_SF_EESI_SY_SJ_SK_SL_EUlSY_E1_NS1_11comp_targetILNS1_3genE9ELNS1_11target_archE1100ELNS1_3gpuE3ELNS1_3repE0EEENS1_36merge_oddeven_config_static_selectorELNS0_4arch9wavefront6targetE1EEEvSK_
	.globl	_ZN7rocprim17ROCPRIM_400000_NS6detail17trampoline_kernelINS0_14default_configENS1_38merge_sort_block_merge_config_selectorIdNS0_10empty_typeEEEZZNS1_27merge_sort_block_merge_implIS3_N6thrust23THRUST_200600_302600_NS6detail15normal_iteratorINS9_10device_ptrIdEEEEPS5_m14custom_greaterIdEEE10hipError_tT0_T1_T2_jT3_P12ihipStream_tbPNSt15iterator_traitsISJ_E10value_typeEPNSP_ISK_E10value_typeEPSL_NS1_7vsmem_tEENKUlT_SJ_SK_SL_E_clIPdSE_SF_SF_EESI_SY_SJ_SK_SL_EUlSY_E1_NS1_11comp_targetILNS1_3genE9ELNS1_11target_archE1100ELNS1_3gpuE3ELNS1_3repE0EEENS1_36merge_oddeven_config_static_selectorELNS0_4arch9wavefront6targetE1EEEvSK_
	.p2align	8
	.type	_ZN7rocprim17ROCPRIM_400000_NS6detail17trampoline_kernelINS0_14default_configENS1_38merge_sort_block_merge_config_selectorIdNS0_10empty_typeEEEZZNS1_27merge_sort_block_merge_implIS3_N6thrust23THRUST_200600_302600_NS6detail15normal_iteratorINS9_10device_ptrIdEEEEPS5_m14custom_greaterIdEEE10hipError_tT0_T1_T2_jT3_P12ihipStream_tbPNSt15iterator_traitsISJ_E10value_typeEPNSP_ISK_E10value_typeEPSL_NS1_7vsmem_tEENKUlT_SJ_SK_SL_E_clIPdSE_SF_SF_EESI_SY_SJ_SK_SL_EUlSY_E1_NS1_11comp_targetILNS1_3genE9ELNS1_11target_archE1100ELNS1_3gpuE3ELNS1_3repE0EEENS1_36merge_oddeven_config_static_selectorELNS0_4arch9wavefront6targetE1EEEvSK_,@function
_ZN7rocprim17ROCPRIM_400000_NS6detail17trampoline_kernelINS0_14default_configENS1_38merge_sort_block_merge_config_selectorIdNS0_10empty_typeEEEZZNS1_27merge_sort_block_merge_implIS3_N6thrust23THRUST_200600_302600_NS6detail15normal_iteratorINS9_10device_ptrIdEEEEPS5_m14custom_greaterIdEEE10hipError_tT0_T1_T2_jT3_P12ihipStream_tbPNSt15iterator_traitsISJ_E10value_typeEPNSP_ISK_E10value_typeEPSL_NS1_7vsmem_tEENKUlT_SJ_SK_SL_E_clIPdSE_SF_SF_EESI_SY_SJ_SK_SL_EUlSY_E1_NS1_11comp_targetILNS1_3genE9ELNS1_11target_archE1100ELNS1_3gpuE3ELNS1_3repE0EEENS1_36merge_oddeven_config_static_selectorELNS0_4arch9wavefront6targetE1EEEvSK_: ; @_ZN7rocprim17ROCPRIM_400000_NS6detail17trampoline_kernelINS0_14default_configENS1_38merge_sort_block_merge_config_selectorIdNS0_10empty_typeEEEZZNS1_27merge_sort_block_merge_implIS3_N6thrust23THRUST_200600_302600_NS6detail15normal_iteratorINS9_10device_ptrIdEEEEPS5_m14custom_greaterIdEEE10hipError_tT0_T1_T2_jT3_P12ihipStream_tbPNSt15iterator_traitsISJ_E10value_typeEPNSP_ISK_E10value_typeEPSL_NS1_7vsmem_tEENKUlT_SJ_SK_SL_E_clIPdSE_SF_SF_EESI_SY_SJ_SK_SL_EUlSY_E1_NS1_11comp_targetILNS1_3genE9ELNS1_11target_archE1100ELNS1_3gpuE3ELNS1_3repE0EEENS1_36merge_oddeven_config_static_selectorELNS0_4arch9wavefront6targetE1EEEvSK_
; %bb.0:
	.section	.rodata,"a",@progbits
	.p2align	6, 0x0
	.amdhsa_kernel _ZN7rocprim17ROCPRIM_400000_NS6detail17trampoline_kernelINS0_14default_configENS1_38merge_sort_block_merge_config_selectorIdNS0_10empty_typeEEEZZNS1_27merge_sort_block_merge_implIS3_N6thrust23THRUST_200600_302600_NS6detail15normal_iteratorINS9_10device_ptrIdEEEEPS5_m14custom_greaterIdEEE10hipError_tT0_T1_T2_jT3_P12ihipStream_tbPNSt15iterator_traitsISJ_E10value_typeEPNSP_ISK_E10value_typeEPSL_NS1_7vsmem_tEENKUlT_SJ_SK_SL_E_clIPdSE_SF_SF_EESI_SY_SJ_SK_SL_EUlSY_E1_NS1_11comp_targetILNS1_3genE9ELNS1_11target_archE1100ELNS1_3gpuE3ELNS1_3repE0EEENS1_36merge_oddeven_config_static_selectorELNS0_4arch9wavefront6targetE1EEEvSK_
		.amdhsa_group_segment_fixed_size 0
		.amdhsa_private_segment_fixed_size 0
		.amdhsa_kernarg_size 56
		.amdhsa_user_sgpr_count 6
		.amdhsa_user_sgpr_private_segment_buffer 1
		.amdhsa_user_sgpr_dispatch_ptr 0
		.amdhsa_user_sgpr_queue_ptr 0
		.amdhsa_user_sgpr_kernarg_segment_ptr 1
		.amdhsa_user_sgpr_dispatch_id 0
		.amdhsa_user_sgpr_flat_scratch_init 0
		.amdhsa_user_sgpr_kernarg_preload_length 0
		.amdhsa_user_sgpr_kernarg_preload_offset 0
		.amdhsa_user_sgpr_private_segment_size 0
		.amdhsa_uses_dynamic_stack 0
		.amdhsa_system_sgpr_private_segment_wavefront_offset 0
		.amdhsa_system_sgpr_workgroup_id_x 1
		.amdhsa_system_sgpr_workgroup_id_y 0
		.amdhsa_system_sgpr_workgroup_id_z 0
		.amdhsa_system_sgpr_workgroup_info 0
		.amdhsa_system_vgpr_workitem_id 0
		.amdhsa_next_free_vgpr 1
		.amdhsa_next_free_sgpr 0
		.amdhsa_accum_offset 4
		.amdhsa_reserve_vcc 0
		.amdhsa_reserve_flat_scratch 0
		.amdhsa_float_round_mode_32 0
		.amdhsa_float_round_mode_16_64 0
		.amdhsa_float_denorm_mode_32 3
		.amdhsa_float_denorm_mode_16_64 3
		.amdhsa_dx10_clamp 1
		.amdhsa_ieee_mode 1
		.amdhsa_fp16_overflow 0
		.amdhsa_tg_split 0
		.amdhsa_exception_fp_ieee_invalid_op 0
		.amdhsa_exception_fp_denorm_src 0
		.amdhsa_exception_fp_ieee_div_zero 0
		.amdhsa_exception_fp_ieee_overflow 0
		.amdhsa_exception_fp_ieee_underflow 0
		.amdhsa_exception_fp_ieee_inexact 0
		.amdhsa_exception_int_div_zero 0
	.end_amdhsa_kernel
	.section	.text._ZN7rocprim17ROCPRIM_400000_NS6detail17trampoline_kernelINS0_14default_configENS1_38merge_sort_block_merge_config_selectorIdNS0_10empty_typeEEEZZNS1_27merge_sort_block_merge_implIS3_N6thrust23THRUST_200600_302600_NS6detail15normal_iteratorINS9_10device_ptrIdEEEEPS5_m14custom_greaterIdEEE10hipError_tT0_T1_T2_jT3_P12ihipStream_tbPNSt15iterator_traitsISJ_E10value_typeEPNSP_ISK_E10value_typeEPSL_NS1_7vsmem_tEENKUlT_SJ_SK_SL_E_clIPdSE_SF_SF_EESI_SY_SJ_SK_SL_EUlSY_E1_NS1_11comp_targetILNS1_3genE9ELNS1_11target_archE1100ELNS1_3gpuE3ELNS1_3repE0EEENS1_36merge_oddeven_config_static_selectorELNS0_4arch9wavefront6targetE1EEEvSK_,"axG",@progbits,_ZN7rocprim17ROCPRIM_400000_NS6detail17trampoline_kernelINS0_14default_configENS1_38merge_sort_block_merge_config_selectorIdNS0_10empty_typeEEEZZNS1_27merge_sort_block_merge_implIS3_N6thrust23THRUST_200600_302600_NS6detail15normal_iteratorINS9_10device_ptrIdEEEEPS5_m14custom_greaterIdEEE10hipError_tT0_T1_T2_jT3_P12ihipStream_tbPNSt15iterator_traitsISJ_E10value_typeEPNSP_ISK_E10value_typeEPSL_NS1_7vsmem_tEENKUlT_SJ_SK_SL_E_clIPdSE_SF_SF_EESI_SY_SJ_SK_SL_EUlSY_E1_NS1_11comp_targetILNS1_3genE9ELNS1_11target_archE1100ELNS1_3gpuE3ELNS1_3repE0EEENS1_36merge_oddeven_config_static_selectorELNS0_4arch9wavefront6targetE1EEEvSK_,comdat
.Lfunc_end3635:
	.size	_ZN7rocprim17ROCPRIM_400000_NS6detail17trampoline_kernelINS0_14default_configENS1_38merge_sort_block_merge_config_selectorIdNS0_10empty_typeEEEZZNS1_27merge_sort_block_merge_implIS3_N6thrust23THRUST_200600_302600_NS6detail15normal_iteratorINS9_10device_ptrIdEEEEPS5_m14custom_greaterIdEEE10hipError_tT0_T1_T2_jT3_P12ihipStream_tbPNSt15iterator_traitsISJ_E10value_typeEPNSP_ISK_E10value_typeEPSL_NS1_7vsmem_tEENKUlT_SJ_SK_SL_E_clIPdSE_SF_SF_EESI_SY_SJ_SK_SL_EUlSY_E1_NS1_11comp_targetILNS1_3genE9ELNS1_11target_archE1100ELNS1_3gpuE3ELNS1_3repE0EEENS1_36merge_oddeven_config_static_selectorELNS0_4arch9wavefront6targetE1EEEvSK_, .Lfunc_end3635-_ZN7rocprim17ROCPRIM_400000_NS6detail17trampoline_kernelINS0_14default_configENS1_38merge_sort_block_merge_config_selectorIdNS0_10empty_typeEEEZZNS1_27merge_sort_block_merge_implIS3_N6thrust23THRUST_200600_302600_NS6detail15normal_iteratorINS9_10device_ptrIdEEEEPS5_m14custom_greaterIdEEE10hipError_tT0_T1_T2_jT3_P12ihipStream_tbPNSt15iterator_traitsISJ_E10value_typeEPNSP_ISK_E10value_typeEPSL_NS1_7vsmem_tEENKUlT_SJ_SK_SL_E_clIPdSE_SF_SF_EESI_SY_SJ_SK_SL_EUlSY_E1_NS1_11comp_targetILNS1_3genE9ELNS1_11target_archE1100ELNS1_3gpuE3ELNS1_3repE0EEENS1_36merge_oddeven_config_static_selectorELNS0_4arch9wavefront6targetE1EEEvSK_
                                        ; -- End function
	.section	.AMDGPU.csdata,"",@progbits
; Kernel info:
; codeLenInByte = 0
; NumSgprs: 4
; NumVgprs: 0
; NumAgprs: 0
; TotalNumVgprs: 0
; ScratchSize: 0
; MemoryBound: 0
; FloatMode: 240
; IeeeMode: 1
; LDSByteSize: 0 bytes/workgroup (compile time only)
; SGPRBlocks: 0
; VGPRBlocks: 0
; NumSGPRsForWavesPerEU: 4
; NumVGPRsForWavesPerEU: 1
; AccumOffset: 4
; Occupancy: 8
; WaveLimiterHint : 0
; COMPUTE_PGM_RSRC2:SCRATCH_EN: 0
; COMPUTE_PGM_RSRC2:USER_SGPR: 6
; COMPUTE_PGM_RSRC2:TRAP_HANDLER: 0
; COMPUTE_PGM_RSRC2:TGID_X_EN: 1
; COMPUTE_PGM_RSRC2:TGID_Y_EN: 0
; COMPUTE_PGM_RSRC2:TGID_Z_EN: 0
; COMPUTE_PGM_RSRC2:TIDIG_COMP_CNT: 0
; COMPUTE_PGM_RSRC3_GFX90A:ACCUM_OFFSET: 0
; COMPUTE_PGM_RSRC3_GFX90A:TG_SPLIT: 0
	.section	.text._ZN7rocprim17ROCPRIM_400000_NS6detail17trampoline_kernelINS0_14default_configENS1_38merge_sort_block_merge_config_selectorIdNS0_10empty_typeEEEZZNS1_27merge_sort_block_merge_implIS3_N6thrust23THRUST_200600_302600_NS6detail15normal_iteratorINS9_10device_ptrIdEEEEPS5_m14custom_greaterIdEEE10hipError_tT0_T1_T2_jT3_P12ihipStream_tbPNSt15iterator_traitsISJ_E10value_typeEPNSP_ISK_E10value_typeEPSL_NS1_7vsmem_tEENKUlT_SJ_SK_SL_E_clIPdSE_SF_SF_EESI_SY_SJ_SK_SL_EUlSY_E1_NS1_11comp_targetILNS1_3genE8ELNS1_11target_archE1030ELNS1_3gpuE2ELNS1_3repE0EEENS1_36merge_oddeven_config_static_selectorELNS0_4arch9wavefront6targetE1EEEvSK_,"axG",@progbits,_ZN7rocprim17ROCPRIM_400000_NS6detail17trampoline_kernelINS0_14default_configENS1_38merge_sort_block_merge_config_selectorIdNS0_10empty_typeEEEZZNS1_27merge_sort_block_merge_implIS3_N6thrust23THRUST_200600_302600_NS6detail15normal_iteratorINS9_10device_ptrIdEEEEPS5_m14custom_greaterIdEEE10hipError_tT0_T1_T2_jT3_P12ihipStream_tbPNSt15iterator_traitsISJ_E10value_typeEPNSP_ISK_E10value_typeEPSL_NS1_7vsmem_tEENKUlT_SJ_SK_SL_E_clIPdSE_SF_SF_EESI_SY_SJ_SK_SL_EUlSY_E1_NS1_11comp_targetILNS1_3genE8ELNS1_11target_archE1030ELNS1_3gpuE2ELNS1_3repE0EEENS1_36merge_oddeven_config_static_selectorELNS0_4arch9wavefront6targetE1EEEvSK_,comdat
	.protected	_ZN7rocprim17ROCPRIM_400000_NS6detail17trampoline_kernelINS0_14default_configENS1_38merge_sort_block_merge_config_selectorIdNS0_10empty_typeEEEZZNS1_27merge_sort_block_merge_implIS3_N6thrust23THRUST_200600_302600_NS6detail15normal_iteratorINS9_10device_ptrIdEEEEPS5_m14custom_greaterIdEEE10hipError_tT0_T1_T2_jT3_P12ihipStream_tbPNSt15iterator_traitsISJ_E10value_typeEPNSP_ISK_E10value_typeEPSL_NS1_7vsmem_tEENKUlT_SJ_SK_SL_E_clIPdSE_SF_SF_EESI_SY_SJ_SK_SL_EUlSY_E1_NS1_11comp_targetILNS1_3genE8ELNS1_11target_archE1030ELNS1_3gpuE2ELNS1_3repE0EEENS1_36merge_oddeven_config_static_selectorELNS0_4arch9wavefront6targetE1EEEvSK_ ; -- Begin function _ZN7rocprim17ROCPRIM_400000_NS6detail17trampoline_kernelINS0_14default_configENS1_38merge_sort_block_merge_config_selectorIdNS0_10empty_typeEEEZZNS1_27merge_sort_block_merge_implIS3_N6thrust23THRUST_200600_302600_NS6detail15normal_iteratorINS9_10device_ptrIdEEEEPS5_m14custom_greaterIdEEE10hipError_tT0_T1_T2_jT3_P12ihipStream_tbPNSt15iterator_traitsISJ_E10value_typeEPNSP_ISK_E10value_typeEPSL_NS1_7vsmem_tEENKUlT_SJ_SK_SL_E_clIPdSE_SF_SF_EESI_SY_SJ_SK_SL_EUlSY_E1_NS1_11comp_targetILNS1_3genE8ELNS1_11target_archE1030ELNS1_3gpuE2ELNS1_3repE0EEENS1_36merge_oddeven_config_static_selectorELNS0_4arch9wavefront6targetE1EEEvSK_
	.globl	_ZN7rocprim17ROCPRIM_400000_NS6detail17trampoline_kernelINS0_14default_configENS1_38merge_sort_block_merge_config_selectorIdNS0_10empty_typeEEEZZNS1_27merge_sort_block_merge_implIS3_N6thrust23THRUST_200600_302600_NS6detail15normal_iteratorINS9_10device_ptrIdEEEEPS5_m14custom_greaterIdEEE10hipError_tT0_T1_T2_jT3_P12ihipStream_tbPNSt15iterator_traitsISJ_E10value_typeEPNSP_ISK_E10value_typeEPSL_NS1_7vsmem_tEENKUlT_SJ_SK_SL_E_clIPdSE_SF_SF_EESI_SY_SJ_SK_SL_EUlSY_E1_NS1_11comp_targetILNS1_3genE8ELNS1_11target_archE1030ELNS1_3gpuE2ELNS1_3repE0EEENS1_36merge_oddeven_config_static_selectorELNS0_4arch9wavefront6targetE1EEEvSK_
	.p2align	8
	.type	_ZN7rocprim17ROCPRIM_400000_NS6detail17trampoline_kernelINS0_14default_configENS1_38merge_sort_block_merge_config_selectorIdNS0_10empty_typeEEEZZNS1_27merge_sort_block_merge_implIS3_N6thrust23THRUST_200600_302600_NS6detail15normal_iteratorINS9_10device_ptrIdEEEEPS5_m14custom_greaterIdEEE10hipError_tT0_T1_T2_jT3_P12ihipStream_tbPNSt15iterator_traitsISJ_E10value_typeEPNSP_ISK_E10value_typeEPSL_NS1_7vsmem_tEENKUlT_SJ_SK_SL_E_clIPdSE_SF_SF_EESI_SY_SJ_SK_SL_EUlSY_E1_NS1_11comp_targetILNS1_3genE8ELNS1_11target_archE1030ELNS1_3gpuE2ELNS1_3repE0EEENS1_36merge_oddeven_config_static_selectorELNS0_4arch9wavefront6targetE1EEEvSK_,@function
_ZN7rocprim17ROCPRIM_400000_NS6detail17trampoline_kernelINS0_14default_configENS1_38merge_sort_block_merge_config_selectorIdNS0_10empty_typeEEEZZNS1_27merge_sort_block_merge_implIS3_N6thrust23THRUST_200600_302600_NS6detail15normal_iteratorINS9_10device_ptrIdEEEEPS5_m14custom_greaterIdEEE10hipError_tT0_T1_T2_jT3_P12ihipStream_tbPNSt15iterator_traitsISJ_E10value_typeEPNSP_ISK_E10value_typeEPSL_NS1_7vsmem_tEENKUlT_SJ_SK_SL_E_clIPdSE_SF_SF_EESI_SY_SJ_SK_SL_EUlSY_E1_NS1_11comp_targetILNS1_3genE8ELNS1_11target_archE1030ELNS1_3gpuE2ELNS1_3repE0EEENS1_36merge_oddeven_config_static_selectorELNS0_4arch9wavefront6targetE1EEEvSK_: ; @_ZN7rocprim17ROCPRIM_400000_NS6detail17trampoline_kernelINS0_14default_configENS1_38merge_sort_block_merge_config_selectorIdNS0_10empty_typeEEEZZNS1_27merge_sort_block_merge_implIS3_N6thrust23THRUST_200600_302600_NS6detail15normal_iteratorINS9_10device_ptrIdEEEEPS5_m14custom_greaterIdEEE10hipError_tT0_T1_T2_jT3_P12ihipStream_tbPNSt15iterator_traitsISJ_E10value_typeEPNSP_ISK_E10value_typeEPSL_NS1_7vsmem_tEENKUlT_SJ_SK_SL_E_clIPdSE_SF_SF_EESI_SY_SJ_SK_SL_EUlSY_E1_NS1_11comp_targetILNS1_3genE8ELNS1_11target_archE1030ELNS1_3gpuE2ELNS1_3repE0EEENS1_36merge_oddeven_config_static_selectorELNS0_4arch9wavefront6targetE1EEEvSK_
; %bb.0:
	.section	.rodata,"a",@progbits
	.p2align	6, 0x0
	.amdhsa_kernel _ZN7rocprim17ROCPRIM_400000_NS6detail17trampoline_kernelINS0_14default_configENS1_38merge_sort_block_merge_config_selectorIdNS0_10empty_typeEEEZZNS1_27merge_sort_block_merge_implIS3_N6thrust23THRUST_200600_302600_NS6detail15normal_iteratorINS9_10device_ptrIdEEEEPS5_m14custom_greaterIdEEE10hipError_tT0_T1_T2_jT3_P12ihipStream_tbPNSt15iterator_traitsISJ_E10value_typeEPNSP_ISK_E10value_typeEPSL_NS1_7vsmem_tEENKUlT_SJ_SK_SL_E_clIPdSE_SF_SF_EESI_SY_SJ_SK_SL_EUlSY_E1_NS1_11comp_targetILNS1_3genE8ELNS1_11target_archE1030ELNS1_3gpuE2ELNS1_3repE0EEENS1_36merge_oddeven_config_static_selectorELNS0_4arch9wavefront6targetE1EEEvSK_
		.amdhsa_group_segment_fixed_size 0
		.amdhsa_private_segment_fixed_size 0
		.amdhsa_kernarg_size 56
		.amdhsa_user_sgpr_count 6
		.amdhsa_user_sgpr_private_segment_buffer 1
		.amdhsa_user_sgpr_dispatch_ptr 0
		.amdhsa_user_sgpr_queue_ptr 0
		.amdhsa_user_sgpr_kernarg_segment_ptr 1
		.amdhsa_user_sgpr_dispatch_id 0
		.amdhsa_user_sgpr_flat_scratch_init 0
		.amdhsa_user_sgpr_kernarg_preload_length 0
		.amdhsa_user_sgpr_kernarg_preload_offset 0
		.amdhsa_user_sgpr_private_segment_size 0
		.amdhsa_uses_dynamic_stack 0
		.amdhsa_system_sgpr_private_segment_wavefront_offset 0
		.amdhsa_system_sgpr_workgroup_id_x 1
		.amdhsa_system_sgpr_workgroup_id_y 0
		.amdhsa_system_sgpr_workgroup_id_z 0
		.amdhsa_system_sgpr_workgroup_info 0
		.amdhsa_system_vgpr_workitem_id 0
		.amdhsa_next_free_vgpr 1
		.amdhsa_next_free_sgpr 0
		.amdhsa_accum_offset 4
		.amdhsa_reserve_vcc 0
		.amdhsa_reserve_flat_scratch 0
		.amdhsa_float_round_mode_32 0
		.amdhsa_float_round_mode_16_64 0
		.amdhsa_float_denorm_mode_32 3
		.amdhsa_float_denorm_mode_16_64 3
		.amdhsa_dx10_clamp 1
		.amdhsa_ieee_mode 1
		.amdhsa_fp16_overflow 0
		.amdhsa_tg_split 0
		.amdhsa_exception_fp_ieee_invalid_op 0
		.amdhsa_exception_fp_denorm_src 0
		.amdhsa_exception_fp_ieee_div_zero 0
		.amdhsa_exception_fp_ieee_overflow 0
		.amdhsa_exception_fp_ieee_underflow 0
		.amdhsa_exception_fp_ieee_inexact 0
		.amdhsa_exception_int_div_zero 0
	.end_amdhsa_kernel
	.section	.text._ZN7rocprim17ROCPRIM_400000_NS6detail17trampoline_kernelINS0_14default_configENS1_38merge_sort_block_merge_config_selectorIdNS0_10empty_typeEEEZZNS1_27merge_sort_block_merge_implIS3_N6thrust23THRUST_200600_302600_NS6detail15normal_iteratorINS9_10device_ptrIdEEEEPS5_m14custom_greaterIdEEE10hipError_tT0_T1_T2_jT3_P12ihipStream_tbPNSt15iterator_traitsISJ_E10value_typeEPNSP_ISK_E10value_typeEPSL_NS1_7vsmem_tEENKUlT_SJ_SK_SL_E_clIPdSE_SF_SF_EESI_SY_SJ_SK_SL_EUlSY_E1_NS1_11comp_targetILNS1_3genE8ELNS1_11target_archE1030ELNS1_3gpuE2ELNS1_3repE0EEENS1_36merge_oddeven_config_static_selectorELNS0_4arch9wavefront6targetE1EEEvSK_,"axG",@progbits,_ZN7rocprim17ROCPRIM_400000_NS6detail17trampoline_kernelINS0_14default_configENS1_38merge_sort_block_merge_config_selectorIdNS0_10empty_typeEEEZZNS1_27merge_sort_block_merge_implIS3_N6thrust23THRUST_200600_302600_NS6detail15normal_iteratorINS9_10device_ptrIdEEEEPS5_m14custom_greaterIdEEE10hipError_tT0_T1_T2_jT3_P12ihipStream_tbPNSt15iterator_traitsISJ_E10value_typeEPNSP_ISK_E10value_typeEPSL_NS1_7vsmem_tEENKUlT_SJ_SK_SL_E_clIPdSE_SF_SF_EESI_SY_SJ_SK_SL_EUlSY_E1_NS1_11comp_targetILNS1_3genE8ELNS1_11target_archE1030ELNS1_3gpuE2ELNS1_3repE0EEENS1_36merge_oddeven_config_static_selectorELNS0_4arch9wavefront6targetE1EEEvSK_,comdat
.Lfunc_end3636:
	.size	_ZN7rocprim17ROCPRIM_400000_NS6detail17trampoline_kernelINS0_14default_configENS1_38merge_sort_block_merge_config_selectorIdNS0_10empty_typeEEEZZNS1_27merge_sort_block_merge_implIS3_N6thrust23THRUST_200600_302600_NS6detail15normal_iteratorINS9_10device_ptrIdEEEEPS5_m14custom_greaterIdEEE10hipError_tT0_T1_T2_jT3_P12ihipStream_tbPNSt15iterator_traitsISJ_E10value_typeEPNSP_ISK_E10value_typeEPSL_NS1_7vsmem_tEENKUlT_SJ_SK_SL_E_clIPdSE_SF_SF_EESI_SY_SJ_SK_SL_EUlSY_E1_NS1_11comp_targetILNS1_3genE8ELNS1_11target_archE1030ELNS1_3gpuE2ELNS1_3repE0EEENS1_36merge_oddeven_config_static_selectorELNS0_4arch9wavefront6targetE1EEEvSK_, .Lfunc_end3636-_ZN7rocprim17ROCPRIM_400000_NS6detail17trampoline_kernelINS0_14default_configENS1_38merge_sort_block_merge_config_selectorIdNS0_10empty_typeEEEZZNS1_27merge_sort_block_merge_implIS3_N6thrust23THRUST_200600_302600_NS6detail15normal_iteratorINS9_10device_ptrIdEEEEPS5_m14custom_greaterIdEEE10hipError_tT0_T1_T2_jT3_P12ihipStream_tbPNSt15iterator_traitsISJ_E10value_typeEPNSP_ISK_E10value_typeEPSL_NS1_7vsmem_tEENKUlT_SJ_SK_SL_E_clIPdSE_SF_SF_EESI_SY_SJ_SK_SL_EUlSY_E1_NS1_11comp_targetILNS1_3genE8ELNS1_11target_archE1030ELNS1_3gpuE2ELNS1_3repE0EEENS1_36merge_oddeven_config_static_selectorELNS0_4arch9wavefront6targetE1EEEvSK_
                                        ; -- End function
	.section	.AMDGPU.csdata,"",@progbits
; Kernel info:
; codeLenInByte = 0
; NumSgprs: 4
; NumVgprs: 0
; NumAgprs: 0
; TotalNumVgprs: 0
; ScratchSize: 0
; MemoryBound: 0
; FloatMode: 240
; IeeeMode: 1
; LDSByteSize: 0 bytes/workgroup (compile time only)
; SGPRBlocks: 0
; VGPRBlocks: 0
; NumSGPRsForWavesPerEU: 4
; NumVGPRsForWavesPerEU: 1
; AccumOffset: 4
; Occupancy: 8
; WaveLimiterHint : 0
; COMPUTE_PGM_RSRC2:SCRATCH_EN: 0
; COMPUTE_PGM_RSRC2:USER_SGPR: 6
; COMPUTE_PGM_RSRC2:TRAP_HANDLER: 0
; COMPUTE_PGM_RSRC2:TGID_X_EN: 1
; COMPUTE_PGM_RSRC2:TGID_Y_EN: 0
; COMPUTE_PGM_RSRC2:TGID_Z_EN: 0
; COMPUTE_PGM_RSRC2:TIDIG_COMP_CNT: 0
; COMPUTE_PGM_RSRC3_GFX90A:ACCUM_OFFSET: 0
; COMPUTE_PGM_RSRC3_GFX90A:TG_SPLIT: 0
	.section	.text._ZN7rocprim17ROCPRIM_400000_NS6detail17trampoline_kernelINS0_14default_configENS1_38merge_sort_block_merge_config_selectorIdNS0_10empty_typeEEEZZNS1_27merge_sort_block_merge_implIS3_N6thrust23THRUST_200600_302600_NS6detail15normal_iteratorINS9_10device_ptrIdEEEEPS5_m14custom_greaterIdEEE10hipError_tT0_T1_T2_jT3_P12ihipStream_tbPNSt15iterator_traitsISJ_E10value_typeEPNSP_ISK_E10value_typeEPSL_NS1_7vsmem_tEENKUlT_SJ_SK_SL_E_clISE_PdSF_SF_EESI_SY_SJ_SK_SL_EUlSY_E_NS1_11comp_targetILNS1_3genE0ELNS1_11target_archE4294967295ELNS1_3gpuE0ELNS1_3repE0EEENS1_48merge_mergepath_partition_config_static_selectorELNS0_4arch9wavefront6targetE1EEEvSK_,"axG",@progbits,_ZN7rocprim17ROCPRIM_400000_NS6detail17trampoline_kernelINS0_14default_configENS1_38merge_sort_block_merge_config_selectorIdNS0_10empty_typeEEEZZNS1_27merge_sort_block_merge_implIS3_N6thrust23THRUST_200600_302600_NS6detail15normal_iteratorINS9_10device_ptrIdEEEEPS5_m14custom_greaterIdEEE10hipError_tT0_T1_T2_jT3_P12ihipStream_tbPNSt15iterator_traitsISJ_E10value_typeEPNSP_ISK_E10value_typeEPSL_NS1_7vsmem_tEENKUlT_SJ_SK_SL_E_clISE_PdSF_SF_EESI_SY_SJ_SK_SL_EUlSY_E_NS1_11comp_targetILNS1_3genE0ELNS1_11target_archE4294967295ELNS1_3gpuE0ELNS1_3repE0EEENS1_48merge_mergepath_partition_config_static_selectorELNS0_4arch9wavefront6targetE1EEEvSK_,comdat
	.protected	_ZN7rocprim17ROCPRIM_400000_NS6detail17trampoline_kernelINS0_14default_configENS1_38merge_sort_block_merge_config_selectorIdNS0_10empty_typeEEEZZNS1_27merge_sort_block_merge_implIS3_N6thrust23THRUST_200600_302600_NS6detail15normal_iteratorINS9_10device_ptrIdEEEEPS5_m14custom_greaterIdEEE10hipError_tT0_T1_T2_jT3_P12ihipStream_tbPNSt15iterator_traitsISJ_E10value_typeEPNSP_ISK_E10value_typeEPSL_NS1_7vsmem_tEENKUlT_SJ_SK_SL_E_clISE_PdSF_SF_EESI_SY_SJ_SK_SL_EUlSY_E_NS1_11comp_targetILNS1_3genE0ELNS1_11target_archE4294967295ELNS1_3gpuE0ELNS1_3repE0EEENS1_48merge_mergepath_partition_config_static_selectorELNS0_4arch9wavefront6targetE1EEEvSK_ ; -- Begin function _ZN7rocprim17ROCPRIM_400000_NS6detail17trampoline_kernelINS0_14default_configENS1_38merge_sort_block_merge_config_selectorIdNS0_10empty_typeEEEZZNS1_27merge_sort_block_merge_implIS3_N6thrust23THRUST_200600_302600_NS6detail15normal_iteratorINS9_10device_ptrIdEEEEPS5_m14custom_greaterIdEEE10hipError_tT0_T1_T2_jT3_P12ihipStream_tbPNSt15iterator_traitsISJ_E10value_typeEPNSP_ISK_E10value_typeEPSL_NS1_7vsmem_tEENKUlT_SJ_SK_SL_E_clISE_PdSF_SF_EESI_SY_SJ_SK_SL_EUlSY_E_NS1_11comp_targetILNS1_3genE0ELNS1_11target_archE4294967295ELNS1_3gpuE0ELNS1_3repE0EEENS1_48merge_mergepath_partition_config_static_selectorELNS0_4arch9wavefront6targetE1EEEvSK_
	.globl	_ZN7rocprim17ROCPRIM_400000_NS6detail17trampoline_kernelINS0_14default_configENS1_38merge_sort_block_merge_config_selectorIdNS0_10empty_typeEEEZZNS1_27merge_sort_block_merge_implIS3_N6thrust23THRUST_200600_302600_NS6detail15normal_iteratorINS9_10device_ptrIdEEEEPS5_m14custom_greaterIdEEE10hipError_tT0_T1_T2_jT3_P12ihipStream_tbPNSt15iterator_traitsISJ_E10value_typeEPNSP_ISK_E10value_typeEPSL_NS1_7vsmem_tEENKUlT_SJ_SK_SL_E_clISE_PdSF_SF_EESI_SY_SJ_SK_SL_EUlSY_E_NS1_11comp_targetILNS1_3genE0ELNS1_11target_archE4294967295ELNS1_3gpuE0ELNS1_3repE0EEENS1_48merge_mergepath_partition_config_static_selectorELNS0_4arch9wavefront6targetE1EEEvSK_
	.p2align	8
	.type	_ZN7rocprim17ROCPRIM_400000_NS6detail17trampoline_kernelINS0_14default_configENS1_38merge_sort_block_merge_config_selectorIdNS0_10empty_typeEEEZZNS1_27merge_sort_block_merge_implIS3_N6thrust23THRUST_200600_302600_NS6detail15normal_iteratorINS9_10device_ptrIdEEEEPS5_m14custom_greaterIdEEE10hipError_tT0_T1_T2_jT3_P12ihipStream_tbPNSt15iterator_traitsISJ_E10value_typeEPNSP_ISK_E10value_typeEPSL_NS1_7vsmem_tEENKUlT_SJ_SK_SL_E_clISE_PdSF_SF_EESI_SY_SJ_SK_SL_EUlSY_E_NS1_11comp_targetILNS1_3genE0ELNS1_11target_archE4294967295ELNS1_3gpuE0ELNS1_3repE0EEENS1_48merge_mergepath_partition_config_static_selectorELNS0_4arch9wavefront6targetE1EEEvSK_,@function
_ZN7rocprim17ROCPRIM_400000_NS6detail17trampoline_kernelINS0_14default_configENS1_38merge_sort_block_merge_config_selectorIdNS0_10empty_typeEEEZZNS1_27merge_sort_block_merge_implIS3_N6thrust23THRUST_200600_302600_NS6detail15normal_iteratorINS9_10device_ptrIdEEEEPS5_m14custom_greaterIdEEE10hipError_tT0_T1_T2_jT3_P12ihipStream_tbPNSt15iterator_traitsISJ_E10value_typeEPNSP_ISK_E10value_typeEPSL_NS1_7vsmem_tEENKUlT_SJ_SK_SL_E_clISE_PdSF_SF_EESI_SY_SJ_SK_SL_EUlSY_E_NS1_11comp_targetILNS1_3genE0ELNS1_11target_archE4294967295ELNS1_3gpuE0ELNS1_3repE0EEENS1_48merge_mergepath_partition_config_static_selectorELNS0_4arch9wavefront6targetE1EEEvSK_: ; @_ZN7rocprim17ROCPRIM_400000_NS6detail17trampoline_kernelINS0_14default_configENS1_38merge_sort_block_merge_config_selectorIdNS0_10empty_typeEEEZZNS1_27merge_sort_block_merge_implIS3_N6thrust23THRUST_200600_302600_NS6detail15normal_iteratorINS9_10device_ptrIdEEEEPS5_m14custom_greaterIdEEE10hipError_tT0_T1_T2_jT3_P12ihipStream_tbPNSt15iterator_traitsISJ_E10value_typeEPNSP_ISK_E10value_typeEPSL_NS1_7vsmem_tEENKUlT_SJ_SK_SL_E_clISE_PdSF_SF_EESI_SY_SJ_SK_SL_EUlSY_E_NS1_11comp_targetILNS1_3genE0ELNS1_11target_archE4294967295ELNS1_3gpuE0ELNS1_3repE0EEENS1_48merge_mergepath_partition_config_static_selectorELNS0_4arch9wavefront6targetE1EEEvSK_
; %bb.0:
	.section	.rodata,"a",@progbits
	.p2align	6, 0x0
	.amdhsa_kernel _ZN7rocprim17ROCPRIM_400000_NS6detail17trampoline_kernelINS0_14default_configENS1_38merge_sort_block_merge_config_selectorIdNS0_10empty_typeEEEZZNS1_27merge_sort_block_merge_implIS3_N6thrust23THRUST_200600_302600_NS6detail15normal_iteratorINS9_10device_ptrIdEEEEPS5_m14custom_greaterIdEEE10hipError_tT0_T1_T2_jT3_P12ihipStream_tbPNSt15iterator_traitsISJ_E10value_typeEPNSP_ISK_E10value_typeEPSL_NS1_7vsmem_tEENKUlT_SJ_SK_SL_E_clISE_PdSF_SF_EESI_SY_SJ_SK_SL_EUlSY_E_NS1_11comp_targetILNS1_3genE0ELNS1_11target_archE4294967295ELNS1_3gpuE0ELNS1_3repE0EEENS1_48merge_mergepath_partition_config_static_selectorELNS0_4arch9wavefront6targetE1EEEvSK_
		.amdhsa_group_segment_fixed_size 0
		.amdhsa_private_segment_fixed_size 0
		.amdhsa_kernarg_size 48
		.amdhsa_user_sgpr_count 6
		.amdhsa_user_sgpr_private_segment_buffer 1
		.amdhsa_user_sgpr_dispatch_ptr 0
		.amdhsa_user_sgpr_queue_ptr 0
		.amdhsa_user_sgpr_kernarg_segment_ptr 1
		.amdhsa_user_sgpr_dispatch_id 0
		.amdhsa_user_sgpr_flat_scratch_init 0
		.amdhsa_user_sgpr_kernarg_preload_length 0
		.amdhsa_user_sgpr_kernarg_preload_offset 0
		.amdhsa_user_sgpr_private_segment_size 0
		.amdhsa_uses_dynamic_stack 0
		.amdhsa_system_sgpr_private_segment_wavefront_offset 0
		.amdhsa_system_sgpr_workgroup_id_x 1
		.amdhsa_system_sgpr_workgroup_id_y 0
		.amdhsa_system_sgpr_workgroup_id_z 0
		.amdhsa_system_sgpr_workgroup_info 0
		.amdhsa_system_vgpr_workitem_id 0
		.amdhsa_next_free_vgpr 1
		.amdhsa_next_free_sgpr 0
		.amdhsa_accum_offset 4
		.amdhsa_reserve_vcc 0
		.amdhsa_reserve_flat_scratch 0
		.amdhsa_float_round_mode_32 0
		.amdhsa_float_round_mode_16_64 0
		.amdhsa_float_denorm_mode_32 3
		.amdhsa_float_denorm_mode_16_64 3
		.amdhsa_dx10_clamp 1
		.amdhsa_ieee_mode 1
		.amdhsa_fp16_overflow 0
		.amdhsa_tg_split 0
		.amdhsa_exception_fp_ieee_invalid_op 0
		.amdhsa_exception_fp_denorm_src 0
		.amdhsa_exception_fp_ieee_div_zero 0
		.amdhsa_exception_fp_ieee_overflow 0
		.amdhsa_exception_fp_ieee_underflow 0
		.amdhsa_exception_fp_ieee_inexact 0
		.amdhsa_exception_int_div_zero 0
	.end_amdhsa_kernel
	.section	.text._ZN7rocprim17ROCPRIM_400000_NS6detail17trampoline_kernelINS0_14default_configENS1_38merge_sort_block_merge_config_selectorIdNS0_10empty_typeEEEZZNS1_27merge_sort_block_merge_implIS3_N6thrust23THRUST_200600_302600_NS6detail15normal_iteratorINS9_10device_ptrIdEEEEPS5_m14custom_greaterIdEEE10hipError_tT0_T1_T2_jT3_P12ihipStream_tbPNSt15iterator_traitsISJ_E10value_typeEPNSP_ISK_E10value_typeEPSL_NS1_7vsmem_tEENKUlT_SJ_SK_SL_E_clISE_PdSF_SF_EESI_SY_SJ_SK_SL_EUlSY_E_NS1_11comp_targetILNS1_3genE0ELNS1_11target_archE4294967295ELNS1_3gpuE0ELNS1_3repE0EEENS1_48merge_mergepath_partition_config_static_selectorELNS0_4arch9wavefront6targetE1EEEvSK_,"axG",@progbits,_ZN7rocprim17ROCPRIM_400000_NS6detail17trampoline_kernelINS0_14default_configENS1_38merge_sort_block_merge_config_selectorIdNS0_10empty_typeEEEZZNS1_27merge_sort_block_merge_implIS3_N6thrust23THRUST_200600_302600_NS6detail15normal_iteratorINS9_10device_ptrIdEEEEPS5_m14custom_greaterIdEEE10hipError_tT0_T1_T2_jT3_P12ihipStream_tbPNSt15iterator_traitsISJ_E10value_typeEPNSP_ISK_E10value_typeEPSL_NS1_7vsmem_tEENKUlT_SJ_SK_SL_E_clISE_PdSF_SF_EESI_SY_SJ_SK_SL_EUlSY_E_NS1_11comp_targetILNS1_3genE0ELNS1_11target_archE4294967295ELNS1_3gpuE0ELNS1_3repE0EEENS1_48merge_mergepath_partition_config_static_selectorELNS0_4arch9wavefront6targetE1EEEvSK_,comdat
.Lfunc_end3637:
	.size	_ZN7rocprim17ROCPRIM_400000_NS6detail17trampoline_kernelINS0_14default_configENS1_38merge_sort_block_merge_config_selectorIdNS0_10empty_typeEEEZZNS1_27merge_sort_block_merge_implIS3_N6thrust23THRUST_200600_302600_NS6detail15normal_iteratorINS9_10device_ptrIdEEEEPS5_m14custom_greaterIdEEE10hipError_tT0_T1_T2_jT3_P12ihipStream_tbPNSt15iterator_traitsISJ_E10value_typeEPNSP_ISK_E10value_typeEPSL_NS1_7vsmem_tEENKUlT_SJ_SK_SL_E_clISE_PdSF_SF_EESI_SY_SJ_SK_SL_EUlSY_E_NS1_11comp_targetILNS1_3genE0ELNS1_11target_archE4294967295ELNS1_3gpuE0ELNS1_3repE0EEENS1_48merge_mergepath_partition_config_static_selectorELNS0_4arch9wavefront6targetE1EEEvSK_, .Lfunc_end3637-_ZN7rocprim17ROCPRIM_400000_NS6detail17trampoline_kernelINS0_14default_configENS1_38merge_sort_block_merge_config_selectorIdNS0_10empty_typeEEEZZNS1_27merge_sort_block_merge_implIS3_N6thrust23THRUST_200600_302600_NS6detail15normal_iteratorINS9_10device_ptrIdEEEEPS5_m14custom_greaterIdEEE10hipError_tT0_T1_T2_jT3_P12ihipStream_tbPNSt15iterator_traitsISJ_E10value_typeEPNSP_ISK_E10value_typeEPSL_NS1_7vsmem_tEENKUlT_SJ_SK_SL_E_clISE_PdSF_SF_EESI_SY_SJ_SK_SL_EUlSY_E_NS1_11comp_targetILNS1_3genE0ELNS1_11target_archE4294967295ELNS1_3gpuE0ELNS1_3repE0EEENS1_48merge_mergepath_partition_config_static_selectorELNS0_4arch9wavefront6targetE1EEEvSK_
                                        ; -- End function
	.section	.AMDGPU.csdata,"",@progbits
; Kernel info:
; codeLenInByte = 0
; NumSgprs: 4
; NumVgprs: 0
; NumAgprs: 0
; TotalNumVgprs: 0
; ScratchSize: 0
; MemoryBound: 0
; FloatMode: 240
; IeeeMode: 1
; LDSByteSize: 0 bytes/workgroup (compile time only)
; SGPRBlocks: 0
; VGPRBlocks: 0
; NumSGPRsForWavesPerEU: 4
; NumVGPRsForWavesPerEU: 1
; AccumOffset: 4
; Occupancy: 8
; WaveLimiterHint : 0
; COMPUTE_PGM_RSRC2:SCRATCH_EN: 0
; COMPUTE_PGM_RSRC2:USER_SGPR: 6
; COMPUTE_PGM_RSRC2:TRAP_HANDLER: 0
; COMPUTE_PGM_RSRC2:TGID_X_EN: 1
; COMPUTE_PGM_RSRC2:TGID_Y_EN: 0
; COMPUTE_PGM_RSRC2:TGID_Z_EN: 0
; COMPUTE_PGM_RSRC2:TIDIG_COMP_CNT: 0
; COMPUTE_PGM_RSRC3_GFX90A:ACCUM_OFFSET: 0
; COMPUTE_PGM_RSRC3_GFX90A:TG_SPLIT: 0
	.section	.text._ZN7rocprim17ROCPRIM_400000_NS6detail17trampoline_kernelINS0_14default_configENS1_38merge_sort_block_merge_config_selectorIdNS0_10empty_typeEEEZZNS1_27merge_sort_block_merge_implIS3_N6thrust23THRUST_200600_302600_NS6detail15normal_iteratorINS9_10device_ptrIdEEEEPS5_m14custom_greaterIdEEE10hipError_tT0_T1_T2_jT3_P12ihipStream_tbPNSt15iterator_traitsISJ_E10value_typeEPNSP_ISK_E10value_typeEPSL_NS1_7vsmem_tEENKUlT_SJ_SK_SL_E_clISE_PdSF_SF_EESI_SY_SJ_SK_SL_EUlSY_E_NS1_11comp_targetILNS1_3genE10ELNS1_11target_archE1201ELNS1_3gpuE5ELNS1_3repE0EEENS1_48merge_mergepath_partition_config_static_selectorELNS0_4arch9wavefront6targetE1EEEvSK_,"axG",@progbits,_ZN7rocprim17ROCPRIM_400000_NS6detail17trampoline_kernelINS0_14default_configENS1_38merge_sort_block_merge_config_selectorIdNS0_10empty_typeEEEZZNS1_27merge_sort_block_merge_implIS3_N6thrust23THRUST_200600_302600_NS6detail15normal_iteratorINS9_10device_ptrIdEEEEPS5_m14custom_greaterIdEEE10hipError_tT0_T1_T2_jT3_P12ihipStream_tbPNSt15iterator_traitsISJ_E10value_typeEPNSP_ISK_E10value_typeEPSL_NS1_7vsmem_tEENKUlT_SJ_SK_SL_E_clISE_PdSF_SF_EESI_SY_SJ_SK_SL_EUlSY_E_NS1_11comp_targetILNS1_3genE10ELNS1_11target_archE1201ELNS1_3gpuE5ELNS1_3repE0EEENS1_48merge_mergepath_partition_config_static_selectorELNS0_4arch9wavefront6targetE1EEEvSK_,comdat
	.protected	_ZN7rocprim17ROCPRIM_400000_NS6detail17trampoline_kernelINS0_14default_configENS1_38merge_sort_block_merge_config_selectorIdNS0_10empty_typeEEEZZNS1_27merge_sort_block_merge_implIS3_N6thrust23THRUST_200600_302600_NS6detail15normal_iteratorINS9_10device_ptrIdEEEEPS5_m14custom_greaterIdEEE10hipError_tT0_T1_T2_jT3_P12ihipStream_tbPNSt15iterator_traitsISJ_E10value_typeEPNSP_ISK_E10value_typeEPSL_NS1_7vsmem_tEENKUlT_SJ_SK_SL_E_clISE_PdSF_SF_EESI_SY_SJ_SK_SL_EUlSY_E_NS1_11comp_targetILNS1_3genE10ELNS1_11target_archE1201ELNS1_3gpuE5ELNS1_3repE0EEENS1_48merge_mergepath_partition_config_static_selectorELNS0_4arch9wavefront6targetE1EEEvSK_ ; -- Begin function _ZN7rocprim17ROCPRIM_400000_NS6detail17trampoline_kernelINS0_14default_configENS1_38merge_sort_block_merge_config_selectorIdNS0_10empty_typeEEEZZNS1_27merge_sort_block_merge_implIS3_N6thrust23THRUST_200600_302600_NS6detail15normal_iteratorINS9_10device_ptrIdEEEEPS5_m14custom_greaterIdEEE10hipError_tT0_T1_T2_jT3_P12ihipStream_tbPNSt15iterator_traitsISJ_E10value_typeEPNSP_ISK_E10value_typeEPSL_NS1_7vsmem_tEENKUlT_SJ_SK_SL_E_clISE_PdSF_SF_EESI_SY_SJ_SK_SL_EUlSY_E_NS1_11comp_targetILNS1_3genE10ELNS1_11target_archE1201ELNS1_3gpuE5ELNS1_3repE0EEENS1_48merge_mergepath_partition_config_static_selectorELNS0_4arch9wavefront6targetE1EEEvSK_
	.globl	_ZN7rocprim17ROCPRIM_400000_NS6detail17trampoline_kernelINS0_14default_configENS1_38merge_sort_block_merge_config_selectorIdNS0_10empty_typeEEEZZNS1_27merge_sort_block_merge_implIS3_N6thrust23THRUST_200600_302600_NS6detail15normal_iteratorINS9_10device_ptrIdEEEEPS5_m14custom_greaterIdEEE10hipError_tT0_T1_T2_jT3_P12ihipStream_tbPNSt15iterator_traitsISJ_E10value_typeEPNSP_ISK_E10value_typeEPSL_NS1_7vsmem_tEENKUlT_SJ_SK_SL_E_clISE_PdSF_SF_EESI_SY_SJ_SK_SL_EUlSY_E_NS1_11comp_targetILNS1_3genE10ELNS1_11target_archE1201ELNS1_3gpuE5ELNS1_3repE0EEENS1_48merge_mergepath_partition_config_static_selectorELNS0_4arch9wavefront6targetE1EEEvSK_
	.p2align	8
	.type	_ZN7rocprim17ROCPRIM_400000_NS6detail17trampoline_kernelINS0_14default_configENS1_38merge_sort_block_merge_config_selectorIdNS0_10empty_typeEEEZZNS1_27merge_sort_block_merge_implIS3_N6thrust23THRUST_200600_302600_NS6detail15normal_iteratorINS9_10device_ptrIdEEEEPS5_m14custom_greaterIdEEE10hipError_tT0_T1_T2_jT3_P12ihipStream_tbPNSt15iterator_traitsISJ_E10value_typeEPNSP_ISK_E10value_typeEPSL_NS1_7vsmem_tEENKUlT_SJ_SK_SL_E_clISE_PdSF_SF_EESI_SY_SJ_SK_SL_EUlSY_E_NS1_11comp_targetILNS1_3genE10ELNS1_11target_archE1201ELNS1_3gpuE5ELNS1_3repE0EEENS1_48merge_mergepath_partition_config_static_selectorELNS0_4arch9wavefront6targetE1EEEvSK_,@function
_ZN7rocprim17ROCPRIM_400000_NS6detail17trampoline_kernelINS0_14default_configENS1_38merge_sort_block_merge_config_selectorIdNS0_10empty_typeEEEZZNS1_27merge_sort_block_merge_implIS3_N6thrust23THRUST_200600_302600_NS6detail15normal_iteratorINS9_10device_ptrIdEEEEPS5_m14custom_greaterIdEEE10hipError_tT0_T1_T2_jT3_P12ihipStream_tbPNSt15iterator_traitsISJ_E10value_typeEPNSP_ISK_E10value_typeEPSL_NS1_7vsmem_tEENKUlT_SJ_SK_SL_E_clISE_PdSF_SF_EESI_SY_SJ_SK_SL_EUlSY_E_NS1_11comp_targetILNS1_3genE10ELNS1_11target_archE1201ELNS1_3gpuE5ELNS1_3repE0EEENS1_48merge_mergepath_partition_config_static_selectorELNS0_4arch9wavefront6targetE1EEEvSK_: ; @_ZN7rocprim17ROCPRIM_400000_NS6detail17trampoline_kernelINS0_14default_configENS1_38merge_sort_block_merge_config_selectorIdNS0_10empty_typeEEEZZNS1_27merge_sort_block_merge_implIS3_N6thrust23THRUST_200600_302600_NS6detail15normal_iteratorINS9_10device_ptrIdEEEEPS5_m14custom_greaterIdEEE10hipError_tT0_T1_T2_jT3_P12ihipStream_tbPNSt15iterator_traitsISJ_E10value_typeEPNSP_ISK_E10value_typeEPSL_NS1_7vsmem_tEENKUlT_SJ_SK_SL_E_clISE_PdSF_SF_EESI_SY_SJ_SK_SL_EUlSY_E_NS1_11comp_targetILNS1_3genE10ELNS1_11target_archE1201ELNS1_3gpuE5ELNS1_3repE0EEENS1_48merge_mergepath_partition_config_static_selectorELNS0_4arch9wavefront6targetE1EEEvSK_
; %bb.0:
	.section	.rodata,"a",@progbits
	.p2align	6, 0x0
	.amdhsa_kernel _ZN7rocprim17ROCPRIM_400000_NS6detail17trampoline_kernelINS0_14default_configENS1_38merge_sort_block_merge_config_selectorIdNS0_10empty_typeEEEZZNS1_27merge_sort_block_merge_implIS3_N6thrust23THRUST_200600_302600_NS6detail15normal_iteratorINS9_10device_ptrIdEEEEPS5_m14custom_greaterIdEEE10hipError_tT0_T1_T2_jT3_P12ihipStream_tbPNSt15iterator_traitsISJ_E10value_typeEPNSP_ISK_E10value_typeEPSL_NS1_7vsmem_tEENKUlT_SJ_SK_SL_E_clISE_PdSF_SF_EESI_SY_SJ_SK_SL_EUlSY_E_NS1_11comp_targetILNS1_3genE10ELNS1_11target_archE1201ELNS1_3gpuE5ELNS1_3repE0EEENS1_48merge_mergepath_partition_config_static_selectorELNS0_4arch9wavefront6targetE1EEEvSK_
		.amdhsa_group_segment_fixed_size 0
		.amdhsa_private_segment_fixed_size 0
		.amdhsa_kernarg_size 48
		.amdhsa_user_sgpr_count 6
		.amdhsa_user_sgpr_private_segment_buffer 1
		.amdhsa_user_sgpr_dispatch_ptr 0
		.amdhsa_user_sgpr_queue_ptr 0
		.amdhsa_user_sgpr_kernarg_segment_ptr 1
		.amdhsa_user_sgpr_dispatch_id 0
		.amdhsa_user_sgpr_flat_scratch_init 0
		.amdhsa_user_sgpr_kernarg_preload_length 0
		.amdhsa_user_sgpr_kernarg_preload_offset 0
		.amdhsa_user_sgpr_private_segment_size 0
		.amdhsa_uses_dynamic_stack 0
		.amdhsa_system_sgpr_private_segment_wavefront_offset 0
		.amdhsa_system_sgpr_workgroup_id_x 1
		.amdhsa_system_sgpr_workgroup_id_y 0
		.amdhsa_system_sgpr_workgroup_id_z 0
		.amdhsa_system_sgpr_workgroup_info 0
		.amdhsa_system_vgpr_workitem_id 0
		.amdhsa_next_free_vgpr 1
		.amdhsa_next_free_sgpr 0
		.amdhsa_accum_offset 4
		.amdhsa_reserve_vcc 0
		.amdhsa_reserve_flat_scratch 0
		.amdhsa_float_round_mode_32 0
		.amdhsa_float_round_mode_16_64 0
		.amdhsa_float_denorm_mode_32 3
		.amdhsa_float_denorm_mode_16_64 3
		.amdhsa_dx10_clamp 1
		.amdhsa_ieee_mode 1
		.amdhsa_fp16_overflow 0
		.amdhsa_tg_split 0
		.amdhsa_exception_fp_ieee_invalid_op 0
		.amdhsa_exception_fp_denorm_src 0
		.amdhsa_exception_fp_ieee_div_zero 0
		.amdhsa_exception_fp_ieee_overflow 0
		.amdhsa_exception_fp_ieee_underflow 0
		.amdhsa_exception_fp_ieee_inexact 0
		.amdhsa_exception_int_div_zero 0
	.end_amdhsa_kernel
	.section	.text._ZN7rocprim17ROCPRIM_400000_NS6detail17trampoline_kernelINS0_14default_configENS1_38merge_sort_block_merge_config_selectorIdNS0_10empty_typeEEEZZNS1_27merge_sort_block_merge_implIS3_N6thrust23THRUST_200600_302600_NS6detail15normal_iteratorINS9_10device_ptrIdEEEEPS5_m14custom_greaterIdEEE10hipError_tT0_T1_T2_jT3_P12ihipStream_tbPNSt15iterator_traitsISJ_E10value_typeEPNSP_ISK_E10value_typeEPSL_NS1_7vsmem_tEENKUlT_SJ_SK_SL_E_clISE_PdSF_SF_EESI_SY_SJ_SK_SL_EUlSY_E_NS1_11comp_targetILNS1_3genE10ELNS1_11target_archE1201ELNS1_3gpuE5ELNS1_3repE0EEENS1_48merge_mergepath_partition_config_static_selectorELNS0_4arch9wavefront6targetE1EEEvSK_,"axG",@progbits,_ZN7rocprim17ROCPRIM_400000_NS6detail17trampoline_kernelINS0_14default_configENS1_38merge_sort_block_merge_config_selectorIdNS0_10empty_typeEEEZZNS1_27merge_sort_block_merge_implIS3_N6thrust23THRUST_200600_302600_NS6detail15normal_iteratorINS9_10device_ptrIdEEEEPS5_m14custom_greaterIdEEE10hipError_tT0_T1_T2_jT3_P12ihipStream_tbPNSt15iterator_traitsISJ_E10value_typeEPNSP_ISK_E10value_typeEPSL_NS1_7vsmem_tEENKUlT_SJ_SK_SL_E_clISE_PdSF_SF_EESI_SY_SJ_SK_SL_EUlSY_E_NS1_11comp_targetILNS1_3genE10ELNS1_11target_archE1201ELNS1_3gpuE5ELNS1_3repE0EEENS1_48merge_mergepath_partition_config_static_selectorELNS0_4arch9wavefront6targetE1EEEvSK_,comdat
.Lfunc_end3638:
	.size	_ZN7rocprim17ROCPRIM_400000_NS6detail17trampoline_kernelINS0_14default_configENS1_38merge_sort_block_merge_config_selectorIdNS0_10empty_typeEEEZZNS1_27merge_sort_block_merge_implIS3_N6thrust23THRUST_200600_302600_NS6detail15normal_iteratorINS9_10device_ptrIdEEEEPS5_m14custom_greaterIdEEE10hipError_tT0_T1_T2_jT3_P12ihipStream_tbPNSt15iterator_traitsISJ_E10value_typeEPNSP_ISK_E10value_typeEPSL_NS1_7vsmem_tEENKUlT_SJ_SK_SL_E_clISE_PdSF_SF_EESI_SY_SJ_SK_SL_EUlSY_E_NS1_11comp_targetILNS1_3genE10ELNS1_11target_archE1201ELNS1_3gpuE5ELNS1_3repE0EEENS1_48merge_mergepath_partition_config_static_selectorELNS0_4arch9wavefront6targetE1EEEvSK_, .Lfunc_end3638-_ZN7rocprim17ROCPRIM_400000_NS6detail17trampoline_kernelINS0_14default_configENS1_38merge_sort_block_merge_config_selectorIdNS0_10empty_typeEEEZZNS1_27merge_sort_block_merge_implIS3_N6thrust23THRUST_200600_302600_NS6detail15normal_iteratorINS9_10device_ptrIdEEEEPS5_m14custom_greaterIdEEE10hipError_tT0_T1_T2_jT3_P12ihipStream_tbPNSt15iterator_traitsISJ_E10value_typeEPNSP_ISK_E10value_typeEPSL_NS1_7vsmem_tEENKUlT_SJ_SK_SL_E_clISE_PdSF_SF_EESI_SY_SJ_SK_SL_EUlSY_E_NS1_11comp_targetILNS1_3genE10ELNS1_11target_archE1201ELNS1_3gpuE5ELNS1_3repE0EEENS1_48merge_mergepath_partition_config_static_selectorELNS0_4arch9wavefront6targetE1EEEvSK_
                                        ; -- End function
	.section	.AMDGPU.csdata,"",@progbits
; Kernel info:
; codeLenInByte = 0
; NumSgprs: 4
; NumVgprs: 0
; NumAgprs: 0
; TotalNumVgprs: 0
; ScratchSize: 0
; MemoryBound: 0
; FloatMode: 240
; IeeeMode: 1
; LDSByteSize: 0 bytes/workgroup (compile time only)
; SGPRBlocks: 0
; VGPRBlocks: 0
; NumSGPRsForWavesPerEU: 4
; NumVGPRsForWavesPerEU: 1
; AccumOffset: 4
; Occupancy: 8
; WaveLimiterHint : 0
; COMPUTE_PGM_RSRC2:SCRATCH_EN: 0
; COMPUTE_PGM_RSRC2:USER_SGPR: 6
; COMPUTE_PGM_RSRC2:TRAP_HANDLER: 0
; COMPUTE_PGM_RSRC2:TGID_X_EN: 1
; COMPUTE_PGM_RSRC2:TGID_Y_EN: 0
; COMPUTE_PGM_RSRC2:TGID_Z_EN: 0
; COMPUTE_PGM_RSRC2:TIDIG_COMP_CNT: 0
; COMPUTE_PGM_RSRC3_GFX90A:ACCUM_OFFSET: 0
; COMPUTE_PGM_RSRC3_GFX90A:TG_SPLIT: 0
	.section	.text._ZN7rocprim17ROCPRIM_400000_NS6detail17trampoline_kernelINS0_14default_configENS1_38merge_sort_block_merge_config_selectorIdNS0_10empty_typeEEEZZNS1_27merge_sort_block_merge_implIS3_N6thrust23THRUST_200600_302600_NS6detail15normal_iteratorINS9_10device_ptrIdEEEEPS5_m14custom_greaterIdEEE10hipError_tT0_T1_T2_jT3_P12ihipStream_tbPNSt15iterator_traitsISJ_E10value_typeEPNSP_ISK_E10value_typeEPSL_NS1_7vsmem_tEENKUlT_SJ_SK_SL_E_clISE_PdSF_SF_EESI_SY_SJ_SK_SL_EUlSY_E_NS1_11comp_targetILNS1_3genE5ELNS1_11target_archE942ELNS1_3gpuE9ELNS1_3repE0EEENS1_48merge_mergepath_partition_config_static_selectorELNS0_4arch9wavefront6targetE1EEEvSK_,"axG",@progbits,_ZN7rocprim17ROCPRIM_400000_NS6detail17trampoline_kernelINS0_14default_configENS1_38merge_sort_block_merge_config_selectorIdNS0_10empty_typeEEEZZNS1_27merge_sort_block_merge_implIS3_N6thrust23THRUST_200600_302600_NS6detail15normal_iteratorINS9_10device_ptrIdEEEEPS5_m14custom_greaterIdEEE10hipError_tT0_T1_T2_jT3_P12ihipStream_tbPNSt15iterator_traitsISJ_E10value_typeEPNSP_ISK_E10value_typeEPSL_NS1_7vsmem_tEENKUlT_SJ_SK_SL_E_clISE_PdSF_SF_EESI_SY_SJ_SK_SL_EUlSY_E_NS1_11comp_targetILNS1_3genE5ELNS1_11target_archE942ELNS1_3gpuE9ELNS1_3repE0EEENS1_48merge_mergepath_partition_config_static_selectorELNS0_4arch9wavefront6targetE1EEEvSK_,comdat
	.protected	_ZN7rocprim17ROCPRIM_400000_NS6detail17trampoline_kernelINS0_14default_configENS1_38merge_sort_block_merge_config_selectorIdNS0_10empty_typeEEEZZNS1_27merge_sort_block_merge_implIS3_N6thrust23THRUST_200600_302600_NS6detail15normal_iteratorINS9_10device_ptrIdEEEEPS5_m14custom_greaterIdEEE10hipError_tT0_T1_T2_jT3_P12ihipStream_tbPNSt15iterator_traitsISJ_E10value_typeEPNSP_ISK_E10value_typeEPSL_NS1_7vsmem_tEENKUlT_SJ_SK_SL_E_clISE_PdSF_SF_EESI_SY_SJ_SK_SL_EUlSY_E_NS1_11comp_targetILNS1_3genE5ELNS1_11target_archE942ELNS1_3gpuE9ELNS1_3repE0EEENS1_48merge_mergepath_partition_config_static_selectorELNS0_4arch9wavefront6targetE1EEEvSK_ ; -- Begin function _ZN7rocprim17ROCPRIM_400000_NS6detail17trampoline_kernelINS0_14default_configENS1_38merge_sort_block_merge_config_selectorIdNS0_10empty_typeEEEZZNS1_27merge_sort_block_merge_implIS3_N6thrust23THRUST_200600_302600_NS6detail15normal_iteratorINS9_10device_ptrIdEEEEPS5_m14custom_greaterIdEEE10hipError_tT0_T1_T2_jT3_P12ihipStream_tbPNSt15iterator_traitsISJ_E10value_typeEPNSP_ISK_E10value_typeEPSL_NS1_7vsmem_tEENKUlT_SJ_SK_SL_E_clISE_PdSF_SF_EESI_SY_SJ_SK_SL_EUlSY_E_NS1_11comp_targetILNS1_3genE5ELNS1_11target_archE942ELNS1_3gpuE9ELNS1_3repE0EEENS1_48merge_mergepath_partition_config_static_selectorELNS0_4arch9wavefront6targetE1EEEvSK_
	.globl	_ZN7rocprim17ROCPRIM_400000_NS6detail17trampoline_kernelINS0_14default_configENS1_38merge_sort_block_merge_config_selectorIdNS0_10empty_typeEEEZZNS1_27merge_sort_block_merge_implIS3_N6thrust23THRUST_200600_302600_NS6detail15normal_iteratorINS9_10device_ptrIdEEEEPS5_m14custom_greaterIdEEE10hipError_tT0_T1_T2_jT3_P12ihipStream_tbPNSt15iterator_traitsISJ_E10value_typeEPNSP_ISK_E10value_typeEPSL_NS1_7vsmem_tEENKUlT_SJ_SK_SL_E_clISE_PdSF_SF_EESI_SY_SJ_SK_SL_EUlSY_E_NS1_11comp_targetILNS1_3genE5ELNS1_11target_archE942ELNS1_3gpuE9ELNS1_3repE0EEENS1_48merge_mergepath_partition_config_static_selectorELNS0_4arch9wavefront6targetE1EEEvSK_
	.p2align	8
	.type	_ZN7rocprim17ROCPRIM_400000_NS6detail17trampoline_kernelINS0_14default_configENS1_38merge_sort_block_merge_config_selectorIdNS0_10empty_typeEEEZZNS1_27merge_sort_block_merge_implIS3_N6thrust23THRUST_200600_302600_NS6detail15normal_iteratorINS9_10device_ptrIdEEEEPS5_m14custom_greaterIdEEE10hipError_tT0_T1_T2_jT3_P12ihipStream_tbPNSt15iterator_traitsISJ_E10value_typeEPNSP_ISK_E10value_typeEPSL_NS1_7vsmem_tEENKUlT_SJ_SK_SL_E_clISE_PdSF_SF_EESI_SY_SJ_SK_SL_EUlSY_E_NS1_11comp_targetILNS1_3genE5ELNS1_11target_archE942ELNS1_3gpuE9ELNS1_3repE0EEENS1_48merge_mergepath_partition_config_static_selectorELNS0_4arch9wavefront6targetE1EEEvSK_,@function
_ZN7rocprim17ROCPRIM_400000_NS6detail17trampoline_kernelINS0_14default_configENS1_38merge_sort_block_merge_config_selectorIdNS0_10empty_typeEEEZZNS1_27merge_sort_block_merge_implIS3_N6thrust23THRUST_200600_302600_NS6detail15normal_iteratorINS9_10device_ptrIdEEEEPS5_m14custom_greaterIdEEE10hipError_tT0_T1_T2_jT3_P12ihipStream_tbPNSt15iterator_traitsISJ_E10value_typeEPNSP_ISK_E10value_typeEPSL_NS1_7vsmem_tEENKUlT_SJ_SK_SL_E_clISE_PdSF_SF_EESI_SY_SJ_SK_SL_EUlSY_E_NS1_11comp_targetILNS1_3genE5ELNS1_11target_archE942ELNS1_3gpuE9ELNS1_3repE0EEENS1_48merge_mergepath_partition_config_static_selectorELNS0_4arch9wavefront6targetE1EEEvSK_: ; @_ZN7rocprim17ROCPRIM_400000_NS6detail17trampoline_kernelINS0_14default_configENS1_38merge_sort_block_merge_config_selectorIdNS0_10empty_typeEEEZZNS1_27merge_sort_block_merge_implIS3_N6thrust23THRUST_200600_302600_NS6detail15normal_iteratorINS9_10device_ptrIdEEEEPS5_m14custom_greaterIdEEE10hipError_tT0_T1_T2_jT3_P12ihipStream_tbPNSt15iterator_traitsISJ_E10value_typeEPNSP_ISK_E10value_typeEPSL_NS1_7vsmem_tEENKUlT_SJ_SK_SL_E_clISE_PdSF_SF_EESI_SY_SJ_SK_SL_EUlSY_E_NS1_11comp_targetILNS1_3genE5ELNS1_11target_archE942ELNS1_3gpuE9ELNS1_3repE0EEENS1_48merge_mergepath_partition_config_static_selectorELNS0_4arch9wavefront6targetE1EEEvSK_
; %bb.0:
	.section	.rodata,"a",@progbits
	.p2align	6, 0x0
	.amdhsa_kernel _ZN7rocprim17ROCPRIM_400000_NS6detail17trampoline_kernelINS0_14default_configENS1_38merge_sort_block_merge_config_selectorIdNS0_10empty_typeEEEZZNS1_27merge_sort_block_merge_implIS3_N6thrust23THRUST_200600_302600_NS6detail15normal_iteratorINS9_10device_ptrIdEEEEPS5_m14custom_greaterIdEEE10hipError_tT0_T1_T2_jT3_P12ihipStream_tbPNSt15iterator_traitsISJ_E10value_typeEPNSP_ISK_E10value_typeEPSL_NS1_7vsmem_tEENKUlT_SJ_SK_SL_E_clISE_PdSF_SF_EESI_SY_SJ_SK_SL_EUlSY_E_NS1_11comp_targetILNS1_3genE5ELNS1_11target_archE942ELNS1_3gpuE9ELNS1_3repE0EEENS1_48merge_mergepath_partition_config_static_selectorELNS0_4arch9wavefront6targetE1EEEvSK_
		.amdhsa_group_segment_fixed_size 0
		.amdhsa_private_segment_fixed_size 0
		.amdhsa_kernarg_size 48
		.amdhsa_user_sgpr_count 6
		.amdhsa_user_sgpr_private_segment_buffer 1
		.amdhsa_user_sgpr_dispatch_ptr 0
		.amdhsa_user_sgpr_queue_ptr 0
		.amdhsa_user_sgpr_kernarg_segment_ptr 1
		.amdhsa_user_sgpr_dispatch_id 0
		.amdhsa_user_sgpr_flat_scratch_init 0
		.amdhsa_user_sgpr_kernarg_preload_length 0
		.amdhsa_user_sgpr_kernarg_preload_offset 0
		.amdhsa_user_sgpr_private_segment_size 0
		.amdhsa_uses_dynamic_stack 0
		.amdhsa_system_sgpr_private_segment_wavefront_offset 0
		.amdhsa_system_sgpr_workgroup_id_x 1
		.amdhsa_system_sgpr_workgroup_id_y 0
		.amdhsa_system_sgpr_workgroup_id_z 0
		.amdhsa_system_sgpr_workgroup_info 0
		.amdhsa_system_vgpr_workitem_id 0
		.amdhsa_next_free_vgpr 1
		.amdhsa_next_free_sgpr 0
		.amdhsa_accum_offset 4
		.amdhsa_reserve_vcc 0
		.amdhsa_reserve_flat_scratch 0
		.amdhsa_float_round_mode_32 0
		.amdhsa_float_round_mode_16_64 0
		.amdhsa_float_denorm_mode_32 3
		.amdhsa_float_denorm_mode_16_64 3
		.amdhsa_dx10_clamp 1
		.amdhsa_ieee_mode 1
		.amdhsa_fp16_overflow 0
		.amdhsa_tg_split 0
		.amdhsa_exception_fp_ieee_invalid_op 0
		.amdhsa_exception_fp_denorm_src 0
		.amdhsa_exception_fp_ieee_div_zero 0
		.amdhsa_exception_fp_ieee_overflow 0
		.amdhsa_exception_fp_ieee_underflow 0
		.amdhsa_exception_fp_ieee_inexact 0
		.amdhsa_exception_int_div_zero 0
	.end_amdhsa_kernel
	.section	.text._ZN7rocprim17ROCPRIM_400000_NS6detail17trampoline_kernelINS0_14default_configENS1_38merge_sort_block_merge_config_selectorIdNS0_10empty_typeEEEZZNS1_27merge_sort_block_merge_implIS3_N6thrust23THRUST_200600_302600_NS6detail15normal_iteratorINS9_10device_ptrIdEEEEPS5_m14custom_greaterIdEEE10hipError_tT0_T1_T2_jT3_P12ihipStream_tbPNSt15iterator_traitsISJ_E10value_typeEPNSP_ISK_E10value_typeEPSL_NS1_7vsmem_tEENKUlT_SJ_SK_SL_E_clISE_PdSF_SF_EESI_SY_SJ_SK_SL_EUlSY_E_NS1_11comp_targetILNS1_3genE5ELNS1_11target_archE942ELNS1_3gpuE9ELNS1_3repE0EEENS1_48merge_mergepath_partition_config_static_selectorELNS0_4arch9wavefront6targetE1EEEvSK_,"axG",@progbits,_ZN7rocprim17ROCPRIM_400000_NS6detail17trampoline_kernelINS0_14default_configENS1_38merge_sort_block_merge_config_selectorIdNS0_10empty_typeEEEZZNS1_27merge_sort_block_merge_implIS3_N6thrust23THRUST_200600_302600_NS6detail15normal_iteratorINS9_10device_ptrIdEEEEPS5_m14custom_greaterIdEEE10hipError_tT0_T1_T2_jT3_P12ihipStream_tbPNSt15iterator_traitsISJ_E10value_typeEPNSP_ISK_E10value_typeEPSL_NS1_7vsmem_tEENKUlT_SJ_SK_SL_E_clISE_PdSF_SF_EESI_SY_SJ_SK_SL_EUlSY_E_NS1_11comp_targetILNS1_3genE5ELNS1_11target_archE942ELNS1_3gpuE9ELNS1_3repE0EEENS1_48merge_mergepath_partition_config_static_selectorELNS0_4arch9wavefront6targetE1EEEvSK_,comdat
.Lfunc_end3639:
	.size	_ZN7rocprim17ROCPRIM_400000_NS6detail17trampoline_kernelINS0_14default_configENS1_38merge_sort_block_merge_config_selectorIdNS0_10empty_typeEEEZZNS1_27merge_sort_block_merge_implIS3_N6thrust23THRUST_200600_302600_NS6detail15normal_iteratorINS9_10device_ptrIdEEEEPS5_m14custom_greaterIdEEE10hipError_tT0_T1_T2_jT3_P12ihipStream_tbPNSt15iterator_traitsISJ_E10value_typeEPNSP_ISK_E10value_typeEPSL_NS1_7vsmem_tEENKUlT_SJ_SK_SL_E_clISE_PdSF_SF_EESI_SY_SJ_SK_SL_EUlSY_E_NS1_11comp_targetILNS1_3genE5ELNS1_11target_archE942ELNS1_3gpuE9ELNS1_3repE0EEENS1_48merge_mergepath_partition_config_static_selectorELNS0_4arch9wavefront6targetE1EEEvSK_, .Lfunc_end3639-_ZN7rocprim17ROCPRIM_400000_NS6detail17trampoline_kernelINS0_14default_configENS1_38merge_sort_block_merge_config_selectorIdNS0_10empty_typeEEEZZNS1_27merge_sort_block_merge_implIS3_N6thrust23THRUST_200600_302600_NS6detail15normal_iteratorINS9_10device_ptrIdEEEEPS5_m14custom_greaterIdEEE10hipError_tT0_T1_T2_jT3_P12ihipStream_tbPNSt15iterator_traitsISJ_E10value_typeEPNSP_ISK_E10value_typeEPSL_NS1_7vsmem_tEENKUlT_SJ_SK_SL_E_clISE_PdSF_SF_EESI_SY_SJ_SK_SL_EUlSY_E_NS1_11comp_targetILNS1_3genE5ELNS1_11target_archE942ELNS1_3gpuE9ELNS1_3repE0EEENS1_48merge_mergepath_partition_config_static_selectorELNS0_4arch9wavefront6targetE1EEEvSK_
                                        ; -- End function
	.section	.AMDGPU.csdata,"",@progbits
; Kernel info:
; codeLenInByte = 0
; NumSgprs: 4
; NumVgprs: 0
; NumAgprs: 0
; TotalNumVgprs: 0
; ScratchSize: 0
; MemoryBound: 0
; FloatMode: 240
; IeeeMode: 1
; LDSByteSize: 0 bytes/workgroup (compile time only)
; SGPRBlocks: 0
; VGPRBlocks: 0
; NumSGPRsForWavesPerEU: 4
; NumVGPRsForWavesPerEU: 1
; AccumOffset: 4
; Occupancy: 8
; WaveLimiterHint : 0
; COMPUTE_PGM_RSRC2:SCRATCH_EN: 0
; COMPUTE_PGM_RSRC2:USER_SGPR: 6
; COMPUTE_PGM_RSRC2:TRAP_HANDLER: 0
; COMPUTE_PGM_RSRC2:TGID_X_EN: 1
; COMPUTE_PGM_RSRC2:TGID_Y_EN: 0
; COMPUTE_PGM_RSRC2:TGID_Z_EN: 0
; COMPUTE_PGM_RSRC2:TIDIG_COMP_CNT: 0
; COMPUTE_PGM_RSRC3_GFX90A:ACCUM_OFFSET: 0
; COMPUTE_PGM_RSRC3_GFX90A:TG_SPLIT: 0
	.section	.text._ZN7rocprim17ROCPRIM_400000_NS6detail17trampoline_kernelINS0_14default_configENS1_38merge_sort_block_merge_config_selectorIdNS0_10empty_typeEEEZZNS1_27merge_sort_block_merge_implIS3_N6thrust23THRUST_200600_302600_NS6detail15normal_iteratorINS9_10device_ptrIdEEEEPS5_m14custom_greaterIdEEE10hipError_tT0_T1_T2_jT3_P12ihipStream_tbPNSt15iterator_traitsISJ_E10value_typeEPNSP_ISK_E10value_typeEPSL_NS1_7vsmem_tEENKUlT_SJ_SK_SL_E_clISE_PdSF_SF_EESI_SY_SJ_SK_SL_EUlSY_E_NS1_11comp_targetILNS1_3genE4ELNS1_11target_archE910ELNS1_3gpuE8ELNS1_3repE0EEENS1_48merge_mergepath_partition_config_static_selectorELNS0_4arch9wavefront6targetE1EEEvSK_,"axG",@progbits,_ZN7rocprim17ROCPRIM_400000_NS6detail17trampoline_kernelINS0_14default_configENS1_38merge_sort_block_merge_config_selectorIdNS0_10empty_typeEEEZZNS1_27merge_sort_block_merge_implIS3_N6thrust23THRUST_200600_302600_NS6detail15normal_iteratorINS9_10device_ptrIdEEEEPS5_m14custom_greaterIdEEE10hipError_tT0_T1_T2_jT3_P12ihipStream_tbPNSt15iterator_traitsISJ_E10value_typeEPNSP_ISK_E10value_typeEPSL_NS1_7vsmem_tEENKUlT_SJ_SK_SL_E_clISE_PdSF_SF_EESI_SY_SJ_SK_SL_EUlSY_E_NS1_11comp_targetILNS1_3genE4ELNS1_11target_archE910ELNS1_3gpuE8ELNS1_3repE0EEENS1_48merge_mergepath_partition_config_static_selectorELNS0_4arch9wavefront6targetE1EEEvSK_,comdat
	.protected	_ZN7rocprim17ROCPRIM_400000_NS6detail17trampoline_kernelINS0_14default_configENS1_38merge_sort_block_merge_config_selectorIdNS0_10empty_typeEEEZZNS1_27merge_sort_block_merge_implIS3_N6thrust23THRUST_200600_302600_NS6detail15normal_iteratorINS9_10device_ptrIdEEEEPS5_m14custom_greaterIdEEE10hipError_tT0_T1_T2_jT3_P12ihipStream_tbPNSt15iterator_traitsISJ_E10value_typeEPNSP_ISK_E10value_typeEPSL_NS1_7vsmem_tEENKUlT_SJ_SK_SL_E_clISE_PdSF_SF_EESI_SY_SJ_SK_SL_EUlSY_E_NS1_11comp_targetILNS1_3genE4ELNS1_11target_archE910ELNS1_3gpuE8ELNS1_3repE0EEENS1_48merge_mergepath_partition_config_static_selectorELNS0_4arch9wavefront6targetE1EEEvSK_ ; -- Begin function _ZN7rocprim17ROCPRIM_400000_NS6detail17trampoline_kernelINS0_14default_configENS1_38merge_sort_block_merge_config_selectorIdNS0_10empty_typeEEEZZNS1_27merge_sort_block_merge_implIS3_N6thrust23THRUST_200600_302600_NS6detail15normal_iteratorINS9_10device_ptrIdEEEEPS5_m14custom_greaterIdEEE10hipError_tT0_T1_T2_jT3_P12ihipStream_tbPNSt15iterator_traitsISJ_E10value_typeEPNSP_ISK_E10value_typeEPSL_NS1_7vsmem_tEENKUlT_SJ_SK_SL_E_clISE_PdSF_SF_EESI_SY_SJ_SK_SL_EUlSY_E_NS1_11comp_targetILNS1_3genE4ELNS1_11target_archE910ELNS1_3gpuE8ELNS1_3repE0EEENS1_48merge_mergepath_partition_config_static_selectorELNS0_4arch9wavefront6targetE1EEEvSK_
	.globl	_ZN7rocprim17ROCPRIM_400000_NS6detail17trampoline_kernelINS0_14default_configENS1_38merge_sort_block_merge_config_selectorIdNS0_10empty_typeEEEZZNS1_27merge_sort_block_merge_implIS3_N6thrust23THRUST_200600_302600_NS6detail15normal_iteratorINS9_10device_ptrIdEEEEPS5_m14custom_greaterIdEEE10hipError_tT0_T1_T2_jT3_P12ihipStream_tbPNSt15iterator_traitsISJ_E10value_typeEPNSP_ISK_E10value_typeEPSL_NS1_7vsmem_tEENKUlT_SJ_SK_SL_E_clISE_PdSF_SF_EESI_SY_SJ_SK_SL_EUlSY_E_NS1_11comp_targetILNS1_3genE4ELNS1_11target_archE910ELNS1_3gpuE8ELNS1_3repE0EEENS1_48merge_mergepath_partition_config_static_selectorELNS0_4arch9wavefront6targetE1EEEvSK_
	.p2align	8
	.type	_ZN7rocprim17ROCPRIM_400000_NS6detail17trampoline_kernelINS0_14default_configENS1_38merge_sort_block_merge_config_selectorIdNS0_10empty_typeEEEZZNS1_27merge_sort_block_merge_implIS3_N6thrust23THRUST_200600_302600_NS6detail15normal_iteratorINS9_10device_ptrIdEEEEPS5_m14custom_greaterIdEEE10hipError_tT0_T1_T2_jT3_P12ihipStream_tbPNSt15iterator_traitsISJ_E10value_typeEPNSP_ISK_E10value_typeEPSL_NS1_7vsmem_tEENKUlT_SJ_SK_SL_E_clISE_PdSF_SF_EESI_SY_SJ_SK_SL_EUlSY_E_NS1_11comp_targetILNS1_3genE4ELNS1_11target_archE910ELNS1_3gpuE8ELNS1_3repE0EEENS1_48merge_mergepath_partition_config_static_selectorELNS0_4arch9wavefront6targetE1EEEvSK_,@function
_ZN7rocprim17ROCPRIM_400000_NS6detail17trampoline_kernelINS0_14default_configENS1_38merge_sort_block_merge_config_selectorIdNS0_10empty_typeEEEZZNS1_27merge_sort_block_merge_implIS3_N6thrust23THRUST_200600_302600_NS6detail15normal_iteratorINS9_10device_ptrIdEEEEPS5_m14custom_greaterIdEEE10hipError_tT0_T1_T2_jT3_P12ihipStream_tbPNSt15iterator_traitsISJ_E10value_typeEPNSP_ISK_E10value_typeEPSL_NS1_7vsmem_tEENKUlT_SJ_SK_SL_E_clISE_PdSF_SF_EESI_SY_SJ_SK_SL_EUlSY_E_NS1_11comp_targetILNS1_3genE4ELNS1_11target_archE910ELNS1_3gpuE8ELNS1_3repE0EEENS1_48merge_mergepath_partition_config_static_selectorELNS0_4arch9wavefront6targetE1EEEvSK_: ; @_ZN7rocprim17ROCPRIM_400000_NS6detail17trampoline_kernelINS0_14default_configENS1_38merge_sort_block_merge_config_selectorIdNS0_10empty_typeEEEZZNS1_27merge_sort_block_merge_implIS3_N6thrust23THRUST_200600_302600_NS6detail15normal_iteratorINS9_10device_ptrIdEEEEPS5_m14custom_greaterIdEEE10hipError_tT0_T1_T2_jT3_P12ihipStream_tbPNSt15iterator_traitsISJ_E10value_typeEPNSP_ISK_E10value_typeEPSL_NS1_7vsmem_tEENKUlT_SJ_SK_SL_E_clISE_PdSF_SF_EESI_SY_SJ_SK_SL_EUlSY_E_NS1_11comp_targetILNS1_3genE4ELNS1_11target_archE910ELNS1_3gpuE8ELNS1_3repE0EEENS1_48merge_mergepath_partition_config_static_selectorELNS0_4arch9wavefront6targetE1EEEvSK_
; %bb.0:
	s_load_dword s0, s[4:5], 0x0
	v_lshl_or_b32 v0, s6, 7, v0
	s_waitcnt lgkmcnt(0)
	v_cmp_gt_u32_e32 vcc, s0, v0
	s_and_saveexec_b64 s[0:1], vcc
	s_cbranch_execz .LBB3640_6
; %bb.1:
	s_load_dwordx4 s[0:3], s[4:5], 0x8
	s_load_dwordx2 s[6:7], s[4:5], 0x28
	v_mov_b32_e32 v5, 0
	s_waitcnt lgkmcnt(0)
	v_mov_b32_e32 v1, s0
	v_alignbit_b32 v1, s1, v1, 9
	v_and_b32_e32 v1, -2, v1
	v_add_u32_e32 v2, -1, v1
	v_sub_u32_e32 v1, 0, v1
	v_and_b32_e32 v4, v0, v1
	v_lshlrev_b64 v[8:9], 10, v[4:5]
	v_mov_b32_e32 v1, s3
	v_cmp_lt_u64_e32 vcc, s[2:3], v[8:9]
	v_mov_b32_e32 v4, s2
	v_and_b32_e32 v6, v2, v0
	v_cndmask_b32_e32 v3, v9, v1, vcc
	v_cndmask_b32_e32 v2, v8, v4, vcc
	v_mov_b32_e32 v7, s1
	v_add_co_u32_e32 v8, vcc, s0, v8
	v_addc_co_u32_e32 v9, vcc, v9, v7, vcc
	v_cmp_lt_u64_e32 vcc, s[2:3], v[8:9]
	v_cndmask_b32_e32 v8, v8, v4, vcc
	v_cndmask_b32_e32 v9, v9, v1, vcc
	v_add_co_u32_e32 v10, vcc, s0, v8
	v_addc_co_u32_e32 v11, vcc, v9, v7, vcc
	v_cmp_lt_u64_e32 vcc, s[2:3], v[10:11]
	v_cndmask_b32_e32 v12, v10, v4, vcc
	v_cndmask_b32_e32 v1, v11, v1, vcc
	v_sub_co_u32_e32 v10, vcc, v12, v2
	v_mov_b32_e32 v7, v5
	v_subb_co_u32_e32 v11, vcc, v1, v3, vcc
	v_lshlrev_b64 v[4:5], 10, v[6:7]
	v_cmp_lt_u64_e32 vcc, v[10:11], v[4:5]
	v_cndmask_b32_e32 v11, v5, v11, vcc
	v_cndmask_b32_e32 v10, v4, v10, vcc
	v_sub_co_u32_e32 v6, vcc, v8, v2
	v_subb_co_u32_e32 v7, vcc, v9, v3, vcc
	v_sub_co_u32_e32 v4, vcc, v8, v12
	v_subb_co_u32_e32 v1, vcc, v9, v1, vcc
	v_add_co_u32_e32 v4, vcc, v10, v4
	v_addc_co_u32_e32 v5, vcc, v11, v1, vcc
	v_cmp_gt_u64_e32 vcc, v[4:5], v[10:11]
	v_cndmask_b32_e64 v5, v5, 0, vcc
	v_cndmask_b32_e64 v4, v4, 0, vcc
	v_cmp_lt_u64_e32 vcc, v[10:11], v[6:7]
	v_cndmask_b32_e32 v7, v7, v11, vcc
	v_cndmask_b32_e32 v6, v6, v10, vcc
	v_cmp_lt_u64_e32 vcc, v[4:5], v[6:7]
	s_and_saveexec_b64 s[0:1], vcc
	s_cbranch_execz .LBB3640_5
; %bb.2:
	s_load_dwordx2 s[2:3], s[4:5], 0x18
	v_lshlrev_b64 v[12:13], 3, v[2:3]
	v_lshlrev_b64 v[8:9], 3, v[8:9]
	s_waitcnt lgkmcnt(0)
	v_mov_b32_e32 v14, s3
	v_add_co_u32_e32 v1, vcc, s2, v12
	v_addc_co_u32_e32 v12, vcc, v14, v13, vcc
	v_add_co_u32_e32 v13, vcc, s2, v8
	v_addc_co_u32_e32 v14, vcc, v14, v9, vcc
	v_lshlrev_b64 v[8:9], 3, v[10:11]
	v_add_co_u32_e32 v8, vcc, v13, v8
	v_addc_co_u32_e32 v9, vcc, v14, v9, vcc
	s_mov_b64 s[2:3], 0
.LBB3640_3:                             ; =>This Inner Loop Header: Depth=1
	v_add_co_u32_e32 v10, vcc, v6, v4
	v_addc_co_u32_e32 v11, vcc, v7, v5, vcc
	v_lshrrev_b64 v[10:11], 1, v[10:11]
	v_lshlrev_b64 v[16:17], 3, v[10:11]
	v_not_b32_e32 v15, v11
	v_not_b32_e32 v14, v10
	v_add_co_u32_e32 v16, vcc, v1, v16
	v_addc_co_u32_e32 v17, vcc, v12, v17, vcc
	v_lshlrev_b64 v[14:15], 3, v[14:15]
	v_add_co_u32_e32 v14, vcc, v8, v14
	v_addc_co_u32_e32 v15, vcc, v9, v15, vcc
	flat_load_dwordx2 v[18:19], v[16:17]
	flat_load_dwordx2 v[20:21], v[14:15]
	v_add_co_u32_e32 v13, vcc, 1, v10
	v_addc_co_u32_e32 v14, vcc, 0, v11, vcc
	s_waitcnt vmcnt(0) lgkmcnt(0)
	v_cmp_gt_f64_e32 vcc, v[18:19], v[20:21]
	v_cndmask_b32_e32 v7, v7, v11, vcc
	v_cndmask_b32_e32 v6, v6, v10, vcc
	;; [unrolled: 1-line block ×4, first 2 shown]
	v_cmp_ge_u64_e32 vcc, v[4:5], v[6:7]
	s_or_b64 s[2:3], vcc, s[2:3]
	s_andn2_b64 exec, exec, s[2:3]
	s_cbranch_execnz .LBB3640_3
; %bb.4:
	s_or_b64 exec, exec, s[2:3]
.LBB3640_5:
	s_or_b64 exec, exec, s[0:1]
	v_add_co_u32_e32 v2, vcc, v4, v2
	v_mov_b32_e32 v1, 0
	v_addc_co_u32_e32 v3, vcc, v5, v3, vcc
	v_lshlrev_b64 v[0:1], 3, v[0:1]
	v_mov_b32_e32 v4, s7
	v_add_co_u32_e32 v0, vcc, s6, v0
	v_addc_co_u32_e32 v1, vcc, v4, v1, vcc
	global_store_dwordx2 v[0:1], v[2:3], off
.LBB3640_6:
	s_endpgm
	.section	.rodata,"a",@progbits
	.p2align	6, 0x0
	.amdhsa_kernel _ZN7rocprim17ROCPRIM_400000_NS6detail17trampoline_kernelINS0_14default_configENS1_38merge_sort_block_merge_config_selectorIdNS0_10empty_typeEEEZZNS1_27merge_sort_block_merge_implIS3_N6thrust23THRUST_200600_302600_NS6detail15normal_iteratorINS9_10device_ptrIdEEEEPS5_m14custom_greaterIdEEE10hipError_tT0_T1_T2_jT3_P12ihipStream_tbPNSt15iterator_traitsISJ_E10value_typeEPNSP_ISK_E10value_typeEPSL_NS1_7vsmem_tEENKUlT_SJ_SK_SL_E_clISE_PdSF_SF_EESI_SY_SJ_SK_SL_EUlSY_E_NS1_11comp_targetILNS1_3genE4ELNS1_11target_archE910ELNS1_3gpuE8ELNS1_3repE0EEENS1_48merge_mergepath_partition_config_static_selectorELNS0_4arch9wavefront6targetE1EEEvSK_
		.amdhsa_group_segment_fixed_size 0
		.amdhsa_private_segment_fixed_size 0
		.amdhsa_kernarg_size 48
		.amdhsa_user_sgpr_count 6
		.amdhsa_user_sgpr_private_segment_buffer 1
		.amdhsa_user_sgpr_dispatch_ptr 0
		.amdhsa_user_sgpr_queue_ptr 0
		.amdhsa_user_sgpr_kernarg_segment_ptr 1
		.amdhsa_user_sgpr_dispatch_id 0
		.amdhsa_user_sgpr_flat_scratch_init 0
		.amdhsa_user_sgpr_kernarg_preload_length 0
		.amdhsa_user_sgpr_kernarg_preload_offset 0
		.amdhsa_user_sgpr_private_segment_size 0
		.amdhsa_uses_dynamic_stack 0
		.amdhsa_system_sgpr_private_segment_wavefront_offset 0
		.amdhsa_system_sgpr_workgroup_id_x 1
		.amdhsa_system_sgpr_workgroup_id_y 0
		.amdhsa_system_sgpr_workgroup_id_z 0
		.amdhsa_system_sgpr_workgroup_info 0
		.amdhsa_system_vgpr_workitem_id 0
		.amdhsa_next_free_vgpr 22
		.amdhsa_next_free_sgpr 8
		.amdhsa_accum_offset 24
		.amdhsa_reserve_vcc 1
		.amdhsa_reserve_flat_scratch 0
		.amdhsa_float_round_mode_32 0
		.amdhsa_float_round_mode_16_64 0
		.amdhsa_float_denorm_mode_32 3
		.amdhsa_float_denorm_mode_16_64 3
		.amdhsa_dx10_clamp 1
		.amdhsa_ieee_mode 1
		.amdhsa_fp16_overflow 0
		.amdhsa_tg_split 0
		.amdhsa_exception_fp_ieee_invalid_op 0
		.amdhsa_exception_fp_denorm_src 0
		.amdhsa_exception_fp_ieee_div_zero 0
		.amdhsa_exception_fp_ieee_overflow 0
		.amdhsa_exception_fp_ieee_underflow 0
		.amdhsa_exception_fp_ieee_inexact 0
		.amdhsa_exception_int_div_zero 0
	.end_amdhsa_kernel
	.section	.text._ZN7rocprim17ROCPRIM_400000_NS6detail17trampoline_kernelINS0_14default_configENS1_38merge_sort_block_merge_config_selectorIdNS0_10empty_typeEEEZZNS1_27merge_sort_block_merge_implIS3_N6thrust23THRUST_200600_302600_NS6detail15normal_iteratorINS9_10device_ptrIdEEEEPS5_m14custom_greaterIdEEE10hipError_tT0_T1_T2_jT3_P12ihipStream_tbPNSt15iterator_traitsISJ_E10value_typeEPNSP_ISK_E10value_typeEPSL_NS1_7vsmem_tEENKUlT_SJ_SK_SL_E_clISE_PdSF_SF_EESI_SY_SJ_SK_SL_EUlSY_E_NS1_11comp_targetILNS1_3genE4ELNS1_11target_archE910ELNS1_3gpuE8ELNS1_3repE0EEENS1_48merge_mergepath_partition_config_static_selectorELNS0_4arch9wavefront6targetE1EEEvSK_,"axG",@progbits,_ZN7rocprim17ROCPRIM_400000_NS6detail17trampoline_kernelINS0_14default_configENS1_38merge_sort_block_merge_config_selectorIdNS0_10empty_typeEEEZZNS1_27merge_sort_block_merge_implIS3_N6thrust23THRUST_200600_302600_NS6detail15normal_iteratorINS9_10device_ptrIdEEEEPS5_m14custom_greaterIdEEE10hipError_tT0_T1_T2_jT3_P12ihipStream_tbPNSt15iterator_traitsISJ_E10value_typeEPNSP_ISK_E10value_typeEPSL_NS1_7vsmem_tEENKUlT_SJ_SK_SL_E_clISE_PdSF_SF_EESI_SY_SJ_SK_SL_EUlSY_E_NS1_11comp_targetILNS1_3genE4ELNS1_11target_archE910ELNS1_3gpuE8ELNS1_3repE0EEENS1_48merge_mergepath_partition_config_static_selectorELNS0_4arch9wavefront6targetE1EEEvSK_,comdat
.Lfunc_end3640:
	.size	_ZN7rocprim17ROCPRIM_400000_NS6detail17trampoline_kernelINS0_14default_configENS1_38merge_sort_block_merge_config_selectorIdNS0_10empty_typeEEEZZNS1_27merge_sort_block_merge_implIS3_N6thrust23THRUST_200600_302600_NS6detail15normal_iteratorINS9_10device_ptrIdEEEEPS5_m14custom_greaterIdEEE10hipError_tT0_T1_T2_jT3_P12ihipStream_tbPNSt15iterator_traitsISJ_E10value_typeEPNSP_ISK_E10value_typeEPSL_NS1_7vsmem_tEENKUlT_SJ_SK_SL_E_clISE_PdSF_SF_EESI_SY_SJ_SK_SL_EUlSY_E_NS1_11comp_targetILNS1_3genE4ELNS1_11target_archE910ELNS1_3gpuE8ELNS1_3repE0EEENS1_48merge_mergepath_partition_config_static_selectorELNS0_4arch9wavefront6targetE1EEEvSK_, .Lfunc_end3640-_ZN7rocprim17ROCPRIM_400000_NS6detail17trampoline_kernelINS0_14default_configENS1_38merge_sort_block_merge_config_selectorIdNS0_10empty_typeEEEZZNS1_27merge_sort_block_merge_implIS3_N6thrust23THRUST_200600_302600_NS6detail15normal_iteratorINS9_10device_ptrIdEEEEPS5_m14custom_greaterIdEEE10hipError_tT0_T1_T2_jT3_P12ihipStream_tbPNSt15iterator_traitsISJ_E10value_typeEPNSP_ISK_E10value_typeEPSL_NS1_7vsmem_tEENKUlT_SJ_SK_SL_E_clISE_PdSF_SF_EESI_SY_SJ_SK_SL_EUlSY_E_NS1_11comp_targetILNS1_3genE4ELNS1_11target_archE910ELNS1_3gpuE8ELNS1_3repE0EEENS1_48merge_mergepath_partition_config_static_selectorELNS0_4arch9wavefront6targetE1EEEvSK_
                                        ; -- End function
	.section	.AMDGPU.csdata,"",@progbits
; Kernel info:
; codeLenInByte = 500
; NumSgprs: 12
; NumVgprs: 22
; NumAgprs: 0
; TotalNumVgprs: 22
; ScratchSize: 0
; MemoryBound: 0
; FloatMode: 240
; IeeeMode: 1
; LDSByteSize: 0 bytes/workgroup (compile time only)
; SGPRBlocks: 1
; VGPRBlocks: 2
; NumSGPRsForWavesPerEU: 12
; NumVGPRsForWavesPerEU: 22
; AccumOffset: 24
; Occupancy: 8
; WaveLimiterHint : 0
; COMPUTE_PGM_RSRC2:SCRATCH_EN: 0
; COMPUTE_PGM_RSRC2:USER_SGPR: 6
; COMPUTE_PGM_RSRC2:TRAP_HANDLER: 0
; COMPUTE_PGM_RSRC2:TGID_X_EN: 1
; COMPUTE_PGM_RSRC2:TGID_Y_EN: 0
; COMPUTE_PGM_RSRC2:TGID_Z_EN: 0
; COMPUTE_PGM_RSRC2:TIDIG_COMP_CNT: 0
; COMPUTE_PGM_RSRC3_GFX90A:ACCUM_OFFSET: 5
; COMPUTE_PGM_RSRC3_GFX90A:TG_SPLIT: 0
	.section	.text._ZN7rocprim17ROCPRIM_400000_NS6detail17trampoline_kernelINS0_14default_configENS1_38merge_sort_block_merge_config_selectorIdNS0_10empty_typeEEEZZNS1_27merge_sort_block_merge_implIS3_N6thrust23THRUST_200600_302600_NS6detail15normal_iteratorINS9_10device_ptrIdEEEEPS5_m14custom_greaterIdEEE10hipError_tT0_T1_T2_jT3_P12ihipStream_tbPNSt15iterator_traitsISJ_E10value_typeEPNSP_ISK_E10value_typeEPSL_NS1_7vsmem_tEENKUlT_SJ_SK_SL_E_clISE_PdSF_SF_EESI_SY_SJ_SK_SL_EUlSY_E_NS1_11comp_targetILNS1_3genE3ELNS1_11target_archE908ELNS1_3gpuE7ELNS1_3repE0EEENS1_48merge_mergepath_partition_config_static_selectorELNS0_4arch9wavefront6targetE1EEEvSK_,"axG",@progbits,_ZN7rocprim17ROCPRIM_400000_NS6detail17trampoline_kernelINS0_14default_configENS1_38merge_sort_block_merge_config_selectorIdNS0_10empty_typeEEEZZNS1_27merge_sort_block_merge_implIS3_N6thrust23THRUST_200600_302600_NS6detail15normal_iteratorINS9_10device_ptrIdEEEEPS5_m14custom_greaterIdEEE10hipError_tT0_T1_T2_jT3_P12ihipStream_tbPNSt15iterator_traitsISJ_E10value_typeEPNSP_ISK_E10value_typeEPSL_NS1_7vsmem_tEENKUlT_SJ_SK_SL_E_clISE_PdSF_SF_EESI_SY_SJ_SK_SL_EUlSY_E_NS1_11comp_targetILNS1_3genE3ELNS1_11target_archE908ELNS1_3gpuE7ELNS1_3repE0EEENS1_48merge_mergepath_partition_config_static_selectorELNS0_4arch9wavefront6targetE1EEEvSK_,comdat
	.protected	_ZN7rocprim17ROCPRIM_400000_NS6detail17trampoline_kernelINS0_14default_configENS1_38merge_sort_block_merge_config_selectorIdNS0_10empty_typeEEEZZNS1_27merge_sort_block_merge_implIS3_N6thrust23THRUST_200600_302600_NS6detail15normal_iteratorINS9_10device_ptrIdEEEEPS5_m14custom_greaterIdEEE10hipError_tT0_T1_T2_jT3_P12ihipStream_tbPNSt15iterator_traitsISJ_E10value_typeEPNSP_ISK_E10value_typeEPSL_NS1_7vsmem_tEENKUlT_SJ_SK_SL_E_clISE_PdSF_SF_EESI_SY_SJ_SK_SL_EUlSY_E_NS1_11comp_targetILNS1_3genE3ELNS1_11target_archE908ELNS1_3gpuE7ELNS1_3repE0EEENS1_48merge_mergepath_partition_config_static_selectorELNS0_4arch9wavefront6targetE1EEEvSK_ ; -- Begin function _ZN7rocprim17ROCPRIM_400000_NS6detail17trampoline_kernelINS0_14default_configENS1_38merge_sort_block_merge_config_selectorIdNS0_10empty_typeEEEZZNS1_27merge_sort_block_merge_implIS3_N6thrust23THRUST_200600_302600_NS6detail15normal_iteratorINS9_10device_ptrIdEEEEPS5_m14custom_greaterIdEEE10hipError_tT0_T1_T2_jT3_P12ihipStream_tbPNSt15iterator_traitsISJ_E10value_typeEPNSP_ISK_E10value_typeEPSL_NS1_7vsmem_tEENKUlT_SJ_SK_SL_E_clISE_PdSF_SF_EESI_SY_SJ_SK_SL_EUlSY_E_NS1_11comp_targetILNS1_3genE3ELNS1_11target_archE908ELNS1_3gpuE7ELNS1_3repE0EEENS1_48merge_mergepath_partition_config_static_selectorELNS0_4arch9wavefront6targetE1EEEvSK_
	.globl	_ZN7rocprim17ROCPRIM_400000_NS6detail17trampoline_kernelINS0_14default_configENS1_38merge_sort_block_merge_config_selectorIdNS0_10empty_typeEEEZZNS1_27merge_sort_block_merge_implIS3_N6thrust23THRUST_200600_302600_NS6detail15normal_iteratorINS9_10device_ptrIdEEEEPS5_m14custom_greaterIdEEE10hipError_tT0_T1_T2_jT3_P12ihipStream_tbPNSt15iterator_traitsISJ_E10value_typeEPNSP_ISK_E10value_typeEPSL_NS1_7vsmem_tEENKUlT_SJ_SK_SL_E_clISE_PdSF_SF_EESI_SY_SJ_SK_SL_EUlSY_E_NS1_11comp_targetILNS1_3genE3ELNS1_11target_archE908ELNS1_3gpuE7ELNS1_3repE0EEENS1_48merge_mergepath_partition_config_static_selectorELNS0_4arch9wavefront6targetE1EEEvSK_
	.p2align	8
	.type	_ZN7rocprim17ROCPRIM_400000_NS6detail17trampoline_kernelINS0_14default_configENS1_38merge_sort_block_merge_config_selectorIdNS0_10empty_typeEEEZZNS1_27merge_sort_block_merge_implIS3_N6thrust23THRUST_200600_302600_NS6detail15normal_iteratorINS9_10device_ptrIdEEEEPS5_m14custom_greaterIdEEE10hipError_tT0_T1_T2_jT3_P12ihipStream_tbPNSt15iterator_traitsISJ_E10value_typeEPNSP_ISK_E10value_typeEPSL_NS1_7vsmem_tEENKUlT_SJ_SK_SL_E_clISE_PdSF_SF_EESI_SY_SJ_SK_SL_EUlSY_E_NS1_11comp_targetILNS1_3genE3ELNS1_11target_archE908ELNS1_3gpuE7ELNS1_3repE0EEENS1_48merge_mergepath_partition_config_static_selectorELNS0_4arch9wavefront6targetE1EEEvSK_,@function
_ZN7rocprim17ROCPRIM_400000_NS6detail17trampoline_kernelINS0_14default_configENS1_38merge_sort_block_merge_config_selectorIdNS0_10empty_typeEEEZZNS1_27merge_sort_block_merge_implIS3_N6thrust23THRUST_200600_302600_NS6detail15normal_iteratorINS9_10device_ptrIdEEEEPS5_m14custom_greaterIdEEE10hipError_tT0_T1_T2_jT3_P12ihipStream_tbPNSt15iterator_traitsISJ_E10value_typeEPNSP_ISK_E10value_typeEPSL_NS1_7vsmem_tEENKUlT_SJ_SK_SL_E_clISE_PdSF_SF_EESI_SY_SJ_SK_SL_EUlSY_E_NS1_11comp_targetILNS1_3genE3ELNS1_11target_archE908ELNS1_3gpuE7ELNS1_3repE0EEENS1_48merge_mergepath_partition_config_static_selectorELNS0_4arch9wavefront6targetE1EEEvSK_: ; @_ZN7rocprim17ROCPRIM_400000_NS6detail17trampoline_kernelINS0_14default_configENS1_38merge_sort_block_merge_config_selectorIdNS0_10empty_typeEEEZZNS1_27merge_sort_block_merge_implIS3_N6thrust23THRUST_200600_302600_NS6detail15normal_iteratorINS9_10device_ptrIdEEEEPS5_m14custom_greaterIdEEE10hipError_tT0_T1_T2_jT3_P12ihipStream_tbPNSt15iterator_traitsISJ_E10value_typeEPNSP_ISK_E10value_typeEPSL_NS1_7vsmem_tEENKUlT_SJ_SK_SL_E_clISE_PdSF_SF_EESI_SY_SJ_SK_SL_EUlSY_E_NS1_11comp_targetILNS1_3genE3ELNS1_11target_archE908ELNS1_3gpuE7ELNS1_3repE0EEENS1_48merge_mergepath_partition_config_static_selectorELNS0_4arch9wavefront6targetE1EEEvSK_
; %bb.0:
	.section	.rodata,"a",@progbits
	.p2align	6, 0x0
	.amdhsa_kernel _ZN7rocprim17ROCPRIM_400000_NS6detail17trampoline_kernelINS0_14default_configENS1_38merge_sort_block_merge_config_selectorIdNS0_10empty_typeEEEZZNS1_27merge_sort_block_merge_implIS3_N6thrust23THRUST_200600_302600_NS6detail15normal_iteratorINS9_10device_ptrIdEEEEPS5_m14custom_greaterIdEEE10hipError_tT0_T1_T2_jT3_P12ihipStream_tbPNSt15iterator_traitsISJ_E10value_typeEPNSP_ISK_E10value_typeEPSL_NS1_7vsmem_tEENKUlT_SJ_SK_SL_E_clISE_PdSF_SF_EESI_SY_SJ_SK_SL_EUlSY_E_NS1_11comp_targetILNS1_3genE3ELNS1_11target_archE908ELNS1_3gpuE7ELNS1_3repE0EEENS1_48merge_mergepath_partition_config_static_selectorELNS0_4arch9wavefront6targetE1EEEvSK_
		.amdhsa_group_segment_fixed_size 0
		.amdhsa_private_segment_fixed_size 0
		.amdhsa_kernarg_size 48
		.amdhsa_user_sgpr_count 6
		.amdhsa_user_sgpr_private_segment_buffer 1
		.amdhsa_user_sgpr_dispatch_ptr 0
		.amdhsa_user_sgpr_queue_ptr 0
		.amdhsa_user_sgpr_kernarg_segment_ptr 1
		.amdhsa_user_sgpr_dispatch_id 0
		.amdhsa_user_sgpr_flat_scratch_init 0
		.amdhsa_user_sgpr_kernarg_preload_length 0
		.amdhsa_user_sgpr_kernarg_preload_offset 0
		.amdhsa_user_sgpr_private_segment_size 0
		.amdhsa_uses_dynamic_stack 0
		.amdhsa_system_sgpr_private_segment_wavefront_offset 0
		.amdhsa_system_sgpr_workgroup_id_x 1
		.amdhsa_system_sgpr_workgroup_id_y 0
		.amdhsa_system_sgpr_workgroup_id_z 0
		.amdhsa_system_sgpr_workgroup_info 0
		.amdhsa_system_vgpr_workitem_id 0
		.amdhsa_next_free_vgpr 1
		.amdhsa_next_free_sgpr 0
		.amdhsa_accum_offset 4
		.amdhsa_reserve_vcc 0
		.amdhsa_reserve_flat_scratch 0
		.amdhsa_float_round_mode_32 0
		.amdhsa_float_round_mode_16_64 0
		.amdhsa_float_denorm_mode_32 3
		.amdhsa_float_denorm_mode_16_64 3
		.amdhsa_dx10_clamp 1
		.amdhsa_ieee_mode 1
		.amdhsa_fp16_overflow 0
		.amdhsa_tg_split 0
		.amdhsa_exception_fp_ieee_invalid_op 0
		.amdhsa_exception_fp_denorm_src 0
		.amdhsa_exception_fp_ieee_div_zero 0
		.amdhsa_exception_fp_ieee_overflow 0
		.amdhsa_exception_fp_ieee_underflow 0
		.amdhsa_exception_fp_ieee_inexact 0
		.amdhsa_exception_int_div_zero 0
	.end_amdhsa_kernel
	.section	.text._ZN7rocprim17ROCPRIM_400000_NS6detail17trampoline_kernelINS0_14default_configENS1_38merge_sort_block_merge_config_selectorIdNS0_10empty_typeEEEZZNS1_27merge_sort_block_merge_implIS3_N6thrust23THRUST_200600_302600_NS6detail15normal_iteratorINS9_10device_ptrIdEEEEPS5_m14custom_greaterIdEEE10hipError_tT0_T1_T2_jT3_P12ihipStream_tbPNSt15iterator_traitsISJ_E10value_typeEPNSP_ISK_E10value_typeEPSL_NS1_7vsmem_tEENKUlT_SJ_SK_SL_E_clISE_PdSF_SF_EESI_SY_SJ_SK_SL_EUlSY_E_NS1_11comp_targetILNS1_3genE3ELNS1_11target_archE908ELNS1_3gpuE7ELNS1_3repE0EEENS1_48merge_mergepath_partition_config_static_selectorELNS0_4arch9wavefront6targetE1EEEvSK_,"axG",@progbits,_ZN7rocprim17ROCPRIM_400000_NS6detail17trampoline_kernelINS0_14default_configENS1_38merge_sort_block_merge_config_selectorIdNS0_10empty_typeEEEZZNS1_27merge_sort_block_merge_implIS3_N6thrust23THRUST_200600_302600_NS6detail15normal_iteratorINS9_10device_ptrIdEEEEPS5_m14custom_greaterIdEEE10hipError_tT0_T1_T2_jT3_P12ihipStream_tbPNSt15iterator_traitsISJ_E10value_typeEPNSP_ISK_E10value_typeEPSL_NS1_7vsmem_tEENKUlT_SJ_SK_SL_E_clISE_PdSF_SF_EESI_SY_SJ_SK_SL_EUlSY_E_NS1_11comp_targetILNS1_3genE3ELNS1_11target_archE908ELNS1_3gpuE7ELNS1_3repE0EEENS1_48merge_mergepath_partition_config_static_selectorELNS0_4arch9wavefront6targetE1EEEvSK_,comdat
.Lfunc_end3641:
	.size	_ZN7rocprim17ROCPRIM_400000_NS6detail17trampoline_kernelINS0_14default_configENS1_38merge_sort_block_merge_config_selectorIdNS0_10empty_typeEEEZZNS1_27merge_sort_block_merge_implIS3_N6thrust23THRUST_200600_302600_NS6detail15normal_iteratorINS9_10device_ptrIdEEEEPS5_m14custom_greaterIdEEE10hipError_tT0_T1_T2_jT3_P12ihipStream_tbPNSt15iterator_traitsISJ_E10value_typeEPNSP_ISK_E10value_typeEPSL_NS1_7vsmem_tEENKUlT_SJ_SK_SL_E_clISE_PdSF_SF_EESI_SY_SJ_SK_SL_EUlSY_E_NS1_11comp_targetILNS1_3genE3ELNS1_11target_archE908ELNS1_3gpuE7ELNS1_3repE0EEENS1_48merge_mergepath_partition_config_static_selectorELNS0_4arch9wavefront6targetE1EEEvSK_, .Lfunc_end3641-_ZN7rocprim17ROCPRIM_400000_NS6detail17trampoline_kernelINS0_14default_configENS1_38merge_sort_block_merge_config_selectorIdNS0_10empty_typeEEEZZNS1_27merge_sort_block_merge_implIS3_N6thrust23THRUST_200600_302600_NS6detail15normal_iteratorINS9_10device_ptrIdEEEEPS5_m14custom_greaterIdEEE10hipError_tT0_T1_T2_jT3_P12ihipStream_tbPNSt15iterator_traitsISJ_E10value_typeEPNSP_ISK_E10value_typeEPSL_NS1_7vsmem_tEENKUlT_SJ_SK_SL_E_clISE_PdSF_SF_EESI_SY_SJ_SK_SL_EUlSY_E_NS1_11comp_targetILNS1_3genE3ELNS1_11target_archE908ELNS1_3gpuE7ELNS1_3repE0EEENS1_48merge_mergepath_partition_config_static_selectorELNS0_4arch9wavefront6targetE1EEEvSK_
                                        ; -- End function
	.section	.AMDGPU.csdata,"",@progbits
; Kernel info:
; codeLenInByte = 0
; NumSgprs: 4
; NumVgprs: 0
; NumAgprs: 0
; TotalNumVgprs: 0
; ScratchSize: 0
; MemoryBound: 0
; FloatMode: 240
; IeeeMode: 1
; LDSByteSize: 0 bytes/workgroup (compile time only)
; SGPRBlocks: 0
; VGPRBlocks: 0
; NumSGPRsForWavesPerEU: 4
; NumVGPRsForWavesPerEU: 1
; AccumOffset: 4
; Occupancy: 8
; WaveLimiterHint : 0
; COMPUTE_PGM_RSRC2:SCRATCH_EN: 0
; COMPUTE_PGM_RSRC2:USER_SGPR: 6
; COMPUTE_PGM_RSRC2:TRAP_HANDLER: 0
; COMPUTE_PGM_RSRC2:TGID_X_EN: 1
; COMPUTE_PGM_RSRC2:TGID_Y_EN: 0
; COMPUTE_PGM_RSRC2:TGID_Z_EN: 0
; COMPUTE_PGM_RSRC2:TIDIG_COMP_CNT: 0
; COMPUTE_PGM_RSRC3_GFX90A:ACCUM_OFFSET: 0
; COMPUTE_PGM_RSRC3_GFX90A:TG_SPLIT: 0
	.section	.text._ZN7rocprim17ROCPRIM_400000_NS6detail17trampoline_kernelINS0_14default_configENS1_38merge_sort_block_merge_config_selectorIdNS0_10empty_typeEEEZZNS1_27merge_sort_block_merge_implIS3_N6thrust23THRUST_200600_302600_NS6detail15normal_iteratorINS9_10device_ptrIdEEEEPS5_m14custom_greaterIdEEE10hipError_tT0_T1_T2_jT3_P12ihipStream_tbPNSt15iterator_traitsISJ_E10value_typeEPNSP_ISK_E10value_typeEPSL_NS1_7vsmem_tEENKUlT_SJ_SK_SL_E_clISE_PdSF_SF_EESI_SY_SJ_SK_SL_EUlSY_E_NS1_11comp_targetILNS1_3genE2ELNS1_11target_archE906ELNS1_3gpuE6ELNS1_3repE0EEENS1_48merge_mergepath_partition_config_static_selectorELNS0_4arch9wavefront6targetE1EEEvSK_,"axG",@progbits,_ZN7rocprim17ROCPRIM_400000_NS6detail17trampoline_kernelINS0_14default_configENS1_38merge_sort_block_merge_config_selectorIdNS0_10empty_typeEEEZZNS1_27merge_sort_block_merge_implIS3_N6thrust23THRUST_200600_302600_NS6detail15normal_iteratorINS9_10device_ptrIdEEEEPS5_m14custom_greaterIdEEE10hipError_tT0_T1_T2_jT3_P12ihipStream_tbPNSt15iterator_traitsISJ_E10value_typeEPNSP_ISK_E10value_typeEPSL_NS1_7vsmem_tEENKUlT_SJ_SK_SL_E_clISE_PdSF_SF_EESI_SY_SJ_SK_SL_EUlSY_E_NS1_11comp_targetILNS1_3genE2ELNS1_11target_archE906ELNS1_3gpuE6ELNS1_3repE0EEENS1_48merge_mergepath_partition_config_static_selectorELNS0_4arch9wavefront6targetE1EEEvSK_,comdat
	.protected	_ZN7rocprim17ROCPRIM_400000_NS6detail17trampoline_kernelINS0_14default_configENS1_38merge_sort_block_merge_config_selectorIdNS0_10empty_typeEEEZZNS1_27merge_sort_block_merge_implIS3_N6thrust23THRUST_200600_302600_NS6detail15normal_iteratorINS9_10device_ptrIdEEEEPS5_m14custom_greaterIdEEE10hipError_tT0_T1_T2_jT3_P12ihipStream_tbPNSt15iterator_traitsISJ_E10value_typeEPNSP_ISK_E10value_typeEPSL_NS1_7vsmem_tEENKUlT_SJ_SK_SL_E_clISE_PdSF_SF_EESI_SY_SJ_SK_SL_EUlSY_E_NS1_11comp_targetILNS1_3genE2ELNS1_11target_archE906ELNS1_3gpuE6ELNS1_3repE0EEENS1_48merge_mergepath_partition_config_static_selectorELNS0_4arch9wavefront6targetE1EEEvSK_ ; -- Begin function _ZN7rocprim17ROCPRIM_400000_NS6detail17trampoline_kernelINS0_14default_configENS1_38merge_sort_block_merge_config_selectorIdNS0_10empty_typeEEEZZNS1_27merge_sort_block_merge_implIS3_N6thrust23THRUST_200600_302600_NS6detail15normal_iteratorINS9_10device_ptrIdEEEEPS5_m14custom_greaterIdEEE10hipError_tT0_T1_T2_jT3_P12ihipStream_tbPNSt15iterator_traitsISJ_E10value_typeEPNSP_ISK_E10value_typeEPSL_NS1_7vsmem_tEENKUlT_SJ_SK_SL_E_clISE_PdSF_SF_EESI_SY_SJ_SK_SL_EUlSY_E_NS1_11comp_targetILNS1_3genE2ELNS1_11target_archE906ELNS1_3gpuE6ELNS1_3repE0EEENS1_48merge_mergepath_partition_config_static_selectorELNS0_4arch9wavefront6targetE1EEEvSK_
	.globl	_ZN7rocprim17ROCPRIM_400000_NS6detail17trampoline_kernelINS0_14default_configENS1_38merge_sort_block_merge_config_selectorIdNS0_10empty_typeEEEZZNS1_27merge_sort_block_merge_implIS3_N6thrust23THRUST_200600_302600_NS6detail15normal_iteratorINS9_10device_ptrIdEEEEPS5_m14custom_greaterIdEEE10hipError_tT0_T1_T2_jT3_P12ihipStream_tbPNSt15iterator_traitsISJ_E10value_typeEPNSP_ISK_E10value_typeEPSL_NS1_7vsmem_tEENKUlT_SJ_SK_SL_E_clISE_PdSF_SF_EESI_SY_SJ_SK_SL_EUlSY_E_NS1_11comp_targetILNS1_3genE2ELNS1_11target_archE906ELNS1_3gpuE6ELNS1_3repE0EEENS1_48merge_mergepath_partition_config_static_selectorELNS0_4arch9wavefront6targetE1EEEvSK_
	.p2align	8
	.type	_ZN7rocprim17ROCPRIM_400000_NS6detail17trampoline_kernelINS0_14default_configENS1_38merge_sort_block_merge_config_selectorIdNS0_10empty_typeEEEZZNS1_27merge_sort_block_merge_implIS3_N6thrust23THRUST_200600_302600_NS6detail15normal_iteratorINS9_10device_ptrIdEEEEPS5_m14custom_greaterIdEEE10hipError_tT0_T1_T2_jT3_P12ihipStream_tbPNSt15iterator_traitsISJ_E10value_typeEPNSP_ISK_E10value_typeEPSL_NS1_7vsmem_tEENKUlT_SJ_SK_SL_E_clISE_PdSF_SF_EESI_SY_SJ_SK_SL_EUlSY_E_NS1_11comp_targetILNS1_3genE2ELNS1_11target_archE906ELNS1_3gpuE6ELNS1_3repE0EEENS1_48merge_mergepath_partition_config_static_selectorELNS0_4arch9wavefront6targetE1EEEvSK_,@function
_ZN7rocprim17ROCPRIM_400000_NS6detail17trampoline_kernelINS0_14default_configENS1_38merge_sort_block_merge_config_selectorIdNS0_10empty_typeEEEZZNS1_27merge_sort_block_merge_implIS3_N6thrust23THRUST_200600_302600_NS6detail15normal_iteratorINS9_10device_ptrIdEEEEPS5_m14custom_greaterIdEEE10hipError_tT0_T1_T2_jT3_P12ihipStream_tbPNSt15iterator_traitsISJ_E10value_typeEPNSP_ISK_E10value_typeEPSL_NS1_7vsmem_tEENKUlT_SJ_SK_SL_E_clISE_PdSF_SF_EESI_SY_SJ_SK_SL_EUlSY_E_NS1_11comp_targetILNS1_3genE2ELNS1_11target_archE906ELNS1_3gpuE6ELNS1_3repE0EEENS1_48merge_mergepath_partition_config_static_selectorELNS0_4arch9wavefront6targetE1EEEvSK_: ; @_ZN7rocprim17ROCPRIM_400000_NS6detail17trampoline_kernelINS0_14default_configENS1_38merge_sort_block_merge_config_selectorIdNS0_10empty_typeEEEZZNS1_27merge_sort_block_merge_implIS3_N6thrust23THRUST_200600_302600_NS6detail15normal_iteratorINS9_10device_ptrIdEEEEPS5_m14custom_greaterIdEEE10hipError_tT0_T1_T2_jT3_P12ihipStream_tbPNSt15iterator_traitsISJ_E10value_typeEPNSP_ISK_E10value_typeEPSL_NS1_7vsmem_tEENKUlT_SJ_SK_SL_E_clISE_PdSF_SF_EESI_SY_SJ_SK_SL_EUlSY_E_NS1_11comp_targetILNS1_3genE2ELNS1_11target_archE906ELNS1_3gpuE6ELNS1_3repE0EEENS1_48merge_mergepath_partition_config_static_selectorELNS0_4arch9wavefront6targetE1EEEvSK_
; %bb.0:
	.section	.rodata,"a",@progbits
	.p2align	6, 0x0
	.amdhsa_kernel _ZN7rocprim17ROCPRIM_400000_NS6detail17trampoline_kernelINS0_14default_configENS1_38merge_sort_block_merge_config_selectorIdNS0_10empty_typeEEEZZNS1_27merge_sort_block_merge_implIS3_N6thrust23THRUST_200600_302600_NS6detail15normal_iteratorINS9_10device_ptrIdEEEEPS5_m14custom_greaterIdEEE10hipError_tT0_T1_T2_jT3_P12ihipStream_tbPNSt15iterator_traitsISJ_E10value_typeEPNSP_ISK_E10value_typeEPSL_NS1_7vsmem_tEENKUlT_SJ_SK_SL_E_clISE_PdSF_SF_EESI_SY_SJ_SK_SL_EUlSY_E_NS1_11comp_targetILNS1_3genE2ELNS1_11target_archE906ELNS1_3gpuE6ELNS1_3repE0EEENS1_48merge_mergepath_partition_config_static_selectorELNS0_4arch9wavefront6targetE1EEEvSK_
		.amdhsa_group_segment_fixed_size 0
		.amdhsa_private_segment_fixed_size 0
		.amdhsa_kernarg_size 48
		.amdhsa_user_sgpr_count 6
		.amdhsa_user_sgpr_private_segment_buffer 1
		.amdhsa_user_sgpr_dispatch_ptr 0
		.amdhsa_user_sgpr_queue_ptr 0
		.amdhsa_user_sgpr_kernarg_segment_ptr 1
		.amdhsa_user_sgpr_dispatch_id 0
		.amdhsa_user_sgpr_flat_scratch_init 0
		.amdhsa_user_sgpr_kernarg_preload_length 0
		.amdhsa_user_sgpr_kernarg_preload_offset 0
		.amdhsa_user_sgpr_private_segment_size 0
		.amdhsa_uses_dynamic_stack 0
		.amdhsa_system_sgpr_private_segment_wavefront_offset 0
		.amdhsa_system_sgpr_workgroup_id_x 1
		.amdhsa_system_sgpr_workgroup_id_y 0
		.amdhsa_system_sgpr_workgroup_id_z 0
		.amdhsa_system_sgpr_workgroup_info 0
		.amdhsa_system_vgpr_workitem_id 0
		.amdhsa_next_free_vgpr 1
		.amdhsa_next_free_sgpr 0
		.amdhsa_accum_offset 4
		.amdhsa_reserve_vcc 0
		.amdhsa_reserve_flat_scratch 0
		.amdhsa_float_round_mode_32 0
		.amdhsa_float_round_mode_16_64 0
		.amdhsa_float_denorm_mode_32 3
		.amdhsa_float_denorm_mode_16_64 3
		.amdhsa_dx10_clamp 1
		.amdhsa_ieee_mode 1
		.amdhsa_fp16_overflow 0
		.amdhsa_tg_split 0
		.amdhsa_exception_fp_ieee_invalid_op 0
		.amdhsa_exception_fp_denorm_src 0
		.amdhsa_exception_fp_ieee_div_zero 0
		.amdhsa_exception_fp_ieee_overflow 0
		.amdhsa_exception_fp_ieee_underflow 0
		.amdhsa_exception_fp_ieee_inexact 0
		.amdhsa_exception_int_div_zero 0
	.end_amdhsa_kernel
	.section	.text._ZN7rocprim17ROCPRIM_400000_NS6detail17trampoline_kernelINS0_14default_configENS1_38merge_sort_block_merge_config_selectorIdNS0_10empty_typeEEEZZNS1_27merge_sort_block_merge_implIS3_N6thrust23THRUST_200600_302600_NS6detail15normal_iteratorINS9_10device_ptrIdEEEEPS5_m14custom_greaterIdEEE10hipError_tT0_T1_T2_jT3_P12ihipStream_tbPNSt15iterator_traitsISJ_E10value_typeEPNSP_ISK_E10value_typeEPSL_NS1_7vsmem_tEENKUlT_SJ_SK_SL_E_clISE_PdSF_SF_EESI_SY_SJ_SK_SL_EUlSY_E_NS1_11comp_targetILNS1_3genE2ELNS1_11target_archE906ELNS1_3gpuE6ELNS1_3repE0EEENS1_48merge_mergepath_partition_config_static_selectorELNS0_4arch9wavefront6targetE1EEEvSK_,"axG",@progbits,_ZN7rocprim17ROCPRIM_400000_NS6detail17trampoline_kernelINS0_14default_configENS1_38merge_sort_block_merge_config_selectorIdNS0_10empty_typeEEEZZNS1_27merge_sort_block_merge_implIS3_N6thrust23THRUST_200600_302600_NS6detail15normal_iteratorINS9_10device_ptrIdEEEEPS5_m14custom_greaterIdEEE10hipError_tT0_T1_T2_jT3_P12ihipStream_tbPNSt15iterator_traitsISJ_E10value_typeEPNSP_ISK_E10value_typeEPSL_NS1_7vsmem_tEENKUlT_SJ_SK_SL_E_clISE_PdSF_SF_EESI_SY_SJ_SK_SL_EUlSY_E_NS1_11comp_targetILNS1_3genE2ELNS1_11target_archE906ELNS1_3gpuE6ELNS1_3repE0EEENS1_48merge_mergepath_partition_config_static_selectorELNS0_4arch9wavefront6targetE1EEEvSK_,comdat
.Lfunc_end3642:
	.size	_ZN7rocprim17ROCPRIM_400000_NS6detail17trampoline_kernelINS0_14default_configENS1_38merge_sort_block_merge_config_selectorIdNS0_10empty_typeEEEZZNS1_27merge_sort_block_merge_implIS3_N6thrust23THRUST_200600_302600_NS6detail15normal_iteratorINS9_10device_ptrIdEEEEPS5_m14custom_greaterIdEEE10hipError_tT0_T1_T2_jT3_P12ihipStream_tbPNSt15iterator_traitsISJ_E10value_typeEPNSP_ISK_E10value_typeEPSL_NS1_7vsmem_tEENKUlT_SJ_SK_SL_E_clISE_PdSF_SF_EESI_SY_SJ_SK_SL_EUlSY_E_NS1_11comp_targetILNS1_3genE2ELNS1_11target_archE906ELNS1_3gpuE6ELNS1_3repE0EEENS1_48merge_mergepath_partition_config_static_selectorELNS0_4arch9wavefront6targetE1EEEvSK_, .Lfunc_end3642-_ZN7rocprim17ROCPRIM_400000_NS6detail17trampoline_kernelINS0_14default_configENS1_38merge_sort_block_merge_config_selectorIdNS0_10empty_typeEEEZZNS1_27merge_sort_block_merge_implIS3_N6thrust23THRUST_200600_302600_NS6detail15normal_iteratorINS9_10device_ptrIdEEEEPS5_m14custom_greaterIdEEE10hipError_tT0_T1_T2_jT3_P12ihipStream_tbPNSt15iterator_traitsISJ_E10value_typeEPNSP_ISK_E10value_typeEPSL_NS1_7vsmem_tEENKUlT_SJ_SK_SL_E_clISE_PdSF_SF_EESI_SY_SJ_SK_SL_EUlSY_E_NS1_11comp_targetILNS1_3genE2ELNS1_11target_archE906ELNS1_3gpuE6ELNS1_3repE0EEENS1_48merge_mergepath_partition_config_static_selectorELNS0_4arch9wavefront6targetE1EEEvSK_
                                        ; -- End function
	.section	.AMDGPU.csdata,"",@progbits
; Kernel info:
; codeLenInByte = 0
; NumSgprs: 4
; NumVgprs: 0
; NumAgprs: 0
; TotalNumVgprs: 0
; ScratchSize: 0
; MemoryBound: 0
; FloatMode: 240
; IeeeMode: 1
; LDSByteSize: 0 bytes/workgroup (compile time only)
; SGPRBlocks: 0
; VGPRBlocks: 0
; NumSGPRsForWavesPerEU: 4
; NumVGPRsForWavesPerEU: 1
; AccumOffset: 4
; Occupancy: 8
; WaveLimiterHint : 0
; COMPUTE_PGM_RSRC2:SCRATCH_EN: 0
; COMPUTE_PGM_RSRC2:USER_SGPR: 6
; COMPUTE_PGM_RSRC2:TRAP_HANDLER: 0
; COMPUTE_PGM_RSRC2:TGID_X_EN: 1
; COMPUTE_PGM_RSRC2:TGID_Y_EN: 0
; COMPUTE_PGM_RSRC2:TGID_Z_EN: 0
; COMPUTE_PGM_RSRC2:TIDIG_COMP_CNT: 0
; COMPUTE_PGM_RSRC3_GFX90A:ACCUM_OFFSET: 0
; COMPUTE_PGM_RSRC3_GFX90A:TG_SPLIT: 0
	.section	.text._ZN7rocprim17ROCPRIM_400000_NS6detail17trampoline_kernelINS0_14default_configENS1_38merge_sort_block_merge_config_selectorIdNS0_10empty_typeEEEZZNS1_27merge_sort_block_merge_implIS3_N6thrust23THRUST_200600_302600_NS6detail15normal_iteratorINS9_10device_ptrIdEEEEPS5_m14custom_greaterIdEEE10hipError_tT0_T1_T2_jT3_P12ihipStream_tbPNSt15iterator_traitsISJ_E10value_typeEPNSP_ISK_E10value_typeEPSL_NS1_7vsmem_tEENKUlT_SJ_SK_SL_E_clISE_PdSF_SF_EESI_SY_SJ_SK_SL_EUlSY_E_NS1_11comp_targetILNS1_3genE9ELNS1_11target_archE1100ELNS1_3gpuE3ELNS1_3repE0EEENS1_48merge_mergepath_partition_config_static_selectorELNS0_4arch9wavefront6targetE1EEEvSK_,"axG",@progbits,_ZN7rocprim17ROCPRIM_400000_NS6detail17trampoline_kernelINS0_14default_configENS1_38merge_sort_block_merge_config_selectorIdNS0_10empty_typeEEEZZNS1_27merge_sort_block_merge_implIS3_N6thrust23THRUST_200600_302600_NS6detail15normal_iteratorINS9_10device_ptrIdEEEEPS5_m14custom_greaterIdEEE10hipError_tT0_T1_T2_jT3_P12ihipStream_tbPNSt15iterator_traitsISJ_E10value_typeEPNSP_ISK_E10value_typeEPSL_NS1_7vsmem_tEENKUlT_SJ_SK_SL_E_clISE_PdSF_SF_EESI_SY_SJ_SK_SL_EUlSY_E_NS1_11comp_targetILNS1_3genE9ELNS1_11target_archE1100ELNS1_3gpuE3ELNS1_3repE0EEENS1_48merge_mergepath_partition_config_static_selectorELNS0_4arch9wavefront6targetE1EEEvSK_,comdat
	.protected	_ZN7rocprim17ROCPRIM_400000_NS6detail17trampoline_kernelINS0_14default_configENS1_38merge_sort_block_merge_config_selectorIdNS0_10empty_typeEEEZZNS1_27merge_sort_block_merge_implIS3_N6thrust23THRUST_200600_302600_NS6detail15normal_iteratorINS9_10device_ptrIdEEEEPS5_m14custom_greaterIdEEE10hipError_tT0_T1_T2_jT3_P12ihipStream_tbPNSt15iterator_traitsISJ_E10value_typeEPNSP_ISK_E10value_typeEPSL_NS1_7vsmem_tEENKUlT_SJ_SK_SL_E_clISE_PdSF_SF_EESI_SY_SJ_SK_SL_EUlSY_E_NS1_11comp_targetILNS1_3genE9ELNS1_11target_archE1100ELNS1_3gpuE3ELNS1_3repE0EEENS1_48merge_mergepath_partition_config_static_selectorELNS0_4arch9wavefront6targetE1EEEvSK_ ; -- Begin function _ZN7rocprim17ROCPRIM_400000_NS6detail17trampoline_kernelINS0_14default_configENS1_38merge_sort_block_merge_config_selectorIdNS0_10empty_typeEEEZZNS1_27merge_sort_block_merge_implIS3_N6thrust23THRUST_200600_302600_NS6detail15normal_iteratorINS9_10device_ptrIdEEEEPS5_m14custom_greaterIdEEE10hipError_tT0_T1_T2_jT3_P12ihipStream_tbPNSt15iterator_traitsISJ_E10value_typeEPNSP_ISK_E10value_typeEPSL_NS1_7vsmem_tEENKUlT_SJ_SK_SL_E_clISE_PdSF_SF_EESI_SY_SJ_SK_SL_EUlSY_E_NS1_11comp_targetILNS1_3genE9ELNS1_11target_archE1100ELNS1_3gpuE3ELNS1_3repE0EEENS1_48merge_mergepath_partition_config_static_selectorELNS0_4arch9wavefront6targetE1EEEvSK_
	.globl	_ZN7rocprim17ROCPRIM_400000_NS6detail17trampoline_kernelINS0_14default_configENS1_38merge_sort_block_merge_config_selectorIdNS0_10empty_typeEEEZZNS1_27merge_sort_block_merge_implIS3_N6thrust23THRUST_200600_302600_NS6detail15normal_iteratorINS9_10device_ptrIdEEEEPS5_m14custom_greaterIdEEE10hipError_tT0_T1_T2_jT3_P12ihipStream_tbPNSt15iterator_traitsISJ_E10value_typeEPNSP_ISK_E10value_typeEPSL_NS1_7vsmem_tEENKUlT_SJ_SK_SL_E_clISE_PdSF_SF_EESI_SY_SJ_SK_SL_EUlSY_E_NS1_11comp_targetILNS1_3genE9ELNS1_11target_archE1100ELNS1_3gpuE3ELNS1_3repE0EEENS1_48merge_mergepath_partition_config_static_selectorELNS0_4arch9wavefront6targetE1EEEvSK_
	.p2align	8
	.type	_ZN7rocprim17ROCPRIM_400000_NS6detail17trampoline_kernelINS0_14default_configENS1_38merge_sort_block_merge_config_selectorIdNS0_10empty_typeEEEZZNS1_27merge_sort_block_merge_implIS3_N6thrust23THRUST_200600_302600_NS6detail15normal_iteratorINS9_10device_ptrIdEEEEPS5_m14custom_greaterIdEEE10hipError_tT0_T1_T2_jT3_P12ihipStream_tbPNSt15iterator_traitsISJ_E10value_typeEPNSP_ISK_E10value_typeEPSL_NS1_7vsmem_tEENKUlT_SJ_SK_SL_E_clISE_PdSF_SF_EESI_SY_SJ_SK_SL_EUlSY_E_NS1_11comp_targetILNS1_3genE9ELNS1_11target_archE1100ELNS1_3gpuE3ELNS1_3repE0EEENS1_48merge_mergepath_partition_config_static_selectorELNS0_4arch9wavefront6targetE1EEEvSK_,@function
_ZN7rocprim17ROCPRIM_400000_NS6detail17trampoline_kernelINS0_14default_configENS1_38merge_sort_block_merge_config_selectorIdNS0_10empty_typeEEEZZNS1_27merge_sort_block_merge_implIS3_N6thrust23THRUST_200600_302600_NS6detail15normal_iteratorINS9_10device_ptrIdEEEEPS5_m14custom_greaterIdEEE10hipError_tT0_T1_T2_jT3_P12ihipStream_tbPNSt15iterator_traitsISJ_E10value_typeEPNSP_ISK_E10value_typeEPSL_NS1_7vsmem_tEENKUlT_SJ_SK_SL_E_clISE_PdSF_SF_EESI_SY_SJ_SK_SL_EUlSY_E_NS1_11comp_targetILNS1_3genE9ELNS1_11target_archE1100ELNS1_3gpuE3ELNS1_3repE0EEENS1_48merge_mergepath_partition_config_static_selectorELNS0_4arch9wavefront6targetE1EEEvSK_: ; @_ZN7rocprim17ROCPRIM_400000_NS6detail17trampoline_kernelINS0_14default_configENS1_38merge_sort_block_merge_config_selectorIdNS0_10empty_typeEEEZZNS1_27merge_sort_block_merge_implIS3_N6thrust23THRUST_200600_302600_NS6detail15normal_iteratorINS9_10device_ptrIdEEEEPS5_m14custom_greaterIdEEE10hipError_tT0_T1_T2_jT3_P12ihipStream_tbPNSt15iterator_traitsISJ_E10value_typeEPNSP_ISK_E10value_typeEPSL_NS1_7vsmem_tEENKUlT_SJ_SK_SL_E_clISE_PdSF_SF_EESI_SY_SJ_SK_SL_EUlSY_E_NS1_11comp_targetILNS1_3genE9ELNS1_11target_archE1100ELNS1_3gpuE3ELNS1_3repE0EEENS1_48merge_mergepath_partition_config_static_selectorELNS0_4arch9wavefront6targetE1EEEvSK_
; %bb.0:
	.section	.rodata,"a",@progbits
	.p2align	6, 0x0
	.amdhsa_kernel _ZN7rocprim17ROCPRIM_400000_NS6detail17trampoline_kernelINS0_14default_configENS1_38merge_sort_block_merge_config_selectorIdNS0_10empty_typeEEEZZNS1_27merge_sort_block_merge_implIS3_N6thrust23THRUST_200600_302600_NS6detail15normal_iteratorINS9_10device_ptrIdEEEEPS5_m14custom_greaterIdEEE10hipError_tT0_T1_T2_jT3_P12ihipStream_tbPNSt15iterator_traitsISJ_E10value_typeEPNSP_ISK_E10value_typeEPSL_NS1_7vsmem_tEENKUlT_SJ_SK_SL_E_clISE_PdSF_SF_EESI_SY_SJ_SK_SL_EUlSY_E_NS1_11comp_targetILNS1_3genE9ELNS1_11target_archE1100ELNS1_3gpuE3ELNS1_3repE0EEENS1_48merge_mergepath_partition_config_static_selectorELNS0_4arch9wavefront6targetE1EEEvSK_
		.amdhsa_group_segment_fixed_size 0
		.amdhsa_private_segment_fixed_size 0
		.amdhsa_kernarg_size 48
		.amdhsa_user_sgpr_count 6
		.amdhsa_user_sgpr_private_segment_buffer 1
		.amdhsa_user_sgpr_dispatch_ptr 0
		.amdhsa_user_sgpr_queue_ptr 0
		.amdhsa_user_sgpr_kernarg_segment_ptr 1
		.amdhsa_user_sgpr_dispatch_id 0
		.amdhsa_user_sgpr_flat_scratch_init 0
		.amdhsa_user_sgpr_kernarg_preload_length 0
		.amdhsa_user_sgpr_kernarg_preload_offset 0
		.amdhsa_user_sgpr_private_segment_size 0
		.amdhsa_uses_dynamic_stack 0
		.amdhsa_system_sgpr_private_segment_wavefront_offset 0
		.amdhsa_system_sgpr_workgroup_id_x 1
		.amdhsa_system_sgpr_workgroup_id_y 0
		.amdhsa_system_sgpr_workgroup_id_z 0
		.amdhsa_system_sgpr_workgroup_info 0
		.amdhsa_system_vgpr_workitem_id 0
		.amdhsa_next_free_vgpr 1
		.amdhsa_next_free_sgpr 0
		.amdhsa_accum_offset 4
		.amdhsa_reserve_vcc 0
		.amdhsa_reserve_flat_scratch 0
		.amdhsa_float_round_mode_32 0
		.amdhsa_float_round_mode_16_64 0
		.amdhsa_float_denorm_mode_32 3
		.amdhsa_float_denorm_mode_16_64 3
		.amdhsa_dx10_clamp 1
		.amdhsa_ieee_mode 1
		.amdhsa_fp16_overflow 0
		.amdhsa_tg_split 0
		.amdhsa_exception_fp_ieee_invalid_op 0
		.amdhsa_exception_fp_denorm_src 0
		.amdhsa_exception_fp_ieee_div_zero 0
		.amdhsa_exception_fp_ieee_overflow 0
		.amdhsa_exception_fp_ieee_underflow 0
		.amdhsa_exception_fp_ieee_inexact 0
		.amdhsa_exception_int_div_zero 0
	.end_amdhsa_kernel
	.section	.text._ZN7rocprim17ROCPRIM_400000_NS6detail17trampoline_kernelINS0_14default_configENS1_38merge_sort_block_merge_config_selectorIdNS0_10empty_typeEEEZZNS1_27merge_sort_block_merge_implIS3_N6thrust23THRUST_200600_302600_NS6detail15normal_iteratorINS9_10device_ptrIdEEEEPS5_m14custom_greaterIdEEE10hipError_tT0_T1_T2_jT3_P12ihipStream_tbPNSt15iterator_traitsISJ_E10value_typeEPNSP_ISK_E10value_typeEPSL_NS1_7vsmem_tEENKUlT_SJ_SK_SL_E_clISE_PdSF_SF_EESI_SY_SJ_SK_SL_EUlSY_E_NS1_11comp_targetILNS1_3genE9ELNS1_11target_archE1100ELNS1_3gpuE3ELNS1_3repE0EEENS1_48merge_mergepath_partition_config_static_selectorELNS0_4arch9wavefront6targetE1EEEvSK_,"axG",@progbits,_ZN7rocprim17ROCPRIM_400000_NS6detail17trampoline_kernelINS0_14default_configENS1_38merge_sort_block_merge_config_selectorIdNS0_10empty_typeEEEZZNS1_27merge_sort_block_merge_implIS3_N6thrust23THRUST_200600_302600_NS6detail15normal_iteratorINS9_10device_ptrIdEEEEPS5_m14custom_greaterIdEEE10hipError_tT0_T1_T2_jT3_P12ihipStream_tbPNSt15iterator_traitsISJ_E10value_typeEPNSP_ISK_E10value_typeEPSL_NS1_7vsmem_tEENKUlT_SJ_SK_SL_E_clISE_PdSF_SF_EESI_SY_SJ_SK_SL_EUlSY_E_NS1_11comp_targetILNS1_3genE9ELNS1_11target_archE1100ELNS1_3gpuE3ELNS1_3repE0EEENS1_48merge_mergepath_partition_config_static_selectorELNS0_4arch9wavefront6targetE1EEEvSK_,comdat
.Lfunc_end3643:
	.size	_ZN7rocprim17ROCPRIM_400000_NS6detail17trampoline_kernelINS0_14default_configENS1_38merge_sort_block_merge_config_selectorIdNS0_10empty_typeEEEZZNS1_27merge_sort_block_merge_implIS3_N6thrust23THRUST_200600_302600_NS6detail15normal_iteratorINS9_10device_ptrIdEEEEPS5_m14custom_greaterIdEEE10hipError_tT0_T1_T2_jT3_P12ihipStream_tbPNSt15iterator_traitsISJ_E10value_typeEPNSP_ISK_E10value_typeEPSL_NS1_7vsmem_tEENKUlT_SJ_SK_SL_E_clISE_PdSF_SF_EESI_SY_SJ_SK_SL_EUlSY_E_NS1_11comp_targetILNS1_3genE9ELNS1_11target_archE1100ELNS1_3gpuE3ELNS1_3repE0EEENS1_48merge_mergepath_partition_config_static_selectorELNS0_4arch9wavefront6targetE1EEEvSK_, .Lfunc_end3643-_ZN7rocprim17ROCPRIM_400000_NS6detail17trampoline_kernelINS0_14default_configENS1_38merge_sort_block_merge_config_selectorIdNS0_10empty_typeEEEZZNS1_27merge_sort_block_merge_implIS3_N6thrust23THRUST_200600_302600_NS6detail15normal_iteratorINS9_10device_ptrIdEEEEPS5_m14custom_greaterIdEEE10hipError_tT0_T1_T2_jT3_P12ihipStream_tbPNSt15iterator_traitsISJ_E10value_typeEPNSP_ISK_E10value_typeEPSL_NS1_7vsmem_tEENKUlT_SJ_SK_SL_E_clISE_PdSF_SF_EESI_SY_SJ_SK_SL_EUlSY_E_NS1_11comp_targetILNS1_3genE9ELNS1_11target_archE1100ELNS1_3gpuE3ELNS1_3repE0EEENS1_48merge_mergepath_partition_config_static_selectorELNS0_4arch9wavefront6targetE1EEEvSK_
                                        ; -- End function
	.section	.AMDGPU.csdata,"",@progbits
; Kernel info:
; codeLenInByte = 0
; NumSgprs: 4
; NumVgprs: 0
; NumAgprs: 0
; TotalNumVgprs: 0
; ScratchSize: 0
; MemoryBound: 0
; FloatMode: 240
; IeeeMode: 1
; LDSByteSize: 0 bytes/workgroup (compile time only)
; SGPRBlocks: 0
; VGPRBlocks: 0
; NumSGPRsForWavesPerEU: 4
; NumVGPRsForWavesPerEU: 1
; AccumOffset: 4
; Occupancy: 8
; WaveLimiterHint : 0
; COMPUTE_PGM_RSRC2:SCRATCH_EN: 0
; COMPUTE_PGM_RSRC2:USER_SGPR: 6
; COMPUTE_PGM_RSRC2:TRAP_HANDLER: 0
; COMPUTE_PGM_RSRC2:TGID_X_EN: 1
; COMPUTE_PGM_RSRC2:TGID_Y_EN: 0
; COMPUTE_PGM_RSRC2:TGID_Z_EN: 0
; COMPUTE_PGM_RSRC2:TIDIG_COMP_CNT: 0
; COMPUTE_PGM_RSRC3_GFX90A:ACCUM_OFFSET: 0
; COMPUTE_PGM_RSRC3_GFX90A:TG_SPLIT: 0
	.section	.text._ZN7rocprim17ROCPRIM_400000_NS6detail17trampoline_kernelINS0_14default_configENS1_38merge_sort_block_merge_config_selectorIdNS0_10empty_typeEEEZZNS1_27merge_sort_block_merge_implIS3_N6thrust23THRUST_200600_302600_NS6detail15normal_iteratorINS9_10device_ptrIdEEEEPS5_m14custom_greaterIdEEE10hipError_tT0_T1_T2_jT3_P12ihipStream_tbPNSt15iterator_traitsISJ_E10value_typeEPNSP_ISK_E10value_typeEPSL_NS1_7vsmem_tEENKUlT_SJ_SK_SL_E_clISE_PdSF_SF_EESI_SY_SJ_SK_SL_EUlSY_E_NS1_11comp_targetILNS1_3genE8ELNS1_11target_archE1030ELNS1_3gpuE2ELNS1_3repE0EEENS1_48merge_mergepath_partition_config_static_selectorELNS0_4arch9wavefront6targetE1EEEvSK_,"axG",@progbits,_ZN7rocprim17ROCPRIM_400000_NS6detail17trampoline_kernelINS0_14default_configENS1_38merge_sort_block_merge_config_selectorIdNS0_10empty_typeEEEZZNS1_27merge_sort_block_merge_implIS3_N6thrust23THRUST_200600_302600_NS6detail15normal_iteratorINS9_10device_ptrIdEEEEPS5_m14custom_greaterIdEEE10hipError_tT0_T1_T2_jT3_P12ihipStream_tbPNSt15iterator_traitsISJ_E10value_typeEPNSP_ISK_E10value_typeEPSL_NS1_7vsmem_tEENKUlT_SJ_SK_SL_E_clISE_PdSF_SF_EESI_SY_SJ_SK_SL_EUlSY_E_NS1_11comp_targetILNS1_3genE8ELNS1_11target_archE1030ELNS1_3gpuE2ELNS1_3repE0EEENS1_48merge_mergepath_partition_config_static_selectorELNS0_4arch9wavefront6targetE1EEEvSK_,comdat
	.protected	_ZN7rocprim17ROCPRIM_400000_NS6detail17trampoline_kernelINS0_14default_configENS1_38merge_sort_block_merge_config_selectorIdNS0_10empty_typeEEEZZNS1_27merge_sort_block_merge_implIS3_N6thrust23THRUST_200600_302600_NS6detail15normal_iteratorINS9_10device_ptrIdEEEEPS5_m14custom_greaterIdEEE10hipError_tT0_T1_T2_jT3_P12ihipStream_tbPNSt15iterator_traitsISJ_E10value_typeEPNSP_ISK_E10value_typeEPSL_NS1_7vsmem_tEENKUlT_SJ_SK_SL_E_clISE_PdSF_SF_EESI_SY_SJ_SK_SL_EUlSY_E_NS1_11comp_targetILNS1_3genE8ELNS1_11target_archE1030ELNS1_3gpuE2ELNS1_3repE0EEENS1_48merge_mergepath_partition_config_static_selectorELNS0_4arch9wavefront6targetE1EEEvSK_ ; -- Begin function _ZN7rocprim17ROCPRIM_400000_NS6detail17trampoline_kernelINS0_14default_configENS1_38merge_sort_block_merge_config_selectorIdNS0_10empty_typeEEEZZNS1_27merge_sort_block_merge_implIS3_N6thrust23THRUST_200600_302600_NS6detail15normal_iteratorINS9_10device_ptrIdEEEEPS5_m14custom_greaterIdEEE10hipError_tT0_T1_T2_jT3_P12ihipStream_tbPNSt15iterator_traitsISJ_E10value_typeEPNSP_ISK_E10value_typeEPSL_NS1_7vsmem_tEENKUlT_SJ_SK_SL_E_clISE_PdSF_SF_EESI_SY_SJ_SK_SL_EUlSY_E_NS1_11comp_targetILNS1_3genE8ELNS1_11target_archE1030ELNS1_3gpuE2ELNS1_3repE0EEENS1_48merge_mergepath_partition_config_static_selectorELNS0_4arch9wavefront6targetE1EEEvSK_
	.globl	_ZN7rocprim17ROCPRIM_400000_NS6detail17trampoline_kernelINS0_14default_configENS1_38merge_sort_block_merge_config_selectorIdNS0_10empty_typeEEEZZNS1_27merge_sort_block_merge_implIS3_N6thrust23THRUST_200600_302600_NS6detail15normal_iteratorINS9_10device_ptrIdEEEEPS5_m14custom_greaterIdEEE10hipError_tT0_T1_T2_jT3_P12ihipStream_tbPNSt15iterator_traitsISJ_E10value_typeEPNSP_ISK_E10value_typeEPSL_NS1_7vsmem_tEENKUlT_SJ_SK_SL_E_clISE_PdSF_SF_EESI_SY_SJ_SK_SL_EUlSY_E_NS1_11comp_targetILNS1_3genE8ELNS1_11target_archE1030ELNS1_3gpuE2ELNS1_3repE0EEENS1_48merge_mergepath_partition_config_static_selectorELNS0_4arch9wavefront6targetE1EEEvSK_
	.p2align	8
	.type	_ZN7rocprim17ROCPRIM_400000_NS6detail17trampoline_kernelINS0_14default_configENS1_38merge_sort_block_merge_config_selectorIdNS0_10empty_typeEEEZZNS1_27merge_sort_block_merge_implIS3_N6thrust23THRUST_200600_302600_NS6detail15normal_iteratorINS9_10device_ptrIdEEEEPS5_m14custom_greaterIdEEE10hipError_tT0_T1_T2_jT3_P12ihipStream_tbPNSt15iterator_traitsISJ_E10value_typeEPNSP_ISK_E10value_typeEPSL_NS1_7vsmem_tEENKUlT_SJ_SK_SL_E_clISE_PdSF_SF_EESI_SY_SJ_SK_SL_EUlSY_E_NS1_11comp_targetILNS1_3genE8ELNS1_11target_archE1030ELNS1_3gpuE2ELNS1_3repE0EEENS1_48merge_mergepath_partition_config_static_selectorELNS0_4arch9wavefront6targetE1EEEvSK_,@function
_ZN7rocprim17ROCPRIM_400000_NS6detail17trampoline_kernelINS0_14default_configENS1_38merge_sort_block_merge_config_selectorIdNS0_10empty_typeEEEZZNS1_27merge_sort_block_merge_implIS3_N6thrust23THRUST_200600_302600_NS6detail15normal_iteratorINS9_10device_ptrIdEEEEPS5_m14custom_greaterIdEEE10hipError_tT0_T1_T2_jT3_P12ihipStream_tbPNSt15iterator_traitsISJ_E10value_typeEPNSP_ISK_E10value_typeEPSL_NS1_7vsmem_tEENKUlT_SJ_SK_SL_E_clISE_PdSF_SF_EESI_SY_SJ_SK_SL_EUlSY_E_NS1_11comp_targetILNS1_3genE8ELNS1_11target_archE1030ELNS1_3gpuE2ELNS1_3repE0EEENS1_48merge_mergepath_partition_config_static_selectorELNS0_4arch9wavefront6targetE1EEEvSK_: ; @_ZN7rocprim17ROCPRIM_400000_NS6detail17trampoline_kernelINS0_14default_configENS1_38merge_sort_block_merge_config_selectorIdNS0_10empty_typeEEEZZNS1_27merge_sort_block_merge_implIS3_N6thrust23THRUST_200600_302600_NS6detail15normal_iteratorINS9_10device_ptrIdEEEEPS5_m14custom_greaterIdEEE10hipError_tT0_T1_T2_jT3_P12ihipStream_tbPNSt15iterator_traitsISJ_E10value_typeEPNSP_ISK_E10value_typeEPSL_NS1_7vsmem_tEENKUlT_SJ_SK_SL_E_clISE_PdSF_SF_EESI_SY_SJ_SK_SL_EUlSY_E_NS1_11comp_targetILNS1_3genE8ELNS1_11target_archE1030ELNS1_3gpuE2ELNS1_3repE0EEENS1_48merge_mergepath_partition_config_static_selectorELNS0_4arch9wavefront6targetE1EEEvSK_
; %bb.0:
	.section	.rodata,"a",@progbits
	.p2align	6, 0x0
	.amdhsa_kernel _ZN7rocprim17ROCPRIM_400000_NS6detail17trampoline_kernelINS0_14default_configENS1_38merge_sort_block_merge_config_selectorIdNS0_10empty_typeEEEZZNS1_27merge_sort_block_merge_implIS3_N6thrust23THRUST_200600_302600_NS6detail15normal_iteratorINS9_10device_ptrIdEEEEPS5_m14custom_greaterIdEEE10hipError_tT0_T1_T2_jT3_P12ihipStream_tbPNSt15iterator_traitsISJ_E10value_typeEPNSP_ISK_E10value_typeEPSL_NS1_7vsmem_tEENKUlT_SJ_SK_SL_E_clISE_PdSF_SF_EESI_SY_SJ_SK_SL_EUlSY_E_NS1_11comp_targetILNS1_3genE8ELNS1_11target_archE1030ELNS1_3gpuE2ELNS1_3repE0EEENS1_48merge_mergepath_partition_config_static_selectorELNS0_4arch9wavefront6targetE1EEEvSK_
		.amdhsa_group_segment_fixed_size 0
		.amdhsa_private_segment_fixed_size 0
		.amdhsa_kernarg_size 48
		.amdhsa_user_sgpr_count 6
		.amdhsa_user_sgpr_private_segment_buffer 1
		.amdhsa_user_sgpr_dispatch_ptr 0
		.amdhsa_user_sgpr_queue_ptr 0
		.amdhsa_user_sgpr_kernarg_segment_ptr 1
		.amdhsa_user_sgpr_dispatch_id 0
		.amdhsa_user_sgpr_flat_scratch_init 0
		.amdhsa_user_sgpr_kernarg_preload_length 0
		.amdhsa_user_sgpr_kernarg_preload_offset 0
		.amdhsa_user_sgpr_private_segment_size 0
		.amdhsa_uses_dynamic_stack 0
		.amdhsa_system_sgpr_private_segment_wavefront_offset 0
		.amdhsa_system_sgpr_workgroup_id_x 1
		.amdhsa_system_sgpr_workgroup_id_y 0
		.amdhsa_system_sgpr_workgroup_id_z 0
		.amdhsa_system_sgpr_workgroup_info 0
		.amdhsa_system_vgpr_workitem_id 0
		.amdhsa_next_free_vgpr 1
		.amdhsa_next_free_sgpr 0
		.amdhsa_accum_offset 4
		.amdhsa_reserve_vcc 0
		.amdhsa_reserve_flat_scratch 0
		.amdhsa_float_round_mode_32 0
		.amdhsa_float_round_mode_16_64 0
		.amdhsa_float_denorm_mode_32 3
		.amdhsa_float_denorm_mode_16_64 3
		.amdhsa_dx10_clamp 1
		.amdhsa_ieee_mode 1
		.amdhsa_fp16_overflow 0
		.amdhsa_tg_split 0
		.amdhsa_exception_fp_ieee_invalid_op 0
		.amdhsa_exception_fp_denorm_src 0
		.amdhsa_exception_fp_ieee_div_zero 0
		.amdhsa_exception_fp_ieee_overflow 0
		.amdhsa_exception_fp_ieee_underflow 0
		.amdhsa_exception_fp_ieee_inexact 0
		.amdhsa_exception_int_div_zero 0
	.end_amdhsa_kernel
	.section	.text._ZN7rocprim17ROCPRIM_400000_NS6detail17trampoline_kernelINS0_14default_configENS1_38merge_sort_block_merge_config_selectorIdNS0_10empty_typeEEEZZNS1_27merge_sort_block_merge_implIS3_N6thrust23THRUST_200600_302600_NS6detail15normal_iteratorINS9_10device_ptrIdEEEEPS5_m14custom_greaterIdEEE10hipError_tT0_T1_T2_jT3_P12ihipStream_tbPNSt15iterator_traitsISJ_E10value_typeEPNSP_ISK_E10value_typeEPSL_NS1_7vsmem_tEENKUlT_SJ_SK_SL_E_clISE_PdSF_SF_EESI_SY_SJ_SK_SL_EUlSY_E_NS1_11comp_targetILNS1_3genE8ELNS1_11target_archE1030ELNS1_3gpuE2ELNS1_3repE0EEENS1_48merge_mergepath_partition_config_static_selectorELNS0_4arch9wavefront6targetE1EEEvSK_,"axG",@progbits,_ZN7rocprim17ROCPRIM_400000_NS6detail17trampoline_kernelINS0_14default_configENS1_38merge_sort_block_merge_config_selectorIdNS0_10empty_typeEEEZZNS1_27merge_sort_block_merge_implIS3_N6thrust23THRUST_200600_302600_NS6detail15normal_iteratorINS9_10device_ptrIdEEEEPS5_m14custom_greaterIdEEE10hipError_tT0_T1_T2_jT3_P12ihipStream_tbPNSt15iterator_traitsISJ_E10value_typeEPNSP_ISK_E10value_typeEPSL_NS1_7vsmem_tEENKUlT_SJ_SK_SL_E_clISE_PdSF_SF_EESI_SY_SJ_SK_SL_EUlSY_E_NS1_11comp_targetILNS1_3genE8ELNS1_11target_archE1030ELNS1_3gpuE2ELNS1_3repE0EEENS1_48merge_mergepath_partition_config_static_selectorELNS0_4arch9wavefront6targetE1EEEvSK_,comdat
.Lfunc_end3644:
	.size	_ZN7rocprim17ROCPRIM_400000_NS6detail17trampoline_kernelINS0_14default_configENS1_38merge_sort_block_merge_config_selectorIdNS0_10empty_typeEEEZZNS1_27merge_sort_block_merge_implIS3_N6thrust23THRUST_200600_302600_NS6detail15normal_iteratorINS9_10device_ptrIdEEEEPS5_m14custom_greaterIdEEE10hipError_tT0_T1_T2_jT3_P12ihipStream_tbPNSt15iterator_traitsISJ_E10value_typeEPNSP_ISK_E10value_typeEPSL_NS1_7vsmem_tEENKUlT_SJ_SK_SL_E_clISE_PdSF_SF_EESI_SY_SJ_SK_SL_EUlSY_E_NS1_11comp_targetILNS1_3genE8ELNS1_11target_archE1030ELNS1_3gpuE2ELNS1_3repE0EEENS1_48merge_mergepath_partition_config_static_selectorELNS0_4arch9wavefront6targetE1EEEvSK_, .Lfunc_end3644-_ZN7rocprim17ROCPRIM_400000_NS6detail17trampoline_kernelINS0_14default_configENS1_38merge_sort_block_merge_config_selectorIdNS0_10empty_typeEEEZZNS1_27merge_sort_block_merge_implIS3_N6thrust23THRUST_200600_302600_NS6detail15normal_iteratorINS9_10device_ptrIdEEEEPS5_m14custom_greaterIdEEE10hipError_tT0_T1_T2_jT3_P12ihipStream_tbPNSt15iterator_traitsISJ_E10value_typeEPNSP_ISK_E10value_typeEPSL_NS1_7vsmem_tEENKUlT_SJ_SK_SL_E_clISE_PdSF_SF_EESI_SY_SJ_SK_SL_EUlSY_E_NS1_11comp_targetILNS1_3genE8ELNS1_11target_archE1030ELNS1_3gpuE2ELNS1_3repE0EEENS1_48merge_mergepath_partition_config_static_selectorELNS0_4arch9wavefront6targetE1EEEvSK_
                                        ; -- End function
	.section	.AMDGPU.csdata,"",@progbits
; Kernel info:
; codeLenInByte = 0
; NumSgprs: 4
; NumVgprs: 0
; NumAgprs: 0
; TotalNumVgprs: 0
; ScratchSize: 0
; MemoryBound: 0
; FloatMode: 240
; IeeeMode: 1
; LDSByteSize: 0 bytes/workgroup (compile time only)
; SGPRBlocks: 0
; VGPRBlocks: 0
; NumSGPRsForWavesPerEU: 4
; NumVGPRsForWavesPerEU: 1
; AccumOffset: 4
; Occupancy: 8
; WaveLimiterHint : 0
; COMPUTE_PGM_RSRC2:SCRATCH_EN: 0
; COMPUTE_PGM_RSRC2:USER_SGPR: 6
; COMPUTE_PGM_RSRC2:TRAP_HANDLER: 0
; COMPUTE_PGM_RSRC2:TGID_X_EN: 1
; COMPUTE_PGM_RSRC2:TGID_Y_EN: 0
; COMPUTE_PGM_RSRC2:TGID_Z_EN: 0
; COMPUTE_PGM_RSRC2:TIDIG_COMP_CNT: 0
; COMPUTE_PGM_RSRC3_GFX90A:ACCUM_OFFSET: 0
; COMPUTE_PGM_RSRC3_GFX90A:TG_SPLIT: 0
	.section	.text._ZN7rocprim17ROCPRIM_400000_NS6detail17trampoline_kernelINS0_14default_configENS1_38merge_sort_block_merge_config_selectorIdNS0_10empty_typeEEEZZNS1_27merge_sort_block_merge_implIS3_N6thrust23THRUST_200600_302600_NS6detail15normal_iteratorINS9_10device_ptrIdEEEEPS5_m14custom_greaterIdEEE10hipError_tT0_T1_T2_jT3_P12ihipStream_tbPNSt15iterator_traitsISJ_E10value_typeEPNSP_ISK_E10value_typeEPSL_NS1_7vsmem_tEENKUlT_SJ_SK_SL_E_clISE_PdSF_SF_EESI_SY_SJ_SK_SL_EUlSY_E0_NS1_11comp_targetILNS1_3genE0ELNS1_11target_archE4294967295ELNS1_3gpuE0ELNS1_3repE0EEENS1_38merge_mergepath_config_static_selectorELNS0_4arch9wavefront6targetE1EEEvSK_,"axG",@progbits,_ZN7rocprim17ROCPRIM_400000_NS6detail17trampoline_kernelINS0_14default_configENS1_38merge_sort_block_merge_config_selectorIdNS0_10empty_typeEEEZZNS1_27merge_sort_block_merge_implIS3_N6thrust23THRUST_200600_302600_NS6detail15normal_iteratorINS9_10device_ptrIdEEEEPS5_m14custom_greaterIdEEE10hipError_tT0_T1_T2_jT3_P12ihipStream_tbPNSt15iterator_traitsISJ_E10value_typeEPNSP_ISK_E10value_typeEPSL_NS1_7vsmem_tEENKUlT_SJ_SK_SL_E_clISE_PdSF_SF_EESI_SY_SJ_SK_SL_EUlSY_E0_NS1_11comp_targetILNS1_3genE0ELNS1_11target_archE4294967295ELNS1_3gpuE0ELNS1_3repE0EEENS1_38merge_mergepath_config_static_selectorELNS0_4arch9wavefront6targetE1EEEvSK_,comdat
	.protected	_ZN7rocprim17ROCPRIM_400000_NS6detail17trampoline_kernelINS0_14default_configENS1_38merge_sort_block_merge_config_selectorIdNS0_10empty_typeEEEZZNS1_27merge_sort_block_merge_implIS3_N6thrust23THRUST_200600_302600_NS6detail15normal_iteratorINS9_10device_ptrIdEEEEPS5_m14custom_greaterIdEEE10hipError_tT0_T1_T2_jT3_P12ihipStream_tbPNSt15iterator_traitsISJ_E10value_typeEPNSP_ISK_E10value_typeEPSL_NS1_7vsmem_tEENKUlT_SJ_SK_SL_E_clISE_PdSF_SF_EESI_SY_SJ_SK_SL_EUlSY_E0_NS1_11comp_targetILNS1_3genE0ELNS1_11target_archE4294967295ELNS1_3gpuE0ELNS1_3repE0EEENS1_38merge_mergepath_config_static_selectorELNS0_4arch9wavefront6targetE1EEEvSK_ ; -- Begin function _ZN7rocprim17ROCPRIM_400000_NS6detail17trampoline_kernelINS0_14default_configENS1_38merge_sort_block_merge_config_selectorIdNS0_10empty_typeEEEZZNS1_27merge_sort_block_merge_implIS3_N6thrust23THRUST_200600_302600_NS6detail15normal_iteratorINS9_10device_ptrIdEEEEPS5_m14custom_greaterIdEEE10hipError_tT0_T1_T2_jT3_P12ihipStream_tbPNSt15iterator_traitsISJ_E10value_typeEPNSP_ISK_E10value_typeEPSL_NS1_7vsmem_tEENKUlT_SJ_SK_SL_E_clISE_PdSF_SF_EESI_SY_SJ_SK_SL_EUlSY_E0_NS1_11comp_targetILNS1_3genE0ELNS1_11target_archE4294967295ELNS1_3gpuE0ELNS1_3repE0EEENS1_38merge_mergepath_config_static_selectorELNS0_4arch9wavefront6targetE1EEEvSK_
	.globl	_ZN7rocprim17ROCPRIM_400000_NS6detail17trampoline_kernelINS0_14default_configENS1_38merge_sort_block_merge_config_selectorIdNS0_10empty_typeEEEZZNS1_27merge_sort_block_merge_implIS3_N6thrust23THRUST_200600_302600_NS6detail15normal_iteratorINS9_10device_ptrIdEEEEPS5_m14custom_greaterIdEEE10hipError_tT0_T1_T2_jT3_P12ihipStream_tbPNSt15iterator_traitsISJ_E10value_typeEPNSP_ISK_E10value_typeEPSL_NS1_7vsmem_tEENKUlT_SJ_SK_SL_E_clISE_PdSF_SF_EESI_SY_SJ_SK_SL_EUlSY_E0_NS1_11comp_targetILNS1_3genE0ELNS1_11target_archE4294967295ELNS1_3gpuE0ELNS1_3repE0EEENS1_38merge_mergepath_config_static_selectorELNS0_4arch9wavefront6targetE1EEEvSK_
	.p2align	8
	.type	_ZN7rocprim17ROCPRIM_400000_NS6detail17trampoline_kernelINS0_14default_configENS1_38merge_sort_block_merge_config_selectorIdNS0_10empty_typeEEEZZNS1_27merge_sort_block_merge_implIS3_N6thrust23THRUST_200600_302600_NS6detail15normal_iteratorINS9_10device_ptrIdEEEEPS5_m14custom_greaterIdEEE10hipError_tT0_T1_T2_jT3_P12ihipStream_tbPNSt15iterator_traitsISJ_E10value_typeEPNSP_ISK_E10value_typeEPSL_NS1_7vsmem_tEENKUlT_SJ_SK_SL_E_clISE_PdSF_SF_EESI_SY_SJ_SK_SL_EUlSY_E0_NS1_11comp_targetILNS1_3genE0ELNS1_11target_archE4294967295ELNS1_3gpuE0ELNS1_3repE0EEENS1_38merge_mergepath_config_static_selectorELNS0_4arch9wavefront6targetE1EEEvSK_,@function
_ZN7rocprim17ROCPRIM_400000_NS6detail17trampoline_kernelINS0_14default_configENS1_38merge_sort_block_merge_config_selectorIdNS0_10empty_typeEEEZZNS1_27merge_sort_block_merge_implIS3_N6thrust23THRUST_200600_302600_NS6detail15normal_iteratorINS9_10device_ptrIdEEEEPS5_m14custom_greaterIdEEE10hipError_tT0_T1_T2_jT3_P12ihipStream_tbPNSt15iterator_traitsISJ_E10value_typeEPNSP_ISK_E10value_typeEPSL_NS1_7vsmem_tEENKUlT_SJ_SK_SL_E_clISE_PdSF_SF_EESI_SY_SJ_SK_SL_EUlSY_E0_NS1_11comp_targetILNS1_3genE0ELNS1_11target_archE4294967295ELNS1_3gpuE0ELNS1_3repE0EEENS1_38merge_mergepath_config_static_selectorELNS0_4arch9wavefront6targetE1EEEvSK_: ; @_ZN7rocprim17ROCPRIM_400000_NS6detail17trampoline_kernelINS0_14default_configENS1_38merge_sort_block_merge_config_selectorIdNS0_10empty_typeEEEZZNS1_27merge_sort_block_merge_implIS3_N6thrust23THRUST_200600_302600_NS6detail15normal_iteratorINS9_10device_ptrIdEEEEPS5_m14custom_greaterIdEEE10hipError_tT0_T1_T2_jT3_P12ihipStream_tbPNSt15iterator_traitsISJ_E10value_typeEPNSP_ISK_E10value_typeEPSL_NS1_7vsmem_tEENKUlT_SJ_SK_SL_E_clISE_PdSF_SF_EESI_SY_SJ_SK_SL_EUlSY_E0_NS1_11comp_targetILNS1_3genE0ELNS1_11target_archE4294967295ELNS1_3gpuE0ELNS1_3repE0EEENS1_38merge_mergepath_config_static_selectorELNS0_4arch9wavefront6targetE1EEEvSK_
; %bb.0:
	.section	.rodata,"a",@progbits
	.p2align	6, 0x0
	.amdhsa_kernel _ZN7rocprim17ROCPRIM_400000_NS6detail17trampoline_kernelINS0_14default_configENS1_38merge_sort_block_merge_config_selectorIdNS0_10empty_typeEEEZZNS1_27merge_sort_block_merge_implIS3_N6thrust23THRUST_200600_302600_NS6detail15normal_iteratorINS9_10device_ptrIdEEEEPS5_m14custom_greaterIdEEE10hipError_tT0_T1_T2_jT3_P12ihipStream_tbPNSt15iterator_traitsISJ_E10value_typeEPNSP_ISK_E10value_typeEPSL_NS1_7vsmem_tEENKUlT_SJ_SK_SL_E_clISE_PdSF_SF_EESI_SY_SJ_SK_SL_EUlSY_E0_NS1_11comp_targetILNS1_3genE0ELNS1_11target_archE4294967295ELNS1_3gpuE0ELNS1_3repE0EEENS1_38merge_mergepath_config_static_selectorELNS0_4arch9wavefront6targetE1EEEvSK_
		.amdhsa_group_segment_fixed_size 0
		.amdhsa_private_segment_fixed_size 0
		.amdhsa_kernarg_size 72
		.amdhsa_user_sgpr_count 6
		.amdhsa_user_sgpr_private_segment_buffer 1
		.amdhsa_user_sgpr_dispatch_ptr 0
		.amdhsa_user_sgpr_queue_ptr 0
		.amdhsa_user_sgpr_kernarg_segment_ptr 1
		.amdhsa_user_sgpr_dispatch_id 0
		.amdhsa_user_sgpr_flat_scratch_init 0
		.amdhsa_user_sgpr_kernarg_preload_length 0
		.amdhsa_user_sgpr_kernarg_preload_offset 0
		.amdhsa_user_sgpr_private_segment_size 0
		.amdhsa_uses_dynamic_stack 0
		.amdhsa_system_sgpr_private_segment_wavefront_offset 0
		.amdhsa_system_sgpr_workgroup_id_x 1
		.amdhsa_system_sgpr_workgroup_id_y 0
		.amdhsa_system_sgpr_workgroup_id_z 0
		.amdhsa_system_sgpr_workgroup_info 0
		.amdhsa_system_vgpr_workitem_id 0
		.amdhsa_next_free_vgpr 1
		.amdhsa_next_free_sgpr 0
		.amdhsa_accum_offset 4
		.amdhsa_reserve_vcc 0
		.amdhsa_reserve_flat_scratch 0
		.amdhsa_float_round_mode_32 0
		.amdhsa_float_round_mode_16_64 0
		.amdhsa_float_denorm_mode_32 3
		.amdhsa_float_denorm_mode_16_64 3
		.amdhsa_dx10_clamp 1
		.amdhsa_ieee_mode 1
		.amdhsa_fp16_overflow 0
		.amdhsa_tg_split 0
		.amdhsa_exception_fp_ieee_invalid_op 0
		.amdhsa_exception_fp_denorm_src 0
		.amdhsa_exception_fp_ieee_div_zero 0
		.amdhsa_exception_fp_ieee_overflow 0
		.amdhsa_exception_fp_ieee_underflow 0
		.amdhsa_exception_fp_ieee_inexact 0
		.amdhsa_exception_int_div_zero 0
	.end_amdhsa_kernel
	.section	.text._ZN7rocprim17ROCPRIM_400000_NS6detail17trampoline_kernelINS0_14default_configENS1_38merge_sort_block_merge_config_selectorIdNS0_10empty_typeEEEZZNS1_27merge_sort_block_merge_implIS3_N6thrust23THRUST_200600_302600_NS6detail15normal_iteratorINS9_10device_ptrIdEEEEPS5_m14custom_greaterIdEEE10hipError_tT0_T1_T2_jT3_P12ihipStream_tbPNSt15iterator_traitsISJ_E10value_typeEPNSP_ISK_E10value_typeEPSL_NS1_7vsmem_tEENKUlT_SJ_SK_SL_E_clISE_PdSF_SF_EESI_SY_SJ_SK_SL_EUlSY_E0_NS1_11comp_targetILNS1_3genE0ELNS1_11target_archE4294967295ELNS1_3gpuE0ELNS1_3repE0EEENS1_38merge_mergepath_config_static_selectorELNS0_4arch9wavefront6targetE1EEEvSK_,"axG",@progbits,_ZN7rocprim17ROCPRIM_400000_NS6detail17trampoline_kernelINS0_14default_configENS1_38merge_sort_block_merge_config_selectorIdNS0_10empty_typeEEEZZNS1_27merge_sort_block_merge_implIS3_N6thrust23THRUST_200600_302600_NS6detail15normal_iteratorINS9_10device_ptrIdEEEEPS5_m14custom_greaterIdEEE10hipError_tT0_T1_T2_jT3_P12ihipStream_tbPNSt15iterator_traitsISJ_E10value_typeEPNSP_ISK_E10value_typeEPSL_NS1_7vsmem_tEENKUlT_SJ_SK_SL_E_clISE_PdSF_SF_EESI_SY_SJ_SK_SL_EUlSY_E0_NS1_11comp_targetILNS1_3genE0ELNS1_11target_archE4294967295ELNS1_3gpuE0ELNS1_3repE0EEENS1_38merge_mergepath_config_static_selectorELNS0_4arch9wavefront6targetE1EEEvSK_,comdat
.Lfunc_end3645:
	.size	_ZN7rocprim17ROCPRIM_400000_NS6detail17trampoline_kernelINS0_14default_configENS1_38merge_sort_block_merge_config_selectorIdNS0_10empty_typeEEEZZNS1_27merge_sort_block_merge_implIS3_N6thrust23THRUST_200600_302600_NS6detail15normal_iteratorINS9_10device_ptrIdEEEEPS5_m14custom_greaterIdEEE10hipError_tT0_T1_T2_jT3_P12ihipStream_tbPNSt15iterator_traitsISJ_E10value_typeEPNSP_ISK_E10value_typeEPSL_NS1_7vsmem_tEENKUlT_SJ_SK_SL_E_clISE_PdSF_SF_EESI_SY_SJ_SK_SL_EUlSY_E0_NS1_11comp_targetILNS1_3genE0ELNS1_11target_archE4294967295ELNS1_3gpuE0ELNS1_3repE0EEENS1_38merge_mergepath_config_static_selectorELNS0_4arch9wavefront6targetE1EEEvSK_, .Lfunc_end3645-_ZN7rocprim17ROCPRIM_400000_NS6detail17trampoline_kernelINS0_14default_configENS1_38merge_sort_block_merge_config_selectorIdNS0_10empty_typeEEEZZNS1_27merge_sort_block_merge_implIS3_N6thrust23THRUST_200600_302600_NS6detail15normal_iteratorINS9_10device_ptrIdEEEEPS5_m14custom_greaterIdEEE10hipError_tT0_T1_T2_jT3_P12ihipStream_tbPNSt15iterator_traitsISJ_E10value_typeEPNSP_ISK_E10value_typeEPSL_NS1_7vsmem_tEENKUlT_SJ_SK_SL_E_clISE_PdSF_SF_EESI_SY_SJ_SK_SL_EUlSY_E0_NS1_11comp_targetILNS1_3genE0ELNS1_11target_archE4294967295ELNS1_3gpuE0ELNS1_3repE0EEENS1_38merge_mergepath_config_static_selectorELNS0_4arch9wavefront6targetE1EEEvSK_
                                        ; -- End function
	.section	.AMDGPU.csdata,"",@progbits
; Kernel info:
; codeLenInByte = 0
; NumSgprs: 4
; NumVgprs: 0
; NumAgprs: 0
; TotalNumVgprs: 0
; ScratchSize: 0
; MemoryBound: 0
; FloatMode: 240
; IeeeMode: 1
; LDSByteSize: 0 bytes/workgroup (compile time only)
; SGPRBlocks: 0
; VGPRBlocks: 0
; NumSGPRsForWavesPerEU: 4
; NumVGPRsForWavesPerEU: 1
; AccumOffset: 4
; Occupancy: 8
; WaveLimiterHint : 0
; COMPUTE_PGM_RSRC2:SCRATCH_EN: 0
; COMPUTE_PGM_RSRC2:USER_SGPR: 6
; COMPUTE_PGM_RSRC2:TRAP_HANDLER: 0
; COMPUTE_PGM_RSRC2:TGID_X_EN: 1
; COMPUTE_PGM_RSRC2:TGID_Y_EN: 0
; COMPUTE_PGM_RSRC2:TGID_Z_EN: 0
; COMPUTE_PGM_RSRC2:TIDIG_COMP_CNT: 0
; COMPUTE_PGM_RSRC3_GFX90A:ACCUM_OFFSET: 0
; COMPUTE_PGM_RSRC3_GFX90A:TG_SPLIT: 0
	.section	.text._ZN7rocprim17ROCPRIM_400000_NS6detail17trampoline_kernelINS0_14default_configENS1_38merge_sort_block_merge_config_selectorIdNS0_10empty_typeEEEZZNS1_27merge_sort_block_merge_implIS3_N6thrust23THRUST_200600_302600_NS6detail15normal_iteratorINS9_10device_ptrIdEEEEPS5_m14custom_greaterIdEEE10hipError_tT0_T1_T2_jT3_P12ihipStream_tbPNSt15iterator_traitsISJ_E10value_typeEPNSP_ISK_E10value_typeEPSL_NS1_7vsmem_tEENKUlT_SJ_SK_SL_E_clISE_PdSF_SF_EESI_SY_SJ_SK_SL_EUlSY_E0_NS1_11comp_targetILNS1_3genE10ELNS1_11target_archE1201ELNS1_3gpuE5ELNS1_3repE0EEENS1_38merge_mergepath_config_static_selectorELNS0_4arch9wavefront6targetE1EEEvSK_,"axG",@progbits,_ZN7rocprim17ROCPRIM_400000_NS6detail17trampoline_kernelINS0_14default_configENS1_38merge_sort_block_merge_config_selectorIdNS0_10empty_typeEEEZZNS1_27merge_sort_block_merge_implIS3_N6thrust23THRUST_200600_302600_NS6detail15normal_iteratorINS9_10device_ptrIdEEEEPS5_m14custom_greaterIdEEE10hipError_tT0_T1_T2_jT3_P12ihipStream_tbPNSt15iterator_traitsISJ_E10value_typeEPNSP_ISK_E10value_typeEPSL_NS1_7vsmem_tEENKUlT_SJ_SK_SL_E_clISE_PdSF_SF_EESI_SY_SJ_SK_SL_EUlSY_E0_NS1_11comp_targetILNS1_3genE10ELNS1_11target_archE1201ELNS1_3gpuE5ELNS1_3repE0EEENS1_38merge_mergepath_config_static_selectorELNS0_4arch9wavefront6targetE1EEEvSK_,comdat
	.protected	_ZN7rocprim17ROCPRIM_400000_NS6detail17trampoline_kernelINS0_14default_configENS1_38merge_sort_block_merge_config_selectorIdNS0_10empty_typeEEEZZNS1_27merge_sort_block_merge_implIS3_N6thrust23THRUST_200600_302600_NS6detail15normal_iteratorINS9_10device_ptrIdEEEEPS5_m14custom_greaterIdEEE10hipError_tT0_T1_T2_jT3_P12ihipStream_tbPNSt15iterator_traitsISJ_E10value_typeEPNSP_ISK_E10value_typeEPSL_NS1_7vsmem_tEENKUlT_SJ_SK_SL_E_clISE_PdSF_SF_EESI_SY_SJ_SK_SL_EUlSY_E0_NS1_11comp_targetILNS1_3genE10ELNS1_11target_archE1201ELNS1_3gpuE5ELNS1_3repE0EEENS1_38merge_mergepath_config_static_selectorELNS0_4arch9wavefront6targetE1EEEvSK_ ; -- Begin function _ZN7rocprim17ROCPRIM_400000_NS6detail17trampoline_kernelINS0_14default_configENS1_38merge_sort_block_merge_config_selectorIdNS0_10empty_typeEEEZZNS1_27merge_sort_block_merge_implIS3_N6thrust23THRUST_200600_302600_NS6detail15normal_iteratorINS9_10device_ptrIdEEEEPS5_m14custom_greaterIdEEE10hipError_tT0_T1_T2_jT3_P12ihipStream_tbPNSt15iterator_traitsISJ_E10value_typeEPNSP_ISK_E10value_typeEPSL_NS1_7vsmem_tEENKUlT_SJ_SK_SL_E_clISE_PdSF_SF_EESI_SY_SJ_SK_SL_EUlSY_E0_NS1_11comp_targetILNS1_3genE10ELNS1_11target_archE1201ELNS1_3gpuE5ELNS1_3repE0EEENS1_38merge_mergepath_config_static_selectorELNS0_4arch9wavefront6targetE1EEEvSK_
	.globl	_ZN7rocprim17ROCPRIM_400000_NS6detail17trampoline_kernelINS0_14default_configENS1_38merge_sort_block_merge_config_selectorIdNS0_10empty_typeEEEZZNS1_27merge_sort_block_merge_implIS3_N6thrust23THRUST_200600_302600_NS6detail15normal_iteratorINS9_10device_ptrIdEEEEPS5_m14custom_greaterIdEEE10hipError_tT0_T1_T2_jT3_P12ihipStream_tbPNSt15iterator_traitsISJ_E10value_typeEPNSP_ISK_E10value_typeEPSL_NS1_7vsmem_tEENKUlT_SJ_SK_SL_E_clISE_PdSF_SF_EESI_SY_SJ_SK_SL_EUlSY_E0_NS1_11comp_targetILNS1_3genE10ELNS1_11target_archE1201ELNS1_3gpuE5ELNS1_3repE0EEENS1_38merge_mergepath_config_static_selectorELNS0_4arch9wavefront6targetE1EEEvSK_
	.p2align	8
	.type	_ZN7rocprim17ROCPRIM_400000_NS6detail17trampoline_kernelINS0_14default_configENS1_38merge_sort_block_merge_config_selectorIdNS0_10empty_typeEEEZZNS1_27merge_sort_block_merge_implIS3_N6thrust23THRUST_200600_302600_NS6detail15normal_iteratorINS9_10device_ptrIdEEEEPS5_m14custom_greaterIdEEE10hipError_tT0_T1_T2_jT3_P12ihipStream_tbPNSt15iterator_traitsISJ_E10value_typeEPNSP_ISK_E10value_typeEPSL_NS1_7vsmem_tEENKUlT_SJ_SK_SL_E_clISE_PdSF_SF_EESI_SY_SJ_SK_SL_EUlSY_E0_NS1_11comp_targetILNS1_3genE10ELNS1_11target_archE1201ELNS1_3gpuE5ELNS1_3repE0EEENS1_38merge_mergepath_config_static_selectorELNS0_4arch9wavefront6targetE1EEEvSK_,@function
_ZN7rocprim17ROCPRIM_400000_NS6detail17trampoline_kernelINS0_14default_configENS1_38merge_sort_block_merge_config_selectorIdNS0_10empty_typeEEEZZNS1_27merge_sort_block_merge_implIS3_N6thrust23THRUST_200600_302600_NS6detail15normal_iteratorINS9_10device_ptrIdEEEEPS5_m14custom_greaterIdEEE10hipError_tT0_T1_T2_jT3_P12ihipStream_tbPNSt15iterator_traitsISJ_E10value_typeEPNSP_ISK_E10value_typeEPSL_NS1_7vsmem_tEENKUlT_SJ_SK_SL_E_clISE_PdSF_SF_EESI_SY_SJ_SK_SL_EUlSY_E0_NS1_11comp_targetILNS1_3genE10ELNS1_11target_archE1201ELNS1_3gpuE5ELNS1_3repE0EEENS1_38merge_mergepath_config_static_selectorELNS0_4arch9wavefront6targetE1EEEvSK_: ; @_ZN7rocprim17ROCPRIM_400000_NS6detail17trampoline_kernelINS0_14default_configENS1_38merge_sort_block_merge_config_selectorIdNS0_10empty_typeEEEZZNS1_27merge_sort_block_merge_implIS3_N6thrust23THRUST_200600_302600_NS6detail15normal_iteratorINS9_10device_ptrIdEEEEPS5_m14custom_greaterIdEEE10hipError_tT0_T1_T2_jT3_P12ihipStream_tbPNSt15iterator_traitsISJ_E10value_typeEPNSP_ISK_E10value_typeEPSL_NS1_7vsmem_tEENKUlT_SJ_SK_SL_E_clISE_PdSF_SF_EESI_SY_SJ_SK_SL_EUlSY_E0_NS1_11comp_targetILNS1_3genE10ELNS1_11target_archE1201ELNS1_3gpuE5ELNS1_3repE0EEENS1_38merge_mergepath_config_static_selectorELNS0_4arch9wavefront6targetE1EEEvSK_
; %bb.0:
	.section	.rodata,"a",@progbits
	.p2align	6, 0x0
	.amdhsa_kernel _ZN7rocprim17ROCPRIM_400000_NS6detail17trampoline_kernelINS0_14default_configENS1_38merge_sort_block_merge_config_selectorIdNS0_10empty_typeEEEZZNS1_27merge_sort_block_merge_implIS3_N6thrust23THRUST_200600_302600_NS6detail15normal_iteratorINS9_10device_ptrIdEEEEPS5_m14custom_greaterIdEEE10hipError_tT0_T1_T2_jT3_P12ihipStream_tbPNSt15iterator_traitsISJ_E10value_typeEPNSP_ISK_E10value_typeEPSL_NS1_7vsmem_tEENKUlT_SJ_SK_SL_E_clISE_PdSF_SF_EESI_SY_SJ_SK_SL_EUlSY_E0_NS1_11comp_targetILNS1_3genE10ELNS1_11target_archE1201ELNS1_3gpuE5ELNS1_3repE0EEENS1_38merge_mergepath_config_static_selectorELNS0_4arch9wavefront6targetE1EEEvSK_
		.amdhsa_group_segment_fixed_size 0
		.amdhsa_private_segment_fixed_size 0
		.amdhsa_kernarg_size 72
		.amdhsa_user_sgpr_count 6
		.amdhsa_user_sgpr_private_segment_buffer 1
		.amdhsa_user_sgpr_dispatch_ptr 0
		.amdhsa_user_sgpr_queue_ptr 0
		.amdhsa_user_sgpr_kernarg_segment_ptr 1
		.amdhsa_user_sgpr_dispatch_id 0
		.amdhsa_user_sgpr_flat_scratch_init 0
		.amdhsa_user_sgpr_kernarg_preload_length 0
		.amdhsa_user_sgpr_kernarg_preload_offset 0
		.amdhsa_user_sgpr_private_segment_size 0
		.amdhsa_uses_dynamic_stack 0
		.amdhsa_system_sgpr_private_segment_wavefront_offset 0
		.amdhsa_system_sgpr_workgroup_id_x 1
		.amdhsa_system_sgpr_workgroup_id_y 0
		.amdhsa_system_sgpr_workgroup_id_z 0
		.amdhsa_system_sgpr_workgroup_info 0
		.amdhsa_system_vgpr_workitem_id 0
		.amdhsa_next_free_vgpr 1
		.amdhsa_next_free_sgpr 0
		.amdhsa_accum_offset 4
		.amdhsa_reserve_vcc 0
		.amdhsa_reserve_flat_scratch 0
		.amdhsa_float_round_mode_32 0
		.amdhsa_float_round_mode_16_64 0
		.amdhsa_float_denorm_mode_32 3
		.amdhsa_float_denorm_mode_16_64 3
		.amdhsa_dx10_clamp 1
		.amdhsa_ieee_mode 1
		.amdhsa_fp16_overflow 0
		.amdhsa_tg_split 0
		.amdhsa_exception_fp_ieee_invalid_op 0
		.amdhsa_exception_fp_denorm_src 0
		.amdhsa_exception_fp_ieee_div_zero 0
		.amdhsa_exception_fp_ieee_overflow 0
		.amdhsa_exception_fp_ieee_underflow 0
		.amdhsa_exception_fp_ieee_inexact 0
		.amdhsa_exception_int_div_zero 0
	.end_amdhsa_kernel
	.section	.text._ZN7rocprim17ROCPRIM_400000_NS6detail17trampoline_kernelINS0_14default_configENS1_38merge_sort_block_merge_config_selectorIdNS0_10empty_typeEEEZZNS1_27merge_sort_block_merge_implIS3_N6thrust23THRUST_200600_302600_NS6detail15normal_iteratorINS9_10device_ptrIdEEEEPS5_m14custom_greaterIdEEE10hipError_tT0_T1_T2_jT3_P12ihipStream_tbPNSt15iterator_traitsISJ_E10value_typeEPNSP_ISK_E10value_typeEPSL_NS1_7vsmem_tEENKUlT_SJ_SK_SL_E_clISE_PdSF_SF_EESI_SY_SJ_SK_SL_EUlSY_E0_NS1_11comp_targetILNS1_3genE10ELNS1_11target_archE1201ELNS1_3gpuE5ELNS1_3repE0EEENS1_38merge_mergepath_config_static_selectorELNS0_4arch9wavefront6targetE1EEEvSK_,"axG",@progbits,_ZN7rocprim17ROCPRIM_400000_NS6detail17trampoline_kernelINS0_14default_configENS1_38merge_sort_block_merge_config_selectorIdNS0_10empty_typeEEEZZNS1_27merge_sort_block_merge_implIS3_N6thrust23THRUST_200600_302600_NS6detail15normal_iteratorINS9_10device_ptrIdEEEEPS5_m14custom_greaterIdEEE10hipError_tT0_T1_T2_jT3_P12ihipStream_tbPNSt15iterator_traitsISJ_E10value_typeEPNSP_ISK_E10value_typeEPSL_NS1_7vsmem_tEENKUlT_SJ_SK_SL_E_clISE_PdSF_SF_EESI_SY_SJ_SK_SL_EUlSY_E0_NS1_11comp_targetILNS1_3genE10ELNS1_11target_archE1201ELNS1_3gpuE5ELNS1_3repE0EEENS1_38merge_mergepath_config_static_selectorELNS0_4arch9wavefront6targetE1EEEvSK_,comdat
.Lfunc_end3646:
	.size	_ZN7rocprim17ROCPRIM_400000_NS6detail17trampoline_kernelINS0_14default_configENS1_38merge_sort_block_merge_config_selectorIdNS0_10empty_typeEEEZZNS1_27merge_sort_block_merge_implIS3_N6thrust23THRUST_200600_302600_NS6detail15normal_iteratorINS9_10device_ptrIdEEEEPS5_m14custom_greaterIdEEE10hipError_tT0_T1_T2_jT3_P12ihipStream_tbPNSt15iterator_traitsISJ_E10value_typeEPNSP_ISK_E10value_typeEPSL_NS1_7vsmem_tEENKUlT_SJ_SK_SL_E_clISE_PdSF_SF_EESI_SY_SJ_SK_SL_EUlSY_E0_NS1_11comp_targetILNS1_3genE10ELNS1_11target_archE1201ELNS1_3gpuE5ELNS1_3repE0EEENS1_38merge_mergepath_config_static_selectorELNS0_4arch9wavefront6targetE1EEEvSK_, .Lfunc_end3646-_ZN7rocprim17ROCPRIM_400000_NS6detail17trampoline_kernelINS0_14default_configENS1_38merge_sort_block_merge_config_selectorIdNS0_10empty_typeEEEZZNS1_27merge_sort_block_merge_implIS3_N6thrust23THRUST_200600_302600_NS6detail15normal_iteratorINS9_10device_ptrIdEEEEPS5_m14custom_greaterIdEEE10hipError_tT0_T1_T2_jT3_P12ihipStream_tbPNSt15iterator_traitsISJ_E10value_typeEPNSP_ISK_E10value_typeEPSL_NS1_7vsmem_tEENKUlT_SJ_SK_SL_E_clISE_PdSF_SF_EESI_SY_SJ_SK_SL_EUlSY_E0_NS1_11comp_targetILNS1_3genE10ELNS1_11target_archE1201ELNS1_3gpuE5ELNS1_3repE0EEENS1_38merge_mergepath_config_static_selectorELNS0_4arch9wavefront6targetE1EEEvSK_
                                        ; -- End function
	.section	.AMDGPU.csdata,"",@progbits
; Kernel info:
; codeLenInByte = 0
; NumSgprs: 4
; NumVgprs: 0
; NumAgprs: 0
; TotalNumVgprs: 0
; ScratchSize: 0
; MemoryBound: 0
; FloatMode: 240
; IeeeMode: 1
; LDSByteSize: 0 bytes/workgroup (compile time only)
; SGPRBlocks: 0
; VGPRBlocks: 0
; NumSGPRsForWavesPerEU: 4
; NumVGPRsForWavesPerEU: 1
; AccumOffset: 4
; Occupancy: 8
; WaveLimiterHint : 0
; COMPUTE_PGM_RSRC2:SCRATCH_EN: 0
; COMPUTE_PGM_RSRC2:USER_SGPR: 6
; COMPUTE_PGM_RSRC2:TRAP_HANDLER: 0
; COMPUTE_PGM_RSRC2:TGID_X_EN: 1
; COMPUTE_PGM_RSRC2:TGID_Y_EN: 0
; COMPUTE_PGM_RSRC2:TGID_Z_EN: 0
; COMPUTE_PGM_RSRC2:TIDIG_COMP_CNT: 0
; COMPUTE_PGM_RSRC3_GFX90A:ACCUM_OFFSET: 0
; COMPUTE_PGM_RSRC3_GFX90A:TG_SPLIT: 0
	.section	.text._ZN7rocprim17ROCPRIM_400000_NS6detail17trampoline_kernelINS0_14default_configENS1_38merge_sort_block_merge_config_selectorIdNS0_10empty_typeEEEZZNS1_27merge_sort_block_merge_implIS3_N6thrust23THRUST_200600_302600_NS6detail15normal_iteratorINS9_10device_ptrIdEEEEPS5_m14custom_greaterIdEEE10hipError_tT0_T1_T2_jT3_P12ihipStream_tbPNSt15iterator_traitsISJ_E10value_typeEPNSP_ISK_E10value_typeEPSL_NS1_7vsmem_tEENKUlT_SJ_SK_SL_E_clISE_PdSF_SF_EESI_SY_SJ_SK_SL_EUlSY_E0_NS1_11comp_targetILNS1_3genE5ELNS1_11target_archE942ELNS1_3gpuE9ELNS1_3repE0EEENS1_38merge_mergepath_config_static_selectorELNS0_4arch9wavefront6targetE1EEEvSK_,"axG",@progbits,_ZN7rocprim17ROCPRIM_400000_NS6detail17trampoline_kernelINS0_14default_configENS1_38merge_sort_block_merge_config_selectorIdNS0_10empty_typeEEEZZNS1_27merge_sort_block_merge_implIS3_N6thrust23THRUST_200600_302600_NS6detail15normal_iteratorINS9_10device_ptrIdEEEEPS5_m14custom_greaterIdEEE10hipError_tT0_T1_T2_jT3_P12ihipStream_tbPNSt15iterator_traitsISJ_E10value_typeEPNSP_ISK_E10value_typeEPSL_NS1_7vsmem_tEENKUlT_SJ_SK_SL_E_clISE_PdSF_SF_EESI_SY_SJ_SK_SL_EUlSY_E0_NS1_11comp_targetILNS1_3genE5ELNS1_11target_archE942ELNS1_3gpuE9ELNS1_3repE0EEENS1_38merge_mergepath_config_static_selectorELNS0_4arch9wavefront6targetE1EEEvSK_,comdat
	.protected	_ZN7rocprim17ROCPRIM_400000_NS6detail17trampoline_kernelINS0_14default_configENS1_38merge_sort_block_merge_config_selectorIdNS0_10empty_typeEEEZZNS1_27merge_sort_block_merge_implIS3_N6thrust23THRUST_200600_302600_NS6detail15normal_iteratorINS9_10device_ptrIdEEEEPS5_m14custom_greaterIdEEE10hipError_tT0_T1_T2_jT3_P12ihipStream_tbPNSt15iterator_traitsISJ_E10value_typeEPNSP_ISK_E10value_typeEPSL_NS1_7vsmem_tEENKUlT_SJ_SK_SL_E_clISE_PdSF_SF_EESI_SY_SJ_SK_SL_EUlSY_E0_NS1_11comp_targetILNS1_3genE5ELNS1_11target_archE942ELNS1_3gpuE9ELNS1_3repE0EEENS1_38merge_mergepath_config_static_selectorELNS0_4arch9wavefront6targetE1EEEvSK_ ; -- Begin function _ZN7rocprim17ROCPRIM_400000_NS6detail17trampoline_kernelINS0_14default_configENS1_38merge_sort_block_merge_config_selectorIdNS0_10empty_typeEEEZZNS1_27merge_sort_block_merge_implIS3_N6thrust23THRUST_200600_302600_NS6detail15normal_iteratorINS9_10device_ptrIdEEEEPS5_m14custom_greaterIdEEE10hipError_tT0_T1_T2_jT3_P12ihipStream_tbPNSt15iterator_traitsISJ_E10value_typeEPNSP_ISK_E10value_typeEPSL_NS1_7vsmem_tEENKUlT_SJ_SK_SL_E_clISE_PdSF_SF_EESI_SY_SJ_SK_SL_EUlSY_E0_NS1_11comp_targetILNS1_3genE5ELNS1_11target_archE942ELNS1_3gpuE9ELNS1_3repE0EEENS1_38merge_mergepath_config_static_selectorELNS0_4arch9wavefront6targetE1EEEvSK_
	.globl	_ZN7rocprim17ROCPRIM_400000_NS6detail17trampoline_kernelINS0_14default_configENS1_38merge_sort_block_merge_config_selectorIdNS0_10empty_typeEEEZZNS1_27merge_sort_block_merge_implIS3_N6thrust23THRUST_200600_302600_NS6detail15normal_iteratorINS9_10device_ptrIdEEEEPS5_m14custom_greaterIdEEE10hipError_tT0_T1_T2_jT3_P12ihipStream_tbPNSt15iterator_traitsISJ_E10value_typeEPNSP_ISK_E10value_typeEPSL_NS1_7vsmem_tEENKUlT_SJ_SK_SL_E_clISE_PdSF_SF_EESI_SY_SJ_SK_SL_EUlSY_E0_NS1_11comp_targetILNS1_3genE5ELNS1_11target_archE942ELNS1_3gpuE9ELNS1_3repE0EEENS1_38merge_mergepath_config_static_selectorELNS0_4arch9wavefront6targetE1EEEvSK_
	.p2align	8
	.type	_ZN7rocprim17ROCPRIM_400000_NS6detail17trampoline_kernelINS0_14default_configENS1_38merge_sort_block_merge_config_selectorIdNS0_10empty_typeEEEZZNS1_27merge_sort_block_merge_implIS3_N6thrust23THRUST_200600_302600_NS6detail15normal_iteratorINS9_10device_ptrIdEEEEPS5_m14custom_greaterIdEEE10hipError_tT0_T1_T2_jT3_P12ihipStream_tbPNSt15iterator_traitsISJ_E10value_typeEPNSP_ISK_E10value_typeEPSL_NS1_7vsmem_tEENKUlT_SJ_SK_SL_E_clISE_PdSF_SF_EESI_SY_SJ_SK_SL_EUlSY_E0_NS1_11comp_targetILNS1_3genE5ELNS1_11target_archE942ELNS1_3gpuE9ELNS1_3repE0EEENS1_38merge_mergepath_config_static_selectorELNS0_4arch9wavefront6targetE1EEEvSK_,@function
_ZN7rocprim17ROCPRIM_400000_NS6detail17trampoline_kernelINS0_14default_configENS1_38merge_sort_block_merge_config_selectorIdNS0_10empty_typeEEEZZNS1_27merge_sort_block_merge_implIS3_N6thrust23THRUST_200600_302600_NS6detail15normal_iteratorINS9_10device_ptrIdEEEEPS5_m14custom_greaterIdEEE10hipError_tT0_T1_T2_jT3_P12ihipStream_tbPNSt15iterator_traitsISJ_E10value_typeEPNSP_ISK_E10value_typeEPSL_NS1_7vsmem_tEENKUlT_SJ_SK_SL_E_clISE_PdSF_SF_EESI_SY_SJ_SK_SL_EUlSY_E0_NS1_11comp_targetILNS1_3genE5ELNS1_11target_archE942ELNS1_3gpuE9ELNS1_3repE0EEENS1_38merge_mergepath_config_static_selectorELNS0_4arch9wavefront6targetE1EEEvSK_: ; @_ZN7rocprim17ROCPRIM_400000_NS6detail17trampoline_kernelINS0_14default_configENS1_38merge_sort_block_merge_config_selectorIdNS0_10empty_typeEEEZZNS1_27merge_sort_block_merge_implIS3_N6thrust23THRUST_200600_302600_NS6detail15normal_iteratorINS9_10device_ptrIdEEEEPS5_m14custom_greaterIdEEE10hipError_tT0_T1_T2_jT3_P12ihipStream_tbPNSt15iterator_traitsISJ_E10value_typeEPNSP_ISK_E10value_typeEPSL_NS1_7vsmem_tEENKUlT_SJ_SK_SL_E_clISE_PdSF_SF_EESI_SY_SJ_SK_SL_EUlSY_E0_NS1_11comp_targetILNS1_3genE5ELNS1_11target_archE942ELNS1_3gpuE9ELNS1_3repE0EEENS1_38merge_mergepath_config_static_selectorELNS0_4arch9wavefront6targetE1EEEvSK_
; %bb.0:
	.section	.rodata,"a",@progbits
	.p2align	6, 0x0
	.amdhsa_kernel _ZN7rocprim17ROCPRIM_400000_NS6detail17trampoline_kernelINS0_14default_configENS1_38merge_sort_block_merge_config_selectorIdNS0_10empty_typeEEEZZNS1_27merge_sort_block_merge_implIS3_N6thrust23THRUST_200600_302600_NS6detail15normal_iteratorINS9_10device_ptrIdEEEEPS5_m14custom_greaterIdEEE10hipError_tT0_T1_T2_jT3_P12ihipStream_tbPNSt15iterator_traitsISJ_E10value_typeEPNSP_ISK_E10value_typeEPSL_NS1_7vsmem_tEENKUlT_SJ_SK_SL_E_clISE_PdSF_SF_EESI_SY_SJ_SK_SL_EUlSY_E0_NS1_11comp_targetILNS1_3genE5ELNS1_11target_archE942ELNS1_3gpuE9ELNS1_3repE0EEENS1_38merge_mergepath_config_static_selectorELNS0_4arch9wavefront6targetE1EEEvSK_
		.amdhsa_group_segment_fixed_size 0
		.amdhsa_private_segment_fixed_size 0
		.amdhsa_kernarg_size 72
		.amdhsa_user_sgpr_count 6
		.amdhsa_user_sgpr_private_segment_buffer 1
		.amdhsa_user_sgpr_dispatch_ptr 0
		.amdhsa_user_sgpr_queue_ptr 0
		.amdhsa_user_sgpr_kernarg_segment_ptr 1
		.amdhsa_user_sgpr_dispatch_id 0
		.amdhsa_user_sgpr_flat_scratch_init 0
		.amdhsa_user_sgpr_kernarg_preload_length 0
		.amdhsa_user_sgpr_kernarg_preload_offset 0
		.amdhsa_user_sgpr_private_segment_size 0
		.amdhsa_uses_dynamic_stack 0
		.amdhsa_system_sgpr_private_segment_wavefront_offset 0
		.amdhsa_system_sgpr_workgroup_id_x 1
		.amdhsa_system_sgpr_workgroup_id_y 0
		.amdhsa_system_sgpr_workgroup_id_z 0
		.amdhsa_system_sgpr_workgroup_info 0
		.amdhsa_system_vgpr_workitem_id 0
		.amdhsa_next_free_vgpr 1
		.amdhsa_next_free_sgpr 0
		.amdhsa_accum_offset 4
		.amdhsa_reserve_vcc 0
		.amdhsa_reserve_flat_scratch 0
		.amdhsa_float_round_mode_32 0
		.amdhsa_float_round_mode_16_64 0
		.amdhsa_float_denorm_mode_32 3
		.amdhsa_float_denorm_mode_16_64 3
		.amdhsa_dx10_clamp 1
		.amdhsa_ieee_mode 1
		.amdhsa_fp16_overflow 0
		.amdhsa_tg_split 0
		.amdhsa_exception_fp_ieee_invalid_op 0
		.amdhsa_exception_fp_denorm_src 0
		.amdhsa_exception_fp_ieee_div_zero 0
		.amdhsa_exception_fp_ieee_overflow 0
		.amdhsa_exception_fp_ieee_underflow 0
		.amdhsa_exception_fp_ieee_inexact 0
		.amdhsa_exception_int_div_zero 0
	.end_amdhsa_kernel
	.section	.text._ZN7rocprim17ROCPRIM_400000_NS6detail17trampoline_kernelINS0_14default_configENS1_38merge_sort_block_merge_config_selectorIdNS0_10empty_typeEEEZZNS1_27merge_sort_block_merge_implIS3_N6thrust23THRUST_200600_302600_NS6detail15normal_iteratorINS9_10device_ptrIdEEEEPS5_m14custom_greaterIdEEE10hipError_tT0_T1_T2_jT3_P12ihipStream_tbPNSt15iterator_traitsISJ_E10value_typeEPNSP_ISK_E10value_typeEPSL_NS1_7vsmem_tEENKUlT_SJ_SK_SL_E_clISE_PdSF_SF_EESI_SY_SJ_SK_SL_EUlSY_E0_NS1_11comp_targetILNS1_3genE5ELNS1_11target_archE942ELNS1_3gpuE9ELNS1_3repE0EEENS1_38merge_mergepath_config_static_selectorELNS0_4arch9wavefront6targetE1EEEvSK_,"axG",@progbits,_ZN7rocprim17ROCPRIM_400000_NS6detail17trampoline_kernelINS0_14default_configENS1_38merge_sort_block_merge_config_selectorIdNS0_10empty_typeEEEZZNS1_27merge_sort_block_merge_implIS3_N6thrust23THRUST_200600_302600_NS6detail15normal_iteratorINS9_10device_ptrIdEEEEPS5_m14custom_greaterIdEEE10hipError_tT0_T1_T2_jT3_P12ihipStream_tbPNSt15iterator_traitsISJ_E10value_typeEPNSP_ISK_E10value_typeEPSL_NS1_7vsmem_tEENKUlT_SJ_SK_SL_E_clISE_PdSF_SF_EESI_SY_SJ_SK_SL_EUlSY_E0_NS1_11comp_targetILNS1_3genE5ELNS1_11target_archE942ELNS1_3gpuE9ELNS1_3repE0EEENS1_38merge_mergepath_config_static_selectorELNS0_4arch9wavefront6targetE1EEEvSK_,comdat
.Lfunc_end3647:
	.size	_ZN7rocprim17ROCPRIM_400000_NS6detail17trampoline_kernelINS0_14default_configENS1_38merge_sort_block_merge_config_selectorIdNS0_10empty_typeEEEZZNS1_27merge_sort_block_merge_implIS3_N6thrust23THRUST_200600_302600_NS6detail15normal_iteratorINS9_10device_ptrIdEEEEPS5_m14custom_greaterIdEEE10hipError_tT0_T1_T2_jT3_P12ihipStream_tbPNSt15iterator_traitsISJ_E10value_typeEPNSP_ISK_E10value_typeEPSL_NS1_7vsmem_tEENKUlT_SJ_SK_SL_E_clISE_PdSF_SF_EESI_SY_SJ_SK_SL_EUlSY_E0_NS1_11comp_targetILNS1_3genE5ELNS1_11target_archE942ELNS1_3gpuE9ELNS1_3repE0EEENS1_38merge_mergepath_config_static_selectorELNS0_4arch9wavefront6targetE1EEEvSK_, .Lfunc_end3647-_ZN7rocprim17ROCPRIM_400000_NS6detail17trampoline_kernelINS0_14default_configENS1_38merge_sort_block_merge_config_selectorIdNS0_10empty_typeEEEZZNS1_27merge_sort_block_merge_implIS3_N6thrust23THRUST_200600_302600_NS6detail15normal_iteratorINS9_10device_ptrIdEEEEPS5_m14custom_greaterIdEEE10hipError_tT0_T1_T2_jT3_P12ihipStream_tbPNSt15iterator_traitsISJ_E10value_typeEPNSP_ISK_E10value_typeEPSL_NS1_7vsmem_tEENKUlT_SJ_SK_SL_E_clISE_PdSF_SF_EESI_SY_SJ_SK_SL_EUlSY_E0_NS1_11comp_targetILNS1_3genE5ELNS1_11target_archE942ELNS1_3gpuE9ELNS1_3repE0EEENS1_38merge_mergepath_config_static_selectorELNS0_4arch9wavefront6targetE1EEEvSK_
                                        ; -- End function
	.section	.AMDGPU.csdata,"",@progbits
; Kernel info:
; codeLenInByte = 0
; NumSgprs: 4
; NumVgprs: 0
; NumAgprs: 0
; TotalNumVgprs: 0
; ScratchSize: 0
; MemoryBound: 0
; FloatMode: 240
; IeeeMode: 1
; LDSByteSize: 0 bytes/workgroup (compile time only)
; SGPRBlocks: 0
; VGPRBlocks: 0
; NumSGPRsForWavesPerEU: 4
; NumVGPRsForWavesPerEU: 1
; AccumOffset: 4
; Occupancy: 8
; WaveLimiterHint : 0
; COMPUTE_PGM_RSRC2:SCRATCH_EN: 0
; COMPUTE_PGM_RSRC2:USER_SGPR: 6
; COMPUTE_PGM_RSRC2:TRAP_HANDLER: 0
; COMPUTE_PGM_RSRC2:TGID_X_EN: 1
; COMPUTE_PGM_RSRC2:TGID_Y_EN: 0
; COMPUTE_PGM_RSRC2:TGID_Z_EN: 0
; COMPUTE_PGM_RSRC2:TIDIG_COMP_CNT: 0
; COMPUTE_PGM_RSRC3_GFX90A:ACCUM_OFFSET: 0
; COMPUTE_PGM_RSRC3_GFX90A:TG_SPLIT: 0
	.section	.text._ZN7rocprim17ROCPRIM_400000_NS6detail17trampoline_kernelINS0_14default_configENS1_38merge_sort_block_merge_config_selectorIdNS0_10empty_typeEEEZZNS1_27merge_sort_block_merge_implIS3_N6thrust23THRUST_200600_302600_NS6detail15normal_iteratorINS9_10device_ptrIdEEEEPS5_m14custom_greaterIdEEE10hipError_tT0_T1_T2_jT3_P12ihipStream_tbPNSt15iterator_traitsISJ_E10value_typeEPNSP_ISK_E10value_typeEPSL_NS1_7vsmem_tEENKUlT_SJ_SK_SL_E_clISE_PdSF_SF_EESI_SY_SJ_SK_SL_EUlSY_E0_NS1_11comp_targetILNS1_3genE4ELNS1_11target_archE910ELNS1_3gpuE8ELNS1_3repE0EEENS1_38merge_mergepath_config_static_selectorELNS0_4arch9wavefront6targetE1EEEvSK_,"axG",@progbits,_ZN7rocprim17ROCPRIM_400000_NS6detail17trampoline_kernelINS0_14default_configENS1_38merge_sort_block_merge_config_selectorIdNS0_10empty_typeEEEZZNS1_27merge_sort_block_merge_implIS3_N6thrust23THRUST_200600_302600_NS6detail15normal_iteratorINS9_10device_ptrIdEEEEPS5_m14custom_greaterIdEEE10hipError_tT0_T1_T2_jT3_P12ihipStream_tbPNSt15iterator_traitsISJ_E10value_typeEPNSP_ISK_E10value_typeEPSL_NS1_7vsmem_tEENKUlT_SJ_SK_SL_E_clISE_PdSF_SF_EESI_SY_SJ_SK_SL_EUlSY_E0_NS1_11comp_targetILNS1_3genE4ELNS1_11target_archE910ELNS1_3gpuE8ELNS1_3repE0EEENS1_38merge_mergepath_config_static_selectorELNS0_4arch9wavefront6targetE1EEEvSK_,comdat
	.protected	_ZN7rocprim17ROCPRIM_400000_NS6detail17trampoline_kernelINS0_14default_configENS1_38merge_sort_block_merge_config_selectorIdNS0_10empty_typeEEEZZNS1_27merge_sort_block_merge_implIS3_N6thrust23THRUST_200600_302600_NS6detail15normal_iteratorINS9_10device_ptrIdEEEEPS5_m14custom_greaterIdEEE10hipError_tT0_T1_T2_jT3_P12ihipStream_tbPNSt15iterator_traitsISJ_E10value_typeEPNSP_ISK_E10value_typeEPSL_NS1_7vsmem_tEENKUlT_SJ_SK_SL_E_clISE_PdSF_SF_EESI_SY_SJ_SK_SL_EUlSY_E0_NS1_11comp_targetILNS1_3genE4ELNS1_11target_archE910ELNS1_3gpuE8ELNS1_3repE0EEENS1_38merge_mergepath_config_static_selectorELNS0_4arch9wavefront6targetE1EEEvSK_ ; -- Begin function _ZN7rocprim17ROCPRIM_400000_NS6detail17trampoline_kernelINS0_14default_configENS1_38merge_sort_block_merge_config_selectorIdNS0_10empty_typeEEEZZNS1_27merge_sort_block_merge_implIS3_N6thrust23THRUST_200600_302600_NS6detail15normal_iteratorINS9_10device_ptrIdEEEEPS5_m14custom_greaterIdEEE10hipError_tT0_T1_T2_jT3_P12ihipStream_tbPNSt15iterator_traitsISJ_E10value_typeEPNSP_ISK_E10value_typeEPSL_NS1_7vsmem_tEENKUlT_SJ_SK_SL_E_clISE_PdSF_SF_EESI_SY_SJ_SK_SL_EUlSY_E0_NS1_11comp_targetILNS1_3genE4ELNS1_11target_archE910ELNS1_3gpuE8ELNS1_3repE0EEENS1_38merge_mergepath_config_static_selectorELNS0_4arch9wavefront6targetE1EEEvSK_
	.globl	_ZN7rocprim17ROCPRIM_400000_NS6detail17trampoline_kernelINS0_14default_configENS1_38merge_sort_block_merge_config_selectorIdNS0_10empty_typeEEEZZNS1_27merge_sort_block_merge_implIS3_N6thrust23THRUST_200600_302600_NS6detail15normal_iteratorINS9_10device_ptrIdEEEEPS5_m14custom_greaterIdEEE10hipError_tT0_T1_T2_jT3_P12ihipStream_tbPNSt15iterator_traitsISJ_E10value_typeEPNSP_ISK_E10value_typeEPSL_NS1_7vsmem_tEENKUlT_SJ_SK_SL_E_clISE_PdSF_SF_EESI_SY_SJ_SK_SL_EUlSY_E0_NS1_11comp_targetILNS1_3genE4ELNS1_11target_archE910ELNS1_3gpuE8ELNS1_3repE0EEENS1_38merge_mergepath_config_static_selectorELNS0_4arch9wavefront6targetE1EEEvSK_
	.p2align	8
	.type	_ZN7rocprim17ROCPRIM_400000_NS6detail17trampoline_kernelINS0_14default_configENS1_38merge_sort_block_merge_config_selectorIdNS0_10empty_typeEEEZZNS1_27merge_sort_block_merge_implIS3_N6thrust23THRUST_200600_302600_NS6detail15normal_iteratorINS9_10device_ptrIdEEEEPS5_m14custom_greaterIdEEE10hipError_tT0_T1_T2_jT3_P12ihipStream_tbPNSt15iterator_traitsISJ_E10value_typeEPNSP_ISK_E10value_typeEPSL_NS1_7vsmem_tEENKUlT_SJ_SK_SL_E_clISE_PdSF_SF_EESI_SY_SJ_SK_SL_EUlSY_E0_NS1_11comp_targetILNS1_3genE4ELNS1_11target_archE910ELNS1_3gpuE8ELNS1_3repE0EEENS1_38merge_mergepath_config_static_selectorELNS0_4arch9wavefront6targetE1EEEvSK_,@function
_ZN7rocprim17ROCPRIM_400000_NS6detail17trampoline_kernelINS0_14default_configENS1_38merge_sort_block_merge_config_selectorIdNS0_10empty_typeEEEZZNS1_27merge_sort_block_merge_implIS3_N6thrust23THRUST_200600_302600_NS6detail15normal_iteratorINS9_10device_ptrIdEEEEPS5_m14custom_greaterIdEEE10hipError_tT0_T1_T2_jT3_P12ihipStream_tbPNSt15iterator_traitsISJ_E10value_typeEPNSP_ISK_E10value_typeEPSL_NS1_7vsmem_tEENKUlT_SJ_SK_SL_E_clISE_PdSF_SF_EESI_SY_SJ_SK_SL_EUlSY_E0_NS1_11comp_targetILNS1_3genE4ELNS1_11target_archE910ELNS1_3gpuE8ELNS1_3repE0EEENS1_38merge_mergepath_config_static_selectorELNS0_4arch9wavefront6targetE1EEEvSK_: ; @_ZN7rocprim17ROCPRIM_400000_NS6detail17trampoline_kernelINS0_14default_configENS1_38merge_sort_block_merge_config_selectorIdNS0_10empty_typeEEEZZNS1_27merge_sort_block_merge_implIS3_N6thrust23THRUST_200600_302600_NS6detail15normal_iteratorINS9_10device_ptrIdEEEEPS5_m14custom_greaterIdEEE10hipError_tT0_T1_T2_jT3_P12ihipStream_tbPNSt15iterator_traitsISJ_E10value_typeEPNSP_ISK_E10value_typeEPSL_NS1_7vsmem_tEENKUlT_SJ_SK_SL_E_clISE_PdSF_SF_EESI_SY_SJ_SK_SL_EUlSY_E0_NS1_11comp_targetILNS1_3genE4ELNS1_11target_archE910ELNS1_3gpuE8ELNS1_3repE0EEENS1_38merge_mergepath_config_static_selectorELNS0_4arch9wavefront6targetE1EEEvSK_
; %bb.0:
	s_load_dwordx2 s[22:23], s[4:5], 0x48
	s_load_dword s0, s[4:5], 0x38
	s_add_u32 s18, s4, 0x48
	s_addc_u32 s19, s5, 0
	s_waitcnt lgkmcnt(0)
	s_mul_i32 s1, s23, s8
	s_add_i32 s1, s1, s7
	s_mul_i32 s1, s1, s22
	s_add_i32 s20, s1, s6
	s_cmp_ge_u32 s20, s0
	s_cbranch_scc1 .LBB3648_33
; %bb.1:
	s_load_dwordx2 s[0:1], s[4:5], 0x40
	s_load_dwordx4 s[12:15], s[4:5], 0x8
	s_load_dwordx4 s[8:11], s[4:5], 0x28
	s_mov_b32 s21, 0
	s_lshl_b64 s[2:3], s[20:21], 3
	s_waitcnt lgkmcnt(0)
	s_add_u32 s0, s0, s2
	s_addc_u32 s1, s1, s3
	v_mov_b32_e32 v1, s10
	v_alignbit_b32 v1, s11, v1, 9
	v_readfirstlane_b32 s4, v1
	s_and_b32 s4, s4, -2
	s_sub_i32 s30, 0, s4
	s_and_b32 s24, s20, s30
	s_mov_b32 s25, s21
	s_lshl_b64 s[4:5], s[24:25], 10
	s_lshl_b64 s[16:17], s[20:21], 10
	s_sub_u32 s7, s16, s4
	s_load_dwordx4 s[0:3], s[0:1], 0x0
	s_subb_u32 s23, s17, s5
	s_lshl_b64 s[24:25], s[24:25], 11
	s_add_u32 s24, s24, s10
	s_addc_u32 s25, s25, s11
	s_add_u32 s7, s24, s7
	s_addc_u32 s23, s25, s23
	s_waitcnt lgkmcnt(0)
	s_sub_u32 s26, s7, s2
	s_subb_u32 s3, s23, s3
	s_add_u32 s26, s26, 0x400
	s_addc_u32 s27, s3, 0
	v_pk_mov_b32 v[2:3], s[26:27], s[26:27] op_sel:[0,1]
	v_cmp_lt_u64_e32 vcc, s[8:9], v[2:3]
	s_and_b64 s[28:29], vcc, exec
	s_cselect_b32 s3, s8, s26
	s_or_b32 s26, s20, s30
	s_cmp_lg_u32 s26, -1
	s_cbranch_scc1 .LBB3648_3
; %bb.2:
	s_sub_u32 s4, s24, s4
	s_subb_u32 s5, s25, s5
	v_pk_mov_b32 v[2:3], s[4:5], s[4:5] op_sel:[0,1]
	v_cmp_lt_u64_e32 vcc, s[8:9], v[2:3]
	s_and_b64 s[2:3], vcc, exec
	s_cselect_b32 s2, s8, s4
	s_add_u32 s4, s4, s10
	s_addc_u32 s5, s5, s11
	v_pk_mov_b32 v[2:3], s[4:5], s[4:5] op_sel:[0,1]
	v_cmp_lt_u64_e32 vcc, s[8:9], v[2:3]
	s_and_b64 s[10:11], vcc, exec
	s_cselect_b32 s3, s8, s4
.LBB3648_3:
	s_lshr_b64 s[24:25], s[8:9], 10
	s_cmp_lg_u64 s[24:25], s[20:21]
	s_cselect_b64 s[10:11], -1, 0
	s_sub_u32 s4, s7, s0
	s_subb_u32 s5, s23, s1
	v_pk_mov_b32 v[2:3], s[4:5], s[4:5] op_sel:[0,1]
	v_cmp_lt_u64_e32 vcc, s[8:9], v[2:3]
	s_and_b64 s[26:27], vcc, exec
	s_cselect_b32 s26, s8, s4
	s_cselect_b32 s27, s9, s5
	s_sub_i32 s9, s2, s0
	s_sub_i32 s4, s3, s26
	s_lshl_b64 s[0:1], s[0:1], 3
	s_add_u32 s5, s12, s0
	s_addc_u32 s7, s13, s1
	s_lshl_b64 s[0:1], s[26:27], 3
	s_add_u32 s12, s12, s0
	s_addc_u32 s13, s13, s1
	s_cmp_lt_u32 s6, s22
	v_mov_b32_e32 v7, 0
	s_cselect_b32 s0, 12, 18
	global_load_dword v1, v7, s[18:19] offset:14
	s_add_u32 s0, s18, s0
	s_addc_u32 s1, s19, 0
	global_load_ushort v2, v7, s[0:1]
	s_cmp_eq_u64 s[24:25], s[20:21]
	s_waitcnt vmcnt(1)
	v_lshrrev_b32_e32 v3, 16, v1
	v_and_b32_e32 v1, 0xffff, v1
	v_mul_lo_u32 v1, v1, v3
	s_waitcnt vmcnt(0)
	v_mul_lo_u32 v15, v1, v2
	v_add_u32_e32 v12, v15, v0
	v_lshlrev_b32_e32 v1, 3, v0
	v_add_u32_e32 v10, v12, v15
	s_cbranch_scc1 .LBB3648_5
; %bb.4:
	v_subrev_u32_e32 v6, s9, v0
	v_lshlrev_b64 v[2:3], 3, v[6:7]
	v_mov_b32_e32 v4, s13
	v_add_co_u32_e32 v2, vcc, s12, v2
	v_addc_co_u32_e32 v3, vcc, v4, v3, vcc
	v_mov_b32_e32 v4, s7
	v_add_co_u32_e32 v5, vcc, s5, v1
	v_addc_co_u32_e32 v4, vcc, 0, v4, vcc
	v_cmp_gt_u32_e32 vcc, s9, v0
	v_subrev_u32_e32 v6, s9, v12
	v_cndmask_b32_e32 v3, v3, v4, vcc
	v_cndmask_b32_e32 v2, v2, v5, vcc
	v_lshlrev_b64 v[4:5], 3, v[6:7]
	v_mov_b32_e32 v6, s13
	v_add_co_u32_e32 v8, vcc, s12, v4
	v_mov_b32_e32 v13, v7
	v_addc_co_u32_e32 v6, vcc, v6, v5, vcc
	v_lshlrev_b64 v[4:5], 3, v[12:13]
	v_mov_b32_e32 v9, s7
	v_add_co_u32_e32 v4, vcc, s5, v4
	v_addc_co_u32_e32 v5, vcc, v9, v5, vcc
	v_cmp_gt_u32_e32 vcc, s9, v12
	v_cndmask_b32_e32 v5, v6, v5, vcc
	v_subrev_u32_e32 v6, s9, v10
	v_cndmask_b32_e32 v4, v8, v4, vcc
	v_lshlrev_b64 v[8:9], 3, v[6:7]
	v_mov_b32_e32 v6, s13
	v_add_co_u32_e32 v8, vcc, s12, v8
	v_mov_b32_e32 v11, v7
	v_addc_co_u32_e32 v9, vcc, v6, v9, vcc
	v_lshlrev_b64 v[6:7], 3, v[10:11]
	v_mov_b32_e32 v11, s7
	v_add_co_u32_e32 v6, vcc, s5, v6
	v_addc_co_u32_e32 v7, vcc, v11, v7, vcc
	v_cmp_gt_u32_e32 vcc, s9, v10
	v_cndmask_b32_e32 v7, v9, v7, vcc
	v_cndmask_b32_e32 v6, v8, v6, vcc
	global_load_dwordx2 v[2:3], v[2:3], off
	v_add_u32_e32 v14, v10, v15
	global_load_dwordx2 v[4:5], v[4:5], off
	s_add_i32 s6, s9, s4
	global_load_dwordx2 v[6:7], v[6:7], off
	s_mov_b64 s[0:1], -1
	s_cbranch_execz .LBB3648_6
	s_branch .LBB3648_11
.LBB3648_5:
	s_mov_b64 s[0:1], 0
                                        ; implicit-def: $vgpr14
                                        ; implicit-def: $vgpr2_vgpr3_vgpr4_vgpr5_vgpr6_vgpr7_vgpr8_vgpr9
                                        ; implicit-def: $sgpr6
.LBB3648_6:
	s_add_i32 s6, s9, s4
	v_cmp_gt_u32_e32 vcc, s6, v0
                                        ; implicit-def: $vgpr2_vgpr3_vgpr4_vgpr5_vgpr6_vgpr7_vgpr8_vgpr9
	s_and_saveexec_b64 s[0:1], vcc
	s_cbranch_execnz .LBB3648_34
; %bb.7:
	s_or_b64 exec, exec, s[0:1]
	v_cmp_gt_u32_e32 vcc, s6, v12
	s_and_saveexec_b64 s[2:3], vcc
	s_cbranch_execnz .LBB3648_35
.LBB3648_8:
	s_or_b64 exec, exec, s[2:3]
	v_cmp_gt_u32_e32 vcc, s6, v10
	s_and_saveexec_b64 s[0:1], vcc
	s_cbranch_execz .LBB3648_10
.LBB3648_9:
	v_mov_b32_e32 v11, 0
	s_waitcnt vmcnt(0)
	v_lshlrev_b64 v[6:7], 3, v[10:11]
	v_mov_b32_e32 v12, s7
	v_add_co_u32_e32 v13, vcc, s5, v6
	v_addc_co_u32_e32 v12, vcc, v12, v7, vcc
	v_subrev_u32_e32 v6, s9, v10
	v_mov_b32_e32 v7, v11
	v_lshlrev_b64 v[6:7], 3, v[6:7]
	v_mov_b32_e32 v11, s13
	v_add_co_u32_e32 v6, vcc, s12, v6
	v_addc_co_u32_e32 v7, vcc, v11, v7, vcc
	v_cmp_gt_u32_e32 vcc, s9, v10
	v_cndmask_b32_e32 v7, v7, v12, vcc
	v_cndmask_b32_e32 v6, v6, v13, vcc
	global_load_dwordx2 v[6:7], v[6:7], off
.LBB3648_10:
	s_or_b64 exec, exec, s[0:1]
	v_add_u32_e32 v14, v10, v15
	v_cmp_gt_u32_e64 s[0:1], s6, v14
.LBB3648_11:
	v_mov_b32_e32 v10, s6
	s_and_saveexec_b64 s[2:3], s[0:1]
	s_cbranch_execz .LBB3648_13
; %bb.12:
	v_subrev_u32_e32 v8, s9, v14
	v_mov_b32_e32 v9, 0
	v_lshlrev_b64 v[10:11], 3, v[8:9]
	v_mov_b32_e32 v8, s13
	v_add_co_u32_e32 v10, vcc, s12, v10
	v_mov_b32_e32 v15, v9
	v_addc_co_u32_e32 v11, vcc, v8, v11, vcc
	v_lshlrev_b64 v[8:9], 3, v[14:15]
	v_mov_b32_e32 v12, s7
	v_add_co_u32_e32 v8, vcc, s5, v8
	v_addc_co_u32_e32 v9, vcc, v12, v9, vcc
	v_cmp_gt_u32_e32 vcc, s9, v14
	v_cndmask_b32_e32 v9, v11, v9, vcc
	v_cndmask_b32_e32 v8, v10, v8, vcc
	global_load_dwordx2 v[8:9], v[8:9], off
	v_mov_b32_e32 v10, s6
.LBB3648_13:
	s_or_b64 exec, exec, s[2:3]
	v_lshlrev_b32_e32 v11, 2, v0
	v_min_u32_e32 v13, v10, v11
	v_sub_u32_e64 v12, v13, s4 clamp
	v_min_u32_e32 v14, s9, v13
	v_cmp_lt_u32_e32 vcc, v12, v14
	s_waitcnt vmcnt(0)
	ds_write2st64_b64 v1, v[2:3], v[4:5] offset1:4
	ds_write2st64_b64 v1, v[6:7], v[8:9] offset0:8 offset1:12
	s_waitcnt lgkmcnt(0)
	s_barrier
	s_and_saveexec_b64 s[0:1], vcc
	s_cbranch_execz .LBB3648_17
; %bb.14:
	v_lshlrev_b32_e32 v15, 3, v13
	v_lshl_add_u32 v15, s9, 3, v15
	s_mov_b64 s[2:3], 0
.LBB3648_15:                            ; =>This Inner Loop Header: Depth=1
	v_add_u32_e32 v16, v14, v12
	v_lshrrev_b32_e32 v20, 1, v16
	v_not_b32_e32 v16, v20
	v_lshlrev_b32_e32 v17, 3, v20
	v_lshl_add_u32 v18, v16, 3, v15
	ds_read_b64 v[16:17], v17
	ds_read_b64 v[18:19], v18
	v_add_u32_e32 v21, 1, v20
	s_waitcnt lgkmcnt(0)
	v_cmp_gt_f64_e32 vcc, v[16:17], v[18:19]
	v_cndmask_b32_e32 v14, v14, v20, vcc
	v_cndmask_b32_e32 v12, v21, v12, vcc
	v_cmp_ge_u32_e32 vcc, v12, v14
	s_or_b64 s[2:3], vcc, s[2:3]
	s_andn2_b64 exec, exec, s[2:3]
	s_cbranch_execnz .LBB3648_15
; %bb.16:
	s_or_b64 exec, exec, s[2:3]
.LBB3648_17:
	s_or_b64 exec, exec, s[0:1]
	v_sub_u32_e32 v13, v13, v12
	v_add_u32_e32 v13, s9, v13
	v_cmp_ge_u32_e32 vcc, s9, v12
	v_cmp_le_u32_e64 s[0:1], v13, v10
	s_or_b64 s[0:1], vcc, s[0:1]
	s_and_saveexec_b64 s[6:7], s[0:1]
	s_cbranch_execz .LBB3648_23
; %bb.18:
	v_cmp_gt_u32_e32 vcc, s9, v12
                                        ; implicit-def: $vgpr2_vgpr3
	s_and_saveexec_b64 s[0:1], vcc
	s_cbranch_execz .LBB3648_20
; %bb.19:
	v_lshlrev_b32_e32 v2, 3, v12
	ds_read_b64 v[2:3], v2
.LBB3648_20:
	s_or_b64 exec, exec, s[0:1]
	v_cmp_ge_u32_e64 s[0:1], v13, v10
	v_cmp_lt_u32_e64 s[2:3], v13, v10
                                        ; implicit-def: $vgpr4_vgpr5
	s_and_saveexec_b64 s[4:5], s[2:3]
	s_cbranch_execz .LBB3648_22
; %bb.21:
	v_lshlrev_b32_e32 v4, 3, v13
	ds_read_b64 v[4:5], v4
.LBB3648_22:
	s_or_b64 exec, exec, s[4:5]
	s_waitcnt lgkmcnt(0)
	v_cmp_ngt_f64_e64 s[2:3], v[2:3], v[4:5]
	s_and_b64 s[2:3], vcc, s[2:3]
	s_or_b64 vcc, s[0:1], s[2:3]
	v_mov_b32_e32 v16, s9
	v_cndmask_b32_e32 v6, v13, v12, vcc
	v_cndmask_b32_e32 v7, v10, v16, vcc
	v_add_u32_e32 v14, 1, v6
	v_add_u32_e32 v6, -1, v7
	v_min_u32_e32 v6, v14, v6
	v_lshlrev_b32_e32 v6, 3, v6
	ds_read_b64 v[6:7], v6
	v_cndmask_b32_e32 v18, v12, v14, vcc
	v_cndmask_b32_e32 v17, v14, v13, vcc
	v_cmp_gt_u32_e64 s[2:3], s9, v18
	v_cmp_ge_u32_e64 s[0:1], v17, v10
	s_waitcnt lgkmcnt(0)
	v_cndmask_b32_e32 v9, v7, v5, vcc
	v_cndmask_b32_e32 v8, v6, v4, vcc
	;; [unrolled: 1-line block ×4, first 2 shown]
	v_cmp_ngt_f64_e64 s[4:5], v[6:7], v[8:9]
	s_and_b64 s[2:3], s[2:3], s[4:5]
	s_or_b64 s[0:1], s[0:1], s[2:3]
	v_cndmask_b32_e64 v12, v17, v18, s[0:1]
	v_cndmask_b32_e64 v13, v10, v16, s[0:1]
	v_add_u32_e32 v19, 1, v12
	v_add_u32_e32 v12, -1, v13
	v_min_u32_e32 v12, v19, v12
	v_lshlrev_b32_e32 v12, 3, v12
	ds_read_b64 v[12:13], v12
	v_cndmask_b32_e64 v18, v18, v19, s[0:1]
	v_cndmask_b32_e64 v20, v19, v17, s[0:1]
	v_cmp_gt_u32_e64 s[2:3], s9, v18
	v_cndmask_b32_e32 v3, v5, v3, vcc
	s_waitcnt lgkmcnt(0)
	v_cndmask_b32_e64 v15, v13, v9, s[0:1]
	v_cndmask_b32_e64 v14, v12, v8, s[0:1]
	v_cndmask_b32_e64 v13, v7, v13, s[0:1]
	v_cndmask_b32_e64 v12, v6, v12, s[0:1]
	v_cmp_ngt_f64_e64 s[4:5], v[12:13], v[14:15]
	v_cndmask_b32_e32 v2, v4, v2, vcc
	v_cmp_ge_u32_e32 vcc, v20, v10
	s_and_b64 s[2:3], s[2:3], s[4:5]
	s_or_b64 vcc, vcc, s[2:3]
	v_cndmask_b32_e32 v4, v20, v18, vcc
	v_cndmask_b32_e32 v5, v10, v16, vcc
	v_add_u32_e32 v19, 1, v4
	v_add_u32_e32 v4, -1, v5
	v_min_u32_e32 v4, v19, v4
	v_lshlrev_b32_e32 v4, 3, v4
	ds_read_b64 v[16:17], v4
	v_cndmask_b32_e64 v5, v9, v7, s[0:1]
	v_cndmask_b32_e64 v4, v8, v6, s[0:1]
	v_cndmask_b32_e32 v7, v15, v13, vcc
	v_cndmask_b32_e32 v6, v14, v12, vcc
	s_waitcnt lgkmcnt(0)
	v_cndmask_b32_e32 v9, v17, v15, vcc
	v_cndmask_b32_e32 v8, v16, v14, vcc
	;; [unrolled: 1-line block ×6, first 2 shown]
	v_cmp_gt_u32_e64 s[0:1], s9, v15
	v_cmp_ngt_f64_e64 s[2:3], v[12:13], v[8:9]
	v_cmp_ge_u32_e32 vcc, v14, v10
	s_and_b64 s[0:1], s[0:1], s[2:3]
	s_or_b64 vcc, vcc, s[0:1]
	v_cndmask_b32_e32 v9, v9, v13, vcc
	v_cndmask_b32_e32 v8, v8, v12, vcc
.LBB3648_23:
	s_or_b64 exec, exec, s[6:7]
	v_and_b32_e32 v10, 0xf8, v0
	v_lshl_add_u32 v10, v11, 3, v10
	s_barrier
	s_barrier
	ds_write2_b64 v10, v[2:3], v[4:5] offset1:1
	ds_write2_b64 v10, v[6:7], v[8:9] offset0:2 offset1:3
	v_lshrrev_b32_e32 v2, 2, v0
	v_and_b32_e32 v2, 56, v2
	v_or_b32_e32 v12, 0x100, v0
	v_add_u32_e32 v13, v1, v2
	v_lshrrev_b32_e32 v2, 2, v12
	v_and_b32_e32 v2, 0x78, v2
	v_or_b32_e32 v11, 0x200, v0
	v_add_u32_e32 v6, v1, v2
	v_lshrrev_b32_e32 v2, 2, v11
	s_lshl_b64 s[0:1], s[16:17], 3
	v_and_b32_e32 v2, 0xb8, v2
	v_or_b32_e32 v10, 0x300, v0
	s_add_u32 s0, s14, s0
	v_add_u32_e32 v7, v1, v2
	v_lshrrev_b32_e32 v2, 2, v10
	s_addc_u32 s1, s15, s1
	v_and_b32_e32 v2, 0xf8, v2
	v_add_u32_e32 v14, v1, v2
	v_mov_b32_e32 v3, s1
	v_add_co_u32_e32 v2, vcc, s0, v1
	v_addc_co_u32_e32 v3, vcc, 0, v3, vcc
	s_and_b64 vcc, exec, s[10:11]
	s_waitcnt lgkmcnt(0)
	s_cbranch_vccz .LBB3648_25
; %bb.24:
	s_barrier
	ds_read_b64 v[8:9], v13
	ds_read_b64 v[16:17], v6 offset:2048
	ds_read_b64 v[18:19], v7 offset:4096
	;; [unrolled: 1-line block ×3, first 2 shown]
	s_waitcnt lgkmcnt(3)
	global_store_dwordx2 v[2:3], v[8:9], off
	s_waitcnt lgkmcnt(2)
	global_store_dwordx2 v[2:3], v[16:17], off offset:2048
	v_add_co_u32_e32 v8, vcc, 0x1000, v2
	v_addc_co_u32_e32 v9, vcc, 0, v3, vcc
	s_waitcnt lgkmcnt(1)
	global_store_dwordx2 v[8:9], v[18:19], off
	s_mov_b64 s[0:1], -1
	s_cbranch_execz .LBB3648_26
	s_branch .LBB3648_31
.LBB3648_25:
	s_mov_b64 s[0:1], 0
                                        ; implicit-def: $vgpr4_vgpr5
.LBB3648_26:
	s_barrier
	s_waitcnt lgkmcnt(0)
	ds_read_b64 v[8:9], v6 offset:2048
	ds_read_b64 v[6:7], v7 offset:4096
	;; [unrolled: 1-line block ×3, first 2 shown]
	s_sub_i32 s2, s8, s16
	v_cmp_gt_u32_e32 vcc, s2, v0
	s_and_saveexec_b64 s[0:1], vcc
	s_cbranch_execnz .LBB3648_36
; %bb.27:
	s_or_b64 exec, exec, s[0:1]
	v_cmp_gt_u32_e32 vcc, s2, v12
	s_and_saveexec_b64 s[0:1], vcc
	s_cbranch_execnz .LBB3648_37
.LBB3648_28:
	s_or_b64 exec, exec, s[0:1]
	v_cmp_gt_u32_e32 vcc, s2, v11
	s_and_saveexec_b64 s[0:1], vcc
	s_cbranch_execz .LBB3648_30
.LBB3648_29:
	v_add_co_u32_e32 v0, vcc, 0x1000, v2
	v_addc_co_u32_e32 v1, vcc, 0, v3, vcc
	s_waitcnt lgkmcnt(1)
	global_store_dwordx2 v[0:1], v[6:7], off
.LBB3648_30:
	s_or_b64 exec, exec, s[0:1]
	v_cmp_gt_u32_e64 s[0:1], s2, v10
.LBB3648_31:
	s_and_saveexec_b64 s[2:3], s[0:1]
	s_cbranch_execz .LBB3648_33
; %bb.32:
	v_add_co_u32_e32 v0, vcc, 0x1000, v2
	v_addc_co_u32_e32 v1, vcc, 0, v3, vcc
	s_waitcnt lgkmcnt(0)
	global_store_dwordx2 v[0:1], v[4:5], off offset:2048
.LBB3648_33:
	s_endpgm
.LBB3648_34:
	s_waitcnt vmcnt(2)
	v_mov_b32_e32 v2, s7
	s_waitcnt vmcnt(1)
	v_add_co_u32_e32 v4, vcc, s5, v1
	v_mov_b32_e32 v3, 0
	v_addc_co_u32_e32 v5, vcc, 0, v2, vcc
	v_subrev_u32_e32 v2, s9, v0
	v_lshlrev_b64 v[2:3], 3, v[2:3]
	s_waitcnt vmcnt(0)
	v_mov_b32_e32 v6, s13
	v_add_co_u32_e32 v2, vcc, s12, v2
	v_addc_co_u32_e32 v3, vcc, v6, v3, vcc
	v_cmp_gt_u32_e32 vcc, s9, v0
	v_cndmask_b32_e32 v3, v3, v5, vcc
	v_cndmask_b32_e32 v2, v2, v4, vcc
	global_load_dwordx2 v[2:3], v[2:3], off
	s_or_b64 exec, exec, s[0:1]
	v_cmp_gt_u32_e32 vcc, s6, v12
	s_and_saveexec_b64 s[2:3], vcc
	s_cbranch_execz .LBB3648_8
.LBB3648_35:
	v_mov_b32_e32 v13, 0
	s_waitcnt vmcnt(1)
	v_lshlrev_b64 v[4:5], 3, v[12:13]
	v_mov_b32_e32 v11, s7
	v_add_co_u32_e32 v14, vcc, s5, v4
	v_addc_co_u32_e32 v11, vcc, v11, v5, vcc
	v_cmp_gt_u32_e32 vcc, s9, v12
	v_subrev_u32_e32 v12, s9, v12
	v_lshlrev_b64 v[4:5], 3, v[12:13]
	v_mov_b32_e32 v12, s13
	v_add_co_u32_e64 v4, s[0:1], s12, v4
	v_addc_co_u32_e64 v5, s[0:1], v12, v5, s[0:1]
	v_cndmask_b32_e32 v5, v5, v11, vcc
	v_cndmask_b32_e32 v4, v4, v14, vcc
	global_load_dwordx2 v[4:5], v[4:5], off
	s_or_b64 exec, exec, s[2:3]
	v_cmp_gt_u32_e32 vcc, s6, v10
	s_and_saveexec_b64 s[0:1], vcc
	s_cbranch_execnz .LBB3648_9
	s_branch .LBB3648_10
.LBB3648_36:
	ds_read_b64 v[0:1], v13
	s_waitcnt lgkmcnt(0)
	global_store_dwordx2 v[2:3], v[0:1], off
	s_or_b64 exec, exec, s[0:1]
	v_cmp_gt_u32_e32 vcc, s2, v12
	s_and_saveexec_b64 s[0:1], vcc
	s_cbranch_execz .LBB3648_28
.LBB3648_37:
	s_waitcnt lgkmcnt(2)
	global_store_dwordx2 v[2:3], v[8:9], off offset:2048
	s_or_b64 exec, exec, s[0:1]
	v_cmp_gt_u32_e32 vcc, s2, v11
	s_and_saveexec_b64 s[0:1], vcc
	s_cbranch_execnz .LBB3648_29
	s_branch .LBB3648_30
	.section	.rodata,"a",@progbits
	.p2align	6, 0x0
	.amdhsa_kernel _ZN7rocprim17ROCPRIM_400000_NS6detail17trampoline_kernelINS0_14default_configENS1_38merge_sort_block_merge_config_selectorIdNS0_10empty_typeEEEZZNS1_27merge_sort_block_merge_implIS3_N6thrust23THRUST_200600_302600_NS6detail15normal_iteratorINS9_10device_ptrIdEEEEPS5_m14custom_greaterIdEEE10hipError_tT0_T1_T2_jT3_P12ihipStream_tbPNSt15iterator_traitsISJ_E10value_typeEPNSP_ISK_E10value_typeEPSL_NS1_7vsmem_tEENKUlT_SJ_SK_SL_E_clISE_PdSF_SF_EESI_SY_SJ_SK_SL_EUlSY_E0_NS1_11comp_targetILNS1_3genE4ELNS1_11target_archE910ELNS1_3gpuE8ELNS1_3repE0EEENS1_38merge_mergepath_config_static_selectorELNS0_4arch9wavefront6targetE1EEEvSK_
		.amdhsa_group_segment_fixed_size 8448
		.amdhsa_private_segment_fixed_size 0
		.amdhsa_kernarg_size 328
		.amdhsa_user_sgpr_count 6
		.amdhsa_user_sgpr_private_segment_buffer 1
		.amdhsa_user_sgpr_dispatch_ptr 0
		.amdhsa_user_sgpr_queue_ptr 0
		.amdhsa_user_sgpr_kernarg_segment_ptr 1
		.amdhsa_user_sgpr_dispatch_id 0
		.amdhsa_user_sgpr_flat_scratch_init 0
		.amdhsa_user_sgpr_kernarg_preload_length 0
		.amdhsa_user_sgpr_kernarg_preload_offset 0
		.amdhsa_user_sgpr_private_segment_size 0
		.amdhsa_uses_dynamic_stack 0
		.amdhsa_system_sgpr_private_segment_wavefront_offset 0
		.amdhsa_system_sgpr_workgroup_id_x 1
		.amdhsa_system_sgpr_workgroup_id_y 1
		.amdhsa_system_sgpr_workgroup_id_z 1
		.amdhsa_system_sgpr_workgroup_info 0
		.amdhsa_system_vgpr_workitem_id 0
		.amdhsa_next_free_vgpr 22
		.amdhsa_next_free_sgpr 31
		.amdhsa_accum_offset 24
		.amdhsa_reserve_vcc 1
		.amdhsa_reserve_flat_scratch 0
		.amdhsa_float_round_mode_32 0
		.amdhsa_float_round_mode_16_64 0
		.amdhsa_float_denorm_mode_32 3
		.amdhsa_float_denorm_mode_16_64 3
		.amdhsa_dx10_clamp 1
		.amdhsa_ieee_mode 1
		.amdhsa_fp16_overflow 0
		.amdhsa_tg_split 0
		.amdhsa_exception_fp_ieee_invalid_op 0
		.amdhsa_exception_fp_denorm_src 0
		.amdhsa_exception_fp_ieee_div_zero 0
		.amdhsa_exception_fp_ieee_overflow 0
		.amdhsa_exception_fp_ieee_underflow 0
		.amdhsa_exception_fp_ieee_inexact 0
		.amdhsa_exception_int_div_zero 0
	.end_amdhsa_kernel
	.section	.text._ZN7rocprim17ROCPRIM_400000_NS6detail17trampoline_kernelINS0_14default_configENS1_38merge_sort_block_merge_config_selectorIdNS0_10empty_typeEEEZZNS1_27merge_sort_block_merge_implIS3_N6thrust23THRUST_200600_302600_NS6detail15normal_iteratorINS9_10device_ptrIdEEEEPS5_m14custom_greaterIdEEE10hipError_tT0_T1_T2_jT3_P12ihipStream_tbPNSt15iterator_traitsISJ_E10value_typeEPNSP_ISK_E10value_typeEPSL_NS1_7vsmem_tEENKUlT_SJ_SK_SL_E_clISE_PdSF_SF_EESI_SY_SJ_SK_SL_EUlSY_E0_NS1_11comp_targetILNS1_3genE4ELNS1_11target_archE910ELNS1_3gpuE8ELNS1_3repE0EEENS1_38merge_mergepath_config_static_selectorELNS0_4arch9wavefront6targetE1EEEvSK_,"axG",@progbits,_ZN7rocprim17ROCPRIM_400000_NS6detail17trampoline_kernelINS0_14default_configENS1_38merge_sort_block_merge_config_selectorIdNS0_10empty_typeEEEZZNS1_27merge_sort_block_merge_implIS3_N6thrust23THRUST_200600_302600_NS6detail15normal_iteratorINS9_10device_ptrIdEEEEPS5_m14custom_greaterIdEEE10hipError_tT0_T1_T2_jT3_P12ihipStream_tbPNSt15iterator_traitsISJ_E10value_typeEPNSP_ISK_E10value_typeEPSL_NS1_7vsmem_tEENKUlT_SJ_SK_SL_E_clISE_PdSF_SF_EESI_SY_SJ_SK_SL_EUlSY_E0_NS1_11comp_targetILNS1_3genE4ELNS1_11target_archE910ELNS1_3gpuE8ELNS1_3repE0EEENS1_38merge_mergepath_config_static_selectorELNS0_4arch9wavefront6targetE1EEEvSK_,comdat
.Lfunc_end3648:
	.size	_ZN7rocprim17ROCPRIM_400000_NS6detail17trampoline_kernelINS0_14default_configENS1_38merge_sort_block_merge_config_selectorIdNS0_10empty_typeEEEZZNS1_27merge_sort_block_merge_implIS3_N6thrust23THRUST_200600_302600_NS6detail15normal_iteratorINS9_10device_ptrIdEEEEPS5_m14custom_greaterIdEEE10hipError_tT0_T1_T2_jT3_P12ihipStream_tbPNSt15iterator_traitsISJ_E10value_typeEPNSP_ISK_E10value_typeEPSL_NS1_7vsmem_tEENKUlT_SJ_SK_SL_E_clISE_PdSF_SF_EESI_SY_SJ_SK_SL_EUlSY_E0_NS1_11comp_targetILNS1_3genE4ELNS1_11target_archE910ELNS1_3gpuE8ELNS1_3repE0EEENS1_38merge_mergepath_config_static_selectorELNS0_4arch9wavefront6targetE1EEEvSK_, .Lfunc_end3648-_ZN7rocprim17ROCPRIM_400000_NS6detail17trampoline_kernelINS0_14default_configENS1_38merge_sort_block_merge_config_selectorIdNS0_10empty_typeEEEZZNS1_27merge_sort_block_merge_implIS3_N6thrust23THRUST_200600_302600_NS6detail15normal_iteratorINS9_10device_ptrIdEEEEPS5_m14custom_greaterIdEEE10hipError_tT0_T1_T2_jT3_P12ihipStream_tbPNSt15iterator_traitsISJ_E10value_typeEPNSP_ISK_E10value_typeEPSL_NS1_7vsmem_tEENKUlT_SJ_SK_SL_E_clISE_PdSF_SF_EESI_SY_SJ_SK_SL_EUlSY_E0_NS1_11comp_targetILNS1_3genE4ELNS1_11target_archE910ELNS1_3gpuE8ELNS1_3repE0EEENS1_38merge_mergepath_config_static_selectorELNS0_4arch9wavefront6targetE1EEEvSK_
                                        ; -- End function
	.section	.AMDGPU.csdata,"",@progbits
; Kernel info:
; codeLenInByte = 2200
; NumSgprs: 35
; NumVgprs: 22
; NumAgprs: 0
; TotalNumVgprs: 22
; ScratchSize: 0
; MemoryBound: 0
; FloatMode: 240
; IeeeMode: 1
; LDSByteSize: 8448 bytes/workgroup (compile time only)
; SGPRBlocks: 4
; VGPRBlocks: 2
; NumSGPRsForWavesPerEU: 35
; NumVGPRsForWavesPerEU: 22
; AccumOffset: 24
; Occupancy: 7
; WaveLimiterHint : 1
; COMPUTE_PGM_RSRC2:SCRATCH_EN: 0
; COMPUTE_PGM_RSRC2:USER_SGPR: 6
; COMPUTE_PGM_RSRC2:TRAP_HANDLER: 0
; COMPUTE_PGM_RSRC2:TGID_X_EN: 1
; COMPUTE_PGM_RSRC2:TGID_Y_EN: 1
; COMPUTE_PGM_RSRC2:TGID_Z_EN: 1
; COMPUTE_PGM_RSRC2:TIDIG_COMP_CNT: 0
; COMPUTE_PGM_RSRC3_GFX90A:ACCUM_OFFSET: 5
; COMPUTE_PGM_RSRC3_GFX90A:TG_SPLIT: 0
	.section	.text._ZN7rocprim17ROCPRIM_400000_NS6detail17trampoline_kernelINS0_14default_configENS1_38merge_sort_block_merge_config_selectorIdNS0_10empty_typeEEEZZNS1_27merge_sort_block_merge_implIS3_N6thrust23THRUST_200600_302600_NS6detail15normal_iteratorINS9_10device_ptrIdEEEEPS5_m14custom_greaterIdEEE10hipError_tT0_T1_T2_jT3_P12ihipStream_tbPNSt15iterator_traitsISJ_E10value_typeEPNSP_ISK_E10value_typeEPSL_NS1_7vsmem_tEENKUlT_SJ_SK_SL_E_clISE_PdSF_SF_EESI_SY_SJ_SK_SL_EUlSY_E0_NS1_11comp_targetILNS1_3genE3ELNS1_11target_archE908ELNS1_3gpuE7ELNS1_3repE0EEENS1_38merge_mergepath_config_static_selectorELNS0_4arch9wavefront6targetE1EEEvSK_,"axG",@progbits,_ZN7rocprim17ROCPRIM_400000_NS6detail17trampoline_kernelINS0_14default_configENS1_38merge_sort_block_merge_config_selectorIdNS0_10empty_typeEEEZZNS1_27merge_sort_block_merge_implIS3_N6thrust23THRUST_200600_302600_NS6detail15normal_iteratorINS9_10device_ptrIdEEEEPS5_m14custom_greaterIdEEE10hipError_tT0_T1_T2_jT3_P12ihipStream_tbPNSt15iterator_traitsISJ_E10value_typeEPNSP_ISK_E10value_typeEPSL_NS1_7vsmem_tEENKUlT_SJ_SK_SL_E_clISE_PdSF_SF_EESI_SY_SJ_SK_SL_EUlSY_E0_NS1_11comp_targetILNS1_3genE3ELNS1_11target_archE908ELNS1_3gpuE7ELNS1_3repE0EEENS1_38merge_mergepath_config_static_selectorELNS0_4arch9wavefront6targetE1EEEvSK_,comdat
	.protected	_ZN7rocprim17ROCPRIM_400000_NS6detail17trampoline_kernelINS0_14default_configENS1_38merge_sort_block_merge_config_selectorIdNS0_10empty_typeEEEZZNS1_27merge_sort_block_merge_implIS3_N6thrust23THRUST_200600_302600_NS6detail15normal_iteratorINS9_10device_ptrIdEEEEPS5_m14custom_greaterIdEEE10hipError_tT0_T1_T2_jT3_P12ihipStream_tbPNSt15iterator_traitsISJ_E10value_typeEPNSP_ISK_E10value_typeEPSL_NS1_7vsmem_tEENKUlT_SJ_SK_SL_E_clISE_PdSF_SF_EESI_SY_SJ_SK_SL_EUlSY_E0_NS1_11comp_targetILNS1_3genE3ELNS1_11target_archE908ELNS1_3gpuE7ELNS1_3repE0EEENS1_38merge_mergepath_config_static_selectorELNS0_4arch9wavefront6targetE1EEEvSK_ ; -- Begin function _ZN7rocprim17ROCPRIM_400000_NS6detail17trampoline_kernelINS0_14default_configENS1_38merge_sort_block_merge_config_selectorIdNS0_10empty_typeEEEZZNS1_27merge_sort_block_merge_implIS3_N6thrust23THRUST_200600_302600_NS6detail15normal_iteratorINS9_10device_ptrIdEEEEPS5_m14custom_greaterIdEEE10hipError_tT0_T1_T2_jT3_P12ihipStream_tbPNSt15iterator_traitsISJ_E10value_typeEPNSP_ISK_E10value_typeEPSL_NS1_7vsmem_tEENKUlT_SJ_SK_SL_E_clISE_PdSF_SF_EESI_SY_SJ_SK_SL_EUlSY_E0_NS1_11comp_targetILNS1_3genE3ELNS1_11target_archE908ELNS1_3gpuE7ELNS1_3repE0EEENS1_38merge_mergepath_config_static_selectorELNS0_4arch9wavefront6targetE1EEEvSK_
	.globl	_ZN7rocprim17ROCPRIM_400000_NS6detail17trampoline_kernelINS0_14default_configENS1_38merge_sort_block_merge_config_selectorIdNS0_10empty_typeEEEZZNS1_27merge_sort_block_merge_implIS3_N6thrust23THRUST_200600_302600_NS6detail15normal_iteratorINS9_10device_ptrIdEEEEPS5_m14custom_greaterIdEEE10hipError_tT0_T1_T2_jT3_P12ihipStream_tbPNSt15iterator_traitsISJ_E10value_typeEPNSP_ISK_E10value_typeEPSL_NS1_7vsmem_tEENKUlT_SJ_SK_SL_E_clISE_PdSF_SF_EESI_SY_SJ_SK_SL_EUlSY_E0_NS1_11comp_targetILNS1_3genE3ELNS1_11target_archE908ELNS1_3gpuE7ELNS1_3repE0EEENS1_38merge_mergepath_config_static_selectorELNS0_4arch9wavefront6targetE1EEEvSK_
	.p2align	8
	.type	_ZN7rocprim17ROCPRIM_400000_NS6detail17trampoline_kernelINS0_14default_configENS1_38merge_sort_block_merge_config_selectorIdNS0_10empty_typeEEEZZNS1_27merge_sort_block_merge_implIS3_N6thrust23THRUST_200600_302600_NS6detail15normal_iteratorINS9_10device_ptrIdEEEEPS5_m14custom_greaterIdEEE10hipError_tT0_T1_T2_jT3_P12ihipStream_tbPNSt15iterator_traitsISJ_E10value_typeEPNSP_ISK_E10value_typeEPSL_NS1_7vsmem_tEENKUlT_SJ_SK_SL_E_clISE_PdSF_SF_EESI_SY_SJ_SK_SL_EUlSY_E0_NS1_11comp_targetILNS1_3genE3ELNS1_11target_archE908ELNS1_3gpuE7ELNS1_3repE0EEENS1_38merge_mergepath_config_static_selectorELNS0_4arch9wavefront6targetE1EEEvSK_,@function
_ZN7rocprim17ROCPRIM_400000_NS6detail17trampoline_kernelINS0_14default_configENS1_38merge_sort_block_merge_config_selectorIdNS0_10empty_typeEEEZZNS1_27merge_sort_block_merge_implIS3_N6thrust23THRUST_200600_302600_NS6detail15normal_iteratorINS9_10device_ptrIdEEEEPS5_m14custom_greaterIdEEE10hipError_tT0_T1_T2_jT3_P12ihipStream_tbPNSt15iterator_traitsISJ_E10value_typeEPNSP_ISK_E10value_typeEPSL_NS1_7vsmem_tEENKUlT_SJ_SK_SL_E_clISE_PdSF_SF_EESI_SY_SJ_SK_SL_EUlSY_E0_NS1_11comp_targetILNS1_3genE3ELNS1_11target_archE908ELNS1_3gpuE7ELNS1_3repE0EEENS1_38merge_mergepath_config_static_selectorELNS0_4arch9wavefront6targetE1EEEvSK_: ; @_ZN7rocprim17ROCPRIM_400000_NS6detail17trampoline_kernelINS0_14default_configENS1_38merge_sort_block_merge_config_selectorIdNS0_10empty_typeEEEZZNS1_27merge_sort_block_merge_implIS3_N6thrust23THRUST_200600_302600_NS6detail15normal_iteratorINS9_10device_ptrIdEEEEPS5_m14custom_greaterIdEEE10hipError_tT0_T1_T2_jT3_P12ihipStream_tbPNSt15iterator_traitsISJ_E10value_typeEPNSP_ISK_E10value_typeEPSL_NS1_7vsmem_tEENKUlT_SJ_SK_SL_E_clISE_PdSF_SF_EESI_SY_SJ_SK_SL_EUlSY_E0_NS1_11comp_targetILNS1_3genE3ELNS1_11target_archE908ELNS1_3gpuE7ELNS1_3repE0EEENS1_38merge_mergepath_config_static_selectorELNS0_4arch9wavefront6targetE1EEEvSK_
; %bb.0:
	.section	.rodata,"a",@progbits
	.p2align	6, 0x0
	.amdhsa_kernel _ZN7rocprim17ROCPRIM_400000_NS6detail17trampoline_kernelINS0_14default_configENS1_38merge_sort_block_merge_config_selectorIdNS0_10empty_typeEEEZZNS1_27merge_sort_block_merge_implIS3_N6thrust23THRUST_200600_302600_NS6detail15normal_iteratorINS9_10device_ptrIdEEEEPS5_m14custom_greaterIdEEE10hipError_tT0_T1_T2_jT3_P12ihipStream_tbPNSt15iterator_traitsISJ_E10value_typeEPNSP_ISK_E10value_typeEPSL_NS1_7vsmem_tEENKUlT_SJ_SK_SL_E_clISE_PdSF_SF_EESI_SY_SJ_SK_SL_EUlSY_E0_NS1_11comp_targetILNS1_3genE3ELNS1_11target_archE908ELNS1_3gpuE7ELNS1_3repE0EEENS1_38merge_mergepath_config_static_selectorELNS0_4arch9wavefront6targetE1EEEvSK_
		.amdhsa_group_segment_fixed_size 0
		.amdhsa_private_segment_fixed_size 0
		.amdhsa_kernarg_size 72
		.amdhsa_user_sgpr_count 6
		.amdhsa_user_sgpr_private_segment_buffer 1
		.amdhsa_user_sgpr_dispatch_ptr 0
		.amdhsa_user_sgpr_queue_ptr 0
		.amdhsa_user_sgpr_kernarg_segment_ptr 1
		.amdhsa_user_sgpr_dispatch_id 0
		.amdhsa_user_sgpr_flat_scratch_init 0
		.amdhsa_user_sgpr_kernarg_preload_length 0
		.amdhsa_user_sgpr_kernarg_preload_offset 0
		.amdhsa_user_sgpr_private_segment_size 0
		.amdhsa_uses_dynamic_stack 0
		.amdhsa_system_sgpr_private_segment_wavefront_offset 0
		.amdhsa_system_sgpr_workgroup_id_x 1
		.amdhsa_system_sgpr_workgroup_id_y 0
		.amdhsa_system_sgpr_workgroup_id_z 0
		.amdhsa_system_sgpr_workgroup_info 0
		.amdhsa_system_vgpr_workitem_id 0
		.amdhsa_next_free_vgpr 1
		.amdhsa_next_free_sgpr 0
		.amdhsa_accum_offset 4
		.amdhsa_reserve_vcc 0
		.amdhsa_reserve_flat_scratch 0
		.amdhsa_float_round_mode_32 0
		.amdhsa_float_round_mode_16_64 0
		.amdhsa_float_denorm_mode_32 3
		.amdhsa_float_denorm_mode_16_64 3
		.amdhsa_dx10_clamp 1
		.amdhsa_ieee_mode 1
		.amdhsa_fp16_overflow 0
		.amdhsa_tg_split 0
		.amdhsa_exception_fp_ieee_invalid_op 0
		.amdhsa_exception_fp_denorm_src 0
		.amdhsa_exception_fp_ieee_div_zero 0
		.amdhsa_exception_fp_ieee_overflow 0
		.amdhsa_exception_fp_ieee_underflow 0
		.amdhsa_exception_fp_ieee_inexact 0
		.amdhsa_exception_int_div_zero 0
	.end_amdhsa_kernel
	.section	.text._ZN7rocprim17ROCPRIM_400000_NS6detail17trampoline_kernelINS0_14default_configENS1_38merge_sort_block_merge_config_selectorIdNS0_10empty_typeEEEZZNS1_27merge_sort_block_merge_implIS3_N6thrust23THRUST_200600_302600_NS6detail15normal_iteratorINS9_10device_ptrIdEEEEPS5_m14custom_greaterIdEEE10hipError_tT0_T1_T2_jT3_P12ihipStream_tbPNSt15iterator_traitsISJ_E10value_typeEPNSP_ISK_E10value_typeEPSL_NS1_7vsmem_tEENKUlT_SJ_SK_SL_E_clISE_PdSF_SF_EESI_SY_SJ_SK_SL_EUlSY_E0_NS1_11comp_targetILNS1_3genE3ELNS1_11target_archE908ELNS1_3gpuE7ELNS1_3repE0EEENS1_38merge_mergepath_config_static_selectorELNS0_4arch9wavefront6targetE1EEEvSK_,"axG",@progbits,_ZN7rocprim17ROCPRIM_400000_NS6detail17trampoline_kernelINS0_14default_configENS1_38merge_sort_block_merge_config_selectorIdNS0_10empty_typeEEEZZNS1_27merge_sort_block_merge_implIS3_N6thrust23THRUST_200600_302600_NS6detail15normal_iteratorINS9_10device_ptrIdEEEEPS5_m14custom_greaterIdEEE10hipError_tT0_T1_T2_jT3_P12ihipStream_tbPNSt15iterator_traitsISJ_E10value_typeEPNSP_ISK_E10value_typeEPSL_NS1_7vsmem_tEENKUlT_SJ_SK_SL_E_clISE_PdSF_SF_EESI_SY_SJ_SK_SL_EUlSY_E0_NS1_11comp_targetILNS1_3genE3ELNS1_11target_archE908ELNS1_3gpuE7ELNS1_3repE0EEENS1_38merge_mergepath_config_static_selectorELNS0_4arch9wavefront6targetE1EEEvSK_,comdat
.Lfunc_end3649:
	.size	_ZN7rocprim17ROCPRIM_400000_NS6detail17trampoline_kernelINS0_14default_configENS1_38merge_sort_block_merge_config_selectorIdNS0_10empty_typeEEEZZNS1_27merge_sort_block_merge_implIS3_N6thrust23THRUST_200600_302600_NS6detail15normal_iteratorINS9_10device_ptrIdEEEEPS5_m14custom_greaterIdEEE10hipError_tT0_T1_T2_jT3_P12ihipStream_tbPNSt15iterator_traitsISJ_E10value_typeEPNSP_ISK_E10value_typeEPSL_NS1_7vsmem_tEENKUlT_SJ_SK_SL_E_clISE_PdSF_SF_EESI_SY_SJ_SK_SL_EUlSY_E0_NS1_11comp_targetILNS1_3genE3ELNS1_11target_archE908ELNS1_3gpuE7ELNS1_3repE0EEENS1_38merge_mergepath_config_static_selectorELNS0_4arch9wavefront6targetE1EEEvSK_, .Lfunc_end3649-_ZN7rocprim17ROCPRIM_400000_NS6detail17trampoline_kernelINS0_14default_configENS1_38merge_sort_block_merge_config_selectorIdNS0_10empty_typeEEEZZNS1_27merge_sort_block_merge_implIS3_N6thrust23THRUST_200600_302600_NS6detail15normal_iteratorINS9_10device_ptrIdEEEEPS5_m14custom_greaterIdEEE10hipError_tT0_T1_T2_jT3_P12ihipStream_tbPNSt15iterator_traitsISJ_E10value_typeEPNSP_ISK_E10value_typeEPSL_NS1_7vsmem_tEENKUlT_SJ_SK_SL_E_clISE_PdSF_SF_EESI_SY_SJ_SK_SL_EUlSY_E0_NS1_11comp_targetILNS1_3genE3ELNS1_11target_archE908ELNS1_3gpuE7ELNS1_3repE0EEENS1_38merge_mergepath_config_static_selectorELNS0_4arch9wavefront6targetE1EEEvSK_
                                        ; -- End function
	.section	.AMDGPU.csdata,"",@progbits
; Kernel info:
; codeLenInByte = 0
; NumSgprs: 4
; NumVgprs: 0
; NumAgprs: 0
; TotalNumVgprs: 0
; ScratchSize: 0
; MemoryBound: 0
; FloatMode: 240
; IeeeMode: 1
; LDSByteSize: 0 bytes/workgroup (compile time only)
; SGPRBlocks: 0
; VGPRBlocks: 0
; NumSGPRsForWavesPerEU: 4
; NumVGPRsForWavesPerEU: 1
; AccumOffset: 4
; Occupancy: 8
; WaveLimiterHint : 0
; COMPUTE_PGM_RSRC2:SCRATCH_EN: 0
; COMPUTE_PGM_RSRC2:USER_SGPR: 6
; COMPUTE_PGM_RSRC2:TRAP_HANDLER: 0
; COMPUTE_PGM_RSRC2:TGID_X_EN: 1
; COMPUTE_PGM_RSRC2:TGID_Y_EN: 0
; COMPUTE_PGM_RSRC2:TGID_Z_EN: 0
; COMPUTE_PGM_RSRC2:TIDIG_COMP_CNT: 0
; COMPUTE_PGM_RSRC3_GFX90A:ACCUM_OFFSET: 0
; COMPUTE_PGM_RSRC3_GFX90A:TG_SPLIT: 0
	.section	.text._ZN7rocprim17ROCPRIM_400000_NS6detail17trampoline_kernelINS0_14default_configENS1_38merge_sort_block_merge_config_selectorIdNS0_10empty_typeEEEZZNS1_27merge_sort_block_merge_implIS3_N6thrust23THRUST_200600_302600_NS6detail15normal_iteratorINS9_10device_ptrIdEEEEPS5_m14custom_greaterIdEEE10hipError_tT0_T1_T2_jT3_P12ihipStream_tbPNSt15iterator_traitsISJ_E10value_typeEPNSP_ISK_E10value_typeEPSL_NS1_7vsmem_tEENKUlT_SJ_SK_SL_E_clISE_PdSF_SF_EESI_SY_SJ_SK_SL_EUlSY_E0_NS1_11comp_targetILNS1_3genE2ELNS1_11target_archE906ELNS1_3gpuE6ELNS1_3repE0EEENS1_38merge_mergepath_config_static_selectorELNS0_4arch9wavefront6targetE1EEEvSK_,"axG",@progbits,_ZN7rocprim17ROCPRIM_400000_NS6detail17trampoline_kernelINS0_14default_configENS1_38merge_sort_block_merge_config_selectorIdNS0_10empty_typeEEEZZNS1_27merge_sort_block_merge_implIS3_N6thrust23THRUST_200600_302600_NS6detail15normal_iteratorINS9_10device_ptrIdEEEEPS5_m14custom_greaterIdEEE10hipError_tT0_T1_T2_jT3_P12ihipStream_tbPNSt15iterator_traitsISJ_E10value_typeEPNSP_ISK_E10value_typeEPSL_NS1_7vsmem_tEENKUlT_SJ_SK_SL_E_clISE_PdSF_SF_EESI_SY_SJ_SK_SL_EUlSY_E0_NS1_11comp_targetILNS1_3genE2ELNS1_11target_archE906ELNS1_3gpuE6ELNS1_3repE0EEENS1_38merge_mergepath_config_static_selectorELNS0_4arch9wavefront6targetE1EEEvSK_,comdat
	.protected	_ZN7rocprim17ROCPRIM_400000_NS6detail17trampoline_kernelINS0_14default_configENS1_38merge_sort_block_merge_config_selectorIdNS0_10empty_typeEEEZZNS1_27merge_sort_block_merge_implIS3_N6thrust23THRUST_200600_302600_NS6detail15normal_iteratorINS9_10device_ptrIdEEEEPS5_m14custom_greaterIdEEE10hipError_tT0_T1_T2_jT3_P12ihipStream_tbPNSt15iterator_traitsISJ_E10value_typeEPNSP_ISK_E10value_typeEPSL_NS1_7vsmem_tEENKUlT_SJ_SK_SL_E_clISE_PdSF_SF_EESI_SY_SJ_SK_SL_EUlSY_E0_NS1_11comp_targetILNS1_3genE2ELNS1_11target_archE906ELNS1_3gpuE6ELNS1_3repE0EEENS1_38merge_mergepath_config_static_selectorELNS0_4arch9wavefront6targetE1EEEvSK_ ; -- Begin function _ZN7rocprim17ROCPRIM_400000_NS6detail17trampoline_kernelINS0_14default_configENS1_38merge_sort_block_merge_config_selectorIdNS0_10empty_typeEEEZZNS1_27merge_sort_block_merge_implIS3_N6thrust23THRUST_200600_302600_NS6detail15normal_iteratorINS9_10device_ptrIdEEEEPS5_m14custom_greaterIdEEE10hipError_tT0_T1_T2_jT3_P12ihipStream_tbPNSt15iterator_traitsISJ_E10value_typeEPNSP_ISK_E10value_typeEPSL_NS1_7vsmem_tEENKUlT_SJ_SK_SL_E_clISE_PdSF_SF_EESI_SY_SJ_SK_SL_EUlSY_E0_NS1_11comp_targetILNS1_3genE2ELNS1_11target_archE906ELNS1_3gpuE6ELNS1_3repE0EEENS1_38merge_mergepath_config_static_selectorELNS0_4arch9wavefront6targetE1EEEvSK_
	.globl	_ZN7rocprim17ROCPRIM_400000_NS6detail17trampoline_kernelINS0_14default_configENS1_38merge_sort_block_merge_config_selectorIdNS0_10empty_typeEEEZZNS1_27merge_sort_block_merge_implIS3_N6thrust23THRUST_200600_302600_NS6detail15normal_iteratorINS9_10device_ptrIdEEEEPS5_m14custom_greaterIdEEE10hipError_tT0_T1_T2_jT3_P12ihipStream_tbPNSt15iterator_traitsISJ_E10value_typeEPNSP_ISK_E10value_typeEPSL_NS1_7vsmem_tEENKUlT_SJ_SK_SL_E_clISE_PdSF_SF_EESI_SY_SJ_SK_SL_EUlSY_E0_NS1_11comp_targetILNS1_3genE2ELNS1_11target_archE906ELNS1_3gpuE6ELNS1_3repE0EEENS1_38merge_mergepath_config_static_selectorELNS0_4arch9wavefront6targetE1EEEvSK_
	.p2align	8
	.type	_ZN7rocprim17ROCPRIM_400000_NS6detail17trampoline_kernelINS0_14default_configENS1_38merge_sort_block_merge_config_selectorIdNS0_10empty_typeEEEZZNS1_27merge_sort_block_merge_implIS3_N6thrust23THRUST_200600_302600_NS6detail15normal_iteratorINS9_10device_ptrIdEEEEPS5_m14custom_greaterIdEEE10hipError_tT0_T1_T2_jT3_P12ihipStream_tbPNSt15iterator_traitsISJ_E10value_typeEPNSP_ISK_E10value_typeEPSL_NS1_7vsmem_tEENKUlT_SJ_SK_SL_E_clISE_PdSF_SF_EESI_SY_SJ_SK_SL_EUlSY_E0_NS1_11comp_targetILNS1_3genE2ELNS1_11target_archE906ELNS1_3gpuE6ELNS1_3repE0EEENS1_38merge_mergepath_config_static_selectorELNS0_4arch9wavefront6targetE1EEEvSK_,@function
_ZN7rocprim17ROCPRIM_400000_NS6detail17trampoline_kernelINS0_14default_configENS1_38merge_sort_block_merge_config_selectorIdNS0_10empty_typeEEEZZNS1_27merge_sort_block_merge_implIS3_N6thrust23THRUST_200600_302600_NS6detail15normal_iteratorINS9_10device_ptrIdEEEEPS5_m14custom_greaterIdEEE10hipError_tT0_T1_T2_jT3_P12ihipStream_tbPNSt15iterator_traitsISJ_E10value_typeEPNSP_ISK_E10value_typeEPSL_NS1_7vsmem_tEENKUlT_SJ_SK_SL_E_clISE_PdSF_SF_EESI_SY_SJ_SK_SL_EUlSY_E0_NS1_11comp_targetILNS1_3genE2ELNS1_11target_archE906ELNS1_3gpuE6ELNS1_3repE0EEENS1_38merge_mergepath_config_static_selectorELNS0_4arch9wavefront6targetE1EEEvSK_: ; @_ZN7rocprim17ROCPRIM_400000_NS6detail17trampoline_kernelINS0_14default_configENS1_38merge_sort_block_merge_config_selectorIdNS0_10empty_typeEEEZZNS1_27merge_sort_block_merge_implIS3_N6thrust23THRUST_200600_302600_NS6detail15normal_iteratorINS9_10device_ptrIdEEEEPS5_m14custom_greaterIdEEE10hipError_tT0_T1_T2_jT3_P12ihipStream_tbPNSt15iterator_traitsISJ_E10value_typeEPNSP_ISK_E10value_typeEPSL_NS1_7vsmem_tEENKUlT_SJ_SK_SL_E_clISE_PdSF_SF_EESI_SY_SJ_SK_SL_EUlSY_E0_NS1_11comp_targetILNS1_3genE2ELNS1_11target_archE906ELNS1_3gpuE6ELNS1_3repE0EEENS1_38merge_mergepath_config_static_selectorELNS0_4arch9wavefront6targetE1EEEvSK_
; %bb.0:
	.section	.rodata,"a",@progbits
	.p2align	6, 0x0
	.amdhsa_kernel _ZN7rocprim17ROCPRIM_400000_NS6detail17trampoline_kernelINS0_14default_configENS1_38merge_sort_block_merge_config_selectorIdNS0_10empty_typeEEEZZNS1_27merge_sort_block_merge_implIS3_N6thrust23THRUST_200600_302600_NS6detail15normal_iteratorINS9_10device_ptrIdEEEEPS5_m14custom_greaterIdEEE10hipError_tT0_T1_T2_jT3_P12ihipStream_tbPNSt15iterator_traitsISJ_E10value_typeEPNSP_ISK_E10value_typeEPSL_NS1_7vsmem_tEENKUlT_SJ_SK_SL_E_clISE_PdSF_SF_EESI_SY_SJ_SK_SL_EUlSY_E0_NS1_11comp_targetILNS1_3genE2ELNS1_11target_archE906ELNS1_3gpuE6ELNS1_3repE0EEENS1_38merge_mergepath_config_static_selectorELNS0_4arch9wavefront6targetE1EEEvSK_
		.amdhsa_group_segment_fixed_size 0
		.amdhsa_private_segment_fixed_size 0
		.amdhsa_kernarg_size 72
		.amdhsa_user_sgpr_count 6
		.amdhsa_user_sgpr_private_segment_buffer 1
		.amdhsa_user_sgpr_dispatch_ptr 0
		.amdhsa_user_sgpr_queue_ptr 0
		.amdhsa_user_sgpr_kernarg_segment_ptr 1
		.amdhsa_user_sgpr_dispatch_id 0
		.amdhsa_user_sgpr_flat_scratch_init 0
		.amdhsa_user_sgpr_kernarg_preload_length 0
		.amdhsa_user_sgpr_kernarg_preload_offset 0
		.amdhsa_user_sgpr_private_segment_size 0
		.amdhsa_uses_dynamic_stack 0
		.amdhsa_system_sgpr_private_segment_wavefront_offset 0
		.amdhsa_system_sgpr_workgroup_id_x 1
		.amdhsa_system_sgpr_workgroup_id_y 0
		.amdhsa_system_sgpr_workgroup_id_z 0
		.amdhsa_system_sgpr_workgroup_info 0
		.amdhsa_system_vgpr_workitem_id 0
		.amdhsa_next_free_vgpr 1
		.amdhsa_next_free_sgpr 0
		.amdhsa_accum_offset 4
		.amdhsa_reserve_vcc 0
		.amdhsa_reserve_flat_scratch 0
		.amdhsa_float_round_mode_32 0
		.amdhsa_float_round_mode_16_64 0
		.amdhsa_float_denorm_mode_32 3
		.amdhsa_float_denorm_mode_16_64 3
		.amdhsa_dx10_clamp 1
		.amdhsa_ieee_mode 1
		.amdhsa_fp16_overflow 0
		.amdhsa_tg_split 0
		.amdhsa_exception_fp_ieee_invalid_op 0
		.amdhsa_exception_fp_denorm_src 0
		.amdhsa_exception_fp_ieee_div_zero 0
		.amdhsa_exception_fp_ieee_overflow 0
		.amdhsa_exception_fp_ieee_underflow 0
		.amdhsa_exception_fp_ieee_inexact 0
		.amdhsa_exception_int_div_zero 0
	.end_amdhsa_kernel
	.section	.text._ZN7rocprim17ROCPRIM_400000_NS6detail17trampoline_kernelINS0_14default_configENS1_38merge_sort_block_merge_config_selectorIdNS0_10empty_typeEEEZZNS1_27merge_sort_block_merge_implIS3_N6thrust23THRUST_200600_302600_NS6detail15normal_iteratorINS9_10device_ptrIdEEEEPS5_m14custom_greaterIdEEE10hipError_tT0_T1_T2_jT3_P12ihipStream_tbPNSt15iterator_traitsISJ_E10value_typeEPNSP_ISK_E10value_typeEPSL_NS1_7vsmem_tEENKUlT_SJ_SK_SL_E_clISE_PdSF_SF_EESI_SY_SJ_SK_SL_EUlSY_E0_NS1_11comp_targetILNS1_3genE2ELNS1_11target_archE906ELNS1_3gpuE6ELNS1_3repE0EEENS1_38merge_mergepath_config_static_selectorELNS0_4arch9wavefront6targetE1EEEvSK_,"axG",@progbits,_ZN7rocprim17ROCPRIM_400000_NS6detail17trampoline_kernelINS0_14default_configENS1_38merge_sort_block_merge_config_selectorIdNS0_10empty_typeEEEZZNS1_27merge_sort_block_merge_implIS3_N6thrust23THRUST_200600_302600_NS6detail15normal_iteratorINS9_10device_ptrIdEEEEPS5_m14custom_greaterIdEEE10hipError_tT0_T1_T2_jT3_P12ihipStream_tbPNSt15iterator_traitsISJ_E10value_typeEPNSP_ISK_E10value_typeEPSL_NS1_7vsmem_tEENKUlT_SJ_SK_SL_E_clISE_PdSF_SF_EESI_SY_SJ_SK_SL_EUlSY_E0_NS1_11comp_targetILNS1_3genE2ELNS1_11target_archE906ELNS1_3gpuE6ELNS1_3repE0EEENS1_38merge_mergepath_config_static_selectorELNS0_4arch9wavefront6targetE1EEEvSK_,comdat
.Lfunc_end3650:
	.size	_ZN7rocprim17ROCPRIM_400000_NS6detail17trampoline_kernelINS0_14default_configENS1_38merge_sort_block_merge_config_selectorIdNS0_10empty_typeEEEZZNS1_27merge_sort_block_merge_implIS3_N6thrust23THRUST_200600_302600_NS6detail15normal_iteratorINS9_10device_ptrIdEEEEPS5_m14custom_greaterIdEEE10hipError_tT0_T1_T2_jT3_P12ihipStream_tbPNSt15iterator_traitsISJ_E10value_typeEPNSP_ISK_E10value_typeEPSL_NS1_7vsmem_tEENKUlT_SJ_SK_SL_E_clISE_PdSF_SF_EESI_SY_SJ_SK_SL_EUlSY_E0_NS1_11comp_targetILNS1_3genE2ELNS1_11target_archE906ELNS1_3gpuE6ELNS1_3repE0EEENS1_38merge_mergepath_config_static_selectorELNS0_4arch9wavefront6targetE1EEEvSK_, .Lfunc_end3650-_ZN7rocprim17ROCPRIM_400000_NS6detail17trampoline_kernelINS0_14default_configENS1_38merge_sort_block_merge_config_selectorIdNS0_10empty_typeEEEZZNS1_27merge_sort_block_merge_implIS3_N6thrust23THRUST_200600_302600_NS6detail15normal_iteratorINS9_10device_ptrIdEEEEPS5_m14custom_greaterIdEEE10hipError_tT0_T1_T2_jT3_P12ihipStream_tbPNSt15iterator_traitsISJ_E10value_typeEPNSP_ISK_E10value_typeEPSL_NS1_7vsmem_tEENKUlT_SJ_SK_SL_E_clISE_PdSF_SF_EESI_SY_SJ_SK_SL_EUlSY_E0_NS1_11comp_targetILNS1_3genE2ELNS1_11target_archE906ELNS1_3gpuE6ELNS1_3repE0EEENS1_38merge_mergepath_config_static_selectorELNS0_4arch9wavefront6targetE1EEEvSK_
                                        ; -- End function
	.section	.AMDGPU.csdata,"",@progbits
; Kernel info:
; codeLenInByte = 0
; NumSgprs: 4
; NumVgprs: 0
; NumAgprs: 0
; TotalNumVgprs: 0
; ScratchSize: 0
; MemoryBound: 0
; FloatMode: 240
; IeeeMode: 1
; LDSByteSize: 0 bytes/workgroup (compile time only)
; SGPRBlocks: 0
; VGPRBlocks: 0
; NumSGPRsForWavesPerEU: 4
; NumVGPRsForWavesPerEU: 1
; AccumOffset: 4
; Occupancy: 8
; WaveLimiterHint : 0
; COMPUTE_PGM_RSRC2:SCRATCH_EN: 0
; COMPUTE_PGM_RSRC2:USER_SGPR: 6
; COMPUTE_PGM_RSRC2:TRAP_HANDLER: 0
; COMPUTE_PGM_RSRC2:TGID_X_EN: 1
; COMPUTE_PGM_RSRC2:TGID_Y_EN: 0
; COMPUTE_PGM_RSRC2:TGID_Z_EN: 0
; COMPUTE_PGM_RSRC2:TIDIG_COMP_CNT: 0
; COMPUTE_PGM_RSRC3_GFX90A:ACCUM_OFFSET: 0
; COMPUTE_PGM_RSRC3_GFX90A:TG_SPLIT: 0
	.section	.text._ZN7rocprim17ROCPRIM_400000_NS6detail17trampoline_kernelINS0_14default_configENS1_38merge_sort_block_merge_config_selectorIdNS0_10empty_typeEEEZZNS1_27merge_sort_block_merge_implIS3_N6thrust23THRUST_200600_302600_NS6detail15normal_iteratorINS9_10device_ptrIdEEEEPS5_m14custom_greaterIdEEE10hipError_tT0_T1_T2_jT3_P12ihipStream_tbPNSt15iterator_traitsISJ_E10value_typeEPNSP_ISK_E10value_typeEPSL_NS1_7vsmem_tEENKUlT_SJ_SK_SL_E_clISE_PdSF_SF_EESI_SY_SJ_SK_SL_EUlSY_E0_NS1_11comp_targetILNS1_3genE9ELNS1_11target_archE1100ELNS1_3gpuE3ELNS1_3repE0EEENS1_38merge_mergepath_config_static_selectorELNS0_4arch9wavefront6targetE1EEEvSK_,"axG",@progbits,_ZN7rocprim17ROCPRIM_400000_NS6detail17trampoline_kernelINS0_14default_configENS1_38merge_sort_block_merge_config_selectorIdNS0_10empty_typeEEEZZNS1_27merge_sort_block_merge_implIS3_N6thrust23THRUST_200600_302600_NS6detail15normal_iteratorINS9_10device_ptrIdEEEEPS5_m14custom_greaterIdEEE10hipError_tT0_T1_T2_jT3_P12ihipStream_tbPNSt15iterator_traitsISJ_E10value_typeEPNSP_ISK_E10value_typeEPSL_NS1_7vsmem_tEENKUlT_SJ_SK_SL_E_clISE_PdSF_SF_EESI_SY_SJ_SK_SL_EUlSY_E0_NS1_11comp_targetILNS1_3genE9ELNS1_11target_archE1100ELNS1_3gpuE3ELNS1_3repE0EEENS1_38merge_mergepath_config_static_selectorELNS0_4arch9wavefront6targetE1EEEvSK_,comdat
	.protected	_ZN7rocprim17ROCPRIM_400000_NS6detail17trampoline_kernelINS0_14default_configENS1_38merge_sort_block_merge_config_selectorIdNS0_10empty_typeEEEZZNS1_27merge_sort_block_merge_implIS3_N6thrust23THRUST_200600_302600_NS6detail15normal_iteratorINS9_10device_ptrIdEEEEPS5_m14custom_greaterIdEEE10hipError_tT0_T1_T2_jT3_P12ihipStream_tbPNSt15iterator_traitsISJ_E10value_typeEPNSP_ISK_E10value_typeEPSL_NS1_7vsmem_tEENKUlT_SJ_SK_SL_E_clISE_PdSF_SF_EESI_SY_SJ_SK_SL_EUlSY_E0_NS1_11comp_targetILNS1_3genE9ELNS1_11target_archE1100ELNS1_3gpuE3ELNS1_3repE0EEENS1_38merge_mergepath_config_static_selectorELNS0_4arch9wavefront6targetE1EEEvSK_ ; -- Begin function _ZN7rocprim17ROCPRIM_400000_NS6detail17trampoline_kernelINS0_14default_configENS1_38merge_sort_block_merge_config_selectorIdNS0_10empty_typeEEEZZNS1_27merge_sort_block_merge_implIS3_N6thrust23THRUST_200600_302600_NS6detail15normal_iteratorINS9_10device_ptrIdEEEEPS5_m14custom_greaterIdEEE10hipError_tT0_T1_T2_jT3_P12ihipStream_tbPNSt15iterator_traitsISJ_E10value_typeEPNSP_ISK_E10value_typeEPSL_NS1_7vsmem_tEENKUlT_SJ_SK_SL_E_clISE_PdSF_SF_EESI_SY_SJ_SK_SL_EUlSY_E0_NS1_11comp_targetILNS1_3genE9ELNS1_11target_archE1100ELNS1_3gpuE3ELNS1_3repE0EEENS1_38merge_mergepath_config_static_selectorELNS0_4arch9wavefront6targetE1EEEvSK_
	.globl	_ZN7rocprim17ROCPRIM_400000_NS6detail17trampoline_kernelINS0_14default_configENS1_38merge_sort_block_merge_config_selectorIdNS0_10empty_typeEEEZZNS1_27merge_sort_block_merge_implIS3_N6thrust23THRUST_200600_302600_NS6detail15normal_iteratorINS9_10device_ptrIdEEEEPS5_m14custom_greaterIdEEE10hipError_tT0_T1_T2_jT3_P12ihipStream_tbPNSt15iterator_traitsISJ_E10value_typeEPNSP_ISK_E10value_typeEPSL_NS1_7vsmem_tEENKUlT_SJ_SK_SL_E_clISE_PdSF_SF_EESI_SY_SJ_SK_SL_EUlSY_E0_NS1_11comp_targetILNS1_3genE9ELNS1_11target_archE1100ELNS1_3gpuE3ELNS1_3repE0EEENS1_38merge_mergepath_config_static_selectorELNS0_4arch9wavefront6targetE1EEEvSK_
	.p2align	8
	.type	_ZN7rocprim17ROCPRIM_400000_NS6detail17trampoline_kernelINS0_14default_configENS1_38merge_sort_block_merge_config_selectorIdNS0_10empty_typeEEEZZNS1_27merge_sort_block_merge_implIS3_N6thrust23THRUST_200600_302600_NS6detail15normal_iteratorINS9_10device_ptrIdEEEEPS5_m14custom_greaterIdEEE10hipError_tT0_T1_T2_jT3_P12ihipStream_tbPNSt15iterator_traitsISJ_E10value_typeEPNSP_ISK_E10value_typeEPSL_NS1_7vsmem_tEENKUlT_SJ_SK_SL_E_clISE_PdSF_SF_EESI_SY_SJ_SK_SL_EUlSY_E0_NS1_11comp_targetILNS1_3genE9ELNS1_11target_archE1100ELNS1_3gpuE3ELNS1_3repE0EEENS1_38merge_mergepath_config_static_selectorELNS0_4arch9wavefront6targetE1EEEvSK_,@function
_ZN7rocprim17ROCPRIM_400000_NS6detail17trampoline_kernelINS0_14default_configENS1_38merge_sort_block_merge_config_selectorIdNS0_10empty_typeEEEZZNS1_27merge_sort_block_merge_implIS3_N6thrust23THRUST_200600_302600_NS6detail15normal_iteratorINS9_10device_ptrIdEEEEPS5_m14custom_greaterIdEEE10hipError_tT0_T1_T2_jT3_P12ihipStream_tbPNSt15iterator_traitsISJ_E10value_typeEPNSP_ISK_E10value_typeEPSL_NS1_7vsmem_tEENKUlT_SJ_SK_SL_E_clISE_PdSF_SF_EESI_SY_SJ_SK_SL_EUlSY_E0_NS1_11comp_targetILNS1_3genE9ELNS1_11target_archE1100ELNS1_3gpuE3ELNS1_3repE0EEENS1_38merge_mergepath_config_static_selectorELNS0_4arch9wavefront6targetE1EEEvSK_: ; @_ZN7rocprim17ROCPRIM_400000_NS6detail17trampoline_kernelINS0_14default_configENS1_38merge_sort_block_merge_config_selectorIdNS0_10empty_typeEEEZZNS1_27merge_sort_block_merge_implIS3_N6thrust23THRUST_200600_302600_NS6detail15normal_iteratorINS9_10device_ptrIdEEEEPS5_m14custom_greaterIdEEE10hipError_tT0_T1_T2_jT3_P12ihipStream_tbPNSt15iterator_traitsISJ_E10value_typeEPNSP_ISK_E10value_typeEPSL_NS1_7vsmem_tEENKUlT_SJ_SK_SL_E_clISE_PdSF_SF_EESI_SY_SJ_SK_SL_EUlSY_E0_NS1_11comp_targetILNS1_3genE9ELNS1_11target_archE1100ELNS1_3gpuE3ELNS1_3repE0EEENS1_38merge_mergepath_config_static_selectorELNS0_4arch9wavefront6targetE1EEEvSK_
; %bb.0:
	.section	.rodata,"a",@progbits
	.p2align	6, 0x0
	.amdhsa_kernel _ZN7rocprim17ROCPRIM_400000_NS6detail17trampoline_kernelINS0_14default_configENS1_38merge_sort_block_merge_config_selectorIdNS0_10empty_typeEEEZZNS1_27merge_sort_block_merge_implIS3_N6thrust23THRUST_200600_302600_NS6detail15normal_iteratorINS9_10device_ptrIdEEEEPS5_m14custom_greaterIdEEE10hipError_tT0_T1_T2_jT3_P12ihipStream_tbPNSt15iterator_traitsISJ_E10value_typeEPNSP_ISK_E10value_typeEPSL_NS1_7vsmem_tEENKUlT_SJ_SK_SL_E_clISE_PdSF_SF_EESI_SY_SJ_SK_SL_EUlSY_E0_NS1_11comp_targetILNS1_3genE9ELNS1_11target_archE1100ELNS1_3gpuE3ELNS1_3repE0EEENS1_38merge_mergepath_config_static_selectorELNS0_4arch9wavefront6targetE1EEEvSK_
		.amdhsa_group_segment_fixed_size 0
		.amdhsa_private_segment_fixed_size 0
		.amdhsa_kernarg_size 72
		.amdhsa_user_sgpr_count 6
		.amdhsa_user_sgpr_private_segment_buffer 1
		.amdhsa_user_sgpr_dispatch_ptr 0
		.amdhsa_user_sgpr_queue_ptr 0
		.amdhsa_user_sgpr_kernarg_segment_ptr 1
		.amdhsa_user_sgpr_dispatch_id 0
		.amdhsa_user_sgpr_flat_scratch_init 0
		.amdhsa_user_sgpr_kernarg_preload_length 0
		.amdhsa_user_sgpr_kernarg_preload_offset 0
		.amdhsa_user_sgpr_private_segment_size 0
		.amdhsa_uses_dynamic_stack 0
		.amdhsa_system_sgpr_private_segment_wavefront_offset 0
		.amdhsa_system_sgpr_workgroup_id_x 1
		.amdhsa_system_sgpr_workgroup_id_y 0
		.amdhsa_system_sgpr_workgroup_id_z 0
		.amdhsa_system_sgpr_workgroup_info 0
		.amdhsa_system_vgpr_workitem_id 0
		.amdhsa_next_free_vgpr 1
		.amdhsa_next_free_sgpr 0
		.amdhsa_accum_offset 4
		.amdhsa_reserve_vcc 0
		.amdhsa_reserve_flat_scratch 0
		.amdhsa_float_round_mode_32 0
		.amdhsa_float_round_mode_16_64 0
		.amdhsa_float_denorm_mode_32 3
		.amdhsa_float_denorm_mode_16_64 3
		.amdhsa_dx10_clamp 1
		.amdhsa_ieee_mode 1
		.amdhsa_fp16_overflow 0
		.amdhsa_tg_split 0
		.amdhsa_exception_fp_ieee_invalid_op 0
		.amdhsa_exception_fp_denorm_src 0
		.amdhsa_exception_fp_ieee_div_zero 0
		.amdhsa_exception_fp_ieee_overflow 0
		.amdhsa_exception_fp_ieee_underflow 0
		.amdhsa_exception_fp_ieee_inexact 0
		.amdhsa_exception_int_div_zero 0
	.end_amdhsa_kernel
	.section	.text._ZN7rocprim17ROCPRIM_400000_NS6detail17trampoline_kernelINS0_14default_configENS1_38merge_sort_block_merge_config_selectorIdNS0_10empty_typeEEEZZNS1_27merge_sort_block_merge_implIS3_N6thrust23THRUST_200600_302600_NS6detail15normal_iteratorINS9_10device_ptrIdEEEEPS5_m14custom_greaterIdEEE10hipError_tT0_T1_T2_jT3_P12ihipStream_tbPNSt15iterator_traitsISJ_E10value_typeEPNSP_ISK_E10value_typeEPSL_NS1_7vsmem_tEENKUlT_SJ_SK_SL_E_clISE_PdSF_SF_EESI_SY_SJ_SK_SL_EUlSY_E0_NS1_11comp_targetILNS1_3genE9ELNS1_11target_archE1100ELNS1_3gpuE3ELNS1_3repE0EEENS1_38merge_mergepath_config_static_selectorELNS0_4arch9wavefront6targetE1EEEvSK_,"axG",@progbits,_ZN7rocprim17ROCPRIM_400000_NS6detail17trampoline_kernelINS0_14default_configENS1_38merge_sort_block_merge_config_selectorIdNS0_10empty_typeEEEZZNS1_27merge_sort_block_merge_implIS3_N6thrust23THRUST_200600_302600_NS6detail15normal_iteratorINS9_10device_ptrIdEEEEPS5_m14custom_greaterIdEEE10hipError_tT0_T1_T2_jT3_P12ihipStream_tbPNSt15iterator_traitsISJ_E10value_typeEPNSP_ISK_E10value_typeEPSL_NS1_7vsmem_tEENKUlT_SJ_SK_SL_E_clISE_PdSF_SF_EESI_SY_SJ_SK_SL_EUlSY_E0_NS1_11comp_targetILNS1_3genE9ELNS1_11target_archE1100ELNS1_3gpuE3ELNS1_3repE0EEENS1_38merge_mergepath_config_static_selectorELNS0_4arch9wavefront6targetE1EEEvSK_,comdat
.Lfunc_end3651:
	.size	_ZN7rocprim17ROCPRIM_400000_NS6detail17trampoline_kernelINS0_14default_configENS1_38merge_sort_block_merge_config_selectorIdNS0_10empty_typeEEEZZNS1_27merge_sort_block_merge_implIS3_N6thrust23THRUST_200600_302600_NS6detail15normal_iteratorINS9_10device_ptrIdEEEEPS5_m14custom_greaterIdEEE10hipError_tT0_T1_T2_jT3_P12ihipStream_tbPNSt15iterator_traitsISJ_E10value_typeEPNSP_ISK_E10value_typeEPSL_NS1_7vsmem_tEENKUlT_SJ_SK_SL_E_clISE_PdSF_SF_EESI_SY_SJ_SK_SL_EUlSY_E0_NS1_11comp_targetILNS1_3genE9ELNS1_11target_archE1100ELNS1_3gpuE3ELNS1_3repE0EEENS1_38merge_mergepath_config_static_selectorELNS0_4arch9wavefront6targetE1EEEvSK_, .Lfunc_end3651-_ZN7rocprim17ROCPRIM_400000_NS6detail17trampoline_kernelINS0_14default_configENS1_38merge_sort_block_merge_config_selectorIdNS0_10empty_typeEEEZZNS1_27merge_sort_block_merge_implIS3_N6thrust23THRUST_200600_302600_NS6detail15normal_iteratorINS9_10device_ptrIdEEEEPS5_m14custom_greaterIdEEE10hipError_tT0_T1_T2_jT3_P12ihipStream_tbPNSt15iterator_traitsISJ_E10value_typeEPNSP_ISK_E10value_typeEPSL_NS1_7vsmem_tEENKUlT_SJ_SK_SL_E_clISE_PdSF_SF_EESI_SY_SJ_SK_SL_EUlSY_E0_NS1_11comp_targetILNS1_3genE9ELNS1_11target_archE1100ELNS1_3gpuE3ELNS1_3repE0EEENS1_38merge_mergepath_config_static_selectorELNS0_4arch9wavefront6targetE1EEEvSK_
                                        ; -- End function
	.section	.AMDGPU.csdata,"",@progbits
; Kernel info:
; codeLenInByte = 0
; NumSgprs: 4
; NumVgprs: 0
; NumAgprs: 0
; TotalNumVgprs: 0
; ScratchSize: 0
; MemoryBound: 0
; FloatMode: 240
; IeeeMode: 1
; LDSByteSize: 0 bytes/workgroup (compile time only)
; SGPRBlocks: 0
; VGPRBlocks: 0
; NumSGPRsForWavesPerEU: 4
; NumVGPRsForWavesPerEU: 1
; AccumOffset: 4
; Occupancy: 8
; WaveLimiterHint : 0
; COMPUTE_PGM_RSRC2:SCRATCH_EN: 0
; COMPUTE_PGM_RSRC2:USER_SGPR: 6
; COMPUTE_PGM_RSRC2:TRAP_HANDLER: 0
; COMPUTE_PGM_RSRC2:TGID_X_EN: 1
; COMPUTE_PGM_RSRC2:TGID_Y_EN: 0
; COMPUTE_PGM_RSRC2:TGID_Z_EN: 0
; COMPUTE_PGM_RSRC2:TIDIG_COMP_CNT: 0
; COMPUTE_PGM_RSRC3_GFX90A:ACCUM_OFFSET: 0
; COMPUTE_PGM_RSRC3_GFX90A:TG_SPLIT: 0
	.section	.text._ZN7rocprim17ROCPRIM_400000_NS6detail17trampoline_kernelINS0_14default_configENS1_38merge_sort_block_merge_config_selectorIdNS0_10empty_typeEEEZZNS1_27merge_sort_block_merge_implIS3_N6thrust23THRUST_200600_302600_NS6detail15normal_iteratorINS9_10device_ptrIdEEEEPS5_m14custom_greaterIdEEE10hipError_tT0_T1_T2_jT3_P12ihipStream_tbPNSt15iterator_traitsISJ_E10value_typeEPNSP_ISK_E10value_typeEPSL_NS1_7vsmem_tEENKUlT_SJ_SK_SL_E_clISE_PdSF_SF_EESI_SY_SJ_SK_SL_EUlSY_E0_NS1_11comp_targetILNS1_3genE8ELNS1_11target_archE1030ELNS1_3gpuE2ELNS1_3repE0EEENS1_38merge_mergepath_config_static_selectorELNS0_4arch9wavefront6targetE1EEEvSK_,"axG",@progbits,_ZN7rocprim17ROCPRIM_400000_NS6detail17trampoline_kernelINS0_14default_configENS1_38merge_sort_block_merge_config_selectorIdNS0_10empty_typeEEEZZNS1_27merge_sort_block_merge_implIS3_N6thrust23THRUST_200600_302600_NS6detail15normal_iteratorINS9_10device_ptrIdEEEEPS5_m14custom_greaterIdEEE10hipError_tT0_T1_T2_jT3_P12ihipStream_tbPNSt15iterator_traitsISJ_E10value_typeEPNSP_ISK_E10value_typeEPSL_NS1_7vsmem_tEENKUlT_SJ_SK_SL_E_clISE_PdSF_SF_EESI_SY_SJ_SK_SL_EUlSY_E0_NS1_11comp_targetILNS1_3genE8ELNS1_11target_archE1030ELNS1_3gpuE2ELNS1_3repE0EEENS1_38merge_mergepath_config_static_selectorELNS0_4arch9wavefront6targetE1EEEvSK_,comdat
	.protected	_ZN7rocprim17ROCPRIM_400000_NS6detail17trampoline_kernelINS0_14default_configENS1_38merge_sort_block_merge_config_selectorIdNS0_10empty_typeEEEZZNS1_27merge_sort_block_merge_implIS3_N6thrust23THRUST_200600_302600_NS6detail15normal_iteratorINS9_10device_ptrIdEEEEPS5_m14custom_greaterIdEEE10hipError_tT0_T1_T2_jT3_P12ihipStream_tbPNSt15iterator_traitsISJ_E10value_typeEPNSP_ISK_E10value_typeEPSL_NS1_7vsmem_tEENKUlT_SJ_SK_SL_E_clISE_PdSF_SF_EESI_SY_SJ_SK_SL_EUlSY_E0_NS1_11comp_targetILNS1_3genE8ELNS1_11target_archE1030ELNS1_3gpuE2ELNS1_3repE0EEENS1_38merge_mergepath_config_static_selectorELNS0_4arch9wavefront6targetE1EEEvSK_ ; -- Begin function _ZN7rocprim17ROCPRIM_400000_NS6detail17trampoline_kernelINS0_14default_configENS1_38merge_sort_block_merge_config_selectorIdNS0_10empty_typeEEEZZNS1_27merge_sort_block_merge_implIS3_N6thrust23THRUST_200600_302600_NS6detail15normal_iteratorINS9_10device_ptrIdEEEEPS5_m14custom_greaterIdEEE10hipError_tT0_T1_T2_jT3_P12ihipStream_tbPNSt15iterator_traitsISJ_E10value_typeEPNSP_ISK_E10value_typeEPSL_NS1_7vsmem_tEENKUlT_SJ_SK_SL_E_clISE_PdSF_SF_EESI_SY_SJ_SK_SL_EUlSY_E0_NS1_11comp_targetILNS1_3genE8ELNS1_11target_archE1030ELNS1_3gpuE2ELNS1_3repE0EEENS1_38merge_mergepath_config_static_selectorELNS0_4arch9wavefront6targetE1EEEvSK_
	.globl	_ZN7rocprim17ROCPRIM_400000_NS6detail17trampoline_kernelINS0_14default_configENS1_38merge_sort_block_merge_config_selectorIdNS0_10empty_typeEEEZZNS1_27merge_sort_block_merge_implIS3_N6thrust23THRUST_200600_302600_NS6detail15normal_iteratorINS9_10device_ptrIdEEEEPS5_m14custom_greaterIdEEE10hipError_tT0_T1_T2_jT3_P12ihipStream_tbPNSt15iterator_traitsISJ_E10value_typeEPNSP_ISK_E10value_typeEPSL_NS1_7vsmem_tEENKUlT_SJ_SK_SL_E_clISE_PdSF_SF_EESI_SY_SJ_SK_SL_EUlSY_E0_NS1_11comp_targetILNS1_3genE8ELNS1_11target_archE1030ELNS1_3gpuE2ELNS1_3repE0EEENS1_38merge_mergepath_config_static_selectorELNS0_4arch9wavefront6targetE1EEEvSK_
	.p2align	8
	.type	_ZN7rocprim17ROCPRIM_400000_NS6detail17trampoline_kernelINS0_14default_configENS1_38merge_sort_block_merge_config_selectorIdNS0_10empty_typeEEEZZNS1_27merge_sort_block_merge_implIS3_N6thrust23THRUST_200600_302600_NS6detail15normal_iteratorINS9_10device_ptrIdEEEEPS5_m14custom_greaterIdEEE10hipError_tT0_T1_T2_jT3_P12ihipStream_tbPNSt15iterator_traitsISJ_E10value_typeEPNSP_ISK_E10value_typeEPSL_NS1_7vsmem_tEENKUlT_SJ_SK_SL_E_clISE_PdSF_SF_EESI_SY_SJ_SK_SL_EUlSY_E0_NS1_11comp_targetILNS1_3genE8ELNS1_11target_archE1030ELNS1_3gpuE2ELNS1_3repE0EEENS1_38merge_mergepath_config_static_selectorELNS0_4arch9wavefront6targetE1EEEvSK_,@function
_ZN7rocprim17ROCPRIM_400000_NS6detail17trampoline_kernelINS0_14default_configENS1_38merge_sort_block_merge_config_selectorIdNS0_10empty_typeEEEZZNS1_27merge_sort_block_merge_implIS3_N6thrust23THRUST_200600_302600_NS6detail15normal_iteratorINS9_10device_ptrIdEEEEPS5_m14custom_greaterIdEEE10hipError_tT0_T1_T2_jT3_P12ihipStream_tbPNSt15iterator_traitsISJ_E10value_typeEPNSP_ISK_E10value_typeEPSL_NS1_7vsmem_tEENKUlT_SJ_SK_SL_E_clISE_PdSF_SF_EESI_SY_SJ_SK_SL_EUlSY_E0_NS1_11comp_targetILNS1_3genE8ELNS1_11target_archE1030ELNS1_3gpuE2ELNS1_3repE0EEENS1_38merge_mergepath_config_static_selectorELNS0_4arch9wavefront6targetE1EEEvSK_: ; @_ZN7rocprim17ROCPRIM_400000_NS6detail17trampoline_kernelINS0_14default_configENS1_38merge_sort_block_merge_config_selectorIdNS0_10empty_typeEEEZZNS1_27merge_sort_block_merge_implIS3_N6thrust23THRUST_200600_302600_NS6detail15normal_iteratorINS9_10device_ptrIdEEEEPS5_m14custom_greaterIdEEE10hipError_tT0_T1_T2_jT3_P12ihipStream_tbPNSt15iterator_traitsISJ_E10value_typeEPNSP_ISK_E10value_typeEPSL_NS1_7vsmem_tEENKUlT_SJ_SK_SL_E_clISE_PdSF_SF_EESI_SY_SJ_SK_SL_EUlSY_E0_NS1_11comp_targetILNS1_3genE8ELNS1_11target_archE1030ELNS1_3gpuE2ELNS1_3repE0EEENS1_38merge_mergepath_config_static_selectorELNS0_4arch9wavefront6targetE1EEEvSK_
; %bb.0:
	.section	.rodata,"a",@progbits
	.p2align	6, 0x0
	.amdhsa_kernel _ZN7rocprim17ROCPRIM_400000_NS6detail17trampoline_kernelINS0_14default_configENS1_38merge_sort_block_merge_config_selectorIdNS0_10empty_typeEEEZZNS1_27merge_sort_block_merge_implIS3_N6thrust23THRUST_200600_302600_NS6detail15normal_iteratorINS9_10device_ptrIdEEEEPS5_m14custom_greaterIdEEE10hipError_tT0_T1_T2_jT3_P12ihipStream_tbPNSt15iterator_traitsISJ_E10value_typeEPNSP_ISK_E10value_typeEPSL_NS1_7vsmem_tEENKUlT_SJ_SK_SL_E_clISE_PdSF_SF_EESI_SY_SJ_SK_SL_EUlSY_E0_NS1_11comp_targetILNS1_3genE8ELNS1_11target_archE1030ELNS1_3gpuE2ELNS1_3repE0EEENS1_38merge_mergepath_config_static_selectorELNS0_4arch9wavefront6targetE1EEEvSK_
		.amdhsa_group_segment_fixed_size 0
		.amdhsa_private_segment_fixed_size 0
		.amdhsa_kernarg_size 72
		.amdhsa_user_sgpr_count 6
		.amdhsa_user_sgpr_private_segment_buffer 1
		.amdhsa_user_sgpr_dispatch_ptr 0
		.amdhsa_user_sgpr_queue_ptr 0
		.amdhsa_user_sgpr_kernarg_segment_ptr 1
		.amdhsa_user_sgpr_dispatch_id 0
		.amdhsa_user_sgpr_flat_scratch_init 0
		.amdhsa_user_sgpr_kernarg_preload_length 0
		.amdhsa_user_sgpr_kernarg_preload_offset 0
		.amdhsa_user_sgpr_private_segment_size 0
		.amdhsa_uses_dynamic_stack 0
		.amdhsa_system_sgpr_private_segment_wavefront_offset 0
		.amdhsa_system_sgpr_workgroup_id_x 1
		.amdhsa_system_sgpr_workgroup_id_y 0
		.amdhsa_system_sgpr_workgroup_id_z 0
		.amdhsa_system_sgpr_workgroup_info 0
		.amdhsa_system_vgpr_workitem_id 0
		.amdhsa_next_free_vgpr 1
		.amdhsa_next_free_sgpr 0
		.amdhsa_accum_offset 4
		.amdhsa_reserve_vcc 0
		.amdhsa_reserve_flat_scratch 0
		.amdhsa_float_round_mode_32 0
		.amdhsa_float_round_mode_16_64 0
		.amdhsa_float_denorm_mode_32 3
		.amdhsa_float_denorm_mode_16_64 3
		.amdhsa_dx10_clamp 1
		.amdhsa_ieee_mode 1
		.amdhsa_fp16_overflow 0
		.amdhsa_tg_split 0
		.amdhsa_exception_fp_ieee_invalid_op 0
		.amdhsa_exception_fp_denorm_src 0
		.amdhsa_exception_fp_ieee_div_zero 0
		.amdhsa_exception_fp_ieee_overflow 0
		.amdhsa_exception_fp_ieee_underflow 0
		.amdhsa_exception_fp_ieee_inexact 0
		.amdhsa_exception_int_div_zero 0
	.end_amdhsa_kernel
	.section	.text._ZN7rocprim17ROCPRIM_400000_NS6detail17trampoline_kernelINS0_14default_configENS1_38merge_sort_block_merge_config_selectorIdNS0_10empty_typeEEEZZNS1_27merge_sort_block_merge_implIS3_N6thrust23THRUST_200600_302600_NS6detail15normal_iteratorINS9_10device_ptrIdEEEEPS5_m14custom_greaterIdEEE10hipError_tT0_T1_T2_jT3_P12ihipStream_tbPNSt15iterator_traitsISJ_E10value_typeEPNSP_ISK_E10value_typeEPSL_NS1_7vsmem_tEENKUlT_SJ_SK_SL_E_clISE_PdSF_SF_EESI_SY_SJ_SK_SL_EUlSY_E0_NS1_11comp_targetILNS1_3genE8ELNS1_11target_archE1030ELNS1_3gpuE2ELNS1_3repE0EEENS1_38merge_mergepath_config_static_selectorELNS0_4arch9wavefront6targetE1EEEvSK_,"axG",@progbits,_ZN7rocprim17ROCPRIM_400000_NS6detail17trampoline_kernelINS0_14default_configENS1_38merge_sort_block_merge_config_selectorIdNS0_10empty_typeEEEZZNS1_27merge_sort_block_merge_implIS3_N6thrust23THRUST_200600_302600_NS6detail15normal_iteratorINS9_10device_ptrIdEEEEPS5_m14custom_greaterIdEEE10hipError_tT0_T1_T2_jT3_P12ihipStream_tbPNSt15iterator_traitsISJ_E10value_typeEPNSP_ISK_E10value_typeEPSL_NS1_7vsmem_tEENKUlT_SJ_SK_SL_E_clISE_PdSF_SF_EESI_SY_SJ_SK_SL_EUlSY_E0_NS1_11comp_targetILNS1_3genE8ELNS1_11target_archE1030ELNS1_3gpuE2ELNS1_3repE0EEENS1_38merge_mergepath_config_static_selectorELNS0_4arch9wavefront6targetE1EEEvSK_,comdat
.Lfunc_end3652:
	.size	_ZN7rocprim17ROCPRIM_400000_NS6detail17trampoline_kernelINS0_14default_configENS1_38merge_sort_block_merge_config_selectorIdNS0_10empty_typeEEEZZNS1_27merge_sort_block_merge_implIS3_N6thrust23THRUST_200600_302600_NS6detail15normal_iteratorINS9_10device_ptrIdEEEEPS5_m14custom_greaterIdEEE10hipError_tT0_T1_T2_jT3_P12ihipStream_tbPNSt15iterator_traitsISJ_E10value_typeEPNSP_ISK_E10value_typeEPSL_NS1_7vsmem_tEENKUlT_SJ_SK_SL_E_clISE_PdSF_SF_EESI_SY_SJ_SK_SL_EUlSY_E0_NS1_11comp_targetILNS1_3genE8ELNS1_11target_archE1030ELNS1_3gpuE2ELNS1_3repE0EEENS1_38merge_mergepath_config_static_selectorELNS0_4arch9wavefront6targetE1EEEvSK_, .Lfunc_end3652-_ZN7rocprim17ROCPRIM_400000_NS6detail17trampoline_kernelINS0_14default_configENS1_38merge_sort_block_merge_config_selectorIdNS0_10empty_typeEEEZZNS1_27merge_sort_block_merge_implIS3_N6thrust23THRUST_200600_302600_NS6detail15normal_iteratorINS9_10device_ptrIdEEEEPS5_m14custom_greaterIdEEE10hipError_tT0_T1_T2_jT3_P12ihipStream_tbPNSt15iterator_traitsISJ_E10value_typeEPNSP_ISK_E10value_typeEPSL_NS1_7vsmem_tEENKUlT_SJ_SK_SL_E_clISE_PdSF_SF_EESI_SY_SJ_SK_SL_EUlSY_E0_NS1_11comp_targetILNS1_3genE8ELNS1_11target_archE1030ELNS1_3gpuE2ELNS1_3repE0EEENS1_38merge_mergepath_config_static_selectorELNS0_4arch9wavefront6targetE1EEEvSK_
                                        ; -- End function
	.section	.AMDGPU.csdata,"",@progbits
; Kernel info:
; codeLenInByte = 0
; NumSgprs: 4
; NumVgprs: 0
; NumAgprs: 0
; TotalNumVgprs: 0
; ScratchSize: 0
; MemoryBound: 0
; FloatMode: 240
; IeeeMode: 1
; LDSByteSize: 0 bytes/workgroup (compile time only)
; SGPRBlocks: 0
; VGPRBlocks: 0
; NumSGPRsForWavesPerEU: 4
; NumVGPRsForWavesPerEU: 1
; AccumOffset: 4
; Occupancy: 8
; WaveLimiterHint : 0
; COMPUTE_PGM_RSRC2:SCRATCH_EN: 0
; COMPUTE_PGM_RSRC2:USER_SGPR: 6
; COMPUTE_PGM_RSRC2:TRAP_HANDLER: 0
; COMPUTE_PGM_RSRC2:TGID_X_EN: 1
; COMPUTE_PGM_RSRC2:TGID_Y_EN: 0
; COMPUTE_PGM_RSRC2:TGID_Z_EN: 0
; COMPUTE_PGM_RSRC2:TIDIG_COMP_CNT: 0
; COMPUTE_PGM_RSRC3_GFX90A:ACCUM_OFFSET: 0
; COMPUTE_PGM_RSRC3_GFX90A:TG_SPLIT: 0
	.section	.text._ZN7rocprim17ROCPRIM_400000_NS6detail17trampoline_kernelINS0_14default_configENS1_38merge_sort_block_merge_config_selectorIdNS0_10empty_typeEEEZZNS1_27merge_sort_block_merge_implIS3_N6thrust23THRUST_200600_302600_NS6detail15normal_iteratorINS9_10device_ptrIdEEEEPS5_m14custom_greaterIdEEE10hipError_tT0_T1_T2_jT3_P12ihipStream_tbPNSt15iterator_traitsISJ_E10value_typeEPNSP_ISK_E10value_typeEPSL_NS1_7vsmem_tEENKUlT_SJ_SK_SL_E_clISE_PdSF_SF_EESI_SY_SJ_SK_SL_EUlSY_E1_NS1_11comp_targetILNS1_3genE0ELNS1_11target_archE4294967295ELNS1_3gpuE0ELNS1_3repE0EEENS1_36merge_oddeven_config_static_selectorELNS0_4arch9wavefront6targetE1EEEvSK_,"axG",@progbits,_ZN7rocprim17ROCPRIM_400000_NS6detail17trampoline_kernelINS0_14default_configENS1_38merge_sort_block_merge_config_selectorIdNS0_10empty_typeEEEZZNS1_27merge_sort_block_merge_implIS3_N6thrust23THRUST_200600_302600_NS6detail15normal_iteratorINS9_10device_ptrIdEEEEPS5_m14custom_greaterIdEEE10hipError_tT0_T1_T2_jT3_P12ihipStream_tbPNSt15iterator_traitsISJ_E10value_typeEPNSP_ISK_E10value_typeEPSL_NS1_7vsmem_tEENKUlT_SJ_SK_SL_E_clISE_PdSF_SF_EESI_SY_SJ_SK_SL_EUlSY_E1_NS1_11comp_targetILNS1_3genE0ELNS1_11target_archE4294967295ELNS1_3gpuE0ELNS1_3repE0EEENS1_36merge_oddeven_config_static_selectorELNS0_4arch9wavefront6targetE1EEEvSK_,comdat
	.protected	_ZN7rocprim17ROCPRIM_400000_NS6detail17trampoline_kernelINS0_14default_configENS1_38merge_sort_block_merge_config_selectorIdNS0_10empty_typeEEEZZNS1_27merge_sort_block_merge_implIS3_N6thrust23THRUST_200600_302600_NS6detail15normal_iteratorINS9_10device_ptrIdEEEEPS5_m14custom_greaterIdEEE10hipError_tT0_T1_T2_jT3_P12ihipStream_tbPNSt15iterator_traitsISJ_E10value_typeEPNSP_ISK_E10value_typeEPSL_NS1_7vsmem_tEENKUlT_SJ_SK_SL_E_clISE_PdSF_SF_EESI_SY_SJ_SK_SL_EUlSY_E1_NS1_11comp_targetILNS1_3genE0ELNS1_11target_archE4294967295ELNS1_3gpuE0ELNS1_3repE0EEENS1_36merge_oddeven_config_static_selectorELNS0_4arch9wavefront6targetE1EEEvSK_ ; -- Begin function _ZN7rocprim17ROCPRIM_400000_NS6detail17trampoline_kernelINS0_14default_configENS1_38merge_sort_block_merge_config_selectorIdNS0_10empty_typeEEEZZNS1_27merge_sort_block_merge_implIS3_N6thrust23THRUST_200600_302600_NS6detail15normal_iteratorINS9_10device_ptrIdEEEEPS5_m14custom_greaterIdEEE10hipError_tT0_T1_T2_jT3_P12ihipStream_tbPNSt15iterator_traitsISJ_E10value_typeEPNSP_ISK_E10value_typeEPSL_NS1_7vsmem_tEENKUlT_SJ_SK_SL_E_clISE_PdSF_SF_EESI_SY_SJ_SK_SL_EUlSY_E1_NS1_11comp_targetILNS1_3genE0ELNS1_11target_archE4294967295ELNS1_3gpuE0ELNS1_3repE0EEENS1_36merge_oddeven_config_static_selectorELNS0_4arch9wavefront6targetE1EEEvSK_
	.globl	_ZN7rocprim17ROCPRIM_400000_NS6detail17trampoline_kernelINS0_14default_configENS1_38merge_sort_block_merge_config_selectorIdNS0_10empty_typeEEEZZNS1_27merge_sort_block_merge_implIS3_N6thrust23THRUST_200600_302600_NS6detail15normal_iteratorINS9_10device_ptrIdEEEEPS5_m14custom_greaterIdEEE10hipError_tT0_T1_T2_jT3_P12ihipStream_tbPNSt15iterator_traitsISJ_E10value_typeEPNSP_ISK_E10value_typeEPSL_NS1_7vsmem_tEENKUlT_SJ_SK_SL_E_clISE_PdSF_SF_EESI_SY_SJ_SK_SL_EUlSY_E1_NS1_11comp_targetILNS1_3genE0ELNS1_11target_archE4294967295ELNS1_3gpuE0ELNS1_3repE0EEENS1_36merge_oddeven_config_static_selectorELNS0_4arch9wavefront6targetE1EEEvSK_
	.p2align	8
	.type	_ZN7rocprim17ROCPRIM_400000_NS6detail17trampoline_kernelINS0_14default_configENS1_38merge_sort_block_merge_config_selectorIdNS0_10empty_typeEEEZZNS1_27merge_sort_block_merge_implIS3_N6thrust23THRUST_200600_302600_NS6detail15normal_iteratorINS9_10device_ptrIdEEEEPS5_m14custom_greaterIdEEE10hipError_tT0_T1_T2_jT3_P12ihipStream_tbPNSt15iterator_traitsISJ_E10value_typeEPNSP_ISK_E10value_typeEPSL_NS1_7vsmem_tEENKUlT_SJ_SK_SL_E_clISE_PdSF_SF_EESI_SY_SJ_SK_SL_EUlSY_E1_NS1_11comp_targetILNS1_3genE0ELNS1_11target_archE4294967295ELNS1_3gpuE0ELNS1_3repE0EEENS1_36merge_oddeven_config_static_selectorELNS0_4arch9wavefront6targetE1EEEvSK_,@function
_ZN7rocprim17ROCPRIM_400000_NS6detail17trampoline_kernelINS0_14default_configENS1_38merge_sort_block_merge_config_selectorIdNS0_10empty_typeEEEZZNS1_27merge_sort_block_merge_implIS3_N6thrust23THRUST_200600_302600_NS6detail15normal_iteratorINS9_10device_ptrIdEEEEPS5_m14custom_greaterIdEEE10hipError_tT0_T1_T2_jT3_P12ihipStream_tbPNSt15iterator_traitsISJ_E10value_typeEPNSP_ISK_E10value_typeEPSL_NS1_7vsmem_tEENKUlT_SJ_SK_SL_E_clISE_PdSF_SF_EESI_SY_SJ_SK_SL_EUlSY_E1_NS1_11comp_targetILNS1_3genE0ELNS1_11target_archE4294967295ELNS1_3gpuE0ELNS1_3repE0EEENS1_36merge_oddeven_config_static_selectorELNS0_4arch9wavefront6targetE1EEEvSK_: ; @_ZN7rocprim17ROCPRIM_400000_NS6detail17trampoline_kernelINS0_14default_configENS1_38merge_sort_block_merge_config_selectorIdNS0_10empty_typeEEEZZNS1_27merge_sort_block_merge_implIS3_N6thrust23THRUST_200600_302600_NS6detail15normal_iteratorINS9_10device_ptrIdEEEEPS5_m14custom_greaterIdEEE10hipError_tT0_T1_T2_jT3_P12ihipStream_tbPNSt15iterator_traitsISJ_E10value_typeEPNSP_ISK_E10value_typeEPSL_NS1_7vsmem_tEENKUlT_SJ_SK_SL_E_clISE_PdSF_SF_EESI_SY_SJ_SK_SL_EUlSY_E1_NS1_11comp_targetILNS1_3genE0ELNS1_11target_archE4294967295ELNS1_3gpuE0ELNS1_3repE0EEENS1_36merge_oddeven_config_static_selectorELNS0_4arch9wavefront6targetE1EEEvSK_
; %bb.0:
	.section	.rodata,"a",@progbits
	.p2align	6, 0x0
	.amdhsa_kernel _ZN7rocprim17ROCPRIM_400000_NS6detail17trampoline_kernelINS0_14default_configENS1_38merge_sort_block_merge_config_selectorIdNS0_10empty_typeEEEZZNS1_27merge_sort_block_merge_implIS3_N6thrust23THRUST_200600_302600_NS6detail15normal_iteratorINS9_10device_ptrIdEEEEPS5_m14custom_greaterIdEEE10hipError_tT0_T1_T2_jT3_P12ihipStream_tbPNSt15iterator_traitsISJ_E10value_typeEPNSP_ISK_E10value_typeEPSL_NS1_7vsmem_tEENKUlT_SJ_SK_SL_E_clISE_PdSF_SF_EESI_SY_SJ_SK_SL_EUlSY_E1_NS1_11comp_targetILNS1_3genE0ELNS1_11target_archE4294967295ELNS1_3gpuE0ELNS1_3repE0EEENS1_36merge_oddeven_config_static_selectorELNS0_4arch9wavefront6targetE1EEEvSK_
		.amdhsa_group_segment_fixed_size 0
		.amdhsa_private_segment_fixed_size 0
		.amdhsa_kernarg_size 56
		.amdhsa_user_sgpr_count 6
		.amdhsa_user_sgpr_private_segment_buffer 1
		.amdhsa_user_sgpr_dispatch_ptr 0
		.amdhsa_user_sgpr_queue_ptr 0
		.amdhsa_user_sgpr_kernarg_segment_ptr 1
		.amdhsa_user_sgpr_dispatch_id 0
		.amdhsa_user_sgpr_flat_scratch_init 0
		.amdhsa_user_sgpr_kernarg_preload_length 0
		.amdhsa_user_sgpr_kernarg_preload_offset 0
		.amdhsa_user_sgpr_private_segment_size 0
		.amdhsa_uses_dynamic_stack 0
		.amdhsa_system_sgpr_private_segment_wavefront_offset 0
		.amdhsa_system_sgpr_workgroup_id_x 1
		.amdhsa_system_sgpr_workgroup_id_y 0
		.amdhsa_system_sgpr_workgroup_id_z 0
		.amdhsa_system_sgpr_workgroup_info 0
		.amdhsa_system_vgpr_workitem_id 0
		.amdhsa_next_free_vgpr 1
		.amdhsa_next_free_sgpr 0
		.amdhsa_accum_offset 4
		.amdhsa_reserve_vcc 0
		.amdhsa_reserve_flat_scratch 0
		.amdhsa_float_round_mode_32 0
		.amdhsa_float_round_mode_16_64 0
		.amdhsa_float_denorm_mode_32 3
		.amdhsa_float_denorm_mode_16_64 3
		.amdhsa_dx10_clamp 1
		.amdhsa_ieee_mode 1
		.amdhsa_fp16_overflow 0
		.amdhsa_tg_split 0
		.amdhsa_exception_fp_ieee_invalid_op 0
		.amdhsa_exception_fp_denorm_src 0
		.amdhsa_exception_fp_ieee_div_zero 0
		.amdhsa_exception_fp_ieee_overflow 0
		.amdhsa_exception_fp_ieee_underflow 0
		.amdhsa_exception_fp_ieee_inexact 0
		.amdhsa_exception_int_div_zero 0
	.end_amdhsa_kernel
	.section	.text._ZN7rocprim17ROCPRIM_400000_NS6detail17trampoline_kernelINS0_14default_configENS1_38merge_sort_block_merge_config_selectorIdNS0_10empty_typeEEEZZNS1_27merge_sort_block_merge_implIS3_N6thrust23THRUST_200600_302600_NS6detail15normal_iteratorINS9_10device_ptrIdEEEEPS5_m14custom_greaterIdEEE10hipError_tT0_T1_T2_jT3_P12ihipStream_tbPNSt15iterator_traitsISJ_E10value_typeEPNSP_ISK_E10value_typeEPSL_NS1_7vsmem_tEENKUlT_SJ_SK_SL_E_clISE_PdSF_SF_EESI_SY_SJ_SK_SL_EUlSY_E1_NS1_11comp_targetILNS1_3genE0ELNS1_11target_archE4294967295ELNS1_3gpuE0ELNS1_3repE0EEENS1_36merge_oddeven_config_static_selectorELNS0_4arch9wavefront6targetE1EEEvSK_,"axG",@progbits,_ZN7rocprim17ROCPRIM_400000_NS6detail17trampoline_kernelINS0_14default_configENS1_38merge_sort_block_merge_config_selectorIdNS0_10empty_typeEEEZZNS1_27merge_sort_block_merge_implIS3_N6thrust23THRUST_200600_302600_NS6detail15normal_iteratorINS9_10device_ptrIdEEEEPS5_m14custom_greaterIdEEE10hipError_tT0_T1_T2_jT3_P12ihipStream_tbPNSt15iterator_traitsISJ_E10value_typeEPNSP_ISK_E10value_typeEPSL_NS1_7vsmem_tEENKUlT_SJ_SK_SL_E_clISE_PdSF_SF_EESI_SY_SJ_SK_SL_EUlSY_E1_NS1_11comp_targetILNS1_3genE0ELNS1_11target_archE4294967295ELNS1_3gpuE0ELNS1_3repE0EEENS1_36merge_oddeven_config_static_selectorELNS0_4arch9wavefront6targetE1EEEvSK_,comdat
.Lfunc_end3653:
	.size	_ZN7rocprim17ROCPRIM_400000_NS6detail17trampoline_kernelINS0_14default_configENS1_38merge_sort_block_merge_config_selectorIdNS0_10empty_typeEEEZZNS1_27merge_sort_block_merge_implIS3_N6thrust23THRUST_200600_302600_NS6detail15normal_iteratorINS9_10device_ptrIdEEEEPS5_m14custom_greaterIdEEE10hipError_tT0_T1_T2_jT3_P12ihipStream_tbPNSt15iterator_traitsISJ_E10value_typeEPNSP_ISK_E10value_typeEPSL_NS1_7vsmem_tEENKUlT_SJ_SK_SL_E_clISE_PdSF_SF_EESI_SY_SJ_SK_SL_EUlSY_E1_NS1_11comp_targetILNS1_3genE0ELNS1_11target_archE4294967295ELNS1_3gpuE0ELNS1_3repE0EEENS1_36merge_oddeven_config_static_selectorELNS0_4arch9wavefront6targetE1EEEvSK_, .Lfunc_end3653-_ZN7rocprim17ROCPRIM_400000_NS6detail17trampoline_kernelINS0_14default_configENS1_38merge_sort_block_merge_config_selectorIdNS0_10empty_typeEEEZZNS1_27merge_sort_block_merge_implIS3_N6thrust23THRUST_200600_302600_NS6detail15normal_iteratorINS9_10device_ptrIdEEEEPS5_m14custom_greaterIdEEE10hipError_tT0_T1_T2_jT3_P12ihipStream_tbPNSt15iterator_traitsISJ_E10value_typeEPNSP_ISK_E10value_typeEPSL_NS1_7vsmem_tEENKUlT_SJ_SK_SL_E_clISE_PdSF_SF_EESI_SY_SJ_SK_SL_EUlSY_E1_NS1_11comp_targetILNS1_3genE0ELNS1_11target_archE4294967295ELNS1_3gpuE0ELNS1_3repE0EEENS1_36merge_oddeven_config_static_selectorELNS0_4arch9wavefront6targetE1EEEvSK_
                                        ; -- End function
	.section	.AMDGPU.csdata,"",@progbits
; Kernel info:
; codeLenInByte = 0
; NumSgprs: 4
; NumVgprs: 0
; NumAgprs: 0
; TotalNumVgprs: 0
; ScratchSize: 0
; MemoryBound: 0
; FloatMode: 240
; IeeeMode: 1
; LDSByteSize: 0 bytes/workgroup (compile time only)
; SGPRBlocks: 0
; VGPRBlocks: 0
; NumSGPRsForWavesPerEU: 4
; NumVGPRsForWavesPerEU: 1
; AccumOffset: 4
; Occupancy: 8
; WaveLimiterHint : 0
; COMPUTE_PGM_RSRC2:SCRATCH_EN: 0
; COMPUTE_PGM_RSRC2:USER_SGPR: 6
; COMPUTE_PGM_RSRC2:TRAP_HANDLER: 0
; COMPUTE_PGM_RSRC2:TGID_X_EN: 1
; COMPUTE_PGM_RSRC2:TGID_Y_EN: 0
; COMPUTE_PGM_RSRC2:TGID_Z_EN: 0
; COMPUTE_PGM_RSRC2:TIDIG_COMP_CNT: 0
; COMPUTE_PGM_RSRC3_GFX90A:ACCUM_OFFSET: 0
; COMPUTE_PGM_RSRC3_GFX90A:TG_SPLIT: 0
	.section	.text._ZN7rocprim17ROCPRIM_400000_NS6detail17trampoline_kernelINS0_14default_configENS1_38merge_sort_block_merge_config_selectorIdNS0_10empty_typeEEEZZNS1_27merge_sort_block_merge_implIS3_N6thrust23THRUST_200600_302600_NS6detail15normal_iteratorINS9_10device_ptrIdEEEEPS5_m14custom_greaterIdEEE10hipError_tT0_T1_T2_jT3_P12ihipStream_tbPNSt15iterator_traitsISJ_E10value_typeEPNSP_ISK_E10value_typeEPSL_NS1_7vsmem_tEENKUlT_SJ_SK_SL_E_clISE_PdSF_SF_EESI_SY_SJ_SK_SL_EUlSY_E1_NS1_11comp_targetILNS1_3genE10ELNS1_11target_archE1201ELNS1_3gpuE5ELNS1_3repE0EEENS1_36merge_oddeven_config_static_selectorELNS0_4arch9wavefront6targetE1EEEvSK_,"axG",@progbits,_ZN7rocprim17ROCPRIM_400000_NS6detail17trampoline_kernelINS0_14default_configENS1_38merge_sort_block_merge_config_selectorIdNS0_10empty_typeEEEZZNS1_27merge_sort_block_merge_implIS3_N6thrust23THRUST_200600_302600_NS6detail15normal_iteratorINS9_10device_ptrIdEEEEPS5_m14custom_greaterIdEEE10hipError_tT0_T1_T2_jT3_P12ihipStream_tbPNSt15iterator_traitsISJ_E10value_typeEPNSP_ISK_E10value_typeEPSL_NS1_7vsmem_tEENKUlT_SJ_SK_SL_E_clISE_PdSF_SF_EESI_SY_SJ_SK_SL_EUlSY_E1_NS1_11comp_targetILNS1_3genE10ELNS1_11target_archE1201ELNS1_3gpuE5ELNS1_3repE0EEENS1_36merge_oddeven_config_static_selectorELNS0_4arch9wavefront6targetE1EEEvSK_,comdat
	.protected	_ZN7rocprim17ROCPRIM_400000_NS6detail17trampoline_kernelINS0_14default_configENS1_38merge_sort_block_merge_config_selectorIdNS0_10empty_typeEEEZZNS1_27merge_sort_block_merge_implIS3_N6thrust23THRUST_200600_302600_NS6detail15normal_iteratorINS9_10device_ptrIdEEEEPS5_m14custom_greaterIdEEE10hipError_tT0_T1_T2_jT3_P12ihipStream_tbPNSt15iterator_traitsISJ_E10value_typeEPNSP_ISK_E10value_typeEPSL_NS1_7vsmem_tEENKUlT_SJ_SK_SL_E_clISE_PdSF_SF_EESI_SY_SJ_SK_SL_EUlSY_E1_NS1_11comp_targetILNS1_3genE10ELNS1_11target_archE1201ELNS1_3gpuE5ELNS1_3repE0EEENS1_36merge_oddeven_config_static_selectorELNS0_4arch9wavefront6targetE1EEEvSK_ ; -- Begin function _ZN7rocprim17ROCPRIM_400000_NS6detail17trampoline_kernelINS0_14default_configENS1_38merge_sort_block_merge_config_selectorIdNS0_10empty_typeEEEZZNS1_27merge_sort_block_merge_implIS3_N6thrust23THRUST_200600_302600_NS6detail15normal_iteratorINS9_10device_ptrIdEEEEPS5_m14custom_greaterIdEEE10hipError_tT0_T1_T2_jT3_P12ihipStream_tbPNSt15iterator_traitsISJ_E10value_typeEPNSP_ISK_E10value_typeEPSL_NS1_7vsmem_tEENKUlT_SJ_SK_SL_E_clISE_PdSF_SF_EESI_SY_SJ_SK_SL_EUlSY_E1_NS1_11comp_targetILNS1_3genE10ELNS1_11target_archE1201ELNS1_3gpuE5ELNS1_3repE0EEENS1_36merge_oddeven_config_static_selectorELNS0_4arch9wavefront6targetE1EEEvSK_
	.globl	_ZN7rocprim17ROCPRIM_400000_NS6detail17trampoline_kernelINS0_14default_configENS1_38merge_sort_block_merge_config_selectorIdNS0_10empty_typeEEEZZNS1_27merge_sort_block_merge_implIS3_N6thrust23THRUST_200600_302600_NS6detail15normal_iteratorINS9_10device_ptrIdEEEEPS5_m14custom_greaterIdEEE10hipError_tT0_T1_T2_jT3_P12ihipStream_tbPNSt15iterator_traitsISJ_E10value_typeEPNSP_ISK_E10value_typeEPSL_NS1_7vsmem_tEENKUlT_SJ_SK_SL_E_clISE_PdSF_SF_EESI_SY_SJ_SK_SL_EUlSY_E1_NS1_11comp_targetILNS1_3genE10ELNS1_11target_archE1201ELNS1_3gpuE5ELNS1_3repE0EEENS1_36merge_oddeven_config_static_selectorELNS0_4arch9wavefront6targetE1EEEvSK_
	.p2align	8
	.type	_ZN7rocprim17ROCPRIM_400000_NS6detail17trampoline_kernelINS0_14default_configENS1_38merge_sort_block_merge_config_selectorIdNS0_10empty_typeEEEZZNS1_27merge_sort_block_merge_implIS3_N6thrust23THRUST_200600_302600_NS6detail15normal_iteratorINS9_10device_ptrIdEEEEPS5_m14custom_greaterIdEEE10hipError_tT0_T1_T2_jT3_P12ihipStream_tbPNSt15iterator_traitsISJ_E10value_typeEPNSP_ISK_E10value_typeEPSL_NS1_7vsmem_tEENKUlT_SJ_SK_SL_E_clISE_PdSF_SF_EESI_SY_SJ_SK_SL_EUlSY_E1_NS1_11comp_targetILNS1_3genE10ELNS1_11target_archE1201ELNS1_3gpuE5ELNS1_3repE0EEENS1_36merge_oddeven_config_static_selectorELNS0_4arch9wavefront6targetE1EEEvSK_,@function
_ZN7rocprim17ROCPRIM_400000_NS6detail17trampoline_kernelINS0_14default_configENS1_38merge_sort_block_merge_config_selectorIdNS0_10empty_typeEEEZZNS1_27merge_sort_block_merge_implIS3_N6thrust23THRUST_200600_302600_NS6detail15normal_iteratorINS9_10device_ptrIdEEEEPS5_m14custom_greaterIdEEE10hipError_tT0_T1_T2_jT3_P12ihipStream_tbPNSt15iterator_traitsISJ_E10value_typeEPNSP_ISK_E10value_typeEPSL_NS1_7vsmem_tEENKUlT_SJ_SK_SL_E_clISE_PdSF_SF_EESI_SY_SJ_SK_SL_EUlSY_E1_NS1_11comp_targetILNS1_3genE10ELNS1_11target_archE1201ELNS1_3gpuE5ELNS1_3repE0EEENS1_36merge_oddeven_config_static_selectorELNS0_4arch9wavefront6targetE1EEEvSK_: ; @_ZN7rocprim17ROCPRIM_400000_NS6detail17trampoline_kernelINS0_14default_configENS1_38merge_sort_block_merge_config_selectorIdNS0_10empty_typeEEEZZNS1_27merge_sort_block_merge_implIS3_N6thrust23THRUST_200600_302600_NS6detail15normal_iteratorINS9_10device_ptrIdEEEEPS5_m14custom_greaterIdEEE10hipError_tT0_T1_T2_jT3_P12ihipStream_tbPNSt15iterator_traitsISJ_E10value_typeEPNSP_ISK_E10value_typeEPSL_NS1_7vsmem_tEENKUlT_SJ_SK_SL_E_clISE_PdSF_SF_EESI_SY_SJ_SK_SL_EUlSY_E1_NS1_11comp_targetILNS1_3genE10ELNS1_11target_archE1201ELNS1_3gpuE5ELNS1_3repE0EEENS1_36merge_oddeven_config_static_selectorELNS0_4arch9wavefront6targetE1EEEvSK_
; %bb.0:
	.section	.rodata,"a",@progbits
	.p2align	6, 0x0
	.amdhsa_kernel _ZN7rocprim17ROCPRIM_400000_NS6detail17trampoline_kernelINS0_14default_configENS1_38merge_sort_block_merge_config_selectorIdNS0_10empty_typeEEEZZNS1_27merge_sort_block_merge_implIS3_N6thrust23THRUST_200600_302600_NS6detail15normal_iteratorINS9_10device_ptrIdEEEEPS5_m14custom_greaterIdEEE10hipError_tT0_T1_T2_jT3_P12ihipStream_tbPNSt15iterator_traitsISJ_E10value_typeEPNSP_ISK_E10value_typeEPSL_NS1_7vsmem_tEENKUlT_SJ_SK_SL_E_clISE_PdSF_SF_EESI_SY_SJ_SK_SL_EUlSY_E1_NS1_11comp_targetILNS1_3genE10ELNS1_11target_archE1201ELNS1_3gpuE5ELNS1_3repE0EEENS1_36merge_oddeven_config_static_selectorELNS0_4arch9wavefront6targetE1EEEvSK_
		.amdhsa_group_segment_fixed_size 0
		.amdhsa_private_segment_fixed_size 0
		.amdhsa_kernarg_size 56
		.amdhsa_user_sgpr_count 6
		.amdhsa_user_sgpr_private_segment_buffer 1
		.amdhsa_user_sgpr_dispatch_ptr 0
		.amdhsa_user_sgpr_queue_ptr 0
		.amdhsa_user_sgpr_kernarg_segment_ptr 1
		.amdhsa_user_sgpr_dispatch_id 0
		.amdhsa_user_sgpr_flat_scratch_init 0
		.amdhsa_user_sgpr_kernarg_preload_length 0
		.amdhsa_user_sgpr_kernarg_preload_offset 0
		.amdhsa_user_sgpr_private_segment_size 0
		.amdhsa_uses_dynamic_stack 0
		.amdhsa_system_sgpr_private_segment_wavefront_offset 0
		.amdhsa_system_sgpr_workgroup_id_x 1
		.amdhsa_system_sgpr_workgroup_id_y 0
		.amdhsa_system_sgpr_workgroup_id_z 0
		.amdhsa_system_sgpr_workgroup_info 0
		.amdhsa_system_vgpr_workitem_id 0
		.amdhsa_next_free_vgpr 1
		.amdhsa_next_free_sgpr 0
		.amdhsa_accum_offset 4
		.amdhsa_reserve_vcc 0
		.amdhsa_reserve_flat_scratch 0
		.amdhsa_float_round_mode_32 0
		.amdhsa_float_round_mode_16_64 0
		.amdhsa_float_denorm_mode_32 3
		.amdhsa_float_denorm_mode_16_64 3
		.amdhsa_dx10_clamp 1
		.amdhsa_ieee_mode 1
		.amdhsa_fp16_overflow 0
		.amdhsa_tg_split 0
		.amdhsa_exception_fp_ieee_invalid_op 0
		.amdhsa_exception_fp_denorm_src 0
		.amdhsa_exception_fp_ieee_div_zero 0
		.amdhsa_exception_fp_ieee_overflow 0
		.amdhsa_exception_fp_ieee_underflow 0
		.amdhsa_exception_fp_ieee_inexact 0
		.amdhsa_exception_int_div_zero 0
	.end_amdhsa_kernel
	.section	.text._ZN7rocprim17ROCPRIM_400000_NS6detail17trampoline_kernelINS0_14default_configENS1_38merge_sort_block_merge_config_selectorIdNS0_10empty_typeEEEZZNS1_27merge_sort_block_merge_implIS3_N6thrust23THRUST_200600_302600_NS6detail15normal_iteratorINS9_10device_ptrIdEEEEPS5_m14custom_greaterIdEEE10hipError_tT0_T1_T2_jT3_P12ihipStream_tbPNSt15iterator_traitsISJ_E10value_typeEPNSP_ISK_E10value_typeEPSL_NS1_7vsmem_tEENKUlT_SJ_SK_SL_E_clISE_PdSF_SF_EESI_SY_SJ_SK_SL_EUlSY_E1_NS1_11comp_targetILNS1_3genE10ELNS1_11target_archE1201ELNS1_3gpuE5ELNS1_3repE0EEENS1_36merge_oddeven_config_static_selectorELNS0_4arch9wavefront6targetE1EEEvSK_,"axG",@progbits,_ZN7rocprim17ROCPRIM_400000_NS6detail17trampoline_kernelINS0_14default_configENS1_38merge_sort_block_merge_config_selectorIdNS0_10empty_typeEEEZZNS1_27merge_sort_block_merge_implIS3_N6thrust23THRUST_200600_302600_NS6detail15normal_iteratorINS9_10device_ptrIdEEEEPS5_m14custom_greaterIdEEE10hipError_tT0_T1_T2_jT3_P12ihipStream_tbPNSt15iterator_traitsISJ_E10value_typeEPNSP_ISK_E10value_typeEPSL_NS1_7vsmem_tEENKUlT_SJ_SK_SL_E_clISE_PdSF_SF_EESI_SY_SJ_SK_SL_EUlSY_E1_NS1_11comp_targetILNS1_3genE10ELNS1_11target_archE1201ELNS1_3gpuE5ELNS1_3repE0EEENS1_36merge_oddeven_config_static_selectorELNS0_4arch9wavefront6targetE1EEEvSK_,comdat
.Lfunc_end3654:
	.size	_ZN7rocprim17ROCPRIM_400000_NS6detail17trampoline_kernelINS0_14default_configENS1_38merge_sort_block_merge_config_selectorIdNS0_10empty_typeEEEZZNS1_27merge_sort_block_merge_implIS3_N6thrust23THRUST_200600_302600_NS6detail15normal_iteratorINS9_10device_ptrIdEEEEPS5_m14custom_greaterIdEEE10hipError_tT0_T1_T2_jT3_P12ihipStream_tbPNSt15iterator_traitsISJ_E10value_typeEPNSP_ISK_E10value_typeEPSL_NS1_7vsmem_tEENKUlT_SJ_SK_SL_E_clISE_PdSF_SF_EESI_SY_SJ_SK_SL_EUlSY_E1_NS1_11comp_targetILNS1_3genE10ELNS1_11target_archE1201ELNS1_3gpuE5ELNS1_3repE0EEENS1_36merge_oddeven_config_static_selectorELNS0_4arch9wavefront6targetE1EEEvSK_, .Lfunc_end3654-_ZN7rocprim17ROCPRIM_400000_NS6detail17trampoline_kernelINS0_14default_configENS1_38merge_sort_block_merge_config_selectorIdNS0_10empty_typeEEEZZNS1_27merge_sort_block_merge_implIS3_N6thrust23THRUST_200600_302600_NS6detail15normal_iteratorINS9_10device_ptrIdEEEEPS5_m14custom_greaterIdEEE10hipError_tT0_T1_T2_jT3_P12ihipStream_tbPNSt15iterator_traitsISJ_E10value_typeEPNSP_ISK_E10value_typeEPSL_NS1_7vsmem_tEENKUlT_SJ_SK_SL_E_clISE_PdSF_SF_EESI_SY_SJ_SK_SL_EUlSY_E1_NS1_11comp_targetILNS1_3genE10ELNS1_11target_archE1201ELNS1_3gpuE5ELNS1_3repE0EEENS1_36merge_oddeven_config_static_selectorELNS0_4arch9wavefront6targetE1EEEvSK_
                                        ; -- End function
	.section	.AMDGPU.csdata,"",@progbits
; Kernel info:
; codeLenInByte = 0
; NumSgprs: 4
; NumVgprs: 0
; NumAgprs: 0
; TotalNumVgprs: 0
; ScratchSize: 0
; MemoryBound: 0
; FloatMode: 240
; IeeeMode: 1
; LDSByteSize: 0 bytes/workgroup (compile time only)
; SGPRBlocks: 0
; VGPRBlocks: 0
; NumSGPRsForWavesPerEU: 4
; NumVGPRsForWavesPerEU: 1
; AccumOffset: 4
; Occupancy: 8
; WaveLimiterHint : 0
; COMPUTE_PGM_RSRC2:SCRATCH_EN: 0
; COMPUTE_PGM_RSRC2:USER_SGPR: 6
; COMPUTE_PGM_RSRC2:TRAP_HANDLER: 0
; COMPUTE_PGM_RSRC2:TGID_X_EN: 1
; COMPUTE_PGM_RSRC2:TGID_Y_EN: 0
; COMPUTE_PGM_RSRC2:TGID_Z_EN: 0
; COMPUTE_PGM_RSRC2:TIDIG_COMP_CNT: 0
; COMPUTE_PGM_RSRC3_GFX90A:ACCUM_OFFSET: 0
; COMPUTE_PGM_RSRC3_GFX90A:TG_SPLIT: 0
	.section	.text._ZN7rocprim17ROCPRIM_400000_NS6detail17trampoline_kernelINS0_14default_configENS1_38merge_sort_block_merge_config_selectorIdNS0_10empty_typeEEEZZNS1_27merge_sort_block_merge_implIS3_N6thrust23THRUST_200600_302600_NS6detail15normal_iteratorINS9_10device_ptrIdEEEEPS5_m14custom_greaterIdEEE10hipError_tT0_T1_T2_jT3_P12ihipStream_tbPNSt15iterator_traitsISJ_E10value_typeEPNSP_ISK_E10value_typeEPSL_NS1_7vsmem_tEENKUlT_SJ_SK_SL_E_clISE_PdSF_SF_EESI_SY_SJ_SK_SL_EUlSY_E1_NS1_11comp_targetILNS1_3genE5ELNS1_11target_archE942ELNS1_3gpuE9ELNS1_3repE0EEENS1_36merge_oddeven_config_static_selectorELNS0_4arch9wavefront6targetE1EEEvSK_,"axG",@progbits,_ZN7rocprim17ROCPRIM_400000_NS6detail17trampoline_kernelINS0_14default_configENS1_38merge_sort_block_merge_config_selectorIdNS0_10empty_typeEEEZZNS1_27merge_sort_block_merge_implIS3_N6thrust23THRUST_200600_302600_NS6detail15normal_iteratorINS9_10device_ptrIdEEEEPS5_m14custom_greaterIdEEE10hipError_tT0_T1_T2_jT3_P12ihipStream_tbPNSt15iterator_traitsISJ_E10value_typeEPNSP_ISK_E10value_typeEPSL_NS1_7vsmem_tEENKUlT_SJ_SK_SL_E_clISE_PdSF_SF_EESI_SY_SJ_SK_SL_EUlSY_E1_NS1_11comp_targetILNS1_3genE5ELNS1_11target_archE942ELNS1_3gpuE9ELNS1_3repE0EEENS1_36merge_oddeven_config_static_selectorELNS0_4arch9wavefront6targetE1EEEvSK_,comdat
	.protected	_ZN7rocprim17ROCPRIM_400000_NS6detail17trampoline_kernelINS0_14default_configENS1_38merge_sort_block_merge_config_selectorIdNS0_10empty_typeEEEZZNS1_27merge_sort_block_merge_implIS3_N6thrust23THRUST_200600_302600_NS6detail15normal_iteratorINS9_10device_ptrIdEEEEPS5_m14custom_greaterIdEEE10hipError_tT0_T1_T2_jT3_P12ihipStream_tbPNSt15iterator_traitsISJ_E10value_typeEPNSP_ISK_E10value_typeEPSL_NS1_7vsmem_tEENKUlT_SJ_SK_SL_E_clISE_PdSF_SF_EESI_SY_SJ_SK_SL_EUlSY_E1_NS1_11comp_targetILNS1_3genE5ELNS1_11target_archE942ELNS1_3gpuE9ELNS1_3repE0EEENS1_36merge_oddeven_config_static_selectorELNS0_4arch9wavefront6targetE1EEEvSK_ ; -- Begin function _ZN7rocprim17ROCPRIM_400000_NS6detail17trampoline_kernelINS0_14default_configENS1_38merge_sort_block_merge_config_selectorIdNS0_10empty_typeEEEZZNS1_27merge_sort_block_merge_implIS3_N6thrust23THRUST_200600_302600_NS6detail15normal_iteratorINS9_10device_ptrIdEEEEPS5_m14custom_greaterIdEEE10hipError_tT0_T1_T2_jT3_P12ihipStream_tbPNSt15iterator_traitsISJ_E10value_typeEPNSP_ISK_E10value_typeEPSL_NS1_7vsmem_tEENKUlT_SJ_SK_SL_E_clISE_PdSF_SF_EESI_SY_SJ_SK_SL_EUlSY_E1_NS1_11comp_targetILNS1_3genE5ELNS1_11target_archE942ELNS1_3gpuE9ELNS1_3repE0EEENS1_36merge_oddeven_config_static_selectorELNS0_4arch9wavefront6targetE1EEEvSK_
	.globl	_ZN7rocprim17ROCPRIM_400000_NS6detail17trampoline_kernelINS0_14default_configENS1_38merge_sort_block_merge_config_selectorIdNS0_10empty_typeEEEZZNS1_27merge_sort_block_merge_implIS3_N6thrust23THRUST_200600_302600_NS6detail15normal_iteratorINS9_10device_ptrIdEEEEPS5_m14custom_greaterIdEEE10hipError_tT0_T1_T2_jT3_P12ihipStream_tbPNSt15iterator_traitsISJ_E10value_typeEPNSP_ISK_E10value_typeEPSL_NS1_7vsmem_tEENKUlT_SJ_SK_SL_E_clISE_PdSF_SF_EESI_SY_SJ_SK_SL_EUlSY_E1_NS1_11comp_targetILNS1_3genE5ELNS1_11target_archE942ELNS1_3gpuE9ELNS1_3repE0EEENS1_36merge_oddeven_config_static_selectorELNS0_4arch9wavefront6targetE1EEEvSK_
	.p2align	8
	.type	_ZN7rocprim17ROCPRIM_400000_NS6detail17trampoline_kernelINS0_14default_configENS1_38merge_sort_block_merge_config_selectorIdNS0_10empty_typeEEEZZNS1_27merge_sort_block_merge_implIS3_N6thrust23THRUST_200600_302600_NS6detail15normal_iteratorINS9_10device_ptrIdEEEEPS5_m14custom_greaterIdEEE10hipError_tT0_T1_T2_jT3_P12ihipStream_tbPNSt15iterator_traitsISJ_E10value_typeEPNSP_ISK_E10value_typeEPSL_NS1_7vsmem_tEENKUlT_SJ_SK_SL_E_clISE_PdSF_SF_EESI_SY_SJ_SK_SL_EUlSY_E1_NS1_11comp_targetILNS1_3genE5ELNS1_11target_archE942ELNS1_3gpuE9ELNS1_3repE0EEENS1_36merge_oddeven_config_static_selectorELNS0_4arch9wavefront6targetE1EEEvSK_,@function
_ZN7rocprim17ROCPRIM_400000_NS6detail17trampoline_kernelINS0_14default_configENS1_38merge_sort_block_merge_config_selectorIdNS0_10empty_typeEEEZZNS1_27merge_sort_block_merge_implIS3_N6thrust23THRUST_200600_302600_NS6detail15normal_iteratorINS9_10device_ptrIdEEEEPS5_m14custom_greaterIdEEE10hipError_tT0_T1_T2_jT3_P12ihipStream_tbPNSt15iterator_traitsISJ_E10value_typeEPNSP_ISK_E10value_typeEPSL_NS1_7vsmem_tEENKUlT_SJ_SK_SL_E_clISE_PdSF_SF_EESI_SY_SJ_SK_SL_EUlSY_E1_NS1_11comp_targetILNS1_3genE5ELNS1_11target_archE942ELNS1_3gpuE9ELNS1_3repE0EEENS1_36merge_oddeven_config_static_selectorELNS0_4arch9wavefront6targetE1EEEvSK_: ; @_ZN7rocprim17ROCPRIM_400000_NS6detail17trampoline_kernelINS0_14default_configENS1_38merge_sort_block_merge_config_selectorIdNS0_10empty_typeEEEZZNS1_27merge_sort_block_merge_implIS3_N6thrust23THRUST_200600_302600_NS6detail15normal_iteratorINS9_10device_ptrIdEEEEPS5_m14custom_greaterIdEEE10hipError_tT0_T1_T2_jT3_P12ihipStream_tbPNSt15iterator_traitsISJ_E10value_typeEPNSP_ISK_E10value_typeEPSL_NS1_7vsmem_tEENKUlT_SJ_SK_SL_E_clISE_PdSF_SF_EESI_SY_SJ_SK_SL_EUlSY_E1_NS1_11comp_targetILNS1_3genE5ELNS1_11target_archE942ELNS1_3gpuE9ELNS1_3repE0EEENS1_36merge_oddeven_config_static_selectorELNS0_4arch9wavefront6targetE1EEEvSK_
; %bb.0:
	.section	.rodata,"a",@progbits
	.p2align	6, 0x0
	.amdhsa_kernel _ZN7rocprim17ROCPRIM_400000_NS6detail17trampoline_kernelINS0_14default_configENS1_38merge_sort_block_merge_config_selectorIdNS0_10empty_typeEEEZZNS1_27merge_sort_block_merge_implIS3_N6thrust23THRUST_200600_302600_NS6detail15normal_iteratorINS9_10device_ptrIdEEEEPS5_m14custom_greaterIdEEE10hipError_tT0_T1_T2_jT3_P12ihipStream_tbPNSt15iterator_traitsISJ_E10value_typeEPNSP_ISK_E10value_typeEPSL_NS1_7vsmem_tEENKUlT_SJ_SK_SL_E_clISE_PdSF_SF_EESI_SY_SJ_SK_SL_EUlSY_E1_NS1_11comp_targetILNS1_3genE5ELNS1_11target_archE942ELNS1_3gpuE9ELNS1_3repE0EEENS1_36merge_oddeven_config_static_selectorELNS0_4arch9wavefront6targetE1EEEvSK_
		.amdhsa_group_segment_fixed_size 0
		.amdhsa_private_segment_fixed_size 0
		.amdhsa_kernarg_size 56
		.amdhsa_user_sgpr_count 6
		.amdhsa_user_sgpr_private_segment_buffer 1
		.amdhsa_user_sgpr_dispatch_ptr 0
		.amdhsa_user_sgpr_queue_ptr 0
		.amdhsa_user_sgpr_kernarg_segment_ptr 1
		.amdhsa_user_sgpr_dispatch_id 0
		.amdhsa_user_sgpr_flat_scratch_init 0
		.amdhsa_user_sgpr_kernarg_preload_length 0
		.amdhsa_user_sgpr_kernarg_preload_offset 0
		.amdhsa_user_sgpr_private_segment_size 0
		.amdhsa_uses_dynamic_stack 0
		.amdhsa_system_sgpr_private_segment_wavefront_offset 0
		.amdhsa_system_sgpr_workgroup_id_x 1
		.amdhsa_system_sgpr_workgroup_id_y 0
		.amdhsa_system_sgpr_workgroup_id_z 0
		.amdhsa_system_sgpr_workgroup_info 0
		.amdhsa_system_vgpr_workitem_id 0
		.amdhsa_next_free_vgpr 1
		.amdhsa_next_free_sgpr 0
		.amdhsa_accum_offset 4
		.amdhsa_reserve_vcc 0
		.amdhsa_reserve_flat_scratch 0
		.amdhsa_float_round_mode_32 0
		.amdhsa_float_round_mode_16_64 0
		.amdhsa_float_denorm_mode_32 3
		.amdhsa_float_denorm_mode_16_64 3
		.amdhsa_dx10_clamp 1
		.amdhsa_ieee_mode 1
		.amdhsa_fp16_overflow 0
		.amdhsa_tg_split 0
		.amdhsa_exception_fp_ieee_invalid_op 0
		.amdhsa_exception_fp_denorm_src 0
		.amdhsa_exception_fp_ieee_div_zero 0
		.amdhsa_exception_fp_ieee_overflow 0
		.amdhsa_exception_fp_ieee_underflow 0
		.amdhsa_exception_fp_ieee_inexact 0
		.amdhsa_exception_int_div_zero 0
	.end_amdhsa_kernel
	.section	.text._ZN7rocprim17ROCPRIM_400000_NS6detail17trampoline_kernelINS0_14default_configENS1_38merge_sort_block_merge_config_selectorIdNS0_10empty_typeEEEZZNS1_27merge_sort_block_merge_implIS3_N6thrust23THRUST_200600_302600_NS6detail15normal_iteratorINS9_10device_ptrIdEEEEPS5_m14custom_greaterIdEEE10hipError_tT0_T1_T2_jT3_P12ihipStream_tbPNSt15iterator_traitsISJ_E10value_typeEPNSP_ISK_E10value_typeEPSL_NS1_7vsmem_tEENKUlT_SJ_SK_SL_E_clISE_PdSF_SF_EESI_SY_SJ_SK_SL_EUlSY_E1_NS1_11comp_targetILNS1_3genE5ELNS1_11target_archE942ELNS1_3gpuE9ELNS1_3repE0EEENS1_36merge_oddeven_config_static_selectorELNS0_4arch9wavefront6targetE1EEEvSK_,"axG",@progbits,_ZN7rocprim17ROCPRIM_400000_NS6detail17trampoline_kernelINS0_14default_configENS1_38merge_sort_block_merge_config_selectorIdNS0_10empty_typeEEEZZNS1_27merge_sort_block_merge_implIS3_N6thrust23THRUST_200600_302600_NS6detail15normal_iteratorINS9_10device_ptrIdEEEEPS5_m14custom_greaterIdEEE10hipError_tT0_T1_T2_jT3_P12ihipStream_tbPNSt15iterator_traitsISJ_E10value_typeEPNSP_ISK_E10value_typeEPSL_NS1_7vsmem_tEENKUlT_SJ_SK_SL_E_clISE_PdSF_SF_EESI_SY_SJ_SK_SL_EUlSY_E1_NS1_11comp_targetILNS1_3genE5ELNS1_11target_archE942ELNS1_3gpuE9ELNS1_3repE0EEENS1_36merge_oddeven_config_static_selectorELNS0_4arch9wavefront6targetE1EEEvSK_,comdat
.Lfunc_end3655:
	.size	_ZN7rocprim17ROCPRIM_400000_NS6detail17trampoline_kernelINS0_14default_configENS1_38merge_sort_block_merge_config_selectorIdNS0_10empty_typeEEEZZNS1_27merge_sort_block_merge_implIS3_N6thrust23THRUST_200600_302600_NS6detail15normal_iteratorINS9_10device_ptrIdEEEEPS5_m14custom_greaterIdEEE10hipError_tT0_T1_T2_jT3_P12ihipStream_tbPNSt15iterator_traitsISJ_E10value_typeEPNSP_ISK_E10value_typeEPSL_NS1_7vsmem_tEENKUlT_SJ_SK_SL_E_clISE_PdSF_SF_EESI_SY_SJ_SK_SL_EUlSY_E1_NS1_11comp_targetILNS1_3genE5ELNS1_11target_archE942ELNS1_3gpuE9ELNS1_3repE0EEENS1_36merge_oddeven_config_static_selectorELNS0_4arch9wavefront6targetE1EEEvSK_, .Lfunc_end3655-_ZN7rocprim17ROCPRIM_400000_NS6detail17trampoline_kernelINS0_14default_configENS1_38merge_sort_block_merge_config_selectorIdNS0_10empty_typeEEEZZNS1_27merge_sort_block_merge_implIS3_N6thrust23THRUST_200600_302600_NS6detail15normal_iteratorINS9_10device_ptrIdEEEEPS5_m14custom_greaterIdEEE10hipError_tT0_T1_T2_jT3_P12ihipStream_tbPNSt15iterator_traitsISJ_E10value_typeEPNSP_ISK_E10value_typeEPSL_NS1_7vsmem_tEENKUlT_SJ_SK_SL_E_clISE_PdSF_SF_EESI_SY_SJ_SK_SL_EUlSY_E1_NS1_11comp_targetILNS1_3genE5ELNS1_11target_archE942ELNS1_3gpuE9ELNS1_3repE0EEENS1_36merge_oddeven_config_static_selectorELNS0_4arch9wavefront6targetE1EEEvSK_
                                        ; -- End function
	.section	.AMDGPU.csdata,"",@progbits
; Kernel info:
; codeLenInByte = 0
; NumSgprs: 4
; NumVgprs: 0
; NumAgprs: 0
; TotalNumVgprs: 0
; ScratchSize: 0
; MemoryBound: 0
; FloatMode: 240
; IeeeMode: 1
; LDSByteSize: 0 bytes/workgroup (compile time only)
; SGPRBlocks: 0
; VGPRBlocks: 0
; NumSGPRsForWavesPerEU: 4
; NumVGPRsForWavesPerEU: 1
; AccumOffset: 4
; Occupancy: 8
; WaveLimiterHint : 0
; COMPUTE_PGM_RSRC2:SCRATCH_EN: 0
; COMPUTE_PGM_RSRC2:USER_SGPR: 6
; COMPUTE_PGM_RSRC2:TRAP_HANDLER: 0
; COMPUTE_PGM_RSRC2:TGID_X_EN: 1
; COMPUTE_PGM_RSRC2:TGID_Y_EN: 0
; COMPUTE_PGM_RSRC2:TGID_Z_EN: 0
; COMPUTE_PGM_RSRC2:TIDIG_COMP_CNT: 0
; COMPUTE_PGM_RSRC3_GFX90A:ACCUM_OFFSET: 0
; COMPUTE_PGM_RSRC3_GFX90A:TG_SPLIT: 0
	.section	.text._ZN7rocprim17ROCPRIM_400000_NS6detail17trampoline_kernelINS0_14default_configENS1_38merge_sort_block_merge_config_selectorIdNS0_10empty_typeEEEZZNS1_27merge_sort_block_merge_implIS3_N6thrust23THRUST_200600_302600_NS6detail15normal_iteratorINS9_10device_ptrIdEEEEPS5_m14custom_greaterIdEEE10hipError_tT0_T1_T2_jT3_P12ihipStream_tbPNSt15iterator_traitsISJ_E10value_typeEPNSP_ISK_E10value_typeEPSL_NS1_7vsmem_tEENKUlT_SJ_SK_SL_E_clISE_PdSF_SF_EESI_SY_SJ_SK_SL_EUlSY_E1_NS1_11comp_targetILNS1_3genE4ELNS1_11target_archE910ELNS1_3gpuE8ELNS1_3repE0EEENS1_36merge_oddeven_config_static_selectorELNS0_4arch9wavefront6targetE1EEEvSK_,"axG",@progbits,_ZN7rocprim17ROCPRIM_400000_NS6detail17trampoline_kernelINS0_14default_configENS1_38merge_sort_block_merge_config_selectorIdNS0_10empty_typeEEEZZNS1_27merge_sort_block_merge_implIS3_N6thrust23THRUST_200600_302600_NS6detail15normal_iteratorINS9_10device_ptrIdEEEEPS5_m14custom_greaterIdEEE10hipError_tT0_T1_T2_jT3_P12ihipStream_tbPNSt15iterator_traitsISJ_E10value_typeEPNSP_ISK_E10value_typeEPSL_NS1_7vsmem_tEENKUlT_SJ_SK_SL_E_clISE_PdSF_SF_EESI_SY_SJ_SK_SL_EUlSY_E1_NS1_11comp_targetILNS1_3genE4ELNS1_11target_archE910ELNS1_3gpuE8ELNS1_3repE0EEENS1_36merge_oddeven_config_static_selectorELNS0_4arch9wavefront6targetE1EEEvSK_,comdat
	.protected	_ZN7rocprim17ROCPRIM_400000_NS6detail17trampoline_kernelINS0_14default_configENS1_38merge_sort_block_merge_config_selectorIdNS0_10empty_typeEEEZZNS1_27merge_sort_block_merge_implIS3_N6thrust23THRUST_200600_302600_NS6detail15normal_iteratorINS9_10device_ptrIdEEEEPS5_m14custom_greaterIdEEE10hipError_tT0_T1_T2_jT3_P12ihipStream_tbPNSt15iterator_traitsISJ_E10value_typeEPNSP_ISK_E10value_typeEPSL_NS1_7vsmem_tEENKUlT_SJ_SK_SL_E_clISE_PdSF_SF_EESI_SY_SJ_SK_SL_EUlSY_E1_NS1_11comp_targetILNS1_3genE4ELNS1_11target_archE910ELNS1_3gpuE8ELNS1_3repE0EEENS1_36merge_oddeven_config_static_selectorELNS0_4arch9wavefront6targetE1EEEvSK_ ; -- Begin function _ZN7rocprim17ROCPRIM_400000_NS6detail17trampoline_kernelINS0_14default_configENS1_38merge_sort_block_merge_config_selectorIdNS0_10empty_typeEEEZZNS1_27merge_sort_block_merge_implIS3_N6thrust23THRUST_200600_302600_NS6detail15normal_iteratorINS9_10device_ptrIdEEEEPS5_m14custom_greaterIdEEE10hipError_tT0_T1_T2_jT3_P12ihipStream_tbPNSt15iterator_traitsISJ_E10value_typeEPNSP_ISK_E10value_typeEPSL_NS1_7vsmem_tEENKUlT_SJ_SK_SL_E_clISE_PdSF_SF_EESI_SY_SJ_SK_SL_EUlSY_E1_NS1_11comp_targetILNS1_3genE4ELNS1_11target_archE910ELNS1_3gpuE8ELNS1_3repE0EEENS1_36merge_oddeven_config_static_selectorELNS0_4arch9wavefront6targetE1EEEvSK_
	.globl	_ZN7rocprim17ROCPRIM_400000_NS6detail17trampoline_kernelINS0_14default_configENS1_38merge_sort_block_merge_config_selectorIdNS0_10empty_typeEEEZZNS1_27merge_sort_block_merge_implIS3_N6thrust23THRUST_200600_302600_NS6detail15normal_iteratorINS9_10device_ptrIdEEEEPS5_m14custom_greaterIdEEE10hipError_tT0_T1_T2_jT3_P12ihipStream_tbPNSt15iterator_traitsISJ_E10value_typeEPNSP_ISK_E10value_typeEPSL_NS1_7vsmem_tEENKUlT_SJ_SK_SL_E_clISE_PdSF_SF_EESI_SY_SJ_SK_SL_EUlSY_E1_NS1_11comp_targetILNS1_3genE4ELNS1_11target_archE910ELNS1_3gpuE8ELNS1_3repE0EEENS1_36merge_oddeven_config_static_selectorELNS0_4arch9wavefront6targetE1EEEvSK_
	.p2align	8
	.type	_ZN7rocprim17ROCPRIM_400000_NS6detail17trampoline_kernelINS0_14default_configENS1_38merge_sort_block_merge_config_selectorIdNS0_10empty_typeEEEZZNS1_27merge_sort_block_merge_implIS3_N6thrust23THRUST_200600_302600_NS6detail15normal_iteratorINS9_10device_ptrIdEEEEPS5_m14custom_greaterIdEEE10hipError_tT0_T1_T2_jT3_P12ihipStream_tbPNSt15iterator_traitsISJ_E10value_typeEPNSP_ISK_E10value_typeEPSL_NS1_7vsmem_tEENKUlT_SJ_SK_SL_E_clISE_PdSF_SF_EESI_SY_SJ_SK_SL_EUlSY_E1_NS1_11comp_targetILNS1_3genE4ELNS1_11target_archE910ELNS1_3gpuE8ELNS1_3repE0EEENS1_36merge_oddeven_config_static_selectorELNS0_4arch9wavefront6targetE1EEEvSK_,@function
_ZN7rocprim17ROCPRIM_400000_NS6detail17trampoline_kernelINS0_14default_configENS1_38merge_sort_block_merge_config_selectorIdNS0_10empty_typeEEEZZNS1_27merge_sort_block_merge_implIS3_N6thrust23THRUST_200600_302600_NS6detail15normal_iteratorINS9_10device_ptrIdEEEEPS5_m14custom_greaterIdEEE10hipError_tT0_T1_T2_jT3_P12ihipStream_tbPNSt15iterator_traitsISJ_E10value_typeEPNSP_ISK_E10value_typeEPSL_NS1_7vsmem_tEENKUlT_SJ_SK_SL_E_clISE_PdSF_SF_EESI_SY_SJ_SK_SL_EUlSY_E1_NS1_11comp_targetILNS1_3genE4ELNS1_11target_archE910ELNS1_3gpuE8ELNS1_3repE0EEENS1_36merge_oddeven_config_static_selectorELNS0_4arch9wavefront6targetE1EEEvSK_: ; @_ZN7rocprim17ROCPRIM_400000_NS6detail17trampoline_kernelINS0_14default_configENS1_38merge_sort_block_merge_config_selectorIdNS0_10empty_typeEEEZZNS1_27merge_sort_block_merge_implIS3_N6thrust23THRUST_200600_302600_NS6detail15normal_iteratorINS9_10device_ptrIdEEEEPS5_m14custom_greaterIdEEE10hipError_tT0_T1_T2_jT3_P12ihipStream_tbPNSt15iterator_traitsISJ_E10value_typeEPNSP_ISK_E10value_typeEPSL_NS1_7vsmem_tEENKUlT_SJ_SK_SL_E_clISE_PdSF_SF_EESI_SY_SJ_SK_SL_EUlSY_E1_NS1_11comp_targetILNS1_3genE4ELNS1_11target_archE910ELNS1_3gpuE8ELNS1_3repE0EEENS1_36merge_oddeven_config_static_selectorELNS0_4arch9wavefront6targetE1EEEvSK_
; %bb.0:
	s_load_dword s18, s[4:5], 0x20
	s_waitcnt lgkmcnt(0)
	s_lshr_b32 s0, s18, 8
	s_cmp_lg_u32 s6, s0
	s_cselect_b64 s[14:15], -1, 0
	s_cmp_eq_u32 s6, s0
	s_cselect_b64 s[12:13], -1, 0
	s_lshl_b32 s16, s6, 8
	s_sub_i32 s0, s18, s16
	v_cmp_gt_u32_e64 s[2:3], s0, v0
	s_or_b64 s[0:1], s[14:15], s[2:3]
	s_and_saveexec_b64 s[8:9], s[0:1]
	s_cbranch_execz .LBB3656_20
; %bb.1:
	s_load_dwordx4 s[8:11], s[4:5], 0x0
	s_load_dword s19, s[4:5], 0x28
	s_mov_b32 s17, 0
	s_lshl_b64 s[0:1], s[16:17], 3
	v_lshlrev_b32_e32 v1, 3, v0
	s_waitcnt lgkmcnt(0)
	s_add_u32 s0, s8, s0
	s_addc_u32 s1, s9, s1
	global_load_dwordx2 v[2:3], v1, s[0:1]
	s_lshr_b32 s0, s19, 8
	s_sub_i32 s1, 0, s0
	s_and_b32 s1, s6, s1
	s_and_b32 s0, s1, s0
	s_lshl_b32 s20, s1, 8
	s_sub_i32 s6, 0, s19
	s_cmp_eq_u32 s0, 0
	s_cselect_b64 s[0:1], -1, 0
	s_and_b64 s[4:5], s[0:1], exec
	s_cselect_b32 s17, s19, s6
	s_add_i32 s17, s17, s20
	s_cmp_lt_u32 s17, s18
	v_add_u32_e32 v0, s16, v0
	s_cbranch_scc1 .LBB3656_3
; %bb.2:
	v_cmp_gt_u32_e32 vcc, s18, v0
	s_or_b64 s[4:5], vcc, s[14:15]
	s_and_b64 s[4:5], s[4:5], exec
	s_cbranch_execz .LBB3656_4
	s_branch .LBB3656_18
.LBB3656_3:
	s_mov_b64 s[4:5], 0
.LBB3656_4:
	s_min_u32 s14, s17, s18
	s_add_i32 s6, s14, s19
	s_min_u32 s15, s6, s18
	s_min_u32 s6, s20, s14
	s_add_i32 s20, s20, s14
	v_subrev_u32_e32 v0, s20, v0
	v_add_u32_e32 v4, s6, v0
	s_and_b64 vcc, exec, s[12:13]
	s_cbranch_vccz .LBB3656_12
; %bb.5:
                                        ; implicit-def: $vgpr0
	s_and_saveexec_b64 s[6:7], s[2:3]
	s_cbranch_execz .LBB3656_11
; %bb.6:
	s_cmp_ge_u32 s17, s15
	v_mov_b32_e32 v5, s14
	s_cbranch_scc1 .LBB3656_10
; %bb.7:
	s_mov_b64 s[2:3], 0
	v_mov_b32_e32 v6, s15
	v_mov_b32_e32 v5, s14
	;; [unrolled: 1-line block ×4, first 2 shown]
.LBB3656_8:                             ; =>This Inner Loop Header: Depth=1
	v_add_u32_e32 v0, v5, v6
	v_lshrrev_b32_e32 v0, 1, v0
	v_lshlrev_b64 v[8:9], 3, v[0:1]
	v_add_co_u32_e32 v8, vcc, s8, v8
	v_addc_co_u32_e32 v9, vcc, v7, v9, vcc
	global_load_dwordx2 v[8:9], v[8:9], off
	v_add_u32_e32 v10, 1, v0
	s_waitcnt vmcnt(0)
	v_cmp_gt_f64_e32 vcc, v[2:3], v[8:9]
	v_cndmask_b32_e64 v11, 0, 1, vcc
	v_cmp_ngt_f64_e32 vcc, v[8:9], v[2:3]
	v_cndmask_b32_e64 v8, 0, 1, vcc
	v_cndmask_b32_e64 v8, v8, v11, s[0:1]
	v_and_b32_e32 v8, 1, v8
	v_cmp_eq_u32_e32 vcc, 1, v8
	v_cndmask_b32_e32 v6, v0, v6, vcc
	v_cndmask_b32_e32 v5, v5, v10, vcc
	v_cmp_ge_u32_e32 vcc, v5, v6
	s_or_b64 s[2:3], vcc, s[2:3]
	s_andn2_b64 exec, exec, s[2:3]
	s_cbranch_execnz .LBB3656_8
; %bb.9:
	s_or_b64 exec, exec, s[2:3]
.LBB3656_10:
	v_add_u32_e32 v0, v5, v4
	s_or_b64 s[4:5], s[4:5], exec
.LBB3656_11:
	s_or_b64 exec, exec, s[6:7]
	s_branch .LBB3656_18
.LBB3656_12:
                                        ; implicit-def: $vgpr0
	s_cbranch_execz .LBB3656_18
; %bb.13:
	s_cmp_ge_u32 s17, s15
	v_mov_b32_e32 v5, s14
	s_cbranch_scc1 .LBB3656_17
; %bb.14:
	s_mov_b64 s[2:3], 0
	v_mov_b32_e32 v6, s15
	v_mov_b32_e32 v5, s14
	;; [unrolled: 1-line block ×4, first 2 shown]
.LBB3656_15:                            ; =>This Inner Loop Header: Depth=1
	v_add_u32_e32 v0, v5, v6
	v_lshrrev_b32_e32 v0, 1, v0
	v_lshlrev_b64 v[8:9], 3, v[0:1]
	v_add_co_u32_e32 v8, vcc, s8, v8
	v_addc_co_u32_e32 v9, vcc, v7, v9, vcc
	global_load_dwordx2 v[8:9], v[8:9], off
	v_add_u32_e32 v10, 1, v0
	s_waitcnt vmcnt(0)
	v_cmp_gt_f64_e32 vcc, v[2:3], v[8:9]
	v_cndmask_b32_e64 v11, 0, 1, vcc
	v_cmp_ngt_f64_e32 vcc, v[8:9], v[2:3]
	v_cndmask_b32_e64 v8, 0, 1, vcc
	v_cndmask_b32_e64 v8, v8, v11, s[0:1]
	v_and_b32_e32 v8, 1, v8
	v_cmp_eq_u32_e32 vcc, 1, v8
	v_cndmask_b32_e32 v6, v0, v6, vcc
	v_cndmask_b32_e32 v5, v5, v10, vcc
	v_cmp_ge_u32_e32 vcc, v5, v6
	s_or_b64 s[2:3], vcc, s[2:3]
	s_andn2_b64 exec, exec, s[2:3]
	s_cbranch_execnz .LBB3656_15
; %bb.16:
	s_or_b64 exec, exec, s[2:3]
.LBB3656_17:
	v_add_u32_e32 v0, v5, v4
	s_mov_b64 s[4:5], -1
.LBB3656_18:
	s_and_b64 exec, exec, s[4:5]
	s_cbranch_execz .LBB3656_20
; %bb.19:
	v_mov_b32_e32 v1, 0
	v_lshlrev_b64 v[0:1], 3, v[0:1]
	v_mov_b32_e32 v4, s11
	v_add_co_u32_e32 v0, vcc, s10, v0
	v_addc_co_u32_e32 v1, vcc, v4, v1, vcc
	s_waitcnt vmcnt(0)
	global_store_dwordx2 v[0:1], v[2:3], off
.LBB3656_20:
	s_endpgm
	.section	.rodata,"a",@progbits
	.p2align	6, 0x0
	.amdhsa_kernel _ZN7rocprim17ROCPRIM_400000_NS6detail17trampoline_kernelINS0_14default_configENS1_38merge_sort_block_merge_config_selectorIdNS0_10empty_typeEEEZZNS1_27merge_sort_block_merge_implIS3_N6thrust23THRUST_200600_302600_NS6detail15normal_iteratorINS9_10device_ptrIdEEEEPS5_m14custom_greaterIdEEE10hipError_tT0_T1_T2_jT3_P12ihipStream_tbPNSt15iterator_traitsISJ_E10value_typeEPNSP_ISK_E10value_typeEPSL_NS1_7vsmem_tEENKUlT_SJ_SK_SL_E_clISE_PdSF_SF_EESI_SY_SJ_SK_SL_EUlSY_E1_NS1_11comp_targetILNS1_3genE4ELNS1_11target_archE910ELNS1_3gpuE8ELNS1_3repE0EEENS1_36merge_oddeven_config_static_selectorELNS0_4arch9wavefront6targetE1EEEvSK_
		.amdhsa_group_segment_fixed_size 0
		.amdhsa_private_segment_fixed_size 0
		.amdhsa_kernarg_size 56
		.amdhsa_user_sgpr_count 6
		.amdhsa_user_sgpr_private_segment_buffer 1
		.amdhsa_user_sgpr_dispatch_ptr 0
		.amdhsa_user_sgpr_queue_ptr 0
		.amdhsa_user_sgpr_kernarg_segment_ptr 1
		.amdhsa_user_sgpr_dispatch_id 0
		.amdhsa_user_sgpr_flat_scratch_init 0
		.amdhsa_user_sgpr_kernarg_preload_length 0
		.amdhsa_user_sgpr_kernarg_preload_offset 0
		.amdhsa_user_sgpr_private_segment_size 0
		.amdhsa_uses_dynamic_stack 0
		.amdhsa_system_sgpr_private_segment_wavefront_offset 0
		.amdhsa_system_sgpr_workgroup_id_x 1
		.amdhsa_system_sgpr_workgroup_id_y 0
		.amdhsa_system_sgpr_workgroup_id_z 0
		.amdhsa_system_sgpr_workgroup_info 0
		.amdhsa_system_vgpr_workitem_id 0
		.amdhsa_next_free_vgpr 12
		.amdhsa_next_free_sgpr 21
		.amdhsa_accum_offset 12
		.amdhsa_reserve_vcc 1
		.amdhsa_reserve_flat_scratch 0
		.amdhsa_float_round_mode_32 0
		.amdhsa_float_round_mode_16_64 0
		.amdhsa_float_denorm_mode_32 3
		.amdhsa_float_denorm_mode_16_64 3
		.amdhsa_dx10_clamp 1
		.amdhsa_ieee_mode 1
		.amdhsa_fp16_overflow 0
		.amdhsa_tg_split 0
		.amdhsa_exception_fp_ieee_invalid_op 0
		.amdhsa_exception_fp_denorm_src 0
		.amdhsa_exception_fp_ieee_div_zero 0
		.amdhsa_exception_fp_ieee_overflow 0
		.amdhsa_exception_fp_ieee_underflow 0
		.amdhsa_exception_fp_ieee_inexact 0
		.amdhsa_exception_int_div_zero 0
	.end_amdhsa_kernel
	.section	.text._ZN7rocprim17ROCPRIM_400000_NS6detail17trampoline_kernelINS0_14default_configENS1_38merge_sort_block_merge_config_selectorIdNS0_10empty_typeEEEZZNS1_27merge_sort_block_merge_implIS3_N6thrust23THRUST_200600_302600_NS6detail15normal_iteratorINS9_10device_ptrIdEEEEPS5_m14custom_greaterIdEEE10hipError_tT0_T1_T2_jT3_P12ihipStream_tbPNSt15iterator_traitsISJ_E10value_typeEPNSP_ISK_E10value_typeEPSL_NS1_7vsmem_tEENKUlT_SJ_SK_SL_E_clISE_PdSF_SF_EESI_SY_SJ_SK_SL_EUlSY_E1_NS1_11comp_targetILNS1_3genE4ELNS1_11target_archE910ELNS1_3gpuE8ELNS1_3repE0EEENS1_36merge_oddeven_config_static_selectorELNS0_4arch9wavefront6targetE1EEEvSK_,"axG",@progbits,_ZN7rocprim17ROCPRIM_400000_NS6detail17trampoline_kernelINS0_14default_configENS1_38merge_sort_block_merge_config_selectorIdNS0_10empty_typeEEEZZNS1_27merge_sort_block_merge_implIS3_N6thrust23THRUST_200600_302600_NS6detail15normal_iteratorINS9_10device_ptrIdEEEEPS5_m14custom_greaterIdEEE10hipError_tT0_T1_T2_jT3_P12ihipStream_tbPNSt15iterator_traitsISJ_E10value_typeEPNSP_ISK_E10value_typeEPSL_NS1_7vsmem_tEENKUlT_SJ_SK_SL_E_clISE_PdSF_SF_EESI_SY_SJ_SK_SL_EUlSY_E1_NS1_11comp_targetILNS1_3genE4ELNS1_11target_archE910ELNS1_3gpuE8ELNS1_3repE0EEENS1_36merge_oddeven_config_static_selectorELNS0_4arch9wavefront6targetE1EEEvSK_,comdat
.Lfunc_end3656:
	.size	_ZN7rocprim17ROCPRIM_400000_NS6detail17trampoline_kernelINS0_14default_configENS1_38merge_sort_block_merge_config_selectorIdNS0_10empty_typeEEEZZNS1_27merge_sort_block_merge_implIS3_N6thrust23THRUST_200600_302600_NS6detail15normal_iteratorINS9_10device_ptrIdEEEEPS5_m14custom_greaterIdEEE10hipError_tT0_T1_T2_jT3_P12ihipStream_tbPNSt15iterator_traitsISJ_E10value_typeEPNSP_ISK_E10value_typeEPSL_NS1_7vsmem_tEENKUlT_SJ_SK_SL_E_clISE_PdSF_SF_EESI_SY_SJ_SK_SL_EUlSY_E1_NS1_11comp_targetILNS1_3genE4ELNS1_11target_archE910ELNS1_3gpuE8ELNS1_3repE0EEENS1_36merge_oddeven_config_static_selectorELNS0_4arch9wavefront6targetE1EEEvSK_, .Lfunc_end3656-_ZN7rocprim17ROCPRIM_400000_NS6detail17trampoline_kernelINS0_14default_configENS1_38merge_sort_block_merge_config_selectorIdNS0_10empty_typeEEEZZNS1_27merge_sort_block_merge_implIS3_N6thrust23THRUST_200600_302600_NS6detail15normal_iteratorINS9_10device_ptrIdEEEEPS5_m14custom_greaterIdEEE10hipError_tT0_T1_T2_jT3_P12ihipStream_tbPNSt15iterator_traitsISJ_E10value_typeEPNSP_ISK_E10value_typeEPSL_NS1_7vsmem_tEENKUlT_SJ_SK_SL_E_clISE_PdSF_SF_EESI_SY_SJ_SK_SL_EUlSY_E1_NS1_11comp_targetILNS1_3genE4ELNS1_11target_archE910ELNS1_3gpuE8ELNS1_3repE0EEENS1_36merge_oddeven_config_static_selectorELNS0_4arch9wavefront6targetE1EEEvSK_
                                        ; -- End function
	.section	.AMDGPU.csdata,"",@progbits
; Kernel info:
; codeLenInByte = 588
; NumSgprs: 25
; NumVgprs: 12
; NumAgprs: 0
; TotalNumVgprs: 12
; ScratchSize: 0
; MemoryBound: 0
; FloatMode: 240
; IeeeMode: 1
; LDSByteSize: 0 bytes/workgroup (compile time only)
; SGPRBlocks: 3
; VGPRBlocks: 1
; NumSGPRsForWavesPerEU: 25
; NumVGPRsForWavesPerEU: 12
; AccumOffset: 12
; Occupancy: 8
; WaveLimiterHint : 0
; COMPUTE_PGM_RSRC2:SCRATCH_EN: 0
; COMPUTE_PGM_RSRC2:USER_SGPR: 6
; COMPUTE_PGM_RSRC2:TRAP_HANDLER: 0
; COMPUTE_PGM_RSRC2:TGID_X_EN: 1
; COMPUTE_PGM_RSRC2:TGID_Y_EN: 0
; COMPUTE_PGM_RSRC2:TGID_Z_EN: 0
; COMPUTE_PGM_RSRC2:TIDIG_COMP_CNT: 0
; COMPUTE_PGM_RSRC3_GFX90A:ACCUM_OFFSET: 2
; COMPUTE_PGM_RSRC3_GFX90A:TG_SPLIT: 0
	.section	.text._ZN7rocprim17ROCPRIM_400000_NS6detail17trampoline_kernelINS0_14default_configENS1_38merge_sort_block_merge_config_selectorIdNS0_10empty_typeEEEZZNS1_27merge_sort_block_merge_implIS3_N6thrust23THRUST_200600_302600_NS6detail15normal_iteratorINS9_10device_ptrIdEEEEPS5_m14custom_greaterIdEEE10hipError_tT0_T1_T2_jT3_P12ihipStream_tbPNSt15iterator_traitsISJ_E10value_typeEPNSP_ISK_E10value_typeEPSL_NS1_7vsmem_tEENKUlT_SJ_SK_SL_E_clISE_PdSF_SF_EESI_SY_SJ_SK_SL_EUlSY_E1_NS1_11comp_targetILNS1_3genE3ELNS1_11target_archE908ELNS1_3gpuE7ELNS1_3repE0EEENS1_36merge_oddeven_config_static_selectorELNS0_4arch9wavefront6targetE1EEEvSK_,"axG",@progbits,_ZN7rocprim17ROCPRIM_400000_NS6detail17trampoline_kernelINS0_14default_configENS1_38merge_sort_block_merge_config_selectorIdNS0_10empty_typeEEEZZNS1_27merge_sort_block_merge_implIS3_N6thrust23THRUST_200600_302600_NS6detail15normal_iteratorINS9_10device_ptrIdEEEEPS5_m14custom_greaterIdEEE10hipError_tT0_T1_T2_jT3_P12ihipStream_tbPNSt15iterator_traitsISJ_E10value_typeEPNSP_ISK_E10value_typeEPSL_NS1_7vsmem_tEENKUlT_SJ_SK_SL_E_clISE_PdSF_SF_EESI_SY_SJ_SK_SL_EUlSY_E1_NS1_11comp_targetILNS1_3genE3ELNS1_11target_archE908ELNS1_3gpuE7ELNS1_3repE0EEENS1_36merge_oddeven_config_static_selectorELNS0_4arch9wavefront6targetE1EEEvSK_,comdat
	.protected	_ZN7rocprim17ROCPRIM_400000_NS6detail17trampoline_kernelINS0_14default_configENS1_38merge_sort_block_merge_config_selectorIdNS0_10empty_typeEEEZZNS1_27merge_sort_block_merge_implIS3_N6thrust23THRUST_200600_302600_NS6detail15normal_iteratorINS9_10device_ptrIdEEEEPS5_m14custom_greaterIdEEE10hipError_tT0_T1_T2_jT3_P12ihipStream_tbPNSt15iterator_traitsISJ_E10value_typeEPNSP_ISK_E10value_typeEPSL_NS1_7vsmem_tEENKUlT_SJ_SK_SL_E_clISE_PdSF_SF_EESI_SY_SJ_SK_SL_EUlSY_E1_NS1_11comp_targetILNS1_3genE3ELNS1_11target_archE908ELNS1_3gpuE7ELNS1_3repE0EEENS1_36merge_oddeven_config_static_selectorELNS0_4arch9wavefront6targetE1EEEvSK_ ; -- Begin function _ZN7rocprim17ROCPRIM_400000_NS6detail17trampoline_kernelINS0_14default_configENS1_38merge_sort_block_merge_config_selectorIdNS0_10empty_typeEEEZZNS1_27merge_sort_block_merge_implIS3_N6thrust23THRUST_200600_302600_NS6detail15normal_iteratorINS9_10device_ptrIdEEEEPS5_m14custom_greaterIdEEE10hipError_tT0_T1_T2_jT3_P12ihipStream_tbPNSt15iterator_traitsISJ_E10value_typeEPNSP_ISK_E10value_typeEPSL_NS1_7vsmem_tEENKUlT_SJ_SK_SL_E_clISE_PdSF_SF_EESI_SY_SJ_SK_SL_EUlSY_E1_NS1_11comp_targetILNS1_3genE3ELNS1_11target_archE908ELNS1_3gpuE7ELNS1_3repE0EEENS1_36merge_oddeven_config_static_selectorELNS0_4arch9wavefront6targetE1EEEvSK_
	.globl	_ZN7rocprim17ROCPRIM_400000_NS6detail17trampoline_kernelINS0_14default_configENS1_38merge_sort_block_merge_config_selectorIdNS0_10empty_typeEEEZZNS1_27merge_sort_block_merge_implIS3_N6thrust23THRUST_200600_302600_NS6detail15normal_iteratorINS9_10device_ptrIdEEEEPS5_m14custom_greaterIdEEE10hipError_tT0_T1_T2_jT3_P12ihipStream_tbPNSt15iterator_traitsISJ_E10value_typeEPNSP_ISK_E10value_typeEPSL_NS1_7vsmem_tEENKUlT_SJ_SK_SL_E_clISE_PdSF_SF_EESI_SY_SJ_SK_SL_EUlSY_E1_NS1_11comp_targetILNS1_3genE3ELNS1_11target_archE908ELNS1_3gpuE7ELNS1_3repE0EEENS1_36merge_oddeven_config_static_selectorELNS0_4arch9wavefront6targetE1EEEvSK_
	.p2align	8
	.type	_ZN7rocprim17ROCPRIM_400000_NS6detail17trampoline_kernelINS0_14default_configENS1_38merge_sort_block_merge_config_selectorIdNS0_10empty_typeEEEZZNS1_27merge_sort_block_merge_implIS3_N6thrust23THRUST_200600_302600_NS6detail15normal_iteratorINS9_10device_ptrIdEEEEPS5_m14custom_greaterIdEEE10hipError_tT0_T1_T2_jT3_P12ihipStream_tbPNSt15iterator_traitsISJ_E10value_typeEPNSP_ISK_E10value_typeEPSL_NS1_7vsmem_tEENKUlT_SJ_SK_SL_E_clISE_PdSF_SF_EESI_SY_SJ_SK_SL_EUlSY_E1_NS1_11comp_targetILNS1_3genE3ELNS1_11target_archE908ELNS1_3gpuE7ELNS1_3repE0EEENS1_36merge_oddeven_config_static_selectorELNS0_4arch9wavefront6targetE1EEEvSK_,@function
_ZN7rocprim17ROCPRIM_400000_NS6detail17trampoline_kernelINS0_14default_configENS1_38merge_sort_block_merge_config_selectorIdNS0_10empty_typeEEEZZNS1_27merge_sort_block_merge_implIS3_N6thrust23THRUST_200600_302600_NS6detail15normal_iteratorINS9_10device_ptrIdEEEEPS5_m14custom_greaterIdEEE10hipError_tT0_T1_T2_jT3_P12ihipStream_tbPNSt15iterator_traitsISJ_E10value_typeEPNSP_ISK_E10value_typeEPSL_NS1_7vsmem_tEENKUlT_SJ_SK_SL_E_clISE_PdSF_SF_EESI_SY_SJ_SK_SL_EUlSY_E1_NS1_11comp_targetILNS1_3genE3ELNS1_11target_archE908ELNS1_3gpuE7ELNS1_3repE0EEENS1_36merge_oddeven_config_static_selectorELNS0_4arch9wavefront6targetE1EEEvSK_: ; @_ZN7rocprim17ROCPRIM_400000_NS6detail17trampoline_kernelINS0_14default_configENS1_38merge_sort_block_merge_config_selectorIdNS0_10empty_typeEEEZZNS1_27merge_sort_block_merge_implIS3_N6thrust23THRUST_200600_302600_NS6detail15normal_iteratorINS9_10device_ptrIdEEEEPS5_m14custom_greaterIdEEE10hipError_tT0_T1_T2_jT3_P12ihipStream_tbPNSt15iterator_traitsISJ_E10value_typeEPNSP_ISK_E10value_typeEPSL_NS1_7vsmem_tEENKUlT_SJ_SK_SL_E_clISE_PdSF_SF_EESI_SY_SJ_SK_SL_EUlSY_E1_NS1_11comp_targetILNS1_3genE3ELNS1_11target_archE908ELNS1_3gpuE7ELNS1_3repE0EEENS1_36merge_oddeven_config_static_selectorELNS0_4arch9wavefront6targetE1EEEvSK_
; %bb.0:
	.section	.rodata,"a",@progbits
	.p2align	6, 0x0
	.amdhsa_kernel _ZN7rocprim17ROCPRIM_400000_NS6detail17trampoline_kernelINS0_14default_configENS1_38merge_sort_block_merge_config_selectorIdNS0_10empty_typeEEEZZNS1_27merge_sort_block_merge_implIS3_N6thrust23THRUST_200600_302600_NS6detail15normal_iteratorINS9_10device_ptrIdEEEEPS5_m14custom_greaterIdEEE10hipError_tT0_T1_T2_jT3_P12ihipStream_tbPNSt15iterator_traitsISJ_E10value_typeEPNSP_ISK_E10value_typeEPSL_NS1_7vsmem_tEENKUlT_SJ_SK_SL_E_clISE_PdSF_SF_EESI_SY_SJ_SK_SL_EUlSY_E1_NS1_11comp_targetILNS1_3genE3ELNS1_11target_archE908ELNS1_3gpuE7ELNS1_3repE0EEENS1_36merge_oddeven_config_static_selectorELNS0_4arch9wavefront6targetE1EEEvSK_
		.amdhsa_group_segment_fixed_size 0
		.amdhsa_private_segment_fixed_size 0
		.amdhsa_kernarg_size 56
		.amdhsa_user_sgpr_count 6
		.amdhsa_user_sgpr_private_segment_buffer 1
		.amdhsa_user_sgpr_dispatch_ptr 0
		.amdhsa_user_sgpr_queue_ptr 0
		.amdhsa_user_sgpr_kernarg_segment_ptr 1
		.amdhsa_user_sgpr_dispatch_id 0
		.amdhsa_user_sgpr_flat_scratch_init 0
		.amdhsa_user_sgpr_kernarg_preload_length 0
		.amdhsa_user_sgpr_kernarg_preload_offset 0
		.amdhsa_user_sgpr_private_segment_size 0
		.amdhsa_uses_dynamic_stack 0
		.amdhsa_system_sgpr_private_segment_wavefront_offset 0
		.amdhsa_system_sgpr_workgroup_id_x 1
		.amdhsa_system_sgpr_workgroup_id_y 0
		.amdhsa_system_sgpr_workgroup_id_z 0
		.amdhsa_system_sgpr_workgroup_info 0
		.amdhsa_system_vgpr_workitem_id 0
		.amdhsa_next_free_vgpr 1
		.amdhsa_next_free_sgpr 0
		.amdhsa_accum_offset 4
		.amdhsa_reserve_vcc 0
		.amdhsa_reserve_flat_scratch 0
		.amdhsa_float_round_mode_32 0
		.amdhsa_float_round_mode_16_64 0
		.amdhsa_float_denorm_mode_32 3
		.amdhsa_float_denorm_mode_16_64 3
		.amdhsa_dx10_clamp 1
		.amdhsa_ieee_mode 1
		.amdhsa_fp16_overflow 0
		.amdhsa_tg_split 0
		.amdhsa_exception_fp_ieee_invalid_op 0
		.amdhsa_exception_fp_denorm_src 0
		.amdhsa_exception_fp_ieee_div_zero 0
		.amdhsa_exception_fp_ieee_overflow 0
		.amdhsa_exception_fp_ieee_underflow 0
		.amdhsa_exception_fp_ieee_inexact 0
		.amdhsa_exception_int_div_zero 0
	.end_amdhsa_kernel
	.section	.text._ZN7rocprim17ROCPRIM_400000_NS6detail17trampoline_kernelINS0_14default_configENS1_38merge_sort_block_merge_config_selectorIdNS0_10empty_typeEEEZZNS1_27merge_sort_block_merge_implIS3_N6thrust23THRUST_200600_302600_NS6detail15normal_iteratorINS9_10device_ptrIdEEEEPS5_m14custom_greaterIdEEE10hipError_tT0_T1_T2_jT3_P12ihipStream_tbPNSt15iterator_traitsISJ_E10value_typeEPNSP_ISK_E10value_typeEPSL_NS1_7vsmem_tEENKUlT_SJ_SK_SL_E_clISE_PdSF_SF_EESI_SY_SJ_SK_SL_EUlSY_E1_NS1_11comp_targetILNS1_3genE3ELNS1_11target_archE908ELNS1_3gpuE7ELNS1_3repE0EEENS1_36merge_oddeven_config_static_selectorELNS0_4arch9wavefront6targetE1EEEvSK_,"axG",@progbits,_ZN7rocprim17ROCPRIM_400000_NS6detail17trampoline_kernelINS0_14default_configENS1_38merge_sort_block_merge_config_selectorIdNS0_10empty_typeEEEZZNS1_27merge_sort_block_merge_implIS3_N6thrust23THRUST_200600_302600_NS6detail15normal_iteratorINS9_10device_ptrIdEEEEPS5_m14custom_greaterIdEEE10hipError_tT0_T1_T2_jT3_P12ihipStream_tbPNSt15iterator_traitsISJ_E10value_typeEPNSP_ISK_E10value_typeEPSL_NS1_7vsmem_tEENKUlT_SJ_SK_SL_E_clISE_PdSF_SF_EESI_SY_SJ_SK_SL_EUlSY_E1_NS1_11comp_targetILNS1_3genE3ELNS1_11target_archE908ELNS1_3gpuE7ELNS1_3repE0EEENS1_36merge_oddeven_config_static_selectorELNS0_4arch9wavefront6targetE1EEEvSK_,comdat
.Lfunc_end3657:
	.size	_ZN7rocprim17ROCPRIM_400000_NS6detail17trampoline_kernelINS0_14default_configENS1_38merge_sort_block_merge_config_selectorIdNS0_10empty_typeEEEZZNS1_27merge_sort_block_merge_implIS3_N6thrust23THRUST_200600_302600_NS6detail15normal_iteratorINS9_10device_ptrIdEEEEPS5_m14custom_greaterIdEEE10hipError_tT0_T1_T2_jT3_P12ihipStream_tbPNSt15iterator_traitsISJ_E10value_typeEPNSP_ISK_E10value_typeEPSL_NS1_7vsmem_tEENKUlT_SJ_SK_SL_E_clISE_PdSF_SF_EESI_SY_SJ_SK_SL_EUlSY_E1_NS1_11comp_targetILNS1_3genE3ELNS1_11target_archE908ELNS1_3gpuE7ELNS1_3repE0EEENS1_36merge_oddeven_config_static_selectorELNS0_4arch9wavefront6targetE1EEEvSK_, .Lfunc_end3657-_ZN7rocprim17ROCPRIM_400000_NS6detail17trampoline_kernelINS0_14default_configENS1_38merge_sort_block_merge_config_selectorIdNS0_10empty_typeEEEZZNS1_27merge_sort_block_merge_implIS3_N6thrust23THRUST_200600_302600_NS6detail15normal_iteratorINS9_10device_ptrIdEEEEPS5_m14custom_greaterIdEEE10hipError_tT0_T1_T2_jT3_P12ihipStream_tbPNSt15iterator_traitsISJ_E10value_typeEPNSP_ISK_E10value_typeEPSL_NS1_7vsmem_tEENKUlT_SJ_SK_SL_E_clISE_PdSF_SF_EESI_SY_SJ_SK_SL_EUlSY_E1_NS1_11comp_targetILNS1_3genE3ELNS1_11target_archE908ELNS1_3gpuE7ELNS1_3repE0EEENS1_36merge_oddeven_config_static_selectorELNS0_4arch9wavefront6targetE1EEEvSK_
                                        ; -- End function
	.section	.AMDGPU.csdata,"",@progbits
; Kernel info:
; codeLenInByte = 0
; NumSgprs: 4
; NumVgprs: 0
; NumAgprs: 0
; TotalNumVgprs: 0
; ScratchSize: 0
; MemoryBound: 0
; FloatMode: 240
; IeeeMode: 1
; LDSByteSize: 0 bytes/workgroup (compile time only)
; SGPRBlocks: 0
; VGPRBlocks: 0
; NumSGPRsForWavesPerEU: 4
; NumVGPRsForWavesPerEU: 1
; AccumOffset: 4
; Occupancy: 8
; WaveLimiterHint : 0
; COMPUTE_PGM_RSRC2:SCRATCH_EN: 0
; COMPUTE_PGM_RSRC2:USER_SGPR: 6
; COMPUTE_PGM_RSRC2:TRAP_HANDLER: 0
; COMPUTE_PGM_RSRC2:TGID_X_EN: 1
; COMPUTE_PGM_RSRC2:TGID_Y_EN: 0
; COMPUTE_PGM_RSRC2:TGID_Z_EN: 0
; COMPUTE_PGM_RSRC2:TIDIG_COMP_CNT: 0
; COMPUTE_PGM_RSRC3_GFX90A:ACCUM_OFFSET: 0
; COMPUTE_PGM_RSRC3_GFX90A:TG_SPLIT: 0
	.section	.text._ZN7rocprim17ROCPRIM_400000_NS6detail17trampoline_kernelINS0_14default_configENS1_38merge_sort_block_merge_config_selectorIdNS0_10empty_typeEEEZZNS1_27merge_sort_block_merge_implIS3_N6thrust23THRUST_200600_302600_NS6detail15normal_iteratorINS9_10device_ptrIdEEEEPS5_m14custom_greaterIdEEE10hipError_tT0_T1_T2_jT3_P12ihipStream_tbPNSt15iterator_traitsISJ_E10value_typeEPNSP_ISK_E10value_typeEPSL_NS1_7vsmem_tEENKUlT_SJ_SK_SL_E_clISE_PdSF_SF_EESI_SY_SJ_SK_SL_EUlSY_E1_NS1_11comp_targetILNS1_3genE2ELNS1_11target_archE906ELNS1_3gpuE6ELNS1_3repE0EEENS1_36merge_oddeven_config_static_selectorELNS0_4arch9wavefront6targetE1EEEvSK_,"axG",@progbits,_ZN7rocprim17ROCPRIM_400000_NS6detail17trampoline_kernelINS0_14default_configENS1_38merge_sort_block_merge_config_selectorIdNS0_10empty_typeEEEZZNS1_27merge_sort_block_merge_implIS3_N6thrust23THRUST_200600_302600_NS6detail15normal_iteratorINS9_10device_ptrIdEEEEPS5_m14custom_greaterIdEEE10hipError_tT0_T1_T2_jT3_P12ihipStream_tbPNSt15iterator_traitsISJ_E10value_typeEPNSP_ISK_E10value_typeEPSL_NS1_7vsmem_tEENKUlT_SJ_SK_SL_E_clISE_PdSF_SF_EESI_SY_SJ_SK_SL_EUlSY_E1_NS1_11comp_targetILNS1_3genE2ELNS1_11target_archE906ELNS1_3gpuE6ELNS1_3repE0EEENS1_36merge_oddeven_config_static_selectorELNS0_4arch9wavefront6targetE1EEEvSK_,comdat
	.protected	_ZN7rocprim17ROCPRIM_400000_NS6detail17trampoline_kernelINS0_14default_configENS1_38merge_sort_block_merge_config_selectorIdNS0_10empty_typeEEEZZNS1_27merge_sort_block_merge_implIS3_N6thrust23THRUST_200600_302600_NS6detail15normal_iteratorINS9_10device_ptrIdEEEEPS5_m14custom_greaterIdEEE10hipError_tT0_T1_T2_jT3_P12ihipStream_tbPNSt15iterator_traitsISJ_E10value_typeEPNSP_ISK_E10value_typeEPSL_NS1_7vsmem_tEENKUlT_SJ_SK_SL_E_clISE_PdSF_SF_EESI_SY_SJ_SK_SL_EUlSY_E1_NS1_11comp_targetILNS1_3genE2ELNS1_11target_archE906ELNS1_3gpuE6ELNS1_3repE0EEENS1_36merge_oddeven_config_static_selectorELNS0_4arch9wavefront6targetE1EEEvSK_ ; -- Begin function _ZN7rocprim17ROCPRIM_400000_NS6detail17trampoline_kernelINS0_14default_configENS1_38merge_sort_block_merge_config_selectorIdNS0_10empty_typeEEEZZNS1_27merge_sort_block_merge_implIS3_N6thrust23THRUST_200600_302600_NS6detail15normal_iteratorINS9_10device_ptrIdEEEEPS5_m14custom_greaterIdEEE10hipError_tT0_T1_T2_jT3_P12ihipStream_tbPNSt15iterator_traitsISJ_E10value_typeEPNSP_ISK_E10value_typeEPSL_NS1_7vsmem_tEENKUlT_SJ_SK_SL_E_clISE_PdSF_SF_EESI_SY_SJ_SK_SL_EUlSY_E1_NS1_11comp_targetILNS1_3genE2ELNS1_11target_archE906ELNS1_3gpuE6ELNS1_3repE0EEENS1_36merge_oddeven_config_static_selectorELNS0_4arch9wavefront6targetE1EEEvSK_
	.globl	_ZN7rocprim17ROCPRIM_400000_NS6detail17trampoline_kernelINS0_14default_configENS1_38merge_sort_block_merge_config_selectorIdNS0_10empty_typeEEEZZNS1_27merge_sort_block_merge_implIS3_N6thrust23THRUST_200600_302600_NS6detail15normal_iteratorINS9_10device_ptrIdEEEEPS5_m14custom_greaterIdEEE10hipError_tT0_T1_T2_jT3_P12ihipStream_tbPNSt15iterator_traitsISJ_E10value_typeEPNSP_ISK_E10value_typeEPSL_NS1_7vsmem_tEENKUlT_SJ_SK_SL_E_clISE_PdSF_SF_EESI_SY_SJ_SK_SL_EUlSY_E1_NS1_11comp_targetILNS1_3genE2ELNS1_11target_archE906ELNS1_3gpuE6ELNS1_3repE0EEENS1_36merge_oddeven_config_static_selectorELNS0_4arch9wavefront6targetE1EEEvSK_
	.p2align	8
	.type	_ZN7rocprim17ROCPRIM_400000_NS6detail17trampoline_kernelINS0_14default_configENS1_38merge_sort_block_merge_config_selectorIdNS0_10empty_typeEEEZZNS1_27merge_sort_block_merge_implIS3_N6thrust23THRUST_200600_302600_NS6detail15normal_iteratorINS9_10device_ptrIdEEEEPS5_m14custom_greaterIdEEE10hipError_tT0_T1_T2_jT3_P12ihipStream_tbPNSt15iterator_traitsISJ_E10value_typeEPNSP_ISK_E10value_typeEPSL_NS1_7vsmem_tEENKUlT_SJ_SK_SL_E_clISE_PdSF_SF_EESI_SY_SJ_SK_SL_EUlSY_E1_NS1_11comp_targetILNS1_3genE2ELNS1_11target_archE906ELNS1_3gpuE6ELNS1_3repE0EEENS1_36merge_oddeven_config_static_selectorELNS0_4arch9wavefront6targetE1EEEvSK_,@function
_ZN7rocprim17ROCPRIM_400000_NS6detail17trampoline_kernelINS0_14default_configENS1_38merge_sort_block_merge_config_selectorIdNS0_10empty_typeEEEZZNS1_27merge_sort_block_merge_implIS3_N6thrust23THRUST_200600_302600_NS6detail15normal_iteratorINS9_10device_ptrIdEEEEPS5_m14custom_greaterIdEEE10hipError_tT0_T1_T2_jT3_P12ihipStream_tbPNSt15iterator_traitsISJ_E10value_typeEPNSP_ISK_E10value_typeEPSL_NS1_7vsmem_tEENKUlT_SJ_SK_SL_E_clISE_PdSF_SF_EESI_SY_SJ_SK_SL_EUlSY_E1_NS1_11comp_targetILNS1_3genE2ELNS1_11target_archE906ELNS1_3gpuE6ELNS1_3repE0EEENS1_36merge_oddeven_config_static_selectorELNS0_4arch9wavefront6targetE1EEEvSK_: ; @_ZN7rocprim17ROCPRIM_400000_NS6detail17trampoline_kernelINS0_14default_configENS1_38merge_sort_block_merge_config_selectorIdNS0_10empty_typeEEEZZNS1_27merge_sort_block_merge_implIS3_N6thrust23THRUST_200600_302600_NS6detail15normal_iteratorINS9_10device_ptrIdEEEEPS5_m14custom_greaterIdEEE10hipError_tT0_T1_T2_jT3_P12ihipStream_tbPNSt15iterator_traitsISJ_E10value_typeEPNSP_ISK_E10value_typeEPSL_NS1_7vsmem_tEENKUlT_SJ_SK_SL_E_clISE_PdSF_SF_EESI_SY_SJ_SK_SL_EUlSY_E1_NS1_11comp_targetILNS1_3genE2ELNS1_11target_archE906ELNS1_3gpuE6ELNS1_3repE0EEENS1_36merge_oddeven_config_static_selectorELNS0_4arch9wavefront6targetE1EEEvSK_
; %bb.0:
	.section	.rodata,"a",@progbits
	.p2align	6, 0x0
	.amdhsa_kernel _ZN7rocprim17ROCPRIM_400000_NS6detail17trampoline_kernelINS0_14default_configENS1_38merge_sort_block_merge_config_selectorIdNS0_10empty_typeEEEZZNS1_27merge_sort_block_merge_implIS3_N6thrust23THRUST_200600_302600_NS6detail15normal_iteratorINS9_10device_ptrIdEEEEPS5_m14custom_greaterIdEEE10hipError_tT0_T1_T2_jT3_P12ihipStream_tbPNSt15iterator_traitsISJ_E10value_typeEPNSP_ISK_E10value_typeEPSL_NS1_7vsmem_tEENKUlT_SJ_SK_SL_E_clISE_PdSF_SF_EESI_SY_SJ_SK_SL_EUlSY_E1_NS1_11comp_targetILNS1_3genE2ELNS1_11target_archE906ELNS1_3gpuE6ELNS1_3repE0EEENS1_36merge_oddeven_config_static_selectorELNS0_4arch9wavefront6targetE1EEEvSK_
		.amdhsa_group_segment_fixed_size 0
		.amdhsa_private_segment_fixed_size 0
		.amdhsa_kernarg_size 56
		.amdhsa_user_sgpr_count 6
		.amdhsa_user_sgpr_private_segment_buffer 1
		.amdhsa_user_sgpr_dispatch_ptr 0
		.amdhsa_user_sgpr_queue_ptr 0
		.amdhsa_user_sgpr_kernarg_segment_ptr 1
		.amdhsa_user_sgpr_dispatch_id 0
		.amdhsa_user_sgpr_flat_scratch_init 0
		.amdhsa_user_sgpr_kernarg_preload_length 0
		.amdhsa_user_sgpr_kernarg_preload_offset 0
		.amdhsa_user_sgpr_private_segment_size 0
		.amdhsa_uses_dynamic_stack 0
		.amdhsa_system_sgpr_private_segment_wavefront_offset 0
		.amdhsa_system_sgpr_workgroup_id_x 1
		.amdhsa_system_sgpr_workgroup_id_y 0
		.amdhsa_system_sgpr_workgroup_id_z 0
		.amdhsa_system_sgpr_workgroup_info 0
		.amdhsa_system_vgpr_workitem_id 0
		.amdhsa_next_free_vgpr 1
		.amdhsa_next_free_sgpr 0
		.amdhsa_accum_offset 4
		.amdhsa_reserve_vcc 0
		.amdhsa_reserve_flat_scratch 0
		.amdhsa_float_round_mode_32 0
		.amdhsa_float_round_mode_16_64 0
		.amdhsa_float_denorm_mode_32 3
		.amdhsa_float_denorm_mode_16_64 3
		.amdhsa_dx10_clamp 1
		.amdhsa_ieee_mode 1
		.amdhsa_fp16_overflow 0
		.amdhsa_tg_split 0
		.amdhsa_exception_fp_ieee_invalid_op 0
		.amdhsa_exception_fp_denorm_src 0
		.amdhsa_exception_fp_ieee_div_zero 0
		.amdhsa_exception_fp_ieee_overflow 0
		.amdhsa_exception_fp_ieee_underflow 0
		.amdhsa_exception_fp_ieee_inexact 0
		.amdhsa_exception_int_div_zero 0
	.end_amdhsa_kernel
	.section	.text._ZN7rocprim17ROCPRIM_400000_NS6detail17trampoline_kernelINS0_14default_configENS1_38merge_sort_block_merge_config_selectorIdNS0_10empty_typeEEEZZNS1_27merge_sort_block_merge_implIS3_N6thrust23THRUST_200600_302600_NS6detail15normal_iteratorINS9_10device_ptrIdEEEEPS5_m14custom_greaterIdEEE10hipError_tT0_T1_T2_jT3_P12ihipStream_tbPNSt15iterator_traitsISJ_E10value_typeEPNSP_ISK_E10value_typeEPSL_NS1_7vsmem_tEENKUlT_SJ_SK_SL_E_clISE_PdSF_SF_EESI_SY_SJ_SK_SL_EUlSY_E1_NS1_11comp_targetILNS1_3genE2ELNS1_11target_archE906ELNS1_3gpuE6ELNS1_3repE0EEENS1_36merge_oddeven_config_static_selectorELNS0_4arch9wavefront6targetE1EEEvSK_,"axG",@progbits,_ZN7rocprim17ROCPRIM_400000_NS6detail17trampoline_kernelINS0_14default_configENS1_38merge_sort_block_merge_config_selectorIdNS0_10empty_typeEEEZZNS1_27merge_sort_block_merge_implIS3_N6thrust23THRUST_200600_302600_NS6detail15normal_iteratorINS9_10device_ptrIdEEEEPS5_m14custom_greaterIdEEE10hipError_tT0_T1_T2_jT3_P12ihipStream_tbPNSt15iterator_traitsISJ_E10value_typeEPNSP_ISK_E10value_typeEPSL_NS1_7vsmem_tEENKUlT_SJ_SK_SL_E_clISE_PdSF_SF_EESI_SY_SJ_SK_SL_EUlSY_E1_NS1_11comp_targetILNS1_3genE2ELNS1_11target_archE906ELNS1_3gpuE6ELNS1_3repE0EEENS1_36merge_oddeven_config_static_selectorELNS0_4arch9wavefront6targetE1EEEvSK_,comdat
.Lfunc_end3658:
	.size	_ZN7rocprim17ROCPRIM_400000_NS6detail17trampoline_kernelINS0_14default_configENS1_38merge_sort_block_merge_config_selectorIdNS0_10empty_typeEEEZZNS1_27merge_sort_block_merge_implIS3_N6thrust23THRUST_200600_302600_NS6detail15normal_iteratorINS9_10device_ptrIdEEEEPS5_m14custom_greaterIdEEE10hipError_tT0_T1_T2_jT3_P12ihipStream_tbPNSt15iterator_traitsISJ_E10value_typeEPNSP_ISK_E10value_typeEPSL_NS1_7vsmem_tEENKUlT_SJ_SK_SL_E_clISE_PdSF_SF_EESI_SY_SJ_SK_SL_EUlSY_E1_NS1_11comp_targetILNS1_3genE2ELNS1_11target_archE906ELNS1_3gpuE6ELNS1_3repE0EEENS1_36merge_oddeven_config_static_selectorELNS0_4arch9wavefront6targetE1EEEvSK_, .Lfunc_end3658-_ZN7rocprim17ROCPRIM_400000_NS6detail17trampoline_kernelINS0_14default_configENS1_38merge_sort_block_merge_config_selectorIdNS0_10empty_typeEEEZZNS1_27merge_sort_block_merge_implIS3_N6thrust23THRUST_200600_302600_NS6detail15normal_iteratorINS9_10device_ptrIdEEEEPS5_m14custom_greaterIdEEE10hipError_tT0_T1_T2_jT3_P12ihipStream_tbPNSt15iterator_traitsISJ_E10value_typeEPNSP_ISK_E10value_typeEPSL_NS1_7vsmem_tEENKUlT_SJ_SK_SL_E_clISE_PdSF_SF_EESI_SY_SJ_SK_SL_EUlSY_E1_NS1_11comp_targetILNS1_3genE2ELNS1_11target_archE906ELNS1_3gpuE6ELNS1_3repE0EEENS1_36merge_oddeven_config_static_selectorELNS0_4arch9wavefront6targetE1EEEvSK_
                                        ; -- End function
	.section	.AMDGPU.csdata,"",@progbits
; Kernel info:
; codeLenInByte = 0
; NumSgprs: 4
; NumVgprs: 0
; NumAgprs: 0
; TotalNumVgprs: 0
; ScratchSize: 0
; MemoryBound: 0
; FloatMode: 240
; IeeeMode: 1
; LDSByteSize: 0 bytes/workgroup (compile time only)
; SGPRBlocks: 0
; VGPRBlocks: 0
; NumSGPRsForWavesPerEU: 4
; NumVGPRsForWavesPerEU: 1
; AccumOffset: 4
; Occupancy: 8
; WaveLimiterHint : 0
; COMPUTE_PGM_RSRC2:SCRATCH_EN: 0
; COMPUTE_PGM_RSRC2:USER_SGPR: 6
; COMPUTE_PGM_RSRC2:TRAP_HANDLER: 0
; COMPUTE_PGM_RSRC2:TGID_X_EN: 1
; COMPUTE_PGM_RSRC2:TGID_Y_EN: 0
; COMPUTE_PGM_RSRC2:TGID_Z_EN: 0
; COMPUTE_PGM_RSRC2:TIDIG_COMP_CNT: 0
; COMPUTE_PGM_RSRC3_GFX90A:ACCUM_OFFSET: 0
; COMPUTE_PGM_RSRC3_GFX90A:TG_SPLIT: 0
	.section	.text._ZN7rocprim17ROCPRIM_400000_NS6detail17trampoline_kernelINS0_14default_configENS1_38merge_sort_block_merge_config_selectorIdNS0_10empty_typeEEEZZNS1_27merge_sort_block_merge_implIS3_N6thrust23THRUST_200600_302600_NS6detail15normal_iteratorINS9_10device_ptrIdEEEEPS5_m14custom_greaterIdEEE10hipError_tT0_T1_T2_jT3_P12ihipStream_tbPNSt15iterator_traitsISJ_E10value_typeEPNSP_ISK_E10value_typeEPSL_NS1_7vsmem_tEENKUlT_SJ_SK_SL_E_clISE_PdSF_SF_EESI_SY_SJ_SK_SL_EUlSY_E1_NS1_11comp_targetILNS1_3genE9ELNS1_11target_archE1100ELNS1_3gpuE3ELNS1_3repE0EEENS1_36merge_oddeven_config_static_selectorELNS0_4arch9wavefront6targetE1EEEvSK_,"axG",@progbits,_ZN7rocprim17ROCPRIM_400000_NS6detail17trampoline_kernelINS0_14default_configENS1_38merge_sort_block_merge_config_selectorIdNS0_10empty_typeEEEZZNS1_27merge_sort_block_merge_implIS3_N6thrust23THRUST_200600_302600_NS6detail15normal_iteratorINS9_10device_ptrIdEEEEPS5_m14custom_greaterIdEEE10hipError_tT0_T1_T2_jT3_P12ihipStream_tbPNSt15iterator_traitsISJ_E10value_typeEPNSP_ISK_E10value_typeEPSL_NS1_7vsmem_tEENKUlT_SJ_SK_SL_E_clISE_PdSF_SF_EESI_SY_SJ_SK_SL_EUlSY_E1_NS1_11comp_targetILNS1_3genE9ELNS1_11target_archE1100ELNS1_3gpuE3ELNS1_3repE0EEENS1_36merge_oddeven_config_static_selectorELNS0_4arch9wavefront6targetE1EEEvSK_,comdat
	.protected	_ZN7rocprim17ROCPRIM_400000_NS6detail17trampoline_kernelINS0_14default_configENS1_38merge_sort_block_merge_config_selectorIdNS0_10empty_typeEEEZZNS1_27merge_sort_block_merge_implIS3_N6thrust23THRUST_200600_302600_NS6detail15normal_iteratorINS9_10device_ptrIdEEEEPS5_m14custom_greaterIdEEE10hipError_tT0_T1_T2_jT3_P12ihipStream_tbPNSt15iterator_traitsISJ_E10value_typeEPNSP_ISK_E10value_typeEPSL_NS1_7vsmem_tEENKUlT_SJ_SK_SL_E_clISE_PdSF_SF_EESI_SY_SJ_SK_SL_EUlSY_E1_NS1_11comp_targetILNS1_3genE9ELNS1_11target_archE1100ELNS1_3gpuE3ELNS1_3repE0EEENS1_36merge_oddeven_config_static_selectorELNS0_4arch9wavefront6targetE1EEEvSK_ ; -- Begin function _ZN7rocprim17ROCPRIM_400000_NS6detail17trampoline_kernelINS0_14default_configENS1_38merge_sort_block_merge_config_selectorIdNS0_10empty_typeEEEZZNS1_27merge_sort_block_merge_implIS3_N6thrust23THRUST_200600_302600_NS6detail15normal_iteratorINS9_10device_ptrIdEEEEPS5_m14custom_greaterIdEEE10hipError_tT0_T1_T2_jT3_P12ihipStream_tbPNSt15iterator_traitsISJ_E10value_typeEPNSP_ISK_E10value_typeEPSL_NS1_7vsmem_tEENKUlT_SJ_SK_SL_E_clISE_PdSF_SF_EESI_SY_SJ_SK_SL_EUlSY_E1_NS1_11comp_targetILNS1_3genE9ELNS1_11target_archE1100ELNS1_3gpuE3ELNS1_3repE0EEENS1_36merge_oddeven_config_static_selectorELNS0_4arch9wavefront6targetE1EEEvSK_
	.globl	_ZN7rocprim17ROCPRIM_400000_NS6detail17trampoline_kernelINS0_14default_configENS1_38merge_sort_block_merge_config_selectorIdNS0_10empty_typeEEEZZNS1_27merge_sort_block_merge_implIS3_N6thrust23THRUST_200600_302600_NS6detail15normal_iteratorINS9_10device_ptrIdEEEEPS5_m14custom_greaterIdEEE10hipError_tT0_T1_T2_jT3_P12ihipStream_tbPNSt15iterator_traitsISJ_E10value_typeEPNSP_ISK_E10value_typeEPSL_NS1_7vsmem_tEENKUlT_SJ_SK_SL_E_clISE_PdSF_SF_EESI_SY_SJ_SK_SL_EUlSY_E1_NS1_11comp_targetILNS1_3genE9ELNS1_11target_archE1100ELNS1_3gpuE3ELNS1_3repE0EEENS1_36merge_oddeven_config_static_selectorELNS0_4arch9wavefront6targetE1EEEvSK_
	.p2align	8
	.type	_ZN7rocprim17ROCPRIM_400000_NS6detail17trampoline_kernelINS0_14default_configENS1_38merge_sort_block_merge_config_selectorIdNS0_10empty_typeEEEZZNS1_27merge_sort_block_merge_implIS3_N6thrust23THRUST_200600_302600_NS6detail15normal_iteratorINS9_10device_ptrIdEEEEPS5_m14custom_greaterIdEEE10hipError_tT0_T1_T2_jT3_P12ihipStream_tbPNSt15iterator_traitsISJ_E10value_typeEPNSP_ISK_E10value_typeEPSL_NS1_7vsmem_tEENKUlT_SJ_SK_SL_E_clISE_PdSF_SF_EESI_SY_SJ_SK_SL_EUlSY_E1_NS1_11comp_targetILNS1_3genE9ELNS1_11target_archE1100ELNS1_3gpuE3ELNS1_3repE0EEENS1_36merge_oddeven_config_static_selectorELNS0_4arch9wavefront6targetE1EEEvSK_,@function
_ZN7rocprim17ROCPRIM_400000_NS6detail17trampoline_kernelINS0_14default_configENS1_38merge_sort_block_merge_config_selectorIdNS0_10empty_typeEEEZZNS1_27merge_sort_block_merge_implIS3_N6thrust23THRUST_200600_302600_NS6detail15normal_iteratorINS9_10device_ptrIdEEEEPS5_m14custom_greaterIdEEE10hipError_tT0_T1_T2_jT3_P12ihipStream_tbPNSt15iterator_traitsISJ_E10value_typeEPNSP_ISK_E10value_typeEPSL_NS1_7vsmem_tEENKUlT_SJ_SK_SL_E_clISE_PdSF_SF_EESI_SY_SJ_SK_SL_EUlSY_E1_NS1_11comp_targetILNS1_3genE9ELNS1_11target_archE1100ELNS1_3gpuE3ELNS1_3repE0EEENS1_36merge_oddeven_config_static_selectorELNS0_4arch9wavefront6targetE1EEEvSK_: ; @_ZN7rocprim17ROCPRIM_400000_NS6detail17trampoline_kernelINS0_14default_configENS1_38merge_sort_block_merge_config_selectorIdNS0_10empty_typeEEEZZNS1_27merge_sort_block_merge_implIS3_N6thrust23THRUST_200600_302600_NS6detail15normal_iteratorINS9_10device_ptrIdEEEEPS5_m14custom_greaterIdEEE10hipError_tT0_T1_T2_jT3_P12ihipStream_tbPNSt15iterator_traitsISJ_E10value_typeEPNSP_ISK_E10value_typeEPSL_NS1_7vsmem_tEENKUlT_SJ_SK_SL_E_clISE_PdSF_SF_EESI_SY_SJ_SK_SL_EUlSY_E1_NS1_11comp_targetILNS1_3genE9ELNS1_11target_archE1100ELNS1_3gpuE3ELNS1_3repE0EEENS1_36merge_oddeven_config_static_selectorELNS0_4arch9wavefront6targetE1EEEvSK_
; %bb.0:
	.section	.rodata,"a",@progbits
	.p2align	6, 0x0
	.amdhsa_kernel _ZN7rocprim17ROCPRIM_400000_NS6detail17trampoline_kernelINS0_14default_configENS1_38merge_sort_block_merge_config_selectorIdNS0_10empty_typeEEEZZNS1_27merge_sort_block_merge_implIS3_N6thrust23THRUST_200600_302600_NS6detail15normal_iteratorINS9_10device_ptrIdEEEEPS5_m14custom_greaterIdEEE10hipError_tT0_T1_T2_jT3_P12ihipStream_tbPNSt15iterator_traitsISJ_E10value_typeEPNSP_ISK_E10value_typeEPSL_NS1_7vsmem_tEENKUlT_SJ_SK_SL_E_clISE_PdSF_SF_EESI_SY_SJ_SK_SL_EUlSY_E1_NS1_11comp_targetILNS1_3genE9ELNS1_11target_archE1100ELNS1_3gpuE3ELNS1_3repE0EEENS1_36merge_oddeven_config_static_selectorELNS0_4arch9wavefront6targetE1EEEvSK_
		.amdhsa_group_segment_fixed_size 0
		.amdhsa_private_segment_fixed_size 0
		.amdhsa_kernarg_size 56
		.amdhsa_user_sgpr_count 6
		.amdhsa_user_sgpr_private_segment_buffer 1
		.amdhsa_user_sgpr_dispatch_ptr 0
		.amdhsa_user_sgpr_queue_ptr 0
		.amdhsa_user_sgpr_kernarg_segment_ptr 1
		.amdhsa_user_sgpr_dispatch_id 0
		.amdhsa_user_sgpr_flat_scratch_init 0
		.amdhsa_user_sgpr_kernarg_preload_length 0
		.amdhsa_user_sgpr_kernarg_preload_offset 0
		.amdhsa_user_sgpr_private_segment_size 0
		.amdhsa_uses_dynamic_stack 0
		.amdhsa_system_sgpr_private_segment_wavefront_offset 0
		.amdhsa_system_sgpr_workgroup_id_x 1
		.amdhsa_system_sgpr_workgroup_id_y 0
		.amdhsa_system_sgpr_workgroup_id_z 0
		.amdhsa_system_sgpr_workgroup_info 0
		.amdhsa_system_vgpr_workitem_id 0
		.amdhsa_next_free_vgpr 1
		.amdhsa_next_free_sgpr 0
		.amdhsa_accum_offset 4
		.amdhsa_reserve_vcc 0
		.amdhsa_reserve_flat_scratch 0
		.amdhsa_float_round_mode_32 0
		.amdhsa_float_round_mode_16_64 0
		.amdhsa_float_denorm_mode_32 3
		.amdhsa_float_denorm_mode_16_64 3
		.amdhsa_dx10_clamp 1
		.amdhsa_ieee_mode 1
		.amdhsa_fp16_overflow 0
		.amdhsa_tg_split 0
		.amdhsa_exception_fp_ieee_invalid_op 0
		.amdhsa_exception_fp_denorm_src 0
		.amdhsa_exception_fp_ieee_div_zero 0
		.amdhsa_exception_fp_ieee_overflow 0
		.amdhsa_exception_fp_ieee_underflow 0
		.amdhsa_exception_fp_ieee_inexact 0
		.amdhsa_exception_int_div_zero 0
	.end_amdhsa_kernel
	.section	.text._ZN7rocprim17ROCPRIM_400000_NS6detail17trampoline_kernelINS0_14default_configENS1_38merge_sort_block_merge_config_selectorIdNS0_10empty_typeEEEZZNS1_27merge_sort_block_merge_implIS3_N6thrust23THRUST_200600_302600_NS6detail15normal_iteratorINS9_10device_ptrIdEEEEPS5_m14custom_greaterIdEEE10hipError_tT0_T1_T2_jT3_P12ihipStream_tbPNSt15iterator_traitsISJ_E10value_typeEPNSP_ISK_E10value_typeEPSL_NS1_7vsmem_tEENKUlT_SJ_SK_SL_E_clISE_PdSF_SF_EESI_SY_SJ_SK_SL_EUlSY_E1_NS1_11comp_targetILNS1_3genE9ELNS1_11target_archE1100ELNS1_3gpuE3ELNS1_3repE0EEENS1_36merge_oddeven_config_static_selectorELNS0_4arch9wavefront6targetE1EEEvSK_,"axG",@progbits,_ZN7rocprim17ROCPRIM_400000_NS6detail17trampoline_kernelINS0_14default_configENS1_38merge_sort_block_merge_config_selectorIdNS0_10empty_typeEEEZZNS1_27merge_sort_block_merge_implIS3_N6thrust23THRUST_200600_302600_NS6detail15normal_iteratorINS9_10device_ptrIdEEEEPS5_m14custom_greaterIdEEE10hipError_tT0_T1_T2_jT3_P12ihipStream_tbPNSt15iterator_traitsISJ_E10value_typeEPNSP_ISK_E10value_typeEPSL_NS1_7vsmem_tEENKUlT_SJ_SK_SL_E_clISE_PdSF_SF_EESI_SY_SJ_SK_SL_EUlSY_E1_NS1_11comp_targetILNS1_3genE9ELNS1_11target_archE1100ELNS1_3gpuE3ELNS1_3repE0EEENS1_36merge_oddeven_config_static_selectorELNS0_4arch9wavefront6targetE1EEEvSK_,comdat
.Lfunc_end3659:
	.size	_ZN7rocprim17ROCPRIM_400000_NS6detail17trampoline_kernelINS0_14default_configENS1_38merge_sort_block_merge_config_selectorIdNS0_10empty_typeEEEZZNS1_27merge_sort_block_merge_implIS3_N6thrust23THRUST_200600_302600_NS6detail15normal_iteratorINS9_10device_ptrIdEEEEPS5_m14custom_greaterIdEEE10hipError_tT0_T1_T2_jT3_P12ihipStream_tbPNSt15iterator_traitsISJ_E10value_typeEPNSP_ISK_E10value_typeEPSL_NS1_7vsmem_tEENKUlT_SJ_SK_SL_E_clISE_PdSF_SF_EESI_SY_SJ_SK_SL_EUlSY_E1_NS1_11comp_targetILNS1_3genE9ELNS1_11target_archE1100ELNS1_3gpuE3ELNS1_3repE0EEENS1_36merge_oddeven_config_static_selectorELNS0_4arch9wavefront6targetE1EEEvSK_, .Lfunc_end3659-_ZN7rocprim17ROCPRIM_400000_NS6detail17trampoline_kernelINS0_14default_configENS1_38merge_sort_block_merge_config_selectorIdNS0_10empty_typeEEEZZNS1_27merge_sort_block_merge_implIS3_N6thrust23THRUST_200600_302600_NS6detail15normal_iteratorINS9_10device_ptrIdEEEEPS5_m14custom_greaterIdEEE10hipError_tT0_T1_T2_jT3_P12ihipStream_tbPNSt15iterator_traitsISJ_E10value_typeEPNSP_ISK_E10value_typeEPSL_NS1_7vsmem_tEENKUlT_SJ_SK_SL_E_clISE_PdSF_SF_EESI_SY_SJ_SK_SL_EUlSY_E1_NS1_11comp_targetILNS1_3genE9ELNS1_11target_archE1100ELNS1_3gpuE3ELNS1_3repE0EEENS1_36merge_oddeven_config_static_selectorELNS0_4arch9wavefront6targetE1EEEvSK_
                                        ; -- End function
	.section	.AMDGPU.csdata,"",@progbits
; Kernel info:
; codeLenInByte = 0
; NumSgprs: 4
; NumVgprs: 0
; NumAgprs: 0
; TotalNumVgprs: 0
; ScratchSize: 0
; MemoryBound: 0
; FloatMode: 240
; IeeeMode: 1
; LDSByteSize: 0 bytes/workgroup (compile time only)
; SGPRBlocks: 0
; VGPRBlocks: 0
; NumSGPRsForWavesPerEU: 4
; NumVGPRsForWavesPerEU: 1
; AccumOffset: 4
; Occupancy: 8
; WaveLimiterHint : 0
; COMPUTE_PGM_RSRC2:SCRATCH_EN: 0
; COMPUTE_PGM_RSRC2:USER_SGPR: 6
; COMPUTE_PGM_RSRC2:TRAP_HANDLER: 0
; COMPUTE_PGM_RSRC2:TGID_X_EN: 1
; COMPUTE_PGM_RSRC2:TGID_Y_EN: 0
; COMPUTE_PGM_RSRC2:TGID_Z_EN: 0
; COMPUTE_PGM_RSRC2:TIDIG_COMP_CNT: 0
; COMPUTE_PGM_RSRC3_GFX90A:ACCUM_OFFSET: 0
; COMPUTE_PGM_RSRC3_GFX90A:TG_SPLIT: 0
	.section	.text._ZN7rocprim17ROCPRIM_400000_NS6detail17trampoline_kernelINS0_14default_configENS1_38merge_sort_block_merge_config_selectorIdNS0_10empty_typeEEEZZNS1_27merge_sort_block_merge_implIS3_N6thrust23THRUST_200600_302600_NS6detail15normal_iteratorINS9_10device_ptrIdEEEEPS5_m14custom_greaterIdEEE10hipError_tT0_T1_T2_jT3_P12ihipStream_tbPNSt15iterator_traitsISJ_E10value_typeEPNSP_ISK_E10value_typeEPSL_NS1_7vsmem_tEENKUlT_SJ_SK_SL_E_clISE_PdSF_SF_EESI_SY_SJ_SK_SL_EUlSY_E1_NS1_11comp_targetILNS1_3genE8ELNS1_11target_archE1030ELNS1_3gpuE2ELNS1_3repE0EEENS1_36merge_oddeven_config_static_selectorELNS0_4arch9wavefront6targetE1EEEvSK_,"axG",@progbits,_ZN7rocprim17ROCPRIM_400000_NS6detail17trampoline_kernelINS0_14default_configENS1_38merge_sort_block_merge_config_selectorIdNS0_10empty_typeEEEZZNS1_27merge_sort_block_merge_implIS3_N6thrust23THRUST_200600_302600_NS6detail15normal_iteratorINS9_10device_ptrIdEEEEPS5_m14custom_greaterIdEEE10hipError_tT0_T1_T2_jT3_P12ihipStream_tbPNSt15iterator_traitsISJ_E10value_typeEPNSP_ISK_E10value_typeEPSL_NS1_7vsmem_tEENKUlT_SJ_SK_SL_E_clISE_PdSF_SF_EESI_SY_SJ_SK_SL_EUlSY_E1_NS1_11comp_targetILNS1_3genE8ELNS1_11target_archE1030ELNS1_3gpuE2ELNS1_3repE0EEENS1_36merge_oddeven_config_static_selectorELNS0_4arch9wavefront6targetE1EEEvSK_,comdat
	.protected	_ZN7rocprim17ROCPRIM_400000_NS6detail17trampoline_kernelINS0_14default_configENS1_38merge_sort_block_merge_config_selectorIdNS0_10empty_typeEEEZZNS1_27merge_sort_block_merge_implIS3_N6thrust23THRUST_200600_302600_NS6detail15normal_iteratorINS9_10device_ptrIdEEEEPS5_m14custom_greaterIdEEE10hipError_tT0_T1_T2_jT3_P12ihipStream_tbPNSt15iterator_traitsISJ_E10value_typeEPNSP_ISK_E10value_typeEPSL_NS1_7vsmem_tEENKUlT_SJ_SK_SL_E_clISE_PdSF_SF_EESI_SY_SJ_SK_SL_EUlSY_E1_NS1_11comp_targetILNS1_3genE8ELNS1_11target_archE1030ELNS1_3gpuE2ELNS1_3repE0EEENS1_36merge_oddeven_config_static_selectorELNS0_4arch9wavefront6targetE1EEEvSK_ ; -- Begin function _ZN7rocprim17ROCPRIM_400000_NS6detail17trampoline_kernelINS0_14default_configENS1_38merge_sort_block_merge_config_selectorIdNS0_10empty_typeEEEZZNS1_27merge_sort_block_merge_implIS3_N6thrust23THRUST_200600_302600_NS6detail15normal_iteratorINS9_10device_ptrIdEEEEPS5_m14custom_greaterIdEEE10hipError_tT0_T1_T2_jT3_P12ihipStream_tbPNSt15iterator_traitsISJ_E10value_typeEPNSP_ISK_E10value_typeEPSL_NS1_7vsmem_tEENKUlT_SJ_SK_SL_E_clISE_PdSF_SF_EESI_SY_SJ_SK_SL_EUlSY_E1_NS1_11comp_targetILNS1_3genE8ELNS1_11target_archE1030ELNS1_3gpuE2ELNS1_3repE0EEENS1_36merge_oddeven_config_static_selectorELNS0_4arch9wavefront6targetE1EEEvSK_
	.globl	_ZN7rocprim17ROCPRIM_400000_NS6detail17trampoline_kernelINS0_14default_configENS1_38merge_sort_block_merge_config_selectorIdNS0_10empty_typeEEEZZNS1_27merge_sort_block_merge_implIS3_N6thrust23THRUST_200600_302600_NS6detail15normal_iteratorINS9_10device_ptrIdEEEEPS5_m14custom_greaterIdEEE10hipError_tT0_T1_T2_jT3_P12ihipStream_tbPNSt15iterator_traitsISJ_E10value_typeEPNSP_ISK_E10value_typeEPSL_NS1_7vsmem_tEENKUlT_SJ_SK_SL_E_clISE_PdSF_SF_EESI_SY_SJ_SK_SL_EUlSY_E1_NS1_11comp_targetILNS1_3genE8ELNS1_11target_archE1030ELNS1_3gpuE2ELNS1_3repE0EEENS1_36merge_oddeven_config_static_selectorELNS0_4arch9wavefront6targetE1EEEvSK_
	.p2align	8
	.type	_ZN7rocprim17ROCPRIM_400000_NS6detail17trampoline_kernelINS0_14default_configENS1_38merge_sort_block_merge_config_selectorIdNS0_10empty_typeEEEZZNS1_27merge_sort_block_merge_implIS3_N6thrust23THRUST_200600_302600_NS6detail15normal_iteratorINS9_10device_ptrIdEEEEPS5_m14custom_greaterIdEEE10hipError_tT0_T1_T2_jT3_P12ihipStream_tbPNSt15iterator_traitsISJ_E10value_typeEPNSP_ISK_E10value_typeEPSL_NS1_7vsmem_tEENKUlT_SJ_SK_SL_E_clISE_PdSF_SF_EESI_SY_SJ_SK_SL_EUlSY_E1_NS1_11comp_targetILNS1_3genE8ELNS1_11target_archE1030ELNS1_3gpuE2ELNS1_3repE0EEENS1_36merge_oddeven_config_static_selectorELNS0_4arch9wavefront6targetE1EEEvSK_,@function
_ZN7rocprim17ROCPRIM_400000_NS6detail17trampoline_kernelINS0_14default_configENS1_38merge_sort_block_merge_config_selectorIdNS0_10empty_typeEEEZZNS1_27merge_sort_block_merge_implIS3_N6thrust23THRUST_200600_302600_NS6detail15normal_iteratorINS9_10device_ptrIdEEEEPS5_m14custom_greaterIdEEE10hipError_tT0_T1_T2_jT3_P12ihipStream_tbPNSt15iterator_traitsISJ_E10value_typeEPNSP_ISK_E10value_typeEPSL_NS1_7vsmem_tEENKUlT_SJ_SK_SL_E_clISE_PdSF_SF_EESI_SY_SJ_SK_SL_EUlSY_E1_NS1_11comp_targetILNS1_3genE8ELNS1_11target_archE1030ELNS1_3gpuE2ELNS1_3repE0EEENS1_36merge_oddeven_config_static_selectorELNS0_4arch9wavefront6targetE1EEEvSK_: ; @_ZN7rocprim17ROCPRIM_400000_NS6detail17trampoline_kernelINS0_14default_configENS1_38merge_sort_block_merge_config_selectorIdNS0_10empty_typeEEEZZNS1_27merge_sort_block_merge_implIS3_N6thrust23THRUST_200600_302600_NS6detail15normal_iteratorINS9_10device_ptrIdEEEEPS5_m14custom_greaterIdEEE10hipError_tT0_T1_T2_jT3_P12ihipStream_tbPNSt15iterator_traitsISJ_E10value_typeEPNSP_ISK_E10value_typeEPSL_NS1_7vsmem_tEENKUlT_SJ_SK_SL_E_clISE_PdSF_SF_EESI_SY_SJ_SK_SL_EUlSY_E1_NS1_11comp_targetILNS1_3genE8ELNS1_11target_archE1030ELNS1_3gpuE2ELNS1_3repE0EEENS1_36merge_oddeven_config_static_selectorELNS0_4arch9wavefront6targetE1EEEvSK_
; %bb.0:
	.section	.rodata,"a",@progbits
	.p2align	6, 0x0
	.amdhsa_kernel _ZN7rocprim17ROCPRIM_400000_NS6detail17trampoline_kernelINS0_14default_configENS1_38merge_sort_block_merge_config_selectorIdNS0_10empty_typeEEEZZNS1_27merge_sort_block_merge_implIS3_N6thrust23THRUST_200600_302600_NS6detail15normal_iteratorINS9_10device_ptrIdEEEEPS5_m14custom_greaterIdEEE10hipError_tT0_T1_T2_jT3_P12ihipStream_tbPNSt15iterator_traitsISJ_E10value_typeEPNSP_ISK_E10value_typeEPSL_NS1_7vsmem_tEENKUlT_SJ_SK_SL_E_clISE_PdSF_SF_EESI_SY_SJ_SK_SL_EUlSY_E1_NS1_11comp_targetILNS1_3genE8ELNS1_11target_archE1030ELNS1_3gpuE2ELNS1_3repE0EEENS1_36merge_oddeven_config_static_selectorELNS0_4arch9wavefront6targetE1EEEvSK_
		.amdhsa_group_segment_fixed_size 0
		.amdhsa_private_segment_fixed_size 0
		.amdhsa_kernarg_size 56
		.amdhsa_user_sgpr_count 6
		.amdhsa_user_sgpr_private_segment_buffer 1
		.amdhsa_user_sgpr_dispatch_ptr 0
		.amdhsa_user_sgpr_queue_ptr 0
		.amdhsa_user_sgpr_kernarg_segment_ptr 1
		.amdhsa_user_sgpr_dispatch_id 0
		.amdhsa_user_sgpr_flat_scratch_init 0
		.amdhsa_user_sgpr_kernarg_preload_length 0
		.amdhsa_user_sgpr_kernarg_preload_offset 0
		.amdhsa_user_sgpr_private_segment_size 0
		.amdhsa_uses_dynamic_stack 0
		.amdhsa_system_sgpr_private_segment_wavefront_offset 0
		.amdhsa_system_sgpr_workgroup_id_x 1
		.amdhsa_system_sgpr_workgroup_id_y 0
		.amdhsa_system_sgpr_workgroup_id_z 0
		.amdhsa_system_sgpr_workgroup_info 0
		.amdhsa_system_vgpr_workitem_id 0
		.amdhsa_next_free_vgpr 1
		.amdhsa_next_free_sgpr 0
		.amdhsa_accum_offset 4
		.amdhsa_reserve_vcc 0
		.amdhsa_reserve_flat_scratch 0
		.amdhsa_float_round_mode_32 0
		.amdhsa_float_round_mode_16_64 0
		.amdhsa_float_denorm_mode_32 3
		.amdhsa_float_denorm_mode_16_64 3
		.amdhsa_dx10_clamp 1
		.amdhsa_ieee_mode 1
		.amdhsa_fp16_overflow 0
		.amdhsa_tg_split 0
		.amdhsa_exception_fp_ieee_invalid_op 0
		.amdhsa_exception_fp_denorm_src 0
		.amdhsa_exception_fp_ieee_div_zero 0
		.amdhsa_exception_fp_ieee_overflow 0
		.amdhsa_exception_fp_ieee_underflow 0
		.amdhsa_exception_fp_ieee_inexact 0
		.amdhsa_exception_int_div_zero 0
	.end_amdhsa_kernel
	.section	.text._ZN7rocprim17ROCPRIM_400000_NS6detail17trampoline_kernelINS0_14default_configENS1_38merge_sort_block_merge_config_selectorIdNS0_10empty_typeEEEZZNS1_27merge_sort_block_merge_implIS3_N6thrust23THRUST_200600_302600_NS6detail15normal_iteratorINS9_10device_ptrIdEEEEPS5_m14custom_greaterIdEEE10hipError_tT0_T1_T2_jT3_P12ihipStream_tbPNSt15iterator_traitsISJ_E10value_typeEPNSP_ISK_E10value_typeEPSL_NS1_7vsmem_tEENKUlT_SJ_SK_SL_E_clISE_PdSF_SF_EESI_SY_SJ_SK_SL_EUlSY_E1_NS1_11comp_targetILNS1_3genE8ELNS1_11target_archE1030ELNS1_3gpuE2ELNS1_3repE0EEENS1_36merge_oddeven_config_static_selectorELNS0_4arch9wavefront6targetE1EEEvSK_,"axG",@progbits,_ZN7rocprim17ROCPRIM_400000_NS6detail17trampoline_kernelINS0_14default_configENS1_38merge_sort_block_merge_config_selectorIdNS0_10empty_typeEEEZZNS1_27merge_sort_block_merge_implIS3_N6thrust23THRUST_200600_302600_NS6detail15normal_iteratorINS9_10device_ptrIdEEEEPS5_m14custom_greaterIdEEE10hipError_tT0_T1_T2_jT3_P12ihipStream_tbPNSt15iterator_traitsISJ_E10value_typeEPNSP_ISK_E10value_typeEPSL_NS1_7vsmem_tEENKUlT_SJ_SK_SL_E_clISE_PdSF_SF_EESI_SY_SJ_SK_SL_EUlSY_E1_NS1_11comp_targetILNS1_3genE8ELNS1_11target_archE1030ELNS1_3gpuE2ELNS1_3repE0EEENS1_36merge_oddeven_config_static_selectorELNS0_4arch9wavefront6targetE1EEEvSK_,comdat
.Lfunc_end3660:
	.size	_ZN7rocprim17ROCPRIM_400000_NS6detail17trampoline_kernelINS0_14default_configENS1_38merge_sort_block_merge_config_selectorIdNS0_10empty_typeEEEZZNS1_27merge_sort_block_merge_implIS3_N6thrust23THRUST_200600_302600_NS6detail15normal_iteratorINS9_10device_ptrIdEEEEPS5_m14custom_greaterIdEEE10hipError_tT0_T1_T2_jT3_P12ihipStream_tbPNSt15iterator_traitsISJ_E10value_typeEPNSP_ISK_E10value_typeEPSL_NS1_7vsmem_tEENKUlT_SJ_SK_SL_E_clISE_PdSF_SF_EESI_SY_SJ_SK_SL_EUlSY_E1_NS1_11comp_targetILNS1_3genE8ELNS1_11target_archE1030ELNS1_3gpuE2ELNS1_3repE0EEENS1_36merge_oddeven_config_static_selectorELNS0_4arch9wavefront6targetE1EEEvSK_, .Lfunc_end3660-_ZN7rocprim17ROCPRIM_400000_NS6detail17trampoline_kernelINS0_14default_configENS1_38merge_sort_block_merge_config_selectorIdNS0_10empty_typeEEEZZNS1_27merge_sort_block_merge_implIS3_N6thrust23THRUST_200600_302600_NS6detail15normal_iteratorINS9_10device_ptrIdEEEEPS5_m14custom_greaterIdEEE10hipError_tT0_T1_T2_jT3_P12ihipStream_tbPNSt15iterator_traitsISJ_E10value_typeEPNSP_ISK_E10value_typeEPSL_NS1_7vsmem_tEENKUlT_SJ_SK_SL_E_clISE_PdSF_SF_EESI_SY_SJ_SK_SL_EUlSY_E1_NS1_11comp_targetILNS1_3genE8ELNS1_11target_archE1030ELNS1_3gpuE2ELNS1_3repE0EEENS1_36merge_oddeven_config_static_selectorELNS0_4arch9wavefront6targetE1EEEvSK_
                                        ; -- End function
	.section	.AMDGPU.csdata,"",@progbits
; Kernel info:
; codeLenInByte = 0
; NumSgprs: 4
; NumVgprs: 0
; NumAgprs: 0
; TotalNumVgprs: 0
; ScratchSize: 0
; MemoryBound: 0
; FloatMode: 240
; IeeeMode: 1
; LDSByteSize: 0 bytes/workgroup (compile time only)
; SGPRBlocks: 0
; VGPRBlocks: 0
; NumSGPRsForWavesPerEU: 4
; NumVGPRsForWavesPerEU: 1
; AccumOffset: 4
; Occupancy: 8
; WaveLimiterHint : 0
; COMPUTE_PGM_RSRC2:SCRATCH_EN: 0
; COMPUTE_PGM_RSRC2:USER_SGPR: 6
; COMPUTE_PGM_RSRC2:TRAP_HANDLER: 0
; COMPUTE_PGM_RSRC2:TGID_X_EN: 1
; COMPUTE_PGM_RSRC2:TGID_Y_EN: 0
; COMPUTE_PGM_RSRC2:TGID_Z_EN: 0
; COMPUTE_PGM_RSRC2:TIDIG_COMP_CNT: 0
; COMPUTE_PGM_RSRC3_GFX90A:ACCUM_OFFSET: 0
; COMPUTE_PGM_RSRC3_GFX90A:TG_SPLIT: 0
	.section	.text._ZN7rocprim17ROCPRIM_400000_NS6detail17trampoline_kernelINS0_14default_configENS1_25transform_config_selectorIdLb0EEEZNS1_14transform_implILb0ES3_S5_PdN6thrust23THRUST_200600_302600_NS6detail15normal_iteratorINS9_10device_ptrIdEEEENS0_8identityIdEEEE10hipError_tT2_T3_mT4_P12ihipStream_tbEUlT_E_NS1_11comp_targetILNS1_3genE0ELNS1_11target_archE4294967295ELNS1_3gpuE0ELNS1_3repE0EEENS1_30default_config_static_selectorELNS0_4arch9wavefront6targetE1EEEvT1_,"axG",@progbits,_ZN7rocprim17ROCPRIM_400000_NS6detail17trampoline_kernelINS0_14default_configENS1_25transform_config_selectorIdLb0EEEZNS1_14transform_implILb0ES3_S5_PdN6thrust23THRUST_200600_302600_NS6detail15normal_iteratorINS9_10device_ptrIdEEEENS0_8identityIdEEEE10hipError_tT2_T3_mT4_P12ihipStream_tbEUlT_E_NS1_11comp_targetILNS1_3genE0ELNS1_11target_archE4294967295ELNS1_3gpuE0ELNS1_3repE0EEENS1_30default_config_static_selectorELNS0_4arch9wavefront6targetE1EEEvT1_,comdat
	.protected	_ZN7rocprim17ROCPRIM_400000_NS6detail17trampoline_kernelINS0_14default_configENS1_25transform_config_selectorIdLb0EEEZNS1_14transform_implILb0ES3_S5_PdN6thrust23THRUST_200600_302600_NS6detail15normal_iteratorINS9_10device_ptrIdEEEENS0_8identityIdEEEE10hipError_tT2_T3_mT4_P12ihipStream_tbEUlT_E_NS1_11comp_targetILNS1_3genE0ELNS1_11target_archE4294967295ELNS1_3gpuE0ELNS1_3repE0EEENS1_30default_config_static_selectorELNS0_4arch9wavefront6targetE1EEEvT1_ ; -- Begin function _ZN7rocprim17ROCPRIM_400000_NS6detail17trampoline_kernelINS0_14default_configENS1_25transform_config_selectorIdLb0EEEZNS1_14transform_implILb0ES3_S5_PdN6thrust23THRUST_200600_302600_NS6detail15normal_iteratorINS9_10device_ptrIdEEEENS0_8identityIdEEEE10hipError_tT2_T3_mT4_P12ihipStream_tbEUlT_E_NS1_11comp_targetILNS1_3genE0ELNS1_11target_archE4294967295ELNS1_3gpuE0ELNS1_3repE0EEENS1_30default_config_static_selectorELNS0_4arch9wavefront6targetE1EEEvT1_
	.globl	_ZN7rocprim17ROCPRIM_400000_NS6detail17trampoline_kernelINS0_14default_configENS1_25transform_config_selectorIdLb0EEEZNS1_14transform_implILb0ES3_S5_PdN6thrust23THRUST_200600_302600_NS6detail15normal_iteratorINS9_10device_ptrIdEEEENS0_8identityIdEEEE10hipError_tT2_T3_mT4_P12ihipStream_tbEUlT_E_NS1_11comp_targetILNS1_3genE0ELNS1_11target_archE4294967295ELNS1_3gpuE0ELNS1_3repE0EEENS1_30default_config_static_selectorELNS0_4arch9wavefront6targetE1EEEvT1_
	.p2align	8
	.type	_ZN7rocprim17ROCPRIM_400000_NS6detail17trampoline_kernelINS0_14default_configENS1_25transform_config_selectorIdLb0EEEZNS1_14transform_implILb0ES3_S5_PdN6thrust23THRUST_200600_302600_NS6detail15normal_iteratorINS9_10device_ptrIdEEEENS0_8identityIdEEEE10hipError_tT2_T3_mT4_P12ihipStream_tbEUlT_E_NS1_11comp_targetILNS1_3genE0ELNS1_11target_archE4294967295ELNS1_3gpuE0ELNS1_3repE0EEENS1_30default_config_static_selectorELNS0_4arch9wavefront6targetE1EEEvT1_,@function
_ZN7rocprim17ROCPRIM_400000_NS6detail17trampoline_kernelINS0_14default_configENS1_25transform_config_selectorIdLb0EEEZNS1_14transform_implILb0ES3_S5_PdN6thrust23THRUST_200600_302600_NS6detail15normal_iteratorINS9_10device_ptrIdEEEENS0_8identityIdEEEE10hipError_tT2_T3_mT4_P12ihipStream_tbEUlT_E_NS1_11comp_targetILNS1_3genE0ELNS1_11target_archE4294967295ELNS1_3gpuE0ELNS1_3repE0EEENS1_30default_config_static_selectorELNS0_4arch9wavefront6targetE1EEEvT1_: ; @_ZN7rocprim17ROCPRIM_400000_NS6detail17trampoline_kernelINS0_14default_configENS1_25transform_config_selectorIdLb0EEEZNS1_14transform_implILb0ES3_S5_PdN6thrust23THRUST_200600_302600_NS6detail15normal_iteratorINS9_10device_ptrIdEEEENS0_8identityIdEEEE10hipError_tT2_T3_mT4_P12ihipStream_tbEUlT_E_NS1_11comp_targetILNS1_3genE0ELNS1_11target_archE4294967295ELNS1_3gpuE0ELNS1_3repE0EEENS1_30default_config_static_selectorELNS0_4arch9wavefront6targetE1EEEvT1_
; %bb.0:
	.section	.rodata,"a",@progbits
	.p2align	6, 0x0
	.amdhsa_kernel _ZN7rocprim17ROCPRIM_400000_NS6detail17trampoline_kernelINS0_14default_configENS1_25transform_config_selectorIdLb0EEEZNS1_14transform_implILb0ES3_S5_PdN6thrust23THRUST_200600_302600_NS6detail15normal_iteratorINS9_10device_ptrIdEEEENS0_8identityIdEEEE10hipError_tT2_T3_mT4_P12ihipStream_tbEUlT_E_NS1_11comp_targetILNS1_3genE0ELNS1_11target_archE4294967295ELNS1_3gpuE0ELNS1_3repE0EEENS1_30default_config_static_selectorELNS0_4arch9wavefront6targetE1EEEvT1_
		.amdhsa_group_segment_fixed_size 0
		.amdhsa_private_segment_fixed_size 0
		.amdhsa_kernarg_size 40
		.amdhsa_user_sgpr_count 6
		.amdhsa_user_sgpr_private_segment_buffer 1
		.amdhsa_user_sgpr_dispatch_ptr 0
		.amdhsa_user_sgpr_queue_ptr 0
		.amdhsa_user_sgpr_kernarg_segment_ptr 1
		.amdhsa_user_sgpr_dispatch_id 0
		.amdhsa_user_sgpr_flat_scratch_init 0
		.amdhsa_user_sgpr_kernarg_preload_length 0
		.amdhsa_user_sgpr_kernarg_preload_offset 0
		.amdhsa_user_sgpr_private_segment_size 0
		.amdhsa_uses_dynamic_stack 0
		.amdhsa_system_sgpr_private_segment_wavefront_offset 0
		.amdhsa_system_sgpr_workgroup_id_x 1
		.amdhsa_system_sgpr_workgroup_id_y 0
		.amdhsa_system_sgpr_workgroup_id_z 0
		.amdhsa_system_sgpr_workgroup_info 0
		.amdhsa_system_vgpr_workitem_id 0
		.amdhsa_next_free_vgpr 1
		.amdhsa_next_free_sgpr 0
		.amdhsa_accum_offset 4
		.amdhsa_reserve_vcc 0
		.amdhsa_reserve_flat_scratch 0
		.amdhsa_float_round_mode_32 0
		.amdhsa_float_round_mode_16_64 0
		.amdhsa_float_denorm_mode_32 3
		.amdhsa_float_denorm_mode_16_64 3
		.amdhsa_dx10_clamp 1
		.amdhsa_ieee_mode 1
		.amdhsa_fp16_overflow 0
		.amdhsa_tg_split 0
		.amdhsa_exception_fp_ieee_invalid_op 0
		.amdhsa_exception_fp_denorm_src 0
		.amdhsa_exception_fp_ieee_div_zero 0
		.amdhsa_exception_fp_ieee_overflow 0
		.amdhsa_exception_fp_ieee_underflow 0
		.amdhsa_exception_fp_ieee_inexact 0
		.amdhsa_exception_int_div_zero 0
	.end_amdhsa_kernel
	.section	.text._ZN7rocprim17ROCPRIM_400000_NS6detail17trampoline_kernelINS0_14default_configENS1_25transform_config_selectorIdLb0EEEZNS1_14transform_implILb0ES3_S5_PdN6thrust23THRUST_200600_302600_NS6detail15normal_iteratorINS9_10device_ptrIdEEEENS0_8identityIdEEEE10hipError_tT2_T3_mT4_P12ihipStream_tbEUlT_E_NS1_11comp_targetILNS1_3genE0ELNS1_11target_archE4294967295ELNS1_3gpuE0ELNS1_3repE0EEENS1_30default_config_static_selectorELNS0_4arch9wavefront6targetE1EEEvT1_,"axG",@progbits,_ZN7rocprim17ROCPRIM_400000_NS6detail17trampoline_kernelINS0_14default_configENS1_25transform_config_selectorIdLb0EEEZNS1_14transform_implILb0ES3_S5_PdN6thrust23THRUST_200600_302600_NS6detail15normal_iteratorINS9_10device_ptrIdEEEENS0_8identityIdEEEE10hipError_tT2_T3_mT4_P12ihipStream_tbEUlT_E_NS1_11comp_targetILNS1_3genE0ELNS1_11target_archE4294967295ELNS1_3gpuE0ELNS1_3repE0EEENS1_30default_config_static_selectorELNS0_4arch9wavefront6targetE1EEEvT1_,comdat
.Lfunc_end3661:
	.size	_ZN7rocprim17ROCPRIM_400000_NS6detail17trampoline_kernelINS0_14default_configENS1_25transform_config_selectorIdLb0EEEZNS1_14transform_implILb0ES3_S5_PdN6thrust23THRUST_200600_302600_NS6detail15normal_iteratorINS9_10device_ptrIdEEEENS0_8identityIdEEEE10hipError_tT2_T3_mT4_P12ihipStream_tbEUlT_E_NS1_11comp_targetILNS1_3genE0ELNS1_11target_archE4294967295ELNS1_3gpuE0ELNS1_3repE0EEENS1_30default_config_static_selectorELNS0_4arch9wavefront6targetE1EEEvT1_, .Lfunc_end3661-_ZN7rocprim17ROCPRIM_400000_NS6detail17trampoline_kernelINS0_14default_configENS1_25transform_config_selectorIdLb0EEEZNS1_14transform_implILb0ES3_S5_PdN6thrust23THRUST_200600_302600_NS6detail15normal_iteratorINS9_10device_ptrIdEEEENS0_8identityIdEEEE10hipError_tT2_T3_mT4_P12ihipStream_tbEUlT_E_NS1_11comp_targetILNS1_3genE0ELNS1_11target_archE4294967295ELNS1_3gpuE0ELNS1_3repE0EEENS1_30default_config_static_selectorELNS0_4arch9wavefront6targetE1EEEvT1_
                                        ; -- End function
	.section	.AMDGPU.csdata,"",@progbits
; Kernel info:
; codeLenInByte = 0
; NumSgprs: 4
; NumVgprs: 0
; NumAgprs: 0
; TotalNumVgprs: 0
; ScratchSize: 0
; MemoryBound: 0
; FloatMode: 240
; IeeeMode: 1
; LDSByteSize: 0 bytes/workgroup (compile time only)
; SGPRBlocks: 0
; VGPRBlocks: 0
; NumSGPRsForWavesPerEU: 4
; NumVGPRsForWavesPerEU: 1
; AccumOffset: 4
; Occupancy: 8
; WaveLimiterHint : 0
; COMPUTE_PGM_RSRC2:SCRATCH_EN: 0
; COMPUTE_PGM_RSRC2:USER_SGPR: 6
; COMPUTE_PGM_RSRC2:TRAP_HANDLER: 0
; COMPUTE_PGM_RSRC2:TGID_X_EN: 1
; COMPUTE_PGM_RSRC2:TGID_Y_EN: 0
; COMPUTE_PGM_RSRC2:TGID_Z_EN: 0
; COMPUTE_PGM_RSRC2:TIDIG_COMP_CNT: 0
; COMPUTE_PGM_RSRC3_GFX90A:ACCUM_OFFSET: 0
; COMPUTE_PGM_RSRC3_GFX90A:TG_SPLIT: 0
	.section	.text._ZN7rocprim17ROCPRIM_400000_NS6detail17trampoline_kernelINS0_14default_configENS1_25transform_config_selectorIdLb0EEEZNS1_14transform_implILb0ES3_S5_PdN6thrust23THRUST_200600_302600_NS6detail15normal_iteratorINS9_10device_ptrIdEEEENS0_8identityIdEEEE10hipError_tT2_T3_mT4_P12ihipStream_tbEUlT_E_NS1_11comp_targetILNS1_3genE5ELNS1_11target_archE942ELNS1_3gpuE9ELNS1_3repE0EEENS1_30default_config_static_selectorELNS0_4arch9wavefront6targetE1EEEvT1_,"axG",@progbits,_ZN7rocprim17ROCPRIM_400000_NS6detail17trampoline_kernelINS0_14default_configENS1_25transform_config_selectorIdLb0EEEZNS1_14transform_implILb0ES3_S5_PdN6thrust23THRUST_200600_302600_NS6detail15normal_iteratorINS9_10device_ptrIdEEEENS0_8identityIdEEEE10hipError_tT2_T3_mT4_P12ihipStream_tbEUlT_E_NS1_11comp_targetILNS1_3genE5ELNS1_11target_archE942ELNS1_3gpuE9ELNS1_3repE0EEENS1_30default_config_static_selectorELNS0_4arch9wavefront6targetE1EEEvT1_,comdat
	.protected	_ZN7rocprim17ROCPRIM_400000_NS6detail17trampoline_kernelINS0_14default_configENS1_25transform_config_selectorIdLb0EEEZNS1_14transform_implILb0ES3_S5_PdN6thrust23THRUST_200600_302600_NS6detail15normal_iteratorINS9_10device_ptrIdEEEENS0_8identityIdEEEE10hipError_tT2_T3_mT4_P12ihipStream_tbEUlT_E_NS1_11comp_targetILNS1_3genE5ELNS1_11target_archE942ELNS1_3gpuE9ELNS1_3repE0EEENS1_30default_config_static_selectorELNS0_4arch9wavefront6targetE1EEEvT1_ ; -- Begin function _ZN7rocprim17ROCPRIM_400000_NS6detail17trampoline_kernelINS0_14default_configENS1_25transform_config_selectorIdLb0EEEZNS1_14transform_implILb0ES3_S5_PdN6thrust23THRUST_200600_302600_NS6detail15normal_iteratorINS9_10device_ptrIdEEEENS0_8identityIdEEEE10hipError_tT2_T3_mT4_P12ihipStream_tbEUlT_E_NS1_11comp_targetILNS1_3genE5ELNS1_11target_archE942ELNS1_3gpuE9ELNS1_3repE0EEENS1_30default_config_static_selectorELNS0_4arch9wavefront6targetE1EEEvT1_
	.globl	_ZN7rocprim17ROCPRIM_400000_NS6detail17trampoline_kernelINS0_14default_configENS1_25transform_config_selectorIdLb0EEEZNS1_14transform_implILb0ES3_S5_PdN6thrust23THRUST_200600_302600_NS6detail15normal_iteratorINS9_10device_ptrIdEEEENS0_8identityIdEEEE10hipError_tT2_T3_mT4_P12ihipStream_tbEUlT_E_NS1_11comp_targetILNS1_3genE5ELNS1_11target_archE942ELNS1_3gpuE9ELNS1_3repE0EEENS1_30default_config_static_selectorELNS0_4arch9wavefront6targetE1EEEvT1_
	.p2align	8
	.type	_ZN7rocprim17ROCPRIM_400000_NS6detail17trampoline_kernelINS0_14default_configENS1_25transform_config_selectorIdLb0EEEZNS1_14transform_implILb0ES3_S5_PdN6thrust23THRUST_200600_302600_NS6detail15normal_iteratorINS9_10device_ptrIdEEEENS0_8identityIdEEEE10hipError_tT2_T3_mT4_P12ihipStream_tbEUlT_E_NS1_11comp_targetILNS1_3genE5ELNS1_11target_archE942ELNS1_3gpuE9ELNS1_3repE0EEENS1_30default_config_static_selectorELNS0_4arch9wavefront6targetE1EEEvT1_,@function
_ZN7rocprim17ROCPRIM_400000_NS6detail17trampoline_kernelINS0_14default_configENS1_25transform_config_selectorIdLb0EEEZNS1_14transform_implILb0ES3_S5_PdN6thrust23THRUST_200600_302600_NS6detail15normal_iteratorINS9_10device_ptrIdEEEENS0_8identityIdEEEE10hipError_tT2_T3_mT4_P12ihipStream_tbEUlT_E_NS1_11comp_targetILNS1_3genE5ELNS1_11target_archE942ELNS1_3gpuE9ELNS1_3repE0EEENS1_30default_config_static_selectorELNS0_4arch9wavefront6targetE1EEEvT1_: ; @_ZN7rocprim17ROCPRIM_400000_NS6detail17trampoline_kernelINS0_14default_configENS1_25transform_config_selectorIdLb0EEEZNS1_14transform_implILb0ES3_S5_PdN6thrust23THRUST_200600_302600_NS6detail15normal_iteratorINS9_10device_ptrIdEEEENS0_8identityIdEEEE10hipError_tT2_T3_mT4_P12ihipStream_tbEUlT_E_NS1_11comp_targetILNS1_3genE5ELNS1_11target_archE942ELNS1_3gpuE9ELNS1_3repE0EEENS1_30default_config_static_selectorELNS0_4arch9wavefront6targetE1EEEvT1_
; %bb.0:
	.section	.rodata,"a",@progbits
	.p2align	6, 0x0
	.amdhsa_kernel _ZN7rocprim17ROCPRIM_400000_NS6detail17trampoline_kernelINS0_14default_configENS1_25transform_config_selectorIdLb0EEEZNS1_14transform_implILb0ES3_S5_PdN6thrust23THRUST_200600_302600_NS6detail15normal_iteratorINS9_10device_ptrIdEEEENS0_8identityIdEEEE10hipError_tT2_T3_mT4_P12ihipStream_tbEUlT_E_NS1_11comp_targetILNS1_3genE5ELNS1_11target_archE942ELNS1_3gpuE9ELNS1_3repE0EEENS1_30default_config_static_selectorELNS0_4arch9wavefront6targetE1EEEvT1_
		.amdhsa_group_segment_fixed_size 0
		.amdhsa_private_segment_fixed_size 0
		.amdhsa_kernarg_size 40
		.amdhsa_user_sgpr_count 6
		.amdhsa_user_sgpr_private_segment_buffer 1
		.amdhsa_user_sgpr_dispatch_ptr 0
		.amdhsa_user_sgpr_queue_ptr 0
		.amdhsa_user_sgpr_kernarg_segment_ptr 1
		.amdhsa_user_sgpr_dispatch_id 0
		.amdhsa_user_sgpr_flat_scratch_init 0
		.amdhsa_user_sgpr_kernarg_preload_length 0
		.amdhsa_user_sgpr_kernarg_preload_offset 0
		.amdhsa_user_sgpr_private_segment_size 0
		.amdhsa_uses_dynamic_stack 0
		.amdhsa_system_sgpr_private_segment_wavefront_offset 0
		.amdhsa_system_sgpr_workgroup_id_x 1
		.amdhsa_system_sgpr_workgroup_id_y 0
		.amdhsa_system_sgpr_workgroup_id_z 0
		.amdhsa_system_sgpr_workgroup_info 0
		.amdhsa_system_vgpr_workitem_id 0
		.amdhsa_next_free_vgpr 1
		.amdhsa_next_free_sgpr 0
		.amdhsa_accum_offset 4
		.amdhsa_reserve_vcc 0
		.amdhsa_reserve_flat_scratch 0
		.amdhsa_float_round_mode_32 0
		.amdhsa_float_round_mode_16_64 0
		.amdhsa_float_denorm_mode_32 3
		.amdhsa_float_denorm_mode_16_64 3
		.amdhsa_dx10_clamp 1
		.amdhsa_ieee_mode 1
		.amdhsa_fp16_overflow 0
		.amdhsa_tg_split 0
		.amdhsa_exception_fp_ieee_invalid_op 0
		.amdhsa_exception_fp_denorm_src 0
		.amdhsa_exception_fp_ieee_div_zero 0
		.amdhsa_exception_fp_ieee_overflow 0
		.amdhsa_exception_fp_ieee_underflow 0
		.amdhsa_exception_fp_ieee_inexact 0
		.amdhsa_exception_int_div_zero 0
	.end_amdhsa_kernel
	.section	.text._ZN7rocprim17ROCPRIM_400000_NS6detail17trampoline_kernelINS0_14default_configENS1_25transform_config_selectorIdLb0EEEZNS1_14transform_implILb0ES3_S5_PdN6thrust23THRUST_200600_302600_NS6detail15normal_iteratorINS9_10device_ptrIdEEEENS0_8identityIdEEEE10hipError_tT2_T3_mT4_P12ihipStream_tbEUlT_E_NS1_11comp_targetILNS1_3genE5ELNS1_11target_archE942ELNS1_3gpuE9ELNS1_3repE0EEENS1_30default_config_static_selectorELNS0_4arch9wavefront6targetE1EEEvT1_,"axG",@progbits,_ZN7rocprim17ROCPRIM_400000_NS6detail17trampoline_kernelINS0_14default_configENS1_25transform_config_selectorIdLb0EEEZNS1_14transform_implILb0ES3_S5_PdN6thrust23THRUST_200600_302600_NS6detail15normal_iteratorINS9_10device_ptrIdEEEENS0_8identityIdEEEE10hipError_tT2_T3_mT4_P12ihipStream_tbEUlT_E_NS1_11comp_targetILNS1_3genE5ELNS1_11target_archE942ELNS1_3gpuE9ELNS1_3repE0EEENS1_30default_config_static_selectorELNS0_4arch9wavefront6targetE1EEEvT1_,comdat
.Lfunc_end3662:
	.size	_ZN7rocprim17ROCPRIM_400000_NS6detail17trampoline_kernelINS0_14default_configENS1_25transform_config_selectorIdLb0EEEZNS1_14transform_implILb0ES3_S5_PdN6thrust23THRUST_200600_302600_NS6detail15normal_iteratorINS9_10device_ptrIdEEEENS0_8identityIdEEEE10hipError_tT2_T3_mT4_P12ihipStream_tbEUlT_E_NS1_11comp_targetILNS1_3genE5ELNS1_11target_archE942ELNS1_3gpuE9ELNS1_3repE0EEENS1_30default_config_static_selectorELNS0_4arch9wavefront6targetE1EEEvT1_, .Lfunc_end3662-_ZN7rocprim17ROCPRIM_400000_NS6detail17trampoline_kernelINS0_14default_configENS1_25transform_config_selectorIdLb0EEEZNS1_14transform_implILb0ES3_S5_PdN6thrust23THRUST_200600_302600_NS6detail15normal_iteratorINS9_10device_ptrIdEEEENS0_8identityIdEEEE10hipError_tT2_T3_mT4_P12ihipStream_tbEUlT_E_NS1_11comp_targetILNS1_3genE5ELNS1_11target_archE942ELNS1_3gpuE9ELNS1_3repE0EEENS1_30default_config_static_selectorELNS0_4arch9wavefront6targetE1EEEvT1_
                                        ; -- End function
	.section	.AMDGPU.csdata,"",@progbits
; Kernel info:
; codeLenInByte = 0
; NumSgprs: 4
; NumVgprs: 0
; NumAgprs: 0
; TotalNumVgprs: 0
; ScratchSize: 0
; MemoryBound: 0
; FloatMode: 240
; IeeeMode: 1
; LDSByteSize: 0 bytes/workgroup (compile time only)
; SGPRBlocks: 0
; VGPRBlocks: 0
; NumSGPRsForWavesPerEU: 4
; NumVGPRsForWavesPerEU: 1
; AccumOffset: 4
; Occupancy: 8
; WaveLimiterHint : 0
; COMPUTE_PGM_RSRC2:SCRATCH_EN: 0
; COMPUTE_PGM_RSRC2:USER_SGPR: 6
; COMPUTE_PGM_RSRC2:TRAP_HANDLER: 0
; COMPUTE_PGM_RSRC2:TGID_X_EN: 1
; COMPUTE_PGM_RSRC2:TGID_Y_EN: 0
; COMPUTE_PGM_RSRC2:TGID_Z_EN: 0
; COMPUTE_PGM_RSRC2:TIDIG_COMP_CNT: 0
; COMPUTE_PGM_RSRC3_GFX90A:ACCUM_OFFSET: 0
; COMPUTE_PGM_RSRC3_GFX90A:TG_SPLIT: 0
	.section	.text._ZN7rocprim17ROCPRIM_400000_NS6detail17trampoline_kernelINS0_14default_configENS1_25transform_config_selectorIdLb0EEEZNS1_14transform_implILb0ES3_S5_PdN6thrust23THRUST_200600_302600_NS6detail15normal_iteratorINS9_10device_ptrIdEEEENS0_8identityIdEEEE10hipError_tT2_T3_mT4_P12ihipStream_tbEUlT_E_NS1_11comp_targetILNS1_3genE4ELNS1_11target_archE910ELNS1_3gpuE8ELNS1_3repE0EEENS1_30default_config_static_selectorELNS0_4arch9wavefront6targetE1EEEvT1_,"axG",@progbits,_ZN7rocprim17ROCPRIM_400000_NS6detail17trampoline_kernelINS0_14default_configENS1_25transform_config_selectorIdLb0EEEZNS1_14transform_implILb0ES3_S5_PdN6thrust23THRUST_200600_302600_NS6detail15normal_iteratorINS9_10device_ptrIdEEEENS0_8identityIdEEEE10hipError_tT2_T3_mT4_P12ihipStream_tbEUlT_E_NS1_11comp_targetILNS1_3genE4ELNS1_11target_archE910ELNS1_3gpuE8ELNS1_3repE0EEENS1_30default_config_static_selectorELNS0_4arch9wavefront6targetE1EEEvT1_,comdat
	.protected	_ZN7rocprim17ROCPRIM_400000_NS6detail17trampoline_kernelINS0_14default_configENS1_25transform_config_selectorIdLb0EEEZNS1_14transform_implILb0ES3_S5_PdN6thrust23THRUST_200600_302600_NS6detail15normal_iteratorINS9_10device_ptrIdEEEENS0_8identityIdEEEE10hipError_tT2_T3_mT4_P12ihipStream_tbEUlT_E_NS1_11comp_targetILNS1_3genE4ELNS1_11target_archE910ELNS1_3gpuE8ELNS1_3repE0EEENS1_30default_config_static_selectorELNS0_4arch9wavefront6targetE1EEEvT1_ ; -- Begin function _ZN7rocprim17ROCPRIM_400000_NS6detail17trampoline_kernelINS0_14default_configENS1_25transform_config_selectorIdLb0EEEZNS1_14transform_implILb0ES3_S5_PdN6thrust23THRUST_200600_302600_NS6detail15normal_iteratorINS9_10device_ptrIdEEEENS0_8identityIdEEEE10hipError_tT2_T3_mT4_P12ihipStream_tbEUlT_E_NS1_11comp_targetILNS1_3genE4ELNS1_11target_archE910ELNS1_3gpuE8ELNS1_3repE0EEENS1_30default_config_static_selectorELNS0_4arch9wavefront6targetE1EEEvT1_
	.globl	_ZN7rocprim17ROCPRIM_400000_NS6detail17trampoline_kernelINS0_14default_configENS1_25transform_config_selectorIdLb0EEEZNS1_14transform_implILb0ES3_S5_PdN6thrust23THRUST_200600_302600_NS6detail15normal_iteratorINS9_10device_ptrIdEEEENS0_8identityIdEEEE10hipError_tT2_T3_mT4_P12ihipStream_tbEUlT_E_NS1_11comp_targetILNS1_3genE4ELNS1_11target_archE910ELNS1_3gpuE8ELNS1_3repE0EEENS1_30default_config_static_selectorELNS0_4arch9wavefront6targetE1EEEvT1_
	.p2align	8
	.type	_ZN7rocprim17ROCPRIM_400000_NS6detail17trampoline_kernelINS0_14default_configENS1_25transform_config_selectorIdLb0EEEZNS1_14transform_implILb0ES3_S5_PdN6thrust23THRUST_200600_302600_NS6detail15normal_iteratorINS9_10device_ptrIdEEEENS0_8identityIdEEEE10hipError_tT2_T3_mT4_P12ihipStream_tbEUlT_E_NS1_11comp_targetILNS1_3genE4ELNS1_11target_archE910ELNS1_3gpuE8ELNS1_3repE0EEENS1_30default_config_static_selectorELNS0_4arch9wavefront6targetE1EEEvT1_,@function
_ZN7rocprim17ROCPRIM_400000_NS6detail17trampoline_kernelINS0_14default_configENS1_25transform_config_selectorIdLb0EEEZNS1_14transform_implILb0ES3_S5_PdN6thrust23THRUST_200600_302600_NS6detail15normal_iteratorINS9_10device_ptrIdEEEENS0_8identityIdEEEE10hipError_tT2_T3_mT4_P12ihipStream_tbEUlT_E_NS1_11comp_targetILNS1_3genE4ELNS1_11target_archE910ELNS1_3gpuE8ELNS1_3repE0EEENS1_30default_config_static_selectorELNS0_4arch9wavefront6targetE1EEEvT1_: ; @_ZN7rocprim17ROCPRIM_400000_NS6detail17trampoline_kernelINS0_14default_configENS1_25transform_config_selectorIdLb0EEEZNS1_14transform_implILb0ES3_S5_PdN6thrust23THRUST_200600_302600_NS6detail15normal_iteratorINS9_10device_ptrIdEEEENS0_8identityIdEEEE10hipError_tT2_T3_mT4_P12ihipStream_tbEUlT_E_NS1_11comp_targetILNS1_3genE4ELNS1_11target_archE910ELNS1_3gpuE8ELNS1_3repE0EEENS1_30default_config_static_selectorELNS0_4arch9wavefront6targetE1EEEvT1_
; %bb.0:
	s_load_dwordx8 s[8:15], s[4:5], 0x0
	s_load_dword s2, s[4:5], 0x28
	v_lshlrev_b32_e32 v8, 3, v0
	s_waitcnt lgkmcnt(0)
	s_lshl_b64 s[0:1], s[10:11], 3
	s_add_u32 s3, s8, s0
	s_addc_u32 s4, s9, s1
	s_add_u32 s7, s14, s0
	s_addc_u32 s13, s15, s1
	s_lshl_b32 s0, s6, 9
	s_mov_b32 s1, 0
	s_add_i32 s2, s2, -1
	s_lshl_b64 s[8:9], s[0:1], 3
	s_add_u32 s10, s3, s8
	s_addc_u32 s11, s4, s9
	s_cmp_lg_u32 s6, s2
	s_cbranch_scc0 .LBB3663_2
; %bb.1:
	global_load_dwordx2 v[2:3], v8, s[10:11]
	global_load_dwordx2 v[4:5], v8, s[10:11] offset:2048
	s_add_u32 s1, s7, s8
	s_addc_u32 s4, s13, s9
	v_mov_b32_e32 v1, s4
	v_add_co_u32_e32 v6, vcc, s1, v8
	v_addc_co_u32_e32 v7, vcc, 0, v1, vcc
	s_mov_b64 s[4:5], -1
	s_waitcnt vmcnt(1)
	flat_store_dwordx2 v[6:7], v[2:3]
	s_cbranch_execz .LBB3663_3
	s_branch .LBB3663_14
.LBB3663_2:
	s_mov_b64 s[4:5], 0
                                        ; implicit-def: $vgpr4_vgpr5
                                        ; implicit-def: $vgpr6_vgpr7
.LBB3663_3:
	s_sub_i32 s2, s12, s0
	v_cmp_gt_u32_e32 vcc, s2, v0
                                        ; implicit-def: $vgpr2_vgpr3_vgpr4_vgpr5
	s_and_saveexec_b64 s[0:1], vcc
	s_cbranch_execz .LBB3663_5
; %bb.4:
	global_load_dwordx2 v[2:3], v8, s[10:11]
.LBB3663_5:
	s_or_b64 exec, exec, s[0:1]
	v_or_b32_e32 v1, 0x100, v0
	v_cmp_gt_u32_e64 s[0:1], s2, v1
	v_cmp_le_u32_e64 s[2:3], s2, v1
	s_and_saveexec_b64 s[14:15], s[2:3]
	s_xor_b64 s[2:3], exec, s[14:15]
; %bb.6:
	v_mov_b32_e32 v1, 0
                                        ; implicit-def: $vgpr8
; %bb.7:
	s_andn2_saveexec_b64 s[2:3], s[2:3]
	s_cbranch_execz .LBB3663_9
; %bb.8:
	global_load_dwordx2 v[4:5], v8, s[10:11] offset:2048
	v_mov_b32_e32 v1, 0
.LBB3663_9:
	s_or_b64 exec, exec, s[2:3]
	s_add_u32 s2, s7, s8
	s_addc_u32 s3, s13, s9
	v_lshlrev_b64 v[0:1], 3, v[0:1]
	v_mov_b32_e32 v7, s3
	v_add_co_u32_e64 v6, s[2:3], s2, v0
	v_addc_co_u32_e64 v7, s[2:3], v7, v1, s[2:3]
	s_and_saveexec_b64 s[2:3], vcc
	s_cbranch_execz .LBB3663_11
; %bb.10:
	s_waitcnt vmcnt(0)
	flat_store_dwordx2 v[6:7], v[2:3]
.LBB3663_11:
	s_or_b64 exec, exec, s[2:3]
	s_and_saveexec_b64 s[2:3], s[0:1]
; %bb.12:
	s_or_b64 s[4:5], s[4:5], exec
; %bb.13:
	s_or_b64 exec, exec, s[2:3]
.LBB3663_14:
	s_and_saveexec_b64 s[0:1], s[4:5]
	s_cbranch_execnz .LBB3663_16
; %bb.15:
	s_endpgm
.LBB3663_16:
	s_waitcnt vmcnt(0)
	flat_store_dwordx2 v[6:7], v[4:5] offset:2048
	s_endpgm
	.section	.rodata,"a",@progbits
	.p2align	6, 0x0
	.amdhsa_kernel _ZN7rocprim17ROCPRIM_400000_NS6detail17trampoline_kernelINS0_14default_configENS1_25transform_config_selectorIdLb0EEEZNS1_14transform_implILb0ES3_S5_PdN6thrust23THRUST_200600_302600_NS6detail15normal_iteratorINS9_10device_ptrIdEEEENS0_8identityIdEEEE10hipError_tT2_T3_mT4_P12ihipStream_tbEUlT_E_NS1_11comp_targetILNS1_3genE4ELNS1_11target_archE910ELNS1_3gpuE8ELNS1_3repE0EEENS1_30default_config_static_selectorELNS0_4arch9wavefront6targetE1EEEvT1_
		.amdhsa_group_segment_fixed_size 0
		.amdhsa_private_segment_fixed_size 0
		.amdhsa_kernarg_size 296
		.amdhsa_user_sgpr_count 6
		.amdhsa_user_sgpr_private_segment_buffer 1
		.amdhsa_user_sgpr_dispatch_ptr 0
		.amdhsa_user_sgpr_queue_ptr 0
		.amdhsa_user_sgpr_kernarg_segment_ptr 1
		.amdhsa_user_sgpr_dispatch_id 0
		.amdhsa_user_sgpr_flat_scratch_init 0
		.amdhsa_user_sgpr_kernarg_preload_length 0
		.amdhsa_user_sgpr_kernarg_preload_offset 0
		.amdhsa_user_sgpr_private_segment_size 0
		.amdhsa_uses_dynamic_stack 0
		.amdhsa_system_sgpr_private_segment_wavefront_offset 0
		.amdhsa_system_sgpr_workgroup_id_x 1
		.amdhsa_system_sgpr_workgroup_id_y 0
		.amdhsa_system_sgpr_workgroup_id_z 0
		.amdhsa_system_sgpr_workgroup_info 0
		.amdhsa_system_vgpr_workitem_id 0
		.amdhsa_next_free_vgpr 9
		.amdhsa_next_free_sgpr 16
		.amdhsa_accum_offset 12
		.amdhsa_reserve_vcc 1
		.amdhsa_reserve_flat_scratch 0
		.amdhsa_float_round_mode_32 0
		.amdhsa_float_round_mode_16_64 0
		.amdhsa_float_denorm_mode_32 3
		.amdhsa_float_denorm_mode_16_64 3
		.amdhsa_dx10_clamp 1
		.amdhsa_ieee_mode 1
		.amdhsa_fp16_overflow 0
		.amdhsa_tg_split 0
		.amdhsa_exception_fp_ieee_invalid_op 0
		.amdhsa_exception_fp_denorm_src 0
		.amdhsa_exception_fp_ieee_div_zero 0
		.amdhsa_exception_fp_ieee_overflow 0
		.amdhsa_exception_fp_ieee_underflow 0
		.amdhsa_exception_fp_ieee_inexact 0
		.amdhsa_exception_int_div_zero 0
	.end_amdhsa_kernel
	.section	.text._ZN7rocprim17ROCPRIM_400000_NS6detail17trampoline_kernelINS0_14default_configENS1_25transform_config_selectorIdLb0EEEZNS1_14transform_implILb0ES3_S5_PdN6thrust23THRUST_200600_302600_NS6detail15normal_iteratorINS9_10device_ptrIdEEEENS0_8identityIdEEEE10hipError_tT2_T3_mT4_P12ihipStream_tbEUlT_E_NS1_11comp_targetILNS1_3genE4ELNS1_11target_archE910ELNS1_3gpuE8ELNS1_3repE0EEENS1_30default_config_static_selectorELNS0_4arch9wavefront6targetE1EEEvT1_,"axG",@progbits,_ZN7rocprim17ROCPRIM_400000_NS6detail17trampoline_kernelINS0_14default_configENS1_25transform_config_selectorIdLb0EEEZNS1_14transform_implILb0ES3_S5_PdN6thrust23THRUST_200600_302600_NS6detail15normal_iteratorINS9_10device_ptrIdEEEENS0_8identityIdEEEE10hipError_tT2_T3_mT4_P12ihipStream_tbEUlT_E_NS1_11comp_targetILNS1_3genE4ELNS1_11target_archE910ELNS1_3gpuE8ELNS1_3repE0EEENS1_30default_config_static_selectorELNS0_4arch9wavefront6targetE1EEEvT1_,comdat
.Lfunc_end3663:
	.size	_ZN7rocprim17ROCPRIM_400000_NS6detail17trampoline_kernelINS0_14default_configENS1_25transform_config_selectorIdLb0EEEZNS1_14transform_implILb0ES3_S5_PdN6thrust23THRUST_200600_302600_NS6detail15normal_iteratorINS9_10device_ptrIdEEEENS0_8identityIdEEEE10hipError_tT2_T3_mT4_P12ihipStream_tbEUlT_E_NS1_11comp_targetILNS1_3genE4ELNS1_11target_archE910ELNS1_3gpuE8ELNS1_3repE0EEENS1_30default_config_static_selectorELNS0_4arch9wavefront6targetE1EEEvT1_, .Lfunc_end3663-_ZN7rocprim17ROCPRIM_400000_NS6detail17trampoline_kernelINS0_14default_configENS1_25transform_config_selectorIdLb0EEEZNS1_14transform_implILb0ES3_S5_PdN6thrust23THRUST_200600_302600_NS6detail15normal_iteratorINS9_10device_ptrIdEEEENS0_8identityIdEEEE10hipError_tT2_T3_mT4_P12ihipStream_tbEUlT_E_NS1_11comp_targetILNS1_3genE4ELNS1_11target_archE910ELNS1_3gpuE8ELNS1_3repE0EEENS1_30default_config_static_selectorELNS0_4arch9wavefront6targetE1EEEvT1_
                                        ; -- End function
	.section	.AMDGPU.csdata,"",@progbits
; Kernel info:
; codeLenInByte = 328
; NumSgprs: 20
; NumVgprs: 9
; NumAgprs: 0
; TotalNumVgprs: 9
; ScratchSize: 0
; MemoryBound: 0
; FloatMode: 240
; IeeeMode: 1
; LDSByteSize: 0 bytes/workgroup (compile time only)
; SGPRBlocks: 2
; VGPRBlocks: 1
; NumSGPRsForWavesPerEU: 20
; NumVGPRsForWavesPerEU: 9
; AccumOffset: 12
; Occupancy: 8
; WaveLimiterHint : 1
; COMPUTE_PGM_RSRC2:SCRATCH_EN: 0
; COMPUTE_PGM_RSRC2:USER_SGPR: 6
; COMPUTE_PGM_RSRC2:TRAP_HANDLER: 0
; COMPUTE_PGM_RSRC2:TGID_X_EN: 1
; COMPUTE_PGM_RSRC2:TGID_Y_EN: 0
; COMPUTE_PGM_RSRC2:TGID_Z_EN: 0
; COMPUTE_PGM_RSRC2:TIDIG_COMP_CNT: 0
; COMPUTE_PGM_RSRC3_GFX90A:ACCUM_OFFSET: 2
; COMPUTE_PGM_RSRC3_GFX90A:TG_SPLIT: 0
	.section	.text._ZN7rocprim17ROCPRIM_400000_NS6detail17trampoline_kernelINS0_14default_configENS1_25transform_config_selectorIdLb0EEEZNS1_14transform_implILb0ES3_S5_PdN6thrust23THRUST_200600_302600_NS6detail15normal_iteratorINS9_10device_ptrIdEEEENS0_8identityIdEEEE10hipError_tT2_T3_mT4_P12ihipStream_tbEUlT_E_NS1_11comp_targetILNS1_3genE3ELNS1_11target_archE908ELNS1_3gpuE7ELNS1_3repE0EEENS1_30default_config_static_selectorELNS0_4arch9wavefront6targetE1EEEvT1_,"axG",@progbits,_ZN7rocprim17ROCPRIM_400000_NS6detail17trampoline_kernelINS0_14default_configENS1_25transform_config_selectorIdLb0EEEZNS1_14transform_implILb0ES3_S5_PdN6thrust23THRUST_200600_302600_NS6detail15normal_iteratorINS9_10device_ptrIdEEEENS0_8identityIdEEEE10hipError_tT2_T3_mT4_P12ihipStream_tbEUlT_E_NS1_11comp_targetILNS1_3genE3ELNS1_11target_archE908ELNS1_3gpuE7ELNS1_3repE0EEENS1_30default_config_static_selectorELNS0_4arch9wavefront6targetE1EEEvT1_,comdat
	.protected	_ZN7rocprim17ROCPRIM_400000_NS6detail17trampoline_kernelINS0_14default_configENS1_25transform_config_selectorIdLb0EEEZNS1_14transform_implILb0ES3_S5_PdN6thrust23THRUST_200600_302600_NS6detail15normal_iteratorINS9_10device_ptrIdEEEENS0_8identityIdEEEE10hipError_tT2_T3_mT4_P12ihipStream_tbEUlT_E_NS1_11comp_targetILNS1_3genE3ELNS1_11target_archE908ELNS1_3gpuE7ELNS1_3repE0EEENS1_30default_config_static_selectorELNS0_4arch9wavefront6targetE1EEEvT1_ ; -- Begin function _ZN7rocprim17ROCPRIM_400000_NS6detail17trampoline_kernelINS0_14default_configENS1_25transform_config_selectorIdLb0EEEZNS1_14transform_implILb0ES3_S5_PdN6thrust23THRUST_200600_302600_NS6detail15normal_iteratorINS9_10device_ptrIdEEEENS0_8identityIdEEEE10hipError_tT2_T3_mT4_P12ihipStream_tbEUlT_E_NS1_11comp_targetILNS1_3genE3ELNS1_11target_archE908ELNS1_3gpuE7ELNS1_3repE0EEENS1_30default_config_static_selectorELNS0_4arch9wavefront6targetE1EEEvT1_
	.globl	_ZN7rocprim17ROCPRIM_400000_NS6detail17trampoline_kernelINS0_14default_configENS1_25transform_config_selectorIdLb0EEEZNS1_14transform_implILb0ES3_S5_PdN6thrust23THRUST_200600_302600_NS6detail15normal_iteratorINS9_10device_ptrIdEEEENS0_8identityIdEEEE10hipError_tT2_T3_mT4_P12ihipStream_tbEUlT_E_NS1_11comp_targetILNS1_3genE3ELNS1_11target_archE908ELNS1_3gpuE7ELNS1_3repE0EEENS1_30default_config_static_selectorELNS0_4arch9wavefront6targetE1EEEvT1_
	.p2align	8
	.type	_ZN7rocprim17ROCPRIM_400000_NS6detail17trampoline_kernelINS0_14default_configENS1_25transform_config_selectorIdLb0EEEZNS1_14transform_implILb0ES3_S5_PdN6thrust23THRUST_200600_302600_NS6detail15normal_iteratorINS9_10device_ptrIdEEEENS0_8identityIdEEEE10hipError_tT2_T3_mT4_P12ihipStream_tbEUlT_E_NS1_11comp_targetILNS1_3genE3ELNS1_11target_archE908ELNS1_3gpuE7ELNS1_3repE0EEENS1_30default_config_static_selectorELNS0_4arch9wavefront6targetE1EEEvT1_,@function
_ZN7rocprim17ROCPRIM_400000_NS6detail17trampoline_kernelINS0_14default_configENS1_25transform_config_selectorIdLb0EEEZNS1_14transform_implILb0ES3_S5_PdN6thrust23THRUST_200600_302600_NS6detail15normal_iteratorINS9_10device_ptrIdEEEENS0_8identityIdEEEE10hipError_tT2_T3_mT4_P12ihipStream_tbEUlT_E_NS1_11comp_targetILNS1_3genE3ELNS1_11target_archE908ELNS1_3gpuE7ELNS1_3repE0EEENS1_30default_config_static_selectorELNS0_4arch9wavefront6targetE1EEEvT1_: ; @_ZN7rocprim17ROCPRIM_400000_NS6detail17trampoline_kernelINS0_14default_configENS1_25transform_config_selectorIdLb0EEEZNS1_14transform_implILb0ES3_S5_PdN6thrust23THRUST_200600_302600_NS6detail15normal_iteratorINS9_10device_ptrIdEEEENS0_8identityIdEEEE10hipError_tT2_T3_mT4_P12ihipStream_tbEUlT_E_NS1_11comp_targetILNS1_3genE3ELNS1_11target_archE908ELNS1_3gpuE7ELNS1_3repE0EEENS1_30default_config_static_selectorELNS0_4arch9wavefront6targetE1EEEvT1_
; %bb.0:
	.section	.rodata,"a",@progbits
	.p2align	6, 0x0
	.amdhsa_kernel _ZN7rocprim17ROCPRIM_400000_NS6detail17trampoline_kernelINS0_14default_configENS1_25transform_config_selectorIdLb0EEEZNS1_14transform_implILb0ES3_S5_PdN6thrust23THRUST_200600_302600_NS6detail15normal_iteratorINS9_10device_ptrIdEEEENS0_8identityIdEEEE10hipError_tT2_T3_mT4_P12ihipStream_tbEUlT_E_NS1_11comp_targetILNS1_3genE3ELNS1_11target_archE908ELNS1_3gpuE7ELNS1_3repE0EEENS1_30default_config_static_selectorELNS0_4arch9wavefront6targetE1EEEvT1_
		.amdhsa_group_segment_fixed_size 0
		.amdhsa_private_segment_fixed_size 0
		.amdhsa_kernarg_size 40
		.amdhsa_user_sgpr_count 6
		.amdhsa_user_sgpr_private_segment_buffer 1
		.amdhsa_user_sgpr_dispatch_ptr 0
		.amdhsa_user_sgpr_queue_ptr 0
		.amdhsa_user_sgpr_kernarg_segment_ptr 1
		.amdhsa_user_sgpr_dispatch_id 0
		.amdhsa_user_sgpr_flat_scratch_init 0
		.amdhsa_user_sgpr_kernarg_preload_length 0
		.amdhsa_user_sgpr_kernarg_preload_offset 0
		.amdhsa_user_sgpr_private_segment_size 0
		.amdhsa_uses_dynamic_stack 0
		.amdhsa_system_sgpr_private_segment_wavefront_offset 0
		.amdhsa_system_sgpr_workgroup_id_x 1
		.amdhsa_system_sgpr_workgroup_id_y 0
		.amdhsa_system_sgpr_workgroup_id_z 0
		.amdhsa_system_sgpr_workgroup_info 0
		.amdhsa_system_vgpr_workitem_id 0
		.amdhsa_next_free_vgpr 1
		.amdhsa_next_free_sgpr 0
		.amdhsa_accum_offset 4
		.amdhsa_reserve_vcc 0
		.amdhsa_reserve_flat_scratch 0
		.amdhsa_float_round_mode_32 0
		.amdhsa_float_round_mode_16_64 0
		.amdhsa_float_denorm_mode_32 3
		.amdhsa_float_denorm_mode_16_64 3
		.amdhsa_dx10_clamp 1
		.amdhsa_ieee_mode 1
		.amdhsa_fp16_overflow 0
		.amdhsa_tg_split 0
		.amdhsa_exception_fp_ieee_invalid_op 0
		.amdhsa_exception_fp_denorm_src 0
		.amdhsa_exception_fp_ieee_div_zero 0
		.amdhsa_exception_fp_ieee_overflow 0
		.amdhsa_exception_fp_ieee_underflow 0
		.amdhsa_exception_fp_ieee_inexact 0
		.amdhsa_exception_int_div_zero 0
	.end_amdhsa_kernel
	.section	.text._ZN7rocprim17ROCPRIM_400000_NS6detail17trampoline_kernelINS0_14default_configENS1_25transform_config_selectorIdLb0EEEZNS1_14transform_implILb0ES3_S5_PdN6thrust23THRUST_200600_302600_NS6detail15normal_iteratorINS9_10device_ptrIdEEEENS0_8identityIdEEEE10hipError_tT2_T3_mT4_P12ihipStream_tbEUlT_E_NS1_11comp_targetILNS1_3genE3ELNS1_11target_archE908ELNS1_3gpuE7ELNS1_3repE0EEENS1_30default_config_static_selectorELNS0_4arch9wavefront6targetE1EEEvT1_,"axG",@progbits,_ZN7rocprim17ROCPRIM_400000_NS6detail17trampoline_kernelINS0_14default_configENS1_25transform_config_selectorIdLb0EEEZNS1_14transform_implILb0ES3_S5_PdN6thrust23THRUST_200600_302600_NS6detail15normal_iteratorINS9_10device_ptrIdEEEENS0_8identityIdEEEE10hipError_tT2_T3_mT4_P12ihipStream_tbEUlT_E_NS1_11comp_targetILNS1_3genE3ELNS1_11target_archE908ELNS1_3gpuE7ELNS1_3repE0EEENS1_30default_config_static_selectorELNS0_4arch9wavefront6targetE1EEEvT1_,comdat
.Lfunc_end3664:
	.size	_ZN7rocprim17ROCPRIM_400000_NS6detail17trampoline_kernelINS0_14default_configENS1_25transform_config_selectorIdLb0EEEZNS1_14transform_implILb0ES3_S5_PdN6thrust23THRUST_200600_302600_NS6detail15normal_iteratorINS9_10device_ptrIdEEEENS0_8identityIdEEEE10hipError_tT2_T3_mT4_P12ihipStream_tbEUlT_E_NS1_11comp_targetILNS1_3genE3ELNS1_11target_archE908ELNS1_3gpuE7ELNS1_3repE0EEENS1_30default_config_static_selectorELNS0_4arch9wavefront6targetE1EEEvT1_, .Lfunc_end3664-_ZN7rocprim17ROCPRIM_400000_NS6detail17trampoline_kernelINS0_14default_configENS1_25transform_config_selectorIdLb0EEEZNS1_14transform_implILb0ES3_S5_PdN6thrust23THRUST_200600_302600_NS6detail15normal_iteratorINS9_10device_ptrIdEEEENS0_8identityIdEEEE10hipError_tT2_T3_mT4_P12ihipStream_tbEUlT_E_NS1_11comp_targetILNS1_3genE3ELNS1_11target_archE908ELNS1_3gpuE7ELNS1_3repE0EEENS1_30default_config_static_selectorELNS0_4arch9wavefront6targetE1EEEvT1_
                                        ; -- End function
	.section	.AMDGPU.csdata,"",@progbits
; Kernel info:
; codeLenInByte = 0
; NumSgprs: 4
; NumVgprs: 0
; NumAgprs: 0
; TotalNumVgprs: 0
; ScratchSize: 0
; MemoryBound: 0
; FloatMode: 240
; IeeeMode: 1
; LDSByteSize: 0 bytes/workgroup (compile time only)
; SGPRBlocks: 0
; VGPRBlocks: 0
; NumSGPRsForWavesPerEU: 4
; NumVGPRsForWavesPerEU: 1
; AccumOffset: 4
; Occupancy: 8
; WaveLimiterHint : 0
; COMPUTE_PGM_RSRC2:SCRATCH_EN: 0
; COMPUTE_PGM_RSRC2:USER_SGPR: 6
; COMPUTE_PGM_RSRC2:TRAP_HANDLER: 0
; COMPUTE_PGM_RSRC2:TGID_X_EN: 1
; COMPUTE_PGM_RSRC2:TGID_Y_EN: 0
; COMPUTE_PGM_RSRC2:TGID_Z_EN: 0
; COMPUTE_PGM_RSRC2:TIDIG_COMP_CNT: 0
; COMPUTE_PGM_RSRC3_GFX90A:ACCUM_OFFSET: 0
; COMPUTE_PGM_RSRC3_GFX90A:TG_SPLIT: 0
	.section	.text._ZN7rocprim17ROCPRIM_400000_NS6detail17trampoline_kernelINS0_14default_configENS1_25transform_config_selectorIdLb0EEEZNS1_14transform_implILb0ES3_S5_PdN6thrust23THRUST_200600_302600_NS6detail15normal_iteratorINS9_10device_ptrIdEEEENS0_8identityIdEEEE10hipError_tT2_T3_mT4_P12ihipStream_tbEUlT_E_NS1_11comp_targetILNS1_3genE2ELNS1_11target_archE906ELNS1_3gpuE6ELNS1_3repE0EEENS1_30default_config_static_selectorELNS0_4arch9wavefront6targetE1EEEvT1_,"axG",@progbits,_ZN7rocprim17ROCPRIM_400000_NS6detail17trampoline_kernelINS0_14default_configENS1_25transform_config_selectorIdLb0EEEZNS1_14transform_implILb0ES3_S5_PdN6thrust23THRUST_200600_302600_NS6detail15normal_iteratorINS9_10device_ptrIdEEEENS0_8identityIdEEEE10hipError_tT2_T3_mT4_P12ihipStream_tbEUlT_E_NS1_11comp_targetILNS1_3genE2ELNS1_11target_archE906ELNS1_3gpuE6ELNS1_3repE0EEENS1_30default_config_static_selectorELNS0_4arch9wavefront6targetE1EEEvT1_,comdat
	.protected	_ZN7rocprim17ROCPRIM_400000_NS6detail17trampoline_kernelINS0_14default_configENS1_25transform_config_selectorIdLb0EEEZNS1_14transform_implILb0ES3_S5_PdN6thrust23THRUST_200600_302600_NS6detail15normal_iteratorINS9_10device_ptrIdEEEENS0_8identityIdEEEE10hipError_tT2_T3_mT4_P12ihipStream_tbEUlT_E_NS1_11comp_targetILNS1_3genE2ELNS1_11target_archE906ELNS1_3gpuE6ELNS1_3repE0EEENS1_30default_config_static_selectorELNS0_4arch9wavefront6targetE1EEEvT1_ ; -- Begin function _ZN7rocprim17ROCPRIM_400000_NS6detail17trampoline_kernelINS0_14default_configENS1_25transform_config_selectorIdLb0EEEZNS1_14transform_implILb0ES3_S5_PdN6thrust23THRUST_200600_302600_NS6detail15normal_iteratorINS9_10device_ptrIdEEEENS0_8identityIdEEEE10hipError_tT2_T3_mT4_P12ihipStream_tbEUlT_E_NS1_11comp_targetILNS1_3genE2ELNS1_11target_archE906ELNS1_3gpuE6ELNS1_3repE0EEENS1_30default_config_static_selectorELNS0_4arch9wavefront6targetE1EEEvT1_
	.globl	_ZN7rocprim17ROCPRIM_400000_NS6detail17trampoline_kernelINS0_14default_configENS1_25transform_config_selectorIdLb0EEEZNS1_14transform_implILb0ES3_S5_PdN6thrust23THRUST_200600_302600_NS6detail15normal_iteratorINS9_10device_ptrIdEEEENS0_8identityIdEEEE10hipError_tT2_T3_mT4_P12ihipStream_tbEUlT_E_NS1_11comp_targetILNS1_3genE2ELNS1_11target_archE906ELNS1_3gpuE6ELNS1_3repE0EEENS1_30default_config_static_selectorELNS0_4arch9wavefront6targetE1EEEvT1_
	.p2align	8
	.type	_ZN7rocprim17ROCPRIM_400000_NS6detail17trampoline_kernelINS0_14default_configENS1_25transform_config_selectorIdLb0EEEZNS1_14transform_implILb0ES3_S5_PdN6thrust23THRUST_200600_302600_NS6detail15normal_iteratorINS9_10device_ptrIdEEEENS0_8identityIdEEEE10hipError_tT2_T3_mT4_P12ihipStream_tbEUlT_E_NS1_11comp_targetILNS1_3genE2ELNS1_11target_archE906ELNS1_3gpuE6ELNS1_3repE0EEENS1_30default_config_static_selectorELNS0_4arch9wavefront6targetE1EEEvT1_,@function
_ZN7rocprim17ROCPRIM_400000_NS6detail17trampoline_kernelINS0_14default_configENS1_25transform_config_selectorIdLb0EEEZNS1_14transform_implILb0ES3_S5_PdN6thrust23THRUST_200600_302600_NS6detail15normal_iteratorINS9_10device_ptrIdEEEENS0_8identityIdEEEE10hipError_tT2_T3_mT4_P12ihipStream_tbEUlT_E_NS1_11comp_targetILNS1_3genE2ELNS1_11target_archE906ELNS1_3gpuE6ELNS1_3repE0EEENS1_30default_config_static_selectorELNS0_4arch9wavefront6targetE1EEEvT1_: ; @_ZN7rocprim17ROCPRIM_400000_NS6detail17trampoline_kernelINS0_14default_configENS1_25transform_config_selectorIdLb0EEEZNS1_14transform_implILb0ES3_S5_PdN6thrust23THRUST_200600_302600_NS6detail15normal_iteratorINS9_10device_ptrIdEEEENS0_8identityIdEEEE10hipError_tT2_T3_mT4_P12ihipStream_tbEUlT_E_NS1_11comp_targetILNS1_3genE2ELNS1_11target_archE906ELNS1_3gpuE6ELNS1_3repE0EEENS1_30default_config_static_selectorELNS0_4arch9wavefront6targetE1EEEvT1_
; %bb.0:
	.section	.rodata,"a",@progbits
	.p2align	6, 0x0
	.amdhsa_kernel _ZN7rocprim17ROCPRIM_400000_NS6detail17trampoline_kernelINS0_14default_configENS1_25transform_config_selectorIdLb0EEEZNS1_14transform_implILb0ES3_S5_PdN6thrust23THRUST_200600_302600_NS6detail15normal_iteratorINS9_10device_ptrIdEEEENS0_8identityIdEEEE10hipError_tT2_T3_mT4_P12ihipStream_tbEUlT_E_NS1_11comp_targetILNS1_3genE2ELNS1_11target_archE906ELNS1_3gpuE6ELNS1_3repE0EEENS1_30default_config_static_selectorELNS0_4arch9wavefront6targetE1EEEvT1_
		.amdhsa_group_segment_fixed_size 0
		.amdhsa_private_segment_fixed_size 0
		.amdhsa_kernarg_size 40
		.amdhsa_user_sgpr_count 6
		.amdhsa_user_sgpr_private_segment_buffer 1
		.amdhsa_user_sgpr_dispatch_ptr 0
		.amdhsa_user_sgpr_queue_ptr 0
		.amdhsa_user_sgpr_kernarg_segment_ptr 1
		.amdhsa_user_sgpr_dispatch_id 0
		.amdhsa_user_sgpr_flat_scratch_init 0
		.amdhsa_user_sgpr_kernarg_preload_length 0
		.amdhsa_user_sgpr_kernarg_preload_offset 0
		.amdhsa_user_sgpr_private_segment_size 0
		.amdhsa_uses_dynamic_stack 0
		.amdhsa_system_sgpr_private_segment_wavefront_offset 0
		.amdhsa_system_sgpr_workgroup_id_x 1
		.amdhsa_system_sgpr_workgroup_id_y 0
		.amdhsa_system_sgpr_workgroup_id_z 0
		.amdhsa_system_sgpr_workgroup_info 0
		.amdhsa_system_vgpr_workitem_id 0
		.amdhsa_next_free_vgpr 1
		.amdhsa_next_free_sgpr 0
		.amdhsa_accum_offset 4
		.amdhsa_reserve_vcc 0
		.amdhsa_reserve_flat_scratch 0
		.amdhsa_float_round_mode_32 0
		.amdhsa_float_round_mode_16_64 0
		.amdhsa_float_denorm_mode_32 3
		.amdhsa_float_denorm_mode_16_64 3
		.amdhsa_dx10_clamp 1
		.amdhsa_ieee_mode 1
		.amdhsa_fp16_overflow 0
		.amdhsa_tg_split 0
		.amdhsa_exception_fp_ieee_invalid_op 0
		.amdhsa_exception_fp_denorm_src 0
		.amdhsa_exception_fp_ieee_div_zero 0
		.amdhsa_exception_fp_ieee_overflow 0
		.amdhsa_exception_fp_ieee_underflow 0
		.amdhsa_exception_fp_ieee_inexact 0
		.amdhsa_exception_int_div_zero 0
	.end_amdhsa_kernel
	.section	.text._ZN7rocprim17ROCPRIM_400000_NS6detail17trampoline_kernelINS0_14default_configENS1_25transform_config_selectorIdLb0EEEZNS1_14transform_implILb0ES3_S5_PdN6thrust23THRUST_200600_302600_NS6detail15normal_iteratorINS9_10device_ptrIdEEEENS0_8identityIdEEEE10hipError_tT2_T3_mT4_P12ihipStream_tbEUlT_E_NS1_11comp_targetILNS1_3genE2ELNS1_11target_archE906ELNS1_3gpuE6ELNS1_3repE0EEENS1_30default_config_static_selectorELNS0_4arch9wavefront6targetE1EEEvT1_,"axG",@progbits,_ZN7rocprim17ROCPRIM_400000_NS6detail17trampoline_kernelINS0_14default_configENS1_25transform_config_selectorIdLb0EEEZNS1_14transform_implILb0ES3_S5_PdN6thrust23THRUST_200600_302600_NS6detail15normal_iteratorINS9_10device_ptrIdEEEENS0_8identityIdEEEE10hipError_tT2_T3_mT4_P12ihipStream_tbEUlT_E_NS1_11comp_targetILNS1_3genE2ELNS1_11target_archE906ELNS1_3gpuE6ELNS1_3repE0EEENS1_30default_config_static_selectorELNS0_4arch9wavefront6targetE1EEEvT1_,comdat
.Lfunc_end3665:
	.size	_ZN7rocprim17ROCPRIM_400000_NS6detail17trampoline_kernelINS0_14default_configENS1_25transform_config_selectorIdLb0EEEZNS1_14transform_implILb0ES3_S5_PdN6thrust23THRUST_200600_302600_NS6detail15normal_iteratorINS9_10device_ptrIdEEEENS0_8identityIdEEEE10hipError_tT2_T3_mT4_P12ihipStream_tbEUlT_E_NS1_11comp_targetILNS1_3genE2ELNS1_11target_archE906ELNS1_3gpuE6ELNS1_3repE0EEENS1_30default_config_static_selectorELNS0_4arch9wavefront6targetE1EEEvT1_, .Lfunc_end3665-_ZN7rocprim17ROCPRIM_400000_NS6detail17trampoline_kernelINS0_14default_configENS1_25transform_config_selectorIdLb0EEEZNS1_14transform_implILb0ES3_S5_PdN6thrust23THRUST_200600_302600_NS6detail15normal_iteratorINS9_10device_ptrIdEEEENS0_8identityIdEEEE10hipError_tT2_T3_mT4_P12ihipStream_tbEUlT_E_NS1_11comp_targetILNS1_3genE2ELNS1_11target_archE906ELNS1_3gpuE6ELNS1_3repE0EEENS1_30default_config_static_selectorELNS0_4arch9wavefront6targetE1EEEvT1_
                                        ; -- End function
	.section	.AMDGPU.csdata,"",@progbits
; Kernel info:
; codeLenInByte = 0
; NumSgprs: 4
; NumVgprs: 0
; NumAgprs: 0
; TotalNumVgprs: 0
; ScratchSize: 0
; MemoryBound: 0
; FloatMode: 240
; IeeeMode: 1
; LDSByteSize: 0 bytes/workgroup (compile time only)
; SGPRBlocks: 0
; VGPRBlocks: 0
; NumSGPRsForWavesPerEU: 4
; NumVGPRsForWavesPerEU: 1
; AccumOffset: 4
; Occupancy: 8
; WaveLimiterHint : 0
; COMPUTE_PGM_RSRC2:SCRATCH_EN: 0
; COMPUTE_PGM_RSRC2:USER_SGPR: 6
; COMPUTE_PGM_RSRC2:TRAP_HANDLER: 0
; COMPUTE_PGM_RSRC2:TGID_X_EN: 1
; COMPUTE_PGM_RSRC2:TGID_Y_EN: 0
; COMPUTE_PGM_RSRC2:TGID_Z_EN: 0
; COMPUTE_PGM_RSRC2:TIDIG_COMP_CNT: 0
; COMPUTE_PGM_RSRC3_GFX90A:ACCUM_OFFSET: 0
; COMPUTE_PGM_RSRC3_GFX90A:TG_SPLIT: 0
	.section	.text._ZN7rocprim17ROCPRIM_400000_NS6detail17trampoline_kernelINS0_14default_configENS1_25transform_config_selectorIdLb0EEEZNS1_14transform_implILb0ES3_S5_PdN6thrust23THRUST_200600_302600_NS6detail15normal_iteratorINS9_10device_ptrIdEEEENS0_8identityIdEEEE10hipError_tT2_T3_mT4_P12ihipStream_tbEUlT_E_NS1_11comp_targetILNS1_3genE10ELNS1_11target_archE1201ELNS1_3gpuE5ELNS1_3repE0EEENS1_30default_config_static_selectorELNS0_4arch9wavefront6targetE1EEEvT1_,"axG",@progbits,_ZN7rocprim17ROCPRIM_400000_NS6detail17trampoline_kernelINS0_14default_configENS1_25transform_config_selectorIdLb0EEEZNS1_14transform_implILb0ES3_S5_PdN6thrust23THRUST_200600_302600_NS6detail15normal_iteratorINS9_10device_ptrIdEEEENS0_8identityIdEEEE10hipError_tT2_T3_mT4_P12ihipStream_tbEUlT_E_NS1_11comp_targetILNS1_3genE10ELNS1_11target_archE1201ELNS1_3gpuE5ELNS1_3repE0EEENS1_30default_config_static_selectorELNS0_4arch9wavefront6targetE1EEEvT1_,comdat
	.protected	_ZN7rocprim17ROCPRIM_400000_NS6detail17trampoline_kernelINS0_14default_configENS1_25transform_config_selectorIdLb0EEEZNS1_14transform_implILb0ES3_S5_PdN6thrust23THRUST_200600_302600_NS6detail15normal_iteratorINS9_10device_ptrIdEEEENS0_8identityIdEEEE10hipError_tT2_T3_mT4_P12ihipStream_tbEUlT_E_NS1_11comp_targetILNS1_3genE10ELNS1_11target_archE1201ELNS1_3gpuE5ELNS1_3repE0EEENS1_30default_config_static_selectorELNS0_4arch9wavefront6targetE1EEEvT1_ ; -- Begin function _ZN7rocprim17ROCPRIM_400000_NS6detail17trampoline_kernelINS0_14default_configENS1_25transform_config_selectorIdLb0EEEZNS1_14transform_implILb0ES3_S5_PdN6thrust23THRUST_200600_302600_NS6detail15normal_iteratorINS9_10device_ptrIdEEEENS0_8identityIdEEEE10hipError_tT2_T3_mT4_P12ihipStream_tbEUlT_E_NS1_11comp_targetILNS1_3genE10ELNS1_11target_archE1201ELNS1_3gpuE5ELNS1_3repE0EEENS1_30default_config_static_selectorELNS0_4arch9wavefront6targetE1EEEvT1_
	.globl	_ZN7rocprim17ROCPRIM_400000_NS6detail17trampoline_kernelINS0_14default_configENS1_25transform_config_selectorIdLb0EEEZNS1_14transform_implILb0ES3_S5_PdN6thrust23THRUST_200600_302600_NS6detail15normal_iteratorINS9_10device_ptrIdEEEENS0_8identityIdEEEE10hipError_tT2_T3_mT4_P12ihipStream_tbEUlT_E_NS1_11comp_targetILNS1_3genE10ELNS1_11target_archE1201ELNS1_3gpuE5ELNS1_3repE0EEENS1_30default_config_static_selectorELNS0_4arch9wavefront6targetE1EEEvT1_
	.p2align	8
	.type	_ZN7rocprim17ROCPRIM_400000_NS6detail17trampoline_kernelINS0_14default_configENS1_25transform_config_selectorIdLb0EEEZNS1_14transform_implILb0ES3_S5_PdN6thrust23THRUST_200600_302600_NS6detail15normal_iteratorINS9_10device_ptrIdEEEENS0_8identityIdEEEE10hipError_tT2_T3_mT4_P12ihipStream_tbEUlT_E_NS1_11comp_targetILNS1_3genE10ELNS1_11target_archE1201ELNS1_3gpuE5ELNS1_3repE0EEENS1_30default_config_static_selectorELNS0_4arch9wavefront6targetE1EEEvT1_,@function
_ZN7rocprim17ROCPRIM_400000_NS6detail17trampoline_kernelINS0_14default_configENS1_25transform_config_selectorIdLb0EEEZNS1_14transform_implILb0ES3_S5_PdN6thrust23THRUST_200600_302600_NS6detail15normal_iteratorINS9_10device_ptrIdEEEENS0_8identityIdEEEE10hipError_tT2_T3_mT4_P12ihipStream_tbEUlT_E_NS1_11comp_targetILNS1_3genE10ELNS1_11target_archE1201ELNS1_3gpuE5ELNS1_3repE0EEENS1_30default_config_static_selectorELNS0_4arch9wavefront6targetE1EEEvT1_: ; @_ZN7rocprim17ROCPRIM_400000_NS6detail17trampoline_kernelINS0_14default_configENS1_25transform_config_selectorIdLb0EEEZNS1_14transform_implILb0ES3_S5_PdN6thrust23THRUST_200600_302600_NS6detail15normal_iteratorINS9_10device_ptrIdEEEENS0_8identityIdEEEE10hipError_tT2_T3_mT4_P12ihipStream_tbEUlT_E_NS1_11comp_targetILNS1_3genE10ELNS1_11target_archE1201ELNS1_3gpuE5ELNS1_3repE0EEENS1_30default_config_static_selectorELNS0_4arch9wavefront6targetE1EEEvT1_
; %bb.0:
	.section	.rodata,"a",@progbits
	.p2align	6, 0x0
	.amdhsa_kernel _ZN7rocprim17ROCPRIM_400000_NS6detail17trampoline_kernelINS0_14default_configENS1_25transform_config_selectorIdLb0EEEZNS1_14transform_implILb0ES3_S5_PdN6thrust23THRUST_200600_302600_NS6detail15normal_iteratorINS9_10device_ptrIdEEEENS0_8identityIdEEEE10hipError_tT2_T3_mT4_P12ihipStream_tbEUlT_E_NS1_11comp_targetILNS1_3genE10ELNS1_11target_archE1201ELNS1_3gpuE5ELNS1_3repE0EEENS1_30default_config_static_selectorELNS0_4arch9wavefront6targetE1EEEvT1_
		.amdhsa_group_segment_fixed_size 0
		.amdhsa_private_segment_fixed_size 0
		.amdhsa_kernarg_size 40
		.amdhsa_user_sgpr_count 6
		.amdhsa_user_sgpr_private_segment_buffer 1
		.amdhsa_user_sgpr_dispatch_ptr 0
		.amdhsa_user_sgpr_queue_ptr 0
		.amdhsa_user_sgpr_kernarg_segment_ptr 1
		.amdhsa_user_sgpr_dispatch_id 0
		.amdhsa_user_sgpr_flat_scratch_init 0
		.amdhsa_user_sgpr_kernarg_preload_length 0
		.amdhsa_user_sgpr_kernarg_preload_offset 0
		.amdhsa_user_sgpr_private_segment_size 0
		.amdhsa_uses_dynamic_stack 0
		.amdhsa_system_sgpr_private_segment_wavefront_offset 0
		.amdhsa_system_sgpr_workgroup_id_x 1
		.amdhsa_system_sgpr_workgroup_id_y 0
		.amdhsa_system_sgpr_workgroup_id_z 0
		.amdhsa_system_sgpr_workgroup_info 0
		.amdhsa_system_vgpr_workitem_id 0
		.amdhsa_next_free_vgpr 1
		.amdhsa_next_free_sgpr 0
		.amdhsa_accum_offset 4
		.amdhsa_reserve_vcc 0
		.amdhsa_reserve_flat_scratch 0
		.amdhsa_float_round_mode_32 0
		.amdhsa_float_round_mode_16_64 0
		.amdhsa_float_denorm_mode_32 3
		.amdhsa_float_denorm_mode_16_64 3
		.amdhsa_dx10_clamp 1
		.amdhsa_ieee_mode 1
		.amdhsa_fp16_overflow 0
		.amdhsa_tg_split 0
		.amdhsa_exception_fp_ieee_invalid_op 0
		.amdhsa_exception_fp_denorm_src 0
		.amdhsa_exception_fp_ieee_div_zero 0
		.amdhsa_exception_fp_ieee_overflow 0
		.amdhsa_exception_fp_ieee_underflow 0
		.amdhsa_exception_fp_ieee_inexact 0
		.amdhsa_exception_int_div_zero 0
	.end_amdhsa_kernel
	.section	.text._ZN7rocprim17ROCPRIM_400000_NS6detail17trampoline_kernelINS0_14default_configENS1_25transform_config_selectorIdLb0EEEZNS1_14transform_implILb0ES3_S5_PdN6thrust23THRUST_200600_302600_NS6detail15normal_iteratorINS9_10device_ptrIdEEEENS0_8identityIdEEEE10hipError_tT2_T3_mT4_P12ihipStream_tbEUlT_E_NS1_11comp_targetILNS1_3genE10ELNS1_11target_archE1201ELNS1_3gpuE5ELNS1_3repE0EEENS1_30default_config_static_selectorELNS0_4arch9wavefront6targetE1EEEvT1_,"axG",@progbits,_ZN7rocprim17ROCPRIM_400000_NS6detail17trampoline_kernelINS0_14default_configENS1_25transform_config_selectorIdLb0EEEZNS1_14transform_implILb0ES3_S5_PdN6thrust23THRUST_200600_302600_NS6detail15normal_iteratorINS9_10device_ptrIdEEEENS0_8identityIdEEEE10hipError_tT2_T3_mT4_P12ihipStream_tbEUlT_E_NS1_11comp_targetILNS1_3genE10ELNS1_11target_archE1201ELNS1_3gpuE5ELNS1_3repE0EEENS1_30default_config_static_selectorELNS0_4arch9wavefront6targetE1EEEvT1_,comdat
.Lfunc_end3666:
	.size	_ZN7rocprim17ROCPRIM_400000_NS6detail17trampoline_kernelINS0_14default_configENS1_25transform_config_selectorIdLb0EEEZNS1_14transform_implILb0ES3_S5_PdN6thrust23THRUST_200600_302600_NS6detail15normal_iteratorINS9_10device_ptrIdEEEENS0_8identityIdEEEE10hipError_tT2_T3_mT4_P12ihipStream_tbEUlT_E_NS1_11comp_targetILNS1_3genE10ELNS1_11target_archE1201ELNS1_3gpuE5ELNS1_3repE0EEENS1_30default_config_static_selectorELNS0_4arch9wavefront6targetE1EEEvT1_, .Lfunc_end3666-_ZN7rocprim17ROCPRIM_400000_NS6detail17trampoline_kernelINS0_14default_configENS1_25transform_config_selectorIdLb0EEEZNS1_14transform_implILb0ES3_S5_PdN6thrust23THRUST_200600_302600_NS6detail15normal_iteratorINS9_10device_ptrIdEEEENS0_8identityIdEEEE10hipError_tT2_T3_mT4_P12ihipStream_tbEUlT_E_NS1_11comp_targetILNS1_3genE10ELNS1_11target_archE1201ELNS1_3gpuE5ELNS1_3repE0EEENS1_30default_config_static_selectorELNS0_4arch9wavefront6targetE1EEEvT1_
                                        ; -- End function
	.section	.AMDGPU.csdata,"",@progbits
; Kernel info:
; codeLenInByte = 0
; NumSgprs: 4
; NumVgprs: 0
; NumAgprs: 0
; TotalNumVgprs: 0
; ScratchSize: 0
; MemoryBound: 0
; FloatMode: 240
; IeeeMode: 1
; LDSByteSize: 0 bytes/workgroup (compile time only)
; SGPRBlocks: 0
; VGPRBlocks: 0
; NumSGPRsForWavesPerEU: 4
; NumVGPRsForWavesPerEU: 1
; AccumOffset: 4
; Occupancy: 8
; WaveLimiterHint : 0
; COMPUTE_PGM_RSRC2:SCRATCH_EN: 0
; COMPUTE_PGM_RSRC2:USER_SGPR: 6
; COMPUTE_PGM_RSRC2:TRAP_HANDLER: 0
; COMPUTE_PGM_RSRC2:TGID_X_EN: 1
; COMPUTE_PGM_RSRC2:TGID_Y_EN: 0
; COMPUTE_PGM_RSRC2:TGID_Z_EN: 0
; COMPUTE_PGM_RSRC2:TIDIG_COMP_CNT: 0
; COMPUTE_PGM_RSRC3_GFX90A:ACCUM_OFFSET: 0
; COMPUTE_PGM_RSRC3_GFX90A:TG_SPLIT: 0
	.section	.text._ZN7rocprim17ROCPRIM_400000_NS6detail17trampoline_kernelINS0_14default_configENS1_25transform_config_selectorIdLb0EEEZNS1_14transform_implILb0ES3_S5_PdN6thrust23THRUST_200600_302600_NS6detail15normal_iteratorINS9_10device_ptrIdEEEENS0_8identityIdEEEE10hipError_tT2_T3_mT4_P12ihipStream_tbEUlT_E_NS1_11comp_targetILNS1_3genE10ELNS1_11target_archE1200ELNS1_3gpuE4ELNS1_3repE0EEENS1_30default_config_static_selectorELNS0_4arch9wavefront6targetE1EEEvT1_,"axG",@progbits,_ZN7rocprim17ROCPRIM_400000_NS6detail17trampoline_kernelINS0_14default_configENS1_25transform_config_selectorIdLb0EEEZNS1_14transform_implILb0ES3_S5_PdN6thrust23THRUST_200600_302600_NS6detail15normal_iteratorINS9_10device_ptrIdEEEENS0_8identityIdEEEE10hipError_tT2_T3_mT4_P12ihipStream_tbEUlT_E_NS1_11comp_targetILNS1_3genE10ELNS1_11target_archE1200ELNS1_3gpuE4ELNS1_3repE0EEENS1_30default_config_static_selectorELNS0_4arch9wavefront6targetE1EEEvT1_,comdat
	.protected	_ZN7rocprim17ROCPRIM_400000_NS6detail17trampoline_kernelINS0_14default_configENS1_25transform_config_selectorIdLb0EEEZNS1_14transform_implILb0ES3_S5_PdN6thrust23THRUST_200600_302600_NS6detail15normal_iteratorINS9_10device_ptrIdEEEENS0_8identityIdEEEE10hipError_tT2_T3_mT4_P12ihipStream_tbEUlT_E_NS1_11comp_targetILNS1_3genE10ELNS1_11target_archE1200ELNS1_3gpuE4ELNS1_3repE0EEENS1_30default_config_static_selectorELNS0_4arch9wavefront6targetE1EEEvT1_ ; -- Begin function _ZN7rocprim17ROCPRIM_400000_NS6detail17trampoline_kernelINS0_14default_configENS1_25transform_config_selectorIdLb0EEEZNS1_14transform_implILb0ES3_S5_PdN6thrust23THRUST_200600_302600_NS6detail15normal_iteratorINS9_10device_ptrIdEEEENS0_8identityIdEEEE10hipError_tT2_T3_mT4_P12ihipStream_tbEUlT_E_NS1_11comp_targetILNS1_3genE10ELNS1_11target_archE1200ELNS1_3gpuE4ELNS1_3repE0EEENS1_30default_config_static_selectorELNS0_4arch9wavefront6targetE1EEEvT1_
	.globl	_ZN7rocprim17ROCPRIM_400000_NS6detail17trampoline_kernelINS0_14default_configENS1_25transform_config_selectorIdLb0EEEZNS1_14transform_implILb0ES3_S5_PdN6thrust23THRUST_200600_302600_NS6detail15normal_iteratorINS9_10device_ptrIdEEEENS0_8identityIdEEEE10hipError_tT2_T3_mT4_P12ihipStream_tbEUlT_E_NS1_11comp_targetILNS1_3genE10ELNS1_11target_archE1200ELNS1_3gpuE4ELNS1_3repE0EEENS1_30default_config_static_selectorELNS0_4arch9wavefront6targetE1EEEvT1_
	.p2align	8
	.type	_ZN7rocprim17ROCPRIM_400000_NS6detail17trampoline_kernelINS0_14default_configENS1_25transform_config_selectorIdLb0EEEZNS1_14transform_implILb0ES3_S5_PdN6thrust23THRUST_200600_302600_NS6detail15normal_iteratorINS9_10device_ptrIdEEEENS0_8identityIdEEEE10hipError_tT2_T3_mT4_P12ihipStream_tbEUlT_E_NS1_11comp_targetILNS1_3genE10ELNS1_11target_archE1200ELNS1_3gpuE4ELNS1_3repE0EEENS1_30default_config_static_selectorELNS0_4arch9wavefront6targetE1EEEvT1_,@function
_ZN7rocprim17ROCPRIM_400000_NS6detail17trampoline_kernelINS0_14default_configENS1_25transform_config_selectorIdLb0EEEZNS1_14transform_implILb0ES3_S5_PdN6thrust23THRUST_200600_302600_NS6detail15normal_iteratorINS9_10device_ptrIdEEEENS0_8identityIdEEEE10hipError_tT2_T3_mT4_P12ihipStream_tbEUlT_E_NS1_11comp_targetILNS1_3genE10ELNS1_11target_archE1200ELNS1_3gpuE4ELNS1_3repE0EEENS1_30default_config_static_selectorELNS0_4arch9wavefront6targetE1EEEvT1_: ; @_ZN7rocprim17ROCPRIM_400000_NS6detail17trampoline_kernelINS0_14default_configENS1_25transform_config_selectorIdLb0EEEZNS1_14transform_implILb0ES3_S5_PdN6thrust23THRUST_200600_302600_NS6detail15normal_iteratorINS9_10device_ptrIdEEEENS0_8identityIdEEEE10hipError_tT2_T3_mT4_P12ihipStream_tbEUlT_E_NS1_11comp_targetILNS1_3genE10ELNS1_11target_archE1200ELNS1_3gpuE4ELNS1_3repE0EEENS1_30default_config_static_selectorELNS0_4arch9wavefront6targetE1EEEvT1_
; %bb.0:
	.section	.rodata,"a",@progbits
	.p2align	6, 0x0
	.amdhsa_kernel _ZN7rocprim17ROCPRIM_400000_NS6detail17trampoline_kernelINS0_14default_configENS1_25transform_config_selectorIdLb0EEEZNS1_14transform_implILb0ES3_S5_PdN6thrust23THRUST_200600_302600_NS6detail15normal_iteratorINS9_10device_ptrIdEEEENS0_8identityIdEEEE10hipError_tT2_T3_mT4_P12ihipStream_tbEUlT_E_NS1_11comp_targetILNS1_3genE10ELNS1_11target_archE1200ELNS1_3gpuE4ELNS1_3repE0EEENS1_30default_config_static_selectorELNS0_4arch9wavefront6targetE1EEEvT1_
		.amdhsa_group_segment_fixed_size 0
		.amdhsa_private_segment_fixed_size 0
		.amdhsa_kernarg_size 40
		.amdhsa_user_sgpr_count 6
		.amdhsa_user_sgpr_private_segment_buffer 1
		.amdhsa_user_sgpr_dispatch_ptr 0
		.amdhsa_user_sgpr_queue_ptr 0
		.amdhsa_user_sgpr_kernarg_segment_ptr 1
		.amdhsa_user_sgpr_dispatch_id 0
		.amdhsa_user_sgpr_flat_scratch_init 0
		.amdhsa_user_sgpr_kernarg_preload_length 0
		.amdhsa_user_sgpr_kernarg_preload_offset 0
		.amdhsa_user_sgpr_private_segment_size 0
		.amdhsa_uses_dynamic_stack 0
		.amdhsa_system_sgpr_private_segment_wavefront_offset 0
		.amdhsa_system_sgpr_workgroup_id_x 1
		.amdhsa_system_sgpr_workgroup_id_y 0
		.amdhsa_system_sgpr_workgroup_id_z 0
		.amdhsa_system_sgpr_workgroup_info 0
		.amdhsa_system_vgpr_workitem_id 0
		.amdhsa_next_free_vgpr 1
		.amdhsa_next_free_sgpr 0
		.amdhsa_accum_offset 4
		.amdhsa_reserve_vcc 0
		.amdhsa_reserve_flat_scratch 0
		.amdhsa_float_round_mode_32 0
		.amdhsa_float_round_mode_16_64 0
		.amdhsa_float_denorm_mode_32 3
		.amdhsa_float_denorm_mode_16_64 3
		.amdhsa_dx10_clamp 1
		.amdhsa_ieee_mode 1
		.amdhsa_fp16_overflow 0
		.amdhsa_tg_split 0
		.amdhsa_exception_fp_ieee_invalid_op 0
		.amdhsa_exception_fp_denorm_src 0
		.amdhsa_exception_fp_ieee_div_zero 0
		.amdhsa_exception_fp_ieee_overflow 0
		.amdhsa_exception_fp_ieee_underflow 0
		.amdhsa_exception_fp_ieee_inexact 0
		.amdhsa_exception_int_div_zero 0
	.end_amdhsa_kernel
	.section	.text._ZN7rocprim17ROCPRIM_400000_NS6detail17trampoline_kernelINS0_14default_configENS1_25transform_config_selectorIdLb0EEEZNS1_14transform_implILb0ES3_S5_PdN6thrust23THRUST_200600_302600_NS6detail15normal_iteratorINS9_10device_ptrIdEEEENS0_8identityIdEEEE10hipError_tT2_T3_mT4_P12ihipStream_tbEUlT_E_NS1_11comp_targetILNS1_3genE10ELNS1_11target_archE1200ELNS1_3gpuE4ELNS1_3repE0EEENS1_30default_config_static_selectorELNS0_4arch9wavefront6targetE1EEEvT1_,"axG",@progbits,_ZN7rocprim17ROCPRIM_400000_NS6detail17trampoline_kernelINS0_14default_configENS1_25transform_config_selectorIdLb0EEEZNS1_14transform_implILb0ES3_S5_PdN6thrust23THRUST_200600_302600_NS6detail15normal_iteratorINS9_10device_ptrIdEEEENS0_8identityIdEEEE10hipError_tT2_T3_mT4_P12ihipStream_tbEUlT_E_NS1_11comp_targetILNS1_3genE10ELNS1_11target_archE1200ELNS1_3gpuE4ELNS1_3repE0EEENS1_30default_config_static_selectorELNS0_4arch9wavefront6targetE1EEEvT1_,comdat
.Lfunc_end3667:
	.size	_ZN7rocprim17ROCPRIM_400000_NS6detail17trampoline_kernelINS0_14default_configENS1_25transform_config_selectorIdLb0EEEZNS1_14transform_implILb0ES3_S5_PdN6thrust23THRUST_200600_302600_NS6detail15normal_iteratorINS9_10device_ptrIdEEEENS0_8identityIdEEEE10hipError_tT2_T3_mT4_P12ihipStream_tbEUlT_E_NS1_11comp_targetILNS1_3genE10ELNS1_11target_archE1200ELNS1_3gpuE4ELNS1_3repE0EEENS1_30default_config_static_selectorELNS0_4arch9wavefront6targetE1EEEvT1_, .Lfunc_end3667-_ZN7rocprim17ROCPRIM_400000_NS6detail17trampoline_kernelINS0_14default_configENS1_25transform_config_selectorIdLb0EEEZNS1_14transform_implILb0ES3_S5_PdN6thrust23THRUST_200600_302600_NS6detail15normal_iteratorINS9_10device_ptrIdEEEENS0_8identityIdEEEE10hipError_tT2_T3_mT4_P12ihipStream_tbEUlT_E_NS1_11comp_targetILNS1_3genE10ELNS1_11target_archE1200ELNS1_3gpuE4ELNS1_3repE0EEENS1_30default_config_static_selectorELNS0_4arch9wavefront6targetE1EEEvT1_
                                        ; -- End function
	.section	.AMDGPU.csdata,"",@progbits
; Kernel info:
; codeLenInByte = 0
; NumSgprs: 4
; NumVgprs: 0
; NumAgprs: 0
; TotalNumVgprs: 0
; ScratchSize: 0
; MemoryBound: 0
; FloatMode: 240
; IeeeMode: 1
; LDSByteSize: 0 bytes/workgroup (compile time only)
; SGPRBlocks: 0
; VGPRBlocks: 0
; NumSGPRsForWavesPerEU: 4
; NumVGPRsForWavesPerEU: 1
; AccumOffset: 4
; Occupancy: 8
; WaveLimiterHint : 0
; COMPUTE_PGM_RSRC2:SCRATCH_EN: 0
; COMPUTE_PGM_RSRC2:USER_SGPR: 6
; COMPUTE_PGM_RSRC2:TRAP_HANDLER: 0
; COMPUTE_PGM_RSRC2:TGID_X_EN: 1
; COMPUTE_PGM_RSRC2:TGID_Y_EN: 0
; COMPUTE_PGM_RSRC2:TGID_Z_EN: 0
; COMPUTE_PGM_RSRC2:TIDIG_COMP_CNT: 0
; COMPUTE_PGM_RSRC3_GFX90A:ACCUM_OFFSET: 0
; COMPUTE_PGM_RSRC3_GFX90A:TG_SPLIT: 0
	.section	.text._ZN7rocprim17ROCPRIM_400000_NS6detail17trampoline_kernelINS0_14default_configENS1_25transform_config_selectorIdLb0EEEZNS1_14transform_implILb0ES3_S5_PdN6thrust23THRUST_200600_302600_NS6detail15normal_iteratorINS9_10device_ptrIdEEEENS0_8identityIdEEEE10hipError_tT2_T3_mT4_P12ihipStream_tbEUlT_E_NS1_11comp_targetILNS1_3genE9ELNS1_11target_archE1100ELNS1_3gpuE3ELNS1_3repE0EEENS1_30default_config_static_selectorELNS0_4arch9wavefront6targetE1EEEvT1_,"axG",@progbits,_ZN7rocprim17ROCPRIM_400000_NS6detail17trampoline_kernelINS0_14default_configENS1_25transform_config_selectorIdLb0EEEZNS1_14transform_implILb0ES3_S5_PdN6thrust23THRUST_200600_302600_NS6detail15normal_iteratorINS9_10device_ptrIdEEEENS0_8identityIdEEEE10hipError_tT2_T3_mT4_P12ihipStream_tbEUlT_E_NS1_11comp_targetILNS1_3genE9ELNS1_11target_archE1100ELNS1_3gpuE3ELNS1_3repE0EEENS1_30default_config_static_selectorELNS0_4arch9wavefront6targetE1EEEvT1_,comdat
	.protected	_ZN7rocprim17ROCPRIM_400000_NS6detail17trampoline_kernelINS0_14default_configENS1_25transform_config_selectorIdLb0EEEZNS1_14transform_implILb0ES3_S5_PdN6thrust23THRUST_200600_302600_NS6detail15normal_iteratorINS9_10device_ptrIdEEEENS0_8identityIdEEEE10hipError_tT2_T3_mT4_P12ihipStream_tbEUlT_E_NS1_11comp_targetILNS1_3genE9ELNS1_11target_archE1100ELNS1_3gpuE3ELNS1_3repE0EEENS1_30default_config_static_selectorELNS0_4arch9wavefront6targetE1EEEvT1_ ; -- Begin function _ZN7rocprim17ROCPRIM_400000_NS6detail17trampoline_kernelINS0_14default_configENS1_25transform_config_selectorIdLb0EEEZNS1_14transform_implILb0ES3_S5_PdN6thrust23THRUST_200600_302600_NS6detail15normal_iteratorINS9_10device_ptrIdEEEENS0_8identityIdEEEE10hipError_tT2_T3_mT4_P12ihipStream_tbEUlT_E_NS1_11comp_targetILNS1_3genE9ELNS1_11target_archE1100ELNS1_3gpuE3ELNS1_3repE0EEENS1_30default_config_static_selectorELNS0_4arch9wavefront6targetE1EEEvT1_
	.globl	_ZN7rocprim17ROCPRIM_400000_NS6detail17trampoline_kernelINS0_14default_configENS1_25transform_config_selectorIdLb0EEEZNS1_14transform_implILb0ES3_S5_PdN6thrust23THRUST_200600_302600_NS6detail15normal_iteratorINS9_10device_ptrIdEEEENS0_8identityIdEEEE10hipError_tT2_T3_mT4_P12ihipStream_tbEUlT_E_NS1_11comp_targetILNS1_3genE9ELNS1_11target_archE1100ELNS1_3gpuE3ELNS1_3repE0EEENS1_30default_config_static_selectorELNS0_4arch9wavefront6targetE1EEEvT1_
	.p2align	8
	.type	_ZN7rocprim17ROCPRIM_400000_NS6detail17trampoline_kernelINS0_14default_configENS1_25transform_config_selectorIdLb0EEEZNS1_14transform_implILb0ES3_S5_PdN6thrust23THRUST_200600_302600_NS6detail15normal_iteratorINS9_10device_ptrIdEEEENS0_8identityIdEEEE10hipError_tT2_T3_mT4_P12ihipStream_tbEUlT_E_NS1_11comp_targetILNS1_3genE9ELNS1_11target_archE1100ELNS1_3gpuE3ELNS1_3repE0EEENS1_30default_config_static_selectorELNS0_4arch9wavefront6targetE1EEEvT1_,@function
_ZN7rocprim17ROCPRIM_400000_NS6detail17trampoline_kernelINS0_14default_configENS1_25transform_config_selectorIdLb0EEEZNS1_14transform_implILb0ES3_S5_PdN6thrust23THRUST_200600_302600_NS6detail15normal_iteratorINS9_10device_ptrIdEEEENS0_8identityIdEEEE10hipError_tT2_T3_mT4_P12ihipStream_tbEUlT_E_NS1_11comp_targetILNS1_3genE9ELNS1_11target_archE1100ELNS1_3gpuE3ELNS1_3repE0EEENS1_30default_config_static_selectorELNS0_4arch9wavefront6targetE1EEEvT1_: ; @_ZN7rocprim17ROCPRIM_400000_NS6detail17trampoline_kernelINS0_14default_configENS1_25transform_config_selectorIdLb0EEEZNS1_14transform_implILb0ES3_S5_PdN6thrust23THRUST_200600_302600_NS6detail15normal_iteratorINS9_10device_ptrIdEEEENS0_8identityIdEEEE10hipError_tT2_T3_mT4_P12ihipStream_tbEUlT_E_NS1_11comp_targetILNS1_3genE9ELNS1_11target_archE1100ELNS1_3gpuE3ELNS1_3repE0EEENS1_30default_config_static_selectorELNS0_4arch9wavefront6targetE1EEEvT1_
; %bb.0:
	.section	.rodata,"a",@progbits
	.p2align	6, 0x0
	.amdhsa_kernel _ZN7rocprim17ROCPRIM_400000_NS6detail17trampoline_kernelINS0_14default_configENS1_25transform_config_selectorIdLb0EEEZNS1_14transform_implILb0ES3_S5_PdN6thrust23THRUST_200600_302600_NS6detail15normal_iteratorINS9_10device_ptrIdEEEENS0_8identityIdEEEE10hipError_tT2_T3_mT4_P12ihipStream_tbEUlT_E_NS1_11comp_targetILNS1_3genE9ELNS1_11target_archE1100ELNS1_3gpuE3ELNS1_3repE0EEENS1_30default_config_static_selectorELNS0_4arch9wavefront6targetE1EEEvT1_
		.amdhsa_group_segment_fixed_size 0
		.amdhsa_private_segment_fixed_size 0
		.amdhsa_kernarg_size 40
		.amdhsa_user_sgpr_count 6
		.amdhsa_user_sgpr_private_segment_buffer 1
		.amdhsa_user_sgpr_dispatch_ptr 0
		.amdhsa_user_sgpr_queue_ptr 0
		.amdhsa_user_sgpr_kernarg_segment_ptr 1
		.amdhsa_user_sgpr_dispatch_id 0
		.amdhsa_user_sgpr_flat_scratch_init 0
		.amdhsa_user_sgpr_kernarg_preload_length 0
		.amdhsa_user_sgpr_kernarg_preload_offset 0
		.amdhsa_user_sgpr_private_segment_size 0
		.amdhsa_uses_dynamic_stack 0
		.amdhsa_system_sgpr_private_segment_wavefront_offset 0
		.amdhsa_system_sgpr_workgroup_id_x 1
		.amdhsa_system_sgpr_workgroup_id_y 0
		.amdhsa_system_sgpr_workgroup_id_z 0
		.amdhsa_system_sgpr_workgroup_info 0
		.amdhsa_system_vgpr_workitem_id 0
		.amdhsa_next_free_vgpr 1
		.amdhsa_next_free_sgpr 0
		.amdhsa_accum_offset 4
		.amdhsa_reserve_vcc 0
		.amdhsa_reserve_flat_scratch 0
		.amdhsa_float_round_mode_32 0
		.amdhsa_float_round_mode_16_64 0
		.amdhsa_float_denorm_mode_32 3
		.amdhsa_float_denorm_mode_16_64 3
		.amdhsa_dx10_clamp 1
		.amdhsa_ieee_mode 1
		.amdhsa_fp16_overflow 0
		.amdhsa_tg_split 0
		.amdhsa_exception_fp_ieee_invalid_op 0
		.amdhsa_exception_fp_denorm_src 0
		.amdhsa_exception_fp_ieee_div_zero 0
		.amdhsa_exception_fp_ieee_overflow 0
		.amdhsa_exception_fp_ieee_underflow 0
		.amdhsa_exception_fp_ieee_inexact 0
		.amdhsa_exception_int_div_zero 0
	.end_amdhsa_kernel
	.section	.text._ZN7rocprim17ROCPRIM_400000_NS6detail17trampoline_kernelINS0_14default_configENS1_25transform_config_selectorIdLb0EEEZNS1_14transform_implILb0ES3_S5_PdN6thrust23THRUST_200600_302600_NS6detail15normal_iteratorINS9_10device_ptrIdEEEENS0_8identityIdEEEE10hipError_tT2_T3_mT4_P12ihipStream_tbEUlT_E_NS1_11comp_targetILNS1_3genE9ELNS1_11target_archE1100ELNS1_3gpuE3ELNS1_3repE0EEENS1_30default_config_static_selectorELNS0_4arch9wavefront6targetE1EEEvT1_,"axG",@progbits,_ZN7rocprim17ROCPRIM_400000_NS6detail17trampoline_kernelINS0_14default_configENS1_25transform_config_selectorIdLb0EEEZNS1_14transform_implILb0ES3_S5_PdN6thrust23THRUST_200600_302600_NS6detail15normal_iteratorINS9_10device_ptrIdEEEENS0_8identityIdEEEE10hipError_tT2_T3_mT4_P12ihipStream_tbEUlT_E_NS1_11comp_targetILNS1_3genE9ELNS1_11target_archE1100ELNS1_3gpuE3ELNS1_3repE0EEENS1_30default_config_static_selectorELNS0_4arch9wavefront6targetE1EEEvT1_,comdat
.Lfunc_end3668:
	.size	_ZN7rocprim17ROCPRIM_400000_NS6detail17trampoline_kernelINS0_14default_configENS1_25transform_config_selectorIdLb0EEEZNS1_14transform_implILb0ES3_S5_PdN6thrust23THRUST_200600_302600_NS6detail15normal_iteratorINS9_10device_ptrIdEEEENS0_8identityIdEEEE10hipError_tT2_T3_mT4_P12ihipStream_tbEUlT_E_NS1_11comp_targetILNS1_3genE9ELNS1_11target_archE1100ELNS1_3gpuE3ELNS1_3repE0EEENS1_30default_config_static_selectorELNS0_4arch9wavefront6targetE1EEEvT1_, .Lfunc_end3668-_ZN7rocprim17ROCPRIM_400000_NS6detail17trampoline_kernelINS0_14default_configENS1_25transform_config_selectorIdLb0EEEZNS1_14transform_implILb0ES3_S5_PdN6thrust23THRUST_200600_302600_NS6detail15normal_iteratorINS9_10device_ptrIdEEEENS0_8identityIdEEEE10hipError_tT2_T3_mT4_P12ihipStream_tbEUlT_E_NS1_11comp_targetILNS1_3genE9ELNS1_11target_archE1100ELNS1_3gpuE3ELNS1_3repE0EEENS1_30default_config_static_selectorELNS0_4arch9wavefront6targetE1EEEvT1_
                                        ; -- End function
	.section	.AMDGPU.csdata,"",@progbits
; Kernel info:
; codeLenInByte = 0
; NumSgprs: 4
; NumVgprs: 0
; NumAgprs: 0
; TotalNumVgprs: 0
; ScratchSize: 0
; MemoryBound: 0
; FloatMode: 240
; IeeeMode: 1
; LDSByteSize: 0 bytes/workgroup (compile time only)
; SGPRBlocks: 0
; VGPRBlocks: 0
; NumSGPRsForWavesPerEU: 4
; NumVGPRsForWavesPerEU: 1
; AccumOffset: 4
; Occupancy: 8
; WaveLimiterHint : 0
; COMPUTE_PGM_RSRC2:SCRATCH_EN: 0
; COMPUTE_PGM_RSRC2:USER_SGPR: 6
; COMPUTE_PGM_RSRC2:TRAP_HANDLER: 0
; COMPUTE_PGM_RSRC2:TGID_X_EN: 1
; COMPUTE_PGM_RSRC2:TGID_Y_EN: 0
; COMPUTE_PGM_RSRC2:TGID_Z_EN: 0
; COMPUTE_PGM_RSRC2:TIDIG_COMP_CNT: 0
; COMPUTE_PGM_RSRC3_GFX90A:ACCUM_OFFSET: 0
; COMPUTE_PGM_RSRC3_GFX90A:TG_SPLIT: 0
	.section	.text._ZN7rocprim17ROCPRIM_400000_NS6detail17trampoline_kernelINS0_14default_configENS1_25transform_config_selectorIdLb0EEEZNS1_14transform_implILb0ES3_S5_PdN6thrust23THRUST_200600_302600_NS6detail15normal_iteratorINS9_10device_ptrIdEEEENS0_8identityIdEEEE10hipError_tT2_T3_mT4_P12ihipStream_tbEUlT_E_NS1_11comp_targetILNS1_3genE8ELNS1_11target_archE1030ELNS1_3gpuE2ELNS1_3repE0EEENS1_30default_config_static_selectorELNS0_4arch9wavefront6targetE1EEEvT1_,"axG",@progbits,_ZN7rocprim17ROCPRIM_400000_NS6detail17trampoline_kernelINS0_14default_configENS1_25transform_config_selectorIdLb0EEEZNS1_14transform_implILb0ES3_S5_PdN6thrust23THRUST_200600_302600_NS6detail15normal_iteratorINS9_10device_ptrIdEEEENS0_8identityIdEEEE10hipError_tT2_T3_mT4_P12ihipStream_tbEUlT_E_NS1_11comp_targetILNS1_3genE8ELNS1_11target_archE1030ELNS1_3gpuE2ELNS1_3repE0EEENS1_30default_config_static_selectorELNS0_4arch9wavefront6targetE1EEEvT1_,comdat
	.protected	_ZN7rocprim17ROCPRIM_400000_NS6detail17trampoline_kernelINS0_14default_configENS1_25transform_config_selectorIdLb0EEEZNS1_14transform_implILb0ES3_S5_PdN6thrust23THRUST_200600_302600_NS6detail15normal_iteratorINS9_10device_ptrIdEEEENS0_8identityIdEEEE10hipError_tT2_T3_mT4_P12ihipStream_tbEUlT_E_NS1_11comp_targetILNS1_3genE8ELNS1_11target_archE1030ELNS1_3gpuE2ELNS1_3repE0EEENS1_30default_config_static_selectorELNS0_4arch9wavefront6targetE1EEEvT1_ ; -- Begin function _ZN7rocprim17ROCPRIM_400000_NS6detail17trampoline_kernelINS0_14default_configENS1_25transform_config_selectorIdLb0EEEZNS1_14transform_implILb0ES3_S5_PdN6thrust23THRUST_200600_302600_NS6detail15normal_iteratorINS9_10device_ptrIdEEEENS0_8identityIdEEEE10hipError_tT2_T3_mT4_P12ihipStream_tbEUlT_E_NS1_11comp_targetILNS1_3genE8ELNS1_11target_archE1030ELNS1_3gpuE2ELNS1_3repE0EEENS1_30default_config_static_selectorELNS0_4arch9wavefront6targetE1EEEvT1_
	.globl	_ZN7rocprim17ROCPRIM_400000_NS6detail17trampoline_kernelINS0_14default_configENS1_25transform_config_selectorIdLb0EEEZNS1_14transform_implILb0ES3_S5_PdN6thrust23THRUST_200600_302600_NS6detail15normal_iteratorINS9_10device_ptrIdEEEENS0_8identityIdEEEE10hipError_tT2_T3_mT4_P12ihipStream_tbEUlT_E_NS1_11comp_targetILNS1_3genE8ELNS1_11target_archE1030ELNS1_3gpuE2ELNS1_3repE0EEENS1_30default_config_static_selectorELNS0_4arch9wavefront6targetE1EEEvT1_
	.p2align	8
	.type	_ZN7rocprim17ROCPRIM_400000_NS6detail17trampoline_kernelINS0_14default_configENS1_25transform_config_selectorIdLb0EEEZNS1_14transform_implILb0ES3_S5_PdN6thrust23THRUST_200600_302600_NS6detail15normal_iteratorINS9_10device_ptrIdEEEENS0_8identityIdEEEE10hipError_tT2_T3_mT4_P12ihipStream_tbEUlT_E_NS1_11comp_targetILNS1_3genE8ELNS1_11target_archE1030ELNS1_3gpuE2ELNS1_3repE0EEENS1_30default_config_static_selectorELNS0_4arch9wavefront6targetE1EEEvT1_,@function
_ZN7rocprim17ROCPRIM_400000_NS6detail17trampoline_kernelINS0_14default_configENS1_25transform_config_selectorIdLb0EEEZNS1_14transform_implILb0ES3_S5_PdN6thrust23THRUST_200600_302600_NS6detail15normal_iteratorINS9_10device_ptrIdEEEENS0_8identityIdEEEE10hipError_tT2_T3_mT4_P12ihipStream_tbEUlT_E_NS1_11comp_targetILNS1_3genE8ELNS1_11target_archE1030ELNS1_3gpuE2ELNS1_3repE0EEENS1_30default_config_static_selectorELNS0_4arch9wavefront6targetE1EEEvT1_: ; @_ZN7rocprim17ROCPRIM_400000_NS6detail17trampoline_kernelINS0_14default_configENS1_25transform_config_selectorIdLb0EEEZNS1_14transform_implILb0ES3_S5_PdN6thrust23THRUST_200600_302600_NS6detail15normal_iteratorINS9_10device_ptrIdEEEENS0_8identityIdEEEE10hipError_tT2_T3_mT4_P12ihipStream_tbEUlT_E_NS1_11comp_targetILNS1_3genE8ELNS1_11target_archE1030ELNS1_3gpuE2ELNS1_3repE0EEENS1_30default_config_static_selectorELNS0_4arch9wavefront6targetE1EEEvT1_
; %bb.0:
	.section	.rodata,"a",@progbits
	.p2align	6, 0x0
	.amdhsa_kernel _ZN7rocprim17ROCPRIM_400000_NS6detail17trampoline_kernelINS0_14default_configENS1_25transform_config_selectorIdLb0EEEZNS1_14transform_implILb0ES3_S5_PdN6thrust23THRUST_200600_302600_NS6detail15normal_iteratorINS9_10device_ptrIdEEEENS0_8identityIdEEEE10hipError_tT2_T3_mT4_P12ihipStream_tbEUlT_E_NS1_11comp_targetILNS1_3genE8ELNS1_11target_archE1030ELNS1_3gpuE2ELNS1_3repE0EEENS1_30default_config_static_selectorELNS0_4arch9wavefront6targetE1EEEvT1_
		.amdhsa_group_segment_fixed_size 0
		.amdhsa_private_segment_fixed_size 0
		.amdhsa_kernarg_size 40
		.amdhsa_user_sgpr_count 6
		.amdhsa_user_sgpr_private_segment_buffer 1
		.amdhsa_user_sgpr_dispatch_ptr 0
		.amdhsa_user_sgpr_queue_ptr 0
		.amdhsa_user_sgpr_kernarg_segment_ptr 1
		.amdhsa_user_sgpr_dispatch_id 0
		.amdhsa_user_sgpr_flat_scratch_init 0
		.amdhsa_user_sgpr_kernarg_preload_length 0
		.amdhsa_user_sgpr_kernarg_preload_offset 0
		.amdhsa_user_sgpr_private_segment_size 0
		.amdhsa_uses_dynamic_stack 0
		.amdhsa_system_sgpr_private_segment_wavefront_offset 0
		.amdhsa_system_sgpr_workgroup_id_x 1
		.amdhsa_system_sgpr_workgroup_id_y 0
		.amdhsa_system_sgpr_workgroup_id_z 0
		.amdhsa_system_sgpr_workgroup_info 0
		.amdhsa_system_vgpr_workitem_id 0
		.amdhsa_next_free_vgpr 1
		.amdhsa_next_free_sgpr 0
		.amdhsa_accum_offset 4
		.amdhsa_reserve_vcc 0
		.amdhsa_reserve_flat_scratch 0
		.amdhsa_float_round_mode_32 0
		.amdhsa_float_round_mode_16_64 0
		.amdhsa_float_denorm_mode_32 3
		.amdhsa_float_denorm_mode_16_64 3
		.amdhsa_dx10_clamp 1
		.amdhsa_ieee_mode 1
		.amdhsa_fp16_overflow 0
		.amdhsa_tg_split 0
		.amdhsa_exception_fp_ieee_invalid_op 0
		.amdhsa_exception_fp_denorm_src 0
		.amdhsa_exception_fp_ieee_div_zero 0
		.amdhsa_exception_fp_ieee_overflow 0
		.amdhsa_exception_fp_ieee_underflow 0
		.amdhsa_exception_fp_ieee_inexact 0
		.amdhsa_exception_int_div_zero 0
	.end_amdhsa_kernel
	.section	.text._ZN7rocprim17ROCPRIM_400000_NS6detail17trampoline_kernelINS0_14default_configENS1_25transform_config_selectorIdLb0EEEZNS1_14transform_implILb0ES3_S5_PdN6thrust23THRUST_200600_302600_NS6detail15normal_iteratorINS9_10device_ptrIdEEEENS0_8identityIdEEEE10hipError_tT2_T3_mT4_P12ihipStream_tbEUlT_E_NS1_11comp_targetILNS1_3genE8ELNS1_11target_archE1030ELNS1_3gpuE2ELNS1_3repE0EEENS1_30default_config_static_selectorELNS0_4arch9wavefront6targetE1EEEvT1_,"axG",@progbits,_ZN7rocprim17ROCPRIM_400000_NS6detail17trampoline_kernelINS0_14default_configENS1_25transform_config_selectorIdLb0EEEZNS1_14transform_implILb0ES3_S5_PdN6thrust23THRUST_200600_302600_NS6detail15normal_iteratorINS9_10device_ptrIdEEEENS0_8identityIdEEEE10hipError_tT2_T3_mT4_P12ihipStream_tbEUlT_E_NS1_11comp_targetILNS1_3genE8ELNS1_11target_archE1030ELNS1_3gpuE2ELNS1_3repE0EEENS1_30default_config_static_selectorELNS0_4arch9wavefront6targetE1EEEvT1_,comdat
.Lfunc_end3669:
	.size	_ZN7rocprim17ROCPRIM_400000_NS6detail17trampoline_kernelINS0_14default_configENS1_25transform_config_selectorIdLb0EEEZNS1_14transform_implILb0ES3_S5_PdN6thrust23THRUST_200600_302600_NS6detail15normal_iteratorINS9_10device_ptrIdEEEENS0_8identityIdEEEE10hipError_tT2_T3_mT4_P12ihipStream_tbEUlT_E_NS1_11comp_targetILNS1_3genE8ELNS1_11target_archE1030ELNS1_3gpuE2ELNS1_3repE0EEENS1_30default_config_static_selectorELNS0_4arch9wavefront6targetE1EEEvT1_, .Lfunc_end3669-_ZN7rocprim17ROCPRIM_400000_NS6detail17trampoline_kernelINS0_14default_configENS1_25transform_config_selectorIdLb0EEEZNS1_14transform_implILb0ES3_S5_PdN6thrust23THRUST_200600_302600_NS6detail15normal_iteratorINS9_10device_ptrIdEEEENS0_8identityIdEEEE10hipError_tT2_T3_mT4_P12ihipStream_tbEUlT_E_NS1_11comp_targetILNS1_3genE8ELNS1_11target_archE1030ELNS1_3gpuE2ELNS1_3repE0EEENS1_30default_config_static_selectorELNS0_4arch9wavefront6targetE1EEEvT1_
                                        ; -- End function
	.section	.AMDGPU.csdata,"",@progbits
; Kernel info:
; codeLenInByte = 0
; NumSgprs: 4
; NumVgprs: 0
; NumAgprs: 0
; TotalNumVgprs: 0
; ScratchSize: 0
; MemoryBound: 0
; FloatMode: 240
; IeeeMode: 1
; LDSByteSize: 0 bytes/workgroup (compile time only)
; SGPRBlocks: 0
; VGPRBlocks: 0
; NumSGPRsForWavesPerEU: 4
; NumVGPRsForWavesPerEU: 1
; AccumOffset: 4
; Occupancy: 8
; WaveLimiterHint : 0
; COMPUTE_PGM_RSRC2:SCRATCH_EN: 0
; COMPUTE_PGM_RSRC2:USER_SGPR: 6
; COMPUTE_PGM_RSRC2:TRAP_HANDLER: 0
; COMPUTE_PGM_RSRC2:TGID_X_EN: 1
; COMPUTE_PGM_RSRC2:TGID_Y_EN: 0
; COMPUTE_PGM_RSRC2:TGID_Z_EN: 0
; COMPUTE_PGM_RSRC2:TIDIG_COMP_CNT: 0
; COMPUTE_PGM_RSRC3_GFX90A:ACCUM_OFFSET: 0
; COMPUTE_PGM_RSRC3_GFX90A:TG_SPLIT: 0
	.section	.text._ZN7rocprim17ROCPRIM_400000_NS6detail17trampoline_kernelINS0_14default_configENS1_37merge_sort_block_sort_config_selectorI14custom_numericNS0_10empty_typeEEEZNS1_21merge_sort_block_sortIS3_N6thrust23THRUST_200600_302600_NS6detail15normal_iteratorINSA_10device_ptrIS5_EEEESF_PS6_SG_14custom_greaterIS5_EEE10hipError_tT0_T1_T2_T3_mRjT4_P12ihipStream_tbNS1_7vsmem_tEEUlT_E_NS1_11comp_targetILNS1_3genE0ELNS1_11target_archE4294967295ELNS1_3gpuE0ELNS1_3repE0EEENS1_30default_config_static_selectorELNS0_4arch9wavefront6targetE1EEEvSL_,"axG",@progbits,_ZN7rocprim17ROCPRIM_400000_NS6detail17trampoline_kernelINS0_14default_configENS1_37merge_sort_block_sort_config_selectorI14custom_numericNS0_10empty_typeEEEZNS1_21merge_sort_block_sortIS3_N6thrust23THRUST_200600_302600_NS6detail15normal_iteratorINSA_10device_ptrIS5_EEEESF_PS6_SG_14custom_greaterIS5_EEE10hipError_tT0_T1_T2_T3_mRjT4_P12ihipStream_tbNS1_7vsmem_tEEUlT_E_NS1_11comp_targetILNS1_3genE0ELNS1_11target_archE4294967295ELNS1_3gpuE0ELNS1_3repE0EEENS1_30default_config_static_selectorELNS0_4arch9wavefront6targetE1EEEvSL_,comdat
	.protected	_ZN7rocprim17ROCPRIM_400000_NS6detail17trampoline_kernelINS0_14default_configENS1_37merge_sort_block_sort_config_selectorI14custom_numericNS0_10empty_typeEEEZNS1_21merge_sort_block_sortIS3_N6thrust23THRUST_200600_302600_NS6detail15normal_iteratorINSA_10device_ptrIS5_EEEESF_PS6_SG_14custom_greaterIS5_EEE10hipError_tT0_T1_T2_T3_mRjT4_P12ihipStream_tbNS1_7vsmem_tEEUlT_E_NS1_11comp_targetILNS1_3genE0ELNS1_11target_archE4294967295ELNS1_3gpuE0ELNS1_3repE0EEENS1_30default_config_static_selectorELNS0_4arch9wavefront6targetE1EEEvSL_ ; -- Begin function _ZN7rocprim17ROCPRIM_400000_NS6detail17trampoline_kernelINS0_14default_configENS1_37merge_sort_block_sort_config_selectorI14custom_numericNS0_10empty_typeEEEZNS1_21merge_sort_block_sortIS3_N6thrust23THRUST_200600_302600_NS6detail15normal_iteratorINSA_10device_ptrIS5_EEEESF_PS6_SG_14custom_greaterIS5_EEE10hipError_tT0_T1_T2_T3_mRjT4_P12ihipStream_tbNS1_7vsmem_tEEUlT_E_NS1_11comp_targetILNS1_3genE0ELNS1_11target_archE4294967295ELNS1_3gpuE0ELNS1_3repE0EEENS1_30default_config_static_selectorELNS0_4arch9wavefront6targetE1EEEvSL_
	.globl	_ZN7rocprim17ROCPRIM_400000_NS6detail17trampoline_kernelINS0_14default_configENS1_37merge_sort_block_sort_config_selectorI14custom_numericNS0_10empty_typeEEEZNS1_21merge_sort_block_sortIS3_N6thrust23THRUST_200600_302600_NS6detail15normal_iteratorINSA_10device_ptrIS5_EEEESF_PS6_SG_14custom_greaterIS5_EEE10hipError_tT0_T1_T2_T3_mRjT4_P12ihipStream_tbNS1_7vsmem_tEEUlT_E_NS1_11comp_targetILNS1_3genE0ELNS1_11target_archE4294967295ELNS1_3gpuE0ELNS1_3repE0EEENS1_30default_config_static_selectorELNS0_4arch9wavefront6targetE1EEEvSL_
	.p2align	8
	.type	_ZN7rocprim17ROCPRIM_400000_NS6detail17trampoline_kernelINS0_14default_configENS1_37merge_sort_block_sort_config_selectorI14custom_numericNS0_10empty_typeEEEZNS1_21merge_sort_block_sortIS3_N6thrust23THRUST_200600_302600_NS6detail15normal_iteratorINSA_10device_ptrIS5_EEEESF_PS6_SG_14custom_greaterIS5_EEE10hipError_tT0_T1_T2_T3_mRjT4_P12ihipStream_tbNS1_7vsmem_tEEUlT_E_NS1_11comp_targetILNS1_3genE0ELNS1_11target_archE4294967295ELNS1_3gpuE0ELNS1_3repE0EEENS1_30default_config_static_selectorELNS0_4arch9wavefront6targetE1EEEvSL_,@function
_ZN7rocprim17ROCPRIM_400000_NS6detail17trampoline_kernelINS0_14default_configENS1_37merge_sort_block_sort_config_selectorI14custom_numericNS0_10empty_typeEEEZNS1_21merge_sort_block_sortIS3_N6thrust23THRUST_200600_302600_NS6detail15normal_iteratorINSA_10device_ptrIS5_EEEESF_PS6_SG_14custom_greaterIS5_EEE10hipError_tT0_T1_T2_T3_mRjT4_P12ihipStream_tbNS1_7vsmem_tEEUlT_E_NS1_11comp_targetILNS1_3genE0ELNS1_11target_archE4294967295ELNS1_3gpuE0ELNS1_3repE0EEENS1_30default_config_static_selectorELNS0_4arch9wavefront6targetE1EEEvSL_: ; @_ZN7rocprim17ROCPRIM_400000_NS6detail17trampoline_kernelINS0_14default_configENS1_37merge_sort_block_sort_config_selectorI14custom_numericNS0_10empty_typeEEEZNS1_21merge_sort_block_sortIS3_N6thrust23THRUST_200600_302600_NS6detail15normal_iteratorINSA_10device_ptrIS5_EEEESF_PS6_SG_14custom_greaterIS5_EEE10hipError_tT0_T1_T2_T3_mRjT4_P12ihipStream_tbNS1_7vsmem_tEEUlT_E_NS1_11comp_targetILNS1_3genE0ELNS1_11target_archE4294967295ELNS1_3gpuE0ELNS1_3repE0EEENS1_30default_config_static_selectorELNS0_4arch9wavefront6targetE1EEEvSL_
; %bb.0:
	.section	.rodata,"a",@progbits
	.p2align	6, 0x0
	.amdhsa_kernel _ZN7rocprim17ROCPRIM_400000_NS6detail17trampoline_kernelINS0_14default_configENS1_37merge_sort_block_sort_config_selectorI14custom_numericNS0_10empty_typeEEEZNS1_21merge_sort_block_sortIS3_N6thrust23THRUST_200600_302600_NS6detail15normal_iteratorINSA_10device_ptrIS5_EEEESF_PS6_SG_14custom_greaterIS5_EEE10hipError_tT0_T1_T2_T3_mRjT4_P12ihipStream_tbNS1_7vsmem_tEEUlT_E_NS1_11comp_targetILNS1_3genE0ELNS1_11target_archE4294967295ELNS1_3gpuE0ELNS1_3repE0EEENS1_30default_config_static_selectorELNS0_4arch9wavefront6targetE1EEEvSL_
		.amdhsa_group_segment_fixed_size 0
		.amdhsa_private_segment_fixed_size 0
		.amdhsa_kernarg_size 64
		.amdhsa_user_sgpr_count 6
		.amdhsa_user_sgpr_private_segment_buffer 1
		.amdhsa_user_sgpr_dispatch_ptr 0
		.amdhsa_user_sgpr_queue_ptr 0
		.amdhsa_user_sgpr_kernarg_segment_ptr 1
		.amdhsa_user_sgpr_dispatch_id 0
		.amdhsa_user_sgpr_flat_scratch_init 0
		.amdhsa_user_sgpr_kernarg_preload_length 0
		.amdhsa_user_sgpr_kernarg_preload_offset 0
		.amdhsa_user_sgpr_private_segment_size 0
		.amdhsa_uses_dynamic_stack 0
		.amdhsa_system_sgpr_private_segment_wavefront_offset 0
		.amdhsa_system_sgpr_workgroup_id_x 1
		.amdhsa_system_sgpr_workgroup_id_y 0
		.amdhsa_system_sgpr_workgroup_id_z 0
		.amdhsa_system_sgpr_workgroup_info 0
		.amdhsa_system_vgpr_workitem_id 0
		.amdhsa_next_free_vgpr 1
		.amdhsa_next_free_sgpr 0
		.amdhsa_accum_offset 4
		.amdhsa_reserve_vcc 0
		.amdhsa_reserve_flat_scratch 0
		.amdhsa_float_round_mode_32 0
		.amdhsa_float_round_mode_16_64 0
		.amdhsa_float_denorm_mode_32 3
		.amdhsa_float_denorm_mode_16_64 3
		.amdhsa_dx10_clamp 1
		.amdhsa_ieee_mode 1
		.amdhsa_fp16_overflow 0
		.amdhsa_tg_split 0
		.amdhsa_exception_fp_ieee_invalid_op 0
		.amdhsa_exception_fp_denorm_src 0
		.amdhsa_exception_fp_ieee_div_zero 0
		.amdhsa_exception_fp_ieee_overflow 0
		.amdhsa_exception_fp_ieee_underflow 0
		.amdhsa_exception_fp_ieee_inexact 0
		.amdhsa_exception_int_div_zero 0
	.end_amdhsa_kernel
	.section	.text._ZN7rocprim17ROCPRIM_400000_NS6detail17trampoline_kernelINS0_14default_configENS1_37merge_sort_block_sort_config_selectorI14custom_numericNS0_10empty_typeEEEZNS1_21merge_sort_block_sortIS3_N6thrust23THRUST_200600_302600_NS6detail15normal_iteratorINSA_10device_ptrIS5_EEEESF_PS6_SG_14custom_greaterIS5_EEE10hipError_tT0_T1_T2_T3_mRjT4_P12ihipStream_tbNS1_7vsmem_tEEUlT_E_NS1_11comp_targetILNS1_3genE0ELNS1_11target_archE4294967295ELNS1_3gpuE0ELNS1_3repE0EEENS1_30default_config_static_selectorELNS0_4arch9wavefront6targetE1EEEvSL_,"axG",@progbits,_ZN7rocprim17ROCPRIM_400000_NS6detail17trampoline_kernelINS0_14default_configENS1_37merge_sort_block_sort_config_selectorI14custom_numericNS0_10empty_typeEEEZNS1_21merge_sort_block_sortIS3_N6thrust23THRUST_200600_302600_NS6detail15normal_iteratorINSA_10device_ptrIS5_EEEESF_PS6_SG_14custom_greaterIS5_EEE10hipError_tT0_T1_T2_T3_mRjT4_P12ihipStream_tbNS1_7vsmem_tEEUlT_E_NS1_11comp_targetILNS1_3genE0ELNS1_11target_archE4294967295ELNS1_3gpuE0ELNS1_3repE0EEENS1_30default_config_static_selectorELNS0_4arch9wavefront6targetE1EEEvSL_,comdat
.Lfunc_end3670:
	.size	_ZN7rocprim17ROCPRIM_400000_NS6detail17trampoline_kernelINS0_14default_configENS1_37merge_sort_block_sort_config_selectorI14custom_numericNS0_10empty_typeEEEZNS1_21merge_sort_block_sortIS3_N6thrust23THRUST_200600_302600_NS6detail15normal_iteratorINSA_10device_ptrIS5_EEEESF_PS6_SG_14custom_greaterIS5_EEE10hipError_tT0_T1_T2_T3_mRjT4_P12ihipStream_tbNS1_7vsmem_tEEUlT_E_NS1_11comp_targetILNS1_3genE0ELNS1_11target_archE4294967295ELNS1_3gpuE0ELNS1_3repE0EEENS1_30default_config_static_selectorELNS0_4arch9wavefront6targetE1EEEvSL_, .Lfunc_end3670-_ZN7rocprim17ROCPRIM_400000_NS6detail17trampoline_kernelINS0_14default_configENS1_37merge_sort_block_sort_config_selectorI14custom_numericNS0_10empty_typeEEEZNS1_21merge_sort_block_sortIS3_N6thrust23THRUST_200600_302600_NS6detail15normal_iteratorINSA_10device_ptrIS5_EEEESF_PS6_SG_14custom_greaterIS5_EEE10hipError_tT0_T1_T2_T3_mRjT4_P12ihipStream_tbNS1_7vsmem_tEEUlT_E_NS1_11comp_targetILNS1_3genE0ELNS1_11target_archE4294967295ELNS1_3gpuE0ELNS1_3repE0EEENS1_30default_config_static_selectorELNS0_4arch9wavefront6targetE1EEEvSL_
                                        ; -- End function
	.section	.AMDGPU.csdata,"",@progbits
; Kernel info:
; codeLenInByte = 0
; NumSgprs: 4
; NumVgprs: 0
; NumAgprs: 0
; TotalNumVgprs: 0
; ScratchSize: 0
; MemoryBound: 0
; FloatMode: 240
; IeeeMode: 1
; LDSByteSize: 0 bytes/workgroup (compile time only)
; SGPRBlocks: 0
; VGPRBlocks: 0
; NumSGPRsForWavesPerEU: 4
; NumVGPRsForWavesPerEU: 1
; AccumOffset: 4
; Occupancy: 8
; WaveLimiterHint : 0
; COMPUTE_PGM_RSRC2:SCRATCH_EN: 0
; COMPUTE_PGM_RSRC2:USER_SGPR: 6
; COMPUTE_PGM_RSRC2:TRAP_HANDLER: 0
; COMPUTE_PGM_RSRC2:TGID_X_EN: 1
; COMPUTE_PGM_RSRC2:TGID_Y_EN: 0
; COMPUTE_PGM_RSRC2:TGID_Z_EN: 0
; COMPUTE_PGM_RSRC2:TIDIG_COMP_CNT: 0
; COMPUTE_PGM_RSRC3_GFX90A:ACCUM_OFFSET: 0
; COMPUTE_PGM_RSRC3_GFX90A:TG_SPLIT: 0
	.section	.text._ZN7rocprim17ROCPRIM_400000_NS6detail17trampoline_kernelINS0_14default_configENS1_37merge_sort_block_sort_config_selectorI14custom_numericNS0_10empty_typeEEEZNS1_21merge_sort_block_sortIS3_N6thrust23THRUST_200600_302600_NS6detail15normal_iteratorINSA_10device_ptrIS5_EEEESF_PS6_SG_14custom_greaterIS5_EEE10hipError_tT0_T1_T2_T3_mRjT4_P12ihipStream_tbNS1_7vsmem_tEEUlT_E_NS1_11comp_targetILNS1_3genE5ELNS1_11target_archE942ELNS1_3gpuE9ELNS1_3repE0EEENS1_30default_config_static_selectorELNS0_4arch9wavefront6targetE1EEEvSL_,"axG",@progbits,_ZN7rocprim17ROCPRIM_400000_NS6detail17trampoline_kernelINS0_14default_configENS1_37merge_sort_block_sort_config_selectorI14custom_numericNS0_10empty_typeEEEZNS1_21merge_sort_block_sortIS3_N6thrust23THRUST_200600_302600_NS6detail15normal_iteratorINSA_10device_ptrIS5_EEEESF_PS6_SG_14custom_greaterIS5_EEE10hipError_tT0_T1_T2_T3_mRjT4_P12ihipStream_tbNS1_7vsmem_tEEUlT_E_NS1_11comp_targetILNS1_3genE5ELNS1_11target_archE942ELNS1_3gpuE9ELNS1_3repE0EEENS1_30default_config_static_selectorELNS0_4arch9wavefront6targetE1EEEvSL_,comdat
	.protected	_ZN7rocprim17ROCPRIM_400000_NS6detail17trampoline_kernelINS0_14default_configENS1_37merge_sort_block_sort_config_selectorI14custom_numericNS0_10empty_typeEEEZNS1_21merge_sort_block_sortIS3_N6thrust23THRUST_200600_302600_NS6detail15normal_iteratorINSA_10device_ptrIS5_EEEESF_PS6_SG_14custom_greaterIS5_EEE10hipError_tT0_T1_T2_T3_mRjT4_P12ihipStream_tbNS1_7vsmem_tEEUlT_E_NS1_11comp_targetILNS1_3genE5ELNS1_11target_archE942ELNS1_3gpuE9ELNS1_3repE0EEENS1_30default_config_static_selectorELNS0_4arch9wavefront6targetE1EEEvSL_ ; -- Begin function _ZN7rocprim17ROCPRIM_400000_NS6detail17trampoline_kernelINS0_14default_configENS1_37merge_sort_block_sort_config_selectorI14custom_numericNS0_10empty_typeEEEZNS1_21merge_sort_block_sortIS3_N6thrust23THRUST_200600_302600_NS6detail15normal_iteratorINSA_10device_ptrIS5_EEEESF_PS6_SG_14custom_greaterIS5_EEE10hipError_tT0_T1_T2_T3_mRjT4_P12ihipStream_tbNS1_7vsmem_tEEUlT_E_NS1_11comp_targetILNS1_3genE5ELNS1_11target_archE942ELNS1_3gpuE9ELNS1_3repE0EEENS1_30default_config_static_selectorELNS0_4arch9wavefront6targetE1EEEvSL_
	.globl	_ZN7rocprim17ROCPRIM_400000_NS6detail17trampoline_kernelINS0_14default_configENS1_37merge_sort_block_sort_config_selectorI14custom_numericNS0_10empty_typeEEEZNS1_21merge_sort_block_sortIS3_N6thrust23THRUST_200600_302600_NS6detail15normal_iteratorINSA_10device_ptrIS5_EEEESF_PS6_SG_14custom_greaterIS5_EEE10hipError_tT0_T1_T2_T3_mRjT4_P12ihipStream_tbNS1_7vsmem_tEEUlT_E_NS1_11comp_targetILNS1_3genE5ELNS1_11target_archE942ELNS1_3gpuE9ELNS1_3repE0EEENS1_30default_config_static_selectorELNS0_4arch9wavefront6targetE1EEEvSL_
	.p2align	8
	.type	_ZN7rocprim17ROCPRIM_400000_NS6detail17trampoline_kernelINS0_14default_configENS1_37merge_sort_block_sort_config_selectorI14custom_numericNS0_10empty_typeEEEZNS1_21merge_sort_block_sortIS3_N6thrust23THRUST_200600_302600_NS6detail15normal_iteratorINSA_10device_ptrIS5_EEEESF_PS6_SG_14custom_greaterIS5_EEE10hipError_tT0_T1_T2_T3_mRjT4_P12ihipStream_tbNS1_7vsmem_tEEUlT_E_NS1_11comp_targetILNS1_3genE5ELNS1_11target_archE942ELNS1_3gpuE9ELNS1_3repE0EEENS1_30default_config_static_selectorELNS0_4arch9wavefront6targetE1EEEvSL_,@function
_ZN7rocprim17ROCPRIM_400000_NS6detail17trampoline_kernelINS0_14default_configENS1_37merge_sort_block_sort_config_selectorI14custom_numericNS0_10empty_typeEEEZNS1_21merge_sort_block_sortIS3_N6thrust23THRUST_200600_302600_NS6detail15normal_iteratorINSA_10device_ptrIS5_EEEESF_PS6_SG_14custom_greaterIS5_EEE10hipError_tT0_T1_T2_T3_mRjT4_P12ihipStream_tbNS1_7vsmem_tEEUlT_E_NS1_11comp_targetILNS1_3genE5ELNS1_11target_archE942ELNS1_3gpuE9ELNS1_3repE0EEENS1_30default_config_static_selectorELNS0_4arch9wavefront6targetE1EEEvSL_: ; @_ZN7rocprim17ROCPRIM_400000_NS6detail17trampoline_kernelINS0_14default_configENS1_37merge_sort_block_sort_config_selectorI14custom_numericNS0_10empty_typeEEEZNS1_21merge_sort_block_sortIS3_N6thrust23THRUST_200600_302600_NS6detail15normal_iteratorINSA_10device_ptrIS5_EEEESF_PS6_SG_14custom_greaterIS5_EEE10hipError_tT0_T1_T2_T3_mRjT4_P12ihipStream_tbNS1_7vsmem_tEEUlT_E_NS1_11comp_targetILNS1_3genE5ELNS1_11target_archE942ELNS1_3gpuE9ELNS1_3repE0EEENS1_30default_config_static_selectorELNS0_4arch9wavefront6targetE1EEEvSL_
; %bb.0:
	.section	.rodata,"a",@progbits
	.p2align	6, 0x0
	.amdhsa_kernel _ZN7rocprim17ROCPRIM_400000_NS6detail17trampoline_kernelINS0_14default_configENS1_37merge_sort_block_sort_config_selectorI14custom_numericNS0_10empty_typeEEEZNS1_21merge_sort_block_sortIS3_N6thrust23THRUST_200600_302600_NS6detail15normal_iteratorINSA_10device_ptrIS5_EEEESF_PS6_SG_14custom_greaterIS5_EEE10hipError_tT0_T1_T2_T3_mRjT4_P12ihipStream_tbNS1_7vsmem_tEEUlT_E_NS1_11comp_targetILNS1_3genE5ELNS1_11target_archE942ELNS1_3gpuE9ELNS1_3repE0EEENS1_30default_config_static_selectorELNS0_4arch9wavefront6targetE1EEEvSL_
		.amdhsa_group_segment_fixed_size 0
		.amdhsa_private_segment_fixed_size 0
		.amdhsa_kernarg_size 64
		.amdhsa_user_sgpr_count 6
		.amdhsa_user_sgpr_private_segment_buffer 1
		.amdhsa_user_sgpr_dispatch_ptr 0
		.amdhsa_user_sgpr_queue_ptr 0
		.amdhsa_user_sgpr_kernarg_segment_ptr 1
		.amdhsa_user_sgpr_dispatch_id 0
		.amdhsa_user_sgpr_flat_scratch_init 0
		.amdhsa_user_sgpr_kernarg_preload_length 0
		.amdhsa_user_sgpr_kernarg_preload_offset 0
		.amdhsa_user_sgpr_private_segment_size 0
		.amdhsa_uses_dynamic_stack 0
		.amdhsa_system_sgpr_private_segment_wavefront_offset 0
		.amdhsa_system_sgpr_workgroup_id_x 1
		.amdhsa_system_sgpr_workgroup_id_y 0
		.amdhsa_system_sgpr_workgroup_id_z 0
		.amdhsa_system_sgpr_workgroup_info 0
		.amdhsa_system_vgpr_workitem_id 0
		.amdhsa_next_free_vgpr 1
		.amdhsa_next_free_sgpr 0
		.amdhsa_accum_offset 4
		.amdhsa_reserve_vcc 0
		.amdhsa_reserve_flat_scratch 0
		.amdhsa_float_round_mode_32 0
		.amdhsa_float_round_mode_16_64 0
		.amdhsa_float_denorm_mode_32 3
		.amdhsa_float_denorm_mode_16_64 3
		.amdhsa_dx10_clamp 1
		.amdhsa_ieee_mode 1
		.amdhsa_fp16_overflow 0
		.amdhsa_tg_split 0
		.amdhsa_exception_fp_ieee_invalid_op 0
		.amdhsa_exception_fp_denorm_src 0
		.amdhsa_exception_fp_ieee_div_zero 0
		.amdhsa_exception_fp_ieee_overflow 0
		.amdhsa_exception_fp_ieee_underflow 0
		.amdhsa_exception_fp_ieee_inexact 0
		.amdhsa_exception_int_div_zero 0
	.end_amdhsa_kernel
	.section	.text._ZN7rocprim17ROCPRIM_400000_NS6detail17trampoline_kernelINS0_14default_configENS1_37merge_sort_block_sort_config_selectorI14custom_numericNS0_10empty_typeEEEZNS1_21merge_sort_block_sortIS3_N6thrust23THRUST_200600_302600_NS6detail15normal_iteratorINSA_10device_ptrIS5_EEEESF_PS6_SG_14custom_greaterIS5_EEE10hipError_tT0_T1_T2_T3_mRjT4_P12ihipStream_tbNS1_7vsmem_tEEUlT_E_NS1_11comp_targetILNS1_3genE5ELNS1_11target_archE942ELNS1_3gpuE9ELNS1_3repE0EEENS1_30default_config_static_selectorELNS0_4arch9wavefront6targetE1EEEvSL_,"axG",@progbits,_ZN7rocprim17ROCPRIM_400000_NS6detail17trampoline_kernelINS0_14default_configENS1_37merge_sort_block_sort_config_selectorI14custom_numericNS0_10empty_typeEEEZNS1_21merge_sort_block_sortIS3_N6thrust23THRUST_200600_302600_NS6detail15normal_iteratorINSA_10device_ptrIS5_EEEESF_PS6_SG_14custom_greaterIS5_EEE10hipError_tT0_T1_T2_T3_mRjT4_P12ihipStream_tbNS1_7vsmem_tEEUlT_E_NS1_11comp_targetILNS1_3genE5ELNS1_11target_archE942ELNS1_3gpuE9ELNS1_3repE0EEENS1_30default_config_static_selectorELNS0_4arch9wavefront6targetE1EEEvSL_,comdat
.Lfunc_end3671:
	.size	_ZN7rocprim17ROCPRIM_400000_NS6detail17trampoline_kernelINS0_14default_configENS1_37merge_sort_block_sort_config_selectorI14custom_numericNS0_10empty_typeEEEZNS1_21merge_sort_block_sortIS3_N6thrust23THRUST_200600_302600_NS6detail15normal_iteratorINSA_10device_ptrIS5_EEEESF_PS6_SG_14custom_greaterIS5_EEE10hipError_tT0_T1_T2_T3_mRjT4_P12ihipStream_tbNS1_7vsmem_tEEUlT_E_NS1_11comp_targetILNS1_3genE5ELNS1_11target_archE942ELNS1_3gpuE9ELNS1_3repE0EEENS1_30default_config_static_selectorELNS0_4arch9wavefront6targetE1EEEvSL_, .Lfunc_end3671-_ZN7rocprim17ROCPRIM_400000_NS6detail17trampoline_kernelINS0_14default_configENS1_37merge_sort_block_sort_config_selectorI14custom_numericNS0_10empty_typeEEEZNS1_21merge_sort_block_sortIS3_N6thrust23THRUST_200600_302600_NS6detail15normal_iteratorINSA_10device_ptrIS5_EEEESF_PS6_SG_14custom_greaterIS5_EEE10hipError_tT0_T1_T2_T3_mRjT4_P12ihipStream_tbNS1_7vsmem_tEEUlT_E_NS1_11comp_targetILNS1_3genE5ELNS1_11target_archE942ELNS1_3gpuE9ELNS1_3repE0EEENS1_30default_config_static_selectorELNS0_4arch9wavefront6targetE1EEEvSL_
                                        ; -- End function
	.section	.AMDGPU.csdata,"",@progbits
; Kernel info:
; codeLenInByte = 0
; NumSgprs: 4
; NumVgprs: 0
; NumAgprs: 0
; TotalNumVgprs: 0
; ScratchSize: 0
; MemoryBound: 0
; FloatMode: 240
; IeeeMode: 1
; LDSByteSize: 0 bytes/workgroup (compile time only)
; SGPRBlocks: 0
; VGPRBlocks: 0
; NumSGPRsForWavesPerEU: 4
; NumVGPRsForWavesPerEU: 1
; AccumOffset: 4
; Occupancy: 8
; WaveLimiterHint : 0
; COMPUTE_PGM_RSRC2:SCRATCH_EN: 0
; COMPUTE_PGM_RSRC2:USER_SGPR: 6
; COMPUTE_PGM_RSRC2:TRAP_HANDLER: 0
; COMPUTE_PGM_RSRC2:TGID_X_EN: 1
; COMPUTE_PGM_RSRC2:TGID_Y_EN: 0
; COMPUTE_PGM_RSRC2:TGID_Z_EN: 0
; COMPUTE_PGM_RSRC2:TIDIG_COMP_CNT: 0
; COMPUTE_PGM_RSRC3_GFX90A:ACCUM_OFFSET: 0
; COMPUTE_PGM_RSRC3_GFX90A:TG_SPLIT: 0
	.section	.text._ZN7rocprim17ROCPRIM_400000_NS6detail17trampoline_kernelINS0_14default_configENS1_37merge_sort_block_sort_config_selectorI14custom_numericNS0_10empty_typeEEEZNS1_21merge_sort_block_sortIS3_N6thrust23THRUST_200600_302600_NS6detail15normal_iteratorINSA_10device_ptrIS5_EEEESF_PS6_SG_14custom_greaterIS5_EEE10hipError_tT0_T1_T2_T3_mRjT4_P12ihipStream_tbNS1_7vsmem_tEEUlT_E_NS1_11comp_targetILNS1_3genE4ELNS1_11target_archE910ELNS1_3gpuE8ELNS1_3repE0EEENS1_30default_config_static_selectorELNS0_4arch9wavefront6targetE1EEEvSL_,"axG",@progbits,_ZN7rocprim17ROCPRIM_400000_NS6detail17trampoline_kernelINS0_14default_configENS1_37merge_sort_block_sort_config_selectorI14custom_numericNS0_10empty_typeEEEZNS1_21merge_sort_block_sortIS3_N6thrust23THRUST_200600_302600_NS6detail15normal_iteratorINSA_10device_ptrIS5_EEEESF_PS6_SG_14custom_greaterIS5_EEE10hipError_tT0_T1_T2_T3_mRjT4_P12ihipStream_tbNS1_7vsmem_tEEUlT_E_NS1_11comp_targetILNS1_3genE4ELNS1_11target_archE910ELNS1_3gpuE8ELNS1_3repE0EEENS1_30default_config_static_selectorELNS0_4arch9wavefront6targetE1EEEvSL_,comdat
	.protected	_ZN7rocprim17ROCPRIM_400000_NS6detail17trampoline_kernelINS0_14default_configENS1_37merge_sort_block_sort_config_selectorI14custom_numericNS0_10empty_typeEEEZNS1_21merge_sort_block_sortIS3_N6thrust23THRUST_200600_302600_NS6detail15normal_iteratorINSA_10device_ptrIS5_EEEESF_PS6_SG_14custom_greaterIS5_EEE10hipError_tT0_T1_T2_T3_mRjT4_P12ihipStream_tbNS1_7vsmem_tEEUlT_E_NS1_11comp_targetILNS1_3genE4ELNS1_11target_archE910ELNS1_3gpuE8ELNS1_3repE0EEENS1_30default_config_static_selectorELNS0_4arch9wavefront6targetE1EEEvSL_ ; -- Begin function _ZN7rocprim17ROCPRIM_400000_NS6detail17trampoline_kernelINS0_14default_configENS1_37merge_sort_block_sort_config_selectorI14custom_numericNS0_10empty_typeEEEZNS1_21merge_sort_block_sortIS3_N6thrust23THRUST_200600_302600_NS6detail15normal_iteratorINSA_10device_ptrIS5_EEEESF_PS6_SG_14custom_greaterIS5_EEE10hipError_tT0_T1_T2_T3_mRjT4_P12ihipStream_tbNS1_7vsmem_tEEUlT_E_NS1_11comp_targetILNS1_3genE4ELNS1_11target_archE910ELNS1_3gpuE8ELNS1_3repE0EEENS1_30default_config_static_selectorELNS0_4arch9wavefront6targetE1EEEvSL_
	.globl	_ZN7rocprim17ROCPRIM_400000_NS6detail17trampoline_kernelINS0_14default_configENS1_37merge_sort_block_sort_config_selectorI14custom_numericNS0_10empty_typeEEEZNS1_21merge_sort_block_sortIS3_N6thrust23THRUST_200600_302600_NS6detail15normal_iteratorINSA_10device_ptrIS5_EEEESF_PS6_SG_14custom_greaterIS5_EEE10hipError_tT0_T1_T2_T3_mRjT4_P12ihipStream_tbNS1_7vsmem_tEEUlT_E_NS1_11comp_targetILNS1_3genE4ELNS1_11target_archE910ELNS1_3gpuE8ELNS1_3repE0EEENS1_30default_config_static_selectorELNS0_4arch9wavefront6targetE1EEEvSL_
	.p2align	8
	.type	_ZN7rocprim17ROCPRIM_400000_NS6detail17trampoline_kernelINS0_14default_configENS1_37merge_sort_block_sort_config_selectorI14custom_numericNS0_10empty_typeEEEZNS1_21merge_sort_block_sortIS3_N6thrust23THRUST_200600_302600_NS6detail15normal_iteratorINSA_10device_ptrIS5_EEEESF_PS6_SG_14custom_greaterIS5_EEE10hipError_tT0_T1_T2_T3_mRjT4_P12ihipStream_tbNS1_7vsmem_tEEUlT_E_NS1_11comp_targetILNS1_3genE4ELNS1_11target_archE910ELNS1_3gpuE8ELNS1_3repE0EEENS1_30default_config_static_selectorELNS0_4arch9wavefront6targetE1EEEvSL_,@function
_ZN7rocprim17ROCPRIM_400000_NS6detail17trampoline_kernelINS0_14default_configENS1_37merge_sort_block_sort_config_selectorI14custom_numericNS0_10empty_typeEEEZNS1_21merge_sort_block_sortIS3_N6thrust23THRUST_200600_302600_NS6detail15normal_iteratorINSA_10device_ptrIS5_EEEESF_PS6_SG_14custom_greaterIS5_EEE10hipError_tT0_T1_T2_T3_mRjT4_P12ihipStream_tbNS1_7vsmem_tEEUlT_E_NS1_11comp_targetILNS1_3genE4ELNS1_11target_archE910ELNS1_3gpuE8ELNS1_3repE0EEENS1_30default_config_static_selectorELNS0_4arch9wavefront6targetE1EEEvSL_: ; @_ZN7rocprim17ROCPRIM_400000_NS6detail17trampoline_kernelINS0_14default_configENS1_37merge_sort_block_sort_config_selectorI14custom_numericNS0_10empty_typeEEEZNS1_21merge_sort_block_sortIS3_N6thrust23THRUST_200600_302600_NS6detail15normal_iteratorINSA_10device_ptrIS5_EEEESF_PS6_SG_14custom_greaterIS5_EEE10hipError_tT0_T1_T2_T3_mRjT4_P12ihipStream_tbNS1_7vsmem_tEEUlT_E_NS1_11comp_targetILNS1_3genE4ELNS1_11target_archE910ELNS1_3gpuE8ELNS1_3repE0EEENS1_30default_config_static_selectorELNS0_4arch9wavefront6targetE1EEEvSL_
; %bb.0:
	s_load_dwordx2 s[12:13], s[4:5], 0x40
	s_load_dword s0, s[4:5], 0x0
	s_add_u32 s10, s4, 64
	s_addc_u32 s11, s5, 0
	s_waitcnt lgkmcnt(0)
	s_mul_i32 s1, s13, s8
	s_add_i32 s1, s1, s7
	s_mul_i32 s1, s1, s12
	s_add_i32 s18, s1, s6
	s_cmp_ge_u32 s18, s0
	s_cbranch_scc1 .LBB3672_154
; %bb.1:
	s_load_dwordx2 s[20:21], s[4:5], 0x8
	s_load_dwordx4 s[0:3], s[4:5], 0x18
	s_mul_i32 s8, s18, 0x5000
	s_mul_hi_u32 s7, s18, 0x5000
	s_mov_b32 s19, 0
	s_waitcnt lgkmcnt(0)
	s_lshr_b64 s[4:5], s[20:21], 10
	s_add_u32 s16, s0, s8
	s_addc_u32 s17, s1, s7
	s_add_u32 s14, s2, s8
	s_addc_u32 s15, s3, s7
	v_and_b32_e32 v13, 0x3ff, v0
	s_cmp_lg_u64 s[4:5], s[18:19]
	v_bfe_u32 v19, v0, 10, 10
	v_bfe_u32 v23, v0, 20, 10
	v_lshrrev_b32_e32 v26, 5, v13
	v_mul_u32_u24_e32 v25, 20, v13
	v_lshlrev_b32_e32 v15, 2, v13
	v_lshrrev_b32_e32 v24, 3, v13
	s_cbranch_scc0 .LBB3672_85
; %bb.2:
	v_mad_u64_u32 v[0:1], s[0:1], v13, 20, s[16:17]
	v_add_co_u32_e32 v2, vcc, 0x1000, v0
	v_addc_co_u32_e32 v3, vcc, 0, v1, vcc
	v_add_co_u32_e32 v4, vcc, 0x2000, v0
	flat_load_dword v6, v[0:1]
	v_addc_co_u32_e32 v5, vcc, 0, v1, vcc
	flat_load_dword v7, v[2:3] offset:1024
	flat_load_dword v8, v[4:5] offset:2048
	v_add_co_u32_e32 v0, vcc, 0x3000, v0
	v_addc_co_u32_e32 v1, vcc, 0, v1, vcc
	flat_load_dword v0, v[0:1] offset:3072
	v_add_u32_e32 v2, 0x200, v13
	v_add_u32_e32 v3, 0x300, v13
	;; [unrolled: 1-line block ×3, first 2 shown]
	v_lshrrev_b32_e32 v2, 5, v2
	v_lshrrev_b32_e32 v3, 5, v3
	v_add_u32_e32 v4, v24, v15
	v_lshrrev_b32_e32 v1, 5, v1
	v_mad_u32_u24 v29, v2, 20, v25
	v_mad_u32_u24 v30, v3, 20, v25
	;; [unrolled: 1-line block ×3, first 2 shown]
	v_mul_u32_u24_e32 v31, 20, v4
	v_mad_u32_u24 v28, v1, 20, v25
	v_add_u32_e32 v4, 0x2808, v29
	v_add_u32_e32 v5, 0x3c00, v30
	;; [unrolled: 1-line block ×6, first 2 shown]
	s_movk_i32 s2, 0x400
	s_waitcnt vmcnt(0) lgkmcnt(0)
	ds_write2_b32 v27, v6, v6 offset1:1
	ds_write2_b32 v27, v6, v6 offset0:2 offset1:3
	ds_write_b32 v27, v6 offset:16
	ds_write2_b32 v1, v7, v7 offset1:1
	ds_write2_b32 v2, v7, v7 offset1:1
	ds_write_b32 v28, v7 offset:5136
	ds_write2_b32 v3, v8, v8 offset1:1
	ds_write2_b32 v4, v8, v8 offset1:1
	;; [unrolled: 3-line block ×3, first 2 shown]
	ds_write_b32 v30, v0 offset:15376
	s_waitcnt lgkmcnt(0)
	s_barrier
	ds_read2_b32 v[6:7], v31 offset1:5
	ds_read2_b32 v[4:5], v31 offset0:10 offset1:15
	s_waitcnt lgkmcnt(0)
	s_barrier
	s_load_dword s0, s[10:11], 0xc
	v_mov_b32_e32 v0, 0
	v_pk_mov_b32 v[20:21], v[4:5], v[4:5] op_sel:[0,1]
	v_mov_b32_e32 v10, v6
	v_mov_b32_e32 v14, v7
	s_waitcnt lgkmcnt(0)
	s_lshr_b32 s3, s0, 16
	s_cmp_lt_u32 s6, s12
	s_cselect_b32 s0, 12, 18
	s_add_u32 s0, s10, s0
	s_addc_u32 s1, s11, 0
	global_load_ushort v2, v0, s[0:1]
	v_pk_mov_b32 v[0:1], v[6:7], v[6:7] op_sel:[0,1]
	v_mad_u32_u24 v1, v23, s3, v19
	v_mov_b32_e32 v16, v4
	v_mov_b32_e32 v18, v5
	s_waitcnt vmcnt(0)
	v_mul_lo_u32 v1, v1, v2
	v_add_lshl_u32 v2, v1, v13, 2
	v_cmp_gt_u32_e32 vcc, s2, v2
	s_and_saveexec_b64 s[0:1], vcc
	s_cbranch_execz .LBB3672_4
; %bb.3:
	v_max_i32_e32 v0, v6, v7
	v_min_i32_e32 v1, v6, v7
	v_max_i32_e32 v3, v4, v5
	v_min_i32_e32 v4, v4, v5
	v_min_i32_e32 v5, v0, v4
	v_cmp_lt_i32_e32 vcc, v4, v1
	v_max_i32_e32 v7, v0, v4
	v_cndmask_b32_e32 v8, v5, v1, vcc
	v_cndmask_b32_e32 v6, v1, v5, vcc
	v_cmp_gt_i32_e32 vcc, v0, v3
	v_cndmask_b32_e32 v0, v7, v3, vcc
	v_cndmask_b32_e32 v5, v3, v7, vcc
	v_max_i32_e32 v4, v8, v0
	v_min_i32_e32 v7, v8, v0
	v_pk_mov_b32 v[0:1], v[6:7], v[6:7] op_sel:[0,1]
	v_pk_mov_b32 v[20:21], v[4:5], v[4:5] op_sel:[0,1]
	v_mov_b32_e32 v10, v6
	v_mov_b32_e32 v14, v7
	;; [unrolled: 1-line block ×4, first 2 shown]
.LBB3672_4:
	s_or_b64 exec, exec, s[0:1]
	v_mbcnt_lo_u32_b32 v1, -1, 0
	v_mbcnt_hi_u32_b32 v1, -1, v1
	v_and_b32_e32 v2, 0xffffff00, v2
	v_mul_lo_u32 v22, v2, 20
	v_lshlrev_b32_e32 v33, 2, v1
	s_movk_i32 s0, 0x50
	v_sub_u32_e64 v32, s2, v2 clamp
	v_mad_u32_u24 v34, v1, s0, v22
	v_mov_b32_e32 v8, v7
	v_mov_b32_e32 v9, v7
	;; [unrolled: 1-line block ×4, first 2 shown]
	v_or_b32_e32 v1, 4, v33
	ds_write_b128 v34, v[6:9] offset:16
	v_mov_b32_e32 v8, v4
	v_mov_b32_e32 v9, v4
	ds_write_b128 v34, v[2:5] offset:48
	v_mov_b32_e32 v2, v5
	v_mov_b32_e32 v3, v5
	;; [unrolled: 1-line block ×3, first 2 shown]
	v_min_u32_e32 v1, v32, v1
	v_mov_b32_e32 v36, v6
	v_mov_b32_e32 v37, v6
	v_mov_b32_e32 v38, v6
	v_mov_b32_e32 v39, v6
	v_mov_b32_e32 v6, v7
	ds_write_b128 v34, v[2:5] offset:64
	v_add_u32_e32 v2, 4, v1
	ds_write_b128 v34, v[6:9] offset:32
	v_and_b32_e32 v6, 0x1f8, v33
	v_min_u32_e32 v3, v32, v2
	v_and_b32_e32 v2, 4, v33
	v_min_u32_e32 v7, v32, v2
	v_sub_u32_e32 v4, v1, v6
	v_sub_u32_e32 v5, v3, v1
	v_sub_u32_e64 v5, v7, v5 clamp
	v_min_u32_e32 v8, v7, v4
	v_mad_u32_u24 v2, v6, 20, v22
	v_cmp_lt_u32_e32 vcc, v5, v8
	ds_write_b128 v34, v[36:39]
	; wave barrier
	s_and_saveexec_b64 s[0:1], vcc
	s_cbranch_execz .LBB3672_8
; %bb.5:
	v_mul_u32_u24_e32 v4, 20, v1
	v_mul_u32_u24_e32 v9, 20, v7
	v_add3_u32 v4, v22, v4, v9
	s_mov_b64 s[2:3], 0
.LBB3672_6:                             ; =>This Inner Loop Header: Depth=1
	v_add_u32_e32 v9, v8, v5
	v_lshrrev_b32_e32 v9, 1, v9
	v_not_b32_e32 v11, v9
	v_mad_u64_u32 v[36:37], s[4:5], v9, 20, v[2:3]
	v_mad_u64_u32 v[38:39], s[4:5], v11, 20, v[4:5]
	ds_read_b32 v11, v36
	ds_read_b32 v12, v38
	v_add_u32_e32 v17, 1, v9
	s_waitcnt lgkmcnt(0)
	v_cmp_gt_i32_e32 vcc, v11, v12
	v_cndmask_b32_e32 v8, v8, v9, vcc
	v_cndmask_b32_e32 v5, v17, v5, vcc
	v_cmp_ge_u32_e32 vcc, v5, v8
	s_or_b64 s[2:3], vcc, s[2:3]
	s_andn2_b64 exec, exec, s[2:3]
	s_cbranch_execnz .LBB3672_6
; %bb.7:
	s_or_b64 exec, exec, s[2:3]
.LBB3672_8:
	s_or_b64 exec, exec, s[0:1]
	v_add_u32_e32 v4, v1, v7
	v_add_u32_e32 v6, v5, v6
	v_sub_u32_e32 v7, v4, v5
	v_cmp_le_u32_e32 vcc, v6, v1
	v_cmp_le_u32_e64 s[0:1], v7, v3
	s_or_b64 s[0:1], vcc, s[0:1]
	s_and_saveexec_b64 s[22:23], s[0:1]
	s_cbranch_execz .LBB3672_14
; %bb.9:
	v_cmp_lt_u32_e32 vcc, v6, v1
	v_mov_b32_e32 v0, 0
	v_mov_b32_e32 v4, 0
	s_and_saveexec_b64 s[0:1], vcc
	s_cbranch_execz .LBB3672_11
; %bb.10:
	v_mad_u64_u32 v[4:5], s[2:3], v5, 20, v[2:3]
	ds_read_b32 v4, v4
.LBB3672_11:
	s_or_b64 exec, exec, s[0:1]
	v_cmp_ge_u32_e64 s[0:1], v7, v3
	v_cmp_lt_u32_e64 s[2:3], v7, v3
	s_and_saveexec_b64 s[4:5], s[2:3]
	s_cbranch_execz .LBB3672_13
; %bb.12:
	v_mad_u64_u32 v[8:9], s[2:3], v7, 20, v[22:23]
	ds_read_b32 v0, v8
.LBB3672_13:
	s_or_b64 exec, exec, s[4:5]
	s_waitcnt lgkmcnt(0)
	v_cmp_le_i32_e64 s[2:3], v4, v0
	s_and_b64 s[2:3], vcc, s[2:3]
	s_or_b64 vcc, s[0:1], s[2:3]
	v_cndmask_b32_e32 v2, v7, v6, vcc
	v_cndmask_b32_e32 v5, v3, v1, vcc
	v_add_u32_e32 v2, 1, v2
	v_add_u32_e32 v5, -1, v5
	v_min_u32_e32 v5, v2, v5
	v_mad_u64_u32 v[8:9], s[0:1], v5, 20, v[22:23]
	ds_read_b32 v5, v8
	v_cndmask_b32_e32 v9, v2, v7, vcc
	v_cndmask_b32_e32 v2, v6, v2, vcc
	v_cmp_lt_u32_e64 s[2:3], v2, v1
	v_cmp_ge_u32_e64 s[0:1], v9, v3
	s_waitcnt lgkmcnt(0)
	v_cndmask_b32_e32 v8, v5, v0, vcc
	v_cndmask_b32_e32 v5, v4, v5, vcc
	v_cmp_le_i32_e64 s[4:5], v5, v8
	s_and_b64 s[2:3], s[2:3], s[4:5]
	s_or_b64 s[0:1], s[0:1], s[2:3]
	v_cndmask_b32_e64 v6, v9, v2, s[0:1]
	v_cndmask_b32_e64 v7, v3, v1, s[0:1]
	v_add_u32_e32 v10, 1, v6
	v_add_u32_e32 v6, -1, v7
	v_min_u32_e32 v6, v10, v6
	v_mad_u64_u32 v[6:7], s[2:3], v6, 20, v[22:23]
	ds_read_b32 v6, v6
	v_cndmask_b32_e64 v2, v2, v10, s[0:1]
	v_cndmask_b32_e64 v9, v10, v9, s[0:1]
	v_cmp_lt_u32_e64 s[4:5], v2, v1
	v_cmp_ge_u32_e64 s[2:3], v9, v3
	s_waitcnt lgkmcnt(0)
	v_cndmask_b32_e64 v11, v6, v8, s[0:1]
	v_cndmask_b32_e64 v12, v5, v6, s[0:1]
	v_cmp_le_i32_e64 s[8:9], v12, v11
	s_and_b64 s[4:5], s[4:5], s[8:9]
	s_or_b64 s[2:3], s[2:3], s[4:5]
	v_cndmask_b32_e64 v6, v9, v2, s[2:3]
	v_cndmask_b32_e64 v7, v3, v1, s[2:3]
	v_add_u32_e32 v17, 1, v6
	v_add_u32_e32 v6, -1, v7
	v_min_u32_e32 v6, v17, v6
	v_mad_u64_u32 v[6:7], s[4:5], v6, 20, v[22:23]
	ds_read_b32 v6, v6
	v_cndmask_b32_e32 v10, v0, v4, vcc
	v_cndmask_b32_e64 v14, v8, v5, s[0:1]
	v_cndmask_b32_e64 v2, v2, v17, s[2:3]
	;; [unrolled: 1-line block ×3, first 2 shown]
	s_waitcnt lgkmcnt(0)
	v_cndmask_b32_e64 v0, v12, v6, s[2:3]
	v_cndmask_b32_e64 v5, v6, v11, s[2:3]
	v_min_i32_e32 v6, v0, v5
	v_cmp_lt_u32_e32 vcc, v2, v1
	v_cndmask_b32_e64 v16, v11, v12, s[2:3]
	v_cndmask_b32_e32 v1, v5, v6, vcc
	v_cmp_lt_u32_e32 vcc, v4, v3
	v_cndmask_b32_e32 v18, v0, v1, vcc
	v_pk_mov_b32 v[0:1], v[10:11], v[10:11] op_sel:[0,1]
	v_pk_mov_b32 v[20:21], v[16:17], v[16:17] op_sel:[0,1]
.LBB3672_14:
	s_or_b64 exec, exec, s[22:23]
	v_mov_b32_e32 v1, v0
	v_mov_b32_e32 v2, v0
	;; [unrolled: 1-line block ×3, first 2 shown]
	v_and_b32_e32 v6, 0x1f0, v33
	; wave barrier
	ds_write_b128 v34, v[0:3]
	v_or_b32_e32 v1, 8, v6
	v_mov_b32_e32 v11, v14
	v_mov_b32_e32 v12, v14
	v_mov_b32_e32 v21, v20
	v_mov_b32_e32 v2, v20
	v_mov_b32_e32 v3, v20
	v_min_u32_e32 v1, v32, v1
	ds_write_b96 v34, v[10:12] offset:16
	ds_write2_b32 v34, v14, v14 offset0:7 offset1:8
	ds_write2_b64 v34, v[20:21], v[2:3] offset0:5 offset1:6
	ds_write2_b32 v34, v14, v16 offset0:9 offset1:14
	ds_write2_b32 v34, v18, v18 offset0:15 offset1:16
	;; [unrolled: 1-line block ×3, first 2 shown]
	ds_write_b32 v34, v18 offset:76
	v_add_u32_e32 v2, 8, v1
	v_min_u32_e32 v3, v32, v2
	v_and_b32_e32 v2, 12, v33
	v_min_u32_e32 v7, v32, v2
	v_sub_u32_e32 v4, v1, v6
	v_sub_u32_e32 v5, v3, v1
	v_sub_u32_e64 v5, v7, v5 clamp
	v_min_u32_e32 v8, v7, v4
	v_mad_u32_u24 v2, v6, 20, v22
	v_cmp_lt_u32_e32 vcc, v5, v8
	; wave barrier
	s_and_saveexec_b64 s[0:1], vcc
	s_cbranch_execz .LBB3672_18
; %bb.15:
	v_mul_u32_u24_e32 v4, 20, v1
	v_mul_u32_u24_e32 v9, 20, v7
	v_add3_u32 v4, v22, v4, v9
	s_mov_b64 s[2:3], 0
.LBB3672_16:                            ; =>This Inner Loop Header: Depth=1
	v_add_u32_e32 v9, v8, v5
	v_lshrrev_b32_e32 v9, 1, v9
	v_not_b32_e32 v11, v9
	v_mad_u64_u32 v[36:37], s[4:5], v9, 20, v[2:3]
	v_mad_u64_u32 v[38:39], s[4:5], v11, 20, v[4:5]
	ds_read_b32 v11, v36
	ds_read_b32 v12, v38
	v_add_u32_e32 v17, 1, v9
	s_waitcnt lgkmcnt(0)
	v_cmp_gt_i32_e32 vcc, v11, v12
	v_cndmask_b32_e32 v8, v8, v9, vcc
	v_cndmask_b32_e32 v5, v17, v5, vcc
	v_cmp_ge_u32_e32 vcc, v5, v8
	s_or_b64 s[2:3], vcc, s[2:3]
	s_andn2_b64 exec, exec, s[2:3]
	s_cbranch_execnz .LBB3672_16
; %bb.17:
	s_or_b64 exec, exec, s[2:3]
.LBB3672_18:
	s_or_b64 exec, exec, s[0:1]
	v_add_u32_e32 v4, v1, v7
	v_add_u32_e32 v6, v5, v6
	v_sub_u32_e32 v7, v4, v5
	v_cmp_le_u32_e32 vcc, v6, v1
	v_cmp_le_u32_e64 s[0:1], v7, v3
	s_or_b64 s[0:1], vcc, s[0:1]
	s_and_saveexec_b64 s[22:23], s[0:1]
	s_cbranch_execz .LBB3672_24
; %bb.19:
	v_cmp_lt_u32_e32 vcc, v6, v1
	v_mov_b32_e32 v0, 0
	v_mov_b32_e32 v4, 0
	s_and_saveexec_b64 s[0:1], vcc
	s_cbranch_execz .LBB3672_21
; %bb.20:
	v_mad_u64_u32 v[4:5], s[2:3], v5, 20, v[2:3]
	ds_read_b32 v4, v4
.LBB3672_21:
	s_or_b64 exec, exec, s[0:1]
	v_cmp_ge_u32_e64 s[0:1], v7, v3
	v_cmp_lt_u32_e64 s[2:3], v7, v3
	s_and_saveexec_b64 s[4:5], s[2:3]
	s_cbranch_execz .LBB3672_23
; %bb.22:
	v_mad_u64_u32 v[8:9], s[2:3], v7, 20, v[22:23]
	ds_read_b32 v0, v8
.LBB3672_23:
	s_or_b64 exec, exec, s[4:5]
	s_waitcnt lgkmcnt(0)
	v_cmp_le_i32_e64 s[2:3], v4, v0
	s_and_b64 s[2:3], vcc, s[2:3]
	s_or_b64 vcc, s[0:1], s[2:3]
	v_cndmask_b32_e32 v2, v7, v6, vcc
	v_cndmask_b32_e32 v5, v3, v1, vcc
	v_add_u32_e32 v2, 1, v2
	v_add_u32_e32 v5, -1, v5
	v_min_u32_e32 v5, v2, v5
	v_mad_u64_u32 v[8:9], s[0:1], v5, 20, v[22:23]
	ds_read_b32 v5, v8
	v_cndmask_b32_e32 v9, v2, v7, vcc
	v_cndmask_b32_e32 v2, v6, v2, vcc
	v_cmp_lt_u32_e64 s[2:3], v2, v1
	v_cmp_ge_u32_e64 s[0:1], v9, v3
	s_waitcnt lgkmcnt(0)
	v_cndmask_b32_e32 v8, v5, v0, vcc
	v_cndmask_b32_e32 v5, v4, v5, vcc
	v_cmp_le_i32_e64 s[4:5], v5, v8
	s_and_b64 s[2:3], s[2:3], s[4:5]
	s_or_b64 s[0:1], s[0:1], s[2:3]
	v_cndmask_b32_e64 v6, v9, v2, s[0:1]
	v_cndmask_b32_e64 v7, v3, v1, s[0:1]
	v_add_u32_e32 v10, 1, v6
	v_add_u32_e32 v6, -1, v7
	v_min_u32_e32 v6, v10, v6
	v_mad_u64_u32 v[6:7], s[2:3], v6, 20, v[22:23]
	ds_read_b32 v6, v6
	v_cndmask_b32_e64 v2, v2, v10, s[0:1]
	v_cndmask_b32_e64 v9, v10, v9, s[0:1]
	v_cmp_lt_u32_e64 s[4:5], v2, v1
	v_cmp_ge_u32_e64 s[2:3], v9, v3
	s_waitcnt lgkmcnt(0)
	v_cndmask_b32_e64 v11, v6, v8, s[0:1]
	v_cndmask_b32_e64 v12, v5, v6, s[0:1]
	v_cmp_le_i32_e64 s[8:9], v12, v11
	s_and_b64 s[4:5], s[4:5], s[8:9]
	s_or_b64 s[2:3], s[2:3], s[4:5]
	v_cndmask_b32_e64 v6, v9, v2, s[2:3]
	v_cndmask_b32_e64 v7, v3, v1, s[2:3]
	v_add_u32_e32 v17, 1, v6
	v_add_u32_e32 v6, -1, v7
	v_min_u32_e32 v6, v17, v6
	v_mad_u64_u32 v[6:7], s[4:5], v6, 20, v[22:23]
	ds_read_b32 v6, v6
	v_cndmask_b32_e32 v10, v0, v4, vcc
	v_cndmask_b32_e64 v14, v8, v5, s[0:1]
	v_cndmask_b32_e64 v2, v2, v17, s[2:3]
	;; [unrolled: 1-line block ×3, first 2 shown]
	s_waitcnt lgkmcnt(0)
	v_cndmask_b32_e64 v0, v12, v6, s[2:3]
	v_cndmask_b32_e64 v5, v6, v11, s[2:3]
	v_min_i32_e32 v6, v0, v5
	v_cmp_lt_u32_e32 vcc, v2, v1
	v_cndmask_b32_e64 v16, v11, v12, s[2:3]
	v_cndmask_b32_e32 v1, v5, v6, vcc
	v_cmp_lt_u32_e32 vcc, v4, v3
	v_cndmask_b32_e32 v18, v0, v1, vcc
	v_pk_mov_b32 v[0:1], v[10:11], v[10:11] op_sel:[0,1]
	v_pk_mov_b32 v[20:21], v[16:17], v[16:17] op_sel:[0,1]
.LBB3672_24:
	s_or_b64 exec, exec, s[22:23]
	v_mov_b32_e32 v1, v10
	v_mov_b32_e32 v2, v0
	;; [unrolled: 1-line block ×3, first 2 shown]
	v_and_b32_e32 v9, 0x1e0, v33
	; wave barrier
	ds_write_b128 v34, v[0:3]
	v_mov_b32_e32 v11, v14
	v_mov_b32_e32 v12, v14
	;; [unrolled: 1-line block ×5, first 2 shown]
	v_or_b32_e32 v1, 16, v9
	ds_write_b96 v34, v[10:12] offset:16
	ds_write2_b32 v34, v14, v14 offset0:7 offset1:8
	ds_write2_b64 v34, v[20:21], v[2:3] offset0:5 offset1:6
	ds_write2_b32 v34, v14, v16 offset0:9 offset1:14
	ds_write2_b32 v34, v18, v18 offset0:15 offset1:16
	ds_write2_b32 v34, v18, v18 offset0:17 offset1:18
	ds_write_b32 v34, v18 offset:76
	v_min_u32_e32 v3, v32, v1
	v_add_u32_e32 v1, 16, v3
	v_min_u32_e32 v6, v32, v1
	v_and_b32_e32 v1, 28, v33
	v_min_u32_e32 v11, v32, v1
	v_sub_u32_e32 v1, v3, v9
	v_sub_u32_e32 v4, v6, v3
	v_sub_u32_e64 v8, v11, v4 clamp
	v_min_u32_e32 v1, v11, v1
	v_mov_b32_e32 v5, v14
	v_mov_b32_e32 v7, v18
	v_mad_u32_u24 v2, v9, 20, v22
	v_cmp_lt_u32_e32 vcc, v8, v1
	; wave barrier
	s_and_saveexec_b64 s[0:1], vcc
	s_cbranch_execz .LBB3672_28
; %bb.25:
	v_mul_u32_u24_e32 v4, 20, v3
	v_mul_u32_u24_e32 v12, 20, v11
	v_add3_u32 v4, v22, v4, v12
	s_mov_b64 s[2:3], 0
.LBB3672_26:                            ; =>This Inner Loop Header: Depth=1
	v_add_u32_e32 v12, v1, v8
	v_lshrrev_b32_e32 v12, 1, v12
	v_not_b32_e32 v17, v12
	v_mad_u64_u32 v[36:37], s[4:5], v12, 20, v[2:3]
	v_mad_u64_u32 v[38:39], s[4:5], v17, 20, v[4:5]
	ds_read_b32 v17, v36
	ds_read_b32 v21, v38
	v_add_u32_e32 v35, 1, v12
	s_waitcnt lgkmcnt(0)
	v_cmp_gt_i32_e32 vcc, v17, v21
	v_cndmask_b32_e32 v1, v1, v12, vcc
	v_cndmask_b32_e32 v8, v35, v8, vcc
	v_cmp_ge_u32_e32 vcc, v8, v1
	s_or_b64 s[2:3], vcc, s[2:3]
	s_andn2_b64 exec, exec, s[2:3]
	s_cbranch_execnz .LBB3672_26
; %bb.27:
	s_or_b64 exec, exec, s[2:3]
.LBB3672_28:
	s_or_b64 exec, exec, s[0:1]
	v_add_u32_e32 v4, v8, v9
	v_add_u32_e32 v9, v3, v11
	v_sub_u32_e32 v9, v9, v8
	v_cmp_le_u32_e32 vcc, v4, v3
	v_cmp_le_u32_e64 s[0:1], v9, v6
	v_mov_b32_e32 v1, v10
	v_mov_b32_e32 v21, v16
	s_or_b64 s[0:1], vcc, s[0:1]
	s_and_saveexec_b64 s[22:23], s[0:1]
	s_cbranch_execz .LBB3672_34
; %bb.29:
	v_cmp_lt_u32_e32 vcc, v4, v3
	v_mov_b32_e32 v0, 0
	v_mov_b32_e32 v1, 0
	s_and_saveexec_b64 s[0:1], vcc
	s_cbranch_execz .LBB3672_31
; %bb.30:
	v_mad_u64_u32 v[10:11], s[2:3], v8, 20, v[2:3]
	ds_read_b32 v1, v10
.LBB3672_31:
	s_or_b64 exec, exec, s[0:1]
	v_cmp_ge_u32_e64 s[0:1], v9, v6
	v_cmp_lt_u32_e64 s[2:3], v9, v6
	s_and_saveexec_b64 s[4:5], s[2:3]
	s_cbranch_execz .LBB3672_33
; %bb.32:
	v_mad_u64_u32 v[10:11], s[2:3], v9, 20, v[22:23]
	ds_read_b32 v0, v10
.LBB3672_33:
	s_or_b64 exec, exec, s[4:5]
	s_waitcnt lgkmcnt(0)
	v_cmp_le_i32_e64 s[2:3], v1, v0
	s_and_b64 s[2:3], vcc, s[2:3]
	s_or_b64 vcc, s[0:1], s[2:3]
	v_cndmask_b32_e32 v2, v9, v4, vcc
	v_cndmask_b32_e32 v5, v6, v3, vcc
	v_add_u32_e32 v2, 1, v2
	v_add_u32_e32 v5, -1, v5
	v_min_u32_e32 v5, v2, v5
	v_mad_u64_u32 v[10:11], s[0:1], v5, 20, v[22:23]
	ds_read_b32 v5, v10
	v_cndmask_b32_e32 v9, v2, v9, vcc
	v_cndmask_b32_e32 v2, v4, v2, vcc
	v_cmp_lt_u32_e64 s[2:3], v2, v3
	v_cmp_ge_u32_e64 s[0:1], v9, v6
	s_waitcnt lgkmcnt(0)
	v_cndmask_b32_e32 v7, v5, v0, vcc
	v_cndmask_b32_e32 v8, v1, v5, vcc
	v_cmp_le_i32_e64 s[4:5], v8, v7
	s_and_b64 s[2:3], s[2:3], s[4:5]
	s_or_b64 s[0:1], s[0:1], s[2:3]
	v_cndmask_b32_e64 v4, v9, v2, s[0:1]
	v_cndmask_b32_e64 v5, v6, v3, s[0:1]
	v_add_u32_e32 v10, 1, v4
	v_add_u32_e32 v4, -1, v5
	v_min_u32_e32 v4, v10, v4
	v_mad_u64_u32 v[4:5], s[2:3], v4, 20, v[22:23]
	ds_read_b32 v4, v4
	v_cndmask_b32_e64 v2, v2, v10, s[0:1]
	v_cndmask_b32_e64 v9, v10, v9, s[0:1]
	v_cmp_lt_u32_e64 s[4:5], v2, v3
	v_cmp_ge_u32_e64 s[2:3], v9, v6
	s_waitcnt lgkmcnt(0)
	v_cndmask_b32_e64 v11, v4, v7, s[0:1]
	v_cndmask_b32_e64 v12, v8, v4, s[0:1]
	v_cmp_le_i32_e64 s[8:9], v12, v11
	s_and_b64 s[4:5], s[4:5], s[8:9]
	s_or_b64 s[2:3], s[2:3], s[4:5]
	v_cndmask_b32_e64 v4, v9, v2, s[2:3]
	v_cndmask_b32_e64 v5, v6, v3, s[2:3]
	v_add_u32_e32 v17, 1, v4
	v_add_u32_e32 v4, -1, v5
	v_min_u32_e32 v4, v17, v4
	v_mad_u64_u32 v[4:5], s[4:5], v4, 20, v[22:23]
	ds_read_b32 v4, v4
	v_cndmask_b32_e32 v10, v0, v1, vcc
	v_cndmask_b32_e64 v2, v2, v17, s[2:3]
	v_cndmask_b32_e64 v1, v17, v9, s[2:3]
	v_cmp_lt_u32_e32 vcc, v2, v3
	s_waitcnt lgkmcnt(0)
	v_cndmask_b32_e64 v0, v12, v4, s[2:3]
	v_cndmask_b32_e64 v4, v4, v11, s[2:3]
	v_min_i32_e32 v5, v0, v4
	v_cndmask_b32_e64 v16, v11, v12, s[2:3]
	v_cndmask_b32_e32 v2, v4, v5, vcc
	v_cmp_lt_u32_e32 vcc, v1, v6
	v_cndmask_b32_e64 v14, v7, v8, s[0:1]
	v_cndmask_b32_e32 v18, v0, v2, vcc
	v_mov_b32_e32 v11, v10
	v_mov_b32_e32 v17, v16
	;; [unrolled: 1-line block ×4, first 2 shown]
	v_pk_mov_b32 v[0:1], v[10:11], v[10:11] op_sel:[0,1]
	v_pk_mov_b32 v[20:21], v[16:17], v[16:17] op_sel:[0,1]
.LBB3672_34:
	s_or_b64 exec, exec, s[22:23]
	v_mov_b32_e32 v2, v0
	v_mov_b32_e32 v3, v1
	; wave barrier
	ds_write_b128 v34, v[0:3]
	v_mov_b32_e32 v11, v14
	v_mov_b32_e32 v12, v5
	;; [unrolled: 1-line block ×4, first 2 shown]
	v_and_b32_e32 v9, 0x1c0, v33
	ds_write_b96 v34, v[10:12] offset:16
	ds_write2_b32 v34, v14, v5 offset0:7 offset1:8
	ds_write2_b64 v34, v[20:21], v[2:3] offset0:5 offset1:6
	ds_write2_b32 v34, v14, v16 offset0:9 offset1:14
	ds_write2_b32 v34, v18, v7 offset0:15 offset1:16
	;; [unrolled: 1-line block ×3, first 2 shown]
	ds_write_b32 v34, v18 offset:76
	v_or_b32_e32 v2, 32, v9
	v_min_u32_e32 v3, v32, v2
	v_add_u32_e32 v2, 32, v3
	v_min_u32_e32 v6, v32, v2
	v_and_b32_e32 v2, 60, v33
	v_min_u32_e32 v11, v32, v2
	v_sub_u32_e32 v4, v3, v9
	v_sub_u32_e32 v8, v6, v3
	v_sub_u32_e64 v8, v11, v8 clamp
	v_min_u32_e32 v12, v11, v4
	v_mad_u32_u24 v2, v9, 20, v22
	v_cmp_lt_u32_e32 vcc, v8, v12
	; wave barrier
	s_and_saveexec_b64 s[0:1], vcc
	s_cbranch_execz .LBB3672_38
; %bb.35:
	v_mul_u32_u24_e32 v4, 20, v3
	v_mul_u32_u24_e32 v17, 20, v11
	v_add3_u32 v4, v22, v4, v17
	s_mov_b64 s[2:3], 0
.LBB3672_36:                            ; =>This Inner Loop Header: Depth=1
	v_add_u32_e32 v17, v12, v8
	v_lshrrev_b32_e32 v17, 1, v17
	v_not_b32_e32 v34, v17
	v_mad_u64_u32 v[32:33], s[4:5], v17, 20, v[2:3]
	v_mad_u64_u32 v[34:35], s[4:5], v34, 20, v[4:5]
	ds_read_b32 v32, v32
	ds_read_b32 v33, v34
	v_add_u32_e32 v34, 1, v17
	s_waitcnt lgkmcnt(0)
	v_cmp_gt_i32_e32 vcc, v32, v33
	v_cndmask_b32_e32 v12, v12, v17, vcc
	v_cndmask_b32_e32 v8, v34, v8, vcc
	v_cmp_ge_u32_e32 vcc, v8, v12
	s_or_b64 s[2:3], vcc, s[2:3]
	s_andn2_b64 exec, exec, s[2:3]
	s_cbranch_execnz .LBB3672_36
; %bb.37:
	s_or_b64 exec, exec, s[2:3]
.LBB3672_38:
	s_or_b64 exec, exec, s[0:1]
	v_add_u32_e32 v4, v8, v9
	v_add_u32_e32 v9, v3, v11
	v_sub_u32_e32 v9, v9, v8
	v_cmp_le_u32_e32 vcc, v4, v3
	v_cmp_le_u32_e64 s[0:1], v9, v6
	s_or_b64 s[0:1], vcc, s[0:1]
	s_and_saveexec_b64 s[22:23], s[0:1]
	s_cbranch_execz .LBB3672_44
; %bb.39:
	v_cmp_lt_u32_e32 vcc, v4, v3
	v_mov_b32_e32 v0, 0
	v_mov_b32_e32 v1, 0
	s_and_saveexec_b64 s[0:1], vcc
	s_cbranch_execz .LBB3672_41
; %bb.40:
	v_mad_u64_u32 v[10:11], s[2:3], v8, 20, v[2:3]
	ds_read_b32 v1, v10
.LBB3672_41:
	s_or_b64 exec, exec, s[0:1]
	v_cmp_ge_u32_e64 s[0:1], v9, v6
	v_cmp_lt_u32_e64 s[2:3], v9, v6
	s_and_saveexec_b64 s[4:5], s[2:3]
	s_cbranch_execz .LBB3672_43
; %bb.42:
	v_mad_u64_u32 v[10:11], s[2:3], v9, 20, v[22:23]
	ds_read_b32 v0, v10
.LBB3672_43:
	s_or_b64 exec, exec, s[4:5]
	s_waitcnt lgkmcnt(0)
	v_cmp_le_i32_e64 s[2:3], v1, v0
	s_and_b64 s[2:3], vcc, s[2:3]
	s_or_b64 vcc, s[0:1], s[2:3]
	v_cndmask_b32_e32 v2, v9, v4, vcc
	v_cndmask_b32_e32 v5, v6, v3, vcc
	v_add_u32_e32 v2, 1, v2
	v_add_u32_e32 v5, -1, v5
	v_min_u32_e32 v5, v2, v5
	v_mad_u64_u32 v[10:11], s[0:1], v5, 20, v[22:23]
	ds_read_b32 v5, v10
	v_cndmask_b32_e32 v9, v2, v9, vcc
	v_cndmask_b32_e32 v2, v4, v2, vcc
	v_cmp_lt_u32_e64 s[2:3], v2, v3
	v_cmp_ge_u32_e64 s[0:1], v9, v6
	s_waitcnt lgkmcnt(0)
	v_cndmask_b32_e32 v7, v5, v0, vcc
	v_cndmask_b32_e32 v8, v1, v5, vcc
	v_cmp_le_i32_e64 s[4:5], v8, v7
	s_and_b64 s[2:3], s[2:3], s[4:5]
	s_or_b64 s[0:1], s[0:1], s[2:3]
	v_cndmask_b32_e64 v4, v9, v2, s[0:1]
	v_cndmask_b32_e64 v5, v6, v3, s[0:1]
	v_add_u32_e32 v10, 1, v4
	v_add_u32_e32 v4, -1, v5
	v_min_u32_e32 v4, v10, v4
	v_mad_u64_u32 v[4:5], s[2:3], v4, 20, v[22:23]
	ds_read_b32 v4, v4
	v_cndmask_b32_e64 v2, v2, v10, s[0:1]
	v_cndmask_b32_e64 v9, v10, v9, s[0:1]
	v_cmp_lt_u32_e64 s[4:5], v2, v3
	v_cmp_ge_u32_e64 s[2:3], v9, v6
	s_waitcnt lgkmcnt(0)
	v_cndmask_b32_e64 v11, v4, v7, s[0:1]
	v_cndmask_b32_e64 v12, v8, v4, s[0:1]
	v_cmp_le_i32_e64 s[8:9], v12, v11
	s_and_b64 s[4:5], s[4:5], s[8:9]
	s_or_b64 s[2:3], s[2:3], s[4:5]
	v_cndmask_b32_e64 v4, v9, v2, s[2:3]
	v_cndmask_b32_e64 v5, v6, v3, s[2:3]
	v_add_u32_e32 v17, 1, v4
	v_add_u32_e32 v4, -1, v5
	v_min_u32_e32 v4, v17, v4
	v_mad_u64_u32 v[4:5], s[4:5], v4, 20, v[22:23]
	ds_read_b32 v4, v4
	v_cndmask_b32_e32 v10, v0, v1, vcc
	v_cndmask_b32_e64 v2, v2, v17, s[2:3]
	v_cndmask_b32_e64 v1, v17, v9, s[2:3]
	v_cmp_lt_u32_e32 vcc, v2, v3
	s_waitcnt lgkmcnt(0)
	v_cndmask_b32_e64 v0, v12, v4, s[2:3]
	v_cndmask_b32_e64 v4, v4, v11, s[2:3]
	v_min_i32_e32 v5, v0, v4
	v_cndmask_b32_e64 v16, v11, v12, s[2:3]
	v_cndmask_b32_e32 v2, v4, v5, vcc
	v_cmp_lt_u32_e32 vcc, v1, v6
	v_cndmask_b32_e64 v14, v7, v8, s[0:1]
	v_cndmask_b32_e32 v18, v0, v2, vcc
	v_mov_b32_e32 v11, v10
	v_mov_b32_e32 v17, v16
	;; [unrolled: 1-line block ×4, first 2 shown]
	v_pk_mov_b32 v[0:1], v[10:11], v[10:11] op_sel:[0,1]
	v_pk_mov_b32 v[20:21], v[16:17], v[16:17] op_sel:[0,1]
.LBB3672_44:
	s_or_b64 exec, exec, s[22:23]
	v_mul_u32_u24_e32 v6, 20, v15
	v_mov_b32_e32 v2, v0
	v_mov_b32_e32 v3, v1
	;; [unrolled: 1-line block ×4, first 2 shown]
	; wave barrier
	s_waitcnt lgkmcnt(0)
	s_barrier
	ds_write_b128 v6, v[0:3]
	ds_write_b96 v6, v[10:12] offset:16
	ds_write2_b32 v6, v14, v5 offset0:7 offset1:8
	v_mov_b32_e32 v2, v20
	v_mov_b32_e32 v3, v21
	v_and_b32_e32 v11, 0xf80, v15
	ds_write2_b64 v6, v[20:21], v[2:3] offset0:5 offset1:6
	ds_write2_b32 v6, v14, v16 offset0:9 offset1:14
	ds_write2_b32 v6, v18, v7 offset0:15 offset1:16
	;; [unrolled: 1-line block ×3, first 2 shown]
	ds_write_b32 v6, v18 offset:76
	v_or_b32_e32 v2, 64, v11
	v_min_u32_e32 v3, 0x400, v2
	v_min_u32_e32 v2, 0x3c0, v2
	v_add_u32_e32 v8, 64, v2
	v_and_b32_e32 v12, 0x7c, v15
	v_sub_u32_e32 v4, v3, v11
	v_sub_u32_e32 v9, v8, v3
	v_sub_u32_e64 v9, v12, v9 clamp
	v_min_u32_e32 v17, v12, v4
	v_mul_u32_u24_e32 v2, 20, v11
	v_cmp_lt_u32_e32 vcc, v9, v17
	s_waitcnt lgkmcnt(0)
	s_barrier
	s_and_saveexec_b64 s[0:1], vcc
	s_cbranch_execz .LBB3672_48
; %bb.45:
	v_mul_u32_u24_e32 v4, 20, v12
	v_mad_u32_u24 v4, v3, 20, v4
	s_mov_b64 s[2:3], 0
.LBB3672_46:                            ; =>This Inner Loop Header: Depth=1
	v_add_u32_e32 v22, v17, v9
	v_lshrrev_b32_e32 v22, 1, v22
	v_not_b32_e32 v34, v22
	v_mad_u64_u32 v[32:33], s[4:5], v22, 20, v[2:3]
	v_mad_u64_u32 v[34:35], s[4:5], v34, 20, v[4:5]
	ds_read_b32 v32, v32
	ds_read_b32 v33, v34
	v_add_u32_e32 v34, 1, v22
	s_waitcnt lgkmcnt(0)
	v_cmp_gt_i32_e32 vcc, v32, v33
	v_cndmask_b32_e32 v17, v17, v22, vcc
	v_cndmask_b32_e32 v9, v34, v9, vcc
	v_cmp_ge_u32_e32 vcc, v9, v17
	s_or_b64 s[2:3], vcc, s[2:3]
	s_andn2_b64 exec, exec, s[2:3]
	s_cbranch_execnz .LBB3672_46
; %bb.47:
	s_or_b64 exec, exec, s[2:3]
.LBB3672_48:
	s_or_b64 exec, exec, s[0:1]
	v_sub_u32_e32 v12, v12, v9
	v_add_u32_e32 v4, v9, v11
	v_add_u32_e32 v11, v12, v3
	v_cmp_le_u32_e32 vcc, v4, v3
	v_cmp_le_u32_e64 s[0:1], v11, v8
	s_or_b64 s[0:1], vcc, s[0:1]
	s_and_saveexec_b64 s[22:23], s[0:1]
	s_cbranch_execz .LBB3672_54
; %bb.49:
	v_cmp_lt_u32_e32 vcc, v4, v3
	v_mov_b32_e32 v0, 0
	v_mov_b32_e32 v1, 0
	s_and_saveexec_b64 s[0:1], vcc
	s_cbranch_execz .LBB3672_51
; %bb.50:
	v_mad_u64_u32 v[16:17], s[2:3], v9, 20, v[2:3]
	ds_read_b32 v1, v16
.LBB3672_51:
	s_or_b64 exec, exec, s[0:1]
	v_cmp_ge_u32_e64 s[0:1], v11, v8
	v_cmp_lt_u32_e64 s[2:3], v11, v8
	s_and_saveexec_b64 s[4:5], s[2:3]
	s_cbranch_execz .LBB3672_53
; %bb.52:
	v_mul_lo_u32 v0, v11, 20
	ds_read_b32 v0, v0
.LBB3672_53:
	s_or_b64 exec, exec, s[4:5]
	s_waitcnt lgkmcnt(0)
	v_cmp_le_i32_e64 s[2:3], v1, v0
	s_and_b64 s[2:3], vcc, s[2:3]
	s_or_b64 vcc, s[0:1], s[2:3]
	v_cndmask_b32_e32 v2, v11, v4, vcc
	v_cndmask_b32_e32 v5, v8, v3, vcc
	v_add_u32_e32 v2, 1, v2
	v_add_u32_e32 v5, -1, v5
	v_min_u32_e32 v5, v2, v5
	v_mul_lo_u32 v5, v5, 20
	ds_read_b32 v5, v5
	v_cndmask_b32_e32 v7, v2, v11, vcc
	v_cndmask_b32_e32 v2, v4, v2, vcc
	v_cmp_lt_u32_e64 s[2:3], v2, v3
	v_cmp_ge_u32_e64 s[0:1], v7, v8
	s_waitcnt lgkmcnt(0)
	v_cndmask_b32_e32 v9, v5, v0, vcc
	v_cndmask_b32_e32 v5, v1, v5, vcc
	v_cmp_le_i32_e64 s[4:5], v5, v9
	s_and_b64 s[2:3], s[2:3], s[4:5]
	s_or_b64 s[0:1], s[0:1], s[2:3]
	v_cndmask_b32_e64 v4, v7, v2, s[0:1]
	v_cndmask_b32_e64 v10, v8, v3, s[0:1]
	v_add_u32_e32 v4, 1, v4
	v_add_u32_e32 v10, -1, v10
	v_min_u32_e32 v10, v4, v10
	v_mul_lo_u32 v10, v10, 20
	ds_read_b32 v10, v10
	v_cndmask_b32_e64 v2, v2, v4, s[0:1]
	v_cndmask_b32_e64 v7, v4, v7, s[0:1]
	v_cmp_lt_u32_e64 s[4:5], v2, v3
	v_cmp_ge_u32_e64 s[2:3], v7, v8
	s_waitcnt lgkmcnt(0)
	v_cndmask_b32_e64 v11, v10, v9, s[0:1]
	v_cndmask_b32_e64 v12, v5, v10, s[0:1]
	v_cmp_le_i32_e64 s[8:9], v12, v11
	s_and_b64 s[4:5], s[4:5], s[8:9]
	s_or_b64 s[2:3], s[2:3], s[4:5]
	v_cndmask_b32_e64 v4, v7, v2, s[2:3]
	v_cndmask_b32_e64 v10, v8, v3, s[2:3]
	v_add_u32_e32 v4, 1, v4
	v_add_u32_e32 v10, -1, v10
	v_min_u32_e32 v10, v4, v10
	v_mul_lo_u32 v10, v10, 20
	ds_read_b32 v17, v10
	v_cndmask_b32_e32 v10, v0, v1, vcc
	v_cndmask_b32_e64 v14, v9, v5, s[0:1]
	v_cndmask_b32_e64 v2, v2, v4, s[2:3]
	;; [unrolled: 1-line block ×3, first 2 shown]
	s_waitcnt lgkmcnt(0)
	v_cndmask_b32_e64 v0, v12, v17, s[2:3]
	v_cndmask_b32_e64 v5, v17, v11, s[2:3]
	v_min_i32_e32 v4, v0, v5
	v_cmp_lt_u32_e32 vcc, v2, v3
	v_cndmask_b32_e64 v16, v11, v12, s[2:3]
	v_cndmask_b32_e32 v2, v5, v4, vcc
	v_cmp_lt_u32_e32 vcc, v1, v8
	v_cndmask_b32_e32 v18, v0, v2, vcc
	v_mov_b32_e32 v11, v10
	v_mov_b32_e32 v17, v16
	;; [unrolled: 1-line block ×4, first 2 shown]
	v_pk_mov_b32 v[0:1], v[10:11], v[10:11] op_sel:[0,1]
	v_pk_mov_b32 v[20:21], v[16:17], v[16:17] op_sel:[0,1]
.LBB3672_54:
	s_or_b64 exec, exec, s[22:23]
	v_mov_b32_e32 v2, v0
	v_mov_b32_e32 v3, v1
	v_mov_b32_e32 v11, v14
	v_mov_b32_e32 v12, v5
	s_barrier
	ds_write_b128 v6, v[0:3]
	ds_write_b96 v6, v[10:12] offset:16
	ds_write2_b32 v6, v14, v5 offset0:7 offset1:8
	v_mov_b32_e32 v2, v20
	v_mov_b32_e32 v3, v21
	v_and_b32_e32 v11, 0xf00, v15
	ds_write2_b64 v6, v[20:21], v[2:3] offset0:5 offset1:6
	ds_write2_b32 v6, v14, v16 offset0:9 offset1:14
	ds_write2_b32 v6, v18, v7 offset0:15 offset1:16
	;; [unrolled: 1-line block ×3, first 2 shown]
	ds_write_b32 v6, v18 offset:76
	v_or_b32_e32 v2, 0x80, v11
	v_min_u32_e32 v3, 0x400, v2
	v_min_u32_e32 v2, 0x380, v2
	v_add_u32_e32 v8, 0x80, v2
	v_and_b32_e32 v12, 0xfc, v15
	v_sub_u32_e32 v4, v3, v11
	v_sub_u32_e32 v9, v8, v3
	v_sub_u32_e64 v9, v12, v9 clamp
	v_min_u32_e32 v17, v12, v4
	v_mul_u32_u24_e32 v2, 20, v11
	v_cmp_lt_u32_e32 vcc, v9, v17
	s_waitcnt lgkmcnt(0)
	s_barrier
	s_and_saveexec_b64 s[0:1], vcc
	s_cbranch_execz .LBB3672_58
; %bb.55:
	v_mul_u32_u24_e32 v4, 20, v12
	v_mad_u32_u24 v4, v3, 20, v4
	s_mov_b64 s[2:3], 0
.LBB3672_56:                            ; =>This Inner Loop Header: Depth=1
	v_add_u32_e32 v22, v17, v9
	v_lshrrev_b32_e32 v22, 1, v22
	v_not_b32_e32 v34, v22
	v_mad_u64_u32 v[32:33], s[4:5], v22, 20, v[2:3]
	v_mad_u64_u32 v[34:35], s[4:5], v34, 20, v[4:5]
	ds_read_b32 v32, v32
	ds_read_b32 v33, v34
	v_add_u32_e32 v34, 1, v22
	s_waitcnt lgkmcnt(0)
	v_cmp_gt_i32_e32 vcc, v32, v33
	v_cndmask_b32_e32 v17, v17, v22, vcc
	v_cndmask_b32_e32 v9, v34, v9, vcc
	v_cmp_ge_u32_e32 vcc, v9, v17
	s_or_b64 s[2:3], vcc, s[2:3]
	s_andn2_b64 exec, exec, s[2:3]
	s_cbranch_execnz .LBB3672_56
; %bb.57:
	s_or_b64 exec, exec, s[2:3]
.LBB3672_58:
	s_or_b64 exec, exec, s[0:1]
	v_sub_u32_e32 v12, v12, v9
	v_add_u32_e32 v4, v9, v11
	v_add_u32_e32 v11, v12, v3
	v_cmp_le_u32_e32 vcc, v4, v3
	v_cmp_le_u32_e64 s[0:1], v11, v8
	s_or_b64 s[0:1], vcc, s[0:1]
	s_and_saveexec_b64 s[22:23], s[0:1]
	s_cbranch_execz .LBB3672_64
; %bb.59:
	v_cmp_lt_u32_e32 vcc, v4, v3
	v_mov_b32_e32 v0, 0
	v_mov_b32_e32 v1, 0
	s_and_saveexec_b64 s[0:1], vcc
	s_cbranch_execz .LBB3672_61
; %bb.60:
	v_mad_u64_u32 v[16:17], s[2:3], v9, 20, v[2:3]
	ds_read_b32 v1, v16
.LBB3672_61:
	s_or_b64 exec, exec, s[0:1]
	v_cmp_ge_u32_e64 s[0:1], v11, v8
	v_cmp_lt_u32_e64 s[2:3], v11, v8
	s_and_saveexec_b64 s[4:5], s[2:3]
	s_cbranch_execz .LBB3672_63
; %bb.62:
	v_mul_lo_u32 v0, v11, 20
	ds_read_b32 v0, v0
.LBB3672_63:
	s_or_b64 exec, exec, s[4:5]
	s_waitcnt lgkmcnt(0)
	v_cmp_le_i32_e64 s[2:3], v1, v0
	s_and_b64 s[2:3], vcc, s[2:3]
	s_or_b64 vcc, s[0:1], s[2:3]
	v_cndmask_b32_e32 v2, v11, v4, vcc
	v_cndmask_b32_e32 v5, v8, v3, vcc
	v_add_u32_e32 v2, 1, v2
	v_add_u32_e32 v5, -1, v5
	v_min_u32_e32 v5, v2, v5
	v_mul_lo_u32 v5, v5, 20
	ds_read_b32 v5, v5
	v_cndmask_b32_e32 v7, v2, v11, vcc
	v_cndmask_b32_e32 v2, v4, v2, vcc
	v_cmp_lt_u32_e64 s[2:3], v2, v3
	v_cmp_ge_u32_e64 s[0:1], v7, v8
	s_waitcnt lgkmcnt(0)
	v_cndmask_b32_e32 v9, v5, v0, vcc
	v_cndmask_b32_e32 v5, v1, v5, vcc
	v_cmp_le_i32_e64 s[4:5], v5, v9
	s_and_b64 s[2:3], s[2:3], s[4:5]
	s_or_b64 s[0:1], s[0:1], s[2:3]
	v_cndmask_b32_e64 v4, v7, v2, s[0:1]
	v_cndmask_b32_e64 v10, v8, v3, s[0:1]
	v_add_u32_e32 v4, 1, v4
	v_add_u32_e32 v10, -1, v10
	v_min_u32_e32 v10, v4, v10
	v_mul_lo_u32 v10, v10, 20
	ds_read_b32 v10, v10
	v_cndmask_b32_e64 v2, v2, v4, s[0:1]
	v_cndmask_b32_e64 v7, v4, v7, s[0:1]
	v_cmp_lt_u32_e64 s[4:5], v2, v3
	v_cmp_ge_u32_e64 s[2:3], v7, v8
	s_waitcnt lgkmcnt(0)
	v_cndmask_b32_e64 v11, v10, v9, s[0:1]
	v_cndmask_b32_e64 v12, v5, v10, s[0:1]
	v_cmp_le_i32_e64 s[8:9], v12, v11
	s_and_b64 s[4:5], s[4:5], s[8:9]
	s_or_b64 s[2:3], s[2:3], s[4:5]
	v_cndmask_b32_e64 v4, v7, v2, s[2:3]
	v_cndmask_b32_e64 v10, v8, v3, s[2:3]
	v_add_u32_e32 v4, 1, v4
	v_add_u32_e32 v10, -1, v10
	v_min_u32_e32 v10, v4, v10
	v_mul_lo_u32 v10, v10, 20
	ds_read_b32 v17, v10
	v_cndmask_b32_e32 v10, v0, v1, vcc
	v_cndmask_b32_e64 v14, v9, v5, s[0:1]
	v_cndmask_b32_e64 v2, v2, v4, s[2:3]
	;; [unrolled: 1-line block ×3, first 2 shown]
	s_waitcnt lgkmcnt(0)
	v_cndmask_b32_e64 v0, v12, v17, s[2:3]
	v_cndmask_b32_e64 v5, v17, v11, s[2:3]
	v_min_i32_e32 v4, v0, v5
	v_cmp_lt_u32_e32 vcc, v2, v3
	v_cndmask_b32_e64 v16, v11, v12, s[2:3]
	v_cndmask_b32_e32 v2, v5, v4, vcc
	v_cmp_lt_u32_e32 vcc, v1, v8
	v_cndmask_b32_e32 v18, v0, v2, vcc
	v_mov_b32_e32 v11, v10
	v_mov_b32_e32 v17, v16
	;; [unrolled: 1-line block ×4, first 2 shown]
	v_pk_mov_b32 v[0:1], v[10:11], v[10:11] op_sel:[0,1]
	v_pk_mov_b32 v[20:21], v[16:17], v[16:17] op_sel:[0,1]
.LBB3672_64:
	s_or_b64 exec, exec, s[22:23]
	v_mov_b32_e32 v2, v0
	v_mov_b32_e32 v3, v1
	;; [unrolled: 1-line block ×4, first 2 shown]
	s_barrier
	ds_write_b128 v6, v[0:3]
	ds_write_b96 v6, v[10:12] offset:16
	ds_write2_b32 v6, v14, v5 offset0:7 offset1:8
	v_mov_b32_e32 v2, v20
	v_mov_b32_e32 v3, v21
	v_and_b32_e32 v11, 0xe00, v15
	ds_write2_b64 v6, v[20:21], v[2:3] offset0:5 offset1:6
	ds_write2_b32 v6, v14, v16 offset0:9 offset1:14
	ds_write2_b32 v6, v18, v7 offset0:15 offset1:16
	;; [unrolled: 1-line block ×3, first 2 shown]
	ds_write_b32 v6, v18 offset:76
	v_or_b32_e32 v2, 0x100, v11
	v_min_u32_e32 v3, 0x400, v2
	v_min_u32_e32 v2, 0x300, v2
	v_add_u32_e32 v8, 0x100, v2
	v_and_b32_e32 v12, 0x1fc, v15
	v_sub_u32_e32 v4, v3, v11
	v_sub_u32_e32 v9, v8, v3
	v_sub_u32_e64 v9, v12, v9 clamp
	v_min_u32_e32 v17, v12, v4
	v_mul_u32_u24_e32 v2, 20, v11
	v_cmp_lt_u32_e32 vcc, v9, v17
	s_waitcnt lgkmcnt(0)
	s_barrier
	s_and_saveexec_b64 s[0:1], vcc
	s_cbranch_execz .LBB3672_68
; %bb.65:
	v_mul_u32_u24_e32 v4, 20, v12
	v_mad_u32_u24 v4, v3, 20, v4
	s_mov_b64 s[2:3], 0
.LBB3672_66:                            ; =>This Inner Loop Header: Depth=1
	v_add_u32_e32 v22, v17, v9
	v_lshrrev_b32_e32 v22, 1, v22
	v_not_b32_e32 v34, v22
	v_mad_u64_u32 v[32:33], s[4:5], v22, 20, v[2:3]
	v_mad_u64_u32 v[34:35], s[4:5], v34, 20, v[4:5]
	ds_read_b32 v32, v32
	ds_read_b32 v33, v34
	v_add_u32_e32 v34, 1, v22
	s_waitcnt lgkmcnt(0)
	v_cmp_gt_i32_e32 vcc, v32, v33
	v_cndmask_b32_e32 v17, v17, v22, vcc
	v_cndmask_b32_e32 v9, v34, v9, vcc
	v_cmp_ge_u32_e32 vcc, v9, v17
	s_or_b64 s[2:3], vcc, s[2:3]
	s_andn2_b64 exec, exec, s[2:3]
	s_cbranch_execnz .LBB3672_66
; %bb.67:
	s_or_b64 exec, exec, s[2:3]
.LBB3672_68:
	s_or_b64 exec, exec, s[0:1]
	v_sub_u32_e32 v12, v12, v9
	v_add_u32_e32 v4, v9, v11
	v_add_u32_e32 v11, v12, v3
	v_cmp_le_u32_e32 vcc, v4, v3
	v_cmp_le_u32_e64 s[0:1], v11, v8
	s_or_b64 s[0:1], vcc, s[0:1]
	s_and_saveexec_b64 s[22:23], s[0:1]
	s_cbranch_execz .LBB3672_74
; %bb.69:
	v_cmp_lt_u32_e32 vcc, v4, v3
	v_mov_b32_e32 v0, 0
	v_mov_b32_e32 v1, 0
	s_and_saveexec_b64 s[0:1], vcc
	s_cbranch_execz .LBB3672_71
; %bb.70:
	v_mad_u64_u32 v[16:17], s[2:3], v9, 20, v[2:3]
	ds_read_b32 v1, v16
.LBB3672_71:
	s_or_b64 exec, exec, s[0:1]
	v_cmp_ge_u32_e64 s[0:1], v11, v8
	v_cmp_lt_u32_e64 s[2:3], v11, v8
	s_and_saveexec_b64 s[4:5], s[2:3]
	s_cbranch_execz .LBB3672_73
; %bb.72:
	v_mul_lo_u32 v0, v11, 20
	ds_read_b32 v0, v0
.LBB3672_73:
	s_or_b64 exec, exec, s[4:5]
	s_waitcnt lgkmcnt(0)
	v_cmp_le_i32_e64 s[2:3], v1, v0
	s_and_b64 s[2:3], vcc, s[2:3]
	s_or_b64 vcc, s[0:1], s[2:3]
	v_cndmask_b32_e32 v2, v11, v4, vcc
	v_cndmask_b32_e32 v5, v8, v3, vcc
	v_add_u32_e32 v2, 1, v2
	v_add_u32_e32 v5, -1, v5
	v_min_u32_e32 v5, v2, v5
	v_mul_lo_u32 v5, v5, 20
	ds_read_b32 v5, v5
	v_cndmask_b32_e32 v7, v2, v11, vcc
	v_cndmask_b32_e32 v2, v4, v2, vcc
	v_cmp_lt_u32_e64 s[2:3], v2, v3
	v_cmp_ge_u32_e64 s[0:1], v7, v8
	s_waitcnt lgkmcnt(0)
	v_cndmask_b32_e32 v9, v5, v0, vcc
	v_cndmask_b32_e32 v5, v1, v5, vcc
	v_cmp_le_i32_e64 s[4:5], v5, v9
	s_and_b64 s[2:3], s[2:3], s[4:5]
	s_or_b64 s[0:1], s[0:1], s[2:3]
	v_cndmask_b32_e64 v4, v7, v2, s[0:1]
	v_cndmask_b32_e64 v10, v8, v3, s[0:1]
	v_add_u32_e32 v4, 1, v4
	v_add_u32_e32 v10, -1, v10
	v_min_u32_e32 v10, v4, v10
	v_mul_lo_u32 v10, v10, 20
	ds_read_b32 v10, v10
	v_cndmask_b32_e64 v2, v2, v4, s[0:1]
	v_cndmask_b32_e64 v7, v4, v7, s[0:1]
	v_cmp_lt_u32_e64 s[4:5], v2, v3
	v_cmp_ge_u32_e64 s[2:3], v7, v8
	s_waitcnt lgkmcnt(0)
	v_cndmask_b32_e64 v11, v10, v9, s[0:1]
	v_cndmask_b32_e64 v12, v5, v10, s[0:1]
	v_cmp_le_i32_e64 s[8:9], v12, v11
	s_and_b64 s[4:5], s[4:5], s[8:9]
	s_or_b64 s[2:3], s[2:3], s[4:5]
	v_cndmask_b32_e64 v4, v7, v2, s[2:3]
	v_cndmask_b32_e64 v10, v8, v3, s[2:3]
	v_add_u32_e32 v4, 1, v4
	v_add_u32_e32 v10, -1, v10
	v_min_u32_e32 v10, v4, v10
	v_mul_lo_u32 v10, v10, 20
	ds_read_b32 v17, v10
	v_cndmask_b32_e32 v10, v0, v1, vcc
	v_cndmask_b32_e64 v14, v9, v5, s[0:1]
	v_cndmask_b32_e64 v2, v2, v4, s[2:3]
	;; [unrolled: 1-line block ×3, first 2 shown]
	s_waitcnt lgkmcnt(0)
	v_cndmask_b32_e64 v0, v12, v17, s[2:3]
	v_cndmask_b32_e64 v5, v17, v11, s[2:3]
	v_min_i32_e32 v4, v0, v5
	v_cmp_lt_u32_e32 vcc, v2, v3
	v_cndmask_b32_e64 v16, v11, v12, s[2:3]
	v_cndmask_b32_e32 v2, v5, v4, vcc
	v_cmp_lt_u32_e32 vcc, v1, v8
	v_cndmask_b32_e32 v18, v0, v2, vcc
	v_mov_b32_e32 v11, v10
	v_mov_b32_e32 v17, v16
	;; [unrolled: 1-line block ×4, first 2 shown]
	v_pk_mov_b32 v[0:1], v[10:11], v[10:11] op_sel:[0,1]
	v_pk_mov_b32 v[20:21], v[16:17], v[16:17] op_sel:[0,1]
.LBB3672_74:
	s_or_b64 exec, exec, s[22:23]
	v_mov_b32_e32 v2, v0
	v_mov_b32_e32 v3, v1
	s_barrier
	ds_write_b128 v6, v[0:3]
	v_mov_b32_e32 v11, v14
	v_mov_b32_e32 v12, v5
	;; [unrolled: 1-line block ×4, first 2 shown]
	v_and_b32_e32 v8, 0xc00, v15
	ds_write_b96 v6, v[10:12] offset:16
	ds_write2_b32 v6, v14, v5 offset0:7 offset1:8
	ds_write2_b64 v6, v[20:21], v[2:3] offset0:5 offset1:6
	ds_write2_b32 v6, v14, v16 offset0:9 offset1:14
	ds_write2_b32 v6, v18, v7 offset0:15 offset1:16
	;; [unrolled: 1-line block ×3, first 2 shown]
	ds_write_b32 v6, v18 offset:76
	v_or_b32_e32 v2, 0x200, v8
	v_min_u32_e32 v3, 0x400, v2
	v_and_b32_e32 v9, 0x3fc, v15
	v_sub_u32_e32 v4, v3, v8
	v_sub_u32_e32 v6, 0x400, v3
	v_sub_u32_e64 v6, v9, v6 clamp
	v_min_u32_e32 v11, v9, v4
	v_mul_u32_u24_e32 v2, 20, v8
	v_cmp_lt_u32_e32 vcc, v6, v11
	s_waitcnt lgkmcnt(0)
	s_barrier
	s_and_saveexec_b64 s[0:1], vcc
	s_cbranch_execz .LBB3672_78
; %bb.75:
	v_mul_u32_u24_e32 v4, 20, v9
	v_mad_u32_u24 v4, v3, 20, v4
	s_mov_b64 s[2:3], 0
.LBB3672_76:                            ; =>This Inner Loop Header: Depth=1
	v_add_u32_e32 v12, v11, v6
	v_lshrrev_b32_e32 v12, 1, v12
	v_not_b32_e32 v17, v12
	v_mad_u64_u32 v[32:33], s[4:5], v12, 20, v[2:3]
	v_mad_u64_u32 v[34:35], s[4:5], v17, 20, v[4:5]
	ds_read_b32 v17, v32
	ds_read_b32 v22, v34
	v_add_u32_e32 v32, 1, v12
	s_waitcnt lgkmcnt(0)
	v_cmp_gt_i32_e32 vcc, v17, v22
	v_cndmask_b32_e32 v11, v11, v12, vcc
	v_cndmask_b32_e32 v6, v32, v6, vcc
	v_cmp_ge_u32_e32 vcc, v6, v11
	s_or_b64 s[2:3], vcc, s[2:3]
	s_andn2_b64 exec, exec, s[2:3]
	s_cbranch_execnz .LBB3672_76
; %bb.77:
	s_or_b64 exec, exec, s[2:3]
.LBB3672_78:
	s_or_b64 exec, exec, s[0:1]
	v_sub_u32_e32 v9, v9, v6
	v_add_u32_e32 v4, v6, v8
	v_add_u32_e32 v8, v9, v3
	s_movk_i32 s0, 0x401
	v_cmp_le_u32_e32 vcc, v4, v3
	v_cmp_gt_u32_e64 s[0:1], s0, v8
	s_or_b64 s[0:1], vcc, s[0:1]
	s_and_saveexec_b64 s[22:23], s[0:1]
	s_cbranch_execz .LBB3672_84
; %bb.79:
	v_cmp_lt_u32_e32 vcc, v4, v3
	v_mov_b32_e32 v0, 0
	v_mov_b32_e32 v1, 0
	s_and_saveexec_b64 s[0:1], vcc
	s_cbranch_execz .LBB3672_81
; %bb.80:
	v_mad_u64_u32 v[6:7], s[2:3], v6, 20, v[2:3]
	ds_read_b32 v1, v6
.LBB3672_81:
	s_or_b64 exec, exec, s[0:1]
	s_movk_i32 s8, 0x3ff
	s_movk_i32 s7, 0x400
	v_cmp_lt_u32_e64 s[0:1], s8, v8
	v_cmp_gt_u32_e64 s[2:3], s7, v8
	s_and_saveexec_b64 s[4:5], s[2:3]
	s_cbranch_execz .LBB3672_83
; %bb.82:
	v_mul_lo_u32 v0, v8, 20
	ds_read_b32 v0, v0
.LBB3672_83:
	s_or_b64 exec, exec, s[4:5]
	s_waitcnt lgkmcnt(0)
	v_cmp_le_i32_e64 s[2:3], v1, v0
	s_and_b64 s[2:3], vcc, s[2:3]
	s_or_b64 vcc, s[0:1], s[2:3]
	v_cndmask_b32_e32 v2, v8, v4, vcc
	v_add_u32_e32 v5, -1, v3
	v_mov_b32_e32 v6, 0x3ff
	v_add_u32_e32 v2, 1, v2
	v_cndmask_b32_e32 v7, v6, v5, vcc
	v_min_u32_e32 v7, v2, v7
	v_mul_lo_u32 v7, v7, 20
	ds_read_b32 v7, v7
	v_cndmask_b32_e32 v8, v2, v8, vcc
	v_cndmask_b32_e32 v2, v4, v2, vcc
	v_cmp_lt_u32_e64 s[2:3], v2, v3
	v_cmp_lt_u32_e64 s[0:1], s8, v8
	s_waitcnt lgkmcnt(0)
	v_cndmask_b32_e32 v9, v7, v0, vcc
	v_cndmask_b32_e32 v7, v1, v7, vcc
	v_cmp_le_i32_e64 s[4:5], v7, v9
	s_and_b64 s[2:3], s[2:3], s[4:5]
	s_or_b64 s[0:1], s[0:1], s[2:3]
	v_cndmask_b32_e64 v4, v8, v2, s[0:1]
	v_add_u32_e32 v4, 1, v4
	v_cndmask_b32_e64 v10, v6, v5, s[0:1]
	v_min_u32_e32 v10, v4, v10
	v_mul_lo_u32 v10, v10, 20
	ds_read_b32 v10, v10
	v_cndmask_b32_e64 v8, v4, v8, s[0:1]
	v_cndmask_b32_e64 v2, v2, v4, s[0:1]
	v_cmp_lt_u32_e64 s[2:3], s8, v8
	v_cmp_lt_u32_e64 s[4:5], v2, v3
	s_waitcnt lgkmcnt(0)
	v_cndmask_b32_e64 v11, v10, v9, s[0:1]
	v_cndmask_b32_e64 v12, v7, v10, s[0:1]
	v_cmp_le_i32_e64 s[8:9], v12, v11
	s_and_b64 s[4:5], s[4:5], s[8:9]
	s_or_b64 s[2:3], s[2:3], s[4:5]
	v_cndmask_b32_e64 v4, v8, v2, s[2:3]
	v_add_u32_e32 v4, 1, v4
	v_cndmask_b32_e64 v5, v6, v5, s[2:3]
	v_min_u32_e32 v5, v4, v5
	v_mul_lo_u32 v5, v5, 20
	ds_read_b32 v5, v5
	v_cndmask_b32_e32 v10, v0, v1, vcc
	v_cndmask_b32_e64 v2, v2, v4, s[2:3]
	v_cndmask_b32_e64 v1, v4, v8, s[2:3]
	v_cmp_lt_u32_e32 vcc, v2, v3
	s_waitcnt lgkmcnt(0)
	v_cndmask_b32_e64 v0, v12, v5, s[2:3]
	v_cndmask_b32_e64 v5, v5, v11, s[2:3]
	v_min_i32_e32 v4, v0, v5
	v_cndmask_b32_e64 v16, v11, v12, s[2:3]
	v_cndmask_b32_e32 v2, v5, v4, vcc
	v_cmp_gt_u32_e32 vcc, s7, v1
	v_cndmask_b32_e64 v14, v9, v7, s[0:1]
	v_cndmask_b32_e32 v18, v0, v2, vcc
	v_mov_b32_e32 v11, v10
	v_mov_b32_e32 v17, v16
	;; [unrolled: 1-line block ×4, first 2 shown]
	v_pk_mov_b32 v[0:1], v[10:11], v[10:11] op_sel:[0,1]
	v_pk_mov_b32 v[20:21], v[16:17], v[16:17] op_sel:[0,1]
.LBB3672_84:
	s_or_b64 exec, exec, s[22:23]
	s_barrier
	s_barrier
	ds_write2_b32 v31, v0, v1 offset1:1
	ds_write2_b32 v31, v0, v1 offset0:2 offset1:3
	ds_write2_b32 v31, v14, v5 offset0:5 offset1:6
	;; [unrolled: 1-line block ×9, first 2 shown]
	s_waitcnt lgkmcnt(0)
	s_barrier
	ds_read_b32 v2, v27
	ds_read_b32 v28, v28 offset:5120
	ds_read_b32 v32, v29 offset:10240
	;; [unrolled: 1-line block ×3, first 2 shown]
	v_mad_u64_u32 v[8:9], s[0:1], v13, 20, s[14:15]
	s_waitcnt lgkmcnt(3)
	v_mov_b32_e32 v3, v2
	v_mov_b32_e32 v4, v2
	;; [unrolled: 1-line block ×3, first 2 shown]
	s_movk_i32 s0, 0x1000
	flat_store_dwordx4 v[8:9], v[2:5]
	flat_store_dword v[8:9], v2 offset:16
	v_add_co_u32_e32 v2, vcc, s0, v8
	s_waitcnt lgkmcnt(0)
	v_mov_b32_e32 v29, v28
	v_mov_b32_e32 v30, v28
	;; [unrolled: 1-line block ×3, first 2 shown]
	v_addc_co_u32_e32 v3, vcc, 0, v9, vcc
	flat_store_dwordx4 v[2:3], v[28:31] offset:1024
	flat_store_dword v[2:3], v28 offset:1040
	v_add_co_u32_e32 v2, vcc, 0x2000, v8
	v_mov_b32_e32 v33, v32
	v_mov_b32_e32 v34, v32
	;; [unrolled: 1-line block ×3, first 2 shown]
	v_addc_co_u32_e32 v3, vcc, 0, v9, vcc
	flat_store_dwordx4 v[2:3], v[32:35] offset:2048
	flat_store_dword v[2:3], v32 offset:2064
	s_mov_b64 s[22:23], -1
	s_branch .LBB3672_152
.LBB3672_85:
	s_mov_b64 s[22:23], 0
                                        ; implicit-def: $vgpr0
                                        ; implicit-def: $vgpr8_vgpr9
	s_cbranch_execz .LBB3672_152
; %bb.86:
	s_lshl_b64 s[0:1], s[18:19], 10
	s_sub_i32 s18, s20, s0
	v_cmp_gt_u32_e32 vcc, s18, v13
	v_mov_b32_e32 v0, 0
	v_mov_b32_e32 v1, 0
	s_and_saveexec_b64 s[0:1], vcc
	s_cbranch_execz .LBB3672_88
; %bb.87:
	v_mad_u64_u32 v[2:3], s[2:3], v13, 20, s[16:17]
	flat_load_dword v1, v[2:3]
.LBB3672_88:
	s_or_b64 exec, exec, s[0:1]
	v_add_u32_e32 v3, 0x100, v13
	v_cmp_gt_u32_e64 s[2:3], s18, v3
	s_and_saveexec_b64 s[0:1], s[2:3]
	s_cbranch_execz .LBB3672_90
; %bb.89:
	v_mad_u64_u32 v[4:5], s[4:5], v3, 20, s[16:17]
	flat_load_dword v0, v[4:5]
.LBB3672_90:
	s_or_b64 exec, exec, s[0:1]
	v_add_u32_e32 v5, 0x200, v13
	v_cmp_gt_u32_e64 s[0:1], s18, v5
	v_mov_b32_e32 v2, 0
	v_mov_b32_e32 v4, 0
	s_and_saveexec_b64 s[4:5], s[0:1]
	s_cbranch_execz .LBB3672_92
; %bb.91:
	v_mad_u64_u32 v[6:7], s[8:9], v5, 20, s[16:17]
	flat_load_dword v4, v[6:7]
.LBB3672_92:
	s_or_b64 exec, exec, s[4:5]
	v_add_u32_e32 v6, 0x300, v13
	v_cmp_gt_u32_e64 s[22:23], s18, v6
	s_and_saveexec_b64 s[4:5], s[22:23]
	s_cbranch_execz .LBB3672_94
; %bb.93:
	v_mad_u64_u32 v[8:9], s[8:9], v6, 20, s[16:17]
	flat_load_dword v2, v[8:9]
.LBB3672_94:
	s_or_b64 exec, exec, s[4:5]
	v_mad_u32_u24 v16, v26, 20, v25
	s_waitcnt vmcnt(0) lgkmcnt(0)
	ds_write2_b32 v16, v1, v1 offset1:1
	ds_write2_b32 v16, v1, v1 offset0:2 offset1:3
	ds_write_b32 v16, v1 offset:16
	v_lshrrev_b32_e32 v1, 5, v3
	v_mad_u32_u24 v17, v1, 20, v25
	v_add_u32_e32 v1, 0x1400, v17
	ds_write2_b32 v1, v0, v0 offset1:1
	v_add_u32_e32 v1, 0x1408, v17
	ds_write2_b32 v1, v0, v0 offset1:1
	ds_write_b32 v17, v0 offset:5136
	v_lshrrev_b32_e32 v0, 5, v5
	v_mad_u32_u24 v18, v0, 20, v25
	v_add_u32_e32 v0, 0x2800, v18
	ds_write2_b32 v0, v4, v4 offset1:1
	v_add_u32_e32 v0, 0x2808, v18
	ds_write2_b32 v0, v4, v4 offset1:1
	;; [unrolled: 7-line block ×3, first 2 shown]
	ds_write_b32 v20, v2 offset:15376
	v_add_u32_e32 v0, v24, v15
	v_mul_u32_u24_e32 v21, 20, v0
	s_waitcnt lgkmcnt(0)
	s_barrier
	ds_read2_b32 v[0:1], v21 offset1:5
	ds_read2_b32 v[2:3], v21 offset0:10 offset1:15
	s_waitcnt lgkmcnt(0)
	s_barrier
	s_load_dword s4, s[10:11], 0xc
	v_mov_b32_e32 v4, 0
	s_movk_i32 s16, 0x50
	s_waitcnt lgkmcnt(0)
	s_lshr_b32 s8, s4, 16
	s_cmp_lt_u32 s6, s12
	s_cselect_b32 s4, 12, 18
	s_add_u32 s4, s10, s4
	s_addc_u32 s5, s11, 0
	global_load_ushort v5, v4, s[4:5]
	v_mad_u32_u24 v8, v23, s8, v19
	v_mbcnt_lo_u32_b32 v4, -1, 0
	v_mbcnt_hi_u32_b32 v6, -1, v4
	v_cmp_gt_i32_e64 s[4:5], v0, v1
	v_cmp_gt_i32_e64 s[6:7], v2, v3
	v_lshlrev_b32_e32 v22, 2, v6
	v_or_b32_e32 v7, 4, v22
	v_and_b32_e32 v9, 4, v22
	v_and_b32_e32 v4, 0x1f8, v22
	s_waitcnt vmcnt(0)
	v_mul_lo_u32 v5, v8, v5
	v_add_lshl_u32 v5, v5, v13, 2
	v_sub_u32_e64 v8, s18, v5 clamp
	v_cmp_lt_u32_e64 s[8:9], 1, v8
	v_cmp_lt_u32_e64 s[10:11], 3, v8
	v_and_b32_e32 v5, 0xffffff00, v5
	s_and_b64 s[4:5], s[8:9], s[4:5]
	s_and_b64 s[6:7], s[10:11], s[6:7]
	v_sub_u32_e64 v19, s18, v5 clamp
	v_cndmask_b32_e64 v10, v1, v0, s[4:5]
	v_cndmask_b32_e64 v0, v0, v1, s[4:5]
	;; [unrolled: 1-line block ×3, first 2 shown]
	v_cmp_lt_u32_e64 s[12:13], 2, v8
	v_min_u32_e32 v7, v19, v7
	v_cmp_gt_i32_e64 s[4:5], v10, v1
	v_cndmask_b32_e64 v11, v3, v2, s[6:7]
	v_add_u32_e32 v2, 4, v7
	s_and_b64 s[4:5], s[12:13], s[4:5]
	v_mul_lo_u32 v8, v5, 20
	v_min_u32_e32 v5, v19, v9
	v_min_u32_e32 v9, v19, v2
	v_cndmask_b32_e64 v2, v1, v10, s[4:5]
	v_cndmask_b32_e64 v1, v10, v1, s[4:5]
	v_cmp_gt_i32_e64 s[4:5], v2, v11
	v_cmp_gt_i32_e64 s[6:7], v0, v1
	s_and_b64 s[4:5], s[10:11], s[4:5]
	s_and_b64 s[6:7], s[8:9], s[6:7]
	v_cndmask_b32_e64 v14, v11, v2, s[4:5]
	v_cndmask_b32_e64 v12, v1, v0, s[6:7]
	;; [unrolled: 1-line block ×3, first 2 shown]
	v_cmp_gt_i32_e64 s[4:5], v12, v11
	v_cndmask_b32_e64 v0, v0, v1, s[6:7]
	s_and_b64 s[4:5], s[12:13], s[4:5]
	v_mad_u32_u24 v23, v6, s16, v8
	v_cndmask_b32_e64 v10, v11, v12, s[4:5]
	v_mov_b32_e32 v1, v0
	v_mov_b32_e32 v2, v0
	;; [unrolled: 1-line block ×3, first 2 shown]
	v_cndmask_b32_e64 v12, v12, v11, s[4:5]
	ds_write2_b32 v23, v14, v14 offset0:15 offset1:16
	ds_write2_b32 v23, v14, v14 offset0:17 offset1:18
	ds_write_b32 v23, v14 offset:76
	ds_write_b128 v23, v[0:3]
	v_mov_b32_e32 v1, v12
	v_sub_u32_e32 v26, v7, v4
	v_mov_b32_e32 v11, v10
	v_mov_b32_e32 v24, v10
	;; [unrolled: 1-line block ×4, first 2 shown]
	ds_write2_b32 v23, v12, v12 offset0:7 offset1:8
	ds_write2_b64 v23, v[10:11], v[24:25] offset0:5 offset1:6
	ds_write2_b32 v23, v12, v10 offset0:9 offset1:14
	ds_write_b96 v23, v[0:2] offset:16
	v_sub_u32_e32 v1, v9, v7
	v_sub_u32_e64 v1, v5, v1 clamp
	v_min_u32_e32 v3, v5, v26
	v_mad_u32_u24 v6, v4, 20, v8
	v_cmp_lt_u32_e64 s[4:5], v1, v3
	; wave barrier
	s_and_saveexec_b64 s[6:7], s[4:5]
	s_cbranch_execz .LBB3672_98
; %bb.95:
	v_mul_u32_u24_e32 v2, 20, v7
	v_mul_u32_u24_e32 v11, 20, v5
	v_add3_u32 v2, v8, v2, v11
	s_mov_b64 s[8:9], 0
.LBB3672_96:                            ; =>This Inner Loop Header: Depth=1
	v_add_u32_e32 v11, v3, v1
	v_lshrrev_b32_e32 v11, 1, v11
	v_not_b32_e32 v26, v11
	v_mad_u64_u32 v[24:25], s[4:5], v11, 20, v[6:7]
	v_mad_u64_u32 v[26:27], s[4:5], v26, 20, v[2:3]
	ds_read_b32 v24, v24
	ds_read_b32 v25, v26
	v_add_u32_e32 v26, 1, v11
	s_waitcnt lgkmcnt(0)
	v_cmp_gt_i32_e64 s[4:5], v24, v25
	v_cndmask_b32_e64 v3, v3, v11, s[4:5]
	v_cndmask_b32_e64 v1, v26, v1, s[4:5]
	v_cmp_ge_u32_e64 s[4:5], v1, v3
	s_or_b64 s[8:9], s[4:5], s[8:9]
	s_andn2_b64 exec, exec, s[8:9]
	s_cbranch_execnz .LBB3672_96
; %bb.97:
	s_or_b64 exec, exec, s[8:9]
.LBB3672_98:
	s_or_b64 exec, exec, s[6:7]
	v_add_u32_e32 v2, v7, v5
	v_add_u32_e32 v3, v1, v4
	v_sub_u32_e32 v11, v2, v1
	v_cmp_le_u32_e64 s[4:5], v3, v7
	v_cmp_le_u32_e64 s[6:7], v11, v9
	s_or_b64 s[4:5], s[4:5], s[6:7]
	v_pk_mov_b32 v[4:5], v[0:1], v[0:1] op_sel:[0,1]
	s_and_saveexec_b64 s[16:17], s[4:5]
	s_cbranch_execz .LBB3672_104
; %bb.99:
	v_cmp_lt_u32_e64 s[4:5], v3, v7
	v_mov_b32_e32 v0, 0
	v_mov_b32_e32 v2, 0
	s_and_saveexec_b64 s[6:7], s[4:5]
	s_cbranch_execz .LBB3672_101
; %bb.100:
	v_mad_u64_u32 v[4:5], s[8:9], v1, 20, v[6:7]
	ds_read_b32 v2, v4
.LBB3672_101:
	s_or_b64 exec, exec, s[6:7]
	v_cmp_ge_u32_e64 s[6:7], v11, v9
	v_cmp_lt_u32_e64 s[8:9], v11, v9
	s_and_saveexec_b64 s[10:11], s[8:9]
	s_cbranch_execz .LBB3672_103
; %bb.102:
	v_mad_u64_u32 v[0:1], s[8:9], v11, 20, v[8:9]
	ds_read_b32 v0, v0
.LBB3672_103:
	s_or_b64 exec, exec, s[10:11]
	s_waitcnt lgkmcnt(0)
	v_cmp_le_i32_e64 s[8:9], v2, v0
	s_and_b64 s[4:5], s[4:5], s[8:9]
	s_or_b64 s[4:5], s[6:7], s[4:5]
	v_cndmask_b32_e64 v1, v11, v3, s[4:5]
	v_cndmask_b32_e64 v4, v9, v7, s[4:5]
	v_add_u32_e32 v1, 1, v1
	v_add_u32_e32 v4, -1, v4
	v_min_u32_e32 v4, v1, v4
	v_mad_u64_u32 v[4:5], s[6:7], v4, 20, v[8:9]
	ds_read_b32 v4, v4
	v_cndmask_b32_e64 v11, v1, v11, s[4:5]
	v_cndmask_b32_e64 v1, v3, v1, s[4:5]
	v_cmp_lt_u32_e64 s[8:9], v1, v7
	v_cmp_ge_u32_e64 s[6:7], v11, v9
	s_waitcnt lgkmcnt(0)
	v_cndmask_b32_e64 v6, v4, v0, s[4:5]
	v_cndmask_b32_e64 v10, v2, v4, s[4:5]
	v_cmp_le_i32_e64 s[10:11], v10, v6
	s_and_b64 s[8:9], s[8:9], s[10:11]
	s_or_b64 s[6:7], s[6:7], s[8:9]
	v_cndmask_b32_e64 v3, v11, v1, s[6:7]
	v_cndmask_b32_e64 v4, v9, v7, s[6:7]
	v_add_u32_e32 v3, 1, v3
	v_add_u32_e32 v4, -1, v4
	v_min_u32_e32 v4, v3, v4
	v_mad_u64_u32 v[4:5], s[8:9], v4, 20, v[8:9]
	ds_read_b32 v4, v4
	v_cndmask_b32_e64 v1, v1, v3, s[6:7]
	v_cndmask_b32_e64 v11, v3, v11, s[6:7]
	v_cmp_lt_u32_e64 s[10:11], v1, v7
	v_cmp_ge_u32_e64 s[8:9], v11, v9
	s_waitcnt lgkmcnt(0)
	v_cndmask_b32_e64 v14, v4, v6, s[6:7]
	v_cndmask_b32_e64 v24, v10, v4, s[6:7]
	v_cmp_le_i32_e64 s[12:13], v24, v14
	s_and_b64 s[10:11], s[10:11], s[12:13]
	s_or_b64 s[8:9], s[8:9], s[10:11]
	v_cndmask_b32_e64 v3, v11, v1, s[8:9]
	v_cndmask_b32_e64 v4, v9, v7, s[8:9]
	v_add_u32_e32 v3, 1, v3
	v_add_u32_e32 v4, -1, v4
	v_min_u32_e32 v4, v3, v4
	v_mad_u64_u32 v[4:5], s[10:11], v4, 20, v[8:9]
	ds_read_b32 v4, v4
	v_cndmask_b32_e64 v0, v0, v2, s[4:5]
	v_cndmask_b32_e64 v1, v1, v3, s[8:9]
	;; [unrolled: 1-line block ×3, first 2 shown]
	v_cmp_lt_u32_e64 s[4:5], v1, v7
	s_waitcnt lgkmcnt(0)
	v_cndmask_b32_e64 v2, v24, v4, s[8:9]
	v_cndmask_b32_e64 v4, v4, v14, s[8:9]
	v_min_i32_e32 v3, v2, v4
	v_cndmask_b32_e64 v1, v4, v3, s[4:5]
	v_cmp_lt_u32_e64 s[4:5], v5, v9
	v_cndmask_b32_e64 v12, v6, v10, s[6:7]
	v_cndmask_b32_e64 v10, v14, v24, s[8:9]
	;; [unrolled: 1-line block ×3, first 2 shown]
	v_pk_mov_b32 v[4:5], v[0:1], v[0:1] op_sel:[0,1]
.LBB3672_104:
	s_or_b64 exec, exec, s[16:17]
	v_mov_b32_e32 v5, v0
	v_mov_b32_e32 v6, v4
	;; [unrolled: 1-line block ×5, first 2 shown]
	v_and_b32_e32 v25, 0x1f0, v22
	; wave barrier
	ds_write_b128 v23, v[4:7]
	ds_write_b96 v23, v[0:2] offset:16
	ds_write2_b32 v23, v12, v12 offset0:7 offset1:8
	v_or_b32_e32 v1, 8, v25
	v_min_u32_e32 v1, v19, v1
	v_mov_b32_e32 v11, v10
	v_mov_b32_e32 v6, v10
	;; [unrolled: 1-line block ×3, first 2 shown]
	v_add_u32_e32 v2, 8, v1
	ds_write2_b64 v23, v[10:11], v[6:7] offset0:5 offset1:6
	ds_write2_b32 v23, v12, v10 offset0:9 offset1:14
	ds_write2_b32 v23, v14, v14 offset0:15 offset1:16
	;; [unrolled: 1-line block ×3, first 2 shown]
	ds_write_b32 v23, v14 offset:76
	v_min_u32_e32 v7, v19, v2
	v_and_b32_e32 v2, 12, v22
	v_min_u32_e32 v26, v19, v2
	v_sub_u32_e32 v5, v1, v25
	v_sub_u32_e32 v6, v7, v1
	v_sub_u32_e64 v24, v26, v6 clamp
	v_min_u32_e32 v5, v26, v5
	v_mov_b32_e32 v3, v12
	v_mov_b32_e32 v9, v14
	v_mad_u32_u24 v2, v25, 20, v8
	v_cmp_lt_u32_e64 s[4:5], v24, v5
	; wave barrier
	s_and_saveexec_b64 s[6:7], s[4:5]
	s_cbranch_execz .LBB3672_108
; %bb.105:
	v_mul_u32_u24_e32 v6, 20, v1
	v_mul_u32_u24_e32 v11, 20, v26
	v_add3_u32 v6, v8, v6, v11
	s_mov_b64 s[8:9], 0
.LBB3672_106:                           ; =>This Inner Loop Header: Depth=1
	v_add_u32_e32 v11, v5, v24
	v_lshrrev_b32_e32 v11, 1, v11
	v_not_b32_e32 v27, v11
	v_mad_u64_u32 v[28:29], s[4:5], v11, 20, v[2:3]
	v_mad_u64_u32 v[30:31], s[4:5], v27, 20, v[6:7]
	ds_read_b32 v27, v28
	ds_read_b32 v28, v30
	v_add_u32_e32 v29, 1, v11
	s_waitcnt lgkmcnt(0)
	v_cmp_gt_i32_e64 s[4:5], v27, v28
	v_cndmask_b32_e64 v5, v5, v11, s[4:5]
	v_cndmask_b32_e64 v24, v29, v24, s[4:5]
	v_cmp_ge_u32_e64 s[4:5], v24, v5
	s_or_b64 s[8:9], s[4:5], s[8:9]
	s_andn2_b64 exec, exec, s[8:9]
	s_cbranch_execnz .LBB3672_106
; %bb.107:
	s_or_b64 exec, exec, s[8:9]
.LBB3672_108:
	s_or_b64 exec, exec, s[6:7]
	v_add_u32_e32 v6, v24, v25
	v_add_u32_e32 v25, v1, v26
	v_sub_u32_e32 v25, v25, v24
	v_cmp_le_u32_e64 s[4:5], v6, v1
	v_cmp_le_u32_e64 s[6:7], v25, v7
	v_mov_b32_e32 v5, v0
	v_mov_b32_e32 v11, v10
	s_or_b64 s[4:5], s[4:5], s[6:7]
	s_and_saveexec_b64 s[16:17], s[4:5]
	s_cbranch_execz .LBB3672_114
; %bb.109:
	v_cmp_lt_u32_e64 s[4:5], v6, v1
	v_mov_b32_e32 v0, 0
	v_mov_b32_e32 v3, 0
	s_and_saveexec_b64 s[6:7], s[4:5]
	s_cbranch_execz .LBB3672_111
; %bb.110:
	v_mad_u64_u32 v[2:3], s[8:9], v24, 20, v[2:3]
	ds_read_b32 v3, v2
.LBB3672_111:
	s_or_b64 exec, exec, s[6:7]
	v_cmp_ge_u32_e64 s[6:7], v25, v7
	v_cmp_lt_u32_e64 s[8:9], v25, v7
	s_and_saveexec_b64 s[10:11], s[8:9]
	s_cbranch_execz .LBB3672_113
; %bb.112:
	v_mad_u64_u32 v[4:5], s[8:9], v25, 20, v[8:9]
	ds_read_b32 v0, v4
.LBB3672_113:
	s_or_b64 exec, exec, s[10:11]
	s_waitcnt lgkmcnt(0)
	v_cmp_le_i32_e64 s[8:9], v3, v0
	s_and_b64 s[4:5], s[4:5], s[8:9]
	s_or_b64 s[4:5], s[6:7], s[4:5]
	v_cndmask_b32_e64 v2, v25, v6, s[4:5]
	v_cndmask_b32_e64 v4, v7, v1, s[4:5]
	v_add_u32_e32 v2, 1, v2
	v_add_u32_e32 v4, -1, v4
	v_min_u32_e32 v4, v2, v4
	v_mad_u64_u32 v[4:5], s[6:7], v4, 20, v[8:9]
	ds_read_b32 v4, v4
	v_cndmask_b32_e64 v11, v2, v25, s[4:5]
	v_cndmask_b32_e64 v2, v6, v2, s[4:5]
	v_cmp_lt_u32_e64 s[8:9], v2, v1
	v_cmp_ge_u32_e64 s[6:7], v11, v7
	s_waitcnt lgkmcnt(0)
	v_cndmask_b32_e64 v9, v4, v0, s[4:5]
	v_cndmask_b32_e64 v10, v3, v4, s[4:5]
	v_cmp_le_i32_e64 s[10:11], v10, v9
	s_and_b64 s[8:9], s[8:9], s[10:11]
	s_or_b64 s[6:7], s[6:7], s[8:9]
	v_cndmask_b32_e64 v4, v11, v2, s[6:7]
	v_cndmask_b32_e64 v5, v7, v1, s[6:7]
	v_add_u32_e32 v6, 1, v4
	v_add_u32_e32 v4, -1, v5
	v_min_u32_e32 v4, v6, v4
	v_mad_u64_u32 v[4:5], s[8:9], v4, 20, v[8:9]
	ds_read_b32 v4, v4
	v_cndmask_b32_e64 v2, v2, v6, s[6:7]
	v_cndmask_b32_e64 v11, v6, v11, s[6:7]
	v_cmp_lt_u32_e64 s[10:11], v2, v1
	v_cmp_ge_u32_e64 s[8:9], v11, v7
	s_waitcnt lgkmcnt(0)
	v_cndmask_b32_e64 v14, v4, v9, s[6:7]
	v_cndmask_b32_e64 v24, v10, v4, s[6:7]
	v_cmp_le_i32_e64 s[12:13], v24, v14
	s_and_b64 s[10:11], s[10:11], s[12:13]
	s_or_b64 s[8:9], s[8:9], s[10:11]
	v_cndmask_b32_e64 v4, v11, v2, s[8:9]
	v_cndmask_b32_e64 v5, v7, v1, s[8:9]
	v_add_u32_e32 v6, 1, v4
	v_add_u32_e32 v4, -1, v5
	v_min_u32_e32 v4, v6, v4
	v_mad_u64_u32 v[4:5], s[10:11], v4, 20, v[8:9]
	ds_read_b32 v4, v4
	v_cndmask_b32_e64 v0, v0, v3, s[4:5]
	v_cndmask_b32_e64 v2, v2, v6, s[8:9]
	;; [unrolled: 1-line block ×3, first 2 shown]
	v_cmp_lt_u32_e64 s[4:5], v2, v1
	s_waitcnt lgkmcnt(0)
	v_cndmask_b32_e64 v3, v24, v4, s[8:9]
	v_cndmask_b32_e64 v4, v4, v14, s[8:9]
	v_min_i32_e32 v6, v3, v4
	v_cndmask_b32_e64 v1, v4, v6, s[4:5]
	v_cmp_lt_u32_e64 s[4:5], v5, v7
	v_cndmask_b32_e64 v12, v9, v10, s[6:7]
	v_cndmask_b32_e64 v10, v14, v24, s[8:9]
	;; [unrolled: 1-line block ×3, first 2 shown]
	v_mov_b32_e32 v1, v0
	v_mov_b32_e32 v3, v12
	;; [unrolled: 1-line block ×4, first 2 shown]
	v_pk_mov_b32 v[4:5], v[0:1], v[0:1] op_sel:[0,1]
.LBB3672_114:
	s_or_b64 exec, exec, s[16:17]
	v_mov_b32_e32 v6, v4
	v_mov_b32_e32 v7, v5
	;; [unrolled: 1-line block ×4, first 2 shown]
	v_and_b32_e32 v25, 0x1e0, v22
	; wave barrier
	ds_write_b128 v23, v[4:7]
	ds_write_b96 v23, v[0:2] offset:16
	ds_write2_b32 v23, v12, v3 offset0:7 offset1:8
	v_or_b32_e32 v1, 16, v25
	v_min_u32_e32 v1, v19, v1
	v_mov_b32_e32 v6, v10
	v_mov_b32_e32 v7, v11
	v_add_u32_e32 v2, 16, v1
	ds_write2_b64 v23, v[10:11], v[6:7] offset0:5 offset1:6
	ds_write2_b32 v23, v12, v10 offset0:9 offset1:14
	ds_write2_b32 v23, v14, v9 offset0:15 offset1:16
	;; [unrolled: 1-line block ×3, first 2 shown]
	ds_write_b32 v23, v14 offset:76
	v_min_u32_e32 v7, v19, v2
	v_and_b32_e32 v2, 28, v22
	v_min_u32_e32 v26, v19, v2
	v_sub_u32_e32 v6, v1, v25
	v_sub_u32_e32 v24, v7, v1
	v_sub_u32_e64 v24, v26, v24 clamp
	v_min_u32_e32 v27, v26, v6
	v_mad_u32_u24 v2, v25, 20, v8
	v_cmp_lt_u32_e64 s[4:5], v24, v27
	; wave barrier
	s_and_saveexec_b64 s[6:7], s[4:5]
	s_cbranch_execz .LBB3672_118
; %bb.115:
	v_mul_u32_u24_e32 v6, 20, v1
	v_mul_u32_u24_e32 v28, 20, v26
	v_add3_u32 v6, v8, v6, v28
	s_mov_b64 s[8:9], 0
.LBB3672_116:                           ; =>This Inner Loop Header: Depth=1
	v_add_u32_e32 v28, v27, v24
	v_lshrrev_b32_e32 v32, 1, v28
	v_not_b32_e32 v30, v32
	v_mad_u64_u32 v[28:29], s[4:5], v32, 20, v[2:3]
	v_mad_u64_u32 v[30:31], s[4:5], v30, 20, v[6:7]
	ds_read_b32 v28, v28
	ds_read_b32 v29, v30
	v_add_u32_e32 v30, 1, v32
	s_waitcnt lgkmcnt(0)
	v_cmp_gt_i32_e64 s[4:5], v28, v29
	v_cndmask_b32_e64 v27, v27, v32, s[4:5]
	v_cndmask_b32_e64 v24, v30, v24, s[4:5]
	v_cmp_ge_u32_e64 s[4:5], v24, v27
	s_or_b64 s[8:9], s[4:5], s[8:9]
	s_andn2_b64 exec, exec, s[8:9]
	s_cbranch_execnz .LBB3672_116
; %bb.117:
	s_or_b64 exec, exec, s[8:9]
.LBB3672_118:
	s_or_b64 exec, exec, s[6:7]
	v_add_u32_e32 v6, v24, v25
	v_add_u32_e32 v25, v1, v26
	v_sub_u32_e32 v25, v25, v24
	v_cmp_le_u32_e64 s[4:5], v6, v1
	v_cmp_le_u32_e64 s[6:7], v25, v7
	s_or_b64 s[4:5], s[4:5], s[6:7]
	s_and_saveexec_b64 s[16:17], s[4:5]
	s_cbranch_execz .LBB3672_124
; %bb.119:
	v_cmp_lt_u32_e64 s[4:5], v6, v1
	v_mov_b32_e32 v0, 0
	v_mov_b32_e32 v3, 0
	s_and_saveexec_b64 s[6:7], s[4:5]
	s_cbranch_execz .LBB3672_121
; %bb.120:
	v_mad_u64_u32 v[2:3], s[8:9], v24, 20, v[2:3]
	ds_read_b32 v3, v2
.LBB3672_121:
	s_or_b64 exec, exec, s[6:7]
	v_cmp_ge_u32_e64 s[6:7], v25, v7
	v_cmp_lt_u32_e64 s[8:9], v25, v7
	s_and_saveexec_b64 s[10:11], s[8:9]
	s_cbranch_execz .LBB3672_123
; %bb.122:
	v_mad_u64_u32 v[4:5], s[8:9], v25, 20, v[8:9]
	ds_read_b32 v0, v4
.LBB3672_123:
	s_or_b64 exec, exec, s[10:11]
	s_waitcnt lgkmcnt(0)
	v_cmp_le_i32_e64 s[8:9], v3, v0
	s_and_b64 s[4:5], s[4:5], s[8:9]
	s_or_b64 s[4:5], s[6:7], s[4:5]
	v_cndmask_b32_e64 v2, v25, v6, s[4:5]
	v_cndmask_b32_e64 v4, v7, v1, s[4:5]
	v_add_u32_e32 v2, 1, v2
	v_add_u32_e32 v4, -1, v4
	v_min_u32_e32 v4, v2, v4
	v_mad_u64_u32 v[4:5], s[6:7], v4, 20, v[8:9]
	ds_read_b32 v4, v4
	v_cndmask_b32_e64 v11, v2, v25, s[4:5]
	v_cndmask_b32_e64 v2, v6, v2, s[4:5]
	v_cmp_lt_u32_e64 s[8:9], v2, v1
	v_cmp_ge_u32_e64 s[6:7], v11, v7
	s_waitcnt lgkmcnt(0)
	v_cndmask_b32_e64 v9, v4, v0, s[4:5]
	v_cndmask_b32_e64 v10, v3, v4, s[4:5]
	v_cmp_le_i32_e64 s[10:11], v10, v9
	s_and_b64 s[8:9], s[8:9], s[10:11]
	s_or_b64 s[6:7], s[6:7], s[8:9]
	v_cndmask_b32_e64 v4, v11, v2, s[6:7]
	v_cndmask_b32_e64 v5, v7, v1, s[6:7]
	v_add_u32_e32 v6, 1, v4
	v_add_u32_e32 v4, -1, v5
	v_min_u32_e32 v4, v6, v4
	v_mad_u64_u32 v[4:5], s[8:9], v4, 20, v[8:9]
	ds_read_b32 v4, v4
	v_cndmask_b32_e64 v2, v2, v6, s[6:7]
	v_cndmask_b32_e64 v11, v6, v11, s[6:7]
	v_cmp_lt_u32_e64 s[10:11], v2, v1
	v_cmp_ge_u32_e64 s[8:9], v11, v7
	s_waitcnt lgkmcnt(0)
	v_cndmask_b32_e64 v14, v4, v9, s[6:7]
	v_cndmask_b32_e64 v24, v10, v4, s[6:7]
	v_cmp_le_i32_e64 s[12:13], v24, v14
	s_and_b64 s[10:11], s[10:11], s[12:13]
	s_or_b64 s[8:9], s[8:9], s[10:11]
	v_cndmask_b32_e64 v4, v11, v2, s[8:9]
	v_cndmask_b32_e64 v5, v7, v1, s[8:9]
	v_add_u32_e32 v6, 1, v4
	v_add_u32_e32 v4, -1, v5
	v_min_u32_e32 v4, v6, v4
	v_mad_u64_u32 v[4:5], s[10:11], v4, 20, v[8:9]
	ds_read_b32 v4, v4
	v_cndmask_b32_e64 v0, v0, v3, s[4:5]
	v_cndmask_b32_e64 v2, v2, v6, s[8:9]
	;; [unrolled: 1-line block ×3, first 2 shown]
	v_cmp_lt_u32_e64 s[4:5], v2, v1
	s_waitcnt lgkmcnt(0)
	v_cndmask_b32_e64 v3, v24, v4, s[8:9]
	v_cndmask_b32_e64 v4, v4, v14, s[8:9]
	v_min_i32_e32 v6, v3, v4
	v_cndmask_b32_e64 v1, v4, v6, s[4:5]
	v_cmp_lt_u32_e64 s[4:5], v5, v7
	v_cndmask_b32_e64 v12, v9, v10, s[6:7]
	v_cndmask_b32_e64 v10, v14, v24, s[8:9]
	;; [unrolled: 1-line block ×3, first 2 shown]
	v_mov_b32_e32 v1, v0
	v_mov_b32_e32 v3, v12
	;; [unrolled: 1-line block ×4, first 2 shown]
	v_pk_mov_b32 v[4:5], v[0:1], v[0:1] op_sel:[0,1]
.LBB3672_124:
	s_or_b64 exec, exec, s[16:17]
	v_mov_b32_e32 v6, v4
	v_mov_b32_e32 v7, v5
	; wave barrier
	ds_write_b128 v23, v[4:7]
	v_mov_b32_e32 v1, v12
	v_mov_b32_e32 v2, v3
	v_and_b32_e32 v6, 0x1c0, v22
	ds_write_b96 v23, v[0:2] offset:16
	ds_write2_b32 v23, v12, v3 offset0:7 offset1:8
	v_or_b32_e32 v1, 32, v6
	v_mov_b32_e32 v2, v10
	v_mov_b32_e32 v3, v11
	v_min_u32_e32 v1, v19, v1
	ds_write2_b64 v23, v[10:11], v[2:3] offset0:5 offset1:6
	ds_write2_b32 v23, v12, v10 offset0:9 offset1:14
	ds_write2_b32 v23, v14, v9 offset0:15 offset1:16
	;; [unrolled: 1-line block ×3, first 2 shown]
	ds_write_b32 v23, v14 offset:76
	v_add_u32_e32 v2, 32, v1
	v_min_u32_e32 v3, v19, v2
	v_and_b32_e32 v2, 60, v22
	v_min_u32_e32 v7, v19, v2
	v_sub_u32_e32 v4, v1, v6
	v_sub_u32_e32 v5, v3, v1
	v_sub_u32_e64 v5, v7, v5 clamp
	v_min_u32_e32 v9, v7, v4
	v_mad_u32_u24 v2, v6, 20, v8
	v_cmp_lt_u32_e64 s[4:5], v5, v9
	; wave barrier
	s_and_saveexec_b64 s[6:7], s[4:5]
	s_cbranch_execz .LBB3672_128
; %bb.125:
	v_mul_u32_u24_e32 v4, 20, v1
	v_mul_u32_u24_e32 v11, 20, v7
	v_add3_u32 v4, v8, v4, v11
	s_mov_b64 s[8:9], 0
.LBB3672_126:                           ; =>This Inner Loop Header: Depth=1
	v_add_u32_e32 v11, v9, v5
	v_lshrrev_b32_e32 v11, 1, v11
	v_not_b32_e32 v19, v11
	v_mad_u64_u32 v[22:23], s[4:5], v11, 20, v[2:3]
	v_mad_u64_u32 v[24:25], s[4:5], v19, 20, v[4:5]
	ds_read_b32 v19, v22
	ds_read_b32 v22, v24
	v_add_u32_e32 v23, 1, v11
	s_waitcnt lgkmcnt(0)
	v_cmp_gt_i32_e64 s[4:5], v19, v22
	v_cndmask_b32_e64 v9, v9, v11, s[4:5]
	v_cndmask_b32_e64 v5, v23, v5, s[4:5]
	v_cmp_ge_u32_e64 s[4:5], v5, v9
	s_or_b64 s[8:9], s[4:5], s[8:9]
	s_andn2_b64 exec, exec, s[8:9]
	s_cbranch_execnz .LBB3672_126
; %bb.127:
	s_or_b64 exec, exec, s[8:9]
.LBB3672_128:
	s_or_b64 exec, exec, s[6:7]
	v_add_u32_e32 v4, v1, v7
	v_add_u32_e32 v6, v5, v6
	v_sub_u32_e32 v7, v4, v5
	v_cmp_le_u32_e64 s[4:5], v6, v1
	v_cmp_le_u32_e64 s[6:7], v7, v3
	s_or_b64 s[4:5], s[4:5], s[6:7]
	s_and_saveexec_b64 s[16:17], s[4:5]
	s_cbranch_execz .LBB3672_134
; %bb.129:
	v_cmp_lt_u32_e64 s[4:5], v6, v1
	v_mov_b32_e32 v0, 0
	v_mov_b32_e32 v4, 0
	s_and_saveexec_b64 s[6:7], s[4:5]
	s_cbranch_execz .LBB3672_131
; %bb.130:
	v_mad_u64_u32 v[4:5], s[8:9], v5, 20, v[2:3]
	ds_read_b32 v4, v4
.LBB3672_131:
	s_or_b64 exec, exec, s[6:7]
	v_cmp_ge_u32_e64 s[6:7], v7, v3
	v_cmp_lt_u32_e64 s[8:9], v7, v3
	s_and_saveexec_b64 s[10:11], s[8:9]
	s_cbranch_execz .LBB3672_133
; %bb.132:
	v_mad_u64_u32 v[10:11], s[8:9], v7, 20, v[8:9]
	ds_read_b32 v0, v10
.LBB3672_133:
	s_or_b64 exec, exec, s[10:11]
	s_waitcnt lgkmcnt(0)
	v_cmp_le_i32_e64 s[8:9], v4, v0
	s_and_b64 s[4:5], s[4:5], s[8:9]
	s_or_b64 s[4:5], s[6:7], s[4:5]
	v_cndmask_b32_e64 v2, v7, v6, s[4:5]
	v_cndmask_b32_e64 v5, v3, v1, s[4:5]
	v_add_u32_e32 v2, 1, v2
	v_add_u32_e32 v5, -1, v5
	v_min_u32_e32 v5, v2, v5
	v_mad_u64_u32 v[10:11], s[6:7], v5, 20, v[8:9]
	ds_read_b32 v5, v10
	v_cndmask_b32_e64 v10, v2, v7, s[4:5]
	v_cndmask_b32_e64 v2, v6, v2, s[4:5]
	v_cmp_lt_u32_e64 s[8:9], v2, v1
	v_cmp_ge_u32_e64 s[6:7], v10, v3
	s_waitcnt lgkmcnt(0)
	v_cndmask_b32_e64 v9, v5, v0, s[4:5]
	v_cndmask_b32_e64 v5, v4, v5, s[4:5]
	v_cmp_le_i32_e64 s[10:11], v5, v9
	s_and_b64 s[8:9], s[8:9], s[10:11]
	s_or_b64 s[6:7], s[6:7], s[8:9]
	v_cndmask_b32_e64 v6, v10, v2, s[6:7]
	v_cndmask_b32_e64 v7, v3, v1, s[6:7]
	v_add_u32_e32 v11, 1, v6
	v_add_u32_e32 v6, -1, v7
	v_min_u32_e32 v6, v11, v6
	v_mad_u64_u32 v[6:7], s[8:9], v6, 20, v[8:9]
	ds_read_b32 v6, v6
	v_cndmask_b32_e64 v2, v2, v11, s[6:7]
	v_cndmask_b32_e64 v22, v11, v10, s[6:7]
	v_cmp_lt_u32_e64 s[10:11], v2, v1
	v_cmp_ge_u32_e64 s[8:9], v22, v3
	s_waitcnt lgkmcnt(0)
	v_cndmask_b32_e64 v14, v6, v9, s[6:7]
	v_cndmask_b32_e64 v19, v5, v6, s[6:7]
	v_cmp_le_i32_e64 s[12:13], v19, v14
	s_and_b64 s[10:11], s[10:11], s[12:13]
	s_or_b64 s[8:9], s[8:9], s[10:11]
	v_cndmask_b32_e64 v6, v22, v2, s[8:9]
	v_cndmask_b32_e64 v7, v3, v1, s[8:9]
	v_add_u32_e32 v11, 1, v6
	v_add_u32_e32 v6, -1, v7
	v_min_u32_e32 v6, v11, v6
	v_mad_u64_u32 v[6:7], s[10:11], v6, 20, v[8:9]
	ds_read_b32 v6, v6
	v_cndmask_b32_e64 v0, v0, v4, s[4:5]
	v_cndmask_b32_e64 v2, v2, v11, s[8:9]
	;; [unrolled: 1-line block ×4, first 2 shown]
	s_waitcnt lgkmcnt(0)
	v_cndmask_b32_e64 v4, v19, v6, s[8:9]
	v_cndmask_b32_e64 v6, v6, v14, s[8:9]
	v_min_i32_e32 v7, v4, v6
	v_cmp_lt_u32_e64 s[4:5], v2, v1
	v_cndmask_b32_e64 v1, v6, v7, s[4:5]
	v_cmp_lt_u32_e64 s[4:5], v5, v3
	v_cndmask_b32_e64 v10, v14, v19, s[8:9]
	v_cndmask_b32_e64 v14, v4, v1, s[4:5]
.LBB3672_134:
	s_or_b64 exec, exec, s[16:17]
	s_cmpk_lt_u32 s18, 0x41
	; wave barrier
	s_waitcnt lgkmcnt(0)
	s_barrier
	s_cbranch_scc1 .LBB3672_147
; %bb.135:
	v_mul_u32_u24_e32 v5, 20, v15
	s_mov_b32 s19, 64
	s_branch .LBB3672_138
.LBB3672_136:                           ;   in Loop: Header=BB3672_138 Depth=1
	s_or_b64 exec, exec, s[10:11]
	s_waitcnt lgkmcnt(0)
	v_cmp_le_i32_e64 s[8:9], v4, v0
	s_and_b64 s[4:5], s[4:5], s[8:9]
	s_or_b64 s[4:5], s[6:7], s[4:5]
	v_cndmask_b32_e64 v2, v8, v7, s[4:5]
	v_cndmask_b32_e64 v6, v3, v1, s[4:5]
	v_add_u32_e32 v2, 1, v2
	v_add_u32_e32 v6, -1, v6
	v_min_u32_e32 v6, v2, v6
	v_mul_lo_u32 v6, v6, 20
	ds_read_b32 v6, v6
	v_cndmask_b32_e64 v8, v2, v8, s[4:5]
	v_cndmask_b32_e64 v2, v7, v2, s[4:5]
	v_cmp_lt_u32_e64 s[8:9], v2, v1
	v_cmp_ge_u32_e64 s[6:7], v8, v3
	s_waitcnt lgkmcnt(0)
	v_cndmask_b32_e64 v9, v6, v0, s[4:5]
	v_cndmask_b32_e64 v6, v4, v6, s[4:5]
	v_cmp_le_i32_e64 s[10:11], v6, v9
	s_and_b64 s[8:9], s[8:9], s[10:11]
	s_or_b64 s[6:7], s[6:7], s[8:9]
	v_cndmask_b32_e64 v7, v8, v2, s[6:7]
	v_cndmask_b32_e64 v10, v3, v1, s[6:7]
	v_add_u32_e32 v7, 1, v7
	v_add_u32_e32 v10, -1, v10
	v_min_u32_e32 v10, v7, v10
	v_mul_lo_u32 v10, v10, 20
	ds_read_b32 v10, v10
	v_cndmask_b32_e64 v2, v2, v7, s[6:7]
	v_cndmask_b32_e64 v8, v7, v8, s[6:7]
	v_cmp_lt_u32_e64 s[10:11], v2, v1
	v_cmp_ge_u32_e64 s[8:9], v8, v3
	s_waitcnt lgkmcnt(0)
	v_cndmask_b32_e64 v11, v10, v9, s[6:7]
	v_cndmask_b32_e64 v14, v6, v10, s[6:7]
	v_cmp_le_i32_e64 s[12:13], v14, v11
	s_and_b64 s[10:11], s[10:11], s[12:13]
	s_or_b64 s[8:9], s[8:9], s[10:11]
	v_cndmask_b32_e64 v7, v8, v2, s[8:9]
	v_cndmask_b32_e64 v10, v3, v1, s[8:9]
	v_add_u32_e32 v7, 1, v7
	v_add_u32_e32 v10, -1, v10
	v_min_u32_e32 v10, v7, v10
	v_mul_lo_u32 v10, v10, 20
	ds_read_b32 v19, v10
	v_cndmask_b32_e64 v0, v0, v4, s[4:5]
	v_cndmask_b32_e64 v12, v9, v6, s[6:7]
	;; [unrolled: 1-line block ×4, first 2 shown]
	s_waitcnt lgkmcnt(0)
	v_cndmask_b32_e64 v4, v14, v19, s[8:9]
	v_cndmask_b32_e64 v8, v19, v11, s[8:9]
	v_min_i32_e32 v7, v4, v8
	v_cmp_lt_u32_e64 s[4:5], v2, v1
	v_cndmask_b32_e64 v1, v8, v7, s[4:5]
	v_cmp_lt_u32_e64 s[4:5], v6, v3
	v_cndmask_b32_e64 v10, v11, v14, s[8:9]
	v_cndmask_b32_e64 v14, v4, v1, s[4:5]
.LBB3672_137:                           ;   in Loop: Header=BB3672_138 Depth=1
	s_or_b64 exec, exec, s[16:17]
	s_cmp_lt_u32 s19, s18
	s_barrier
	s_cbranch_scc0 .LBB3672_147
.LBB3672_138:                           ; =>This Loop Header: Depth=1
                                        ;     Child Loop BB3672_140 Depth 2
	s_mov_b32 s4, s19
	s_lshl_b32 s19, s19, 1
	v_mov_b32_e32 v1, v0
	v_mov_b32_e32 v2, v0
	;; [unrolled: 1-line block ×3, first 2 shown]
	s_sub_i32 s6, 0, s19
	ds_write_b128 v5, v[0:3]
	v_mov_b32_e32 v1, v12
	v_mov_b32_e32 v2, v12
	v_and_b32_e32 v7, s6, v15
	ds_write_b96 v5, v[0:2] offset:16
	ds_write2_b32 v5, v12, v12 offset0:7 offset1:8
	v_add_u32_e32 v1, s4, v7
	v_mov_b32_e32 v11, v10
	v_mov_b32_e32 v2, v10
	;; [unrolled: 1-line block ×3, first 2 shown]
	v_min_u32_e32 v1, s18, v1
	ds_write2_b64 v5, v[10:11], v[2:3] offset0:5 offset1:6
	ds_write2_b32 v5, v12, v10 offset0:9 offset1:14
	ds_write2_b32 v5, v14, v14 offset0:15 offset1:16
	;; [unrolled: 1-line block ×3, first 2 shown]
	ds_write_b32 v5, v14 offset:76
	s_add_i32 s5, s19, -1
	v_add_u32_e32 v2, s4, v1
	v_min_u32_e32 v3, s18, v2
	v_and_b32_e32 v2, s5, v15
	v_min_u32_e32 v8, s18, v2
	v_sub_u32_e32 v4, v1, v7
	v_sub_u32_e32 v6, v3, v1
	v_sub_u32_e64 v6, v8, v6 clamp
	v_min_u32_e32 v9, v8, v4
	v_mul_u32_u24_e32 v2, 20, v7
	v_cmp_lt_u32_e64 s[4:5], v6, v9
	s_waitcnt lgkmcnt(0)
	s_barrier
	s_and_saveexec_b64 s[6:7], s[4:5]
	s_cbranch_execz .LBB3672_142
; %bb.139:                              ;   in Loop: Header=BB3672_138 Depth=1
	v_mul_lo_u32 v4, v1, 20
	v_mad_u32_u24 v4, v8, 20, v4
	s_mov_b64 s[8:9], 0
.LBB3672_140:                           ;   Parent Loop BB3672_138 Depth=1
                                        ; =>  This Inner Loop Header: Depth=2
	v_add_u32_e32 v11, v9, v6
	v_lshrrev_b32_e32 v11, 1, v11
	v_not_b32_e32 v19, v11
	v_mad_u64_u32 v[22:23], s[4:5], v11, 20, v[2:3]
	v_mad_u64_u32 v[24:25], s[4:5], v19, 20, v[4:5]
	ds_read_b32 v19, v22
	ds_read_b32 v22, v24
	v_add_u32_e32 v23, 1, v11
	s_waitcnt lgkmcnt(0)
	v_cmp_gt_i32_e64 s[4:5], v19, v22
	v_cndmask_b32_e64 v9, v9, v11, s[4:5]
	v_cndmask_b32_e64 v6, v23, v6, s[4:5]
	v_cmp_ge_u32_e64 s[4:5], v6, v9
	s_or_b64 s[8:9], s[4:5], s[8:9]
	s_andn2_b64 exec, exec, s[8:9]
	s_cbranch_execnz .LBB3672_140
; %bb.141:                              ;   in Loop: Header=BB3672_138 Depth=1
	s_or_b64 exec, exec, s[8:9]
.LBB3672_142:                           ;   in Loop: Header=BB3672_138 Depth=1
	s_or_b64 exec, exec, s[6:7]
	v_sub_u32_e32 v4, v8, v6
	v_add_u32_e32 v7, v6, v7
	v_add_u32_e32 v8, v4, v1
	v_cmp_le_u32_e64 s[4:5], v7, v1
	v_cmp_le_u32_e64 s[6:7], v8, v3
	s_or_b64 s[4:5], s[4:5], s[6:7]
	s_and_saveexec_b64 s[16:17], s[4:5]
	s_cbranch_execz .LBB3672_137
; %bb.143:                              ;   in Loop: Header=BB3672_138 Depth=1
	v_cmp_lt_u32_e64 s[4:5], v7, v1
	v_mov_b32_e32 v0, 0
	v_mov_b32_e32 v4, 0
	s_and_saveexec_b64 s[6:7], s[4:5]
	s_cbranch_execz .LBB3672_145
; %bb.144:                              ;   in Loop: Header=BB3672_138 Depth=1
	v_mad_u64_u32 v[10:11], s[8:9], v6, 20, v[2:3]
	ds_read_b32 v4, v10
.LBB3672_145:                           ;   in Loop: Header=BB3672_138 Depth=1
	s_or_b64 exec, exec, s[6:7]
	v_cmp_ge_u32_e64 s[6:7], v8, v3
	v_cmp_lt_u32_e64 s[8:9], v8, v3
	s_and_saveexec_b64 s[10:11], s[8:9]
	s_cbranch_execz .LBB3672_136
; %bb.146:                              ;   in Loop: Header=BB3672_138 Depth=1
	v_mul_lo_u32 v0, v8, 20
	ds_read_b32 v0, v0
	s_branch .LBB3672_136
.LBB3672_147:
	s_barrier
	ds_write2_b32 v21, v0, v0 offset1:1
	ds_write2_b32 v21, v0, v0 offset0:2 offset1:3
	ds_write2_b32 v21, v12, v12 offset0:5 offset1:6
	;; [unrolled: 1-line block ×9, first 2 shown]
	s_waitcnt lgkmcnt(0)
	s_barrier
	ds_read_b32 v4, v17 offset:5120
	ds_read_b32 v2, v18 offset:10240
	;; [unrolled: 1-line block ×3, first 2 shown]
	v_mad_u64_u32 v[8:9], s[4:5], v13, 20, s[14:15]
	s_and_saveexec_b64 s[4:5], vcc
	s_cbranch_execnz .LBB3672_155
; %bb.148:
	s_or_b64 exec, exec, s[4:5]
	s_and_saveexec_b64 s[4:5], s[2:3]
	s_cbranch_execnz .LBB3672_156
.LBB3672_149:
	s_or_b64 exec, exec, s[4:5]
	s_and_saveexec_b64 s[2:3], s[0:1]
	s_cbranch_execz .LBB3672_151
.LBB3672_150:
	v_add_co_u32_e32 v6, vcc, 0x2000, v8
	s_waitcnt lgkmcnt(0)
	v_mov_b32_e32 v3, v2
	v_mov_b32_e32 v4, v2
	v_mov_b32_e32 v5, v2
	v_addc_co_u32_e32 v7, vcc, 0, v9, vcc
	flat_store_dwordx4 v[6:7], v[2:5] offset:2048
	flat_store_dword v[6:7], v2 offset:2064
.LBB3672_151:
	s_or_b64 exec, exec, s[2:3]
.LBB3672_152:
	s_and_saveexec_b64 s[0:1], s[22:23]
	s_cbranch_execz .LBB3672_154
; %bb.153:
	s_waitcnt lgkmcnt(0)
	v_add_co_u32_e32 v4, vcc, 0x3000, v8
	v_mov_b32_e32 v1, v0
	v_mov_b32_e32 v2, v0
	;; [unrolled: 1-line block ×3, first 2 shown]
	v_addc_co_u32_e32 v5, vcc, 0, v9, vcc
	flat_store_dwordx4 v[4:5], v[0:3] offset:3072
	flat_store_dword v[4:5], v0 offset:3088
.LBB3672_154:
	s_endpgm
.LBB3672_155:
	ds_read_b32 v10, v16
	s_waitcnt lgkmcnt(0)
	v_mov_b32_e32 v11, v10
	v_mov_b32_e32 v12, v10
	;; [unrolled: 1-line block ×3, first 2 shown]
	flat_store_dwordx4 v[8:9], v[10:13]
	flat_store_dword v[8:9], v10 offset:16
	s_or_b64 exec, exec, s[4:5]
	s_and_saveexec_b64 s[4:5], s[2:3]
	s_cbranch_execz .LBB3672_149
.LBB3672_156:
	v_add_co_u32_e32 v10, vcc, 0x1000, v8
	s_waitcnt lgkmcnt(0)
	v_mov_b32_e32 v5, v4
	v_mov_b32_e32 v6, v4
	;; [unrolled: 1-line block ×3, first 2 shown]
	v_addc_co_u32_e32 v11, vcc, 0, v9, vcc
	flat_store_dwordx4 v[10:11], v[4:7] offset:1024
	flat_store_dword v[10:11], v4 offset:1040
	s_or_b64 exec, exec, s[4:5]
	s_and_saveexec_b64 s[2:3], s[0:1]
	s_cbranch_execnz .LBB3672_150
	s_branch .LBB3672_151
	.section	.rodata,"a",@progbits
	.p2align	6, 0x0
	.amdhsa_kernel _ZN7rocprim17ROCPRIM_400000_NS6detail17trampoline_kernelINS0_14default_configENS1_37merge_sort_block_sort_config_selectorI14custom_numericNS0_10empty_typeEEEZNS1_21merge_sort_block_sortIS3_N6thrust23THRUST_200600_302600_NS6detail15normal_iteratorINSA_10device_ptrIS5_EEEESF_PS6_SG_14custom_greaterIS5_EEE10hipError_tT0_T1_T2_T3_mRjT4_P12ihipStream_tbNS1_7vsmem_tEEUlT_E_NS1_11comp_targetILNS1_3genE4ELNS1_11target_archE910ELNS1_3gpuE8ELNS1_3repE0EEENS1_30default_config_static_selectorELNS0_4arch9wavefront6targetE1EEEvSL_
		.amdhsa_group_segment_fixed_size 21120
		.amdhsa_private_segment_fixed_size 0
		.amdhsa_kernarg_size 320
		.amdhsa_user_sgpr_count 6
		.amdhsa_user_sgpr_private_segment_buffer 1
		.amdhsa_user_sgpr_dispatch_ptr 0
		.amdhsa_user_sgpr_queue_ptr 0
		.amdhsa_user_sgpr_kernarg_segment_ptr 1
		.amdhsa_user_sgpr_dispatch_id 0
		.amdhsa_user_sgpr_flat_scratch_init 0
		.amdhsa_user_sgpr_kernarg_preload_length 0
		.amdhsa_user_sgpr_kernarg_preload_offset 0
		.amdhsa_user_sgpr_private_segment_size 0
		.amdhsa_uses_dynamic_stack 0
		.amdhsa_system_sgpr_private_segment_wavefront_offset 0
		.amdhsa_system_sgpr_workgroup_id_x 1
		.amdhsa_system_sgpr_workgroup_id_y 1
		.amdhsa_system_sgpr_workgroup_id_z 1
		.amdhsa_system_sgpr_workgroup_info 0
		.amdhsa_system_vgpr_workitem_id 2
		.amdhsa_next_free_vgpr 40
		.amdhsa_next_free_sgpr 24
		.amdhsa_accum_offset 40
		.amdhsa_reserve_vcc 1
		.amdhsa_reserve_flat_scratch 0
		.amdhsa_float_round_mode_32 0
		.amdhsa_float_round_mode_16_64 0
		.amdhsa_float_denorm_mode_32 3
		.amdhsa_float_denorm_mode_16_64 3
		.amdhsa_dx10_clamp 1
		.amdhsa_ieee_mode 1
		.amdhsa_fp16_overflow 0
		.amdhsa_tg_split 0
		.amdhsa_exception_fp_ieee_invalid_op 0
		.amdhsa_exception_fp_denorm_src 0
		.amdhsa_exception_fp_ieee_div_zero 0
		.amdhsa_exception_fp_ieee_overflow 0
		.amdhsa_exception_fp_ieee_underflow 0
		.amdhsa_exception_fp_ieee_inexact 0
		.amdhsa_exception_int_div_zero 0
	.end_amdhsa_kernel
	.section	.text._ZN7rocprim17ROCPRIM_400000_NS6detail17trampoline_kernelINS0_14default_configENS1_37merge_sort_block_sort_config_selectorI14custom_numericNS0_10empty_typeEEEZNS1_21merge_sort_block_sortIS3_N6thrust23THRUST_200600_302600_NS6detail15normal_iteratorINSA_10device_ptrIS5_EEEESF_PS6_SG_14custom_greaterIS5_EEE10hipError_tT0_T1_T2_T3_mRjT4_P12ihipStream_tbNS1_7vsmem_tEEUlT_E_NS1_11comp_targetILNS1_3genE4ELNS1_11target_archE910ELNS1_3gpuE8ELNS1_3repE0EEENS1_30default_config_static_selectorELNS0_4arch9wavefront6targetE1EEEvSL_,"axG",@progbits,_ZN7rocprim17ROCPRIM_400000_NS6detail17trampoline_kernelINS0_14default_configENS1_37merge_sort_block_sort_config_selectorI14custom_numericNS0_10empty_typeEEEZNS1_21merge_sort_block_sortIS3_N6thrust23THRUST_200600_302600_NS6detail15normal_iteratorINSA_10device_ptrIS5_EEEESF_PS6_SG_14custom_greaterIS5_EEE10hipError_tT0_T1_T2_T3_mRjT4_P12ihipStream_tbNS1_7vsmem_tEEUlT_E_NS1_11comp_targetILNS1_3genE4ELNS1_11target_archE910ELNS1_3gpuE8ELNS1_3repE0EEENS1_30default_config_static_selectorELNS0_4arch9wavefront6targetE1EEEvSL_,comdat
.Lfunc_end3672:
	.size	_ZN7rocprim17ROCPRIM_400000_NS6detail17trampoline_kernelINS0_14default_configENS1_37merge_sort_block_sort_config_selectorI14custom_numericNS0_10empty_typeEEEZNS1_21merge_sort_block_sortIS3_N6thrust23THRUST_200600_302600_NS6detail15normal_iteratorINSA_10device_ptrIS5_EEEESF_PS6_SG_14custom_greaterIS5_EEE10hipError_tT0_T1_T2_T3_mRjT4_P12ihipStream_tbNS1_7vsmem_tEEUlT_E_NS1_11comp_targetILNS1_3genE4ELNS1_11target_archE910ELNS1_3gpuE8ELNS1_3repE0EEENS1_30default_config_static_selectorELNS0_4arch9wavefront6targetE1EEEvSL_, .Lfunc_end3672-_ZN7rocprim17ROCPRIM_400000_NS6detail17trampoline_kernelINS0_14default_configENS1_37merge_sort_block_sort_config_selectorI14custom_numericNS0_10empty_typeEEEZNS1_21merge_sort_block_sortIS3_N6thrust23THRUST_200600_302600_NS6detail15normal_iteratorINSA_10device_ptrIS5_EEEESF_PS6_SG_14custom_greaterIS5_EEE10hipError_tT0_T1_T2_T3_mRjT4_P12ihipStream_tbNS1_7vsmem_tEEUlT_E_NS1_11comp_targetILNS1_3genE4ELNS1_11target_archE910ELNS1_3gpuE8ELNS1_3repE0EEENS1_30default_config_static_selectorELNS0_4arch9wavefront6targetE1EEEvSL_
                                        ; -- End function
	.section	.AMDGPU.csdata,"",@progbits
; Kernel info:
; codeLenInByte = 12532
; NumSgprs: 28
; NumVgprs: 40
; NumAgprs: 0
; TotalNumVgprs: 40
; ScratchSize: 0
; MemoryBound: 0
; FloatMode: 240
; IeeeMode: 1
; LDSByteSize: 21120 bytes/workgroup (compile time only)
; SGPRBlocks: 3
; VGPRBlocks: 4
; NumSGPRsForWavesPerEU: 28
; NumVGPRsForWavesPerEU: 40
; AccumOffset: 40
; Occupancy: 3
; WaveLimiterHint : 1
; COMPUTE_PGM_RSRC2:SCRATCH_EN: 0
; COMPUTE_PGM_RSRC2:USER_SGPR: 6
; COMPUTE_PGM_RSRC2:TRAP_HANDLER: 0
; COMPUTE_PGM_RSRC2:TGID_X_EN: 1
; COMPUTE_PGM_RSRC2:TGID_Y_EN: 1
; COMPUTE_PGM_RSRC2:TGID_Z_EN: 1
; COMPUTE_PGM_RSRC2:TIDIG_COMP_CNT: 2
; COMPUTE_PGM_RSRC3_GFX90A:ACCUM_OFFSET: 9
; COMPUTE_PGM_RSRC3_GFX90A:TG_SPLIT: 0
	.section	.text._ZN7rocprim17ROCPRIM_400000_NS6detail17trampoline_kernelINS0_14default_configENS1_37merge_sort_block_sort_config_selectorI14custom_numericNS0_10empty_typeEEEZNS1_21merge_sort_block_sortIS3_N6thrust23THRUST_200600_302600_NS6detail15normal_iteratorINSA_10device_ptrIS5_EEEESF_PS6_SG_14custom_greaterIS5_EEE10hipError_tT0_T1_T2_T3_mRjT4_P12ihipStream_tbNS1_7vsmem_tEEUlT_E_NS1_11comp_targetILNS1_3genE3ELNS1_11target_archE908ELNS1_3gpuE7ELNS1_3repE0EEENS1_30default_config_static_selectorELNS0_4arch9wavefront6targetE1EEEvSL_,"axG",@progbits,_ZN7rocprim17ROCPRIM_400000_NS6detail17trampoline_kernelINS0_14default_configENS1_37merge_sort_block_sort_config_selectorI14custom_numericNS0_10empty_typeEEEZNS1_21merge_sort_block_sortIS3_N6thrust23THRUST_200600_302600_NS6detail15normal_iteratorINSA_10device_ptrIS5_EEEESF_PS6_SG_14custom_greaterIS5_EEE10hipError_tT0_T1_T2_T3_mRjT4_P12ihipStream_tbNS1_7vsmem_tEEUlT_E_NS1_11comp_targetILNS1_3genE3ELNS1_11target_archE908ELNS1_3gpuE7ELNS1_3repE0EEENS1_30default_config_static_selectorELNS0_4arch9wavefront6targetE1EEEvSL_,comdat
	.protected	_ZN7rocprim17ROCPRIM_400000_NS6detail17trampoline_kernelINS0_14default_configENS1_37merge_sort_block_sort_config_selectorI14custom_numericNS0_10empty_typeEEEZNS1_21merge_sort_block_sortIS3_N6thrust23THRUST_200600_302600_NS6detail15normal_iteratorINSA_10device_ptrIS5_EEEESF_PS6_SG_14custom_greaterIS5_EEE10hipError_tT0_T1_T2_T3_mRjT4_P12ihipStream_tbNS1_7vsmem_tEEUlT_E_NS1_11comp_targetILNS1_3genE3ELNS1_11target_archE908ELNS1_3gpuE7ELNS1_3repE0EEENS1_30default_config_static_selectorELNS0_4arch9wavefront6targetE1EEEvSL_ ; -- Begin function _ZN7rocprim17ROCPRIM_400000_NS6detail17trampoline_kernelINS0_14default_configENS1_37merge_sort_block_sort_config_selectorI14custom_numericNS0_10empty_typeEEEZNS1_21merge_sort_block_sortIS3_N6thrust23THRUST_200600_302600_NS6detail15normal_iteratorINSA_10device_ptrIS5_EEEESF_PS6_SG_14custom_greaterIS5_EEE10hipError_tT0_T1_T2_T3_mRjT4_P12ihipStream_tbNS1_7vsmem_tEEUlT_E_NS1_11comp_targetILNS1_3genE3ELNS1_11target_archE908ELNS1_3gpuE7ELNS1_3repE0EEENS1_30default_config_static_selectorELNS0_4arch9wavefront6targetE1EEEvSL_
	.globl	_ZN7rocprim17ROCPRIM_400000_NS6detail17trampoline_kernelINS0_14default_configENS1_37merge_sort_block_sort_config_selectorI14custom_numericNS0_10empty_typeEEEZNS1_21merge_sort_block_sortIS3_N6thrust23THRUST_200600_302600_NS6detail15normal_iteratorINSA_10device_ptrIS5_EEEESF_PS6_SG_14custom_greaterIS5_EEE10hipError_tT0_T1_T2_T3_mRjT4_P12ihipStream_tbNS1_7vsmem_tEEUlT_E_NS1_11comp_targetILNS1_3genE3ELNS1_11target_archE908ELNS1_3gpuE7ELNS1_3repE0EEENS1_30default_config_static_selectorELNS0_4arch9wavefront6targetE1EEEvSL_
	.p2align	8
	.type	_ZN7rocprim17ROCPRIM_400000_NS6detail17trampoline_kernelINS0_14default_configENS1_37merge_sort_block_sort_config_selectorI14custom_numericNS0_10empty_typeEEEZNS1_21merge_sort_block_sortIS3_N6thrust23THRUST_200600_302600_NS6detail15normal_iteratorINSA_10device_ptrIS5_EEEESF_PS6_SG_14custom_greaterIS5_EEE10hipError_tT0_T1_T2_T3_mRjT4_P12ihipStream_tbNS1_7vsmem_tEEUlT_E_NS1_11comp_targetILNS1_3genE3ELNS1_11target_archE908ELNS1_3gpuE7ELNS1_3repE0EEENS1_30default_config_static_selectorELNS0_4arch9wavefront6targetE1EEEvSL_,@function
_ZN7rocprim17ROCPRIM_400000_NS6detail17trampoline_kernelINS0_14default_configENS1_37merge_sort_block_sort_config_selectorI14custom_numericNS0_10empty_typeEEEZNS1_21merge_sort_block_sortIS3_N6thrust23THRUST_200600_302600_NS6detail15normal_iteratorINSA_10device_ptrIS5_EEEESF_PS6_SG_14custom_greaterIS5_EEE10hipError_tT0_T1_T2_T3_mRjT4_P12ihipStream_tbNS1_7vsmem_tEEUlT_E_NS1_11comp_targetILNS1_3genE3ELNS1_11target_archE908ELNS1_3gpuE7ELNS1_3repE0EEENS1_30default_config_static_selectorELNS0_4arch9wavefront6targetE1EEEvSL_: ; @_ZN7rocprim17ROCPRIM_400000_NS6detail17trampoline_kernelINS0_14default_configENS1_37merge_sort_block_sort_config_selectorI14custom_numericNS0_10empty_typeEEEZNS1_21merge_sort_block_sortIS3_N6thrust23THRUST_200600_302600_NS6detail15normal_iteratorINSA_10device_ptrIS5_EEEESF_PS6_SG_14custom_greaterIS5_EEE10hipError_tT0_T1_T2_T3_mRjT4_P12ihipStream_tbNS1_7vsmem_tEEUlT_E_NS1_11comp_targetILNS1_3genE3ELNS1_11target_archE908ELNS1_3gpuE7ELNS1_3repE0EEENS1_30default_config_static_selectorELNS0_4arch9wavefront6targetE1EEEvSL_
; %bb.0:
	.section	.rodata,"a",@progbits
	.p2align	6, 0x0
	.amdhsa_kernel _ZN7rocprim17ROCPRIM_400000_NS6detail17trampoline_kernelINS0_14default_configENS1_37merge_sort_block_sort_config_selectorI14custom_numericNS0_10empty_typeEEEZNS1_21merge_sort_block_sortIS3_N6thrust23THRUST_200600_302600_NS6detail15normal_iteratorINSA_10device_ptrIS5_EEEESF_PS6_SG_14custom_greaterIS5_EEE10hipError_tT0_T1_T2_T3_mRjT4_P12ihipStream_tbNS1_7vsmem_tEEUlT_E_NS1_11comp_targetILNS1_3genE3ELNS1_11target_archE908ELNS1_3gpuE7ELNS1_3repE0EEENS1_30default_config_static_selectorELNS0_4arch9wavefront6targetE1EEEvSL_
		.amdhsa_group_segment_fixed_size 0
		.amdhsa_private_segment_fixed_size 0
		.amdhsa_kernarg_size 64
		.amdhsa_user_sgpr_count 6
		.amdhsa_user_sgpr_private_segment_buffer 1
		.amdhsa_user_sgpr_dispatch_ptr 0
		.amdhsa_user_sgpr_queue_ptr 0
		.amdhsa_user_sgpr_kernarg_segment_ptr 1
		.amdhsa_user_sgpr_dispatch_id 0
		.amdhsa_user_sgpr_flat_scratch_init 0
		.amdhsa_user_sgpr_kernarg_preload_length 0
		.amdhsa_user_sgpr_kernarg_preload_offset 0
		.amdhsa_user_sgpr_private_segment_size 0
		.amdhsa_uses_dynamic_stack 0
		.amdhsa_system_sgpr_private_segment_wavefront_offset 0
		.amdhsa_system_sgpr_workgroup_id_x 1
		.amdhsa_system_sgpr_workgroup_id_y 0
		.amdhsa_system_sgpr_workgroup_id_z 0
		.amdhsa_system_sgpr_workgroup_info 0
		.amdhsa_system_vgpr_workitem_id 0
		.amdhsa_next_free_vgpr 1
		.amdhsa_next_free_sgpr 0
		.amdhsa_accum_offset 4
		.amdhsa_reserve_vcc 0
		.amdhsa_reserve_flat_scratch 0
		.amdhsa_float_round_mode_32 0
		.amdhsa_float_round_mode_16_64 0
		.amdhsa_float_denorm_mode_32 3
		.amdhsa_float_denorm_mode_16_64 3
		.amdhsa_dx10_clamp 1
		.amdhsa_ieee_mode 1
		.amdhsa_fp16_overflow 0
		.amdhsa_tg_split 0
		.amdhsa_exception_fp_ieee_invalid_op 0
		.amdhsa_exception_fp_denorm_src 0
		.amdhsa_exception_fp_ieee_div_zero 0
		.amdhsa_exception_fp_ieee_overflow 0
		.amdhsa_exception_fp_ieee_underflow 0
		.amdhsa_exception_fp_ieee_inexact 0
		.amdhsa_exception_int_div_zero 0
	.end_amdhsa_kernel
	.section	.text._ZN7rocprim17ROCPRIM_400000_NS6detail17trampoline_kernelINS0_14default_configENS1_37merge_sort_block_sort_config_selectorI14custom_numericNS0_10empty_typeEEEZNS1_21merge_sort_block_sortIS3_N6thrust23THRUST_200600_302600_NS6detail15normal_iteratorINSA_10device_ptrIS5_EEEESF_PS6_SG_14custom_greaterIS5_EEE10hipError_tT0_T1_T2_T3_mRjT4_P12ihipStream_tbNS1_7vsmem_tEEUlT_E_NS1_11comp_targetILNS1_3genE3ELNS1_11target_archE908ELNS1_3gpuE7ELNS1_3repE0EEENS1_30default_config_static_selectorELNS0_4arch9wavefront6targetE1EEEvSL_,"axG",@progbits,_ZN7rocprim17ROCPRIM_400000_NS6detail17trampoline_kernelINS0_14default_configENS1_37merge_sort_block_sort_config_selectorI14custom_numericNS0_10empty_typeEEEZNS1_21merge_sort_block_sortIS3_N6thrust23THRUST_200600_302600_NS6detail15normal_iteratorINSA_10device_ptrIS5_EEEESF_PS6_SG_14custom_greaterIS5_EEE10hipError_tT0_T1_T2_T3_mRjT4_P12ihipStream_tbNS1_7vsmem_tEEUlT_E_NS1_11comp_targetILNS1_3genE3ELNS1_11target_archE908ELNS1_3gpuE7ELNS1_3repE0EEENS1_30default_config_static_selectorELNS0_4arch9wavefront6targetE1EEEvSL_,comdat
.Lfunc_end3673:
	.size	_ZN7rocprim17ROCPRIM_400000_NS6detail17trampoline_kernelINS0_14default_configENS1_37merge_sort_block_sort_config_selectorI14custom_numericNS0_10empty_typeEEEZNS1_21merge_sort_block_sortIS3_N6thrust23THRUST_200600_302600_NS6detail15normal_iteratorINSA_10device_ptrIS5_EEEESF_PS6_SG_14custom_greaterIS5_EEE10hipError_tT0_T1_T2_T3_mRjT4_P12ihipStream_tbNS1_7vsmem_tEEUlT_E_NS1_11comp_targetILNS1_3genE3ELNS1_11target_archE908ELNS1_3gpuE7ELNS1_3repE0EEENS1_30default_config_static_selectorELNS0_4arch9wavefront6targetE1EEEvSL_, .Lfunc_end3673-_ZN7rocprim17ROCPRIM_400000_NS6detail17trampoline_kernelINS0_14default_configENS1_37merge_sort_block_sort_config_selectorI14custom_numericNS0_10empty_typeEEEZNS1_21merge_sort_block_sortIS3_N6thrust23THRUST_200600_302600_NS6detail15normal_iteratorINSA_10device_ptrIS5_EEEESF_PS6_SG_14custom_greaterIS5_EEE10hipError_tT0_T1_T2_T3_mRjT4_P12ihipStream_tbNS1_7vsmem_tEEUlT_E_NS1_11comp_targetILNS1_3genE3ELNS1_11target_archE908ELNS1_3gpuE7ELNS1_3repE0EEENS1_30default_config_static_selectorELNS0_4arch9wavefront6targetE1EEEvSL_
                                        ; -- End function
	.section	.AMDGPU.csdata,"",@progbits
; Kernel info:
; codeLenInByte = 0
; NumSgprs: 4
; NumVgprs: 0
; NumAgprs: 0
; TotalNumVgprs: 0
; ScratchSize: 0
; MemoryBound: 0
; FloatMode: 240
; IeeeMode: 1
; LDSByteSize: 0 bytes/workgroup (compile time only)
; SGPRBlocks: 0
; VGPRBlocks: 0
; NumSGPRsForWavesPerEU: 4
; NumVGPRsForWavesPerEU: 1
; AccumOffset: 4
; Occupancy: 8
; WaveLimiterHint : 0
; COMPUTE_PGM_RSRC2:SCRATCH_EN: 0
; COMPUTE_PGM_RSRC2:USER_SGPR: 6
; COMPUTE_PGM_RSRC2:TRAP_HANDLER: 0
; COMPUTE_PGM_RSRC2:TGID_X_EN: 1
; COMPUTE_PGM_RSRC2:TGID_Y_EN: 0
; COMPUTE_PGM_RSRC2:TGID_Z_EN: 0
; COMPUTE_PGM_RSRC2:TIDIG_COMP_CNT: 0
; COMPUTE_PGM_RSRC3_GFX90A:ACCUM_OFFSET: 0
; COMPUTE_PGM_RSRC3_GFX90A:TG_SPLIT: 0
	.section	.text._ZN7rocprim17ROCPRIM_400000_NS6detail17trampoline_kernelINS0_14default_configENS1_37merge_sort_block_sort_config_selectorI14custom_numericNS0_10empty_typeEEEZNS1_21merge_sort_block_sortIS3_N6thrust23THRUST_200600_302600_NS6detail15normal_iteratorINSA_10device_ptrIS5_EEEESF_PS6_SG_14custom_greaterIS5_EEE10hipError_tT0_T1_T2_T3_mRjT4_P12ihipStream_tbNS1_7vsmem_tEEUlT_E_NS1_11comp_targetILNS1_3genE2ELNS1_11target_archE906ELNS1_3gpuE6ELNS1_3repE0EEENS1_30default_config_static_selectorELNS0_4arch9wavefront6targetE1EEEvSL_,"axG",@progbits,_ZN7rocprim17ROCPRIM_400000_NS6detail17trampoline_kernelINS0_14default_configENS1_37merge_sort_block_sort_config_selectorI14custom_numericNS0_10empty_typeEEEZNS1_21merge_sort_block_sortIS3_N6thrust23THRUST_200600_302600_NS6detail15normal_iteratorINSA_10device_ptrIS5_EEEESF_PS6_SG_14custom_greaterIS5_EEE10hipError_tT0_T1_T2_T3_mRjT4_P12ihipStream_tbNS1_7vsmem_tEEUlT_E_NS1_11comp_targetILNS1_3genE2ELNS1_11target_archE906ELNS1_3gpuE6ELNS1_3repE0EEENS1_30default_config_static_selectorELNS0_4arch9wavefront6targetE1EEEvSL_,comdat
	.protected	_ZN7rocprim17ROCPRIM_400000_NS6detail17trampoline_kernelINS0_14default_configENS1_37merge_sort_block_sort_config_selectorI14custom_numericNS0_10empty_typeEEEZNS1_21merge_sort_block_sortIS3_N6thrust23THRUST_200600_302600_NS6detail15normal_iteratorINSA_10device_ptrIS5_EEEESF_PS6_SG_14custom_greaterIS5_EEE10hipError_tT0_T1_T2_T3_mRjT4_P12ihipStream_tbNS1_7vsmem_tEEUlT_E_NS1_11comp_targetILNS1_3genE2ELNS1_11target_archE906ELNS1_3gpuE6ELNS1_3repE0EEENS1_30default_config_static_selectorELNS0_4arch9wavefront6targetE1EEEvSL_ ; -- Begin function _ZN7rocprim17ROCPRIM_400000_NS6detail17trampoline_kernelINS0_14default_configENS1_37merge_sort_block_sort_config_selectorI14custom_numericNS0_10empty_typeEEEZNS1_21merge_sort_block_sortIS3_N6thrust23THRUST_200600_302600_NS6detail15normal_iteratorINSA_10device_ptrIS5_EEEESF_PS6_SG_14custom_greaterIS5_EEE10hipError_tT0_T1_T2_T3_mRjT4_P12ihipStream_tbNS1_7vsmem_tEEUlT_E_NS1_11comp_targetILNS1_3genE2ELNS1_11target_archE906ELNS1_3gpuE6ELNS1_3repE0EEENS1_30default_config_static_selectorELNS0_4arch9wavefront6targetE1EEEvSL_
	.globl	_ZN7rocprim17ROCPRIM_400000_NS6detail17trampoline_kernelINS0_14default_configENS1_37merge_sort_block_sort_config_selectorI14custom_numericNS0_10empty_typeEEEZNS1_21merge_sort_block_sortIS3_N6thrust23THRUST_200600_302600_NS6detail15normal_iteratorINSA_10device_ptrIS5_EEEESF_PS6_SG_14custom_greaterIS5_EEE10hipError_tT0_T1_T2_T3_mRjT4_P12ihipStream_tbNS1_7vsmem_tEEUlT_E_NS1_11comp_targetILNS1_3genE2ELNS1_11target_archE906ELNS1_3gpuE6ELNS1_3repE0EEENS1_30default_config_static_selectorELNS0_4arch9wavefront6targetE1EEEvSL_
	.p2align	8
	.type	_ZN7rocprim17ROCPRIM_400000_NS6detail17trampoline_kernelINS0_14default_configENS1_37merge_sort_block_sort_config_selectorI14custom_numericNS0_10empty_typeEEEZNS1_21merge_sort_block_sortIS3_N6thrust23THRUST_200600_302600_NS6detail15normal_iteratorINSA_10device_ptrIS5_EEEESF_PS6_SG_14custom_greaterIS5_EEE10hipError_tT0_T1_T2_T3_mRjT4_P12ihipStream_tbNS1_7vsmem_tEEUlT_E_NS1_11comp_targetILNS1_3genE2ELNS1_11target_archE906ELNS1_3gpuE6ELNS1_3repE0EEENS1_30default_config_static_selectorELNS0_4arch9wavefront6targetE1EEEvSL_,@function
_ZN7rocprim17ROCPRIM_400000_NS6detail17trampoline_kernelINS0_14default_configENS1_37merge_sort_block_sort_config_selectorI14custom_numericNS0_10empty_typeEEEZNS1_21merge_sort_block_sortIS3_N6thrust23THRUST_200600_302600_NS6detail15normal_iteratorINSA_10device_ptrIS5_EEEESF_PS6_SG_14custom_greaterIS5_EEE10hipError_tT0_T1_T2_T3_mRjT4_P12ihipStream_tbNS1_7vsmem_tEEUlT_E_NS1_11comp_targetILNS1_3genE2ELNS1_11target_archE906ELNS1_3gpuE6ELNS1_3repE0EEENS1_30default_config_static_selectorELNS0_4arch9wavefront6targetE1EEEvSL_: ; @_ZN7rocprim17ROCPRIM_400000_NS6detail17trampoline_kernelINS0_14default_configENS1_37merge_sort_block_sort_config_selectorI14custom_numericNS0_10empty_typeEEEZNS1_21merge_sort_block_sortIS3_N6thrust23THRUST_200600_302600_NS6detail15normal_iteratorINSA_10device_ptrIS5_EEEESF_PS6_SG_14custom_greaterIS5_EEE10hipError_tT0_T1_T2_T3_mRjT4_P12ihipStream_tbNS1_7vsmem_tEEUlT_E_NS1_11comp_targetILNS1_3genE2ELNS1_11target_archE906ELNS1_3gpuE6ELNS1_3repE0EEENS1_30default_config_static_selectorELNS0_4arch9wavefront6targetE1EEEvSL_
; %bb.0:
	.section	.rodata,"a",@progbits
	.p2align	6, 0x0
	.amdhsa_kernel _ZN7rocprim17ROCPRIM_400000_NS6detail17trampoline_kernelINS0_14default_configENS1_37merge_sort_block_sort_config_selectorI14custom_numericNS0_10empty_typeEEEZNS1_21merge_sort_block_sortIS3_N6thrust23THRUST_200600_302600_NS6detail15normal_iteratorINSA_10device_ptrIS5_EEEESF_PS6_SG_14custom_greaterIS5_EEE10hipError_tT0_T1_T2_T3_mRjT4_P12ihipStream_tbNS1_7vsmem_tEEUlT_E_NS1_11comp_targetILNS1_3genE2ELNS1_11target_archE906ELNS1_3gpuE6ELNS1_3repE0EEENS1_30default_config_static_selectorELNS0_4arch9wavefront6targetE1EEEvSL_
		.amdhsa_group_segment_fixed_size 0
		.amdhsa_private_segment_fixed_size 0
		.amdhsa_kernarg_size 64
		.amdhsa_user_sgpr_count 6
		.amdhsa_user_sgpr_private_segment_buffer 1
		.amdhsa_user_sgpr_dispatch_ptr 0
		.amdhsa_user_sgpr_queue_ptr 0
		.amdhsa_user_sgpr_kernarg_segment_ptr 1
		.amdhsa_user_sgpr_dispatch_id 0
		.amdhsa_user_sgpr_flat_scratch_init 0
		.amdhsa_user_sgpr_kernarg_preload_length 0
		.amdhsa_user_sgpr_kernarg_preload_offset 0
		.amdhsa_user_sgpr_private_segment_size 0
		.amdhsa_uses_dynamic_stack 0
		.amdhsa_system_sgpr_private_segment_wavefront_offset 0
		.amdhsa_system_sgpr_workgroup_id_x 1
		.amdhsa_system_sgpr_workgroup_id_y 0
		.amdhsa_system_sgpr_workgroup_id_z 0
		.amdhsa_system_sgpr_workgroup_info 0
		.amdhsa_system_vgpr_workitem_id 0
		.amdhsa_next_free_vgpr 1
		.amdhsa_next_free_sgpr 0
		.amdhsa_accum_offset 4
		.amdhsa_reserve_vcc 0
		.amdhsa_reserve_flat_scratch 0
		.amdhsa_float_round_mode_32 0
		.amdhsa_float_round_mode_16_64 0
		.amdhsa_float_denorm_mode_32 3
		.amdhsa_float_denorm_mode_16_64 3
		.amdhsa_dx10_clamp 1
		.amdhsa_ieee_mode 1
		.amdhsa_fp16_overflow 0
		.amdhsa_tg_split 0
		.amdhsa_exception_fp_ieee_invalid_op 0
		.amdhsa_exception_fp_denorm_src 0
		.amdhsa_exception_fp_ieee_div_zero 0
		.amdhsa_exception_fp_ieee_overflow 0
		.amdhsa_exception_fp_ieee_underflow 0
		.amdhsa_exception_fp_ieee_inexact 0
		.amdhsa_exception_int_div_zero 0
	.end_amdhsa_kernel
	.section	.text._ZN7rocprim17ROCPRIM_400000_NS6detail17trampoline_kernelINS0_14default_configENS1_37merge_sort_block_sort_config_selectorI14custom_numericNS0_10empty_typeEEEZNS1_21merge_sort_block_sortIS3_N6thrust23THRUST_200600_302600_NS6detail15normal_iteratorINSA_10device_ptrIS5_EEEESF_PS6_SG_14custom_greaterIS5_EEE10hipError_tT0_T1_T2_T3_mRjT4_P12ihipStream_tbNS1_7vsmem_tEEUlT_E_NS1_11comp_targetILNS1_3genE2ELNS1_11target_archE906ELNS1_3gpuE6ELNS1_3repE0EEENS1_30default_config_static_selectorELNS0_4arch9wavefront6targetE1EEEvSL_,"axG",@progbits,_ZN7rocprim17ROCPRIM_400000_NS6detail17trampoline_kernelINS0_14default_configENS1_37merge_sort_block_sort_config_selectorI14custom_numericNS0_10empty_typeEEEZNS1_21merge_sort_block_sortIS3_N6thrust23THRUST_200600_302600_NS6detail15normal_iteratorINSA_10device_ptrIS5_EEEESF_PS6_SG_14custom_greaterIS5_EEE10hipError_tT0_T1_T2_T3_mRjT4_P12ihipStream_tbNS1_7vsmem_tEEUlT_E_NS1_11comp_targetILNS1_3genE2ELNS1_11target_archE906ELNS1_3gpuE6ELNS1_3repE0EEENS1_30default_config_static_selectorELNS0_4arch9wavefront6targetE1EEEvSL_,comdat
.Lfunc_end3674:
	.size	_ZN7rocprim17ROCPRIM_400000_NS6detail17trampoline_kernelINS0_14default_configENS1_37merge_sort_block_sort_config_selectorI14custom_numericNS0_10empty_typeEEEZNS1_21merge_sort_block_sortIS3_N6thrust23THRUST_200600_302600_NS6detail15normal_iteratorINSA_10device_ptrIS5_EEEESF_PS6_SG_14custom_greaterIS5_EEE10hipError_tT0_T1_T2_T3_mRjT4_P12ihipStream_tbNS1_7vsmem_tEEUlT_E_NS1_11comp_targetILNS1_3genE2ELNS1_11target_archE906ELNS1_3gpuE6ELNS1_3repE0EEENS1_30default_config_static_selectorELNS0_4arch9wavefront6targetE1EEEvSL_, .Lfunc_end3674-_ZN7rocprim17ROCPRIM_400000_NS6detail17trampoline_kernelINS0_14default_configENS1_37merge_sort_block_sort_config_selectorI14custom_numericNS0_10empty_typeEEEZNS1_21merge_sort_block_sortIS3_N6thrust23THRUST_200600_302600_NS6detail15normal_iteratorINSA_10device_ptrIS5_EEEESF_PS6_SG_14custom_greaterIS5_EEE10hipError_tT0_T1_T2_T3_mRjT4_P12ihipStream_tbNS1_7vsmem_tEEUlT_E_NS1_11comp_targetILNS1_3genE2ELNS1_11target_archE906ELNS1_3gpuE6ELNS1_3repE0EEENS1_30default_config_static_selectorELNS0_4arch9wavefront6targetE1EEEvSL_
                                        ; -- End function
	.section	.AMDGPU.csdata,"",@progbits
; Kernel info:
; codeLenInByte = 0
; NumSgprs: 4
; NumVgprs: 0
; NumAgprs: 0
; TotalNumVgprs: 0
; ScratchSize: 0
; MemoryBound: 0
; FloatMode: 240
; IeeeMode: 1
; LDSByteSize: 0 bytes/workgroup (compile time only)
; SGPRBlocks: 0
; VGPRBlocks: 0
; NumSGPRsForWavesPerEU: 4
; NumVGPRsForWavesPerEU: 1
; AccumOffset: 4
; Occupancy: 8
; WaveLimiterHint : 0
; COMPUTE_PGM_RSRC2:SCRATCH_EN: 0
; COMPUTE_PGM_RSRC2:USER_SGPR: 6
; COMPUTE_PGM_RSRC2:TRAP_HANDLER: 0
; COMPUTE_PGM_RSRC2:TGID_X_EN: 1
; COMPUTE_PGM_RSRC2:TGID_Y_EN: 0
; COMPUTE_PGM_RSRC2:TGID_Z_EN: 0
; COMPUTE_PGM_RSRC2:TIDIG_COMP_CNT: 0
; COMPUTE_PGM_RSRC3_GFX90A:ACCUM_OFFSET: 0
; COMPUTE_PGM_RSRC3_GFX90A:TG_SPLIT: 0
	.section	.text._ZN7rocprim17ROCPRIM_400000_NS6detail17trampoline_kernelINS0_14default_configENS1_37merge_sort_block_sort_config_selectorI14custom_numericNS0_10empty_typeEEEZNS1_21merge_sort_block_sortIS3_N6thrust23THRUST_200600_302600_NS6detail15normal_iteratorINSA_10device_ptrIS5_EEEESF_PS6_SG_14custom_greaterIS5_EEE10hipError_tT0_T1_T2_T3_mRjT4_P12ihipStream_tbNS1_7vsmem_tEEUlT_E_NS1_11comp_targetILNS1_3genE10ELNS1_11target_archE1201ELNS1_3gpuE5ELNS1_3repE0EEENS1_30default_config_static_selectorELNS0_4arch9wavefront6targetE1EEEvSL_,"axG",@progbits,_ZN7rocprim17ROCPRIM_400000_NS6detail17trampoline_kernelINS0_14default_configENS1_37merge_sort_block_sort_config_selectorI14custom_numericNS0_10empty_typeEEEZNS1_21merge_sort_block_sortIS3_N6thrust23THRUST_200600_302600_NS6detail15normal_iteratorINSA_10device_ptrIS5_EEEESF_PS6_SG_14custom_greaterIS5_EEE10hipError_tT0_T1_T2_T3_mRjT4_P12ihipStream_tbNS1_7vsmem_tEEUlT_E_NS1_11comp_targetILNS1_3genE10ELNS1_11target_archE1201ELNS1_3gpuE5ELNS1_3repE0EEENS1_30default_config_static_selectorELNS0_4arch9wavefront6targetE1EEEvSL_,comdat
	.protected	_ZN7rocprim17ROCPRIM_400000_NS6detail17trampoline_kernelINS0_14default_configENS1_37merge_sort_block_sort_config_selectorI14custom_numericNS0_10empty_typeEEEZNS1_21merge_sort_block_sortIS3_N6thrust23THRUST_200600_302600_NS6detail15normal_iteratorINSA_10device_ptrIS5_EEEESF_PS6_SG_14custom_greaterIS5_EEE10hipError_tT0_T1_T2_T3_mRjT4_P12ihipStream_tbNS1_7vsmem_tEEUlT_E_NS1_11comp_targetILNS1_3genE10ELNS1_11target_archE1201ELNS1_3gpuE5ELNS1_3repE0EEENS1_30default_config_static_selectorELNS0_4arch9wavefront6targetE1EEEvSL_ ; -- Begin function _ZN7rocprim17ROCPRIM_400000_NS6detail17trampoline_kernelINS0_14default_configENS1_37merge_sort_block_sort_config_selectorI14custom_numericNS0_10empty_typeEEEZNS1_21merge_sort_block_sortIS3_N6thrust23THRUST_200600_302600_NS6detail15normal_iteratorINSA_10device_ptrIS5_EEEESF_PS6_SG_14custom_greaterIS5_EEE10hipError_tT0_T1_T2_T3_mRjT4_P12ihipStream_tbNS1_7vsmem_tEEUlT_E_NS1_11comp_targetILNS1_3genE10ELNS1_11target_archE1201ELNS1_3gpuE5ELNS1_3repE0EEENS1_30default_config_static_selectorELNS0_4arch9wavefront6targetE1EEEvSL_
	.globl	_ZN7rocprim17ROCPRIM_400000_NS6detail17trampoline_kernelINS0_14default_configENS1_37merge_sort_block_sort_config_selectorI14custom_numericNS0_10empty_typeEEEZNS1_21merge_sort_block_sortIS3_N6thrust23THRUST_200600_302600_NS6detail15normal_iteratorINSA_10device_ptrIS5_EEEESF_PS6_SG_14custom_greaterIS5_EEE10hipError_tT0_T1_T2_T3_mRjT4_P12ihipStream_tbNS1_7vsmem_tEEUlT_E_NS1_11comp_targetILNS1_3genE10ELNS1_11target_archE1201ELNS1_3gpuE5ELNS1_3repE0EEENS1_30default_config_static_selectorELNS0_4arch9wavefront6targetE1EEEvSL_
	.p2align	8
	.type	_ZN7rocprim17ROCPRIM_400000_NS6detail17trampoline_kernelINS0_14default_configENS1_37merge_sort_block_sort_config_selectorI14custom_numericNS0_10empty_typeEEEZNS1_21merge_sort_block_sortIS3_N6thrust23THRUST_200600_302600_NS6detail15normal_iteratorINSA_10device_ptrIS5_EEEESF_PS6_SG_14custom_greaterIS5_EEE10hipError_tT0_T1_T2_T3_mRjT4_P12ihipStream_tbNS1_7vsmem_tEEUlT_E_NS1_11comp_targetILNS1_3genE10ELNS1_11target_archE1201ELNS1_3gpuE5ELNS1_3repE0EEENS1_30default_config_static_selectorELNS0_4arch9wavefront6targetE1EEEvSL_,@function
_ZN7rocprim17ROCPRIM_400000_NS6detail17trampoline_kernelINS0_14default_configENS1_37merge_sort_block_sort_config_selectorI14custom_numericNS0_10empty_typeEEEZNS1_21merge_sort_block_sortIS3_N6thrust23THRUST_200600_302600_NS6detail15normal_iteratorINSA_10device_ptrIS5_EEEESF_PS6_SG_14custom_greaterIS5_EEE10hipError_tT0_T1_T2_T3_mRjT4_P12ihipStream_tbNS1_7vsmem_tEEUlT_E_NS1_11comp_targetILNS1_3genE10ELNS1_11target_archE1201ELNS1_3gpuE5ELNS1_3repE0EEENS1_30default_config_static_selectorELNS0_4arch9wavefront6targetE1EEEvSL_: ; @_ZN7rocprim17ROCPRIM_400000_NS6detail17trampoline_kernelINS0_14default_configENS1_37merge_sort_block_sort_config_selectorI14custom_numericNS0_10empty_typeEEEZNS1_21merge_sort_block_sortIS3_N6thrust23THRUST_200600_302600_NS6detail15normal_iteratorINSA_10device_ptrIS5_EEEESF_PS6_SG_14custom_greaterIS5_EEE10hipError_tT0_T1_T2_T3_mRjT4_P12ihipStream_tbNS1_7vsmem_tEEUlT_E_NS1_11comp_targetILNS1_3genE10ELNS1_11target_archE1201ELNS1_3gpuE5ELNS1_3repE0EEENS1_30default_config_static_selectorELNS0_4arch9wavefront6targetE1EEEvSL_
; %bb.0:
	.section	.rodata,"a",@progbits
	.p2align	6, 0x0
	.amdhsa_kernel _ZN7rocprim17ROCPRIM_400000_NS6detail17trampoline_kernelINS0_14default_configENS1_37merge_sort_block_sort_config_selectorI14custom_numericNS0_10empty_typeEEEZNS1_21merge_sort_block_sortIS3_N6thrust23THRUST_200600_302600_NS6detail15normal_iteratorINSA_10device_ptrIS5_EEEESF_PS6_SG_14custom_greaterIS5_EEE10hipError_tT0_T1_T2_T3_mRjT4_P12ihipStream_tbNS1_7vsmem_tEEUlT_E_NS1_11comp_targetILNS1_3genE10ELNS1_11target_archE1201ELNS1_3gpuE5ELNS1_3repE0EEENS1_30default_config_static_selectorELNS0_4arch9wavefront6targetE1EEEvSL_
		.amdhsa_group_segment_fixed_size 0
		.amdhsa_private_segment_fixed_size 0
		.amdhsa_kernarg_size 64
		.amdhsa_user_sgpr_count 6
		.amdhsa_user_sgpr_private_segment_buffer 1
		.amdhsa_user_sgpr_dispatch_ptr 0
		.amdhsa_user_sgpr_queue_ptr 0
		.amdhsa_user_sgpr_kernarg_segment_ptr 1
		.amdhsa_user_sgpr_dispatch_id 0
		.amdhsa_user_sgpr_flat_scratch_init 0
		.amdhsa_user_sgpr_kernarg_preload_length 0
		.amdhsa_user_sgpr_kernarg_preload_offset 0
		.amdhsa_user_sgpr_private_segment_size 0
		.amdhsa_uses_dynamic_stack 0
		.amdhsa_system_sgpr_private_segment_wavefront_offset 0
		.amdhsa_system_sgpr_workgroup_id_x 1
		.amdhsa_system_sgpr_workgroup_id_y 0
		.amdhsa_system_sgpr_workgroup_id_z 0
		.amdhsa_system_sgpr_workgroup_info 0
		.amdhsa_system_vgpr_workitem_id 0
		.amdhsa_next_free_vgpr 1
		.amdhsa_next_free_sgpr 0
		.amdhsa_accum_offset 4
		.amdhsa_reserve_vcc 0
		.amdhsa_reserve_flat_scratch 0
		.amdhsa_float_round_mode_32 0
		.amdhsa_float_round_mode_16_64 0
		.amdhsa_float_denorm_mode_32 3
		.amdhsa_float_denorm_mode_16_64 3
		.amdhsa_dx10_clamp 1
		.amdhsa_ieee_mode 1
		.amdhsa_fp16_overflow 0
		.amdhsa_tg_split 0
		.amdhsa_exception_fp_ieee_invalid_op 0
		.amdhsa_exception_fp_denorm_src 0
		.amdhsa_exception_fp_ieee_div_zero 0
		.amdhsa_exception_fp_ieee_overflow 0
		.amdhsa_exception_fp_ieee_underflow 0
		.amdhsa_exception_fp_ieee_inexact 0
		.amdhsa_exception_int_div_zero 0
	.end_amdhsa_kernel
	.section	.text._ZN7rocprim17ROCPRIM_400000_NS6detail17trampoline_kernelINS0_14default_configENS1_37merge_sort_block_sort_config_selectorI14custom_numericNS0_10empty_typeEEEZNS1_21merge_sort_block_sortIS3_N6thrust23THRUST_200600_302600_NS6detail15normal_iteratorINSA_10device_ptrIS5_EEEESF_PS6_SG_14custom_greaterIS5_EEE10hipError_tT0_T1_T2_T3_mRjT4_P12ihipStream_tbNS1_7vsmem_tEEUlT_E_NS1_11comp_targetILNS1_3genE10ELNS1_11target_archE1201ELNS1_3gpuE5ELNS1_3repE0EEENS1_30default_config_static_selectorELNS0_4arch9wavefront6targetE1EEEvSL_,"axG",@progbits,_ZN7rocprim17ROCPRIM_400000_NS6detail17trampoline_kernelINS0_14default_configENS1_37merge_sort_block_sort_config_selectorI14custom_numericNS0_10empty_typeEEEZNS1_21merge_sort_block_sortIS3_N6thrust23THRUST_200600_302600_NS6detail15normal_iteratorINSA_10device_ptrIS5_EEEESF_PS6_SG_14custom_greaterIS5_EEE10hipError_tT0_T1_T2_T3_mRjT4_P12ihipStream_tbNS1_7vsmem_tEEUlT_E_NS1_11comp_targetILNS1_3genE10ELNS1_11target_archE1201ELNS1_3gpuE5ELNS1_3repE0EEENS1_30default_config_static_selectorELNS0_4arch9wavefront6targetE1EEEvSL_,comdat
.Lfunc_end3675:
	.size	_ZN7rocprim17ROCPRIM_400000_NS6detail17trampoline_kernelINS0_14default_configENS1_37merge_sort_block_sort_config_selectorI14custom_numericNS0_10empty_typeEEEZNS1_21merge_sort_block_sortIS3_N6thrust23THRUST_200600_302600_NS6detail15normal_iteratorINSA_10device_ptrIS5_EEEESF_PS6_SG_14custom_greaterIS5_EEE10hipError_tT0_T1_T2_T3_mRjT4_P12ihipStream_tbNS1_7vsmem_tEEUlT_E_NS1_11comp_targetILNS1_3genE10ELNS1_11target_archE1201ELNS1_3gpuE5ELNS1_3repE0EEENS1_30default_config_static_selectorELNS0_4arch9wavefront6targetE1EEEvSL_, .Lfunc_end3675-_ZN7rocprim17ROCPRIM_400000_NS6detail17trampoline_kernelINS0_14default_configENS1_37merge_sort_block_sort_config_selectorI14custom_numericNS0_10empty_typeEEEZNS1_21merge_sort_block_sortIS3_N6thrust23THRUST_200600_302600_NS6detail15normal_iteratorINSA_10device_ptrIS5_EEEESF_PS6_SG_14custom_greaterIS5_EEE10hipError_tT0_T1_T2_T3_mRjT4_P12ihipStream_tbNS1_7vsmem_tEEUlT_E_NS1_11comp_targetILNS1_3genE10ELNS1_11target_archE1201ELNS1_3gpuE5ELNS1_3repE0EEENS1_30default_config_static_selectorELNS0_4arch9wavefront6targetE1EEEvSL_
                                        ; -- End function
	.section	.AMDGPU.csdata,"",@progbits
; Kernel info:
; codeLenInByte = 0
; NumSgprs: 4
; NumVgprs: 0
; NumAgprs: 0
; TotalNumVgprs: 0
; ScratchSize: 0
; MemoryBound: 0
; FloatMode: 240
; IeeeMode: 1
; LDSByteSize: 0 bytes/workgroup (compile time only)
; SGPRBlocks: 0
; VGPRBlocks: 0
; NumSGPRsForWavesPerEU: 4
; NumVGPRsForWavesPerEU: 1
; AccumOffset: 4
; Occupancy: 8
; WaveLimiterHint : 0
; COMPUTE_PGM_RSRC2:SCRATCH_EN: 0
; COMPUTE_PGM_RSRC2:USER_SGPR: 6
; COMPUTE_PGM_RSRC2:TRAP_HANDLER: 0
; COMPUTE_PGM_RSRC2:TGID_X_EN: 1
; COMPUTE_PGM_RSRC2:TGID_Y_EN: 0
; COMPUTE_PGM_RSRC2:TGID_Z_EN: 0
; COMPUTE_PGM_RSRC2:TIDIG_COMP_CNT: 0
; COMPUTE_PGM_RSRC3_GFX90A:ACCUM_OFFSET: 0
; COMPUTE_PGM_RSRC3_GFX90A:TG_SPLIT: 0
	.section	.text._ZN7rocprim17ROCPRIM_400000_NS6detail17trampoline_kernelINS0_14default_configENS1_37merge_sort_block_sort_config_selectorI14custom_numericNS0_10empty_typeEEEZNS1_21merge_sort_block_sortIS3_N6thrust23THRUST_200600_302600_NS6detail15normal_iteratorINSA_10device_ptrIS5_EEEESF_PS6_SG_14custom_greaterIS5_EEE10hipError_tT0_T1_T2_T3_mRjT4_P12ihipStream_tbNS1_7vsmem_tEEUlT_E_NS1_11comp_targetILNS1_3genE10ELNS1_11target_archE1200ELNS1_3gpuE4ELNS1_3repE0EEENS1_30default_config_static_selectorELNS0_4arch9wavefront6targetE1EEEvSL_,"axG",@progbits,_ZN7rocprim17ROCPRIM_400000_NS6detail17trampoline_kernelINS0_14default_configENS1_37merge_sort_block_sort_config_selectorI14custom_numericNS0_10empty_typeEEEZNS1_21merge_sort_block_sortIS3_N6thrust23THRUST_200600_302600_NS6detail15normal_iteratorINSA_10device_ptrIS5_EEEESF_PS6_SG_14custom_greaterIS5_EEE10hipError_tT0_T1_T2_T3_mRjT4_P12ihipStream_tbNS1_7vsmem_tEEUlT_E_NS1_11comp_targetILNS1_3genE10ELNS1_11target_archE1200ELNS1_3gpuE4ELNS1_3repE0EEENS1_30default_config_static_selectorELNS0_4arch9wavefront6targetE1EEEvSL_,comdat
	.protected	_ZN7rocprim17ROCPRIM_400000_NS6detail17trampoline_kernelINS0_14default_configENS1_37merge_sort_block_sort_config_selectorI14custom_numericNS0_10empty_typeEEEZNS1_21merge_sort_block_sortIS3_N6thrust23THRUST_200600_302600_NS6detail15normal_iteratorINSA_10device_ptrIS5_EEEESF_PS6_SG_14custom_greaterIS5_EEE10hipError_tT0_T1_T2_T3_mRjT4_P12ihipStream_tbNS1_7vsmem_tEEUlT_E_NS1_11comp_targetILNS1_3genE10ELNS1_11target_archE1200ELNS1_3gpuE4ELNS1_3repE0EEENS1_30default_config_static_selectorELNS0_4arch9wavefront6targetE1EEEvSL_ ; -- Begin function _ZN7rocprim17ROCPRIM_400000_NS6detail17trampoline_kernelINS0_14default_configENS1_37merge_sort_block_sort_config_selectorI14custom_numericNS0_10empty_typeEEEZNS1_21merge_sort_block_sortIS3_N6thrust23THRUST_200600_302600_NS6detail15normal_iteratorINSA_10device_ptrIS5_EEEESF_PS6_SG_14custom_greaterIS5_EEE10hipError_tT0_T1_T2_T3_mRjT4_P12ihipStream_tbNS1_7vsmem_tEEUlT_E_NS1_11comp_targetILNS1_3genE10ELNS1_11target_archE1200ELNS1_3gpuE4ELNS1_3repE0EEENS1_30default_config_static_selectorELNS0_4arch9wavefront6targetE1EEEvSL_
	.globl	_ZN7rocprim17ROCPRIM_400000_NS6detail17trampoline_kernelINS0_14default_configENS1_37merge_sort_block_sort_config_selectorI14custom_numericNS0_10empty_typeEEEZNS1_21merge_sort_block_sortIS3_N6thrust23THRUST_200600_302600_NS6detail15normal_iteratorINSA_10device_ptrIS5_EEEESF_PS6_SG_14custom_greaterIS5_EEE10hipError_tT0_T1_T2_T3_mRjT4_P12ihipStream_tbNS1_7vsmem_tEEUlT_E_NS1_11comp_targetILNS1_3genE10ELNS1_11target_archE1200ELNS1_3gpuE4ELNS1_3repE0EEENS1_30default_config_static_selectorELNS0_4arch9wavefront6targetE1EEEvSL_
	.p2align	8
	.type	_ZN7rocprim17ROCPRIM_400000_NS6detail17trampoline_kernelINS0_14default_configENS1_37merge_sort_block_sort_config_selectorI14custom_numericNS0_10empty_typeEEEZNS1_21merge_sort_block_sortIS3_N6thrust23THRUST_200600_302600_NS6detail15normal_iteratorINSA_10device_ptrIS5_EEEESF_PS6_SG_14custom_greaterIS5_EEE10hipError_tT0_T1_T2_T3_mRjT4_P12ihipStream_tbNS1_7vsmem_tEEUlT_E_NS1_11comp_targetILNS1_3genE10ELNS1_11target_archE1200ELNS1_3gpuE4ELNS1_3repE0EEENS1_30default_config_static_selectorELNS0_4arch9wavefront6targetE1EEEvSL_,@function
_ZN7rocprim17ROCPRIM_400000_NS6detail17trampoline_kernelINS0_14default_configENS1_37merge_sort_block_sort_config_selectorI14custom_numericNS0_10empty_typeEEEZNS1_21merge_sort_block_sortIS3_N6thrust23THRUST_200600_302600_NS6detail15normal_iteratorINSA_10device_ptrIS5_EEEESF_PS6_SG_14custom_greaterIS5_EEE10hipError_tT0_T1_T2_T3_mRjT4_P12ihipStream_tbNS1_7vsmem_tEEUlT_E_NS1_11comp_targetILNS1_3genE10ELNS1_11target_archE1200ELNS1_3gpuE4ELNS1_3repE0EEENS1_30default_config_static_selectorELNS0_4arch9wavefront6targetE1EEEvSL_: ; @_ZN7rocprim17ROCPRIM_400000_NS6detail17trampoline_kernelINS0_14default_configENS1_37merge_sort_block_sort_config_selectorI14custom_numericNS0_10empty_typeEEEZNS1_21merge_sort_block_sortIS3_N6thrust23THRUST_200600_302600_NS6detail15normal_iteratorINSA_10device_ptrIS5_EEEESF_PS6_SG_14custom_greaterIS5_EEE10hipError_tT0_T1_T2_T3_mRjT4_P12ihipStream_tbNS1_7vsmem_tEEUlT_E_NS1_11comp_targetILNS1_3genE10ELNS1_11target_archE1200ELNS1_3gpuE4ELNS1_3repE0EEENS1_30default_config_static_selectorELNS0_4arch9wavefront6targetE1EEEvSL_
; %bb.0:
	.section	.rodata,"a",@progbits
	.p2align	6, 0x0
	.amdhsa_kernel _ZN7rocprim17ROCPRIM_400000_NS6detail17trampoline_kernelINS0_14default_configENS1_37merge_sort_block_sort_config_selectorI14custom_numericNS0_10empty_typeEEEZNS1_21merge_sort_block_sortIS3_N6thrust23THRUST_200600_302600_NS6detail15normal_iteratorINSA_10device_ptrIS5_EEEESF_PS6_SG_14custom_greaterIS5_EEE10hipError_tT0_T1_T2_T3_mRjT4_P12ihipStream_tbNS1_7vsmem_tEEUlT_E_NS1_11comp_targetILNS1_3genE10ELNS1_11target_archE1200ELNS1_3gpuE4ELNS1_3repE0EEENS1_30default_config_static_selectorELNS0_4arch9wavefront6targetE1EEEvSL_
		.amdhsa_group_segment_fixed_size 0
		.amdhsa_private_segment_fixed_size 0
		.amdhsa_kernarg_size 64
		.amdhsa_user_sgpr_count 6
		.amdhsa_user_sgpr_private_segment_buffer 1
		.amdhsa_user_sgpr_dispatch_ptr 0
		.amdhsa_user_sgpr_queue_ptr 0
		.amdhsa_user_sgpr_kernarg_segment_ptr 1
		.amdhsa_user_sgpr_dispatch_id 0
		.amdhsa_user_sgpr_flat_scratch_init 0
		.amdhsa_user_sgpr_kernarg_preload_length 0
		.amdhsa_user_sgpr_kernarg_preload_offset 0
		.amdhsa_user_sgpr_private_segment_size 0
		.amdhsa_uses_dynamic_stack 0
		.amdhsa_system_sgpr_private_segment_wavefront_offset 0
		.amdhsa_system_sgpr_workgroup_id_x 1
		.amdhsa_system_sgpr_workgroup_id_y 0
		.amdhsa_system_sgpr_workgroup_id_z 0
		.amdhsa_system_sgpr_workgroup_info 0
		.amdhsa_system_vgpr_workitem_id 0
		.amdhsa_next_free_vgpr 1
		.amdhsa_next_free_sgpr 0
		.amdhsa_accum_offset 4
		.amdhsa_reserve_vcc 0
		.amdhsa_reserve_flat_scratch 0
		.amdhsa_float_round_mode_32 0
		.amdhsa_float_round_mode_16_64 0
		.amdhsa_float_denorm_mode_32 3
		.amdhsa_float_denorm_mode_16_64 3
		.amdhsa_dx10_clamp 1
		.amdhsa_ieee_mode 1
		.amdhsa_fp16_overflow 0
		.amdhsa_tg_split 0
		.amdhsa_exception_fp_ieee_invalid_op 0
		.amdhsa_exception_fp_denorm_src 0
		.amdhsa_exception_fp_ieee_div_zero 0
		.amdhsa_exception_fp_ieee_overflow 0
		.amdhsa_exception_fp_ieee_underflow 0
		.amdhsa_exception_fp_ieee_inexact 0
		.amdhsa_exception_int_div_zero 0
	.end_amdhsa_kernel
	.section	.text._ZN7rocprim17ROCPRIM_400000_NS6detail17trampoline_kernelINS0_14default_configENS1_37merge_sort_block_sort_config_selectorI14custom_numericNS0_10empty_typeEEEZNS1_21merge_sort_block_sortIS3_N6thrust23THRUST_200600_302600_NS6detail15normal_iteratorINSA_10device_ptrIS5_EEEESF_PS6_SG_14custom_greaterIS5_EEE10hipError_tT0_T1_T2_T3_mRjT4_P12ihipStream_tbNS1_7vsmem_tEEUlT_E_NS1_11comp_targetILNS1_3genE10ELNS1_11target_archE1200ELNS1_3gpuE4ELNS1_3repE0EEENS1_30default_config_static_selectorELNS0_4arch9wavefront6targetE1EEEvSL_,"axG",@progbits,_ZN7rocprim17ROCPRIM_400000_NS6detail17trampoline_kernelINS0_14default_configENS1_37merge_sort_block_sort_config_selectorI14custom_numericNS0_10empty_typeEEEZNS1_21merge_sort_block_sortIS3_N6thrust23THRUST_200600_302600_NS6detail15normal_iteratorINSA_10device_ptrIS5_EEEESF_PS6_SG_14custom_greaterIS5_EEE10hipError_tT0_T1_T2_T3_mRjT4_P12ihipStream_tbNS1_7vsmem_tEEUlT_E_NS1_11comp_targetILNS1_3genE10ELNS1_11target_archE1200ELNS1_3gpuE4ELNS1_3repE0EEENS1_30default_config_static_selectorELNS0_4arch9wavefront6targetE1EEEvSL_,comdat
.Lfunc_end3676:
	.size	_ZN7rocprim17ROCPRIM_400000_NS6detail17trampoline_kernelINS0_14default_configENS1_37merge_sort_block_sort_config_selectorI14custom_numericNS0_10empty_typeEEEZNS1_21merge_sort_block_sortIS3_N6thrust23THRUST_200600_302600_NS6detail15normal_iteratorINSA_10device_ptrIS5_EEEESF_PS6_SG_14custom_greaterIS5_EEE10hipError_tT0_T1_T2_T3_mRjT4_P12ihipStream_tbNS1_7vsmem_tEEUlT_E_NS1_11comp_targetILNS1_3genE10ELNS1_11target_archE1200ELNS1_3gpuE4ELNS1_3repE0EEENS1_30default_config_static_selectorELNS0_4arch9wavefront6targetE1EEEvSL_, .Lfunc_end3676-_ZN7rocprim17ROCPRIM_400000_NS6detail17trampoline_kernelINS0_14default_configENS1_37merge_sort_block_sort_config_selectorI14custom_numericNS0_10empty_typeEEEZNS1_21merge_sort_block_sortIS3_N6thrust23THRUST_200600_302600_NS6detail15normal_iteratorINSA_10device_ptrIS5_EEEESF_PS6_SG_14custom_greaterIS5_EEE10hipError_tT0_T1_T2_T3_mRjT4_P12ihipStream_tbNS1_7vsmem_tEEUlT_E_NS1_11comp_targetILNS1_3genE10ELNS1_11target_archE1200ELNS1_3gpuE4ELNS1_3repE0EEENS1_30default_config_static_selectorELNS0_4arch9wavefront6targetE1EEEvSL_
                                        ; -- End function
	.section	.AMDGPU.csdata,"",@progbits
; Kernel info:
; codeLenInByte = 0
; NumSgprs: 4
; NumVgprs: 0
; NumAgprs: 0
; TotalNumVgprs: 0
; ScratchSize: 0
; MemoryBound: 0
; FloatMode: 240
; IeeeMode: 1
; LDSByteSize: 0 bytes/workgroup (compile time only)
; SGPRBlocks: 0
; VGPRBlocks: 0
; NumSGPRsForWavesPerEU: 4
; NumVGPRsForWavesPerEU: 1
; AccumOffset: 4
; Occupancy: 8
; WaveLimiterHint : 0
; COMPUTE_PGM_RSRC2:SCRATCH_EN: 0
; COMPUTE_PGM_RSRC2:USER_SGPR: 6
; COMPUTE_PGM_RSRC2:TRAP_HANDLER: 0
; COMPUTE_PGM_RSRC2:TGID_X_EN: 1
; COMPUTE_PGM_RSRC2:TGID_Y_EN: 0
; COMPUTE_PGM_RSRC2:TGID_Z_EN: 0
; COMPUTE_PGM_RSRC2:TIDIG_COMP_CNT: 0
; COMPUTE_PGM_RSRC3_GFX90A:ACCUM_OFFSET: 0
; COMPUTE_PGM_RSRC3_GFX90A:TG_SPLIT: 0
	.section	.text._ZN7rocprim17ROCPRIM_400000_NS6detail17trampoline_kernelINS0_14default_configENS1_37merge_sort_block_sort_config_selectorI14custom_numericNS0_10empty_typeEEEZNS1_21merge_sort_block_sortIS3_N6thrust23THRUST_200600_302600_NS6detail15normal_iteratorINSA_10device_ptrIS5_EEEESF_PS6_SG_14custom_greaterIS5_EEE10hipError_tT0_T1_T2_T3_mRjT4_P12ihipStream_tbNS1_7vsmem_tEEUlT_E_NS1_11comp_targetILNS1_3genE9ELNS1_11target_archE1100ELNS1_3gpuE3ELNS1_3repE0EEENS1_30default_config_static_selectorELNS0_4arch9wavefront6targetE1EEEvSL_,"axG",@progbits,_ZN7rocprim17ROCPRIM_400000_NS6detail17trampoline_kernelINS0_14default_configENS1_37merge_sort_block_sort_config_selectorI14custom_numericNS0_10empty_typeEEEZNS1_21merge_sort_block_sortIS3_N6thrust23THRUST_200600_302600_NS6detail15normal_iteratorINSA_10device_ptrIS5_EEEESF_PS6_SG_14custom_greaterIS5_EEE10hipError_tT0_T1_T2_T3_mRjT4_P12ihipStream_tbNS1_7vsmem_tEEUlT_E_NS1_11comp_targetILNS1_3genE9ELNS1_11target_archE1100ELNS1_3gpuE3ELNS1_3repE0EEENS1_30default_config_static_selectorELNS0_4arch9wavefront6targetE1EEEvSL_,comdat
	.protected	_ZN7rocprim17ROCPRIM_400000_NS6detail17trampoline_kernelINS0_14default_configENS1_37merge_sort_block_sort_config_selectorI14custom_numericNS0_10empty_typeEEEZNS1_21merge_sort_block_sortIS3_N6thrust23THRUST_200600_302600_NS6detail15normal_iteratorINSA_10device_ptrIS5_EEEESF_PS6_SG_14custom_greaterIS5_EEE10hipError_tT0_T1_T2_T3_mRjT4_P12ihipStream_tbNS1_7vsmem_tEEUlT_E_NS1_11comp_targetILNS1_3genE9ELNS1_11target_archE1100ELNS1_3gpuE3ELNS1_3repE0EEENS1_30default_config_static_selectorELNS0_4arch9wavefront6targetE1EEEvSL_ ; -- Begin function _ZN7rocprim17ROCPRIM_400000_NS6detail17trampoline_kernelINS0_14default_configENS1_37merge_sort_block_sort_config_selectorI14custom_numericNS0_10empty_typeEEEZNS1_21merge_sort_block_sortIS3_N6thrust23THRUST_200600_302600_NS6detail15normal_iteratorINSA_10device_ptrIS5_EEEESF_PS6_SG_14custom_greaterIS5_EEE10hipError_tT0_T1_T2_T3_mRjT4_P12ihipStream_tbNS1_7vsmem_tEEUlT_E_NS1_11comp_targetILNS1_3genE9ELNS1_11target_archE1100ELNS1_3gpuE3ELNS1_3repE0EEENS1_30default_config_static_selectorELNS0_4arch9wavefront6targetE1EEEvSL_
	.globl	_ZN7rocprim17ROCPRIM_400000_NS6detail17trampoline_kernelINS0_14default_configENS1_37merge_sort_block_sort_config_selectorI14custom_numericNS0_10empty_typeEEEZNS1_21merge_sort_block_sortIS3_N6thrust23THRUST_200600_302600_NS6detail15normal_iteratorINSA_10device_ptrIS5_EEEESF_PS6_SG_14custom_greaterIS5_EEE10hipError_tT0_T1_T2_T3_mRjT4_P12ihipStream_tbNS1_7vsmem_tEEUlT_E_NS1_11comp_targetILNS1_3genE9ELNS1_11target_archE1100ELNS1_3gpuE3ELNS1_3repE0EEENS1_30default_config_static_selectorELNS0_4arch9wavefront6targetE1EEEvSL_
	.p2align	8
	.type	_ZN7rocprim17ROCPRIM_400000_NS6detail17trampoline_kernelINS0_14default_configENS1_37merge_sort_block_sort_config_selectorI14custom_numericNS0_10empty_typeEEEZNS1_21merge_sort_block_sortIS3_N6thrust23THRUST_200600_302600_NS6detail15normal_iteratorINSA_10device_ptrIS5_EEEESF_PS6_SG_14custom_greaterIS5_EEE10hipError_tT0_T1_T2_T3_mRjT4_P12ihipStream_tbNS1_7vsmem_tEEUlT_E_NS1_11comp_targetILNS1_3genE9ELNS1_11target_archE1100ELNS1_3gpuE3ELNS1_3repE0EEENS1_30default_config_static_selectorELNS0_4arch9wavefront6targetE1EEEvSL_,@function
_ZN7rocprim17ROCPRIM_400000_NS6detail17trampoline_kernelINS0_14default_configENS1_37merge_sort_block_sort_config_selectorI14custom_numericNS0_10empty_typeEEEZNS1_21merge_sort_block_sortIS3_N6thrust23THRUST_200600_302600_NS6detail15normal_iteratorINSA_10device_ptrIS5_EEEESF_PS6_SG_14custom_greaterIS5_EEE10hipError_tT0_T1_T2_T3_mRjT4_P12ihipStream_tbNS1_7vsmem_tEEUlT_E_NS1_11comp_targetILNS1_3genE9ELNS1_11target_archE1100ELNS1_3gpuE3ELNS1_3repE0EEENS1_30default_config_static_selectorELNS0_4arch9wavefront6targetE1EEEvSL_: ; @_ZN7rocprim17ROCPRIM_400000_NS6detail17trampoline_kernelINS0_14default_configENS1_37merge_sort_block_sort_config_selectorI14custom_numericNS0_10empty_typeEEEZNS1_21merge_sort_block_sortIS3_N6thrust23THRUST_200600_302600_NS6detail15normal_iteratorINSA_10device_ptrIS5_EEEESF_PS6_SG_14custom_greaterIS5_EEE10hipError_tT0_T1_T2_T3_mRjT4_P12ihipStream_tbNS1_7vsmem_tEEUlT_E_NS1_11comp_targetILNS1_3genE9ELNS1_11target_archE1100ELNS1_3gpuE3ELNS1_3repE0EEENS1_30default_config_static_selectorELNS0_4arch9wavefront6targetE1EEEvSL_
; %bb.0:
	.section	.rodata,"a",@progbits
	.p2align	6, 0x0
	.amdhsa_kernel _ZN7rocprim17ROCPRIM_400000_NS6detail17trampoline_kernelINS0_14default_configENS1_37merge_sort_block_sort_config_selectorI14custom_numericNS0_10empty_typeEEEZNS1_21merge_sort_block_sortIS3_N6thrust23THRUST_200600_302600_NS6detail15normal_iteratorINSA_10device_ptrIS5_EEEESF_PS6_SG_14custom_greaterIS5_EEE10hipError_tT0_T1_T2_T3_mRjT4_P12ihipStream_tbNS1_7vsmem_tEEUlT_E_NS1_11comp_targetILNS1_3genE9ELNS1_11target_archE1100ELNS1_3gpuE3ELNS1_3repE0EEENS1_30default_config_static_selectorELNS0_4arch9wavefront6targetE1EEEvSL_
		.amdhsa_group_segment_fixed_size 0
		.amdhsa_private_segment_fixed_size 0
		.amdhsa_kernarg_size 64
		.amdhsa_user_sgpr_count 6
		.amdhsa_user_sgpr_private_segment_buffer 1
		.amdhsa_user_sgpr_dispatch_ptr 0
		.amdhsa_user_sgpr_queue_ptr 0
		.amdhsa_user_sgpr_kernarg_segment_ptr 1
		.amdhsa_user_sgpr_dispatch_id 0
		.amdhsa_user_sgpr_flat_scratch_init 0
		.amdhsa_user_sgpr_kernarg_preload_length 0
		.amdhsa_user_sgpr_kernarg_preload_offset 0
		.amdhsa_user_sgpr_private_segment_size 0
		.amdhsa_uses_dynamic_stack 0
		.amdhsa_system_sgpr_private_segment_wavefront_offset 0
		.amdhsa_system_sgpr_workgroup_id_x 1
		.amdhsa_system_sgpr_workgroup_id_y 0
		.amdhsa_system_sgpr_workgroup_id_z 0
		.amdhsa_system_sgpr_workgroup_info 0
		.amdhsa_system_vgpr_workitem_id 0
		.amdhsa_next_free_vgpr 1
		.amdhsa_next_free_sgpr 0
		.amdhsa_accum_offset 4
		.amdhsa_reserve_vcc 0
		.amdhsa_reserve_flat_scratch 0
		.amdhsa_float_round_mode_32 0
		.amdhsa_float_round_mode_16_64 0
		.amdhsa_float_denorm_mode_32 3
		.amdhsa_float_denorm_mode_16_64 3
		.amdhsa_dx10_clamp 1
		.amdhsa_ieee_mode 1
		.amdhsa_fp16_overflow 0
		.amdhsa_tg_split 0
		.amdhsa_exception_fp_ieee_invalid_op 0
		.amdhsa_exception_fp_denorm_src 0
		.amdhsa_exception_fp_ieee_div_zero 0
		.amdhsa_exception_fp_ieee_overflow 0
		.amdhsa_exception_fp_ieee_underflow 0
		.amdhsa_exception_fp_ieee_inexact 0
		.amdhsa_exception_int_div_zero 0
	.end_amdhsa_kernel
	.section	.text._ZN7rocprim17ROCPRIM_400000_NS6detail17trampoline_kernelINS0_14default_configENS1_37merge_sort_block_sort_config_selectorI14custom_numericNS0_10empty_typeEEEZNS1_21merge_sort_block_sortIS3_N6thrust23THRUST_200600_302600_NS6detail15normal_iteratorINSA_10device_ptrIS5_EEEESF_PS6_SG_14custom_greaterIS5_EEE10hipError_tT0_T1_T2_T3_mRjT4_P12ihipStream_tbNS1_7vsmem_tEEUlT_E_NS1_11comp_targetILNS1_3genE9ELNS1_11target_archE1100ELNS1_3gpuE3ELNS1_3repE0EEENS1_30default_config_static_selectorELNS0_4arch9wavefront6targetE1EEEvSL_,"axG",@progbits,_ZN7rocprim17ROCPRIM_400000_NS6detail17trampoline_kernelINS0_14default_configENS1_37merge_sort_block_sort_config_selectorI14custom_numericNS0_10empty_typeEEEZNS1_21merge_sort_block_sortIS3_N6thrust23THRUST_200600_302600_NS6detail15normal_iteratorINSA_10device_ptrIS5_EEEESF_PS6_SG_14custom_greaterIS5_EEE10hipError_tT0_T1_T2_T3_mRjT4_P12ihipStream_tbNS1_7vsmem_tEEUlT_E_NS1_11comp_targetILNS1_3genE9ELNS1_11target_archE1100ELNS1_3gpuE3ELNS1_3repE0EEENS1_30default_config_static_selectorELNS0_4arch9wavefront6targetE1EEEvSL_,comdat
.Lfunc_end3677:
	.size	_ZN7rocprim17ROCPRIM_400000_NS6detail17trampoline_kernelINS0_14default_configENS1_37merge_sort_block_sort_config_selectorI14custom_numericNS0_10empty_typeEEEZNS1_21merge_sort_block_sortIS3_N6thrust23THRUST_200600_302600_NS6detail15normal_iteratorINSA_10device_ptrIS5_EEEESF_PS6_SG_14custom_greaterIS5_EEE10hipError_tT0_T1_T2_T3_mRjT4_P12ihipStream_tbNS1_7vsmem_tEEUlT_E_NS1_11comp_targetILNS1_3genE9ELNS1_11target_archE1100ELNS1_3gpuE3ELNS1_3repE0EEENS1_30default_config_static_selectorELNS0_4arch9wavefront6targetE1EEEvSL_, .Lfunc_end3677-_ZN7rocprim17ROCPRIM_400000_NS6detail17trampoline_kernelINS0_14default_configENS1_37merge_sort_block_sort_config_selectorI14custom_numericNS0_10empty_typeEEEZNS1_21merge_sort_block_sortIS3_N6thrust23THRUST_200600_302600_NS6detail15normal_iteratorINSA_10device_ptrIS5_EEEESF_PS6_SG_14custom_greaterIS5_EEE10hipError_tT0_T1_T2_T3_mRjT4_P12ihipStream_tbNS1_7vsmem_tEEUlT_E_NS1_11comp_targetILNS1_3genE9ELNS1_11target_archE1100ELNS1_3gpuE3ELNS1_3repE0EEENS1_30default_config_static_selectorELNS0_4arch9wavefront6targetE1EEEvSL_
                                        ; -- End function
	.section	.AMDGPU.csdata,"",@progbits
; Kernel info:
; codeLenInByte = 0
; NumSgprs: 4
; NumVgprs: 0
; NumAgprs: 0
; TotalNumVgprs: 0
; ScratchSize: 0
; MemoryBound: 0
; FloatMode: 240
; IeeeMode: 1
; LDSByteSize: 0 bytes/workgroup (compile time only)
; SGPRBlocks: 0
; VGPRBlocks: 0
; NumSGPRsForWavesPerEU: 4
; NumVGPRsForWavesPerEU: 1
; AccumOffset: 4
; Occupancy: 8
; WaveLimiterHint : 0
; COMPUTE_PGM_RSRC2:SCRATCH_EN: 0
; COMPUTE_PGM_RSRC2:USER_SGPR: 6
; COMPUTE_PGM_RSRC2:TRAP_HANDLER: 0
; COMPUTE_PGM_RSRC2:TGID_X_EN: 1
; COMPUTE_PGM_RSRC2:TGID_Y_EN: 0
; COMPUTE_PGM_RSRC2:TGID_Z_EN: 0
; COMPUTE_PGM_RSRC2:TIDIG_COMP_CNT: 0
; COMPUTE_PGM_RSRC3_GFX90A:ACCUM_OFFSET: 0
; COMPUTE_PGM_RSRC3_GFX90A:TG_SPLIT: 0
	.section	.text._ZN7rocprim17ROCPRIM_400000_NS6detail17trampoline_kernelINS0_14default_configENS1_37merge_sort_block_sort_config_selectorI14custom_numericNS0_10empty_typeEEEZNS1_21merge_sort_block_sortIS3_N6thrust23THRUST_200600_302600_NS6detail15normal_iteratorINSA_10device_ptrIS5_EEEESF_PS6_SG_14custom_greaterIS5_EEE10hipError_tT0_T1_T2_T3_mRjT4_P12ihipStream_tbNS1_7vsmem_tEEUlT_E_NS1_11comp_targetILNS1_3genE8ELNS1_11target_archE1030ELNS1_3gpuE2ELNS1_3repE0EEENS1_30default_config_static_selectorELNS0_4arch9wavefront6targetE1EEEvSL_,"axG",@progbits,_ZN7rocprim17ROCPRIM_400000_NS6detail17trampoline_kernelINS0_14default_configENS1_37merge_sort_block_sort_config_selectorI14custom_numericNS0_10empty_typeEEEZNS1_21merge_sort_block_sortIS3_N6thrust23THRUST_200600_302600_NS6detail15normal_iteratorINSA_10device_ptrIS5_EEEESF_PS6_SG_14custom_greaterIS5_EEE10hipError_tT0_T1_T2_T3_mRjT4_P12ihipStream_tbNS1_7vsmem_tEEUlT_E_NS1_11comp_targetILNS1_3genE8ELNS1_11target_archE1030ELNS1_3gpuE2ELNS1_3repE0EEENS1_30default_config_static_selectorELNS0_4arch9wavefront6targetE1EEEvSL_,comdat
	.protected	_ZN7rocprim17ROCPRIM_400000_NS6detail17trampoline_kernelINS0_14default_configENS1_37merge_sort_block_sort_config_selectorI14custom_numericNS0_10empty_typeEEEZNS1_21merge_sort_block_sortIS3_N6thrust23THRUST_200600_302600_NS6detail15normal_iteratorINSA_10device_ptrIS5_EEEESF_PS6_SG_14custom_greaterIS5_EEE10hipError_tT0_T1_T2_T3_mRjT4_P12ihipStream_tbNS1_7vsmem_tEEUlT_E_NS1_11comp_targetILNS1_3genE8ELNS1_11target_archE1030ELNS1_3gpuE2ELNS1_3repE0EEENS1_30default_config_static_selectorELNS0_4arch9wavefront6targetE1EEEvSL_ ; -- Begin function _ZN7rocprim17ROCPRIM_400000_NS6detail17trampoline_kernelINS0_14default_configENS1_37merge_sort_block_sort_config_selectorI14custom_numericNS0_10empty_typeEEEZNS1_21merge_sort_block_sortIS3_N6thrust23THRUST_200600_302600_NS6detail15normal_iteratorINSA_10device_ptrIS5_EEEESF_PS6_SG_14custom_greaterIS5_EEE10hipError_tT0_T1_T2_T3_mRjT4_P12ihipStream_tbNS1_7vsmem_tEEUlT_E_NS1_11comp_targetILNS1_3genE8ELNS1_11target_archE1030ELNS1_3gpuE2ELNS1_3repE0EEENS1_30default_config_static_selectorELNS0_4arch9wavefront6targetE1EEEvSL_
	.globl	_ZN7rocprim17ROCPRIM_400000_NS6detail17trampoline_kernelINS0_14default_configENS1_37merge_sort_block_sort_config_selectorI14custom_numericNS0_10empty_typeEEEZNS1_21merge_sort_block_sortIS3_N6thrust23THRUST_200600_302600_NS6detail15normal_iteratorINSA_10device_ptrIS5_EEEESF_PS6_SG_14custom_greaterIS5_EEE10hipError_tT0_T1_T2_T3_mRjT4_P12ihipStream_tbNS1_7vsmem_tEEUlT_E_NS1_11comp_targetILNS1_3genE8ELNS1_11target_archE1030ELNS1_3gpuE2ELNS1_3repE0EEENS1_30default_config_static_selectorELNS0_4arch9wavefront6targetE1EEEvSL_
	.p2align	8
	.type	_ZN7rocprim17ROCPRIM_400000_NS6detail17trampoline_kernelINS0_14default_configENS1_37merge_sort_block_sort_config_selectorI14custom_numericNS0_10empty_typeEEEZNS1_21merge_sort_block_sortIS3_N6thrust23THRUST_200600_302600_NS6detail15normal_iteratorINSA_10device_ptrIS5_EEEESF_PS6_SG_14custom_greaterIS5_EEE10hipError_tT0_T1_T2_T3_mRjT4_P12ihipStream_tbNS1_7vsmem_tEEUlT_E_NS1_11comp_targetILNS1_3genE8ELNS1_11target_archE1030ELNS1_3gpuE2ELNS1_3repE0EEENS1_30default_config_static_selectorELNS0_4arch9wavefront6targetE1EEEvSL_,@function
_ZN7rocprim17ROCPRIM_400000_NS6detail17trampoline_kernelINS0_14default_configENS1_37merge_sort_block_sort_config_selectorI14custom_numericNS0_10empty_typeEEEZNS1_21merge_sort_block_sortIS3_N6thrust23THRUST_200600_302600_NS6detail15normal_iteratorINSA_10device_ptrIS5_EEEESF_PS6_SG_14custom_greaterIS5_EEE10hipError_tT0_T1_T2_T3_mRjT4_P12ihipStream_tbNS1_7vsmem_tEEUlT_E_NS1_11comp_targetILNS1_3genE8ELNS1_11target_archE1030ELNS1_3gpuE2ELNS1_3repE0EEENS1_30default_config_static_selectorELNS0_4arch9wavefront6targetE1EEEvSL_: ; @_ZN7rocprim17ROCPRIM_400000_NS6detail17trampoline_kernelINS0_14default_configENS1_37merge_sort_block_sort_config_selectorI14custom_numericNS0_10empty_typeEEEZNS1_21merge_sort_block_sortIS3_N6thrust23THRUST_200600_302600_NS6detail15normal_iteratorINSA_10device_ptrIS5_EEEESF_PS6_SG_14custom_greaterIS5_EEE10hipError_tT0_T1_T2_T3_mRjT4_P12ihipStream_tbNS1_7vsmem_tEEUlT_E_NS1_11comp_targetILNS1_3genE8ELNS1_11target_archE1030ELNS1_3gpuE2ELNS1_3repE0EEENS1_30default_config_static_selectorELNS0_4arch9wavefront6targetE1EEEvSL_
; %bb.0:
	.section	.rodata,"a",@progbits
	.p2align	6, 0x0
	.amdhsa_kernel _ZN7rocprim17ROCPRIM_400000_NS6detail17trampoline_kernelINS0_14default_configENS1_37merge_sort_block_sort_config_selectorI14custom_numericNS0_10empty_typeEEEZNS1_21merge_sort_block_sortIS3_N6thrust23THRUST_200600_302600_NS6detail15normal_iteratorINSA_10device_ptrIS5_EEEESF_PS6_SG_14custom_greaterIS5_EEE10hipError_tT0_T1_T2_T3_mRjT4_P12ihipStream_tbNS1_7vsmem_tEEUlT_E_NS1_11comp_targetILNS1_3genE8ELNS1_11target_archE1030ELNS1_3gpuE2ELNS1_3repE0EEENS1_30default_config_static_selectorELNS0_4arch9wavefront6targetE1EEEvSL_
		.amdhsa_group_segment_fixed_size 0
		.amdhsa_private_segment_fixed_size 0
		.amdhsa_kernarg_size 64
		.amdhsa_user_sgpr_count 6
		.amdhsa_user_sgpr_private_segment_buffer 1
		.amdhsa_user_sgpr_dispatch_ptr 0
		.amdhsa_user_sgpr_queue_ptr 0
		.amdhsa_user_sgpr_kernarg_segment_ptr 1
		.amdhsa_user_sgpr_dispatch_id 0
		.amdhsa_user_sgpr_flat_scratch_init 0
		.amdhsa_user_sgpr_kernarg_preload_length 0
		.amdhsa_user_sgpr_kernarg_preload_offset 0
		.amdhsa_user_sgpr_private_segment_size 0
		.amdhsa_uses_dynamic_stack 0
		.amdhsa_system_sgpr_private_segment_wavefront_offset 0
		.amdhsa_system_sgpr_workgroup_id_x 1
		.amdhsa_system_sgpr_workgroup_id_y 0
		.amdhsa_system_sgpr_workgroup_id_z 0
		.amdhsa_system_sgpr_workgroup_info 0
		.amdhsa_system_vgpr_workitem_id 0
		.amdhsa_next_free_vgpr 1
		.amdhsa_next_free_sgpr 0
		.amdhsa_accum_offset 4
		.amdhsa_reserve_vcc 0
		.amdhsa_reserve_flat_scratch 0
		.amdhsa_float_round_mode_32 0
		.amdhsa_float_round_mode_16_64 0
		.amdhsa_float_denorm_mode_32 3
		.amdhsa_float_denorm_mode_16_64 3
		.amdhsa_dx10_clamp 1
		.amdhsa_ieee_mode 1
		.amdhsa_fp16_overflow 0
		.amdhsa_tg_split 0
		.amdhsa_exception_fp_ieee_invalid_op 0
		.amdhsa_exception_fp_denorm_src 0
		.amdhsa_exception_fp_ieee_div_zero 0
		.amdhsa_exception_fp_ieee_overflow 0
		.amdhsa_exception_fp_ieee_underflow 0
		.amdhsa_exception_fp_ieee_inexact 0
		.amdhsa_exception_int_div_zero 0
	.end_amdhsa_kernel
	.section	.text._ZN7rocprim17ROCPRIM_400000_NS6detail17trampoline_kernelINS0_14default_configENS1_37merge_sort_block_sort_config_selectorI14custom_numericNS0_10empty_typeEEEZNS1_21merge_sort_block_sortIS3_N6thrust23THRUST_200600_302600_NS6detail15normal_iteratorINSA_10device_ptrIS5_EEEESF_PS6_SG_14custom_greaterIS5_EEE10hipError_tT0_T1_T2_T3_mRjT4_P12ihipStream_tbNS1_7vsmem_tEEUlT_E_NS1_11comp_targetILNS1_3genE8ELNS1_11target_archE1030ELNS1_3gpuE2ELNS1_3repE0EEENS1_30default_config_static_selectorELNS0_4arch9wavefront6targetE1EEEvSL_,"axG",@progbits,_ZN7rocprim17ROCPRIM_400000_NS6detail17trampoline_kernelINS0_14default_configENS1_37merge_sort_block_sort_config_selectorI14custom_numericNS0_10empty_typeEEEZNS1_21merge_sort_block_sortIS3_N6thrust23THRUST_200600_302600_NS6detail15normal_iteratorINSA_10device_ptrIS5_EEEESF_PS6_SG_14custom_greaterIS5_EEE10hipError_tT0_T1_T2_T3_mRjT4_P12ihipStream_tbNS1_7vsmem_tEEUlT_E_NS1_11comp_targetILNS1_3genE8ELNS1_11target_archE1030ELNS1_3gpuE2ELNS1_3repE0EEENS1_30default_config_static_selectorELNS0_4arch9wavefront6targetE1EEEvSL_,comdat
.Lfunc_end3678:
	.size	_ZN7rocprim17ROCPRIM_400000_NS6detail17trampoline_kernelINS0_14default_configENS1_37merge_sort_block_sort_config_selectorI14custom_numericNS0_10empty_typeEEEZNS1_21merge_sort_block_sortIS3_N6thrust23THRUST_200600_302600_NS6detail15normal_iteratorINSA_10device_ptrIS5_EEEESF_PS6_SG_14custom_greaterIS5_EEE10hipError_tT0_T1_T2_T3_mRjT4_P12ihipStream_tbNS1_7vsmem_tEEUlT_E_NS1_11comp_targetILNS1_3genE8ELNS1_11target_archE1030ELNS1_3gpuE2ELNS1_3repE0EEENS1_30default_config_static_selectorELNS0_4arch9wavefront6targetE1EEEvSL_, .Lfunc_end3678-_ZN7rocprim17ROCPRIM_400000_NS6detail17trampoline_kernelINS0_14default_configENS1_37merge_sort_block_sort_config_selectorI14custom_numericNS0_10empty_typeEEEZNS1_21merge_sort_block_sortIS3_N6thrust23THRUST_200600_302600_NS6detail15normal_iteratorINSA_10device_ptrIS5_EEEESF_PS6_SG_14custom_greaterIS5_EEE10hipError_tT0_T1_T2_T3_mRjT4_P12ihipStream_tbNS1_7vsmem_tEEUlT_E_NS1_11comp_targetILNS1_3genE8ELNS1_11target_archE1030ELNS1_3gpuE2ELNS1_3repE0EEENS1_30default_config_static_selectorELNS0_4arch9wavefront6targetE1EEEvSL_
                                        ; -- End function
	.section	.AMDGPU.csdata,"",@progbits
; Kernel info:
; codeLenInByte = 0
; NumSgprs: 4
; NumVgprs: 0
; NumAgprs: 0
; TotalNumVgprs: 0
; ScratchSize: 0
; MemoryBound: 0
; FloatMode: 240
; IeeeMode: 1
; LDSByteSize: 0 bytes/workgroup (compile time only)
; SGPRBlocks: 0
; VGPRBlocks: 0
; NumSGPRsForWavesPerEU: 4
; NumVGPRsForWavesPerEU: 1
; AccumOffset: 4
; Occupancy: 8
; WaveLimiterHint : 0
; COMPUTE_PGM_RSRC2:SCRATCH_EN: 0
; COMPUTE_PGM_RSRC2:USER_SGPR: 6
; COMPUTE_PGM_RSRC2:TRAP_HANDLER: 0
; COMPUTE_PGM_RSRC2:TGID_X_EN: 1
; COMPUTE_PGM_RSRC2:TGID_Y_EN: 0
; COMPUTE_PGM_RSRC2:TGID_Z_EN: 0
; COMPUTE_PGM_RSRC2:TIDIG_COMP_CNT: 0
; COMPUTE_PGM_RSRC3_GFX90A:ACCUM_OFFSET: 0
; COMPUTE_PGM_RSRC3_GFX90A:TG_SPLIT: 0
	.section	.text._ZN7rocprim17ROCPRIM_400000_NS6detail17trampoline_kernelINS0_14default_configENS1_38merge_sort_block_merge_config_selectorI14custom_numericNS0_10empty_typeEEEZZNS1_27merge_sort_block_merge_implIS3_N6thrust23THRUST_200600_302600_NS6detail15normal_iteratorINSA_10device_ptrIS5_EEEEPS6_m14custom_greaterIS5_EEE10hipError_tT0_T1_T2_jT3_P12ihipStream_tbPNSt15iterator_traitsISK_E10value_typeEPNSQ_ISL_E10value_typeEPSM_NS1_7vsmem_tEENKUlT_SK_SL_SM_E_clIPS5_SF_SG_SG_EESJ_SZ_SK_SL_SM_EUlSZ_E_NS1_11comp_targetILNS1_3genE0ELNS1_11target_archE4294967295ELNS1_3gpuE0ELNS1_3repE0EEENS1_48merge_mergepath_partition_config_static_selectorELNS0_4arch9wavefront6targetE1EEEvSL_,"axG",@progbits,_ZN7rocprim17ROCPRIM_400000_NS6detail17trampoline_kernelINS0_14default_configENS1_38merge_sort_block_merge_config_selectorI14custom_numericNS0_10empty_typeEEEZZNS1_27merge_sort_block_merge_implIS3_N6thrust23THRUST_200600_302600_NS6detail15normal_iteratorINSA_10device_ptrIS5_EEEEPS6_m14custom_greaterIS5_EEE10hipError_tT0_T1_T2_jT3_P12ihipStream_tbPNSt15iterator_traitsISK_E10value_typeEPNSQ_ISL_E10value_typeEPSM_NS1_7vsmem_tEENKUlT_SK_SL_SM_E_clIPS5_SF_SG_SG_EESJ_SZ_SK_SL_SM_EUlSZ_E_NS1_11comp_targetILNS1_3genE0ELNS1_11target_archE4294967295ELNS1_3gpuE0ELNS1_3repE0EEENS1_48merge_mergepath_partition_config_static_selectorELNS0_4arch9wavefront6targetE1EEEvSL_,comdat
	.protected	_ZN7rocprim17ROCPRIM_400000_NS6detail17trampoline_kernelINS0_14default_configENS1_38merge_sort_block_merge_config_selectorI14custom_numericNS0_10empty_typeEEEZZNS1_27merge_sort_block_merge_implIS3_N6thrust23THRUST_200600_302600_NS6detail15normal_iteratorINSA_10device_ptrIS5_EEEEPS6_m14custom_greaterIS5_EEE10hipError_tT0_T1_T2_jT3_P12ihipStream_tbPNSt15iterator_traitsISK_E10value_typeEPNSQ_ISL_E10value_typeEPSM_NS1_7vsmem_tEENKUlT_SK_SL_SM_E_clIPS5_SF_SG_SG_EESJ_SZ_SK_SL_SM_EUlSZ_E_NS1_11comp_targetILNS1_3genE0ELNS1_11target_archE4294967295ELNS1_3gpuE0ELNS1_3repE0EEENS1_48merge_mergepath_partition_config_static_selectorELNS0_4arch9wavefront6targetE1EEEvSL_ ; -- Begin function _ZN7rocprim17ROCPRIM_400000_NS6detail17trampoline_kernelINS0_14default_configENS1_38merge_sort_block_merge_config_selectorI14custom_numericNS0_10empty_typeEEEZZNS1_27merge_sort_block_merge_implIS3_N6thrust23THRUST_200600_302600_NS6detail15normal_iteratorINSA_10device_ptrIS5_EEEEPS6_m14custom_greaterIS5_EEE10hipError_tT0_T1_T2_jT3_P12ihipStream_tbPNSt15iterator_traitsISK_E10value_typeEPNSQ_ISL_E10value_typeEPSM_NS1_7vsmem_tEENKUlT_SK_SL_SM_E_clIPS5_SF_SG_SG_EESJ_SZ_SK_SL_SM_EUlSZ_E_NS1_11comp_targetILNS1_3genE0ELNS1_11target_archE4294967295ELNS1_3gpuE0ELNS1_3repE0EEENS1_48merge_mergepath_partition_config_static_selectorELNS0_4arch9wavefront6targetE1EEEvSL_
	.globl	_ZN7rocprim17ROCPRIM_400000_NS6detail17trampoline_kernelINS0_14default_configENS1_38merge_sort_block_merge_config_selectorI14custom_numericNS0_10empty_typeEEEZZNS1_27merge_sort_block_merge_implIS3_N6thrust23THRUST_200600_302600_NS6detail15normal_iteratorINSA_10device_ptrIS5_EEEEPS6_m14custom_greaterIS5_EEE10hipError_tT0_T1_T2_jT3_P12ihipStream_tbPNSt15iterator_traitsISK_E10value_typeEPNSQ_ISL_E10value_typeEPSM_NS1_7vsmem_tEENKUlT_SK_SL_SM_E_clIPS5_SF_SG_SG_EESJ_SZ_SK_SL_SM_EUlSZ_E_NS1_11comp_targetILNS1_3genE0ELNS1_11target_archE4294967295ELNS1_3gpuE0ELNS1_3repE0EEENS1_48merge_mergepath_partition_config_static_selectorELNS0_4arch9wavefront6targetE1EEEvSL_
	.p2align	8
	.type	_ZN7rocprim17ROCPRIM_400000_NS6detail17trampoline_kernelINS0_14default_configENS1_38merge_sort_block_merge_config_selectorI14custom_numericNS0_10empty_typeEEEZZNS1_27merge_sort_block_merge_implIS3_N6thrust23THRUST_200600_302600_NS6detail15normal_iteratorINSA_10device_ptrIS5_EEEEPS6_m14custom_greaterIS5_EEE10hipError_tT0_T1_T2_jT3_P12ihipStream_tbPNSt15iterator_traitsISK_E10value_typeEPNSQ_ISL_E10value_typeEPSM_NS1_7vsmem_tEENKUlT_SK_SL_SM_E_clIPS5_SF_SG_SG_EESJ_SZ_SK_SL_SM_EUlSZ_E_NS1_11comp_targetILNS1_3genE0ELNS1_11target_archE4294967295ELNS1_3gpuE0ELNS1_3repE0EEENS1_48merge_mergepath_partition_config_static_selectorELNS0_4arch9wavefront6targetE1EEEvSL_,@function
_ZN7rocprim17ROCPRIM_400000_NS6detail17trampoline_kernelINS0_14default_configENS1_38merge_sort_block_merge_config_selectorI14custom_numericNS0_10empty_typeEEEZZNS1_27merge_sort_block_merge_implIS3_N6thrust23THRUST_200600_302600_NS6detail15normal_iteratorINSA_10device_ptrIS5_EEEEPS6_m14custom_greaterIS5_EEE10hipError_tT0_T1_T2_jT3_P12ihipStream_tbPNSt15iterator_traitsISK_E10value_typeEPNSQ_ISL_E10value_typeEPSM_NS1_7vsmem_tEENKUlT_SK_SL_SM_E_clIPS5_SF_SG_SG_EESJ_SZ_SK_SL_SM_EUlSZ_E_NS1_11comp_targetILNS1_3genE0ELNS1_11target_archE4294967295ELNS1_3gpuE0ELNS1_3repE0EEENS1_48merge_mergepath_partition_config_static_selectorELNS0_4arch9wavefront6targetE1EEEvSL_: ; @_ZN7rocprim17ROCPRIM_400000_NS6detail17trampoline_kernelINS0_14default_configENS1_38merge_sort_block_merge_config_selectorI14custom_numericNS0_10empty_typeEEEZZNS1_27merge_sort_block_merge_implIS3_N6thrust23THRUST_200600_302600_NS6detail15normal_iteratorINSA_10device_ptrIS5_EEEEPS6_m14custom_greaterIS5_EEE10hipError_tT0_T1_T2_jT3_P12ihipStream_tbPNSt15iterator_traitsISK_E10value_typeEPNSQ_ISL_E10value_typeEPSM_NS1_7vsmem_tEENKUlT_SK_SL_SM_E_clIPS5_SF_SG_SG_EESJ_SZ_SK_SL_SM_EUlSZ_E_NS1_11comp_targetILNS1_3genE0ELNS1_11target_archE4294967295ELNS1_3gpuE0ELNS1_3repE0EEENS1_48merge_mergepath_partition_config_static_selectorELNS0_4arch9wavefront6targetE1EEEvSL_
; %bb.0:
	.section	.rodata,"a",@progbits
	.p2align	6, 0x0
	.amdhsa_kernel _ZN7rocprim17ROCPRIM_400000_NS6detail17trampoline_kernelINS0_14default_configENS1_38merge_sort_block_merge_config_selectorI14custom_numericNS0_10empty_typeEEEZZNS1_27merge_sort_block_merge_implIS3_N6thrust23THRUST_200600_302600_NS6detail15normal_iteratorINSA_10device_ptrIS5_EEEEPS6_m14custom_greaterIS5_EEE10hipError_tT0_T1_T2_jT3_P12ihipStream_tbPNSt15iterator_traitsISK_E10value_typeEPNSQ_ISL_E10value_typeEPSM_NS1_7vsmem_tEENKUlT_SK_SL_SM_E_clIPS5_SF_SG_SG_EESJ_SZ_SK_SL_SM_EUlSZ_E_NS1_11comp_targetILNS1_3genE0ELNS1_11target_archE4294967295ELNS1_3gpuE0ELNS1_3repE0EEENS1_48merge_mergepath_partition_config_static_selectorELNS0_4arch9wavefront6targetE1EEEvSL_
		.amdhsa_group_segment_fixed_size 0
		.amdhsa_private_segment_fixed_size 0
		.amdhsa_kernarg_size 48
		.amdhsa_user_sgpr_count 6
		.amdhsa_user_sgpr_private_segment_buffer 1
		.amdhsa_user_sgpr_dispatch_ptr 0
		.amdhsa_user_sgpr_queue_ptr 0
		.amdhsa_user_sgpr_kernarg_segment_ptr 1
		.amdhsa_user_sgpr_dispatch_id 0
		.amdhsa_user_sgpr_flat_scratch_init 0
		.amdhsa_user_sgpr_kernarg_preload_length 0
		.amdhsa_user_sgpr_kernarg_preload_offset 0
		.amdhsa_user_sgpr_private_segment_size 0
		.amdhsa_uses_dynamic_stack 0
		.amdhsa_system_sgpr_private_segment_wavefront_offset 0
		.amdhsa_system_sgpr_workgroup_id_x 1
		.amdhsa_system_sgpr_workgroup_id_y 0
		.amdhsa_system_sgpr_workgroup_id_z 0
		.amdhsa_system_sgpr_workgroup_info 0
		.amdhsa_system_vgpr_workitem_id 0
		.amdhsa_next_free_vgpr 1
		.amdhsa_next_free_sgpr 0
		.amdhsa_accum_offset 4
		.amdhsa_reserve_vcc 0
		.amdhsa_reserve_flat_scratch 0
		.amdhsa_float_round_mode_32 0
		.amdhsa_float_round_mode_16_64 0
		.amdhsa_float_denorm_mode_32 3
		.amdhsa_float_denorm_mode_16_64 3
		.amdhsa_dx10_clamp 1
		.amdhsa_ieee_mode 1
		.amdhsa_fp16_overflow 0
		.amdhsa_tg_split 0
		.amdhsa_exception_fp_ieee_invalid_op 0
		.amdhsa_exception_fp_denorm_src 0
		.amdhsa_exception_fp_ieee_div_zero 0
		.amdhsa_exception_fp_ieee_overflow 0
		.amdhsa_exception_fp_ieee_underflow 0
		.amdhsa_exception_fp_ieee_inexact 0
		.amdhsa_exception_int_div_zero 0
	.end_amdhsa_kernel
	.section	.text._ZN7rocprim17ROCPRIM_400000_NS6detail17trampoline_kernelINS0_14default_configENS1_38merge_sort_block_merge_config_selectorI14custom_numericNS0_10empty_typeEEEZZNS1_27merge_sort_block_merge_implIS3_N6thrust23THRUST_200600_302600_NS6detail15normal_iteratorINSA_10device_ptrIS5_EEEEPS6_m14custom_greaterIS5_EEE10hipError_tT0_T1_T2_jT3_P12ihipStream_tbPNSt15iterator_traitsISK_E10value_typeEPNSQ_ISL_E10value_typeEPSM_NS1_7vsmem_tEENKUlT_SK_SL_SM_E_clIPS5_SF_SG_SG_EESJ_SZ_SK_SL_SM_EUlSZ_E_NS1_11comp_targetILNS1_3genE0ELNS1_11target_archE4294967295ELNS1_3gpuE0ELNS1_3repE0EEENS1_48merge_mergepath_partition_config_static_selectorELNS0_4arch9wavefront6targetE1EEEvSL_,"axG",@progbits,_ZN7rocprim17ROCPRIM_400000_NS6detail17trampoline_kernelINS0_14default_configENS1_38merge_sort_block_merge_config_selectorI14custom_numericNS0_10empty_typeEEEZZNS1_27merge_sort_block_merge_implIS3_N6thrust23THRUST_200600_302600_NS6detail15normal_iteratorINSA_10device_ptrIS5_EEEEPS6_m14custom_greaterIS5_EEE10hipError_tT0_T1_T2_jT3_P12ihipStream_tbPNSt15iterator_traitsISK_E10value_typeEPNSQ_ISL_E10value_typeEPSM_NS1_7vsmem_tEENKUlT_SK_SL_SM_E_clIPS5_SF_SG_SG_EESJ_SZ_SK_SL_SM_EUlSZ_E_NS1_11comp_targetILNS1_3genE0ELNS1_11target_archE4294967295ELNS1_3gpuE0ELNS1_3repE0EEENS1_48merge_mergepath_partition_config_static_selectorELNS0_4arch9wavefront6targetE1EEEvSL_,comdat
.Lfunc_end3679:
	.size	_ZN7rocprim17ROCPRIM_400000_NS6detail17trampoline_kernelINS0_14default_configENS1_38merge_sort_block_merge_config_selectorI14custom_numericNS0_10empty_typeEEEZZNS1_27merge_sort_block_merge_implIS3_N6thrust23THRUST_200600_302600_NS6detail15normal_iteratorINSA_10device_ptrIS5_EEEEPS6_m14custom_greaterIS5_EEE10hipError_tT0_T1_T2_jT3_P12ihipStream_tbPNSt15iterator_traitsISK_E10value_typeEPNSQ_ISL_E10value_typeEPSM_NS1_7vsmem_tEENKUlT_SK_SL_SM_E_clIPS5_SF_SG_SG_EESJ_SZ_SK_SL_SM_EUlSZ_E_NS1_11comp_targetILNS1_3genE0ELNS1_11target_archE4294967295ELNS1_3gpuE0ELNS1_3repE0EEENS1_48merge_mergepath_partition_config_static_selectorELNS0_4arch9wavefront6targetE1EEEvSL_, .Lfunc_end3679-_ZN7rocprim17ROCPRIM_400000_NS6detail17trampoline_kernelINS0_14default_configENS1_38merge_sort_block_merge_config_selectorI14custom_numericNS0_10empty_typeEEEZZNS1_27merge_sort_block_merge_implIS3_N6thrust23THRUST_200600_302600_NS6detail15normal_iteratorINSA_10device_ptrIS5_EEEEPS6_m14custom_greaterIS5_EEE10hipError_tT0_T1_T2_jT3_P12ihipStream_tbPNSt15iterator_traitsISK_E10value_typeEPNSQ_ISL_E10value_typeEPSM_NS1_7vsmem_tEENKUlT_SK_SL_SM_E_clIPS5_SF_SG_SG_EESJ_SZ_SK_SL_SM_EUlSZ_E_NS1_11comp_targetILNS1_3genE0ELNS1_11target_archE4294967295ELNS1_3gpuE0ELNS1_3repE0EEENS1_48merge_mergepath_partition_config_static_selectorELNS0_4arch9wavefront6targetE1EEEvSL_
                                        ; -- End function
	.section	.AMDGPU.csdata,"",@progbits
; Kernel info:
; codeLenInByte = 0
; NumSgprs: 4
; NumVgprs: 0
; NumAgprs: 0
; TotalNumVgprs: 0
; ScratchSize: 0
; MemoryBound: 0
; FloatMode: 240
; IeeeMode: 1
; LDSByteSize: 0 bytes/workgroup (compile time only)
; SGPRBlocks: 0
; VGPRBlocks: 0
; NumSGPRsForWavesPerEU: 4
; NumVGPRsForWavesPerEU: 1
; AccumOffset: 4
; Occupancy: 8
; WaveLimiterHint : 0
; COMPUTE_PGM_RSRC2:SCRATCH_EN: 0
; COMPUTE_PGM_RSRC2:USER_SGPR: 6
; COMPUTE_PGM_RSRC2:TRAP_HANDLER: 0
; COMPUTE_PGM_RSRC2:TGID_X_EN: 1
; COMPUTE_PGM_RSRC2:TGID_Y_EN: 0
; COMPUTE_PGM_RSRC2:TGID_Z_EN: 0
; COMPUTE_PGM_RSRC2:TIDIG_COMP_CNT: 0
; COMPUTE_PGM_RSRC3_GFX90A:ACCUM_OFFSET: 0
; COMPUTE_PGM_RSRC3_GFX90A:TG_SPLIT: 0
	.section	.text._ZN7rocprim17ROCPRIM_400000_NS6detail17trampoline_kernelINS0_14default_configENS1_38merge_sort_block_merge_config_selectorI14custom_numericNS0_10empty_typeEEEZZNS1_27merge_sort_block_merge_implIS3_N6thrust23THRUST_200600_302600_NS6detail15normal_iteratorINSA_10device_ptrIS5_EEEEPS6_m14custom_greaterIS5_EEE10hipError_tT0_T1_T2_jT3_P12ihipStream_tbPNSt15iterator_traitsISK_E10value_typeEPNSQ_ISL_E10value_typeEPSM_NS1_7vsmem_tEENKUlT_SK_SL_SM_E_clIPS5_SF_SG_SG_EESJ_SZ_SK_SL_SM_EUlSZ_E_NS1_11comp_targetILNS1_3genE10ELNS1_11target_archE1201ELNS1_3gpuE5ELNS1_3repE0EEENS1_48merge_mergepath_partition_config_static_selectorELNS0_4arch9wavefront6targetE1EEEvSL_,"axG",@progbits,_ZN7rocprim17ROCPRIM_400000_NS6detail17trampoline_kernelINS0_14default_configENS1_38merge_sort_block_merge_config_selectorI14custom_numericNS0_10empty_typeEEEZZNS1_27merge_sort_block_merge_implIS3_N6thrust23THRUST_200600_302600_NS6detail15normal_iteratorINSA_10device_ptrIS5_EEEEPS6_m14custom_greaterIS5_EEE10hipError_tT0_T1_T2_jT3_P12ihipStream_tbPNSt15iterator_traitsISK_E10value_typeEPNSQ_ISL_E10value_typeEPSM_NS1_7vsmem_tEENKUlT_SK_SL_SM_E_clIPS5_SF_SG_SG_EESJ_SZ_SK_SL_SM_EUlSZ_E_NS1_11comp_targetILNS1_3genE10ELNS1_11target_archE1201ELNS1_3gpuE5ELNS1_3repE0EEENS1_48merge_mergepath_partition_config_static_selectorELNS0_4arch9wavefront6targetE1EEEvSL_,comdat
	.protected	_ZN7rocprim17ROCPRIM_400000_NS6detail17trampoline_kernelINS0_14default_configENS1_38merge_sort_block_merge_config_selectorI14custom_numericNS0_10empty_typeEEEZZNS1_27merge_sort_block_merge_implIS3_N6thrust23THRUST_200600_302600_NS6detail15normal_iteratorINSA_10device_ptrIS5_EEEEPS6_m14custom_greaterIS5_EEE10hipError_tT0_T1_T2_jT3_P12ihipStream_tbPNSt15iterator_traitsISK_E10value_typeEPNSQ_ISL_E10value_typeEPSM_NS1_7vsmem_tEENKUlT_SK_SL_SM_E_clIPS5_SF_SG_SG_EESJ_SZ_SK_SL_SM_EUlSZ_E_NS1_11comp_targetILNS1_3genE10ELNS1_11target_archE1201ELNS1_3gpuE5ELNS1_3repE0EEENS1_48merge_mergepath_partition_config_static_selectorELNS0_4arch9wavefront6targetE1EEEvSL_ ; -- Begin function _ZN7rocprim17ROCPRIM_400000_NS6detail17trampoline_kernelINS0_14default_configENS1_38merge_sort_block_merge_config_selectorI14custom_numericNS0_10empty_typeEEEZZNS1_27merge_sort_block_merge_implIS3_N6thrust23THRUST_200600_302600_NS6detail15normal_iteratorINSA_10device_ptrIS5_EEEEPS6_m14custom_greaterIS5_EEE10hipError_tT0_T1_T2_jT3_P12ihipStream_tbPNSt15iterator_traitsISK_E10value_typeEPNSQ_ISL_E10value_typeEPSM_NS1_7vsmem_tEENKUlT_SK_SL_SM_E_clIPS5_SF_SG_SG_EESJ_SZ_SK_SL_SM_EUlSZ_E_NS1_11comp_targetILNS1_3genE10ELNS1_11target_archE1201ELNS1_3gpuE5ELNS1_3repE0EEENS1_48merge_mergepath_partition_config_static_selectorELNS0_4arch9wavefront6targetE1EEEvSL_
	.globl	_ZN7rocprim17ROCPRIM_400000_NS6detail17trampoline_kernelINS0_14default_configENS1_38merge_sort_block_merge_config_selectorI14custom_numericNS0_10empty_typeEEEZZNS1_27merge_sort_block_merge_implIS3_N6thrust23THRUST_200600_302600_NS6detail15normal_iteratorINSA_10device_ptrIS5_EEEEPS6_m14custom_greaterIS5_EEE10hipError_tT0_T1_T2_jT3_P12ihipStream_tbPNSt15iterator_traitsISK_E10value_typeEPNSQ_ISL_E10value_typeEPSM_NS1_7vsmem_tEENKUlT_SK_SL_SM_E_clIPS5_SF_SG_SG_EESJ_SZ_SK_SL_SM_EUlSZ_E_NS1_11comp_targetILNS1_3genE10ELNS1_11target_archE1201ELNS1_3gpuE5ELNS1_3repE0EEENS1_48merge_mergepath_partition_config_static_selectorELNS0_4arch9wavefront6targetE1EEEvSL_
	.p2align	8
	.type	_ZN7rocprim17ROCPRIM_400000_NS6detail17trampoline_kernelINS0_14default_configENS1_38merge_sort_block_merge_config_selectorI14custom_numericNS0_10empty_typeEEEZZNS1_27merge_sort_block_merge_implIS3_N6thrust23THRUST_200600_302600_NS6detail15normal_iteratorINSA_10device_ptrIS5_EEEEPS6_m14custom_greaterIS5_EEE10hipError_tT0_T1_T2_jT3_P12ihipStream_tbPNSt15iterator_traitsISK_E10value_typeEPNSQ_ISL_E10value_typeEPSM_NS1_7vsmem_tEENKUlT_SK_SL_SM_E_clIPS5_SF_SG_SG_EESJ_SZ_SK_SL_SM_EUlSZ_E_NS1_11comp_targetILNS1_3genE10ELNS1_11target_archE1201ELNS1_3gpuE5ELNS1_3repE0EEENS1_48merge_mergepath_partition_config_static_selectorELNS0_4arch9wavefront6targetE1EEEvSL_,@function
_ZN7rocprim17ROCPRIM_400000_NS6detail17trampoline_kernelINS0_14default_configENS1_38merge_sort_block_merge_config_selectorI14custom_numericNS0_10empty_typeEEEZZNS1_27merge_sort_block_merge_implIS3_N6thrust23THRUST_200600_302600_NS6detail15normal_iteratorINSA_10device_ptrIS5_EEEEPS6_m14custom_greaterIS5_EEE10hipError_tT0_T1_T2_jT3_P12ihipStream_tbPNSt15iterator_traitsISK_E10value_typeEPNSQ_ISL_E10value_typeEPSM_NS1_7vsmem_tEENKUlT_SK_SL_SM_E_clIPS5_SF_SG_SG_EESJ_SZ_SK_SL_SM_EUlSZ_E_NS1_11comp_targetILNS1_3genE10ELNS1_11target_archE1201ELNS1_3gpuE5ELNS1_3repE0EEENS1_48merge_mergepath_partition_config_static_selectorELNS0_4arch9wavefront6targetE1EEEvSL_: ; @_ZN7rocprim17ROCPRIM_400000_NS6detail17trampoline_kernelINS0_14default_configENS1_38merge_sort_block_merge_config_selectorI14custom_numericNS0_10empty_typeEEEZZNS1_27merge_sort_block_merge_implIS3_N6thrust23THRUST_200600_302600_NS6detail15normal_iteratorINSA_10device_ptrIS5_EEEEPS6_m14custom_greaterIS5_EEE10hipError_tT0_T1_T2_jT3_P12ihipStream_tbPNSt15iterator_traitsISK_E10value_typeEPNSQ_ISL_E10value_typeEPSM_NS1_7vsmem_tEENKUlT_SK_SL_SM_E_clIPS5_SF_SG_SG_EESJ_SZ_SK_SL_SM_EUlSZ_E_NS1_11comp_targetILNS1_3genE10ELNS1_11target_archE1201ELNS1_3gpuE5ELNS1_3repE0EEENS1_48merge_mergepath_partition_config_static_selectorELNS0_4arch9wavefront6targetE1EEEvSL_
; %bb.0:
	.section	.rodata,"a",@progbits
	.p2align	6, 0x0
	.amdhsa_kernel _ZN7rocprim17ROCPRIM_400000_NS6detail17trampoline_kernelINS0_14default_configENS1_38merge_sort_block_merge_config_selectorI14custom_numericNS0_10empty_typeEEEZZNS1_27merge_sort_block_merge_implIS3_N6thrust23THRUST_200600_302600_NS6detail15normal_iteratorINSA_10device_ptrIS5_EEEEPS6_m14custom_greaterIS5_EEE10hipError_tT0_T1_T2_jT3_P12ihipStream_tbPNSt15iterator_traitsISK_E10value_typeEPNSQ_ISL_E10value_typeEPSM_NS1_7vsmem_tEENKUlT_SK_SL_SM_E_clIPS5_SF_SG_SG_EESJ_SZ_SK_SL_SM_EUlSZ_E_NS1_11comp_targetILNS1_3genE10ELNS1_11target_archE1201ELNS1_3gpuE5ELNS1_3repE0EEENS1_48merge_mergepath_partition_config_static_selectorELNS0_4arch9wavefront6targetE1EEEvSL_
		.amdhsa_group_segment_fixed_size 0
		.amdhsa_private_segment_fixed_size 0
		.amdhsa_kernarg_size 48
		.amdhsa_user_sgpr_count 6
		.amdhsa_user_sgpr_private_segment_buffer 1
		.amdhsa_user_sgpr_dispatch_ptr 0
		.amdhsa_user_sgpr_queue_ptr 0
		.amdhsa_user_sgpr_kernarg_segment_ptr 1
		.amdhsa_user_sgpr_dispatch_id 0
		.amdhsa_user_sgpr_flat_scratch_init 0
		.amdhsa_user_sgpr_kernarg_preload_length 0
		.amdhsa_user_sgpr_kernarg_preload_offset 0
		.amdhsa_user_sgpr_private_segment_size 0
		.amdhsa_uses_dynamic_stack 0
		.amdhsa_system_sgpr_private_segment_wavefront_offset 0
		.amdhsa_system_sgpr_workgroup_id_x 1
		.amdhsa_system_sgpr_workgroup_id_y 0
		.amdhsa_system_sgpr_workgroup_id_z 0
		.amdhsa_system_sgpr_workgroup_info 0
		.amdhsa_system_vgpr_workitem_id 0
		.amdhsa_next_free_vgpr 1
		.amdhsa_next_free_sgpr 0
		.amdhsa_accum_offset 4
		.amdhsa_reserve_vcc 0
		.amdhsa_reserve_flat_scratch 0
		.amdhsa_float_round_mode_32 0
		.amdhsa_float_round_mode_16_64 0
		.amdhsa_float_denorm_mode_32 3
		.amdhsa_float_denorm_mode_16_64 3
		.amdhsa_dx10_clamp 1
		.amdhsa_ieee_mode 1
		.amdhsa_fp16_overflow 0
		.amdhsa_tg_split 0
		.amdhsa_exception_fp_ieee_invalid_op 0
		.amdhsa_exception_fp_denorm_src 0
		.amdhsa_exception_fp_ieee_div_zero 0
		.amdhsa_exception_fp_ieee_overflow 0
		.amdhsa_exception_fp_ieee_underflow 0
		.amdhsa_exception_fp_ieee_inexact 0
		.amdhsa_exception_int_div_zero 0
	.end_amdhsa_kernel
	.section	.text._ZN7rocprim17ROCPRIM_400000_NS6detail17trampoline_kernelINS0_14default_configENS1_38merge_sort_block_merge_config_selectorI14custom_numericNS0_10empty_typeEEEZZNS1_27merge_sort_block_merge_implIS3_N6thrust23THRUST_200600_302600_NS6detail15normal_iteratorINSA_10device_ptrIS5_EEEEPS6_m14custom_greaterIS5_EEE10hipError_tT0_T1_T2_jT3_P12ihipStream_tbPNSt15iterator_traitsISK_E10value_typeEPNSQ_ISL_E10value_typeEPSM_NS1_7vsmem_tEENKUlT_SK_SL_SM_E_clIPS5_SF_SG_SG_EESJ_SZ_SK_SL_SM_EUlSZ_E_NS1_11comp_targetILNS1_3genE10ELNS1_11target_archE1201ELNS1_3gpuE5ELNS1_3repE0EEENS1_48merge_mergepath_partition_config_static_selectorELNS0_4arch9wavefront6targetE1EEEvSL_,"axG",@progbits,_ZN7rocprim17ROCPRIM_400000_NS6detail17trampoline_kernelINS0_14default_configENS1_38merge_sort_block_merge_config_selectorI14custom_numericNS0_10empty_typeEEEZZNS1_27merge_sort_block_merge_implIS3_N6thrust23THRUST_200600_302600_NS6detail15normal_iteratorINSA_10device_ptrIS5_EEEEPS6_m14custom_greaterIS5_EEE10hipError_tT0_T1_T2_jT3_P12ihipStream_tbPNSt15iterator_traitsISK_E10value_typeEPNSQ_ISL_E10value_typeEPSM_NS1_7vsmem_tEENKUlT_SK_SL_SM_E_clIPS5_SF_SG_SG_EESJ_SZ_SK_SL_SM_EUlSZ_E_NS1_11comp_targetILNS1_3genE10ELNS1_11target_archE1201ELNS1_3gpuE5ELNS1_3repE0EEENS1_48merge_mergepath_partition_config_static_selectorELNS0_4arch9wavefront6targetE1EEEvSL_,comdat
.Lfunc_end3680:
	.size	_ZN7rocprim17ROCPRIM_400000_NS6detail17trampoline_kernelINS0_14default_configENS1_38merge_sort_block_merge_config_selectorI14custom_numericNS0_10empty_typeEEEZZNS1_27merge_sort_block_merge_implIS3_N6thrust23THRUST_200600_302600_NS6detail15normal_iteratorINSA_10device_ptrIS5_EEEEPS6_m14custom_greaterIS5_EEE10hipError_tT0_T1_T2_jT3_P12ihipStream_tbPNSt15iterator_traitsISK_E10value_typeEPNSQ_ISL_E10value_typeEPSM_NS1_7vsmem_tEENKUlT_SK_SL_SM_E_clIPS5_SF_SG_SG_EESJ_SZ_SK_SL_SM_EUlSZ_E_NS1_11comp_targetILNS1_3genE10ELNS1_11target_archE1201ELNS1_3gpuE5ELNS1_3repE0EEENS1_48merge_mergepath_partition_config_static_selectorELNS0_4arch9wavefront6targetE1EEEvSL_, .Lfunc_end3680-_ZN7rocprim17ROCPRIM_400000_NS6detail17trampoline_kernelINS0_14default_configENS1_38merge_sort_block_merge_config_selectorI14custom_numericNS0_10empty_typeEEEZZNS1_27merge_sort_block_merge_implIS3_N6thrust23THRUST_200600_302600_NS6detail15normal_iteratorINSA_10device_ptrIS5_EEEEPS6_m14custom_greaterIS5_EEE10hipError_tT0_T1_T2_jT3_P12ihipStream_tbPNSt15iterator_traitsISK_E10value_typeEPNSQ_ISL_E10value_typeEPSM_NS1_7vsmem_tEENKUlT_SK_SL_SM_E_clIPS5_SF_SG_SG_EESJ_SZ_SK_SL_SM_EUlSZ_E_NS1_11comp_targetILNS1_3genE10ELNS1_11target_archE1201ELNS1_3gpuE5ELNS1_3repE0EEENS1_48merge_mergepath_partition_config_static_selectorELNS0_4arch9wavefront6targetE1EEEvSL_
                                        ; -- End function
	.section	.AMDGPU.csdata,"",@progbits
; Kernel info:
; codeLenInByte = 0
; NumSgprs: 4
; NumVgprs: 0
; NumAgprs: 0
; TotalNumVgprs: 0
; ScratchSize: 0
; MemoryBound: 0
; FloatMode: 240
; IeeeMode: 1
; LDSByteSize: 0 bytes/workgroup (compile time only)
; SGPRBlocks: 0
; VGPRBlocks: 0
; NumSGPRsForWavesPerEU: 4
; NumVGPRsForWavesPerEU: 1
; AccumOffset: 4
; Occupancy: 8
; WaveLimiterHint : 0
; COMPUTE_PGM_RSRC2:SCRATCH_EN: 0
; COMPUTE_PGM_RSRC2:USER_SGPR: 6
; COMPUTE_PGM_RSRC2:TRAP_HANDLER: 0
; COMPUTE_PGM_RSRC2:TGID_X_EN: 1
; COMPUTE_PGM_RSRC2:TGID_Y_EN: 0
; COMPUTE_PGM_RSRC2:TGID_Z_EN: 0
; COMPUTE_PGM_RSRC2:TIDIG_COMP_CNT: 0
; COMPUTE_PGM_RSRC3_GFX90A:ACCUM_OFFSET: 0
; COMPUTE_PGM_RSRC3_GFX90A:TG_SPLIT: 0
	.section	.text._ZN7rocprim17ROCPRIM_400000_NS6detail17trampoline_kernelINS0_14default_configENS1_38merge_sort_block_merge_config_selectorI14custom_numericNS0_10empty_typeEEEZZNS1_27merge_sort_block_merge_implIS3_N6thrust23THRUST_200600_302600_NS6detail15normal_iteratorINSA_10device_ptrIS5_EEEEPS6_m14custom_greaterIS5_EEE10hipError_tT0_T1_T2_jT3_P12ihipStream_tbPNSt15iterator_traitsISK_E10value_typeEPNSQ_ISL_E10value_typeEPSM_NS1_7vsmem_tEENKUlT_SK_SL_SM_E_clIPS5_SF_SG_SG_EESJ_SZ_SK_SL_SM_EUlSZ_E_NS1_11comp_targetILNS1_3genE5ELNS1_11target_archE942ELNS1_3gpuE9ELNS1_3repE0EEENS1_48merge_mergepath_partition_config_static_selectorELNS0_4arch9wavefront6targetE1EEEvSL_,"axG",@progbits,_ZN7rocprim17ROCPRIM_400000_NS6detail17trampoline_kernelINS0_14default_configENS1_38merge_sort_block_merge_config_selectorI14custom_numericNS0_10empty_typeEEEZZNS1_27merge_sort_block_merge_implIS3_N6thrust23THRUST_200600_302600_NS6detail15normal_iteratorINSA_10device_ptrIS5_EEEEPS6_m14custom_greaterIS5_EEE10hipError_tT0_T1_T2_jT3_P12ihipStream_tbPNSt15iterator_traitsISK_E10value_typeEPNSQ_ISL_E10value_typeEPSM_NS1_7vsmem_tEENKUlT_SK_SL_SM_E_clIPS5_SF_SG_SG_EESJ_SZ_SK_SL_SM_EUlSZ_E_NS1_11comp_targetILNS1_3genE5ELNS1_11target_archE942ELNS1_3gpuE9ELNS1_3repE0EEENS1_48merge_mergepath_partition_config_static_selectorELNS0_4arch9wavefront6targetE1EEEvSL_,comdat
	.protected	_ZN7rocprim17ROCPRIM_400000_NS6detail17trampoline_kernelINS0_14default_configENS1_38merge_sort_block_merge_config_selectorI14custom_numericNS0_10empty_typeEEEZZNS1_27merge_sort_block_merge_implIS3_N6thrust23THRUST_200600_302600_NS6detail15normal_iteratorINSA_10device_ptrIS5_EEEEPS6_m14custom_greaterIS5_EEE10hipError_tT0_T1_T2_jT3_P12ihipStream_tbPNSt15iterator_traitsISK_E10value_typeEPNSQ_ISL_E10value_typeEPSM_NS1_7vsmem_tEENKUlT_SK_SL_SM_E_clIPS5_SF_SG_SG_EESJ_SZ_SK_SL_SM_EUlSZ_E_NS1_11comp_targetILNS1_3genE5ELNS1_11target_archE942ELNS1_3gpuE9ELNS1_3repE0EEENS1_48merge_mergepath_partition_config_static_selectorELNS0_4arch9wavefront6targetE1EEEvSL_ ; -- Begin function _ZN7rocprim17ROCPRIM_400000_NS6detail17trampoline_kernelINS0_14default_configENS1_38merge_sort_block_merge_config_selectorI14custom_numericNS0_10empty_typeEEEZZNS1_27merge_sort_block_merge_implIS3_N6thrust23THRUST_200600_302600_NS6detail15normal_iteratorINSA_10device_ptrIS5_EEEEPS6_m14custom_greaterIS5_EEE10hipError_tT0_T1_T2_jT3_P12ihipStream_tbPNSt15iterator_traitsISK_E10value_typeEPNSQ_ISL_E10value_typeEPSM_NS1_7vsmem_tEENKUlT_SK_SL_SM_E_clIPS5_SF_SG_SG_EESJ_SZ_SK_SL_SM_EUlSZ_E_NS1_11comp_targetILNS1_3genE5ELNS1_11target_archE942ELNS1_3gpuE9ELNS1_3repE0EEENS1_48merge_mergepath_partition_config_static_selectorELNS0_4arch9wavefront6targetE1EEEvSL_
	.globl	_ZN7rocprim17ROCPRIM_400000_NS6detail17trampoline_kernelINS0_14default_configENS1_38merge_sort_block_merge_config_selectorI14custom_numericNS0_10empty_typeEEEZZNS1_27merge_sort_block_merge_implIS3_N6thrust23THRUST_200600_302600_NS6detail15normal_iteratorINSA_10device_ptrIS5_EEEEPS6_m14custom_greaterIS5_EEE10hipError_tT0_T1_T2_jT3_P12ihipStream_tbPNSt15iterator_traitsISK_E10value_typeEPNSQ_ISL_E10value_typeEPSM_NS1_7vsmem_tEENKUlT_SK_SL_SM_E_clIPS5_SF_SG_SG_EESJ_SZ_SK_SL_SM_EUlSZ_E_NS1_11comp_targetILNS1_3genE5ELNS1_11target_archE942ELNS1_3gpuE9ELNS1_3repE0EEENS1_48merge_mergepath_partition_config_static_selectorELNS0_4arch9wavefront6targetE1EEEvSL_
	.p2align	8
	.type	_ZN7rocprim17ROCPRIM_400000_NS6detail17trampoline_kernelINS0_14default_configENS1_38merge_sort_block_merge_config_selectorI14custom_numericNS0_10empty_typeEEEZZNS1_27merge_sort_block_merge_implIS3_N6thrust23THRUST_200600_302600_NS6detail15normal_iteratorINSA_10device_ptrIS5_EEEEPS6_m14custom_greaterIS5_EEE10hipError_tT0_T1_T2_jT3_P12ihipStream_tbPNSt15iterator_traitsISK_E10value_typeEPNSQ_ISL_E10value_typeEPSM_NS1_7vsmem_tEENKUlT_SK_SL_SM_E_clIPS5_SF_SG_SG_EESJ_SZ_SK_SL_SM_EUlSZ_E_NS1_11comp_targetILNS1_3genE5ELNS1_11target_archE942ELNS1_3gpuE9ELNS1_3repE0EEENS1_48merge_mergepath_partition_config_static_selectorELNS0_4arch9wavefront6targetE1EEEvSL_,@function
_ZN7rocprim17ROCPRIM_400000_NS6detail17trampoline_kernelINS0_14default_configENS1_38merge_sort_block_merge_config_selectorI14custom_numericNS0_10empty_typeEEEZZNS1_27merge_sort_block_merge_implIS3_N6thrust23THRUST_200600_302600_NS6detail15normal_iteratorINSA_10device_ptrIS5_EEEEPS6_m14custom_greaterIS5_EEE10hipError_tT0_T1_T2_jT3_P12ihipStream_tbPNSt15iterator_traitsISK_E10value_typeEPNSQ_ISL_E10value_typeEPSM_NS1_7vsmem_tEENKUlT_SK_SL_SM_E_clIPS5_SF_SG_SG_EESJ_SZ_SK_SL_SM_EUlSZ_E_NS1_11comp_targetILNS1_3genE5ELNS1_11target_archE942ELNS1_3gpuE9ELNS1_3repE0EEENS1_48merge_mergepath_partition_config_static_selectorELNS0_4arch9wavefront6targetE1EEEvSL_: ; @_ZN7rocprim17ROCPRIM_400000_NS6detail17trampoline_kernelINS0_14default_configENS1_38merge_sort_block_merge_config_selectorI14custom_numericNS0_10empty_typeEEEZZNS1_27merge_sort_block_merge_implIS3_N6thrust23THRUST_200600_302600_NS6detail15normal_iteratorINSA_10device_ptrIS5_EEEEPS6_m14custom_greaterIS5_EEE10hipError_tT0_T1_T2_jT3_P12ihipStream_tbPNSt15iterator_traitsISK_E10value_typeEPNSQ_ISL_E10value_typeEPSM_NS1_7vsmem_tEENKUlT_SK_SL_SM_E_clIPS5_SF_SG_SG_EESJ_SZ_SK_SL_SM_EUlSZ_E_NS1_11comp_targetILNS1_3genE5ELNS1_11target_archE942ELNS1_3gpuE9ELNS1_3repE0EEENS1_48merge_mergepath_partition_config_static_selectorELNS0_4arch9wavefront6targetE1EEEvSL_
; %bb.0:
	.section	.rodata,"a",@progbits
	.p2align	6, 0x0
	.amdhsa_kernel _ZN7rocprim17ROCPRIM_400000_NS6detail17trampoline_kernelINS0_14default_configENS1_38merge_sort_block_merge_config_selectorI14custom_numericNS0_10empty_typeEEEZZNS1_27merge_sort_block_merge_implIS3_N6thrust23THRUST_200600_302600_NS6detail15normal_iteratorINSA_10device_ptrIS5_EEEEPS6_m14custom_greaterIS5_EEE10hipError_tT0_T1_T2_jT3_P12ihipStream_tbPNSt15iterator_traitsISK_E10value_typeEPNSQ_ISL_E10value_typeEPSM_NS1_7vsmem_tEENKUlT_SK_SL_SM_E_clIPS5_SF_SG_SG_EESJ_SZ_SK_SL_SM_EUlSZ_E_NS1_11comp_targetILNS1_3genE5ELNS1_11target_archE942ELNS1_3gpuE9ELNS1_3repE0EEENS1_48merge_mergepath_partition_config_static_selectorELNS0_4arch9wavefront6targetE1EEEvSL_
		.amdhsa_group_segment_fixed_size 0
		.amdhsa_private_segment_fixed_size 0
		.amdhsa_kernarg_size 48
		.amdhsa_user_sgpr_count 6
		.amdhsa_user_sgpr_private_segment_buffer 1
		.amdhsa_user_sgpr_dispatch_ptr 0
		.amdhsa_user_sgpr_queue_ptr 0
		.amdhsa_user_sgpr_kernarg_segment_ptr 1
		.amdhsa_user_sgpr_dispatch_id 0
		.amdhsa_user_sgpr_flat_scratch_init 0
		.amdhsa_user_sgpr_kernarg_preload_length 0
		.amdhsa_user_sgpr_kernarg_preload_offset 0
		.amdhsa_user_sgpr_private_segment_size 0
		.amdhsa_uses_dynamic_stack 0
		.amdhsa_system_sgpr_private_segment_wavefront_offset 0
		.amdhsa_system_sgpr_workgroup_id_x 1
		.amdhsa_system_sgpr_workgroup_id_y 0
		.amdhsa_system_sgpr_workgroup_id_z 0
		.amdhsa_system_sgpr_workgroup_info 0
		.amdhsa_system_vgpr_workitem_id 0
		.amdhsa_next_free_vgpr 1
		.amdhsa_next_free_sgpr 0
		.amdhsa_accum_offset 4
		.amdhsa_reserve_vcc 0
		.amdhsa_reserve_flat_scratch 0
		.amdhsa_float_round_mode_32 0
		.amdhsa_float_round_mode_16_64 0
		.amdhsa_float_denorm_mode_32 3
		.amdhsa_float_denorm_mode_16_64 3
		.amdhsa_dx10_clamp 1
		.amdhsa_ieee_mode 1
		.amdhsa_fp16_overflow 0
		.amdhsa_tg_split 0
		.amdhsa_exception_fp_ieee_invalid_op 0
		.amdhsa_exception_fp_denorm_src 0
		.amdhsa_exception_fp_ieee_div_zero 0
		.amdhsa_exception_fp_ieee_overflow 0
		.amdhsa_exception_fp_ieee_underflow 0
		.amdhsa_exception_fp_ieee_inexact 0
		.amdhsa_exception_int_div_zero 0
	.end_amdhsa_kernel
	.section	.text._ZN7rocprim17ROCPRIM_400000_NS6detail17trampoline_kernelINS0_14default_configENS1_38merge_sort_block_merge_config_selectorI14custom_numericNS0_10empty_typeEEEZZNS1_27merge_sort_block_merge_implIS3_N6thrust23THRUST_200600_302600_NS6detail15normal_iteratorINSA_10device_ptrIS5_EEEEPS6_m14custom_greaterIS5_EEE10hipError_tT0_T1_T2_jT3_P12ihipStream_tbPNSt15iterator_traitsISK_E10value_typeEPNSQ_ISL_E10value_typeEPSM_NS1_7vsmem_tEENKUlT_SK_SL_SM_E_clIPS5_SF_SG_SG_EESJ_SZ_SK_SL_SM_EUlSZ_E_NS1_11comp_targetILNS1_3genE5ELNS1_11target_archE942ELNS1_3gpuE9ELNS1_3repE0EEENS1_48merge_mergepath_partition_config_static_selectorELNS0_4arch9wavefront6targetE1EEEvSL_,"axG",@progbits,_ZN7rocprim17ROCPRIM_400000_NS6detail17trampoline_kernelINS0_14default_configENS1_38merge_sort_block_merge_config_selectorI14custom_numericNS0_10empty_typeEEEZZNS1_27merge_sort_block_merge_implIS3_N6thrust23THRUST_200600_302600_NS6detail15normal_iteratorINSA_10device_ptrIS5_EEEEPS6_m14custom_greaterIS5_EEE10hipError_tT0_T1_T2_jT3_P12ihipStream_tbPNSt15iterator_traitsISK_E10value_typeEPNSQ_ISL_E10value_typeEPSM_NS1_7vsmem_tEENKUlT_SK_SL_SM_E_clIPS5_SF_SG_SG_EESJ_SZ_SK_SL_SM_EUlSZ_E_NS1_11comp_targetILNS1_3genE5ELNS1_11target_archE942ELNS1_3gpuE9ELNS1_3repE0EEENS1_48merge_mergepath_partition_config_static_selectorELNS0_4arch9wavefront6targetE1EEEvSL_,comdat
.Lfunc_end3681:
	.size	_ZN7rocprim17ROCPRIM_400000_NS6detail17trampoline_kernelINS0_14default_configENS1_38merge_sort_block_merge_config_selectorI14custom_numericNS0_10empty_typeEEEZZNS1_27merge_sort_block_merge_implIS3_N6thrust23THRUST_200600_302600_NS6detail15normal_iteratorINSA_10device_ptrIS5_EEEEPS6_m14custom_greaterIS5_EEE10hipError_tT0_T1_T2_jT3_P12ihipStream_tbPNSt15iterator_traitsISK_E10value_typeEPNSQ_ISL_E10value_typeEPSM_NS1_7vsmem_tEENKUlT_SK_SL_SM_E_clIPS5_SF_SG_SG_EESJ_SZ_SK_SL_SM_EUlSZ_E_NS1_11comp_targetILNS1_3genE5ELNS1_11target_archE942ELNS1_3gpuE9ELNS1_3repE0EEENS1_48merge_mergepath_partition_config_static_selectorELNS0_4arch9wavefront6targetE1EEEvSL_, .Lfunc_end3681-_ZN7rocprim17ROCPRIM_400000_NS6detail17trampoline_kernelINS0_14default_configENS1_38merge_sort_block_merge_config_selectorI14custom_numericNS0_10empty_typeEEEZZNS1_27merge_sort_block_merge_implIS3_N6thrust23THRUST_200600_302600_NS6detail15normal_iteratorINSA_10device_ptrIS5_EEEEPS6_m14custom_greaterIS5_EEE10hipError_tT0_T1_T2_jT3_P12ihipStream_tbPNSt15iterator_traitsISK_E10value_typeEPNSQ_ISL_E10value_typeEPSM_NS1_7vsmem_tEENKUlT_SK_SL_SM_E_clIPS5_SF_SG_SG_EESJ_SZ_SK_SL_SM_EUlSZ_E_NS1_11comp_targetILNS1_3genE5ELNS1_11target_archE942ELNS1_3gpuE9ELNS1_3repE0EEENS1_48merge_mergepath_partition_config_static_selectorELNS0_4arch9wavefront6targetE1EEEvSL_
                                        ; -- End function
	.section	.AMDGPU.csdata,"",@progbits
; Kernel info:
; codeLenInByte = 0
; NumSgprs: 4
; NumVgprs: 0
; NumAgprs: 0
; TotalNumVgprs: 0
; ScratchSize: 0
; MemoryBound: 0
; FloatMode: 240
; IeeeMode: 1
; LDSByteSize: 0 bytes/workgroup (compile time only)
; SGPRBlocks: 0
; VGPRBlocks: 0
; NumSGPRsForWavesPerEU: 4
; NumVGPRsForWavesPerEU: 1
; AccumOffset: 4
; Occupancy: 8
; WaveLimiterHint : 0
; COMPUTE_PGM_RSRC2:SCRATCH_EN: 0
; COMPUTE_PGM_RSRC2:USER_SGPR: 6
; COMPUTE_PGM_RSRC2:TRAP_HANDLER: 0
; COMPUTE_PGM_RSRC2:TGID_X_EN: 1
; COMPUTE_PGM_RSRC2:TGID_Y_EN: 0
; COMPUTE_PGM_RSRC2:TGID_Z_EN: 0
; COMPUTE_PGM_RSRC2:TIDIG_COMP_CNT: 0
; COMPUTE_PGM_RSRC3_GFX90A:ACCUM_OFFSET: 0
; COMPUTE_PGM_RSRC3_GFX90A:TG_SPLIT: 0
	.section	.text._ZN7rocprim17ROCPRIM_400000_NS6detail17trampoline_kernelINS0_14default_configENS1_38merge_sort_block_merge_config_selectorI14custom_numericNS0_10empty_typeEEEZZNS1_27merge_sort_block_merge_implIS3_N6thrust23THRUST_200600_302600_NS6detail15normal_iteratorINSA_10device_ptrIS5_EEEEPS6_m14custom_greaterIS5_EEE10hipError_tT0_T1_T2_jT3_P12ihipStream_tbPNSt15iterator_traitsISK_E10value_typeEPNSQ_ISL_E10value_typeEPSM_NS1_7vsmem_tEENKUlT_SK_SL_SM_E_clIPS5_SF_SG_SG_EESJ_SZ_SK_SL_SM_EUlSZ_E_NS1_11comp_targetILNS1_3genE4ELNS1_11target_archE910ELNS1_3gpuE8ELNS1_3repE0EEENS1_48merge_mergepath_partition_config_static_selectorELNS0_4arch9wavefront6targetE1EEEvSL_,"axG",@progbits,_ZN7rocprim17ROCPRIM_400000_NS6detail17trampoline_kernelINS0_14default_configENS1_38merge_sort_block_merge_config_selectorI14custom_numericNS0_10empty_typeEEEZZNS1_27merge_sort_block_merge_implIS3_N6thrust23THRUST_200600_302600_NS6detail15normal_iteratorINSA_10device_ptrIS5_EEEEPS6_m14custom_greaterIS5_EEE10hipError_tT0_T1_T2_jT3_P12ihipStream_tbPNSt15iterator_traitsISK_E10value_typeEPNSQ_ISL_E10value_typeEPSM_NS1_7vsmem_tEENKUlT_SK_SL_SM_E_clIPS5_SF_SG_SG_EESJ_SZ_SK_SL_SM_EUlSZ_E_NS1_11comp_targetILNS1_3genE4ELNS1_11target_archE910ELNS1_3gpuE8ELNS1_3repE0EEENS1_48merge_mergepath_partition_config_static_selectorELNS0_4arch9wavefront6targetE1EEEvSL_,comdat
	.protected	_ZN7rocprim17ROCPRIM_400000_NS6detail17trampoline_kernelINS0_14default_configENS1_38merge_sort_block_merge_config_selectorI14custom_numericNS0_10empty_typeEEEZZNS1_27merge_sort_block_merge_implIS3_N6thrust23THRUST_200600_302600_NS6detail15normal_iteratorINSA_10device_ptrIS5_EEEEPS6_m14custom_greaterIS5_EEE10hipError_tT0_T1_T2_jT3_P12ihipStream_tbPNSt15iterator_traitsISK_E10value_typeEPNSQ_ISL_E10value_typeEPSM_NS1_7vsmem_tEENKUlT_SK_SL_SM_E_clIPS5_SF_SG_SG_EESJ_SZ_SK_SL_SM_EUlSZ_E_NS1_11comp_targetILNS1_3genE4ELNS1_11target_archE910ELNS1_3gpuE8ELNS1_3repE0EEENS1_48merge_mergepath_partition_config_static_selectorELNS0_4arch9wavefront6targetE1EEEvSL_ ; -- Begin function _ZN7rocprim17ROCPRIM_400000_NS6detail17trampoline_kernelINS0_14default_configENS1_38merge_sort_block_merge_config_selectorI14custom_numericNS0_10empty_typeEEEZZNS1_27merge_sort_block_merge_implIS3_N6thrust23THRUST_200600_302600_NS6detail15normal_iteratorINSA_10device_ptrIS5_EEEEPS6_m14custom_greaterIS5_EEE10hipError_tT0_T1_T2_jT3_P12ihipStream_tbPNSt15iterator_traitsISK_E10value_typeEPNSQ_ISL_E10value_typeEPSM_NS1_7vsmem_tEENKUlT_SK_SL_SM_E_clIPS5_SF_SG_SG_EESJ_SZ_SK_SL_SM_EUlSZ_E_NS1_11comp_targetILNS1_3genE4ELNS1_11target_archE910ELNS1_3gpuE8ELNS1_3repE0EEENS1_48merge_mergepath_partition_config_static_selectorELNS0_4arch9wavefront6targetE1EEEvSL_
	.globl	_ZN7rocprim17ROCPRIM_400000_NS6detail17trampoline_kernelINS0_14default_configENS1_38merge_sort_block_merge_config_selectorI14custom_numericNS0_10empty_typeEEEZZNS1_27merge_sort_block_merge_implIS3_N6thrust23THRUST_200600_302600_NS6detail15normal_iteratorINSA_10device_ptrIS5_EEEEPS6_m14custom_greaterIS5_EEE10hipError_tT0_T1_T2_jT3_P12ihipStream_tbPNSt15iterator_traitsISK_E10value_typeEPNSQ_ISL_E10value_typeEPSM_NS1_7vsmem_tEENKUlT_SK_SL_SM_E_clIPS5_SF_SG_SG_EESJ_SZ_SK_SL_SM_EUlSZ_E_NS1_11comp_targetILNS1_3genE4ELNS1_11target_archE910ELNS1_3gpuE8ELNS1_3repE0EEENS1_48merge_mergepath_partition_config_static_selectorELNS0_4arch9wavefront6targetE1EEEvSL_
	.p2align	8
	.type	_ZN7rocprim17ROCPRIM_400000_NS6detail17trampoline_kernelINS0_14default_configENS1_38merge_sort_block_merge_config_selectorI14custom_numericNS0_10empty_typeEEEZZNS1_27merge_sort_block_merge_implIS3_N6thrust23THRUST_200600_302600_NS6detail15normal_iteratorINSA_10device_ptrIS5_EEEEPS6_m14custom_greaterIS5_EEE10hipError_tT0_T1_T2_jT3_P12ihipStream_tbPNSt15iterator_traitsISK_E10value_typeEPNSQ_ISL_E10value_typeEPSM_NS1_7vsmem_tEENKUlT_SK_SL_SM_E_clIPS5_SF_SG_SG_EESJ_SZ_SK_SL_SM_EUlSZ_E_NS1_11comp_targetILNS1_3genE4ELNS1_11target_archE910ELNS1_3gpuE8ELNS1_3repE0EEENS1_48merge_mergepath_partition_config_static_selectorELNS0_4arch9wavefront6targetE1EEEvSL_,@function
_ZN7rocprim17ROCPRIM_400000_NS6detail17trampoline_kernelINS0_14default_configENS1_38merge_sort_block_merge_config_selectorI14custom_numericNS0_10empty_typeEEEZZNS1_27merge_sort_block_merge_implIS3_N6thrust23THRUST_200600_302600_NS6detail15normal_iteratorINSA_10device_ptrIS5_EEEEPS6_m14custom_greaterIS5_EEE10hipError_tT0_T1_T2_jT3_P12ihipStream_tbPNSt15iterator_traitsISK_E10value_typeEPNSQ_ISL_E10value_typeEPSM_NS1_7vsmem_tEENKUlT_SK_SL_SM_E_clIPS5_SF_SG_SG_EESJ_SZ_SK_SL_SM_EUlSZ_E_NS1_11comp_targetILNS1_3genE4ELNS1_11target_archE910ELNS1_3gpuE8ELNS1_3repE0EEENS1_48merge_mergepath_partition_config_static_selectorELNS0_4arch9wavefront6targetE1EEEvSL_: ; @_ZN7rocprim17ROCPRIM_400000_NS6detail17trampoline_kernelINS0_14default_configENS1_38merge_sort_block_merge_config_selectorI14custom_numericNS0_10empty_typeEEEZZNS1_27merge_sort_block_merge_implIS3_N6thrust23THRUST_200600_302600_NS6detail15normal_iteratorINSA_10device_ptrIS5_EEEEPS6_m14custom_greaterIS5_EEE10hipError_tT0_T1_T2_jT3_P12ihipStream_tbPNSt15iterator_traitsISK_E10value_typeEPNSQ_ISL_E10value_typeEPSM_NS1_7vsmem_tEENKUlT_SK_SL_SM_E_clIPS5_SF_SG_SG_EESJ_SZ_SK_SL_SM_EUlSZ_E_NS1_11comp_targetILNS1_3genE4ELNS1_11target_archE910ELNS1_3gpuE8ELNS1_3repE0EEENS1_48merge_mergepath_partition_config_static_selectorELNS0_4arch9wavefront6targetE1EEEvSL_
; %bb.0:
	s_load_dword s0, s[4:5], 0x0
	v_lshl_or_b32 v0, s6, 7, v0
	s_waitcnt lgkmcnt(0)
	v_cmp_gt_u32_e32 vcc, s0, v0
	s_and_saveexec_b64 s[0:1], vcc
	s_cbranch_execz .LBB3682_6
; %bb.1:
	s_load_dwordx4 s[0:3], s[4:5], 0x8
	s_load_dwordx2 s[6:7], s[4:5], 0x28
	v_mov_b32_e32 v5, 0
	s_waitcnt lgkmcnt(0)
	v_mov_b32_e32 v1, s0
	v_alignbit_b32 v1, s1, v1, 8
	v_and_b32_e32 v1, -2, v1
	v_add_u32_e32 v2, -1, v1
	v_sub_u32_e32 v1, 0, v1
	v_and_b32_e32 v4, v0, v1
	v_lshlrev_b64 v[8:9], 9, v[4:5]
	v_mov_b32_e32 v4, s3
	v_cmp_lt_u64_e32 vcc, s[2:3], v[8:9]
	v_mov_b32_e32 v7, s2
	v_and_b32_e32 v6, v2, v0
	v_cndmask_b32_e32 v1, v9, v4, vcc
	v_cndmask_b32_e32 v2, v8, v7, vcc
	v_mov_b32_e32 v3, s1
	v_add_co_u32_e32 v8, vcc, s0, v8
	v_addc_co_u32_e32 v9, vcc, v9, v3, vcc
	v_cmp_lt_u64_e32 vcc, s[2:3], v[8:9]
	v_cndmask_b32_e32 v10, v8, v7, vcc
	v_cndmask_b32_e32 v3, v9, v4, vcc
	v_mov_b32_e32 v9, s1
	v_add_co_u32_e32 v8, vcc, s0, v10
	v_addc_co_u32_e32 v9, vcc, v3, v9, vcc
	v_cmp_lt_u64_e32 vcc, s[2:3], v[8:9]
	v_cndmask_b32_e32 v14, v8, v7, vcc
	v_cndmask_b32_e32 v11, v9, v4, vcc
	v_sub_co_u32_e32 v8, vcc, v14, v2
	v_mov_b32_e32 v7, v5
	v_subb_co_u32_e32 v9, vcc, v11, v1, vcc
	v_lshlrev_b64 v[4:5], 9, v[6:7]
	v_cmp_lt_u64_e32 vcc, v[8:9], v[4:5]
	v_cndmask_b32_e32 v13, v5, v9, vcc
	v_cndmask_b32_e32 v12, v4, v8, vcc
	v_sub_co_u32_e32 v6, vcc, v10, v2
	v_subb_co_u32_e32 v7, vcc, v3, v1, vcc
	v_sub_co_u32_e32 v4, vcc, v10, v14
	v_subb_co_u32_e32 v5, vcc, v3, v11, vcc
	v_add_co_u32_e32 v4, vcc, v12, v4
	v_addc_co_u32_e32 v5, vcc, v13, v5, vcc
	v_cmp_gt_u64_e32 vcc, v[4:5], v[12:13]
	v_cndmask_b32_e64 v5, v5, 0, vcc
	v_cndmask_b32_e64 v4, v4, 0, vcc
	v_cmp_lt_u64_e32 vcc, v[12:13], v[6:7]
	v_cndmask_b32_e32 v7, v7, v13, vcc
	v_cndmask_b32_e32 v6, v6, v12, vcc
	v_cmp_lt_u64_e32 vcc, v[4:5], v[6:7]
	s_and_saveexec_b64 s[0:1], vcc
	s_cbranch_execz .LBB3682_5
; %bb.2:
	s_load_dwordx2 s[2:3], s[4:5], 0x18
	s_waitcnt lgkmcnt(0)
	v_mad_u64_u32 v[8:9], s[4:5], v2, 20, s[2:3]
	v_mov_b32_e32 v14, v9
	v_mad_u64_u32 v[10:11], s[2:3], v10, 20, s[2:3]
	v_mad_u64_u32 v[14:15], s[2:3], v1, 20, v[14:15]
	v_mov_b32_e32 v9, v14
	v_mov_b32_e32 v14, v11
	v_mad_u64_u32 v[14:15], s[2:3], v3, 20, v[14:15]
	v_mov_b32_e32 v11, v14
	v_mad_u64_u32 v[10:11], s[2:3], v12, 20, v[10:11]
	;; [unrolled: 2-line block ×3, first 2 shown]
	v_mov_b32_e32 v11, v12
	s_mov_b64 s[2:3], 0
.LBB3682_3:                             ; =>This Inner Loop Header: Depth=1
	v_add_co_u32_e32 v12, vcc, v6, v4
	v_addc_co_u32_e32 v13, vcc, v7, v5, vcc
	v_lshrrev_b64 v[14:15], 1, v[12:13]
	v_alignbit_b32 v3, v13, v12, 1
	v_lshrrev_b32_e32 v17, 1, v13
	v_not_b32_e32 v18, v14
	v_mad_u64_u32 v[12:13], s[4:5], v3, 20, v[8:9]
	v_mov_b32_e32 v16, v13
	v_mad_u64_u32 v[18:19], s[4:5], v18, 20, v[10:11]
	v_not_b32_e32 v21, v15
	v_mad_u64_u32 v[16:17], s[4:5], v17, 20, v[16:17]
	v_mov_b32_e32 v20, v19
	v_mov_b32_e32 v13, v16
	v_mad_u64_u32 v[16:17], s[4:5], v21, 20, v[20:21]
	v_mov_b32_e32 v19, v16
	global_load_dword v3, v[12:13], off
	global_load_dword v16, v[18:19], off
	v_add_co_u32_e32 v12, vcc, 1, v14
	v_addc_co_u32_e32 v13, vcc, 0, v15, vcc
	s_waitcnt vmcnt(0)
	v_cmp_gt_i32_e32 vcc, v3, v16
	v_cndmask_b32_e32 v7, v7, v15, vcc
	v_cndmask_b32_e32 v6, v6, v14, vcc
	;; [unrolled: 1-line block ×4, first 2 shown]
	v_cmp_ge_u64_e32 vcc, v[4:5], v[6:7]
	s_or_b64 s[2:3], vcc, s[2:3]
	s_andn2_b64 exec, exec, s[2:3]
	s_cbranch_execnz .LBB3682_3
; %bb.4:
	s_or_b64 exec, exec, s[2:3]
.LBB3682_5:
	s_or_b64 exec, exec, s[0:1]
	v_add_co_u32_e32 v2, vcc, v4, v2
	v_addc_co_u32_e32 v3, vcc, v5, v1, vcc
	v_mov_b32_e32 v1, 0
	v_lshlrev_b64 v[0:1], 3, v[0:1]
	v_mov_b32_e32 v4, s7
	v_add_co_u32_e32 v0, vcc, s6, v0
	v_addc_co_u32_e32 v1, vcc, v4, v1, vcc
	global_store_dwordx2 v[0:1], v[2:3], off
.LBB3682_6:
	s_endpgm
	.section	.rodata,"a",@progbits
	.p2align	6, 0x0
	.amdhsa_kernel _ZN7rocprim17ROCPRIM_400000_NS6detail17trampoline_kernelINS0_14default_configENS1_38merge_sort_block_merge_config_selectorI14custom_numericNS0_10empty_typeEEEZZNS1_27merge_sort_block_merge_implIS3_N6thrust23THRUST_200600_302600_NS6detail15normal_iteratorINSA_10device_ptrIS5_EEEEPS6_m14custom_greaterIS5_EEE10hipError_tT0_T1_T2_jT3_P12ihipStream_tbPNSt15iterator_traitsISK_E10value_typeEPNSQ_ISL_E10value_typeEPSM_NS1_7vsmem_tEENKUlT_SK_SL_SM_E_clIPS5_SF_SG_SG_EESJ_SZ_SK_SL_SM_EUlSZ_E_NS1_11comp_targetILNS1_3genE4ELNS1_11target_archE910ELNS1_3gpuE8ELNS1_3repE0EEENS1_48merge_mergepath_partition_config_static_selectorELNS0_4arch9wavefront6targetE1EEEvSL_
		.amdhsa_group_segment_fixed_size 0
		.amdhsa_private_segment_fixed_size 0
		.amdhsa_kernarg_size 48
		.amdhsa_user_sgpr_count 6
		.amdhsa_user_sgpr_private_segment_buffer 1
		.amdhsa_user_sgpr_dispatch_ptr 0
		.amdhsa_user_sgpr_queue_ptr 0
		.amdhsa_user_sgpr_kernarg_segment_ptr 1
		.amdhsa_user_sgpr_dispatch_id 0
		.amdhsa_user_sgpr_flat_scratch_init 0
		.amdhsa_user_sgpr_kernarg_preload_length 0
		.amdhsa_user_sgpr_kernarg_preload_offset 0
		.amdhsa_user_sgpr_private_segment_size 0
		.amdhsa_uses_dynamic_stack 0
		.amdhsa_system_sgpr_private_segment_wavefront_offset 0
		.amdhsa_system_sgpr_workgroup_id_x 1
		.amdhsa_system_sgpr_workgroup_id_y 0
		.amdhsa_system_sgpr_workgroup_id_z 0
		.amdhsa_system_sgpr_workgroup_info 0
		.amdhsa_system_vgpr_workitem_id 0
		.amdhsa_next_free_vgpr 22
		.amdhsa_next_free_sgpr 8
		.amdhsa_accum_offset 24
		.amdhsa_reserve_vcc 1
		.amdhsa_reserve_flat_scratch 0
		.amdhsa_float_round_mode_32 0
		.amdhsa_float_round_mode_16_64 0
		.amdhsa_float_denorm_mode_32 3
		.amdhsa_float_denorm_mode_16_64 3
		.amdhsa_dx10_clamp 1
		.amdhsa_ieee_mode 1
		.amdhsa_fp16_overflow 0
		.amdhsa_tg_split 0
		.amdhsa_exception_fp_ieee_invalid_op 0
		.amdhsa_exception_fp_denorm_src 0
		.amdhsa_exception_fp_ieee_div_zero 0
		.amdhsa_exception_fp_ieee_overflow 0
		.amdhsa_exception_fp_ieee_underflow 0
		.amdhsa_exception_fp_ieee_inexact 0
		.amdhsa_exception_int_div_zero 0
	.end_amdhsa_kernel
	.section	.text._ZN7rocprim17ROCPRIM_400000_NS6detail17trampoline_kernelINS0_14default_configENS1_38merge_sort_block_merge_config_selectorI14custom_numericNS0_10empty_typeEEEZZNS1_27merge_sort_block_merge_implIS3_N6thrust23THRUST_200600_302600_NS6detail15normal_iteratorINSA_10device_ptrIS5_EEEEPS6_m14custom_greaterIS5_EEE10hipError_tT0_T1_T2_jT3_P12ihipStream_tbPNSt15iterator_traitsISK_E10value_typeEPNSQ_ISL_E10value_typeEPSM_NS1_7vsmem_tEENKUlT_SK_SL_SM_E_clIPS5_SF_SG_SG_EESJ_SZ_SK_SL_SM_EUlSZ_E_NS1_11comp_targetILNS1_3genE4ELNS1_11target_archE910ELNS1_3gpuE8ELNS1_3repE0EEENS1_48merge_mergepath_partition_config_static_selectorELNS0_4arch9wavefront6targetE1EEEvSL_,"axG",@progbits,_ZN7rocprim17ROCPRIM_400000_NS6detail17trampoline_kernelINS0_14default_configENS1_38merge_sort_block_merge_config_selectorI14custom_numericNS0_10empty_typeEEEZZNS1_27merge_sort_block_merge_implIS3_N6thrust23THRUST_200600_302600_NS6detail15normal_iteratorINSA_10device_ptrIS5_EEEEPS6_m14custom_greaterIS5_EEE10hipError_tT0_T1_T2_jT3_P12ihipStream_tbPNSt15iterator_traitsISK_E10value_typeEPNSQ_ISL_E10value_typeEPSM_NS1_7vsmem_tEENKUlT_SK_SL_SM_E_clIPS5_SF_SG_SG_EESJ_SZ_SK_SL_SM_EUlSZ_E_NS1_11comp_targetILNS1_3genE4ELNS1_11target_archE910ELNS1_3gpuE8ELNS1_3repE0EEENS1_48merge_mergepath_partition_config_static_selectorELNS0_4arch9wavefront6targetE1EEEvSL_,comdat
.Lfunc_end3682:
	.size	_ZN7rocprim17ROCPRIM_400000_NS6detail17trampoline_kernelINS0_14default_configENS1_38merge_sort_block_merge_config_selectorI14custom_numericNS0_10empty_typeEEEZZNS1_27merge_sort_block_merge_implIS3_N6thrust23THRUST_200600_302600_NS6detail15normal_iteratorINSA_10device_ptrIS5_EEEEPS6_m14custom_greaterIS5_EEE10hipError_tT0_T1_T2_jT3_P12ihipStream_tbPNSt15iterator_traitsISK_E10value_typeEPNSQ_ISL_E10value_typeEPSM_NS1_7vsmem_tEENKUlT_SK_SL_SM_E_clIPS5_SF_SG_SG_EESJ_SZ_SK_SL_SM_EUlSZ_E_NS1_11comp_targetILNS1_3genE4ELNS1_11target_archE910ELNS1_3gpuE8ELNS1_3repE0EEENS1_48merge_mergepath_partition_config_static_selectorELNS0_4arch9wavefront6targetE1EEEvSL_, .Lfunc_end3682-_ZN7rocprim17ROCPRIM_400000_NS6detail17trampoline_kernelINS0_14default_configENS1_38merge_sort_block_merge_config_selectorI14custom_numericNS0_10empty_typeEEEZZNS1_27merge_sort_block_merge_implIS3_N6thrust23THRUST_200600_302600_NS6detail15normal_iteratorINSA_10device_ptrIS5_EEEEPS6_m14custom_greaterIS5_EEE10hipError_tT0_T1_T2_jT3_P12ihipStream_tbPNSt15iterator_traitsISK_E10value_typeEPNSQ_ISL_E10value_typeEPSM_NS1_7vsmem_tEENKUlT_SK_SL_SM_E_clIPS5_SF_SG_SG_EESJ_SZ_SK_SL_SM_EUlSZ_E_NS1_11comp_targetILNS1_3genE4ELNS1_11target_archE910ELNS1_3gpuE8ELNS1_3repE0EEENS1_48merge_mergepath_partition_config_static_selectorELNS0_4arch9wavefront6targetE1EEEvSL_
                                        ; -- End function
	.section	.AMDGPU.csdata,"",@progbits
; Kernel info:
; codeLenInByte = 552
; NumSgprs: 12
; NumVgprs: 22
; NumAgprs: 0
; TotalNumVgprs: 22
; ScratchSize: 0
; MemoryBound: 0
; FloatMode: 240
; IeeeMode: 1
; LDSByteSize: 0 bytes/workgroup (compile time only)
; SGPRBlocks: 1
; VGPRBlocks: 2
; NumSGPRsForWavesPerEU: 12
; NumVGPRsForWavesPerEU: 22
; AccumOffset: 24
; Occupancy: 8
; WaveLimiterHint : 0
; COMPUTE_PGM_RSRC2:SCRATCH_EN: 0
; COMPUTE_PGM_RSRC2:USER_SGPR: 6
; COMPUTE_PGM_RSRC2:TRAP_HANDLER: 0
; COMPUTE_PGM_RSRC2:TGID_X_EN: 1
; COMPUTE_PGM_RSRC2:TGID_Y_EN: 0
; COMPUTE_PGM_RSRC2:TGID_Z_EN: 0
; COMPUTE_PGM_RSRC2:TIDIG_COMP_CNT: 0
; COMPUTE_PGM_RSRC3_GFX90A:ACCUM_OFFSET: 5
; COMPUTE_PGM_RSRC3_GFX90A:TG_SPLIT: 0
	.section	.text._ZN7rocprim17ROCPRIM_400000_NS6detail17trampoline_kernelINS0_14default_configENS1_38merge_sort_block_merge_config_selectorI14custom_numericNS0_10empty_typeEEEZZNS1_27merge_sort_block_merge_implIS3_N6thrust23THRUST_200600_302600_NS6detail15normal_iteratorINSA_10device_ptrIS5_EEEEPS6_m14custom_greaterIS5_EEE10hipError_tT0_T1_T2_jT3_P12ihipStream_tbPNSt15iterator_traitsISK_E10value_typeEPNSQ_ISL_E10value_typeEPSM_NS1_7vsmem_tEENKUlT_SK_SL_SM_E_clIPS5_SF_SG_SG_EESJ_SZ_SK_SL_SM_EUlSZ_E_NS1_11comp_targetILNS1_3genE3ELNS1_11target_archE908ELNS1_3gpuE7ELNS1_3repE0EEENS1_48merge_mergepath_partition_config_static_selectorELNS0_4arch9wavefront6targetE1EEEvSL_,"axG",@progbits,_ZN7rocprim17ROCPRIM_400000_NS6detail17trampoline_kernelINS0_14default_configENS1_38merge_sort_block_merge_config_selectorI14custom_numericNS0_10empty_typeEEEZZNS1_27merge_sort_block_merge_implIS3_N6thrust23THRUST_200600_302600_NS6detail15normal_iteratorINSA_10device_ptrIS5_EEEEPS6_m14custom_greaterIS5_EEE10hipError_tT0_T1_T2_jT3_P12ihipStream_tbPNSt15iterator_traitsISK_E10value_typeEPNSQ_ISL_E10value_typeEPSM_NS1_7vsmem_tEENKUlT_SK_SL_SM_E_clIPS5_SF_SG_SG_EESJ_SZ_SK_SL_SM_EUlSZ_E_NS1_11comp_targetILNS1_3genE3ELNS1_11target_archE908ELNS1_3gpuE7ELNS1_3repE0EEENS1_48merge_mergepath_partition_config_static_selectorELNS0_4arch9wavefront6targetE1EEEvSL_,comdat
	.protected	_ZN7rocprim17ROCPRIM_400000_NS6detail17trampoline_kernelINS0_14default_configENS1_38merge_sort_block_merge_config_selectorI14custom_numericNS0_10empty_typeEEEZZNS1_27merge_sort_block_merge_implIS3_N6thrust23THRUST_200600_302600_NS6detail15normal_iteratorINSA_10device_ptrIS5_EEEEPS6_m14custom_greaterIS5_EEE10hipError_tT0_T1_T2_jT3_P12ihipStream_tbPNSt15iterator_traitsISK_E10value_typeEPNSQ_ISL_E10value_typeEPSM_NS1_7vsmem_tEENKUlT_SK_SL_SM_E_clIPS5_SF_SG_SG_EESJ_SZ_SK_SL_SM_EUlSZ_E_NS1_11comp_targetILNS1_3genE3ELNS1_11target_archE908ELNS1_3gpuE7ELNS1_3repE0EEENS1_48merge_mergepath_partition_config_static_selectorELNS0_4arch9wavefront6targetE1EEEvSL_ ; -- Begin function _ZN7rocprim17ROCPRIM_400000_NS6detail17trampoline_kernelINS0_14default_configENS1_38merge_sort_block_merge_config_selectorI14custom_numericNS0_10empty_typeEEEZZNS1_27merge_sort_block_merge_implIS3_N6thrust23THRUST_200600_302600_NS6detail15normal_iteratorINSA_10device_ptrIS5_EEEEPS6_m14custom_greaterIS5_EEE10hipError_tT0_T1_T2_jT3_P12ihipStream_tbPNSt15iterator_traitsISK_E10value_typeEPNSQ_ISL_E10value_typeEPSM_NS1_7vsmem_tEENKUlT_SK_SL_SM_E_clIPS5_SF_SG_SG_EESJ_SZ_SK_SL_SM_EUlSZ_E_NS1_11comp_targetILNS1_3genE3ELNS1_11target_archE908ELNS1_3gpuE7ELNS1_3repE0EEENS1_48merge_mergepath_partition_config_static_selectorELNS0_4arch9wavefront6targetE1EEEvSL_
	.globl	_ZN7rocprim17ROCPRIM_400000_NS6detail17trampoline_kernelINS0_14default_configENS1_38merge_sort_block_merge_config_selectorI14custom_numericNS0_10empty_typeEEEZZNS1_27merge_sort_block_merge_implIS3_N6thrust23THRUST_200600_302600_NS6detail15normal_iteratorINSA_10device_ptrIS5_EEEEPS6_m14custom_greaterIS5_EEE10hipError_tT0_T1_T2_jT3_P12ihipStream_tbPNSt15iterator_traitsISK_E10value_typeEPNSQ_ISL_E10value_typeEPSM_NS1_7vsmem_tEENKUlT_SK_SL_SM_E_clIPS5_SF_SG_SG_EESJ_SZ_SK_SL_SM_EUlSZ_E_NS1_11comp_targetILNS1_3genE3ELNS1_11target_archE908ELNS1_3gpuE7ELNS1_3repE0EEENS1_48merge_mergepath_partition_config_static_selectorELNS0_4arch9wavefront6targetE1EEEvSL_
	.p2align	8
	.type	_ZN7rocprim17ROCPRIM_400000_NS6detail17trampoline_kernelINS0_14default_configENS1_38merge_sort_block_merge_config_selectorI14custom_numericNS0_10empty_typeEEEZZNS1_27merge_sort_block_merge_implIS3_N6thrust23THRUST_200600_302600_NS6detail15normal_iteratorINSA_10device_ptrIS5_EEEEPS6_m14custom_greaterIS5_EEE10hipError_tT0_T1_T2_jT3_P12ihipStream_tbPNSt15iterator_traitsISK_E10value_typeEPNSQ_ISL_E10value_typeEPSM_NS1_7vsmem_tEENKUlT_SK_SL_SM_E_clIPS5_SF_SG_SG_EESJ_SZ_SK_SL_SM_EUlSZ_E_NS1_11comp_targetILNS1_3genE3ELNS1_11target_archE908ELNS1_3gpuE7ELNS1_3repE0EEENS1_48merge_mergepath_partition_config_static_selectorELNS0_4arch9wavefront6targetE1EEEvSL_,@function
_ZN7rocprim17ROCPRIM_400000_NS6detail17trampoline_kernelINS0_14default_configENS1_38merge_sort_block_merge_config_selectorI14custom_numericNS0_10empty_typeEEEZZNS1_27merge_sort_block_merge_implIS3_N6thrust23THRUST_200600_302600_NS6detail15normal_iteratorINSA_10device_ptrIS5_EEEEPS6_m14custom_greaterIS5_EEE10hipError_tT0_T1_T2_jT3_P12ihipStream_tbPNSt15iterator_traitsISK_E10value_typeEPNSQ_ISL_E10value_typeEPSM_NS1_7vsmem_tEENKUlT_SK_SL_SM_E_clIPS5_SF_SG_SG_EESJ_SZ_SK_SL_SM_EUlSZ_E_NS1_11comp_targetILNS1_3genE3ELNS1_11target_archE908ELNS1_3gpuE7ELNS1_3repE0EEENS1_48merge_mergepath_partition_config_static_selectorELNS0_4arch9wavefront6targetE1EEEvSL_: ; @_ZN7rocprim17ROCPRIM_400000_NS6detail17trampoline_kernelINS0_14default_configENS1_38merge_sort_block_merge_config_selectorI14custom_numericNS0_10empty_typeEEEZZNS1_27merge_sort_block_merge_implIS3_N6thrust23THRUST_200600_302600_NS6detail15normal_iteratorINSA_10device_ptrIS5_EEEEPS6_m14custom_greaterIS5_EEE10hipError_tT0_T1_T2_jT3_P12ihipStream_tbPNSt15iterator_traitsISK_E10value_typeEPNSQ_ISL_E10value_typeEPSM_NS1_7vsmem_tEENKUlT_SK_SL_SM_E_clIPS5_SF_SG_SG_EESJ_SZ_SK_SL_SM_EUlSZ_E_NS1_11comp_targetILNS1_3genE3ELNS1_11target_archE908ELNS1_3gpuE7ELNS1_3repE0EEENS1_48merge_mergepath_partition_config_static_selectorELNS0_4arch9wavefront6targetE1EEEvSL_
; %bb.0:
	.section	.rodata,"a",@progbits
	.p2align	6, 0x0
	.amdhsa_kernel _ZN7rocprim17ROCPRIM_400000_NS6detail17trampoline_kernelINS0_14default_configENS1_38merge_sort_block_merge_config_selectorI14custom_numericNS0_10empty_typeEEEZZNS1_27merge_sort_block_merge_implIS3_N6thrust23THRUST_200600_302600_NS6detail15normal_iteratorINSA_10device_ptrIS5_EEEEPS6_m14custom_greaterIS5_EEE10hipError_tT0_T1_T2_jT3_P12ihipStream_tbPNSt15iterator_traitsISK_E10value_typeEPNSQ_ISL_E10value_typeEPSM_NS1_7vsmem_tEENKUlT_SK_SL_SM_E_clIPS5_SF_SG_SG_EESJ_SZ_SK_SL_SM_EUlSZ_E_NS1_11comp_targetILNS1_3genE3ELNS1_11target_archE908ELNS1_3gpuE7ELNS1_3repE0EEENS1_48merge_mergepath_partition_config_static_selectorELNS0_4arch9wavefront6targetE1EEEvSL_
		.amdhsa_group_segment_fixed_size 0
		.amdhsa_private_segment_fixed_size 0
		.amdhsa_kernarg_size 48
		.amdhsa_user_sgpr_count 6
		.amdhsa_user_sgpr_private_segment_buffer 1
		.amdhsa_user_sgpr_dispatch_ptr 0
		.amdhsa_user_sgpr_queue_ptr 0
		.amdhsa_user_sgpr_kernarg_segment_ptr 1
		.amdhsa_user_sgpr_dispatch_id 0
		.amdhsa_user_sgpr_flat_scratch_init 0
		.amdhsa_user_sgpr_kernarg_preload_length 0
		.amdhsa_user_sgpr_kernarg_preload_offset 0
		.amdhsa_user_sgpr_private_segment_size 0
		.amdhsa_uses_dynamic_stack 0
		.amdhsa_system_sgpr_private_segment_wavefront_offset 0
		.amdhsa_system_sgpr_workgroup_id_x 1
		.amdhsa_system_sgpr_workgroup_id_y 0
		.amdhsa_system_sgpr_workgroup_id_z 0
		.amdhsa_system_sgpr_workgroup_info 0
		.amdhsa_system_vgpr_workitem_id 0
		.amdhsa_next_free_vgpr 1
		.amdhsa_next_free_sgpr 0
		.amdhsa_accum_offset 4
		.amdhsa_reserve_vcc 0
		.amdhsa_reserve_flat_scratch 0
		.amdhsa_float_round_mode_32 0
		.amdhsa_float_round_mode_16_64 0
		.amdhsa_float_denorm_mode_32 3
		.amdhsa_float_denorm_mode_16_64 3
		.amdhsa_dx10_clamp 1
		.amdhsa_ieee_mode 1
		.amdhsa_fp16_overflow 0
		.amdhsa_tg_split 0
		.amdhsa_exception_fp_ieee_invalid_op 0
		.amdhsa_exception_fp_denorm_src 0
		.amdhsa_exception_fp_ieee_div_zero 0
		.amdhsa_exception_fp_ieee_overflow 0
		.amdhsa_exception_fp_ieee_underflow 0
		.amdhsa_exception_fp_ieee_inexact 0
		.amdhsa_exception_int_div_zero 0
	.end_amdhsa_kernel
	.section	.text._ZN7rocprim17ROCPRIM_400000_NS6detail17trampoline_kernelINS0_14default_configENS1_38merge_sort_block_merge_config_selectorI14custom_numericNS0_10empty_typeEEEZZNS1_27merge_sort_block_merge_implIS3_N6thrust23THRUST_200600_302600_NS6detail15normal_iteratorINSA_10device_ptrIS5_EEEEPS6_m14custom_greaterIS5_EEE10hipError_tT0_T1_T2_jT3_P12ihipStream_tbPNSt15iterator_traitsISK_E10value_typeEPNSQ_ISL_E10value_typeEPSM_NS1_7vsmem_tEENKUlT_SK_SL_SM_E_clIPS5_SF_SG_SG_EESJ_SZ_SK_SL_SM_EUlSZ_E_NS1_11comp_targetILNS1_3genE3ELNS1_11target_archE908ELNS1_3gpuE7ELNS1_3repE0EEENS1_48merge_mergepath_partition_config_static_selectorELNS0_4arch9wavefront6targetE1EEEvSL_,"axG",@progbits,_ZN7rocprim17ROCPRIM_400000_NS6detail17trampoline_kernelINS0_14default_configENS1_38merge_sort_block_merge_config_selectorI14custom_numericNS0_10empty_typeEEEZZNS1_27merge_sort_block_merge_implIS3_N6thrust23THRUST_200600_302600_NS6detail15normal_iteratorINSA_10device_ptrIS5_EEEEPS6_m14custom_greaterIS5_EEE10hipError_tT0_T1_T2_jT3_P12ihipStream_tbPNSt15iterator_traitsISK_E10value_typeEPNSQ_ISL_E10value_typeEPSM_NS1_7vsmem_tEENKUlT_SK_SL_SM_E_clIPS5_SF_SG_SG_EESJ_SZ_SK_SL_SM_EUlSZ_E_NS1_11comp_targetILNS1_3genE3ELNS1_11target_archE908ELNS1_3gpuE7ELNS1_3repE0EEENS1_48merge_mergepath_partition_config_static_selectorELNS0_4arch9wavefront6targetE1EEEvSL_,comdat
.Lfunc_end3683:
	.size	_ZN7rocprim17ROCPRIM_400000_NS6detail17trampoline_kernelINS0_14default_configENS1_38merge_sort_block_merge_config_selectorI14custom_numericNS0_10empty_typeEEEZZNS1_27merge_sort_block_merge_implIS3_N6thrust23THRUST_200600_302600_NS6detail15normal_iteratorINSA_10device_ptrIS5_EEEEPS6_m14custom_greaterIS5_EEE10hipError_tT0_T1_T2_jT3_P12ihipStream_tbPNSt15iterator_traitsISK_E10value_typeEPNSQ_ISL_E10value_typeEPSM_NS1_7vsmem_tEENKUlT_SK_SL_SM_E_clIPS5_SF_SG_SG_EESJ_SZ_SK_SL_SM_EUlSZ_E_NS1_11comp_targetILNS1_3genE3ELNS1_11target_archE908ELNS1_3gpuE7ELNS1_3repE0EEENS1_48merge_mergepath_partition_config_static_selectorELNS0_4arch9wavefront6targetE1EEEvSL_, .Lfunc_end3683-_ZN7rocprim17ROCPRIM_400000_NS6detail17trampoline_kernelINS0_14default_configENS1_38merge_sort_block_merge_config_selectorI14custom_numericNS0_10empty_typeEEEZZNS1_27merge_sort_block_merge_implIS3_N6thrust23THRUST_200600_302600_NS6detail15normal_iteratorINSA_10device_ptrIS5_EEEEPS6_m14custom_greaterIS5_EEE10hipError_tT0_T1_T2_jT3_P12ihipStream_tbPNSt15iterator_traitsISK_E10value_typeEPNSQ_ISL_E10value_typeEPSM_NS1_7vsmem_tEENKUlT_SK_SL_SM_E_clIPS5_SF_SG_SG_EESJ_SZ_SK_SL_SM_EUlSZ_E_NS1_11comp_targetILNS1_3genE3ELNS1_11target_archE908ELNS1_3gpuE7ELNS1_3repE0EEENS1_48merge_mergepath_partition_config_static_selectorELNS0_4arch9wavefront6targetE1EEEvSL_
                                        ; -- End function
	.section	.AMDGPU.csdata,"",@progbits
; Kernel info:
; codeLenInByte = 0
; NumSgprs: 4
; NumVgprs: 0
; NumAgprs: 0
; TotalNumVgprs: 0
; ScratchSize: 0
; MemoryBound: 0
; FloatMode: 240
; IeeeMode: 1
; LDSByteSize: 0 bytes/workgroup (compile time only)
; SGPRBlocks: 0
; VGPRBlocks: 0
; NumSGPRsForWavesPerEU: 4
; NumVGPRsForWavesPerEU: 1
; AccumOffset: 4
; Occupancy: 8
; WaveLimiterHint : 0
; COMPUTE_PGM_RSRC2:SCRATCH_EN: 0
; COMPUTE_PGM_RSRC2:USER_SGPR: 6
; COMPUTE_PGM_RSRC2:TRAP_HANDLER: 0
; COMPUTE_PGM_RSRC2:TGID_X_EN: 1
; COMPUTE_PGM_RSRC2:TGID_Y_EN: 0
; COMPUTE_PGM_RSRC2:TGID_Z_EN: 0
; COMPUTE_PGM_RSRC2:TIDIG_COMP_CNT: 0
; COMPUTE_PGM_RSRC3_GFX90A:ACCUM_OFFSET: 0
; COMPUTE_PGM_RSRC3_GFX90A:TG_SPLIT: 0
	.section	.text._ZN7rocprim17ROCPRIM_400000_NS6detail17trampoline_kernelINS0_14default_configENS1_38merge_sort_block_merge_config_selectorI14custom_numericNS0_10empty_typeEEEZZNS1_27merge_sort_block_merge_implIS3_N6thrust23THRUST_200600_302600_NS6detail15normal_iteratorINSA_10device_ptrIS5_EEEEPS6_m14custom_greaterIS5_EEE10hipError_tT0_T1_T2_jT3_P12ihipStream_tbPNSt15iterator_traitsISK_E10value_typeEPNSQ_ISL_E10value_typeEPSM_NS1_7vsmem_tEENKUlT_SK_SL_SM_E_clIPS5_SF_SG_SG_EESJ_SZ_SK_SL_SM_EUlSZ_E_NS1_11comp_targetILNS1_3genE2ELNS1_11target_archE906ELNS1_3gpuE6ELNS1_3repE0EEENS1_48merge_mergepath_partition_config_static_selectorELNS0_4arch9wavefront6targetE1EEEvSL_,"axG",@progbits,_ZN7rocprim17ROCPRIM_400000_NS6detail17trampoline_kernelINS0_14default_configENS1_38merge_sort_block_merge_config_selectorI14custom_numericNS0_10empty_typeEEEZZNS1_27merge_sort_block_merge_implIS3_N6thrust23THRUST_200600_302600_NS6detail15normal_iteratorINSA_10device_ptrIS5_EEEEPS6_m14custom_greaterIS5_EEE10hipError_tT0_T1_T2_jT3_P12ihipStream_tbPNSt15iterator_traitsISK_E10value_typeEPNSQ_ISL_E10value_typeEPSM_NS1_7vsmem_tEENKUlT_SK_SL_SM_E_clIPS5_SF_SG_SG_EESJ_SZ_SK_SL_SM_EUlSZ_E_NS1_11comp_targetILNS1_3genE2ELNS1_11target_archE906ELNS1_3gpuE6ELNS1_3repE0EEENS1_48merge_mergepath_partition_config_static_selectorELNS0_4arch9wavefront6targetE1EEEvSL_,comdat
	.protected	_ZN7rocprim17ROCPRIM_400000_NS6detail17trampoline_kernelINS0_14default_configENS1_38merge_sort_block_merge_config_selectorI14custom_numericNS0_10empty_typeEEEZZNS1_27merge_sort_block_merge_implIS3_N6thrust23THRUST_200600_302600_NS6detail15normal_iteratorINSA_10device_ptrIS5_EEEEPS6_m14custom_greaterIS5_EEE10hipError_tT0_T1_T2_jT3_P12ihipStream_tbPNSt15iterator_traitsISK_E10value_typeEPNSQ_ISL_E10value_typeEPSM_NS1_7vsmem_tEENKUlT_SK_SL_SM_E_clIPS5_SF_SG_SG_EESJ_SZ_SK_SL_SM_EUlSZ_E_NS1_11comp_targetILNS1_3genE2ELNS1_11target_archE906ELNS1_3gpuE6ELNS1_3repE0EEENS1_48merge_mergepath_partition_config_static_selectorELNS0_4arch9wavefront6targetE1EEEvSL_ ; -- Begin function _ZN7rocprim17ROCPRIM_400000_NS6detail17trampoline_kernelINS0_14default_configENS1_38merge_sort_block_merge_config_selectorI14custom_numericNS0_10empty_typeEEEZZNS1_27merge_sort_block_merge_implIS3_N6thrust23THRUST_200600_302600_NS6detail15normal_iteratorINSA_10device_ptrIS5_EEEEPS6_m14custom_greaterIS5_EEE10hipError_tT0_T1_T2_jT3_P12ihipStream_tbPNSt15iterator_traitsISK_E10value_typeEPNSQ_ISL_E10value_typeEPSM_NS1_7vsmem_tEENKUlT_SK_SL_SM_E_clIPS5_SF_SG_SG_EESJ_SZ_SK_SL_SM_EUlSZ_E_NS1_11comp_targetILNS1_3genE2ELNS1_11target_archE906ELNS1_3gpuE6ELNS1_3repE0EEENS1_48merge_mergepath_partition_config_static_selectorELNS0_4arch9wavefront6targetE1EEEvSL_
	.globl	_ZN7rocprim17ROCPRIM_400000_NS6detail17trampoline_kernelINS0_14default_configENS1_38merge_sort_block_merge_config_selectorI14custom_numericNS0_10empty_typeEEEZZNS1_27merge_sort_block_merge_implIS3_N6thrust23THRUST_200600_302600_NS6detail15normal_iteratorINSA_10device_ptrIS5_EEEEPS6_m14custom_greaterIS5_EEE10hipError_tT0_T1_T2_jT3_P12ihipStream_tbPNSt15iterator_traitsISK_E10value_typeEPNSQ_ISL_E10value_typeEPSM_NS1_7vsmem_tEENKUlT_SK_SL_SM_E_clIPS5_SF_SG_SG_EESJ_SZ_SK_SL_SM_EUlSZ_E_NS1_11comp_targetILNS1_3genE2ELNS1_11target_archE906ELNS1_3gpuE6ELNS1_3repE0EEENS1_48merge_mergepath_partition_config_static_selectorELNS0_4arch9wavefront6targetE1EEEvSL_
	.p2align	8
	.type	_ZN7rocprim17ROCPRIM_400000_NS6detail17trampoline_kernelINS0_14default_configENS1_38merge_sort_block_merge_config_selectorI14custom_numericNS0_10empty_typeEEEZZNS1_27merge_sort_block_merge_implIS3_N6thrust23THRUST_200600_302600_NS6detail15normal_iteratorINSA_10device_ptrIS5_EEEEPS6_m14custom_greaterIS5_EEE10hipError_tT0_T1_T2_jT3_P12ihipStream_tbPNSt15iterator_traitsISK_E10value_typeEPNSQ_ISL_E10value_typeEPSM_NS1_7vsmem_tEENKUlT_SK_SL_SM_E_clIPS5_SF_SG_SG_EESJ_SZ_SK_SL_SM_EUlSZ_E_NS1_11comp_targetILNS1_3genE2ELNS1_11target_archE906ELNS1_3gpuE6ELNS1_3repE0EEENS1_48merge_mergepath_partition_config_static_selectorELNS0_4arch9wavefront6targetE1EEEvSL_,@function
_ZN7rocprim17ROCPRIM_400000_NS6detail17trampoline_kernelINS0_14default_configENS1_38merge_sort_block_merge_config_selectorI14custom_numericNS0_10empty_typeEEEZZNS1_27merge_sort_block_merge_implIS3_N6thrust23THRUST_200600_302600_NS6detail15normal_iteratorINSA_10device_ptrIS5_EEEEPS6_m14custom_greaterIS5_EEE10hipError_tT0_T1_T2_jT3_P12ihipStream_tbPNSt15iterator_traitsISK_E10value_typeEPNSQ_ISL_E10value_typeEPSM_NS1_7vsmem_tEENKUlT_SK_SL_SM_E_clIPS5_SF_SG_SG_EESJ_SZ_SK_SL_SM_EUlSZ_E_NS1_11comp_targetILNS1_3genE2ELNS1_11target_archE906ELNS1_3gpuE6ELNS1_3repE0EEENS1_48merge_mergepath_partition_config_static_selectorELNS0_4arch9wavefront6targetE1EEEvSL_: ; @_ZN7rocprim17ROCPRIM_400000_NS6detail17trampoline_kernelINS0_14default_configENS1_38merge_sort_block_merge_config_selectorI14custom_numericNS0_10empty_typeEEEZZNS1_27merge_sort_block_merge_implIS3_N6thrust23THRUST_200600_302600_NS6detail15normal_iteratorINSA_10device_ptrIS5_EEEEPS6_m14custom_greaterIS5_EEE10hipError_tT0_T1_T2_jT3_P12ihipStream_tbPNSt15iterator_traitsISK_E10value_typeEPNSQ_ISL_E10value_typeEPSM_NS1_7vsmem_tEENKUlT_SK_SL_SM_E_clIPS5_SF_SG_SG_EESJ_SZ_SK_SL_SM_EUlSZ_E_NS1_11comp_targetILNS1_3genE2ELNS1_11target_archE906ELNS1_3gpuE6ELNS1_3repE0EEENS1_48merge_mergepath_partition_config_static_selectorELNS0_4arch9wavefront6targetE1EEEvSL_
; %bb.0:
	.section	.rodata,"a",@progbits
	.p2align	6, 0x0
	.amdhsa_kernel _ZN7rocprim17ROCPRIM_400000_NS6detail17trampoline_kernelINS0_14default_configENS1_38merge_sort_block_merge_config_selectorI14custom_numericNS0_10empty_typeEEEZZNS1_27merge_sort_block_merge_implIS3_N6thrust23THRUST_200600_302600_NS6detail15normal_iteratorINSA_10device_ptrIS5_EEEEPS6_m14custom_greaterIS5_EEE10hipError_tT0_T1_T2_jT3_P12ihipStream_tbPNSt15iterator_traitsISK_E10value_typeEPNSQ_ISL_E10value_typeEPSM_NS1_7vsmem_tEENKUlT_SK_SL_SM_E_clIPS5_SF_SG_SG_EESJ_SZ_SK_SL_SM_EUlSZ_E_NS1_11comp_targetILNS1_3genE2ELNS1_11target_archE906ELNS1_3gpuE6ELNS1_3repE0EEENS1_48merge_mergepath_partition_config_static_selectorELNS0_4arch9wavefront6targetE1EEEvSL_
		.amdhsa_group_segment_fixed_size 0
		.amdhsa_private_segment_fixed_size 0
		.amdhsa_kernarg_size 48
		.amdhsa_user_sgpr_count 6
		.amdhsa_user_sgpr_private_segment_buffer 1
		.amdhsa_user_sgpr_dispatch_ptr 0
		.amdhsa_user_sgpr_queue_ptr 0
		.amdhsa_user_sgpr_kernarg_segment_ptr 1
		.amdhsa_user_sgpr_dispatch_id 0
		.amdhsa_user_sgpr_flat_scratch_init 0
		.amdhsa_user_sgpr_kernarg_preload_length 0
		.amdhsa_user_sgpr_kernarg_preload_offset 0
		.amdhsa_user_sgpr_private_segment_size 0
		.amdhsa_uses_dynamic_stack 0
		.amdhsa_system_sgpr_private_segment_wavefront_offset 0
		.amdhsa_system_sgpr_workgroup_id_x 1
		.amdhsa_system_sgpr_workgroup_id_y 0
		.amdhsa_system_sgpr_workgroup_id_z 0
		.amdhsa_system_sgpr_workgroup_info 0
		.amdhsa_system_vgpr_workitem_id 0
		.amdhsa_next_free_vgpr 1
		.amdhsa_next_free_sgpr 0
		.amdhsa_accum_offset 4
		.amdhsa_reserve_vcc 0
		.amdhsa_reserve_flat_scratch 0
		.amdhsa_float_round_mode_32 0
		.amdhsa_float_round_mode_16_64 0
		.amdhsa_float_denorm_mode_32 3
		.amdhsa_float_denorm_mode_16_64 3
		.amdhsa_dx10_clamp 1
		.amdhsa_ieee_mode 1
		.amdhsa_fp16_overflow 0
		.amdhsa_tg_split 0
		.amdhsa_exception_fp_ieee_invalid_op 0
		.amdhsa_exception_fp_denorm_src 0
		.amdhsa_exception_fp_ieee_div_zero 0
		.amdhsa_exception_fp_ieee_overflow 0
		.amdhsa_exception_fp_ieee_underflow 0
		.amdhsa_exception_fp_ieee_inexact 0
		.amdhsa_exception_int_div_zero 0
	.end_amdhsa_kernel
	.section	.text._ZN7rocprim17ROCPRIM_400000_NS6detail17trampoline_kernelINS0_14default_configENS1_38merge_sort_block_merge_config_selectorI14custom_numericNS0_10empty_typeEEEZZNS1_27merge_sort_block_merge_implIS3_N6thrust23THRUST_200600_302600_NS6detail15normal_iteratorINSA_10device_ptrIS5_EEEEPS6_m14custom_greaterIS5_EEE10hipError_tT0_T1_T2_jT3_P12ihipStream_tbPNSt15iterator_traitsISK_E10value_typeEPNSQ_ISL_E10value_typeEPSM_NS1_7vsmem_tEENKUlT_SK_SL_SM_E_clIPS5_SF_SG_SG_EESJ_SZ_SK_SL_SM_EUlSZ_E_NS1_11comp_targetILNS1_3genE2ELNS1_11target_archE906ELNS1_3gpuE6ELNS1_3repE0EEENS1_48merge_mergepath_partition_config_static_selectorELNS0_4arch9wavefront6targetE1EEEvSL_,"axG",@progbits,_ZN7rocprim17ROCPRIM_400000_NS6detail17trampoline_kernelINS0_14default_configENS1_38merge_sort_block_merge_config_selectorI14custom_numericNS0_10empty_typeEEEZZNS1_27merge_sort_block_merge_implIS3_N6thrust23THRUST_200600_302600_NS6detail15normal_iteratorINSA_10device_ptrIS5_EEEEPS6_m14custom_greaterIS5_EEE10hipError_tT0_T1_T2_jT3_P12ihipStream_tbPNSt15iterator_traitsISK_E10value_typeEPNSQ_ISL_E10value_typeEPSM_NS1_7vsmem_tEENKUlT_SK_SL_SM_E_clIPS5_SF_SG_SG_EESJ_SZ_SK_SL_SM_EUlSZ_E_NS1_11comp_targetILNS1_3genE2ELNS1_11target_archE906ELNS1_3gpuE6ELNS1_3repE0EEENS1_48merge_mergepath_partition_config_static_selectorELNS0_4arch9wavefront6targetE1EEEvSL_,comdat
.Lfunc_end3684:
	.size	_ZN7rocprim17ROCPRIM_400000_NS6detail17trampoline_kernelINS0_14default_configENS1_38merge_sort_block_merge_config_selectorI14custom_numericNS0_10empty_typeEEEZZNS1_27merge_sort_block_merge_implIS3_N6thrust23THRUST_200600_302600_NS6detail15normal_iteratorINSA_10device_ptrIS5_EEEEPS6_m14custom_greaterIS5_EEE10hipError_tT0_T1_T2_jT3_P12ihipStream_tbPNSt15iterator_traitsISK_E10value_typeEPNSQ_ISL_E10value_typeEPSM_NS1_7vsmem_tEENKUlT_SK_SL_SM_E_clIPS5_SF_SG_SG_EESJ_SZ_SK_SL_SM_EUlSZ_E_NS1_11comp_targetILNS1_3genE2ELNS1_11target_archE906ELNS1_3gpuE6ELNS1_3repE0EEENS1_48merge_mergepath_partition_config_static_selectorELNS0_4arch9wavefront6targetE1EEEvSL_, .Lfunc_end3684-_ZN7rocprim17ROCPRIM_400000_NS6detail17trampoline_kernelINS0_14default_configENS1_38merge_sort_block_merge_config_selectorI14custom_numericNS0_10empty_typeEEEZZNS1_27merge_sort_block_merge_implIS3_N6thrust23THRUST_200600_302600_NS6detail15normal_iteratorINSA_10device_ptrIS5_EEEEPS6_m14custom_greaterIS5_EEE10hipError_tT0_T1_T2_jT3_P12ihipStream_tbPNSt15iterator_traitsISK_E10value_typeEPNSQ_ISL_E10value_typeEPSM_NS1_7vsmem_tEENKUlT_SK_SL_SM_E_clIPS5_SF_SG_SG_EESJ_SZ_SK_SL_SM_EUlSZ_E_NS1_11comp_targetILNS1_3genE2ELNS1_11target_archE906ELNS1_3gpuE6ELNS1_3repE0EEENS1_48merge_mergepath_partition_config_static_selectorELNS0_4arch9wavefront6targetE1EEEvSL_
                                        ; -- End function
	.section	.AMDGPU.csdata,"",@progbits
; Kernel info:
; codeLenInByte = 0
; NumSgprs: 4
; NumVgprs: 0
; NumAgprs: 0
; TotalNumVgprs: 0
; ScratchSize: 0
; MemoryBound: 0
; FloatMode: 240
; IeeeMode: 1
; LDSByteSize: 0 bytes/workgroup (compile time only)
; SGPRBlocks: 0
; VGPRBlocks: 0
; NumSGPRsForWavesPerEU: 4
; NumVGPRsForWavesPerEU: 1
; AccumOffset: 4
; Occupancy: 8
; WaveLimiterHint : 0
; COMPUTE_PGM_RSRC2:SCRATCH_EN: 0
; COMPUTE_PGM_RSRC2:USER_SGPR: 6
; COMPUTE_PGM_RSRC2:TRAP_HANDLER: 0
; COMPUTE_PGM_RSRC2:TGID_X_EN: 1
; COMPUTE_PGM_RSRC2:TGID_Y_EN: 0
; COMPUTE_PGM_RSRC2:TGID_Z_EN: 0
; COMPUTE_PGM_RSRC2:TIDIG_COMP_CNT: 0
; COMPUTE_PGM_RSRC3_GFX90A:ACCUM_OFFSET: 0
; COMPUTE_PGM_RSRC3_GFX90A:TG_SPLIT: 0
	.section	.text._ZN7rocprim17ROCPRIM_400000_NS6detail17trampoline_kernelINS0_14default_configENS1_38merge_sort_block_merge_config_selectorI14custom_numericNS0_10empty_typeEEEZZNS1_27merge_sort_block_merge_implIS3_N6thrust23THRUST_200600_302600_NS6detail15normal_iteratorINSA_10device_ptrIS5_EEEEPS6_m14custom_greaterIS5_EEE10hipError_tT0_T1_T2_jT3_P12ihipStream_tbPNSt15iterator_traitsISK_E10value_typeEPNSQ_ISL_E10value_typeEPSM_NS1_7vsmem_tEENKUlT_SK_SL_SM_E_clIPS5_SF_SG_SG_EESJ_SZ_SK_SL_SM_EUlSZ_E_NS1_11comp_targetILNS1_3genE9ELNS1_11target_archE1100ELNS1_3gpuE3ELNS1_3repE0EEENS1_48merge_mergepath_partition_config_static_selectorELNS0_4arch9wavefront6targetE1EEEvSL_,"axG",@progbits,_ZN7rocprim17ROCPRIM_400000_NS6detail17trampoline_kernelINS0_14default_configENS1_38merge_sort_block_merge_config_selectorI14custom_numericNS0_10empty_typeEEEZZNS1_27merge_sort_block_merge_implIS3_N6thrust23THRUST_200600_302600_NS6detail15normal_iteratorINSA_10device_ptrIS5_EEEEPS6_m14custom_greaterIS5_EEE10hipError_tT0_T1_T2_jT3_P12ihipStream_tbPNSt15iterator_traitsISK_E10value_typeEPNSQ_ISL_E10value_typeEPSM_NS1_7vsmem_tEENKUlT_SK_SL_SM_E_clIPS5_SF_SG_SG_EESJ_SZ_SK_SL_SM_EUlSZ_E_NS1_11comp_targetILNS1_3genE9ELNS1_11target_archE1100ELNS1_3gpuE3ELNS1_3repE0EEENS1_48merge_mergepath_partition_config_static_selectorELNS0_4arch9wavefront6targetE1EEEvSL_,comdat
	.protected	_ZN7rocprim17ROCPRIM_400000_NS6detail17trampoline_kernelINS0_14default_configENS1_38merge_sort_block_merge_config_selectorI14custom_numericNS0_10empty_typeEEEZZNS1_27merge_sort_block_merge_implIS3_N6thrust23THRUST_200600_302600_NS6detail15normal_iteratorINSA_10device_ptrIS5_EEEEPS6_m14custom_greaterIS5_EEE10hipError_tT0_T1_T2_jT3_P12ihipStream_tbPNSt15iterator_traitsISK_E10value_typeEPNSQ_ISL_E10value_typeEPSM_NS1_7vsmem_tEENKUlT_SK_SL_SM_E_clIPS5_SF_SG_SG_EESJ_SZ_SK_SL_SM_EUlSZ_E_NS1_11comp_targetILNS1_3genE9ELNS1_11target_archE1100ELNS1_3gpuE3ELNS1_3repE0EEENS1_48merge_mergepath_partition_config_static_selectorELNS0_4arch9wavefront6targetE1EEEvSL_ ; -- Begin function _ZN7rocprim17ROCPRIM_400000_NS6detail17trampoline_kernelINS0_14default_configENS1_38merge_sort_block_merge_config_selectorI14custom_numericNS0_10empty_typeEEEZZNS1_27merge_sort_block_merge_implIS3_N6thrust23THRUST_200600_302600_NS6detail15normal_iteratorINSA_10device_ptrIS5_EEEEPS6_m14custom_greaterIS5_EEE10hipError_tT0_T1_T2_jT3_P12ihipStream_tbPNSt15iterator_traitsISK_E10value_typeEPNSQ_ISL_E10value_typeEPSM_NS1_7vsmem_tEENKUlT_SK_SL_SM_E_clIPS5_SF_SG_SG_EESJ_SZ_SK_SL_SM_EUlSZ_E_NS1_11comp_targetILNS1_3genE9ELNS1_11target_archE1100ELNS1_3gpuE3ELNS1_3repE0EEENS1_48merge_mergepath_partition_config_static_selectorELNS0_4arch9wavefront6targetE1EEEvSL_
	.globl	_ZN7rocprim17ROCPRIM_400000_NS6detail17trampoline_kernelINS0_14default_configENS1_38merge_sort_block_merge_config_selectorI14custom_numericNS0_10empty_typeEEEZZNS1_27merge_sort_block_merge_implIS3_N6thrust23THRUST_200600_302600_NS6detail15normal_iteratorINSA_10device_ptrIS5_EEEEPS6_m14custom_greaterIS5_EEE10hipError_tT0_T1_T2_jT3_P12ihipStream_tbPNSt15iterator_traitsISK_E10value_typeEPNSQ_ISL_E10value_typeEPSM_NS1_7vsmem_tEENKUlT_SK_SL_SM_E_clIPS5_SF_SG_SG_EESJ_SZ_SK_SL_SM_EUlSZ_E_NS1_11comp_targetILNS1_3genE9ELNS1_11target_archE1100ELNS1_3gpuE3ELNS1_3repE0EEENS1_48merge_mergepath_partition_config_static_selectorELNS0_4arch9wavefront6targetE1EEEvSL_
	.p2align	8
	.type	_ZN7rocprim17ROCPRIM_400000_NS6detail17trampoline_kernelINS0_14default_configENS1_38merge_sort_block_merge_config_selectorI14custom_numericNS0_10empty_typeEEEZZNS1_27merge_sort_block_merge_implIS3_N6thrust23THRUST_200600_302600_NS6detail15normal_iteratorINSA_10device_ptrIS5_EEEEPS6_m14custom_greaterIS5_EEE10hipError_tT0_T1_T2_jT3_P12ihipStream_tbPNSt15iterator_traitsISK_E10value_typeEPNSQ_ISL_E10value_typeEPSM_NS1_7vsmem_tEENKUlT_SK_SL_SM_E_clIPS5_SF_SG_SG_EESJ_SZ_SK_SL_SM_EUlSZ_E_NS1_11comp_targetILNS1_3genE9ELNS1_11target_archE1100ELNS1_3gpuE3ELNS1_3repE0EEENS1_48merge_mergepath_partition_config_static_selectorELNS0_4arch9wavefront6targetE1EEEvSL_,@function
_ZN7rocprim17ROCPRIM_400000_NS6detail17trampoline_kernelINS0_14default_configENS1_38merge_sort_block_merge_config_selectorI14custom_numericNS0_10empty_typeEEEZZNS1_27merge_sort_block_merge_implIS3_N6thrust23THRUST_200600_302600_NS6detail15normal_iteratorINSA_10device_ptrIS5_EEEEPS6_m14custom_greaterIS5_EEE10hipError_tT0_T1_T2_jT3_P12ihipStream_tbPNSt15iterator_traitsISK_E10value_typeEPNSQ_ISL_E10value_typeEPSM_NS1_7vsmem_tEENKUlT_SK_SL_SM_E_clIPS5_SF_SG_SG_EESJ_SZ_SK_SL_SM_EUlSZ_E_NS1_11comp_targetILNS1_3genE9ELNS1_11target_archE1100ELNS1_3gpuE3ELNS1_3repE0EEENS1_48merge_mergepath_partition_config_static_selectorELNS0_4arch9wavefront6targetE1EEEvSL_: ; @_ZN7rocprim17ROCPRIM_400000_NS6detail17trampoline_kernelINS0_14default_configENS1_38merge_sort_block_merge_config_selectorI14custom_numericNS0_10empty_typeEEEZZNS1_27merge_sort_block_merge_implIS3_N6thrust23THRUST_200600_302600_NS6detail15normal_iteratorINSA_10device_ptrIS5_EEEEPS6_m14custom_greaterIS5_EEE10hipError_tT0_T1_T2_jT3_P12ihipStream_tbPNSt15iterator_traitsISK_E10value_typeEPNSQ_ISL_E10value_typeEPSM_NS1_7vsmem_tEENKUlT_SK_SL_SM_E_clIPS5_SF_SG_SG_EESJ_SZ_SK_SL_SM_EUlSZ_E_NS1_11comp_targetILNS1_3genE9ELNS1_11target_archE1100ELNS1_3gpuE3ELNS1_3repE0EEENS1_48merge_mergepath_partition_config_static_selectorELNS0_4arch9wavefront6targetE1EEEvSL_
; %bb.0:
	.section	.rodata,"a",@progbits
	.p2align	6, 0x0
	.amdhsa_kernel _ZN7rocprim17ROCPRIM_400000_NS6detail17trampoline_kernelINS0_14default_configENS1_38merge_sort_block_merge_config_selectorI14custom_numericNS0_10empty_typeEEEZZNS1_27merge_sort_block_merge_implIS3_N6thrust23THRUST_200600_302600_NS6detail15normal_iteratorINSA_10device_ptrIS5_EEEEPS6_m14custom_greaterIS5_EEE10hipError_tT0_T1_T2_jT3_P12ihipStream_tbPNSt15iterator_traitsISK_E10value_typeEPNSQ_ISL_E10value_typeEPSM_NS1_7vsmem_tEENKUlT_SK_SL_SM_E_clIPS5_SF_SG_SG_EESJ_SZ_SK_SL_SM_EUlSZ_E_NS1_11comp_targetILNS1_3genE9ELNS1_11target_archE1100ELNS1_3gpuE3ELNS1_3repE0EEENS1_48merge_mergepath_partition_config_static_selectorELNS0_4arch9wavefront6targetE1EEEvSL_
		.amdhsa_group_segment_fixed_size 0
		.amdhsa_private_segment_fixed_size 0
		.amdhsa_kernarg_size 48
		.amdhsa_user_sgpr_count 6
		.amdhsa_user_sgpr_private_segment_buffer 1
		.amdhsa_user_sgpr_dispatch_ptr 0
		.amdhsa_user_sgpr_queue_ptr 0
		.amdhsa_user_sgpr_kernarg_segment_ptr 1
		.amdhsa_user_sgpr_dispatch_id 0
		.amdhsa_user_sgpr_flat_scratch_init 0
		.amdhsa_user_sgpr_kernarg_preload_length 0
		.amdhsa_user_sgpr_kernarg_preload_offset 0
		.amdhsa_user_sgpr_private_segment_size 0
		.amdhsa_uses_dynamic_stack 0
		.amdhsa_system_sgpr_private_segment_wavefront_offset 0
		.amdhsa_system_sgpr_workgroup_id_x 1
		.amdhsa_system_sgpr_workgroup_id_y 0
		.amdhsa_system_sgpr_workgroup_id_z 0
		.amdhsa_system_sgpr_workgroup_info 0
		.amdhsa_system_vgpr_workitem_id 0
		.amdhsa_next_free_vgpr 1
		.amdhsa_next_free_sgpr 0
		.amdhsa_accum_offset 4
		.amdhsa_reserve_vcc 0
		.amdhsa_reserve_flat_scratch 0
		.amdhsa_float_round_mode_32 0
		.amdhsa_float_round_mode_16_64 0
		.amdhsa_float_denorm_mode_32 3
		.amdhsa_float_denorm_mode_16_64 3
		.amdhsa_dx10_clamp 1
		.amdhsa_ieee_mode 1
		.amdhsa_fp16_overflow 0
		.amdhsa_tg_split 0
		.amdhsa_exception_fp_ieee_invalid_op 0
		.amdhsa_exception_fp_denorm_src 0
		.amdhsa_exception_fp_ieee_div_zero 0
		.amdhsa_exception_fp_ieee_overflow 0
		.amdhsa_exception_fp_ieee_underflow 0
		.amdhsa_exception_fp_ieee_inexact 0
		.amdhsa_exception_int_div_zero 0
	.end_amdhsa_kernel
	.section	.text._ZN7rocprim17ROCPRIM_400000_NS6detail17trampoline_kernelINS0_14default_configENS1_38merge_sort_block_merge_config_selectorI14custom_numericNS0_10empty_typeEEEZZNS1_27merge_sort_block_merge_implIS3_N6thrust23THRUST_200600_302600_NS6detail15normal_iteratorINSA_10device_ptrIS5_EEEEPS6_m14custom_greaterIS5_EEE10hipError_tT0_T1_T2_jT3_P12ihipStream_tbPNSt15iterator_traitsISK_E10value_typeEPNSQ_ISL_E10value_typeEPSM_NS1_7vsmem_tEENKUlT_SK_SL_SM_E_clIPS5_SF_SG_SG_EESJ_SZ_SK_SL_SM_EUlSZ_E_NS1_11comp_targetILNS1_3genE9ELNS1_11target_archE1100ELNS1_3gpuE3ELNS1_3repE0EEENS1_48merge_mergepath_partition_config_static_selectorELNS0_4arch9wavefront6targetE1EEEvSL_,"axG",@progbits,_ZN7rocprim17ROCPRIM_400000_NS6detail17trampoline_kernelINS0_14default_configENS1_38merge_sort_block_merge_config_selectorI14custom_numericNS0_10empty_typeEEEZZNS1_27merge_sort_block_merge_implIS3_N6thrust23THRUST_200600_302600_NS6detail15normal_iteratorINSA_10device_ptrIS5_EEEEPS6_m14custom_greaterIS5_EEE10hipError_tT0_T1_T2_jT3_P12ihipStream_tbPNSt15iterator_traitsISK_E10value_typeEPNSQ_ISL_E10value_typeEPSM_NS1_7vsmem_tEENKUlT_SK_SL_SM_E_clIPS5_SF_SG_SG_EESJ_SZ_SK_SL_SM_EUlSZ_E_NS1_11comp_targetILNS1_3genE9ELNS1_11target_archE1100ELNS1_3gpuE3ELNS1_3repE0EEENS1_48merge_mergepath_partition_config_static_selectorELNS0_4arch9wavefront6targetE1EEEvSL_,comdat
.Lfunc_end3685:
	.size	_ZN7rocprim17ROCPRIM_400000_NS6detail17trampoline_kernelINS0_14default_configENS1_38merge_sort_block_merge_config_selectorI14custom_numericNS0_10empty_typeEEEZZNS1_27merge_sort_block_merge_implIS3_N6thrust23THRUST_200600_302600_NS6detail15normal_iteratorINSA_10device_ptrIS5_EEEEPS6_m14custom_greaterIS5_EEE10hipError_tT0_T1_T2_jT3_P12ihipStream_tbPNSt15iterator_traitsISK_E10value_typeEPNSQ_ISL_E10value_typeEPSM_NS1_7vsmem_tEENKUlT_SK_SL_SM_E_clIPS5_SF_SG_SG_EESJ_SZ_SK_SL_SM_EUlSZ_E_NS1_11comp_targetILNS1_3genE9ELNS1_11target_archE1100ELNS1_3gpuE3ELNS1_3repE0EEENS1_48merge_mergepath_partition_config_static_selectorELNS0_4arch9wavefront6targetE1EEEvSL_, .Lfunc_end3685-_ZN7rocprim17ROCPRIM_400000_NS6detail17trampoline_kernelINS0_14default_configENS1_38merge_sort_block_merge_config_selectorI14custom_numericNS0_10empty_typeEEEZZNS1_27merge_sort_block_merge_implIS3_N6thrust23THRUST_200600_302600_NS6detail15normal_iteratorINSA_10device_ptrIS5_EEEEPS6_m14custom_greaterIS5_EEE10hipError_tT0_T1_T2_jT3_P12ihipStream_tbPNSt15iterator_traitsISK_E10value_typeEPNSQ_ISL_E10value_typeEPSM_NS1_7vsmem_tEENKUlT_SK_SL_SM_E_clIPS5_SF_SG_SG_EESJ_SZ_SK_SL_SM_EUlSZ_E_NS1_11comp_targetILNS1_3genE9ELNS1_11target_archE1100ELNS1_3gpuE3ELNS1_3repE0EEENS1_48merge_mergepath_partition_config_static_selectorELNS0_4arch9wavefront6targetE1EEEvSL_
                                        ; -- End function
	.section	.AMDGPU.csdata,"",@progbits
; Kernel info:
; codeLenInByte = 0
; NumSgprs: 4
; NumVgprs: 0
; NumAgprs: 0
; TotalNumVgprs: 0
; ScratchSize: 0
; MemoryBound: 0
; FloatMode: 240
; IeeeMode: 1
; LDSByteSize: 0 bytes/workgroup (compile time only)
; SGPRBlocks: 0
; VGPRBlocks: 0
; NumSGPRsForWavesPerEU: 4
; NumVGPRsForWavesPerEU: 1
; AccumOffset: 4
; Occupancy: 8
; WaveLimiterHint : 0
; COMPUTE_PGM_RSRC2:SCRATCH_EN: 0
; COMPUTE_PGM_RSRC2:USER_SGPR: 6
; COMPUTE_PGM_RSRC2:TRAP_HANDLER: 0
; COMPUTE_PGM_RSRC2:TGID_X_EN: 1
; COMPUTE_PGM_RSRC2:TGID_Y_EN: 0
; COMPUTE_PGM_RSRC2:TGID_Z_EN: 0
; COMPUTE_PGM_RSRC2:TIDIG_COMP_CNT: 0
; COMPUTE_PGM_RSRC3_GFX90A:ACCUM_OFFSET: 0
; COMPUTE_PGM_RSRC3_GFX90A:TG_SPLIT: 0
	.section	.text._ZN7rocprim17ROCPRIM_400000_NS6detail17trampoline_kernelINS0_14default_configENS1_38merge_sort_block_merge_config_selectorI14custom_numericNS0_10empty_typeEEEZZNS1_27merge_sort_block_merge_implIS3_N6thrust23THRUST_200600_302600_NS6detail15normal_iteratorINSA_10device_ptrIS5_EEEEPS6_m14custom_greaterIS5_EEE10hipError_tT0_T1_T2_jT3_P12ihipStream_tbPNSt15iterator_traitsISK_E10value_typeEPNSQ_ISL_E10value_typeEPSM_NS1_7vsmem_tEENKUlT_SK_SL_SM_E_clIPS5_SF_SG_SG_EESJ_SZ_SK_SL_SM_EUlSZ_E_NS1_11comp_targetILNS1_3genE8ELNS1_11target_archE1030ELNS1_3gpuE2ELNS1_3repE0EEENS1_48merge_mergepath_partition_config_static_selectorELNS0_4arch9wavefront6targetE1EEEvSL_,"axG",@progbits,_ZN7rocprim17ROCPRIM_400000_NS6detail17trampoline_kernelINS0_14default_configENS1_38merge_sort_block_merge_config_selectorI14custom_numericNS0_10empty_typeEEEZZNS1_27merge_sort_block_merge_implIS3_N6thrust23THRUST_200600_302600_NS6detail15normal_iteratorINSA_10device_ptrIS5_EEEEPS6_m14custom_greaterIS5_EEE10hipError_tT0_T1_T2_jT3_P12ihipStream_tbPNSt15iterator_traitsISK_E10value_typeEPNSQ_ISL_E10value_typeEPSM_NS1_7vsmem_tEENKUlT_SK_SL_SM_E_clIPS5_SF_SG_SG_EESJ_SZ_SK_SL_SM_EUlSZ_E_NS1_11comp_targetILNS1_3genE8ELNS1_11target_archE1030ELNS1_3gpuE2ELNS1_3repE0EEENS1_48merge_mergepath_partition_config_static_selectorELNS0_4arch9wavefront6targetE1EEEvSL_,comdat
	.protected	_ZN7rocprim17ROCPRIM_400000_NS6detail17trampoline_kernelINS0_14default_configENS1_38merge_sort_block_merge_config_selectorI14custom_numericNS0_10empty_typeEEEZZNS1_27merge_sort_block_merge_implIS3_N6thrust23THRUST_200600_302600_NS6detail15normal_iteratorINSA_10device_ptrIS5_EEEEPS6_m14custom_greaterIS5_EEE10hipError_tT0_T1_T2_jT3_P12ihipStream_tbPNSt15iterator_traitsISK_E10value_typeEPNSQ_ISL_E10value_typeEPSM_NS1_7vsmem_tEENKUlT_SK_SL_SM_E_clIPS5_SF_SG_SG_EESJ_SZ_SK_SL_SM_EUlSZ_E_NS1_11comp_targetILNS1_3genE8ELNS1_11target_archE1030ELNS1_3gpuE2ELNS1_3repE0EEENS1_48merge_mergepath_partition_config_static_selectorELNS0_4arch9wavefront6targetE1EEEvSL_ ; -- Begin function _ZN7rocprim17ROCPRIM_400000_NS6detail17trampoline_kernelINS0_14default_configENS1_38merge_sort_block_merge_config_selectorI14custom_numericNS0_10empty_typeEEEZZNS1_27merge_sort_block_merge_implIS3_N6thrust23THRUST_200600_302600_NS6detail15normal_iteratorINSA_10device_ptrIS5_EEEEPS6_m14custom_greaterIS5_EEE10hipError_tT0_T1_T2_jT3_P12ihipStream_tbPNSt15iterator_traitsISK_E10value_typeEPNSQ_ISL_E10value_typeEPSM_NS1_7vsmem_tEENKUlT_SK_SL_SM_E_clIPS5_SF_SG_SG_EESJ_SZ_SK_SL_SM_EUlSZ_E_NS1_11comp_targetILNS1_3genE8ELNS1_11target_archE1030ELNS1_3gpuE2ELNS1_3repE0EEENS1_48merge_mergepath_partition_config_static_selectorELNS0_4arch9wavefront6targetE1EEEvSL_
	.globl	_ZN7rocprim17ROCPRIM_400000_NS6detail17trampoline_kernelINS0_14default_configENS1_38merge_sort_block_merge_config_selectorI14custom_numericNS0_10empty_typeEEEZZNS1_27merge_sort_block_merge_implIS3_N6thrust23THRUST_200600_302600_NS6detail15normal_iteratorINSA_10device_ptrIS5_EEEEPS6_m14custom_greaterIS5_EEE10hipError_tT0_T1_T2_jT3_P12ihipStream_tbPNSt15iterator_traitsISK_E10value_typeEPNSQ_ISL_E10value_typeEPSM_NS1_7vsmem_tEENKUlT_SK_SL_SM_E_clIPS5_SF_SG_SG_EESJ_SZ_SK_SL_SM_EUlSZ_E_NS1_11comp_targetILNS1_3genE8ELNS1_11target_archE1030ELNS1_3gpuE2ELNS1_3repE0EEENS1_48merge_mergepath_partition_config_static_selectorELNS0_4arch9wavefront6targetE1EEEvSL_
	.p2align	8
	.type	_ZN7rocprim17ROCPRIM_400000_NS6detail17trampoline_kernelINS0_14default_configENS1_38merge_sort_block_merge_config_selectorI14custom_numericNS0_10empty_typeEEEZZNS1_27merge_sort_block_merge_implIS3_N6thrust23THRUST_200600_302600_NS6detail15normal_iteratorINSA_10device_ptrIS5_EEEEPS6_m14custom_greaterIS5_EEE10hipError_tT0_T1_T2_jT3_P12ihipStream_tbPNSt15iterator_traitsISK_E10value_typeEPNSQ_ISL_E10value_typeEPSM_NS1_7vsmem_tEENKUlT_SK_SL_SM_E_clIPS5_SF_SG_SG_EESJ_SZ_SK_SL_SM_EUlSZ_E_NS1_11comp_targetILNS1_3genE8ELNS1_11target_archE1030ELNS1_3gpuE2ELNS1_3repE0EEENS1_48merge_mergepath_partition_config_static_selectorELNS0_4arch9wavefront6targetE1EEEvSL_,@function
_ZN7rocprim17ROCPRIM_400000_NS6detail17trampoline_kernelINS0_14default_configENS1_38merge_sort_block_merge_config_selectorI14custom_numericNS0_10empty_typeEEEZZNS1_27merge_sort_block_merge_implIS3_N6thrust23THRUST_200600_302600_NS6detail15normal_iteratorINSA_10device_ptrIS5_EEEEPS6_m14custom_greaterIS5_EEE10hipError_tT0_T1_T2_jT3_P12ihipStream_tbPNSt15iterator_traitsISK_E10value_typeEPNSQ_ISL_E10value_typeEPSM_NS1_7vsmem_tEENKUlT_SK_SL_SM_E_clIPS5_SF_SG_SG_EESJ_SZ_SK_SL_SM_EUlSZ_E_NS1_11comp_targetILNS1_3genE8ELNS1_11target_archE1030ELNS1_3gpuE2ELNS1_3repE0EEENS1_48merge_mergepath_partition_config_static_selectorELNS0_4arch9wavefront6targetE1EEEvSL_: ; @_ZN7rocprim17ROCPRIM_400000_NS6detail17trampoline_kernelINS0_14default_configENS1_38merge_sort_block_merge_config_selectorI14custom_numericNS0_10empty_typeEEEZZNS1_27merge_sort_block_merge_implIS3_N6thrust23THRUST_200600_302600_NS6detail15normal_iteratorINSA_10device_ptrIS5_EEEEPS6_m14custom_greaterIS5_EEE10hipError_tT0_T1_T2_jT3_P12ihipStream_tbPNSt15iterator_traitsISK_E10value_typeEPNSQ_ISL_E10value_typeEPSM_NS1_7vsmem_tEENKUlT_SK_SL_SM_E_clIPS5_SF_SG_SG_EESJ_SZ_SK_SL_SM_EUlSZ_E_NS1_11comp_targetILNS1_3genE8ELNS1_11target_archE1030ELNS1_3gpuE2ELNS1_3repE0EEENS1_48merge_mergepath_partition_config_static_selectorELNS0_4arch9wavefront6targetE1EEEvSL_
; %bb.0:
	.section	.rodata,"a",@progbits
	.p2align	6, 0x0
	.amdhsa_kernel _ZN7rocprim17ROCPRIM_400000_NS6detail17trampoline_kernelINS0_14default_configENS1_38merge_sort_block_merge_config_selectorI14custom_numericNS0_10empty_typeEEEZZNS1_27merge_sort_block_merge_implIS3_N6thrust23THRUST_200600_302600_NS6detail15normal_iteratorINSA_10device_ptrIS5_EEEEPS6_m14custom_greaterIS5_EEE10hipError_tT0_T1_T2_jT3_P12ihipStream_tbPNSt15iterator_traitsISK_E10value_typeEPNSQ_ISL_E10value_typeEPSM_NS1_7vsmem_tEENKUlT_SK_SL_SM_E_clIPS5_SF_SG_SG_EESJ_SZ_SK_SL_SM_EUlSZ_E_NS1_11comp_targetILNS1_3genE8ELNS1_11target_archE1030ELNS1_3gpuE2ELNS1_3repE0EEENS1_48merge_mergepath_partition_config_static_selectorELNS0_4arch9wavefront6targetE1EEEvSL_
		.amdhsa_group_segment_fixed_size 0
		.amdhsa_private_segment_fixed_size 0
		.amdhsa_kernarg_size 48
		.amdhsa_user_sgpr_count 6
		.amdhsa_user_sgpr_private_segment_buffer 1
		.amdhsa_user_sgpr_dispatch_ptr 0
		.amdhsa_user_sgpr_queue_ptr 0
		.amdhsa_user_sgpr_kernarg_segment_ptr 1
		.amdhsa_user_sgpr_dispatch_id 0
		.amdhsa_user_sgpr_flat_scratch_init 0
		.amdhsa_user_sgpr_kernarg_preload_length 0
		.amdhsa_user_sgpr_kernarg_preload_offset 0
		.amdhsa_user_sgpr_private_segment_size 0
		.amdhsa_uses_dynamic_stack 0
		.amdhsa_system_sgpr_private_segment_wavefront_offset 0
		.amdhsa_system_sgpr_workgroup_id_x 1
		.amdhsa_system_sgpr_workgroup_id_y 0
		.amdhsa_system_sgpr_workgroup_id_z 0
		.amdhsa_system_sgpr_workgroup_info 0
		.amdhsa_system_vgpr_workitem_id 0
		.amdhsa_next_free_vgpr 1
		.amdhsa_next_free_sgpr 0
		.amdhsa_accum_offset 4
		.amdhsa_reserve_vcc 0
		.amdhsa_reserve_flat_scratch 0
		.amdhsa_float_round_mode_32 0
		.amdhsa_float_round_mode_16_64 0
		.amdhsa_float_denorm_mode_32 3
		.amdhsa_float_denorm_mode_16_64 3
		.amdhsa_dx10_clamp 1
		.amdhsa_ieee_mode 1
		.amdhsa_fp16_overflow 0
		.amdhsa_tg_split 0
		.amdhsa_exception_fp_ieee_invalid_op 0
		.amdhsa_exception_fp_denorm_src 0
		.amdhsa_exception_fp_ieee_div_zero 0
		.amdhsa_exception_fp_ieee_overflow 0
		.amdhsa_exception_fp_ieee_underflow 0
		.amdhsa_exception_fp_ieee_inexact 0
		.amdhsa_exception_int_div_zero 0
	.end_amdhsa_kernel
	.section	.text._ZN7rocprim17ROCPRIM_400000_NS6detail17trampoline_kernelINS0_14default_configENS1_38merge_sort_block_merge_config_selectorI14custom_numericNS0_10empty_typeEEEZZNS1_27merge_sort_block_merge_implIS3_N6thrust23THRUST_200600_302600_NS6detail15normal_iteratorINSA_10device_ptrIS5_EEEEPS6_m14custom_greaterIS5_EEE10hipError_tT0_T1_T2_jT3_P12ihipStream_tbPNSt15iterator_traitsISK_E10value_typeEPNSQ_ISL_E10value_typeEPSM_NS1_7vsmem_tEENKUlT_SK_SL_SM_E_clIPS5_SF_SG_SG_EESJ_SZ_SK_SL_SM_EUlSZ_E_NS1_11comp_targetILNS1_3genE8ELNS1_11target_archE1030ELNS1_3gpuE2ELNS1_3repE0EEENS1_48merge_mergepath_partition_config_static_selectorELNS0_4arch9wavefront6targetE1EEEvSL_,"axG",@progbits,_ZN7rocprim17ROCPRIM_400000_NS6detail17trampoline_kernelINS0_14default_configENS1_38merge_sort_block_merge_config_selectorI14custom_numericNS0_10empty_typeEEEZZNS1_27merge_sort_block_merge_implIS3_N6thrust23THRUST_200600_302600_NS6detail15normal_iteratorINSA_10device_ptrIS5_EEEEPS6_m14custom_greaterIS5_EEE10hipError_tT0_T1_T2_jT3_P12ihipStream_tbPNSt15iterator_traitsISK_E10value_typeEPNSQ_ISL_E10value_typeEPSM_NS1_7vsmem_tEENKUlT_SK_SL_SM_E_clIPS5_SF_SG_SG_EESJ_SZ_SK_SL_SM_EUlSZ_E_NS1_11comp_targetILNS1_3genE8ELNS1_11target_archE1030ELNS1_3gpuE2ELNS1_3repE0EEENS1_48merge_mergepath_partition_config_static_selectorELNS0_4arch9wavefront6targetE1EEEvSL_,comdat
.Lfunc_end3686:
	.size	_ZN7rocprim17ROCPRIM_400000_NS6detail17trampoline_kernelINS0_14default_configENS1_38merge_sort_block_merge_config_selectorI14custom_numericNS0_10empty_typeEEEZZNS1_27merge_sort_block_merge_implIS3_N6thrust23THRUST_200600_302600_NS6detail15normal_iteratorINSA_10device_ptrIS5_EEEEPS6_m14custom_greaterIS5_EEE10hipError_tT0_T1_T2_jT3_P12ihipStream_tbPNSt15iterator_traitsISK_E10value_typeEPNSQ_ISL_E10value_typeEPSM_NS1_7vsmem_tEENKUlT_SK_SL_SM_E_clIPS5_SF_SG_SG_EESJ_SZ_SK_SL_SM_EUlSZ_E_NS1_11comp_targetILNS1_3genE8ELNS1_11target_archE1030ELNS1_3gpuE2ELNS1_3repE0EEENS1_48merge_mergepath_partition_config_static_selectorELNS0_4arch9wavefront6targetE1EEEvSL_, .Lfunc_end3686-_ZN7rocprim17ROCPRIM_400000_NS6detail17trampoline_kernelINS0_14default_configENS1_38merge_sort_block_merge_config_selectorI14custom_numericNS0_10empty_typeEEEZZNS1_27merge_sort_block_merge_implIS3_N6thrust23THRUST_200600_302600_NS6detail15normal_iteratorINSA_10device_ptrIS5_EEEEPS6_m14custom_greaterIS5_EEE10hipError_tT0_T1_T2_jT3_P12ihipStream_tbPNSt15iterator_traitsISK_E10value_typeEPNSQ_ISL_E10value_typeEPSM_NS1_7vsmem_tEENKUlT_SK_SL_SM_E_clIPS5_SF_SG_SG_EESJ_SZ_SK_SL_SM_EUlSZ_E_NS1_11comp_targetILNS1_3genE8ELNS1_11target_archE1030ELNS1_3gpuE2ELNS1_3repE0EEENS1_48merge_mergepath_partition_config_static_selectorELNS0_4arch9wavefront6targetE1EEEvSL_
                                        ; -- End function
	.section	.AMDGPU.csdata,"",@progbits
; Kernel info:
; codeLenInByte = 0
; NumSgprs: 4
; NumVgprs: 0
; NumAgprs: 0
; TotalNumVgprs: 0
; ScratchSize: 0
; MemoryBound: 0
; FloatMode: 240
; IeeeMode: 1
; LDSByteSize: 0 bytes/workgroup (compile time only)
; SGPRBlocks: 0
; VGPRBlocks: 0
; NumSGPRsForWavesPerEU: 4
; NumVGPRsForWavesPerEU: 1
; AccumOffset: 4
; Occupancy: 8
; WaveLimiterHint : 0
; COMPUTE_PGM_RSRC2:SCRATCH_EN: 0
; COMPUTE_PGM_RSRC2:USER_SGPR: 6
; COMPUTE_PGM_RSRC2:TRAP_HANDLER: 0
; COMPUTE_PGM_RSRC2:TGID_X_EN: 1
; COMPUTE_PGM_RSRC2:TGID_Y_EN: 0
; COMPUTE_PGM_RSRC2:TGID_Z_EN: 0
; COMPUTE_PGM_RSRC2:TIDIG_COMP_CNT: 0
; COMPUTE_PGM_RSRC3_GFX90A:ACCUM_OFFSET: 0
; COMPUTE_PGM_RSRC3_GFX90A:TG_SPLIT: 0
	.section	.text._ZN7rocprim17ROCPRIM_400000_NS6detail17trampoline_kernelINS0_14default_configENS1_38merge_sort_block_merge_config_selectorI14custom_numericNS0_10empty_typeEEEZZNS1_27merge_sort_block_merge_implIS3_N6thrust23THRUST_200600_302600_NS6detail15normal_iteratorINSA_10device_ptrIS5_EEEEPS6_m14custom_greaterIS5_EEE10hipError_tT0_T1_T2_jT3_P12ihipStream_tbPNSt15iterator_traitsISK_E10value_typeEPNSQ_ISL_E10value_typeEPSM_NS1_7vsmem_tEENKUlT_SK_SL_SM_E_clIPS5_SF_SG_SG_EESJ_SZ_SK_SL_SM_EUlSZ_E0_NS1_11comp_targetILNS1_3genE0ELNS1_11target_archE4294967295ELNS1_3gpuE0ELNS1_3repE0EEENS1_38merge_mergepath_config_static_selectorELNS0_4arch9wavefront6targetE1EEEvSL_,"axG",@progbits,_ZN7rocprim17ROCPRIM_400000_NS6detail17trampoline_kernelINS0_14default_configENS1_38merge_sort_block_merge_config_selectorI14custom_numericNS0_10empty_typeEEEZZNS1_27merge_sort_block_merge_implIS3_N6thrust23THRUST_200600_302600_NS6detail15normal_iteratorINSA_10device_ptrIS5_EEEEPS6_m14custom_greaterIS5_EEE10hipError_tT0_T1_T2_jT3_P12ihipStream_tbPNSt15iterator_traitsISK_E10value_typeEPNSQ_ISL_E10value_typeEPSM_NS1_7vsmem_tEENKUlT_SK_SL_SM_E_clIPS5_SF_SG_SG_EESJ_SZ_SK_SL_SM_EUlSZ_E0_NS1_11comp_targetILNS1_3genE0ELNS1_11target_archE4294967295ELNS1_3gpuE0ELNS1_3repE0EEENS1_38merge_mergepath_config_static_selectorELNS0_4arch9wavefront6targetE1EEEvSL_,comdat
	.protected	_ZN7rocprim17ROCPRIM_400000_NS6detail17trampoline_kernelINS0_14default_configENS1_38merge_sort_block_merge_config_selectorI14custom_numericNS0_10empty_typeEEEZZNS1_27merge_sort_block_merge_implIS3_N6thrust23THRUST_200600_302600_NS6detail15normal_iteratorINSA_10device_ptrIS5_EEEEPS6_m14custom_greaterIS5_EEE10hipError_tT0_T1_T2_jT3_P12ihipStream_tbPNSt15iterator_traitsISK_E10value_typeEPNSQ_ISL_E10value_typeEPSM_NS1_7vsmem_tEENKUlT_SK_SL_SM_E_clIPS5_SF_SG_SG_EESJ_SZ_SK_SL_SM_EUlSZ_E0_NS1_11comp_targetILNS1_3genE0ELNS1_11target_archE4294967295ELNS1_3gpuE0ELNS1_3repE0EEENS1_38merge_mergepath_config_static_selectorELNS0_4arch9wavefront6targetE1EEEvSL_ ; -- Begin function _ZN7rocprim17ROCPRIM_400000_NS6detail17trampoline_kernelINS0_14default_configENS1_38merge_sort_block_merge_config_selectorI14custom_numericNS0_10empty_typeEEEZZNS1_27merge_sort_block_merge_implIS3_N6thrust23THRUST_200600_302600_NS6detail15normal_iteratorINSA_10device_ptrIS5_EEEEPS6_m14custom_greaterIS5_EEE10hipError_tT0_T1_T2_jT3_P12ihipStream_tbPNSt15iterator_traitsISK_E10value_typeEPNSQ_ISL_E10value_typeEPSM_NS1_7vsmem_tEENKUlT_SK_SL_SM_E_clIPS5_SF_SG_SG_EESJ_SZ_SK_SL_SM_EUlSZ_E0_NS1_11comp_targetILNS1_3genE0ELNS1_11target_archE4294967295ELNS1_3gpuE0ELNS1_3repE0EEENS1_38merge_mergepath_config_static_selectorELNS0_4arch9wavefront6targetE1EEEvSL_
	.globl	_ZN7rocprim17ROCPRIM_400000_NS6detail17trampoline_kernelINS0_14default_configENS1_38merge_sort_block_merge_config_selectorI14custom_numericNS0_10empty_typeEEEZZNS1_27merge_sort_block_merge_implIS3_N6thrust23THRUST_200600_302600_NS6detail15normal_iteratorINSA_10device_ptrIS5_EEEEPS6_m14custom_greaterIS5_EEE10hipError_tT0_T1_T2_jT3_P12ihipStream_tbPNSt15iterator_traitsISK_E10value_typeEPNSQ_ISL_E10value_typeEPSM_NS1_7vsmem_tEENKUlT_SK_SL_SM_E_clIPS5_SF_SG_SG_EESJ_SZ_SK_SL_SM_EUlSZ_E0_NS1_11comp_targetILNS1_3genE0ELNS1_11target_archE4294967295ELNS1_3gpuE0ELNS1_3repE0EEENS1_38merge_mergepath_config_static_selectorELNS0_4arch9wavefront6targetE1EEEvSL_
	.p2align	8
	.type	_ZN7rocprim17ROCPRIM_400000_NS6detail17trampoline_kernelINS0_14default_configENS1_38merge_sort_block_merge_config_selectorI14custom_numericNS0_10empty_typeEEEZZNS1_27merge_sort_block_merge_implIS3_N6thrust23THRUST_200600_302600_NS6detail15normal_iteratorINSA_10device_ptrIS5_EEEEPS6_m14custom_greaterIS5_EEE10hipError_tT0_T1_T2_jT3_P12ihipStream_tbPNSt15iterator_traitsISK_E10value_typeEPNSQ_ISL_E10value_typeEPSM_NS1_7vsmem_tEENKUlT_SK_SL_SM_E_clIPS5_SF_SG_SG_EESJ_SZ_SK_SL_SM_EUlSZ_E0_NS1_11comp_targetILNS1_3genE0ELNS1_11target_archE4294967295ELNS1_3gpuE0ELNS1_3repE0EEENS1_38merge_mergepath_config_static_selectorELNS0_4arch9wavefront6targetE1EEEvSL_,@function
_ZN7rocprim17ROCPRIM_400000_NS6detail17trampoline_kernelINS0_14default_configENS1_38merge_sort_block_merge_config_selectorI14custom_numericNS0_10empty_typeEEEZZNS1_27merge_sort_block_merge_implIS3_N6thrust23THRUST_200600_302600_NS6detail15normal_iteratorINSA_10device_ptrIS5_EEEEPS6_m14custom_greaterIS5_EEE10hipError_tT0_T1_T2_jT3_P12ihipStream_tbPNSt15iterator_traitsISK_E10value_typeEPNSQ_ISL_E10value_typeEPSM_NS1_7vsmem_tEENKUlT_SK_SL_SM_E_clIPS5_SF_SG_SG_EESJ_SZ_SK_SL_SM_EUlSZ_E0_NS1_11comp_targetILNS1_3genE0ELNS1_11target_archE4294967295ELNS1_3gpuE0ELNS1_3repE0EEENS1_38merge_mergepath_config_static_selectorELNS0_4arch9wavefront6targetE1EEEvSL_: ; @_ZN7rocprim17ROCPRIM_400000_NS6detail17trampoline_kernelINS0_14default_configENS1_38merge_sort_block_merge_config_selectorI14custom_numericNS0_10empty_typeEEEZZNS1_27merge_sort_block_merge_implIS3_N6thrust23THRUST_200600_302600_NS6detail15normal_iteratorINSA_10device_ptrIS5_EEEEPS6_m14custom_greaterIS5_EEE10hipError_tT0_T1_T2_jT3_P12ihipStream_tbPNSt15iterator_traitsISK_E10value_typeEPNSQ_ISL_E10value_typeEPSM_NS1_7vsmem_tEENKUlT_SK_SL_SM_E_clIPS5_SF_SG_SG_EESJ_SZ_SK_SL_SM_EUlSZ_E0_NS1_11comp_targetILNS1_3genE0ELNS1_11target_archE4294967295ELNS1_3gpuE0ELNS1_3repE0EEENS1_38merge_mergepath_config_static_selectorELNS0_4arch9wavefront6targetE1EEEvSL_
; %bb.0:
	.section	.rodata,"a",@progbits
	.p2align	6, 0x0
	.amdhsa_kernel _ZN7rocprim17ROCPRIM_400000_NS6detail17trampoline_kernelINS0_14default_configENS1_38merge_sort_block_merge_config_selectorI14custom_numericNS0_10empty_typeEEEZZNS1_27merge_sort_block_merge_implIS3_N6thrust23THRUST_200600_302600_NS6detail15normal_iteratorINSA_10device_ptrIS5_EEEEPS6_m14custom_greaterIS5_EEE10hipError_tT0_T1_T2_jT3_P12ihipStream_tbPNSt15iterator_traitsISK_E10value_typeEPNSQ_ISL_E10value_typeEPSM_NS1_7vsmem_tEENKUlT_SK_SL_SM_E_clIPS5_SF_SG_SG_EESJ_SZ_SK_SL_SM_EUlSZ_E0_NS1_11comp_targetILNS1_3genE0ELNS1_11target_archE4294967295ELNS1_3gpuE0ELNS1_3repE0EEENS1_38merge_mergepath_config_static_selectorELNS0_4arch9wavefront6targetE1EEEvSL_
		.amdhsa_group_segment_fixed_size 0
		.amdhsa_private_segment_fixed_size 0
		.amdhsa_kernarg_size 72
		.amdhsa_user_sgpr_count 6
		.amdhsa_user_sgpr_private_segment_buffer 1
		.amdhsa_user_sgpr_dispatch_ptr 0
		.amdhsa_user_sgpr_queue_ptr 0
		.amdhsa_user_sgpr_kernarg_segment_ptr 1
		.amdhsa_user_sgpr_dispatch_id 0
		.amdhsa_user_sgpr_flat_scratch_init 0
		.amdhsa_user_sgpr_kernarg_preload_length 0
		.amdhsa_user_sgpr_kernarg_preload_offset 0
		.amdhsa_user_sgpr_private_segment_size 0
		.amdhsa_uses_dynamic_stack 0
		.amdhsa_system_sgpr_private_segment_wavefront_offset 0
		.amdhsa_system_sgpr_workgroup_id_x 1
		.amdhsa_system_sgpr_workgroup_id_y 0
		.amdhsa_system_sgpr_workgroup_id_z 0
		.amdhsa_system_sgpr_workgroup_info 0
		.amdhsa_system_vgpr_workitem_id 0
		.amdhsa_next_free_vgpr 1
		.amdhsa_next_free_sgpr 0
		.amdhsa_accum_offset 4
		.amdhsa_reserve_vcc 0
		.amdhsa_reserve_flat_scratch 0
		.amdhsa_float_round_mode_32 0
		.amdhsa_float_round_mode_16_64 0
		.amdhsa_float_denorm_mode_32 3
		.amdhsa_float_denorm_mode_16_64 3
		.amdhsa_dx10_clamp 1
		.amdhsa_ieee_mode 1
		.amdhsa_fp16_overflow 0
		.amdhsa_tg_split 0
		.amdhsa_exception_fp_ieee_invalid_op 0
		.amdhsa_exception_fp_denorm_src 0
		.amdhsa_exception_fp_ieee_div_zero 0
		.amdhsa_exception_fp_ieee_overflow 0
		.amdhsa_exception_fp_ieee_underflow 0
		.amdhsa_exception_fp_ieee_inexact 0
		.amdhsa_exception_int_div_zero 0
	.end_amdhsa_kernel
	.section	.text._ZN7rocprim17ROCPRIM_400000_NS6detail17trampoline_kernelINS0_14default_configENS1_38merge_sort_block_merge_config_selectorI14custom_numericNS0_10empty_typeEEEZZNS1_27merge_sort_block_merge_implIS3_N6thrust23THRUST_200600_302600_NS6detail15normal_iteratorINSA_10device_ptrIS5_EEEEPS6_m14custom_greaterIS5_EEE10hipError_tT0_T1_T2_jT3_P12ihipStream_tbPNSt15iterator_traitsISK_E10value_typeEPNSQ_ISL_E10value_typeEPSM_NS1_7vsmem_tEENKUlT_SK_SL_SM_E_clIPS5_SF_SG_SG_EESJ_SZ_SK_SL_SM_EUlSZ_E0_NS1_11comp_targetILNS1_3genE0ELNS1_11target_archE4294967295ELNS1_3gpuE0ELNS1_3repE0EEENS1_38merge_mergepath_config_static_selectorELNS0_4arch9wavefront6targetE1EEEvSL_,"axG",@progbits,_ZN7rocprim17ROCPRIM_400000_NS6detail17trampoline_kernelINS0_14default_configENS1_38merge_sort_block_merge_config_selectorI14custom_numericNS0_10empty_typeEEEZZNS1_27merge_sort_block_merge_implIS3_N6thrust23THRUST_200600_302600_NS6detail15normal_iteratorINSA_10device_ptrIS5_EEEEPS6_m14custom_greaterIS5_EEE10hipError_tT0_T1_T2_jT3_P12ihipStream_tbPNSt15iterator_traitsISK_E10value_typeEPNSQ_ISL_E10value_typeEPSM_NS1_7vsmem_tEENKUlT_SK_SL_SM_E_clIPS5_SF_SG_SG_EESJ_SZ_SK_SL_SM_EUlSZ_E0_NS1_11comp_targetILNS1_3genE0ELNS1_11target_archE4294967295ELNS1_3gpuE0ELNS1_3repE0EEENS1_38merge_mergepath_config_static_selectorELNS0_4arch9wavefront6targetE1EEEvSL_,comdat
.Lfunc_end3687:
	.size	_ZN7rocprim17ROCPRIM_400000_NS6detail17trampoline_kernelINS0_14default_configENS1_38merge_sort_block_merge_config_selectorI14custom_numericNS0_10empty_typeEEEZZNS1_27merge_sort_block_merge_implIS3_N6thrust23THRUST_200600_302600_NS6detail15normal_iteratorINSA_10device_ptrIS5_EEEEPS6_m14custom_greaterIS5_EEE10hipError_tT0_T1_T2_jT3_P12ihipStream_tbPNSt15iterator_traitsISK_E10value_typeEPNSQ_ISL_E10value_typeEPSM_NS1_7vsmem_tEENKUlT_SK_SL_SM_E_clIPS5_SF_SG_SG_EESJ_SZ_SK_SL_SM_EUlSZ_E0_NS1_11comp_targetILNS1_3genE0ELNS1_11target_archE4294967295ELNS1_3gpuE0ELNS1_3repE0EEENS1_38merge_mergepath_config_static_selectorELNS0_4arch9wavefront6targetE1EEEvSL_, .Lfunc_end3687-_ZN7rocprim17ROCPRIM_400000_NS6detail17trampoline_kernelINS0_14default_configENS1_38merge_sort_block_merge_config_selectorI14custom_numericNS0_10empty_typeEEEZZNS1_27merge_sort_block_merge_implIS3_N6thrust23THRUST_200600_302600_NS6detail15normal_iteratorINSA_10device_ptrIS5_EEEEPS6_m14custom_greaterIS5_EEE10hipError_tT0_T1_T2_jT3_P12ihipStream_tbPNSt15iterator_traitsISK_E10value_typeEPNSQ_ISL_E10value_typeEPSM_NS1_7vsmem_tEENKUlT_SK_SL_SM_E_clIPS5_SF_SG_SG_EESJ_SZ_SK_SL_SM_EUlSZ_E0_NS1_11comp_targetILNS1_3genE0ELNS1_11target_archE4294967295ELNS1_3gpuE0ELNS1_3repE0EEENS1_38merge_mergepath_config_static_selectorELNS0_4arch9wavefront6targetE1EEEvSL_
                                        ; -- End function
	.section	.AMDGPU.csdata,"",@progbits
; Kernel info:
; codeLenInByte = 0
; NumSgprs: 4
; NumVgprs: 0
; NumAgprs: 0
; TotalNumVgprs: 0
; ScratchSize: 0
; MemoryBound: 0
; FloatMode: 240
; IeeeMode: 1
; LDSByteSize: 0 bytes/workgroup (compile time only)
; SGPRBlocks: 0
; VGPRBlocks: 0
; NumSGPRsForWavesPerEU: 4
; NumVGPRsForWavesPerEU: 1
; AccumOffset: 4
; Occupancy: 8
; WaveLimiterHint : 0
; COMPUTE_PGM_RSRC2:SCRATCH_EN: 0
; COMPUTE_PGM_RSRC2:USER_SGPR: 6
; COMPUTE_PGM_RSRC2:TRAP_HANDLER: 0
; COMPUTE_PGM_RSRC2:TGID_X_EN: 1
; COMPUTE_PGM_RSRC2:TGID_Y_EN: 0
; COMPUTE_PGM_RSRC2:TGID_Z_EN: 0
; COMPUTE_PGM_RSRC2:TIDIG_COMP_CNT: 0
; COMPUTE_PGM_RSRC3_GFX90A:ACCUM_OFFSET: 0
; COMPUTE_PGM_RSRC3_GFX90A:TG_SPLIT: 0
	.section	.text._ZN7rocprim17ROCPRIM_400000_NS6detail17trampoline_kernelINS0_14default_configENS1_38merge_sort_block_merge_config_selectorI14custom_numericNS0_10empty_typeEEEZZNS1_27merge_sort_block_merge_implIS3_N6thrust23THRUST_200600_302600_NS6detail15normal_iteratorINSA_10device_ptrIS5_EEEEPS6_m14custom_greaterIS5_EEE10hipError_tT0_T1_T2_jT3_P12ihipStream_tbPNSt15iterator_traitsISK_E10value_typeEPNSQ_ISL_E10value_typeEPSM_NS1_7vsmem_tEENKUlT_SK_SL_SM_E_clIPS5_SF_SG_SG_EESJ_SZ_SK_SL_SM_EUlSZ_E0_NS1_11comp_targetILNS1_3genE10ELNS1_11target_archE1201ELNS1_3gpuE5ELNS1_3repE0EEENS1_38merge_mergepath_config_static_selectorELNS0_4arch9wavefront6targetE1EEEvSL_,"axG",@progbits,_ZN7rocprim17ROCPRIM_400000_NS6detail17trampoline_kernelINS0_14default_configENS1_38merge_sort_block_merge_config_selectorI14custom_numericNS0_10empty_typeEEEZZNS1_27merge_sort_block_merge_implIS3_N6thrust23THRUST_200600_302600_NS6detail15normal_iteratorINSA_10device_ptrIS5_EEEEPS6_m14custom_greaterIS5_EEE10hipError_tT0_T1_T2_jT3_P12ihipStream_tbPNSt15iterator_traitsISK_E10value_typeEPNSQ_ISL_E10value_typeEPSM_NS1_7vsmem_tEENKUlT_SK_SL_SM_E_clIPS5_SF_SG_SG_EESJ_SZ_SK_SL_SM_EUlSZ_E0_NS1_11comp_targetILNS1_3genE10ELNS1_11target_archE1201ELNS1_3gpuE5ELNS1_3repE0EEENS1_38merge_mergepath_config_static_selectorELNS0_4arch9wavefront6targetE1EEEvSL_,comdat
	.protected	_ZN7rocprim17ROCPRIM_400000_NS6detail17trampoline_kernelINS0_14default_configENS1_38merge_sort_block_merge_config_selectorI14custom_numericNS0_10empty_typeEEEZZNS1_27merge_sort_block_merge_implIS3_N6thrust23THRUST_200600_302600_NS6detail15normal_iteratorINSA_10device_ptrIS5_EEEEPS6_m14custom_greaterIS5_EEE10hipError_tT0_T1_T2_jT3_P12ihipStream_tbPNSt15iterator_traitsISK_E10value_typeEPNSQ_ISL_E10value_typeEPSM_NS1_7vsmem_tEENKUlT_SK_SL_SM_E_clIPS5_SF_SG_SG_EESJ_SZ_SK_SL_SM_EUlSZ_E0_NS1_11comp_targetILNS1_3genE10ELNS1_11target_archE1201ELNS1_3gpuE5ELNS1_3repE0EEENS1_38merge_mergepath_config_static_selectorELNS0_4arch9wavefront6targetE1EEEvSL_ ; -- Begin function _ZN7rocprim17ROCPRIM_400000_NS6detail17trampoline_kernelINS0_14default_configENS1_38merge_sort_block_merge_config_selectorI14custom_numericNS0_10empty_typeEEEZZNS1_27merge_sort_block_merge_implIS3_N6thrust23THRUST_200600_302600_NS6detail15normal_iteratorINSA_10device_ptrIS5_EEEEPS6_m14custom_greaterIS5_EEE10hipError_tT0_T1_T2_jT3_P12ihipStream_tbPNSt15iterator_traitsISK_E10value_typeEPNSQ_ISL_E10value_typeEPSM_NS1_7vsmem_tEENKUlT_SK_SL_SM_E_clIPS5_SF_SG_SG_EESJ_SZ_SK_SL_SM_EUlSZ_E0_NS1_11comp_targetILNS1_3genE10ELNS1_11target_archE1201ELNS1_3gpuE5ELNS1_3repE0EEENS1_38merge_mergepath_config_static_selectorELNS0_4arch9wavefront6targetE1EEEvSL_
	.globl	_ZN7rocprim17ROCPRIM_400000_NS6detail17trampoline_kernelINS0_14default_configENS1_38merge_sort_block_merge_config_selectorI14custom_numericNS0_10empty_typeEEEZZNS1_27merge_sort_block_merge_implIS3_N6thrust23THRUST_200600_302600_NS6detail15normal_iteratorINSA_10device_ptrIS5_EEEEPS6_m14custom_greaterIS5_EEE10hipError_tT0_T1_T2_jT3_P12ihipStream_tbPNSt15iterator_traitsISK_E10value_typeEPNSQ_ISL_E10value_typeEPSM_NS1_7vsmem_tEENKUlT_SK_SL_SM_E_clIPS5_SF_SG_SG_EESJ_SZ_SK_SL_SM_EUlSZ_E0_NS1_11comp_targetILNS1_3genE10ELNS1_11target_archE1201ELNS1_3gpuE5ELNS1_3repE0EEENS1_38merge_mergepath_config_static_selectorELNS0_4arch9wavefront6targetE1EEEvSL_
	.p2align	8
	.type	_ZN7rocprim17ROCPRIM_400000_NS6detail17trampoline_kernelINS0_14default_configENS1_38merge_sort_block_merge_config_selectorI14custom_numericNS0_10empty_typeEEEZZNS1_27merge_sort_block_merge_implIS3_N6thrust23THRUST_200600_302600_NS6detail15normal_iteratorINSA_10device_ptrIS5_EEEEPS6_m14custom_greaterIS5_EEE10hipError_tT0_T1_T2_jT3_P12ihipStream_tbPNSt15iterator_traitsISK_E10value_typeEPNSQ_ISL_E10value_typeEPSM_NS1_7vsmem_tEENKUlT_SK_SL_SM_E_clIPS5_SF_SG_SG_EESJ_SZ_SK_SL_SM_EUlSZ_E0_NS1_11comp_targetILNS1_3genE10ELNS1_11target_archE1201ELNS1_3gpuE5ELNS1_3repE0EEENS1_38merge_mergepath_config_static_selectorELNS0_4arch9wavefront6targetE1EEEvSL_,@function
_ZN7rocprim17ROCPRIM_400000_NS6detail17trampoline_kernelINS0_14default_configENS1_38merge_sort_block_merge_config_selectorI14custom_numericNS0_10empty_typeEEEZZNS1_27merge_sort_block_merge_implIS3_N6thrust23THRUST_200600_302600_NS6detail15normal_iteratorINSA_10device_ptrIS5_EEEEPS6_m14custom_greaterIS5_EEE10hipError_tT0_T1_T2_jT3_P12ihipStream_tbPNSt15iterator_traitsISK_E10value_typeEPNSQ_ISL_E10value_typeEPSM_NS1_7vsmem_tEENKUlT_SK_SL_SM_E_clIPS5_SF_SG_SG_EESJ_SZ_SK_SL_SM_EUlSZ_E0_NS1_11comp_targetILNS1_3genE10ELNS1_11target_archE1201ELNS1_3gpuE5ELNS1_3repE0EEENS1_38merge_mergepath_config_static_selectorELNS0_4arch9wavefront6targetE1EEEvSL_: ; @_ZN7rocprim17ROCPRIM_400000_NS6detail17trampoline_kernelINS0_14default_configENS1_38merge_sort_block_merge_config_selectorI14custom_numericNS0_10empty_typeEEEZZNS1_27merge_sort_block_merge_implIS3_N6thrust23THRUST_200600_302600_NS6detail15normal_iteratorINSA_10device_ptrIS5_EEEEPS6_m14custom_greaterIS5_EEE10hipError_tT0_T1_T2_jT3_P12ihipStream_tbPNSt15iterator_traitsISK_E10value_typeEPNSQ_ISL_E10value_typeEPSM_NS1_7vsmem_tEENKUlT_SK_SL_SM_E_clIPS5_SF_SG_SG_EESJ_SZ_SK_SL_SM_EUlSZ_E0_NS1_11comp_targetILNS1_3genE10ELNS1_11target_archE1201ELNS1_3gpuE5ELNS1_3repE0EEENS1_38merge_mergepath_config_static_selectorELNS0_4arch9wavefront6targetE1EEEvSL_
; %bb.0:
	.section	.rodata,"a",@progbits
	.p2align	6, 0x0
	.amdhsa_kernel _ZN7rocprim17ROCPRIM_400000_NS6detail17trampoline_kernelINS0_14default_configENS1_38merge_sort_block_merge_config_selectorI14custom_numericNS0_10empty_typeEEEZZNS1_27merge_sort_block_merge_implIS3_N6thrust23THRUST_200600_302600_NS6detail15normal_iteratorINSA_10device_ptrIS5_EEEEPS6_m14custom_greaterIS5_EEE10hipError_tT0_T1_T2_jT3_P12ihipStream_tbPNSt15iterator_traitsISK_E10value_typeEPNSQ_ISL_E10value_typeEPSM_NS1_7vsmem_tEENKUlT_SK_SL_SM_E_clIPS5_SF_SG_SG_EESJ_SZ_SK_SL_SM_EUlSZ_E0_NS1_11comp_targetILNS1_3genE10ELNS1_11target_archE1201ELNS1_3gpuE5ELNS1_3repE0EEENS1_38merge_mergepath_config_static_selectorELNS0_4arch9wavefront6targetE1EEEvSL_
		.amdhsa_group_segment_fixed_size 0
		.amdhsa_private_segment_fixed_size 0
		.amdhsa_kernarg_size 72
		.amdhsa_user_sgpr_count 6
		.amdhsa_user_sgpr_private_segment_buffer 1
		.amdhsa_user_sgpr_dispatch_ptr 0
		.amdhsa_user_sgpr_queue_ptr 0
		.amdhsa_user_sgpr_kernarg_segment_ptr 1
		.amdhsa_user_sgpr_dispatch_id 0
		.amdhsa_user_sgpr_flat_scratch_init 0
		.amdhsa_user_sgpr_kernarg_preload_length 0
		.amdhsa_user_sgpr_kernarg_preload_offset 0
		.amdhsa_user_sgpr_private_segment_size 0
		.amdhsa_uses_dynamic_stack 0
		.amdhsa_system_sgpr_private_segment_wavefront_offset 0
		.amdhsa_system_sgpr_workgroup_id_x 1
		.amdhsa_system_sgpr_workgroup_id_y 0
		.amdhsa_system_sgpr_workgroup_id_z 0
		.amdhsa_system_sgpr_workgroup_info 0
		.amdhsa_system_vgpr_workitem_id 0
		.amdhsa_next_free_vgpr 1
		.amdhsa_next_free_sgpr 0
		.amdhsa_accum_offset 4
		.amdhsa_reserve_vcc 0
		.amdhsa_reserve_flat_scratch 0
		.amdhsa_float_round_mode_32 0
		.amdhsa_float_round_mode_16_64 0
		.amdhsa_float_denorm_mode_32 3
		.amdhsa_float_denorm_mode_16_64 3
		.amdhsa_dx10_clamp 1
		.amdhsa_ieee_mode 1
		.amdhsa_fp16_overflow 0
		.amdhsa_tg_split 0
		.amdhsa_exception_fp_ieee_invalid_op 0
		.amdhsa_exception_fp_denorm_src 0
		.amdhsa_exception_fp_ieee_div_zero 0
		.amdhsa_exception_fp_ieee_overflow 0
		.amdhsa_exception_fp_ieee_underflow 0
		.amdhsa_exception_fp_ieee_inexact 0
		.amdhsa_exception_int_div_zero 0
	.end_amdhsa_kernel
	.section	.text._ZN7rocprim17ROCPRIM_400000_NS6detail17trampoline_kernelINS0_14default_configENS1_38merge_sort_block_merge_config_selectorI14custom_numericNS0_10empty_typeEEEZZNS1_27merge_sort_block_merge_implIS3_N6thrust23THRUST_200600_302600_NS6detail15normal_iteratorINSA_10device_ptrIS5_EEEEPS6_m14custom_greaterIS5_EEE10hipError_tT0_T1_T2_jT3_P12ihipStream_tbPNSt15iterator_traitsISK_E10value_typeEPNSQ_ISL_E10value_typeEPSM_NS1_7vsmem_tEENKUlT_SK_SL_SM_E_clIPS5_SF_SG_SG_EESJ_SZ_SK_SL_SM_EUlSZ_E0_NS1_11comp_targetILNS1_3genE10ELNS1_11target_archE1201ELNS1_3gpuE5ELNS1_3repE0EEENS1_38merge_mergepath_config_static_selectorELNS0_4arch9wavefront6targetE1EEEvSL_,"axG",@progbits,_ZN7rocprim17ROCPRIM_400000_NS6detail17trampoline_kernelINS0_14default_configENS1_38merge_sort_block_merge_config_selectorI14custom_numericNS0_10empty_typeEEEZZNS1_27merge_sort_block_merge_implIS3_N6thrust23THRUST_200600_302600_NS6detail15normal_iteratorINSA_10device_ptrIS5_EEEEPS6_m14custom_greaterIS5_EEE10hipError_tT0_T1_T2_jT3_P12ihipStream_tbPNSt15iterator_traitsISK_E10value_typeEPNSQ_ISL_E10value_typeEPSM_NS1_7vsmem_tEENKUlT_SK_SL_SM_E_clIPS5_SF_SG_SG_EESJ_SZ_SK_SL_SM_EUlSZ_E0_NS1_11comp_targetILNS1_3genE10ELNS1_11target_archE1201ELNS1_3gpuE5ELNS1_3repE0EEENS1_38merge_mergepath_config_static_selectorELNS0_4arch9wavefront6targetE1EEEvSL_,comdat
.Lfunc_end3688:
	.size	_ZN7rocprim17ROCPRIM_400000_NS6detail17trampoline_kernelINS0_14default_configENS1_38merge_sort_block_merge_config_selectorI14custom_numericNS0_10empty_typeEEEZZNS1_27merge_sort_block_merge_implIS3_N6thrust23THRUST_200600_302600_NS6detail15normal_iteratorINSA_10device_ptrIS5_EEEEPS6_m14custom_greaterIS5_EEE10hipError_tT0_T1_T2_jT3_P12ihipStream_tbPNSt15iterator_traitsISK_E10value_typeEPNSQ_ISL_E10value_typeEPSM_NS1_7vsmem_tEENKUlT_SK_SL_SM_E_clIPS5_SF_SG_SG_EESJ_SZ_SK_SL_SM_EUlSZ_E0_NS1_11comp_targetILNS1_3genE10ELNS1_11target_archE1201ELNS1_3gpuE5ELNS1_3repE0EEENS1_38merge_mergepath_config_static_selectorELNS0_4arch9wavefront6targetE1EEEvSL_, .Lfunc_end3688-_ZN7rocprim17ROCPRIM_400000_NS6detail17trampoline_kernelINS0_14default_configENS1_38merge_sort_block_merge_config_selectorI14custom_numericNS0_10empty_typeEEEZZNS1_27merge_sort_block_merge_implIS3_N6thrust23THRUST_200600_302600_NS6detail15normal_iteratorINSA_10device_ptrIS5_EEEEPS6_m14custom_greaterIS5_EEE10hipError_tT0_T1_T2_jT3_P12ihipStream_tbPNSt15iterator_traitsISK_E10value_typeEPNSQ_ISL_E10value_typeEPSM_NS1_7vsmem_tEENKUlT_SK_SL_SM_E_clIPS5_SF_SG_SG_EESJ_SZ_SK_SL_SM_EUlSZ_E0_NS1_11comp_targetILNS1_3genE10ELNS1_11target_archE1201ELNS1_3gpuE5ELNS1_3repE0EEENS1_38merge_mergepath_config_static_selectorELNS0_4arch9wavefront6targetE1EEEvSL_
                                        ; -- End function
	.section	.AMDGPU.csdata,"",@progbits
; Kernel info:
; codeLenInByte = 0
; NumSgprs: 4
; NumVgprs: 0
; NumAgprs: 0
; TotalNumVgprs: 0
; ScratchSize: 0
; MemoryBound: 0
; FloatMode: 240
; IeeeMode: 1
; LDSByteSize: 0 bytes/workgroup (compile time only)
; SGPRBlocks: 0
; VGPRBlocks: 0
; NumSGPRsForWavesPerEU: 4
; NumVGPRsForWavesPerEU: 1
; AccumOffset: 4
; Occupancy: 8
; WaveLimiterHint : 0
; COMPUTE_PGM_RSRC2:SCRATCH_EN: 0
; COMPUTE_PGM_RSRC2:USER_SGPR: 6
; COMPUTE_PGM_RSRC2:TRAP_HANDLER: 0
; COMPUTE_PGM_RSRC2:TGID_X_EN: 1
; COMPUTE_PGM_RSRC2:TGID_Y_EN: 0
; COMPUTE_PGM_RSRC2:TGID_Z_EN: 0
; COMPUTE_PGM_RSRC2:TIDIG_COMP_CNT: 0
; COMPUTE_PGM_RSRC3_GFX90A:ACCUM_OFFSET: 0
; COMPUTE_PGM_RSRC3_GFX90A:TG_SPLIT: 0
	.section	.text._ZN7rocprim17ROCPRIM_400000_NS6detail17trampoline_kernelINS0_14default_configENS1_38merge_sort_block_merge_config_selectorI14custom_numericNS0_10empty_typeEEEZZNS1_27merge_sort_block_merge_implIS3_N6thrust23THRUST_200600_302600_NS6detail15normal_iteratorINSA_10device_ptrIS5_EEEEPS6_m14custom_greaterIS5_EEE10hipError_tT0_T1_T2_jT3_P12ihipStream_tbPNSt15iterator_traitsISK_E10value_typeEPNSQ_ISL_E10value_typeEPSM_NS1_7vsmem_tEENKUlT_SK_SL_SM_E_clIPS5_SF_SG_SG_EESJ_SZ_SK_SL_SM_EUlSZ_E0_NS1_11comp_targetILNS1_3genE5ELNS1_11target_archE942ELNS1_3gpuE9ELNS1_3repE0EEENS1_38merge_mergepath_config_static_selectorELNS0_4arch9wavefront6targetE1EEEvSL_,"axG",@progbits,_ZN7rocprim17ROCPRIM_400000_NS6detail17trampoline_kernelINS0_14default_configENS1_38merge_sort_block_merge_config_selectorI14custom_numericNS0_10empty_typeEEEZZNS1_27merge_sort_block_merge_implIS3_N6thrust23THRUST_200600_302600_NS6detail15normal_iteratorINSA_10device_ptrIS5_EEEEPS6_m14custom_greaterIS5_EEE10hipError_tT0_T1_T2_jT3_P12ihipStream_tbPNSt15iterator_traitsISK_E10value_typeEPNSQ_ISL_E10value_typeEPSM_NS1_7vsmem_tEENKUlT_SK_SL_SM_E_clIPS5_SF_SG_SG_EESJ_SZ_SK_SL_SM_EUlSZ_E0_NS1_11comp_targetILNS1_3genE5ELNS1_11target_archE942ELNS1_3gpuE9ELNS1_3repE0EEENS1_38merge_mergepath_config_static_selectorELNS0_4arch9wavefront6targetE1EEEvSL_,comdat
	.protected	_ZN7rocprim17ROCPRIM_400000_NS6detail17trampoline_kernelINS0_14default_configENS1_38merge_sort_block_merge_config_selectorI14custom_numericNS0_10empty_typeEEEZZNS1_27merge_sort_block_merge_implIS3_N6thrust23THRUST_200600_302600_NS6detail15normal_iteratorINSA_10device_ptrIS5_EEEEPS6_m14custom_greaterIS5_EEE10hipError_tT0_T1_T2_jT3_P12ihipStream_tbPNSt15iterator_traitsISK_E10value_typeEPNSQ_ISL_E10value_typeEPSM_NS1_7vsmem_tEENKUlT_SK_SL_SM_E_clIPS5_SF_SG_SG_EESJ_SZ_SK_SL_SM_EUlSZ_E0_NS1_11comp_targetILNS1_3genE5ELNS1_11target_archE942ELNS1_3gpuE9ELNS1_3repE0EEENS1_38merge_mergepath_config_static_selectorELNS0_4arch9wavefront6targetE1EEEvSL_ ; -- Begin function _ZN7rocprim17ROCPRIM_400000_NS6detail17trampoline_kernelINS0_14default_configENS1_38merge_sort_block_merge_config_selectorI14custom_numericNS0_10empty_typeEEEZZNS1_27merge_sort_block_merge_implIS3_N6thrust23THRUST_200600_302600_NS6detail15normal_iteratorINSA_10device_ptrIS5_EEEEPS6_m14custom_greaterIS5_EEE10hipError_tT0_T1_T2_jT3_P12ihipStream_tbPNSt15iterator_traitsISK_E10value_typeEPNSQ_ISL_E10value_typeEPSM_NS1_7vsmem_tEENKUlT_SK_SL_SM_E_clIPS5_SF_SG_SG_EESJ_SZ_SK_SL_SM_EUlSZ_E0_NS1_11comp_targetILNS1_3genE5ELNS1_11target_archE942ELNS1_3gpuE9ELNS1_3repE0EEENS1_38merge_mergepath_config_static_selectorELNS0_4arch9wavefront6targetE1EEEvSL_
	.globl	_ZN7rocprim17ROCPRIM_400000_NS6detail17trampoline_kernelINS0_14default_configENS1_38merge_sort_block_merge_config_selectorI14custom_numericNS0_10empty_typeEEEZZNS1_27merge_sort_block_merge_implIS3_N6thrust23THRUST_200600_302600_NS6detail15normal_iteratorINSA_10device_ptrIS5_EEEEPS6_m14custom_greaterIS5_EEE10hipError_tT0_T1_T2_jT3_P12ihipStream_tbPNSt15iterator_traitsISK_E10value_typeEPNSQ_ISL_E10value_typeEPSM_NS1_7vsmem_tEENKUlT_SK_SL_SM_E_clIPS5_SF_SG_SG_EESJ_SZ_SK_SL_SM_EUlSZ_E0_NS1_11comp_targetILNS1_3genE5ELNS1_11target_archE942ELNS1_3gpuE9ELNS1_3repE0EEENS1_38merge_mergepath_config_static_selectorELNS0_4arch9wavefront6targetE1EEEvSL_
	.p2align	8
	.type	_ZN7rocprim17ROCPRIM_400000_NS6detail17trampoline_kernelINS0_14default_configENS1_38merge_sort_block_merge_config_selectorI14custom_numericNS0_10empty_typeEEEZZNS1_27merge_sort_block_merge_implIS3_N6thrust23THRUST_200600_302600_NS6detail15normal_iteratorINSA_10device_ptrIS5_EEEEPS6_m14custom_greaterIS5_EEE10hipError_tT0_T1_T2_jT3_P12ihipStream_tbPNSt15iterator_traitsISK_E10value_typeEPNSQ_ISL_E10value_typeEPSM_NS1_7vsmem_tEENKUlT_SK_SL_SM_E_clIPS5_SF_SG_SG_EESJ_SZ_SK_SL_SM_EUlSZ_E0_NS1_11comp_targetILNS1_3genE5ELNS1_11target_archE942ELNS1_3gpuE9ELNS1_3repE0EEENS1_38merge_mergepath_config_static_selectorELNS0_4arch9wavefront6targetE1EEEvSL_,@function
_ZN7rocprim17ROCPRIM_400000_NS6detail17trampoline_kernelINS0_14default_configENS1_38merge_sort_block_merge_config_selectorI14custom_numericNS0_10empty_typeEEEZZNS1_27merge_sort_block_merge_implIS3_N6thrust23THRUST_200600_302600_NS6detail15normal_iteratorINSA_10device_ptrIS5_EEEEPS6_m14custom_greaterIS5_EEE10hipError_tT0_T1_T2_jT3_P12ihipStream_tbPNSt15iterator_traitsISK_E10value_typeEPNSQ_ISL_E10value_typeEPSM_NS1_7vsmem_tEENKUlT_SK_SL_SM_E_clIPS5_SF_SG_SG_EESJ_SZ_SK_SL_SM_EUlSZ_E0_NS1_11comp_targetILNS1_3genE5ELNS1_11target_archE942ELNS1_3gpuE9ELNS1_3repE0EEENS1_38merge_mergepath_config_static_selectorELNS0_4arch9wavefront6targetE1EEEvSL_: ; @_ZN7rocprim17ROCPRIM_400000_NS6detail17trampoline_kernelINS0_14default_configENS1_38merge_sort_block_merge_config_selectorI14custom_numericNS0_10empty_typeEEEZZNS1_27merge_sort_block_merge_implIS3_N6thrust23THRUST_200600_302600_NS6detail15normal_iteratorINSA_10device_ptrIS5_EEEEPS6_m14custom_greaterIS5_EEE10hipError_tT0_T1_T2_jT3_P12ihipStream_tbPNSt15iterator_traitsISK_E10value_typeEPNSQ_ISL_E10value_typeEPSM_NS1_7vsmem_tEENKUlT_SK_SL_SM_E_clIPS5_SF_SG_SG_EESJ_SZ_SK_SL_SM_EUlSZ_E0_NS1_11comp_targetILNS1_3genE5ELNS1_11target_archE942ELNS1_3gpuE9ELNS1_3repE0EEENS1_38merge_mergepath_config_static_selectorELNS0_4arch9wavefront6targetE1EEEvSL_
; %bb.0:
	.section	.rodata,"a",@progbits
	.p2align	6, 0x0
	.amdhsa_kernel _ZN7rocprim17ROCPRIM_400000_NS6detail17trampoline_kernelINS0_14default_configENS1_38merge_sort_block_merge_config_selectorI14custom_numericNS0_10empty_typeEEEZZNS1_27merge_sort_block_merge_implIS3_N6thrust23THRUST_200600_302600_NS6detail15normal_iteratorINSA_10device_ptrIS5_EEEEPS6_m14custom_greaterIS5_EEE10hipError_tT0_T1_T2_jT3_P12ihipStream_tbPNSt15iterator_traitsISK_E10value_typeEPNSQ_ISL_E10value_typeEPSM_NS1_7vsmem_tEENKUlT_SK_SL_SM_E_clIPS5_SF_SG_SG_EESJ_SZ_SK_SL_SM_EUlSZ_E0_NS1_11comp_targetILNS1_3genE5ELNS1_11target_archE942ELNS1_3gpuE9ELNS1_3repE0EEENS1_38merge_mergepath_config_static_selectorELNS0_4arch9wavefront6targetE1EEEvSL_
		.amdhsa_group_segment_fixed_size 0
		.amdhsa_private_segment_fixed_size 0
		.amdhsa_kernarg_size 72
		.amdhsa_user_sgpr_count 6
		.amdhsa_user_sgpr_private_segment_buffer 1
		.amdhsa_user_sgpr_dispatch_ptr 0
		.amdhsa_user_sgpr_queue_ptr 0
		.amdhsa_user_sgpr_kernarg_segment_ptr 1
		.amdhsa_user_sgpr_dispatch_id 0
		.amdhsa_user_sgpr_flat_scratch_init 0
		.amdhsa_user_sgpr_kernarg_preload_length 0
		.amdhsa_user_sgpr_kernarg_preload_offset 0
		.amdhsa_user_sgpr_private_segment_size 0
		.amdhsa_uses_dynamic_stack 0
		.amdhsa_system_sgpr_private_segment_wavefront_offset 0
		.amdhsa_system_sgpr_workgroup_id_x 1
		.amdhsa_system_sgpr_workgroup_id_y 0
		.amdhsa_system_sgpr_workgroup_id_z 0
		.amdhsa_system_sgpr_workgroup_info 0
		.amdhsa_system_vgpr_workitem_id 0
		.amdhsa_next_free_vgpr 1
		.amdhsa_next_free_sgpr 0
		.amdhsa_accum_offset 4
		.amdhsa_reserve_vcc 0
		.amdhsa_reserve_flat_scratch 0
		.amdhsa_float_round_mode_32 0
		.amdhsa_float_round_mode_16_64 0
		.amdhsa_float_denorm_mode_32 3
		.amdhsa_float_denorm_mode_16_64 3
		.amdhsa_dx10_clamp 1
		.amdhsa_ieee_mode 1
		.amdhsa_fp16_overflow 0
		.amdhsa_tg_split 0
		.amdhsa_exception_fp_ieee_invalid_op 0
		.amdhsa_exception_fp_denorm_src 0
		.amdhsa_exception_fp_ieee_div_zero 0
		.amdhsa_exception_fp_ieee_overflow 0
		.amdhsa_exception_fp_ieee_underflow 0
		.amdhsa_exception_fp_ieee_inexact 0
		.amdhsa_exception_int_div_zero 0
	.end_amdhsa_kernel
	.section	.text._ZN7rocprim17ROCPRIM_400000_NS6detail17trampoline_kernelINS0_14default_configENS1_38merge_sort_block_merge_config_selectorI14custom_numericNS0_10empty_typeEEEZZNS1_27merge_sort_block_merge_implIS3_N6thrust23THRUST_200600_302600_NS6detail15normal_iteratorINSA_10device_ptrIS5_EEEEPS6_m14custom_greaterIS5_EEE10hipError_tT0_T1_T2_jT3_P12ihipStream_tbPNSt15iterator_traitsISK_E10value_typeEPNSQ_ISL_E10value_typeEPSM_NS1_7vsmem_tEENKUlT_SK_SL_SM_E_clIPS5_SF_SG_SG_EESJ_SZ_SK_SL_SM_EUlSZ_E0_NS1_11comp_targetILNS1_3genE5ELNS1_11target_archE942ELNS1_3gpuE9ELNS1_3repE0EEENS1_38merge_mergepath_config_static_selectorELNS0_4arch9wavefront6targetE1EEEvSL_,"axG",@progbits,_ZN7rocprim17ROCPRIM_400000_NS6detail17trampoline_kernelINS0_14default_configENS1_38merge_sort_block_merge_config_selectorI14custom_numericNS0_10empty_typeEEEZZNS1_27merge_sort_block_merge_implIS3_N6thrust23THRUST_200600_302600_NS6detail15normal_iteratorINSA_10device_ptrIS5_EEEEPS6_m14custom_greaterIS5_EEE10hipError_tT0_T1_T2_jT3_P12ihipStream_tbPNSt15iterator_traitsISK_E10value_typeEPNSQ_ISL_E10value_typeEPSM_NS1_7vsmem_tEENKUlT_SK_SL_SM_E_clIPS5_SF_SG_SG_EESJ_SZ_SK_SL_SM_EUlSZ_E0_NS1_11comp_targetILNS1_3genE5ELNS1_11target_archE942ELNS1_3gpuE9ELNS1_3repE0EEENS1_38merge_mergepath_config_static_selectorELNS0_4arch9wavefront6targetE1EEEvSL_,comdat
.Lfunc_end3689:
	.size	_ZN7rocprim17ROCPRIM_400000_NS6detail17trampoline_kernelINS0_14default_configENS1_38merge_sort_block_merge_config_selectorI14custom_numericNS0_10empty_typeEEEZZNS1_27merge_sort_block_merge_implIS3_N6thrust23THRUST_200600_302600_NS6detail15normal_iteratorINSA_10device_ptrIS5_EEEEPS6_m14custom_greaterIS5_EEE10hipError_tT0_T1_T2_jT3_P12ihipStream_tbPNSt15iterator_traitsISK_E10value_typeEPNSQ_ISL_E10value_typeEPSM_NS1_7vsmem_tEENKUlT_SK_SL_SM_E_clIPS5_SF_SG_SG_EESJ_SZ_SK_SL_SM_EUlSZ_E0_NS1_11comp_targetILNS1_3genE5ELNS1_11target_archE942ELNS1_3gpuE9ELNS1_3repE0EEENS1_38merge_mergepath_config_static_selectorELNS0_4arch9wavefront6targetE1EEEvSL_, .Lfunc_end3689-_ZN7rocprim17ROCPRIM_400000_NS6detail17trampoline_kernelINS0_14default_configENS1_38merge_sort_block_merge_config_selectorI14custom_numericNS0_10empty_typeEEEZZNS1_27merge_sort_block_merge_implIS3_N6thrust23THRUST_200600_302600_NS6detail15normal_iteratorINSA_10device_ptrIS5_EEEEPS6_m14custom_greaterIS5_EEE10hipError_tT0_T1_T2_jT3_P12ihipStream_tbPNSt15iterator_traitsISK_E10value_typeEPNSQ_ISL_E10value_typeEPSM_NS1_7vsmem_tEENKUlT_SK_SL_SM_E_clIPS5_SF_SG_SG_EESJ_SZ_SK_SL_SM_EUlSZ_E0_NS1_11comp_targetILNS1_3genE5ELNS1_11target_archE942ELNS1_3gpuE9ELNS1_3repE0EEENS1_38merge_mergepath_config_static_selectorELNS0_4arch9wavefront6targetE1EEEvSL_
                                        ; -- End function
	.section	.AMDGPU.csdata,"",@progbits
; Kernel info:
; codeLenInByte = 0
; NumSgprs: 4
; NumVgprs: 0
; NumAgprs: 0
; TotalNumVgprs: 0
; ScratchSize: 0
; MemoryBound: 0
; FloatMode: 240
; IeeeMode: 1
; LDSByteSize: 0 bytes/workgroup (compile time only)
; SGPRBlocks: 0
; VGPRBlocks: 0
; NumSGPRsForWavesPerEU: 4
; NumVGPRsForWavesPerEU: 1
; AccumOffset: 4
; Occupancy: 8
; WaveLimiterHint : 0
; COMPUTE_PGM_RSRC2:SCRATCH_EN: 0
; COMPUTE_PGM_RSRC2:USER_SGPR: 6
; COMPUTE_PGM_RSRC2:TRAP_HANDLER: 0
; COMPUTE_PGM_RSRC2:TGID_X_EN: 1
; COMPUTE_PGM_RSRC2:TGID_Y_EN: 0
; COMPUTE_PGM_RSRC2:TGID_Z_EN: 0
; COMPUTE_PGM_RSRC2:TIDIG_COMP_CNT: 0
; COMPUTE_PGM_RSRC3_GFX90A:ACCUM_OFFSET: 0
; COMPUTE_PGM_RSRC3_GFX90A:TG_SPLIT: 0
	.section	.text._ZN7rocprim17ROCPRIM_400000_NS6detail17trampoline_kernelINS0_14default_configENS1_38merge_sort_block_merge_config_selectorI14custom_numericNS0_10empty_typeEEEZZNS1_27merge_sort_block_merge_implIS3_N6thrust23THRUST_200600_302600_NS6detail15normal_iteratorINSA_10device_ptrIS5_EEEEPS6_m14custom_greaterIS5_EEE10hipError_tT0_T1_T2_jT3_P12ihipStream_tbPNSt15iterator_traitsISK_E10value_typeEPNSQ_ISL_E10value_typeEPSM_NS1_7vsmem_tEENKUlT_SK_SL_SM_E_clIPS5_SF_SG_SG_EESJ_SZ_SK_SL_SM_EUlSZ_E0_NS1_11comp_targetILNS1_3genE4ELNS1_11target_archE910ELNS1_3gpuE8ELNS1_3repE0EEENS1_38merge_mergepath_config_static_selectorELNS0_4arch9wavefront6targetE1EEEvSL_,"axG",@progbits,_ZN7rocprim17ROCPRIM_400000_NS6detail17trampoline_kernelINS0_14default_configENS1_38merge_sort_block_merge_config_selectorI14custom_numericNS0_10empty_typeEEEZZNS1_27merge_sort_block_merge_implIS3_N6thrust23THRUST_200600_302600_NS6detail15normal_iteratorINSA_10device_ptrIS5_EEEEPS6_m14custom_greaterIS5_EEE10hipError_tT0_T1_T2_jT3_P12ihipStream_tbPNSt15iterator_traitsISK_E10value_typeEPNSQ_ISL_E10value_typeEPSM_NS1_7vsmem_tEENKUlT_SK_SL_SM_E_clIPS5_SF_SG_SG_EESJ_SZ_SK_SL_SM_EUlSZ_E0_NS1_11comp_targetILNS1_3genE4ELNS1_11target_archE910ELNS1_3gpuE8ELNS1_3repE0EEENS1_38merge_mergepath_config_static_selectorELNS0_4arch9wavefront6targetE1EEEvSL_,comdat
	.protected	_ZN7rocprim17ROCPRIM_400000_NS6detail17trampoline_kernelINS0_14default_configENS1_38merge_sort_block_merge_config_selectorI14custom_numericNS0_10empty_typeEEEZZNS1_27merge_sort_block_merge_implIS3_N6thrust23THRUST_200600_302600_NS6detail15normal_iteratorINSA_10device_ptrIS5_EEEEPS6_m14custom_greaterIS5_EEE10hipError_tT0_T1_T2_jT3_P12ihipStream_tbPNSt15iterator_traitsISK_E10value_typeEPNSQ_ISL_E10value_typeEPSM_NS1_7vsmem_tEENKUlT_SK_SL_SM_E_clIPS5_SF_SG_SG_EESJ_SZ_SK_SL_SM_EUlSZ_E0_NS1_11comp_targetILNS1_3genE4ELNS1_11target_archE910ELNS1_3gpuE8ELNS1_3repE0EEENS1_38merge_mergepath_config_static_selectorELNS0_4arch9wavefront6targetE1EEEvSL_ ; -- Begin function _ZN7rocprim17ROCPRIM_400000_NS6detail17trampoline_kernelINS0_14default_configENS1_38merge_sort_block_merge_config_selectorI14custom_numericNS0_10empty_typeEEEZZNS1_27merge_sort_block_merge_implIS3_N6thrust23THRUST_200600_302600_NS6detail15normal_iteratorINSA_10device_ptrIS5_EEEEPS6_m14custom_greaterIS5_EEE10hipError_tT0_T1_T2_jT3_P12ihipStream_tbPNSt15iterator_traitsISK_E10value_typeEPNSQ_ISL_E10value_typeEPSM_NS1_7vsmem_tEENKUlT_SK_SL_SM_E_clIPS5_SF_SG_SG_EESJ_SZ_SK_SL_SM_EUlSZ_E0_NS1_11comp_targetILNS1_3genE4ELNS1_11target_archE910ELNS1_3gpuE8ELNS1_3repE0EEENS1_38merge_mergepath_config_static_selectorELNS0_4arch9wavefront6targetE1EEEvSL_
	.globl	_ZN7rocprim17ROCPRIM_400000_NS6detail17trampoline_kernelINS0_14default_configENS1_38merge_sort_block_merge_config_selectorI14custom_numericNS0_10empty_typeEEEZZNS1_27merge_sort_block_merge_implIS3_N6thrust23THRUST_200600_302600_NS6detail15normal_iteratorINSA_10device_ptrIS5_EEEEPS6_m14custom_greaterIS5_EEE10hipError_tT0_T1_T2_jT3_P12ihipStream_tbPNSt15iterator_traitsISK_E10value_typeEPNSQ_ISL_E10value_typeEPSM_NS1_7vsmem_tEENKUlT_SK_SL_SM_E_clIPS5_SF_SG_SG_EESJ_SZ_SK_SL_SM_EUlSZ_E0_NS1_11comp_targetILNS1_3genE4ELNS1_11target_archE910ELNS1_3gpuE8ELNS1_3repE0EEENS1_38merge_mergepath_config_static_selectorELNS0_4arch9wavefront6targetE1EEEvSL_
	.p2align	8
	.type	_ZN7rocprim17ROCPRIM_400000_NS6detail17trampoline_kernelINS0_14default_configENS1_38merge_sort_block_merge_config_selectorI14custom_numericNS0_10empty_typeEEEZZNS1_27merge_sort_block_merge_implIS3_N6thrust23THRUST_200600_302600_NS6detail15normal_iteratorINSA_10device_ptrIS5_EEEEPS6_m14custom_greaterIS5_EEE10hipError_tT0_T1_T2_jT3_P12ihipStream_tbPNSt15iterator_traitsISK_E10value_typeEPNSQ_ISL_E10value_typeEPSM_NS1_7vsmem_tEENKUlT_SK_SL_SM_E_clIPS5_SF_SG_SG_EESJ_SZ_SK_SL_SM_EUlSZ_E0_NS1_11comp_targetILNS1_3genE4ELNS1_11target_archE910ELNS1_3gpuE8ELNS1_3repE0EEENS1_38merge_mergepath_config_static_selectorELNS0_4arch9wavefront6targetE1EEEvSL_,@function
_ZN7rocprim17ROCPRIM_400000_NS6detail17trampoline_kernelINS0_14default_configENS1_38merge_sort_block_merge_config_selectorI14custom_numericNS0_10empty_typeEEEZZNS1_27merge_sort_block_merge_implIS3_N6thrust23THRUST_200600_302600_NS6detail15normal_iteratorINSA_10device_ptrIS5_EEEEPS6_m14custom_greaterIS5_EEE10hipError_tT0_T1_T2_jT3_P12ihipStream_tbPNSt15iterator_traitsISK_E10value_typeEPNSQ_ISL_E10value_typeEPSM_NS1_7vsmem_tEENKUlT_SK_SL_SM_E_clIPS5_SF_SG_SG_EESJ_SZ_SK_SL_SM_EUlSZ_E0_NS1_11comp_targetILNS1_3genE4ELNS1_11target_archE910ELNS1_3gpuE8ELNS1_3repE0EEENS1_38merge_mergepath_config_static_selectorELNS0_4arch9wavefront6targetE1EEEvSL_: ; @_ZN7rocprim17ROCPRIM_400000_NS6detail17trampoline_kernelINS0_14default_configENS1_38merge_sort_block_merge_config_selectorI14custom_numericNS0_10empty_typeEEEZZNS1_27merge_sort_block_merge_implIS3_N6thrust23THRUST_200600_302600_NS6detail15normal_iteratorINSA_10device_ptrIS5_EEEEPS6_m14custom_greaterIS5_EEE10hipError_tT0_T1_T2_jT3_P12ihipStream_tbPNSt15iterator_traitsISK_E10value_typeEPNSQ_ISL_E10value_typeEPSM_NS1_7vsmem_tEENKUlT_SK_SL_SM_E_clIPS5_SF_SG_SG_EESJ_SZ_SK_SL_SM_EUlSZ_E0_NS1_11comp_targetILNS1_3genE4ELNS1_11target_archE910ELNS1_3gpuE8ELNS1_3repE0EEENS1_38merge_mergepath_config_static_selectorELNS0_4arch9wavefront6targetE1EEEvSL_
; %bb.0:
	s_load_dwordx2 s[22:23], s[4:5], 0x48
	s_load_dword s0, s[4:5], 0x38
	s_add_u32 s20, s4, 0x48
	s_addc_u32 s21, s5, 0
	s_waitcnt lgkmcnt(0)
	s_mul_i32 s1, s23, s8
	s_add_i32 s1, s1, s7
	s_mul_i32 s1, s1, s22
	s_add_i32 s18, s1, s6
	s_cmp_ge_u32 s18, s0
	s_cbranch_scc1 .LBB3690_35
; %bb.1:
	s_load_dwordx2 s[0:1], s[4:5], 0x40
	s_load_dwordx4 s[12:15], s[4:5], 0x8
	s_load_dwordx4 s[8:11], s[4:5], 0x28
	s_mov_b32 s19, 0
	s_lshl_b64 s[2:3], s[18:19], 3
	s_waitcnt lgkmcnt(0)
	s_add_u32 s0, s0, s2
	s_addc_u32 s1, s1, s3
	v_mov_b32_e32 v1, s10
	v_alignbit_b32 v1, s11, v1, 8
	v_readfirstlane_b32 s4, v1
	s_and_b32 s4, s4, -2
	s_sub_i32 s30, 0, s4
	s_and_b32 s24, s18, s30
	s_mov_b32 s25, s19
	s_lshl_b64 s[4:5], s[24:25], 9
	s_lshl_b64 s[16:17], s[18:19], 9
	s_sub_u32 s7, s16, s4
	s_load_dwordx4 s[0:3], s[0:1], 0x0
	s_subb_u32 s23, s17, s5
	s_lshl_b64 s[24:25], s[24:25], 10
	s_add_u32 s24, s24, s10
	s_addc_u32 s25, s25, s11
	s_add_u32 s7, s24, s7
	s_addc_u32 s23, s25, s23
	s_waitcnt lgkmcnt(0)
	s_sub_u32 s26, s7, s2
	s_subb_u32 s3, s23, s3
	s_add_u32 s26, s26, 0x200
	s_addc_u32 s27, s3, 0
	v_pk_mov_b32 v[2:3], s[26:27], s[26:27] op_sel:[0,1]
	v_cmp_lt_u64_e32 vcc, s[8:9], v[2:3]
	s_and_b64 s[28:29], vcc, exec
	s_cselect_b32 s3, s8, s26
	s_or_b32 s26, s18, s30
	s_cmp_lg_u32 s26, -1
	s_cbranch_scc1 .LBB3690_3
; %bb.2:
	s_sub_u32 s4, s24, s4
	s_subb_u32 s5, s25, s5
	v_pk_mov_b32 v[2:3], s[4:5], s[4:5] op_sel:[0,1]
	v_cmp_lt_u64_e32 vcc, s[8:9], v[2:3]
	s_and_b64 s[2:3], vcc, exec
	s_cselect_b32 s2, s8, s4
	s_add_u32 s4, s4, s10
	s_addc_u32 s5, s5, s11
	v_pk_mov_b32 v[2:3], s[4:5], s[4:5] op_sel:[0,1]
	v_cmp_lt_u64_e32 vcc, s[8:9], v[2:3]
	s_and_b64 s[10:11], vcc, exec
	s_cselect_b32 s3, s8, s4
.LBB3690_3:
	s_lshr_b64 s[4:5], s[8:9], 9
	s_cmp_lg_u64 s[4:5], s[18:19]
	s_cselect_b64 s[10:11], -1, 0
	s_sub_u32 s24, s7, s0
	s_subb_u32 s25, s23, s1
	v_pk_mov_b32 v[2:3], s[24:25], s[24:25] op_sel:[0,1]
	v_cmp_lt_u64_e32 vcc, s[8:9], v[2:3]
	s_and_b64 s[26:27], vcc, exec
	s_cselect_b32 s7, s9, s25
	s_cselect_b32 s24, s8, s24
	s_sub_i32 s9, s2, s0
	s_mul_i32 s1, s1, 20
	s_mul_hi_u32 s2, s0, 20
	s_sub_i32 s23, s3, s24
	s_add_i32 s2, s2, s1
	s_mul_i32 s0, s0, 20
	s_add_u32 s0, s12, s0
	s_addc_u32 s1, s13, s2
	s_mul_i32 s7, s7, 20
	s_mul_hi_u32 s2, s24, 20
	s_add_i32 s3, s2, s7
	s_mul_i32 s24, s24, 20
	s_add_u32 s2, s12, s24
	s_addc_u32 s3, s13, s3
	s_cmp_lt_u32 s6, s22
	v_mov_b32_e32 v1, 0
	s_cselect_b32 s6, 12, 18
	global_load_dword v2, v1, s[20:21] offset:14
	s_add_u32 s6, s20, s6
	s_addc_u32 s7, s21, 0
	global_load_ushort v1, v1, s[6:7]
	s_cmp_eq_u64 s[4:5], s[18:19]
	s_waitcnt vmcnt(1)
	v_lshrrev_b32_e32 v3, 16, v2
	v_and_b32_e32 v2, 0xffff, v2
	v_mul_lo_u32 v2, v2, v3
	s_waitcnt vmcnt(0)
	v_mul_lo_u32 v1, v2, v1
	v_add_u32_e32 v5, v1, v0
	v_add_u32_e32 v3, v5, v1
	s_cbranch_scc1 .LBB3690_6
; %bb.4:
	v_subrev_u32_e32 v2, s9, v0
	v_mad_u64_u32 v[6:7], s[4:5], v0, 20, s[0:1]
	v_mad_u64_u32 v[8:9], s[4:5], v2, 20, s[2:3]
	v_cmp_gt_u32_e32 vcc, s9, v0
	v_cndmask_b32_e32 v7, v9, v7, vcc
	v_cndmask_b32_e32 v6, v8, v6, vcc
	v_subrev_u32_e32 v4, s9, v5
	global_load_dword v2, v[6:7], off
	v_mad_u64_u32 v[6:7], s[4:5], v5, 20, s[0:1]
	v_mad_u64_u32 v[8:9], s[4:5], v4, 20, s[2:3]
	v_cmp_gt_u32_e32 vcc, s9, v5
	v_cndmask_b32_e32 v7, v9, v7, vcc
	v_cndmask_b32_e32 v6, v8, v6, vcc
	v_subrev_u32_e32 v8, s9, v3
	global_load_dword v4, v[6:7], off
	v_mad_u64_u32 v[6:7], s[4:5], v3, 20, s[0:1]
	v_mad_u64_u32 v[8:9], s[4:5], v8, 20, s[2:3]
	v_cmp_gt_u32_e32 vcc, s9, v3
	v_cndmask_b32_e32 v7, v9, v7, vcc
	v_cndmask_b32_e32 v6, v8, v6, vcc
	global_load_dword v6, v[6:7], off
	v_add_u32_e32 v7, v3, v1
	s_add_i32 s12, s9, s23
	s_mov_b64 s[4:5], -1
	s_cbranch_execz .LBB3690_7
; %bb.5:
                                        ; implicit-def: $sgpr6
	v_mov_b32_e32 v5, s12
	v_mov_b32_e32 v8, s6
	s_and_saveexec_b64 s[6:7], s[4:5]
	s_cbranch_execnz .LBB3690_14
	s_branch .LBB3690_15
.LBB3690_6:
	s_mov_b64 s[4:5], 0
                                        ; implicit-def: $vgpr7
                                        ; implicit-def: $vgpr2
                                        ; implicit-def: $vgpr4
                                        ; implicit-def: $vgpr6
                                        ; implicit-def: $sgpr12
.LBB3690_7:
	s_add_i32 s12, s9, s23
	v_cmp_gt_u32_e32 vcc, s12, v0
	s_waitcnt vmcnt(1)
	v_mov_b32_e32 v4, 0
	v_mov_b32_e32 v2, 0
	s_and_saveexec_b64 s[4:5], vcc
	s_cbranch_execz .LBB3690_9
; %bb.8:
	v_subrev_u32_e32 v2, s9, v0
	s_waitcnt vmcnt(0)
	v_mad_u64_u32 v[6:7], s[6:7], v0, 20, s[0:1]
	v_mad_u64_u32 v[8:9], s[6:7], v2, 20, s[2:3]
	v_cmp_gt_u32_e32 vcc, s9, v0
	v_cndmask_b32_e32 v7, v9, v7, vcc
	v_cndmask_b32_e32 v6, v8, v6, vcc
	global_load_dword v2, v[6:7], off
.LBB3690_9:
	s_or_b64 exec, exec, s[4:5]
	v_cmp_gt_u32_e32 vcc, s12, v5
	s_and_saveexec_b64 s[4:5], vcc
	s_cbranch_execz .LBB3690_11
; %bb.10:
	v_subrev_u32_e32 v4, s9, v5
	s_waitcnt vmcnt(0)
	v_mad_u64_u32 v[6:7], s[6:7], v5, 20, s[0:1]
	v_mad_u64_u32 v[8:9], s[6:7], v4, 20, s[2:3]
	v_cmp_gt_u32_e32 vcc, s9, v5
	v_cndmask_b32_e32 v5, v9, v7, vcc
	v_cndmask_b32_e32 v4, v8, v6, vcc
	global_load_dword v4, v[4:5], off
.LBB3690_11:
	s_or_b64 exec, exec, s[4:5]
	v_cmp_gt_u32_e32 vcc, s12, v3
	s_waitcnt vmcnt(0)
	v_mov_b32_e32 v6, 0
	s_and_saveexec_b64 s[4:5], vcc
	s_cbranch_execz .LBB3690_13
; %bb.12:
	v_subrev_u32_e32 v5, s9, v3
	v_mad_u64_u32 v[6:7], s[6:7], v3, 20, s[0:1]
	v_mad_u64_u32 v[8:9], s[6:7], v5, 20, s[2:3]
	v_cmp_gt_u32_e32 vcc, s9, v3
	v_cndmask_b32_e32 v7, v9, v7, vcc
	v_cndmask_b32_e32 v6, v8, v6, vcc
	global_load_dword v6, v[6:7], off
.LBB3690_13:
	s_or_b64 exec, exec, s[4:5]
	v_add_u32_e32 v7, v3, v1
	v_cmp_gt_u32_e64 s[4:5], s12, v7
	s_mov_b32 s6, 0
	v_mov_b32_e32 v5, s12
	v_mov_b32_e32 v8, s6
	s_and_saveexec_b64 s[6:7], s[4:5]
	s_cbranch_execz .LBB3690_15
.LBB3690_14:
	v_subrev_u32_e32 v1, s9, v7
	v_mad_u64_u32 v[8:9], s[0:1], v7, 20, s[0:1]
	v_mad_u64_u32 v[10:11], s[0:1], v1, 20, s[2:3]
	v_cmp_gt_u32_e32 vcc, s9, v7
	v_cndmask_b32_e32 v9, v11, v9, vcc
	v_cndmask_b32_e32 v8, v10, v8, vcc
	global_load_dword v8, v[8:9], off
	v_mov_b32_e32 v5, s12
.LBB3690_15:
	s_or_b64 exec, exec, s[6:7]
	v_mov_b32_e32 v7, 0x1400
	v_mul_u32_u24_e32 v1, 20, v0
	v_mad_u32_u24 v7, v0, 20, v7
	s_waitcnt vmcnt(2)
	ds_write2_b32 v1, v2, v2 offset1:1
	ds_write2_b32 v1, v2, v2 offset0:2 offset1:3
	s_waitcnt vmcnt(0)
	ds_write2_b32 v7, v6, v6 offset1:1
	v_mov_b32_e32 v7, 0x1408
	v_mov_b32_e32 v3, 0xa00
	v_mad_u32_u24 v7, v0, 20, v7
	v_mad_u32_u24 v3, v0, 20, v3
	ds_write2_b32 v7, v6, v6 offset1:1
	v_mov_b32_e32 v7, 0x1e00
	ds_write2_b32 v3, v4, v4 offset1:1
	v_mov_b32_e32 v3, 0xa08
	v_mad_u32_u24 v7, v0, 20, v7
	v_mad_u32_u24 v3, v0, 20, v3
	ds_write2_b32 v7, v8, v8 offset1:1
	v_mov_b32_e32 v7, 0x1e08
	ds_write2_b32 v3, v4, v4 offset1:1
	v_add_u32_e32 v3, 16, v1
	v_mad_u32_u24 v7, v0, 20, v7
	ds_write2st64_b32 v3, v2, v4 offset1:10
	ds_write2_b32 v7, v8, v8 offset1:1
	ds_write2st64_b32 v3, v6, v8 offset0:20 offset1:30
	v_lshlrev_b32_e32 v3, 2, v0
	v_min_u32_e32 v9, v5, v3
	v_sub_u32_e64 v7, v9, s23 clamp
	v_min_u32_e32 v11, s9, v9
	v_cmp_lt_u32_e32 vcc, v7, v11
	s_waitcnt lgkmcnt(0)
	s_barrier
	s_and_saveexec_b64 s[0:1], vcc
	s_cbranch_execz .LBB3690_19
; %bb.16:
	s_mul_i32 s2, s9, 20
	v_mad_u32_u24 v10, v9, 20, s2
	s_mov_b64 s[2:3], 0
.LBB3690_17:                            ; =>This Inner Loop Header: Depth=1
	v_add_u32_e32 v12, v11, v7
	v_lshrrev_b32_e32 v14, 1, v12
	v_not_b32_e32 v12, v14
	v_mul_lo_u32 v15, v14, 20
	v_mad_u64_u32 v[12:13], s[4:5], v12, 20, v[10:11]
	ds_read_b32 v13, v15
	ds_read_b32 v12, v12
	v_add_u32_e32 v15, 1, v14
	s_waitcnt lgkmcnt(0)
	v_cmp_gt_i32_e32 vcc, v13, v12
	v_cndmask_b32_e32 v11, v11, v14, vcc
	v_cndmask_b32_e32 v7, v15, v7, vcc
	v_cmp_ge_u32_e32 vcc, v7, v11
	s_or_b64 s[2:3], vcc, s[2:3]
	s_andn2_b64 exec, exec, s[2:3]
	s_cbranch_execnz .LBB3690_17
; %bb.18:
	s_or_b64 exec, exec, s[2:3]
.LBB3690_19:
	s_or_b64 exec, exec, s[0:1]
	v_sub_u32_e32 v9, v9, v7
	v_add_u32_e32 v9, s9, v9
	v_cmp_ge_u32_e32 vcc, s9, v7
	v_cmp_le_u32_e64 s[0:1], v9, v5
	s_or_b64 s[0:1], vcc, s[0:1]
	s_and_saveexec_b64 s[12:13], s[0:1]
	s_cbranch_execz .LBB3690_25
; %bb.20:
	v_cmp_gt_u32_e32 vcc, s9, v7
	v_mov_b32_e32 v2, 0
	v_mov_b32_e32 v4, 0
	s_and_saveexec_b64 s[0:1], vcc
	s_cbranch_execz .LBB3690_22
; %bb.21:
	v_mul_lo_u32 v4, v7, 20
	ds_read_b32 v4, v4
.LBB3690_22:
	s_or_b64 exec, exec, s[0:1]
	v_cmp_ge_u32_e64 s[0:1], v9, v5
	v_cmp_lt_u32_e64 s[2:3], v9, v5
	s_and_saveexec_b64 s[4:5], s[2:3]
	s_cbranch_execz .LBB3690_24
; %bb.23:
	v_mul_lo_u32 v2, v9, 20
	ds_read_b32 v2, v2
.LBB3690_24:
	s_or_b64 exec, exec, s[4:5]
	s_waitcnt lgkmcnt(0)
	v_cmp_le_i32_e64 s[2:3], v4, v2
	s_and_b64 s[2:3], vcc, s[2:3]
	s_or_b64 vcc, s[0:1], s[2:3]
	v_mov_b32_e32 v8, s9
	v_cndmask_b32_e32 v6, v9, v7, vcc
	v_cndmask_b32_e32 v10, v5, v8, vcc
	v_add_u32_e32 v6, 1, v6
	v_add_u32_e32 v10, -1, v10
	v_min_u32_e32 v10, v6, v10
	v_mul_lo_u32 v10, v10, 20
	ds_read_b32 v10, v10
	v_cndmask_b32_e32 v9, v6, v9, vcc
	v_cndmask_b32_e32 v6, v7, v6, vcc
	v_cmp_gt_u32_e64 s[2:3], s9, v6
	v_cmp_ge_u32_e64 s[0:1], v9, v5
	s_waitcnt lgkmcnt(0)
	v_cndmask_b32_e32 v11, v10, v2, vcc
	v_cndmask_b32_e32 v10, v4, v10, vcc
	v_cmp_le_i32_e64 s[4:5], v10, v11
	s_and_b64 s[2:3], s[2:3], s[4:5]
	s_or_b64 s[0:1], s[0:1], s[2:3]
	v_cndmask_b32_e64 v7, v9, v6, s[0:1]
	v_cndmask_b32_e64 v12, v5, v8, s[0:1]
	v_add_u32_e32 v7, 1, v7
	v_add_u32_e32 v12, -1, v12
	v_min_u32_e32 v12, v7, v12
	v_mul_lo_u32 v12, v12, 20
	ds_read_b32 v12, v12
	v_cndmask_b32_e64 v9, v7, v9, s[0:1]
	v_cndmask_b32_e64 v7, v6, v7, s[0:1]
	v_cmp_gt_u32_e64 s[4:5], s9, v7
	v_cmp_ge_u32_e64 s[2:3], v9, v5
	s_waitcnt lgkmcnt(0)
	v_cndmask_b32_e64 v13, v12, v11, s[0:1]
	v_cndmask_b32_e64 v12, v10, v12, s[0:1]
	v_cmp_le_i32_e64 s[6:7], v12, v13
	s_and_b64 s[4:5], s[4:5], s[6:7]
	s_or_b64 s[2:3], s[2:3], s[4:5]
	v_cndmask_b32_e64 v6, v9, v7, s[2:3]
	v_cndmask_b32_e64 v8, v5, v8, s[2:3]
	v_add_u32_e32 v14, 1, v6
	v_add_u32_e32 v6, -1, v8
	v_min_u32_e32 v6, v14, v6
	v_mul_lo_u32 v6, v6, 20
	ds_read_b32 v8, v6
	v_cndmask_b32_e32 v2, v2, v4, vcc
	v_cndmask_b32_e64 v4, v11, v10, s[0:1]
	v_cndmask_b32_e64 v7, v7, v14, s[2:3]
	;; [unrolled: 1-line block ×3, first 2 shown]
	s_waitcnt lgkmcnt(0)
	v_cndmask_b32_e64 v10, v8, v13, s[2:3]
	v_cndmask_b32_e64 v8, v12, v8, s[2:3]
	;; [unrolled: 1-line block ×3, first 2 shown]
	v_cmp_gt_u32_e64 s[0:1], s9, v7
	v_cmp_le_i32_e64 s[2:3], v8, v10
	v_cmp_ge_u32_e32 vcc, v9, v5
	s_and_b64 s[0:1], s[0:1], s[2:3]
	s_or_b64 vcc, vcc, s[0:1]
	v_cndmask_b32_e32 v8, v10, v8, vcc
.LBB3690_25:
	s_or_b64 exec, exec, s[12:13]
	v_lshrrev_b32_e32 v5, 3, v0
	v_mul_u32_u24_e32 v3, 20, v3
	v_mad_u32_u24 v3, v5, 20, v3
	s_barrier
	s_barrier
	ds_write2_b32 v3, v2, v2 offset1:1
	ds_write2_b32 v3, v2, v2 offset0:2 offset1:3
	ds_write2_b32 v3, v4, v4 offset0:5 offset1:6
	;; [unrolled: 1-line block ×9, first 2 shown]
	v_lshrrev_b32_e32 v2, 5, v0
	v_or_b32_e32 v7, 0x80, v0
	s_mul_i32 s0, s17, 20
	s_mul_hi_u32 s1, s16, 20
	v_mad_u32_u24 v8, v2, 20, v1
	v_lshrrev_b32_e32 v2, 5, v7
	v_or_b32_e32 v5, 0x100, v0
	s_add_i32 s1, s1, s0
	s_mul_i32 s0, s16, 20
	v_mad_u32_u24 v4, v2, 20, v1
	v_lshrrev_b32_e32 v2, 5, v5
	v_or_b32_e32 v3, 0x180, v0
	s_add_u32 s0, s14, s0
	v_mad_u32_u24 v9, v2, 20, v1
	v_lshrrev_b32_e32 v2, 5, v3
	s_addc_u32 s1, s15, s1
	v_mad_u32_u24 v1, v2, 20, v1
	s_and_b64 vcc, exec, s[10:11]
	s_waitcnt lgkmcnt(0)
	s_cbranch_vccz .LBB3690_27
; %bb.26:
	s_barrier
	ds_read_b32 v10, v8
	ds_read_b32 v14, v4 offset:2560
	ds_read_b32 v18, v9 offset:5120
	;; [unrolled: 1-line block ×3, first 2 shown]
	v_mad_u64_u32 v[22:23], s[2:3], v0, 20, s[0:1]
	s_waitcnt lgkmcnt(3)
	v_mov_b32_e32 v11, v10
	v_mov_b32_e32 v12, v10
	;; [unrolled: 1-line block ×3, first 2 shown]
	global_store_dwordx4 v[22:23], v[10:13], off
	global_store_dword v[22:23], v10, off offset:16
	v_add_co_u32_e32 v10, vcc, 0x1000, v22
	s_waitcnt lgkmcnt(2)
	v_mov_b32_e32 v15, v14
	v_mov_b32_e32 v16, v14
	;; [unrolled: 1-line block ×3, first 2 shown]
	s_waitcnt lgkmcnt(1)
	v_mov_b32_e32 v19, v18
	v_mov_b32_e32 v20, v18
	;; [unrolled: 1-line block ×3, first 2 shown]
	v_addc_co_u32_e32 v11, vcc, 0, v23, vcc
	global_store_dwordx4 v[22:23], v[14:17], off offset:2560
	global_store_dword v[22:23], v14, off offset:2576
	global_store_dwordx4 v[10:11], v[18:21], off offset:1024
	global_store_dword v[10:11], v18, off offset:1040
	s_mov_b64 s[2:3], -1
	s_cbranch_execz .LBB3690_28
	s_branch .LBB3690_33
.LBB3690_27:
	s_mov_b64 s[2:3], 0
                                        ; implicit-def: $vgpr2
.LBB3690_28:
	s_barrier
	s_waitcnt lgkmcnt(0)
	ds_read_b32 v6, v4 offset:2560
	ds_read_b32 v4, v9 offset:5120
	;; [unrolled: 1-line block ×3, first 2 shown]
	s_sub_i32 s4, s8, s16
	v_mad_u64_u32 v[10:11], s[2:3], v0, 20, s[0:1]
	v_cmp_gt_u32_e32 vcc, s4, v0
	s_and_saveexec_b64 s[2:3], vcc
	s_cbranch_execnz .LBB3690_36
; %bb.29:
	s_or_b64 exec, exec, s[2:3]
	v_cmp_gt_u32_e32 vcc, s4, v7
	s_and_saveexec_b64 s[2:3], vcc
	s_cbranch_execnz .LBB3690_37
.LBB3690_30:
	s_or_b64 exec, exec, s[2:3]
	v_cmp_gt_u32_e32 vcc, s4, v5
	s_and_saveexec_b64 s[2:3], vcc
	s_cbranch_execz .LBB3690_32
.LBB3690_31:
	v_add_co_u32_e32 v8, vcc, 0x1000, v10
	s_waitcnt lgkmcnt(1)
	v_mov_b32_e32 v5, v4
	v_mov_b32_e32 v6, v4
	;; [unrolled: 1-line block ×3, first 2 shown]
	v_addc_co_u32_e32 v9, vcc, 0, v11, vcc
	global_store_dwordx4 v[8:9], v[4:7], off offset:1024
	global_store_dword v[8:9], v4, off offset:1040
.LBB3690_32:
	s_or_b64 exec, exec, s[2:3]
	v_cmp_gt_u32_e64 s[2:3], s4, v3
.LBB3690_33:
	s_and_saveexec_b64 s[4:5], s[2:3]
	s_cbranch_execz .LBB3690_35
; %bb.34:
	v_mad_u64_u32 v[0:1], s[0:1], v0, 20, s[0:1]
	v_add_co_u32_e32 v0, vcc, 0x1000, v0
	s_waitcnt lgkmcnt(0)
	v_mov_b32_e32 v3, v2
	v_mov_b32_e32 v4, v2
	;; [unrolled: 1-line block ×3, first 2 shown]
	v_addc_co_u32_e32 v1, vcc, 0, v1, vcc
	global_store_dwordx4 v[0:1], v[2:5], off offset:3584
	global_store_dword v[0:1], v2, off offset:3600
.LBB3690_35:
	s_endpgm
.LBB3690_36:
	ds_read_b32 v12, v8
	s_waitcnt lgkmcnt(0)
	v_mov_b32_e32 v13, v12
	v_mov_b32_e32 v14, v12
	;; [unrolled: 1-line block ×3, first 2 shown]
	global_store_dwordx4 v[10:11], v[12:15], off
	global_store_dword v[10:11], v12, off offset:16
	s_or_b64 exec, exec, s[2:3]
	v_cmp_gt_u32_e32 vcc, s4, v7
	s_and_saveexec_b64 s[2:3], vcc
	s_cbranch_execz .LBB3690_30
.LBB3690_37:
	s_waitcnt lgkmcnt(2)
	v_mov_b32_e32 v7, v6
	v_mov_b32_e32 v8, v6
	;; [unrolled: 1-line block ×3, first 2 shown]
	global_store_dwordx4 v[10:11], v[6:9], off offset:2560
	global_store_dword v[10:11], v6, off offset:2576
	s_or_b64 exec, exec, s[2:3]
	v_cmp_gt_u32_e32 vcc, s4, v5
	s_and_saveexec_b64 s[2:3], vcc
	s_cbranch_execnz .LBB3690_31
	s_branch .LBB3690_32
	.section	.rodata,"a",@progbits
	.p2align	6, 0x0
	.amdhsa_kernel _ZN7rocprim17ROCPRIM_400000_NS6detail17trampoline_kernelINS0_14default_configENS1_38merge_sort_block_merge_config_selectorI14custom_numericNS0_10empty_typeEEEZZNS1_27merge_sort_block_merge_implIS3_N6thrust23THRUST_200600_302600_NS6detail15normal_iteratorINSA_10device_ptrIS5_EEEEPS6_m14custom_greaterIS5_EEE10hipError_tT0_T1_T2_jT3_P12ihipStream_tbPNSt15iterator_traitsISK_E10value_typeEPNSQ_ISL_E10value_typeEPSM_NS1_7vsmem_tEENKUlT_SK_SL_SM_E_clIPS5_SF_SG_SG_EESJ_SZ_SK_SL_SM_EUlSZ_E0_NS1_11comp_targetILNS1_3genE4ELNS1_11target_archE910ELNS1_3gpuE8ELNS1_3repE0EEENS1_38merge_mergepath_config_static_selectorELNS0_4arch9wavefront6targetE1EEEvSL_
		.amdhsa_group_segment_fixed_size 10560
		.amdhsa_private_segment_fixed_size 0
		.amdhsa_kernarg_size 328
		.amdhsa_user_sgpr_count 6
		.amdhsa_user_sgpr_private_segment_buffer 1
		.amdhsa_user_sgpr_dispatch_ptr 0
		.amdhsa_user_sgpr_queue_ptr 0
		.amdhsa_user_sgpr_kernarg_segment_ptr 1
		.amdhsa_user_sgpr_dispatch_id 0
		.amdhsa_user_sgpr_flat_scratch_init 0
		.amdhsa_user_sgpr_kernarg_preload_length 0
		.amdhsa_user_sgpr_kernarg_preload_offset 0
		.amdhsa_user_sgpr_private_segment_size 0
		.amdhsa_uses_dynamic_stack 0
		.amdhsa_system_sgpr_private_segment_wavefront_offset 0
		.amdhsa_system_sgpr_workgroup_id_x 1
		.amdhsa_system_sgpr_workgroup_id_y 1
		.amdhsa_system_sgpr_workgroup_id_z 1
		.amdhsa_system_sgpr_workgroup_info 0
		.amdhsa_system_vgpr_workitem_id 0
		.amdhsa_next_free_vgpr 24
		.amdhsa_next_free_sgpr 31
		.amdhsa_accum_offset 24
		.amdhsa_reserve_vcc 1
		.amdhsa_reserve_flat_scratch 0
		.amdhsa_float_round_mode_32 0
		.amdhsa_float_round_mode_16_64 0
		.amdhsa_float_denorm_mode_32 3
		.amdhsa_float_denorm_mode_16_64 3
		.amdhsa_dx10_clamp 1
		.amdhsa_ieee_mode 1
		.amdhsa_fp16_overflow 0
		.amdhsa_tg_split 0
		.amdhsa_exception_fp_ieee_invalid_op 0
		.amdhsa_exception_fp_denorm_src 0
		.amdhsa_exception_fp_ieee_div_zero 0
		.amdhsa_exception_fp_ieee_overflow 0
		.amdhsa_exception_fp_ieee_underflow 0
		.amdhsa_exception_fp_ieee_inexact 0
		.amdhsa_exception_int_div_zero 0
	.end_amdhsa_kernel
	.section	.text._ZN7rocprim17ROCPRIM_400000_NS6detail17trampoline_kernelINS0_14default_configENS1_38merge_sort_block_merge_config_selectorI14custom_numericNS0_10empty_typeEEEZZNS1_27merge_sort_block_merge_implIS3_N6thrust23THRUST_200600_302600_NS6detail15normal_iteratorINSA_10device_ptrIS5_EEEEPS6_m14custom_greaterIS5_EEE10hipError_tT0_T1_T2_jT3_P12ihipStream_tbPNSt15iterator_traitsISK_E10value_typeEPNSQ_ISL_E10value_typeEPSM_NS1_7vsmem_tEENKUlT_SK_SL_SM_E_clIPS5_SF_SG_SG_EESJ_SZ_SK_SL_SM_EUlSZ_E0_NS1_11comp_targetILNS1_3genE4ELNS1_11target_archE910ELNS1_3gpuE8ELNS1_3repE0EEENS1_38merge_mergepath_config_static_selectorELNS0_4arch9wavefront6targetE1EEEvSL_,"axG",@progbits,_ZN7rocprim17ROCPRIM_400000_NS6detail17trampoline_kernelINS0_14default_configENS1_38merge_sort_block_merge_config_selectorI14custom_numericNS0_10empty_typeEEEZZNS1_27merge_sort_block_merge_implIS3_N6thrust23THRUST_200600_302600_NS6detail15normal_iteratorINSA_10device_ptrIS5_EEEEPS6_m14custom_greaterIS5_EEE10hipError_tT0_T1_T2_jT3_P12ihipStream_tbPNSt15iterator_traitsISK_E10value_typeEPNSQ_ISL_E10value_typeEPSM_NS1_7vsmem_tEENKUlT_SK_SL_SM_E_clIPS5_SF_SG_SG_EESJ_SZ_SK_SL_SM_EUlSZ_E0_NS1_11comp_targetILNS1_3genE4ELNS1_11target_archE910ELNS1_3gpuE8ELNS1_3repE0EEENS1_38merge_mergepath_config_static_selectorELNS0_4arch9wavefront6targetE1EEEvSL_,comdat
.Lfunc_end3690:
	.size	_ZN7rocprim17ROCPRIM_400000_NS6detail17trampoline_kernelINS0_14default_configENS1_38merge_sort_block_merge_config_selectorI14custom_numericNS0_10empty_typeEEEZZNS1_27merge_sort_block_merge_implIS3_N6thrust23THRUST_200600_302600_NS6detail15normal_iteratorINSA_10device_ptrIS5_EEEEPS6_m14custom_greaterIS5_EEE10hipError_tT0_T1_T2_jT3_P12ihipStream_tbPNSt15iterator_traitsISK_E10value_typeEPNSQ_ISL_E10value_typeEPSM_NS1_7vsmem_tEENKUlT_SK_SL_SM_E_clIPS5_SF_SG_SG_EESJ_SZ_SK_SL_SM_EUlSZ_E0_NS1_11comp_targetILNS1_3genE4ELNS1_11target_archE910ELNS1_3gpuE8ELNS1_3repE0EEENS1_38merge_mergepath_config_static_selectorELNS0_4arch9wavefront6targetE1EEEvSL_, .Lfunc_end3690-_ZN7rocprim17ROCPRIM_400000_NS6detail17trampoline_kernelINS0_14default_configENS1_38merge_sort_block_merge_config_selectorI14custom_numericNS0_10empty_typeEEEZZNS1_27merge_sort_block_merge_implIS3_N6thrust23THRUST_200600_302600_NS6detail15normal_iteratorINSA_10device_ptrIS5_EEEEPS6_m14custom_greaterIS5_EEE10hipError_tT0_T1_T2_jT3_P12ihipStream_tbPNSt15iterator_traitsISK_E10value_typeEPNSQ_ISL_E10value_typeEPSM_NS1_7vsmem_tEENKUlT_SK_SL_SM_E_clIPS5_SF_SG_SG_EESJ_SZ_SK_SL_SM_EUlSZ_E0_NS1_11comp_targetILNS1_3genE4ELNS1_11target_archE910ELNS1_3gpuE8ELNS1_3repE0EEENS1_38merge_mergepath_config_static_selectorELNS0_4arch9wavefront6targetE1EEEvSL_
                                        ; -- End function
	.section	.AMDGPU.csdata,"",@progbits
; Kernel info:
; codeLenInByte = 2424
; NumSgprs: 35
; NumVgprs: 24
; NumAgprs: 0
; TotalNumVgprs: 24
; ScratchSize: 0
; MemoryBound: 0
; FloatMode: 240
; IeeeMode: 1
; LDSByteSize: 10560 bytes/workgroup (compile time only)
; SGPRBlocks: 4
; VGPRBlocks: 2
; NumSGPRsForWavesPerEU: 35
; NumVGPRsForWavesPerEU: 24
; AccumOffset: 24
; Occupancy: 3
; WaveLimiterHint : 1
; COMPUTE_PGM_RSRC2:SCRATCH_EN: 0
; COMPUTE_PGM_RSRC2:USER_SGPR: 6
; COMPUTE_PGM_RSRC2:TRAP_HANDLER: 0
; COMPUTE_PGM_RSRC2:TGID_X_EN: 1
; COMPUTE_PGM_RSRC2:TGID_Y_EN: 1
; COMPUTE_PGM_RSRC2:TGID_Z_EN: 1
; COMPUTE_PGM_RSRC2:TIDIG_COMP_CNT: 0
; COMPUTE_PGM_RSRC3_GFX90A:ACCUM_OFFSET: 5
; COMPUTE_PGM_RSRC3_GFX90A:TG_SPLIT: 0
	.section	.text._ZN7rocprim17ROCPRIM_400000_NS6detail17trampoline_kernelINS0_14default_configENS1_38merge_sort_block_merge_config_selectorI14custom_numericNS0_10empty_typeEEEZZNS1_27merge_sort_block_merge_implIS3_N6thrust23THRUST_200600_302600_NS6detail15normal_iteratorINSA_10device_ptrIS5_EEEEPS6_m14custom_greaterIS5_EEE10hipError_tT0_T1_T2_jT3_P12ihipStream_tbPNSt15iterator_traitsISK_E10value_typeEPNSQ_ISL_E10value_typeEPSM_NS1_7vsmem_tEENKUlT_SK_SL_SM_E_clIPS5_SF_SG_SG_EESJ_SZ_SK_SL_SM_EUlSZ_E0_NS1_11comp_targetILNS1_3genE3ELNS1_11target_archE908ELNS1_3gpuE7ELNS1_3repE0EEENS1_38merge_mergepath_config_static_selectorELNS0_4arch9wavefront6targetE1EEEvSL_,"axG",@progbits,_ZN7rocprim17ROCPRIM_400000_NS6detail17trampoline_kernelINS0_14default_configENS1_38merge_sort_block_merge_config_selectorI14custom_numericNS0_10empty_typeEEEZZNS1_27merge_sort_block_merge_implIS3_N6thrust23THRUST_200600_302600_NS6detail15normal_iteratorINSA_10device_ptrIS5_EEEEPS6_m14custom_greaterIS5_EEE10hipError_tT0_T1_T2_jT3_P12ihipStream_tbPNSt15iterator_traitsISK_E10value_typeEPNSQ_ISL_E10value_typeEPSM_NS1_7vsmem_tEENKUlT_SK_SL_SM_E_clIPS5_SF_SG_SG_EESJ_SZ_SK_SL_SM_EUlSZ_E0_NS1_11comp_targetILNS1_3genE3ELNS1_11target_archE908ELNS1_3gpuE7ELNS1_3repE0EEENS1_38merge_mergepath_config_static_selectorELNS0_4arch9wavefront6targetE1EEEvSL_,comdat
	.protected	_ZN7rocprim17ROCPRIM_400000_NS6detail17trampoline_kernelINS0_14default_configENS1_38merge_sort_block_merge_config_selectorI14custom_numericNS0_10empty_typeEEEZZNS1_27merge_sort_block_merge_implIS3_N6thrust23THRUST_200600_302600_NS6detail15normal_iteratorINSA_10device_ptrIS5_EEEEPS6_m14custom_greaterIS5_EEE10hipError_tT0_T1_T2_jT3_P12ihipStream_tbPNSt15iterator_traitsISK_E10value_typeEPNSQ_ISL_E10value_typeEPSM_NS1_7vsmem_tEENKUlT_SK_SL_SM_E_clIPS5_SF_SG_SG_EESJ_SZ_SK_SL_SM_EUlSZ_E0_NS1_11comp_targetILNS1_3genE3ELNS1_11target_archE908ELNS1_3gpuE7ELNS1_3repE0EEENS1_38merge_mergepath_config_static_selectorELNS0_4arch9wavefront6targetE1EEEvSL_ ; -- Begin function _ZN7rocprim17ROCPRIM_400000_NS6detail17trampoline_kernelINS0_14default_configENS1_38merge_sort_block_merge_config_selectorI14custom_numericNS0_10empty_typeEEEZZNS1_27merge_sort_block_merge_implIS3_N6thrust23THRUST_200600_302600_NS6detail15normal_iteratorINSA_10device_ptrIS5_EEEEPS6_m14custom_greaterIS5_EEE10hipError_tT0_T1_T2_jT3_P12ihipStream_tbPNSt15iterator_traitsISK_E10value_typeEPNSQ_ISL_E10value_typeEPSM_NS1_7vsmem_tEENKUlT_SK_SL_SM_E_clIPS5_SF_SG_SG_EESJ_SZ_SK_SL_SM_EUlSZ_E0_NS1_11comp_targetILNS1_3genE3ELNS1_11target_archE908ELNS1_3gpuE7ELNS1_3repE0EEENS1_38merge_mergepath_config_static_selectorELNS0_4arch9wavefront6targetE1EEEvSL_
	.globl	_ZN7rocprim17ROCPRIM_400000_NS6detail17trampoline_kernelINS0_14default_configENS1_38merge_sort_block_merge_config_selectorI14custom_numericNS0_10empty_typeEEEZZNS1_27merge_sort_block_merge_implIS3_N6thrust23THRUST_200600_302600_NS6detail15normal_iteratorINSA_10device_ptrIS5_EEEEPS6_m14custom_greaterIS5_EEE10hipError_tT0_T1_T2_jT3_P12ihipStream_tbPNSt15iterator_traitsISK_E10value_typeEPNSQ_ISL_E10value_typeEPSM_NS1_7vsmem_tEENKUlT_SK_SL_SM_E_clIPS5_SF_SG_SG_EESJ_SZ_SK_SL_SM_EUlSZ_E0_NS1_11comp_targetILNS1_3genE3ELNS1_11target_archE908ELNS1_3gpuE7ELNS1_3repE0EEENS1_38merge_mergepath_config_static_selectorELNS0_4arch9wavefront6targetE1EEEvSL_
	.p2align	8
	.type	_ZN7rocprim17ROCPRIM_400000_NS6detail17trampoline_kernelINS0_14default_configENS1_38merge_sort_block_merge_config_selectorI14custom_numericNS0_10empty_typeEEEZZNS1_27merge_sort_block_merge_implIS3_N6thrust23THRUST_200600_302600_NS6detail15normal_iteratorINSA_10device_ptrIS5_EEEEPS6_m14custom_greaterIS5_EEE10hipError_tT0_T1_T2_jT3_P12ihipStream_tbPNSt15iterator_traitsISK_E10value_typeEPNSQ_ISL_E10value_typeEPSM_NS1_7vsmem_tEENKUlT_SK_SL_SM_E_clIPS5_SF_SG_SG_EESJ_SZ_SK_SL_SM_EUlSZ_E0_NS1_11comp_targetILNS1_3genE3ELNS1_11target_archE908ELNS1_3gpuE7ELNS1_3repE0EEENS1_38merge_mergepath_config_static_selectorELNS0_4arch9wavefront6targetE1EEEvSL_,@function
_ZN7rocprim17ROCPRIM_400000_NS6detail17trampoline_kernelINS0_14default_configENS1_38merge_sort_block_merge_config_selectorI14custom_numericNS0_10empty_typeEEEZZNS1_27merge_sort_block_merge_implIS3_N6thrust23THRUST_200600_302600_NS6detail15normal_iteratorINSA_10device_ptrIS5_EEEEPS6_m14custom_greaterIS5_EEE10hipError_tT0_T1_T2_jT3_P12ihipStream_tbPNSt15iterator_traitsISK_E10value_typeEPNSQ_ISL_E10value_typeEPSM_NS1_7vsmem_tEENKUlT_SK_SL_SM_E_clIPS5_SF_SG_SG_EESJ_SZ_SK_SL_SM_EUlSZ_E0_NS1_11comp_targetILNS1_3genE3ELNS1_11target_archE908ELNS1_3gpuE7ELNS1_3repE0EEENS1_38merge_mergepath_config_static_selectorELNS0_4arch9wavefront6targetE1EEEvSL_: ; @_ZN7rocprim17ROCPRIM_400000_NS6detail17trampoline_kernelINS0_14default_configENS1_38merge_sort_block_merge_config_selectorI14custom_numericNS0_10empty_typeEEEZZNS1_27merge_sort_block_merge_implIS3_N6thrust23THRUST_200600_302600_NS6detail15normal_iteratorINSA_10device_ptrIS5_EEEEPS6_m14custom_greaterIS5_EEE10hipError_tT0_T1_T2_jT3_P12ihipStream_tbPNSt15iterator_traitsISK_E10value_typeEPNSQ_ISL_E10value_typeEPSM_NS1_7vsmem_tEENKUlT_SK_SL_SM_E_clIPS5_SF_SG_SG_EESJ_SZ_SK_SL_SM_EUlSZ_E0_NS1_11comp_targetILNS1_3genE3ELNS1_11target_archE908ELNS1_3gpuE7ELNS1_3repE0EEENS1_38merge_mergepath_config_static_selectorELNS0_4arch9wavefront6targetE1EEEvSL_
; %bb.0:
	.section	.rodata,"a",@progbits
	.p2align	6, 0x0
	.amdhsa_kernel _ZN7rocprim17ROCPRIM_400000_NS6detail17trampoline_kernelINS0_14default_configENS1_38merge_sort_block_merge_config_selectorI14custom_numericNS0_10empty_typeEEEZZNS1_27merge_sort_block_merge_implIS3_N6thrust23THRUST_200600_302600_NS6detail15normal_iteratorINSA_10device_ptrIS5_EEEEPS6_m14custom_greaterIS5_EEE10hipError_tT0_T1_T2_jT3_P12ihipStream_tbPNSt15iterator_traitsISK_E10value_typeEPNSQ_ISL_E10value_typeEPSM_NS1_7vsmem_tEENKUlT_SK_SL_SM_E_clIPS5_SF_SG_SG_EESJ_SZ_SK_SL_SM_EUlSZ_E0_NS1_11comp_targetILNS1_3genE3ELNS1_11target_archE908ELNS1_3gpuE7ELNS1_3repE0EEENS1_38merge_mergepath_config_static_selectorELNS0_4arch9wavefront6targetE1EEEvSL_
		.amdhsa_group_segment_fixed_size 0
		.amdhsa_private_segment_fixed_size 0
		.amdhsa_kernarg_size 72
		.amdhsa_user_sgpr_count 6
		.amdhsa_user_sgpr_private_segment_buffer 1
		.amdhsa_user_sgpr_dispatch_ptr 0
		.amdhsa_user_sgpr_queue_ptr 0
		.amdhsa_user_sgpr_kernarg_segment_ptr 1
		.amdhsa_user_sgpr_dispatch_id 0
		.amdhsa_user_sgpr_flat_scratch_init 0
		.amdhsa_user_sgpr_kernarg_preload_length 0
		.amdhsa_user_sgpr_kernarg_preload_offset 0
		.amdhsa_user_sgpr_private_segment_size 0
		.amdhsa_uses_dynamic_stack 0
		.amdhsa_system_sgpr_private_segment_wavefront_offset 0
		.amdhsa_system_sgpr_workgroup_id_x 1
		.amdhsa_system_sgpr_workgroup_id_y 0
		.amdhsa_system_sgpr_workgroup_id_z 0
		.amdhsa_system_sgpr_workgroup_info 0
		.amdhsa_system_vgpr_workitem_id 0
		.amdhsa_next_free_vgpr 1
		.amdhsa_next_free_sgpr 0
		.amdhsa_accum_offset 4
		.amdhsa_reserve_vcc 0
		.amdhsa_reserve_flat_scratch 0
		.amdhsa_float_round_mode_32 0
		.amdhsa_float_round_mode_16_64 0
		.amdhsa_float_denorm_mode_32 3
		.amdhsa_float_denorm_mode_16_64 3
		.amdhsa_dx10_clamp 1
		.amdhsa_ieee_mode 1
		.amdhsa_fp16_overflow 0
		.amdhsa_tg_split 0
		.amdhsa_exception_fp_ieee_invalid_op 0
		.amdhsa_exception_fp_denorm_src 0
		.amdhsa_exception_fp_ieee_div_zero 0
		.amdhsa_exception_fp_ieee_overflow 0
		.amdhsa_exception_fp_ieee_underflow 0
		.amdhsa_exception_fp_ieee_inexact 0
		.amdhsa_exception_int_div_zero 0
	.end_amdhsa_kernel
	.section	.text._ZN7rocprim17ROCPRIM_400000_NS6detail17trampoline_kernelINS0_14default_configENS1_38merge_sort_block_merge_config_selectorI14custom_numericNS0_10empty_typeEEEZZNS1_27merge_sort_block_merge_implIS3_N6thrust23THRUST_200600_302600_NS6detail15normal_iteratorINSA_10device_ptrIS5_EEEEPS6_m14custom_greaterIS5_EEE10hipError_tT0_T1_T2_jT3_P12ihipStream_tbPNSt15iterator_traitsISK_E10value_typeEPNSQ_ISL_E10value_typeEPSM_NS1_7vsmem_tEENKUlT_SK_SL_SM_E_clIPS5_SF_SG_SG_EESJ_SZ_SK_SL_SM_EUlSZ_E0_NS1_11comp_targetILNS1_3genE3ELNS1_11target_archE908ELNS1_3gpuE7ELNS1_3repE0EEENS1_38merge_mergepath_config_static_selectorELNS0_4arch9wavefront6targetE1EEEvSL_,"axG",@progbits,_ZN7rocprim17ROCPRIM_400000_NS6detail17trampoline_kernelINS0_14default_configENS1_38merge_sort_block_merge_config_selectorI14custom_numericNS0_10empty_typeEEEZZNS1_27merge_sort_block_merge_implIS3_N6thrust23THRUST_200600_302600_NS6detail15normal_iteratorINSA_10device_ptrIS5_EEEEPS6_m14custom_greaterIS5_EEE10hipError_tT0_T1_T2_jT3_P12ihipStream_tbPNSt15iterator_traitsISK_E10value_typeEPNSQ_ISL_E10value_typeEPSM_NS1_7vsmem_tEENKUlT_SK_SL_SM_E_clIPS5_SF_SG_SG_EESJ_SZ_SK_SL_SM_EUlSZ_E0_NS1_11comp_targetILNS1_3genE3ELNS1_11target_archE908ELNS1_3gpuE7ELNS1_3repE0EEENS1_38merge_mergepath_config_static_selectorELNS0_4arch9wavefront6targetE1EEEvSL_,comdat
.Lfunc_end3691:
	.size	_ZN7rocprim17ROCPRIM_400000_NS6detail17trampoline_kernelINS0_14default_configENS1_38merge_sort_block_merge_config_selectorI14custom_numericNS0_10empty_typeEEEZZNS1_27merge_sort_block_merge_implIS3_N6thrust23THRUST_200600_302600_NS6detail15normal_iteratorINSA_10device_ptrIS5_EEEEPS6_m14custom_greaterIS5_EEE10hipError_tT0_T1_T2_jT3_P12ihipStream_tbPNSt15iterator_traitsISK_E10value_typeEPNSQ_ISL_E10value_typeEPSM_NS1_7vsmem_tEENKUlT_SK_SL_SM_E_clIPS5_SF_SG_SG_EESJ_SZ_SK_SL_SM_EUlSZ_E0_NS1_11comp_targetILNS1_3genE3ELNS1_11target_archE908ELNS1_3gpuE7ELNS1_3repE0EEENS1_38merge_mergepath_config_static_selectorELNS0_4arch9wavefront6targetE1EEEvSL_, .Lfunc_end3691-_ZN7rocprim17ROCPRIM_400000_NS6detail17trampoline_kernelINS0_14default_configENS1_38merge_sort_block_merge_config_selectorI14custom_numericNS0_10empty_typeEEEZZNS1_27merge_sort_block_merge_implIS3_N6thrust23THRUST_200600_302600_NS6detail15normal_iteratorINSA_10device_ptrIS5_EEEEPS6_m14custom_greaterIS5_EEE10hipError_tT0_T1_T2_jT3_P12ihipStream_tbPNSt15iterator_traitsISK_E10value_typeEPNSQ_ISL_E10value_typeEPSM_NS1_7vsmem_tEENKUlT_SK_SL_SM_E_clIPS5_SF_SG_SG_EESJ_SZ_SK_SL_SM_EUlSZ_E0_NS1_11comp_targetILNS1_3genE3ELNS1_11target_archE908ELNS1_3gpuE7ELNS1_3repE0EEENS1_38merge_mergepath_config_static_selectorELNS0_4arch9wavefront6targetE1EEEvSL_
                                        ; -- End function
	.section	.AMDGPU.csdata,"",@progbits
; Kernel info:
; codeLenInByte = 0
; NumSgprs: 4
; NumVgprs: 0
; NumAgprs: 0
; TotalNumVgprs: 0
; ScratchSize: 0
; MemoryBound: 0
; FloatMode: 240
; IeeeMode: 1
; LDSByteSize: 0 bytes/workgroup (compile time only)
; SGPRBlocks: 0
; VGPRBlocks: 0
; NumSGPRsForWavesPerEU: 4
; NumVGPRsForWavesPerEU: 1
; AccumOffset: 4
; Occupancy: 8
; WaveLimiterHint : 0
; COMPUTE_PGM_RSRC2:SCRATCH_EN: 0
; COMPUTE_PGM_RSRC2:USER_SGPR: 6
; COMPUTE_PGM_RSRC2:TRAP_HANDLER: 0
; COMPUTE_PGM_RSRC2:TGID_X_EN: 1
; COMPUTE_PGM_RSRC2:TGID_Y_EN: 0
; COMPUTE_PGM_RSRC2:TGID_Z_EN: 0
; COMPUTE_PGM_RSRC2:TIDIG_COMP_CNT: 0
; COMPUTE_PGM_RSRC3_GFX90A:ACCUM_OFFSET: 0
; COMPUTE_PGM_RSRC3_GFX90A:TG_SPLIT: 0
	.section	.text._ZN7rocprim17ROCPRIM_400000_NS6detail17trampoline_kernelINS0_14default_configENS1_38merge_sort_block_merge_config_selectorI14custom_numericNS0_10empty_typeEEEZZNS1_27merge_sort_block_merge_implIS3_N6thrust23THRUST_200600_302600_NS6detail15normal_iteratorINSA_10device_ptrIS5_EEEEPS6_m14custom_greaterIS5_EEE10hipError_tT0_T1_T2_jT3_P12ihipStream_tbPNSt15iterator_traitsISK_E10value_typeEPNSQ_ISL_E10value_typeEPSM_NS1_7vsmem_tEENKUlT_SK_SL_SM_E_clIPS5_SF_SG_SG_EESJ_SZ_SK_SL_SM_EUlSZ_E0_NS1_11comp_targetILNS1_3genE2ELNS1_11target_archE906ELNS1_3gpuE6ELNS1_3repE0EEENS1_38merge_mergepath_config_static_selectorELNS0_4arch9wavefront6targetE1EEEvSL_,"axG",@progbits,_ZN7rocprim17ROCPRIM_400000_NS6detail17trampoline_kernelINS0_14default_configENS1_38merge_sort_block_merge_config_selectorI14custom_numericNS0_10empty_typeEEEZZNS1_27merge_sort_block_merge_implIS3_N6thrust23THRUST_200600_302600_NS6detail15normal_iteratorINSA_10device_ptrIS5_EEEEPS6_m14custom_greaterIS5_EEE10hipError_tT0_T1_T2_jT3_P12ihipStream_tbPNSt15iterator_traitsISK_E10value_typeEPNSQ_ISL_E10value_typeEPSM_NS1_7vsmem_tEENKUlT_SK_SL_SM_E_clIPS5_SF_SG_SG_EESJ_SZ_SK_SL_SM_EUlSZ_E0_NS1_11comp_targetILNS1_3genE2ELNS1_11target_archE906ELNS1_3gpuE6ELNS1_3repE0EEENS1_38merge_mergepath_config_static_selectorELNS0_4arch9wavefront6targetE1EEEvSL_,comdat
	.protected	_ZN7rocprim17ROCPRIM_400000_NS6detail17trampoline_kernelINS0_14default_configENS1_38merge_sort_block_merge_config_selectorI14custom_numericNS0_10empty_typeEEEZZNS1_27merge_sort_block_merge_implIS3_N6thrust23THRUST_200600_302600_NS6detail15normal_iteratorINSA_10device_ptrIS5_EEEEPS6_m14custom_greaterIS5_EEE10hipError_tT0_T1_T2_jT3_P12ihipStream_tbPNSt15iterator_traitsISK_E10value_typeEPNSQ_ISL_E10value_typeEPSM_NS1_7vsmem_tEENKUlT_SK_SL_SM_E_clIPS5_SF_SG_SG_EESJ_SZ_SK_SL_SM_EUlSZ_E0_NS1_11comp_targetILNS1_3genE2ELNS1_11target_archE906ELNS1_3gpuE6ELNS1_3repE0EEENS1_38merge_mergepath_config_static_selectorELNS0_4arch9wavefront6targetE1EEEvSL_ ; -- Begin function _ZN7rocprim17ROCPRIM_400000_NS6detail17trampoline_kernelINS0_14default_configENS1_38merge_sort_block_merge_config_selectorI14custom_numericNS0_10empty_typeEEEZZNS1_27merge_sort_block_merge_implIS3_N6thrust23THRUST_200600_302600_NS6detail15normal_iteratorINSA_10device_ptrIS5_EEEEPS6_m14custom_greaterIS5_EEE10hipError_tT0_T1_T2_jT3_P12ihipStream_tbPNSt15iterator_traitsISK_E10value_typeEPNSQ_ISL_E10value_typeEPSM_NS1_7vsmem_tEENKUlT_SK_SL_SM_E_clIPS5_SF_SG_SG_EESJ_SZ_SK_SL_SM_EUlSZ_E0_NS1_11comp_targetILNS1_3genE2ELNS1_11target_archE906ELNS1_3gpuE6ELNS1_3repE0EEENS1_38merge_mergepath_config_static_selectorELNS0_4arch9wavefront6targetE1EEEvSL_
	.globl	_ZN7rocprim17ROCPRIM_400000_NS6detail17trampoline_kernelINS0_14default_configENS1_38merge_sort_block_merge_config_selectorI14custom_numericNS0_10empty_typeEEEZZNS1_27merge_sort_block_merge_implIS3_N6thrust23THRUST_200600_302600_NS6detail15normal_iteratorINSA_10device_ptrIS5_EEEEPS6_m14custom_greaterIS5_EEE10hipError_tT0_T1_T2_jT3_P12ihipStream_tbPNSt15iterator_traitsISK_E10value_typeEPNSQ_ISL_E10value_typeEPSM_NS1_7vsmem_tEENKUlT_SK_SL_SM_E_clIPS5_SF_SG_SG_EESJ_SZ_SK_SL_SM_EUlSZ_E0_NS1_11comp_targetILNS1_3genE2ELNS1_11target_archE906ELNS1_3gpuE6ELNS1_3repE0EEENS1_38merge_mergepath_config_static_selectorELNS0_4arch9wavefront6targetE1EEEvSL_
	.p2align	8
	.type	_ZN7rocprim17ROCPRIM_400000_NS6detail17trampoline_kernelINS0_14default_configENS1_38merge_sort_block_merge_config_selectorI14custom_numericNS0_10empty_typeEEEZZNS1_27merge_sort_block_merge_implIS3_N6thrust23THRUST_200600_302600_NS6detail15normal_iteratorINSA_10device_ptrIS5_EEEEPS6_m14custom_greaterIS5_EEE10hipError_tT0_T1_T2_jT3_P12ihipStream_tbPNSt15iterator_traitsISK_E10value_typeEPNSQ_ISL_E10value_typeEPSM_NS1_7vsmem_tEENKUlT_SK_SL_SM_E_clIPS5_SF_SG_SG_EESJ_SZ_SK_SL_SM_EUlSZ_E0_NS1_11comp_targetILNS1_3genE2ELNS1_11target_archE906ELNS1_3gpuE6ELNS1_3repE0EEENS1_38merge_mergepath_config_static_selectorELNS0_4arch9wavefront6targetE1EEEvSL_,@function
_ZN7rocprim17ROCPRIM_400000_NS6detail17trampoline_kernelINS0_14default_configENS1_38merge_sort_block_merge_config_selectorI14custom_numericNS0_10empty_typeEEEZZNS1_27merge_sort_block_merge_implIS3_N6thrust23THRUST_200600_302600_NS6detail15normal_iteratorINSA_10device_ptrIS5_EEEEPS6_m14custom_greaterIS5_EEE10hipError_tT0_T1_T2_jT3_P12ihipStream_tbPNSt15iterator_traitsISK_E10value_typeEPNSQ_ISL_E10value_typeEPSM_NS1_7vsmem_tEENKUlT_SK_SL_SM_E_clIPS5_SF_SG_SG_EESJ_SZ_SK_SL_SM_EUlSZ_E0_NS1_11comp_targetILNS1_3genE2ELNS1_11target_archE906ELNS1_3gpuE6ELNS1_3repE0EEENS1_38merge_mergepath_config_static_selectorELNS0_4arch9wavefront6targetE1EEEvSL_: ; @_ZN7rocprim17ROCPRIM_400000_NS6detail17trampoline_kernelINS0_14default_configENS1_38merge_sort_block_merge_config_selectorI14custom_numericNS0_10empty_typeEEEZZNS1_27merge_sort_block_merge_implIS3_N6thrust23THRUST_200600_302600_NS6detail15normal_iteratorINSA_10device_ptrIS5_EEEEPS6_m14custom_greaterIS5_EEE10hipError_tT0_T1_T2_jT3_P12ihipStream_tbPNSt15iterator_traitsISK_E10value_typeEPNSQ_ISL_E10value_typeEPSM_NS1_7vsmem_tEENKUlT_SK_SL_SM_E_clIPS5_SF_SG_SG_EESJ_SZ_SK_SL_SM_EUlSZ_E0_NS1_11comp_targetILNS1_3genE2ELNS1_11target_archE906ELNS1_3gpuE6ELNS1_3repE0EEENS1_38merge_mergepath_config_static_selectorELNS0_4arch9wavefront6targetE1EEEvSL_
; %bb.0:
	.section	.rodata,"a",@progbits
	.p2align	6, 0x0
	.amdhsa_kernel _ZN7rocprim17ROCPRIM_400000_NS6detail17trampoline_kernelINS0_14default_configENS1_38merge_sort_block_merge_config_selectorI14custom_numericNS0_10empty_typeEEEZZNS1_27merge_sort_block_merge_implIS3_N6thrust23THRUST_200600_302600_NS6detail15normal_iteratorINSA_10device_ptrIS5_EEEEPS6_m14custom_greaterIS5_EEE10hipError_tT0_T1_T2_jT3_P12ihipStream_tbPNSt15iterator_traitsISK_E10value_typeEPNSQ_ISL_E10value_typeEPSM_NS1_7vsmem_tEENKUlT_SK_SL_SM_E_clIPS5_SF_SG_SG_EESJ_SZ_SK_SL_SM_EUlSZ_E0_NS1_11comp_targetILNS1_3genE2ELNS1_11target_archE906ELNS1_3gpuE6ELNS1_3repE0EEENS1_38merge_mergepath_config_static_selectorELNS0_4arch9wavefront6targetE1EEEvSL_
		.amdhsa_group_segment_fixed_size 0
		.amdhsa_private_segment_fixed_size 0
		.amdhsa_kernarg_size 72
		.amdhsa_user_sgpr_count 6
		.amdhsa_user_sgpr_private_segment_buffer 1
		.amdhsa_user_sgpr_dispatch_ptr 0
		.amdhsa_user_sgpr_queue_ptr 0
		.amdhsa_user_sgpr_kernarg_segment_ptr 1
		.amdhsa_user_sgpr_dispatch_id 0
		.amdhsa_user_sgpr_flat_scratch_init 0
		.amdhsa_user_sgpr_kernarg_preload_length 0
		.amdhsa_user_sgpr_kernarg_preload_offset 0
		.amdhsa_user_sgpr_private_segment_size 0
		.amdhsa_uses_dynamic_stack 0
		.amdhsa_system_sgpr_private_segment_wavefront_offset 0
		.amdhsa_system_sgpr_workgroup_id_x 1
		.amdhsa_system_sgpr_workgroup_id_y 0
		.amdhsa_system_sgpr_workgroup_id_z 0
		.amdhsa_system_sgpr_workgroup_info 0
		.amdhsa_system_vgpr_workitem_id 0
		.amdhsa_next_free_vgpr 1
		.amdhsa_next_free_sgpr 0
		.amdhsa_accum_offset 4
		.amdhsa_reserve_vcc 0
		.amdhsa_reserve_flat_scratch 0
		.amdhsa_float_round_mode_32 0
		.amdhsa_float_round_mode_16_64 0
		.amdhsa_float_denorm_mode_32 3
		.amdhsa_float_denorm_mode_16_64 3
		.amdhsa_dx10_clamp 1
		.amdhsa_ieee_mode 1
		.amdhsa_fp16_overflow 0
		.amdhsa_tg_split 0
		.amdhsa_exception_fp_ieee_invalid_op 0
		.amdhsa_exception_fp_denorm_src 0
		.amdhsa_exception_fp_ieee_div_zero 0
		.amdhsa_exception_fp_ieee_overflow 0
		.amdhsa_exception_fp_ieee_underflow 0
		.amdhsa_exception_fp_ieee_inexact 0
		.amdhsa_exception_int_div_zero 0
	.end_amdhsa_kernel
	.section	.text._ZN7rocprim17ROCPRIM_400000_NS6detail17trampoline_kernelINS0_14default_configENS1_38merge_sort_block_merge_config_selectorI14custom_numericNS0_10empty_typeEEEZZNS1_27merge_sort_block_merge_implIS3_N6thrust23THRUST_200600_302600_NS6detail15normal_iteratorINSA_10device_ptrIS5_EEEEPS6_m14custom_greaterIS5_EEE10hipError_tT0_T1_T2_jT3_P12ihipStream_tbPNSt15iterator_traitsISK_E10value_typeEPNSQ_ISL_E10value_typeEPSM_NS1_7vsmem_tEENKUlT_SK_SL_SM_E_clIPS5_SF_SG_SG_EESJ_SZ_SK_SL_SM_EUlSZ_E0_NS1_11comp_targetILNS1_3genE2ELNS1_11target_archE906ELNS1_3gpuE6ELNS1_3repE0EEENS1_38merge_mergepath_config_static_selectorELNS0_4arch9wavefront6targetE1EEEvSL_,"axG",@progbits,_ZN7rocprim17ROCPRIM_400000_NS6detail17trampoline_kernelINS0_14default_configENS1_38merge_sort_block_merge_config_selectorI14custom_numericNS0_10empty_typeEEEZZNS1_27merge_sort_block_merge_implIS3_N6thrust23THRUST_200600_302600_NS6detail15normal_iteratorINSA_10device_ptrIS5_EEEEPS6_m14custom_greaterIS5_EEE10hipError_tT0_T1_T2_jT3_P12ihipStream_tbPNSt15iterator_traitsISK_E10value_typeEPNSQ_ISL_E10value_typeEPSM_NS1_7vsmem_tEENKUlT_SK_SL_SM_E_clIPS5_SF_SG_SG_EESJ_SZ_SK_SL_SM_EUlSZ_E0_NS1_11comp_targetILNS1_3genE2ELNS1_11target_archE906ELNS1_3gpuE6ELNS1_3repE0EEENS1_38merge_mergepath_config_static_selectorELNS0_4arch9wavefront6targetE1EEEvSL_,comdat
.Lfunc_end3692:
	.size	_ZN7rocprim17ROCPRIM_400000_NS6detail17trampoline_kernelINS0_14default_configENS1_38merge_sort_block_merge_config_selectorI14custom_numericNS0_10empty_typeEEEZZNS1_27merge_sort_block_merge_implIS3_N6thrust23THRUST_200600_302600_NS6detail15normal_iteratorINSA_10device_ptrIS5_EEEEPS6_m14custom_greaterIS5_EEE10hipError_tT0_T1_T2_jT3_P12ihipStream_tbPNSt15iterator_traitsISK_E10value_typeEPNSQ_ISL_E10value_typeEPSM_NS1_7vsmem_tEENKUlT_SK_SL_SM_E_clIPS5_SF_SG_SG_EESJ_SZ_SK_SL_SM_EUlSZ_E0_NS1_11comp_targetILNS1_3genE2ELNS1_11target_archE906ELNS1_3gpuE6ELNS1_3repE0EEENS1_38merge_mergepath_config_static_selectorELNS0_4arch9wavefront6targetE1EEEvSL_, .Lfunc_end3692-_ZN7rocprim17ROCPRIM_400000_NS6detail17trampoline_kernelINS0_14default_configENS1_38merge_sort_block_merge_config_selectorI14custom_numericNS0_10empty_typeEEEZZNS1_27merge_sort_block_merge_implIS3_N6thrust23THRUST_200600_302600_NS6detail15normal_iteratorINSA_10device_ptrIS5_EEEEPS6_m14custom_greaterIS5_EEE10hipError_tT0_T1_T2_jT3_P12ihipStream_tbPNSt15iterator_traitsISK_E10value_typeEPNSQ_ISL_E10value_typeEPSM_NS1_7vsmem_tEENKUlT_SK_SL_SM_E_clIPS5_SF_SG_SG_EESJ_SZ_SK_SL_SM_EUlSZ_E0_NS1_11comp_targetILNS1_3genE2ELNS1_11target_archE906ELNS1_3gpuE6ELNS1_3repE0EEENS1_38merge_mergepath_config_static_selectorELNS0_4arch9wavefront6targetE1EEEvSL_
                                        ; -- End function
	.section	.AMDGPU.csdata,"",@progbits
; Kernel info:
; codeLenInByte = 0
; NumSgprs: 4
; NumVgprs: 0
; NumAgprs: 0
; TotalNumVgprs: 0
; ScratchSize: 0
; MemoryBound: 0
; FloatMode: 240
; IeeeMode: 1
; LDSByteSize: 0 bytes/workgroup (compile time only)
; SGPRBlocks: 0
; VGPRBlocks: 0
; NumSGPRsForWavesPerEU: 4
; NumVGPRsForWavesPerEU: 1
; AccumOffset: 4
; Occupancy: 8
; WaveLimiterHint : 0
; COMPUTE_PGM_RSRC2:SCRATCH_EN: 0
; COMPUTE_PGM_RSRC2:USER_SGPR: 6
; COMPUTE_PGM_RSRC2:TRAP_HANDLER: 0
; COMPUTE_PGM_RSRC2:TGID_X_EN: 1
; COMPUTE_PGM_RSRC2:TGID_Y_EN: 0
; COMPUTE_PGM_RSRC2:TGID_Z_EN: 0
; COMPUTE_PGM_RSRC2:TIDIG_COMP_CNT: 0
; COMPUTE_PGM_RSRC3_GFX90A:ACCUM_OFFSET: 0
; COMPUTE_PGM_RSRC3_GFX90A:TG_SPLIT: 0
	.section	.text._ZN7rocprim17ROCPRIM_400000_NS6detail17trampoline_kernelINS0_14default_configENS1_38merge_sort_block_merge_config_selectorI14custom_numericNS0_10empty_typeEEEZZNS1_27merge_sort_block_merge_implIS3_N6thrust23THRUST_200600_302600_NS6detail15normal_iteratorINSA_10device_ptrIS5_EEEEPS6_m14custom_greaterIS5_EEE10hipError_tT0_T1_T2_jT3_P12ihipStream_tbPNSt15iterator_traitsISK_E10value_typeEPNSQ_ISL_E10value_typeEPSM_NS1_7vsmem_tEENKUlT_SK_SL_SM_E_clIPS5_SF_SG_SG_EESJ_SZ_SK_SL_SM_EUlSZ_E0_NS1_11comp_targetILNS1_3genE9ELNS1_11target_archE1100ELNS1_3gpuE3ELNS1_3repE0EEENS1_38merge_mergepath_config_static_selectorELNS0_4arch9wavefront6targetE1EEEvSL_,"axG",@progbits,_ZN7rocprim17ROCPRIM_400000_NS6detail17trampoline_kernelINS0_14default_configENS1_38merge_sort_block_merge_config_selectorI14custom_numericNS0_10empty_typeEEEZZNS1_27merge_sort_block_merge_implIS3_N6thrust23THRUST_200600_302600_NS6detail15normal_iteratorINSA_10device_ptrIS5_EEEEPS6_m14custom_greaterIS5_EEE10hipError_tT0_T1_T2_jT3_P12ihipStream_tbPNSt15iterator_traitsISK_E10value_typeEPNSQ_ISL_E10value_typeEPSM_NS1_7vsmem_tEENKUlT_SK_SL_SM_E_clIPS5_SF_SG_SG_EESJ_SZ_SK_SL_SM_EUlSZ_E0_NS1_11comp_targetILNS1_3genE9ELNS1_11target_archE1100ELNS1_3gpuE3ELNS1_3repE0EEENS1_38merge_mergepath_config_static_selectorELNS0_4arch9wavefront6targetE1EEEvSL_,comdat
	.protected	_ZN7rocprim17ROCPRIM_400000_NS6detail17trampoline_kernelINS0_14default_configENS1_38merge_sort_block_merge_config_selectorI14custom_numericNS0_10empty_typeEEEZZNS1_27merge_sort_block_merge_implIS3_N6thrust23THRUST_200600_302600_NS6detail15normal_iteratorINSA_10device_ptrIS5_EEEEPS6_m14custom_greaterIS5_EEE10hipError_tT0_T1_T2_jT3_P12ihipStream_tbPNSt15iterator_traitsISK_E10value_typeEPNSQ_ISL_E10value_typeEPSM_NS1_7vsmem_tEENKUlT_SK_SL_SM_E_clIPS5_SF_SG_SG_EESJ_SZ_SK_SL_SM_EUlSZ_E0_NS1_11comp_targetILNS1_3genE9ELNS1_11target_archE1100ELNS1_3gpuE3ELNS1_3repE0EEENS1_38merge_mergepath_config_static_selectorELNS0_4arch9wavefront6targetE1EEEvSL_ ; -- Begin function _ZN7rocprim17ROCPRIM_400000_NS6detail17trampoline_kernelINS0_14default_configENS1_38merge_sort_block_merge_config_selectorI14custom_numericNS0_10empty_typeEEEZZNS1_27merge_sort_block_merge_implIS3_N6thrust23THRUST_200600_302600_NS6detail15normal_iteratorINSA_10device_ptrIS5_EEEEPS6_m14custom_greaterIS5_EEE10hipError_tT0_T1_T2_jT3_P12ihipStream_tbPNSt15iterator_traitsISK_E10value_typeEPNSQ_ISL_E10value_typeEPSM_NS1_7vsmem_tEENKUlT_SK_SL_SM_E_clIPS5_SF_SG_SG_EESJ_SZ_SK_SL_SM_EUlSZ_E0_NS1_11comp_targetILNS1_3genE9ELNS1_11target_archE1100ELNS1_3gpuE3ELNS1_3repE0EEENS1_38merge_mergepath_config_static_selectorELNS0_4arch9wavefront6targetE1EEEvSL_
	.globl	_ZN7rocprim17ROCPRIM_400000_NS6detail17trampoline_kernelINS0_14default_configENS1_38merge_sort_block_merge_config_selectorI14custom_numericNS0_10empty_typeEEEZZNS1_27merge_sort_block_merge_implIS3_N6thrust23THRUST_200600_302600_NS6detail15normal_iteratorINSA_10device_ptrIS5_EEEEPS6_m14custom_greaterIS5_EEE10hipError_tT0_T1_T2_jT3_P12ihipStream_tbPNSt15iterator_traitsISK_E10value_typeEPNSQ_ISL_E10value_typeEPSM_NS1_7vsmem_tEENKUlT_SK_SL_SM_E_clIPS5_SF_SG_SG_EESJ_SZ_SK_SL_SM_EUlSZ_E0_NS1_11comp_targetILNS1_3genE9ELNS1_11target_archE1100ELNS1_3gpuE3ELNS1_3repE0EEENS1_38merge_mergepath_config_static_selectorELNS0_4arch9wavefront6targetE1EEEvSL_
	.p2align	8
	.type	_ZN7rocprim17ROCPRIM_400000_NS6detail17trampoline_kernelINS0_14default_configENS1_38merge_sort_block_merge_config_selectorI14custom_numericNS0_10empty_typeEEEZZNS1_27merge_sort_block_merge_implIS3_N6thrust23THRUST_200600_302600_NS6detail15normal_iteratorINSA_10device_ptrIS5_EEEEPS6_m14custom_greaterIS5_EEE10hipError_tT0_T1_T2_jT3_P12ihipStream_tbPNSt15iterator_traitsISK_E10value_typeEPNSQ_ISL_E10value_typeEPSM_NS1_7vsmem_tEENKUlT_SK_SL_SM_E_clIPS5_SF_SG_SG_EESJ_SZ_SK_SL_SM_EUlSZ_E0_NS1_11comp_targetILNS1_3genE9ELNS1_11target_archE1100ELNS1_3gpuE3ELNS1_3repE0EEENS1_38merge_mergepath_config_static_selectorELNS0_4arch9wavefront6targetE1EEEvSL_,@function
_ZN7rocprim17ROCPRIM_400000_NS6detail17trampoline_kernelINS0_14default_configENS1_38merge_sort_block_merge_config_selectorI14custom_numericNS0_10empty_typeEEEZZNS1_27merge_sort_block_merge_implIS3_N6thrust23THRUST_200600_302600_NS6detail15normal_iteratorINSA_10device_ptrIS5_EEEEPS6_m14custom_greaterIS5_EEE10hipError_tT0_T1_T2_jT3_P12ihipStream_tbPNSt15iterator_traitsISK_E10value_typeEPNSQ_ISL_E10value_typeEPSM_NS1_7vsmem_tEENKUlT_SK_SL_SM_E_clIPS5_SF_SG_SG_EESJ_SZ_SK_SL_SM_EUlSZ_E0_NS1_11comp_targetILNS1_3genE9ELNS1_11target_archE1100ELNS1_3gpuE3ELNS1_3repE0EEENS1_38merge_mergepath_config_static_selectorELNS0_4arch9wavefront6targetE1EEEvSL_: ; @_ZN7rocprim17ROCPRIM_400000_NS6detail17trampoline_kernelINS0_14default_configENS1_38merge_sort_block_merge_config_selectorI14custom_numericNS0_10empty_typeEEEZZNS1_27merge_sort_block_merge_implIS3_N6thrust23THRUST_200600_302600_NS6detail15normal_iteratorINSA_10device_ptrIS5_EEEEPS6_m14custom_greaterIS5_EEE10hipError_tT0_T1_T2_jT3_P12ihipStream_tbPNSt15iterator_traitsISK_E10value_typeEPNSQ_ISL_E10value_typeEPSM_NS1_7vsmem_tEENKUlT_SK_SL_SM_E_clIPS5_SF_SG_SG_EESJ_SZ_SK_SL_SM_EUlSZ_E0_NS1_11comp_targetILNS1_3genE9ELNS1_11target_archE1100ELNS1_3gpuE3ELNS1_3repE0EEENS1_38merge_mergepath_config_static_selectorELNS0_4arch9wavefront6targetE1EEEvSL_
; %bb.0:
	.section	.rodata,"a",@progbits
	.p2align	6, 0x0
	.amdhsa_kernel _ZN7rocprim17ROCPRIM_400000_NS6detail17trampoline_kernelINS0_14default_configENS1_38merge_sort_block_merge_config_selectorI14custom_numericNS0_10empty_typeEEEZZNS1_27merge_sort_block_merge_implIS3_N6thrust23THRUST_200600_302600_NS6detail15normal_iteratorINSA_10device_ptrIS5_EEEEPS6_m14custom_greaterIS5_EEE10hipError_tT0_T1_T2_jT3_P12ihipStream_tbPNSt15iterator_traitsISK_E10value_typeEPNSQ_ISL_E10value_typeEPSM_NS1_7vsmem_tEENKUlT_SK_SL_SM_E_clIPS5_SF_SG_SG_EESJ_SZ_SK_SL_SM_EUlSZ_E0_NS1_11comp_targetILNS1_3genE9ELNS1_11target_archE1100ELNS1_3gpuE3ELNS1_3repE0EEENS1_38merge_mergepath_config_static_selectorELNS0_4arch9wavefront6targetE1EEEvSL_
		.amdhsa_group_segment_fixed_size 0
		.amdhsa_private_segment_fixed_size 0
		.amdhsa_kernarg_size 72
		.amdhsa_user_sgpr_count 6
		.amdhsa_user_sgpr_private_segment_buffer 1
		.amdhsa_user_sgpr_dispatch_ptr 0
		.amdhsa_user_sgpr_queue_ptr 0
		.amdhsa_user_sgpr_kernarg_segment_ptr 1
		.amdhsa_user_sgpr_dispatch_id 0
		.amdhsa_user_sgpr_flat_scratch_init 0
		.amdhsa_user_sgpr_kernarg_preload_length 0
		.amdhsa_user_sgpr_kernarg_preload_offset 0
		.amdhsa_user_sgpr_private_segment_size 0
		.amdhsa_uses_dynamic_stack 0
		.amdhsa_system_sgpr_private_segment_wavefront_offset 0
		.amdhsa_system_sgpr_workgroup_id_x 1
		.amdhsa_system_sgpr_workgroup_id_y 0
		.amdhsa_system_sgpr_workgroup_id_z 0
		.amdhsa_system_sgpr_workgroup_info 0
		.amdhsa_system_vgpr_workitem_id 0
		.amdhsa_next_free_vgpr 1
		.amdhsa_next_free_sgpr 0
		.amdhsa_accum_offset 4
		.amdhsa_reserve_vcc 0
		.amdhsa_reserve_flat_scratch 0
		.amdhsa_float_round_mode_32 0
		.amdhsa_float_round_mode_16_64 0
		.amdhsa_float_denorm_mode_32 3
		.amdhsa_float_denorm_mode_16_64 3
		.amdhsa_dx10_clamp 1
		.amdhsa_ieee_mode 1
		.amdhsa_fp16_overflow 0
		.amdhsa_tg_split 0
		.amdhsa_exception_fp_ieee_invalid_op 0
		.amdhsa_exception_fp_denorm_src 0
		.amdhsa_exception_fp_ieee_div_zero 0
		.amdhsa_exception_fp_ieee_overflow 0
		.amdhsa_exception_fp_ieee_underflow 0
		.amdhsa_exception_fp_ieee_inexact 0
		.amdhsa_exception_int_div_zero 0
	.end_amdhsa_kernel
	.section	.text._ZN7rocprim17ROCPRIM_400000_NS6detail17trampoline_kernelINS0_14default_configENS1_38merge_sort_block_merge_config_selectorI14custom_numericNS0_10empty_typeEEEZZNS1_27merge_sort_block_merge_implIS3_N6thrust23THRUST_200600_302600_NS6detail15normal_iteratorINSA_10device_ptrIS5_EEEEPS6_m14custom_greaterIS5_EEE10hipError_tT0_T1_T2_jT3_P12ihipStream_tbPNSt15iterator_traitsISK_E10value_typeEPNSQ_ISL_E10value_typeEPSM_NS1_7vsmem_tEENKUlT_SK_SL_SM_E_clIPS5_SF_SG_SG_EESJ_SZ_SK_SL_SM_EUlSZ_E0_NS1_11comp_targetILNS1_3genE9ELNS1_11target_archE1100ELNS1_3gpuE3ELNS1_3repE0EEENS1_38merge_mergepath_config_static_selectorELNS0_4arch9wavefront6targetE1EEEvSL_,"axG",@progbits,_ZN7rocprim17ROCPRIM_400000_NS6detail17trampoline_kernelINS0_14default_configENS1_38merge_sort_block_merge_config_selectorI14custom_numericNS0_10empty_typeEEEZZNS1_27merge_sort_block_merge_implIS3_N6thrust23THRUST_200600_302600_NS6detail15normal_iteratorINSA_10device_ptrIS5_EEEEPS6_m14custom_greaterIS5_EEE10hipError_tT0_T1_T2_jT3_P12ihipStream_tbPNSt15iterator_traitsISK_E10value_typeEPNSQ_ISL_E10value_typeEPSM_NS1_7vsmem_tEENKUlT_SK_SL_SM_E_clIPS5_SF_SG_SG_EESJ_SZ_SK_SL_SM_EUlSZ_E0_NS1_11comp_targetILNS1_3genE9ELNS1_11target_archE1100ELNS1_3gpuE3ELNS1_3repE0EEENS1_38merge_mergepath_config_static_selectorELNS0_4arch9wavefront6targetE1EEEvSL_,comdat
.Lfunc_end3693:
	.size	_ZN7rocprim17ROCPRIM_400000_NS6detail17trampoline_kernelINS0_14default_configENS1_38merge_sort_block_merge_config_selectorI14custom_numericNS0_10empty_typeEEEZZNS1_27merge_sort_block_merge_implIS3_N6thrust23THRUST_200600_302600_NS6detail15normal_iteratorINSA_10device_ptrIS5_EEEEPS6_m14custom_greaterIS5_EEE10hipError_tT0_T1_T2_jT3_P12ihipStream_tbPNSt15iterator_traitsISK_E10value_typeEPNSQ_ISL_E10value_typeEPSM_NS1_7vsmem_tEENKUlT_SK_SL_SM_E_clIPS5_SF_SG_SG_EESJ_SZ_SK_SL_SM_EUlSZ_E0_NS1_11comp_targetILNS1_3genE9ELNS1_11target_archE1100ELNS1_3gpuE3ELNS1_3repE0EEENS1_38merge_mergepath_config_static_selectorELNS0_4arch9wavefront6targetE1EEEvSL_, .Lfunc_end3693-_ZN7rocprim17ROCPRIM_400000_NS6detail17trampoline_kernelINS0_14default_configENS1_38merge_sort_block_merge_config_selectorI14custom_numericNS0_10empty_typeEEEZZNS1_27merge_sort_block_merge_implIS3_N6thrust23THRUST_200600_302600_NS6detail15normal_iteratorINSA_10device_ptrIS5_EEEEPS6_m14custom_greaterIS5_EEE10hipError_tT0_T1_T2_jT3_P12ihipStream_tbPNSt15iterator_traitsISK_E10value_typeEPNSQ_ISL_E10value_typeEPSM_NS1_7vsmem_tEENKUlT_SK_SL_SM_E_clIPS5_SF_SG_SG_EESJ_SZ_SK_SL_SM_EUlSZ_E0_NS1_11comp_targetILNS1_3genE9ELNS1_11target_archE1100ELNS1_3gpuE3ELNS1_3repE0EEENS1_38merge_mergepath_config_static_selectorELNS0_4arch9wavefront6targetE1EEEvSL_
                                        ; -- End function
	.section	.AMDGPU.csdata,"",@progbits
; Kernel info:
; codeLenInByte = 0
; NumSgprs: 4
; NumVgprs: 0
; NumAgprs: 0
; TotalNumVgprs: 0
; ScratchSize: 0
; MemoryBound: 0
; FloatMode: 240
; IeeeMode: 1
; LDSByteSize: 0 bytes/workgroup (compile time only)
; SGPRBlocks: 0
; VGPRBlocks: 0
; NumSGPRsForWavesPerEU: 4
; NumVGPRsForWavesPerEU: 1
; AccumOffset: 4
; Occupancy: 8
; WaveLimiterHint : 0
; COMPUTE_PGM_RSRC2:SCRATCH_EN: 0
; COMPUTE_PGM_RSRC2:USER_SGPR: 6
; COMPUTE_PGM_RSRC2:TRAP_HANDLER: 0
; COMPUTE_PGM_RSRC2:TGID_X_EN: 1
; COMPUTE_PGM_RSRC2:TGID_Y_EN: 0
; COMPUTE_PGM_RSRC2:TGID_Z_EN: 0
; COMPUTE_PGM_RSRC2:TIDIG_COMP_CNT: 0
; COMPUTE_PGM_RSRC3_GFX90A:ACCUM_OFFSET: 0
; COMPUTE_PGM_RSRC3_GFX90A:TG_SPLIT: 0
	.section	.text._ZN7rocprim17ROCPRIM_400000_NS6detail17trampoline_kernelINS0_14default_configENS1_38merge_sort_block_merge_config_selectorI14custom_numericNS0_10empty_typeEEEZZNS1_27merge_sort_block_merge_implIS3_N6thrust23THRUST_200600_302600_NS6detail15normal_iteratorINSA_10device_ptrIS5_EEEEPS6_m14custom_greaterIS5_EEE10hipError_tT0_T1_T2_jT3_P12ihipStream_tbPNSt15iterator_traitsISK_E10value_typeEPNSQ_ISL_E10value_typeEPSM_NS1_7vsmem_tEENKUlT_SK_SL_SM_E_clIPS5_SF_SG_SG_EESJ_SZ_SK_SL_SM_EUlSZ_E0_NS1_11comp_targetILNS1_3genE8ELNS1_11target_archE1030ELNS1_3gpuE2ELNS1_3repE0EEENS1_38merge_mergepath_config_static_selectorELNS0_4arch9wavefront6targetE1EEEvSL_,"axG",@progbits,_ZN7rocprim17ROCPRIM_400000_NS6detail17trampoline_kernelINS0_14default_configENS1_38merge_sort_block_merge_config_selectorI14custom_numericNS0_10empty_typeEEEZZNS1_27merge_sort_block_merge_implIS3_N6thrust23THRUST_200600_302600_NS6detail15normal_iteratorINSA_10device_ptrIS5_EEEEPS6_m14custom_greaterIS5_EEE10hipError_tT0_T1_T2_jT3_P12ihipStream_tbPNSt15iterator_traitsISK_E10value_typeEPNSQ_ISL_E10value_typeEPSM_NS1_7vsmem_tEENKUlT_SK_SL_SM_E_clIPS5_SF_SG_SG_EESJ_SZ_SK_SL_SM_EUlSZ_E0_NS1_11comp_targetILNS1_3genE8ELNS1_11target_archE1030ELNS1_3gpuE2ELNS1_3repE0EEENS1_38merge_mergepath_config_static_selectorELNS0_4arch9wavefront6targetE1EEEvSL_,comdat
	.protected	_ZN7rocprim17ROCPRIM_400000_NS6detail17trampoline_kernelINS0_14default_configENS1_38merge_sort_block_merge_config_selectorI14custom_numericNS0_10empty_typeEEEZZNS1_27merge_sort_block_merge_implIS3_N6thrust23THRUST_200600_302600_NS6detail15normal_iteratorINSA_10device_ptrIS5_EEEEPS6_m14custom_greaterIS5_EEE10hipError_tT0_T1_T2_jT3_P12ihipStream_tbPNSt15iterator_traitsISK_E10value_typeEPNSQ_ISL_E10value_typeEPSM_NS1_7vsmem_tEENKUlT_SK_SL_SM_E_clIPS5_SF_SG_SG_EESJ_SZ_SK_SL_SM_EUlSZ_E0_NS1_11comp_targetILNS1_3genE8ELNS1_11target_archE1030ELNS1_3gpuE2ELNS1_3repE0EEENS1_38merge_mergepath_config_static_selectorELNS0_4arch9wavefront6targetE1EEEvSL_ ; -- Begin function _ZN7rocprim17ROCPRIM_400000_NS6detail17trampoline_kernelINS0_14default_configENS1_38merge_sort_block_merge_config_selectorI14custom_numericNS0_10empty_typeEEEZZNS1_27merge_sort_block_merge_implIS3_N6thrust23THRUST_200600_302600_NS6detail15normal_iteratorINSA_10device_ptrIS5_EEEEPS6_m14custom_greaterIS5_EEE10hipError_tT0_T1_T2_jT3_P12ihipStream_tbPNSt15iterator_traitsISK_E10value_typeEPNSQ_ISL_E10value_typeEPSM_NS1_7vsmem_tEENKUlT_SK_SL_SM_E_clIPS5_SF_SG_SG_EESJ_SZ_SK_SL_SM_EUlSZ_E0_NS1_11comp_targetILNS1_3genE8ELNS1_11target_archE1030ELNS1_3gpuE2ELNS1_3repE0EEENS1_38merge_mergepath_config_static_selectorELNS0_4arch9wavefront6targetE1EEEvSL_
	.globl	_ZN7rocprim17ROCPRIM_400000_NS6detail17trampoline_kernelINS0_14default_configENS1_38merge_sort_block_merge_config_selectorI14custom_numericNS0_10empty_typeEEEZZNS1_27merge_sort_block_merge_implIS3_N6thrust23THRUST_200600_302600_NS6detail15normal_iteratorINSA_10device_ptrIS5_EEEEPS6_m14custom_greaterIS5_EEE10hipError_tT0_T1_T2_jT3_P12ihipStream_tbPNSt15iterator_traitsISK_E10value_typeEPNSQ_ISL_E10value_typeEPSM_NS1_7vsmem_tEENKUlT_SK_SL_SM_E_clIPS5_SF_SG_SG_EESJ_SZ_SK_SL_SM_EUlSZ_E0_NS1_11comp_targetILNS1_3genE8ELNS1_11target_archE1030ELNS1_3gpuE2ELNS1_3repE0EEENS1_38merge_mergepath_config_static_selectorELNS0_4arch9wavefront6targetE1EEEvSL_
	.p2align	8
	.type	_ZN7rocprim17ROCPRIM_400000_NS6detail17trampoline_kernelINS0_14default_configENS1_38merge_sort_block_merge_config_selectorI14custom_numericNS0_10empty_typeEEEZZNS1_27merge_sort_block_merge_implIS3_N6thrust23THRUST_200600_302600_NS6detail15normal_iteratorINSA_10device_ptrIS5_EEEEPS6_m14custom_greaterIS5_EEE10hipError_tT0_T1_T2_jT3_P12ihipStream_tbPNSt15iterator_traitsISK_E10value_typeEPNSQ_ISL_E10value_typeEPSM_NS1_7vsmem_tEENKUlT_SK_SL_SM_E_clIPS5_SF_SG_SG_EESJ_SZ_SK_SL_SM_EUlSZ_E0_NS1_11comp_targetILNS1_3genE8ELNS1_11target_archE1030ELNS1_3gpuE2ELNS1_3repE0EEENS1_38merge_mergepath_config_static_selectorELNS0_4arch9wavefront6targetE1EEEvSL_,@function
_ZN7rocprim17ROCPRIM_400000_NS6detail17trampoline_kernelINS0_14default_configENS1_38merge_sort_block_merge_config_selectorI14custom_numericNS0_10empty_typeEEEZZNS1_27merge_sort_block_merge_implIS3_N6thrust23THRUST_200600_302600_NS6detail15normal_iteratorINSA_10device_ptrIS5_EEEEPS6_m14custom_greaterIS5_EEE10hipError_tT0_T1_T2_jT3_P12ihipStream_tbPNSt15iterator_traitsISK_E10value_typeEPNSQ_ISL_E10value_typeEPSM_NS1_7vsmem_tEENKUlT_SK_SL_SM_E_clIPS5_SF_SG_SG_EESJ_SZ_SK_SL_SM_EUlSZ_E0_NS1_11comp_targetILNS1_3genE8ELNS1_11target_archE1030ELNS1_3gpuE2ELNS1_3repE0EEENS1_38merge_mergepath_config_static_selectorELNS0_4arch9wavefront6targetE1EEEvSL_: ; @_ZN7rocprim17ROCPRIM_400000_NS6detail17trampoline_kernelINS0_14default_configENS1_38merge_sort_block_merge_config_selectorI14custom_numericNS0_10empty_typeEEEZZNS1_27merge_sort_block_merge_implIS3_N6thrust23THRUST_200600_302600_NS6detail15normal_iteratorINSA_10device_ptrIS5_EEEEPS6_m14custom_greaterIS5_EEE10hipError_tT0_T1_T2_jT3_P12ihipStream_tbPNSt15iterator_traitsISK_E10value_typeEPNSQ_ISL_E10value_typeEPSM_NS1_7vsmem_tEENKUlT_SK_SL_SM_E_clIPS5_SF_SG_SG_EESJ_SZ_SK_SL_SM_EUlSZ_E0_NS1_11comp_targetILNS1_3genE8ELNS1_11target_archE1030ELNS1_3gpuE2ELNS1_3repE0EEENS1_38merge_mergepath_config_static_selectorELNS0_4arch9wavefront6targetE1EEEvSL_
; %bb.0:
	.section	.rodata,"a",@progbits
	.p2align	6, 0x0
	.amdhsa_kernel _ZN7rocprim17ROCPRIM_400000_NS6detail17trampoline_kernelINS0_14default_configENS1_38merge_sort_block_merge_config_selectorI14custom_numericNS0_10empty_typeEEEZZNS1_27merge_sort_block_merge_implIS3_N6thrust23THRUST_200600_302600_NS6detail15normal_iteratorINSA_10device_ptrIS5_EEEEPS6_m14custom_greaterIS5_EEE10hipError_tT0_T1_T2_jT3_P12ihipStream_tbPNSt15iterator_traitsISK_E10value_typeEPNSQ_ISL_E10value_typeEPSM_NS1_7vsmem_tEENKUlT_SK_SL_SM_E_clIPS5_SF_SG_SG_EESJ_SZ_SK_SL_SM_EUlSZ_E0_NS1_11comp_targetILNS1_3genE8ELNS1_11target_archE1030ELNS1_3gpuE2ELNS1_3repE0EEENS1_38merge_mergepath_config_static_selectorELNS0_4arch9wavefront6targetE1EEEvSL_
		.amdhsa_group_segment_fixed_size 0
		.amdhsa_private_segment_fixed_size 0
		.amdhsa_kernarg_size 72
		.amdhsa_user_sgpr_count 6
		.amdhsa_user_sgpr_private_segment_buffer 1
		.amdhsa_user_sgpr_dispatch_ptr 0
		.amdhsa_user_sgpr_queue_ptr 0
		.amdhsa_user_sgpr_kernarg_segment_ptr 1
		.amdhsa_user_sgpr_dispatch_id 0
		.amdhsa_user_sgpr_flat_scratch_init 0
		.amdhsa_user_sgpr_kernarg_preload_length 0
		.amdhsa_user_sgpr_kernarg_preload_offset 0
		.amdhsa_user_sgpr_private_segment_size 0
		.amdhsa_uses_dynamic_stack 0
		.amdhsa_system_sgpr_private_segment_wavefront_offset 0
		.amdhsa_system_sgpr_workgroup_id_x 1
		.amdhsa_system_sgpr_workgroup_id_y 0
		.amdhsa_system_sgpr_workgroup_id_z 0
		.amdhsa_system_sgpr_workgroup_info 0
		.amdhsa_system_vgpr_workitem_id 0
		.amdhsa_next_free_vgpr 1
		.amdhsa_next_free_sgpr 0
		.amdhsa_accum_offset 4
		.amdhsa_reserve_vcc 0
		.amdhsa_reserve_flat_scratch 0
		.amdhsa_float_round_mode_32 0
		.amdhsa_float_round_mode_16_64 0
		.amdhsa_float_denorm_mode_32 3
		.amdhsa_float_denorm_mode_16_64 3
		.amdhsa_dx10_clamp 1
		.amdhsa_ieee_mode 1
		.amdhsa_fp16_overflow 0
		.amdhsa_tg_split 0
		.amdhsa_exception_fp_ieee_invalid_op 0
		.amdhsa_exception_fp_denorm_src 0
		.amdhsa_exception_fp_ieee_div_zero 0
		.amdhsa_exception_fp_ieee_overflow 0
		.amdhsa_exception_fp_ieee_underflow 0
		.amdhsa_exception_fp_ieee_inexact 0
		.amdhsa_exception_int_div_zero 0
	.end_amdhsa_kernel
	.section	.text._ZN7rocprim17ROCPRIM_400000_NS6detail17trampoline_kernelINS0_14default_configENS1_38merge_sort_block_merge_config_selectorI14custom_numericNS0_10empty_typeEEEZZNS1_27merge_sort_block_merge_implIS3_N6thrust23THRUST_200600_302600_NS6detail15normal_iteratorINSA_10device_ptrIS5_EEEEPS6_m14custom_greaterIS5_EEE10hipError_tT0_T1_T2_jT3_P12ihipStream_tbPNSt15iterator_traitsISK_E10value_typeEPNSQ_ISL_E10value_typeEPSM_NS1_7vsmem_tEENKUlT_SK_SL_SM_E_clIPS5_SF_SG_SG_EESJ_SZ_SK_SL_SM_EUlSZ_E0_NS1_11comp_targetILNS1_3genE8ELNS1_11target_archE1030ELNS1_3gpuE2ELNS1_3repE0EEENS1_38merge_mergepath_config_static_selectorELNS0_4arch9wavefront6targetE1EEEvSL_,"axG",@progbits,_ZN7rocprim17ROCPRIM_400000_NS6detail17trampoline_kernelINS0_14default_configENS1_38merge_sort_block_merge_config_selectorI14custom_numericNS0_10empty_typeEEEZZNS1_27merge_sort_block_merge_implIS3_N6thrust23THRUST_200600_302600_NS6detail15normal_iteratorINSA_10device_ptrIS5_EEEEPS6_m14custom_greaterIS5_EEE10hipError_tT0_T1_T2_jT3_P12ihipStream_tbPNSt15iterator_traitsISK_E10value_typeEPNSQ_ISL_E10value_typeEPSM_NS1_7vsmem_tEENKUlT_SK_SL_SM_E_clIPS5_SF_SG_SG_EESJ_SZ_SK_SL_SM_EUlSZ_E0_NS1_11comp_targetILNS1_3genE8ELNS1_11target_archE1030ELNS1_3gpuE2ELNS1_3repE0EEENS1_38merge_mergepath_config_static_selectorELNS0_4arch9wavefront6targetE1EEEvSL_,comdat
.Lfunc_end3694:
	.size	_ZN7rocprim17ROCPRIM_400000_NS6detail17trampoline_kernelINS0_14default_configENS1_38merge_sort_block_merge_config_selectorI14custom_numericNS0_10empty_typeEEEZZNS1_27merge_sort_block_merge_implIS3_N6thrust23THRUST_200600_302600_NS6detail15normal_iteratorINSA_10device_ptrIS5_EEEEPS6_m14custom_greaterIS5_EEE10hipError_tT0_T1_T2_jT3_P12ihipStream_tbPNSt15iterator_traitsISK_E10value_typeEPNSQ_ISL_E10value_typeEPSM_NS1_7vsmem_tEENKUlT_SK_SL_SM_E_clIPS5_SF_SG_SG_EESJ_SZ_SK_SL_SM_EUlSZ_E0_NS1_11comp_targetILNS1_3genE8ELNS1_11target_archE1030ELNS1_3gpuE2ELNS1_3repE0EEENS1_38merge_mergepath_config_static_selectorELNS0_4arch9wavefront6targetE1EEEvSL_, .Lfunc_end3694-_ZN7rocprim17ROCPRIM_400000_NS6detail17trampoline_kernelINS0_14default_configENS1_38merge_sort_block_merge_config_selectorI14custom_numericNS0_10empty_typeEEEZZNS1_27merge_sort_block_merge_implIS3_N6thrust23THRUST_200600_302600_NS6detail15normal_iteratorINSA_10device_ptrIS5_EEEEPS6_m14custom_greaterIS5_EEE10hipError_tT0_T1_T2_jT3_P12ihipStream_tbPNSt15iterator_traitsISK_E10value_typeEPNSQ_ISL_E10value_typeEPSM_NS1_7vsmem_tEENKUlT_SK_SL_SM_E_clIPS5_SF_SG_SG_EESJ_SZ_SK_SL_SM_EUlSZ_E0_NS1_11comp_targetILNS1_3genE8ELNS1_11target_archE1030ELNS1_3gpuE2ELNS1_3repE0EEENS1_38merge_mergepath_config_static_selectorELNS0_4arch9wavefront6targetE1EEEvSL_
                                        ; -- End function
	.section	.AMDGPU.csdata,"",@progbits
; Kernel info:
; codeLenInByte = 0
; NumSgprs: 4
; NumVgprs: 0
; NumAgprs: 0
; TotalNumVgprs: 0
; ScratchSize: 0
; MemoryBound: 0
; FloatMode: 240
; IeeeMode: 1
; LDSByteSize: 0 bytes/workgroup (compile time only)
; SGPRBlocks: 0
; VGPRBlocks: 0
; NumSGPRsForWavesPerEU: 4
; NumVGPRsForWavesPerEU: 1
; AccumOffset: 4
; Occupancy: 8
; WaveLimiterHint : 0
; COMPUTE_PGM_RSRC2:SCRATCH_EN: 0
; COMPUTE_PGM_RSRC2:USER_SGPR: 6
; COMPUTE_PGM_RSRC2:TRAP_HANDLER: 0
; COMPUTE_PGM_RSRC2:TGID_X_EN: 1
; COMPUTE_PGM_RSRC2:TGID_Y_EN: 0
; COMPUTE_PGM_RSRC2:TGID_Z_EN: 0
; COMPUTE_PGM_RSRC2:TIDIG_COMP_CNT: 0
; COMPUTE_PGM_RSRC3_GFX90A:ACCUM_OFFSET: 0
; COMPUTE_PGM_RSRC3_GFX90A:TG_SPLIT: 0
	.section	.text._ZN7rocprim17ROCPRIM_400000_NS6detail17trampoline_kernelINS0_14default_configENS1_38merge_sort_block_merge_config_selectorI14custom_numericNS0_10empty_typeEEEZZNS1_27merge_sort_block_merge_implIS3_N6thrust23THRUST_200600_302600_NS6detail15normal_iteratorINSA_10device_ptrIS5_EEEEPS6_m14custom_greaterIS5_EEE10hipError_tT0_T1_T2_jT3_P12ihipStream_tbPNSt15iterator_traitsISK_E10value_typeEPNSQ_ISL_E10value_typeEPSM_NS1_7vsmem_tEENKUlT_SK_SL_SM_E_clIPS5_SF_SG_SG_EESJ_SZ_SK_SL_SM_EUlSZ_E1_NS1_11comp_targetILNS1_3genE0ELNS1_11target_archE4294967295ELNS1_3gpuE0ELNS1_3repE0EEENS1_36merge_oddeven_config_static_selectorELNS0_4arch9wavefront6targetE1EEEvSL_,"axG",@progbits,_ZN7rocprim17ROCPRIM_400000_NS6detail17trampoline_kernelINS0_14default_configENS1_38merge_sort_block_merge_config_selectorI14custom_numericNS0_10empty_typeEEEZZNS1_27merge_sort_block_merge_implIS3_N6thrust23THRUST_200600_302600_NS6detail15normal_iteratorINSA_10device_ptrIS5_EEEEPS6_m14custom_greaterIS5_EEE10hipError_tT0_T1_T2_jT3_P12ihipStream_tbPNSt15iterator_traitsISK_E10value_typeEPNSQ_ISL_E10value_typeEPSM_NS1_7vsmem_tEENKUlT_SK_SL_SM_E_clIPS5_SF_SG_SG_EESJ_SZ_SK_SL_SM_EUlSZ_E1_NS1_11comp_targetILNS1_3genE0ELNS1_11target_archE4294967295ELNS1_3gpuE0ELNS1_3repE0EEENS1_36merge_oddeven_config_static_selectorELNS0_4arch9wavefront6targetE1EEEvSL_,comdat
	.protected	_ZN7rocprim17ROCPRIM_400000_NS6detail17trampoline_kernelINS0_14default_configENS1_38merge_sort_block_merge_config_selectorI14custom_numericNS0_10empty_typeEEEZZNS1_27merge_sort_block_merge_implIS3_N6thrust23THRUST_200600_302600_NS6detail15normal_iteratorINSA_10device_ptrIS5_EEEEPS6_m14custom_greaterIS5_EEE10hipError_tT0_T1_T2_jT3_P12ihipStream_tbPNSt15iterator_traitsISK_E10value_typeEPNSQ_ISL_E10value_typeEPSM_NS1_7vsmem_tEENKUlT_SK_SL_SM_E_clIPS5_SF_SG_SG_EESJ_SZ_SK_SL_SM_EUlSZ_E1_NS1_11comp_targetILNS1_3genE0ELNS1_11target_archE4294967295ELNS1_3gpuE0ELNS1_3repE0EEENS1_36merge_oddeven_config_static_selectorELNS0_4arch9wavefront6targetE1EEEvSL_ ; -- Begin function _ZN7rocprim17ROCPRIM_400000_NS6detail17trampoline_kernelINS0_14default_configENS1_38merge_sort_block_merge_config_selectorI14custom_numericNS0_10empty_typeEEEZZNS1_27merge_sort_block_merge_implIS3_N6thrust23THRUST_200600_302600_NS6detail15normal_iteratorINSA_10device_ptrIS5_EEEEPS6_m14custom_greaterIS5_EEE10hipError_tT0_T1_T2_jT3_P12ihipStream_tbPNSt15iterator_traitsISK_E10value_typeEPNSQ_ISL_E10value_typeEPSM_NS1_7vsmem_tEENKUlT_SK_SL_SM_E_clIPS5_SF_SG_SG_EESJ_SZ_SK_SL_SM_EUlSZ_E1_NS1_11comp_targetILNS1_3genE0ELNS1_11target_archE4294967295ELNS1_3gpuE0ELNS1_3repE0EEENS1_36merge_oddeven_config_static_selectorELNS0_4arch9wavefront6targetE1EEEvSL_
	.globl	_ZN7rocprim17ROCPRIM_400000_NS6detail17trampoline_kernelINS0_14default_configENS1_38merge_sort_block_merge_config_selectorI14custom_numericNS0_10empty_typeEEEZZNS1_27merge_sort_block_merge_implIS3_N6thrust23THRUST_200600_302600_NS6detail15normal_iteratorINSA_10device_ptrIS5_EEEEPS6_m14custom_greaterIS5_EEE10hipError_tT0_T1_T2_jT3_P12ihipStream_tbPNSt15iterator_traitsISK_E10value_typeEPNSQ_ISL_E10value_typeEPSM_NS1_7vsmem_tEENKUlT_SK_SL_SM_E_clIPS5_SF_SG_SG_EESJ_SZ_SK_SL_SM_EUlSZ_E1_NS1_11comp_targetILNS1_3genE0ELNS1_11target_archE4294967295ELNS1_3gpuE0ELNS1_3repE0EEENS1_36merge_oddeven_config_static_selectorELNS0_4arch9wavefront6targetE1EEEvSL_
	.p2align	8
	.type	_ZN7rocprim17ROCPRIM_400000_NS6detail17trampoline_kernelINS0_14default_configENS1_38merge_sort_block_merge_config_selectorI14custom_numericNS0_10empty_typeEEEZZNS1_27merge_sort_block_merge_implIS3_N6thrust23THRUST_200600_302600_NS6detail15normal_iteratorINSA_10device_ptrIS5_EEEEPS6_m14custom_greaterIS5_EEE10hipError_tT0_T1_T2_jT3_P12ihipStream_tbPNSt15iterator_traitsISK_E10value_typeEPNSQ_ISL_E10value_typeEPSM_NS1_7vsmem_tEENKUlT_SK_SL_SM_E_clIPS5_SF_SG_SG_EESJ_SZ_SK_SL_SM_EUlSZ_E1_NS1_11comp_targetILNS1_3genE0ELNS1_11target_archE4294967295ELNS1_3gpuE0ELNS1_3repE0EEENS1_36merge_oddeven_config_static_selectorELNS0_4arch9wavefront6targetE1EEEvSL_,@function
_ZN7rocprim17ROCPRIM_400000_NS6detail17trampoline_kernelINS0_14default_configENS1_38merge_sort_block_merge_config_selectorI14custom_numericNS0_10empty_typeEEEZZNS1_27merge_sort_block_merge_implIS3_N6thrust23THRUST_200600_302600_NS6detail15normal_iteratorINSA_10device_ptrIS5_EEEEPS6_m14custom_greaterIS5_EEE10hipError_tT0_T1_T2_jT3_P12ihipStream_tbPNSt15iterator_traitsISK_E10value_typeEPNSQ_ISL_E10value_typeEPSM_NS1_7vsmem_tEENKUlT_SK_SL_SM_E_clIPS5_SF_SG_SG_EESJ_SZ_SK_SL_SM_EUlSZ_E1_NS1_11comp_targetILNS1_3genE0ELNS1_11target_archE4294967295ELNS1_3gpuE0ELNS1_3repE0EEENS1_36merge_oddeven_config_static_selectorELNS0_4arch9wavefront6targetE1EEEvSL_: ; @_ZN7rocprim17ROCPRIM_400000_NS6detail17trampoline_kernelINS0_14default_configENS1_38merge_sort_block_merge_config_selectorI14custom_numericNS0_10empty_typeEEEZZNS1_27merge_sort_block_merge_implIS3_N6thrust23THRUST_200600_302600_NS6detail15normal_iteratorINSA_10device_ptrIS5_EEEEPS6_m14custom_greaterIS5_EEE10hipError_tT0_T1_T2_jT3_P12ihipStream_tbPNSt15iterator_traitsISK_E10value_typeEPNSQ_ISL_E10value_typeEPSM_NS1_7vsmem_tEENKUlT_SK_SL_SM_E_clIPS5_SF_SG_SG_EESJ_SZ_SK_SL_SM_EUlSZ_E1_NS1_11comp_targetILNS1_3genE0ELNS1_11target_archE4294967295ELNS1_3gpuE0ELNS1_3repE0EEENS1_36merge_oddeven_config_static_selectorELNS0_4arch9wavefront6targetE1EEEvSL_
; %bb.0:
	.section	.rodata,"a",@progbits
	.p2align	6, 0x0
	.amdhsa_kernel _ZN7rocprim17ROCPRIM_400000_NS6detail17trampoline_kernelINS0_14default_configENS1_38merge_sort_block_merge_config_selectorI14custom_numericNS0_10empty_typeEEEZZNS1_27merge_sort_block_merge_implIS3_N6thrust23THRUST_200600_302600_NS6detail15normal_iteratorINSA_10device_ptrIS5_EEEEPS6_m14custom_greaterIS5_EEE10hipError_tT0_T1_T2_jT3_P12ihipStream_tbPNSt15iterator_traitsISK_E10value_typeEPNSQ_ISL_E10value_typeEPSM_NS1_7vsmem_tEENKUlT_SK_SL_SM_E_clIPS5_SF_SG_SG_EESJ_SZ_SK_SL_SM_EUlSZ_E1_NS1_11comp_targetILNS1_3genE0ELNS1_11target_archE4294967295ELNS1_3gpuE0ELNS1_3repE0EEENS1_36merge_oddeven_config_static_selectorELNS0_4arch9wavefront6targetE1EEEvSL_
		.amdhsa_group_segment_fixed_size 0
		.amdhsa_private_segment_fixed_size 0
		.amdhsa_kernarg_size 56
		.amdhsa_user_sgpr_count 6
		.amdhsa_user_sgpr_private_segment_buffer 1
		.amdhsa_user_sgpr_dispatch_ptr 0
		.amdhsa_user_sgpr_queue_ptr 0
		.amdhsa_user_sgpr_kernarg_segment_ptr 1
		.amdhsa_user_sgpr_dispatch_id 0
		.amdhsa_user_sgpr_flat_scratch_init 0
		.amdhsa_user_sgpr_kernarg_preload_length 0
		.amdhsa_user_sgpr_kernarg_preload_offset 0
		.amdhsa_user_sgpr_private_segment_size 0
		.amdhsa_uses_dynamic_stack 0
		.amdhsa_system_sgpr_private_segment_wavefront_offset 0
		.amdhsa_system_sgpr_workgroup_id_x 1
		.amdhsa_system_sgpr_workgroup_id_y 0
		.amdhsa_system_sgpr_workgroup_id_z 0
		.amdhsa_system_sgpr_workgroup_info 0
		.amdhsa_system_vgpr_workitem_id 0
		.amdhsa_next_free_vgpr 1
		.amdhsa_next_free_sgpr 0
		.amdhsa_accum_offset 4
		.amdhsa_reserve_vcc 0
		.amdhsa_reserve_flat_scratch 0
		.amdhsa_float_round_mode_32 0
		.amdhsa_float_round_mode_16_64 0
		.amdhsa_float_denorm_mode_32 3
		.amdhsa_float_denorm_mode_16_64 3
		.amdhsa_dx10_clamp 1
		.amdhsa_ieee_mode 1
		.amdhsa_fp16_overflow 0
		.amdhsa_tg_split 0
		.amdhsa_exception_fp_ieee_invalid_op 0
		.amdhsa_exception_fp_denorm_src 0
		.amdhsa_exception_fp_ieee_div_zero 0
		.amdhsa_exception_fp_ieee_overflow 0
		.amdhsa_exception_fp_ieee_underflow 0
		.amdhsa_exception_fp_ieee_inexact 0
		.amdhsa_exception_int_div_zero 0
	.end_amdhsa_kernel
	.section	.text._ZN7rocprim17ROCPRIM_400000_NS6detail17trampoline_kernelINS0_14default_configENS1_38merge_sort_block_merge_config_selectorI14custom_numericNS0_10empty_typeEEEZZNS1_27merge_sort_block_merge_implIS3_N6thrust23THRUST_200600_302600_NS6detail15normal_iteratorINSA_10device_ptrIS5_EEEEPS6_m14custom_greaterIS5_EEE10hipError_tT0_T1_T2_jT3_P12ihipStream_tbPNSt15iterator_traitsISK_E10value_typeEPNSQ_ISL_E10value_typeEPSM_NS1_7vsmem_tEENKUlT_SK_SL_SM_E_clIPS5_SF_SG_SG_EESJ_SZ_SK_SL_SM_EUlSZ_E1_NS1_11comp_targetILNS1_3genE0ELNS1_11target_archE4294967295ELNS1_3gpuE0ELNS1_3repE0EEENS1_36merge_oddeven_config_static_selectorELNS0_4arch9wavefront6targetE1EEEvSL_,"axG",@progbits,_ZN7rocprim17ROCPRIM_400000_NS6detail17trampoline_kernelINS0_14default_configENS1_38merge_sort_block_merge_config_selectorI14custom_numericNS0_10empty_typeEEEZZNS1_27merge_sort_block_merge_implIS3_N6thrust23THRUST_200600_302600_NS6detail15normal_iteratorINSA_10device_ptrIS5_EEEEPS6_m14custom_greaterIS5_EEE10hipError_tT0_T1_T2_jT3_P12ihipStream_tbPNSt15iterator_traitsISK_E10value_typeEPNSQ_ISL_E10value_typeEPSM_NS1_7vsmem_tEENKUlT_SK_SL_SM_E_clIPS5_SF_SG_SG_EESJ_SZ_SK_SL_SM_EUlSZ_E1_NS1_11comp_targetILNS1_3genE0ELNS1_11target_archE4294967295ELNS1_3gpuE0ELNS1_3repE0EEENS1_36merge_oddeven_config_static_selectorELNS0_4arch9wavefront6targetE1EEEvSL_,comdat
.Lfunc_end3695:
	.size	_ZN7rocprim17ROCPRIM_400000_NS6detail17trampoline_kernelINS0_14default_configENS1_38merge_sort_block_merge_config_selectorI14custom_numericNS0_10empty_typeEEEZZNS1_27merge_sort_block_merge_implIS3_N6thrust23THRUST_200600_302600_NS6detail15normal_iteratorINSA_10device_ptrIS5_EEEEPS6_m14custom_greaterIS5_EEE10hipError_tT0_T1_T2_jT3_P12ihipStream_tbPNSt15iterator_traitsISK_E10value_typeEPNSQ_ISL_E10value_typeEPSM_NS1_7vsmem_tEENKUlT_SK_SL_SM_E_clIPS5_SF_SG_SG_EESJ_SZ_SK_SL_SM_EUlSZ_E1_NS1_11comp_targetILNS1_3genE0ELNS1_11target_archE4294967295ELNS1_3gpuE0ELNS1_3repE0EEENS1_36merge_oddeven_config_static_selectorELNS0_4arch9wavefront6targetE1EEEvSL_, .Lfunc_end3695-_ZN7rocprim17ROCPRIM_400000_NS6detail17trampoline_kernelINS0_14default_configENS1_38merge_sort_block_merge_config_selectorI14custom_numericNS0_10empty_typeEEEZZNS1_27merge_sort_block_merge_implIS3_N6thrust23THRUST_200600_302600_NS6detail15normal_iteratorINSA_10device_ptrIS5_EEEEPS6_m14custom_greaterIS5_EEE10hipError_tT0_T1_T2_jT3_P12ihipStream_tbPNSt15iterator_traitsISK_E10value_typeEPNSQ_ISL_E10value_typeEPSM_NS1_7vsmem_tEENKUlT_SK_SL_SM_E_clIPS5_SF_SG_SG_EESJ_SZ_SK_SL_SM_EUlSZ_E1_NS1_11comp_targetILNS1_3genE0ELNS1_11target_archE4294967295ELNS1_3gpuE0ELNS1_3repE0EEENS1_36merge_oddeven_config_static_selectorELNS0_4arch9wavefront6targetE1EEEvSL_
                                        ; -- End function
	.section	.AMDGPU.csdata,"",@progbits
; Kernel info:
; codeLenInByte = 0
; NumSgprs: 4
; NumVgprs: 0
; NumAgprs: 0
; TotalNumVgprs: 0
; ScratchSize: 0
; MemoryBound: 0
; FloatMode: 240
; IeeeMode: 1
; LDSByteSize: 0 bytes/workgroup (compile time only)
; SGPRBlocks: 0
; VGPRBlocks: 0
; NumSGPRsForWavesPerEU: 4
; NumVGPRsForWavesPerEU: 1
; AccumOffset: 4
; Occupancy: 8
; WaveLimiterHint : 0
; COMPUTE_PGM_RSRC2:SCRATCH_EN: 0
; COMPUTE_PGM_RSRC2:USER_SGPR: 6
; COMPUTE_PGM_RSRC2:TRAP_HANDLER: 0
; COMPUTE_PGM_RSRC2:TGID_X_EN: 1
; COMPUTE_PGM_RSRC2:TGID_Y_EN: 0
; COMPUTE_PGM_RSRC2:TGID_Z_EN: 0
; COMPUTE_PGM_RSRC2:TIDIG_COMP_CNT: 0
; COMPUTE_PGM_RSRC3_GFX90A:ACCUM_OFFSET: 0
; COMPUTE_PGM_RSRC3_GFX90A:TG_SPLIT: 0
	.section	.text._ZN7rocprim17ROCPRIM_400000_NS6detail17trampoline_kernelINS0_14default_configENS1_38merge_sort_block_merge_config_selectorI14custom_numericNS0_10empty_typeEEEZZNS1_27merge_sort_block_merge_implIS3_N6thrust23THRUST_200600_302600_NS6detail15normal_iteratorINSA_10device_ptrIS5_EEEEPS6_m14custom_greaterIS5_EEE10hipError_tT0_T1_T2_jT3_P12ihipStream_tbPNSt15iterator_traitsISK_E10value_typeEPNSQ_ISL_E10value_typeEPSM_NS1_7vsmem_tEENKUlT_SK_SL_SM_E_clIPS5_SF_SG_SG_EESJ_SZ_SK_SL_SM_EUlSZ_E1_NS1_11comp_targetILNS1_3genE10ELNS1_11target_archE1201ELNS1_3gpuE5ELNS1_3repE0EEENS1_36merge_oddeven_config_static_selectorELNS0_4arch9wavefront6targetE1EEEvSL_,"axG",@progbits,_ZN7rocprim17ROCPRIM_400000_NS6detail17trampoline_kernelINS0_14default_configENS1_38merge_sort_block_merge_config_selectorI14custom_numericNS0_10empty_typeEEEZZNS1_27merge_sort_block_merge_implIS3_N6thrust23THRUST_200600_302600_NS6detail15normal_iteratorINSA_10device_ptrIS5_EEEEPS6_m14custom_greaterIS5_EEE10hipError_tT0_T1_T2_jT3_P12ihipStream_tbPNSt15iterator_traitsISK_E10value_typeEPNSQ_ISL_E10value_typeEPSM_NS1_7vsmem_tEENKUlT_SK_SL_SM_E_clIPS5_SF_SG_SG_EESJ_SZ_SK_SL_SM_EUlSZ_E1_NS1_11comp_targetILNS1_3genE10ELNS1_11target_archE1201ELNS1_3gpuE5ELNS1_3repE0EEENS1_36merge_oddeven_config_static_selectorELNS0_4arch9wavefront6targetE1EEEvSL_,comdat
	.protected	_ZN7rocprim17ROCPRIM_400000_NS6detail17trampoline_kernelINS0_14default_configENS1_38merge_sort_block_merge_config_selectorI14custom_numericNS0_10empty_typeEEEZZNS1_27merge_sort_block_merge_implIS3_N6thrust23THRUST_200600_302600_NS6detail15normal_iteratorINSA_10device_ptrIS5_EEEEPS6_m14custom_greaterIS5_EEE10hipError_tT0_T1_T2_jT3_P12ihipStream_tbPNSt15iterator_traitsISK_E10value_typeEPNSQ_ISL_E10value_typeEPSM_NS1_7vsmem_tEENKUlT_SK_SL_SM_E_clIPS5_SF_SG_SG_EESJ_SZ_SK_SL_SM_EUlSZ_E1_NS1_11comp_targetILNS1_3genE10ELNS1_11target_archE1201ELNS1_3gpuE5ELNS1_3repE0EEENS1_36merge_oddeven_config_static_selectorELNS0_4arch9wavefront6targetE1EEEvSL_ ; -- Begin function _ZN7rocprim17ROCPRIM_400000_NS6detail17trampoline_kernelINS0_14default_configENS1_38merge_sort_block_merge_config_selectorI14custom_numericNS0_10empty_typeEEEZZNS1_27merge_sort_block_merge_implIS3_N6thrust23THRUST_200600_302600_NS6detail15normal_iteratorINSA_10device_ptrIS5_EEEEPS6_m14custom_greaterIS5_EEE10hipError_tT0_T1_T2_jT3_P12ihipStream_tbPNSt15iterator_traitsISK_E10value_typeEPNSQ_ISL_E10value_typeEPSM_NS1_7vsmem_tEENKUlT_SK_SL_SM_E_clIPS5_SF_SG_SG_EESJ_SZ_SK_SL_SM_EUlSZ_E1_NS1_11comp_targetILNS1_3genE10ELNS1_11target_archE1201ELNS1_3gpuE5ELNS1_3repE0EEENS1_36merge_oddeven_config_static_selectorELNS0_4arch9wavefront6targetE1EEEvSL_
	.globl	_ZN7rocprim17ROCPRIM_400000_NS6detail17trampoline_kernelINS0_14default_configENS1_38merge_sort_block_merge_config_selectorI14custom_numericNS0_10empty_typeEEEZZNS1_27merge_sort_block_merge_implIS3_N6thrust23THRUST_200600_302600_NS6detail15normal_iteratorINSA_10device_ptrIS5_EEEEPS6_m14custom_greaterIS5_EEE10hipError_tT0_T1_T2_jT3_P12ihipStream_tbPNSt15iterator_traitsISK_E10value_typeEPNSQ_ISL_E10value_typeEPSM_NS1_7vsmem_tEENKUlT_SK_SL_SM_E_clIPS5_SF_SG_SG_EESJ_SZ_SK_SL_SM_EUlSZ_E1_NS1_11comp_targetILNS1_3genE10ELNS1_11target_archE1201ELNS1_3gpuE5ELNS1_3repE0EEENS1_36merge_oddeven_config_static_selectorELNS0_4arch9wavefront6targetE1EEEvSL_
	.p2align	8
	.type	_ZN7rocprim17ROCPRIM_400000_NS6detail17trampoline_kernelINS0_14default_configENS1_38merge_sort_block_merge_config_selectorI14custom_numericNS0_10empty_typeEEEZZNS1_27merge_sort_block_merge_implIS3_N6thrust23THRUST_200600_302600_NS6detail15normal_iteratorINSA_10device_ptrIS5_EEEEPS6_m14custom_greaterIS5_EEE10hipError_tT0_T1_T2_jT3_P12ihipStream_tbPNSt15iterator_traitsISK_E10value_typeEPNSQ_ISL_E10value_typeEPSM_NS1_7vsmem_tEENKUlT_SK_SL_SM_E_clIPS5_SF_SG_SG_EESJ_SZ_SK_SL_SM_EUlSZ_E1_NS1_11comp_targetILNS1_3genE10ELNS1_11target_archE1201ELNS1_3gpuE5ELNS1_3repE0EEENS1_36merge_oddeven_config_static_selectorELNS0_4arch9wavefront6targetE1EEEvSL_,@function
_ZN7rocprim17ROCPRIM_400000_NS6detail17trampoline_kernelINS0_14default_configENS1_38merge_sort_block_merge_config_selectorI14custom_numericNS0_10empty_typeEEEZZNS1_27merge_sort_block_merge_implIS3_N6thrust23THRUST_200600_302600_NS6detail15normal_iteratorINSA_10device_ptrIS5_EEEEPS6_m14custom_greaterIS5_EEE10hipError_tT0_T1_T2_jT3_P12ihipStream_tbPNSt15iterator_traitsISK_E10value_typeEPNSQ_ISL_E10value_typeEPSM_NS1_7vsmem_tEENKUlT_SK_SL_SM_E_clIPS5_SF_SG_SG_EESJ_SZ_SK_SL_SM_EUlSZ_E1_NS1_11comp_targetILNS1_3genE10ELNS1_11target_archE1201ELNS1_3gpuE5ELNS1_3repE0EEENS1_36merge_oddeven_config_static_selectorELNS0_4arch9wavefront6targetE1EEEvSL_: ; @_ZN7rocprim17ROCPRIM_400000_NS6detail17trampoline_kernelINS0_14default_configENS1_38merge_sort_block_merge_config_selectorI14custom_numericNS0_10empty_typeEEEZZNS1_27merge_sort_block_merge_implIS3_N6thrust23THRUST_200600_302600_NS6detail15normal_iteratorINSA_10device_ptrIS5_EEEEPS6_m14custom_greaterIS5_EEE10hipError_tT0_T1_T2_jT3_P12ihipStream_tbPNSt15iterator_traitsISK_E10value_typeEPNSQ_ISL_E10value_typeEPSM_NS1_7vsmem_tEENKUlT_SK_SL_SM_E_clIPS5_SF_SG_SG_EESJ_SZ_SK_SL_SM_EUlSZ_E1_NS1_11comp_targetILNS1_3genE10ELNS1_11target_archE1201ELNS1_3gpuE5ELNS1_3repE0EEENS1_36merge_oddeven_config_static_selectorELNS0_4arch9wavefront6targetE1EEEvSL_
; %bb.0:
	.section	.rodata,"a",@progbits
	.p2align	6, 0x0
	.amdhsa_kernel _ZN7rocprim17ROCPRIM_400000_NS6detail17trampoline_kernelINS0_14default_configENS1_38merge_sort_block_merge_config_selectorI14custom_numericNS0_10empty_typeEEEZZNS1_27merge_sort_block_merge_implIS3_N6thrust23THRUST_200600_302600_NS6detail15normal_iteratorINSA_10device_ptrIS5_EEEEPS6_m14custom_greaterIS5_EEE10hipError_tT0_T1_T2_jT3_P12ihipStream_tbPNSt15iterator_traitsISK_E10value_typeEPNSQ_ISL_E10value_typeEPSM_NS1_7vsmem_tEENKUlT_SK_SL_SM_E_clIPS5_SF_SG_SG_EESJ_SZ_SK_SL_SM_EUlSZ_E1_NS1_11comp_targetILNS1_3genE10ELNS1_11target_archE1201ELNS1_3gpuE5ELNS1_3repE0EEENS1_36merge_oddeven_config_static_selectorELNS0_4arch9wavefront6targetE1EEEvSL_
		.amdhsa_group_segment_fixed_size 0
		.amdhsa_private_segment_fixed_size 0
		.amdhsa_kernarg_size 56
		.amdhsa_user_sgpr_count 6
		.amdhsa_user_sgpr_private_segment_buffer 1
		.amdhsa_user_sgpr_dispatch_ptr 0
		.amdhsa_user_sgpr_queue_ptr 0
		.amdhsa_user_sgpr_kernarg_segment_ptr 1
		.amdhsa_user_sgpr_dispatch_id 0
		.amdhsa_user_sgpr_flat_scratch_init 0
		.amdhsa_user_sgpr_kernarg_preload_length 0
		.amdhsa_user_sgpr_kernarg_preload_offset 0
		.amdhsa_user_sgpr_private_segment_size 0
		.amdhsa_uses_dynamic_stack 0
		.amdhsa_system_sgpr_private_segment_wavefront_offset 0
		.amdhsa_system_sgpr_workgroup_id_x 1
		.amdhsa_system_sgpr_workgroup_id_y 0
		.amdhsa_system_sgpr_workgroup_id_z 0
		.amdhsa_system_sgpr_workgroup_info 0
		.amdhsa_system_vgpr_workitem_id 0
		.amdhsa_next_free_vgpr 1
		.amdhsa_next_free_sgpr 0
		.amdhsa_accum_offset 4
		.amdhsa_reserve_vcc 0
		.amdhsa_reserve_flat_scratch 0
		.amdhsa_float_round_mode_32 0
		.amdhsa_float_round_mode_16_64 0
		.amdhsa_float_denorm_mode_32 3
		.amdhsa_float_denorm_mode_16_64 3
		.amdhsa_dx10_clamp 1
		.amdhsa_ieee_mode 1
		.amdhsa_fp16_overflow 0
		.amdhsa_tg_split 0
		.amdhsa_exception_fp_ieee_invalid_op 0
		.amdhsa_exception_fp_denorm_src 0
		.amdhsa_exception_fp_ieee_div_zero 0
		.amdhsa_exception_fp_ieee_overflow 0
		.amdhsa_exception_fp_ieee_underflow 0
		.amdhsa_exception_fp_ieee_inexact 0
		.amdhsa_exception_int_div_zero 0
	.end_amdhsa_kernel
	.section	.text._ZN7rocprim17ROCPRIM_400000_NS6detail17trampoline_kernelINS0_14default_configENS1_38merge_sort_block_merge_config_selectorI14custom_numericNS0_10empty_typeEEEZZNS1_27merge_sort_block_merge_implIS3_N6thrust23THRUST_200600_302600_NS6detail15normal_iteratorINSA_10device_ptrIS5_EEEEPS6_m14custom_greaterIS5_EEE10hipError_tT0_T1_T2_jT3_P12ihipStream_tbPNSt15iterator_traitsISK_E10value_typeEPNSQ_ISL_E10value_typeEPSM_NS1_7vsmem_tEENKUlT_SK_SL_SM_E_clIPS5_SF_SG_SG_EESJ_SZ_SK_SL_SM_EUlSZ_E1_NS1_11comp_targetILNS1_3genE10ELNS1_11target_archE1201ELNS1_3gpuE5ELNS1_3repE0EEENS1_36merge_oddeven_config_static_selectorELNS0_4arch9wavefront6targetE1EEEvSL_,"axG",@progbits,_ZN7rocprim17ROCPRIM_400000_NS6detail17trampoline_kernelINS0_14default_configENS1_38merge_sort_block_merge_config_selectorI14custom_numericNS0_10empty_typeEEEZZNS1_27merge_sort_block_merge_implIS3_N6thrust23THRUST_200600_302600_NS6detail15normal_iteratorINSA_10device_ptrIS5_EEEEPS6_m14custom_greaterIS5_EEE10hipError_tT0_T1_T2_jT3_P12ihipStream_tbPNSt15iterator_traitsISK_E10value_typeEPNSQ_ISL_E10value_typeEPSM_NS1_7vsmem_tEENKUlT_SK_SL_SM_E_clIPS5_SF_SG_SG_EESJ_SZ_SK_SL_SM_EUlSZ_E1_NS1_11comp_targetILNS1_3genE10ELNS1_11target_archE1201ELNS1_3gpuE5ELNS1_3repE0EEENS1_36merge_oddeven_config_static_selectorELNS0_4arch9wavefront6targetE1EEEvSL_,comdat
.Lfunc_end3696:
	.size	_ZN7rocprim17ROCPRIM_400000_NS6detail17trampoline_kernelINS0_14default_configENS1_38merge_sort_block_merge_config_selectorI14custom_numericNS0_10empty_typeEEEZZNS1_27merge_sort_block_merge_implIS3_N6thrust23THRUST_200600_302600_NS6detail15normal_iteratorINSA_10device_ptrIS5_EEEEPS6_m14custom_greaterIS5_EEE10hipError_tT0_T1_T2_jT3_P12ihipStream_tbPNSt15iterator_traitsISK_E10value_typeEPNSQ_ISL_E10value_typeEPSM_NS1_7vsmem_tEENKUlT_SK_SL_SM_E_clIPS5_SF_SG_SG_EESJ_SZ_SK_SL_SM_EUlSZ_E1_NS1_11comp_targetILNS1_3genE10ELNS1_11target_archE1201ELNS1_3gpuE5ELNS1_3repE0EEENS1_36merge_oddeven_config_static_selectorELNS0_4arch9wavefront6targetE1EEEvSL_, .Lfunc_end3696-_ZN7rocprim17ROCPRIM_400000_NS6detail17trampoline_kernelINS0_14default_configENS1_38merge_sort_block_merge_config_selectorI14custom_numericNS0_10empty_typeEEEZZNS1_27merge_sort_block_merge_implIS3_N6thrust23THRUST_200600_302600_NS6detail15normal_iteratorINSA_10device_ptrIS5_EEEEPS6_m14custom_greaterIS5_EEE10hipError_tT0_T1_T2_jT3_P12ihipStream_tbPNSt15iterator_traitsISK_E10value_typeEPNSQ_ISL_E10value_typeEPSM_NS1_7vsmem_tEENKUlT_SK_SL_SM_E_clIPS5_SF_SG_SG_EESJ_SZ_SK_SL_SM_EUlSZ_E1_NS1_11comp_targetILNS1_3genE10ELNS1_11target_archE1201ELNS1_3gpuE5ELNS1_3repE0EEENS1_36merge_oddeven_config_static_selectorELNS0_4arch9wavefront6targetE1EEEvSL_
                                        ; -- End function
	.section	.AMDGPU.csdata,"",@progbits
; Kernel info:
; codeLenInByte = 0
; NumSgprs: 4
; NumVgprs: 0
; NumAgprs: 0
; TotalNumVgprs: 0
; ScratchSize: 0
; MemoryBound: 0
; FloatMode: 240
; IeeeMode: 1
; LDSByteSize: 0 bytes/workgroup (compile time only)
; SGPRBlocks: 0
; VGPRBlocks: 0
; NumSGPRsForWavesPerEU: 4
; NumVGPRsForWavesPerEU: 1
; AccumOffset: 4
; Occupancy: 8
; WaveLimiterHint : 0
; COMPUTE_PGM_RSRC2:SCRATCH_EN: 0
; COMPUTE_PGM_RSRC2:USER_SGPR: 6
; COMPUTE_PGM_RSRC2:TRAP_HANDLER: 0
; COMPUTE_PGM_RSRC2:TGID_X_EN: 1
; COMPUTE_PGM_RSRC2:TGID_Y_EN: 0
; COMPUTE_PGM_RSRC2:TGID_Z_EN: 0
; COMPUTE_PGM_RSRC2:TIDIG_COMP_CNT: 0
; COMPUTE_PGM_RSRC3_GFX90A:ACCUM_OFFSET: 0
; COMPUTE_PGM_RSRC3_GFX90A:TG_SPLIT: 0
	.section	.text._ZN7rocprim17ROCPRIM_400000_NS6detail17trampoline_kernelINS0_14default_configENS1_38merge_sort_block_merge_config_selectorI14custom_numericNS0_10empty_typeEEEZZNS1_27merge_sort_block_merge_implIS3_N6thrust23THRUST_200600_302600_NS6detail15normal_iteratorINSA_10device_ptrIS5_EEEEPS6_m14custom_greaterIS5_EEE10hipError_tT0_T1_T2_jT3_P12ihipStream_tbPNSt15iterator_traitsISK_E10value_typeEPNSQ_ISL_E10value_typeEPSM_NS1_7vsmem_tEENKUlT_SK_SL_SM_E_clIPS5_SF_SG_SG_EESJ_SZ_SK_SL_SM_EUlSZ_E1_NS1_11comp_targetILNS1_3genE5ELNS1_11target_archE942ELNS1_3gpuE9ELNS1_3repE0EEENS1_36merge_oddeven_config_static_selectorELNS0_4arch9wavefront6targetE1EEEvSL_,"axG",@progbits,_ZN7rocprim17ROCPRIM_400000_NS6detail17trampoline_kernelINS0_14default_configENS1_38merge_sort_block_merge_config_selectorI14custom_numericNS0_10empty_typeEEEZZNS1_27merge_sort_block_merge_implIS3_N6thrust23THRUST_200600_302600_NS6detail15normal_iteratorINSA_10device_ptrIS5_EEEEPS6_m14custom_greaterIS5_EEE10hipError_tT0_T1_T2_jT3_P12ihipStream_tbPNSt15iterator_traitsISK_E10value_typeEPNSQ_ISL_E10value_typeEPSM_NS1_7vsmem_tEENKUlT_SK_SL_SM_E_clIPS5_SF_SG_SG_EESJ_SZ_SK_SL_SM_EUlSZ_E1_NS1_11comp_targetILNS1_3genE5ELNS1_11target_archE942ELNS1_3gpuE9ELNS1_3repE0EEENS1_36merge_oddeven_config_static_selectorELNS0_4arch9wavefront6targetE1EEEvSL_,comdat
	.protected	_ZN7rocprim17ROCPRIM_400000_NS6detail17trampoline_kernelINS0_14default_configENS1_38merge_sort_block_merge_config_selectorI14custom_numericNS0_10empty_typeEEEZZNS1_27merge_sort_block_merge_implIS3_N6thrust23THRUST_200600_302600_NS6detail15normal_iteratorINSA_10device_ptrIS5_EEEEPS6_m14custom_greaterIS5_EEE10hipError_tT0_T1_T2_jT3_P12ihipStream_tbPNSt15iterator_traitsISK_E10value_typeEPNSQ_ISL_E10value_typeEPSM_NS1_7vsmem_tEENKUlT_SK_SL_SM_E_clIPS5_SF_SG_SG_EESJ_SZ_SK_SL_SM_EUlSZ_E1_NS1_11comp_targetILNS1_3genE5ELNS1_11target_archE942ELNS1_3gpuE9ELNS1_3repE0EEENS1_36merge_oddeven_config_static_selectorELNS0_4arch9wavefront6targetE1EEEvSL_ ; -- Begin function _ZN7rocprim17ROCPRIM_400000_NS6detail17trampoline_kernelINS0_14default_configENS1_38merge_sort_block_merge_config_selectorI14custom_numericNS0_10empty_typeEEEZZNS1_27merge_sort_block_merge_implIS3_N6thrust23THRUST_200600_302600_NS6detail15normal_iteratorINSA_10device_ptrIS5_EEEEPS6_m14custom_greaterIS5_EEE10hipError_tT0_T1_T2_jT3_P12ihipStream_tbPNSt15iterator_traitsISK_E10value_typeEPNSQ_ISL_E10value_typeEPSM_NS1_7vsmem_tEENKUlT_SK_SL_SM_E_clIPS5_SF_SG_SG_EESJ_SZ_SK_SL_SM_EUlSZ_E1_NS1_11comp_targetILNS1_3genE5ELNS1_11target_archE942ELNS1_3gpuE9ELNS1_3repE0EEENS1_36merge_oddeven_config_static_selectorELNS0_4arch9wavefront6targetE1EEEvSL_
	.globl	_ZN7rocprim17ROCPRIM_400000_NS6detail17trampoline_kernelINS0_14default_configENS1_38merge_sort_block_merge_config_selectorI14custom_numericNS0_10empty_typeEEEZZNS1_27merge_sort_block_merge_implIS3_N6thrust23THRUST_200600_302600_NS6detail15normal_iteratorINSA_10device_ptrIS5_EEEEPS6_m14custom_greaterIS5_EEE10hipError_tT0_T1_T2_jT3_P12ihipStream_tbPNSt15iterator_traitsISK_E10value_typeEPNSQ_ISL_E10value_typeEPSM_NS1_7vsmem_tEENKUlT_SK_SL_SM_E_clIPS5_SF_SG_SG_EESJ_SZ_SK_SL_SM_EUlSZ_E1_NS1_11comp_targetILNS1_3genE5ELNS1_11target_archE942ELNS1_3gpuE9ELNS1_3repE0EEENS1_36merge_oddeven_config_static_selectorELNS0_4arch9wavefront6targetE1EEEvSL_
	.p2align	8
	.type	_ZN7rocprim17ROCPRIM_400000_NS6detail17trampoline_kernelINS0_14default_configENS1_38merge_sort_block_merge_config_selectorI14custom_numericNS0_10empty_typeEEEZZNS1_27merge_sort_block_merge_implIS3_N6thrust23THRUST_200600_302600_NS6detail15normal_iteratorINSA_10device_ptrIS5_EEEEPS6_m14custom_greaterIS5_EEE10hipError_tT0_T1_T2_jT3_P12ihipStream_tbPNSt15iterator_traitsISK_E10value_typeEPNSQ_ISL_E10value_typeEPSM_NS1_7vsmem_tEENKUlT_SK_SL_SM_E_clIPS5_SF_SG_SG_EESJ_SZ_SK_SL_SM_EUlSZ_E1_NS1_11comp_targetILNS1_3genE5ELNS1_11target_archE942ELNS1_3gpuE9ELNS1_3repE0EEENS1_36merge_oddeven_config_static_selectorELNS0_4arch9wavefront6targetE1EEEvSL_,@function
_ZN7rocprim17ROCPRIM_400000_NS6detail17trampoline_kernelINS0_14default_configENS1_38merge_sort_block_merge_config_selectorI14custom_numericNS0_10empty_typeEEEZZNS1_27merge_sort_block_merge_implIS3_N6thrust23THRUST_200600_302600_NS6detail15normal_iteratorINSA_10device_ptrIS5_EEEEPS6_m14custom_greaterIS5_EEE10hipError_tT0_T1_T2_jT3_P12ihipStream_tbPNSt15iterator_traitsISK_E10value_typeEPNSQ_ISL_E10value_typeEPSM_NS1_7vsmem_tEENKUlT_SK_SL_SM_E_clIPS5_SF_SG_SG_EESJ_SZ_SK_SL_SM_EUlSZ_E1_NS1_11comp_targetILNS1_3genE5ELNS1_11target_archE942ELNS1_3gpuE9ELNS1_3repE0EEENS1_36merge_oddeven_config_static_selectorELNS0_4arch9wavefront6targetE1EEEvSL_: ; @_ZN7rocprim17ROCPRIM_400000_NS6detail17trampoline_kernelINS0_14default_configENS1_38merge_sort_block_merge_config_selectorI14custom_numericNS0_10empty_typeEEEZZNS1_27merge_sort_block_merge_implIS3_N6thrust23THRUST_200600_302600_NS6detail15normal_iteratorINSA_10device_ptrIS5_EEEEPS6_m14custom_greaterIS5_EEE10hipError_tT0_T1_T2_jT3_P12ihipStream_tbPNSt15iterator_traitsISK_E10value_typeEPNSQ_ISL_E10value_typeEPSM_NS1_7vsmem_tEENKUlT_SK_SL_SM_E_clIPS5_SF_SG_SG_EESJ_SZ_SK_SL_SM_EUlSZ_E1_NS1_11comp_targetILNS1_3genE5ELNS1_11target_archE942ELNS1_3gpuE9ELNS1_3repE0EEENS1_36merge_oddeven_config_static_selectorELNS0_4arch9wavefront6targetE1EEEvSL_
; %bb.0:
	.section	.rodata,"a",@progbits
	.p2align	6, 0x0
	.amdhsa_kernel _ZN7rocprim17ROCPRIM_400000_NS6detail17trampoline_kernelINS0_14default_configENS1_38merge_sort_block_merge_config_selectorI14custom_numericNS0_10empty_typeEEEZZNS1_27merge_sort_block_merge_implIS3_N6thrust23THRUST_200600_302600_NS6detail15normal_iteratorINSA_10device_ptrIS5_EEEEPS6_m14custom_greaterIS5_EEE10hipError_tT0_T1_T2_jT3_P12ihipStream_tbPNSt15iterator_traitsISK_E10value_typeEPNSQ_ISL_E10value_typeEPSM_NS1_7vsmem_tEENKUlT_SK_SL_SM_E_clIPS5_SF_SG_SG_EESJ_SZ_SK_SL_SM_EUlSZ_E1_NS1_11comp_targetILNS1_3genE5ELNS1_11target_archE942ELNS1_3gpuE9ELNS1_3repE0EEENS1_36merge_oddeven_config_static_selectorELNS0_4arch9wavefront6targetE1EEEvSL_
		.amdhsa_group_segment_fixed_size 0
		.amdhsa_private_segment_fixed_size 0
		.amdhsa_kernarg_size 56
		.amdhsa_user_sgpr_count 6
		.amdhsa_user_sgpr_private_segment_buffer 1
		.amdhsa_user_sgpr_dispatch_ptr 0
		.amdhsa_user_sgpr_queue_ptr 0
		.amdhsa_user_sgpr_kernarg_segment_ptr 1
		.amdhsa_user_sgpr_dispatch_id 0
		.amdhsa_user_sgpr_flat_scratch_init 0
		.amdhsa_user_sgpr_kernarg_preload_length 0
		.amdhsa_user_sgpr_kernarg_preload_offset 0
		.amdhsa_user_sgpr_private_segment_size 0
		.amdhsa_uses_dynamic_stack 0
		.amdhsa_system_sgpr_private_segment_wavefront_offset 0
		.amdhsa_system_sgpr_workgroup_id_x 1
		.amdhsa_system_sgpr_workgroup_id_y 0
		.amdhsa_system_sgpr_workgroup_id_z 0
		.amdhsa_system_sgpr_workgroup_info 0
		.amdhsa_system_vgpr_workitem_id 0
		.amdhsa_next_free_vgpr 1
		.amdhsa_next_free_sgpr 0
		.amdhsa_accum_offset 4
		.amdhsa_reserve_vcc 0
		.amdhsa_reserve_flat_scratch 0
		.amdhsa_float_round_mode_32 0
		.amdhsa_float_round_mode_16_64 0
		.amdhsa_float_denorm_mode_32 3
		.amdhsa_float_denorm_mode_16_64 3
		.amdhsa_dx10_clamp 1
		.amdhsa_ieee_mode 1
		.amdhsa_fp16_overflow 0
		.amdhsa_tg_split 0
		.amdhsa_exception_fp_ieee_invalid_op 0
		.amdhsa_exception_fp_denorm_src 0
		.amdhsa_exception_fp_ieee_div_zero 0
		.amdhsa_exception_fp_ieee_overflow 0
		.amdhsa_exception_fp_ieee_underflow 0
		.amdhsa_exception_fp_ieee_inexact 0
		.amdhsa_exception_int_div_zero 0
	.end_amdhsa_kernel
	.section	.text._ZN7rocprim17ROCPRIM_400000_NS6detail17trampoline_kernelINS0_14default_configENS1_38merge_sort_block_merge_config_selectorI14custom_numericNS0_10empty_typeEEEZZNS1_27merge_sort_block_merge_implIS3_N6thrust23THRUST_200600_302600_NS6detail15normal_iteratorINSA_10device_ptrIS5_EEEEPS6_m14custom_greaterIS5_EEE10hipError_tT0_T1_T2_jT3_P12ihipStream_tbPNSt15iterator_traitsISK_E10value_typeEPNSQ_ISL_E10value_typeEPSM_NS1_7vsmem_tEENKUlT_SK_SL_SM_E_clIPS5_SF_SG_SG_EESJ_SZ_SK_SL_SM_EUlSZ_E1_NS1_11comp_targetILNS1_3genE5ELNS1_11target_archE942ELNS1_3gpuE9ELNS1_3repE0EEENS1_36merge_oddeven_config_static_selectorELNS0_4arch9wavefront6targetE1EEEvSL_,"axG",@progbits,_ZN7rocprim17ROCPRIM_400000_NS6detail17trampoline_kernelINS0_14default_configENS1_38merge_sort_block_merge_config_selectorI14custom_numericNS0_10empty_typeEEEZZNS1_27merge_sort_block_merge_implIS3_N6thrust23THRUST_200600_302600_NS6detail15normal_iteratorINSA_10device_ptrIS5_EEEEPS6_m14custom_greaterIS5_EEE10hipError_tT0_T1_T2_jT3_P12ihipStream_tbPNSt15iterator_traitsISK_E10value_typeEPNSQ_ISL_E10value_typeEPSM_NS1_7vsmem_tEENKUlT_SK_SL_SM_E_clIPS5_SF_SG_SG_EESJ_SZ_SK_SL_SM_EUlSZ_E1_NS1_11comp_targetILNS1_3genE5ELNS1_11target_archE942ELNS1_3gpuE9ELNS1_3repE0EEENS1_36merge_oddeven_config_static_selectorELNS0_4arch9wavefront6targetE1EEEvSL_,comdat
.Lfunc_end3697:
	.size	_ZN7rocprim17ROCPRIM_400000_NS6detail17trampoline_kernelINS0_14default_configENS1_38merge_sort_block_merge_config_selectorI14custom_numericNS0_10empty_typeEEEZZNS1_27merge_sort_block_merge_implIS3_N6thrust23THRUST_200600_302600_NS6detail15normal_iteratorINSA_10device_ptrIS5_EEEEPS6_m14custom_greaterIS5_EEE10hipError_tT0_T1_T2_jT3_P12ihipStream_tbPNSt15iterator_traitsISK_E10value_typeEPNSQ_ISL_E10value_typeEPSM_NS1_7vsmem_tEENKUlT_SK_SL_SM_E_clIPS5_SF_SG_SG_EESJ_SZ_SK_SL_SM_EUlSZ_E1_NS1_11comp_targetILNS1_3genE5ELNS1_11target_archE942ELNS1_3gpuE9ELNS1_3repE0EEENS1_36merge_oddeven_config_static_selectorELNS0_4arch9wavefront6targetE1EEEvSL_, .Lfunc_end3697-_ZN7rocprim17ROCPRIM_400000_NS6detail17trampoline_kernelINS0_14default_configENS1_38merge_sort_block_merge_config_selectorI14custom_numericNS0_10empty_typeEEEZZNS1_27merge_sort_block_merge_implIS3_N6thrust23THRUST_200600_302600_NS6detail15normal_iteratorINSA_10device_ptrIS5_EEEEPS6_m14custom_greaterIS5_EEE10hipError_tT0_T1_T2_jT3_P12ihipStream_tbPNSt15iterator_traitsISK_E10value_typeEPNSQ_ISL_E10value_typeEPSM_NS1_7vsmem_tEENKUlT_SK_SL_SM_E_clIPS5_SF_SG_SG_EESJ_SZ_SK_SL_SM_EUlSZ_E1_NS1_11comp_targetILNS1_3genE5ELNS1_11target_archE942ELNS1_3gpuE9ELNS1_3repE0EEENS1_36merge_oddeven_config_static_selectorELNS0_4arch9wavefront6targetE1EEEvSL_
                                        ; -- End function
	.section	.AMDGPU.csdata,"",@progbits
; Kernel info:
; codeLenInByte = 0
; NumSgprs: 4
; NumVgprs: 0
; NumAgprs: 0
; TotalNumVgprs: 0
; ScratchSize: 0
; MemoryBound: 0
; FloatMode: 240
; IeeeMode: 1
; LDSByteSize: 0 bytes/workgroup (compile time only)
; SGPRBlocks: 0
; VGPRBlocks: 0
; NumSGPRsForWavesPerEU: 4
; NumVGPRsForWavesPerEU: 1
; AccumOffset: 4
; Occupancy: 8
; WaveLimiterHint : 0
; COMPUTE_PGM_RSRC2:SCRATCH_EN: 0
; COMPUTE_PGM_RSRC2:USER_SGPR: 6
; COMPUTE_PGM_RSRC2:TRAP_HANDLER: 0
; COMPUTE_PGM_RSRC2:TGID_X_EN: 1
; COMPUTE_PGM_RSRC2:TGID_Y_EN: 0
; COMPUTE_PGM_RSRC2:TGID_Z_EN: 0
; COMPUTE_PGM_RSRC2:TIDIG_COMP_CNT: 0
; COMPUTE_PGM_RSRC3_GFX90A:ACCUM_OFFSET: 0
; COMPUTE_PGM_RSRC3_GFX90A:TG_SPLIT: 0
	.section	.text._ZN7rocprim17ROCPRIM_400000_NS6detail17trampoline_kernelINS0_14default_configENS1_38merge_sort_block_merge_config_selectorI14custom_numericNS0_10empty_typeEEEZZNS1_27merge_sort_block_merge_implIS3_N6thrust23THRUST_200600_302600_NS6detail15normal_iteratorINSA_10device_ptrIS5_EEEEPS6_m14custom_greaterIS5_EEE10hipError_tT0_T1_T2_jT3_P12ihipStream_tbPNSt15iterator_traitsISK_E10value_typeEPNSQ_ISL_E10value_typeEPSM_NS1_7vsmem_tEENKUlT_SK_SL_SM_E_clIPS5_SF_SG_SG_EESJ_SZ_SK_SL_SM_EUlSZ_E1_NS1_11comp_targetILNS1_3genE4ELNS1_11target_archE910ELNS1_3gpuE8ELNS1_3repE0EEENS1_36merge_oddeven_config_static_selectorELNS0_4arch9wavefront6targetE1EEEvSL_,"axG",@progbits,_ZN7rocprim17ROCPRIM_400000_NS6detail17trampoline_kernelINS0_14default_configENS1_38merge_sort_block_merge_config_selectorI14custom_numericNS0_10empty_typeEEEZZNS1_27merge_sort_block_merge_implIS3_N6thrust23THRUST_200600_302600_NS6detail15normal_iteratorINSA_10device_ptrIS5_EEEEPS6_m14custom_greaterIS5_EEE10hipError_tT0_T1_T2_jT3_P12ihipStream_tbPNSt15iterator_traitsISK_E10value_typeEPNSQ_ISL_E10value_typeEPSM_NS1_7vsmem_tEENKUlT_SK_SL_SM_E_clIPS5_SF_SG_SG_EESJ_SZ_SK_SL_SM_EUlSZ_E1_NS1_11comp_targetILNS1_3genE4ELNS1_11target_archE910ELNS1_3gpuE8ELNS1_3repE0EEENS1_36merge_oddeven_config_static_selectorELNS0_4arch9wavefront6targetE1EEEvSL_,comdat
	.protected	_ZN7rocprim17ROCPRIM_400000_NS6detail17trampoline_kernelINS0_14default_configENS1_38merge_sort_block_merge_config_selectorI14custom_numericNS0_10empty_typeEEEZZNS1_27merge_sort_block_merge_implIS3_N6thrust23THRUST_200600_302600_NS6detail15normal_iteratorINSA_10device_ptrIS5_EEEEPS6_m14custom_greaterIS5_EEE10hipError_tT0_T1_T2_jT3_P12ihipStream_tbPNSt15iterator_traitsISK_E10value_typeEPNSQ_ISL_E10value_typeEPSM_NS1_7vsmem_tEENKUlT_SK_SL_SM_E_clIPS5_SF_SG_SG_EESJ_SZ_SK_SL_SM_EUlSZ_E1_NS1_11comp_targetILNS1_3genE4ELNS1_11target_archE910ELNS1_3gpuE8ELNS1_3repE0EEENS1_36merge_oddeven_config_static_selectorELNS0_4arch9wavefront6targetE1EEEvSL_ ; -- Begin function _ZN7rocprim17ROCPRIM_400000_NS6detail17trampoline_kernelINS0_14default_configENS1_38merge_sort_block_merge_config_selectorI14custom_numericNS0_10empty_typeEEEZZNS1_27merge_sort_block_merge_implIS3_N6thrust23THRUST_200600_302600_NS6detail15normal_iteratorINSA_10device_ptrIS5_EEEEPS6_m14custom_greaterIS5_EEE10hipError_tT0_T1_T2_jT3_P12ihipStream_tbPNSt15iterator_traitsISK_E10value_typeEPNSQ_ISL_E10value_typeEPSM_NS1_7vsmem_tEENKUlT_SK_SL_SM_E_clIPS5_SF_SG_SG_EESJ_SZ_SK_SL_SM_EUlSZ_E1_NS1_11comp_targetILNS1_3genE4ELNS1_11target_archE910ELNS1_3gpuE8ELNS1_3repE0EEENS1_36merge_oddeven_config_static_selectorELNS0_4arch9wavefront6targetE1EEEvSL_
	.globl	_ZN7rocprim17ROCPRIM_400000_NS6detail17trampoline_kernelINS0_14default_configENS1_38merge_sort_block_merge_config_selectorI14custom_numericNS0_10empty_typeEEEZZNS1_27merge_sort_block_merge_implIS3_N6thrust23THRUST_200600_302600_NS6detail15normal_iteratorINSA_10device_ptrIS5_EEEEPS6_m14custom_greaterIS5_EEE10hipError_tT0_T1_T2_jT3_P12ihipStream_tbPNSt15iterator_traitsISK_E10value_typeEPNSQ_ISL_E10value_typeEPSM_NS1_7vsmem_tEENKUlT_SK_SL_SM_E_clIPS5_SF_SG_SG_EESJ_SZ_SK_SL_SM_EUlSZ_E1_NS1_11comp_targetILNS1_3genE4ELNS1_11target_archE910ELNS1_3gpuE8ELNS1_3repE0EEENS1_36merge_oddeven_config_static_selectorELNS0_4arch9wavefront6targetE1EEEvSL_
	.p2align	8
	.type	_ZN7rocprim17ROCPRIM_400000_NS6detail17trampoline_kernelINS0_14default_configENS1_38merge_sort_block_merge_config_selectorI14custom_numericNS0_10empty_typeEEEZZNS1_27merge_sort_block_merge_implIS3_N6thrust23THRUST_200600_302600_NS6detail15normal_iteratorINSA_10device_ptrIS5_EEEEPS6_m14custom_greaterIS5_EEE10hipError_tT0_T1_T2_jT3_P12ihipStream_tbPNSt15iterator_traitsISK_E10value_typeEPNSQ_ISL_E10value_typeEPSM_NS1_7vsmem_tEENKUlT_SK_SL_SM_E_clIPS5_SF_SG_SG_EESJ_SZ_SK_SL_SM_EUlSZ_E1_NS1_11comp_targetILNS1_3genE4ELNS1_11target_archE910ELNS1_3gpuE8ELNS1_3repE0EEENS1_36merge_oddeven_config_static_selectorELNS0_4arch9wavefront6targetE1EEEvSL_,@function
_ZN7rocprim17ROCPRIM_400000_NS6detail17trampoline_kernelINS0_14default_configENS1_38merge_sort_block_merge_config_selectorI14custom_numericNS0_10empty_typeEEEZZNS1_27merge_sort_block_merge_implIS3_N6thrust23THRUST_200600_302600_NS6detail15normal_iteratorINSA_10device_ptrIS5_EEEEPS6_m14custom_greaterIS5_EEE10hipError_tT0_T1_T2_jT3_P12ihipStream_tbPNSt15iterator_traitsISK_E10value_typeEPNSQ_ISL_E10value_typeEPSM_NS1_7vsmem_tEENKUlT_SK_SL_SM_E_clIPS5_SF_SG_SG_EESJ_SZ_SK_SL_SM_EUlSZ_E1_NS1_11comp_targetILNS1_3genE4ELNS1_11target_archE910ELNS1_3gpuE8ELNS1_3repE0EEENS1_36merge_oddeven_config_static_selectorELNS0_4arch9wavefront6targetE1EEEvSL_: ; @_ZN7rocprim17ROCPRIM_400000_NS6detail17trampoline_kernelINS0_14default_configENS1_38merge_sort_block_merge_config_selectorI14custom_numericNS0_10empty_typeEEEZZNS1_27merge_sort_block_merge_implIS3_N6thrust23THRUST_200600_302600_NS6detail15normal_iteratorINSA_10device_ptrIS5_EEEEPS6_m14custom_greaterIS5_EEE10hipError_tT0_T1_T2_jT3_P12ihipStream_tbPNSt15iterator_traitsISK_E10value_typeEPNSQ_ISL_E10value_typeEPSM_NS1_7vsmem_tEENKUlT_SK_SL_SM_E_clIPS5_SF_SG_SG_EESJ_SZ_SK_SL_SM_EUlSZ_E1_NS1_11comp_targetILNS1_3genE4ELNS1_11target_archE910ELNS1_3gpuE8ELNS1_3repE0EEENS1_36merge_oddeven_config_static_selectorELNS0_4arch9wavefront6targetE1EEEvSL_
; %bb.0:
	s_load_dword s17, s[4:5], 0x20
	s_lshl_b32 s7, s6, 7
	s_waitcnt lgkmcnt(0)
	s_lshr_b32 s0, s17, 7
	s_cmp_lg_u32 s6, s0
	s_cselect_b64 s[14:15], -1, 0
	s_cmp_eq_u32 s6, s0
	s_cselect_b64 s[12:13], -1, 0
	s_sub_i32 s0, s17, s7
	v_cmp_gt_u32_e64 s[2:3], s0, v0
	s_or_b64 s[0:1], s[14:15], s[2:3]
	s_and_saveexec_b64 s[8:9], s[0:1]
	s_cbranch_execz .LBB3698_20
; %bb.1:
	s_load_dwordx4 s[8:11], s[4:5], 0x0
	s_load_dword s18, s[4:5], 0x28
	s_mul_i32 s0, s7, 20
	s_mul_hi_u32 s1, s7, 20
	v_add_u32_e32 v1, s7, v0
	s_waitcnt lgkmcnt(0)
	s_add_u32 s0, s8, s0
	s_addc_u32 s1, s9, s1
	v_mad_u64_u32 v[2:3], s[0:1], v0, 20, s[0:1]
	global_load_dword v2, v[2:3], off
	s_lshr_b32 s0, s18, 7
	s_sub_i32 s1, 0, s0
	s_and_b32 s1, s6, s1
	s_and_b32 s0, s1, s0
	s_lshl_b32 s19, s1, 7
	s_sub_i32 s6, 0, s18
	s_cmp_eq_u32 s0, 0
	s_cselect_b64 s[0:1], -1, 0
	s_and_b64 s[4:5], s[0:1], exec
	s_cselect_b32 s16, s18, s6
	s_add_i32 s16, s16, s19
	s_cmp_lt_u32 s16, s17
	s_cbranch_scc1 .LBB3698_3
; %bb.2:
	v_cmp_gt_u32_e32 vcc, s17, v1
	s_or_b64 s[4:5], vcc, s[14:15]
	s_and_b64 s[4:5], s[4:5], exec
	s_cbranch_execz .LBB3698_4
	s_branch .LBB3698_18
.LBB3698_3:
	s_mov_b64 s[4:5], 0
.LBB3698_4:
	s_min_u32 s14, s16, s17
	s_add_i32 s6, s14, s18
	s_min_u32 s15, s6, s17
	s_min_u32 s6, s19, s14
	s_add_i32 s19, s19, s14
	v_subrev_u32_e32 v0, s19, v1
	v_add_u32_e32 v0, s6, v0
	s_and_b64 vcc, exec, s[12:13]
	s_cbranch_vccz .LBB3698_12
; %bb.5:
                                        ; implicit-def: $vgpr1
	s_and_saveexec_b64 s[6:7], s[2:3]
	s_cbranch_execz .LBB3698_11
; %bb.6:
	s_cmp_ge_u32 s16, s15
	v_mov_b32_e32 v1, s14
	s_cbranch_scc1 .LBB3698_10
; %bb.7:
	s_mov_b64 s[2:3], 0
	v_mov_b32_e32 v3, s15
	v_mov_b32_e32 v1, s14
.LBB3698_8:                             ; =>This Inner Loop Header: Depth=1
	v_add_u32_e32 v4, v1, v3
	v_lshrrev_b32_e32 v6, 1, v4
	v_mad_u64_u32 v[4:5], s[12:13], v6, 20, s[8:9]
	global_load_dword v4, v[4:5], off
	v_add_u32_e32 v5, 1, v6
	s_waitcnt vmcnt(0)
	v_cmp_gt_i32_e32 vcc, v2, v4
	v_cndmask_b32_e64 v7, 0, 1, vcc
	v_cmp_le_i32_e32 vcc, v4, v2
	v_cndmask_b32_e64 v4, 0, 1, vcc
	v_cndmask_b32_e64 v4, v4, v7, s[0:1]
	v_and_b32_e32 v4, 1, v4
	v_cmp_eq_u32_e32 vcc, 1, v4
	v_cndmask_b32_e32 v3, v6, v3, vcc
	v_cndmask_b32_e32 v1, v1, v5, vcc
	v_cmp_ge_u32_e32 vcc, v1, v3
	s_or_b64 s[2:3], vcc, s[2:3]
	s_andn2_b64 exec, exec, s[2:3]
	s_cbranch_execnz .LBB3698_8
; %bb.9:
	s_or_b64 exec, exec, s[2:3]
.LBB3698_10:
	v_add_u32_e32 v1, v1, v0
	s_or_b64 s[4:5], s[4:5], exec
.LBB3698_11:
	s_or_b64 exec, exec, s[6:7]
	s_branch .LBB3698_18
.LBB3698_12:
                                        ; implicit-def: $vgpr1
	s_cbranch_execz .LBB3698_18
; %bb.13:
	s_cmp_ge_u32 s16, s15
	v_mov_b32_e32 v1, s14
	s_cbranch_scc1 .LBB3698_17
; %bb.14:
	s_mov_b64 s[2:3], 0
	v_mov_b32_e32 v3, s15
	v_mov_b32_e32 v1, s14
.LBB3698_15:                            ; =>This Inner Loop Header: Depth=1
	v_add_u32_e32 v4, v1, v3
	v_lshrrev_b32_e32 v6, 1, v4
	v_mad_u64_u32 v[4:5], s[4:5], v6, 20, s[8:9]
	global_load_dword v4, v[4:5], off
	v_add_u32_e32 v5, 1, v6
	s_waitcnt vmcnt(0)
	v_cmp_gt_i32_e32 vcc, v2, v4
	v_cndmask_b32_e64 v7, 0, 1, vcc
	v_cmp_le_i32_e32 vcc, v4, v2
	v_cndmask_b32_e64 v4, 0, 1, vcc
	v_cndmask_b32_e64 v4, v4, v7, s[0:1]
	v_and_b32_e32 v4, 1, v4
	v_cmp_eq_u32_e32 vcc, 1, v4
	v_cndmask_b32_e32 v3, v6, v3, vcc
	v_cndmask_b32_e32 v1, v1, v5, vcc
	v_cmp_ge_u32_e32 vcc, v1, v3
	s_or_b64 s[2:3], vcc, s[2:3]
	s_andn2_b64 exec, exec, s[2:3]
	s_cbranch_execnz .LBB3698_15
; %bb.16:
	s_or_b64 exec, exec, s[2:3]
.LBB3698_17:
	v_add_u32_e32 v1, v1, v0
	s_mov_b64 s[4:5], -1
.LBB3698_18:
	s_and_b64 exec, exec, s[4:5]
	s_cbranch_execz .LBB3698_20
; %bb.19:
	v_mov_b32_e32 v4, s10
	v_mov_b32_e32 v5, s11
	v_mad_u64_u32 v[0:1], s[0:1], v1, 20, v[4:5]
	s_waitcnt vmcnt(0)
	v_mov_b32_e32 v3, v2
	v_mov_b32_e32 v4, v2
	;; [unrolled: 1-line block ×3, first 2 shown]
	global_store_dwordx4 v[0:1], v[2:5], off
	global_store_dword v[0:1], v2, off offset:16
.LBB3698_20:
	s_endpgm
	.section	.rodata,"a",@progbits
	.p2align	6, 0x0
	.amdhsa_kernel _ZN7rocprim17ROCPRIM_400000_NS6detail17trampoline_kernelINS0_14default_configENS1_38merge_sort_block_merge_config_selectorI14custom_numericNS0_10empty_typeEEEZZNS1_27merge_sort_block_merge_implIS3_N6thrust23THRUST_200600_302600_NS6detail15normal_iteratorINSA_10device_ptrIS5_EEEEPS6_m14custom_greaterIS5_EEE10hipError_tT0_T1_T2_jT3_P12ihipStream_tbPNSt15iterator_traitsISK_E10value_typeEPNSQ_ISL_E10value_typeEPSM_NS1_7vsmem_tEENKUlT_SK_SL_SM_E_clIPS5_SF_SG_SG_EESJ_SZ_SK_SL_SM_EUlSZ_E1_NS1_11comp_targetILNS1_3genE4ELNS1_11target_archE910ELNS1_3gpuE8ELNS1_3repE0EEENS1_36merge_oddeven_config_static_selectorELNS0_4arch9wavefront6targetE1EEEvSL_
		.amdhsa_group_segment_fixed_size 0
		.amdhsa_private_segment_fixed_size 0
		.amdhsa_kernarg_size 56
		.amdhsa_user_sgpr_count 6
		.amdhsa_user_sgpr_private_segment_buffer 1
		.amdhsa_user_sgpr_dispatch_ptr 0
		.amdhsa_user_sgpr_queue_ptr 0
		.amdhsa_user_sgpr_kernarg_segment_ptr 1
		.amdhsa_user_sgpr_dispatch_id 0
		.amdhsa_user_sgpr_flat_scratch_init 0
		.amdhsa_user_sgpr_kernarg_preload_length 0
		.amdhsa_user_sgpr_kernarg_preload_offset 0
		.amdhsa_user_sgpr_private_segment_size 0
		.amdhsa_uses_dynamic_stack 0
		.amdhsa_system_sgpr_private_segment_wavefront_offset 0
		.amdhsa_system_sgpr_workgroup_id_x 1
		.amdhsa_system_sgpr_workgroup_id_y 0
		.amdhsa_system_sgpr_workgroup_id_z 0
		.amdhsa_system_sgpr_workgroup_info 0
		.amdhsa_system_vgpr_workitem_id 0
		.amdhsa_next_free_vgpr 8
		.amdhsa_next_free_sgpr 20
		.amdhsa_accum_offset 8
		.amdhsa_reserve_vcc 1
		.amdhsa_reserve_flat_scratch 0
		.amdhsa_float_round_mode_32 0
		.amdhsa_float_round_mode_16_64 0
		.amdhsa_float_denorm_mode_32 3
		.amdhsa_float_denorm_mode_16_64 3
		.amdhsa_dx10_clamp 1
		.amdhsa_ieee_mode 1
		.amdhsa_fp16_overflow 0
		.amdhsa_tg_split 0
		.amdhsa_exception_fp_ieee_invalid_op 0
		.amdhsa_exception_fp_denorm_src 0
		.amdhsa_exception_fp_ieee_div_zero 0
		.amdhsa_exception_fp_ieee_overflow 0
		.amdhsa_exception_fp_ieee_underflow 0
		.amdhsa_exception_fp_ieee_inexact 0
		.amdhsa_exception_int_div_zero 0
	.end_amdhsa_kernel
	.section	.text._ZN7rocprim17ROCPRIM_400000_NS6detail17trampoline_kernelINS0_14default_configENS1_38merge_sort_block_merge_config_selectorI14custom_numericNS0_10empty_typeEEEZZNS1_27merge_sort_block_merge_implIS3_N6thrust23THRUST_200600_302600_NS6detail15normal_iteratorINSA_10device_ptrIS5_EEEEPS6_m14custom_greaterIS5_EEE10hipError_tT0_T1_T2_jT3_P12ihipStream_tbPNSt15iterator_traitsISK_E10value_typeEPNSQ_ISL_E10value_typeEPSM_NS1_7vsmem_tEENKUlT_SK_SL_SM_E_clIPS5_SF_SG_SG_EESJ_SZ_SK_SL_SM_EUlSZ_E1_NS1_11comp_targetILNS1_3genE4ELNS1_11target_archE910ELNS1_3gpuE8ELNS1_3repE0EEENS1_36merge_oddeven_config_static_selectorELNS0_4arch9wavefront6targetE1EEEvSL_,"axG",@progbits,_ZN7rocprim17ROCPRIM_400000_NS6detail17trampoline_kernelINS0_14default_configENS1_38merge_sort_block_merge_config_selectorI14custom_numericNS0_10empty_typeEEEZZNS1_27merge_sort_block_merge_implIS3_N6thrust23THRUST_200600_302600_NS6detail15normal_iteratorINSA_10device_ptrIS5_EEEEPS6_m14custom_greaterIS5_EEE10hipError_tT0_T1_T2_jT3_P12ihipStream_tbPNSt15iterator_traitsISK_E10value_typeEPNSQ_ISL_E10value_typeEPSM_NS1_7vsmem_tEENKUlT_SK_SL_SM_E_clIPS5_SF_SG_SG_EESJ_SZ_SK_SL_SM_EUlSZ_E1_NS1_11comp_targetILNS1_3genE4ELNS1_11target_archE910ELNS1_3gpuE8ELNS1_3repE0EEENS1_36merge_oddeven_config_static_selectorELNS0_4arch9wavefront6targetE1EEEvSL_,comdat
.Lfunc_end3698:
	.size	_ZN7rocprim17ROCPRIM_400000_NS6detail17trampoline_kernelINS0_14default_configENS1_38merge_sort_block_merge_config_selectorI14custom_numericNS0_10empty_typeEEEZZNS1_27merge_sort_block_merge_implIS3_N6thrust23THRUST_200600_302600_NS6detail15normal_iteratorINSA_10device_ptrIS5_EEEEPS6_m14custom_greaterIS5_EEE10hipError_tT0_T1_T2_jT3_P12ihipStream_tbPNSt15iterator_traitsISK_E10value_typeEPNSQ_ISL_E10value_typeEPSM_NS1_7vsmem_tEENKUlT_SK_SL_SM_E_clIPS5_SF_SG_SG_EESJ_SZ_SK_SL_SM_EUlSZ_E1_NS1_11comp_targetILNS1_3genE4ELNS1_11target_archE910ELNS1_3gpuE8ELNS1_3repE0EEENS1_36merge_oddeven_config_static_selectorELNS0_4arch9wavefront6targetE1EEEvSL_, .Lfunc_end3698-_ZN7rocprim17ROCPRIM_400000_NS6detail17trampoline_kernelINS0_14default_configENS1_38merge_sort_block_merge_config_selectorI14custom_numericNS0_10empty_typeEEEZZNS1_27merge_sort_block_merge_implIS3_N6thrust23THRUST_200600_302600_NS6detail15normal_iteratorINSA_10device_ptrIS5_EEEEPS6_m14custom_greaterIS5_EEE10hipError_tT0_T1_T2_jT3_P12ihipStream_tbPNSt15iterator_traitsISK_E10value_typeEPNSQ_ISL_E10value_typeEPSM_NS1_7vsmem_tEENKUlT_SK_SL_SM_E_clIPS5_SF_SG_SG_EESJ_SZ_SK_SL_SM_EUlSZ_E1_NS1_11comp_targetILNS1_3genE4ELNS1_11target_archE910ELNS1_3gpuE8ELNS1_3repE0EEENS1_36merge_oddeven_config_static_selectorELNS0_4arch9wavefront6targetE1EEEvSL_
                                        ; -- End function
	.section	.AMDGPU.csdata,"",@progbits
; Kernel info:
; codeLenInByte = 572
; NumSgprs: 24
; NumVgprs: 8
; NumAgprs: 0
; TotalNumVgprs: 8
; ScratchSize: 0
; MemoryBound: 0
; FloatMode: 240
; IeeeMode: 1
; LDSByteSize: 0 bytes/workgroup (compile time only)
; SGPRBlocks: 2
; VGPRBlocks: 0
; NumSGPRsForWavesPerEU: 24
; NumVGPRsForWavesPerEU: 8
; AccumOffset: 8
; Occupancy: 8
; WaveLimiterHint : 0
; COMPUTE_PGM_RSRC2:SCRATCH_EN: 0
; COMPUTE_PGM_RSRC2:USER_SGPR: 6
; COMPUTE_PGM_RSRC2:TRAP_HANDLER: 0
; COMPUTE_PGM_RSRC2:TGID_X_EN: 1
; COMPUTE_PGM_RSRC2:TGID_Y_EN: 0
; COMPUTE_PGM_RSRC2:TGID_Z_EN: 0
; COMPUTE_PGM_RSRC2:TIDIG_COMP_CNT: 0
; COMPUTE_PGM_RSRC3_GFX90A:ACCUM_OFFSET: 1
; COMPUTE_PGM_RSRC3_GFX90A:TG_SPLIT: 0
	.section	.text._ZN7rocprim17ROCPRIM_400000_NS6detail17trampoline_kernelINS0_14default_configENS1_38merge_sort_block_merge_config_selectorI14custom_numericNS0_10empty_typeEEEZZNS1_27merge_sort_block_merge_implIS3_N6thrust23THRUST_200600_302600_NS6detail15normal_iteratorINSA_10device_ptrIS5_EEEEPS6_m14custom_greaterIS5_EEE10hipError_tT0_T1_T2_jT3_P12ihipStream_tbPNSt15iterator_traitsISK_E10value_typeEPNSQ_ISL_E10value_typeEPSM_NS1_7vsmem_tEENKUlT_SK_SL_SM_E_clIPS5_SF_SG_SG_EESJ_SZ_SK_SL_SM_EUlSZ_E1_NS1_11comp_targetILNS1_3genE3ELNS1_11target_archE908ELNS1_3gpuE7ELNS1_3repE0EEENS1_36merge_oddeven_config_static_selectorELNS0_4arch9wavefront6targetE1EEEvSL_,"axG",@progbits,_ZN7rocprim17ROCPRIM_400000_NS6detail17trampoline_kernelINS0_14default_configENS1_38merge_sort_block_merge_config_selectorI14custom_numericNS0_10empty_typeEEEZZNS1_27merge_sort_block_merge_implIS3_N6thrust23THRUST_200600_302600_NS6detail15normal_iteratorINSA_10device_ptrIS5_EEEEPS6_m14custom_greaterIS5_EEE10hipError_tT0_T1_T2_jT3_P12ihipStream_tbPNSt15iterator_traitsISK_E10value_typeEPNSQ_ISL_E10value_typeEPSM_NS1_7vsmem_tEENKUlT_SK_SL_SM_E_clIPS5_SF_SG_SG_EESJ_SZ_SK_SL_SM_EUlSZ_E1_NS1_11comp_targetILNS1_3genE3ELNS1_11target_archE908ELNS1_3gpuE7ELNS1_3repE0EEENS1_36merge_oddeven_config_static_selectorELNS0_4arch9wavefront6targetE1EEEvSL_,comdat
	.protected	_ZN7rocprim17ROCPRIM_400000_NS6detail17trampoline_kernelINS0_14default_configENS1_38merge_sort_block_merge_config_selectorI14custom_numericNS0_10empty_typeEEEZZNS1_27merge_sort_block_merge_implIS3_N6thrust23THRUST_200600_302600_NS6detail15normal_iteratorINSA_10device_ptrIS5_EEEEPS6_m14custom_greaterIS5_EEE10hipError_tT0_T1_T2_jT3_P12ihipStream_tbPNSt15iterator_traitsISK_E10value_typeEPNSQ_ISL_E10value_typeEPSM_NS1_7vsmem_tEENKUlT_SK_SL_SM_E_clIPS5_SF_SG_SG_EESJ_SZ_SK_SL_SM_EUlSZ_E1_NS1_11comp_targetILNS1_3genE3ELNS1_11target_archE908ELNS1_3gpuE7ELNS1_3repE0EEENS1_36merge_oddeven_config_static_selectorELNS0_4arch9wavefront6targetE1EEEvSL_ ; -- Begin function _ZN7rocprim17ROCPRIM_400000_NS6detail17trampoline_kernelINS0_14default_configENS1_38merge_sort_block_merge_config_selectorI14custom_numericNS0_10empty_typeEEEZZNS1_27merge_sort_block_merge_implIS3_N6thrust23THRUST_200600_302600_NS6detail15normal_iteratorINSA_10device_ptrIS5_EEEEPS6_m14custom_greaterIS5_EEE10hipError_tT0_T1_T2_jT3_P12ihipStream_tbPNSt15iterator_traitsISK_E10value_typeEPNSQ_ISL_E10value_typeEPSM_NS1_7vsmem_tEENKUlT_SK_SL_SM_E_clIPS5_SF_SG_SG_EESJ_SZ_SK_SL_SM_EUlSZ_E1_NS1_11comp_targetILNS1_3genE3ELNS1_11target_archE908ELNS1_3gpuE7ELNS1_3repE0EEENS1_36merge_oddeven_config_static_selectorELNS0_4arch9wavefront6targetE1EEEvSL_
	.globl	_ZN7rocprim17ROCPRIM_400000_NS6detail17trampoline_kernelINS0_14default_configENS1_38merge_sort_block_merge_config_selectorI14custom_numericNS0_10empty_typeEEEZZNS1_27merge_sort_block_merge_implIS3_N6thrust23THRUST_200600_302600_NS6detail15normal_iteratorINSA_10device_ptrIS5_EEEEPS6_m14custom_greaterIS5_EEE10hipError_tT0_T1_T2_jT3_P12ihipStream_tbPNSt15iterator_traitsISK_E10value_typeEPNSQ_ISL_E10value_typeEPSM_NS1_7vsmem_tEENKUlT_SK_SL_SM_E_clIPS5_SF_SG_SG_EESJ_SZ_SK_SL_SM_EUlSZ_E1_NS1_11comp_targetILNS1_3genE3ELNS1_11target_archE908ELNS1_3gpuE7ELNS1_3repE0EEENS1_36merge_oddeven_config_static_selectorELNS0_4arch9wavefront6targetE1EEEvSL_
	.p2align	8
	.type	_ZN7rocprim17ROCPRIM_400000_NS6detail17trampoline_kernelINS0_14default_configENS1_38merge_sort_block_merge_config_selectorI14custom_numericNS0_10empty_typeEEEZZNS1_27merge_sort_block_merge_implIS3_N6thrust23THRUST_200600_302600_NS6detail15normal_iteratorINSA_10device_ptrIS5_EEEEPS6_m14custom_greaterIS5_EEE10hipError_tT0_T1_T2_jT3_P12ihipStream_tbPNSt15iterator_traitsISK_E10value_typeEPNSQ_ISL_E10value_typeEPSM_NS1_7vsmem_tEENKUlT_SK_SL_SM_E_clIPS5_SF_SG_SG_EESJ_SZ_SK_SL_SM_EUlSZ_E1_NS1_11comp_targetILNS1_3genE3ELNS1_11target_archE908ELNS1_3gpuE7ELNS1_3repE0EEENS1_36merge_oddeven_config_static_selectorELNS0_4arch9wavefront6targetE1EEEvSL_,@function
_ZN7rocprim17ROCPRIM_400000_NS6detail17trampoline_kernelINS0_14default_configENS1_38merge_sort_block_merge_config_selectorI14custom_numericNS0_10empty_typeEEEZZNS1_27merge_sort_block_merge_implIS3_N6thrust23THRUST_200600_302600_NS6detail15normal_iteratorINSA_10device_ptrIS5_EEEEPS6_m14custom_greaterIS5_EEE10hipError_tT0_T1_T2_jT3_P12ihipStream_tbPNSt15iterator_traitsISK_E10value_typeEPNSQ_ISL_E10value_typeEPSM_NS1_7vsmem_tEENKUlT_SK_SL_SM_E_clIPS5_SF_SG_SG_EESJ_SZ_SK_SL_SM_EUlSZ_E1_NS1_11comp_targetILNS1_3genE3ELNS1_11target_archE908ELNS1_3gpuE7ELNS1_3repE0EEENS1_36merge_oddeven_config_static_selectorELNS0_4arch9wavefront6targetE1EEEvSL_: ; @_ZN7rocprim17ROCPRIM_400000_NS6detail17trampoline_kernelINS0_14default_configENS1_38merge_sort_block_merge_config_selectorI14custom_numericNS0_10empty_typeEEEZZNS1_27merge_sort_block_merge_implIS3_N6thrust23THRUST_200600_302600_NS6detail15normal_iteratorINSA_10device_ptrIS5_EEEEPS6_m14custom_greaterIS5_EEE10hipError_tT0_T1_T2_jT3_P12ihipStream_tbPNSt15iterator_traitsISK_E10value_typeEPNSQ_ISL_E10value_typeEPSM_NS1_7vsmem_tEENKUlT_SK_SL_SM_E_clIPS5_SF_SG_SG_EESJ_SZ_SK_SL_SM_EUlSZ_E1_NS1_11comp_targetILNS1_3genE3ELNS1_11target_archE908ELNS1_3gpuE7ELNS1_3repE0EEENS1_36merge_oddeven_config_static_selectorELNS0_4arch9wavefront6targetE1EEEvSL_
; %bb.0:
	.section	.rodata,"a",@progbits
	.p2align	6, 0x0
	.amdhsa_kernel _ZN7rocprim17ROCPRIM_400000_NS6detail17trampoline_kernelINS0_14default_configENS1_38merge_sort_block_merge_config_selectorI14custom_numericNS0_10empty_typeEEEZZNS1_27merge_sort_block_merge_implIS3_N6thrust23THRUST_200600_302600_NS6detail15normal_iteratorINSA_10device_ptrIS5_EEEEPS6_m14custom_greaterIS5_EEE10hipError_tT0_T1_T2_jT3_P12ihipStream_tbPNSt15iterator_traitsISK_E10value_typeEPNSQ_ISL_E10value_typeEPSM_NS1_7vsmem_tEENKUlT_SK_SL_SM_E_clIPS5_SF_SG_SG_EESJ_SZ_SK_SL_SM_EUlSZ_E1_NS1_11comp_targetILNS1_3genE3ELNS1_11target_archE908ELNS1_3gpuE7ELNS1_3repE0EEENS1_36merge_oddeven_config_static_selectorELNS0_4arch9wavefront6targetE1EEEvSL_
		.amdhsa_group_segment_fixed_size 0
		.amdhsa_private_segment_fixed_size 0
		.amdhsa_kernarg_size 56
		.amdhsa_user_sgpr_count 6
		.amdhsa_user_sgpr_private_segment_buffer 1
		.amdhsa_user_sgpr_dispatch_ptr 0
		.amdhsa_user_sgpr_queue_ptr 0
		.amdhsa_user_sgpr_kernarg_segment_ptr 1
		.amdhsa_user_sgpr_dispatch_id 0
		.amdhsa_user_sgpr_flat_scratch_init 0
		.amdhsa_user_sgpr_kernarg_preload_length 0
		.amdhsa_user_sgpr_kernarg_preload_offset 0
		.amdhsa_user_sgpr_private_segment_size 0
		.amdhsa_uses_dynamic_stack 0
		.amdhsa_system_sgpr_private_segment_wavefront_offset 0
		.amdhsa_system_sgpr_workgroup_id_x 1
		.amdhsa_system_sgpr_workgroup_id_y 0
		.amdhsa_system_sgpr_workgroup_id_z 0
		.amdhsa_system_sgpr_workgroup_info 0
		.amdhsa_system_vgpr_workitem_id 0
		.amdhsa_next_free_vgpr 1
		.amdhsa_next_free_sgpr 0
		.amdhsa_accum_offset 4
		.amdhsa_reserve_vcc 0
		.amdhsa_reserve_flat_scratch 0
		.amdhsa_float_round_mode_32 0
		.amdhsa_float_round_mode_16_64 0
		.amdhsa_float_denorm_mode_32 3
		.amdhsa_float_denorm_mode_16_64 3
		.amdhsa_dx10_clamp 1
		.amdhsa_ieee_mode 1
		.amdhsa_fp16_overflow 0
		.amdhsa_tg_split 0
		.amdhsa_exception_fp_ieee_invalid_op 0
		.amdhsa_exception_fp_denorm_src 0
		.amdhsa_exception_fp_ieee_div_zero 0
		.amdhsa_exception_fp_ieee_overflow 0
		.amdhsa_exception_fp_ieee_underflow 0
		.amdhsa_exception_fp_ieee_inexact 0
		.amdhsa_exception_int_div_zero 0
	.end_amdhsa_kernel
	.section	.text._ZN7rocprim17ROCPRIM_400000_NS6detail17trampoline_kernelINS0_14default_configENS1_38merge_sort_block_merge_config_selectorI14custom_numericNS0_10empty_typeEEEZZNS1_27merge_sort_block_merge_implIS3_N6thrust23THRUST_200600_302600_NS6detail15normal_iteratorINSA_10device_ptrIS5_EEEEPS6_m14custom_greaterIS5_EEE10hipError_tT0_T1_T2_jT3_P12ihipStream_tbPNSt15iterator_traitsISK_E10value_typeEPNSQ_ISL_E10value_typeEPSM_NS1_7vsmem_tEENKUlT_SK_SL_SM_E_clIPS5_SF_SG_SG_EESJ_SZ_SK_SL_SM_EUlSZ_E1_NS1_11comp_targetILNS1_3genE3ELNS1_11target_archE908ELNS1_3gpuE7ELNS1_3repE0EEENS1_36merge_oddeven_config_static_selectorELNS0_4arch9wavefront6targetE1EEEvSL_,"axG",@progbits,_ZN7rocprim17ROCPRIM_400000_NS6detail17trampoline_kernelINS0_14default_configENS1_38merge_sort_block_merge_config_selectorI14custom_numericNS0_10empty_typeEEEZZNS1_27merge_sort_block_merge_implIS3_N6thrust23THRUST_200600_302600_NS6detail15normal_iteratorINSA_10device_ptrIS5_EEEEPS6_m14custom_greaterIS5_EEE10hipError_tT0_T1_T2_jT3_P12ihipStream_tbPNSt15iterator_traitsISK_E10value_typeEPNSQ_ISL_E10value_typeEPSM_NS1_7vsmem_tEENKUlT_SK_SL_SM_E_clIPS5_SF_SG_SG_EESJ_SZ_SK_SL_SM_EUlSZ_E1_NS1_11comp_targetILNS1_3genE3ELNS1_11target_archE908ELNS1_3gpuE7ELNS1_3repE0EEENS1_36merge_oddeven_config_static_selectorELNS0_4arch9wavefront6targetE1EEEvSL_,comdat
.Lfunc_end3699:
	.size	_ZN7rocprim17ROCPRIM_400000_NS6detail17trampoline_kernelINS0_14default_configENS1_38merge_sort_block_merge_config_selectorI14custom_numericNS0_10empty_typeEEEZZNS1_27merge_sort_block_merge_implIS3_N6thrust23THRUST_200600_302600_NS6detail15normal_iteratorINSA_10device_ptrIS5_EEEEPS6_m14custom_greaterIS5_EEE10hipError_tT0_T1_T2_jT3_P12ihipStream_tbPNSt15iterator_traitsISK_E10value_typeEPNSQ_ISL_E10value_typeEPSM_NS1_7vsmem_tEENKUlT_SK_SL_SM_E_clIPS5_SF_SG_SG_EESJ_SZ_SK_SL_SM_EUlSZ_E1_NS1_11comp_targetILNS1_3genE3ELNS1_11target_archE908ELNS1_3gpuE7ELNS1_3repE0EEENS1_36merge_oddeven_config_static_selectorELNS0_4arch9wavefront6targetE1EEEvSL_, .Lfunc_end3699-_ZN7rocprim17ROCPRIM_400000_NS6detail17trampoline_kernelINS0_14default_configENS1_38merge_sort_block_merge_config_selectorI14custom_numericNS0_10empty_typeEEEZZNS1_27merge_sort_block_merge_implIS3_N6thrust23THRUST_200600_302600_NS6detail15normal_iteratorINSA_10device_ptrIS5_EEEEPS6_m14custom_greaterIS5_EEE10hipError_tT0_T1_T2_jT3_P12ihipStream_tbPNSt15iterator_traitsISK_E10value_typeEPNSQ_ISL_E10value_typeEPSM_NS1_7vsmem_tEENKUlT_SK_SL_SM_E_clIPS5_SF_SG_SG_EESJ_SZ_SK_SL_SM_EUlSZ_E1_NS1_11comp_targetILNS1_3genE3ELNS1_11target_archE908ELNS1_3gpuE7ELNS1_3repE0EEENS1_36merge_oddeven_config_static_selectorELNS0_4arch9wavefront6targetE1EEEvSL_
                                        ; -- End function
	.section	.AMDGPU.csdata,"",@progbits
; Kernel info:
; codeLenInByte = 0
; NumSgprs: 4
; NumVgprs: 0
; NumAgprs: 0
; TotalNumVgprs: 0
; ScratchSize: 0
; MemoryBound: 0
; FloatMode: 240
; IeeeMode: 1
; LDSByteSize: 0 bytes/workgroup (compile time only)
; SGPRBlocks: 0
; VGPRBlocks: 0
; NumSGPRsForWavesPerEU: 4
; NumVGPRsForWavesPerEU: 1
; AccumOffset: 4
; Occupancy: 8
; WaveLimiterHint : 0
; COMPUTE_PGM_RSRC2:SCRATCH_EN: 0
; COMPUTE_PGM_RSRC2:USER_SGPR: 6
; COMPUTE_PGM_RSRC2:TRAP_HANDLER: 0
; COMPUTE_PGM_RSRC2:TGID_X_EN: 1
; COMPUTE_PGM_RSRC2:TGID_Y_EN: 0
; COMPUTE_PGM_RSRC2:TGID_Z_EN: 0
; COMPUTE_PGM_RSRC2:TIDIG_COMP_CNT: 0
; COMPUTE_PGM_RSRC3_GFX90A:ACCUM_OFFSET: 0
; COMPUTE_PGM_RSRC3_GFX90A:TG_SPLIT: 0
	.section	.text._ZN7rocprim17ROCPRIM_400000_NS6detail17trampoline_kernelINS0_14default_configENS1_38merge_sort_block_merge_config_selectorI14custom_numericNS0_10empty_typeEEEZZNS1_27merge_sort_block_merge_implIS3_N6thrust23THRUST_200600_302600_NS6detail15normal_iteratorINSA_10device_ptrIS5_EEEEPS6_m14custom_greaterIS5_EEE10hipError_tT0_T1_T2_jT3_P12ihipStream_tbPNSt15iterator_traitsISK_E10value_typeEPNSQ_ISL_E10value_typeEPSM_NS1_7vsmem_tEENKUlT_SK_SL_SM_E_clIPS5_SF_SG_SG_EESJ_SZ_SK_SL_SM_EUlSZ_E1_NS1_11comp_targetILNS1_3genE2ELNS1_11target_archE906ELNS1_3gpuE6ELNS1_3repE0EEENS1_36merge_oddeven_config_static_selectorELNS0_4arch9wavefront6targetE1EEEvSL_,"axG",@progbits,_ZN7rocprim17ROCPRIM_400000_NS6detail17trampoline_kernelINS0_14default_configENS1_38merge_sort_block_merge_config_selectorI14custom_numericNS0_10empty_typeEEEZZNS1_27merge_sort_block_merge_implIS3_N6thrust23THRUST_200600_302600_NS6detail15normal_iteratorINSA_10device_ptrIS5_EEEEPS6_m14custom_greaterIS5_EEE10hipError_tT0_T1_T2_jT3_P12ihipStream_tbPNSt15iterator_traitsISK_E10value_typeEPNSQ_ISL_E10value_typeEPSM_NS1_7vsmem_tEENKUlT_SK_SL_SM_E_clIPS5_SF_SG_SG_EESJ_SZ_SK_SL_SM_EUlSZ_E1_NS1_11comp_targetILNS1_3genE2ELNS1_11target_archE906ELNS1_3gpuE6ELNS1_3repE0EEENS1_36merge_oddeven_config_static_selectorELNS0_4arch9wavefront6targetE1EEEvSL_,comdat
	.protected	_ZN7rocprim17ROCPRIM_400000_NS6detail17trampoline_kernelINS0_14default_configENS1_38merge_sort_block_merge_config_selectorI14custom_numericNS0_10empty_typeEEEZZNS1_27merge_sort_block_merge_implIS3_N6thrust23THRUST_200600_302600_NS6detail15normal_iteratorINSA_10device_ptrIS5_EEEEPS6_m14custom_greaterIS5_EEE10hipError_tT0_T1_T2_jT3_P12ihipStream_tbPNSt15iterator_traitsISK_E10value_typeEPNSQ_ISL_E10value_typeEPSM_NS1_7vsmem_tEENKUlT_SK_SL_SM_E_clIPS5_SF_SG_SG_EESJ_SZ_SK_SL_SM_EUlSZ_E1_NS1_11comp_targetILNS1_3genE2ELNS1_11target_archE906ELNS1_3gpuE6ELNS1_3repE0EEENS1_36merge_oddeven_config_static_selectorELNS0_4arch9wavefront6targetE1EEEvSL_ ; -- Begin function _ZN7rocprim17ROCPRIM_400000_NS6detail17trampoline_kernelINS0_14default_configENS1_38merge_sort_block_merge_config_selectorI14custom_numericNS0_10empty_typeEEEZZNS1_27merge_sort_block_merge_implIS3_N6thrust23THRUST_200600_302600_NS6detail15normal_iteratorINSA_10device_ptrIS5_EEEEPS6_m14custom_greaterIS5_EEE10hipError_tT0_T1_T2_jT3_P12ihipStream_tbPNSt15iterator_traitsISK_E10value_typeEPNSQ_ISL_E10value_typeEPSM_NS1_7vsmem_tEENKUlT_SK_SL_SM_E_clIPS5_SF_SG_SG_EESJ_SZ_SK_SL_SM_EUlSZ_E1_NS1_11comp_targetILNS1_3genE2ELNS1_11target_archE906ELNS1_3gpuE6ELNS1_3repE0EEENS1_36merge_oddeven_config_static_selectorELNS0_4arch9wavefront6targetE1EEEvSL_
	.globl	_ZN7rocprim17ROCPRIM_400000_NS6detail17trampoline_kernelINS0_14default_configENS1_38merge_sort_block_merge_config_selectorI14custom_numericNS0_10empty_typeEEEZZNS1_27merge_sort_block_merge_implIS3_N6thrust23THRUST_200600_302600_NS6detail15normal_iteratorINSA_10device_ptrIS5_EEEEPS6_m14custom_greaterIS5_EEE10hipError_tT0_T1_T2_jT3_P12ihipStream_tbPNSt15iterator_traitsISK_E10value_typeEPNSQ_ISL_E10value_typeEPSM_NS1_7vsmem_tEENKUlT_SK_SL_SM_E_clIPS5_SF_SG_SG_EESJ_SZ_SK_SL_SM_EUlSZ_E1_NS1_11comp_targetILNS1_3genE2ELNS1_11target_archE906ELNS1_3gpuE6ELNS1_3repE0EEENS1_36merge_oddeven_config_static_selectorELNS0_4arch9wavefront6targetE1EEEvSL_
	.p2align	8
	.type	_ZN7rocprim17ROCPRIM_400000_NS6detail17trampoline_kernelINS0_14default_configENS1_38merge_sort_block_merge_config_selectorI14custom_numericNS0_10empty_typeEEEZZNS1_27merge_sort_block_merge_implIS3_N6thrust23THRUST_200600_302600_NS6detail15normal_iteratorINSA_10device_ptrIS5_EEEEPS6_m14custom_greaterIS5_EEE10hipError_tT0_T1_T2_jT3_P12ihipStream_tbPNSt15iterator_traitsISK_E10value_typeEPNSQ_ISL_E10value_typeEPSM_NS1_7vsmem_tEENKUlT_SK_SL_SM_E_clIPS5_SF_SG_SG_EESJ_SZ_SK_SL_SM_EUlSZ_E1_NS1_11comp_targetILNS1_3genE2ELNS1_11target_archE906ELNS1_3gpuE6ELNS1_3repE0EEENS1_36merge_oddeven_config_static_selectorELNS0_4arch9wavefront6targetE1EEEvSL_,@function
_ZN7rocprim17ROCPRIM_400000_NS6detail17trampoline_kernelINS0_14default_configENS1_38merge_sort_block_merge_config_selectorI14custom_numericNS0_10empty_typeEEEZZNS1_27merge_sort_block_merge_implIS3_N6thrust23THRUST_200600_302600_NS6detail15normal_iteratorINSA_10device_ptrIS5_EEEEPS6_m14custom_greaterIS5_EEE10hipError_tT0_T1_T2_jT3_P12ihipStream_tbPNSt15iterator_traitsISK_E10value_typeEPNSQ_ISL_E10value_typeEPSM_NS1_7vsmem_tEENKUlT_SK_SL_SM_E_clIPS5_SF_SG_SG_EESJ_SZ_SK_SL_SM_EUlSZ_E1_NS1_11comp_targetILNS1_3genE2ELNS1_11target_archE906ELNS1_3gpuE6ELNS1_3repE0EEENS1_36merge_oddeven_config_static_selectorELNS0_4arch9wavefront6targetE1EEEvSL_: ; @_ZN7rocprim17ROCPRIM_400000_NS6detail17trampoline_kernelINS0_14default_configENS1_38merge_sort_block_merge_config_selectorI14custom_numericNS0_10empty_typeEEEZZNS1_27merge_sort_block_merge_implIS3_N6thrust23THRUST_200600_302600_NS6detail15normal_iteratorINSA_10device_ptrIS5_EEEEPS6_m14custom_greaterIS5_EEE10hipError_tT0_T1_T2_jT3_P12ihipStream_tbPNSt15iterator_traitsISK_E10value_typeEPNSQ_ISL_E10value_typeEPSM_NS1_7vsmem_tEENKUlT_SK_SL_SM_E_clIPS5_SF_SG_SG_EESJ_SZ_SK_SL_SM_EUlSZ_E1_NS1_11comp_targetILNS1_3genE2ELNS1_11target_archE906ELNS1_3gpuE6ELNS1_3repE0EEENS1_36merge_oddeven_config_static_selectorELNS0_4arch9wavefront6targetE1EEEvSL_
; %bb.0:
	.section	.rodata,"a",@progbits
	.p2align	6, 0x0
	.amdhsa_kernel _ZN7rocprim17ROCPRIM_400000_NS6detail17trampoline_kernelINS0_14default_configENS1_38merge_sort_block_merge_config_selectorI14custom_numericNS0_10empty_typeEEEZZNS1_27merge_sort_block_merge_implIS3_N6thrust23THRUST_200600_302600_NS6detail15normal_iteratorINSA_10device_ptrIS5_EEEEPS6_m14custom_greaterIS5_EEE10hipError_tT0_T1_T2_jT3_P12ihipStream_tbPNSt15iterator_traitsISK_E10value_typeEPNSQ_ISL_E10value_typeEPSM_NS1_7vsmem_tEENKUlT_SK_SL_SM_E_clIPS5_SF_SG_SG_EESJ_SZ_SK_SL_SM_EUlSZ_E1_NS1_11comp_targetILNS1_3genE2ELNS1_11target_archE906ELNS1_3gpuE6ELNS1_3repE0EEENS1_36merge_oddeven_config_static_selectorELNS0_4arch9wavefront6targetE1EEEvSL_
		.amdhsa_group_segment_fixed_size 0
		.amdhsa_private_segment_fixed_size 0
		.amdhsa_kernarg_size 56
		.amdhsa_user_sgpr_count 6
		.amdhsa_user_sgpr_private_segment_buffer 1
		.amdhsa_user_sgpr_dispatch_ptr 0
		.amdhsa_user_sgpr_queue_ptr 0
		.amdhsa_user_sgpr_kernarg_segment_ptr 1
		.amdhsa_user_sgpr_dispatch_id 0
		.amdhsa_user_sgpr_flat_scratch_init 0
		.amdhsa_user_sgpr_kernarg_preload_length 0
		.amdhsa_user_sgpr_kernarg_preload_offset 0
		.amdhsa_user_sgpr_private_segment_size 0
		.amdhsa_uses_dynamic_stack 0
		.amdhsa_system_sgpr_private_segment_wavefront_offset 0
		.amdhsa_system_sgpr_workgroup_id_x 1
		.amdhsa_system_sgpr_workgroup_id_y 0
		.amdhsa_system_sgpr_workgroup_id_z 0
		.amdhsa_system_sgpr_workgroup_info 0
		.amdhsa_system_vgpr_workitem_id 0
		.amdhsa_next_free_vgpr 1
		.amdhsa_next_free_sgpr 0
		.amdhsa_accum_offset 4
		.amdhsa_reserve_vcc 0
		.amdhsa_reserve_flat_scratch 0
		.amdhsa_float_round_mode_32 0
		.amdhsa_float_round_mode_16_64 0
		.amdhsa_float_denorm_mode_32 3
		.amdhsa_float_denorm_mode_16_64 3
		.amdhsa_dx10_clamp 1
		.amdhsa_ieee_mode 1
		.amdhsa_fp16_overflow 0
		.amdhsa_tg_split 0
		.amdhsa_exception_fp_ieee_invalid_op 0
		.amdhsa_exception_fp_denorm_src 0
		.amdhsa_exception_fp_ieee_div_zero 0
		.amdhsa_exception_fp_ieee_overflow 0
		.amdhsa_exception_fp_ieee_underflow 0
		.amdhsa_exception_fp_ieee_inexact 0
		.amdhsa_exception_int_div_zero 0
	.end_amdhsa_kernel
	.section	.text._ZN7rocprim17ROCPRIM_400000_NS6detail17trampoline_kernelINS0_14default_configENS1_38merge_sort_block_merge_config_selectorI14custom_numericNS0_10empty_typeEEEZZNS1_27merge_sort_block_merge_implIS3_N6thrust23THRUST_200600_302600_NS6detail15normal_iteratorINSA_10device_ptrIS5_EEEEPS6_m14custom_greaterIS5_EEE10hipError_tT0_T1_T2_jT3_P12ihipStream_tbPNSt15iterator_traitsISK_E10value_typeEPNSQ_ISL_E10value_typeEPSM_NS1_7vsmem_tEENKUlT_SK_SL_SM_E_clIPS5_SF_SG_SG_EESJ_SZ_SK_SL_SM_EUlSZ_E1_NS1_11comp_targetILNS1_3genE2ELNS1_11target_archE906ELNS1_3gpuE6ELNS1_3repE0EEENS1_36merge_oddeven_config_static_selectorELNS0_4arch9wavefront6targetE1EEEvSL_,"axG",@progbits,_ZN7rocprim17ROCPRIM_400000_NS6detail17trampoline_kernelINS0_14default_configENS1_38merge_sort_block_merge_config_selectorI14custom_numericNS0_10empty_typeEEEZZNS1_27merge_sort_block_merge_implIS3_N6thrust23THRUST_200600_302600_NS6detail15normal_iteratorINSA_10device_ptrIS5_EEEEPS6_m14custom_greaterIS5_EEE10hipError_tT0_T1_T2_jT3_P12ihipStream_tbPNSt15iterator_traitsISK_E10value_typeEPNSQ_ISL_E10value_typeEPSM_NS1_7vsmem_tEENKUlT_SK_SL_SM_E_clIPS5_SF_SG_SG_EESJ_SZ_SK_SL_SM_EUlSZ_E1_NS1_11comp_targetILNS1_3genE2ELNS1_11target_archE906ELNS1_3gpuE6ELNS1_3repE0EEENS1_36merge_oddeven_config_static_selectorELNS0_4arch9wavefront6targetE1EEEvSL_,comdat
.Lfunc_end3700:
	.size	_ZN7rocprim17ROCPRIM_400000_NS6detail17trampoline_kernelINS0_14default_configENS1_38merge_sort_block_merge_config_selectorI14custom_numericNS0_10empty_typeEEEZZNS1_27merge_sort_block_merge_implIS3_N6thrust23THRUST_200600_302600_NS6detail15normal_iteratorINSA_10device_ptrIS5_EEEEPS6_m14custom_greaterIS5_EEE10hipError_tT0_T1_T2_jT3_P12ihipStream_tbPNSt15iterator_traitsISK_E10value_typeEPNSQ_ISL_E10value_typeEPSM_NS1_7vsmem_tEENKUlT_SK_SL_SM_E_clIPS5_SF_SG_SG_EESJ_SZ_SK_SL_SM_EUlSZ_E1_NS1_11comp_targetILNS1_3genE2ELNS1_11target_archE906ELNS1_3gpuE6ELNS1_3repE0EEENS1_36merge_oddeven_config_static_selectorELNS0_4arch9wavefront6targetE1EEEvSL_, .Lfunc_end3700-_ZN7rocprim17ROCPRIM_400000_NS6detail17trampoline_kernelINS0_14default_configENS1_38merge_sort_block_merge_config_selectorI14custom_numericNS0_10empty_typeEEEZZNS1_27merge_sort_block_merge_implIS3_N6thrust23THRUST_200600_302600_NS6detail15normal_iteratorINSA_10device_ptrIS5_EEEEPS6_m14custom_greaterIS5_EEE10hipError_tT0_T1_T2_jT3_P12ihipStream_tbPNSt15iterator_traitsISK_E10value_typeEPNSQ_ISL_E10value_typeEPSM_NS1_7vsmem_tEENKUlT_SK_SL_SM_E_clIPS5_SF_SG_SG_EESJ_SZ_SK_SL_SM_EUlSZ_E1_NS1_11comp_targetILNS1_3genE2ELNS1_11target_archE906ELNS1_3gpuE6ELNS1_3repE0EEENS1_36merge_oddeven_config_static_selectorELNS0_4arch9wavefront6targetE1EEEvSL_
                                        ; -- End function
	.section	.AMDGPU.csdata,"",@progbits
; Kernel info:
; codeLenInByte = 0
; NumSgprs: 4
; NumVgprs: 0
; NumAgprs: 0
; TotalNumVgprs: 0
; ScratchSize: 0
; MemoryBound: 0
; FloatMode: 240
; IeeeMode: 1
; LDSByteSize: 0 bytes/workgroup (compile time only)
; SGPRBlocks: 0
; VGPRBlocks: 0
; NumSGPRsForWavesPerEU: 4
; NumVGPRsForWavesPerEU: 1
; AccumOffset: 4
; Occupancy: 8
; WaveLimiterHint : 0
; COMPUTE_PGM_RSRC2:SCRATCH_EN: 0
; COMPUTE_PGM_RSRC2:USER_SGPR: 6
; COMPUTE_PGM_RSRC2:TRAP_HANDLER: 0
; COMPUTE_PGM_RSRC2:TGID_X_EN: 1
; COMPUTE_PGM_RSRC2:TGID_Y_EN: 0
; COMPUTE_PGM_RSRC2:TGID_Z_EN: 0
; COMPUTE_PGM_RSRC2:TIDIG_COMP_CNT: 0
; COMPUTE_PGM_RSRC3_GFX90A:ACCUM_OFFSET: 0
; COMPUTE_PGM_RSRC3_GFX90A:TG_SPLIT: 0
	.section	.text._ZN7rocprim17ROCPRIM_400000_NS6detail17trampoline_kernelINS0_14default_configENS1_38merge_sort_block_merge_config_selectorI14custom_numericNS0_10empty_typeEEEZZNS1_27merge_sort_block_merge_implIS3_N6thrust23THRUST_200600_302600_NS6detail15normal_iteratorINSA_10device_ptrIS5_EEEEPS6_m14custom_greaterIS5_EEE10hipError_tT0_T1_T2_jT3_P12ihipStream_tbPNSt15iterator_traitsISK_E10value_typeEPNSQ_ISL_E10value_typeEPSM_NS1_7vsmem_tEENKUlT_SK_SL_SM_E_clIPS5_SF_SG_SG_EESJ_SZ_SK_SL_SM_EUlSZ_E1_NS1_11comp_targetILNS1_3genE9ELNS1_11target_archE1100ELNS1_3gpuE3ELNS1_3repE0EEENS1_36merge_oddeven_config_static_selectorELNS0_4arch9wavefront6targetE1EEEvSL_,"axG",@progbits,_ZN7rocprim17ROCPRIM_400000_NS6detail17trampoline_kernelINS0_14default_configENS1_38merge_sort_block_merge_config_selectorI14custom_numericNS0_10empty_typeEEEZZNS1_27merge_sort_block_merge_implIS3_N6thrust23THRUST_200600_302600_NS6detail15normal_iteratorINSA_10device_ptrIS5_EEEEPS6_m14custom_greaterIS5_EEE10hipError_tT0_T1_T2_jT3_P12ihipStream_tbPNSt15iterator_traitsISK_E10value_typeEPNSQ_ISL_E10value_typeEPSM_NS1_7vsmem_tEENKUlT_SK_SL_SM_E_clIPS5_SF_SG_SG_EESJ_SZ_SK_SL_SM_EUlSZ_E1_NS1_11comp_targetILNS1_3genE9ELNS1_11target_archE1100ELNS1_3gpuE3ELNS1_3repE0EEENS1_36merge_oddeven_config_static_selectorELNS0_4arch9wavefront6targetE1EEEvSL_,comdat
	.protected	_ZN7rocprim17ROCPRIM_400000_NS6detail17trampoline_kernelINS0_14default_configENS1_38merge_sort_block_merge_config_selectorI14custom_numericNS0_10empty_typeEEEZZNS1_27merge_sort_block_merge_implIS3_N6thrust23THRUST_200600_302600_NS6detail15normal_iteratorINSA_10device_ptrIS5_EEEEPS6_m14custom_greaterIS5_EEE10hipError_tT0_T1_T2_jT3_P12ihipStream_tbPNSt15iterator_traitsISK_E10value_typeEPNSQ_ISL_E10value_typeEPSM_NS1_7vsmem_tEENKUlT_SK_SL_SM_E_clIPS5_SF_SG_SG_EESJ_SZ_SK_SL_SM_EUlSZ_E1_NS1_11comp_targetILNS1_3genE9ELNS1_11target_archE1100ELNS1_3gpuE3ELNS1_3repE0EEENS1_36merge_oddeven_config_static_selectorELNS0_4arch9wavefront6targetE1EEEvSL_ ; -- Begin function _ZN7rocprim17ROCPRIM_400000_NS6detail17trampoline_kernelINS0_14default_configENS1_38merge_sort_block_merge_config_selectorI14custom_numericNS0_10empty_typeEEEZZNS1_27merge_sort_block_merge_implIS3_N6thrust23THRUST_200600_302600_NS6detail15normal_iteratorINSA_10device_ptrIS5_EEEEPS6_m14custom_greaterIS5_EEE10hipError_tT0_T1_T2_jT3_P12ihipStream_tbPNSt15iterator_traitsISK_E10value_typeEPNSQ_ISL_E10value_typeEPSM_NS1_7vsmem_tEENKUlT_SK_SL_SM_E_clIPS5_SF_SG_SG_EESJ_SZ_SK_SL_SM_EUlSZ_E1_NS1_11comp_targetILNS1_3genE9ELNS1_11target_archE1100ELNS1_3gpuE3ELNS1_3repE0EEENS1_36merge_oddeven_config_static_selectorELNS0_4arch9wavefront6targetE1EEEvSL_
	.globl	_ZN7rocprim17ROCPRIM_400000_NS6detail17trampoline_kernelINS0_14default_configENS1_38merge_sort_block_merge_config_selectorI14custom_numericNS0_10empty_typeEEEZZNS1_27merge_sort_block_merge_implIS3_N6thrust23THRUST_200600_302600_NS6detail15normal_iteratorINSA_10device_ptrIS5_EEEEPS6_m14custom_greaterIS5_EEE10hipError_tT0_T1_T2_jT3_P12ihipStream_tbPNSt15iterator_traitsISK_E10value_typeEPNSQ_ISL_E10value_typeEPSM_NS1_7vsmem_tEENKUlT_SK_SL_SM_E_clIPS5_SF_SG_SG_EESJ_SZ_SK_SL_SM_EUlSZ_E1_NS1_11comp_targetILNS1_3genE9ELNS1_11target_archE1100ELNS1_3gpuE3ELNS1_3repE0EEENS1_36merge_oddeven_config_static_selectorELNS0_4arch9wavefront6targetE1EEEvSL_
	.p2align	8
	.type	_ZN7rocprim17ROCPRIM_400000_NS6detail17trampoline_kernelINS0_14default_configENS1_38merge_sort_block_merge_config_selectorI14custom_numericNS0_10empty_typeEEEZZNS1_27merge_sort_block_merge_implIS3_N6thrust23THRUST_200600_302600_NS6detail15normal_iteratorINSA_10device_ptrIS5_EEEEPS6_m14custom_greaterIS5_EEE10hipError_tT0_T1_T2_jT3_P12ihipStream_tbPNSt15iterator_traitsISK_E10value_typeEPNSQ_ISL_E10value_typeEPSM_NS1_7vsmem_tEENKUlT_SK_SL_SM_E_clIPS5_SF_SG_SG_EESJ_SZ_SK_SL_SM_EUlSZ_E1_NS1_11comp_targetILNS1_3genE9ELNS1_11target_archE1100ELNS1_3gpuE3ELNS1_3repE0EEENS1_36merge_oddeven_config_static_selectorELNS0_4arch9wavefront6targetE1EEEvSL_,@function
_ZN7rocprim17ROCPRIM_400000_NS6detail17trampoline_kernelINS0_14default_configENS1_38merge_sort_block_merge_config_selectorI14custom_numericNS0_10empty_typeEEEZZNS1_27merge_sort_block_merge_implIS3_N6thrust23THRUST_200600_302600_NS6detail15normal_iteratorINSA_10device_ptrIS5_EEEEPS6_m14custom_greaterIS5_EEE10hipError_tT0_T1_T2_jT3_P12ihipStream_tbPNSt15iterator_traitsISK_E10value_typeEPNSQ_ISL_E10value_typeEPSM_NS1_7vsmem_tEENKUlT_SK_SL_SM_E_clIPS5_SF_SG_SG_EESJ_SZ_SK_SL_SM_EUlSZ_E1_NS1_11comp_targetILNS1_3genE9ELNS1_11target_archE1100ELNS1_3gpuE3ELNS1_3repE0EEENS1_36merge_oddeven_config_static_selectorELNS0_4arch9wavefront6targetE1EEEvSL_: ; @_ZN7rocprim17ROCPRIM_400000_NS6detail17trampoline_kernelINS0_14default_configENS1_38merge_sort_block_merge_config_selectorI14custom_numericNS0_10empty_typeEEEZZNS1_27merge_sort_block_merge_implIS3_N6thrust23THRUST_200600_302600_NS6detail15normal_iteratorINSA_10device_ptrIS5_EEEEPS6_m14custom_greaterIS5_EEE10hipError_tT0_T1_T2_jT3_P12ihipStream_tbPNSt15iterator_traitsISK_E10value_typeEPNSQ_ISL_E10value_typeEPSM_NS1_7vsmem_tEENKUlT_SK_SL_SM_E_clIPS5_SF_SG_SG_EESJ_SZ_SK_SL_SM_EUlSZ_E1_NS1_11comp_targetILNS1_3genE9ELNS1_11target_archE1100ELNS1_3gpuE3ELNS1_3repE0EEENS1_36merge_oddeven_config_static_selectorELNS0_4arch9wavefront6targetE1EEEvSL_
; %bb.0:
	.section	.rodata,"a",@progbits
	.p2align	6, 0x0
	.amdhsa_kernel _ZN7rocprim17ROCPRIM_400000_NS6detail17trampoline_kernelINS0_14default_configENS1_38merge_sort_block_merge_config_selectorI14custom_numericNS0_10empty_typeEEEZZNS1_27merge_sort_block_merge_implIS3_N6thrust23THRUST_200600_302600_NS6detail15normal_iteratorINSA_10device_ptrIS5_EEEEPS6_m14custom_greaterIS5_EEE10hipError_tT0_T1_T2_jT3_P12ihipStream_tbPNSt15iterator_traitsISK_E10value_typeEPNSQ_ISL_E10value_typeEPSM_NS1_7vsmem_tEENKUlT_SK_SL_SM_E_clIPS5_SF_SG_SG_EESJ_SZ_SK_SL_SM_EUlSZ_E1_NS1_11comp_targetILNS1_3genE9ELNS1_11target_archE1100ELNS1_3gpuE3ELNS1_3repE0EEENS1_36merge_oddeven_config_static_selectorELNS0_4arch9wavefront6targetE1EEEvSL_
		.amdhsa_group_segment_fixed_size 0
		.amdhsa_private_segment_fixed_size 0
		.amdhsa_kernarg_size 56
		.amdhsa_user_sgpr_count 6
		.amdhsa_user_sgpr_private_segment_buffer 1
		.amdhsa_user_sgpr_dispatch_ptr 0
		.amdhsa_user_sgpr_queue_ptr 0
		.amdhsa_user_sgpr_kernarg_segment_ptr 1
		.amdhsa_user_sgpr_dispatch_id 0
		.amdhsa_user_sgpr_flat_scratch_init 0
		.amdhsa_user_sgpr_kernarg_preload_length 0
		.amdhsa_user_sgpr_kernarg_preload_offset 0
		.amdhsa_user_sgpr_private_segment_size 0
		.amdhsa_uses_dynamic_stack 0
		.amdhsa_system_sgpr_private_segment_wavefront_offset 0
		.amdhsa_system_sgpr_workgroup_id_x 1
		.amdhsa_system_sgpr_workgroup_id_y 0
		.amdhsa_system_sgpr_workgroup_id_z 0
		.amdhsa_system_sgpr_workgroup_info 0
		.amdhsa_system_vgpr_workitem_id 0
		.amdhsa_next_free_vgpr 1
		.amdhsa_next_free_sgpr 0
		.amdhsa_accum_offset 4
		.amdhsa_reserve_vcc 0
		.amdhsa_reserve_flat_scratch 0
		.amdhsa_float_round_mode_32 0
		.amdhsa_float_round_mode_16_64 0
		.amdhsa_float_denorm_mode_32 3
		.amdhsa_float_denorm_mode_16_64 3
		.amdhsa_dx10_clamp 1
		.amdhsa_ieee_mode 1
		.amdhsa_fp16_overflow 0
		.amdhsa_tg_split 0
		.amdhsa_exception_fp_ieee_invalid_op 0
		.amdhsa_exception_fp_denorm_src 0
		.amdhsa_exception_fp_ieee_div_zero 0
		.amdhsa_exception_fp_ieee_overflow 0
		.amdhsa_exception_fp_ieee_underflow 0
		.amdhsa_exception_fp_ieee_inexact 0
		.amdhsa_exception_int_div_zero 0
	.end_amdhsa_kernel
	.section	.text._ZN7rocprim17ROCPRIM_400000_NS6detail17trampoline_kernelINS0_14default_configENS1_38merge_sort_block_merge_config_selectorI14custom_numericNS0_10empty_typeEEEZZNS1_27merge_sort_block_merge_implIS3_N6thrust23THRUST_200600_302600_NS6detail15normal_iteratorINSA_10device_ptrIS5_EEEEPS6_m14custom_greaterIS5_EEE10hipError_tT0_T1_T2_jT3_P12ihipStream_tbPNSt15iterator_traitsISK_E10value_typeEPNSQ_ISL_E10value_typeEPSM_NS1_7vsmem_tEENKUlT_SK_SL_SM_E_clIPS5_SF_SG_SG_EESJ_SZ_SK_SL_SM_EUlSZ_E1_NS1_11comp_targetILNS1_3genE9ELNS1_11target_archE1100ELNS1_3gpuE3ELNS1_3repE0EEENS1_36merge_oddeven_config_static_selectorELNS0_4arch9wavefront6targetE1EEEvSL_,"axG",@progbits,_ZN7rocprim17ROCPRIM_400000_NS6detail17trampoline_kernelINS0_14default_configENS1_38merge_sort_block_merge_config_selectorI14custom_numericNS0_10empty_typeEEEZZNS1_27merge_sort_block_merge_implIS3_N6thrust23THRUST_200600_302600_NS6detail15normal_iteratorINSA_10device_ptrIS5_EEEEPS6_m14custom_greaterIS5_EEE10hipError_tT0_T1_T2_jT3_P12ihipStream_tbPNSt15iterator_traitsISK_E10value_typeEPNSQ_ISL_E10value_typeEPSM_NS1_7vsmem_tEENKUlT_SK_SL_SM_E_clIPS5_SF_SG_SG_EESJ_SZ_SK_SL_SM_EUlSZ_E1_NS1_11comp_targetILNS1_3genE9ELNS1_11target_archE1100ELNS1_3gpuE3ELNS1_3repE0EEENS1_36merge_oddeven_config_static_selectorELNS0_4arch9wavefront6targetE1EEEvSL_,comdat
.Lfunc_end3701:
	.size	_ZN7rocprim17ROCPRIM_400000_NS6detail17trampoline_kernelINS0_14default_configENS1_38merge_sort_block_merge_config_selectorI14custom_numericNS0_10empty_typeEEEZZNS1_27merge_sort_block_merge_implIS3_N6thrust23THRUST_200600_302600_NS6detail15normal_iteratorINSA_10device_ptrIS5_EEEEPS6_m14custom_greaterIS5_EEE10hipError_tT0_T1_T2_jT3_P12ihipStream_tbPNSt15iterator_traitsISK_E10value_typeEPNSQ_ISL_E10value_typeEPSM_NS1_7vsmem_tEENKUlT_SK_SL_SM_E_clIPS5_SF_SG_SG_EESJ_SZ_SK_SL_SM_EUlSZ_E1_NS1_11comp_targetILNS1_3genE9ELNS1_11target_archE1100ELNS1_3gpuE3ELNS1_3repE0EEENS1_36merge_oddeven_config_static_selectorELNS0_4arch9wavefront6targetE1EEEvSL_, .Lfunc_end3701-_ZN7rocprim17ROCPRIM_400000_NS6detail17trampoline_kernelINS0_14default_configENS1_38merge_sort_block_merge_config_selectorI14custom_numericNS0_10empty_typeEEEZZNS1_27merge_sort_block_merge_implIS3_N6thrust23THRUST_200600_302600_NS6detail15normal_iteratorINSA_10device_ptrIS5_EEEEPS6_m14custom_greaterIS5_EEE10hipError_tT0_T1_T2_jT3_P12ihipStream_tbPNSt15iterator_traitsISK_E10value_typeEPNSQ_ISL_E10value_typeEPSM_NS1_7vsmem_tEENKUlT_SK_SL_SM_E_clIPS5_SF_SG_SG_EESJ_SZ_SK_SL_SM_EUlSZ_E1_NS1_11comp_targetILNS1_3genE9ELNS1_11target_archE1100ELNS1_3gpuE3ELNS1_3repE0EEENS1_36merge_oddeven_config_static_selectorELNS0_4arch9wavefront6targetE1EEEvSL_
                                        ; -- End function
	.section	.AMDGPU.csdata,"",@progbits
; Kernel info:
; codeLenInByte = 0
; NumSgprs: 4
; NumVgprs: 0
; NumAgprs: 0
; TotalNumVgprs: 0
; ScratchSize: 0
; MemoryBound: 0
; FloatMode: 240
; IeeeMode: 1
; LDSByteSize: 0 bytes/workgroup (compile time only)
; SGPRBlocks: 0
; VGPRBlocks: 0
; NumSGPRsForWavesPerEU: 4
; NumVGPRsForWavesPerEU: 1
; AccumOffset: 4
; Occupancy: 8
; WaveLimiterHint : 0
; COMPUTE_PGM_RSRC2:SCRATCH_EN: 0
; COMPUTE_PGM_RSRC2:USER_SGPR: 6
; COMPUTE_PGM_RSRC2:TRAP_HANDLER: 0
; COMPUTE_PGM_RSRC2:TGID_X_EN: 1
; COMPUTE_PGM_RSRC2:TGID_Y_EN: 0
; COMPUTE_PGM_RSRC2:TGID_Z_EN: 0
; COMPUTE_PGM_RSRC2:TIDIG_COMP_CNT: 0
; COMPUTE_PGM_RSRC3_GFX90A:ACCUM_OFFSET: 0
; COMPUTE_PGM_RSRC3_GFX90A:TG_SPLIT: 0
	.section	.text._ZN7rocprim17ROCPRIM_400000_NS6detail17trampoline_kernelINS0_14default_configENS1_38merge_sort_block_merge_config_selectorI14custom_numericNS0_10empty_typeEEEZZNS1_27merge_sort_block_merge_implIS3_N6thrust23THRUST_200600_302600_NS6detail15normal_iteratorINSA_10device_ptrIS5_EEEEPS6_m14custom_greaterIS5_EEE10hipError_tT0_T1_T2_jT3_P12ihipStream_tbPNSt15iterator_traitsISK_E10value_typeEPNSQ_ISL_E10value_typeEPSM_NS1_7vsmem_tEENKUlT_SK_SL_SM_E_clIPS5_SF_SG_SG_EESJ_SZ_SK_SL_SM_EUlSZ_E1_NS1_11comp_targetILNS1_3genE8ELNS1_11target_archE1030ELNS1_3gpuE2ELNS1_3repE0EEENS1_36merge_oddeven_config_static_selectorELNS0_4arch9wavefront6targetE1EEEvSL_,"axG",@progbits,_ZN7rocprim17ROCPRIM_400000_NS6detail17trampoline_kernelINS0_14default_configENS1_38merge_sort_block_merge_config_selectorI14custom_numericNS0_10empty_typeEEEZZNS1_27merge_sort_block_merge_implIS3_N6thrust23THRUST_200600_302600_NS6detail15normal_iteratorINSA_10device_ptrIS5_EEEEPS6_m14custom_greaterIS5_EEE10hipError_tT0_T1_T2_jT3_P12ihipStream_tbPNSt15iterator_traitsISK_E10value_typeEPNSQ_ISL_E10value_typeEPSM_NS1_7vsmem_tEENKUlT_SK_SL_SM_E_clIPS5_SF_SG_SG_EESJ_SZ_SK_SL_SM_EUlSZ_E1_NS1_11comp_targetILNS1_3genE8ELNS1_11target_archE1030ELNS1_3gpuE2ELNS1_3repE0EEENS1_36merge_oddeven_config_static_selectorELNS0_4arch9wavefront6targetE1EEEvSL_,comdat
	.protected	_ZN7rocprim17ROCPRIM_400000_NS6detail17trampoline_kernelINS0_14default_configENS1_38merge_sort_block_merge_config_selectorI14custom_numericNS0_10empty_typeEEEZZNS1_27merge_sort_block_merge_implIS3_N6thrust23THRUST_200600_302600_NS6detail15normal_iteratorINSA_10device_ptrIS5_EEEEPS6_m14custom_greaterIS5_EEE10hipError_tT0_T1_T2_jT3_P12ihipStream_tbPNSt15iterator_traitsISK_E10value_typeEPNSQ_ISL_E10value_typeEPSM_NS1_7vsmem_tEENKUlT_SK_SL_SM_E_clIPS5_SF_SG_SG_EESJ_SZ_SK_SL_SM_EUlSZ_E1_NS1_11comp_targetILNS1_3genE8ELNS1_11target_archE1030ELNS1_3gpuE2ELNS1_3repE0EEENS1_36merge_oddeven_config_static_selectorELNS0_4arch9wavefront6targetE1EEEvSL_ ; -- Begin function _ZN7rocprim17ROCPRIM_400000_NS6detail17trampoline_kernelINS0_14default_configENS1_38merge_sort_block_merge_config_selectorI14custom_numericNS0_10empty_typeEEEZZNS1_27merge_sort_block_merge_implIS3_N6thrust23THRUST_200600_302600_NS6detail15normal_iteratorINSA_10device_ptrIS5_EEEEPS6_m14custom_greaterIS5_EEE10hipError_tT0_T1_T2_jT3_P12ihipStream_tbPNSt15iterator_traitsISK_E10value_typeEPNSQ_ISL_E10value_typeEPSM_NS1_7vsmem_tEENKUlT_SK_SL_SM_E_clIPS5_SF_SG_SG_EESJ_SZ_SK_SL_SM_EUlSZ_E1_NS1_11comp_targetILNS1_3genE8ELNS1_11target_archE1030ELNS1_3gpuE2ELNS1_3repE0EEENS1_36merge_oddeven_config_static_selectorELNS0_4arch9wavefront6targetE1EEEvSL_
	.globl	_ZN7rocprim17ROCPRIM_400000_NS6detail17trampoline_kernelINS0_14default_configENS1_38merge_sort_block_merge_config_selectorI14custom_numericNS0_10empty_typeEEEZZNS1_27merge_sort_block_merge_implIS3_N6thrust23THRUST_200600_302600_NS6detail15normal_iteratorINSA_10device_ptrIS5_EEEEPS6_m14custom_greaterIS5_EEE10hipError_tT0_T1_T2_jT3_P12ihipStream_tbPNSt15iterator_traitsISK_E10value_typeEPNSQ_ISL_E10value_typeEPSM_NS1_7vsmem_tEENKUlT_SK_SL_SM_E_clIPS5_SF_SG_SG_EESJ_SZ_SK_SL_SM_EUlSZ_E1_NS1_11comp_targetILNS1_3genE8ELNS1_11target_archE1030ELNS1_3gpuE2ELNS1_3repE0EEENS1_36merge_oddeven_config_static_selectorELNS0_4arch9wavefront6targetE1EEEvSL_
	.p2align	8
	.type	_ZN7rocprim17ROCPRIM_400000_NS6detail17trampoline_kernelINS0_14default_configENS1_38merge_sort_block_merge_config_selectorI14custom_numericNS0_10empty_typeEEEZZNS1_27merge_sort_block_merge_implIS3_N6thrust23THRUST_200600_302600_NS6detail15normal_iteratorINSA_10device_ptrIS5_EEEEPS6_m14custom_greaterIS5_EEE10hipError_tT0_T1_T2_jT3_P12ihipStream_tbPNSt15iterator_traitsISK_E10value_typeEPNSQ_ISL_E10value_typeEPSM_NS1_7vsmem_tEENKUlT_SK_SL_SM_E_clIPS5_SF_SG_SG_EESJ_SZ_SK_SL_SM_EUlSZ_E1_NS1_11comp_targetILNS1_3genE8ELNS1_11target_archE1030ELNS1_3gpuE2ELNS1_3repE0EEENS1_36merge_oddeven_config_static_selectorELNS0_4arch9wavefront6targetE1EEEvSL_,@function
_ZN7rocprim17ROCPRIM_400000_NS6detail17trampoline_kernelINS0_14default_configENS1_38merge_sort_block_merge_config_selectorI14custom_numericNS0_10empty_typeEEEZZNS1_27merge_sort_block_merge_implIS3_N6thrust23THRUST_200600_302600_NS6detail15normal_iteratorINSA_10device_ptrIS5_EEEEPS6_m14custom_greaterIS5_EEE10hipError_tT0_T1_T2_jT3_P12ihipStream_tbPNSt15iterator_traitsISK_E10value_typeEPNSQ_ISL_E10value_typeEPSM_NS1_7vsmem_tEENKUlT_SK_SL_SM_E_clIPS5_SF_SG_SG_EESJ_SZ_SK_SL_SM_EUlSZ_E1_NS1_11comp_targetILNS1_3genE8ELNS1_11target_archE1030ELNS1_3gpuE2ELNS1_3repE0EEENS1_36merge_oddeven_config_static_selectorELNS0_4arch9wavefront6targetE1EEEvSL_: ; @_ZN7rocprim17ROCPRIM_400000_NS6detail17trampoline_kernelINS0_14default_configENS1_38merge_sort_block_merge_config_selectorI14custom_numericNS0_10empty_typeEEEZZNS1_27merge_sort_block_merge_implIS3_N6thrust23THRUST_200600_302600_NS6detail15normal_iteratorINSA_10device_ptrIS5_EEEEPS6_m14custom_greaterIS5_EEE10hipError_tT0_T1_T2_jT3_P12ihipStream_tbPNSt15iterator_traitsISK_E10value_typeEPNSQ_ISL_E10value_typeEPSM_NS1_7vsmem_tEENKUlT_SK_SL_SM_E_clIPS5_SF_SG_SG_EESJ_SZ_SK_SL_SM_EUlSZ_E1_NS1_11comp_targetILNS1_3genE8ELNS1_11target_archE1030ELNS1_3gpuE2ELNS1_3repE0EEENS1_36merge_oddeven_config_static_selectorELNS0_4arch9wavefront6targetE1EEEvSL_
; %bb.0:
	.section	.rodata,"a",@progbits
	.p2align	6, 0x0
	.amdhsa_kernel _ZN7rocprim17ROCPRIM_400000_NS6detail17trampoline_kernelINS0_14default_configENS1_38merge_sort_block_merge_config_selectorI14custom_numericNS0_10empty_typeEEEZZNS1_27merge_sort_block_merge_implIS3_N6thrust23THRUST_200600_302600_NS6detail15normal_iteratorINSA_10device_ptrIS5_EEEEPS6_m14custom_greaterIS5_EEE10hipError_tT0_T1_T2_jT3_P12ihipStream_tbPNSt15iterator_traitsISK_E10value_typeEPNSQ_ISL_E10value_typeEPSM_NS1_7vsmem_tEENKUlT_SK_SL_SM_E_clIPS5_SF_SG_SG_EESJ_SZ_SK_SL_SM_EUlSZ_E1_NS1_11comp_targetILNS1_3genE8ELNS1_11target_archE1030ELNS1_3gpuE2ELNS1_3repE0EEENS1_36merge_oddeven_config_static_selectorELNS0_4arch9wavefront6targetE1EEEvSL_
		.amdhsa_group_segment_fixed_size 0
		.amdhsa_private_segment_fixed_size 0
		.amdhsa_kernarg_size 56
		.amdhsa_user_sgpr_count 6
		.amdhsa_user_sgpr_private_segment_buffer 1
		.amdhsa_user_sgpr_dispatch_ptr 0
		.amdhsa_user_sgpr_queue_ptr 0
		.amdhsa_user_sgpr_kernarg_segment_ptr 1
		.amdhsa_user_sgpr_dispatch_id 0
		.amdhsa_user_sgpr_flat_scratch_init 0
		.amdhsa_user_sgpr_kernarg_preload_length 0
		.amdhsa_user_sgpr_kernarg_preload_offset 0
		.amdhsa_user_sgpr_private_segment_size 0
		.amdhsa_uses_dynamic_stack 0
		.amdhsa_system_sgpr_private_segment_wavefront_offset 0
		.amdhsa_system_sgpr_workgroup_id_x 1
		.amdhsa_system_sgpr_workgroup_id_y 0
		.amdhsa_system_sgpr_workgroup_id_z 0
		.amdhsa_system_sgpr_workgroup_info 0
		.amdhsa_system_vgpr_workitem_id 0
		.amdhsa_next_free_vgpr 1
		.amdhsa_next_free_sgpr 0
		.amdhsa_accum_offset 4
		.amdhsa_reserve_vcc 0
		.amdhsa_reserve_flat_scratch 0
		.amdhsa_float_round_mode_32 0
		.amdhsa_float_round_mode_16_64 0
		.amdhsa_float_denorm_mode_32 3
		.amdhsa_float_denorm_mode_16_64 3
		.amdhsa_dx10_clamp 1
		.amdhsa_ieee_mode 1
		.amdhsa_fp16_overflow 0
		.amdhsa_tg_split 0
		.amdhsa_exception_fp_ieee_invalid_op 0
		.amdhsa_exception_fp_denorm_src 0
		.amdhsa_exception_fp_ieee_div_zero 0
		.amdhsa_exception_fp_ieee_overflow 0
		.amdhsa_exception_fp_ieee_underflow 0
		.amdhsa_exception_fp_ieee_inexact 0
		.amdhsa_exception_int_div_zero 0
	.end_amdhsa_kernel
	.section	.text._ZN7rocprim17ROCPRIM_400000_NS6detail17trampoline_kernelINS0_14default_configENS1_38merge_sort_block_merge_config_selectorI14custom_numericNS0_10empty_typeEEEZZNS1_27merge_sort_block_merge_implIS3_N6thrust23THRUST_200600_302600_NS6detail15normal_iteratorINSA_10device_ptrIS5_EEEEPS6_m14custom_greaterIS5_EEE10hipError_tT0_T1_T2_jT3_P12ihipStream_tbPNSt15iterator_traitsISK_E10value_typeEPNSQ_ISL_E10value_typeEPSM_NS1_7vsmem_tEENKUlT_SK_SL_SM_E_clIPS5_SF_SG_SG_EESJ_SZ_SK_SL_SM_EUlSZ_E1_NS1_11comp_targetILNS1_3genE8ELNS1_11target_archE1030ELNS1_3gpuE2ELNS1_3repE0EEENS1_36merge_oddeven_config_static_selectorELNS0_4arch9wavefront6targetE1EEEvSL_,"axG",@progbits,_ZN7rocprim17ROCPRIM_400000_NS6detail17trampoline_kernelINS0_14default_configENS1_38merge_sort_block_merge_config_selectorI14custom_numericNS0_10empty_typeEEEZZNS1_27merge_sort_block_merge_implIS3_N6thrust23THRUST_200600_302600_NS6detail15normal_iteratorINSA_10device_ptrIS5_EEEEPS6_m14custom_greaterIS5_EEE10hipError_tT0_T1_T2_jT3_P12ihipStream_tbPNSt15iterator_traitsISK_E10value_typeEPNSQ_ISL_E10value_typeEPSM_NS1_7vsmem_tEENKUlT_SK_SL_SM_E_clIPS5_SF_SG_SG_EESJ_SZ_SK_SL_SM_EUlSZ_E1_NS1_11comp_targetILNS1_3genE8ELNS1_11target_archE1030ELNS1_3gpuE2ELNS1_3repE0EEENS1_36merge_oddeven_config_static_selectorELNS0_4arch9wavefront6targetE1EEEvSL_,comdat
.Lfunc_end3702:
	.size	_ZN7rocprim17ROCPRIM_400000_NS6detail17trampoline_kernelINS0_14default_configENS1_38merge_sort_block_merge_config_selectorI14custom_numericNS0_10empty_typeEEEZZNS1_27merge_sort_block_merge_implIS3_N6thrust23THRUST_200600_302600_NS6detail15normal_iteratorINSA_10device_ptrIS5_EEEEPS6_m14custom_greaterIS5_EEE10hipError_tT0_T1_T2_jT3_P12ihipStream_tbPNSt15iterator_traitsISK_E10value_typeEPNSQ_ISL_E10value_typeEPSM_NS1_7vsmem_tEENKUlT_SK_SL_SM_E_clIPS5_SF_SG_SG_EESJ_SZ_SK_SL_SM_EUlSZ_E1_NS1_11comp_targetILNS1_3genE8ELNS1_11target_archE1030ELNS1_3gpuE2ELNS1_3repE0EEENS1_36merge_oddeven_config_static_selectorELNS0_4arch9wavefront6targetE1EEEvSL_, .Lfunc_end3702-_ZN7rocprim17ROCPRIM_400000_NS6detail17trampoline_kernelINS0_14default_configENS1_38merge_sort_block_merge_config_selectorI14custom_numericNS0_10empty_typeEEEZZNS1_27merge_sort_block_merge_implIS3_N6thrust23THRUST_200600_302600_NS6detail15normal_iteratorINSA_10device_ptrIS5_EEEEPS6_m14custom_greaterIS5_EEE10hipError_tT0_T1_T2_jT3_P12ihipStream_tbPNSt15iterator_traitsISK_E10value_typeEPNSQ_ISL_E10value_typeEPSM_NS1_7vsmem_tEENKUlT_SK_SL_SM_E_clIPS5_SF_SG_SG_EESJ_SZ_SK_SL_SM_EUlSZ_E1_NS1_11comp_targetILNS1_3genE8ELNS1_11target_archE1030ELNS1_3gpuE2ELNS1_3repE0EEENS1_36merge_oddeven_config_static_selectorELNS0_4arch9wavefront6targetE1EEEvSL_
                                        ; -- End function
	.section	.AMDGPU.csdata,"",@progbits
; Kernel info:
; codeLenInByte = 0
; NumSgprs: 4
; NumVgprs: 0
; NumAgprs: 0
; TotalNumVgprs: 0
; ScratchSize: 0
; MemoryBound: 0
; FloatMode: 240
; IeeeMode: 1
; LDSByteSize: 0 bytes/workgroup (compile time only)
; SGPRBlocks: 0
; VGPRBlocks: 0
; NumSGPRsForWavesPerEU: 4
; NumVGPRsForWavesPerEU: 1
; AccumOffset: 4
; Occupancy: 8
; WaveLimiterHint : 0
; COMPUTE_PGM_RSRC2:SCRATCH_EN: 0
; COMPUTE_PGM_RSRC2:USER_SGPR: 6
; COMPUTE_PGM_RSRC2:TRAP_HANDLER: 0
; COMPUTE_PGM_RSRC2:TGID_X_EN: 1
; COMPUTE_PGM_RSRC2:TGID_Y_EN: 0
; COMPUTE_PGM_RSRC2:TGID_Z_EN: 0
; COMPUTE_PGM_RSRC2:TIDIG_COMP_CNT: 0
; COMPUTE_PGM_RSRC3_GFX90A:ACCUM_OFFSET: 0
; COMPUTE_PGM_RSRC3_GFX90A:TG_SPLIT: 0
	.section	.text._ZN7rocprim17ROCPRIM_400000_NS6detail17trampoline_kernelINS0_14default_configENS1_38merge_sort_block_merge_config_selectorI14custom_numericNS0_10empty_typeEEEZZNS1_27merge_sort_block_merge_implIS3_N6thrust23THRUST_200600_302600_NS6detail15normal_iteratorINSA_10device_ptrIS5_EEEEPS6_m14custom_greaterIS5_EEE10hipError_tT0_T1_T2_jT3_P12ihipStream_tbPNSt15iterator_traitsISK_E10value_typeEPNSQ_ISL_E10value_typeEPSM_NS1_7vsmem_tEENKUlT_SK_SL_SM_E_clISF_PS5_SG_SG_EESJ_SZ_SK_SL_SM_EUlSZ_E_NS1_11comp_targetILNS1_3genE0ELNS1_11target_archE4294967295ELNS1_3gpuE0ELNS1_3repE0EEENS1_48merge_mergepath_partition_config_static_selectorELNS0_4arch9wavefront6targetE1EEEvSL_,"axG",@progbits,_ZN7rocprim17ROCPRIM_400000_NS6detail17trampoline_kernelINS0_14default_configENS1_38merge_sort_block_merge_config_selectorI14custom_numericNS0_10empty_typeEEEZZNS1_27merge_sort_block_merge_implIS3_N6thrust23THRUST_200600_302600_NS6detail15normal_iteratorINSA_10device_ptrIS5_EEEEPS6_m14custom_greaterIS5_EEE10hipError_tT0_T1_T2_jT3_P12ihipStream_tbPNSt15iterator_traitsISK_E10value_typeEPNSQ_ISL_E10value_typeEPSM_NS1_7vsmem_tEENKUlT_SK_SL_SM_E_clISF_PS5_SG_SG_EESJ_SZ_SK_SL_SM_EUlSZ_E_NS1_11comp_targetILNS1_3genE0ELNS1_11target_archE4294967295ELNS1_3gpuE0ELNS1_3repE0EEENS1_48merge_mergepath_partition_config_static_selectorELNS0_4arch9wavefront6targetE1EEEvSL_,comdat
	.protected	_ZN7rocprim17ROCPRIM_400000_NS6detail17trampoline_kernelINS0_14default_configENS1_38merge_sort_block_merge_config_selectorI14custom_numericNS0_10empty_typeEEEZZNS1_27merge_sort_block_merge_implIS3_N6thrust23THRUST_200600_302600_NS6detail15normal_iteratorINSA_10device_ptrIS5_EEEEPS6_m14custom_greaterIS5_EEE10hipError_tT0_T1_T2_jT3_P12ihipStream_tbPNSt15iterator_traitsISK_E10value_typeEPNSQ_ISL_E10value_typeEPSM_NS1_7vsmem_tEENKUlT_SK_SL_SM_E_clISF_PS5_SG_SG_EESJ_SZ_SK_SL_SM_EUlSZ_E_NS1_11comp_targetILNS1_3genE0ELNS1_11target_archE4294967295ELNS1_3gpuE0ELNS1_3repE0EEENS1_48merge_mergepath_partition_config_static_selectorELNS0_4arch9wavefront6targetE1EEEvSL_ ; -- Begin function _ZN7rocprim17ROCPRIM_400000_NS6detail17trampoline_kernelINS0_14default_configENS1_38merge_sort_block_merge_config_selectorI14custom_numericNS0_10empty_typeEEEZZNS1_27merge_sort_block_merge_implIS3_N6thrust23THRUST_200600_302600_NS6detail15normal_iteratorINSA_10device_ptrIS5_EEEEPS6_m14custom_greaterIS5_EEE10hipError_tT0_T1_T2_jT3_P12ihipStream_tbPNSt15iterator_traitsISK_E10value_typeEPNSQ_ISL_E10value_typeEPSM_NS1_7vsmem_tEENKUlT_SK_SL_SM_E_clISF_PS5_SG_SG_EESJ_SZ_SK_SL_SM_EUlSZ_E_NS1_11comp_targetILNS1_3genE0ELNS1_11target_archE4294967295ELNS1_3gpuE0ELNS1_3repE0EEENS1_48merge_mergepath_partition_config_static_selectorELNS0_4arch9wavefront6targetE1EEEvSL_
	.globl	_ZN7rocprim17ROCPRIM_400000_NS6detail17trampoline_kernelINS0_14default_configENS1_38merge_sort_block_merge_config_selectorI14custom_numericNS0_10empty_typeEEEZZNS1_27merge_sort_block_merge_implIS3_N6thrust23THRUST_200600_302600_NS6detail15normal_iteratorINSA_10device_ptrIS5_EEEEPS6_m14custom_greaterIS5_EEE10hipError_tT0_T1_T2_jT3_P12ihipStream_tbPNSt15iterator_traitsISK_E10value_typeEPNSQ_ISL_E10value_typeEPSM_NS1_7vsmem_tEENKUlT_SK_SL_SM_E_clISF_PS5_SG_SG_EESJ_SZ_SK_SL_SM_EUlSZ_E_NS1_11comp_targetILNS1_3genE0ELNS1_11target_archE4294967295ELNS1_3gpuE0ELNS1_3repE0EEENS1_48merge_mergepath_partition_config_static_selectorELNS0_4arch9wavefront6targetE1EEEvSL_
	.p2align	8
	.type	_ZN7rocprim17ROCPRIM_400000_NS6detail17trampoline_kernelINS0_14default_configENS1_38merge_sort_block_merge_config_selectorI14custom_numericNS0_10empty_typeEEEZZNS1_27merge_sort_block_merge_implIS3_N6thrust23THRUST_200600_302600_NS6detail15normal_iteratorINSA_10device_ptrIS5_EEEEPS6_m14custom_greaterIS5_EEE10hipError_tT0_T1_T2_jT3_P12ihipStream_tbPNSt15iterator_traitsISK_E10value_typeEPNSQ_ISL_E10value_typeEPSM_NS1_7vsmem_tEENKUlT_SK_SL_SM_E_clISF_PS5_SG_SG_EESJ_SZ_SK_SL_SM_EUlSZ_E_NS1_11comp_targetILNS1_3genE0ELNS1_11target_archE4294967295ELNS1_3gpuE0ELNS1_3repE0EEENS1_48merge_mergepath_partition_config_static_selectorELNS0_4arch9wavefront6targetE1EEEvSL_,@function
_ZN7rocprim17ROCPRIM_400000_NS6detail17trampoline_kernelINS0_14default_configENS1_38merge_sort_block_merge_config_selectorI14custom_numericNS0_10empty_typeEEEZZNS1_27merge_sort_block_merge_implIS3_N6thrust23THRUST_200600_302600_NS6detail15normal_iteratorINSA_10device_ptrIS5_EEEEPS6_m14custom_greaterIS5_EEE10hipError_tT0_T1_T2_jT3_P12ihipStream_tbPNSt15iterator_traitsISK_E10value_typeEPNSQ_ISL_E10value_typeEPSM_NS1_7vsmem_tEENKUlT_SK_SL_SM_E_clISF_PS5_SG_SG_EESJ_SZ_SK_SL_SM_EUlSZ_E_NS1_11comp_targetILNS1_3genE0ELNS1_11target_archE4294967295ELNS1_3gpuE0ELNS1_3repE0EEENS1_48merge_mergepath_partition_config_static_selectorELNS0_4arch9wavefront6targetE1EEEvSL_: ; @_ZN7rocprim17ROCPRIM_400000_NS6detail17trampoline_kernelINS0_14default_configENS1_38merge_sort_block_merge_config_selectorI14custom_numericNS0_10empty_typeEEEZZNS1_27merge_sort_block_merge_implIS3_N6thrust23THRUST_200600_302600_NS6detail15normal_iteratorINSA_10device_ptrIS5_EEEEPS6_m14custom_greaterIS5_EEE10hipError_tT0_T1_T2_jT3_P12ihipStream_tbPNSt15iterator_traitsISK_E10value_typeEPNSQ_ISL_E10value_typeEPSM_NS1_7vsmem_tEENKUlT_SK_SL_SM_E_clISF_PS5_SG_SG_EESJ_SZ_SK_SL_SM_EUlSZ_E_NS1_11comp_targetILNS1_3genE0ELNS1_11target_archE4294967295ELNS1_3gpuE0ELNS1_3repE0EEENS1_48merge_mergepath_partition_config_static_selectorELNS0_4arch9wavefront6targetE1EEEvSL_
; %bb.0:
	.section	.rodata,"a",@progbits
	.p2align	6, 0x0
	.amdhsa_kernel _ZN7rocprim17ROCPRIM_400000_NS6detail17trampoline_kernelINS0_14default_configENS1_38merge_sort_block_merge_config_selectorI14custom_numericNS0_10empty_typeEEEZZNS1_27merge_sort_block_merge_implIS3_N6thrust23THRUST_200600_302600_NS6detail15normal_iteratorINSA_10device_ptrIS5_EEEEPS6_m14custom_greaterIS5_EEE10hipError_tT0_T1_T2_jT3_P12ihipStream_tbPNSt15iterator_traitsISK_E10value_typeEPNSQ_ISL_E10value_typeEPSM_NS1_7vsmem_tEENKUlT_SK_SL_SM_E_clISF_PS5_SG_SG_EESJ_SZ_SK_SL_SM_EUlSZ_E_NS1_11comp_targetILNS1_3genE0ELNS1_11target_archE4294967295ELNS1_3gpuE0ELNS1_3repE0EEENS1_48merge_mergepath_partition_config_static_selectorELNS0_4arch9wavefront6targetE1EEEvSL_
		.amdhsa_group_segment_fixed_size 0
		.amdhsa_private_segment_fixed_size 0
		.amdhsa_kernarg_size 48
		.amdhsa_user_sgpr_count 6
		.amdhsa_user_sgpr_private_segment_buffer 1
		.amdhsa_user_sgpr_dispatch_ptr 0
		.amdhsa_user_sgpr_queue_ptr 0
		.amdhsa_user_sgpr_kernarg_segment_ptr 1
		.amdhsa_user_sgpr_dispatch_id 0
		.amdhsa_user_sgpr_flat_scratch_init 0
		.amdhsa_user_sgpr_kernarg_preload_length 0
		.amdhsa_user_sgpr_kernarg_preload_offset 0
		.amdhsa_user_sgpr_private_segment_size 0
		.amdhsa_uses_dynamic_stack 0
		.amdhsa_system_sgpr_private_segment_wavefront_offset 0
		.amdhsa_system_sgpr_workgroup_id_x 1
		.amdhsa_system_sgpr_workgroup_id_y 0
		.amdhsa_system_sgpr_workgroup_id_z 0
		.amdhsa_system_sgpr_workgroup_info 0
		.amdhsa_system_vgpr_workitem_id 0
		.amdhsa_next_free_vgpr 1
		.amdhsa_next_free_sgpr 0
		.amdhsa_accum_offset 4
		.amdhsa_reserve_vcc 0
		.amdhsa_reserve_flat_scratch 0
		.amdhsa_float_round_mode_32 0
		.amdhsa_float_round_mode_16_64 0
		.amdhsa_float_denorm_mode_32 3
		.amdhsa_float_denorm_mode_16_64 3
		.amdhsa_dx10_clamp 1
		.amdhsa_ieee_mode 1
		.amdhsa_fp16_overflow 0
		.amdhsa_tg_split 0
		.amdhsa_exception_fp_ieee_invalid_op 0
		.amdhsa_exception_fp_denorm_src 0
		.amdhsa_exception_fp_ieee_div_zero 0
		.amdhsa_exception_fp_ieee_overflow 0
		.amdhsa_exception_fp_ieee_underflow 0
		.amdhsa_exception_fp_ieee_inexact 0
		.amdhsa_exception_int_div_zero 0
	.end_amdhsa_kernel
	.section	.text._ZN7rocprim17ROCPRIM_400000_NS6detail17trampoline_kernelINS0_14default_configENS1_38merge_sort_block_merge_config_selectorI14custom_numericNS0_10empty_typeEEEZZNS1_27merge_sort_block_merge_implIS3_N6thrust23THRUST_200600_302600_NS6detail15normal_iteratorINSA_10device_ptrIS5_EEEEPS6_m14custom_greaterIS5_EEE10hipError_tT0_T1_T2_jT3_P12ihipStream_tbPNSt15iterator_traitsISK_E10value_typeEPNSQ_ISL_E10value_typeEPSM_NS1_7vsmem_tEENKUlT_SK_SL_SM_E_clISF_PS5_SG_SG_EESJ_SZ_SK_SL_SM_EUlSZ_E_NS1_11comp_targetILNS1_3genE0ELNS1_11target_archE4294967295ELNS1_3gpuE0ELNS1_3repE0EEENS1_48merge_mergepath_partition_config_static_selectorELNS0_4arch9wavefront6targetE1EEEvSL_,"axG",@progbits,_ZN7rocprim17ROCPRIM_400000_NS6detail17trampoline_kernelINS0_14default_configENS1_38merge_sort_block_merge_config_selectorI14custom_numericNS0_10empty_typeEEEZZNS1_27merge_sort_block_merge_implIS3_N6thrust23THRUST_200600_302600_NS6detail15normal_iteratorINSA_10device_ptrIS5_EEEEPS6_m14custom_greaterIS5_EEE10hipError_tT0_T1_T2_jT3_P12ihipStream_tbPNSt15iterator_traitsISK_E10value_typeEPNSQ_ISL_E10value_typeEPSM_NS1_7vsmem_tEENKUlT_SK_SL_SM_E_clISF_PS5_SG_SG_EESJ_SZ_SK_SL_SM_EUlSZ_E_NS1_11comp_targetILNS1_3genE0ELNS1_11target_archE4294967295ELNS1_3gpuE0ELNS1_3repE0EEENS1_48merge_mergepath_partition_config_static_selectorELNS0_4arch9wavefront6targetE1EEEvSL_,comdat
.Lfunc_end3703:
	.size	_ZN7rocprim17ROCPRIM_400000_NS6detail17trampoline_kernelINS0_14default_configENS1_38merge_sort_block_merge_config_selectorI14custom_numericNS0_10empty_typeEEEZZNS1_27merge_sort_block_merge_implIS3_N6thrust23THRUST_200600_302600_NS6detail15normal_iteratorINSA_10device_ptrIS5_EEEEPS6_m14custom_greaterIS5_EEE10hipError_tT0_T1_T2_jT3_P12ihipStream_tbPNSt15iterator_traitsISK_E10value_typeEPNSQ_ISL_E10value_typeEPSM_NS1_7vsmem_tEENKUlT_SK_SL_SM_E_clISF_PS5_SG_SG_EESJ_SZ_SK_SL_SM_EUlSZ_E_NS1_11comp_targetILNS1_3genE0ELNS1_11target_archE4294967295ELNS1_3gpuE0ELNS1_3repE0EEENS1_48merge_mergepath_partition_config_static_selectorELNS0_4arch9wavefront6targetE1EEEvSL_, .Lfunc_end3703-_ZN7rocprim17ROCPRIM_400000_NS6detail17trampoline_kernelINS0_14default_configENS1_38merge_sort_block_merge_config_selectorI14custom_numericNS0_10empty_typeEEEZZNS1_27merge_sort_block_merge_implIS3_N6thrust23THRUST_200600_302600_NS6detail15normal_iteratorINSA_10device_ptrIS5_EEEEPS6_m14custom_greaterIS5_EEE10hipError_tT0_T1_T2_jT3_P12ihipStream_tbPNSt15iterator_traitsISK_E10value_typeEPNSQ_ISL_E10value_typeEPSM_NS1_7vsmem_tEENKUlT_SK_SL_SM_E_clISF_PS5_SG_SG_EESJ_SZ_SK_SL_SM_EUlSZ_E_NS1_11comp_targetILNS1_3genE0ELNS1_11target_archE4294967295ELNS1_3gpuE0ELNS1_3repE0EEENS1_48merge_mergepath_partition_config_static_selectorELNS0_4arch9wavefront6targetE1EEEvSL_
                                        ; -- End function
	.section	.AMDGPU.csdata,"",@progbits
; Kernel info:
; codeLenInByte = 0
; NumSgprs: 4
; NumVgprs: 0
; NumAgprs: 0
; TotalNumVgprs: 0
; ScratchSize: 0
; MemoryBound: 0
; FloatMode: 240
; IeeeMode: 1
; LDSByteSize: 0 bytes/workgroup (compile time only)
; SGPRBlocks: 0
; VGPRBlocks: 0
; NumSGPRsForWavesPerEU: 4
; NumVGPRsForWavesPerEU: 1
; AccumOffset: 4
; Occupancy: 8
; WaveLimiterHint : 0
; COMPUTE_PGM_RSRC2:SCRATCH_EN: 0
; COMPUTE_PGM_RSRC2:USER_SGPR: 6
; COMPUTE_PGM_RSRC2:TRAP_HANDLER: 0
; COMPUTE_PGM_RSRC2:TGID_X_EN: 1
; COMPUTE_PGM_RSRC2:TGID_Y_EN: 0
; COMPUTE_PGM_RSRC2:TGID_Z_EN: 0
; COMPUTE_PGM_RSRC2:TIDIG_COMP_CNT: 0
; COMPUTE_PGM_RSRC3_GFX90A:ACCUM_OFFSET: 0
; COMPUTE_PGM_RSRC3_GFX90A:TG_SPLIT: 0
	.section	.text._ZN7rocprim17ROCPRIM_400000_NS6detail17trampoline_kernelINS0_14default_configENS1_38merge_sort_block_merge_config_selectorI14custom_numericNS0_10empty_typeEEEZZNS1_27merge_sort_block_merge_implIS3_N6thrust23THRUST_200600_302600_NS6detail15normal_iteratorINSA_10device_ptrIS5_EEEEPS6_m14custom_greaterIS5_EEE10hipError_tT0_T1_T2_jT3_P12ihipStream_tbPNSt15iterator_traitsISK_E10value_typeEPNSQ_ISL_E10value_typeEPSM_NS1_7vsmem_tEENKUlT_SK_SL_SM_E_clISF_PS5_SG_SG_EESJ_SZ_SK_SL_SM_EUlSZ_E_NS1_11comp_targetILNS1_3genE10ELNS1_11target_archE1201ELNS1_3gpuE5ELNS1_3repE0EEENS1_48merge_mergepath_partition_config_static_selectorELNS0_4arch9wavefront6targetE1EEEvSL_,"axG",@progbits,_ZN7rocprim17ROCPRIM_400000_NS6detail17trampoline_kernelINS0_14default_configENS1_38merge_sort_block_merge_config_selectorI14custom_numericNS0_10empty_typeEEEZZNS1_27merge_sort_block_merge_implIS3_N6thrust23THRUST_200600_302600_NS6detail15normal_iteratorINSA_10device_ptrIS5_EEEEPS6_m14custom_greaterIS5_EEE10hipError_tT0_T1_T2_jT3_P12ihipStream_tbPNSt15iterator_traitsISK_E10value_typeEPNSQ_ISL_E10value_typeEPSM_NS1_7vsmem_tEENKUlT_SK_SL_SM_E_clISF_PS5_SG_SG_EESJ_SZ_SK_SL_SM_EUlSZ_E_NS1_11comp_targetILNS1_3genE10ELNS1_11target_archE1201ELNS1_3gpuE5ELNS1_3repE0EEENS1_48merge_mergepath_partition_config_static_selectorELNS0_4arch9wavefront6targetE1EEEvSL_,comdat
	.protected	_ZN7rocprim17ROCPRIM_400000_NS6detail17trampoline_kernelINS0_14default_configENS1_38merge_sort_block_merge_config_selectorI14custom_numericNS0_10empty_typeEEEZZNS1_27merge_sort_block_merge_implIS3_N6thrust23THRUST_200600_302600_NS6detail15normal_iteratorINSA_10device_ptrIS5_EEEEPS6_m14custom_greaterIS5_EEE10hipError_tT0_T1_T2_jT3_P12ihipStream_tbPNSt15iterator_traitsISK_E10value_typeEPNSQ_ISL_E10value_typeEPSM_NS1_7vsmem_tEENKUlT_SK_SL_SM_E_clISF_PS5_SG_SG_EESJ_SZ_SK_SL_SM_EUlSZ_E_NS1_11comp_targetILNS1_3genE10ELNS1_11target_archE1201ELNS1_3gpuE5ELNS1_3repE0EEENS1_48merge_mergepath_partition_config_static_selectorELNS0_4arch9wavefront6targetE1EEEvSL_ ; -- Begin function _ZN7rocprim17ROCPRIM_400000_NS6detail17trampoline_kernelINS0_14default_configENS1_38merge_sort_block_merge_config_selectorI14custom_numericNS0_10empty_typeEEEZZNS1_27merge_sort_block_merge_implIS3_N6thrust23THRUST_200600_302600_NS6detail15normal_iteratorINSA_10device_ptrIS5_EEEEPS6_m14custom_greaterIS5_EEE10hipError_tT0_T1_T2_jT3_P12ihipStream_tbPNSt15iterator_traitsISK_E10value_typeEPNSQ_ISL_E10value_typeEPSM_NS1_7vsmem_tEENKUlT_SK_SL_SM_E_clISF_PS5_SG_SG_EESJ_SZ_SK_SL_SM_EUlSZ_E_NS1_11comp_targetILNS1_3genE10ELNS1_11target_archE1201ELNS1_3gpuE5ELNS1_3repE0EEENS1_48merge_mergepath_partition_config_static_selectorELNS0_4arch9wavefront6targetE1EEEvSL_
	.globl	_ZN7rocprim17ROCPRIM_400000_NS6detail17trampoline_kernelINS0_14default_configENS1_38merge_sort_block_merge_config_selectorI14custom_numericNS0_10empty_typeEEEZZNS1_27merge_sort_block_merge_implIS3_N6thrust23THRUST_200600_302600_NS6detail15normal_iteratorINSA_10device_ptrIS5_EEEEPS6_m14custom_greaterIS5_EEE10hipError_tT0_T1_T2_jT3_P12ihipStream_tbPNSt15iterator_traitsISK_E10value_typeEPNSQ_ISL_E10value_typeEPSM_NS1_7vsmem_tEENKUlT_SK_SL_SM_E_clISF_PS5_SG_SG_EESJ_SZ_SK_SL_SM_EUlSZ_E_NS1_11comp_targetILNS1_3genE10ELNS1_11target_archE1201ELNS1_3gpuE5ELNS1_3repE0EEENS1_48merge_mergepath_partition_config_static_selectorELNS0_4arch9wavefront6targetE1EEEvSL_
	.p2align	8
	.type	_ZN7rocprim17ROCPRIM_400000_NS6detail17trampoline_kernelINS0_14default_configENS1_38merge_sort_block_merge_config_selectorI14custom_numericNS0_10empty_typeEEEZZNS1_27merge_sort_block_merge_implIS3_N6thrust23THRUST_200600_302600_NS6detail15normal_iteratorINSA_10device_ptrIS5_EEEEPS6_m14custom_greaterIS5_EEE10hipError_tT0_T1_T2_jT3_P12ihipStream_tbPNSt15iterator_traitsISK_E10value_typeEPNSQ_ISL_E10value_typeEPSM_NS1_7vsmem_tEENKUlT_SK_SL_SM_E_clISF_PS5_SG_SG_EESJ_SZ_SK_SL_SM_EUlSZ_E_NS1_11comp_targetILNS1_3genE10ELNS1_11target_archE1201ELNS1_3gpuE5ELNS1_3repE0EEENS1_48merge_mergepath_partition_config_static_selectorELNS0_4arch9wavefront6targetE1EEEvSL_,@function
_ZN7rocprim17ROCPRIM_400000_NS6detail17trampoline_kernelINS0_14default_configENS1_38merge_sort_block_merge_config_selectorI14custom_numericNS0_10empty_typeEEEZZNS1_27merge_sort_block_merge_implIS3_N6thrust23THRUST_200600_302600_NS6detail15normal_iteratorINSA_10device_ptrIS5_EEEEPS6_m14custom_greaterIS5_EEE10hipError_tT0_T1_T2_jT3_P12ihipStream_tbPNSt15iterator_traitsISK_E10value_typeEPNSQ_ISL_E10value_typeEPSM_NS1_7vsmem_tEENKUlT_SK_SL_SM_E_clISF_PS5_SG_SG_EESJ_SZ_SK_SL_SM_EUlSZ_E_NS1_11comp_targetILNS1_3genE10ELNS1_11target_archE1201ELNS1_3gpuE5ELNS1_3repE0EEENS1_48merge_mergepath_partition_config_static_selectorELNS0_4arch9wavefront6targetE1EEEvSL_: ; @_ZN7rocprim17ROCPRIM_400000_NS6detail17trampoline_kernelINS0_14default_configENS1_38merge_sort_block_merge_config_selectorI14custom_numericNS0_10empty_typeEEEZZNS1_27merge_sort_block_merge_implIS3_N6thrust23THRUST_200600_302600_NS6detail15normal_iteratorINSA_10device_ptrIS5_EEEEPS6_m14custom_greaterIS5_EEE10hipError_tT0_T1_T2_jT3_P12ihipStream_tbPNSt15iterator_traitsISK_E10value_typeEPNSQ_ISL_E10value_typeEPSM_NS1_7vsmem_tEENKUlT_SK_SL_SM_E_clISF_PS5_SG_SG_EESJ_SZ_SK_SL_SM_EUlSZ_E_NS1_11comp_targetILNS1_3genE10ELNS1_11target_archE1201ELNS1_3gpuE5ELNS1_3repE0EEENS1_48merge_mergepath_partition_config_static_selectorELNS0_4arch9wavefront6targetE1EEEvSL_
; %bb.0:
	.section	.rodata,"a",@progbits
	.p2align	6, 0x0
	.amdhsa_kernel _ZN7rocprim17ROCPRIM_400000_NS6detail17trampoline_kernelINS0_14default_configENS1_38merge_sort_block_merge_config_selectorI14custom_numericNS0_10empty_typeEEEZZNS1_27merge_sort_block_merge_implIS3_N6thrust23THRUST_200600_302600_NS6detail15normal_iteratorINSA_10device_ptrIS5_EEEEPS6_m14custom_greaterIS5_EEE10hipError_tT0_T1_T2_jT3_P12ihipStream_tbPNSt15iterator_traitsISK_E10value_typeEPNSQ_ISL_E10value_typeEPSM_NS1_7vsmem_tEENKUlT_SK_SL_SM_E_clISF_PS5_SG_SG_EESJ_SZ_SK_SL_SM_EUlSZ_E_NS1_11comp_targetILNS1_3genE10ELNS1_11target_archE1201ELNS1_3gpuE5ELNS1_3repE0EEENS1_48merge_mergepath_partition_config_static_selectorELNS0_4arch9wavefront6targetE1EEEvSL_
		.amdhsa_group_segment_fixed_size 0
		.amdhsa_private_segment_fixed_size 0
		.amdhsa_kernarg_size 48
		.amdhsa_user_sgpr_count 6
		.amdhsa_user_sgpr_private_segment_buffer 1
		.amdhsa_user_sgpr_dispatch_ptr 0
		.amdhsa_user_sgpr_queue_ptr 0
		.amdhsa_user_sgpr_kernarg_segment_ptr 1
		.amdhsa_user_sgpr_dispatch_id 0
		.amdhsa_user_sgpr_flat_scratch_init 0
		.amdhsa_user_sgpr_kernarg_preload_length 0
		.amdhsa_user_sgpr_kernarg_preload_offset 0
		.amdhsa_user_sgpr_private_segment_size 0
		.amdhsa_uses_dynamic_stack 0
		.amdhsa_system_sgpr_private_segment_wavefront_offset 0
		.amdhsa_system_sgpr_workgroup_id_x 1
		.amdhsa_system_sgpr_workgroup_id_y 0
		.amdhsa_system_sgpr_workgroup_id_z 0
		.amdhsa_system_sgpr_workgroup_info 0
		.amdhsa_system_vgpr_workitem_id 0
		.amdhsa_next_free_vgpr 1
		.amdhsa_next_free_sgpr 0
		.amdhsa_accum_offset 4
		.amdhsa_reserve_vcc 0
		.amdhsa_reserve_flat_scratch 0
		.amdhsa_float_round_mode_32 0
		.amdhsa_float_round_mode_16_64 0
		.amdhsa_float_denorm_mode_32 3
		.amdhsa_float_denorm_mode_16_64 3
		.amdhsa_dx10_clamp 1
		.amdhsa_ieee_mode 1
		.amdhsa_fp16_overflow 0
		.amdhsa_tg_split 0
		.amdhsa_exception_fp_ieee_invalid_op 0
		.amdhsa_exception_fp_denorm_src 0
		.amdhsa_exception_fp_ieee_div_zero 0
		.amdhsa_exception_fp_ieee_overflow 0
		.amdhsa_exception_fp_ieee_underflow 0
		.amdhsa_exception_fp_ieee_inexact 0
		.amdhsa_exception_int_div_zero 0
	.end_amdhsa_kernel
	.section	.text._ZN7rocprim17ROCPRIM_400000_NS6detail17trampoline_kernelINS0_14default_configENS1_38merge_sort_block_merge_config_selectorI14custom_numericNS0_10empty_typeEEEZZNS1_27merge_sort_block_merge_implIS3_N6thrust23THRUST_200600_302600_NS6detail15normal_iteratorINSA_10device_ptrIS5_EEEEPS6_m14custom_greaterIS5_EEE10hipError_tT0_T1_T2_jT3_P12ihipStream_tbPNSt15iterator_traitsISK_E10value_typeEPNSQ_ISL_E10value_typeEPSM_NS1_7vsmem_tEENKUlT_SK_SL_SM_E_clISF_PS5_SG_SG_EESJ_SZ_SK_SL_SM_EUlSZ_E_NS1_11comp_targetILNS1_3genE10ELNS1_11target_archE1201ELNS1_3gpuE5ELNS1_3repE0EEENS1_48merge_mergepath_partition_config_static_selectorELNS0_4arch9wavefront6targetE1EEEvSL_,"axG",@progbits,_ZN7rocprim17ROCPRIM_400000_NS6detail17trampoline_kernelINS0_14default_configENS1_38merge_sort_block_merge_config_selectorI14custom_numericNS0_10empty_typeEEEZZNS1_27merge_sort_block_merge_implIS3_N6thrust23THRUST_200600_302600_NS6detail15normal_iteratorINSA_10device_ptrIS5_EEEEPS6_m14custom_greaterIS5_EEE10hipError_tT0_T1_T2_jT3_P12ihipStream_tbPNSt15iterator_traitsISK_E10value_typeEPNSQ_ISL_E10value_typeEPSM_NS1_7vsmem_tEENKUlT_SK_SL_SM_E_clISF_PS5_SG_SG_EESJ_SZ_SK_SL_SM_EUlSZ_E_NS1_11comp_targetILNS1_3genE10ELNS1_11target_archE1201ELNS1_3gpuE5ELNS1_3repE0EEENS1_48merge_mergepath_partition_config_static_selectorELNS0_4arch9wavefront6targetE1EEEvSL_,comdat
.Lfunc_end3704:
	.size	_ZN7rocprim17ROCPRIM_400000_NS6detail17trampoline_kernelINS0_14default_configENS1_38merge_sort_block_merge_config_selectorI14custom_numericNS0_10empty_typeEEEZZNS1_27merge_sort_block_merge_implIS3_N6thrust23THRUST_200600_302600_NS6detail15normal_iteratorINSA_10device_ptrIS5_EEEEPS6_m14custom_greaterIS5_EEE10hipError_tT0_T1_T2_jT3_P12ihipStream_tbPNSt15iterator_traitsISK_E10value_typeEPNSQ_ISL_E10value_typeEPSM_NS1_7vsmem_tEENKUlT_SK_SL_SM_E_clISF_PS5_SG_SG_EESJ_SZ_SK_SL_SM_EUlSZ_E_NS1_11comp_targetILNS1_3genE10ELNS1_11target_archE1201ELNS1_3gpuE5ELNS1_3repE0EEENS1_48merge_mergepath_partition_config_static_selectorELNS0_4arch9wavefront6targetE1EEEvSL_, .Lfunc_end3704-_ZN7rocprim17ROCPRIM_400000_NS6detail17trampoline_kernelINS0_14default_configENS1_38merge_sort_block_merge_config_selectorI14custom_numericNS0_10empty_typeEEEZZNS1_27merge_sort_block_merge_implIS3_N6thrust23THRUST_200600_302600_NS6detail15normal_iteratorINSA_10device_ptrIS5_EEEEPS6_m14custom_greaterIS5_EEE10hipError_tT0_T1_T2_jT3_P12ihipStream_tbPNSt15iterator_traitsISK_E10value_typeEPNSQ_ISL_E10value_typeEPSM_NS1_7vsmem_tEENKUlT_SK_SL_SM_E_clISF_PS5_SG_SG_EESJ_SZ_SK_SL_SM_EUlSZ_E_NS1_11comp_targetILNS1_3genE10ELNS1_11target_archE1201ELNS1_3gpuE5ELNS1_3repE0EEENS1_48merge_mergepath_partition_config_static_selectorELNS0_4arch9wavefront6targetE1EEEvSL_
                                        ; -- End function
	.section	.AMDGPU.csdata,"",@progbits
; Kernel info:
; codeLenInByte = 0
; NumSgprs: 4
; NumVgprs: 0
; NumAgprs: 0
; TotalNumVgprs: 0
; ScratchSize: 0
; MemoryBound: 0
; FloatMode: 240
; IeeeMode: 1
; LDSByteSize: 0 bytes/workgroup (compile time only)
; SGPRBlocks: 0
; VGPRBlocks: 0
; NumSGPRsForWavesPerEU: 4
; NumVGPRsForWavesPerEU: 1
; AccumOffset: 4
; Occupancy: 8
; WaveLimiterHint : 0
; COMPUTE_PGM_RSRC2:SCRATCH_EN: 0
; COMPUTE_PGM_RSRC2:USER_SGPR: 6
; COMPUTE_PGM_RSRC2:TRAP_HANDLER: 0
; COMPUTE_PGM_RSRC2:TGID_X_EN: 1
; COMPUTE_PGM_RSRC2:TGID_Y_EN: 0
; COMPUTE_PGM_RSRC2:TGID_Z_EN: 0
; COMPUTE_PGM_RSRC2:TIDIG_COMP_CNT: 0
; COMPUTE_PGM_RSRC3_GFX90A:ACCUM_OFFSET: 0
; COMPUTE_PGM_RSRC3_GFX90A:TG_SPLIT: 0
	.section	.text._ZN7rocprim17ROCPRIM_400000_NS6detail17trampoline_kernelINS0_14default_configENS1_38merge_sort_block_merge_config_selectorI14custom_numericNS0_10empty_typeEEEZZNS1_27merge_sort_block_merge_implIS3_N6thrust23THRUST_200600_302600_NS6detail15normal_iteratorINSA_10device_ptrIS5_EEEEPS6_m14custom_greaterIS5_EEE10hipError_tT0_T1_T2_jT3_P12ihipStream_tbPNSt15iterator_traitsISK_E10value_typeEPNSQ_ISL_E10value_typeEPSM_NS1_7vsmem_tEENKUlT_SK_SL_SM_E_clISF_PS5_SG_SG_EESJ_SZ_SK_SL_SM_EUlSZ_E_NS1_11comp_targetILNS1_3genE5ELNS1_11target_archE942ELNS1_3gpuE9ELNS1_3repE0EEENS1_48merge_mergepath_partition_config_static_selectorELNS0_4arch9wavefront6targetE1EEEvSL_,"axG",@progbits,_ZN7rocprim17ROCPRIM_400000_NS6detail17trampoline_kernelINS0_14default_configENS1_38merge_sort_block_merge_config_selectorI14custom_numericNS0_10empty_typeEEEZZNS1_27merge_sort_block_merge_implIS3_N6thrust23THRUST_200600_302600_NS6detail15normal_iteratorINSA_10device_ptrIS5_EEEEPS6_m14custom_greaterIS5_EEE10hipError_tT0_T1_T2_jT3_P12ihipStream_tbPNSt15iterator_traitsISK_E10value_typeEPNSQ_ISL_E10value_typeEPSM_NS1_7vsmem_tEENKUlT_SK_SL_SM_E_clISF_PS5_SG_SG_EESJ_SZ_SK_SL_SM_EUlSZ_E_NS1_11comp_targetILNS1_3genE5ELNS1_11target_archE942ELNS1_3gpuE9ELNS1_3repE0EEENS1_48merge_mergepath_partition_config_static_selectorELNS0_4arch9wavefront6targetE1EEEvSL_,comdat
	.protected	_ZN7rocprim17ROCPRIM_400000_NS6detail17trampoline_kernelINS0_14default_configENS1_38merge_sort_block_merge_config_selectorI14custom_numericNS0_10empty_typeEEEZZNS1_27merge_sort_block_merge_implIS3_N6thrust23THRUST_200600_302600_NS6detail15normal_iteratorINSA_10device_ptrIS5_EEEEPS6_m14custom_greaterIS5_EEE10hipError_tT0_T1_T2_jT3_P12ihipStream_tbPNSt15iterator_traitsISK_E10value_typeEPNSQ_ISL_E10value_typeEPSM_NS1_7vsmem_tEENKUlT_SK_SL_SM_E_clISF_PS5_SG_SG_EESJ_SZ_SK_SL_SM_EUlSZ_E_NS1_11comp_targetILNS1_3genE5ELNS1_11target_archE942ELNS1_3gpuE9ELNS1_3repE0EEENS1_48merge_mergepath_partition_config_static_selectorELNS0_4arch9wavefront6targetE1EEEvSL_ ; -- Begin function _ZN7rocprim17ROCPRIM_400000_NS6detail17trampoline_kernelINS0_14default_configENS1_38merge_sort_block_merge_config_selectorI14custom_numericNS0_10empty_typeEEEZZNS1_27merge_sort_block_merge_implIS3_N6thrust23THRUST_200600_302600_NS6detail15normal_iteratorINSA_10device_ptrIS5_EEEEPS6_m14custom_greaterIS5_EEE10hipError_tT0_T1_T2_jT3_P12ihipStream_tbPNSt15iterator_traitsISK_E10value_typeEPNSQ_ISL_E10value_typeEPSM_NS1_7vsmem_tEENKUlT_SK_SL_SM_E_clISF_PS5_SG_SG_EESJ_SZ_SK_SL_SM_EUlSZ_E_NS1_11comp_targetILNS1_3genE5ELNS1_11target_archE942ELNS1_3gpuE9ELNS1_3repE0EEENS1_48merge_mergepath_partition_config_static_selectorELNS0_4arch9wavefront6targetE1EEEvSL_
	.globl	_ZN7rocprim17ROCPRIM_400000_NS6detail17trampoline_kernelINS0_14default_configENS1_38merge_sort_block_merge_config_selectorI14custom_numericNS0_10empty_typeEEEZZNS1_27merge_sort_block_merge_implIS3_N6thrust23THRUST_200600_302600_NS6detail15normal_iteratorINSA_10device_ptrIS5_EEEEPS6_m14custom_greaterIS5_EEE10hipError_tT0_T1_T2_jT3_P12ihipStream_tbPNSt15iterator_traitsISK_E10value_typeEPNSQ_ISL_E10value_typeEPSM_NS1_7vsmem_tEENKUlT_SK_SL_SM_E_clISF_PS5_SG_SG_EESJ_SZ_SK_SL_SM_EUlSZ_E_NS1_11comp_targetILNS1_3genE5ELNS1_11target_archE942ELNS1_3gpuE9ELNS1_3repE0EEENS1_48merge_mergepath_partition_config_static_selectorELNS0_4arch9wavefront6targetE1EEEvSL_
	.p2align	8
	.type	_ZN7rocprim17ROCPRIM_400000_NS6detail17trampoline_kernelINS0_14default_configENS1_38merge_sort_block_merge_config_selectorI14custom_numericNS0_10empty_typeEEEZZNS1_27merge_sort_block_merge_implIS3_N6thrust23THRUST_200600_302600_NS6detail15normal_iteratorINSA_10device_ptrIS5_EEEEPS6_m14custom_greaterIS5_EEE10hipError_tT0_T1_T2_jT3_P12ihipStream_tbPNSt15iterator_traitsISK_E10value_typeEPNSQ_ISL_E10value_typeEPSM_NS1_7vsmem_tEENKUlT_SK_SL_SM_E_clISF_PS5_SG_SG_EESJ_SZ_SK_SL_SM_EUlSZ_E_NS1_11comp_targetILNS1_3genE5ELNS1_11target_archE942ELNS1_3gpuE9ELNS1_3repE0EEENS1_48merge_mergepath_partition_config_static_selectorELNS0_4arch9wavefront6targetE1EEEvSL_,@function
_ZN7rocprim17ROCPRIM_400000_NS6detail17trampoline_kernelINS0_14default_configENS1_38merge_sort_block_merge_config_selectorI14custom_numericNS0_10empty_typeEEEZZNS1_27merge_sort_block_merge_implIS3_N6thrust23THRUST_200600_302600_NS6detail15normal_iteratorINSA_10device_ptrIS5_EEEEPS6_m14custom_greaterIS5_EEE10hipError_tT0_T1_T2_jT3_P12ihipStream_tbPNSt15iterator_traitsISK_E10value_typeEPNSQ_ISL_E10value_typeEPSM_NS1_7vsmem_tEENKUlT_SK_SL_SM_E_clISF_PS5_SG_SG_EESJ_SZ_SK_SL_SM_EUlSZ_E_NS1_11comp_targetILNS1_3genE5ELNS1_11target_archE942ELNS1_3gpuE9ELNS1_3repE0EEENS1_48merge_mergepath_partition_config_static_selectorELNS0_4arch9wavefront6targetE1EEEvSL_: ; @_ZN7rocprim17ROCPRIM_400000_NS6detail17trampoline_kernelINS0_14default_configENS1_38merge_sort_block_merge_config_selectorI14custom_numericNS0_10empty_typeEEEZZNS1_27merge_sort_block_merge_implIS3_N6thrust23THRUST_200600_302600_NS6detail15normal_iteratorINSA_10device_ptrIS5_EEEEPS6_m14custom_greaterIS5_EEE10hipError_tT0_T1_T2_jT3_P12ihipStream_tbPNSt15iterator_traitsISK_E10value_typeEPNSQ_ISL_E10value_typeEPSM_NS1_7vsmem_tEENKUlT_SK_SL_SM_E_clISF_PS5_SG_SG_EESJ_SZ_SK_SL_SM_EUlSZ_E_NS1_11comp_targetILNS1_3genE5ELNS1_11target_archE942ELNS1_3gpuE9ELNS1_3repE0EEENS1_48merge_mergepath_partition_config_static_selectorELNS0_4arch9wavefront6targetE1EEEvSL_
; %bb.0:
	.section	.rodata,"a",@progbits
	.p2align	6, 0x0
	.amdhsa_kernel _ZN7rocprim17ROCPRIM_400000_NS6detail17trampoline_kernelINS0_14default_configENS1_38merge_sort_block_merge_config_selectorI14custom_numericNS0_10empty_typeEEEZZNS1_27merge_sort_block_merge_implIS3_N6thrust23THRUST_200600_302600_NS6detail15normal_iteratorINSA_10device_ptrIS5_EEEEPS6_m14custom_greaterIS5_EEE10hipError_tT0_T1_T2_jT3_P12ihipStream_tbPNSt15iterator_traitsISK_E10value_typeEPNSQ_ISL_E10value_typeEPSM_NS1_7vsmem_tEENKUlT_SK_SL_SM_E_clISF_PS5_SG_SG_EESJ_SZ_SK_SL_SM_EUlSZ_E_NS1_11comp_targetILNS1_3genE5ELNS1_11target_archE942ELNS1_3gpuE9ELNS1_3repE0EEENS1_48merge_mergepath_partition_config_static_selectorELNS0_4arch9wavefront6targetE1EEEvSL_
		.amdhsa_group_segment_fixed_size 0
		.amdhsa_private_segment_fixed_size 0
		.amdhsa_kernarg_size 48
		.amdhsa_user_sgpr_count 6
		.amdhsa_user_sgpr_private_segment_buffer 1
		.amdhsa_user_sgpr_dispatch_ptr 0
		.amdhsa_user_sgpr_queue_ptr 0
		.amdhsa_user_sgpr_kernarg_segment_ptr 1
		.amdhsa_user_sgpr_dispatch_id 0
		.amdhsa_user_sgpr_flat_scratch_init 0
		.amdhsa_user_sgpr_kernarg_preload_length 0
		.amdhsa_user_sgpr_kernarg_preload_offset 0
		.amdhsa_user_sgpr_private_segment_size 0
		.amdhsa_uses_dynamic_stack 0
		.amdhsa_system_sgpr_private_segment_wavefront_offset 0
		.amdhsa_system_sgpr_workgroup_id_x 1
		.amdhsa_system_sgpr_workgroup_id_y 0
		.amdhsa_system_sgpr_workgroup_id_z 0
		.amdhsa_system_sgpr_workgroup_info 0
		.amdhsa_system_vgpr_workitem_id 0
		.amdhsa_next_free_vgpr 1
		.amdhsa_next_free_sgpr 0
		.amdhsa_accum_offset 4
		.amdhsa_reserve_vcc 0
		.amdhsa_reserve_flat_scratch 0
		.amdhsa_float_round_mode_32 0
		.amdhsa_float_round_mode_16_64 0
		.amdhsa_float_denorm_mode_32 3
		.amdhsa_float_denorm_mode_16_64 3
		.amdhsa_dx10_clamp 1
		.amdhsa_ieee_mode 1
		.amdhsa_fp16_overflow 0
		.amdhsa_tg_split 0
		.amdhsa_exception_fp_ieee_invalid_op 0
		.amdhsa_exception_fp_denorm_src 0
		.amdhsa_exception_fp_ieee_div_zero 0
		.amdhsa_exception_fp_ieee_overflow 0
		.amdhsa_exception_fp_ieee_underflow 0
		.amdhsa_exception_fp_ieee_inexact 0
		.amdhsa_exception_int_div_zero 0
	.end_amdhsa_kernel
	.section	.text._ZN7rocprim17ROCPRIM_400000_NS6detail17trampoline_kernelINS0_14default_configENS1_38merge_sort_block_merge_config_selectorI14custom_numericNS0_10empty_typeEEEZZNS1_27merge_sort_block_merge_implIS3_N6thrust23THRUST_200600_302600_NS6detail15normal_iteratorINSA_10device_ptrIS5_EEEEPS6_m14custom_greaterIS5_EEE10hipError_tT0_T1_T2_jT3_P12ihipStream_tbPNSt15iterator_traitsISK_E10value_typeEPNSQ_ISL_E10value_typeEPSM_NS1_7vsmem_tEENKUlT_SK_SL_SM_E_clISF_PS5_SG_SG_EESJ_SZ_SK_SL_SM_EUlSZ_E_NS1_11comp_targetILNS1_3genE5ELNS1_11target_archE942ELNS1_3gpuE9ELNS1_3repE0EEENS1_48merge_mergepath_partition_config_static_selectorELNS0_4arch9wavefront6targetE1EEEvSL_,"axG",@progbits,_ZN7rocprim17ROCPRIM_400000_NS6detail17trampoline_kernelINS0_14default_configENS1_38merge_sort_block_merge_config_selectorI14custom_numericNS0_10empty_typeEEEZZNS1_27merge_sort_block_merge_implIS3_N6thrust23THRUST_200600_302600_NS6detail15normal_iteratorINSA_10device_ptrIS5_EEEEPS6_m14custom_greaterIS5_EEE10hipError_tT0_T1_T2_jT3_P12ihipStream_tbPNSt15iterator_traitsISK_E10value_typeEPNSQ_ISL_E10value_typeEPSM_NS1_7vsmem_tEENKUlT_SK_SL_SM_E_clISF_PS5_SG_SG_EESJ_SZ_SK_SL_SM_EUlSZ_E_NS1_11comp_targetILNS1_3genE5ELNS1_11target_archE942ELNS1_3gpuE9ELNS1_3repE0EEENS1_48merge_mergepath_partition_config_static_selectorELNS0_4arch9wavefront6targetE1EEEvSL_,comdat
.Lfunc_end3705:
	.size	_ZN7rocprim17ROCPRIM_400000_NS6detail17trampoline_kernelINS0_14default_configENS1_38merge_sort_block_merge_config_selectorI14custom_numericNS0_10empty_typeEEEZZNS1_27merge_sort_block_merge_implIS3_N6thrust23THRUST_200600_302600_NS6detail15normal_iteratorINSA_10device_ptrIS5_EEEEPS6_m14custom_greaterIS5_EEE10hipError_tT0_T1_T2_jT3_P12ihipStream_tbPNSt15iterator_traitsISK_E10value_typeEPNSQ_ISL_E10value_typeEPSM_NS1_7vsmem_tEENKUlT_SK_SL_SM_E_clISF_PS5_SG_SG_EESJ_SZ_SK_SL_SM_EUlSZ_E_NS1_11comp_targetILNS1_3genE5ELNS1_11target_archE942ELNS1_3gpuE9ELNS1_3repE0EEENS1_48merge_mergepath_partition_config_static_selectorELNS0_4arch9wavefront6targetE1EEEvSL_, .Lfunc_end3705-_ZN7rocprim17ROCPRIM_400000_NS6detail17trampoline_kernelINS0_14default_configENS1_38merge_sort_block_merge_config_selectorI14custom_numericNS0_10empty_typeEEEZZNS1_27merge_sort_block_merge_implIS3_N6thrust23THRUST_200600_302600_NS6detail15normal_iteratorINSA_10device_ptrIS5_EEEEPS6_m14custom_greaterIS5_EEE10hipError_tT0_T1_T2_jT3_P12ihipStream_tbPNSt15iterator_traitsISK_E10value_typeEPNSQ_ISL_E10value_typeEPSM_NS1_7vsmem_tEENKUlT_SK_SL_SM_E_clISF_PS5_SG_SG_EESJ_SZ_SK_SL_SM_EUlSZ_E_NS1_11comp_targetILNS1_3genE5ELNS1_11target_archE942ELNS1_3gpuE9ELNS1_3repE0EEENS1_48merge_mergepath_partition_config_static_selectorELNS0_4arch9wavefront6targetE1EEEvSL_
                                        ; -- End function
	.section	.AMDGPU.csdata,"",@progbits
; Kernel info:
; codeLenInByte = 0
; NumSgprs: 4
; NumVgprs: 0
; NumAgprs: 0
; TotalNumVgprs: 0
; ScratchSize: 0
; MemoryBound: 0
; FloatMode: 240
; IeeeMode: 1
; LDSByteSize: 0 bytes/workgroup (compile time only)
; SGPRBlocks: 0
; VGPRBlocks: 0
; NumSGPRsForWavesPerEU: 4
; NumVGPRsForWavesPerEU: 1
; AccumOffset: 4
; Occupancy: 8
; WaveLimiterHint : 0
; COMPUTE_PGM_RSRC2:SCRATCH_EN: 0
; COMPUTE_PGM_RSRC2:USER_SGPR: 6
; COMPUTE_PGM_RSRC2:TRAP_HANDLER: 0
; COMPUTE_PGM_RSRC2:TGID_X_EN: 1
; COMPUTE_PGM_RSRC2:TGID_Y_EN: 0
; COMPUTE_PGM_RSRC2:TGID_Z_EN: 0
; COMPUTE_PGM_RSRC2:TIDIG_COMP_CNT: 0
; COMPUTE_PGM_RSRC3_GFX90A:ACCUM_OFFSET: 0
; COMPUTE_PGM_RSRC3_GFX90A:TG_SPLIT: 0
	.section	.text._ZN7rocprim17ROCPRIM_400000_NS6detail17trampoline_kernelINS0_14default_configENS1_38merge_sort_block_merge_config_selectorI14custom_numericNS0_10empty_typeEEEZZNS1_27merge_sort_block_merge_implIS3_N6thrust23THRUST_200600_302600_NS6detail15normal_iteratorINSA_10device_ptrIS5_EEEEPS6_m14custom_greaterIS5_EEE10hipError_tT0_T1_T2_jT3_P12ihipStream_tbPNSt15iterator_traitsISK_E10value_typeEPNSQ_ISL_E10value_typeEPSM_NS1_7vsmem_tEENKUlT_SK_SL_SM_E_clISF_PS5_SG_SG_EESJ_SZ_SK_SL_SM_EUlSZ_E_NS1_11comp_targetILNS1_3genE4ELNS1_11target_archE910ELNS1_3gpuE8ELNS1_3repE0EEENS1_48merge_mergepath_partition_config_static_selectorELNS0_4arch9wavefront6targetE1EEEvSL_,"axG",@progbits,_ZN7rocprim17ROCPRIM_400000_NS6detail17trampoline_kernelINS0_14default_configENS1_38merge_sort_block_merge_config_selectorI14custom_numericNS0_10empty_typeEEEZZNS1_27merge_sort_block_merge_implIS3_N6thrust23THRUST_200600_302600_NS6detail15normal_iteratorINSA_10device_ptrIS5_EEEEPS6_m14custom_greaterIS5_EEE10hipError_tT0_T1_T2_jT3_P12ihipStream_tbPNSt15iterator_traitsISK_E10value_typeEPNSQ_ISL_E10value_typeEPSM_NS1_7vsmem_tEENKUlT_SK_SL_SM_E_clISF_PS5_SG_SG_EESJ_SZ_SK_SL_SM_EUlSZ_E_NS1_11comp_targetILNS1_3genE4ELNS1_11target_archE910ELNS1_3gpuE8ELNS1_3repE0EEENS1_48merge_mergepath_partition_config_static_selectorELNS0_4arch9wavefront6targetE1EEEvSL_,comdat
	.protected	_ZN7rocprim17ROCPRIM_400000_NS6detail17trampoline_kernelINS0_14default_configENS1_38merge_sort_block_merge_config_selectorI14custom_numericNS0_10empty_typeEEEZZNS1_27merge_sort_block_merge_implIS3_N6thrust23THRUST_200600_302600_NS6detail15normal_iteratorINSA_10device_ptrIS5_EEEEPS6_m14custom_greaterIS5_EEE10hipError_tT0_T1_T2_jT3_P12ihipStream_tbPNSt15iterator_traitsISK_E10value_typeEPNSQ_ISL_E10value_typeEPSM_NS1_7vsmem_tEENKUlT_SK_SL_SM_E_clISF_PS5_SG_SG_EESJ_SZ_SK_SL_SM_EUlSZ_E_NS1_11comp_targetILNS1_3genE4ELNS1_11target_archE910ELNS1_3gpuE8ELNS1_3repE0EEENS1_48merge_mergepath_partition_config_static_selectorELNS0_4arch9wavefront6targetE1EEEvSL_ ; -- Begin function _ZN7rocprim17ROCPRIM_400000_NS6detail17trampoline_kernelINS0_14default_configENS1_38merge_sort_block_merge_config_selectorI14custom_numericNS0_10empty_typeEEEZZNS1_27merge_sort_block_merge_implIS3_N6thrust23THRUST_200600_302600_NS6detail15normal_iteratorINSA_10device_ptrIS5_EEEEPS6_m14custom_greaterIS5_EEE10hipError_tT0_T1_T2_jT3_P12ihipStream_tbPNSt15iterator_traitsISK_E10value_typeEPNSQ_ISL_E10value_typeEPSM_NS1_7vsmem_tEENKUlT_SK_SL_SM_E_clISF_PS5_SG_SG_EESJ_SZ_SK_SL_SM_EUlSZ_E_NS1_11comp_targetILNS1_3genE4ELNS1_11target_archE910ELNS1_3gpuE8ELNS1_3repE0EEENS1_48merge_mergepath_partition_config_static_selectorELNS0_4arch9wavefront6targetE1EEEvSL_
	.globl	_ZN7rocprim17ROCPRIM_400000_NS6detail17trampoline_kernelINS0_14default_configENS1_38merge_sort_block_merge_config_selectorI14custom_numericNS0_10empty_typeEEEZZNS1_27merge_sort_block_merge_implIS3_N6thrust23THRUST_200600_302600_NS6detail15normal_iteratorINSA_10device_ptrIS5_EEEEPS6_m14custom_greaterIS5_EEE10hipError_tT0_T1_T2_jT3_P12ihipStream_tbPNSt15iterator_traitsISK_E10value_typeEPNSQ_ISL_E10value_typeEPSM_NS1_7vsmem_tEENKUlT_SK_SL_SM_E_clISF_PS5_SG_SG_EESJ_SZ_SK_SL_SM_EUlSZ_E_NS1_11comp_targetILNS1_3genE4ELNS1_11target_archE910ELNS1_3gpuE8ELNS1_3repE0EEENS1_48merge_mergepath_partition_config_static_selectorELNS0_4arch9wavefront6targetE1EEEvSL_
	.p2align	8
	.type	_ZN7rocprim17ROCPRIM_400000_NS6detail17trampoline_kernelINS0_14default_configENS1_38merge_sort_block_merge_config_selectorI14custom_numericNS0_10empty_typeEEEZZNS1_27merge_sort_block_merge_implIS3_N6thrust23THRUST_200600_302600_NS6detail15normal_iteratorINSA_10device_ptrIS5_EEEEPS6_m14custom_greaterIS5_EEE10hipError_tT0_T1_T2_jT3_P12ihipStream_tbPNSt15iterator_traitsISK_E10value_typeEPNSQ_ISL_E10value_typeEPSM_NS1_7vsmem_tEENKUlT_SK_SL_SM_E_clISF_PS5_SG_SG_EESJ_SZ_SK_SL_SM_EUlSZ_E_NS1_11comp_targetILNS1_3genE4ELNS1_11target_archE910ELNS1_3gpuE8ELNS1_3repE0EEENS1_48merge_mergepath_partition_config_static_selectorELNS0_4arch9wavefront6targetE1EEEvSL_,@function
_ZN7rocprim17ROCPRIM_400000_NS6detail17trampoline_kernelINS0_14default_configENS1_38merge_sort_block_merge_config_selectorI14custom_numericNS0_10empty_typeEEEZZNS1_27merge_sort_block_merge_implIS3_N6thrust23THRUST_200600_302600_NS6detail15normal_iteratorINSA_10device_ptrIS5_EEEEPS6_m14custom_greaterIS5_EEE10hipError_tT0_T1_T2_jT3_P12ihipStream_tbPNSt15iterator_traitsISK_E10value_typeEPNSQ_ISL_E10value_typeEPSM_NS1_7vsmem_tEENKUlT_SK_SL_SM_E_clISF_PS5_SG_SG_EESJ_SZ_SK_SL_SM_EUlSZ_E_NS1_11comp_targetILNS1_3genE4ELNS1_11target_archE910ELNS1_3gpuE8ELNS1_3repE0EEENS1_48merge_mergepath_partition_config_static_selectorELNS0_4arch9wavefront6targetE1EEEvSL_: ; @_ZN7rocprim17ROCPRIM_400000_NS6detail17trampoline_kernelINS0_14default_configENS1_38merge_sort_block_merge_config_selectorI14custom_numericNS0_10empty_typeEEEZZNS1_27merge_sort_block_merge_implIS3_N6thrust23THRUST_200600_302600_NS6detail15normal_iteratorINSA_10device_ptrIS5_EEEEPS6_m14custom_greaterIS5_EEE10hipError_tT0_T1_T2_jT3_P12ihipStream_tbPNSt15iterator_traitsISK_E10value_typeEPNSQ_ISL_E10value_typeEPSM_NS1_7vsmem_tEENKUlT_SK_SL_SM_E_clISF_PS5_SG_SG_EESJ_SZ_SK_SL_SM_EUlSZ_E_NS1_11comp_targetILNS1_3genE4ELNS1_11target_archE910ELNS1_3gpuE8ELNS1_3repE0EEENS1_48merge_mergepath_partition_config_static_selectorELNS0_4arch9wavefront6targetE1EEEvSL_
; %bb.0:
	s_load_dword s0, s[4:5], 0x0
	v_lshl_or_b32 v0, s6, 7, v0
	s_waitcnt lgkmcnt(0)
	v_cmp_gt_u32_e32 vcc, s0, v0
	s_and_saveexec_b64 s[0:1], vcc
	s_cbranch_execz .LBB3706_6
; %bb.1:
	s_load_dwordx4 s[0:3], s[4:5], 0x8
	s_load_dwordx2 s[6:7], s[4:5], 0x28
	v_mov_b32_e32 v5, 0
	s_waitcnt lgkmcnt(0)
	v_mov_b32_e32 v1, s0
	v_alignbit_b32 v1, s1, v1, 8
	v_and_b32_e32 v1, -2, v1
	v_add_u32_e32 v2, -1, v1
	v_sub_u32_e32 v1, 0, v1
	v_and_b32_e32 v4, v0, v1
	v_lshlrev_b64 v[8:9], 9, v[4:5]
	v_mov_b32_e32 v4, s3
	v_cmp_lt_u64_e32 vcc, s[2:3], v[8:9]
	v_mov_b32_e32 v7, s2
	v_and_b32_e32 v6, v2, v0
	v_cndmask_b32_e32 v1, v9, v4, vcc
	v_cndmask_b32_e32 v2, v8, v7, vcc
	v_mov_b32_e32 v3, s1
	v_add_co_u32_e32 v8, vcc, s0, v8
	v_addc_co_u32_e32 v9, vcc, v9, v3, vcc
	v_cmp_lt_u64_e32 vcc, s[2:3], v[8:9]
	v_cndmask_b32_e32 v10, v8, v7, vcc
	v_cndmask_b32_e32 v3, v9, v4, vcc
	v_mov_b32_e32 v9, s1
	v_add_co_u32_e32 v8, vcc, s0, v10
	v_addc_co_u32_e32 v9, vcc, v3, v9, vcc
	v_cmp_lt_u64_e32 vcc, s[2:3], v[8:9]
	v_cndmask_b32_e32 v14, v8, v7, vcc
	v_cndmask_b32_e32 v11, v9, v4, vcc
	v_sub_co_u32_e32 v8, vcc, v14, v2
	v_mov_b32_e32 v7, v5
	v_subb_co_u32_e32 v9, vcc, v11, v1, vcc
	v_lshlrev_b64 v[4:5], 9, v[6:7]
	v_cmp_lt_u64_e32 vcc, v[8:9], v[4:5]
	v_cndmask_b32_e32 v13, v5, v9, vcc
	v_cndmask_b32_e32 v12, v4, v8, vcc
	v_sub_co_u32_e32 v6, vcc, v10, v2
	v_subb_co_u32_e32 v7, vcc, v3, v1, vcc
	v_sub_co_u32_e32 v4, vcc, v10, v14
	v_subb_co_u32_e32 v5, vcc, v3, v11, vcc
	v_add_co_u32_e32 v4, vcc, v12, v4
	v_addc_co_u32_e32 v5, vcc, v13, v5, vcc
	v_cmp_gt_u64_e32 vcc, v[4:5], v[12:13]
	v_cndmask_b32_e64 v5, v5, 0, vcc
	v_cndmask_b32_e64 v4, v4, 0, vcc
	v_cmp_lt_u64_e32 vcc, v[12:13], v[6:7]
	v_cndmask_b32_e32 v7, v7, v13, vcc
	v_cndmask_b32_e32 v6, v6, v12, vcc
	v_cmp_lt_u64_e32 vcc, v[4:5], v[6:7]
	s_and_saveexec_b64 s[0:1], vcc
	s_cbranch_execz .LBB3706_5
; %bb.2:
	s_load_dwordx2 s[2:3], s[4:5], 0x18
	s_waitcnt lgkmcnt(0)
	v_mad_u64_u32 v[8:9], s[4:5], v2, 20, s[2:3]
	v_mov_b32_e32 v14, v9
	v_mad_u64_u32 v[10:11], s[2:3], v10, 20, s[2:3]
	v_mad_u64_u32 v[14:15], s[2:3], v1, 20, v[14:15]
	v_mov_b32_e32 v9, v14
	v_mov_b32_e32 v14, v11
	v_mad_u64_u32 v[14:15], s[2:3], v3, 20, v[14:15]
	v_mov_b32_e32 v11, v14
	v_mad_u64_u32 v[10:11], s[2:3], v12, 20, v[10:11]
	;; [unrolled: 2-line block ×3, first 2 shown]
	v_mov_b32_e32 v11, v12
	s_mov_b64 s[2:3], 0
.LBB3706_3:                             ; =>This Inner Loop Header: Depth=1
	v_add_co_u32_e32 v12, vcc, v6, v4
	v_addc_co_u32_e32 v13, vcc, v7, v5, vcc
	v_lshrrev_b64 v[14:15], 1, v[12:13]
	v_alignbit_b32 v3, v13, v12, 1
	v_lshrrev_b32_e32 v17, 1, v13
	v_not_b32_e32 v18, v14
	v_mad_u64_u32 v[12:13], s[4:5], v3, 20, v[8:9]
	v_mov_b32_e32 v16, v13
	v_mad_u64_u32 v[18:19], s[4:5], v18, 20, v[10:11]
	v_not_b32_e32 v21, v15
	v_mad_u64_u32 v[16:17], s[4:5], v17, 20, v[16:17]
	v_mov_b32_e32 v20, v19
	v_mov_b32_e32 v13, v16
	v_mad_u64_u32 v[16:17], s[4:5], v21, 20, v[20:21]
	v_mov_b32_e32 v19, v16
	flat_load_dword v3, v[12:13]
	flat_load_dword v16, v[18:19]
	v_add_co_u32_e32 v12, vcc, 1, v14
	v_addc_co_u32_e32 v13, vcc, 0, v15, vcc
	s_waitcnt vmcnt(0) lgkmcnt(0)
	v_cmp_gt_i32_e32 vcc, v3, v16
	v_cndmask_b32_e32 v7, v7, v15, vcc
	v_cndmask_b32_e32 v6, v6, v14, vcc
	;; [unrolled: 1-line block ×4, first 2 shown]
	v_cmp_ge_u64_e32 vcc, v[4:5], v[6:7]
	s_or_b64 s[2:3], vcc, s[2:3]
	s_andn2_b64 exec, exec, s[2:3]
	s_cbranch_execnz .LBB3706_3
; %bb.4:
	s_or_b64 exec, exec, s[2:3]
.LBB3706_5:
	s_or_b64 exec, exec, s[0:1]
	v_add_co_u32_e32 v2, vcc, v4, v2
	v_addc_co_u32_e32 v3, vcc, v5, v1, vcc
	v_mov_b32_e32 v1, 0
	v_lshlrev_b64 v[0:1], 3, v[0:1]
	v_mov_b32_e32 v4, s7
	v_add_co_u32_e32 v0, vcc, s6, v0
	v_addc_co_u32_e32 v1, vcc, v4, v1, vcc
	global_store_dwordx2 v[0:1], v[2:3], off
.LBB3706_6:
	s_endpgm
	.section	.rodata,"a",@progbits
	.p2align	6, 0x0
	.amdhsa_kernel _ZN7rocprim17ROCPRIM_400000_NS6detail17trampoline_kernelINS0_14default_configENS1_38merge_sort_block_merge_config_selectorI14custom_numericNS0_10empty_typeEEEZZNS1_27merge_sort_block_merge_implIS3_N6thrust23THRUST_200600_302600_NS6detail15normal_iteratorINSA_10device_ptrIS5_EEEEPS6_m14custom_greaterIS5_EEE10hipError_tT0_T1_T2_jT3_P12ihipStream_tbPNSt15iterator_traitsISK_E10value_typeEPNSQ_ISL_E10value_typeEPSM_NS1_7vsmem_tEENKUlT_SK_SL_SM_E_clISF_PS5_SG_SG_EESJ_SZ_SK_SL_SM_EUlSZ_E_NS1_11comp_targetILNS1_3genE4ELNS1_11target_archE910ELNS1_3gpuE8ELNS1_3repE0EEENS1_48merge_mergepath_partition_config_static_selectorELNS0_4arch9wavefront6targetE1EEEvSL_
		.amdhsa_group_segment_fixed_size 0
		.amdhsa_private_segment_fixed_size 0
		.amdhsa_kernarg_size 48
		.amdhsa_user_sgpr_count 6
		.amdhsa_user_sgpr_private_segment_buffer 1
		.amdhsa_user_sgpr_dispatch_ptr 0
		.amdhsa_user_sgpr_queue_ptr 0
		.amdhsa_user_sgpr_kernarg_segment_ptr 1
		.amdhsa_user_sgpr_dispatch_id 0
		.amdhsa_user_sgpr_flat_scratch_init 0
		.amdhsa_user_sgpr_kernarg_preload_length 0
		.amdhsa_user_sgpr_kernarg_preload_offset 0
		.amdhsa_user_sgpr_private_segment_size 0
		.amdhsa_uses_dynamic_stack 0
		.amdhsa_system_sgpr_private_segment_wavefront_offset 0
		.amdhsa_system_sgpr_workgroup_id_x 1
		.amdhsa_system_sgpr_workgroup_id_y 0
		.amdhsa_system_sgpr_workgroup_id_z 0
		.amdhsa_system_sgpr_workgroup_info 0
		.amdhsa_system_vgpr_workitem_id 0
		.amdhsa_next_free_vgpr 22
		.amdhsa_next_free_sgpr 8
		.amdhsa_accum_offset 24
		.amdhsa_reserve_vcc 1
		.amdhsa_reserve_flat_scratch 0
		.amdhsa_float_round_mode_32 0
		.amdhsa_float_round_mode_16_64 0
		.amdhsa_float_denorm_mode_32 3
		.amdhsa_float_denorm_mode_16_64 3
		.amdhsa_dx10_clamp 1
		.amdhsa_ieee_mode 1
		.amdhsa_fp16_overflow 0
		.amdhsa_tg_split 0
		.amdhsa_exception_fp_ieee_invalid_op 0
		.amdhsa_exception_fp_denorm_src 0
		.amdhsa_exception_fp_ieee_div_zero 0
		.amdhsa_exception_fp_ieee_overflow 0
		.amdhsa_exception_fp_ieee_underflow 0
		.amdhsa_exception_fp_ieee_inexact 0
		.amdhsa_exception_int_div_zero 0
	.end_amdhsa_kernel
	.section	.text._ZN7rocprim17ROCPRIM_400000_NS6detail17trampoline_kernelINS0_14default_configENS1_38merge_sort_block_merge_config_selectorI14custom_numericNS0_10empty_typeEEEZZNS1_27merge_sort_block_merge_implIS3_N6thrust23THRUST_200600_302600_NS6detail15normal_iteratorINSA_10device_ptrIS5_EEEEPS6_m14custom_greaterIS5_EEE10hipError_tT0_T1_T2_jT3_P12ihipStream_tbPNSt15iterator_traitsISK_E10value_typeEPNSQ_ISL_E10value_typeEPSM_NS1_7vsmem_tEENKUlT_SK_SL_SM_E_clISF_PS5_SG_SG_EESJ_SZ_SK_SL_SM_EUlSZ_E_NS1_11comp_targetILNS1_3genE4ELNS1_11target_archE910ELNS1_3gpuE8ELNS1_3repE0EEENS1_48merge_mergepath_partition_config_static_selectorELNS0_4arch9wavefront6targetE1EEEvSL_,"axG",@progbits,_ZN7rocprim17ROCPRIM_400000_NS6detail17trampoline_kernelINS0_14default_configENS1_38merge_sort_block_merge_config_selectorI14custom_numericNS0_10empty_typeEEEZZNS1_27merge_sort_block_merge_implIS3_N6thrust23THRUST_200600_302600_NS6detail15normal_iteratorINSA_10device_ptrIS5_EEEEPS6_m14custom_greaterIS5_EEE10hipError_tT0_T1_T2_jT3_P12ihipStream_tbPNSt15iterator_traitsISK_E10value_typeEPNSQ_ISL_E10value_typeEPSM_NS1_7vsmem_tEENKUlT_SK_SL_SM_E_clISF_PS5_SG_SG_EESJ_SZ_SK_SL_SM_EUlSZ_E_NS1_11comp_targetILNS1_3genE4ELNS1_11target_archE910ELNS1_3gpuE8ELNS1_3repE0EEENS1_48merge_mergepath_partition_config_static_selectorELNS0_4arch9wavefront6targetE1EEEvSL_,comdat
.Lfunc_end3706:
	.size	_ZN7rocprim17ROCPRIM_400000_NS6detail17trampoline_kernelINS0_14default_configENS1_38merge_sort_block_merge_config_selectorI14custom_numericNS0_10empty_typeEEEZZNS1_27merge_sort_block_merge_implIS3_N6thrust23THRUST_200600_302600_NS6detail15normal_iteratorINSA_10device_ptrIS5_EEEEPS6_m14custom_greaterIS5_EEE10hipError_tT0_T1_T2_jT3_P12ihipStream_tbPNSt15iterator_traitsISK_E10value_typeEPNSQ_ISL_E10value_typeEPSM_NS1_7vsmem_tEENKUlT_SK_SL_SM_E_clISF_PS5_SG_SG_EESJ_SZ_SK_SL_SM_EUlSZ_E_NS1_11comp_targetILNS1_3genE4ELNS1_11target_archE910ELNS1_3gpuE8ELNS1_3repE0EEENS1_48merge_mergepath_partition_config_static_selectorELNS0_4arch9wavefront6targetE1EEEvSL_, .Lfunc_end3706-_ZN7rocprim17ROCPRIM_400000_NS6detail17trampoline_kernelINS0_14default_configENS1_38merge_sort_block_merge_config_selectorI14custom_numericNS0_10empty_typeEEEZZNS1_27merge_sort_block_merge_implIS3_N6thrust23THRUST_200600_302600_NS6detail15normal_iteratorINSA_10device_ptrIS5_EEEEPS6_m14custom_greaterIS5_EEE10hipError_tT0_T1_T2_jT3_P12ihipStream_tbPNSt15iterator_traitsISK_E10value_typeEPNSQ_ISL_E10value_typeEPSM_NS1_7vsmem_tEENKUlT_SK_SL_SM_E_clISF_PS5_SG_SG_EESJ_SZ_SK_SL_SM_EUlSZ_E_NS1_11comp_targetILNS1_3genE4ELNS1_11target_archE910ELNS1_3gpuE8ELNS1_3repE0EEENS1_48merge_mergepath_partition_config_static_selectorELNS0_4arch9wavefront6targetE1EEEvSL_
                                        ; -- End function
	.section	.AMDGPU.csdata,"",@progbits
; Kernel info:
; codeLenInByte = 552
; NumSgprs: 12
; NumVgprs: 22
; NumAgprs: 0
; TotalNumVgprs: 22
; ScratchSize: 0
; MemoryBound: 0
; FloatMode: 240
; IeeeMode: 1
; LDSByteSize: 0 bytes/workgroup (compile time only)
; SGPRBlocks: 1
; VGPRBlocks: 2
; NumSGPRsForWavesPerEU: 12
; NumVGPRsForWavesPerEU: 22
; AccumOffset: 24
; Occupancy: 8
; WaveLimiterHint : 0
; COMPUTE_PGM_RSRC2:SCRATCH_EN: 0
; COMPUTE_PGM_RSRC2:USER_SGPR: 6
; COMPUTE_PGM_RSRC2:TRAP_HANDLER: 0
; COMPUTE_PGM_RSRC2:TGID_X_EN: 1
; COMPUTE_PGM_RSRC2:TGID_Y_EN: 0
; COMPUTE_PGM_RSRC2:TGID_Z_EN: 0
; COMPUTE_PGM_RSRC2:TIDIG_COMP_CNT: 0
; COMPUTE_PGM_RSRC3_GFX90A:ACCUM_OFFSET: 5
; COMPUTE_PGM_RSRC3_GFX90A:TG_SPLIT: 0
	.section	.text._ZN7rocprim17ROCPRIM_400000_NS6detail17trampoline_kernelINS0_14default_configENS1_38merge_sort_block_merge_config_selectorI14custom_numericNS0_10empty_typeEEEZZNS1_27merge_sort_block_merge_implIS3_N6thrust23THRUST_200600_302600_NS6detail15normal_iteratorINSA_10device_ptrIS5_EEEEPS6_m14custom_greaterIS5_EEE10hipError_tT0_T1_T2_jT3_P12ihipStream_tbPNSt15iterator_traitsISK_E10value_typeEPNSQ_ISL_E10value_typeEPSM_NS1_7vsmem_tEENKUlT_SK_SL_SM_E_clISF_PS5_SG_SG_EESJ_SZ_SK_SL_SM_EUlSZ_E_NS1_11comp_targetILNS1_3genE3ELNS1_11target_archE908ELNS1_3gpuE7ELNS1_3repE0EEENS1_48merge_mergepath_partition_config_static_selectorELNS0_4arch9wavefront6targetE1EEEvSL_,"axG",@progbits,_ZN7rocprim17ROCPRIM_400000_NS6detail17trampoline_kernelINS0_14default_configENS1_38merge_sort_block_merge_config_selectorI14custom_numericNS0_10empty_typeEEEZZNS1_27merge_sort_block_merge_implIS3_N6thrust23THRUST_200600_302600_NS6detail15normal_iteratorINSA_10device_ptrIS5_EEEEPS6_m14custom_greaterIS5_EEE10hipError_tT0_T1_T2_jT3_P12ihipStream_tbPNSt15iterator_traitsISK_E10value_typeEPNSQ_ISL_E10value_typeEPSM_NS1_7vsmem_tEENKUlT_SK_SL_SM_E_clISF_PS5_SG_SG_EESJ_SZ_SK_SL_SM_EUlSZ_E_NS1_11comp_targetILNS1_3genE3ELNS1_11target_archE908ELNS1_3gpuE7ELNS1_3repE0EEENS1_48merge_mergepath_partition_config_static_selectorELNS0_4arch9wavefront6targetE1EEEvSL_,comdat
	.protected	_ZN7rocprim17ROCPRIM_400000_NS6detail17trampoline_kernelINS0_14default_configENS1_38merge_sort_block_merge_config_selectorI14custom_numericNS0_10empty_typeEEEZZNS1_27merge_sort_block_merge_implIS3_N6thrust23THRUST_200600_302600_NS6detail15normal_iteratorINSA_10device_ptrIS5_EEEEPS6_m14custom_greaterIS5_EEE10hipError_tT0_T1_T2_jT3_P12ihipStream_tbPNSt15iterator_traitsISK_E10value_typeEPNSQ_ISL_E10value_typeEPSM_NS1_7vsmem_tEENKUlT_SK_SL_SM_E_clISF_PS5_SG_SG_EESJ_SZ_SK_SL_SM_EUlSZ_E_NS1_11comp_targetILNS1_3genE3ELNS1_11target_archE908ELNS1_3gpuE7ELNS1_3repE0EEENS1_48merge_mergepath_partition_config_static_selectorELNS0_4arch9wavefront6targetE1EEEvSL_ ; -- Begin function _ZN7rocprim17ROCPRIM_400000_NS6detail17trampoline_kernelINS0_14default_configENS1_38merge_sort_block_merge_config_selectorI14custom_numericNS0_10empty_typeEEEZZNS1_27merge_sort_block_merge_implIS3_N6thrust23THRUST_200600_302600_NS6detail15normal_iteratorINSA_10device_ptrIS5_EEEEPS6_m14custom_greaterIS5_EEE10hipError_tT0_T1_T2_jT3_P12ihipStream_tbPNSt15iterator_traitsISK_E10value_typeEPNSQ_ISL_E10value_typeEPSM_NS1_7vsmem_tEENKUlT_SK_SL_SM_E_clISF_PS5_SG_SG_EESJ_SZ_SK_SL_SM_EUlSZ_E_NS1_11comp_targetILNS1_3genE3ELNS1_11target_archE908ELNS1_3gpuE7ELNS1_3repE0EEENS1_48merge_mergepath_partition_config_static_selectorELNS0_4arch9wavefront6targetE1EEEvSL_
	.globl	_ZN7rocprim17ROCPRIM_400000_NS6detail17trampoline_kernelINS0_14default_configENS1_38merge_sort_block_merge_config_selectorI14custom_numericNS0_10empty_typeEEEZZNS1_27merge_sort_block_merge_implIS3_N6thrust23THRUST_200600_302600_NS6detail15normal_iteratorINSA_10device_ptrIS5_EEEEPS6_m14custom_greaterIS5_EEE10hipError_tT0_T1_T2_jT3_P12ihipStream_tbPNSt15iterator_traitsISK_E10value_typeEPNSQ_ISL_E10value_typeEPSM_NS1_7vsmem_tEENKUlT_SK_SL_SM_E_clISF_PS5_SG_SG_EESJ_SZ_SK_SL_SM_EUlSZ_E_NS1_11comp_targetILNS1_3genE3ELNS1_11target_archE908ELNS1_3gpuE7ELNS1_3repE0EEENS1_48merge_mergepath_partition_config_static_selectorELNS0_4arch9wavefront6targetE1EEEvSL_
	.p2align	8
	.type	_ZN7rocprim17ROCPRIM_400000_NS6detail17trampoline_kernelINS0_14default_configENS1_38merge_sort_block_merge_config_selectorI14custom_numericNS0_10empty_typeEEEZZNS1_27merge_sort_block_merge_implIS3_N6thrust23THRUST_200600_302600_NS6detail15normal_iteratorINSA_10device_ptrIS5_EEEEPS6_m14custom_greaterIS5_EEE10hipError_tT0_T1_T2_jT3_P12ihipStream_tbPNSt15iterator_traitsISK_E10value_typeEPNSQ_ISL_E10value_typeEPSM_NS1_7vsmem_tEENKUlT_SK_SL_SM_E_clISF_PS5_SG_SG_EESJ_SZ_SK_SL_SM_EUlSZ_E_NS1_11comp_targetILNS1_3genE3ELNS1_11target_archE908ELNS1_3gpuE7ELNS1_3repE0EEENS1_48merge_mergepath_partition_config_static_selectorELNS0_4arch9wavefront6targetE1EEEvSL_,@function
_ZN7rocprim17ROCPRIM_400000_NS6detail17trampoline_kernelINS0_14default_configENS1_38merge_sort_block_merge_config_selectorI14custom_numericNS0_10empty_typeEEEZZNS1_27merge_sort_block_merge_implIS3_N6thrust23THRUST_200600_302600_NS6detail15normal_iteratorINSA_10device_ptrIS5_EEEEPS6_m14custom_greaterIS5_EEE10hipError_tT0_T1_T2_jT3_P12ihipStream_tbPNSt15iterator_traitsISK_E10value_typeEPNSQ_ISL_E10value_typeEPSM_NS1_7vsmem_tEENKUlT_SK_SL_SM_E_clISF_PS5_SG_SG_EESJ_SZ_SK_SL_SM_EUlSZ_E_NS1_11comp_targetILNS1_3genE3ELNS1_11target_archE908ELNS1_3gpuE7ELNS1_3repE0EEENS1_48merge_mergepath_partition_config_static_selectorELNS0_4arch9wavefront6targetE1EEEvSL_: ; @_ZN7rocprim17ROCPRIM_400000_NS6detail17trampoline_kernelINS0_14default_configENS1_38merge_sort_block_merge_config_selectorI14custom_numericNS0_10empty_typeEEEZZNS1_27merge_sort_block_merge_implIS3_N6thrust23THRUST_200600_302600_NS6detail15normal_iteratorINSA_10device_ptrIS5_EEEEPS6_m14custom_greaterIS5_EEE10hipError_tT0_T1_T2_jT3_P12ihipStream_tbPNSt15iterator_traitsISK_E10value_typeEPNSQ_ISL_E10value_typeEPSM_NS1_7vsmem_tEENKUlT_SK_SL_SM_E_clISF_PS5_SG_SG_EESJ_SZ_SK_SL_SM_EUlSZ_E_NS1_11comp_targetILNS1_3genE3ELNS1_11target_archE908ELNS1_3gpuE7ELNS1_3repE0EEENS1_48merge_mergepath_partition_config_static_selectorELNS0_4arch9wavefront6targetE1EEEvSL_
; %bb.0:
	.section	.rodata,"a",@progbits
	.p2align	6, 0x0
	.amdhsa_kernel _ZN7rocprim17ROCPRIM_400000_NS6detail17trampoline_kernelINS0_14default_configENS1_38merge_sort_block_merge_config_selectorI14custom_numericNS0_10empty_typeEEEZZNS1_27merge_sort_block_merge_implIS3_N6thrust23THRUST_200600_302600_NS6detail15normal_iteratorINSA_10device_ptrIS5_EEEEPS6_m14custom_greaterIS5_EEE10hipError_tT0_T1_T2_jT3_P12ihipStream_tbPNSt15iterator_traitsISK_E10value_typeEPNSQ_ISL_E10value_typeEPSM_NS1_7vsmem_tEENKUlT_SK_SL_SM_E_clISF_PS5_SG_SG_EESJ_SZ_SK_SL_SM_EUlSZ_E_NS1_11comp_targetILNS1_3genE3ELNS1_11target_archE908ELNS1_3gpuE7ELNS1_3repE0EEENS1_48merge_mergepath_partition_config_static_selectorELNS0_4arch9wavefront6targetE1EEEvSL_
		.amdhsa_group_segment_fixed_size 0
		.amdhsa_private_segment_fixed_size 0
		.amdhsa_kernarg_size 48
		.amdhsa_user_sgpr_count 6
		.amdhsa_user_sgpr_private_segment_buffer 1
		.amdhsa_user_sgpr_dispatch_ptr 0
		.amdhsa_user_sgpr_queue_ptr 0
		.amdhsa_user_sgpr_kernarg_segment_ptr 1
		.amdhsa_user_sgpr_dispatch_id 0
		.amdhsa_user_sgpr_flat_scratch_init 0
		.amdhsa_user_sgpr_kernarg_preload_length 0
		.amdhsa_user_sgpr_kernarg_preload_offset 0
		.amdhsa_user_sgpr_private_segment_size 0
		.amdhsa_uses_dynamic_stack 0
		.amdhsa_system_sgpr_private_segment_wavefront_offset 0
		.amdhsa_system_sgpr_workgroup_id_x 1
		.amdhsa_system_sgpr_workgroup_id_y 0
		.amdhsa_system_sgpr_workgroup_id_z 0
		.amdhsa_system_sgpr_workgroup_info 0
		.amdhsa_system_vgpr_workitem_id 0
		.amdhsa_next_free_vgpr 1
		.amdhsa_next_free_sgpr 0
		.amdhsa_accum_offset 4
		.amdhsa_reserve_vcc 0
		.amdhsa_reserve_flat_scratch 0
		.amdhsa_float_round_mode_32 0
		.amdhsa_float_round_mode_16_64 0
		.amdhsa_float_denorm_mode_32 3
		.amdhsa_float_denorm_mode_16_64 3
		.amdhsa_dx10_clamp 1
		.amdhsa_ieee_mode 1
		.amdhsa_fp16_overflow 0
		.amdhsa_tg_split 0
		.amdhsa_exception_fp_ieee_invalid_op 0
		.amdhsa_exception_fp_denorm_src 0
		.amdhsa_exception_fp_ieee_div_zero 0
		.amdhsa_exception_fp_ieee_overflow 0
		.amdhsa_exception_fp_ieee_underflow 0
		.amdhsa_exception_fp_ieee_inexact 0
		.amdhsa_exception_int_div_zero 0
	.end_amdhsa_kernel
	.section	.text._ZN7rocprim17ROCPRIM_400000_NS6detail17trampoline_kernelINS0_14default_configENS1_38merge_sort_block_merge_config_selectorI14custom_numericNS0_10empty_typeEEEZZNS1_27merge_sort_block_merge_implIS3_N6thrust23THRUST_200600_302600_NS6detail15normal_iteratorINSA_10device_ptrIS5_EEEEPS6_m14custom_greaterIS5_EEE10hipError_tT0_T1_T2_jT3_P12ihipStream_tbPNSt15iterator_traitsISK_E10value_typeEPNSQ_ISL_E10value_typeEPSM_NS1_7vsmem_tEENKUlT_SK_SL_SM_E_clISF_PS5_SG_SG_EESJ_SZ_SK_SL_SM_EUlSZ_E_NS1_11comp_targetILNS1_3genE3ELNS1_11target_archE908ELNS1_3gpuE7ELNS1_3repE0EEENS1_48merge_mergepath_partition_config_static_selectorELNS0_4arch9wavefront6targetE1EEEvSL_,"axG",@progbits,_ZN7rocprim17ROCPRIM_400000_NS6detail17trampoline_kernelINS0_14default_configENS1_38merge_sort_block_merge_config_selectorI14custom_numericNS0_10empty_typeEEEZZNS1_27merge_sort_block_merge_implIS3_N6thrust23THRUST_200600_302600_NS6detail15normal_iteratorINSA_10device_ptrIS5_EEEEPS6_m14custom_greaterIS5_EEE10hipError_tT0_T1_T2_jT3_P12ihipStream_tbPNSt15iterator_traitsISK_E10value_typeEPNSQ_ISL_E10value_typeEPSM_NS1_7vsmem_tEENKUlT_SK_SL_SM_E_clISF_PS5_SG_SG_EESJ_SZ_SK_SL_SM_EUlSZ_E_NS1_11comp_targetILNS1_3genE3ELNS1_11target_archE908ELNS1_3gpuE7ELNS1_3repE0EEENS1_48merge_mergepath_partition_config_static_selectorELNS0_4arch9wavefront6targetE1EEEvSL_,comdat
.Lfunc_end3707:
	.size	_ZN7rocprim17ROCPRIM_400000_NS6detail17trampoline_kernelINS0_14default_configENS1_38merge_sort_block_merge_config_selectorI14custom_numericNS0_10empty_typeEEEZZNS1_27merge_sort_block_merge_implIS3_N6thrust23THRUST_200600_302600_NS6detail15normal_iteratorINSA_10device_ptrIS5_EEEEPS6_m14custom_greaterIS5_EEE10hipError_tT0_T1_T2_jT3_P12ihipStream_tbPNSt15iterator_traitsISK_E10value_typeEPNSQ_ISL_E10value_typeEPSM_NS1_7vsmem_tEENKUlT_SK_SL_SM_E_clISF_PS5_SG_SG_EESJ_SZ_SK_SL_SM_EUlSZ_E_NS1_11comp_targetILNS1_3genE3ELNS1_11target_archE908ELNS1_3gpuE7ELNS1_3repE0EEENS1_48merge_mergepath_partition_config_static_selectorELNS0_4arch9wavefront6targetE1EEEvSL_, .Lfunc_end3707-_ZN7rocprim17ROCPRIM_400000_NS6detail17trampoline_kernelINS0_14default_configENS1_38merge_sort_block_merge_config_selectorI14custom_numericNS0_10empty_typeEEEZZNS1_27merge_sort_block_merge_implIS3_N6thrust23THRUST_200600_302600_NS6detail15normal_iteratorINSA_10device_ptrIS5_EEEEPS6_m14custom_greaterIS5_EEE10hipError_tT0_T1_T2_jT3_P12ihipStream_tbPNSt15iterator_traitsISK_E10value_typeEPNSQ_ISL_E10value_typeEPSM_NS1_7vsmem_tEENKUlT_SK_SL_SM_E_clISF_PS5_SG_SG_EESJ_SZ_SK_SL_SM_EUlSZ_E_NS1_11comp_targetILNS1_3genE3ELNS1_11target_archE908ELNS1_3gpuE7ELNS1_3repE0EEENS1_48merge_mergepath_partition_config_static_selectorELNS0_4arch9wavefront6targetE1EEEvSL_
                                        ; -- End function
	.section	.AMDGPU.csdata,"",@progbits
; Kernel info:
; codeLenInByte = 0
; NumSgprs: 4
; NumVgprs: 0
; NumAgprs: 0
; TotalNumVgprs: 0
; ScratchSize: 0
; MemoryBound: 0
; FloatMode: 240
; IeeeMode: 1
; LDSByteSize: 0 bytes/workgroup (compile time only)
; SGPRBlocks: 0
; VGPRBlocks: 0
; NumSGPRsForWavesPerEU: 4
; NumVGPRsForWavesPerEU: 1
; AccumOffset: 4
; Occupancy: 8
; WaveLimiterHint : 0
; COMPUTE_PGM_RSRC2:SCRATCH_EN: 0
; COMPUTE_PGM_RSRC2:USER_SGPR: 6
; COMPUTE_PGM_RSRC2:TRAP_HANDLER: 0
; COMPUTE_PGM_RSRC2:TGID_X_EN: 1
; COMPUTE_PGM_RSRC2:TGID_Y_EN: 0
; COMPUTE_PGM_RSRC2:TGID_Z_EN: 0
; COMPUTE_PGM_RSRC2:TIDIG_COMP_CNT: 0
; COMPUTE_PGM_RSRC3_GFX90A:ACCUM_OFFSET: 0
; COMPUTE_PGM_RSRC3_GFX90A:TG_SPLIT: 0
	.section	.text._ZN7rocprim17ROCPRIM_400000_NS6detail17trampoline_kernelINS0_14default_configENS1_38merge_sort_block_merge_config_selectorI14custom_numericNS0_10empty_typeEEEZZNS1_27merge_sort_block_merge_implIS3_N6thrust23THRUST_200600_302600_NS6detail15normal_iteratorINSA_10device_ptrIS5_EEEEPS6_m14custom_greaterIS5_EEE10hipError_tT0_T1_T2_jT3_P12ihipStream_tbPNSt15iterator_traitsISK_E10value_typeEPNSQ_ISL_E10value_typeEPSM_NS1_7vsmem_tEENKUlT_SK_SL_SM_E_clISF_PS5_SG_SG_EESJ_SZ_SK_SL_SM_EUlSZ_E_NS1_11comp_targetILNS1_3genE2ELNS1_11target_archE906ELNS1_3gpuE6ELNS1_3repE0EEENS1_48merge_mergepath_partition_config_static_selectorELNS0_4arch9wavefront6targetE1EEEvSL_,"axG",@progbits,_ZN7rocprim17ROCPRIM_400000_NS6detail17trampoline_kernelINS0_14default_configENS1_38merge_sort_block_merge_config_selectorI14custom_numericNS0_10empty_typeEEEZZNS1_27merge_sort_block_merge_implIS3_N6thrust23THRUST_200600_302600_NS6detail15normal_iteratorINSA_10device_ptrIS5_EEEEPS6_m14custom_greaterIS5_EEE10hipError_tT0_T1_T2_jT3_P12ihipStream_tbPNSt15iterator_traitsISK_E10value_typeEPNSQ_ISL_E10value_typeEPSM_NS1_7vsmem_tEENKUlT_SK_SL_SM_E_clISF_PS5_SG_SG_EESJ_SZ_SK_SL_SM_EUlSZ_E_NS1_11comp_targetILNS1_3genE2ELNS1_11target_archE906ELNS1_3gpuE6ELNS1_3repE0EEENS1_48merge_mergepath_partition_config_static_selectorELNS0_4arch9wavefront6targetE1EEEvSL_,comdat
	.protected	_ZN7rocprim17ROCPRIM_400000_NS6detail17trampoline_kernelINS0_14default_configENS1_38merge_sort_block_merge_config_selectorI14custom_numericNS0_10empty_typeEEEZZNS1_27merge_sort_block_merge_implIS3_N6thrust23THRUST_200600_302600_NS6detail15normal_iteratorINSA_10device_ptrIS5_EEEEPS6_m14custom_greaterIS5_EEE10hipError_tT0_T1_T2_jT3_P12ihipStream_tbPNSt15iterator_traitsISK_E10value_typeEPNSQ_ISL_E10value_typeEPSM_NS1_7vsmem_tEENKUlT_SK_SL_SM_E_clISF_PS5_SG_SG_EESJ_SZ_SK_SL_SM_EUlSZ_E_NS1_11comp_targetILNS1_3genE2ELNS1_11target_archE906ELNS1_3gpuE6ELNS1_3repE0EEENS1_48merge_mergepath_partition_config_static_selectorELNS0_4arch9wavefront6targetE1EEEvSL_ ; -- Begin function _ZN7rocprim17ROCPRIM_400000_NS6detail17trampoline_kernelINS0_14default_configENS1_38merge_sort_block_merge_config_selectorI14custom_numericNS0_10empty_typeEEEZZNS1_27merge_sort_block_merge_implIS3_N6thrust23THRUST_200600_302600_NS6detail15normal_iteratorINSA_10device_ptrIS5_EEEEPS6_m14custom_greaterIS5_EEE10hipError_tT0_T1_T2_jT3_P12ihipStream_tbPNSt15iterator_traitsISK_E10value_typeEPNSQ_ISL_E10value_typeEPSM_NS1_7vsmem_tEENKUlT_SK_SL_SM_E_clISF_PS5_SG_SG_EESJ_SZ_SK_SL_SM_EUlSZ_E_NS1_11comp_targetILNS1_3genE2ELNS1_11target_archE906ELNS1_3gpuE6ELNS1_3repE0EEENS1_48merge_mergepath_partition_config_static_selectorELNS0_4arch9wavefront6targetE1EEEvSL_
	.globl	_ZN7rocprim17ROCPRIM_400000_NS6detail17trampoline_kernelINS0_14default_configENS1_38merge_sort_block_merge_config_selectorI14custom_numericNS0_10empty_typeEEEZZNS1_27merge_sort_block_merge_implIS3_N6thrust23THRUST_200600_302600_NS6detail15normal_iteratorINSA_10device_ptrIS5_EEEEPS6_m14custom_greaterIS5_EEE10hipError_tT0_T1_T2_jT3_P12ihipStream_tbPNSt15iterator_traitsISK_E10value_typeEPNSQ_ISL_E10value_typeEPSM_NS1_7vsmem_tEENKUlT_SK_SL_SM_E_clISF_PS5_SG_SG_EESJ_SZ_SK_SL_SM_EUlSZ_E_NS1_11comp_targetILNS1_3genE2ELNS1_11target_archE906ELNS1_3gpuE6ELNS1_3repE0EEENS1_48merge_mergepath_partition_config_static_selectorELNS0_4arch9wavefront6targetE1EEEvSL_
	.p2align	8
	.type	_ZN7rocprim17ROCPRIM_400000_NS6detail17trampoline_kernelINS0_14default_configENS1_38merge_sort_block_merge_config_selectorI14custom_numericNS0_10empty_typeEEEZZNS1_27merge_sort_block_merge_implIS3_N6thrust23THRUST_200600_302600_NS6detail15normal_iteratorINSA_10device_ptrIS5_EEEEPS6_m14custom_greaterIS5_EEE10hipError_tT0_T1_T2_jT3_P12ihipStream_tbPNSt15iterator_traitsISK_E10value_typeEPNSQ_ISL_E10value_typeEPSM_NS1_7vsmem_tEENKUlT_SK_SL_SM_E_clISF_PS5_SG_SG_EESJ_SZ_SK_SL_SM_EUlSZ_E_NS1_11comp_targetILNS1_3genE2ELNS1_11target_archE906ELNS1_3gpuE6ELNS1_3repE0EEENS1_48merge_mergepath_partition_config_static_selectorELNS0_4arch9wavefront6targetE1EEEvSL_,@function
_ZN7rocprim17ROCPRIM_400000_NS6detail17trampoline_kernelINS0_14default_configENS1_38merge_sort_block_merge_config_selectorI14custom_numericNS0_10empty_typeEEEZZNS1_27merge_sort_block_merge_implIS3_N6thrust23THRUST_200600_302600_NS6detail15normal_iteratorINSA_10device_ptrIS5_EEEEPS6_m14custom_greaterIS5_EEE10hipError_tT0_T1_T2_jT3_P12ihipStream_tbPNSt15iterator_traitsISK_E10value_typeEPNSQ_ISL_E10value_typeEPSM_NS1_7vsmem_tEENKUlT_SK_SL_SM_E_clISF_PS5_SG_SG_EESJ_SZ_SK_SL_SM_EUlSZ_E_NS1_11comp_targetILNS1_3genE2ELNS1_11target_archE906ELNS1_3gpuE6ELNS1_3repE0EEENS1_48merge_mergepath_partition_config_static_selectorELNS0_4arch9wavefront6targetE1EEEvSL_: ; @_ZN7rocprim17ROCPRIM_400000_NS6detail17trampoline_kernelINS0_14default_configENS1_38merge_sort_block_merge_config_selectorI14custom_numericNS0_10empty_typeEEEZZNS1_27merge_sort_block_merge_implIS3_N6thrust23THRUST_200600_302600_NS6detail15normal_iteratorINSA_10device_ptrIS5_EEEEPS6_m14custom_greaterIS5_EEE10hipError_tT0_T1_T2_jT3_P12ihipStream_tbPNSt15iterator_traitsISK_E10value_typeEPNSQ_ISL_E10value_typeEPSM_NS1_7vsmem_tEENKUlT_SK_SL_SM_E_clISF_PS5_SG_SG_EESJ_SZ_SK_SL_SM_EUlSZ_E_NS1_11comp_targetILNS1_3genE2ELNS1_11target_archE906ELNS1_3gpuE6ELNS1_3repE0EEENS1_48merge_mergepath_partition_config_static_selectorELNS0_4arch9wavefront6targetE1EEEvSL_
; %bb.0:
	.section	.rodata,"a",@progbits
	.p2align	6, 0x0
	.amdhsa_kernel _ZN7rocprim17ROCPRIM_400000_NS6detail17trampoline_kernelINS0_14default_configENS1_38merge_sort_block_merge_config_selectorI14custom_numericNS0_10empty_typeEEEZZNS1_27merge_sort_block_merge_implIS3_N6thrust23THRUST_200600_302600_NS6detail15normal_iteratorINSA_10device_ptrIS5_EEEEPS6_m14custom_greaterIS5_EEE10hipError_tT0_T1_T2_jT3_P12ihipStream_tbPNSt15iterator_traitsISK_E10value_typeEPNSQ_ISL_E10value_typeEPSM_NS1_7vsmem_tEENKUlT_SK_SL_SM_E_clISF_PS5_SG_SG_EESJ_SZ_SK_SL_SM_EUlSZ_E_NS1_11comp_targetILNS1_3genE2ELNS1_11target_archE906ELNS1_3gpuE6ELNS1_3repE0EEENS1_48merge_mergepath_partition_config_static_selectorELNS0_4arch9wavefront6targetE1EEEvSL_
		.amdhsa_group_segment_fixed_size 0
		.amdhsa_private_segment_fixed_size 0
		.amdhsa_kernarg_size 48
		.amdhsa_user_sgpr_count 6
		.amdhsa_user_sgpr_private_segment_buffer 1
		.amdhsa_user_sgpr_dispatch_ptr 0
		.amdhsa_user_sgpr_queue_ptr 0
		.amdhsa_user_sgpr_kernarg_segment_ptr 1
		.amdhsa_user_sgpr_dispatch_id 0
		.amdhsa_user_sgpr_flat_scratch_init 0
		.amdhsa_user_sgpr_kernarg_preload_length 0
		.amdhsa_user_sgpr_kernarg_preload_offset 0
		.amdhsa_user_sgpr_private_segment_size 0
		.amdhsa_uses_dynamic_stack 0
		.amdhsa_system_sgpr_private_segment_wavefront_offset 0
		.amdhsa_system_sgpr_workgroup_id_x 1
		.amdhsa_system_sgpr_workgroup_id_y 0
		.amdhsa_system_sgpr_workgroup_id_z 0
		.amdhsa_system_sgpr_workgroup_info 0
		.amdhsa_system_vgpr_workitem_id 0
		.amdhsa_next_free_vgpr 1
		.amdhsa_next_free_sgpr 0
		.amdhsa_accum_offset 4
		.amdhsa_reserve_vcc 0
		.amdhsa_reserve_flat_scratch 0
		.amdhsa_float_round_mode_32 0
		.amdhsa_float_round_mode_16_64 0
		.amdhsa_float_denorm_mode_32 3
		.amdhsa_float_denorm_mode_16_64 3
		.amdhsa_dx10_clamp 1
		.amdhsa_ieee_mode 1
		.amdhsa_fp16_overflow 0
		.amdhsa_tg_split 0
		.amdhsa_exception_fp_ieee_invalid_op 0
		.amdhsa_exception_fp_denorm_src 0
		.amdhsa_exception_fp_ieee_div_zero 0
		.amdhsa_exception_fp_ieee_overflow 0
		.amdhsa_exception_fp_ieee_underflow 0
		.amdhsa_exception_fp_ieee_inexact 0
		.amdhsa_exception_int_div_zero 0
	.end_amdhsa_kernel
	.section	.text._ZN7rocprim17ROCPRIM_400000_NS6detail17trampoline_kernelINS0_14default_configENS1_38merge_sort_block_merge_config_selectorI14custom_numericNS0_10empty_typeEEEZZNS1_27merge_sort_block_merge_implIS3_N6thrust23THRUST_200600_302600_NS6detail15normal_iteratorINSA_10device_ptrIS5_EEEEPS6_m14custom_greaterIS5_EEE10hipError_tT0_T1_T2_jT3_P12ihipStream_tbPNSt15iterator_traitsISK_E10value_typeEPNSQ_ISL_E10value_typeEPSM_NS1_7vsmem_tEENKUlT_SK_SL_SM_E_clISF_PS5_SG_SG_EESJ_SZ_SK_SL_SM_EUlSZ_E_NS1_11comp_targetILNS1_3genE2ELNS1_11target_archE906ELNS1_3gpuE6ELNS1_3repE0EEENS1_48merge_mergepath_partition_config_static_selectorELNS0_4arch9wavefront6targetE1EEEvSL_,"axG",@progbits,_ZN7rocprim17ROCPRIM_400000_NS6detail17trampoline_kernelINS0_14default_configENS1_38merge_sort_block_merge_config_selectorI14custom_numericNS0_10empty_typeEEEZZNS1_27merge_sort_block_merge_implIS3_N6thrust23THRUST_200600_302600_NS6detail15normal_iteratorINSA_10device_ptrIS5_EEEEPS6_m14custom_greaterIS5_EEE10hipError_tT0_T1_T2_jT3_P12ihipStream_tbPNSt15iterator_traitsISK_E10value_typeEPNSQ_ISL_E10value_typeEPSM_NS1_7vsmem_tEENKUlT_SK_SL_SM_E_clISF_PS5_SG_SG_EESJ_SZ_SK_SL_SM_EUlSZ_E_NS1_11comp_targetILNS1_3genE2ELNS1_11target_archE906ELNS1_3gpuE6ELNS1_3repE0EEENS1_48merge_mergepath_partition_config_static_selectorELNS0_4arch9wavefront6targetE1EEEvSL_,comdat
.Lfunc_end3708:
	.size	_ZN7rocprim17ROCPRIM_400000_NS6detail17trampoline_kernelINS0_14default_configENS1_38merge_sort_block_merge_config_selectorI14custom_numericNS0_10empty_typeEEEZZNS1_27merge_sort_block_merge_implIS3_N6thrust23THRUST_200600_302600_NS6detail15normal_iteratorINSA_10device_ptrIS5_EEEEPS6_m14custom_greaterIS5_EEE10hipError_tT0_T1_T2_jT3_P12ihipStream_tbPNSt15iterator_traitsISK_E10value_typeEPNSQ_ISL_E10value_typeEPSM_NS1_7vsmem_tEENKUlT_SK_SL_SM_E_clISF_PS5_SG_SG_EESJ_SZ_SK_SL_SM_EUlSZ_E_NS1_11comp_targetILNS1_3genE2ELNS1_11target_archE906ELNS1_3gpuE6ELNS1_3repE0EEENS1_48merge_mergepath_partition_config_static_selectorELNS0_4arch9wavefront6targetE1EEEvSL_, .Lfunc_end3708-_ZN7rocprim17ROCPRIM_400000_NS6detail17trampoline_kernelINS0_14default_configENS1_38merge_sort_block_merge_config_selectorI14custom_numericNS0_10empty_typeEEEZZNS1_27merge_sort_block_merge_implIS3_N6thrust23THRUST_200600_302600_NS6detail15normal_iteratorINSA_10device_ptrIS5_EEEEPS6_m14custom_greaterIS5_EEE10hipError_tT0_T1_T2_jT3_P12ihipStream_tbPNSt15iterator_traitsISK_E10value_typeEPNSQ_ISL_E10value_typeEPSM_NS1_7vsmem_tEENKUlT_SK_SL_SM_E_clISF_PS5_SG_SG_EESJ_SZ_SK_SL_SM_EUlSZ_E_NS1_11comp_targetILNS1_3genE2ELNS1_11target_archE906ELNS1_3gpuE6ELNS1_3repE0EEENS1_48merge_mergepath_partition_config_static_selectorELNS0_4arch9wavefront6targetE1EEEvSL_
                                        ; -- End function
	.section	.AMDGPU.csdata,"",@progbits
; Kernel info:
; codeLenInByte = 0
; NumSgprs: 4
; NumVgprs: 0
; NumAgprs: 0
; TotalNumVgprs: 0
; ScratchSize: 0
; MemoryBound: 0
; FloatMode: 240
; IeeeMode: 1
; LDSByteSize: 0 bytes/workgroup (compile time only)
; SGPRBlocks: 0
; VGPRBlocks: 0
; NumSGPRsForWavesPerEU: 4
; NumVGPRsForWavesPerEU: 1
; AccumOffset: 4
; Occupancy: 8
; WaveLimiterHint : 0
; COMPUTE_PGM_RSRC2:SCRATCH_EN: 0
; COMPUTE_PGM_RSRC2:USER_SGPR: 6
; COMPUTE_PGM_RSRC2:TRAP_HANDLER: 0
; COMPUTE_PGM_RSRC2:TGID_X_EN: 1
; COMPUTE_PGM_RSRC2:TGID_Y_EN: 0
; COMPUTE_PGM_RSRC2:TGID_Z_EN: 0
; COMPUTE_PGM_RSRC2:TIDIG_COMP_CNT: 0
; COMPUTE_PGM_RSRC3_GFX90A:ACCUM_OFFSET: 0
; COMPUTE_PGM_RSRC3_GFX90A:TG_SPLIT: 0
	.section	.text._ZN7rocprim17ROCPRIM_400000_NS6detail17trampoline_kernelINS0_14default_configENS1_38merge_sort_block_merge_config_selectorI14custom_numericNS0_10empty_typeEEEZZNS1_27merge_sort_block_merge_implIS3_N6thrust23THRUST_200600_302600_NS6detail15normal_iteratorINSA_10device_ptrIS5_EEEEPS6_m14custom_greaterIS5_EEE10hipError_tT0_T1_T2_jT3_P12ihipStream_tbPNSt15iterator_traitsISK_E10value_typeEPNSQ_ISL_E10value_typeEPSM_NS1_7vsmem_tEENKUlT_SK_SL_SM_E_clISF_PS5_SG_SG_EESJ_SZ_SK_SL_SM_EUlSZ_E_NS1_11comp_targetILNS1_3genE9ELNS1_11target_archE1100ELNS1_3gpuE3ELNS1_3repE0EEENS1_48merge_mergepath_partition_config_static_selectorELNS0_4arch9wavefront6targetE1EEEvSL_,"axG",@progbits,_ZN7rocprim17ROCPRIM_400000_NS6detail17trampoline_kernelINS0_14default_configENS1_38merge_sort_block_merge_config_selectorI14custom_numericNS0_10empty_typeEEEZZNS1_27merge_sort_block_merge_implIS3_N6thrust23THRUST_200600_302600_NS6detail15normal_iteratorINSA_10device_ptrIS5_EEEEPS6_m14custom_greaterIS5_EEE10hipError_tT0_T1_T2_jT3_P12ihipStream_tbPNSt15iterator_traitsISK_E10value_typeEPNSQ_ISL_E10value_typeEPSM_NS1_7vsmem_tEENKUlT_SK_SL_SM_E_clISF_PS5_SG_SG_EESJ_SZ_SK_SL_SM_EUlSZ_E_NS1_11comp_targetILNS1_3genE9ELNS1_11target_archE1100ELNS1_3gpuE3ELNS1_3repE0EEENS1_48merge_mergepath_partition_config_static_selectorELNS0_4arch9wavefront6targetE1EEEvSL_,comdat
	.protected	_ZN7rocprim17ROCPRIM_400000_NS6detail17trampoline_kernelINS0_14default_configENS1_38merge_sort_block_merge_config_selectorI14custom_numericNS0_10empty_typeEEEZZNS1_27merge_sort_block_merge_implIS3_N6thrust23THRUST_200600_302600_NS6detail15normal_iteratorINSA_10device_ptrIS5_EEEEPS6_m14custom_greaterIS5_EEE10hipError_tT0_T1_T2_jT3_P12ihipStream_tbPNSt15iterator_traitsISK_E10value_typeEPNSQ_ISL_E10value_typeEPSM_NS1_7vsmem_tEENKUlT_SK_SL_SM_E_clISF_PS5_SG_SG_EESJ_SZ_SK_SL_SM_EUlSZ_E_NS1_11comp_targetILNS1_3genE9ELNS1_11target_archE1100ELNS1_3gpuE3ELNS1_3repE0EEENS1_48merge_mergepath_partition_config_static_selectorELNS0_4arch9wavefront6targetE1EEEvSL_ ; -- Begin function _ZN7rocprim17ROCPRIM_400000_NS6detail17trampoline_kernelINS0_14default_configENS1_38merge_sort_block_merge_config_selectorI14custom_numericNS0_10empty_typeEEEZZNS1_27merge_sort_block_merge_implIS3_N6thrust23THRUST_200600_302600_NS6detail15normal_iteratorINSA_10device_ptrIS5_EEEEPS6_m14custom_greaterIS5_EEE10hipError_tT0_T1_T2_jT3_P12ihipStream_tbPNSt15iterator_traitsISK_E10value_typeEPNSQ_ISL_E10value_typeEPSM_NS1_7vsmem_tEENKUlT_SK_SL_SM_E_clISF_PS5_SG_SG_EESJ_SZ_SK_SL_SM_EUlSZ_E_NS1_11comp_targetILNS1_3genE9ELNS1_11target_archE1100ELNS1_3gpuE3ELNS1_3repE0EEENS1_48merge_mergepath_partition_config_static_selectorELNS0_4arch9wavefront6targetE1EEEvSL_
	.globl	_ZN7rocprim17ROCPRIM_400000_NS6detail17trampoline_kernelINS0_14default_configENS1_38merge_sort_block_merge_config_selectorI14custom_numericNS0_10empty_typeEEEZZNS1_27merge_sort_block_merge_implIS3_N6thrust23THRUST_200600_302600_NS6detail15normal_iteratorINSA_10device_ptrIS5_EEEEPS6_m14custom_greaterIS5_EEE10hipError_tT0_T1_T2_jT3_P12ihipStream_tbPNSt15iterator_traitsISK_E10value_typeEPNSQ_ISL_E10value_typeEPSM_NS1_7vsmem_tEENKUlT_SK_SL_SM_E_clISF_PS5_SG_SG_EESJ_SZ_SK_SL_SM_EUlSZ_E_NS1_11comp_targetILNS1_3genE9ELNS1_11target_archE1100ELNS1_3gpuE3ELNS1_3repE0EEENS1_48merge_mergepath_partition_config_static_selectorELNS0_4arch9wavefront6targetE1EEEvSL_
	.p2align	8
	.type	_ZN7rocprim17ROCPRIM_400000_NS6detail17trampoline_kernelINS0_14default_configENS1_38merge_sort_block_merge_config_selectorI14custom_numericNS0_10empty_typeEEEZZNS1_27merge_sort_block_merge_implIS3_N6thrust23THRUST_200600_302600_NS6detail15normal_iteratorINSA_10device_ptrIS5_EEEEPS6_m14custom_greaterIS5_EEE10hipError_tT0_T1_T2_jT3_P12ihipStream_tbPNSt15iterator_traitsISK_E10value_typeEPNSQ_ISL_E10value_typeEPSM_NS1_7vsmem_tEENKUlT_SK_SL_SM_E_clISF_PS5_SG_SG_EESJ_SZ_SK_SL_SM_EUlSZ_E_NS1_11comp_targetILNS1_3genE9ELNS1_11target_archE1100ELNS1_3gpuE3ELNS1_3repE0EEENS1_48merge_mergepath_partition_config_static_selectorELNS0_4arch9wavefront6targetE1EEEvSL_,@function
_ZN7rocprim17ROCPRIM_400000_NS6detail17trampoline_kernelINS0_14default_configENS1_38merge_sort_block_merge_config_selectorI14custom_numericNS0_10empty_typeEEEZZNS1_27merge_sort_block_merge_implIS3_N6thrust23THRUST_200600_302600_NS6detail15normal_iteratorINSA_10device_ptrIS5_EEEEPS6_m14custom_greaterIS5_EEE10hipError_tT0_T1_T2_jT3_P12ihipStream_tbPNSt15iterator_traitsISK_E10value_typeEPNSQ_ISL_E10value_typeEPSM_NS1_7vsmem_tEENKUlT_SK_SL_SM_E_clISF_PS5_SG_SG_EESJ_SZ_SK_SL_SM_EUlSZ_E_NS1_11comp_targetILNS1_3genE9ELNS1_11target_archE1100ELNS1_3gpuE3ELNS1_3repE0EEENS1_48merge_mergepath_partition_config_static_selectorELNS0_4arch9wavefront6targetE1EEEvSL_: ; @_ZN7rocprim17ROCPRIM_400000_NS6detail17trampoline_kernelINS0_14default_configENS1_38merge_sort_block_merge_config_selectorI14custom_numericNS0_10empty_typeEEEZZNS1_27merge_sort_block_merge_implIS3_N6thrust23THRUST_200600_302600_NS6detail15normal_iteratorINSA_10device_ptrIS5_EEEEPS6_m14custom_greaterIS5_EEE10hipError_tT0_T1_T2_jT3_P12ihipStream_tbPNSt15iterator_traitsISK_E10value_typeEPNSQ_ISL_E10value_typeEPSM_NS1_7vsmem_tEENKUlT_SK_SL_SM_E_clISF_PS5_SG_SG_EESJ_SZ_SK_SL_SM_EUlSZ_E_NS1_11comp_targetILNS1_3genE9ELNS1_11target_archE1100ELNS1_3gpuE3ELNS1_3repE0EEENS1_48merge_mergepath_partition_config_static_selectorELNS0_4arch9wavefront6targetE1EEEvSL_
; %bb.0:
	.section	.rodata,"a",@progbits
	.p2align	6, 0x0
	.amdhsa_kernel _ZN7rocprim17ROCPRIM_400000_NS6detail17trampoline_kernelINS0_14default_configENS1_38merge_sort_block_merge_config_selectorI14custom_numericNS0_10empty_typeEEEZZNS1_27merge_sort_block_merge_implIS3_N6thrust23THRUST_200600_302600_NS6detail15normal_iteratorINSA_10device_ptrIS5_EEEEPS6_m14custom_greaterIS5_EEE10hipError_tT0_T1_T2_jT3_P12ihipStream_tbPNSt15iterator_traitsISK_E10value_typeEPNSQ_ISL_E10value_typeEPSM_NS1_7vsmem_tEENKUlT_SK_SL_SM_E_clISF_PS5_SG_SG_EESJ_SZ_SK_SL_SM_EUlSZ_E_NS1_11comp_targetILNS1_3genE9ELNS1_11target_archE1100ELNS1_3gpuE3ELNS1_3repE0EEENS1_48merge_mergepath_partition_config_static_selectorELNS0_4arch9wavefront6targetE1EEEvSL_
		.amdhsa_group_segment_fixed_size 0
		.amdhsa_private_segment_fixed_size 0
		.amdhsa_kernarg_size 48
		.amdhsa_user_sgpr_count 6
		.amdhsa_user_sgpr_private_segment_buffer 1
		.amdhsa_user_sgpr_dispatch_ptr 0
		.amdhsa_user_sgpr_queue_ptr 0
		.amdhsa_user_sgpr_kernarg_segment_ptr 1
		.amdhsa_user_sgpr_dispatch_id 0
		.amdhsa_user_sgpr_flat_scratch_init 0
		.amdhsa_user_sgpr_kernarg_preload_length 0
		.amdhsa_user_sgpr_kernarg_preload_offset 0
		.amdhsa_user_sgpr_private_segment_size 0
		.amdhsa_uses_dynamic_stack 0
		.amdhsa_system_sgpr_private_segment_wavefront_offset 0
		.amdhsa_system_sgpr_workgroup_id_x 1
		.amdhsa_system_sgpr_workgroup_id_y 0
		.amdhsa_system_sgpr_workgroup_id_z 0
		.amdhsa_system_sgpr_workgroup_info 0
		.amdhsa_system_vgpr_workitem_id 0
		.amdhsa_next_free_vgpr 1
		.amdhsa_next_free_sgpr 0
		.amdhsa_accum_offset 4
		.amdhsa_reserve_vcc 0
		.amdhsa_reserve_flat_scratch 0
		.amdhsa_float_round_mode_32 0
		.amdhsa_float_round_mode_16_64 0
		.amdhsa_float_denorm_mode_32 3
		.amdhsa_float_denorm_mode_16_64 3
		.amdhsa_dx10_clamp 1
		.amdhsa_ieee_mode 1
		.amdhsa_fp16_overflow 0
		.amdhsa_tg_split 0
		.amdhsa_exception_fp_ieee_invalid_op 0
		.amdhsa_exception_fp_denorm_src 0
		.amdhsa_exception_fp_ieee_div_zero 0
		.amdhsa_exception_fp_ieee_overflow 0
		.amdhsa_exception_fp_ieee_underflow 0
		.amdhsa_exception_fp_ieee_inexact 0
		.amdhsa_exception_int_div_zero 0
	.end_amdhsa_kernel
	.section	.text._ZN7rocprim17ROCPRIM_400000_NS6detail17trampoline_kernelINS0_14default_configENS1_38merge_sort_block_merge_config_selectorI14custom_numericNS0_10empty_typeEEEZZNS1_27merge_sort_block_merge_implIS3_N6thrust23THRUST_200600_302600_NS6detail15normal_iteratorINSA_10device_ptrIS5_EEEEPS6_m14custom_greaterIS5_EEE10hipError_tT0_T1_T2_jT3_P12ihipStream_tbPNSt15iterator_traitsISK_E10value_typeEPNSQ_ISL_E10value_typeEPSM_NS1_7vsmem_tEENKUlT_SK_SL_SM_E_clISF_PS5_SG_SG_EESJ_SZ_SK_SL_SM_EUlSZ_E_NS1_11comp_targetILNS1_3genE9ELNS1_11target_archE1100ELNS1_3gpuE3ELNS1_3repE0EEENS1_48merge_mergepath_partition_config_static_selectorELNS0_4arch9wavefront6targetE1EEEvSL_,"axG",@progbits,_ZN7rocprim17ROCPRIM_400000_NS6detail17trampoline_kernelINS0_14default_configENS1_38merge_sort_block_merge_config_selectorI14custom_numericNS0_10empty_typeEEEZZNS1_27merge_sort_block_merge_implIS3_N6thrust23THRUST_200600_302600_NS6detail15normal_iteratorINSA_10device_ptrIS5_EEEEPS6_m14custom_greaterIS5_EEE10hipError_tT0_T1_T2_jT3_P12ihipStream_tbPNSt15iterator_traitsISK_E10value_typeEPNSQ_ISL_E10value_typeEPSM_NS1_7vsmem_tEENKUlT_SK_SL_SM_E_clISF_PS5_SG_SG_EESJ_SZ_SK_SL_SM_EUlSZ_E_NS1_11comp_targetILNS1_3genE9ELNS1_11target_archE1100ELNS1_3gpuE3ELNS1_3repE0EEENS1_48merge_mergepath_partition_config_static_selectorELNS0_4arch9wavefront6targetE1EEEvSL_,comdat
.Lfunc_end3709:
	.size	_ZN7rocprim17ROCPRIM_400000_NS6detail17trampoline_kernelINS0_14default_configENS1_38merge_sort_block_merge_config_selectorI14custom_numericNS0_10empty_typeEEEZZNS1_27merge_sort_block_merge_implIS3_N6thrust23THRUST_200600_302600_NS6detail15normal_iteratorINSA_10device_ptrIS5_EEEEPS6_m14custom_greaterIS5_EEE10hipError_tT0_T1_T2_jT3_P12ihipStream_tbPNSt15iterator_traitsISK_E10value_typeEPNSQ_ISL_E10value_typeEPSM_NS1_7vsmem_tEENKUlT_SK_SL_SM_E_clISF_PS5_SG_SG_EESJ_SZ_SK_SL_SM_EUlSZ_E_NS1_11comp_targetILNS1_3genE9ELNS1_11target_archE1100ELNS1_3gpuE3ELNS1_3repE0EEENS1_48merge_mergepath_partition_config_static_selectorELNS0_4arch9wavefront6targetE1EEEvSL_, .Lfunc_end3709-_ZN7rocprim17ROCPRIM_400000_NS6detail17trampoline_kernelINS0_14default_configENS1_38merge_sort_block_merge_config_selectorI14custom_numericNS0_10empty_typeEEEZZNS1_27merge_sort_block_merge_implIS3_N6thrust23THRUST_200600_302600_NS6detail15normal_iteratorINSA_10device_ptrIS5_EEEEPS6_m14custom_greaterIS5_EEE10hipError_tT0_T1_T2_jT3_P12ihipStream_tbPNSt15iterator_traitsISK_E10value_typeEPNSQ_ISL_E10value_typeEPSM_NS1_7vsmem_tEENKUlT_SK_SL_SM_E_clISF_PS5_SG_SG_EESJ_SZ_SK_SL_SM_EUlSZ_E_NS1_11comp_targetILNS1_3genE9ELNS1_11target_archE1100ELNS1_3gpuE3ELNS1_3repE0EEENS1_48merge_mergepath_partition_config_static_selectorELNS0_4arch9wavefront6targetE1EEEvSL_
                                        ; -- End function
	.section	.AMDGPU.csdata,"",@progbits
; Kernel info:
; codeLenInByte = 0
; NumSgprs: 4
; NumVgprs: 0
; NumAgprs: 0
; TotalNumVgprs: 0
; ScratchSize: 0
; MemoryBound: 0
; FloatMode: 240
; IeeeMode: 1
; LDSByteSize: 0 bytes/workgroup (compile time only)
; SGPRBlocks: 0
; VGPRBlocks: 0
; NumSGPRsForWavesPerEU: 4
; NumVGPRsForWavesPerEU: 1
; AccumOffset: 4
; Occupancy: 8
; WaveLimiterHint : 0
; COMPUTE_PGM_RSRC2:SCRATCH_EN: 0
; COMPUTE_PGM_RSRC2:USER_SGPR: 6
; COMPUTE_PGM_RSRC2:TRAP_HANDLER: 0
; COMPUTE_PGM_RSRC2:TGID_X_EN: 1
; COMPUTE_PGM_RSRC2:TGID_Y_EN: 0
; COMPUTE_PGM_RSRC2:TGID_Z_EN: 0
; COMPUTE_PGM_RSRC2:TIDIG_COMP_CNT: 0
; COMPUTE_PGM_RSRC3_GFX90A:ACCUM_OFFSET: 0
; COMPUTE_PGM_RSRC3_GFX90A:TG_SPLIT: 0
	.section	.text._ZN7rocprim17ROCPRIM_400000_NS6detail17trampoline_kernelINS0_14default_configENS1_38merge_sort_block_merge_config_selectorI14custom_numericNS0_10empty_typeEEEZZNS1_27merge_sort_block_merge_implIS3_N6thrust23THRUST_200600_302600_NS6detail15normal_iteratorINSA_10device_ptrIS5_EEEEPS6_m14custom_greaterIS5_EEE10hipError_tT0_T1_T2_jT3_P12ihipStream_tbPNSt15iterator_traitsISK_E10value_typeEPNSQ_ISL_E10value_typeEPSM_NS1_7vsmem_tEENKUlT_SK_SL_SM_E_clISF_PS5_SG_SG_EESJ_SZ_SK_SL_SM_EUlSZ_E_NS1_11comp_targetILNS1_3genE8ELNS1_11target_archE1030ELNS1_3gpuE2ELNS1_3repE0EEENS1_48merge_mergepath_partition_config_static_selectorELNS0_4arch9wavefront6targetE1EEEvSL_,"axG",@progbits,_ZN7rocprim17ROCPRIM_400000_NS6detail17trampoline_kernelINS0_14default_configENS1_38merge_sort_block_merge_config_selectorI14custom_numericNS0_10empty_typeEEEZZNS1_27merge_sort_block_merge_implIS3_N6thrust23THRUST_200600_302600_NS6detail15normal_iteratorINSA_10device_ptrIS5_EEEEPS6_m14custom_greaterIS5_EEE10hipError_tT0_T1_T2_jT3_P12ihipStream_tbPNSt15iterator_traitsISK_E10value_typeEPNSQ_ISL_E10value_typeEPSM_NS1_7vsmem_tEENKUlT_SK_SL_SM_E_clISF_PS5_SG_SG_EESJ_SZ_SK_SL_SM_EUlSZ_E_NS1_11comp_targetILNS1_3genE8ELNS1_11target_archE1030ELNS1_3gpuE2ELNS1_3repE0EEENS1_48merge_mergepath_partition_config_static_selectorELNS0_4arch9wavefront6targetE1EEEvSL_,comdat
	.protected	_ZN7rocprim17ROCPRIM_400000_NS6detail17trampoline_kernelINS0_14default_configENS1_38merge_sort_block_merge_config_selectorI14custom_numericNS0_10empty_typeEEEZZNS1_27merge_sort_block_merge_implIS3_N6thrust23THRUST_200600_302600_NS6detail15normal_iteratorINSA_10device_ptrIS5_EEEEPS6_m14custom_greaterIS5_EEE10hipError_tT0_T1_T2_jT3_P12ihipStream_tbPNSt15iterator_traitsISK_E10value_typeEPNSQ_ISL_E10value_typeEPSM_NS1_7vsmem_tEENKUlT_SK_SL_SM_E_clISF_PS5_SG_SG_EESJ_SZ_SK_SL_SM_EUlSZ_E_NS1_11comp_targetILNS1_3genE8ELNS1_11target_archE1030ELNS1_3gpuE2ELNS1_3repE0EEENS1_48merge_mergepath_partition_config_static_selectorELNS0_4arch9wavefront6targetE1EEEvSL_ ; -- Begin function _ZN7rocprim17ROCPRIM_400000_NS6detail17trampoline_kernelINS0_14default_configENS1_38merge_sort_block_merge_config_selectorI14custom_numericNS0_10empty_typeEEEZZNS1_27merge_sort_block_merge_implIS3_N6thrust23THRUST_200600_302600_NS6detail15normal_iteratorINSA_10device_ptrIS5_EEEEPS6_m14custom_greaterIS5_EEE10hipError_tT0_T1_T2_jT3_P12ihipStream_tbPNSt15iterator_traitsISK_E10value_typeEPNSQ_ISL_E10value_typeEPSM_NS1_7vsmem_tEENKUlT_SK_SL_SM_E_clISF_PS5_SG_SG_EESJ_SZ_SK_SL_SM_EUlSZ_E_NS1_11comp_targetILNS1_3genE8ELNS1_11target_archE1030ELNS1_3gpuE2ELNS1_3repE0EEENS1_48merge_mergepath_partition_config_static_selectorELNS0_4arch9wavefront6targetE1EEEvSL_
	.globl	_ZN7rocprim17ROCPRIM_400000_NS6detail17trampoline_kernelINS0_14default_configENS1_38merge_sort_block_merge_config_selectorI14custom_numericNS0_10empty_typeEEEZZNS1_27merge_sort_block_merge_implIS3_N6thrust23THRUST_200600_302600_NS6detail15normal_iteratorINSA_10device_ptrIS5_EEEEPS6_m14custom_greaterIS5_EEE10hipError_tT0_T1_T2_jT3_P12ihipStream_tbPNSt15iterator_traitsISK_E10value_typeEPNSQ_ISL_E10value_typeEPSM_NS1_7vsmem_tEENKUlT_SK_SL_SM_E_clISF_PS5_SG_SG_EESJ_SZ_SK_SL_SM_EUlSZ_E_NS1_11comp_targetILNS1_3genE8ELNS1_11target_archE1030ELNS1_3gpuE2ELNS1_3repE0EEENS1_48merge_mergepath_partition_config_static_selectorELNS0_4arch9wavefront6targetE1EEEvSL_
	.p2align	8
	.type	_ZN7rocprim17ROCPRIM_400000_NS6detail17trampoline_kernelINS0_14default_configENS1_38merge_sort_block_merge_config_selectorI14custom_numericNS0_10empty_typeEEEZZNS1_27merge_sort_block_merge_implIS3_N6thrust23THRUST_200600_302600_NS6detail15normal_iteratorINSA_10device_ptrIS5_EEEEPS6_m14custom_greaterIS5_EEE10hipError_tT0_T1_T2_jT3_P12ihipStream_tbPNSt15iterator_traitsISK_E10value_typeEPNSQ_ISL_E10value_typeEPSM_NS1_7vsmem_tEENKUlT_SK_SL_SM_E_clISF_PS5_SG_SG_EESJ_SZ_SK_SL_SM_EUlSZ_E_NS1_11comp_targetILNS1_3genE8ELNS1_11target_archE1030ELNS1_3gpuE2ELNS1_3repE0EEENS1_48merge_mergepath_partition_config_static_selectorELNS0_4arch9wavefront6targetE1EEEvSL_,@function
_ZN7rocprim17ROCPRIM_400000_NS6detail17trampoline_kernelINS0_14default_configENS1_38merge_sort_block_merge_config_selectorI14custom_numericNS0_10empty_typeEEEZZNS1_27merge_sort_block_merge_implIS3_N6thrust23THRUST_200600_302600_NS6detail15normal_iteratorINSA_10device_ptrIS5_EEEEPS6_m14custom_greaterIS5_EEE10hipError_tT0_T1_T2_jT3_P12ihipStream_tbPNSt15iterator_traitsISK_E10value_typeEPNSQ_ISL_E10value_typeEPSM_NS1_7vsmem_tEENKUlT_SK_SL_SM_E_clISF_PS5_SG_SG_EESJ_SZ_SK_SL_SM_EUlSZ_E_NS1_11comp_targetILNS1_3genE8ELNS1_11target_archE1030ELNS1_3gpuE2ELNS1_3repE0EEENS1_48merge_mergepath_partition_config_static_selectorELNS0_4arch9wavefront6targetE1EEEvSL_: ; @_ZN7rocprim17ROCPRIM_400000_NS6detail17trampoline_kernelINS0_14default_configENS1_38merge_sort_block_merge_config_selectorI14custom_numericNS0_10empty_typeEEEZZNS1_27merge_sort_block_merge_implIS3_N6thrust23THRUST_200600_302600_NS6detail15normal_iteratorINSA_10device_ptrIS5_EEEEPS6_m14custom_greaterIS5_EEE10hipError_tT0_T1_T2_jT3_P12ihipStream_tbPNSt15iterator_traitsISK_E10value_typeEPNSQ_ISL_E10value_typeEPSM_NS1_7vsmem_tEENKUlT_SK_SL_SM_E_clISF_PS5_SG_SG_EESJ_SZ_SK_SL_SM_EUlSZ_E_NS1_11comp_targetILNS1_3genE8ELNS1_11target_archE1030ELNS1_3gpuE2ELNS1_3repE0EEENS1_48merge_mergepath_partition_config_static_selectorELNS0_4arch9wavefront6targetE1EEEvSL_
; %bb.0:
	.section	.rodata,"a",@progbits
	.p2align	6, 0x0
	.amdhsa_kernel _ZN7rocprim17ROCPRIM_400000_NS6detail17trampoline_kernelINS0_14default_configENS1_38merge_sort_block_merge_config_selectorI14custom_numericNS0_10empty_typeEEEZZNS1_27merge_sort_block_merge_implIS3_N6thrust23THRUST_200600_302600_NS6detail15normal_iteratorINSA_10device_ptrIS5_EEEEPS6_m14custom_greaterIS5_EEE10hipError_tT0_T1_T2_jT3_P12ihipStream_tbPNSt15iterator_traitsISK_E10value_typeEPNSQ_ISL_E10value_typeEPSM_NS1_7vsmem_tEENKUlT_SK_SL_SM_E_clISF_PS5_SG_SG_EESJ_SZ_SK_SL_SM_EUlSZ_E_NS1_11comp_targetILNS1_3genE8ELNS1_11target_archE1030ELNS1_3gpuE2ELNS1_3repE0EEENS1_48merge_mergepath_partition_config_static_selectorELNS0_4arch9wavefront6targetE1EEEvSL_
		.amdhsa_group_segment_fixed_size 0
		.amdhsa_private_segment_fixed_size 0
		.amdhsa_kernarg_size 48
		.amdhsa_user_sgpr_count 6
		.amdhsa_user_sgpr_private_segment_buffer 1
		.amdhsa_user_sgpr_dispatch_ptr 0
		.amdhsa_user_sgpr_queue_ptr 0
		.amdhsa_user_sgpr_kernarg_segment_ptr 1
		.amdhsa_user_sgpr_dispatch_id 0
		.amdhsa_user_sgpr_flat_scratch_init 0
		.amdhsa_user_sgpr_kernarg_preload_length 0
		.amdhsa_user_sgpr_kernarg_preload_offset 0
		.amdhsa_user_sgpr_private_segment_size 0
		.amdhsa_uses_dynamic_stack 0
		.amdhsa_system_sgpr_private_segment_wavefront_offset 0
		.amdhsa_system_sgpr_workgroup_id_x 1
		.amdhsa_system_sgpr_workgroup_id_y 0
		.amdhsa_system_sgpr_workgroup_id_z 0
		.amdhsa_system_sgpr_workgroup_info 0
		.amdhsa_system_vgpr_workitem_id 0
		.amdhsa_next_free_vgpr 1
		.amdhsa_next_free_sgpr 0
		.amdhsa_accum_offset 4
		.amdhsa_reserve_vcc 0
		.amdhsa_reserve_flat_scratch 0
		.amdhsa_float_round_mode_32 0
		.amdhsa_float_round_mode_16_64 0
		.amdhsa_float_denorm_mode_32 3
		.amdhsa_float_denorm_mode_16_64 3
		.amdhsa_dx10_clamp 1
		.amdhsa_ieee_mode 1
		.amdhsa_fp16_overflow 0
		.amdhsa_tg_split 0
		.amdhsa_exception_fp_ieee_invalid_op 0
		.amdhsa_exception_fp_denorm_src 0
		.amdhsa_exception_fp_ieee_div_zero 0
		.amdhsa_exception_fp_ieee_overflow 0
		.amdhsa_exception_fp_ieee_underflow 0
		.amdhsa_exception_fp_ieee_inexact 0
		.amdhsa_exception_int_div_zero 0
	.end_amdhsa_kernel
	.section	.text._ZN7rocprim17ROCPRIM_400000_NS6detail17trampoline_kernelINS0_14default_configENS1_38merge_sort_block_merge_config_selectorI14custom_numericNS0_10empty_typeEEEZZNS1_27merge_sort_block_merge_implIS3_N6thrust23THRUST_200600_302600_NS6detail15normal_iteratorINSA_10device_ptrIS5_EEEEPS6_m14custom_greaterIS5_EEE10hipError_tT0_T1_T2_jT3_P12ihipStream_tbPNSt15iterator_traitsISK_E10value_typeEPNSQ_ISL_E10value_typeEPSM_NS1_7vsmem_tEENKUlT_SK_SL_SM_E_clISF_PS5_SG_SG_EESJ_SZ_SK_SL_SM_EUlSZ_E_NS1_11comp_targetILNS1_3genE8ELNS1_11target_archE1030ELNS1_3gpuE2ELNS1_3repE0EEENS1_48merge_mergepath_partition_config_static_selectorELNS0_4arch9wavefront6targetE1EEEvSL_,"axG",@progbits,_ZN7rocprim17ROCPRIM_400000_NS6detail17trampoline_kernelINS0_14default_configENS1_38merge_sort_block_merge_config_selectorI14custom_numericNS0_10empty_typeEEEZZNS1_27merge_sort_block_merge_implIS3_N6thrust23THRUST_200600_302600_NS6detail15normal_iteratorINSA_10device_ptrIS5_EEEEPS6_m14custom_greaterIS5_EEE10hipError_tT0_T1_T2_jT3_P12ihipStream_tbPNSt15iterator_traitsISK_E10value_typeEPNSQ_ISL_E10value_typeEPSM_NS1_7vsmem_tEENKUlT_SK_SL_SM_E_clISF_PS5_SG_SG_EESJ_SZ_SK_SL_SM_EUlSZ_E_NS1_11comp_targetILNS1_3genE8ELNS1_11target_archE1030ELNS1_3gpuE2ELNS1_3repE0EEENS1_48merge_mergepath_partition_config_static_selectorELNS0_4arch9wavefront6targetE1EEEvSL_,comdat
.Lfunc_end3710:
	.size	_ZN7rocprim17ROCPRIM_400000_NS6detail17trampoline_kernelINS0_14default_configENS1_38merge_sort_block_merge_config_selectorI14custom_numericNS0_10empty_typeEEEZZNS1_27merge_sort_block_merge_implIS3_N6thrust23THRUST_200600_302600_NS6detail15normal_iteratorINSA_10device_ptrIS5_EEEEPS6_m14custom_greaterIS5_EEE10hipError_tT0_T1_T2_jT3_P12ihipStream_tbPNSt15iterator_traitsISK_E10value_typeEPNSQ_ISL_E10value_typeEPSM_NS1_7vsmem_tEENKUlT_SK_SL_SM_E_clISF_PS5_SG_SG_EESJ_SZ_SK_SL_SM_EUlSZ_E_NS1_11comp_targetILNS1_3genE8ELNS1_11target_archE1030ELNS1_3gpuE2ELNS1_3repE0EEENS1_48merge_mergepath_partition_config_static_selectorELNS0_4arch9wavefront6targetE1EEEvSL_, .Lfunc_end3710-_ZN7rocprim17ROCPRIM_400000_NS6detail17trampoline_kernelINS0_14default_configENS1_38merge_sort_block_merge_config_selectorI14custom_numericNS0_10empty_typeEEEZZNS1_27merge_sort_block_merge_implIS3_N6thrust23THRUST_200600_302600_NS6detail15normal_iteratorINSA_10device_ptrIS5_EEEEPS6_m14custom_greaterIS5_EEE10hipError_tT0_T1_T2_jT3_P12ihipStream_tbPNSt15iterator_traitsISK_E10value_typeEPNSQ_ISL_E10value_typeEPSM_NS1_7vsmem_tEENKUlT_SK_SL_SM_E_clISF_PS5_SG_SG_EESJ_SZ_SK_SL_SM_EUlSZ_E_NS1_11comp_targetILNS1_3genE8ELNS1_11target_archE1030ELNS1_3gpuE2ELNS1_3repE0EEENS1_48merge_mergepath_partition_config_static_selectorELNS0_4arch9wavefront6targetE1EEEvSL_
                                        ; -- End function
	.section	.AMDGPU.csdata,"",@progbits
; Kernel info:
; codeLenInByte = 0
; NumSgprs: 4
; NumVgprs: 0
; NumAgprs: 0
; TotalNumVgprs: 0
; ScratchSize: 0
; MemoryBound: 0
; FloatMode: 240
; IeeeMode: 1
; LDSByteSize: 0 bytes/workgroup (compile time only)
; SGPRBlocks: 0
; VGPRBlocks: 0
; NumSGPRsForWavesPerEU: 4
; NumVGPRsForWavesPerEU: 1
; AccumOffset: 4
; Occupancy: 8
; WaveLimiterHint : 0
; COMPUTE_PGM_RSRC2:SCRATCH_EN: 0
; COMPUTE_PGM_RSRC2:USER_SGPR: 6
; COMPUTE_PGM_RSRC2:TRAP_HANDLER: 0
; COMPUTE_PGM_RSRC2:TGID_X_EN: 1
; COMPUTE_PGM_RSRC2:TGID_Y_EN: 0
; COMPUTE_PGM_RSRC2:TGID_Z_EN: 0
; COMPUTE_PGM_RSRC2:TIDIG_COMP_CNT: 0
; COMPUTE_PGM_RSRC3_GFX90A:ACCUM_OFFSET: 0
; COMPUTE_PGM_RSRC3_GFX90A:TG_SPLIT: 0
	.section	.text._ZN7rocprim17ROCPRIM_400000_NS6detail17trampoline_kernelINS0_14default_configENS1_38merge_sort_block_merge_config_selectorI14custom_numericNS0_10empty_typeEEEZZNS1_27merge_sort_block_merge_implIS3_N6thrust23THRUST_200600_302600_NS6detail15normal_iteratorINSA_10device_ptrIS5_EEEEPS6_m14custom_greaterIS5_EEE10hipError_tT0_T1_T2_jT3_P12ihipStream_tbPNSt15iterator_traitsISK_E10value_typeEPNSQ_ISL_E10value_typeEPSM_NS1_7vsmem_tEENKUlT_SK_SL_SM_E_clISF_PS5_SG_SG_EESJ_SZ_SK_SL_SM_EUlSZ_E0_NS1_11comp_targetILNS1_3genE0ELNS1_11target_archE4294967295ELNS1_3gpuE0ELNS1_3repE0EEENS1_38merge_mergepath_config_static_selectorELNS0_4arch9wavefront6targetE1EEEvSL_,"axG",@progbits,_ZN7rocprim17ROCPRIM_400000_NS6detail17trampoline_kernelINS0_14default_configENS1_38merge_sort_block_merge_config_selectorI14custom_numericNS0_10empty_typeEEEZZNS1_27merge_sort_block_merge_implIS3_N6thrust23THRUST_200600_302600_NS6detail15normal_iteratorINSA_10device_ptrIS5_EEEEPS6_m14custom_greaterIS5_EEE10hipError_tT0_T1_T2_jT3_P12ihipStream_tbPNSt15iterator_traitsISK_E10value_typeEPNSQ_ISL_E10value_typeEPSM_NS1_7vsmem_tEENKUlT_SK_SL_SM_E_clISF_PS5_SG_SG_EESJ_SZ_SK_SL_SM_EUlSZ_E0_NS1_11comp_targetILNS1_3genE0ELNS1_11target_archE4294967295ELNS1_3gpuE0ELNS1_3repE0EEENS1_38merge_mergepath_config_static_selectorELNS0_4arch9wavefront6targetE1EEEvSL_,comdat
	.protected	_ZN7rocprim17ROCPRIM_400000_NS6detail17trampoline_kernelINS0_14default_configENS1_38merge_sort_block_merge_config_selectorI14custom_numericNS0_10empty_typeEEEZZNS1_27merge_sort_block_merge_implIS3_N6thrust23THRUST_200600_302600_NS6detail15normal_iteratorINSA_10device_ptrIS5_EEEEPS6_m14custom_greaterIS5_EEE10hipError_tT0_T1_T2_jT3_P12ihipStream_tbPNSt15iterator_traitsISK_E10value_typeEPNSQ_ISL_E10value_typeEPSM_NS1_7vsmem_tEENKUlT_SK_SL_SM_E_clISF_PS5_SG_SG_EESJ_SZ_SK_SL_SM_EUlSZ_E0_NS1_11comp_targetILNS1_3genE0ELNS1_11target_archE4294967295ELNS1_3gpuE0ELNS1_3repE0EEENS1_38merge_mergepath_config_static_selectorELNS0_4arch9wavefront6targetE1EEEvSL_ ; -- Begin function _ZN7rocprim17ROCPRIM_400000_NS6detail17trampoline_kernelINS0_14default_configENS1_38merge_sort_block_merge_config_selectorI14custom_numericNS0_10empty_typeEEEZZNS1_27merge_sort_block_merge_implIS3_N6thrust23THRUST_200600_302600_NS6detail15normal_iteratorINSA_10device_ptrIS5_EEEEPS6_m14custom_greaterIS5_EEE10hipError_tT0_T1_T2_jT3_P12ihipStream_tbPNSt15iterator_traitsISK_E10value_typeEPNSQ_ISL_E10value_typeEPSM_NS1_7vsmem_tEENKUlT_SK_SL_SM_E_clISF_PS5_SG_SG_EESJ_SZ_SK_SL_SM_EUlSZ_E0_NS1_11comp_targetILNS1_3genE0ELNS1_11target_archE4294967295ELNS1_3gpuE0ELNS1_3repE0EEENS1_38merge_mergepath_config_static_selectorELNS0_4arch9wavefront6targetE1EEEvSL_
	.globl	_ZN7rocprim17ROCPRIM_400000_NS6detail17trampoline_kernelINS0_14default_configENS1_38merge_sort_block_merge_config_selectorI14custom_numericNS0_10empty_typeEEEZZNS1_27merge_sort_block_merge_implIS3_N6thrust23THRUST_200600_302600_NS6detail15normal_iteratorINSA_10device_ptrIS5_EEEEPS6_m14custom_greaterIS5_EEE10hipError_tT0_T1_T2_jT3_P12ihipStream_tbPNSt15iterator_traitsISK_E10value_typeEPNSQ_ISL_E10value_typeEPSM_NS1_7vsmem_tEENKUlT_SK_SL_SM_E_clISF_PS5_SG_SG_EESJ_SZ_SK_SL_SM_EUlSZ_E0_NS1_11comp_targetILNS1_3genE0ELNS1_11target_archE4294967295ELNS1_3gpuE0ELNS1_3repE0EEENS1_38merge_mergepath_config_static_selectorELNS0_4arch9wavefront6targetE1EEEvSL_
	.p2align	8
	.type	_ZN7rocprim17ROCPRIM_400000_NS6detail17trampoline_kernelINS0_14default_configENS1_38merge_sort_block_merge_config_selectorI14custom_numericNS0_10empty_typeEEEZZNS1_27merge_sort_block_merge_implIS3_N6thrust23THRUST_200600_302600_NS6detail15normal_iteratorINSA_10device_ptrIS5_EEEEPS6_m14custom_greaterIS5_EEE10hipError_tT0_T1_T2_jT3_P12ihipStream_tbPNSt15iterator_traitsISK_E10value_typeEPNSQ_ISL_E10value_typeEPSM_NS1_7vsmem_tEENKUlT_SK_SL_SM_E_clISF_PS5_SG_SG_EESJ_SZ_SK_SL_SM_EUlSZ_E0_NS1_11comp_targetILNS1_3genE0ELNS1_11target_archE4294967295ELNS1_3gpuE0ELNS1_3repE0EEENS1_38merge_mergepath_config_static_selectorELNS0_4arch9wavefront6targetE1EEEvSL_,@function
_ZN7rocprim17ROCPRIM_400000_NS6detail17trampoline_kernelINS0_14default_configENS1_38merge_sort_block_merge_config_selectorI14custom_numericNS0_10empty_typeEEEZZNS1_27merge_sort_block_merge_implIS3_N6thrust23THRUST_200600_302600_NS6detail15normal_iteratorINSA_10device_ptrIS5_EEEEPS6_m14custom_greaterIS5_EEE10hipError_tT0_T1_T2_jT3_P12ihipStream_tbPNSt15iterator_traitsISK_E10value_typeEPNSQ_ISL_E10value_typeEPSM_NS1_7vsmem_tEENKUlT_SK_SL_SM_E_clISF_PS5_SG_SG_EESJ_SZ_SK_SL_SM_EUlSZ_E0_NS1_11comp_targetILNS1_3genE0ELNS1_11target_archE4294967295ELNS1_3gpuE0ELNS1_3repE0EEENS1_38merge_mergepath_config_static_selectorELNS0_4arch9wavefront6targetE1EEEvSL_: ; @_ZN7rocprim17ROCPRIM_400000_NS6detail17trampoline_kernelINS0_14default_configENS1_38merge_sort_block_merge_config_selectorI14custom_numericNS0_10empty_typeEEEZZNS1_27merge_sort_block_merge_implIS3_N6thrust23THRUST_200600_302600_NS6detail15normal_iteratorINSA_10device_ptrIS5_EEEEPS6_m14custom_greaterIS5_EEE10hipError_tT0_T1_T2_jT3_P12ihipStream_tbPNSt15iterator_traitsISK_E10value_typeEPNSQ_ISL_E10value_typeEPSM_NS1_7vsmem_tEENKUlT_SK_SL_SM_E_clISF_PS5_SG_SG_EESJ_SZ_SK_SL_SM_EUlSZ_E0_NS1_11comp_targetILNS1_3genE0ELNS1_11target_archE4294967295ELNS1_3gpuE0ELNS1_3repE0EEENS1_38merge_mergepath_config_static_selectorELNS0_4arch9wavefront6targetE1EEEvSL_
; %bb.0:
	.section	.rodata,"a",@progbits
	.p2align	6, 0x0
	.amdhsa_kernel _ZN7rocprim17ROCPRIM_400000_NS6detail17trampoline_kernelINS0_14default_configENS1_38merge_sort_block_merge_config_selectorI14custom_numericNS0_10empty_typeEEEZZNS1_27merge_sort_block_merge_implIS3_N6thrust23THRUST_200600_302600_NS6detail15normal_iteratorINSA_10device_ptrIS5_EEEEPS6_m14custom_greaterIS5_EEE10hipError_tT0_T1_T2_jT3_P12ihipStream_tbPNSt15iterator_traitsISK_E10value_typeEPNSQ_ISL_E10value_typeEPSM_NS1_7vsmem_tEENKUlT_SK_SL_SM_E_clISF_PS5_SG_SG_EESJ_SZ_SK_SL_SM_EUlSZ_E0_NS1_11comp_targetILNS1_3genE0ELNS1_11target_archE4294967295ELNS1_3gpuE0ELNS1_3repE0EEENS1_38merge_mergepath_config_static_selectorELNS0_4arch9wavefront6targetE1EEEvSL_
		.amdhsa_group_segment_fixed_size 0
		.amdhsa_private_segment_fixed_size 0
		.amdhsa_kernarg_size 72
		.amdhsa_user_sgpr_count 6
		.amdhsa_user_sgpr_private_segment_buffer 1
		.amdhsa_user_sgpr_dispatch_ptr 0
		.amdhsa_user_sgpr_queue_ptr 0
		.amdhsa_user_sgpr_kernarg_segment_ptr 1
		.amdhsa_user_sgpr_dispatch_id 0
		.amdhsa_user_sgpr_flat_scratch_init 0
		.amdhsa_user_sgpr_kernarg_preload_length 0
		.amdhsa_user_sgpr_kernarg_preload_offset 0
		.amdhsa_user_sgpr_private_segment_size 0
		.amdhsa_uses_dynamic_stack 0
		.amdhsa_system_sgpr_private_segment_wavefront_offset 0
		.amdhsa_system_sgpr_workgroup_id_x 1
		.amdhsa_system_sgpr_workgroup_id_y 0
		.amdhsa_system_sgpr_workgroup_id_z 0
		.amdhsa_system_sgpr_workgroup_info 0
		.amdhsa_system_vgpr_workitem_id 0
		.amdhsa_next_free_vgpr 1
		.amdhsa_next_free_sgpr 0
		.amdhsa_accum_offset 4
		.amdhsa_reserve_vcc 0
		.amdhsa_reserve_flat_scratch 0
		.amdhsa_float_round_mode_32 0
		.amdhsa_float_round_mode_16_64 0
		.amdhsa_float_denorm_mode_32 3
		.amdhsa_float_denorm_mode_16_64 3
		.amdhsa_dx10_clamp 1
		.amdhsa_ieee_mode 1
		.amdhsa_fp16_overflow 0
		.amdhsa_tg_split 0
		.amdhsa_exception_fp_ieee_invalid_op 0
		.amdhsa_exception_fp_denorm_src 0
		.amdhsa_exception_fp_ieee_div_zero 0
		.amdhsa_exception_fp_ieee_overflow 0
		.amdhsa_exception_fp_ieee_underflow 0
		.amdhsa_exception_fp_ieee_inexact 0
		.amdhsa_exception_int_div_zero 0
	.end_amdhsa_kernel
	.section	.text._ZN7rocprim17ROCPRIM_400000_NS6detail17trampoline_kernelINS0_14default_configENS1_38merge_sort_block_merge_config_selectorI14custom_numericNS0_10empty_typeEEEZZNS1_27merge_sort_block_merge_implIS3_N6thrust23THRUST_200600_302600_NS6detail15normal_iteratorINSA_10device_ptrIS5_EEEEPS6_m14custom_greaterIS5_EEE10hipError_tT0_T1_T2_jT3_P12ihipStream_tbPNSt15iterator_traitsISK_E10value_typeEPNSQ_ISL_E10value_typeEPSM_NS1_7vsmem_tEENKUlT_SK_SL_SM_E_clISF_PS5_SG_SG_EESJ_SZ_SK_SL_SM_EUlSZ_E0_NS1_11comp_targetILNS1_3genE0ELNS1_11target_archE4294967295ELNS1_3gpuE0ELNS1_3repE0EEENS1_38merge_mergepath_config_static_selectorELNS0_4arch9wavefront6targetE1EEEvSL_,"axG",@progbits,_ZN7rocprim17ROCPRIM_400000_NS6detail17trampoline_kernelINS0_14default_configENS1_38merge_sort_block_merge_config_selectorI14custom_numericNS0_10empty_typeEEEZZNS1_27merge_sort_block_merge_implIS3_N6thrust23THRUST_200600_302600_NS6detail15normal_iteratorINSA_10device_ptrIS5_EEEEPS6_m14custom_greaterIS5_EEE10hipError_tT0_T1_T2_jT3_P12ihipStream_tbPNSt15iterator_traitsISK_E10value_typeEPNSQ_ISL_E10value_typeEPSM_NS1_7vsmem_tEENKUlT_SK_SL_SM_E_clISF_PS5_SG_SG_EESJ_SZ_SK_SL_SM_EUlSZ_E0_NS1_11comp_targetILNS1_3genE0ELNS1_11target_archE4294967295ELNS1_3gpuE0ELNS1_3repE0EEENS1_38merge_mergepath_config_static_selectorELNS0_4arch9wavefront6targetE1EEEvSL_,comdat
.Lfunc_end3711:
	.size	_ZN7rocprim17ROCPRIM_400000_NS6detail17trampoline_kernelINS0_14default_configENS1_38merge_sort_block_merge_config_selectorI14custom_numericNS0_10empty_typeEEEZZNS1_27merge_sort_block_merge_implIS3_N6thrust23THRUST_200600_302600_NS6detail15normal_iteratorINSA_10device_ptrIS5_EEEEPS6_m14custom_greaterIS5_EEE10hipError_tT0_T1_T2_jT3_P12ihipStream_tbPNSt15iterator_traitsISK_E10value_typeEPNSQ_ISL_E10value_typeEPSM_NS1_7vsmem_tEENKUlT_SK_SL_SM_E_clISF_PS5_SG_SG_EESJ_SZ_SK_SL_SM_EUlSZ_E0_NS1_11comp_targetILNS1_3genE0ELNS1_11target_archE4294967295ELNS1_3gpuE0ELNS1_3repE0EEENS1_38merge_mergepath_config_static_selectorELNS0_4arch9wavefront6targetE1EEEvSL_, .Lfunc_end3711-_ZN7rocprim17ROCPRIM_400000_NS6detail17trampoline_kernelINS0_14default_configENS1_38merge_sort_block_merge_config_selectorI14custom_numericNS0_10empty_typeEEEZZNS1_27merge_sort_block_merge_implIS3_N6thrust23THRUST_200600_302600_NS6detail15normal_iteratorINSA_10device_ptrIS5_EEEEPS6_m14custom_greaterIS5_EEE10hipError_tT0_T1_T2_jT3_P12ihipStream_tbPNSt15iterator_traitsISK_E10value_typeEPNSQ_ISL_E10value_typeEPSM_NS1_7vsmem_tEENKUlT_SK_SL_SM_E_clISF_PS5_SG_SG_EESJ_SZ_SK_SL_SM_EUlSZ_E0_NS1_11comp_targetILNS1_3genE0ELNS1_11target_archE4294967295ELNS1_3gpuE0ELNS1_3repE0EEENS1_38merge_mergepath_config_static_selectorELNS0_4arch9wavefront6targetE1EEEvSL_
                                        ; -- End function
	.section	.AMDGPU.csdata,"",@progbits
; Kernel info:
; codeLenInByte = 0
; NumSgprs: 4
; NumVgprs: 0
; NumAgprs: 0
; TotalNumVgprs: 0
; ScratchSize: 0
; MemoryBound: 0
; FloatMode: 240
; IeeeMode: 1
; LDSByteSize: 0 bytes/workgroup (compile time only)
; SGPRBlocks: 0
; VGPRBlocks: 0
; NumSGPRsForWavesPerEU: 4
; NumVGPRsForWavesPerEU: 1
; AccumOffset: 4
; Occupancy: 8
; WaveLimiterHint : 0
; COMPUTE_PGM_RSRC2:SCRATCH_EN: 0
; COMPUTE_PGM_RSRC2:USER_SGPR: 6
; COMPUTE_PGM_RSRC2:TRAP_HANDLER: 0
; COMPUTE_PGM_RSRC2:TGID_X_EN: 1
; COMPUTE_PGM_RSRC2:TGID_Y_EN: 0
; COMPUTE_PGM_RSRC2:TGID_Z_EN: 0
; COMPUTE_PGM_RSRC2:TIDIG_COMP_CNT: 0
; COMPUTE_PGM_RSRC3_GFX90A:ACCUM_OFFSET: 0
; COMPUTE_PGM_RSRC3_GFX90A:TG_SPLIT: 0
	.section	.text._ZN7rocprim17ROCPRIM_400000_NS6detail17trampoline_kernelINS0_14default_configENS1_38merge_sort_block_merge_config_selectorI14custom_numericNS0_10empty_typeEEEZZNS1_27merge_sort_block_merge_implIS3_N6thrust23THRUST_200600_302600_NS6detail15normal_iteratorINSA_10device_ptrIS5_EEEEPS6_m14custom_greaterIS5_EEE10hipError_tT0_T1_T2_jT3_P12ihipStream_tbPNSt15iterator_traitsISK_E10value_typeEPNSQ_ISL_E10value_typeEPSM_NS1_7vsmem_tEENKUlT_SK_SL_SM_E_clISF_PS5_SG_SG_EESJ_SZ_SK_SL_SM_EUlSZ_E0_NS1_11comp_targetILNS1_3genE10ELNS1_11target_archE1201ELNS1_3gpuE5ELNS1_3repE0EEENS1_38merge_mergepath_config_static_selectorELNS0_4arch9wavefront6targetE1EEEvSL_,"axG",@progbits,_ZN7rocprim17ROCPRIM_400000_NS6detail17trampoline_kernelINS0_14default_configENS1_38merge_sort_block_merge_config_selectorI14custom_numericNS0_10empty_typeEEEZZNS1_27merge_sort_block_merge_implIS3_N6thrust23THRUST_200600_302600_NS6detail15normal_iteratorINSA_10device_ptrIS5_EEEEPS6_m14custom_greaterIS5_EEE10hipError_tT0_T1_T2_jT3_P12ihipStream_tbPNSt15iterator_traitsISK_E10value_typeEPNSQ_ISL_E10value_typeEPSM_NS1_7vsmem_tEENKUlT_SK_SL_SM_E_clISF_PS5_SG_SG_EESJ_SZ_SK_SL_SM_EUlSZ_E0_NS1_11comp_targetILNS1_3genE10ELNS1_11target_archE1201ELNS1_3gpuE5ELNS1_3repE0EEENS1_38merge_mergepath_config_static_selectorELNS0_4arch9wavefront6targetE1EEEvSL_,comdat
	.protected	_ZN7rocprim17ROCPRIM_400000_NS6detail17trampoline_kernelINS0_14default_configENS1_38merge_sort_block_merge_config_selectorI14custom_numericNS0_10empty_typeEEEZZNS1_27merge_sort_block_merge_implIS3_N6thrust23THRUST_200600_302600_NS6detail15normal_iteratorINSA_10device_ptrIS5_EEEEPS6_m14custom_greaterIS5_EEE10hipError_tT0_T1_T2_jT3_P12ihipStream_tbPNSt15iterator_traitsISK_E10value_typeEPNSQ_ISL_E10value_typeEPSM_NS1_7vsmem_tEENKUlT_SK_SL_SM_E_clISF_PS5_SG_SG_EESJ_SZ_SK_SL_SM_EUlSZ_E0_NS1_11comp_targetILNS1_3genE10ELNS1_11target_archE1201ELNS1_3gpuE5ELNS1_3repE0EEENS1_38merge_mergepath_config_static_selectorELNS0_4arch9wavefront6targetE1EEEvSL_ ; -- Begin function _ZN7rocprim17ROCPRIM_400000_NS6detail17trampoline_kernelINS0_14default_configENS1_38merge_sort_block_merge_config_selectorI14custom_numericNS0_10empty_typeEEEZZNS1_27merge_sort_block_merge_implIS3_N6thrust23THRUST_200600_302600_NS6detail15normal_iteratorINSA_10device_ptrIS5_EEEEPS6_m14custom_greaterIS5_EEE10hipError_tT0_T1_T2_jT3_P12ihipStream_tbPNSt15iterator_traitsISK_E10value_typeEPNSQ_ISL_E10value_typeEPSM_NS1_7vsmem_tEENKUlT_SK_SL_SM_E_clISF_PS5_SG_SG_EESJ_SZ_SK_SL_SM_EUlSZ_E0_NS1_11comp_targetILNS1_3genE10ELNS1_11target_archE1201ELNS1_3gpuE5ELNS1_3repE0EEENS1_38merge_mergepath_config_static_selectorELNS0_4arch9wavefront6targetE1EEEvSL_
	.globl	_ZN7rocprim17ROCPRIM_400000_NS6detail17trampoline_kernelINS0_14default_configENS1_38merge_sort_block_merge_config_selectorI14custom_numericNS0_10empty_typeEEEZZNS1_27merge_sort_block_merge_implIS3_N6thrust23THRUST_200600_302600_NS6detail15normal_iteratorINSA_10device_ptrIS5_EEEEPS6_m14custom_greaterIS5_EEE10hipError_tT0_T1_T2_jT3_P12ihipStream_tbPNSt15iterator_traitsISK_E10value_typeEPNSQ_ISL_E10value_typeEPSM_NS1_7vsmem_tEENKUlT_SK_SL_SM_E_clISF_PS5_SG_SG_EESJ_SZ_SK_SL_SM_EUlSZ_E0_NS1_11comp_targetILNS1_3genE10ELNS1_11target_archE1201ELNS1_3gpuE5ELNS1_3repE0EEENS1_38merge_mergepath_config_static_selectorELNS0_4arch9wavefront6targetE1EEEvSL_
	.p2align	8
	.type	_ZN7rocprim17ROCPRIM_400000_NS6detail17trampoline_kernelINS0_14default_configENS1_38merge_sort_block_merge_config_selectorI14custom_numericNS0_10empty_typeEEEZZNS1_27merge_sort_block_merge_implIS3_N6thrust23THRUST_200600_302600_NS6detail15normal_iteratorINSA_10device_ptrIS5_EEEEPS6_m14custom_greaterIS5_EEE10hipError_tT0_T1_T2_jT3_P12ihipStream_tbPNSt15iterator_traitsISK_E10value_typeEPNSQ_ISL_E10value_typeEPSM_NS1_7vsmem_tEENKUlT_SK_SL_SM_E_clISF_PS5_SG_SG_EESJ_SZ_SK_SL_SM_EUlSZ_E0_NS1_11comp_targetILNS1_3genE10ELNS1_11target_archE1201ELNS1_3gpuE5ELNS1_3repE0EEENS1_38merge_mergepath_config_static_selectorELNS0_4arch9wavefront6targetE1EEEvSL_,@function
_ZN7rocprim17ROCPRIM_400000_NS6detail17trampoline_kernelINS0_14default_configENS1_38merge_sort_block_merge_config_selectorI14custom_numericNS0_10empty_typeEEEZZNS1_27merge_sort_block_merge_implIS3_N6thrust23THRUST_200600_302600_NS6detail15normal_iteratorINSA_10device_ptrIS5_EEEEPS6_m14custom_greaterIS5_EEE10hipError_tT0_T1_T2_jT3_P12ihipStream_tbPNSt15iterator_traitsISK_E10value_typeEPNSQ_ISL_E10value_typeEPSM_NS1_7vsmem_tEENKUlT_SK_SL_SM_E_clISF_PS5_SG_SG_EESJ_SZ_SK_SL_SM_EUlSZ_E0_NS1_11comp_targetILNS1_3genE10ELNS1_11target_archE1201ELNS1_3gpuE5ELNS1_3repE0EEENS1_38merge_mergepath_config_static_selectorELNS0_4arch9wavefront6targetE1EEEvSL_: ; @_ZN7rocprim17ROCPRIM_400000_NS6detail17trampoline_kernelINS0_14default_configENS1_38merge_sort_block_merge_config_selectorI14custom_numericNS0_10empty_typeEEEZZNS1_27merge_sort_block_merge_implIS3_N6thrust23THRUST_200600_302600_NS6detail15normal_iteratorINSA_10device_ptrIS5_EEEEPS6_m14custom_greaterIS5_EEE10hipError_tT0_T1_T2_jT3_P12ihipStream_tbPNSt15iterator_traitsISK_E10value_typeEPNSQ_ISL_E10value_typeEPSM_NS1_7vsmem_tEENKUlT_SK_SL_SM_E_clISF_PS5_SG_SG_EESJ_SZ_SK_SL_SM_EUlSZ_E0_NS1_11comp_targetILNS1_3genE10ELNS1_11target_archE1201ELNS1_3gpuE5ELNS1_3repE0EEENS1_38merge_mergepath_config_static_selectorELNS0_4arch9wavefront6targetE1EEEvSL_
; %bb.0:
	.section	.rodata,"a",@progbits
	.p2align	6, 0x0
	.amdhsa_kernel _ZN7rocprim17ROCPRIM_400000_NS6detail17trampoline_kernelINS0_14default_configENS1_38merge_sort_block_merge_config_selectorI14custom_numericNS0_10empty_typeEEEZZNS1_27merge_sort_block_merge_implIS3_N6thrust23THRUST_200600_302600_NS6detail15normal_iteratorINSA_10device_ptrIS5_EEEEPS6_m14custom_greaterIS5_EEE10hipError_tT0_T1_T2_jT3_P12ihipStream_tbPNSt15iterator_traitsISK_E10value_typeEPNSQ_ISL_E10value_typeEPSM_NS1_7vsmem_tEENKUlT_SK_SL_SM_E_clISF_PS5_SG_SG_EESJ_SZ_SK_SL_SM_EUlSZ_E0_NS1_11comp_targetILNS1_3genE10ELNS1_11target_archE1201ELNS1_3gpuE5ELNS1_3repE0EEENS1_38merge_mergepath_config_static_selectorELNS0_4arch9wavefront6targetE1EEEvSL_
		.amdhsa_group_segment_fixed_size 0
		.amdhsa_private_segment_fixed_size 0
		.amdhsa_kernarg_size 72
		.amdhsa_user_sgpr_count 6
		.amdhsa_user_sgpr_private_segment_buffer 1
		.amdhsa_user_sgpr_dispatch_ptr 0
		.amdhsa_user_sgpr_queue_ptr 0
		.amdhsa_user_sgpr_kernarg_segment_ptr 1
		.amdhsa_user_sgpr_dispatch_id 0
		.amdhsa_user_sgpr_flat_scratch_init 0
		.amdhsa_user_sgpr_kernarg_preload_length 0
		.amdhsa_user_sgpr_kernarg_preload_offset 0
		.amdhsa_user_sgpr_private_segment_size 0
		.amdhsa_uses_dynamic_stack 0
		.amdhsa_system_sgpr_private_segment_wavefront_offset 0
		.amdhsa_system_sgpr_workgroup_id_x 1
		.amdhsa_system_sgpr_workgroup_id_y 0
		.amdhsa_system_sgpr_workgroup_id_z 0
		.amdhsa_system_sgpr_workgroup_info 0
		.amdhsa_system_vgpr_workitem_id 0
		.amdhsa_next_free_vgpr 1
		.amdhsa_next_free_sgpr 0
		.amdhsa_accum_offset 4
		.amdhsa_reserve_vcc 0
		.amdhsa_reserve_flat_scratch 0
		.amdhsa_float_round_mode_32 0
		.amdhsa_float_round_mode_16_64 0
		.amdhsa_float_denorm_mode_32 3
		.amdhsa_float_denorm_mode_16_64 3
		.amdhsa_dx10_clamp 1
		.amdhsa_ieee_mode 1
		.amdhsa_fp16_overflow 0
		.amdhsa_tg_split 0
		.amdhsa_exception_fp_ieee_invalid_op 0
		.amdhsa_exception_fp_denorm_src 0
		.amdhsa_exception_fp_ieee_div_zero 0
		.amdhsa_exception_fp_ieee_overflow 0
		.amdhsa_exception_fp_ieee_underflow 0
		.amdhsa_exception_fp_ieee_inexact 0
		.amdhsa_exception_int_div_zero 0
	.end_amdhsa_kernel
	.section	.text._ZN7rocprim17ROCPRIM_400000_NS6detail17trampoline_kernelINS0_14default_configENS1_38merge_sort_block_merge_config_selectorI14custom_numericNS0_10empty_typeEEEZZNS1_27merge_sort_block_merge_implIS3_N6thrust23THRUST_200600_302600_NS6detail15normal_iteratorINSA_10device_ptrIS5_EEEEPS6_m14custom_greaterIS5_EEE10hipError_tT0_T1_T2_jT3_P12ihipStream_tbPNSt15iterator_traitsISK_E10value_typeEPNSQ_ISL_E10value_typeEPSM_NS1_7vsmem_tEENKUlT_SK_SL_SM_E_clISF_PS5_SG_SG_EESJ_SZ_SK_SL_SM_EUlSZ_E0_NS1_11comp_targetILNS1_3genE10ELNS1_11target_archE1201ELNS1_3gpuE5ELNS1_3repE0EEENS1_38merge_mergepath_config_static_selectorELNS0_4arch9wavefront6targetE1EEEvSL_,"axG",@progbits,_ZN7rocprim17ROCPRIM_400000_NS6detail17trampoline_kernelINS0_14default_configENS1_38merge_sort_block_merge_config_selectorI14custom_numericNS0_10empty_typeEEEZZNS1_27merge_sort_block_merge_implIS3_N6thrust23THRUST_200600_302600_NS6detail15normal_iteratorINSA_10device_ptrIS5_EEEEPS6_m14custom_greaterIS5_EEE10hipError_tT0_T1_T2_jT3_P12ihipStream_tbPNSt15iterator_traitsISK_E10value_typeEPNSQ_ISL_E10value_typeEPSM_NS1_7vsmem_tEENKUlT_SK_SL_SM_E_clISF_PS5_SG_SG_EESJ_SZ_SK_SL_SM_EUlSZ_E0_NS1_11comp_targetILNS1_3genE10ELNS1_11target_archE1201ELNS1_3gpuE5ELNS1_3repE0EEENS1_38merge_mergepath_config_static_selectorELNS0_4arch9wavefront6targetE1EEEvSL_,comdat
.Lfunc_end3712:
	.size	_ZN7rocprim17ROCPRIM_400000_NS6detail17trampoline_kernelINS0_14default_configENS1_38merge_sort_block_merge_config_selectorI14custom_numericNS0_10empty_typeEEEZZNS1_27merge_sort_block_merge_implIS3_N6thrust23THRUST_200600_302600_NS6detail15normal_iteratorINSA_10device_ptrIS5_EEEEPS6_m14custom_greaterIS5_EEE10hipError_tT0_T1_T2_jT3_P12ihipStream_tbPNSt15iterator_traitsISK_E10value_typeEPNSQ_ISL_E10value_typeEPSM_NS1_7vsmem_tEENKUlT_SK_SL_SM_E_clISF_PS5_SG_SG_EESJ_SZ_SK_SL_SM_EUlSZ_E0_NS1_11comp_targetILNS1_3genE10ELNS1_11target_archE1201ELNS1_3gpuE5ELNS1_3repE0EEENS1_38merge_mergepath_config_static_selectorELNS0_4arch9wavefront6targetE1EEEvSL_, .Lfunc_end3712-_ZN7rocprim17ROCPRIM_400000_NS6detail17trampoline_kernelINS0_14default_configENS1_38merge_sort_block_merge_config_selectorI14custom_numericNS0_10empty_typeEEEZZNS1_27merge_sort_block_merge_implIS3_N6thrust23THRUST_200600_302600_NS6detail15normal_iteratorINSA_10device_ptrIS5_EEEEPS6_m14custom_greaterIS5_EEE10hipError_tT0_T1_T2_jT3_P12ihipStream_tbPNSt15iterator_traitsISK_E10value_typeEPNSQ_ISL_E10value_typeEPSM_NS1_7vsmem_tEENKUlT_SK_SL_SM_E_clISF_PS5_SG_SG_EESJ_SZ_SK_SL_SM_EUlSZ_E0_NS1_11comp_targetILNS1_3genE10ELNS1_11target_archE1201ELNS1_3gpuE5ELNS1_3repE0EEENS1_38merge_mergepath_config_static_selectorELNS0_4arch9wavefront6targetE1EEEvSL_
                                        ; -- End function
	.section	.AMDGPU.csdata,"",@progbits
; Kernel info:
; codeLenInByte = 0
; NumSgprs: 4
; NumVgprs: 0
; NumAgprs: 0
; TotalNumVgprs: 0
; ScratchSize: 0
; MemoryBound: 0
; FloatMode: 240
; IeeeMode: 1
; LDSByteSize: 0 bytes/workgroup (compile time only)
; SGPRBlocks: 0
; VGPRBlocks: 0
; NumSGPRsForWavesPerEU: 4
; NumVGPRsForWavesPerEU: 1
; AccumOffset: 4
; Occupancy: 8
; WaveLimiterHint : 0
; COMPUTE_PGM_RSRC2:SCRATCH_EN: 0
; COMPUTE_PGM_RSRC2:USER_SGPR: 6
; COMPUTE_PGM_RSRC2:TRAP_HANDLER: 0
; COMPUTE_PGM_RSRC2:TGID_X_EN: 1
; COMPUTE_PGM_RSRC2:TGID_Y_EN: 0
; COMPUTE_PGM_RSRC2:TGID_Z_EN: 0
; COMPUTE_PGM_RSRC2:TIDIG_COMP_CNT: 0
; COMPUTE_PGM_RSRC3_GFX90A:ACCUM_OFFSET: 0
; COMPUTE_PGM_RSRC3_GFX90A:TG_SPLIT: 0
	.section	.text._ZN7rocprim17ROCPRIM_400000_NS6detail17trampoline_kernelINS0_14default_configENS1_38merge_sort_block_merge_config_selectorI14custom_numericNS0_10empty_typeEEEZZNS1_27merge_sort_block_merge_implIS3_N6thrust23THRUST_200600_302600_NS6detail15normal_iteratorINSA_10device_ptrIS5_EEEEPS6_m14custom_greaterIS5_EEE10hipError_tT0_T1_T2_jT3_P12ihipStream_tbPNSt15iterator_traitsISK_E10value_typeEPNSQ_ISL_E10value_typeEPSM_NS1_7vsmem_tEENKUlT_SK_SL_SM_E_clISF_PS5_SG_SG_EESJ_SZ_SK_SL_SM_EUlSZ_E0_NS1_11comp_targetILNS1_3genE5ELNS1_11target_archE942ELNS1_3gpuE9ELNS1_3repE0EEENS1_38merge_mergepath_config_static_selectorELNS0_4arch9wavefront6targetE1EEEvSL_,"axG",@progbits,_ZN7rocprim17ROCPRIM_400000_NS6detail17trampoline_kernelINS0_14default_configENS1_38merge_sort_block_merge_config_selectorI14custom_numericNS0_10empty_typeEEEZZNS1_27merge_sort_block_merge_implIS3_N6thrust23THRUST_200600_302600_NS6detail15normal_iteratorINSA_10device_ptrIS5_EEEEPS6_m14custom_greaterIS5_EEE10hipError_tT0_T1_T2_jT3_P12ihipStream_tbPNSt15iterator_traitsISK_E10value_typeEPNSQ_ISL_E10value_typeEPSM_NS1_7vsmem_tEENKUlT_SK_SL_SM_E_clISF_PS5_SG_SG_EESJ_SZ_SK_SL_SM_EUlSZ_E0_NS1_11comp_targetILNS1_3genE5ELNS1_11target_archE942ELNS1_3gpuE9ELNS1_3repE0EEENS1_38merge_mergepath_config_static_selectorELNS0_4arch9wavefront6targetE1EEEvSL_,comdat
	.protected	_ZN7rocprim17ROCPRIM_400000_NS6detail17trampoline_kernelINS0_14default_configENS1_38merge_sort_block_merge_config_selectorI14custom_numericNS0_10empty_typeEEEZZNS1_27merge_sort_block_merge_implIS3_N6thrust23THRUST_200600_302600_NS6detail15normal_iteratorINSA_10device_ptrIS5_EEEEPS6_m14custom_greaterIS5_EEE10hipError_tT0_T1_T2_jT3_P12ihipStream_tbPNSt15iterator_traitsISK_E10value_typeEPNSQ_ISL_E10value_typeEPSM_NS1_7vsmem_tEENKUlT_SK_SL_SM_E_clISF_PS5_SG_SG_EESJ_SZ_SK_SL_SM_EUlSZ_E0_NS1_11comp_targetILNS1_3genE5ELNS1_11target_archE942ELNS1_3gpuE9ELNS1_3repE0EEENS1_38merge_mergepath_config_static_selectorELNS0_4arch9wavefront6targetE1EEEvSL_ ; -- Begin function _ZN7rocprim17ROCPRIM_400000_NS6detail17trampoline_kernelINS0_14default_configENS1_38merge_sort_block_merge_config_selectorI14custom_numericNS0_10empty_typeEEEZZNS1_27merge_sort_block_merge_implIS3_N6thrust23THRUST_200600_302600_NS6detail15normal_iteratorINSA_10device_ptrIS5_EEEEPS6_m14custom_greaterIS5_EEE10hipError_tT0_T1_T2_jT3_P12ihipStream_tbPNSt15iterator_traitsISK_E10value_typeEPNSQ_ISL_E10value_typeEPSM_NS1_7vsmem_tEENKUlT_SK_SL_SM_E_clISF_PS5_SG_SG_EESJ_SZ_SK_SL_SM_EUlSZ_E0_NS1_11comp_targetILNS1_3genE5ELNS1_11target_archE942ELNS1_3gpuE9ELNS1_3repE0EEENS1_38merge_mergepath_config_static_selectorELNS0_4arch9wavefront6targetE1EEEvSL_
	.globl	_ZN7rocprim17ROCPRIM_400000_NS6detail17trampoline_kernelINS0_14default_configENS1_38merge_sort_block_merge_config_selectorI14custom_numericNS0_10empty_typeEEEZZNS1_27merge_sort_block_merge_implIS3_N6thrust23THRUST_200600_302600_NS6detail15normal_iteratorINSA_10device_ptrIS5_EEEEPS6_m14custom_greaterIS5_EEE10hipError_tT0_T1_T2_jT3_P12ihipStream_tbPNSt15iterator_traitsISK_E10value_typeEPNSQ_ISL_E10value_typeEPSM_NS1_7vsmem_tEENKUlT_SK_SL_SM_E_clISF_PS5_SG_SG_EESJ_SZ_SK_SL_SM_EUlSZ_E0_NS1_11comp_targetILNS1_3genE5ELNS1_11target_archE942ELNS1_3gpuE9ELNS1_3repE0EEENS1_38merge_mergepath_config_static_selectorELNS0_4arch9wavefront6targetE1EEEvSL_
	.p2align	8
	.type	_ZN7rocprim17ROCPRIM_400000_NS6detail17trampoline_kernelINS0_14default_configENS1_38merge_sort_block_merge_config_selectorI14custom_numericNS0_10empty_typeEEEZZNS1_27merge_sort_block_merge_implIS3_N6thrust23THRUST_200600_302600_NS6detail15normal_iteratorINSA_10device_ptrIS5_EEEEPS6_m14custom_greaterIS5_EEE10hipError_tT0_T1_T2_jT3_P12ihipStream_tbPNSt15iterator_traitsISK_E10value_typeEPNSQ_ISL_E10value_typeEPSM_NS1_7vsmem_tEENKUlT_SK_SL_SM_E_clISF_PS5_SG_SG_EESJ_SZ_SK_SL_SM_EUlSZ_E0_NS1_11comp_targetILNS1_3genE5ELNS1_11target_archE942ELNS1_3gpuE9ELNS1_3repE0EEENS1_38merge_mergepath_config_static_selectorELNS0_4arch9wavefront6targetE1EEEvSL_,@function
_ZN7rocprim17ROCPRIM_400000_NS6detail17trampoline_kernelINS0_14default_configENS1_38merge_sort_block_merge_config_selectorI14custom_numericNS0_10empty_typeEEEZZNS1_27merge_sort_block_merge_implIS3_N6thrust23THRUST_200600_302600_NS6detail15normal_iteratorINSA_10device_ptrIS5_EEEEPS6_m14custom_greaterIS5_EEE10hipError_tT0_T1_T2_jT3_P12ihipStream_tbPNSt15iterator_traitsISK_E10value_typeEPNSQ_ISL_E10value_typeEPSM_NS1_7vsmem_tEENKUlT_SK_SL_SM_E_clISF_PS5_SG_SG_EESJ_SZ_SK_SL_SM_EUlSZ_E0_NS1_11comp_targetILNS1_3genE5ELNS1_11target_archE942ELNS1_3gpuE9ELNS1_3repE0EEENS1_38merge_mergepath_config_static_selectorELNS0_4arch9wavefront6targetE1EEEvSL_: ; @_ZN7rocprim17ROCPRIM_400000_NS6detail17trampoline_kernelINS0_14default_configENS1_38merge_sort_block_merge_config_selectorI14custom_numericNS0_10empty_typeEEEZZNS1_27merge_sort_block_merge_implIS3_N6thrust23THRUST_200600_302600_NS6detail15normal_iteratorINSA_10device_ptrIS5_EEEEPS6_m14custom_greaterIS5_EEE10hipError_tT0_T1_T2_jT3_P12ihipStream_tbPNSt15iterator_traitsISK_E10value_typeEPNSQ_ISL_E10value_typeEPSM_NS1_7vsmem_tEENKUlT_SK_SL_SM_E_clISF_PS5_SG_SG_EESJ_SZ_SK_SL_SM_EUlSZ_E0_NS1_11comp_targetILNS1_3genE5ELNS1_11target_archE942ELNS1_3gpuE9ELNS1_3repE0EEENS1_38merge_mergepath_config_static_selectorELNS0_4arch9wavefront6targetE1EEEvSL_
; %bb.0:
	.section	.rodata,"a",@progbits
	.p2align	6, 0x0
	.amdhsa_kernel _ZN7rocprim17ROCPRIM_400000_NS6detail17trampoline_kernelINS0_14default_configENS1_38merge_sort_block_merge_config_selectorI14custom_numericNS0_10empty_typeEEEZZNS1_27merge_sort_block_merge_implIS3_N6thrust23THRUST_200600_302600_NS6detail15normal_iteratorINSA_10device_ptrIS5_EEEEPS6_m14custom_greaterIS5_EEE10hipError_tT0_T1_T2_jT3_P12ihipStream_tbPNSt15iterator_traitsISK_E10value_typeEPNSQ_ISL_E10value_typeEPSM_NS1_7vsmem_tEENKUlT_SK_SL_SM_E_clISF_PS5_SG_SG_EESJ_SZ_SK_SL_SM_EUlSZ_E0_NS1_11comp_targetILNS1_3genE5ELNS1_11target_archE942ELNS1_3gpuE9ELNS1_3repE0EEENS1_38merge_mergepath_config_static_selectorELNS0_4arch9wavefront6targetE1EEEvSL_
		.amdhsa_group_segment_fixed_size 0
		.amdhsa_private_segment_fixed_size 0
		.amdhsa_kernarg_size 72
		.amdhsa_user_sgpr_count 6
		.amdhsa_user_sgpr_private_segment_buffer 1
		.amdhsa_user_sgpr_dispatch_ptr 0
		.amdhsa_user_sgpr_queue_ptr 0
		.amdhsa_user_sgpr_kernarg_segment_ptr 1
		.amdhsa_user_sgpr_dispatch_id 0
		.amdhsa_user_sgpr_flat_scratch_init 0
		.amdhsa_user_sgpr_kernarg_preload_length 0
		.amdhsa_user_sgpr_kernarg_preload_offset 0
		.amdhsa_user_sgpr_private_segment_size 0
		.amdhsa_uses_dynamic_stack 0
		.amdhsa_system_sgpr_private_segment_wavefront_offset 0
		.amdhsa_system_sgpr_workgroup_id_x 1
		.amdhsa_system_sgpr_workgroup_id_y 0
		.amdhsa_system_sgpr_workgroup_id_z 0
		.amdhsa_system_sgpr_workgroup_info 0
		.amdhsa_system_vgpr_workitem_id 0
		.amdhsa_next_free_vgpr 1
		.amdhsa_next_free_sgpr 0
		.amdhsa_accum_offset 4
		.amdhsa_reserve_vcc 0
		.amdhsa_reserve_flat_scratch 0
		.amdhsa_float_round_mode_32 0
		.amdhsa_float_round_mode_16_64 0
		.amdhsa_float_denorm_mode_32 3
		.amdhsa_float_denorm_mode_16_64 3
		.amdhsa_dx10_clamp 1
		.amdhsa_ieee_mode 1
		.amdhsa_fp16_overflow 0
		.amdhsa_tg_split 0
		.amdhsa_exception_fp_ieee_invalid_op 0
		.amdhsa_exception_fp_denorm_src 0
		.amdhsa_exception_fp_ieee_div_zero 0
		.amdhsa_exception_fp_ieee_overflow 0
		.amdhsa_exception_fp_ieee_underflow 0
		.amdhsa_exception_fp_ieee_inexact 0
		.amdhsa_exception_int_div_zero 0
	.end_amdhsa_kernel
	.section	.text._ZN7rocprim17ROCPRIM_400000_NS6detail17trampoline_kernelINS0_14default_configENS1_38merge_sort_block_merge_config_selectorI14custom_numericNS0_10empty_typeEEEZZNS1_27merge_sort_block_merge_implIS3_N6thrust23THRUST_200600_302600_NS6detail15normal_iteratorINSA_10device_ptrIS5_EEEEPS6_m14custom_greaterIS5_EEE10hipError_tT0_T1_T2_jT3_P12ihipStream_tbPNSt15iterator_traitsISK_E10value_typeEPNSQ_ISL_E10value_typeEPSM_NS1_7vsmem_tEENKUlT_SK_SL_SM_E_clISF_PS5_SG_SG_EESJ_SZ_SK_SL_SM_EUlSZ_E0_NS1_11comp_targetILNS1_3genE5ELNS1_11target_archE942ELNS1_3gpuE9ELNS1_3repE0EEENS1_38merge_mergepath_config_static_selectorELNS0_4arch9wavefront6targetE1EEEvSL_,"axG",@progbits,_ZN7rocprim17ROCPRIM_400000_NS6detail17trampoline_kernelINS0_14default_configENS1_38merge_sort_block_merge_config_selectorI14custom_numericNS0_10empty_typeEEEZZNS1_27merge_sort_block_merge_implIS3_N6thrust23THRUST_200600_302600_NS6detail15normal_iteratorINSA_10device_ptrIS5_EEEEPS6_m14custom_greaterIS5_EEE10hipError_tT0_T1_T2_jT3_P12ihipStream_tbPNSt15iterator_traitsISK_E10value_typeEPNSQ_ISL_E10value_typeEPSM_NS1_7vsmem_tEENKUlT_SK_SL_SM_E_clISF_PS5_SG_SG_EESJ_SZ_SK_SL_SM_EUlSZ_E0_NS1_11comp_targetILNS1_3genE5ELNS1_11target_archE942ELNS1_3gpuE9ELNS1_3repE0EEENS1_38merge_mergepath_config_static_selectorELNS0_4arch9wavefront6targetE1EEEvSL_,comdat
.Lfunc_end3713:
	.size	_ZN7rocprim17ROCPRIM_400000_NS6detail17trampoline_kernelINS0_14default_configENS1_38merge_sort_block_merge_config_selectorI14custom_numericNS0_10empty_typeEEEZZNS1_27merge_sort_block_merge_implIS3_N6thrust23THRUST_200600_302600_NS6detail15normal_iteratorINSA_10device_ptrIS5_EEEEPS6_m14custom_greaterIS5_EEE10hipError_tT0_T1_T2_jT3_P12ihipStream_tbPNSt15iterator_traitsISK_E10value_typeEPNSQ_ISL_E10value_typeEPSM_NS1_7vsmem_tEENKUlT_SK_SL_SM_E_clISF_PS5_SG_SG_EESJ_SZ_SK_SL_SM_EUlSZ_E0_NS1_11comp_targetILNS1_3genE5ELNS1_11target_archE942ELNS1_3gpuE9ELNS1_3repE0EEENS1_38merge_mergepath_config_static_selectorELNS0_4arch9wavefront6targetE1EEEvSL_, .Lfunc_end3713-_ZN7rocprim17ROCPRIM_400000_NS6detail17trampoline_kernelINS0_14default_configENS1_38merge_sort_block_merge_config_selectorI14custom_numericNS0_10empty_typeEEEZZNS1_27merge_sort_block_merge_implIS3_N6thrust23THRUST_200600_302600_NS6detail15normal_iteratorINSA_10device_ptrIS5_EEEEPS6_m14custom_greaterIS5_EEE10hipError_tT0_T1_T2_jT3_P12ihipStream_tbPNSt15iterator_traitsISK_E10value_typeEPNSQ_ISL_E10value_typeEPSM_NS1_7vsmem_tEENKUlT_SK_SL_SM_E_clISF_PS5_SG_SG_EESJ_SZ_SK_SL_SM_EUlSZ_E0_NS1_11comp_targetILNS1_3genE5ELNS1_11target_archE942ELNS1_3gpuE9ELNS1_3repE0EEENS1_38merge_mergepath_config_static_selectorELNS0_4arch9wavefront6targetE1EEEvSL_
                                        ; -- End function
	.section	.AMDGPU.csdata,"",@progbits
; Kernel info:
; codeLenInByte = 0
; NumSgprs: 4
; NumVgprs: 0
; NumAgprs: 0
; TotalNumVgprs: 0
; ScratchSize: 0
; MemoryBound: 0
; FloatMode: 240
; IeeeMode: 1
; LDSByteSize: 0 bytes/workgroup (compile time only)
; SGPRBlocks: 0
; VGPRBlocks: 0
; NumSGPRsForWavesPerEU: 4
; NumVGPRsForWavesPerEU: 1
; AccumOffset: 4
; Occupancy: 8
; WaveLimiterHint : 0
; COMPUTE_PGM_RSRC2:SCRATCH_EN: 0
; COMPUTE_PGM_RSRC2:USER_SGPR: 6
; COMPUTE_PGM_RSRC2:TRAP_HANDLER: 0
; COMPUTE_PGM_RSRC2:TGID_X_EN: 1
; COMPUTE_PGM_RSRC2:TGID_Y_EN: 0
; COMPUTE_PGM_RSRC2:TGID_Z_EN: 0
; COMPUTE_PGM_RSRC2:TIDIG_COMP_CNT: 0
; COMPUTE_PGM_RSRC3_GFX90A:ACCUM_OFFSET: 0
; COMPUTE_PGM_RSRC3_GFX90A:TG_SPLIT: 0
	.section	.text._ZN7rocprim17ROCPRIM_400000_NS6detail17trampoline_kernelINS0_14default_configENS1_38merge_sort_block_merge_config_selectorI14custom_numericNS0_10empty_typeEEEZZNS1_27merge_sort_block_merge_implIS3_N6thrust23THRUST_200600_302600_NS6detail15normal_iteratorINSA_10device_ptrIS5_EEEEPS6_m14custom_greaterIS5_EEE10hipError_tT0_T1_T2_jT3_P12ihipStream_tbPNSt15iterator_traitsISK_E10value_typeEPNSQ_ISL_E10value_typeEPSM_NS1_7vsmem_tEENKUlT_SK_SL_SM_E_clISF_PS5_SG_SG_EESJ_SZ_SK_SL_SM_EUlSZ_E0_NS1_11comp_targetILNS1_3genE4ELNS1_11target_archE910ELNS1_3gpuE8ELNS1_3repE0EEENS1_38merge_mergepath_config_static_selectorELNS0_4arch9wavefront6targetE1EEEvSL_,"axG",@progbits,_ZN7rocprim17ROCPRIM_400000_NS6detail17trampoline_kernelINS0_14default_configENS1_38merge_sort_block_merge_config_selectorI14custom_numericNS0_10empty_typeEEEZZNS1_27merge_sort_block_merge_implIS3_N6thrust23THRUST_200600_302600_NS6detail15normal_iteratorINSA_10device_ptrIS5_EEEEPS6_m14custom_greaterIS5_EEE10hipError_tT0_T1_T2_jT3_P12ihipStream_tbPNSt15iterator_traitsISK_E10value_typeEPNSQ_ISL_E10value_typeEPSM_NS1_7vsmem_tEENKUlT_SK_SL_SM_E_clISF_PS5_SG_SG_EESJ_SZ_SK_SL_SM_EUlSZ_E0_NS1_11comp_targetILNS1_3genE4ELNS1_11target_archE910ELNS1_3gpuE8ELNS1_3repE0EEENS1_38merge_mergepath_config_static_selectorELNS0_4arch9wavefront6targetE1EEEvSL_,comdat
	.protected	_ZN7rocprim17ROCPRIM_400000_NS6detail17trampoline_kernelINS0_14default_configENS1_38merge_sort_block_merge_config_selectorI14custom_numericNS0_10empty_typeEEEZZNS1_27merge_sort_block_merge_implIS3_N6thrust23THRUST_200600_302600_NS6detail15normal_iteratorINSA_10device_ptrIS5_EEEEPS6_m14custom_greaterIS5_EEE10hipError_tT0_T1_T2_jT3_P12ihipStream_tbPNSt15iterator_traitsISK_E10value_typeEPNSQ_ISL_E10value_typeEPSM_NS1_7vsmem_tEENKUlT_SK_SL_SM_E_clISF_PS5_SG_SG_EESJ_SZ_SK_SL_SM_EUlSZ_E0_NS1_11comp_targetILNS1_3genE4ELNS1_11target_archE910ELNS1_3gpuE8ELNS1_3repE0EEENS1_38merge_mergepath_config_static_selectorELNS0_4arch9wavefront6targetE1EEEvSL_ ; -- Begin function _ZN7rocprim17ROCPRIM_400000_NS6detail17trampoline_kernelINS0_14default_configENS1_38merge_sort_block_merge_config_selectorI14custom_numericNS0_10empty_typeEEEZZNS1_27merge_sort_block_merge_implIS3_N6thrust23THRUST_200600_302600_NS6detail15normal_iteratorINSA_10device_ptrIS5_EEEEPS6_m14custom_greaterIS5_EEE10hipError_tT0_T1_T2_jT3_P12ihipStream_tbPNSt15iterator_traitsISK_E10value_typeEPNSQ_ISL_E10value_typeEPSM_NS1_7vsmem_tEENKUlT_SK_SL_SM_E_clISF_PS5_SG_SG_EESJ_SZ_SK_SL_SM_EUlSZ_E0_NS1_11comp_targetILNS1_3genE4ELNS1_11target_archE910ELNS1_3gpuE8ELNS1_3repE0EEENS1_38merge_mergepath_config_static_selectorELNS0_4arch9wavefront6targetE1EEEvSL_
	.globl	_ZN7rocprim17ROCPRIM_400000_NS6detail17trampoline_kernelINS0_14default_configENS1_38merge_sort_block_merge_config_selectorI14custom_numericNS0_10empty_typeEEEZZNS1_27merge_sort_block_merge_implIS3_N6thrust23THRUST_200600_302600_NS6detail15normal_iteratorINSA_10device_ptrIS5_EEEEPS6_m14custom_greaterIS5_EEE10hipError_tT0_T1_T2_jT3_P12ihipStream_tbPNSt15iterator_traitsISK_E10value_typeEPNSQ_ISL_E10value_typeEPSM_NS1_7vsmem_tEENKUlT_SK_SL_SM_E_clISF_PS5_SG_SG_EESJ_SZ_SK_SL_SM_EUlSZ_E0_NS1_11comp_targetILNS1_3genE4ELNS1_11target_archE910ELNS1_3gpuE8ELNS1_3repE0EEENS1_38merge_mergepath_config_static_selectorELNS0_4arch9wavefront6targetE1EEEvSL_
	.p2align	8
	.type	_ZN7rocprim17ROCPRIM_400000_NS6detail17trampoline_kernelINS0_14default_configENS1_38merge_sort_block_merge_config_selectorI14custom_numericNS0_10empty_typeEEEZZNS1_27merge_sort_block_merge_implIS3_N6thrust23THRUST_200600_302600_NS6detail15normal_iteratorINSA_10device_ptrIS5_EEEEPS6_m14custom_greaterIS5_EEE10hipError_tT0_T1_T2_jT3_P12ihipStream_tbPNSt15iterator_traitsISK_E10value_typeEPNSQ_ISL_E10value_typeEPSM_NS1_7vsmem_tEENKUlT_SK_SL_SM_E_clISF_PS5_SG_SG_EESJ_SZ_SK_SL_SM_EUlSZ_E0_NS1_11comp_targetILNS1_3genE4ELNS1_11target_archE910ELNS1_3gpuE8ELNS1_3repE0EEENS1_38merge_mergepath_config_static_selectorELNS0_4arch9wavefront6targetE1EEEvSL_,@function
_ZN7rocprim17ROCPRIM_400000_NS6detail17trampoline_kernelINS0_14default_configENS1_38merge_sort_block_merge_config_selectorI14custom_numericNS0_10empty_typeEEEZZNS1_27merge_sort_block_merge_implIS3_N6thrust23THRUST_200600_302600_NS6detail15normal_iteratorINSA_10device_ptrIS5_EEEEPS6_m14custom_greaterIS5_EEE10hipError_tT0_T1_T2_jT3_P12ihipStream_tbPNSt15iterator_traitsISK_E10value_typeEPNSQ_ISL_E10value_typeEPSM_NS1_7vsmem_tEENKUlT_SK_SL_SM_E_clISF_PS5_SG_SG_EESJ_SZ_SK_SL_SM_EUlSZ_E0_NS1_11comp_targetILNS1_3genE4ELNS1_11target_archE910ELNS1_3gpuE8ELNS1_3repE0EEENS1_38merge_mergepath_config_static_selectorELNS0_4arch9wavefront6targetE1EEEvSL_: ; @_ZN7rocprim17ROCPRIM_400000_NS6detail17trampoline_kernelINS0_14default_configENS1_38merge_sort_block_merge_config_selectorI14custom_numericNS0_10empty_typeEEEZZNS1_27merge_sort_block_merge_implIS3_N6thrust23THRUST_200600_302600_NS6detail15normal_iteratorINSA_10device_ptrIS5_EEEEPS6_m14custom_greaterIS5_EEE10hipError_tT0_T1_T2_jT3_P12ihipStream_tbPNSt15iterator_traitsISK_E10value_typeEPNSQ_ISL_E10value_typeEPSM_NS1_7vsmem_tEENKUlT_SK_SL_SM_E_clISF_PS5_SG_SG_EESJ_SZ_SK_SL_SM_EUlSZ_E0_NS1_11comp_targetILNS1_3genE4ELNS1_11target_archE910ELNS1_3gpuE8ELNS1_3repE0EEENS1_38merge_mergepath_config_static_selectorELNS0_4arch9wavefront6targetE1EEEvSL_
; %bb.0:
	s_load_dwordx2 s[22:23], s[4:5], 0x48
	s_load_dword s0, s[4:5], 0x38
	s_add_u32 s20, s4, 0x48
	s_addc_u32 s21, s5, 0
	s_waitcnt lgkmcnt(0)
	s_mul_i32 s1, s23, s8
	s_add_i32 s1, s1, s7
	s_mul_i32 s1, s1, s22
	s_add_i32 s18, s1, s6
	s_cmp_ge_u32 s18, s0
	s_cbranch_scc1 .LBB3714_35
; %bb.1:
	s_load_dwordx2 s[0:1], s[4:5], 0x40
	s_load_dwordx4 s[12:15], s[4:5], 0x8
	s_load_dwordx4 s[8:11], s[4:5], 0x28
	s_mov_b32 s19, 0
	s_lshl_b64 s[2:3], s[18:19], 3
	s_waitcnt lgkmcnt(0)
	s_add_u32 s0, s0, s2
	s_addc_u32 s1, s1, s3
	v_mov_b32_e32 v1, s10
	v_alignbit_b32 v1, s11, v1, 8
	v_readfirstlane_b32 s4, v1
	s_and_b32 s4, s4, -2
	s_sub_i32 s30, 0, s4
	s_and_b32 s24, s18, s30
	s_mov_b32 s25, s19
	s_lshl_b64 s[4:5], s[24:25], 9
	s_lshl_b64 s[16:17], s[18:19], 9
	s_sub_u32 s7, s16, s4
	s_load_dwordx4 s[0:3], s[0:1], 0x0
	s_subb_u32 s23, s17, s5
	s_lshl_b64 s[24:25], s[24:25], 10
	s_add_u32 s24, s24, s10
	s_addc_u32 s25, s25, s11
	s_add_u32 s7, s24, s7
	s_addc_u32 s23, s25, s23
	s_waitcnt lgkmcnt(0)
	s_sub_u32 s26, s7, s2
	s_subb_u32 s3, s23, s3
	s_add_u32 s26, s26, 0x200
	s_addc_u32 s27, s3, 0
	v_pk_mov_b32 v[2:3], s[26:27], s[26:27] op_sel:[0,1]
	v_cmp_lt_u64_e32 vcc, s[8:9], v[2:3]
	s_and_b64 s[28:29], vcc, exec
	s_cselect_b32 s3, s8, s26
	s_or_b32 s26, s18, s30
	s_cmp_lg_u32 s26, -1
	s_cbranch_scc1 .LBB3714_3
; %bb.2:
	s_sub_u32 s4, s24, s4
	s_subb_u32 s5, s25, s5
	v_pk_mov_b32 v[2:3], s[4:5], s[4:5] op_sel:[0,1]
	v_cmp_lt_u64_e32 vcc, s[8:9], v[2:3]
	s_and_b64 s[2:3], vcc, exec
	s_cselect_b32 s2, s8, s4
	s_add_u32 s4, s4, s10
	s_addc_u32 s5, s5, s11
	v_pk_mov_b32 v[2:3], s[4:5], s[4:5] op_sel:[0,1]
	v_cmp_lt_u64_e32 vcc, s[8:9], v[2:3]
	s_and_b64 s[10:11], vcc, exec
	s_cselect_b32 s3, s8, s4
.LBB3714_3:
	s_lshr_b64 s[4:5], s[8:9], 9
	s_cmp_lg_u64 s[4:5], s[18:19]
	s_cselect_b64 s[10:11], -1, 0
	s_sub_u32 s24, s7, s0
	s_subb_u32 s25, s23, s1
	v_pk_mov_b32 v[2:3], s[24:25], s[24:25] op_sel:[0,1]
	v_cmp_lt_u64_e32 vcc, s[8:9], v[2:3]
	s_and_b64 s[26:27], vcc, exec
	s_cselect_b32 s7, s9, s25
	s_cselect_b32 s24, s8, s24
	s_sub_i32 s9, s2, s0
	s_mul_i32 s1, s1, 20
	s_mul_hi_u32 s2, s0, 20
	s_sub_i32 s23, s3, s24
	s_add_i32 s2, s2, s1
	s_mul_i32 s0, s0, 20
	s_add_u32 s0, s12, s0
	s_addc_u32 s1, s13, s2
	s_mul_i32 s7, s7, 20
	s_mul_hi_u32 s2, s24, 20
	s_add_i32 s3, s2, s7
	s_mul_i32 s24, s24, 20
	s_add_u32 s2, s12, s24
	s_addc_u32 s3, s13, s3
	s_cmp_lt_u32 s6, s22
	v_mov_b32_e32 v1, 0
	s_cselect_b32 s6, 12, 18
	global_load_dword v2, v1, s[20:21] offset:14
	s_add_u32 s6, s20, s6
	s_addc_u32 s7, s21, 0
	global_load_ushort v1, v1, s[6:7]
	s_cmp_eq_u64 s[4:5], s[18:19]
	s_waitcnt vmcnt(1)
	v_lshrrev_b32_e32 v3, 16, v2
	v_and_b32_e32 v2, 0xffff, v2
	v_mul_lo_u32 v2, v2, v3
	s_waitcnt vmcnt(0)
	v_mul_lo_u32 v1, v2, v1
	v_add_u32_e32 v5, v1, v0
	v_add_u32_e32 v3, v5, v1
	s_cbranch_scc1 .LBB3714_6
; %bb.4:
	v_subrev_u32_e32 v2, s9, v0
	v_mad_u64_u32 v[6:7], s[4:5], v2, 20, s[2:3]
	v_mad_u64_u32 v[8:9], s[4:5], v0, 20, s[0:1]
	v_cmp_gt_u32_e32 vcc, s9, v0
	v_cndmask_b32_e32 v7, v7, v9, vcc
	v_cndmask_b32_e32 v6, v6, v8, vcc
	v_subrev_u32_e32 v4, s9, v5
	global_load_dword v2, v[6:7], off
	v_mad_u64_u32 v[6:7], s[4:5], v4, 20, s[2:3]
	v_mad_u64_u32 v[8:9], s[4:5], v5, 20, s[0:1]
	v_cmp_gt_u32_e32 vcc, s9, v5
	v_cndmask_b32_e32 v7, v7, v9, vcc
	v_cndmask_b32_e32 v6, v6, v8, vcc
	global_load_dword v4, v[6:7], off
	v_subrev_u32_e32 v6, s9, v3
	v_mad_u64_u32 v[6:7], s[4:5], v6, 20, s[2:3]
	v_mad_u64_u32 v[8:9], s[4:5], v3, 20, s[0:1]
	v_cmp_gt_u32_e32 vcc, s9, v3
	v_cndmask_b32_e32 v7, v7, v9, vcc
	v_cndmask_b32_e32 v6, v6, v8, vcc
	global_load_dword v6, v[6:7], off
	v_add_u32_e32 v7, v3, v1
	s_add_i32 s12, s9, s23
	s_mov_b64 s[4:5], -1
	s_cbranch_execz .LBB3714_7
; %bb.5:
                                        ; implicit-def: $sgpr6
	v_mov_b32_e32 v5, s12
	v_mov_b32_e32 v8, s6
	s_and_saveexec_b64 s[6:7], s[4:5]
	s_cbranch_execnz .LBB3714_14
	s_branch .LBB3714_15
.LBB3714_6:
	s_mov_b64 s[4:5], 0
                                        ; implicit-def: $vgpr7
                                        ; implicit-def: $vgpr2
                                        ; implicit-def: $vgpr4
                                        ; implicit-def: $vgpr6
                                        ; implicit-def: $sgpr12
.LBB3714_7:
	s_add_i32 s12, s9, s23
	v_cmp_gt_u32_e32 vcc, s12, v0
	s_waitcnt vmcnt(1)
	v_mov_b32_e32 v4, 0
	v_mov_b32_e32 v2, 0
	s_and_saveexec_b64 s[4:5], vcc
	s_cbranch_execz .LBB3714_9
; %bb.8:
	v_subrev_u32_e32 v2, s9, v0
	s_waitcnt vmcnt(0)
	v_mad_u64_u32 v[6:7], s[6:7], v0, 20, s[0:1]
	v_mad_u64_u32 v[8:9], s[6:7], v2, 20, s[2:3]
	v_cmp_gt_u32_e32 vcc, s9, v0
	v_cndmask_b32_e32 v7, v9, v7, vcc
	v_cndmask_b32_e32 v6, v8, v6, vcc
	global_load_dword v2, v[6:7], off
.LBB3714_9:
	s_or_b64 exec, exec, s[4:5]
	v_cmp_gt_u32_e32 vcc, s12, v5
	s_and_saveexec_b64 s[4:5], vcc
	s_cbranch_execz .LBB3714_11
; %bb.10:
	v_subrev_u32_e32 v4, s9, v5
	s_waitcnt vmcnt(0)
	v_mad_u64_u32 v[6:7], s[6:7], v5, 20, s[0:1]
	v_mad_u64_u32 v[8:9], s[6:7], v4, 20, s[2:3]
	v_cmp_gt_u32_e32 vcc, s9, v5
	v_cndmask_b32_e32 v5, v9, v7, vcc
	v_cndmask_b32_e32 v4, v8, v6, vcc
	global_load_dword v4, v[4:5], off
.LBB3714_11:
	s_or_b64 exec, exec, s[4:5]
	v_cmp_gt_u32_e32 vcc, s12, v3
	s_waitcnt vmcnt(0)
	v_mov_b32_e32 v6, 0
	s_and_saveexec_b64 s[4:5], vcc
	s_cbranch_execz .LBB3714_13
; %bb.12:
	v_subrev_u32_e32 v5, s9, v3
	v_mad_u64_u32 v[6:7], s[6:7], v3, 20, s[0:1]
	v_mad_u64_u32 v[8:9], s[6:7], v5, 20, s[2:3]
	v_cmp_gt_u32_e32 vcc, s9, v3
	v_cndmask_b32_e32 v7, v9, v7, vcc
	v_cndmask_b32_e32 v6, v8, v6, vcc
	global_load_dword v6, v[6:7], off
.LBB3714_13:
	s_or_b64 exec, exec, s[4:5]
	v_add_u32_e32 v7, v3, v1
	v_cmp_gt_u32_e64 s[4:5], s12, v7
	s_mov_b32 s6, 0
	v_mov_b32_e32 v5, s12
	v_mov_b32_e32 v8, s6
	s_and_saveexec_b64 s[6:7], s[4:5]
	s_cbranch_execz .LBB3714_15
.LBB3714_14:
	v_subrev_u32_e32 v1, s9, v7
	v_mad_u64_u32 v[8:9], s[2:3], v1, 20, s[2:3]
	v_mad_u64_u32 v[10:11], s[0:1], v7, 20, s[0:1]
	v_cmp_gt_u32_e32 vcc, s9, v7
	v_cndmask_b32_e32 v9, v9, v11, vcc
	v_cndmask_b32_e32 v8, v8, v10, vcc
	global_load_dword v8, v[8:9], off
	v_mov_b32_e32 v5, s12
.LBB3714_15:
	s_or_b64 exec, exec, s[6:7]
	v_mov_b32_e32 v7, 0x1400
	v_mul_u32_u24_e32 v1, 20, v0
	v_mad_u32_u24 v7, v0, 20, v7
	s_waitcnt vmcnt(2)
	ds_write2_b32 v1, v2, v2 offset1:1
	ds_write2_b32 v1, v2, v2 offset0:2 offset1:3
	s_waitcnt vmcnt(0)
	ds_write2_b32 v7, v6, v6 offset1:1
	v_mov_b32_e32 v7, 0x1408
	v_mov_b32_e32 v3, 0xa00
	v_mad_u32_u24 v7, v0, 20, v7
	v_mad_u32_u24 v3, v0, 20, v3
	ds_write2_b32 v7, v6, v6 offset1:1
	v_mov_b32_e32 v7, 0x1e00
	ds_write2_b32 v3, v4, v4 offset1:1
	v_mov_b32_e32 v3, 0xa08
	v_mad_u32_u24 v7, v0, 20, v7
	v_mad_u32_u24 v3, v0, 20, v3
	ds_write2_b32 v7, v8, v8 offset1:1
	v_mov_b32_e32 v7, 0x1e08
	ds_write2_b32 v3, v4, v4 offset1:1
	v_add_u32_e32 v3, 16, v1
	v_mad_u32_u24 v7, v0, 20, v7
	ds_write2st64_b32 v3, v2, v4 offset1:10
	ds_write2_b32 v7, v8, v8 offset1:1
	ds_write2st64_b32 v3, v6, v8 offset0:20 offset1:30
	v_lshlrev_b32_e32 v3, 2, v0
	v_min_u32_e32 v9, v5, v3
	v_sub_u32_e64 v7, v9, s23 clamp
	v_min_u32_e32 v11, s9, v9
	v_cmp_lt_u32_e32 vcc, v7, v11
	s_waitcnt lgkmcnt(0)
	s_barrier
	s_and_saveexec_b64 s[0:1], vcc
	s_cbranch_execz .LBB3714_19
; %bb.16:
	s_mul_i32 s2, s9, 20
	v_mad_u32_u24 v10, v9, 20, s2
	s_mov_b64 s[2:3], 0
.LBB3714_17:                            ; =>This Inner Loop Header: Depth=1
	v_add_u32_e32 v12, v11, v7
	v_lshrrev_b32_e32 v14, 1, v12
	v_not_b32_e32 v12, v14
	v_mul_lo_u32 v15, v14, 20
	v_mad_u64_u32 v[12:13], s[4:5], v12, 20, v[10:11]
	ds_read_b32 v13, v15
	ds_read_b32 v12, v12
	v_add_u32_e32 v15, 1, v14
	s_waitcnt lgkmcnt(0)
	v_cmp_gt_i32_e32 vcc, v13, v12
	v_cndmask_b32_e32 v11, v11, v14, vcc
	v_cndmask_b32_e32 v7, v15, v7, vcc
	v_cmp_ge_u32_e32 vcc, v7, v11
	s_or_b64 s[2:3], vcc, s[2:3]
	s_andn2_b64 exec, exec, s[2:3]
	s_cbranch_execnz .LBB3714_17
; %bb.18:
	s_or_b64 exec, exec, s[2:3]
.LBB3714_19:
	s_or_b64 exec, exec, s[0:1]
	v_sub_u32_e32 v9, v9, v7
	v_add_u32_e32 v9, s9, v9
	v_cmp_ge_u32_e32 vcc, s9, v7
	v_cmp_le_u32_e64 s[0:1], v9, v5
	s_or_b64 s[0:1], vcc, s[0:1]
	s_and_saveexec_b64 s[12:13], s[0:1]
	s_cbranch_execz .LBB3714_25
; %bb.20:
	v_cmp_gt_u32_e32 vcc, s9, v7
	v_mov_b32_e32 v2, 0
	v_mov_b32_e32 v4, 0
	s_and_saveexec_b64 s[0:1], vcc
	s_cbranch_execz .LBB3714_22
; %bb.21:
	v_mul_lo_u32 v4, v7, 20
	ds_read_b32 v4, v4
.LBB3714_22:
	s_or_b64 exec, exec, s[0:1]
	v_cmp_ge_u32_e64 s[0:1], v9, v5
	v_cmp_lt_u32_e64 s[2:3], v9, v5
	s_and_saveexec_b64 s[4:5], s[2:3]
	s_cbranch_execz .LBB3714_24
; %bb.23:
	v_mul_lo_u32 v2, v9, 20
	ds_read_b32 v2, v2
.LBB3714_24:
	s_or_b64 exec, exec, s[4:5]
	s_waitcnt lgkmcnt(0)
	v_cmp_le_i32_e64 s[2:3], v4, v2
	s_and_b64 s[2:3], vcc, s[2:3]
	s_or_b64 vcc, s[0:1], s[2:3]
	v_mov_b32_e32 v8, s9
	v_cndmask_b32_e32 v6, v9, v7, vcc
	v_cndmask_b32_e32 v10, v5, v8, vcc
	v_add_u32_e32 v6, 1, v6
	v_add_u32_e32 v10, -1, v10
	v_min_u32_e32 v10, v6, v10
	v_mul_lo_u32 v10, v10, 20
	ds_read_b32 v10, v10
	v_cndmask_b32_e32 v9, v6, v9, vcc
	v_cndmask_b32_e32 v6, v7, v6, vcc
	v_cmp_gt_u32_e64 s[2:3], s9, v6
	v_cmp_ge_u32_e64 s[0:1], v9, v5
	s_waitcnt lgkmcnt(0)
	v_cndmask_b32_e32 v11, v10, v2, vcc
	v_cndmask_b32_e32 v10, v4, v10, vcc
	v_cmp_le_i32_e64 s[4:5], v10, v11
	s_and_b64 s[2:3], s[2:3], s[4:5]
	s_or_b64 s[0:1], s[0:1], s[2:3]
	v_cndmask_b32_e64 v7, v9, v6, s[0:1]
	v_cndmask_b32_e64 v12, v5, v8, s[0:1]
	v_add_u32_e32 v7, 1, v7
	v_add_u32_e32 v12, -1, v12
	v_min_u32_e32 v12, v7, v12
	v_mul_lo_u32 v12, v12, 20
	ds_read_b32 v12, v12
	v_cndmask_b32_e64 v9, v7, v9, s[0:1]
	v_cndmask_b32_e64 v7, v6, v7, s[0:1]
	v_cmp_gt_u32_e64 s[4:5], s9, v7
	v_cmp_ge_u32_e64 s[2:3], v9, v5
	s_waitcnt lgkmcnt(0)
	v_cndmask_b32_e64 v13, v12, v11, s[0:1]
	v_cndmask_b32_e64 v12, v10, v12, s[0:1]
	v_cmp_le_i32_e64 s[6:7], v12, v13
	s_and_b64 s[4:5], s[4:5], s[6:7]
	s_or_b64 s[2:3], s[2:3], s[4:5]
	v_cndmask_b32_e64 v6, v9, v7, s[2:3]
	v_cndmask_b32_e64 v8, v5, v8, s[2:3]
	v_add_u32_e32 v14, 1, v6
	v_add_u32_e32 v6, -1, v8
	v_min_u32_e32 v6, v14, v6
	v_mul_lo_u32 v6, v6, 20
	ds_read_b32 v8, v6
	v_cndmask_b32_e32 v2, v2, v4, vcc
	v_cndmask_b32_e64 v4, v11, v10, s[0:1]
	v_cndmask_b32_e64 v7, v7, v14, s[2:3]
	;; [unrolled: 1-line block ×3, first 2 shown]
	s_waitcnt lgkmcnt(0)
	v_cndmask_b32_e64 v10, v8, v13, s[2:3]
	v_cndmask_b32_e64 v8, v12, v8, s[2:3]
	;; [unrolled: 1-line block ×3, first 2 shown]
	v_cmp_gt_u32_e64 s[0:1], s9, v7
	v_cmp_le_i32_e64 s[2:3], v8, v10
	v_cmp_ge_u32_e32 vcc, v9, v5
	s_and_b64 s[0:1], s[0:1], s[2:3]
	s_or_b64 vcc, vcc, s[0:1]
	v_cndmask_b32_e32 v8, v10, v8, vcc
.LBB3714_25:
	s_or_b64 exec, exec, s[12:13]
	v_lshrrev_b32_e32 v5, 3, v0
	v_mul_u32_u24_e32 v3, 20, v3
	v_mad_u32_u24 v3, v5, 20, v3
	s_barrier
	s_barrier
	ds_write2_b32 v3, v2, v2 offset1:1
	ds_write2_b32 v3, v2, v2 offset0:2 offset1:3
	ds_write2_b32 v3, v4, v4 offset0:5 offset1:6
	;; [unrolled: 1-line block ×9, first 2 shown]
	v_lshrrev_b32_e32 v2, 5, v0
	v_or_b32_e32 v7, 0x80, v0
	s_mul_i32 s0, s17, 20
	s_mul_hi_u32 s1, s16, 20
	v_mad_u32_u24 v8, v2, 20, v1
	v_lshrrev_b32_e32 v2, 5, v7
	v_or_b32_e32 v5, 0x100, v0
	s_add_i32 s1, s1, s0
	s_mul_i32 s0, s16, 20
	v_mad_u32_u24 v4, v2, 20, v1
	v_lshrrev_b32_e32 v2, 5, v5
	v_or_b32_e32 v3, 0x180, v0
	s_add_u32 s0, s14, s0
	v_mad_u32_u24 v9, v2, 20, v1
	v_lshrrev_b32_e32 v2, 5, v3
	s_addc_u32 s1, s15, s1
	v_mad_u32_u24 v1, v2, 20, v1
	s_and_b64 vcc, exec, s[10:11]
	s_waitcnt lgkmcnt(0)
	s_cbranch_vccz .LBB3714_27
; %bb.26:
	s_barrier
	ds_read_b32 v10, v8
	ds_read_b32 v14, v4 offset:2560
	ds_read_b32 v18, v9 offset:5120
	ds_read_b32 v2, v1 offset:7680
	v_mad_u64_u32 v[22:23], s[2:3], v0, 20, s[0:1]
	s_waitcnt lgkmcnt(3)
	v_mov_b32_e32 v11, v10
	v_mov_b32_e32 v12, v10
	;; [unrolled: 1-line block ×3, first 2 shown]
	global_store_dwordx4 v[22:23], v[10:13], off
	global_store_dword v[22:23], v10, off offset:16
	v_add_co_u32_e32 v10, vcc, 0x1000, v22
	s_waitcnt lgkmcnt(2)
	v_mov_b32_e32 v15, v14
	v_mov_b32_e32 v16, v14
	;; [unrolled: 1-line block ×3, first 2 shown]
	s_waitcnt lgkmcnt(1)
	v_mov_b32_e32 v19, v18
	v_mov_b32_e32 v20, v18
	;; [unrolled: 1-line block ×3, first 2 shown]
	v_addc_co_u32_e32 v11, vcc, 0, v23, vcc
	global_store_dwordx4 v[22:23], v[14:17], off offset:2560
	global_store_dword v[22:23], v14, off offset:2576
	global_store_dwordx4 v[10:11], v[18:21], off offset:1024
	global_store_dword v[10:11], v18, off offset:1040
	s_mov_b64 s[2:3], -1
	s_cbranch_execz .LBB3714_28
	s_branch .LBB3714_33
.LBB3714_27:
	s_mov_b64 s[2:3], 0
                                        ; implicit-def: $vgpr2
.LBB3714_28:
	s_barrier
	s_waitcnt lgkmcnt(0)
	ds_read_b32 v6, v4 offset:2560
	ds_read_b32 v4, v9 offset:5120
	;; [unrolled: 1-line block ×3, first 2 shown]
	s_sub_i32 s4, s8, s16
	v_mad_u64_u32 v[10:11], s[2:3], v0, 20, s[0:1]
	v_cmp_gt_u32_e32 vcc, s4, v0
	s_and_saveexec_b64 s[2:3], vcc
	s_cbranch_execnz .LBB3714_36
; %bb.29:
	s_or_b64 exec, exec, s[2:3]
	v_cmp_gt_u32_e32 vcc, s4, v7
	s_and_saveexec_b64 s[2:3], vcc
	s_cbranch_execnz .LBB3714_37
.LBB3714_30:
	s_or_b64 exec, exec, s[2:3]
	v_cmp_gt_u32_e32 vcc, s4, v5
	s_and_saveexec_b64 s[2:3], vcc
	s_cbranch_execz .LBB3714_32
.LBB3714_31:
	v_add_co_u32_e32 v8, vcc, 0x1000, v10
	s_waitcnt lgkmcnt(1)
	v_mov_b32_e32 v5, v4
	v_mov_b32_e32 v6, v4
	;; [unrolled: 1-line block ×3, first 2 shown]
	v_addc_co_u32_e32 v9, vcc, 0, v11, vcc
	global_store_dwordx4 v[8:9], v[4:7], off offset:1024
	global_store_dword v[8:9], v4, off offset:1040
.LBB3714_32:
	s_or_b64 exec, exec, s[2:3]
	v_cmp_gt_u32_e64 s[2:3], s4, v3
.LBB3714_33:
	s_and_saveexec_b64 s[4:5], s[2:3]
	s_cbranch_execz .LBB3714_35
; %bb.34:
	v_mad_u64_u32 v[0:1], s[0:1], v0, 20, s[0:1]
	v_add_co_u32_e32 v0, vcc, 0x1000, v0
	s_waitcnt lgkmcnt(0)
	v_mov_b32_e32 v3, v2
	v_mov_b32_e32 v4, v2
	;; [unrolled: 1-line block ×3, first 2 shown]
	v_addc_co_u32_e32 v1, vcc, 0, v1, vcc
	global_store_dwordx4 v[0:1], v[2:5], off offset:3584
	global_store_dword v[0:1], v2, off offset:3600
.LBB3714_35:
	s_endpgm
.LBB3714_36:
	ds_read_b32 v12, v8
	s_waitcnt lgkmcnt(0)
	v_mov_b32_e32 v13, v12
	v_mov_b32_e32 v14, v12
	;; [unrolled: 1-line block ×3, first 2 shown]
	global_store_dwordx4 v[10:11], v[12:15], off
	global_store_dword v[10:11], v12, off offset:16
	s_or_b64 exec, exec, s[2:3]
	v_cmp_gt_u32_e32 vcc, s4, v7
	s_and_saveexec_b64 s[2:3], vcc
	s_cbranch_execz .LBB3714_30
.LBB3714_37:
	s_waitcnt lgkmcnt(2)
	v_mov_b32_e32 v7, v6
	v_mov_b32_e32 v8, v6
	;; [unrolled: 1-line block ×3, first 2 shown]
	global_store_dwordx4 v[10:11], v[6:9], off offset:2560
	global_store_dword v[10:11], v6, off offset:2576
	s_or_b64 exec, exec, s[2:3]
	v_cmp_gt_u32_e32 vcc, s4, v5
	s_and_saveexec_b64 s[2:3], vcc
	s_cbranch_execnz .LBB3714_31
	s_branch .LBB3714_32
	.section	.rodata,"a",@progbits
	.p2align	6, 0x0
	.amdhsa_kernel _ZN7rocprim17ROCPRIM_400000_NS6detail17trampoline_kernelINS0_14default_configENS1_38merge_sort_block_merge_config_selectorI14custom_numericNS0_10empty_typeEEEZZNS1_27merge_sort_block_merge_implIS3_N6thrust23THRUST_200600_302600_NS6detail15normal_iteratorINSA_10device_ptrIS5_EEEEPS6_m14custom_greaterIS5_EEE10hipError_tT0_T1_T2_jT3_P12ihipStream_tbPNSt15iterator_traitsISK_E10value_typeEPNSQ_ISL_E10value_typeEPSM_NS1_7vsmem_tEENKUlT_SK_SL_SM_E_clISF_PS5_SG_SG_EESJ_SZ_SK_SL_SM_EUlSZ_E0_NS1_11comp_targetILNS1_3genE4ELNS1_11target_archE910ELNS1_3gpuE8ELNS1_3repE0EEENS1_38merge_mergepath_config_static_selectorELNS0_4arch9wavefront6targetE1EEEvSL_
		.amdhsa_group_segment_fixed_size 10560
		.amdhsa_private_segment_fixed_size 0
		.amdhsa_kernarg_size 328
		.amdhsa_user_sgpr_count 6
		.amdhsa_user_sgpr_private_segment_buffer 1
		.amdhsa_user_sgpr_dispatch_ptr 0
		.amdhsa_user_sgpr_queue_ptr 0
		.amdhsa_user_sgpr_kernarg_segment_ptr 1
		.amdhsa_user_sgpr_dispatch_id 0
		.amdhsa_user_sgpr_flat_scratch_init 0
		.amdhsa_user_sgpr_kernarg_preload_length 0
		.amdhsa_user_sgpr_kernarg_preload_offset 0
		.amdhsa_user_sgpr_private_segment_size 0
		.amdhsa_uses_dynamic_stack 0
		.amdhsa_system_sgpr_private_segment_wavefront_offset 0
		.amdhsa_system_sgpr_workgroup_id_x 1
		.amdhsa_system_sgpr_workgroup_id_y 1
		.amdhsa_system_sgpr_workgroup_id_z 1
		.amdhsa_system_sgpr_workgroup_info 0
		.amdhsa_system_vgpr_workitem_id 0
		.amdhsa_next_free_vgpr 24
		.amdhsa_next_free_sgpr 31
		.amdhsa_accum_offset 24
		.amdhsa_reserve_vcc 1
		.amdhsa_reserve_flat_scratch 0
		.amdhsa_float_round_mode_32 0
		.amdhsa_float_round_mode_16_64 0
		.amdhsa_float_denorm_mode_32 3
		.amdhsa_float_denorm_mode_16_64 3
		.amdhsa_dx10_clamp 1
		.amdhsa_ieee_mode 1
		.amdhsa_fp16_overflow 0
		.amdhsa_tg_split 0
		.amdhsa_exception_fp_ieee_invalid_op 0
		.amdhsa_exception_fp_denorm_src 0
		.amdhsa_exception_fp_ieee_div_zero 0
		.amdhsa_exception_fp_ieee_overflow 0
		.amdhsa_exception_fp_ieee_underflow 0
		.amdhsa_exception_fp_ieee_inexact 0
		.amdhsa_exception_int_div_zero 0
	.end_amdhsa_kernel
	.section	.text._ZN7rocprim17ROCPRIM_400000_NS6detail17trampoline_kernelINS0_14default_configENS1_38merge_sort_block_merge_config_selectorI14custom_numericNS0_10empty_typeEEEZZNS1_27merge_sort_block_merge_implIS3_N6thrust23THRUST_200600_302600_NS6detail15normal_iteratorINSA_10device_ptrIS5_EEEEPS6_m14custom_greaterIS5_EEE10hipError_tT0_T1_T2_jT3_P12ihipStream_tbPNSt15iterator_traitsISK_E10value_typeEPNSQ_ISL_E10value_typeEPSM_NS1_7vsmem_tEENKUlT_SK_SL_SM_E_clISF_PS5_SG_SG_EESJ_SZ_SK_SL_SM_EUlSZ_E0_NS1_11comp_targetILNS1_3genE4ELNS1_11target_archE910ELNS1_3gpuE8ELNS1_3repE0EEENS1_38merge_mergepath_config_static_selectorELNS0_4arch9wavefront6targetE1EEEvSL_,"axG",@progbits,_ZN7rocprim17ROCPRIM_400000_NS6detail17trampoline_kernelINS0_14default_configENS1_38merge_sort_block_merge_config_selectorI14custom_numericNS0_10empty_typeEEEZZNS1_27merge_sort_block_merge_implIS3_N6thrust23THRUST_200600_302600_NS6detail15normal_iteratorINSA_10device_ptrIS5_EEEEPS6_m14custom_greaterIS5_EEE10hipError_tT0_T1_T2_jT3_P12ihipStream_tbPNSt15iterator_traitsISK_E10value_typeEPNSQ_ISL_E10value_typeEPSM_NS1_7vsmem_tEENKUlT_SK_SL_SM_E_clISF_PS5_SG_SG_EESJ_SZ_SK_SL_SM_EUlSZ_E0_NS1_11comp_targetILNS1_3genE4ELNS1_11target_archE910ELNS1_3gpuE8ELNS1_3repE0EEENS1_38merge_mergepath_config_static_selectorELNS0_4arch9wavefront6targetE1EEEvSL_,comdat
.Lfunc_end3714:
	.size	_ZN7rocprim17ROCPRIM_400000_NS6detail17trampoline_kernelINS0_14default_configENS1_38merge_sort_block_merge_config_selectorI14custom_numericNS0_10empty_typeEEEZZNS1_27merge_sort_block_merge_implIS3_N6thrust23THRUST_200600_302600_NS6detail15normal_iteratorINSA_10device_ptrIS5_EEEEPS6_m14custom_greaterIS5_EEE10hipError_tT0_T1_T2_jT3_P12ihipStream_tbPNSt15iterator_traitsISK_E10value_typeEPNSQ_ISL_E10value_typeEPSM_NS1_7vsmem_tEENKUlT_SK_SL_SM_E_clISF_PS5_SG_SG_EESJ_SZ_SK_SL_SM_EUlSZ_E0_NS1_11comp_targetILNS1_3genE4ELNS1_11target_archE910ELNS1_3gpuE8ELNS1_3repE0EEENS1_38merge_mergepath_config_static_selectorELNS0_4arch9wavefront6targetE1EEEvSL_, .Lfunc_end3714-_ZN7rocprim17ROCPRIM_400000_NS6detail17trampoline_kernelINS0_14default_configENS1_38merge_sort_block_merge_config_selectorI14custom_numericNS0_10empty_typeEEEZZNS1_27merge_sort_block_merge_implIS3_N6thrust23THRUST_200600_302600_NS6detail15normal_iteratorINSA_10device_ptrIS5_EEEEPS6_m14custom_greaterIS5_EEE10hipError_tT0_T1_T2_jT3_P12ihipStream_tbPNSt15iterator_traitsISK_E10value_typeEPNSQ_ISL_E10value_typeEPSM_NS1_7vsmem_tEENKUlT_SK_SL_SM_E_clISF_PS5_SG_SG_EESJ_SZ_SK_SL_SM_EUlSZ_E0_NS1_11comp_targetILNS1_3genE4ELNS1_11target_archE910ELNS1_3gpuE8ELNS1_3repE0EEENS1_38merge_mergepath_config_static_selectorELNS0_4arch9wavefront6targetE1EEEvSL_
                                        ; -- End function
	.section	.AMDGPU.csdata,"",@progbits
; Kernel info:
; codeLenInByte = 2424
; NumSgprs: 35
; NumVgprs: 24
; NumAgprs: 0
; TotalNumVgprs: 24
; ScratchSize: 0
; MemoryBound: 0
; FloatMode: 240
; IeeeMode: 1
; LDSByteSize: 10560 bytes/workgroup (compile time only)
; SGPRBlocks: 4
; VGPRBlocks: 2
; NumSGPRsForWavesPerEU: 35
; NumVGPRsForWavesPerEU: 24
; AccumOffset: 24
; Occupancy: 3
; WaveLimiterHint : 1
; COMPUTE_PGM_RSRC2:SCRATCH_EN: 0
; COMPUTE_PGM_RSRC2:USER_SGPR: 6
; COMPUTE_PGM_RSRC2:TRAP_HANDLER: 0
; COMPUTE_PGM_RSRC2:TGID_X_EN: 1
; COMPUTE_PGM_RSRC2:TGID_Y_EN: 1
; COMPUTE_PGM_RSRC2:TGID_Z_EN: 1
; COMPUTE_PGM_RSRC2:TIDIG_COMP_CNT: 0
; COMPUTE_PGM_RSRC3_GFX90A:ACCUM_OFFSET: 5
; COMPUTE_PGM_RSRC3_GFX90A:TG_SPLIT: 0
	.section	.text._ZN7rocprim17ROCPRIM_400000_NS6detail17trampoline_kernelINS0_14default_configENS1_38merge_sort_block_merge_config_selectorI14custom_numericNS0_10empty_typeEEEZZNS1_27merge_sort_block_merge_implIS3_N6thrust23THRUST_200600_302600_NS6detail15normal_iteratorINSA_10device_ptrIS5_EEEEPS6_m14custom_greaterIS5_EEE10hipError_tT0_T1_T2_jT3_P12ihipStream_tbPNSt15iterator_traitsISK_E10value_typeEPNSQ_ISL_E10value_typeEPSM_NS1_7vsmem_tEENKUlT_SK_SL_SM_E_clISF_PS5_SG_SG_EESJ_SZ_SK_SL_SM_EUlSZ_E0_NS1_11comp_targetILNS1_3genE3ELNS1_11target_archE908ELNS1_3gpuE7ELNS1_3repE0EEENS1_38merge_mergepath_config_static_selectorELNS0_4arch9wavefront6targetE1EEEvSL_,"axG",@progbits,_ZN7rocprim17ROCPRIM_400000_NS6detail17trampoline_kernelINS0_14default_configENS1_38merge_sort_block_merge_config_selectorI14custom_numericNS0_10empty_typeEEEZZNS1_27merge_sort_block_merge_implIS3_N6thrust23THRUST_200600_302600_NS6detail15normal_iteratorINSA_10device_ptrIS5_EEEEPS6_m14custom_greaterIS5_EEE10hipError_tT0_T1_T2_jT3_P12ihipStream_tbPNSt15iterator_traitsISK_E10value_typeEPNSQ_ISL_E10value_typeEPSM_NS1_7vsmem_tEENKUlT_SK_SL_SM_E_clISF_PS5_SG_SG_EESJ_SZ_SK_SL_SM_EUlSZ_E0_NS1_11comp_targetILNS1_3genE3ELNS1_11target_archE908ELNS1_3gpuE7ELNS1_3repE0EEENS1_38merge_mergepath_config_static_selectorELNS0_4arch9wavefront6targetE1EEEvSL_,comdat
	.protected	_ZN7rocprim17ROCPRIM_400000_NS6detail17trampoline_kernelINS0_14default_configENS1_38merge_sort_block_merge_config_selectorI14custom_numericNS0_10empty_typeEEEZZNS1_27merge_sort_block_merge_implIS3_N6thrust23THRUST_200600_302600_NS6detail15normal_iteratorINSA_10device_ptrIS5_EEEEPS6_m14custom_greaterIS5_EEE10hipError_tT0_T1_T2_jT3_P12ihipStream_tbPNSt15iterator_traitsISK_E10value_typeEPNSQ_ISL_E10value_typeEPSM_NS1_7vsmem_tEENKUlT_SK_SL_SM_E_clISF_PS5_SG_SG_EESJ_SZ_SK_SL_SM_EUlSZ_E0_NS1_11comp_targetILNS1_3genE3ELNS1_11target_archE908ELNS1_3gpuE7ELNS1_3repE0EEENS1_38merge_mergepath_config_static_selectorELNS0_4arch9wavefront6targetE1EEEvSL_ ; -- Begin function _ZN7rocprim17ROCPRIM_400000_NS6detail17trampoline_kernelINS0_14default_configENS1_38merge_sort_block_merge_config_selectorI14custom_numericNS0_10empty_typeEEEZZNS1_27merge_sort_block_merge_implIS3_N6thrust23THRUST_200600_302600_NS6detail15normal_iteratorINSA_10device_ptrIS5_EEEEPS6_m14custom_greaterIS5_EEE10hipError_tT0_T1_T2_jT3_P12ihipStream_tbPNSt15iterator_traitsISK_E10value_typeEPNSQ_ISL_E10value_typeEPSM_NS1_7vsmem_tEENKUlT_SK_SL_SM_E_clISF_PS5_SG_SG_EESJ_SZ_SK_SL_SM_EUlSZ_E0_NS1_11comp_targetILNS1_3genE3ELNS1_11target_archE908ELNS1_3gpuE7ELNS1_3repE0EEENS1_38merge_mergepath_config_static_selectorELNS0_4arch9wavefront6targetE1EEEvSL_
	.globl	_ZN7rocprim17ROCPRIM_400000_NS6detail17trampoline_kernelINS0_14default_configENS1_38merge_sort_block_merge_config_selectorI14custom_numericNS0_10empty_typeEEEZZNS1_27merge_sort_block_merge_implIS3_N6thrust23THRUST_200600_302600_NS6detail15normal_iteratorINSA_10device_ptrIS5_EEEEPS6_m14custom_greaterIS5_EEE10hipError_tT0_T1_T2_jT3_P12ihipStream_tbPNSt15iterator_traitsISK_E10value_typeEPNSQ_ISL_E10value_typeEPSM_NS1_7vsmem_tEENKUlT_SK_SL_SM_E_clISF_PS5_SG_SG_EESJ_SZ_SK_SL_SM_EUlSZ_E0_NS1_11comp_targetILNS1_3genE3ELNS1_11target_archE908ELNS1_3gpuE7ELNS1_3repE0EEENS1_38merge_mergepath_config_static_selectorELNS0_4arch9wavefront6targetE1EEEvSL_
	.p2align	8
	.type	_ZN7rocprim17ROCPRIM_400000_NS6detail17trampoline_kernelINS0_14default_configENS1_38merge_sort_block_merge_config_selectorI14custom_numericNS0_10empty_typeEEEZZNS1_27merge_sort_block_merge_implIS3_N6thrust23THRUST_200600_302600_NS6detail15normal_iteratorINSA_10device_ptrIS5_EEEEPS6_m14custom_greaterIS5_EEE10hipError_tT0_T1_T2_jT3_P12ihipStream_tbPNSt15iterator_traitsISK_E10value_typeEPNSQ_ISL_E10value_typeEPSM_NS1_7vsmem_tEENKUlT_SK_SL_SM_E_clISF_PS5_SG_SG_EESJ_SZ_SK_SL_SM_EUlSZ_E0_NS1_11comp_targetILNS1_3genE3ELNS1_11target_archE908ELNS1_3gpuE7ELNS1_3repE0EEENS1_38merge_mergepath_config_static_selectorELNS0_4arch9wavefront6targetE1EEEvSL_,@function
_ZN7rocprim17ROCPRIM_400000_NS6detail17trampoline_kernelINS0_14default_configENS1_38merge_sort_block_merge_config_selectorI14custom_numericNS0_10empty_typeEEEZZNS1_27merge_sort_block_merge_implIS3_N6thrust23THRUST_200600_302600_NS6detail15normal_iteratorINSA_10device_ptrIS5_EEEEPS6_m14custom_greaterIS5_EEE10hipError_tT0_T1_T2_jT3_P12ihipStream_tbPNSt15iterator_traitsISK_E10value_typeEPNSQ_ISL_E10value_typeEPSM_NS1_7vsmem_tEENKUlT_SK_SL_SM_E_clISF_PS5_SG_SG_EESJ_SZ_SK_SL_SM_EUlSZ_E0_NS1_11comp_targetILNS1_3genE3ELNS1_11target_archE908ELNS1_3gpuE7ELNS1_3repE0EEENS1_38merge_mergepath_config_static_selectorELNS0_4arch9wavefront6targetE1EEEvSL_: ; @_ZN7rocprim17ROCPRIM_400000_NS6detail17trampoline_kernelINS0_14default_configENS1_38merge_sort_block_merge_config_selectorI14custom_numericNS0_10empty_typeEEEZZNS1_27merge_sort_block_merge_implIS3_N6thrust23THRUST_200600_302600_NS6detail15normal_iteratorINSA_10device_ptrIS5_EEEEPS6_m14custom_greaterIS5_EEE10hipError_tT0_T1_T2_jT3_P12ihipStream_tbPNSt15iterator_traitsISK_E10value_typeEPNSQ_ISL_E10value_typeEPSM_NS1_7vsmem_tEENKUlT_SK_SL_SM_E_clISF_PS5_SG_SG_EESJ_SZ_SK_SL_SM_EUlSZ_E0_NS1_11comp_targetILNS1_3genE3ELNS1_11target_archE908ELNS1_3gpuE7ELNS1_3repE0EEENS1_38merge_mergepath_config_static_selectorELNS0_4arch9wavefront6targetE1EEEvSL_
; %bb.0:
	.section	.rodata,"a",@progbits
	.p2align	6, 0x0
	.amdhsa_kernel _ZN7rocprim17ROCPRIM_400000_NS6detail17trampoline_kernelINS0_14default_configENS1_38merge_sort_block_merge_config_selectorI14custom_numericNS0_10empty_typeEEEZZNS1_27merge_sort_block_merge_implIS3_N6thrust23THRUST_200600_302600_NS6detail15normal_iteratorINSA_10device_ptrIS5_EEEEPS6_m14custom_greaterIS5_EEE10hipError_tT0_T1_T2_jT3_P12ihipStream_tbPNSt15iterator_traitsISK_E10value_typeEPNSQ_ISL_E10value_typeEPSM_NS1_7vsmem_tEENKUlT_SK_SL_SM_E_clISF_PS5_SG_SG_EESJ_SZ_SK_SL_SM_EUlSZ_E0_NS1_11comp_targetILNS1_3genE3ELNS1_11target_archE908ELNS1_3gpuE7ELNS1_3repE0EEENS1_38merge_mergepath_config_static_selectorELNS0_4arch9wavefront6targetE1EEEvSL_
		.amdhsa_group_segment_fixed_size 0
		.amdhsa_private_segment_fixed_size 0
		.amdhsa_kernarg_size 72
		.amdhsa_user_sgpr_count 6
		.amdhsa_user_sgpr_private_segment_buffer 1
		.amdhsa_user_sgpr_dispatch_ptr 0
		.amdhsa_user_sgpr_queue_ptr 0
		.amdhsa_user_sgpr_kernarg_segment_ptr 1
		.amdhsa_user_sgpr_dispatch_id 0
		.amdhsa_user_sgpr_flat_scratch_init 0
		.amdhsa_user_sgpr_kernarg_preload_length 0
		.amdhsa_user_sgpr_kernarg_preload_offset 0
		.amdhsa_user_sgpr_private_segment_size 0
		.amdhsa_uses_dynamic_stack 0
		.amdhsa_system_sgpr_private_segment_wavefront_offset 0
		.amdhsa_system_sgpr_workgroup_id_x 1
		.amdhsa_system_sgpr_workgroup_id_y 0
		.amdhsa_system_sgpr_workgroup_id_z 0
		.amdhsa_system_sgpr_workgroup_info 0
		.amdhsa_system_vgpr_workitem_id 0
		.amdhsa_next_free_vgpr 1
		.amdhsa_next_free_sgpr 0
		.amdhsa_accum_offset 4
		.amdhsa_reserve_vcc 0
		.amdhsa_reserve_flat_scratch 0
		.amdhsa_float_round_mode_32 0
		.amdhsa_float_round_mode_16_64 0
		.amdhsa_float_denorm_mode_32 3
		.amdhsa_float_denorm_mode_16_64 3
		.amdhsa_dx10_clamp 1
		.amdhsa_ieee_mode 1
		.amdhsa_fp16_overflow 0
		.amdhsa_tg_split 0
		.amdhsa_exception_fp_ieee_invalid_op 0
		.amdhsa_exception_fp_denorm_src 0
		.amdhsa_exception_fp_ieee_div_zero 0
		.amdhsa_exception_fp_ieee_overflow 0
		.amdhsa_exception_fp_ieee_underflow 0
		.amdhsa_exception_fp_ieee_inexact 0
		.amdhsa_exception_int_div_zero 0
	.end_amdhsa_kernel
	.section	.text._ZN7rocprim17ROCPRIM_400000_NS6detail17trampoline_kernelINS0_14default_configENS1_38merge_sort_block_merge_config_selectorI14custom_numericNS0_10empty_typeEEEZZNS1_27merge_sort_block_merge_implIS3_N6thrust23THRUST_200600_302600_NS6detail15normal_iteratorINSA_10device_ptrIS5_EEEEPS6_m14custom_greaterIS5_EEE10hipError_tT0_T1_T2_jT3_P12ihipStream_tbPNSt15iterator_traitsISK_E10value_typeEPNSQ_ISL_E10value_typeEPSM_NS1_7vsmem_tEENKUlT_SK_SL_SM_E_clISF_PS5_SG_SG_EESJ_SZ_SK_SL_SM_EUlSZ_E0_NS1_11comp_targetILNS1_3genE3ELNS1_11target_archE908ELNS1_3gpuE7ELNS1_3repE0EEENS1_38merge_mergepath_config_static_selectorELNS0_4arch9wavefront6targetE1EEEvSL_,"axG",@progbits,_ZN7rocprim17ROCPRIM_400000_NS6detail17trampoline_kernelINS0_14default_configENS1_38merge_sort_block_merge_config_selectorI14custom_numericNS0_10empty_typeEEEZZNS1_27merge_sort_block_merge_implIS3_N6thrust23THRUST_200600_302600_NS6detail15normal_iteratorINSA_10device_ptrIS5_EEEEPS6_m14custom_greaterIS5_EEE10hipError_tT0_T1_T2_jT3_P12ihipStream_tbPNSt15iterator_traitsISK_E10value_typeEPNSQ_ISL_E10value_typeEPSM_NS1_7vsmem_tEENKUlT_SK_SL_SM_E_clISF_PS5_SG_SG_EESJ_SZ_SK_SL_SM_EUlSZ_E0_NS1_11comp_targetILNS1_3genE3ELNS1_11target_archE908ELNS1_3gpuE7ELNS1_3repE0EEENS1_38merge_mergepath_config_static_selectorELNS0_4arch9wavefront6targetE1EEEvSL_,comdat
.Lfunc_end3715:
	.size	_ZN7rocprim17ROCPRIM_400000_NS6detail17trampoline_kernelINS0_14default_configENS1_38merge_sort_block_merge_config_selectorI14custom_numericNS0_10empty_typeEEEZZNS1_27merge_sort_block_merge_implIS3_N6thrust23THRUST_200600_302600_NS6detail15normal_iteratorINSA_10device_ptrIS5_EEEEPS6_m14custom_greaterIS5_EEE10hipError_tT0_T1_T2_jT3_P12ihipStream_tbPNSt15iterator_traitsISK_E10value_typeEPNSQ_ISL_E10value_typeEPSM_NS1_7vsmem_tEENKUlT_SK_SL_SM_E_clISF_PS5_SG_SG_EESJ_SZ_SK_SL_SM_EUlSZ_E0_NS1_11comp_targetILNS1_3genE3ELNS1_11target_archE908ELNS1_3gpuE7ELNS1_3repE0EEENS1_38merge_mergepath_config_static_selectorELNS0_4arch9wavefront6targetE1EEEvSL_, .Lfunc_end3715-_ZN7rocprim17ROCPRIM_400000_NS6detail17trampoline_kernelINS0_14default_configENS1_38merge_sort_block_merge_config_selectorI14custom_numericNS0_10empty_typeEEEZZNS1_27merge_sort_block_merge_implIS3_N6thrust23THRUST_200600_302600_NS6detail15normal_iteratorINSA_10device_ptrIS5_EEEEPS6_m14custom_greaterIS5_EEE10hipError_tT0_T1_T2_jT3_P12ihipStream_tbPNSt15iterator_traitsISK_E10value_typeEPNSQ_ISL_E10value_typeEPSM_NS1_7vsmem_tEENKUlT_SK_SL_SM_E_clISF_PS5_SG_SG_EESJ_SZ_SK_SL_SM_EUlSZ_E0_NS1_11comp_targetILNS1_3genE3ELNS1_11target_archE908ELNS1_3gpuE7ELNS1_3repE0EEENS1_38merge_mergepath_config_static_selectorELNS0_4arch9wavefront6targetE1EEEvSL_
                                        ; -- End function
	.section	.AMDGPU.csdata,"",@progbits
; Kernel info:
; codeLenInByte = 0
; NumSgprs: 4
; NumVgprs: 0
; NumAgprs: 0
; TotalNumVgprs: 0
; ScratchSize: 0
; MemoryBound: 0
; FloatMode: 240
; IeeeMode: 1
; LDSByteSize: 0 bytes/workgroup (compile time only)
; SGPRBlocks: 0
; VGPRBlocks: 0
; NumSGPRsForWavesPerEU: 4
; NumVGPRsForWavesPerEU: 1
; AccumOffset: 4
; Occupancy: 8
; WaveLimiterHint : 0
; COMPUTE_PGM_RSRC2:SCRATCH_EN: 0
; COMPUTE_PGM_RSRC2:USER_SGPR: 6
; COMPUTE_PGM_RSRC2:TRAP_HANDLER: 0
; COMPUTE_PGM_RSRC2:TGID_X_EN: 1
; COMPUTE_PGM_RSRC2:TGID_Y_EN: 0
; COMPUTE_PGM_RSRC2:TGID_Z_EN: 0
; COMPUTE_PGM_RSRC2:TIDIG_COMP_CNT: 0
; COMPUTE_PGM_RSRC3_GFX90A:ACCUM_OFFSET: 0
; COMPUTE_PGM_RSRC3_GFX90A:TG_SPLIT: 0
	.section	.text._ZN7rocprim17ROCPRIM_400000_NS6detail17trampoline_kernelINS0_14default_configENS1_38merge_sort_block_merge_config_selectorI14custom_numericNS0_10empty_typeEEEZZNS1_27merge_sort_block_merge_implIS3_N6thrust23THRUST_200600_302600_NS6detail15normal_iteratorINSA_10device_ptrIS5_EEEEPS6_m14custom_greaterIS5_EEE10hipError_tT0_T1_T2_jT3_P12ihipStream_tbPNSt15iterator_traitsISK_E10value_typeEPNSQ_ISL_E10value_typeEPSM_NS1_7vsmem_tEENKUlT_SK_SL_SM_E_clISF_PS5_SG_SG_EESJ_SZ_SK_SL_SM_EUlSZ_E0_NS1_11comp_targetILNS1_3genE2ELNS1_11target_archE906ELNS1_3gpuE6ELNS1_3repE0EEENS1_38merge_mergepath_config_static_selectorELNS0_4arch9wavefront6targetE1EEEvSL_,"axG",@progbits,_ZN7rocprim17ROCPRIM_400000_NS6detail17trampoline_kernelINS0_14default_configENS1_38merge_sort_block_merge_config_selectorI14custom_numericNS0_10empty_typeEEEZZNS1_27merge_sort_block_merge_implIS3_N6thrust23THRUST_200600_302600_NS6detail15normal_iteratorINSA_10device_ptrIS5_EEEEPS6_m14custom_greaterIS5_EEE10hipError_tT0_T1_T2_jT3_P12ihipStream_tbPNSt15iterator_traitsISK_E10value_typeEPNSQ_ISL_E10value_typeEPSM_NS1_7vsmem_tEENKUlT_SK_SL_SM_E_clISF_PS5_SG_SG_EESJ_SZ_SK_SL_SM_EUlSZ_E0_NS1_11comp_targetILNS1_3genE2ELNS1_11target_archE906ELNS1_3gpuE6ELNS1_3repE0EEENS1_38merge_mergepath_config_static_selectorELNS0_4arch9wavefront6targetE1EEEvSL_,comdat
	.protected	_ZN7rocprim17ROCPRIM_400000_NS6detail17trampoline_kernelINS0_14default_configENS1_38merge_sort_block_merge_config_selectorI14custom_numericNS0_10empty_typeEEEZZNS1_27merge_sort_block_merge_implIS3_N6thrust23THRUST_200600_302600_NS6detail15normal_iteratorINSA_10device_ptrIS5_EEEEPS6_m14custom_greaterIS5_EEE10hipError_tT0_T1_T2_jT3_P12ihipStream_tbPNSt15iterator_traitsISK_E10value_typeEPNSQ_ISL_E10value_typeEPSM_NS1_7vsmem_tEENKUlT_SK_SL_SM_E_clISF_PS5_SG_SG_EESJ_SZ_SK_SL_SM_EUlSZ_E0_NS1_11comp_targetILNS1_3genE2ELNS1_11target_archE906ELNS1_3gpuE6ELNS1_3repE0EEENS1_38merge_mergepath_config_static_selectorELNS0_4arch9wavefront6targetE1EEEvSL_ ; -- Begin function _ZN7rocprim17ROCPRIM_400000_NS6detail17trampoline_kernelINS0_14default_configENS1_38merge_sort_block_merge_config_selectorI14custom_numericNS0_10empty_typeEEEZZNS1_27merge_sort_block_merge_implIS3_N6thrust23THRUST_200600_302600_NS6detail15normal_iteratorINSA_10device_ptrIS5_EEEEPS6_m14custom_greaterIS5_EEE10hipError_tT0_T1_T2_jT3_P12ihipStream_tbPNSt15iterator_traitsISK_E10value_typeEPNSQ_ISL_E10value_typeEPSM_NS1_7vsmem_tEENKUlT_SK_SL_SM_E_clISF_PS5_SG_SG_EESJ_SZ_SK_SL_SM_EUlSZ_E0_NS1_11comp_targetILNS1_3genE2ELNS1_11target_archE906ELNS1_3gpuE6ELNS1_3repE0EEENS1_38merge_mergepath_config_static_selectorELNS0_4arch9wavefront6targetE1EEEvSL_
	.globl	_ZN7rocprim17ROCPRIM_400000_NS6detail17trampoline_kernelINS0_14default_configENS1_38merge_sort_block_merge_config_selectorI14custom_numericNS0_10empty_typeEEEZZNS1_27merge_sort_block_merge_implIS3_N6thrust23THRUST_200600_302600_NS6detail15normal_iteratorINSA_10device_ptrIS5_EEEEPS6_m14custom_greaterIS5_EEE10hipError_tT0_T1_T2_jT3_P12ihipStream_tbPNSt15iterator_traitsISK_E10value_typeEPNSQ_ISL_E10value_typeEPSM_NS1_7vsmem_tEENKUlT_SK_SL_SM_E_clISF_PS5_SG_SG_EESJ_SZ_SK_SL_SM_EUlSZ_E0_NS1_11comp_targetILNS1_3genE2ELNS1_11target_archE906ELNS1_3gpuE6ELNS1_3repE0EEENS1_38merge_mergepath_config_static_selectorELNS0_4arch9wavefront6targetE1EEEvSL_
	.p2align	8
	.type	_ZN7rocprim17ROCPRIM_400000_NS6detail17trampoline_kernelINS0_14default_configENS1_38merge_sort_block_merge_config_selectorI14custom_numericNS0_10empty_typeEEEZZNS1_27merge_sort_block_merge_implIS3_N6thrust23THRUST_200600_302600_NS6detail15normal_iteratorINSA_10device_ptrIS5_EEEEPS6_m14custom_greaterIS5_EEE10hipError_tT0_T1_T2_jT3_P12ihipStream_tbPNSt15iterator_traitsISK_E10value_typeEPNSQ_ISL_E10value_typeEPSM_NS1_7vsmem_tEENKUlT_SK_SL_SM_E_clISF_PS5_SG_SG_EESJ_SZ_SK_SL_SM_EUlSZ_E0_NS1_11comp_targetILNS1_3genE2ELNS1_11target_archE906ELNS1_3gpuE6ELNS1_3repE0EEENS1_38merge_mergepath_config_static_selectorELNS0_4arch9wavefront6targetE1EEEvSL_,@function
_ZN7rocprim17ROCPRIM_400000_NS6detail17trampoline_kernelINS0_14default_configENS1_38merge_sort_block_merge_config_selectorI14custom_numericNS0_10empty_typeEEEZZNS1_27merge_sort_block_merge_implIS3_N6thrust23THRUST_200600_302600_NS6detail15normal_iteratorINSA_10device_ptrIS5_EEEEPS6_m14custom_greaterIS5_EEE10hipError_tT0_T1_T2_jT3_P12ihipStream_tbPNSt15iterator_traitsISK_E10value_typeEPNSQ_ISL_E10value_typeEPSM_NS1_7vsmem_tEENKUlT_SK_SL_SM_E_clISF_PS5_SG_SG_EESJ_SZ_SK_SL_SM_EUlSZ_E0_NS1_11comp_targetILNS1_3genE2ELNS1_11target_archE906ELNS1_3gpuE6ELNS1_3repE0EEENS1_38merge_mergepath_config_static_selectorELNS0_4arch9wavefront6targetE1EEEvSL_: ; @_ZN7rocprim17ROCPRIM_400000_NS6detail17trampoline_kernelINS0_14default_configENS1_38merge_sort_block_merge_config_selectorI14custom_numericNS0_10empty_typeEEEZZNS1_27merge_sort_block_merge_implIS3_N6thrust23THRUST_200600_302600_NS6detail15normal_iteratorINSA_10device_ptrIS5_EEEEPS6_m14custom_greaterIS5_EEE10hipError_tT0_T1_T2_jT3_P12ihipStream_tbPNSt15iterator_traitsISK_E10value_typeEPNSQ_ISL_E10value_typeEPSM_NS1_7vsmem_tEENKUlT_SK_SL_SM_E_clISF_PS5_SG_SG_EESJ_SZ_SK_SL_SM_EUlSZ_E0_NS1_11comp_targetILNS1_3genE2ELNS1_11target_archE906ELNS1_3gpuE6ELNS1_3repE0EEENS1_38merge_mergepath_config_static_selectorELNS0_4arch9wavefront6targetE1EEEvSL_
; %bb.0:
	.section	.rodata,"a",@progbits
	.p2align	6, 0x0
	.amdhsa_kernel _ZN7rocprim17ROCPRIM_400000_NS6detail17trampoline_kernelINS0_14default_configENS1_38merge_sort_block_merge_config_selectorI14custom_numericNS0_10empty_typeEEEZZNS1_27merge_sort_block_merge_implIS3_N6thrust23THRUST_200600_302600_NS6detail15normal_iteratorINSA_10device_ptrIS5_EEEEPS6_m14custom_greaterIS5_EEE10hipError_tT0_T1_T2_jT3_P12ihipStream_tbPNSt15iterator_traitsISK_E10value_typeEPNSQ_ISL_E10value_typeEPSM_NS1_7vsmem_tEENKUlT_SK_SL_SM_E_clISF_PS5_SG_SG_EESJ_SZ_SK_SL_SM_EUlSZ_E0_NS1_11comp_targetILNS1_3genE2ELNS1_11target_archE906ELNS1_3gpuE6ELNS1_3repE0EEENS1_38merge_mergepath_config_static_selectorELNS0_4arch9wavefront6targetE1EEEvSL_
		.amdhsa_group_segment_fixed_size 0
		.amdhsa_private_segment_fixed_size 0
		.amdhsa_kernarg_size 72
		.amdhsa_user_sgpr_count 6
		.amdhsa_user_sgpr_private_segment_buffer 1
		.amdhsa_user_sgpr_dispatch_ptr 0
		.amdhsa_user_sgpr_queue_ptr 0
		.amdhsa_user_sgpr_kernarg_segment_ptr 1
		.amdhsa_user_sgpr_dispatch_id 0
		.amdhsa_user_sgpr_flat_scratch_init 0
		.amdhsa_user_sgpr_kernarg_preload_length 0
		.amdhsa_user_sgpr_kernarg_preload_offset 0
		.amdhsa_user_sgpr_private_segment_size 0
		.amdhsa_uses_dynamic_stack 0
		.amdhsa_system_sgpr_private_segment_wavefront_offset 0
		.amdhsa_system_sgpr_workgroup_id_x 1
		.amdhsa_system_sgpr_workgroup_id_y 0
		.amdhsa_system_sgpr_workgroup_id_z 0
		.amdhsa_system_sgpr_workgroup_info 0
		.amdhsa_system_vgpr_workitem_id 0
		.amdhsa_next_free_vgpr 1
		.amdhsa_next_free_sgpr 0
		.amdhsa_accum_offset 4
		.amdhsa_reserve_vcc 0
		.amdhsa_reserve_flat_scratch 0
		.amdhsa_float_round_mode_32 0
		.amdhsa_float_round_mode_16_64 0
		.amdhsa_float_denorm_mode_32 3
		.amdhsa_float_denorm_mode_16_64 3
		.amdhsa_dx10_clamp 1
		.amdhsa_ieee_mode 1
		.amdhsa_fp16_overflow 0
		.amdhsa_tg_split 0
		.amdhsa_exception_fp_ieee_invalid_op 0
		.amdhsa_exception_fp_denorm_src 0
		.amdhsa_exception_fp_ieee_div_zero 0
		.amdhsa_exception_fp_ieee_overflow 0
		.amdhsa_exception_fp_ieee_underflow 0
		.amdhsa_exception_fp_ieee_inexact 0
		.amdhsa_exception_int_div_zero 0
	.end_amdhsa_kernel
	.section	.text._ZN7rocprim17ROCPRIM_400000_NS6detail17trampoline_kernelINS0_14default_configENS1_38merge_sort_block_merge_config_selectorI14custom_numericNS0_10empty_typeEEEZZNS1_27merge_sort_block_merge_implIS3_N6thrust23THRUST_200600_302600_NS6detail15normal_iteratorINSA_10device_ptrIS5_EEEEPS6_m14custom_greaterIS5_EEE10hipError_tT0_T1_T2_jT3_P12ihipStream_tbPNSt15iterator_traitsISK_E10value_typeEPNSQ_ISL_E10value_typeEPSM_NS1_7vsmem_tEENKUlT_SK_SL_SM_E_clISF_PS5_SG_SG_EESJ_SZ_SK_SL_SM_EUlSZ_E0_NS1_11comp_targetILNS1_3genE2ELNS1_11target_archE906ELNS1_3gpuE6ELNS1_3repE0EEENS1_38merge_mergepath_config_static_selectorELNS0_4arch9wavefront6targetE1EEEvSL_,"axG",@progbits,_ZN7rocprim17ROCPRIM_400000_NS6detail17trampoline_kernelINS0_14default_configENS1_38merge_sort_block_merge_config_selectorI14custom_numericNS0_10empty_typeEEEZZNS1_27merge_sort_block_merge_implIS3_N6thrust23THRUST_200600_302600_NS6detail15normal_iteratorINSA_10device_ptrIS5_EEEEPS6_m14custom_greaterIS5_EEE10hipError_tT0_T1_T2_jT3_P12ihipStream_tbPNSt15iterator_traitsISK_E10value_typeEPNSQ_ISL_E10value_typeEPSM_NS1_7vsmem_tEENKUlT_SK_SL_SM_E_clISF_PS5_SG_SG_EESJ_SZ_SK_SL_SM_EUlSZ_E0_NS1_11comp_targetILNS1_3genE2ELNS1_11target_archE906ELNS1_3gpuE6ELNS1_3repE0EEENS1_38merge_mergepath_config_static_selectorELNS0_4arch9wavefront6targetE1EEEvSL_,comdat
.Lfunc_end3716:
	.size	_ZN7rocprim17ROCPRIM_400000_NS6detail17trampoline_kernelINS0_14default_configENS1_38merge_sort_block_merge_config_selectorI14custom_numericNS0_10empty_typeEEEZZNS1_27merge_sort_block_merge_implIS3_N6thrust23THRUST_200600_302600_NS6detail15normal_iteratorINSA_10device_ptrIS5_EEEEPS6_m14custom_greaterIS5_EEE10hipError_tT0_T1_T2_jT3_P12ihipStream_tbPNSt15iterator_traitsISK_E10value_typeEPNSQ_ISL_E10value_typeEPSM_NS1_7vsmem_tEENKUlT_SK_SL_SM_E_clISF_PS5_SG_SG_EESJ_SZ_SK_SL_SM_EUlSZ_E0_NS1_11comp_targetILNS1_3genE2ELNS1_11target_archE906ELNS1_3gpuE6ELNS1_3repE0EEENS1_38merge_mergepath_config_static_selectorELNS0_4arch9wavefront6targetE1EEEvSL_, .Lfunc_end3716-_ZN7rocprim17ROCPRIM_400000_NS6detail17trampoline_kernelINS0_14default_configENS1_38merge_sort_block_merge_config_selectorI14custom_numericNS0_10empty_typeEEEZZNS1_27merge_sort_block_merge_implIS3_N6thrust23THRUST_200600_302600_NS6detail15normal_iteratorINSA_10device_ptrIS5_EEEEPS6_m14custom_greaterIS5_EEE10hipError_tT0_T1_T2_jT3_P12ihipStream_tbPNSt15iterator_traitsISK_E10value_typeEPNSQ_ISL_E10value_typeEPSM_NS1_7vsmem_tEENKUlT_SK_SL_SM_E_clISF_PS5_SG_SG_EESJ_SZ_SK_SL_SM_EUlSZ_E0_NS1_11comp_targetILNS1_3genE2ELNS1_11target_archE906ELNS1_3gpuE6ELNS1_3repE0EEENS1_38merge_mergepath_config_static_selectorELNS0_4arch9wavefront6targetE1EEEvSL_
                                        ; -- End function
	.section	.AMDGPU.csdata,"",@progbits
; Kernel info:
; codeLenInByte = 0
; NumSgprs: 4
; NumVgprs: 0
; NumAgprs: 0
; TotalNumVgprs: 0
; ScratchSize: 0
; MemoryBound: 0
; FloatMode: 240
; IeeeMode: 1
; LDSByteSize: 0 bytes/workgroup (compile time only)
; SGPRBlocks: 0
; VGPRBlocks: 0
; NumSGPRsForWavesPerEU: 4
; NumVGPRsForWavesPerEU: 1
; AccumOffset: 4
; Occupancy: 8
; WaveLimiterHint : 0
; COMPUTE_PGM_RSRC2:SCRATCH_EN: 0
; COMPUTE_PGM_RSRC2:USER_SGPR: 6
; COMPUTE_PGM_RSRC2:TRAP_HANDLER: 0
; COMPUTE_PGM_RSRC2:TGID_X_EN: 1
; COMPUTE_PGM_RSRC2:TGID_Y_EN: 0
; COMPUTE_PGM_RSRC2:TGID_Z_EN: 0
; COMPUTE_PGM_RSRC2:TIDIG_COMP_CNT: 0
; COMPUTE_PGM_RSRC3_GFX90A:ACCUM_OFFSET: 0
; COMPUTE_PGM_RSRC3_GFX90A:TG_SPLIT: 0
	.section	.text._ZN7rocprim17ROCPRIM_400000_NS6detail17trampoline_kernelINS0_14default_configENS1_38merge_sort_block_merge_config_selectorI14custom_numericNS0_10empty_typeEEEZZNS1_27merge_sort_block_merge_implIS3_N6thrust23THRUST_200600_302600_NS6detail15normal_iteratorINSA_10device_ptrIS5_EEEEPS6_m14custom_greaterIS5_EEE10hipError_tT0_T1_T2_jT3_P12ihipStream_tbPNSt15iterator_traitsISK_E10value_typeEPNSQ_ISL_E10value_typeEPSM_NS1_7vsmem_tEENKUlT_SK_SL_SM_E_clISF_PS5_SG_SG_EESJ_SZ_SK_SL_SM_EUlSZ_E0_NS1_11comp_targetILNS1_3genE9ELNS1_11target_archE1100ELNS1_3gpuE3ELNS1_3repE0EEENS1_38merge_mergepath_config_static_selectorELNS0_4arch9wavefront6targetE1EEEvSL_,"axG",@progbits,_ZN7rocprim17ROCPRIM_400000_NS6detail17trampoline_kernelINS0_14default_configENS1_38merge_sort_block_merge_config_selectorI14custom_numericNS0_10empty_typeEEEZZNS1_27merge_sort_block_merge_implIS3_N6thrust23THRUST_200600_302600_NS6detail15normal_iteratorINSA_10device_ptrIS5_EEEEPS6_m14custom_greaterIS5_EEE10hipError_tT0_T1_T2_jT3_P12ihipStream_tbPNSt15iterator_traitsISK_E10value_typeEPNSQ_ISL_E10value_typeEPSM_NS1_7vsmem_tEENKUlT_SK_SL_SM_E_clISF_PS5_SG_SG_EESJ_SZ_SK_SL_SM_EUlSZ_E0_NS1_11comp_targetILNS1_3genE9ELNS1_11target_archE1100ELNS1_3gpuE3ELNS1_3repE0EEENS1_38merge_mergepath_config_static_selectorELNS0_4arch9wavefront6targetE1EEEvSL_,comdat
	.protected	_ZN7rocprim17ROCPRIM_400000_NS6detail17trampoline_kernelINS0_14default_configENS1_38merge_sort_block_merge_config_selectorI14custom_numericNS0_10empty_typeEEEZZNS1_27merge_sort_block_merge_implIS3_N6thrust23THRUST_200600_302600_NS6detail15normal_iteratorINSA_10device_ptrIS5_EEEEPS6_m14custom_greaterIS5_EEE10hipError_tT0_T1_T2_jT3_P12ihipStream_tbPNSt15iterator_traitsISK_E10value_typeEPNSQ_ISL_E10value_typeEPSM_NS1_7vsmem_tEENKUlT_SK_SL_SM_E_clISF_PS5_SG_SG_EESJ_SZ_SK_SL_SM_EUlSZ_E0_NS1_11comp_targetILNS1_3genE9ELNS1_11target_archE1100ELNS1_3gpuE3ELNS1_3repE0EEENS1_38merge_mergepath_config_static_selectorELNS0_4arch9wavefront6targetE1EEEvSL_ ; -- Begin function _ZN7rocprim17ROCPRIM_400000_NS6detail17trampoline_kernelINS0_14default_configENS1_38merge_sort_block_merge_config_selectorI14custom_numericNS0_10empty_typeEEEZZNS1_27merge_sort_block_merge_implIS3_N6thrust23THRUST_200600_302600_NS6detail15normal_iteratorINSA_10device_ptrIS5_EEEEPS6_m14custom_greaterIS5_EEE10hipError_tT0_T1_T2_jT3_P12ihipStream_tbPNSt15iterator_traitsISK_E10value_typeEPNSQ_ISL_E10value_typeEPSM_NS1_7vsmem_tEENKUlT_SK_SL_SM_E_clISF_PS5_SG_SG_EESJ_SZ_SK_SL_SM_EUlSZ_E0_NS1_11comp_targetILNS1_3genE9ELNS1_11target_archE1100ELNS1_3gpuE3ELNS1_3repE0EEENS1_38merge_mergepath_config_static_selectorELNS0_4arch9wavefront6targetE1EEEvSL_
	.globl	_ZN7rocprim17ROCPRIM_400000_NS6detail17trampoline_kernelINS0_14default_configENS1_38merge_sort_block_merge_config_selectorI14custom_numericNS0_10empty_typeEEEZZNS1_27merge_sort_block_merge_implIS3_N6thrust23THRUST_200600_302600_NS6detail15normal_iteratorINSA_10device_ptrIS5_EEEEPS6_m14custom_greaterIS5_EEE10hipError_tT0_T1_T2_jT3_P12ihipStream_tbPNSt15iterator_traitsISK_E10value_typeEPNSQ_ISL_E10value_typeEPSM_NS1_7vsmem_tEENKUlT_SK_SL_SM_E_clISF_PS5_SG_SG_EESJ_SZ_SK_SL_SM_EUlSZ_E0_NS1_11comp_targetILNS1_3genE9ELNS1_11target_archE1100ELNS1_3gpuE3ELNS1_3repE0EEENS1_38merge_mergepath_config_static_selectorELNS0_4arch9wavefront6targetE1EEEvSL_
	.p2align	8
	.type	_ZN7rocprim17ROCPRIM_400000_NS6detail17trampoline_kernelINS0_14default_configENS1_38merge_sort_block_merge_config_selectorI14custom_numericNS0_10empty_typeEEEZZNS1_27merge_sort_block_merge_implIS3_N6thrust23THRUST_200600_302600_NS6detail15normal_iteratorINSA_10device_ptrIS5_EEEEPS6_m14custom_greaterIS5_EEE10hipError_tT0_T1_T2_jT3_P12ihipStream_tbPNSt15iterator_traitsISK_E10value_typeEPNSQ_ISL_E10value_typeEPSM_NS1_7vsmem_tEENKUlT_SK_SL_SM_E_clISF_PS5_SG_SG_EESJ_SZ_SK_SL_SM_EUlSZ_E0_NS1_11comp_targetILNS1_3genE9ELNS1_11target_archE1100ELNS1_3gpuE3ELNS1_3repE0EEENS1_38merge_mergepath_config_static_selectorELNS0_4arch9wavefront6targetE1EEEvSL_,@function
_ZN7rocprim17ROCPRIM_400000_NS6detail17trampoline_kernelINS0_14default_configENS1_38merge_sort_block_merge_config_selectorI14custom_numericNS0_10empty_typeEEEZZNS1_27merge_sort_block_merge_implIS3_N6thrust23THRUST_200600_302600_NS6detail15normal_iteratorINSA_10device_ptrIS5_EEEEPS6_m14custom_greaterIS5_EEE10hipError_tT0_T1_T2_jT3_P12ihipStream_tbPNSt15iterator_traitsISK_E10value_typeEPNSQ_ISL_E10value_typeEPSM_NS1_7vsmem_tEENKUlT_SK_SL_SM_E_clISF_PS5_SG_SG_EESJ_SZ_SK_SL_SM_EUlSZ_E0_NS1_11comp_targetILNS1_3genE9ELNS1_11target_archE1100ELNS1_3gpuE3ELNS1_3repE0EEENS1_38merge_mergepath_config_static_selectorELNS0_4arch9wavefront6targetE1EEEvSL_: ; @_ZN7rocprim17ROCPRIM_400000_NS6detail17trampoline_kernelINS0_14default_configENS1_38merge_sort_block_merge_config_selectorI14custom_numericNS0_10empty_typeEEEZZNS1_27merge_sort_block_merge_implIS3_N6thrust23THRUST_200600_302600_NS6detail15normal_iteratorINSA_10device_ptrIS5_EEEEPS6_m14custom_greaterIS5_EEE10hipError_tT0_T1_T2_jT3_P12ihipStream_tbPNSt15iterator_traitsISK_E10value_typeEPNSQ_ISL_E10value_typeEPSM_NS1_7vsmem_tEENKUlT_SK_SL_SM_E_clISF_PS5_SG_SG_EESJ_SZ_SK_SL_SM_EUlSZ_E0_NS1_11comp_targetILNS1_3genE9ELNS1_11target_archE1100ELNS1_3gpuE3ELNS1_3repE0EEENS1_38merge_mergepath_config_static_selectorELNS0_4arch9wavefront6targetE1EEEvSL_
; %bb.0:
	.section	.rodata,"a",@progbits
	.p2align	6, 0x0
	.amdhsa_kernel _ZN7rocprim17ROCPRIM_400000_NS6detail17trampoline_kernelINS0_14default_configENS1_38merge_sort_block_merge_config_selectorI14custom_numericNS0_10empty_typeEEEZZNS1_27merge_sort_block_merge_implIS3_N6thrust23THRUST_200600_302600_NS6detail15normal_iteratorINSA_10device_ptrIS5_EEEEPS6_m14custom_greaterIS5_EEE10hipError_tT0_T1_T2_jT3_P12ihipStream_tbPNSt15iterator_traitsISK_E10value_typeEPNSQ_ISL_E10value_typeEPSM_NS1_7vsmem_tEENKUlT_SK_SL_SM_E_clISF_PS5_SG_SG_EESJ_SZ_SK_SL_SM_EUlSZ_E0_NS1_11comp_targetILNS1_3genE9ELNS1_11target_archE1100ELNS1_3gpuE3ELNS1_3repE0EEENS1_38merge_mergepath_config_static_selectorELNS0_4arch9wavefront6targetE1EEEvSL_
		.amdhsa_group_segment_fixed_size 0
		.amdhsa_private_segment_fixed_size 0
		.amdhsa_kernarg_size 72
		.amdhsa_user_sgpr_count 6
		.amdhsa_user_sgpr_private_segment_buffer 1
		.amdhsa_user_sgpr_dispatch_ptr 0
		.amdhsa_user_sgpr_queue_ptr 0
		.amdhsa_user_sgpr_kernarg_segment_ptr 1
		.amdhsa_user_sgpr_dispatch_id 0
		.amdhsa_user_sgpr_flat_scratch_init 0
		.amdhsa_user_sgpr_kernarg_preload_length 0
		.amdhsa_user_sgpr_kernarg_preload_offset 0
		.amdhsa_user_sgpr_private_segment_size 0
		.amdhsa_uses_dynamic_stack 0
		.amdhsa_system_sgpr_private_segment_wavefront_offset 0
		.amdhsa_system_sgpr_workgroup_id_x 1
		.amdhsa_system_sgpr_workgroup_id_y 0
		.amdhsa_system_sgpr_workgroup_id_z 0
		.amdhsa_system_sgpr_workgroup_info 0
		.amdhsa_system_vgpr_workitem_id 0
		.amdhsa_next_free_vgpr 1
		.amdhsa_next_free_sgpr 0
		.amdhsa_accum_offset 4
		.amdhsa_reserve_vcc 0
		.amdhsa_reserve_flat_scratch 0
		.amdhsa_float_round_mode_32 0
		.amdhsa_float_round_mode_16_64 0
		.amdhsa_float_denorm_mode_32 3
		.amdhsa_float_denorm_mode_16_64 3
		.amdhsa_dx10_clamp 1
		.amdhsa_ieee_mode 1
		.amdhsa_fp16_overflow 0
		.amdhsa_tg_split 0
		.amdhsa_exception_fp_ieee_invalid_op 0
		.amdhsa_exception_fp_denorm_src 0
		.amdhsa_exception_fp_ieee_div_zero 0
		.amdhsa_exception_fp_ieee_overflow 0
		.amdhsa_exception_fp_ieee_underflow 0
		.amdhsa_exception_fp_ieee_inexact 0
		.amdhsa_exception_int_div_zero 0
	.end_amdhsa_kernel
	.section	.text._ZN7rocprim17ROCPRIM_400000_NS6detail17trampoline_kernelINS0_14default_configENS1_38merge_sort_block_merge_config_selectorI14custom_numericNS0_10empty_typeEEEZZNS1_27merge_sort_block_merge_implIS3_N6thrust23THRUST_200600_302600_NS6detail15normal_iteratorINSA_10device_ptrIS5_EEEEPS6_m14custom_greaterIS5_EEE10hipError_tT0_T1_T2_jT3_P12ihipStream_tbPNSt15iterator_traitsISK_E10value_typeEPNSQ_ISL_E10value_typeEPSM_NS1_7vsmem_tEENKUlT_SK_SL_SM_E_clISF_PS5_SG_SG_EESJ_SZ_SK_SL_SM_EUlSZ_E0_NS1_11comp_targetILNS1_3genE9ELNS1_11target_archE1100ELNS1_3gpuE3ELNS1_3repE0EEENS1_38merge_mergepath_config_static_selectorELNS0_4arch9wavefront6targetE1EEEvSL_,"axG",@progbits,_ZN7rocprim17ROCPRIM_400000_NS6detail17trampoline_kernelINS0_14default_configENS1_38merge_sort_block_merge_config_selectorI14custom_numericNS0_10empty_typeEEEZZNS1_27merge_sort_block_merge_implIS3_N6thrust23THRUST_200600_302600_NS6detail15normal_iteratorINSA_10device_ptrIS5_EEEEPS6_m14custom_greaterIS5_EEE10hipError_tT0_T1_T2_jT3_P12ihipStream_tbPNSt15iterator_traitsISK_E10value_typeEPNSQ_ISL_E10value_typeEPSM_NS1_7vsmem_tEENKUlT_SK_SL_SM_E_clISF_PS5_SG_SG_EESJ_SZ_SK_SL_SM_EUlSZ_E0_NS1_11comp_targetILNS1_3genE9ELNS1_11target_archE1100ELNS1_3gpuE3ELNS1_3repE0EEENS1_38merge_mergepath_config_static_selectorELNS0_4arch9wavefront6targetE1EEEvSL_,comdat
.Lfunc_end3717:
	.size	_ZN7rocprim17ROCPRIM_400000_NS6detail17trampoline_kernelINS0_14default_configENS1_38merge_sort_block_merge_config_selectorI14custom_numericNS0_10empty_typeEEEZZNS1_27merge_sort_block_merge_implIS3_N6thrust23THRUST_200600_302600_NS6detail15normal_iteratorINSA_10device_ptrIS5_EEEEPS6_m14custom_greaterIS5_EEE10hipError_tT0_T1_T2_jT3_P12ihipStream_tbPNSt15iterator_traitsISK_E10value_typeEPNSQ_ISL_E10value_typeEPSM_NS1_7vsmem_tEENKUlT_SK_SL_SM_E_clISF_PS5_SG_SG_EESJ_SZ_SK_SL_SM_EUlSZ_E0_NS1_11comp_targetILNS1_3genE9ELNS1_11target_archE1100ELNS1_3gpuE3ELNS1_3repE0EEENS1_38merge_mergepath_config_static_selectorELNS0_4arch9wavefront6targetE1EEEvSL_, .Lfunc_end3717-_ZN7rocprim17ROCPRIM_400000_NS6detail17trampoline_kernelINS0_14default_configENS1_38merge_sort_block_merge_config_selectorI14custom_numericNS0_10empty_typeEEEZZNS1_27merge_sort_block_merge_implIS3_N6thrust23THRUST_200600_302600_NS6detail15normal_iteratorINSA_10device_ptrIS5_EEEEPS6_m14custom_greaterIS5_EEE10hipError_tT0_T1_T2_jT3_P12ihipStream_tbPNSt15iterator_traitsISK_E10value_typeEPNSQ_ISL_E10value_typeEPSM_NS1_7vsmem_tEENKUlT_SK_SL_SM_E_clISF_PS5_SG_SG_EESJ_SZ_SK_SL_SM_EUlSZ_E0_NS1_11comp_targetILNS1_3genE9ELNS1_11target_archE1100ELNS1_3gpuE3ELNS1_3repE0EEENS1_38merge_mergepath_config_static_selectorELNS0_4arch9wavefront6targetE1EEEvSL_
                                        ; -- End function
	.section	.AMDGPU.csdata,"",@progbits
; Kernel info:
; codeLenInByte = 0
; NumSgprs: 4
; NumVgprs: 0
; NumAgprs: 0
; TotalNumVgprs: 0
; ScratchSize: 0
; MemoryBound: 0
; FloatMode: 240
; IeeeMode: 1
; LDSByteSize: 0 bytes/workgroup (compile time only)
; SGPRBlocks: 0
; VGPRBlocks: 0
; NumSGPRsForWavesPerEU: 4
; NumVGPRsForWavesPerEU: 1
; AccumOffset: 4
; Occupancy: 8
; WaveLimiterHint : 0
; COMPUTE_PGM_RSRC2:SCRATCH_EN: 0
; COMPUTE_PGM_RSRC2:USER_SGPR: 6
; COMPUTE_PGM_RSRC2:TRAP_HANDLER: 0
; COMPUTE_PGM_RSRC2:TGID_X_EN: 1
; COMPUTE_PGM_RSRC2:TGID_Y_EN: 0
; COMPUTE_PGM_RSRC2:TGID_Z_EN: 0
; COMPUTE_PGM_RSRC2:TIDIG_COMP_CNT: 0
; COMPUTE_PGM_RSRC3_GFX90A:ACCUM_OFFSET: 0
; COMPUTE_PGM_RSRC3_GFX90A:TG_SPLIT: 0
	.section	.text._ZN7rocprim17ROCPRIM_400000_NS6detail17trampoline_kernelINS0_14default_configENS1_38merge_sort_block_merge_config_selectorI14custom_numericNS0_10empty_typeEEEZZNS1_27merge_sort_block_merge_implIS3_N6thrust23THRUST_200600_302600_NS6detail15normal_iteratorINSA_10device_ptrIS5_EEEEPS6_m14custom_greaterIS5_EEE10hipError_tT0_T1_T2_jT3_P12ihipStream_tbPNSt15iterator_traitsISK_E10value_typeEPNSQ_ISL_E10value_typeEPSM_NS1_7vsmem_tEENKUlT_SK_SL_SM_E_clISF_PS5_SG_SG_EESJ_SZ_SK_SL_SM_EUlSZ_E0_NS1_11comp_targetILNS1_3genE8ELNS1_11target_archE1030ELNS1_3gpuE2ELNS1_3repE0EEENS1_38merge_mergepath_config_static_selectorELNS0_4arch9wavefront6targetE1EEEvSL_,"axG",@progbits,_ZN7rocprim17ROCPRIM_400000_NS6detail17trampoline_kernelINS0_14default_configENS1_38merge_sort_block_merge_config_selectorI14custom_numericNS0_10empty_typeEEEZZNS1_27merge_sort_block_merge_implIS3_N6thrust23THRUST_200600_302600_NS6detail15normal_iteratorINSA_10device_ptrIS5_EEEEPS6_m14custom_greaterIS5_EEE10hipError_tT0_T1_T2_jT3_P12ihipStream_tbPNSt15iterator_traitsISK_E10value_typeEPNSQ_ISL_E10value_typeEPSM_NS1_7vsmem_tEENKUlT_SK_SL_SM_E_clISF_PS5_SG_SG_EESJ_SZ_SK_SL_SM_EUlSZ_E0_NS1_11comp_targetILNS1_3genE8ELNS1_11target_archE1030ELNS1_3gpuE2ELNS1_3repE0EEENS1_38merge_mergepath_config_static_selectorELNS0_4arch9wavefront6targetE1EEEvSL_,comdat
	.protected	_ZN7rocprim17ROCPRIM_400000_NS6detail17trampoline_kernelINS0_14default_configENS1_38merge_sort_block_merge_config_selectorI14custom_numericNS0_10empty_typeEEEZZNS1_27merge_sort_block_merge_implIS3_N6thrust23THRUST_200600_302600_NS6detail15normal_iteratorINSA_10device_ptrIS5_EEEEPS6_m14custom_greaterIS5_EEE10hipError_tT0_T1_T2_jT3_P12ihipStream_tbPNSt15iterator_traitsISK_E10value_typeEPNSQ_ISL_E10value_typeEPSM_NS1_7vsmem_tEENKUlT_SK_SL_SM_E_clISF_PS5_SG_SG_EESJ_SZ_SK_SL_SM_EUlSZ_E0_NS1_11comp_targetILNS1_3genE8ELNS1_11target_archE1030ELNS1_3gpuE2ELNS1_3repE0EEENS1_38merge_mergepath_config_static_selectorELNS0_4arch9wavefront6targetE1EEEvSL_ ; -- Begin function _ZN7rocprim17ROCPRIM_400000_NS6detail17trampoline_kernelINS0_14default_configENS1_38merge_sort_block_merge_config_selectorI14custom_numericNS0_10empty_typeEEEZZNS1_27merge_sort_block_merge_implIS3_N6thrust23THRUST_200600_302600_NS6detail15normal_iteratorINSA_10device_ptrIS5_EEEEPS6_m14custom_greaterIS5_EEE10hipError_tT0_T1_T2_jT3_P12ihipStream_tbPNSt15iterator_traitsISK_E10value_typeEPNSQ_ISL_E10value_typeEPSM_NS1_7vsmem_tEENKUlT_SK_SL_SM_E_clISF_PS5_SG_SG_EESJ_SZ_SK_SL_SM_EUlSZ_E0_NS1_11comp_targetILNS1_3genE8ELNS1_11target_archE1030ELNS1_3gpuE2ELNS1_3repE0EEENS1_38merge_mergepath_config_static_selectorELNS0_4arch9wavefront6targetE1EEEvSL_
	.globl	_ZN7rocprim17ROCPRIM_400000_NS6detail17trampoline_kernelINS0_14default_configENS1_38merge_sort_block_merge_config_selectorI14custom_numericNS0_10empty_typeEEEZZNS1_27merge_sort_block_merge_implIS3_N6thrust23THRUST_200600_302600_NS6detail15normal_iteratorINSA_10device_ptrIS5_EEEEPS6_m14custom_greaterIS5_EEE10hipError_tT0_T1_T2_jT3_P12ihipStream_tbPNSt15iterator_traitsISK_E10value_typeEPNSQ_ISL_E10value_typeEPSM_NS1_7vsmem_tEENKUlT_SK_SL_SM_E_clISF_PS5_SG_SG_EESJ_SZ_SK_SL_SM_EUlSZ_E0_NS1_11comp_targetILNS1_3genE8ELNS1_11target_archE1030ELNS1_3gpuE2ELNS1_3repE0EEENS1_38merge_mergepath_config_static_selectorELNS0_4arch9wavefront6targetE1EEEvSL_
	.p2align	8
	.type	_ZN7rocprim17ROCPRIM_400000_NS6detail17trampoline_kernelINS0_14default_configENS1_38merge_sort_block_merge_config_selectorI14custom_numericNS0_10empty_typeEEEZZNS1_27merge_sort_block_merge_implIS3_N6thrust23THRUST_200600_302600_NS6detail15normal_iteratorINSA_10device_ptrIS5_EEEEPS6_m14custom_greaterIS5_EEE10hipError_tT0_T1_T2_jT3_P12ihipStream_tbPNSt15iterator_traitsISK_E10value_typeEPNSQ_ISL_E10value_typeEPSM_NS1_7vsmem_tEENKUlT_SK_SL_SM_E_clISF_PS5_SG_SG_EESJ_SZ_SK_SL_SM_EUlSZ_E0_NS1_11comp_targetILNS1_3genE8ELNS1_11target_archE1030ELNS1_3gpuE2ELNS1_3repE0EEENS1_38merge_mergepath_config_static_selectorELNS0_4arch9wavefront6targetE1EEEvSL_,@function
_ZN7rocprim17ROCPRIM_400000_NS6detail17trampoline_kernelINS0_14default_configENS1_38merge_sort_block_merge_config_selectorI14custom_numericNS0_10empty_typeEEEZZNS1_27merge_sort_block_merge_implIS3_N6thrust23THRUST_200600_302600_NS6detail15normal_iteratorINSA_10device_ptrIS5_EEEEPS6_m14custom_greaterIS5_EEE10hipError_tT0_T1_T2_jT3_P12ihipStream_tbPNSt15iterator_traitsISK_E10value_typeEPNSQ_ISL_E10value_typeEPSM_NS1_7vsmem_tEENKUlT_SK_SL_SM_E_clISF_PS5_SG_SG_EESJ_SZ_SK_SL_SM_EUlSZ_E0_NS1_11comp_targetILNS1_3genE8ELNS1_11target_archE1030ELNS1_3gpuE2ELNS1_3repE0EEENS1_38merge_mergepath_config_static_selectorELNS0_4arch9wavefront6targetE1EEEvSL_: ; @_ZN7rocprim17ROCPRIM_400000_NS6detail17trampoline_kernelINS0_14default_configENS1_38merge_sort_block_merge_config_selectorI14custom_numericNS0_10empty_typeEEEZZNS1_27merge_sort_block_merge_implIS3_N6thrust23THRUST_200600_302600_NS6detail15normal_iteratorINSA_10device_ptrIS5_EEEEPS6_m14custom_greaterIS5_EEE10hipError_tT0_T1_T2_jT3_P12ihipStream_tbPNSt15iterator_traitsISK_E10value_typeEPNSQ_ISL_E10value_typeEPSM_NS1_7vsmem_tEENKUlT_SK_SL_SM_E_clISF_PS5_SG_SG_EESJ_SZ_SK_SL_SM_EUlSZ_E0_NS1_11comp_targetILNS1_3genE8ELNS1_11target_archE1030ELNS1_3gpuE2ELNS1_3repE0EEENS1_38merge_mergepath_config_static_selectorELNS0_4arch9wavefront6targetE1EEEvSL_
; %bb.0:
	.section	.rodata,"a",@progbits
	.p2align	6, 0x0
	.amdhsa_kernel _ZN7rocprim17ROCPRIM_400000_NS6detail17trampoline_kernelINS0_14default_configENS1_38merge_sort_block_merge_config_selectorI14custom_numericNS0_10empty_typeEEEZZNS1_27merge_sort_block_merge_implIS3_N6thrust23THRUST_200600_302600_NS6detail15normal_iteratorINSA_10device_ptrIS5_EEEEPS6_m14custom_greaterIS5_EEE10hipError_tT0_T1_T2_jT3_P12ihipStream_tbPNSt15iterator_traitsISK_E10value_typeEPNSQ_ISL_E10value_typeEPSM_NS1_7vsmem_tEENKUlT_SK_SL_SM_E_clISF_PS5_SG_SG_EESJ_SZ_SK_SL_SM_EUlSZ_E0_NS1_11comp_targetILNS1_3genE8ELNS1_11target_archE1030ELNS1_3gpuE2ELNS1_3repE0EEENS1_38merge_mergepath_config_static_selectorELNS0_4arch9wavefront6targetE1EEEvSL_
		.amdhsa_group_segment_fixed_size 0
		.amdhsa_private_segment_fixed_size 0
		.amdhsa_kernarg_size 72
		.amdhsa_user_sgpr_count 6
		.amdhsa_user_sgpr_private_segment_buffer 1
		.amdhsa_user_sgpr_dispatch_ptr 0
		.amdhsa_user_sgpr_queue_ptr 0
		.amdhsa_user_sgpr_kernarg_segment_ptr 1
		.amdhsa_user_sgpr_dispatch_id 0
		.amdhsa_user_sgpr_flat_scratch_init 0
		.amdhsa_user_sgpr_kernarg_preload_length 0
		.amdhsa_user_sgpr_kernarg_preload_offset 0
		.amdhsa_user_sgpr_private_segment_size 0
		.amdhsa_uses_dynamic_stack 0
		.amdhsa_system_sgpr_private_segment_wavefront_offset 0
		.amdhsa_system_sgpr_workgroup_id_x 1
		.amdhsa_system_sgpr_workgroup_id_y 0
		.amdhsa_system_sgpr_workgroup_id_z 0
		.amdhsa_system_sgpr_workgroup_info 0
		.amdhsa_system_vgpr_workitem_id 0
		.amdhsa_next_free_vgpr 1
		.amdhsa_next_free_sgpr 0
		.amdhsa_accum_offset 4
		.amdhsa_reserve_vcc 0
		.amdhsa_reserve_flat_scratch 0
		.amdhsa_float_round_mode_32 0
		.amdhsa_float_round_mode_16_64 0
		.amdhsa_float_denorm_mode_32 3
		.amdhsa_float_denorm_mode_16_64 3
		.amdhsa_dx10_clamp 1
		.amdhsa_ieee_mode 1
		.amdhsa_fp16_overflow 0
		.amdhsa_tg_split 0
		.amdhsa_exception_fp_ieee_invalid_op 0
		.amdhsa_exception_fp_denorm_src 0
		.amdhsa_exception_fp_ieee_div_zero 0
		.amdhsa_exception_fp_ieee_overflow 0
		.amdhsa_exception_fp_ieee_underflow 0
		.amdhsa_exception_fp_ieee_inexact 0
		.amdhsa_exception_int_div_zero 0
	.end_amdhsa_kernel
	.section	.text._ZN7rocprim17ROCPRIM_400000_NS6detail17trampoline_kernelINS0_14default_configENS1_38merge_sort_block_merge_config_selectorI14custom_numericNS0_10empty_typeEEEZZNS1_27merge_sort_block_merge_implIS3_N6thrust23THRUST_200600_302600_NS6detail15normal_iteratorINSA_10device_ptrIS5_EEEEPS6_m14custom_greaterIS5_EEE10hipError_tT0_T1_T2_jT3_P12ihipStream_tbPNSt15iterator_traitsISK_E10value_typeEPNSQ_ISL_E10value_typeEPSM_NS1_7vsmem_tEENKUlT_SK_SL_SM_E_clISF_PS5_SG_SG_EESJ_SZ_SK_SL_SM_EUlSZ_E0_NS1_11comp_targetILNS1_3genE8ELNS1_11target_archE1030ELNS1_3gpuE2ELNS1_3repE0EEENS1_38merge_mergepath_config_static_selectorELNS0_4arch9wavefront6targetE1EEEvSL_,"axG",@progbits,_ZN7rocprim17ROCPRIM_400000_NS6detail17trampoline_kernelINS0_14default_configENS1_38merge_sort_block_merge_config_selectorI14custom_numericNS0_10empty_typeEEEZZNS1_27merge_sort_block_merge_implIS3_N6thrust23THRUST_200600_302600_NS6detail15normal_iteratorINSA_10device_ptrIS5_EEEEPS6_m14custom_greaterIS5_EEE10hipError_tT0_T1_T2_jT3_P12ihipStream_tbPNSt15iterator_traitsISK_E10value_typeEPNSQ_ISL_E10value_typeEPSM_NS1_7vsmem_tEENKUlT_SK_SL_SM_E_clISF_PS5_SG_SG_EESJ_SZ_SK_SL_SM_EUlSZ_E0_NS1_11comp_targetILNS1_3genE8ELNS1_11target_archE1030ELNS1_3gpuE2ELNS1_3repE0EEENS1_38merge_mergepath_config_static_selectorELNS0_4arch9wavefront6targetE1EEEvSL_,comdat
.Lfunc_end3718:
	.size	_ZN7rocprim17ROCPRIM_400000_NS6detail17trampoline_kernelINS0_14default_configENS1_38merge_sort_block_merge_config_selectorI14custom_numericNS0_10empty_typeEEEZZNS1_27merge_sort_block_merge_implIS3_N6thrust23THRUST_200600_302600_NS6detail15normal_iteratorINSA_10device_ptrIS5_EEEEPS6_m14custom_greaterIS5_EEE10hipError_tT0_T1_T2_jT3_P12ihipStream_tbPNSt15iterator_traitsISK_E10value_typeEPNSQ_ISL_E10value_typeEPSM_NS1_7vsmem_tEENKUlT_SK_SL_SM_E_clISF_PS5_SG_SG_EESJ_SZ_SK_SL_SM_EUlSZ_E0_NS1_11comp_targetILNS1_3genE8ELNS1_11target_archE1030ELNS1_3gpuE2ELNS1_3repE0EEENS1_38merge_mergepath_config_static_selectorELNS0_4arch9wavefront6targetE1EEEvSL_, .Lfunc_end3718-_ZN7rocprim17ROCPRIM_400000_NS6detail17trampoline_kernelINS0_14default_configENS1_38merge_sort_block_merge_config_selectorI14custom_numericNS0_10empty_typeEEEZZNS1_27merge_sort_block_merge_implIS3_N6thrust23THRUST_200600_302600_NS6detail15normal_iteratorINSA_10device_ptrIS5_EEEEPS6_m14custom_greaterIS5_EEE10hipError_tT0_T1_T2_jT3_P12ihipStream_tbPNSt15iterator_traitsISK_E10value_typeEPNSQ_ISL_E10value_typeEPSM_NS1_7vsmem_tEENKUlT_SK_SL_SM_E_clISF_PS5_SG_SG_EESJ_SZ_SK_SL_SM_EUlSZ_E0_NS1_11comp_targetILNS1_3genE8ELNS1_11target_archE1030ELNS1_3gpuE2ELNS1_3repE0EEENS1_38merge_mergepath_config_static_selectorELNS0_4arch9wavefront6targetE1EEEvSL_
                                        ; -- End function
	.section	.AMDGPU.csdata,"",@progbits
; Kernel info:
; codeLenInByte = 0
; NumSgprs: 4
; NumVgprs: 0
; NumAgprs: 0
; TotalNumVgprs: 0
; ScratchSize: 0
; MemoryBound: 0
; FloatMode: 240
; IeeeMode: 1
; LDSByteSize: 0 bytes/workgroup (compile time only)
; SGPRBlocks: 0
; VGPRBlocks: 0
; NumSGPRsForWavesPerEU: 4
; NumVGPRsForWavesPerEU: 1
; AccumOffset: 4
; Occupancy: 8
; WaveLimiterHint : 0
; COMPUTE_PGM_RSRC2:SCRATCH_EN: 0
; COMPUTE_PGM_RSRC2:USER_SGPR: 6
; COMPUTE_PGM_RSRC2:TRAP_HANDLER: 0
; COMPUTE_PGM_RSRC2:TGID_X_EN: 1
; COMPUTE_PGM_RSRC2:TGID_Y_EN: 0
; COMPUTE_PGM_RSRC2:TGID_Z_EN: 0
; COMPUTE_PGM_RSRC2:TIDIG_COMP_CNT: 0
; COMPUTE_PGM_RSRC3_GFX90A:ACCUM_OFFSET: 0
; COMPUTE_PGM_RSRC3_GFX90A:TG_SPLIT: 0
	.section	.text._ZN7rocprim17ROCPRIM_400000_NS6detail17trampoline_kernelINS0_14default_configENS1_38merge_sort_block_merge_config_selectorI14custom_numericNS0_10empty_typeEEEZZNS1_27merge_sort_block_merge_implIS3_N6thrust23THRUST_200600_302600_NS6detail15normal_iteratorINSA_10device_ptrIS5_EEEEPS6_m14custom_greaterIS5_EEE10hipError_tT0_T1_T2_jT3_P12ihipStream_tbPNSt15iterator_traitsISK_E10value_typeEPNSQ_ISL_E10value_typeEPSM_NS1_7vsmem_tEENKUlT_SK_SL_SM_E_clISF_PS5_SG_SG_EESJ_SZ_SK_SL_SM_EUlSZ_E1_NS1_11comp_targetILNS1_3genE0ELNS1_11target_archE4294967295ELNS1_3gpuE0ELNS1_3repE0EEENS1_36merge_oddeven_config_static_selectorELNS0_4arch9wavefront6targetE1EEEvSL_,"axG",@progbits,_ZN7rocprim17ROCPRIM_400000_NS6detail17trampoline_kernelINS0_14default_configENS1_38merge_sort_block_merge_config_selectorI14custom_numericNS0_10empty_typeEEEZZNS1_27merge_sort_block_merge_implIS3_N6thrust23THRUST_200600_302600_NS6detail15normal_iteratorINSA_10device_ptrIS5_EEEEPS6_m14custom_greaterIS5_EEE10hipError_tT0_T1_T2_jT3_P12ihipStream_tbPNSt15iterator_traitsISK_E10value_typeEPNSQ_ISL_E10value_typeEPSM_NS1_7vsmem_tEENKUlT_SK_SL_SM_E_clISF_PS5_SG_SG_EESJ_SZ_SK_SL_SM_EUlSZ_E1_NS1_11comp_targetILNS1_3genE0ELNS1_11target_archE4294967295ELNS1_3gpuE0ELNS1_3repE0EEENS1_36merge_oddeven_config_static_selectorELNS0_4arch9wavefront6targetE1EEEvSL_,comdat
	.protected	_ZN7rocprim17ROCPRIM_400000_NS6detail17trampoline_kernelINS0_14default_configENS1_38merge_sort_block_merge_config_selectorI14custom_numericNS0_10empty_typeEEEZZNS1_27merge_sort_block_merge_implIS3_N6thrust23THRUST_200600_302600_NS6detail15normal_iteratorINSA_10device_ptrIS5_EEEEPS6_m14custom_greaterIS5_EEE10hipError_tT0_T1_T2_jT3_P12ihipStream_tbPNSt15iterator_traitsISK_E10value_typeEPNSQ_ISL_E10value_typeEPSM_NS1_7vsmem_tEENKUlT_SK_SL_SM_E_clISF_PS5_SG_SG_EESJ_SZ_SK_SL_SM_EUlSZ_E1_NS1_11comp_targetILNS1_3genE0ELNS1_11target_archE4294967295ELNS1_3gpuE0ELNS1_3repE0EEENS1_36merge_oddeven_config_static_selectorELNS0_4arch9wavefront6targetE1EEEvSL_ ; -- Begin function _ZN7rocprim17ROCPRIM_400000_NS6detail17trampoline_kernelINS0_14default_configENS1_38merge_sort_block_merge_config_selectorI14custom_numericNS0_10empty_typeEEEZZNS1_27merge_sort_block_merge_implIS3_N6thrust23THRUST_200600_302600_NS6detail15normal_iteratorINSA_10device_ptrIS5_EEEEPS6_m14custom_greaterIS5_EEE10hipError_tT0_T1_T2_jT3_P12ihipStream_tbPNSt15iterator_traitsISK_E10value_typeEPNSQ_ISL_E10value_typeEPSM_NS1_7vsmem_tEENKUlT_SK_SL_SM_E_clISF_PS5_SG_SG_EESJ_SZ_SK_SL_SM_EUlSZ_E1_NS1_11comp_targetILNS1_3genE0ELNS1_11target_archE4294967295ELNS1_3gpuE0ELNS1_3repE0EEENS1_36merge_oddeven_config_static_selectorELNS0_4arch9wavefront6targetE1EEEvSL_
	.globl	_ZN7rocprim17ROCPRIM_400000_NS6detail17trampoline_kernelINS0_14default_configENS1_38merge_sort_block_merge_config_selectorI14custom_numericNS0_10empty_typeEEEZZNS1_27merge_sort_block_merge_implIS3_N6thrust23THRUST_200600_302600_NS6detail15normal_iteratorINSA_10device_ptrIS5_EEEEPS6_m14custom_greaterIS5_EEE10hipError_tT0_T1_T2_jT3_P12ihipStream_tbPNSt15iterator_traitsISK_E10value_typeEPNSQ_ISL_E10value_typeEPSM_NS1_7vsmem_tEENKUlT_SK_SL_SM_E_clISF_PS5_SG_SG_EESJ_SZ_SK_SL_SM_EUlSZ_E1_NS1_11comp_targetILNS1_3genE0ELNS1_11target_archE4294967295ELNS1_3gpuE0ELNS1_3repE0EEENS1_36merge_oddeven_config_static_selectorELNS0_4arch9wavefront6targetE1EEEvSL_
	.p2align	8
	.type	_ZN7rocprim17ROCPRIM_400000_NS6detail17trampoline_kernelINS0_14default_configENS1_38merge_sort_block_merge_config_selectorI14custom_numericNS0_10empty_typeEEEZZNS1_27merge_sort_block_merge_implIS3_N6thrust23THRUST_200600_302600_NS6detail15normal_iteratorINSA_10device_ptrIS5_EEEEPS6_m14custom_greaterIS5_EEE10hipError_tT0_T1_T2_jT3_P12ihipStream_tbPNSt15iterator_traitsISK_E10value_typeEPNSQ_ISL_E10value_typeEPSM_NS1_7vsmem_tEENKUlT_SK_SL_SM_E_clISF_PS5_SG_SG_EESJ_SZ_SK_SL_SM_EUlSZ_E1_NS1_11comp_targetILNS1_3genE0ELNS1_11target_archE4294967295ELNS1_3gpuE0ELNS1_3repE0EEENS1_36merge_oddeven_config_static_selectorELNS0_4arch9wavefront6targetE1EEEvSL_,@function
_ZN7rocprim17ROCPRIM_400000_NS6detail17trampoline_kernelINS0_14default_configENS1_38merge_sort_block_merge_config_selectorI14custom_numericNS0_10empty_typeEEEZZNS1_27merge_sort_block_merge_implIS3_N6thrust23THRUST_200600_302600_NS6detail15normal_iteratorINSA_10device_ptrIS5_EEEEPS6_m14custom_greaterIS5_EEE10hipError_tT0_T1_T2_jT3_P12ihipStream_tbPNSt15iterator_traitsISK_E10value_typeEPNSQ_ISL_E10value_typeEPSM_NS1_7vsmem_tEENKUlT_SK_SL_SM_E_clISF_PS5_SG_SG_EESJ_SZ_SK_SL_SM_EUlSZ_E1_NS1_11comp_targetILNS1_3genE0ELNS1_11target_archE4294967295ELNS1_3gpuE0ELNS1_3repE0EEENS1_36merge_oddeven_config_static_selectorELNS0_4arch9wavefront6targetE1EEEvSL_: ; @_ZN7rocprim17ROCPRIM_400000_NS6detail17trampoline_kernelINS0_14default_configENS1_38merge_sort_block_merge_config_selectorI14custom_numericNS0_10empty_typeEEEZZNS1_27merge_sort_block_merge_implIS3_N6thrust23THRUST_200600_302600_NS6detail15normal_iteratorINSA_10device_ptrIS5_EEEEPS6_m14custom_greaterIS5_EEE10hipError_tT0_T1_T2_jT3_P12ihipStream_tbPNSt15iterator_traitsISK_E10value_typeEPNSQ_ISL_E10value_typeEPSM_NS1_7vsmem_tEENKUlT_SK_SL_SM_E_clISF_PS5_SG_SG_EESJ_SZ_SK_SL_SM_EUlSZ_E1_NS1_11comp_targetILNS1_3genE0ELNS1_11target_archE4294967295ELNS1_3gpuE0ELNS1_3repE0EEENS1_36merge_oddeven_config_static_selectorELNS0_4arch9wavefront6targetE1EEEvSL_
; %bb.0:
	.section	.rodata,"a",@progbits
	.p2align	6, 0x0
	.amdhsa_kernel _ZN7rocprim17ROCPRIM_400000_NS6detail17trampoline_kernelINS0_14default_configENS1_38merge_sort_block_merge_config_selectorI14custom_numericNS0_10empty_typeEEEZZNS1_27merge_sort_block_merge_implIS3_N6thrust23THRUST_200600_302600_NS6detail15normal_iteratorINSA_10device_ptrIS5_EEEEPS6_m14custom_greaterIS5_EEE10hipError_tT0_T1_T2_jT3_P12ihipStream_tbPNSt15iterator_traitsISK_E10value_typeEPNSQ_ISL_E10value_typeEPSM_NS1_7vsmem_tEENKUlT_SK_SL_SM_E_clISF_PS5_SG_SG_EESJ_SZ_SK_SL_SM_EUlSZ_E1_NS1_11comp_targetILNS1_3genE0ELNS1_11target_archE4294967295ELNS1_3gpuE0ELNS1_3repE0EEENS1_36merge_oddeven_config_static_selectorELNS0_4arch9wavefront6targetE1EEEvSL_
		.amdhsa_group_segment_fixed_size 0
		.amdhsa_private_segment_fixed_size 0
		.amdhsa_kernarg_size 56
		.amdhsa_user_sgpr_count 6
		.amdhsa_user_sgpr_private_segment_buffer 1
		.amdhsa_user_sgpr_dispatch_ptr 0
		.amdhsa_user_sgpr_queue_ptr 0
		.amdhsa_user_sgpr_kernarg_segment_ptr 1
		.amdhsa_user_sgpr_dispatch_id 0
		.amdhsa_user_sgpr_flat_scratch_init 0
		.amdhsa_user_sgpr_kernarg_preload_length 0
		.amdhsa_user_sgpr_kernarg_preload_offset 0
		.amdhsa_user_sgpr_private_segment_size 0
		.amdhsa_uses_dynamic_stack 0
		.amdhsa_system_sgpr_private_segment_wavefront_offset 0
		.amdhsa_system_sgpr_workgroup_id_x 1
		.amdhsa_system_sgpr_workgroup_id_y 0
		.amdhsa_system_sgpr_workgroup_id_z 0
		.amdhsa_system_sgpr_workgroup_info 0
		.amdhsa_system_vgpr_workitem_id 0
		.amdhsa_next_free_vgpr 1
		.amdhsa_next_free_sgpr 0
		.amdhsa_accum_offset 4
		.amdhsa_reserve_vcc 0
		.amdhsa_reserve_flat_scratch 0
		.amdhsa_float_round_mode_32 0
		.amdhsa_float_round_mode_16_64 0
		.amdhsa_float_denorm_mode_32 3
		.amdhsa_float_denorm_mode_16_64 3
		.amdhsa_dx10_clamp 1
		.amdhsa_ieee_mode 1
		.amdhsa_fp16_overflow 0
		.amdhsa_tg_split 0
		.amdhsa_exception_fp_ieee_invalid_op 0
		.amdhsa_exception_fp_denorm_src 0
		.amdhsa_exception_fp_ieee_div_zero 0
		.amdhsa_exception_fp_ieee_overflow 0
		.amdhsa_exception_fp_ieee_underflow 0
		.amdhsa_exception_fp_ieee_inexact 0
		.amdhsa_exception_int_div_zero 0
	.end_amdhsa_kernel
	.section	.text._ZN7rocprim17ROCPRIM_400000_NS6detail17trampoline_kernelINS0_14default_configENS1_38merge_sort_block_merge_config_selectorI14custom_numericNS0_10empty_typeEEEZZNS1_27merge_sort_block_merge_implIS3_N6thrust23THRUST_200600_302600_NS6detail15normal_iteratorINSA_10device_ptrIS5_EEEEPS6_m14custom_greaterIS5_EEE10hipError_tT0_T1_T2_jT3_P12ihipStream_tbPNSt15iterator_traitsISK_E10value_typeEPNSQ_ISL_E10value_typeEPSM_NS1_7vsmem_tEENKUlT_SK_SL_SM_E_clISF_PS5_SG_SG_EESJ_SZ_SK_SL_SM_EUlSZ_E1_NS1_11comp_targetILNS1_3genE0ELNS1_11target_archE4294967295ELNS1_3gpuE0ELNS1_3repE0EEENS1_36merge_oddeven_config_static_selectorELNS0_4arch9wavefront6targetE1EEEvSL_,"axG",@progbits,_ZN7rocprim17ROCPRIM_400000_NS6detail17trampoline_kernelINS0_14default_configENS1_38merge_sort_block_merge_config_selectorI14custom_numericNS0_10empty_typeEEEZZNS1_27merge_sort_block_merge_implIS3_N6thrust23THRUST_200600_302600_NS6detail15normal_iteratorINSA_10device_ptrIS5_EEEEPS6_m14custom_greaterIS5_EEE10hipError_tT0_T1_T2_jT3_P12ihipStream_tbPNSt15iterator_traitsISK_E10value_typeEPNSQ_ISL_E10value_typeEPSM_NS1_7vsmem_tEENKUlT_SK_SL_SM_E_clISF_PS5_SG_SG_EESJ_SZ_SK_SL_SM_EUlSZ_E1_NS1_11comp_targetILNS1_3genE0ELNS1_11target_archE4294967295ELNS1_3gpuE0ELNS1_3repE0EEENS1_36merge_oddeven_config_static_selectorELNS0_4arch9wavefront6targetE1EEEvSL_,comdat
.Lfunc_end3719:
	.size	_ZN7rocprim17ROCPRIM_400000_NS6detail17trampoline_kernelINS0_14default_configENS1_38merge_sort_block_merge_config_selectorI14custom_numericNS0_10empty_typeEEEZZNS1_27merge_sort_block_merge_implIS3_N6thrust23THRUST_200600_302600_NS6detail15normal_iteratorINSA_10device_ptrIS5_EEEEPS6_m14custom_greaterIS5_EEE10hipError_tT0_T1_T2_jT3_P12ihipStream_tbPNSt15iterator_traitsISK_E10value_typeEPNSQ_ISL_E10value_typeEPSM_NS1_7vsmem_tEENKUlT_SK_SL_SM_E_clISF_PS5_SG_SG_EESJ_SZ_SK_SL_SM_EUlSZ_E1_NS1_11comp_targetILNS1_3genE0ELNS1_11target_archE4294967295ELNS1_3gpuE0ELNS1_3repE0EEENS1_36merge_oddeven_config_static_selectorELNS0_4arch9wavefront6targetE1EEEvSL_, .Lfunc_end3719-_ZN7rocprim17ROCPRIM_400000_NS6detail17trampoline_kernelINS0_14default_configENS1_38merge_sort_block_merge_config_selectorI14custom_numericNS0_10empty_typeEEEZZNS1_27merge_sort_block_merge_implIS3_N6thrust23THRUST_200600_302600_NS6detail15normal_iteratorINSA_10device_ptrIS5_EEEEPS6_m14custom_greaterIS5_EEE10hipError_tT0_T1_T2_jT3_P12ihipStream_tbPNSt15iterator_traitsISK_E10value_typeEPNSQ_ISL_E10value_typeEPSM_NS1_7vsmem_tEENKUlT_SK_SL_SM_E_clISF_PS5_SG_SG_EESJ_SZ_SK_SL_SM_EUlSZ_E1_NS1_11comp_targetILNS1_3genE0ELNS1_11target_archE4294967295ELNS1_3gpuE0ELNS1_3repE0EEENS1_36merge_oddeven_config_static_selectorELNS0_4arch9wavefront6targetE1EEEvSL_
                                        ; -- End function
	.section	.AMDGPU.csdata,"",@progbits
; Kernel info:
; codeLenInByte = 0
; NumSgprs: 4
; NumVgprs: 0
; NumAgprs: 0
; TotalNumVgprs: 0
; ScratchSize: 0
; MemoryBound: 0
; FloatMode: 240
; IeeeMode: 1
; LDSByteSize: 0 bytes/workgroup (compile time only)
; SGPRBlocks: 0
; VGPRBlocks: 0
; NumSGPRsForWavesPerEU: 4
; NumVGPRsForWavesPerEU: 1
; AccumOffset: 4
; Occupancy: 8
; WaveLimiterHint : 0
; COMPUTE_PGM_RSRC2:SCRATCH_EN: 0
; COMPUTE_PGM_RSRC2:USER_SGPR: 6
; COMPUTE_PGM_RSRC2:TRAP_HANDLER: 0
; COMPUTE_PGM_RSRC2:TGID_X_EN: 1
; COMPUTE_PGM_RSRC2:TGID_Y_EN: 0
; COMPUTE_PGM_RSRC2:TGID_Z_EN: 0
; COMPUTE_PGM_RSRC2:TIDIG_COMP_CNT: 0
; COMPUTE_PGM_RSRC3_GFX90A:ACCUM_OFFSET: 0
; COMPUTE_PGM_RSRC3_GFX90A:TG_SPLIT: 0
	.section	.text._ZN7rocprim17ROCPRIM_400000_NS6detail17trampoline_kernelINS0_14default_configENS1_38merge_sort_block_merge_config_selectorI14custom_numericNS0_10empty_typeEEEZZNS1_27merge_sort_block_merge_implIS3_N6thrust23THRUST_200600_302600_NS6detail15normal_iteratorINSA_10device_ptrIS5_EEEEPS6_m14custom_greaterIS5_EEE10hipError_tT0_T1_T2_jT3_P12ihipStream_tbPNSt15iterator_traitsISK_E10value_typeEPNSQ_ISL_E10value_typeEPSM_NS1_7vsmem_tEENKUlT_SK_SL_SM_E_clISF_PS5_SG_SG_EESJ_SZ_SK_SL_SM_EUlSZ_E1_NS1_11comp_targetILNS1_3genE10ELNS1_11target_archE1201ELNS1_3gpuE5ELNS1_3repE0EEENS1_36merge_oddeven_config_static_selectorELNS0_4arch9wavefront6targetE1EEEvSL_,"axG",@progbits,_ZN7rocprim17ROCPRIM_400000_NS6detail17trampoline_kernelINS0_14default_configENS1_38merge_sort_block_merge_config_selectorI14custom_numericNS0_10empty_typeEEEZZNS1_27merge_sort_block_merge_implIS3_N6thrust23THRUST_200600_302600_NS6detail15normal_iteratorINSA_10device_ptrIS5_EEEEPS6_m14custom_greaterIS5_EEE10hipError_tT0_T1_T2_jT3_P12ihipStream_tbPNSt15iterator_traitsISK_E10value_typeEPNSQ_ISL_E10value_typeEPSM_NS1_7vsmem_tEENKUlT_SK_SL_SM_E_clISF_PS5_SG_SG_EESJ_SZ_SK_SL_SM_EUlSZ_E1_NS1_11comp_targetILNS1_3genE10ELNS1_11target_archE1201ELNS1_3gpuE5ELNS1_3repE0EEENS1_36merge_oddeven_config_static_selectorELNS0_4arch9wavefront6targetE1EEEvSL_,comdat
	.protected	_ZN7rocprim17ROCPRIM_400000_NS6detail17trampoline_kernelINS0_14default_configENS1_38merge_sort_block_merge_config_selectorI14custom_numericNS0_10empty_typeEEEZZNS1_27merge_sort_block_merge_implIS3_N6thrust23THRUST_200600_302600_NS6detail15normal_iteratorINSA_10device_ptrIS5_EEEEPS6_m14custom_greaterIS5_EEE10hipError_tT0_T1_T2_jT3_P12ihipStream_tbPNSt15iterator_traitsISK_E10value_typeEPNSQ_ISL_E10value_typeEPSM_NS1_7vsmem_tEENKUlT_SK_SL_SM_E_clISF_PS5_SG_SG_EESJ_SZ_SK_SL_SM_EUlSZ_E1_NS1_11comp_targetILNS1_3genE10ELNS1_11target_archE1201ELNS1_3gpuE5ELNS1_3repE0EEENS1_36merge_oddeven_config_static_selectorELNS0_4arch9wavefront6targetE1EEEvSL_ ; -- Begin function _ZN7rocprim17ROCPRIM_400000_NS6detail17trampoline_kernelINS0_14default_configENS1_38merge_sort_block_merge_config_selectorI14custom_numericNS0_10empty_typeEEEZZNS1_27merge_sort_block_merge_implIS3_N6thrust23THRUST_200600_302600_NS6detail15normal_iteratorINSA_10device_ptrIS5_EEEEPS6_m14custom_greaterIS5_EEE10hipError_tT0_T1_T2_jT3_P12ihipStream_tbPNSt15iterator_traitsISK_E10value_typeEPNSQ_ISL_E10value_typeEPSM_NS1_7vsmem_tEENKUlT_SK_SL_SM_E_clISF_PS5_SG_SG_EESJ_SZ_SK_SL_SM_EUlSZ_E1_NS1_11comp_targetILNS1_3genE10ELNS1_11target_archE1201ELNS1_3gpuE5ELNS1_3repE0EEENS1_36merge_oddeven_config_static_selectorELNS0_4arch9wavefront6targetE1EEEvSL_
	.globl	_ZN7rocprim17ROCPRIM_400000_NS6detail17trampoline_kernelINS0_14default_configENS1_38merge_sort_block_merge_config_selectorI14custom_numericNS0_10empty_typeEEEZZNS1_27merge_sort_block_merge_implIS3_N6thrust23THRUST_200600_302600_NS6detail15normal_iteratorINSA_10device_ptrIS5_EEEEPS6_m14custom_greaterIS5_EEE10hipError_tT0_T1_T2_jT3_P12ihipStream_tbPNSt15iterator_traitsISK_E10value_typeEPNSQ_ISL_E10value_typeEPSM_NS1_7vsmem_tEENKUlT_SK_SL_SM_E_clISF_PS5_SG_SG_EESJ_SZ_SK_SL_SM_EUlSZ_E1_NS1_11comp_targetILNS1_3genE10ELNS1_11target_archE1201ELNS1_3gpuE5ELNS1_3repE0EEENS1_36merge_oddeven_config_static_selectorELNS0_4arch9wavefront6targetE1EEEvSL_
	.p2align	8
	.type	_ZN7rocprim17ROCPRIM_400000_NS6detail17trampoline_kernelINS0_14default_configENS1_38merge_sort_block_merge_config_selectorI14custom_numericNS0_10empty_typeEEEZZNS1_27merge_sort_block_merge_implIS3_N6thrust23THRUST_200600_302600_NS6detail15normal_iteratorINSA_10device_ptrIS5_EEEEPS6_m14custom_greaterIS5_EEE10hipError_tT0_T1_T2_jT3_P12ihipStream_tbPNSt15iterator_traitsISK_E10value_typeEPNSQ_ISL_E10value_typeEPSM_NS1_7vsmem_tEENKUlT_SK_SL_SM_E_clISF_PS5_SG_SG_EESJ_SZ_SK_SL_SM_EUlSZ_E1_NS1_11comp_targetILNS1_3genE10ELNS1_11target_archE1201ELNS1_3gpuE5ELNS1_3repE0EEENS1_36merge_oddeven_config_static_selectorELNS0_4arch9wavefront6targetE1EEEvSL_,@function
_ZN7rocprim17ROCPRIM_400000_NS6detail17trampoline_kernelINS0_14default_configENS1_38merge_sort_block_merge_config_selectorI14custom_numericNS0_10empty_typeEEEZZNS1_27merge_sort_block_merge_implIS3_N6thrust23THRUST_200600_302600_NS6detail15normal_iteratorINSA_10device_ptrIS5_EEEEPS6_m14custom_greaterIS5_EEE10hipError_tT0_T1_T2_jT3_P12ihipStream_tbPNSt15iterator_traitsISK_E10value_typeEPNSQ_ISL_E10value_typeEPSM_NS1_7vsmem_tEENKUlT_SK_SL_SM_E_clISF_PS5_SG_SG_EESJ_SZ_SK_SL_SM_EUlSZ_E1_NS1_11comp_targetILNS1_3genE10ELNS1_11target_archE1201ELNS1_3gpuE5ELNS1_3repE0EEENS1_36merge_oddeven_config_static_selectorELNS0_4arch9wavefront6targetE1EEEvSL_: ; @_ZN7rocprim17ROCPRIM_400000_NS6detail17trampoline_kernelINS0_14default_configENS1_38merge_sort_block_merge_config_selectorI14custom_numericNS0_10empty_typeEEEZZNS1_27merge_sort_block_merge_implIS3_N6thrust23THRUST_200600_302600_NS6detail15normal_iteratorINSA_10device_ptrIS5_EEEEPS6_m14custom_greaterIS5_EEE10hipError_tT0_T1_T2_jT3_P12ihipStream_tbPNSt15iterator_traitsISK_E10value_typeEPNSQ_ISL_E10value_typeEPSM_NS1_7vsmem_tEENKUlT_SK_SL_SM_E_clISF_PS5_SG_SG_EESJ_SZ_SK_SL_SM_EUlSZ_E1_NS1_11comp_targetILNS1_3genE10ELNS1_11target_archE1201ELNS1_3gpuE5ELNS1_3repE0EEENS1_36merge_oddeven_config_static_selectorELNS0_4arch9wavefront6targetE1EEEvSL_
; %bb.0:
	.section	.rodata,"a",@progbits
	.p2align	6, 0x0
	.amdhsa_kernel _ZN7rocprim17ROCPRIM_400000_NS6detail17trampoline_kernelINS0_14default_configENS1_38merge_sort_block_merge_config_selectorI14custom_numericNS0_10empty_typeEEEZZNS1_27merge_sort_block_merge_implIS3_N6thrust23THRUST_200600_302600_NS6detail15normal_iteratorINSA_10device_ptrIS5_EEEEPS6_m14custom_greaterIS5_EEE10hipError_tT0_T1_T2_jT3_P12ihipStream_tbPNSt15iterator_traitsISK_E10value_typeEPNSQ_ISL_E10value_typeEPSM_NS1_7vsmem_tEENKUlT_SK_SL_SM_E_clISF_PS5_SG_SG_EESJ_SZ_SK_SL_SM_EUlSZ_E1_NS1_11comp_targetILNS1_3genE10ELNS1_11target_archE1201ELNS1_3gpuE5ELNS1_3repE0EEENS1_36merge_oddeven_config_static_selectorELNS0_4arch9wavefront6targetE1EEEvSL_
		.amdhsa_group_segment_fixed_size 0
		.amdhsa_private_segment_fixed_size 0
		.amdhsa_kernarg_size 56
		.amdhsa_user_sgpr_count 6
		.amdhsa_user_sgpr_private_segment_buffer 1
		.amdhsa_user_sgpr_dispatch_ptr 0
		.amdhsa_user_sgpr_queue_ptr 0
		.amdhsa_user_sgpr_kernarg_segment_ptr 1
		.amdhsa_user_sgpr_dispatch_id 0
		.amdhsa_user_sgpr_flat_scratch_init 0
		.amdhsa_user_sgpr_kernarg_preload_length 0
		.amdhsa_user_sgpr_kernarg_preload_offset 0
		.amdhsa_user_sgpr_private_segment_size 0
		.amdhsa_uses_dynamic_stack 0
		.amdhsa_system_sgpr_private_segment_wavefront_offset 0
		.amdhsa_system_sgpr_workgroup_id_x 1
		.amdhsa_system_sgpr_workgroup_id_y 0
		.amdhsa_system_sgpr_workgroup_id_z 0
		.amdhsa_system_sgpr_workgroup_info 0
		.amdhsa_system_vgpr_workitem_id 0
		.amdhsa_next_free_vgpr 1
		.amdhsa_next_free_sgpr 0
		.amdhsa_accum_offset 4
		.amdhsa_reserve_vcc 0
		.amdhsa_reserve_flat_scratch 0
		.amdhsa_float_round_mode_32 0
		.amdhsa_float_round_mode_16_64 0
		.amdhsa_float_denorm_mode_32 3
		.amdhsa_float_denorm_mode_16_64 3
		.amdhsa_dx10_clamp 1
		.amdhsa_ieee_mode 1
		.amdhsa_fp16_overflow 0
		.amdhsa_tg_split 0
		.amdhsa_exception_fp_ieee_invalid_op 0
		.amdhsa_exception_fp_denorm_src 0
		.amdhsa_exception_fp_ieee_div_zero 0
		.amdhsa_exception_fp_ieee_overflow 0
		.amdhsa_exception_fp_ieee_underflow 0
		.amdhsa_exception_fp_ieee_inexact 0
		.amdhsa_exception_int_div_zero 0
	.end_amdhsa_kernel
	.section	.text._ZN7rocprim17ROCPRIM_400000_NS6detail17trampoline_kernelINS0_14default_configENS1_38merge_sort_block_merge_config_selectorI14custom_numericNS0_10empty_typeEEEZZNS1_27merge_sort_block_merge_implIS3_N6thrust23THRUST_200600_302600_NS6detail15normal_iteratorINSA_10device_ptrIS5_EEEEPS6_m14custom_greaterIS5_EEE10hipError_tT0_T1_T2_jT3_P12ihipStream_tbPNSt15iterator_traitsISK_E10value_typeEPNSQ_ISL_E10value_typeEPSM_NS1_7vsmem_tEENKUlT_SK_SL_SM_E_clISF_PS5_SG_SG_EESJ_SZ_SK_SL_SM_EUlSZ_E1_NS1_11comp_targetILNS1_3genE10ELNS1_11target_archE1201ELNS1_3gpuE5ELNS1_3repE0EEENS1_36merge_oddeven_config_static_selectorELNS0_4arch9wavefront6targetE1EEEvSL_,"axG",@progbits,_ZN7rocprim17ROCPRIM_400000_NS6detail17trampoline_kernelINS0_14default_configENS1_38merge_sort_block_merge_config_selectorI14custom_numericNS0_10empty_typeEEEZZNS1_27merge_sort_block_merge_implIS3_N6thrust23THRUST_200600_302600_NS6detail15normal_iteratorINSA_10device_ptrIS5_EEEEPS6_m14custom_greaterIS5_EEE10hipError_tT0_T1_T2_jT3_P12ihipStream_tbPNSt15iterator_traitsISK_E10value_typeEPNSQ_ISL_E10value_typeEPSM_NS1_7vsmem_tEENKUlT_SK_SL_SM_E_clISF_PS5_SG_SG_EESJ_SZ_SK_SL_SM_EUlSZ_E1_NS1_11comp_targetILNS1_3genE10ELNS1_11target_archE1201ELNS1_3gpuE5ELNS1_3repE0EEENS1_36merge_oddeven_config_static_selectorELNS0_4arch9wavefront6targetE1EEEvSL_,comdat
.Lfunc_end3720:
	.size	_ZN7rocprim17ROCPRIM_400000_NS6detail17trampoline_kernelINS0_14default_configENS1_38merge_sort_block_merge_config_selectorI14custom_numericNS0_10empty_typeEEEZZNS1_27merge_sort_block_merge_implIS3_N6thrust23THRUST_200600_302600_NS6detail15normal_iteratorINSA_10device_ptrIS5_EEEEPS6_m14custom_greaterIS5_EEE10hipError_tT0_T1_T2_jT3_P12ihipStream_tbPNSt15iterator_traitsISK_E10value_typeEPNSQ_ISL_E10value_typeEPSM_NS1_7vsmem_tEENKUlT_SK_SL_SM_E_clISF_PS5_SG_SG_EESJ_SZ_SK_SL_SM_EUlSZ_E1_NS1_11comp_targetILNS1_3genE10ELNS1_11target_archE1201ELNS1_3gpuE5ELNS1_3repE0EEENS1_36merge_oddeven_config_static_selectorELNS0_4arch9wavefront6targetE1EEEvSL_, .Lfunc_end3720-_ZN7rocprim17ROCPRIM_400000_NS6detail17trampoline_kernelINS0_14default_configENS1_38merge_sort_block_merge_config_selectorI14custom_numericNS0_10empty_typeEEEZZNS1_27merge_sort_block_merge_implIS3_N6thrust23THRUST_200600_302600_NS6detail15normal_iteratorINSA_10device_ptrIS5_EEEEPS6_m14custom_greaterIS5_EEE10hipError_tT0_T1_T2_jT3_P12ihipStream_tbPNSt15iterator_traitsISK_E10value_typeEPNSQ_ISL_E10value_typeEPSM_NS1_7vsmem_tEENKUlT_SK_SL_SM_E_clISF_PS5_SG_SG_EESJ_SZ_SK_SL_SM_EUlSZ_E1_NS1_11comp_targetILNS1_3genE10ELNS1_11target_archE1201ELNS1_3gpuE5ELNS1_3repE0EEENS1_36merge_oddeven_config_static_selectorELNS0_4arch9wavefront6targetE1EEEvSL_
                                        ; -- End function
	.section	.AMDGPU.csdata,"",@progbits
; Kernel info:
; codeLenInByte = 0
; NumSgprs: 4
; NumVgprs: 0
; NumAgprs: 0
; TotalNumVgprs: 0
; ScratchSize: 0
; MemoryBound: 0
; FloatMode: 240
; IeeeMode: 1
; LDSByteSize: 0 bytes/workgroup (compile time only)
; SGPRBlocks: 0
; VGPRBlocks: 0
; NumSGPRsForWavesPerEU: 4
; NumVGPRsForWavesPerEU: 1
; AccumOffset: 4
; Occupancy: 8
; WaveLimiterHint : 0
; COMPUTE_PGM_RSRC2:SCRATCH_EN: 0
; COMPUTE_PGM_RSRC2:USER_SGPR: 6
; COMPUTE_PGM_RSRC2:TRAP_HANDLER: 0
; COMPUTE_PGM_RSRC2:TGID_X_EN: 1
; COMPUTE_PGM_RSRC2:TGID_Y_EN: 0
; COMPUTE_PGM_RSRC2:TGID_Z_EN: 0
; COMPUTE_PGM_RSRC2:TIDIG_COMP_CNT: 0
; COMPUTE_PGM_RSRC3_GFX90A:ACCUM_OFFSET: 0
; COMPUTE_PGM_RSRC3_GFX90A:TG_SPLIT: 0
	.section	.text._ZN7rocprim17ROCPRIM_400000_NS6detail17trampoline_kernelINS0_14default_configENS1_38merge_sort_block_merge_config_selectorI14custom_numericNS0_10empty_typeEEEZZNS1_27merge_sort_block_merge_implIS3_N6thrust23THRUST_200600_302600_NS6detail15normal_iteratorINSA_10device_ptrIS5_EEEEPS6_m14custom_greaterIS5_EEE10hipError_tT0_T1_T2_jT3_P12ihipStream_tbPNSt15iterator_traitsISK_E10value_typeEPNSQ_ISL_E10value_typeEPSM_NS1_7vsmem_tEENKUlT_SK_SL_SM_E_clISF_PS5_SG_SG_EESJ_SZ_SK_SL_SM_EUlSZ_E1_NS1_11comp_targetILNS1_3genE5ELNS1_11target_archE942ELNS1_3gpuE9ELNS1_3repE0EEENS1_36merge_oddeven_config_static_selectorELNS0_4arch9wavefront6targetE1EEEvSL_,"axG",@progbits,_ZN7rocprim17ROCPRIM_400000_NS6detail17trampoline_kernelINS0_14default_configENS1_38merge_sort_block_merge_config_selectorI14custom_numericNS0_10empty_typeEEEZZNS1_27merge_sort_block_merge_implIS3_N6thrust23THRUST_200600_302600_NS6detail15normal_iteratorINSA_10device_ptrIS5_EEEEPS6_m14custom_greaterIS5_EEE10hipError_tT0_T1_T2_jT3_P12ihipStream_tbPNSt15iterator_traitsISK_E10value_typeEPNSQ_ISL_E10value_typeEPSM_NS1_7vsmem_tEENKUlT_SK_SL_SM_E_clISF_PS5_SG_SG_EESJ_SZ_SK_SL_SM_EUlSZ_E1_NS1_11comp_targetILNS1_3genE5ELNS1_11target_archE942ELNS1_3gpuE9ELNS1_3repE0EEENS1_36merge_oddeven_config_static_selectorELNS0_4arch9wavefront6targetE1EEEvSL_,comdat
	.protected	_ZN7rocprim17ROCPRIM_400000_NS6detail17trampoline_kernelINS0_14default_configENS1_38merge_sort_block_merge_config_selectorI14custom_numericNS0_10empty_typeEEEZZNS1_27merge_sort_block_merge_implIS3_N6thrust23THRUST_200600_302600_NS6detail15normal_iteratorINSA_10device_ptrIS5_EEEEPS6_m14custom_greaterIS5_EEE10hipError_tT0_T1_T2_jT3_P12ihipStream_tbPNSt15iterator_traitsISK_E10value_typeEPNSQ_ISL_E10value_typeEPSM_NS1_7vsmem_tEENKUlT_SK_SL_SM_E_clISF_PS5_SG_SG_EESJ_SZ_SK_SL_SM_EUlSZ_E1_NS1_11comp_targetILNS1_3genE5ELNS1_11target_archE942ELNS1_3gpuE9ELNS1_3repE0EEENS1_36merge_oddeven_config_static_selectorELNS0_4arch9wavefront6targetE1EEEvSL_ ; -- Begin function _ZN7rocprim17ROCPRIM_400000_NS6detail17trampoline_kernelINS0_14default_configENS1_38merge_sort_block_merge_config_selectorI14custom_numericNS0_10empty_typeEEEZZNS1_27merge_sort_block_merge_implIS3_N6thrust23THRUST_200600_302600_NS6detail15normal_iteratorINSA_10device_ptrIS5_EEEEPS6_m14custom_greaterIS5_EEE10hipError_tT0_T1_T2_jT3_P12ihipStream_tbPNSt15iterator_traitsISK_E10value_typeEPNSQ_ISL_E10value_typeEPSM_NS1_7vsmem_tEENKUlT_SK_SL_SM_E_clISF_PS5_SG_SG_EESJ_SZ_SK_SL_SM_EUlSZ_E1_NS1_11comp_targetILNS1_3genE5ELNS1_11target_archE942ELNS1_3gpuE9ELNS1_3repE0EEENS1_36merge_oddeven_config_static_selectorELNS0_4arch9wavefront6targetE1EEEvSL_
	.globl	_ZN7rocprim17ROCPRIM_400000_NS6detail17trampoline_kernelINS0_14default_configENS1_38merge_sort_block_merge_config_selectorI14custom_numericNS0_10empty_typeEEEZZNS1_27merge_sort_block_merge_implIS3_N6thrust23THRUST_200600_302600_NS6detail15normal_iteratorINSA_10device_ptrIS5_EEEEPS6_m14custom_greaterIS5_EEE10hipError_tT0_T1_T2_jT3_P12ihipStream_tbPNSt15iterator_traitsISK_E10value_typeEPNSQ_ISL_E10value_typeEPSM_NS1_7vsmem_tEENKUlT_SK_SL_SM_E_clISF_PS5_SG_SG_EESJ_SZ_SK_SL_SM_EUlSZ_E1_NS1_11comp_targetILNS1_3genE5ELNS1_11target_archE942ELNS1_3gpuE9ELNS1_3repE0EEENS1_36merge_oddeven_config_static_selectorELNS0_4arch9wavefront6targetE1EEEvSL_
	.p2align	8
	.type	_ZN7rocprim17ROCPRIM_400000_NS6detail17trampoline_kernelINS0_14default_configENS1_38merge_sort_block_merge_config_selectorI14custom_numericNS0_10empty_typeEEEZZNS1_27merge_sort_block_merge_implIS3_N6thrust23THRUST_200600_302600_NS6detail15normal_iteratorINSA_10device_ptrIS5_EEEEPS6_m14custom_greaterIS5_EEE10hipError_tT0_T1_T2_jT3_P12ihipStream_tbPNSt15iterator_traitsISK_E10value_typeEPNSQ_ISL_E10value_typeEPSM_NS1_7vsmem_tEENKUlT_SK_SL_SM_E_clISF_PS5_SG_SG_EESJ_SZ_SK_SL_SM_EUlSZ_E1_NS1_11comp_targetILNS1_3genE5ELNS1_11target_archE942ELNS1_3gpuE9ELNS1_3repE0EEENS1_36merge_oddeven_config_static_selectorELNS0_4arch9wavefront6targetE1EEEvSL_,@function
_ZN7rocprim17ROCPRIM_400000_NS6detail17trampoline_kernelINS0_14default_configENS1_38merge_sort_block_merge_config_selectorI14custom_numericNS0_10empty_typeEEEZZNS1_27merge_sort_block_merge_implIS3_N6thrust23THRUST_200600_302600_NS6detail15normal_iteratorINSA_10device_ptrIS5_EEEEPS6_m14custom_greaterIS5_EEE10hipError_tT0_T1_T2_jT3_P12ihipStream_tbPNSt15iterator_traitsISK_E10value_typeEPNSQ_ISL_E10value_typeEPSM_NS1_7vsmem_tEENKUlT_SK_SL_SM_E_clISF_PS5_SG_SG_EESJ_SZ_SK_SL_SM_EUlSZ_E1_NS1_11comp_targetILNS1_3genE5ELNS1_11target_archE942ELNS1_3gpuE9ELNS1_3repE0EEENS1_36merge_oddeven_config_static_selectorELNS0_4arch9wavefront6targetE1EEEvSL_: ; @_ZN7rocprim17ROCPRIM_400000_NS6detail17trampoline_kernelINS0_14default_configENS1_38merge_sort_block_merge_config_selectorI14custom_numericNS0_10empty_typeEEEZZNS1_27merge_sort_block_merge_implIS3_N6thrust23THRUST_200600_302600_NS6detail15normal_iteratorINSA_10device_ptrIS5_EEEEPS6_m14custom_greaterIS5_EEE10hipError_tT0_T1_T2_jT3_P12ihipStream_tbPNSt15iterator_traitsISK_E10value_typeEPNSQ_ISL_E10value_typeEPSM_NS1_7vsmem_tEENKUlT_SK_SL_SM_E_clISF_PS5_SG_SG_EESJ_SZ_SK_SL_SM_EUlSZ_E1_NS1_11comp_targetILNS1_3genE5ELNS1_11target_archE942ELNS1_3gpuE9ELNS1_3repE0EEENS1_36merge_oddeven_config_static_selectorELNS0_4arch9wavefront6targetE1EEEvSL_
; %bb.0:
	.section	.rodata,"a",@progbits
	.p2align	6, 0x0
	.amdhsa_kernel _ZN7rocprim17ROCPRIM_400000_NS6detail17trampoline_kernelINS0_14default_configENS1_38merge_sort_block_merge_config_selectorI14custom_numericNS0_10empty_typeEEEZZNS1_27merge_sort_block_merge_implIS3_N6thrust23THRUST_200600_302600_NS6detail15normal_iteratorINSA_10device_ptrIS5_EEEEPS6_m14custom_greaterIS5_EEE10hipError_tT0_T1_T2_jT3_P12ihipStream_tbPNSt15iterator_traitsISK_E10value_typeEPNSQ_ISL_E10value_typeEPSM_NS1_7vsmem_tEENKUlT_SK_SL_SM_E_clISF_PS5_SG_SG_EESJ_SZ_SK_SL_SM_EUlSZ_E1_NS1_11comp_targetILNS1_3genE5ELNS1_11target_archE942ELNS1_3gpuE9ELNS1_3repE0EEENS1_36merge_oddeven_config_static_selectorELNS0_4arch9wavefront6targetE1EEEvSL_
		.amdhsa_group_segment_fixed_size 0
		.amdhsa_private_segment_fixed_size 0
		.amdhsa_kernarg_size 56
		.amdhsa_user_sgpr_count 6
		.amdhsa_user_sgpr_private_segment_buffer 1
		.amdhsa_user_sgpr_dispatch_ptr 0
		.amdhsa_user_sgpr_queue_ptr 0
		.amdhsa_user_sgpr_kernarg_segment_ptr 1
		.amdhsa_user_sgpr_dispatch_id 0
		.amdhsa_user_sgpr_flat_scratch_init 0
		.amdhsa_user_sgpr_kernarg_preload_length 0
		.amdhsa_user_sgpr_kernarg_preload_offset 0
		.amdhsa_user_sgpr_private_segment_size 0
		.amdhsa_uses_dynamic_stack 0
		.amdhsa_system_sgpr_private_segment_wavefront_offset 0
		.amdhsa_system_sgpr_workgroup_id_x 1
		.amdhsa_system_sgpr_workgroup_id_y 0
		.amdhsa_system_sgpr_workgroup_id_z 0
		.amdhsa_system_sgpr_workgroup_info 0
		.amdhsa_system_vgpr_workitem_id 0
		.amdhsa_next_free_vgpr 1
		.amdhsa_next_free_sgpr 0
		.amdhsa_accum_offset 4
		.amdhsa_reserve_vcc 0
		.amdhsa_reserve_flat_scratch 0
		.amdhsa_float_round_mode_32 0
		.amdhsa_float_round_mode_16_64 0
		.amdhsa_float_denorm_mode_32 3
		.amdhsa_float_denorm_mode_16_64 3
		.amdhsa_dx10_clamp 1
		.amdhsa_ieee_mode 1
		.amdhsa_fp16_overflow 0
		.amdhsa_tg_split 0
		.amdhsa_exception_fp_ieee_invalid_op 0
		.amdhsa_exception_fp_denorm_src 0
		.amdhsa_exception_fp_ieee_div_zero 0
		.amdhsa_exception_fp_ieee_overflow 0
		.amdhsa_exception_fp_ieee_underflow 0
		.amdhsa_exception_fp_ieee_inexact 0
		.amdhsa_exception_int_div_zero 0
	.end_amdhsa_kernel
	.section	.text._ZN7rocprim17ROCPRIM_400000_NS6detail17trampoline_kernelINS0_14default_configENS1_38merge_sort_block_merge_config_selectorI14custom_numericNS0_10empty_typeEEEZZNS1_27merge_sort_block_merge_implIS3_N6thrust23THRUST_200600_302600_NS6detail15normal_iteratorINSA_10device_ptrIS5_EEEEPS6_m14custom_greaterIS5_EEE10hipError_tT0_T1_T2_jT3_P12ihipStream_tbPNSt15iterator_traitsISK_E10value_typeEPNSQ_ISL_E10value_typeEPSM_NS1_7vsmem_tEENKUlT_SK_SL_SM_E_clISF_PS5_SG_SG_EESJ_SZ_SK_SL_SM_EUlSZ_E1_NS1_11comp_targetILNS1_3genE5ELNS1_11target_archE942ELNS1_3gpuE9ELNS1_3repE0EEENS1_36merge_oddeven_config_static_selectorELNS0_4arch9wavefront6targetE1EEEvSL_,"axG",@progbits,_ZN7rocprim17ROCPRIM_400000_NS6detail17trampoline_kernelINS0_14default_configENS1_38merge_sort_block_merge_config_selectorI14custom_numericNS0_10empty_typeEEEZZNS1_27merge_sort_block_merge_implIS3_N6thrust23THRUST_200600_302600_NS6detail15normal_iteratorINSA_10device_ptrIS5_EEEEPS6_m14custom_greaterIS5_EEE10hipError_tT0_T1_T2_jT3_P12ihipStream_tbPNSt15iterator_traitsISK_E10value_typeEPNSQ_ISL_E10value_typeEPSM_NS1_7vsmem_tEENKUlT_SK_SL_SM_E_clISF_PS5_SG_SG_EESJ_SZ_SK_SL_SM_EUlSZ_E1_NS1_11comp_targetILNS1_3genE5ELNS1_11target_archE942ELNS1_3gpuE9ELNS1_3repE0EEENS1_36merge_oddeven_config_static_selectorELNS0_4arch9wavefront6targetE1EEEvSL_,comdat
.Lfunc_end3721:
	.size	_ZN7rocprim17ROCPRIM_400000_NS6detail17trampoline_kernelINS0_14default_configENS1_38merge_sort_block_merge_config_selectorI14custom_numericNS0_10empty_typeEEEZZNS1_27merge_sort_block_merge_implIS3_N6thrust23THRUST_200600_302600_NS6detail15normal_iteratorINSA_10device_ptrIS5_EEEEPS6_m14custom_greaterIS5_EEE10hipError_tT0_T1_T2_jT3_P12ihipStream_tbPNSt15iterator_traitsISK_E10value_typeEPNSQ_ISL_E10value_typeEPSM_NS1_7vsmem_tEENKUlT_SK_SL_SM_E_clISF_PS5_SG_SG_EESJ_SZ_SK_SL_SM_EUlSZ_E1_NS1_11comp_targetILNS1_3genE5ELNS1_11target_archE942ELNS1_3gpuE9ELNS1_3repE0EEENS1_36merge_oddeven_config_static_selectorELNS0_4arch9wavefront6targetE1EEEvSL_, .Lfunc_end3721-_ZN7rocprim17ROCPRIM_400000_NS6detail17trampoline_kernelINS0_14default_configENS1_38merge_sort_block_merge_config_selectorI14custom_numericNS0_10empty_typeEEEZZNS1_27merge_sort_block_merge_implIS3_N6thrust23THRUST_200600_302600_NS6detail15normal_iteratorINSA_10device_ptrIS5_EEEEPS6_m14custom_greaterIS5_EEE10hipError_tT0_T1_T2_jT3_P12ihipStream_tbPNSt15iterator_traitsISK_E10value_typeEPNSQ_ISL_E10value_typeEPSM_NS1_7vsmem_tEENKUlT_SK_SL_SM_E_clISF_PS5_SG_SG_EESJ_SZ_SK_SL_SM_EUlSZ_E1_NS1_11comp_targetILNS1_3genE5ELNS1_11target_archE942ELNS1_3gpuE9ELNS1_3repE0EEENS1_36merge_oddeven_config_static_selectorELNS0_4arch9wavefront6targetE1EEEvSL_
                                        ; -- End function
	.section	.AMDGPU.csdata,"",@progbits
; Kernel info:
; codeLenInByte = 0
; NumSgprs: 4
; NumVgprs: 0
; NumAgprs: 0
; TotalNumVgprs: 0
; ScratchSize: 0
; MemoryBound: 0
; FloatMode: 240
; IeeeMode: 1
; LDSByteSize: 0 bytes/workgroup (compile time only)
; SGPRBlocks: 0
; VGPRBlocks: 0
; NumSGPRsForWavesPerEU: 4
; NumVGPRsForWavesPerEU: 1
; AccumOffset: 4
; Occupancy: 8
; WaveLimiterHint : 0
; COMPUTE_PGM_RSRC2:SCRATCH_EN: 0
; COMPUTE_PGM_RSRC2:USER_SGPR: 6
; COMPUTE_PGM_RSRC2:TRAP_HANDLER: 0
; COMPUTE_PGM_RSRC2:TGID_X_EN: 1
; COMPUTE_PGM_RSRC2:TGID_Y_EN: 0
; COMPUTE_PGM_RSRC2:TGID_Z_EN: 0
; COMPUTE_PGM_RSRC2:TIDIG_COMP_CNT: 0
; COMPUTE_PGM_RSRC3_GFX90A:ACCUM_OFFSET: 0
; COMPUTE_PGM_RSRC3_GFX90A:TG_SPLIT: 0
	.section	.text._ZN7rocprim17ROCPRIM_400000_NS6detail17trampoline_kernelINS0_14default_configENS1_38merge_sort_block_merge_config_selectorI14custom_numericNS0_10empty_typeEEEZZNS1_27merge_sort_block_merge_implIS3_N6thrust23THRUST_200600_302600_NS6detail15normal_iteratorINSA_10device_ptrIS5_EEEEPS6_m14custom_greaterIS5_EEE10hipError_tT0_T1_T2_jT3_P12ihipStream_tbPNSt15iterator_traitsISK_E10value_typeEPNSQ_ISL_E10value_typeEPSM_NS1_7vsmem_tEENKUlT_SK_SL_SM_E_clISF_PS5_SG_SG_EESJ_SZ_SK_SL_SM_EUlSZ_E1_NS1_11comp_targetILNS1_3genE4ELNS1_11target_archE910ELNS1_3gpuE8ELNS1_3repE0EEENS1_36merge_oddeven_config_static_selectorELNS0_4arch9wavefront6targetE1EEEvSL_,"axG",@progbits,_ZN7rocprim17ROCPRIM_400000_NS6detail17trampoline_kernelINS0_14default_configENS1_38merge_sort_block_merge_config_selectorI14custom_numericNS0_10empty_typeEEEZZNS1_27merge_sort_block_merge_implIS3_N6thrust23THRUST_200600_302600_NS6detail15normal_iteratorINSA_10device_ptrIS5_EEEEPS6_m14custom_greaterIS5_EEE10hipError_tT0_T1_T2_jT3_P12ihipStream_tbPNSt15iterator_traitsISK_E10value_typeEPNSQ_ISL_E10value_typeEPSM_NS1_7vsmem_tEENKUlT_SK_SL_SM_E_clISF_PS5_SG_SG_EESJ_SZ_SK_SL_SM_EUlSZ_E1_NS1_11comp_targetILNS1_3genE4ELNS1_11target_archE910ELNS1_3gpuE8ELNS1_3repE0EEENS1_36merge_oddeven_config_static_selectorELNS0_4arch9wavefront6targetE1EEEvSL_,comdat
	.protected	_ZN7rocprim17ROCPRIM_400000_NS6detail17trampoline_kernelINS0_14default_configENS1_38merge_sort_block_merge_config_selectorI14custom_numericNS0_10empty_typeEEEZZNS1_27merge_sort_block_merge_implIS3_N6thrust23THRUST_200600_302600_NS6detail15normal_iteratorINSA_10device_ptrIS5_EEEEPS6_m14custom_greaterIS5_EEE10hipError_tT0_T1_T2_jT3_P12ihipStream_tbPNSt15iterator_traitsISK_E10value_typeEPNSQ_ISL_E10value_typeEPSM_NS1_7vsmem_tEENKUlT_SK_SL_SM_E_clISF_PS5_SG_SG_EESJ_SZ_SK_SL_SM_EUlSZ_E1_NS1_11comp_targetILNS1_3genE4ELNS1_11target_archE910ELNS1_3gpuE8ELNS1_3repE0EEENS1_36merge_oddeven_config_static_selectorELNS0_4arch9wavefront6targetE1EEEvSL_ ; -- Begin function _ZN7rocprim17ROCPRIM_400000_NS6detail17trampoline_kernelINS0_14default_configENS1_38merge_sort_block_merge_config_selectorI14custom_numericNS0_10empty_typeEEEZZNS1_27merge_sort_block_merge_implIS3_N6thrust23THRUST_200600_302600_NS6detail15normal_iteratorINSA_10device_ptrIS5_EEEEPS6_m14custom_greaterIS5_EEE10hipError_tT0_T1_T2_jT3_P12ihipStream_tbPNSt15iterator_traitsISK_E10value_typeEPNSQ_ISL_E10value_typeEPSM_NS1_7vsmem_tEENKUlT_SK_SL_SM_E_clISF_PS5_SG_SG_EESJ_SZ_SK_SL_SM_EUlSZ_E1_NS1_11comp_targetILNS1_3genE4ELNS1_11target_archE910ELNS1_3gpuE8ELNS1_3repE0EEENS1_36merge_oddeven_config_static_selectorELNS0_4arch9wavefront6targetE1EEEvSL_
	.globl	_ZN7rocprim17ROCPRIM_400000_NS6detail17trampoline_kernelINS0_14default_configENS1_38merge_sort_block_merge_config_selectorI14custom_numericNS0_10empty_typeEEEZZNS1_27merge_sort_block_merge_implIS3_N6thrust23THRUST_200600_302600_NS6detail15normal_iteratorINSA_10device_ptrIS5_EEEEPS6_m14custom_greaterIS5_EEE10hipError_tT0_T1_T2_jT3_P12ihipStream_tbPNSt15iterator_traitsISK_E10value_typeEPNSQ_ISL_E10value_typeEPSM_NS1_7vsmem_tEENKUlT_SK_SL_SM_E_clISF_PS5_SG_SG_EESJ_SZ_SK_SL_SM_EUlSZ_E1_NS1_11comp_targetILNS1_3genE4ELNS1_11target_archE910ELNS1_3gpuE8ELNS1_3repE0EEENS1_36merge_oddeven_config_static_selectorELNS0_4arch9wavefront6targetE1EEEvSL_
	.p2align	8
	.type	_ZN7rocprim17ROCPRIM_400000_NS6detail17trampoline_kernelINS0_14default_configENS1_38merge_sort_block_merge_config_selectorI14custom_numericNS0_10empty_typeEEEZZNS1_27merge_sort_block_merge_implIS3_N6thrust23THRUST_200600_302600_NS6detail15normal_iteratorINSA_10device_ptrIS5_EEEEPS6_m14custom_greaterIS5_EEE10hipError_tT0_T1_T2_jT3_P12ihipStream_tbPNSt15iterator_traitsISK_E10value_typeEPNSQ_ISL_E10value_typeEPSM_NS1_7vsmem_tEENKUlT_SK_SL_SM_E_clISF_PS5_SG_SG_EESJ_SZ_SK_SL_SM_EUlSZ_E1_NS1_11comp_targetILNS1_3genE4ELNS1_11target_archE910ELNS1_3gpuE8ELNS1_3repE0EEENS1_36merge_oddeven_config_static_selectorELNS0_4arch9wavefront6targetE1EEEvSL_,@function
_ZN7rocprim17ROCPRIM_400000_NS6detail17trampoline_kernelINS0_14default_configENS1_38merge_sort_block_merge_config_selectorI14custom_numericNS0_10empty_typeEEEZZNS1_27merge_sort_block_merge_implIS3_N6thrust23THRUST_200600_302600_NS6detail15normal_iteratorINSA_10device_ptrIS5_EEEEPS6_m14custom_greaterIS5_EEE10hipError_tT0_T1_T2_jT3_P12ihipStream_tbPNSt15iterator_traitsISK_E10value_typeEPNSQ_ISL_E10value_typeEPSM_NS1_7vsmem_tEENKUlT_SK_SL_SM_E_clISF_PS5_SG_SG_EESJ_SZ_SK_SL_SM_EUlSZ_E1_NS1_11comp_targetILNS1_3genE4ELNS1_11target_archE910ELNS1_3gpuE8ELNS1_3repE0EEENS1_36merge_oddeven_config_static_selectorELNS0_4arch9wavefront6targetE1EEEvSL_: ; @_ZN7rocprim17ROCPRIM_400000_NS6detail17trampoline_kernelINS0_14default_configENS1_38merge_sort_block_merge_config_selectorI14custom_numericNS0_10empty_typeEEEZZNS1_27merge_sort_block_merge_implIS3_N6thrust23THRUST_200600_302600_NS6detail15normal_iteratorINSA_10device_ptrIS5_EEEEPS6_m14custom_greaterIS5_EEE10hipError_tT0_T1_T2_jT3_P12ihipStream_tbPNSt15iterator_traitsISK_E10value_typeEPNSQ_ISL_E10value_typeEPSM_NS1_7vsmem_tEENKUlT_SK_SL_SM_E_clISF_PS5_SG_SG_EESJ_SZ_SK_SL_SM_EUlSZ_E1_NS1_11comp_targetILNS1_3genE4ELNS1_11target_archE910ELNS1_3gpuE8ELNS1_3repE0EEENS1_36merge_oddeven_config_static_selectorELNS0_4arch9wavefront6targetE1EEEvSL_
; %bb.0:
	s_load_dword s17, s[4:5], 0x20
	s_lshl_b32 s7, s6, 7
	s_waitcnt lgkmcnt(0)
	s_lshr_b32 s0, s17, 7
	s_cmp_lg_u32 s6, s0
	s_cselect_b64 s[14:15], -1, 0
	s_cmp_eq_u32 s6, s0
	s_cselect_b64 s[12:13], -1, 0
	s_sub_i32 s0, s17, s7
	v_cmp_gt_u32_e64 s[2:3], s0, v0
	s_or_b64 s[0:1], s[14:15], s[2:3]
	s_and_saveexec_b64 s[8:9], s[0:1]
	s_cbranch_execz .LBB3722_20
; %bb.1:
	s_load_dwordx4 s[8:11], s[4:5], 0x0
	s_load_dword s18, s[4:5], 0x28
	s_mul_i32 s0, s7, 20
	s_mul_hi_u32 s1, s7, 20
	v_add_u32_e32 v1, s7, v0
	s_waitcnt lgkmcnt(0)
	s_add_u32 s0, s8, s0
	s_addc_u32 s1, s9, s1
	v_mad_u64_u32 v[2:3], s[0:1], v0, 20, s[0:1]
	global_load_dword v2, v[2:3], off
	s_lshr_b32 s0, s18, 7
	s_sub_i32 s1, 0, s0
	s_and_b32 s1, s6, s1
	s_and_b32 s0, s1, s0
	s_lshl_b32 s19, s1, 7
	s_sub_i32 s6, 0, s18
	s_cmp_eq_u32 s0, 0
	s_cselect_b64 s[0:1], -1, 0
	s_and_b64 s[4:5], s[0:1], exec
	s_cselect_b32 s16, s18, s6
	s_add_i32 s16, s16, s19
	s_cmp_lt_u32 s16, s17
	s_cbranch_scc1 .LBB3722_3
; %bb.2:
	v_cmp_gt_u32_e32 vcc, s17, v1
	s_or_b64 s[4:5], vcc, s[14:15]
	s_and_b64 s[4:5], s[4:5], exec
	s_cbranch_execz .LBB3722_4
	s_branch .LBB3722_18
.LBB3722_3:
	s_mov_b64 s[4:5], 0
.LBB3722_4:
	s_min_u32 s14, s16, s17
	s_add_i32 s6, s14, s18
	s_min_u32 s15, s6, s17
	s_min_u32 s6, s19, s14
	s_add_i32 s19, s19, s14
	v_subrev_u32_e32 v0, s19, v1
	v_add_u32_e32 v0, s6, v0
	s_and_b64 vcc, exec, s[12:13]
	s_cbranch_vccz .LBB3722_12
; %bb.5:
                                        ; implicit-def: $vgpr1
	s_and_saveexec_b64 s[6:7], s[2:3]
	s_cbranch_execz .LBB3722_11
; %bb.6:
	s_cmp_ge_u32 s16, s15
	v_mov_b32_e32 v1, s14
	s_cbranch_scc1 .LBB3722_10
; %bb.7:
	s_mov_b64 s[2:3], 0
	v_mov_b32_e32 v3, s15
	v_mov_b32_e32 v1, s14
.LBB3722_8:                             ; =>This Inner Loop Header: Depth=1
	v_add_u32_e32 v4, v1, v3
	v_lshrrev_b32_e32 v6, 1, v4
	v_mad_u64_u32 v[4:5], s[12:13], v6, 20, s[8:9]
	global_load_dword v4, v[4:5], off
	v_add_u32_e32 v5, 1, v6
	s_waitcnt vmcnt(0)
	v_cmp_gt_i32_e32 vcc, v2, v4
	v_cndmask_b32_e64 v7, 0, 1, vcc
	v_cmp_le_i32_e32 vcc, v4, v2
	v_cndmask_b32_e64 v4, 0, 1, vcc
	v_cndmask_b32_e64 v4, v4, v7, s[0:1]
	v_and_b32_e32 v4, 1, v4
	v_cmp_eq_u32_e32 vcc, 1, v4
	v_cndmask_b32_e32 v3, v6, v3, vcc
	v_cndmask_b32_e32 v1, v1, v5, vcc
	v_cmp_ge_u32_e32 vcc, v1, v3
	s_or_b64 s[2:3], vcc, s[2:3]
	s_andn2_b64 exec, exec, s[2:3]
	s_cbranch_execnz .LBB3722_8
; %bb.9:
	s_or_b64 exec, exec, s[2:3]
.LBB3722_10:
	v_add_u32_e32 v1, v1, v0
	s_or_b64 s[4:5], s[4:5], exec
.LBB3722_11:
	s_or_b64 exec, exec, s[6:7]
	s_branch .LBB3722_18
.LBB3722_12:
                                        ; implicit-def: $vgpr1
	s_cbranch_execz .LBB3722_18
; %bb.13:
	s_cmp_ge_u32 s16, s15
	v_mov_b32_e32 v1, s14
	s_cbranch_scc1 .LBB3722_17
; %bb.14:
	s_mov_b64 s[2:3], 0
	v_mov_b32_e32 v3, s15
	v_mov_b32_e32 v1, s14
.LBB3722_15:                            ; =>This Inner Loop Header: Depth=1
	v_add_u32_e32 v4, v1, v3
	v_lshrrev_b32_e32 v6, 1, v4
	v_mad_u64_u32 v[4:5], s[4:5], v6, 20, s[8:9]
	global_load_dword v4, v[4:5], off
	v_add_u32_e32 v5, 1, v6
	s_waitcnt vmcnt(0)
	v_cmp_gt_i32_e32 vcc, v2, v4
	v_cndmask_b32_e64 v7, 0, 1, vcc
	v_cmp_le_i32_e32 vcc, v4, v2
	v_cndmask_b32_e64 v4, 0, 1, vcc
	v_cndmask_b32_e64 v4, v4, v7, s[0:1]
	v_and_b32_e32 v4, 1, v4
	v_cmp_eq_u32_e32 vcc, 1, v4
	v_cndmask_b32_e32 v3, v6, v3, vcc
	v_cndmask_b32_e32 v1, v1, v5, vcc
	v_cmp_ge_u32_e32 vcc, v1, v3
	s_or_b64 s[2:3], vcc, s[2:3]
	s_andn2_b64 exec, exec, s[2:3]
	s_cbranch_execnz .LBB3722_15
; %bb.16:
	s_or_b64 exec, exec, s[2:3]
.LBB3722_17:
	v_add_u32_e32 v1, v1, v0
	s_mov_b64 s[4:5], -1
.LBB3722_18:
	s_and_b64 exec, exec, s[4:5]
	s_cbranch_execz .LBB3722_20
; %bb.19:
	v_mov_b32_e32 v4, s10
	v_mov_b32_e32 v5, s11
	v_mad_u64_u32 v[0:1], s[0:1], v1, 20, v[4:5]
	s_waitcnt vmcnt(0)
	v_mov_b32_e32 v3, v2
	v_mov_b32_e32 v4, v2
	;; [unrolled: 1-line block ×3, first 2 shown]
	global_store_dwordx4 v[0:1], v[2:5], off
	global_store_dword v[0:1], v2, off offset:16
.LBB3722_20:
	s_endpgm
	.section	.rodata,"a",@progbits
	.p2align	6, 0x0
	.amdhsa_kernel _ZN7rocprim17ROCPRIM_400000_NS6detail17trampoline_kernelINS0_14default_configENS1_38merge_sort_block_merge_config_selectorI14custom_numericNS0_10empty_typeEEEZZNS1_27merge_sort_block_merge_implIS3_N6thrust23THRUST_200600_302600_NS6detail15normal_iteratorINSA_10device_ptrIS5_EEEEPS6_m14custom_greaterIS5_EEE10hipError_tT0_T1_T2_jT3_P12ihipStream_tbPNSt15iterator_traitsISK_E10value_typeEPNSQ_ISL_E10value_typeEPSM_NS1_7vsmem_tEENKUlT_SK_SL_SM_E_clISF_PS5_SG_SG_EESJ_SZ_SK_SL_SM_EUlSZ_E1_NS1_11comp_targetILNS1_3genE4ELNS1_11target_archE910ELNS1_3gpuE8ELNS1_3repE0EEENS1_36merge_oddeven_config_static_selectorELNS0_4arch9wavefront6targetE1EEEvSL_
		.amdhsa_group_segment_fixed_size 0
		.amdhsa_private_segment_fixed_size 0
		.amdhsa_kernarg_size 56
		.amdhsa_user_sgpr_count 6
		.amdhsa_user_sgpr_private_segment_buffer 1
		.amdhsa_user_sgpr_dispatch_ptr 0
		.amdhsa_user_sgpr_queue_ptr 0
		.amdhsa_user_sgpr_kernarg_segment_ptr 1
		.amdhsa_user_sgpr_dispatch_id 0
		.amdhsa_user_sgpr_flat_scratch_init 0
		.amdhsa_user_sgpr_kernarg_preload_length 0
		.amdhsa_user_sgpr_kernarg_preload_offset 0
		.amdhsa_user_sgpr_private_segment_size 0
		.amdhsa_uses_dynamic_stack 0
		.amdhsa_system_sgpr_private_segment_wavefront_offset 0
		.amdhsa_system_sgpr_workgroup_id_x 1
		.amdhsa_system_sgpr_workgroup_id_y 0
		.amdhsa_system_sgpr_workgroup_id_z 0
		.amdhsa_system_sgpr_workgroup_info 0
		.amdhsa_system_vgpr_workitem_id 0
		.amdhsa_next_free_vgpr 8
		.amdhsa_next_free_sgpr 20
		.amdhsa_accum_offset 8
		.amdhsa_reserve_vcc 1
		.amdhsa_reserve_flat_scratch 0
		.amdhsa_float_round_mode_32 0
		.amdhsa_float_round_mode_16_64 0
		.amdhsa_float_denorm_mode_32 3
		.amdhsa_float_denorm_mode_16_64 3
		.amdhsa_dx10_clamp 1
		.amdhsa_ieee_mode 1
		.amdhsa_fp16_overflow 0
		.amdhsa_tg_split 0
		.amdhsa_exception_fp_ieee_invalid_op 0
		.amdhsa_exception_fp_denorm_src 0
		.amdhsa_exception_fp_ieee_div_zero 0
		.amdhsa_exception_fp_ieee_overflow 0
		.amdhsa_exception_fp_ieee_underflow 0
		.amdhsa_exception_fp_ieee_inexact 0
		.amdhsa_exception_int_div_zero 0
	.end_amdhsa_kernel
	.section	.text._ZN7rocprim17ROCPRIM_400000_NS6detail17trampoline_kernelINS0_14default_configENS1_38merge_sort_block_merge_config_selectorI14custom_numericNS0_10empty_typeEEEZZNS1_27merge_sort_block_merge_implIS3_N6thrust23THRUST_200600_302600_NS6detail15normal_iteratorINSA_10device_ptrIS5_EEEEPS6_m14custom_greaterIS5_EEE10hipError_tT0_T1_T2_jT3_P12ihipStream_tbPNSt15iterator_traitsISK_E10value_typeEPNSQ_ISL_E10value_typeEPSM_NS1_7vsmem_tEENKUlT_SK_SL_SM_E_clISF_PS5_SG_SG_EESJ_SZ_SK_SL_SM_EUlSZ_E1_NS1_11comp_targetILNS1_3genE4ELNS1_11target_archE910ELNS1_3gpuE8ELNS1_3repE0EEENS1_36merge_oddeven_config_static_selectorELNS0_4arch9wavefront6targetE1EEEvSL_,"axG",@progbits,_ZN7rocprim17ROCPRIM_400000_NS6detail17trampoline_kernelINS0_14default_configENS1_38merge_sort_block_merge_config_selectorI14custom_numericNS0_10empty_typeEEEZZNS1_27merge_sort_block_merge_implIS3_N6thrust23THRUST_200600_302600_NS6detail15normal_iteratorINSA_10device_ptrIS5_EEEEPS6_m14custom_greaterIS5_EEE10hipError_tT0_T1_T2_jT3_P12ihipStream_tbPNSt15iterator_traitsISK_E10value_typeEPNSQ_ISL_E10value_typeEPSM_NS1_7vsmem_tEENKUlT_SK_SL_SM_E_clISF_PS5_SG_SG_EESJ_SZ_SK_SL_SM_EUlSZ_E1_NS1_11comp_targetILNS1_3genE4ELNS1_11target_archE910ELNS1_3gpuE8ELNS1_3repE0EEENS1_36merge_oddeven_config_static_selectorELNS0_4arch9wavefront6targetE1EEEvSL_,comdat
.Lfunc_end3722:
	.size	_ZN7rocprim17ROCPRIM_400000_NS6detail17trampoline_kernelINS0_14default_configENS1_38merge_sort_block_merge_config_selectorI14custom_numericNS0_10empty_typeEEEZZNS1_27merge_sort_block_merge_implIS3_N6thrust23THRUST_200600_302600_NS6detail15normal_iteratorINSA_10device_ptrIS5_EEEEPS6_m14custom_greaterIS5_EEE10hipError_tT0_T1_T2_jT3_P12ihipStream_tbPNSt15iterator_traitsISK_E10value_typeEPNSQ_ISL_E10value_typeEPSM_NS1_7vsmem_tEENKUlT_SK_SL_SM_E_clISF_PS5_SG_SG_EESJ_SZ_SK_SL_SM_EUlSZ_E1_NS1_11comp_targetILNS1_3genE4ELNS1_11target_archE910ELNS1_3gpuE8ELNS1_3repE0EEENS1_36merge_oddeven_config_static_selectorELNS0_4arch9wavefront6targetE1EEEvSL_, .Lfunc_end3722-_ZN7rocprim17ROCPRIM_400000_NS6detail17trampoline_kernelINS0_14default_configENS1_38merge_sort_block_merge_config_selectorI14custom_numericNS0_10empty_typeEEEZZNS1_27merge_sort_block_merge_implIS3_N6thrust23THRUST_200600_302600_NS6detail15normal_iteratorINSA_10device_ptrIS5_EEEEPS6_m14custom_greaterIS5_EEE10hipError_tT0_T1_T2_jT3_P12ihipStream_tbPNSt15iterator_traitsISK_E10value_typeEPNSQ_ISL_E10value_typeEPSM_NS1_7vsmem_tEENKUlT_SK_SL_SM_E_clISF_PS5_SG_SG_EESJ_SZ_SK_SL_SM_EUlSZ_E1_NS1_11comp_targetILNS1_3genE4ELNS1_11target_archE910ELNS1_3gpuE8ELNS1_3repE0EEENS1_36merge_oddeven_config_static_selectorELNS0_4arch9wavefront6targetE1EEEvSL_
                                        ; -- End function
	.section	.AMDGPU.csdata,"",@progbits
; Kernel info:
; codeLenInByte = 572
; NumSgprs: 24
; NumVgprs: 8
; NumAgprs: 0
; TotalNumVgprs: 8
; ScratchSize: 0
; MemoryBound: 0
; FloatMode: 240
; IeeeMode: 1
; LDSByteSize: 0 bytes/workgroup (compile time only)
; SGPRBlocks: 2
; VGPRBlocks: 0
; NumSGPRsForWavesPerEU: 24
; NumVGPRsForWavesPerEU: 8
; AccumOffset: 8
; Occupancy: 8
; WaveLimiterHint : 0
; COMPUTE_PGM_RSRC2:SCRATCH_EN: 0
; COMPUTE_PGM_RSRC2:USER_SGPR: 6
; COMPUTE_PGM_RSRC2:TRAP_HANDLER: 0
; COMPUTE_PGM_RSRC2:TGID_X_EN: 1
; COMPUTE_PGM_RSRC2:TGID_Y_EN: 0
; COMPUTE_PGM_RSRC2:TGID_Z_EN: 0
; COMPUTE_PGM_RSRC2:TIDIG_COMP_CNT: 0
; COMPUTE_PGM_RSRC3_GFX90A:ACCUM_OFFSET: 1
; COMPUTE_PGM_RSRC3_GFX90A:TG_SPLIT: 0
	.section	.text._ZN7rocprim17ROCPRIM_400000_NS6detail17trampoline_kernelINS0_14default_configENS1_38merge_sort_block_merge_config_selectorI14custom_numericNS0_10empty_typeEEEZZNS1_27merge_sort_block_merge_implIS3_N6thrust23THRUST_200600_302600_NS6detail15normal_iteratorINSA_10device_ptrIS5_EEEEPS6_m14custom_greaterIS5_EEE10hipError_tT0_T1_T2_jT3_P12ihipStream_tbPNSt15iterator_traitsISK_E10value_typeEPNSQ_ISL_E10value_typeEPSM_NS1_7vsmem_tEENKUlT_SK_SL_SM_E_clISF_PS5_SG_SG_EESJ_SZ_SK_SL_SM_EUlSZ_E1_NS1_11comp_targetILNS1_3genE3ELNS1_11target_archE908ELNS1_3gpuE7ELNS1_3repE0EEENS1_36merge_oddeven_config_static_selectorELNS0_4arch9wavefront6targetE1EEEvSL_,"axG",@progbits,_ZN7rocprim17ROCPRIM_400000_NS6detail17trampoline_kernelINS0_14default_configENS1_38merge_sort_block_merge_config_selectorI14custom_numericNS0_10empty_typeEEEZZNS1_27merge_sort_block_merge_implIS3_N6thrust23THRUST_200600_302600_NS6detail15normal_iteratorINSA_10device_ptrIS5_EEEEPS6_m14custom_greaterIS5_EEE10hipError_tT0_T1_T2_jT3_P12ihipStream_tbPNSt15iterator_traitsISK_E10value_typeEPNSQ_ISL_E10value_typeEPSM_NS1_7vsmem_tEENKUlT_SK_SL_SM_E_clISF_PS5_SG_SG_EESJ_SZ_SK_SL_SM_EUlSZ_E1_NS1_11comp_targetILNS1_3genE3ELNS1_11target_archE908ELNS1_3gpuE7ELNS1_3repE0EEENS1_36merge_oddeven_config_static_selectorELNS0_4arch9wavefront6targetE1EEEvSL_,comdat
	.protected	_ZN7rocprim17ROCPRIM_400000_NS6detail17trampoline_kernelINS0_14default_configENS1_38merge_sort_block_merge_config_selectorI14custom_numericNS0_10empty_typeEEEZZNS1_27merge_sort_block_merge_implIS3_N6thrust23THRUST_200600_302600_NS6detail15normal_iteratorINSA_10device_ptrIS5_EEEEPS6_m14custom_greaterIS5_EEE10hipError_tT0_T1_T2_jT3_P12ihipStream_tbPNSt15iterator_traitsISK_E10value_typeEPNSQ_ISL_E10value_typeEPSM_NS1_7vsmem_tEENKUlT_SK_SL_SM_E_clISF_PS5_SG_SG_EESJ_SZ_SK_SL_SM_EUlSZ_E1_NS1_11comp_targetILNS1_3genE3ELNS1_11target_archE908ELNS1_3gpuE7ELNS1_3repE0EEENS1_36merge_oddeven_config_static_selectorELNS0_4arch9wavefront6targetE1EEEvSL_ ; -- Begin function _ZN7rocprim17ROCPRIM_400000_NS6detail17trampoline_kernelINS0_14default_configENS1_38merge_sort_block_merge_config_selectorI14custom_numericNS0_10empty_typeEEEZZNS1_27merge_sort_block_merge_implIS3_N6thrust23THRUST_200600_302600_NS6detail15normal_iteratorINSA_10device_ptrIS5_EEEEPS6_m14custom_greaterIS5_EEE10hipError_tT0_T1_T2_jT3_P12ihipStream_tbPNSt15iterator_traitsISK_E10value_typeEPNSQ_ISL_E10value_typeEPSM_NS1_7vsmem_tEENKUlT_SK_SL_SM_E_clISF_PS5_SG_SG_EESJ_SZ_SK_SL_SM_EUlSZ_E1_NS1_11comp_targetILNS1_3genE3ELNS1_11target_archE908ELNS1_3gpuE7ELNS1_3repE0EEENS1_36merge_oddeven_config_static_selectorELNS0_4arch9wavefront6targetE1EEEvSL_
	.globl	_ZN7rocprim17ROCPRIM_400000_NS6detail17trampoline_kernelINS0_14default_configENS1_38merge_sort_block_merge_config_selectorI14custom_numericNS0_10empty_typeEEEZZNS1_27merge_sort_block_merge_implIS3_N6thrust23THRUST_200600_302600_NS6detail15normal_iteratorINSA_10device_ptrIS5_EEEEPS6_m14custom_greaterIS5_EEE10hipError_tT0_T1_T2_jT3_P12ihipStream_tbPNSt15iterator_traitsISK_E10value_typeEPNSQ_ISL_E10value_typeEPSM_NS1_7vsmem_tEENKUlT_SK_SL_SM_E_clISF_PS5_SG_SG_EESJ_SZ_SK_SL_SM_EUlSZ_E1_NS1_11comp_targetILNS1_3genE3ELNS1_11target_archE908ELNS1_3gpuE7ELNS1_3repE0EEENS1_36merge_oddeven_config_static_selectorELNS0_4arch9wavefront6targetE1EEEvSL_
	.p2align	8
	.type	_ZN7rocprim17ROCPRIM_400000_NS6detail17trampoline_kernelINS0_14default_configENS1_38merge_sort_block_merge_config_selectorI14custom_numericNS0_10empty_typeEEEZZNS1_27merge_sort_block_merge_implIS3_N6thrust23THRUST_200600_302600_NS6detail15normal_iteratorINSA_10device_ptrIS5_EEEEPS6_m14custom_greaterIS5_EEE10hipError_tT0_T1_T2_jT3_P12ihipStream_tbPNSt15iterator_traitsISK_E10value_typeEPNSQ_ISL_E10value_typeEPSM_NS1_7vsmem_tEENKUlT_SK_SL_SM_E_clISF_PS5_SG_SG_EESJ_SZ_SK_SL_SM_EUlSZ_E1_NS1_11comp_targetILNS1_3genE3ELNS1_11target_archE908ELNS1_3gpuE7ELNS1_3repE0EEENS1_36merge_oddeven_config_static_selectorELNS0_4arch9wavefront6targetE1EEEvSL_,@function
_ZN7rocprim17ROCPRIM_400000_NS6detail17trampoline_kernelINS0_14default_configENS1_38merge_sort_block_merge_config_selectorI14custom_numericNS0_10empty_typeEEEZZNS1_27merge_sort_block_merge_implIS3_N6thrust23THRUST_200600_302600_NS6detail15normal_iteratorINSA_10device_ptrIS5_EEEEPS6_m14custom_greaterIS5_EEE10hipError_tT0_T1_T2_jT3_P12ihipStream_tbPNSt15iterator_traitsISK_E10value_typeEPNSQ_ISL_E10value_typeEPSM_NS1_7vsmem_tEENKUlT_SK_SL_SM_E_clISF_PS5_SG_SG_EESJ_SZ_SK_SL_SM_EUlSZ_E1_NS1_11comp_targetILNS1_3genE3ELNS1_11target_archE908ELNS1_3gpuE7ELNS1_3repE0EEENS1_36merge_oddeven_config_static_selectorELNS0_4arch9wavefront6targetE1EEEvSL_: ; @_ZN7rocprim17ROCPRIM_400000_NS6detail17trampoline_kernelINS0_14default_configENS1_38merge_sort_block_merge_config_selectorI14custom_numericNS0_10empty_typeEEEZZNS1_27merge_sort_block_merge_implIS3_N6thrust23THRUST_200600_302600_NS6detail15normal_iteratorINSA_10device_ptrIS5_EEEEPS6_m14custom_greaterIS5_EEE10hipError_tT0_T1_T2_jT3_P12ihipStream_tbPNSt15iterator_traitsISK_E10value_typeEPNSQ_ISL_E10value_typeEPSM_NS1_7vsmem_tEENKUlT_SK_SL_SM_E_clISF_PS5_SG_SG_EESJ_SZ_SK_SL_SM_EUlSZ_E1_NS1_11comp_targetILNS1_3genE3ELNS1_11target_archE908ELNS1_3gpuE7ELNS1_3repE0EEENS1_36merge_oddeven_config_static_selectorELNS0_4arch9wavefront6targetE1EEEvSL_
; %bb.0:
	.section	.rodata,"a",@progbits
	.p2align	6, 0x0
	.amdhsa_kernel _ZN7rocprim17ROCPRIM_400000_NS6detail17trampoline_kernelINS0_14default_configENS1_38merge_sort_block_merge_config_selectorI14custom_numericNS0_10empty_typeEEEZZNS1_27merge_sort_block_merge_implIS3_N6thrust23THRUST_200600_302600_NS6detail15normal_iteratorINSA_10device_ptrIS5_EEEEPS6_m14custom_greaterIS5_EEE10hipError_tT0_T1_T2_jT3_P12ihipStream_tbPNSt15iterator_traitsISK_E10value_typeEPNSQ_ISL_E10value_typeEPSM_NS1_7vsmem_tEENKUlT_SK_SL_SM_E_clISF_PS5_SG_SG_EESJ_SZ_SK_SL_SM_EUlSZ_E1_NS1_11comp_targetILNS1_3genE3ELNS1_11target_archE908ELNS1_3gpuE7ELNS1_3repE0EEENS1_36merge_oddeven_config_static_selectorELNS0_4arch9wavefront6targetE1EEEvSL_
		.amdhsa_group_segment_fixed_size 0
		.amdhsa_private_segment_fixed_size 0
		.amdhsa_kernarg_size 56
		.amdhsa_user_sgpr_count 6
		.amdhsa_user_sgpr_private_segment_buffer 1
		.amdhsa_user_sgpr_dispatch_ptr 0
		.amdhsa_user_sgpr_queue_ptr 0
		.amdhsa_user_sgpr_kernarg_segment_ptr 1
		.amdhsa_user_sgpr_dispatch_id 0
		.amdhsa_user_sgpr_flat_scratch_init 0
		.amdhsa_user_sgpr_kernarg_preload_length 0
		.amdhsa_user_sgpr_kernarg_preload_offset 0
		.amdhsa_user_sgpr_private_segment_size 0
		.amdhsa_uses_dynamic_stack 0
		.amdhsa_system_sgpr_private_segment_wavefront_offset 0
		.amdhsa_system_sgpr_workgroup_id_x 1
		.amdhsa_system_sgpr_workgroup_id_y 0
		.amdhsa_system_sgpr_workgroup_id_z 0
		.amdhsa_system_sgpr_workgroup_info 0
		.amdhsa_system_vgpr_workitem_id 0
		.amdhsa_next_free_vgpr 1
		.amdhsa_next_free_sgpr 0
		.amdhsa_accum_offset 4
		.amdhsa_reserve_vcc 0
		.amdhsa_reserve_flat_scratch 0
		.amdhsa_float_round_mode_32 0
		.amdhsa_float_round_mode_16_64 0
		.amdhsa_float_denorm_mode_32 3
		.amdhsa_float_denorm_mode_16_64 3
		.amdhsa_dx10_clamp 1
		.amdhsa_ieee_mode 1
		.amdhsa_fp16_overflow 0
		.amdhsa_tg_split 0
		.amdhsa_exception_fp_ieee_invalid_op 0
		.amdhsa_exception_fp_denorm_src 0
		.amdhsa_exception_fp_ieee_div_zero 0
		.amdhsa_exception_fp_ieee_overflow 0
		.amdhsa_exception_fp_ieee_underflow 0
		.amdhsa_exception_fp_ieee_inexact 0
		.amdhsa_exception_int_div_zero 0
	.end_amdhsa_kernel
	.section	.text._ZN7rocprim17ROCPRIM_400000_NS6detail17trampoline_kernelINS0_14default_configENS1_38merge_sort_block_merge_config_selectorI14custom_numericNS0_10empty_typeEEEZZNS1_27merge_sort_block_merge_implIS3_N6thrust23THRUST_200600_302600_NS6detail15normal_iteratorINSA_10device_ptrIS5_EEEEPS6_m14custom_greaterIS5_EEE10hipError_tT0_T1_T2_jT3_P12ihipStream_tbPNSt15iterator_traitsISK_E10value_typeEPNSQ_ISL_E10value_typeEPSM_NS1_7vsmem_tEENKUlT_SK_SL_SM_E_clISF_PS5_SG_SG_EESJ_SZ_SK_SL_SM_EUlSZ_E1_NS1_11comp_targetILNS1_3genE3ELNS1_11target_archE908ELNS1_3gpuE7ELNS1_3repE0EEENS1_36merge_oddeven_config_static_selectorELNS0_4arch9wavefront6targetE1EEEvSL_,"axG",@progbits,_ZN7rocprim17ROCPRIM_400000_NS6detail17trampoline_kernelINS0_14default_configENS1_38merge_sort_block_merge_config_selectorI14custom_numericNS0_10empty_typeEEEZZNS1_27merge_sort_block_merge_implIS3_N6thrust23THRUST_200600_302600_NS6detail15normal_iteratorINSA_10device_ptrIS5_EEEEPS6_m14custom_greaterIS5_EEE10hipError_tT0_T1_T2_jT3_P12ihipStream_tbPNSt15iterator_traitsISK_E10value_typeEPNSQ_ISL_E10value_typeEPSM_NS1_7vsmem_tEENKUlT_SK_SL_SM_E_clISF_PS5_SG_SG_EESJ_SZ_SK_SL_SM_EUlSZ_E1_NS1_11comp_targetILNS1_3genE3ELNS1_11target_archE908ELNS1_3gpuE7ELNS1_3repE0EEENS1_36merge_oddeven_config_static_selectorELNS0_4arch9wavefront6targetE1EEEvSL_,comdat
.Lfunc_end3723:
	.size	_ZN7rocprim17ROCPRIM_400000_NS6detail17trampoline_kernelINS0_14default_configENS1_38merge_sort_block_merge_config_selectorI14custom_numericNS0_10empty_typeEEEZZNS1_27merge_sort_block_merge_implIS3_N6thrust23THRUST_200600_302600_NS6detail15normal_iteratorINSA_10device_ptrIS5_EEEEPS6_m14custom_greaterIS5_EEE10hipError_tT0_T1_T2_jT3_P12ihipStream_tbPNSt15iterator_traitsISK_E10value_typeEPNSQ_ISL_E10value_typeEPSM_NS1_7vsmem_tEENKUlT_SK_SL_SM_E_clISF_PS5_SG_SG_EESJ_SZ_SK_SL_SM_EUlSZ_E1_NS1_11comp_targetILNS1_3genE3ELNS1_11target_archE908ELNS1_3gpuE7ELNS1_3repE0EEENS1_36merge_oddeven_config_static_selectorELNS0_4arch9wavefront6targetE1EEEvSL_, .Lfunc_end3723-_ZN7rocprim17ROCPRIM_400000_NS6detail17trampoline_kernelINS0_14default_configENS1_38merge_sort_block_merge_config_selectorI14custom_numericNS0_10empty_typeEEEZZNS1_27merge_sort_block_merge_implIS3_N6thrust23THRUST_200600_302600_NS6detail15normal_iteratorINSA_10device_ptrIS5_EEEEPS6_m14custom_greaterIS5_EEE10hipError_tT0_T1_T2_jT3_P12ihipStream_tbPNSt15iterator_traitsISK_E10value_typeEPNSQ_ISL_E10value_typeEPSM_NS1_7vsmem_tEENKUlT_SK_SL_SM_E_clISF_PS5_SG_SG_EESJ_SZ_SK_SL_SM_EUlSZ_E1_NS1_11comp_targetILNS1_3genE3ELNS1_11target_archE908ELNS1_3gpuE7ELNS1_3repE0EEENS1_36merge_oddeven_config_static_selectorELNS0_4arch9wavefront6targetE1EEEvSL_
                                        ; -- End function
	.section	.AMDGPU.csdata,"",@progbits
; Kernel info:
; codeLenInByte = 0
; NumSgprs: 4
; NumVgprs: 0
; NumAgprs: 0
; TotalNumVgprs: 0
; ScratchSize: 0
; MemoryBound: 0
; FloatMode: 240
; IeeeMode: 1
; LDSByteSize: 0 bytes/workgroup (compile time only)
; SGPRBlocks: 0
; VGPRBlocks: 0
; NumSGPRsForWavesPerEU: 4
; NumVGPRsForWavesPerEU: 1
; AccumOffset: 4
; Occupancy: 8
; WaveLimiterHint : 0
; COMPUTE_PGM_RSRC2:SCRATCH_EN: 0
; COMPUTE_PGM_RSRC2:USER_SGPR: 6
; COMPUTE_PGM_RSRC2:TRAP_HANDLER: 0
; COMPUTE_PGM_RSRC2:TGID_X_EN: 1
; COMPUTE_PGM_RSRC2:TGID_Y_EN: 0
; COMPUTE_PGM_RSRC2:TGID_Z_EN: 0
; COMPUTE_PGM_RSRC2:TIDIG_COMP_CNT: 0
; COMPUTE_PGM_RSRC3_GFX90A:ACCUM_OFFSET: 0
; COMPUTE_PGM_RSRC3_GFX90A:TG_SPLIT: 0
	.section	.text._ZN7rocprim17ROCPRIM_400000_NS6detail17trampoline_kernelINS0_14default_configENS1_38merge_sort_block_merge_config_selectorI14custom_numericNS0_10empty_typeEEEZZNS1_27merge_sort_block_merge_implIS3_N6thrust23THRUST_200600_302600_NS6detail15normal_iteratorINSA_10device_ptrIS5_EEEEPS6_m14custom_greaterIS5_EEE10hipError_tT0_T1_T2_jT3_P12ihipStream_tbPNSt15iterator_traitsISK_E10value_typeEPNSQ_ISL_E10value_typeEPSM_NS1_7vsmem_tEENKUlT_SK_SL_SM_E_clISF_PS5_SG_SG_EESJ_SZ_SK_SL_SM_EUlSZ_E1_NS1_11comp_targetILNS1_3genE2ELNS1_11target_archE906ELNS1_3gpuE6ELNS1_3repE0EEENS1_36merge_oddeven_config_static_selectorELNS0_4arch9wavefront6targetE1EEEvSL_,"axG",@progbits,_ZN7rocprim17ROCPRIM_400000_NS6detail17trampoline_kernelINS0_14default_configENS1_38merge_sort_block_merge_config_selectorI14custom_numericNS0_10empty_typeEEEZZNS1_27merge_sort_block_merge_implIS3_N6thrust23THRUST_200600_302600_NS6detail15normal_iteratorINSA_10device_ptrIS5_EEEEPS6_m14custom_greaterIS5_EEE10hipError_tT0_T1_T2_jT3_P12ihipStream_tbPNSt15iterator_traitsISK_E10value_typeEPNSQ_ISL_E10value_typeEPSM_NS1_7vsmem_tEENKUlT_SK_SL_SM_E_clISF_PS5_SG_SG_EESJ_SZ_SK_SL_SM_EUlSZ_E1_NS1_11comp_targetILNS1_3genE2ELNS1_11target_archE906ELNS1_3gpuE6ELNS1_3repE0EEENS1_36merge_oddeven_config_static_selectorELNS0_4arch9wavefront6targetE1EEEvSL_,comdat
	.protected	_ZN7rocprim17ROCPRIM_400000_NS6detail17trampoline_kernelINS0_14default_configENS1_38merge_sort_block_merge_config_selectorI14custom_numericNS0_10empty_typeEEEZZNS1_27merge_sort_block_merge_implIS3_N6thrust23THRUST_200600_302600_NS6detail15normal_iteratorINSA_10device_ptrIS5_EEEEPS6_m14custom_greaterIS5_EEE10hipError_tT0_T1_T2_jT3_P12ihipStream_tbPNSt15iterator_traitsISK_E10value_typeEPNSQ_ISL_E10value_typeEPSM_NS1_7vsmem_tEENKUlT_SK_SL_SM_E_clISF_PS5_SG_SG_EESJ_SZ_SK_SL_SM_EUlSZ_E1_NS1_11comp_targetILNS1_3genE2ELNS1_11target_archE906ELNS1_3gpuE6ELNS1_3repE0EEENS1_36merge_oddeven_config_static_selectorELNS0_4arch9wavefront6targetE1EEEvSL_ ; -- Begin function _ZN7rocprim17ROCPRIM_400000_NS6detail17trampoline_kernelINS0_14default_configENS1_38merge_sort_block_merge_config_selectorI14custom_numericNS0_10empty_typeEEEZZNS1_27merge_sort_block_merge_implIS3_N6thrust23THRUST_200600_302600_NS6detail15normal_iteratorINSA_10device_ptrIS5_EEEEPS6_m14custom_greaterIS5_EEE10hipError_tT0_T1_T2_jT3_P12ihipStream_tbPNSt15iterator_traitsISK_E10value_typeEPNSQ_ISL_E10value_typeEPSM_NS1_7vsmem_tEENKUlT_SK_SL_SM_E_clISF_PS5_SG_SG_EESJ_SZ_SK_SL_SM_EUlSZ_E1_NS1_11comp_targetILNS1_3genE2ELNS1_11target_archE906ELNS1_3gpuE6ELNS1_3repE0EEENS1_36merge_oddeven_config_static_selectorELNS0_4arch9wavefront6targetE1EEEvSL_
	.globl	_ZN7rocprim17ROCPRIM_400000_NS6detail17trampoline_kernelINS0_14default_configENS1_38merge_sort_block_merge_config_selectorI14custom_numericNS0_10empty_typeEEEZZNS1_27merge_sort_block_merge_implIS3_N6thrust23THRUST_200600_302600_NS6detail15normal_iteratorINSA_10device_ptrIS5_EEEEPS6_m14custom_greaterIS5_EEE10hipError_tT0_T1_T2_jT3_P12ihipStream_tbPNSt15iterator_traitsISK_E10value_typeEPNSQ_ISL_E10value_typeEPSM_NS1_7vsmem_tEENKUlT_SK_SL_SM_E_clISF_PS5_SG_SG_EESJ_SZ_SK_SL_SM_EUlSZ_E1_NS1_11comp_targetILNS1_3genE2ELNS1_11target_archE906ELNS1_3gpuE6ELNS1_3repE0EEENS1_36merge_oddeven_config_static_selectorELNS0_4arch9wavefront6targetE1EEEvSL_
	.p2align	8
	.type	_ZN7rocprim17ROCPRIM_400000_NS6detail17trampoline_kernelINS0_14default_configENS1_38merge_sort_block_merge_config_selectorI14custom_numericNS0_10empty_typeEEEZZNS1_27merge_sort_block_merge_implIS3_N6thrust23THRUST_200600_302600_NS6detail15normal_iteratorINSA_10device_ptrIS5_EEEEPS6_m14custom_greaterIS5_EEE10hipError_tT0_T1_T2_jT3_P12ihipStream_tbPNSt15iterator_traitsISK_E10value_typeEPNSQ_ISL_E10value_typeEPSM_NS1_7vsmem_tEENKUlT_SK_SL_SM_E_clISF_PS5_SG_SG_EESJ_SZ_SK_SL_SM_EUlSZ_E1_NS1_11comp_targetILNS1_3genE2ELNS1_11target_archE906ELNS1_3gpuE6ELNS1_3repE0EEENS1_36merge_oddeven_config_static_selectorELNS0_4arch9wavefront6targetE1EEEvSL_,@function
_ZN7rocprim17ROCPRIM_400000_NS6detail17trampoline_kernelINS0_14default_configENS1_38merge_sort_block_merge_config_selectorI14custom_numericNS0_10empty_typeEEEZZNS1_27merge_sort_block_merge_implIS3_N6thrust23THRUST_200600_302600_NS6detail15normal_iteratorINSA_10device_ptrIS5_EEEEPS6_m14custom_greaterIS5_EEE10hipError_tT0_T1_T2_jT3_P12ihipStream_tbPNSt15iterator_traitsISK_E10value_typeEPNSQ_ISL_E10value_typeEPSM_NS1_7vsmem_tEENKUlT_SK_SL_SM_E_clISF_PS5_SG_SG_EESJ_SZ_SK_SL_SM_EUlSZ_E1_NS1_11comp_targetILNS1_3genE2ELNS1_11target_archE906ELNS1_3gpuE6ELNS1_3repE0EEENS1_36merge_oddeven_config_static_selectorELNS0_4arch9wavefront6targetE1EEEvSL_: ; @_ZN7rocprim17ROCPRIM_400000_NS6detail17trampoline_kernelINS0_14default_configENS1_38merge_sort_block_merge_config_selectorI14custom_numericNS0_10empty_typeEEEZZNS1_27merge_sort_block_merge_implIS3_N6thrust23THRUST_200600_302600_NS6detail15normal_iteratorINSA_10device_ptrIS5_EEEEPS6_m14custom_greaterIS5_EEE10hipError_tT0_T1_T2_jT3_P12ihipStream_tbPNSt15iterator_traitsISK_E10value_typeEPNSQ_ISL_E10value_typeEPSM_NS1_7vsmem_tEENKUlT_SK_SL_SM_E_clISF_PS5_SG_SG_EESJ_SZ_SK_SL_SM_EUlSZ_E1_NS1_11comp_targetILNS1_3genE2ELNS1_11target_archE906ELNS1_3gpuE6ELNS1_3repE0EEENS1_36merge_oddeven_config_static_selectorELNS0_4arch9wavefront6targetE1EEEvSL_
; %bb.0:
	.section	.rodata,"a",@progbits
	.p2align	6, 0x0
	.amdhsa_kernel _ZN7rocprim17ROCPRIM_400000_NS6detail17trampoline_kernelINS0_14default_configENS1_38merge_sort_block_merge_config_selectorI14custom_numericNS0_10empty_typeEEEZZNS1_27merge_sort_block_merge_implIS3_N6thrust23THRUST_200600_302600_NS6detail15normal_iteratorINSA_10device_ptrIS5_EEEEPS6_m14custom_greaterIS5_EEE10hipError_tT0_T1_T2_jT3_P12ihipStream_tbPNSt15iterator_traitsISK_E10value_typeEPNSQ_ISL_E10value_typeEPSM_NS1_7vsmem_tEENKUlT_SK_SL_SM_E_clISF_PS5_SG_SG_EESJ_SZ_SK_SL_SM_EUlSZ_E1_NS1_11comp_targetILNS1_3genE2ELNS1_11target_archE906ELNS1_3gpuE6ELNS1_3repE0EEENS1_36merge_oddeven_config_static_selectorELNS0_4arch9wavefront6targetE1EEEvSL_
		.amdhsa_group_segment_fixed_size 0
		.amdhsa_private_segment_fixed_size 0
		.amdhsa_kernarg_size 56
		.amdhsa_user_sgpr_count 6
		.amdhsa_user_sgpr_private_segment_buffer 1
		.amdhsa_user_sgpr_dispatch_ptr 0
		.amdhsa_user_sgpr_queue_ptr 0
		.amdhsa_user_sgpr_kernarg_segment_ptr 1
		.amdhsa_user_sgpr_dispatch_id 0
		.amdhsa_user_sgpr_flat_scratch_init 0
		.amdhsa_user_sgpr_kernarg_preload_length 0
		.amdhsa_user_sgpr_kernarg_preload_offset 0
		.amdhsa_user_sgpr_private_segment_size 0
		.amdhsa_uses_dynamic_stack 0
		.amdhsa_system_sgpr_private_segment_wavefront_offset 0
		.amdhsa_system_sgpr_workgroup_id_x 1
		.amdhsa_system_sgpr_workgroup_id_y 0
		.amdhsa_system_sgpr_workgroup_id_z 0
		.amdhsa_system_sgpr_workgroup_info 0
		.amdhsa_system_vgpr_workitem_id 0
		.amdhsa_next_free_vgpr 1
		.amdhsa_next_free_sgpr 0
		.amdhsa_accum_offset 4
		.amdhsa_reserve_vcc 0
		.amdhsa_reserve_flat_scratch 0
		.amdhsa_float_round_mode_32 0
		.amdhsa_float_round_mode_16_64 0
		.amdhsa_float_denorm_mode_32 3
		.amdhsa_float_denorm_mode_16_64 3
		.amdhsa_dx10_clamp 1
		.amdhsa_ieee_mode 1
		.amdhsa_fp16_overflow 0
		.amdhsa_tg_split 0
		.amdhsa_exception_fp_ieee_invalid_op 0
		.amdhsa_exception_fp_denorm_src 0
		.amdhsa_exception_fp_ieee_div_zero 0
		.amdhsa_exception_fp_ieee_overflow 0
		.amdhsa_exception_fp_ieee_underflow 0
		.amdhsa_exception_fp_ieee_inexact 0
		.amdhsa_exception_int_div_zero 0
	.end_amdhsa_kernel
	.section	.text._ZN7rocprim17ROCPRIM_400000_NS6detail17trampoline_kernelINS0_14default_configENS1_38merge_sort_block_merge_config_selectorI14custom_numericNS0_10empty_typeEEEZZNS1_27merge_sort_block_merge_implIS3_N6thrust23THRUST_200600_302600_NS6detail15normal_iteratorINSA_10device_ptrIS5_EEEEPS6_m14custom_greaterIS5_EEE10hipError_tT0_T1_T2_jT3_P12ihipStream_tbPNSt15iterator_traitsISK_E10value_typeEPNSQ_ISL_E10value_typeEPSM_NS1_7vsmem_tEENKUlT_SK_SL_SM_E_clISF_PS5_SG_SG_EESJ_SZ_SK_SL_SM_EUlSZ_E1_NS1_11comp_targetILNS1_3genE2ELNS1_11target_archE906ELNS1_3gpuE6ELNS1_3repE0EEENS1_36merge_oddeven_config_static_selectorELNS0_4arch9wavefront6targetE1EEEvSL_,"axG",@progbits,_ZN7rocprim17ROCPRIM_400000_NS6detail17trampoline_kernelINS0_14default_configENS1_38merge_sort_block_merge_config_selectorI14custom_numericNS0_10empty_typeEEEZZNS1_27merge_sort_block_merge_implIS3_N6thrust23THRUST_200600_302600_NS6detail15normal_iteratorINSA_10device_ptrIS5_EEEEPS6_m14custom_greaterIS5_EEE10hipError_tT0_T1_T2_jT3_P12ihipStream_tbPNSt15iterator_traitsISK_E10value_typeEPNSQ_ISL_E10value_typeEPSM_NS1_7vsmem_tEENKUlT_SK_SL_SM_E_clISF_PS5_SG_SG_EESJ_SZ_SK_SL_SM_EUlSZ_E1_NS1_11comp_targetILNS1_3genE2ELNS1_11target_archE906ELNS1_3gpuE6ELNS1_3repE0EEENS1_36merge_oddeven_config_static_selectorELNS0_4arch9wavefront6targetE1EEEvSL_,comdat
.Lfunc_end3724:
	.size	_ZN7rocprim17ROCPRIM_400000_NS6detail17trampoline_kernelINS0_14default_configENS1_38merge_sort_block_merge_config_selectorI14custom_numericNS0_10empty_typeEEEZZNS1_27merge_sort_block_merge_implIS3_N6thrust23THRUST_200600_302600_NS6detail15normal_iteratorINSA_10device_ptrIS5_EEEEPS6_m14custom_greaterIS5_EEE10hipError_tT0_T1_T2_jT3_P12ihipStream_tbPNSt15iterator_traitsISK_E10value_typeEPNSQ_ISL_E10value_typeEPSM_NS1_7vsmem_tEENKUlT_SK_SL_SM_E_clISF_PS5_SG_SG_EESJ_SZ_SK_SL_SM_EUlSZ_E1_NS1_11comp_targetILNS1_3genE2ELNS1_11target_archE906ELNS1_3gpuE6ELNS1_3repE0EEENS1_36merge_oddeven_config_static_selectorELNS0_4arch9wavefront6targetE1EEEvSL_, .Lfunc_end3724-_ZN7rocprim17ROCPRIM_400000_NS6detail17trampoline_kernelINS0_14default_configENS1_38merge_sort_block_merge_config_selectorI14custom_numericNS0_10empty_typeEEEZZNS1_27merge_sort_block_merge_implIS3_N6thrust23THRUST_200600_302600_NS6detail15normal_iteratorINSA_10device_ptrIS5_EEEEPS6_m14custom_greaterIS5_EEE10hipError_tT0_T1_T2_jT3_P12ihipStream_tbPNSt15iterator_traitsISK_E10value_typeEPNSQ_ISL_E10value_typeEPSM_NS1_7vsmem_tEENKUlT_SK_SL_SM_E_clISF_PS5_SG_SG_EESJ_SZ_SK_SL_SM_EUlSZ_E1_NS1_11comp_targetILNS1_3genE2ELNS1_11target_archE906ELNS1_3gpuE6ELNS1_3repE0EEENS1_36merge_oddeven_config_static_selectorELNS0_4arch9wavefront6targetE1EEEvSL_
                                        ; -- End function
	.section	.AMDGPU.csdata,"",@progbits
; Kernel info:
; codeLenInByte = 0
; NumSgprs: 4
; NumVgprs: 0
; NumAgprs: 0
; TotalNumVgprs: 0
; ScratchSize: 0
; MemoryBound: 0
; FloatMode: 240
; IeeeMode: 1
; LDSByteSize: 0 bytes/workgroup (compile time only)
; SGPRBlocks: 0
; VGPRBlocks: 0
; NumSGPRsForWavesPerEU: 4
; NumVGPRsForWavesPerEU: 1
; AccumOffset: 4
; Occupancy: 8
; WaveLimiterHint : 0
; COMPUTE_PGM_RSRC2:SCRATCH_EN: 0
; COMPUTE_PGM_RSRC2:USER_SGPR: 6
; COMPUTE_PGM_RSRC2:TRAP_HANDLER: 0
; COMPUTE_PGM_RSRC2:TGID_X_EN: 1
; COMPUTE_PGM_RSRC2:TGID_Y_EN: 0
; COMPUTE_PGM_RSRC2:TGID_Z_EN: 0
; COMPUTE_PGM_RSRC2:TIDIG_COMP_CNT: 0
; COMPUTE_PGM_RSRC3_GFX90A:ACCUM_OFFSET: 0
; COMPUTE_PGM_RSRC3_GFX90A:TG_SPLIT: 0
	.section	.text._ZN7rocprim17ROCPRIM_400000_NS6detail17trampoline_kernelINS0_14default_configENS1_38merge_sort_block_merge_config_selectorI14custom_numericNS0_10empty_typeEEEZZNS1_27merge_sort_block_merge_implIS3_N6thrust23THRUST_200600_302600_NS6detail15normal_iteratorINSA_10device_ptrIS5_EEEEPS6_m14custom_greaterIS5_EEE10hipError_tT0_T1_T2_jT3_P12ihipStream_tbPNSt15iterator_traitsISK_E10value_typeEPNSQ_ISL_E10value_typeEPSM_NS1_7vsmem_tEENKUlT_SK_SL_SM_E_clISF_PS5_SG_SG_EESJ_SZ_SK_SL_SM_EUlSZ_E1_NS1_11comp_targetILNS1_3genE9ELNS1_11target_archE1100ELNS1_3gpuE3ELNS1_3repE0EEENS1_36merge_oddeven_config_static_selectorELNS0_4arch9wavefront6targetE1EEEvSL_,"axG",@progbits,_ZN7rocprim17ROCPRIM_400000_NS6detail17trampoline_kernelINS0_14default_configENS1_38merge_sort_block_merge_config_selectorI14custom_numericNS0_10empty_typeEEEZZNS1_27merge_sort_block_merge_implIS3_N6thrust23THRUST_200600_302600_NS6detail15normal_iteratorINSA_10device_ptrIS5_EEEEPS6_m14custom_greaterIS5_EEE10hipError_tT0_T1_T2_jT3_P12ihipStream_tbPNSt15iterator_traitsISK_E10value_typeEPNSQ_ISL_E10value_typeEPSM_NS1_7vsmem_tEENKUlT_SK_SL_SM_E_clISF_PS5_SG_SG_EESJ_SZ_SK_SL_SM_EUlSZ_E1_NS1_11comp_targetILNS1_3genE9ELNS1_11target_archE1100ELNS1_3gpuE3ELNS1_3repE0EEENS1_36merge_oddeven_config_static_selectorELNS0_4arch9wavefront6targetE1EEEvSL_,comdat
	.protected	_ZN7rocprim17ROCPRIM_400000_NS6detail17trampoline_kernelINS0_14default_configENS1_38merge_sort_block_merge_config_selectorI14custom_numericNS0_10empty_typeEEEZZNS1_27merge_sort_block_merge_implIS3_N6thrust23THRUST_200600_302600_NS6detail15normal_iteratorINSA_10device_ptrIS5_EEEEPS6_m14custom_greaterIS5_EEE10hipError_tT0_T1_T2_jT3_P12ihipStream_tbPNSt15iterator_traitsISK_E10value_typeEPNSQ_ISL_E10value_typeEPSM_NS1_7vsmem_tEENKUlT_SK_SL_SM_E_clISF_PS5_SG_SG_EESJ_SZ_SK_SL_SM_EUlSZ_E1_NS1_11comp_targetILNS1_3genE9ELNS1_11target_archE1100ELNS1_3gpuE3ELNS1_3repE0EEENS1_36merge_oddeven_config_static_selectorELNS0_4arch9wavefront6targetE1EEEvSL_ ; -- Begin function _ZN7rocprim17ROCPRIM_400000_NS6detail17trampoline_kernelINS0_14default_configENS1_38merge_sort_block_merge_config_selectorI14custom_numericNS0_10empty_typeEEEZZNS1_27merge_sort_block_merge_implIS3_N6thrust23THRUST_200600_302600_NS6detail15normal_iteratorINSA_10device_ptrIS5_EEEEPS6_m14custom_greaterIS5_EEE10hipError_tT0_T1_T2_jT3_P12ihipStream_tbPNSt15iterator_traitsISK_E10value_typeEPNSQ_ISL_E10value_typeEPSM_NS1_7vsmem_tEENKUlT_SK_SL_SM_E_clISF_PS5_SG_SG_EESJ_SZ_SK_SL_SM_EUlSZ_E1_NS1_11comp_targetILNS1_3genE9ELNS1_11target_archE1100ELNS1_3gpuE3ELNS1_3repE0EEENS1_36merge_oddeven_config_static_selectorELNS0_4arch9wavefront6targetE1EEEvSL_
	.globl	_ZN7rocprim17ROCPRIM_400000_NS6detail17trampoline_kernelINS0_14default_configENS1_38merge_sort_block_merge_config_selectorI14custom_numericNS0_10empty_typeEEEZZNS1_27merge_sort_block_merge_implIS3_N6thrust23THRUST_200600_302600_NS6detail15normal_iteratorINSA_10device_ptrIS5_EEEEPS6_m14custom_greaterIS5_EEE10hipError_tT0_T1_T2_jT3_P12ihipStream_tbPNSt15iterator_traitsISK_E10value_typeEPNSQ_ISL_E10value_typeEPSM_NS1_7vsmem_tEENKUlT_SK_SL_SM_E_clISF_PS5_SG_SG_EESJ_SZ_SK_SL_SM_EUlSZ_E1_NS1_11comp_targetILNS1_3genE9ELNS1_11target_archE1100ELNS1_3gpuE3ELNS1_3repE0EEENS1_36merge_oddeven_config_static_selectorELNS0_4arch9wavefront6targetE1EEEvSL_
	.p2align	8
	.type	_ZN7rocprim17ROCPRIM_400000_NS6detail17trampoline_kernelINS0_14default_configENS1_38merge_sort_block_merge_config_selectorI14custom_numericNS0_10empty_typeEEEZZNS1_27merge_sort_block_merge_implIS3_N6thrust23THRUST_200600_302600_NS6detail15normal_iteratorINSA_10device_ptrIS5_EEEEPS6_m14custom_greaterIS5_EEE10hipError_tT0_T1_T2_jT3_P12ihipStream_tbPNSt15iterator_traitsISK_E10value_typeEPNSQ_ISL_E10value_typeEPSM_NS1_7vsmem_tEENKUlT_SK_SL_SM_E_clISF_PS5_SG_SG_EESJ_SZ_SK_SL_SM_EUlSZ_E1_NS1_11comp_targetILNS1_3genE9ELNS1_11target_archE1100ELNS1_3gpuE3ELNS1_3repE0EEENS1_36merge_oddeven_config_static_selectorELNS0_4arch9wavefront6targetE1EEEvSL_,@function
_ZN7rocprim17ROCPRIM_400000_NS6detail17trampoline_kernelINS0_14default_configENS1_38merge_sort_block_merge_config_selectorI14custom_numericNS0_10empty_typeEEEZZNS1_27merge_sort_block_merge_implIS3_N6thrust23THRUST_200600_302600_NS6detail15normal_iteratorINSA_10device_ptrIS5_EEEEPS6_m14custom_greaterIS5_EEE10hipError_tT0_T1_T2_jT3_P12ihipStream_tbPNSt15iterator_traitsISK_E10value_typeEPNSQ_ISL_E10value_typeEPSM_NS1_7vsmem_tEENKUlT_SK_SL_SM_E_clISF_PS5_SG_SG_EESJ_SZ_SK_SL_SM_EUlSZ_E1_NS1_11comp_targetILNS1_3genE9ELNS1_11target_archE1100ELNS1_3gpuE3ELNS1_3repE0EEENS1_36merge_oddeven_config_static_selectorELNS0_4arch9wavefront6targetE1EEEvSL_: ; @_ZN7rocprim17ROCPRIM_400000_NS6detail17trampoline_kernelINS0_14default_configENS1_38merge_sort_block_merge_config_selectorI14custom_numericNS0_10empty_typeEEEZZNS1_27merge_sort_block_merge_implIS3_N6thrust23THRUST_200600_302600_NS6detail15normal_iteratorINSA_10device_ptrIS5_EEEEPS6_m14custom_greaterIS5_EEE10hipError_tT0_T1_T2_jT3_P12ihipStream_tbPNSt15iterator_traitsISK_E10value_typeEPNSQ_ISL_E10value_typeEPSM_NS1_7vsmem_tEENKUlT_SK_SL_SM_E_clISF_PS5_SG_SG_EESJ_SZ_SK_SL_SM_EUlSZ_E1_NS1_11comp_targetILNS1_3genE9ELNS1_11target_archE1100ELNS1_3gpuE3ELNS1_3repE0EEENS1_36merge_oddeven_config_static_selectorELNS0_4arch9wavefront6targetE1EEEvSL_
; %bb.0:
	.section	.rodata,"a",@progbits
	.p2align	6, 0x0
	.amdhsa_kernel _ZN7rocprim17ROCPRIM_400000_NS6detail17trampoline_kernelINS0_14default_configENS1_38merge_sort_block_merge_config_selectorI14custom_numericNS0_10empty_typeEEEZZNS1_27merge_sort_block_merge_implIS3_N6thrust23THRUST_200600_302600_NS6detail15normal_iteratorINSA_10device_ptrIS5_EEEEPS6_m14custom_greaterIS5_EEE10hipError_tT0_T1_T2_jT3_P12ihipStream_tbPNSt15iterator_traitsISK_E10value_typeEPNSQ_ISL_E10value_typeEPSM_NS1_7vsmem_tEENKUlT_SK_SL_SM_E_clISF_PS5_SG_SG_EESJ_SZ_SK_SL_SM_EUlSZ_E1_NS1_11comp_targetILNS1_3genE9ELNS1_11target_archE1100ELNS1_3gpuE3ELNS1_3repE0EEENS1_36merge_oddeven_config_static_selectorELNS0_4arch9wavefront6targetE1EEEvSL_
		.amdhsa_group_segment_fixed_size 0
		.amdhsa_private_segment_fixed_size 0
		.amdhsa_kernarg_size 56
		.amdhsa_user_sgpr_count 6
		.amdhsa_user_sgpr_private_segment_buffer 1
		.amdhsa_user_sgpr_dispatch_ptr 0
		.amdhsa_user_sgpr_queue_ptr 0
		.amdhsa_user_sgpr_kernarg_segment_ptr 1
		.amdhsa_user_sgpr_dispatch_id 0
		.amdhsa_user_sgpr_flat_scratch_init 0
		.amdhsa_user_sgpr_kernarg_preload_length 0
		.amdhsa_user_sgpr_kernarg_preload_offset 0
		.amdhsa_user_sgpr_private_segment_size 0
		.amdhsa_uses_dynamic_stack 0
		.amdhsa_system_sgpr_private_segment_wavefront_offset 0
		.amdhsa_system_sgpr_workgroup_id_x 1
		.amdhsa_system_sgpr_workgroup_id_y 0
		.amdhsa_system_sgpr_workgroup_id_z 0
		.amdhsa_system_sgpr_workgroup_info 0
		.amdhsa_system_vgpr_workitem_id 0
		.amdhsa_next_free_vgpr 1
		.amdhsa_next_free_sgpr 0
		.amdhsa_accum_offset 4
		.amdhsa_reserve_vcc 0
		.amdhsa_reserve_flat_scratch 0
		.amdhsa_float_round_mode_32 0
		.amdhsa_float_round_mode_16_64 0
		.amdhsa_float_denorm_mode_32 3
		.amdhsa_float_denorm_mode_16_64 3
		.amdhsa_dx10_clamp 1
		.amdhsa_ieee_mode 1
		.amdhsa_fp16_overflow 0
		.amdhsa_tg_split 0
		.amdhsa_exception_fp_ieee_invalid_op 0
		.amdhsa_exception_fp_denorm_src 0
		.amdhsa_exception_fp_ieee_div_zero 0
		.amdhsa_exception_fp_ieee_overflow 0
		.amdhsa_exception_fp_ieee_underflow 0
		.amdhsa_exception_fp_ieee_inexact 0
		.amdhsa_exception_int_div_zero 0
	.end_amdhsa_kernel
	.section	.text._ZN7rocprim17ROCPRIM_400000_NS6detail17trampoline_kernelINS0_14default_configENS1_38merge_sort_block_merge_config_selectorI14custom_numericNS0_10empty_typeEEEZZNS1_27merge_sort_block_merge_implIS3_N6thrust23THRUST_200600_302600_NS6detail15normal_iteratorINSA_10device_ptrIS5_EEEEPS6_m14custom_greaterIS5_EEE10hipError_tT0_T1_T2_jT3_P12ihipStream_tbPNSt15iterator_traitsISK_E10value_typeEPNSQ_ISL_E10value_typeEPSM_NS1_7vsmem_tEENKUlT_SK_SL_SM_E_clISF_PS5_SG_SG_EESJ_SZ_SK_SL_SM_EUlSZ_E1_NS1_11comp_targetILNS1_3genE9ELNS1_11target_archE1100ELNS1_3gpuE3ELNS1_3repE0EEENS1_36merge_oddeven_config_static_selectorELNS0_4arch9wavefront6targetE1EEEvSL_,"axG",@progbits,_ZN7rocprim17ROCPRIM_400000_NS6detail17trampoline_kernelINS0_14default_configENS1_38merge_sort_block_merge_config_selectorI14custom_numericNS0_10empty_typeEEEZZNS1_27merge_sort_block_merge_implIS3_N6thrust23THRUST_200600_302600_NS6detail15normal_iteratorINSA_10device_ptrIS5_EEEEPS6_m14custom_greaterIS5_EEE10hipError_tT0_T1_T2_jT3_P12ihipStream_tbPNSt15iterator_traitsISK_E10value_typeEPNSQ_ISL_E10value_typeEPSM_NS1_7vsmem_tEENKUlT_SK_SL_SM_E_clISF_PS5_SG_SG_EESJ_SZ_SK_SL_SM_EUlSZ_E1_NS1_11comp_targetILNS1_3genE9ELNS1_11target_archE1100ELNS1_3gpuE3ELNS1_3repE0EEENS1_36merge_oddeven_config_static_selectorELNS0_4arch9wavefront6targetE1EEEvSL_,comdat
.Lfunc_end3725:
	.size	_ZN7rocprim17ROCPRIM_400000_NS6detail17trampoline_kernelINS0_14default_configENS1_38merge_sort_block_merge_config_selectorI14custom_numericNS0_10empty_typeEEEZZNS1_27merge_sort_block_merge_implIS3_N6thrust23THRUST_200600_302600_NS6detail15normal_iteratorINSA_10device_ptrIS5_EEEEPS6_m14custom_greaterIS5_EEE10hipError_tT0_T1_T2_jT3_P12ihipStream_tbPNSt15iterator_traitsISK_E10value_typeEPNSQ_ISL_E10value_typeEPSM_NS1_7vsmem_tEENKUlT_SK_SL_SM_E_clISF_PS5_SG_SG_EESJ_SZ_SK_SL_SM_EUlSZ_E1_NS1_11comp_targetILNS1_3genE9ELNS1_11target_archE1100ELNS1_3gpuE3ELNS1_3repE0EEENS1_36merge_oddeven_config_static_selectorELNS0_4arch9wavefront6targetE1EEEvSL_, .Lfunc_end3725-_ZN7rocprim17ROCPRIM_400000_NS6detail17trampoline_kernelINS0_14default_configENS1_38merge_sort_block_merge_config_selectorI14custom_numericNS0_10empty_typeEEEZZNS1_27merge_sort_block_merge_implIS3_N6thrust23THRUST_200600_302600_NS6detail15normal_iteratorINSA_10device_ptrIS5_EEEEPS6_m14custom_greaterIS5_EEE10hipError_tT0_T1_T2_jT3_P12ihipStream_tbPNSt15iterator_traitsISK_E10value_typeEPNSQ_ISL_E10value_typeEPSM_NS1_7vsmem_tEENKUlT_SK_SL_SM_E_clISF_PS5_SG_SG_EESJ_SZ_SK_SL_SM_EUlSZ_E1_NS1_11comp_targetILNS1_3genE9ELNS1_11target_archE1100ELNS1_3gpuE3ELNS1_3repE0EEENS1_36merge_oddeven_config_static_selectorELNS0_4arch9wavefront6targetE1EEEvSL_
                                        ; -- End function
	.section	.AMDGPU.csdata,"",@progbits
; Kernel info:
; codeLenInByte = 0
; NumSgprs: 4
; NumVgprs: 0
; NumAgprs: 0
; TotalNumVgprs: 0
; ScratchSize: 0
; MemoryBound: 0
; FloatMode: 240
; IeeeMode: 1
; LDSByteSize: 0 bytes/workgroup (compile time only)
; SGPRBlocks: 0
; VGPRBlocks: 0
; NumSGPRsForWavesPerEU: 4
; NumVGPRsForWavesPerEU: 1
; AccumOffset: 4
; Occupancy: 8
; WaveLimiterHint : 0
; COMPUTE_PGM_RSRC2:SCRATCH_EN: 0
; COMPUTE_PGM_RSRC2:USER_SGPR: 6
; COMPUTE_PGM_RSRC2:TRAP_HANDLER: 0
; COMPUTE_PGM_RSRC2:TGID_X_EN: 1
; COMPUTE_PGM_RSRC2:TGID_Y_EN: 0
; COMPUTE_PGM_RSRC2:TGID_Z_EN: 0
; COMPUTE_PGM_RSRC2:TIDIG_COMP_CNT: 0
; COMPUTE_PGM_RSRC3_GFX90A:ACCUM_OFFSET: 0
; COMPUTE_PGM_RSRC3_GFX90A:TG_SPLIT: 0
	.section	.text._ZN7rocprim17ROCPRIM_400000_NS6detail17trampoline_kernelINS0_14default_configENS1_38merge_sort_block_merge_config_selectorI14custom_numericNS0_10empty_typeEEEZZNS1_27merge_sort_block_merge_implIS3_N6thrust23THRUST_200600_302600_NS6detail15normal_iteratorINSA_10device_ptrIS5_EEEEPS6_m14custom_greaterIS5_EEE10hipError_tT0_T1_T2_jT3_P12ihipStream_tbPNSt15iterator_traitsISK_E10value_typeEPNSQ_ISL_E10value_typeEPSM_NS1_7vsmem_tEENKUlT_SK_SL_SM_E_clISF_PS5_SG_SG_EESJ_SZ_SK_SL_SM_EUlSZ_E1_NS1_11comp_targetILNS1_3genE8ELNS1_11target_archE1030ELNS1_3gpuE2ELNS1_3repE0EEENS1_36merge_oddeven_config_static_selectorELNS0_4arch9wavefront6targetE1EEEvSL_,"axG",@progbits,_ZN7rocprim17ROCPRIM_400000_NS6detail17trampoline_kernelINS0_14default_configENS1_38merge_sort_block_merge_config_selectorI14custom_numericNS0_10empty_typeEEEZZNS1_27merge_sort_block_merge_implIS3_N6thrust23THRUST_200600_302600_NS6detail15normal_iteratorINSA_10device_ptrIS5_EEEEPS6_m14custom_greaterIS5_EEE10hipError_tT0_T1_T2_jT3_P12ihipStream_tbPNSt15iterator_traitsISK_E10value_typeEPNSQ_ISL_E10value_typeEPSM_NS1_7vsmem_tEENKUlT_SK_SL_SM_E_clISF_PS5_SG_SG_EESJ_SZ_SK_SL_SM_EUlSZ_E1_NS1_11comp_targetILNS1_3genE8ELNS1_11target_archE1030ELNS1_3gpuE2ELNS1_3repE0EEENS1_36merge_oddeven_config_static_selectorELNS0_4arch9wavefront6targetE1EEEvSL_,comdat
	.protected	_ZN7rocprim17ROCPRIM_400000_NS6detail17trampoline_kernelINS0_14default_configENS1_38merge_sort_block_merge_config_selectorI14custom_numericNS0_10empty_typeEEEZZNS1_27merge_sort_block_merge_implIS3_N6thrust23THRUST_200600_302600_NS6detail15normal_iteratorINSA_10device_ptrIS5_EEEEPS6_m14custom_greaterIS5_EEE10hipError_tT0_T1_T2_jT3_P12ihipStream_tbPNSt15iterator_traitsISK_E10value_typeEPNSQ_ISL_E10value_typeEPSM_NS1_7vsmem_tEENKUlT_SK_SL_SM_E_clISF_PS5_SG_SG_EESJ_SZ_SK_SL_SM_EUlSZ_E1_NS1_11comp_targetILNS1_3genE8ELNS1_11target_archE1030ELNS1_3gpuE2ELNS1_3repE0EEENS1_36merge_oddeven_config_static_selectorELNS0_4arch9wavefront6targetE1EEEvSL_ ; -- Begin function _ZN7rocprim17ROCPRIM_400000_NS6detail17trampoline_kernelINS0_14default_configENS1_38merge_sort_block_merge_config_selectorI14custom_numericNS0_10empty_typeEEEZZNS1_27merge_sort_block_merge_implIS3_N6thrust23THRUST_200600_302600_NS6detail15normal_iteratorINSA_10device_ptrIS5_EEEEPS6_m14custom_greaterIS5_EEE10hipError_tT0_T1_T2_jT3_P12ihipStream_tbPNSt15iterator_traitsISK_E10value_typeEPNSQ_ISL_E10value_typeEPSM_NS1_7vsmem_tEENKUlT_SK_SL_SM_E_clISF_PS5_SG_SG_EESJ_SZ_SK_SL_SM_EUlSZ_E1_NS1_11comp_targetILNS1_3genE8ELNS1_11target_archE1030ELNS1_3gpuE2ELNS1_3repE0EEENS1_36merge_oddeven_config_static_selectorELNS0_4arch9wavefront6targetE1EEEvSL_
	.globl	_ZN7rocprim17ROCPRIM_400000_NS6detail17trampoline_kernelINS0_14default_configENS1_38merge_sort_block_merge_config_selectorI14custom_numericNS0_10empty_typeEEEZZNS1_27merge_sort_block_merge_implIS3_N6thrust23THRUST_200600_302600_NS6detail15normal_iteratorINSA_10device_ptrIS5_EEEEPS6_m14custom_greaterIS5_EEE10hipError_tT0_T1_T2_jT3_P12ihipStream_tbPNSt15iterator_traitsISK_E10value_typeEPNSQ_ISL_E10value_typeEPSM_NS1_7vsmem_tEENKUlT_SK_SL_SM_E_clISF_PS5_SG_SG_EESJ_SZ_SK_SL_SM_EUlSZ_E1_NS1_11comp_targetILNS1_3genE8ELNS1_11target_archE1030ELNS1_3gpuE2ELNS1_3repE0EEENS1_36merge_oddeven_config_static_selectorELNS0_4arch9wavefront6targetE1EEEvSL_
	.p2align	8
	.type	_ZN7rocprim17ROCPRIM_400000_NS6detail17trampoline_kernelINS0_14default_configENS1_38merge_sort_block_merge_config_selectorI14custom_numericNS0_10empty_typeEEEZZNS1_27merge_sort_block_merge_implIS3_N6thrust23THRUST_200600_302600_NS6detail15normal_iteratorINSA_10device_ptrIS5_EEEEPS6_m14custom_greaterIS5_EEE10hipError_tT0_T1_T2_jT3_P12ihipStream_tbPNSt15iterator_traitsISK_E10value_typeEPNSQ_ISL_E10value_typeEPSM_NS1_7vsmem_tEENKUlT_SK_SL_SM_E_clISF_PS5_SG_SG_EESJ_SZ_SK_SL_SM_EUlSZ_E1_NS1_11comp_targetILNS1_3genE8ELNS1_11target_archE1030ELNS1_3gpuE2ELNS1_3repE0EEENS1_36merge_oddeven_config_static_selectorELNS0_4arch9wavefront6targetE1EEEvSL_,@function
_ZN7rocprim17ROCPRIM_400000_NS6detail17trampoline_kernelINS0_14default_configENS1_38merge_sort_block_merge_config_selectorI14custom_numericNS0_10empty_typeEEEZZNS1_27merge_sort_block_merge_implIS3_N6thrust23THRUST_200600_302600_NS6detail15normal_iteratorINSA_10device_ptrIS5_EEEEPS6_m14custom_greaterIS5_EEE10hipError_tT0_T1_T2_jT3_P12ihipStream_tbPNSt15iterator_traitsISK_E10value_typeEPNSQ_ISL_E10value_typeEPSM_NS1_7vsmem_tEENKUlT_SK_SL_SM_E_clISF_PS5_SG_SG_EESJ_SZ_SK_SL_SM_EUlSZ_E1_NS1_11comp_targetILNS1_3genE8ELNS1_11target_archE1030ELNS1_3gpuE2ELNS1_3repE0EEENS1_36merge_oddeven_config_static_selectorELNS0_4arch9wavefront6targetE1EEEvSL_: ; @_ZN7rocprim17ROCPRIM_400000_NS6detail17trampoline_kernelINS0_14default_configENS1_38merge_sort_block_merge_config_selectorI14custom_numericNS0_10empty_typeEEEZZNS1_27merge_sort_block_merge_implIS3_N6thrust23THRUST_200600_302600_NS6detail15normal_iteratorINSA_10device_ptrIS5_EEEEPS6_m14custom_greaterIS5_EEE10hipError_tT0_T1_T2_jT3_P12ihipStream_tbPNSt15iterator_traitsISK_E10value_typeEPNSQ_ISL_E10value_typeEPSM_NS1_7vsmem_tEENKUlT_SK_SL_SM_E_clISF_PS5_SG_SG_EESJ_SZ_SK_SL_SM_EUlSZ_E1_NS1_11comp_targetILNS1_3genE8ELNS1_11target_archE1030ELNS1_3gpuE2ELNS1_3repE0EEENS1_36merge_oddeven_config_static_selectorELNS0_4arch9wavefront6targetE1EEEvSL_
; %bb.0:
	.section	.rodata,"a",@progbits
	.p2align	6, 0x0
	.amdhsa_kernel _ZN7rocprim17ROCPRIM_400000_NS6detail17trampoline_kernelINS0_14default_configENS1_38merge_sort_block_merge_config_selectorI14custom_numericNS0_10empty_typeEEEZZNS1_27merge_sort_block_merge_implIS3_N6thrust23THRUST_200600_302600_NS6detail15normal_iteratorINSA_10device_ptrIS5_EEEEPS6_m14custom_greaterIS5_EEE10hipError_tT0_T1_T2_jT3_P12ihipStream_tbPNSt15iterator_traitsISK_E10value_typeEPNSQ_ISL_E10value_typeEPSM_NS1_7vsmem_tEENKUlT_SK_SL_SM_E_clISF_PS5_SG_SG_EESJ_SZ_SK_SL_SM_EUlSZ_E1_NS1_11comp_targetILNS1_3genE8ELNS1_11target_archE1030ELNS1_3gpuE2ELNS1_3repE0EEENS1_36merge_oddeven_config_static_selectorELNS0_4arch9wavefront6targetE1EEEvSL_
		.amdhsa_group_segment_fixed_size 0
		.amdhsa_private_segment_fixed_size 0
		.amdhsa_kernarg_size 56
		.amdhsa_user_sgpr_count 6
		.amdhsa_user_sgpr_private_segment_buffer 1
		.amdhsa_user_sgpr_dispatch_ptr 0
		.amdhsa_user_sgpr_queue_ptr 0
		.amdhsa_user_sgpr_kernarg_segment_ptr 1
		.amdhsa_user_sgpr_dispatch_id 0
		.amdhsa_user_sgpr_flat_scratch_init 0
		.amdhsa_user_sgpr_kernarg_preload_length 0
		.amdhsa_user_sgpr_kernarg_preload_offset 0
		.amdhsa_user_sgpr_private_segment_size 0
		.amdhsa_uses_dynamic_stack 0
		.amdhsa_system_sgpr_private_segment_wavefront_offset 0
		.amdhsa_system_sgpr_workgroup_id_x 1
		.amdhsa_system_sgpr_workgroup_id_y 0
		.amdhsa_system_sgpr_workgroup_id_z 0
		.amdhsa_system_sgpr_workgroup_info 0
		.amdhsa_system_vgpr_workitem_id 0
		.amdhsa_next_free_vgpr 1
		.amdhsa_next_free_sgpr 0
		.amdhsa_accum_offset 4
		.amdhsa_reserve_vcc 0
		.amdhsa_reserve_flat_scratch 0
		.amdhsa_float_round_mode_32 0
		.amdhsa_float_round_mode_16_64 0
		.amdhsa_float_denorm_mode_32 3
		.amdhsa_float_denorm_mode_16_64 3
		.amdhsa_dx10_clamp 1
		.amdhsa_ieee_mode 1
		.amdhsa_fp16_overflow 0
		.amdhsa_tg_split 0
		.amdhsa_exception_fp_ieee_invalid_op 0
		.amdhsa_exception_fp_denorm_src 0
		.amdhsa_exception_fp_ieee_div_zero 0
		.amdhsa_exception_fp_ieee_overflow 0
		.amdhsa_exception_fp_ieee_underflow 0
		.amdhsa_exception_fp_ieee_inexact 0
		.amdhsa_exception_int_div_zero 0
	.end_amdhsa_kernel
	.section	.text._ZN7rocprim17ROCPRIM_400000_NS6detail17trampoline_kernelINS0_14default_configENS1_38merge_sort_block_merge_config_selectorI14custom_numericNS0_10empty_typeEEEZZNS1_27merge_sort_block_merge_implIS3_N6thrust23THRUST_200600_302600_NS6detail15normal_iteratorINSA_10device_ptrIS5_EEEEPS6_m14custom_greaterIS5_EEE10hipError_tT0_T1_T2_jT3_P12ihipStream_tbPNSt15iterator_traitsISK_E10value_typeEPNSQ_ISL_E10value_typeEPSM_NS1_7vsmem_tEENKUlT_SK_SL_SM_E_clISF_PS5_SG_SG_EESJ_SZ_SK_SL_SM_EUlSZ_E1_NS1_11comp_targetILNS1_3genE8ELNS1_11target_archE1030ELNS1_3gpuE2ELNS1_3repE0EEENS1_36merge_oddeven_config_static_selectorELNS0_4arch9wavefront6targetE1EEEvSL_,"axG",@progbits,_ZN7rocprim17ROCPRIM_400000_NS6detail17trampoline_kernelINS0_14default_configENS1_38merge_sort_block_merge_config_selectorI14custom_numericNS0_10empty_typeEEEZZNS1_27merge_sort_block_merge_implIS3_N6thrust23THRUST_200600_302600_NS6detail15normal_iteratorINSA_10device_ptrIS5_EEEEPS6_m14custom_greaterIS5_EEE10hipError_tT0_T1_T2_jT3_P12ihipStream_tbPNSt15iterator_traitsISK_E10value_typeEPNSQ_ISL_E10value_typeEPSM_NS1_7vsmem_tEENKUlT_SK_SL_SM_E_clISF_PS5_SG_SG_EESJ_SZ_SK_SL_SM_EUlSZ_E1_NS1_11comp_targetILNS1_3genE8ELNS1_11target_archE1030ELNS1_3gpuE2ELNS1_3repE0EEENS1_36merge_oddeven_config_static_selectorELNS0_4arch9wavefront6targetE1EEEvSL_,comdat
.Lfunc_end3726:
	.size	_ZN7rocprim17ROCPRIM_400000_NS6detail17trampoline_kernelINS0_14default_configENS1_38merge_sort_block_merge_config_selectorI14custom_numericNS0_10empty_typeEEEZZNS1_27merge_sort_block_merge_implIS3_N6thrust23THRUST_200600_302600_NS6detail15normal_iteratorINSA_10device_ptrIS5_EEEEPS6_m14custom_greaterIS5_EEE10hipError_tT0_T1_T2_jT3_P12ihipStream_tbPNSt15iterator_traitsISK_E10value_typeEPNSQ_ISL_E10value_typeEPSM_NS1_7vsmem_tEENKUlT_SK_SL_SM_E_clISF_PS5_SG_SG_EESJ_SZ_SK_SL_SM_EUlSZ_E1_NS1_11comp_targetILNS1_3genE8ELNS1_11target_archE1030ELNS1_3gpuE2ELNS1_3repE0EEENS1_36merge_oddeven_config_static_selectorELNS0_4arch9wavefront6targetE1EEEvSL_, .Lfunc_end3726-_ZN7rocprim17ROCPRIM_400000_NS6detail17trampoline_kernelINS0_14default_configENS1_38merge_sort_block_merge_config_selectorI14custom_numericNS0_10empty_typeEEEZZNS1_27merge_sort_block_merge_implIS3_N6thrust23THRUST_200600_302600_NS6detail15normal_iteratorINSA_10device_ptrIS5_EEEEPS6_m14custom_greaterIS5_EEE10hipError_tT0_T1_T2_jT3_P12ihipStream_tbPNSt15iterator_traitsISK_E10value_typeEPNSQ_ISL_E10value_typeEPSM_NS1_7vsmem_tEENKUlT_SK_SL_SM_E_clISF_PS5_SG_SG_EESJ_SZ_SK_SL_SM_EUlSZ_E1_NS1_11comp_targetILNS1_3genE8ELNS1_11target_archE1030ELNS1_3gpuE2ELNS1_3repE0EEENS1_36merge_oddeven_config_static_selectorELNS0_4arch9wavefront6targetE1EEEvSL_
                                        ; -- End function
	.section	.AMDGPU.csdata,"",@progbits
; Kernel info:
; codeLenInByte = 0
; NumSgprs: 4
; NumVgprs: 0
; NumAgprs: 0
; TotalNumVgprs: 0
; ScratchSize: 0
; MemoryBound: 0
; FloatMode: 240
; IeeeMode: 1
; LDSByteSize: 0 bytes/workgroup (compile time only)
; SGPRBlocks: 0
; VGPRBlocks: 0
; NumSGPRsForWavesPerEU: 4
; NumVGPRsForWavesPerEU: 1
; AccumOffset: 4
; Occupancy: 8
; WaveLimiterHint : 0
; COMPUTE_PGM_RSRC2:SCRATCH_EN: 0
; COMPUTE_PGM_RSRC2:USER_SGPR: 6
; COMPUTE_PGM_RSRC2:TRAP_HANDLER: 0
; COMPUTE_PGM_RSRC2:TGID_X_EN: 1
; COMPUTE_PGM_RSRC2:TGID_Y_EN: 0
; COMPUTE_PGM_RSRC2:TGID_Z_EN: 0
; COMPUTE_PGM_RSRC2:TIDIG_COMP_CNT: 0
; COMPUTE_PGM_RSRC3_GFX90A:ACCUM_OFFSET: 0
; COMPUTE_PGM_RSRC3_GFX90A:TG_SPLIT: 0
	.text
	.p2alignl 6, 3212836864
	.fill 256, 4, 3212836864
	.protected	_ZN7rocprim17ROCPRIM_400000_NS16block_radix_sortIcLj256ELj4ENS0_10empty_typeELj1ELj1ELj0ELNS0_26block_radix_rank_algorithmE1ELNS0_18block_padding_hintE2ELNS0_4arch9wavefront6targetE1EE19radix_bits_per_passE ; @_ZN7rocprim17ROCPRIM_400000_NS16block_radix_sortIcLj256ELj4ENS0_10empty_typeELj1ELj1ELj0ELNS0_26block_radix_rank_algorithmE1ELNS0_18block_padding_hintE2ELNS0_4arch9wavefront6targetE1EE19radix_bits_per_passE
	.type	_ZN7rocprim17ROCPRIM_400000_NS16block_radix_sortIcLj256ELj4ENS0_10empty_typeELj1ELj1ELj0ELNS0_26block_radix_rank_algorithmE1ELNS0_18block_padding_hintE2ELNS0_4arch9wavefront6targetE1EE19radix_bits_per_passE,@object
	.section	.rodata._ZN7rocprim17ROCPRIM_400000_NS16block_radix_sortIcLj256ELj4ENS0_10empty_typeELj1ELj1ELj0ELNS0_26block_radix_rank_algorithmE1ELNS0_18block_padding_hintE2ELNS0_4arch9wavefront6targetE1EE19radix_bits_per_passE,"aG",@progbits,_ZN7rocprim17ROCPRIM_400000_NS16block_radix_sortIcLj256ELj4ENS0_10empty_typeELj1ELj1ELj0ELNS0_26block_radix_rank_algorithmE1ELNS0_18block_padding_hintE2ELNS0_4arch9wavefront6targetE1EE19radix_bits_per_passE,comdat
	.weak	_ZN7rocprim17ROCPRIM_400000_NS16block_radix_sortIcLj256ELj4ENS0_10empty_typeELj1ELj1ELj0ELNS0_26block_radix_rank_algorithmE1ELNS0_18block_padding_hintE2ELNS0_4arch9wavefront6targetE1EE19radix_bits_per_passE
	.p2align	2, 0x0
_ZN7rocprim17ROCPRIM_400000_NS16block_radix_sortIcLj256ELj4ENS0_10empty_typeELj1ELj1ELj0ELNS0_26block_radix_rank_algorithmE1ELNS0_18block_padding_hintE2ELNS0_4arch9wavefront6targetE1EE19radix_bits_per_passE:
	.long	8                               ; 0x8
	.size	_ZN7rocprim17ROCPRIM_400000_NS16block_radix_sortIcLj256ELj4ENS0_10empty_typeELj1ELj1ELj0ELNS0_26block_radix_rank_algorithmE1ELNS0_18block_padding_hintE2ELNS0_4arch9wavefront6targetE1EE19radix_bits_per_passE, 4

	.protected	_ZN7rocprim17ROCPRIM_400000_NS16block_radix_sortIaLj256ELj4ENS0_10empty_typeELj1ELj1ELj0ELNS0_26block_radix_rank_algorithmE1ELNS0_18block_padding_hintE2ELNS0_4arch9wavefront6targetE1EE19radix_bits_per_passE ; @_ZN7rocprim17ROCPRIM_400000_NS16block_radix_sortIaLj256ELj4ENS0_10empty_typeELj1ELj1ELj0ELNS0_26block_radix_rank_algorithmE1ELNS0_18block_padding_hintE2ELNS0_4arch9wavefront6targetE1EE19radix_bits_per_passE
	.type	_ZN7rocprim17ROCPRIM_400000_NS16block_radix_sortIaLj256ELj4ENS0_10empty_typeELj1ELj1ELj0ELNS0_26block_radix_rank_algorithmE1ELNS0_18block_padding_hintE2ELNS0_4arch9wavefront6targetE1EE19radix_bits_per_passE,@object
	.section	.rodata._ZN7rocprim17ROCPRIM_400000_NS16block_radix_sortIaLj256ELj4ENS0_10empty_typeELj1ELj1ELj0ELNS0_26block_radix_rank_algorithmE1ELNS0_18block_padding_hintE2ELNS0_4arch9wavefront6targetE1EE19radix_bits_per_passE,"aG",@progbits,_ZN7rocprim17ROCPRIM_400000_NS16block_radix_sortIaLj256ELj4ENS0_10empty_typeELj1ELj1ELj0ELNS0_26block_radix_rank_algorithmE1ELNS0_18block_padding_hintE2ELNS0_4arch9wavefront6targetE1EE19radix_bits_per_passE,comdat
	.weak	_ZN7rocprim17ROCPRIM_400000_NS16block_radix_sortIaLj256ELj4ENS0_10empty_typeELj1ELj1ELj0ELNS0_26block_radix_rank_algorithmE1ELNS0_18block_padding_hintE2ELNS0_4arch9wavefront6targetE1EE19radix_bits_per_passE
	.p2align	2, 0x0
_ZN7rocprim17ROCPRIM_400000_NS16block_radix_sortIaLj256ELj4ENS0_10empty_typeELj1ELj1ELj0ELNS0_26block_radix_rank_algorithmE1ELNS0_18block_padding_hintE2ELNS0_4arch9wavefront6targetE1EE19radix_bits_per_passE:
	.long	8                               ; 0x8
	.size	_ZN7rocprim17ROCPRIM_400000_NS16block_radix_sortIaLj256ELj4ENS0_10empty_typeELj1ELj1ELj0ELNS0_26block_radix_rank_algorithmE1ELNS0_18block_padding_hintE2ELNS0_4arch9wavefront6targetE1EE19radix_bits_per_passE, 4

	.protected	_ZN7rocprim17ROCPRIM_400000_NS16block_radix_sortIhLj256ELj4ENS0_10empty_typeELj1ELj1ELj0ELNS0_26block_radix_rank_algorithmE1ELNS0_18block_padding_hintE2ELNS0_4arch9wavefront6targetE1EE19radix_bits_per_passE ; @_ZN7rocprim17ROCPRIM_400000_NS16block_radix_sortIhLj256ELj4ENS0_10empty_typeELj1ELj1ELj0ELNS0_26block_radix_rank_algorithmE1ELNS0_18block_padding_hintE2ELNS0_4arch9wavefront6targetE1EE19radix_bits_per_passE
	.type	_ZN7rocprim17ROCPRIM_400000_NS16block_radix_sortIhLj256ELj4ENS0_10empty_typeELj1ELj1ELj0ELNS0_26block_radix_rank_algorithmE1ELNS0_18block_padding_hintE2ELNS0_4arch9wavefront6targetE1EE19radix_bits_per_passE,@object
	.section	.rodata._ZN7rocprim17ROCPRIM_400000_NS16block_radix_sortIhLj256ELj4ENS0_10empty_typeELj1ELj1ELj0ELNS0_26block_radix_rank_algorithmE1ELNS0_18block_padding_hintE2ELNS0_4arch9wavefront6targetE1EE19radix_bits_per_passE,"aG",@progbits,_ZN7rocprim17ROCPRIM_400000_NS16block_radix_sortIhLj256ELj4ENS0_10empty_typeELj1ELj1ELj0ELNS0_26block_radix_rank_algorithmE1ELNS0_18block_padding_hintE2ELNS0_4arch9wavefront6targetE1EE19radix_bits_per_passE,comdat
	.weak	_ZN7rocprim17ROCPRIM_400000_NS16block_radix_sortIhLj256ELj4ENS0_10empty_typeELj1ELj1ELj0ELNS0_26block_radix_rank_algorithmE1ELNS0_18block_padding_hintE2ELNS0_4arch9wavefront6targetE1EE19radix_bits_per_passE
	.p2align	2, 0x0
_ZN7rocprim17ROCPRIM_400000_NS16block_radix_sortIhLj256ELj4ENS0_10empty_typeELj1ELj1ELj0ELNS0_26block_radix_rank_algorithmE1ELNS0_18block_padding_hintE2ELNS0_4arch9wavefront6targetE1EE19radix_bits_per_passE:
	.long	8                               ; 0x8
	.size	_ZN7rocprim17ROCPRIM_400000_NS16block_radix_sortIhLj256ELj4ENS0_10empty_typeELj1ELj1ELj0ELNS0_26block_radix_rank_algorithmE1ELNS0_18block_padding_hintE2ELNS0_4arch9wavefront6targetE1EE19radix_bits_per_passE, 4

	.protected	_ZN7rocprim17ROCPRIM_400000_NS16block_radix_sortIsLj256ELj4ENS0_10empty_typeELj1ELj1ELj0ELNS0_26block_radix_rank_algorithmE1ELNS0_18block_padding_hintE2ELNS0_4arch9wavefront6targetE1EE19radix_bits_per_passE ; @_ZN7rocprim17ROCPRIM_400000_NS16block_radix_sortIsLj256ELj4ENS0_10empty_typeELj1ELj1ELj0ELNS0_26block_radix_rank_algorithmE1ELNS0_18block_padding_hintE2ELNS0_4arch9wavefront6targetE1EE19radix_bits_per_passE
	.type	_ZN7rocprim17ROCPRIM_400000_NS16block_radix_sortIsLj256ELj4ENS0_10empty_typeELj1ELj1ELj0ELNS0_26block_radix_rank_algorithmE1ELNS0_18block_padding_hintE2ELNS0_4arch9wavefront6targetE1EE19radix_bits_per_passE,@object
	.section	.rodata._ZN7rocprim17ROCPRIM_400000_NS16block_radix_sortIsLj256ELj4ENS0_10empty_typeELj1ELj1ELj0ELNS0_26block_radix_rank_algorithmE1ELNS0_18block_padding_hintE2ELNS0_4arch9wavefront6targetE1EE19radix_bits_per_passE,"aG",@progbits,_ZN7rocprim17ROCPRIM_400000_NS16block_radix_sortIsLj256ELj4ENS0_10empty_typeELj1ELj1ELj0ELNS0_26block_radix_rank_algorithmE1ELNS0_18block_padding_hintE2ELNS0_4arch9wavefront6targetE1EE19radix_bits_per_passE,comdat
	.weak	_ZN7rocprim17ROCPRIM_400000_NS16block_radix_sortIsLj256ELj4ENS0_10empty_typeELj1ELj1ELj0ELNS0_26block_radix_rank_algorithmE1ELNS0_18block_padding_hintE2ELNS0_4arch9wavefront6targetE1EE19radix_bits_per_passE
	.p2align	2, 0x0
_ZN7rocprim17ROCPRIM_400000_NS16block_radix_sortIsLj256ELj4ENS0_10empty_typeELj1ELj1ELj0ELNS0_26block_radix_rank_algorithmE1ELNS0_18block_padding_hintE2ELNS0_4arch9wavefront6targetE1EE19radix_bits_per_passE:
	.long	8                               ; 0x8
	.size	_ZN7rocprim17ROCPRIM_400000_NS16block_radix_sortIsLj256ELj4ENS0_10empty_typeELj1ELj1ELj0ELNS0_26block_radix_rank_algorithmE1ELNS0_18block_padding_hintE2ELNS0_4arch9wavefront6targetE1EE19radix_bits_per_passE, 4

	.protected	_ZN7rocprim17ROCPRIM_400000_NS16block_radix_sortItLj256ELj4ENS0_10empty_typeELj1ELj1ELj0ELNS0_26block_radix_rank_algorithmE1ELNS0_18block_padding_hintE2ELNS0_4arch9wavefront6targetE1EE19radix_bits_per_passE ; @_ZN7rocprim17ROCPRIM_400000_NS16block_radix_sortItLj256ELj4ENS0_10empty_typeELj1ELj1ELj0ELNS0_26block_radix_rank_algorithmE1ELNS0_18block_padding_hintE2ELNS0_4arch9wavefront6targetE1EE19radix_bits_per_passE
	.type	_ZN7rocprim17ROCPRIM_400000_NS16block_radix_sortItLj256ELj4ENS0_10empty_typeELj1ELj1ELj0ELNS0_26block_radix_rank_algorithmE1ELNS0_18block_padding_hintE2ELNS0_4arch9wavefront6targetE1EE19radix_bits_per_passE,@object
	.section	.rodata._ZN7rocprim17ROCPRIM_400000_NS16block_radix_sortItLj256ELj4ENS0_10empty_typeELj1ELj1ELj0ELNS0_26block_radix_rank_algorithmE1ELNS0_18block_padding_hintE2ELNS0_4arch9wavefront6targetE1EE19radix_bits_per_passE,"aG",@progbits,_ZN7rocprim17ROCPRIM_400000_NS16block_radix_sortItLj256ELj4ENS0_10empty_typeELj1ELj1ELj0ELNS0_26block_radix_rank_algorithmE1ELNS0_18block_padding_hintE2ELNS0_4arch9wavefront6targetE1EE19radix_bits_per_passE,comdat
	.weak	_ZN7rocprim17ROCPRIM_400000_NS16block_radix_sortItLj256ELj4ENS0_10empty_typeELj1ELj1ELj0ELNS0_26block_radix_rank_algorithmE1ELNS0_18block_padding_hintE2ELNS0_4arch9wavefront6targetE1EE19radix_bits_per_passE
	.p2align	2, 0x0
_ZN7rocprim17ROCPRIM_400000_NS16block_radix_sortItLj256ELj4ENS0_10empty_typeELj1ELj1ELj0ELNS0_26block_radix_rank_algorithmE1ELNS0_18block_padding_hintE2ELNS0_4arch9wavefront6targetE1EE19radix_bits_per_passE:
	.long	8                               ; 0x8
	.size	_ZN7rocprim17ROCPRIM_400000_NS16block_radix_sortItLj256ELj4ENS0_10empty_typeELj1ELj1ELj0ELNS0_26block_radix_rank_algorithmE1ELNS0_18block_padding_hintE2ELNS0_4arch9wavefront6targetE1EE19radix_bits_per_passE, 4

	.protected	_ZN7rocprim17ROCPRIM_400000_NS16block_radix_sortIiLj256ELj4ENS0_10empty_typeELj1ELj1ELj0ELNS0_26block_radix_rank_algorithmE1ELNS0_18block_padding_hintE2ELNS0_4arch9wavefront6targetE1EE19radix_bits_per_passE ; @_ZN7rocprim17ROCPRIM_400000_NS16block_radix_sortIiLj256ELj4ENS0_10empty_typeELj1ELj1ELj0ELNS0_26block_radix_rank_algorithmE1ELNS0_18block_padding_hintE2ELNS0_4arch9wavefront6targetE1EE19radix_bits_per_passE
	.type	_ZN7rocprim17ROCPRIM_400000_NS16block_radix_sortIiLj256ELj4ENS0_10empty_typeELj1ELj1ELj0ELNS0_26block_radix_rank_algorithmE1ELNS0_18block_padding_hintE2ELNS0_4arch9wavefront6targetE1EE19radix_bits_per_passE,@object
	.section	.rodata._ZN7rocprim17ROCPRIM_400000_NS16block_radix_sortIiLj256ELj4ENS0_10empty_typeELj1ELj1ELj0ELNS0_26block_radix_rank_algorithmE1ELNS0_18block_padding_hintE2ELNS0_4arch9wavefront6targetE1EE19radix_bits_per_passE,"aG",@progbits,_ZN7rocprim17ROCPRIM_400000_NS16block_radix_sortIiLj256ELj4ENS0_10empty_typeELj1ELj1ELj0ELNS0_26block_radix_rank_algorithmE1ELNS0_18block_padding_hintE2ELNS0_4arch9wavefront6targetE1EE19radix_bits_per_passE,comdat
	.weak	_ZN7rocprim17ROCPRIM_400000_NS16block_radix_sortIiLj256ELj4ENS0_10empty_typeELj1ELj1ELj0ELNS0_26block_radix_rank_algorithmE1ELNS0_18block_padding_hintE2ELNS0_4arch9wavefront6targetE1EE19radix_bits_per_passE
	.p2align	2, 0x0
_ZN7rocprim17ROCPRIM_400000_NS16block_radix_sortIiLj256ELj4ENS0_10empty_typeELj1ELj1ELj0ELNS0_26block_radix_rank_algorithmE1ELNS0_18block_padding_hintE2ELNS0_4arch9wavefront6targetE1EE19radix_bits_per_passE:
	.long	8                               ; 0x8
	.size	_ZN7rocprim17ROCPRIM_400000_NS16block_radix_sortIiLj256ELj4ENS0_10empty_typeELj1ELj1ELj0ELNS0_26block_radix_rank_algorithmE1ELNS0_18block_padding_hintE2ELNS0_4arch9wavefront6targetE1EE19radix_bits_per_passE, 4

	.protected	_ZN7rocprim17ROCPRIM_400000_NS16block_radix_sortIjLj256ELj4ENS0_10empty_typeELj1ELj1ELj0ELNS0_26block_radix_rank_algorithmE1ELNS0_18block_padding_hintE2ELNS0_4arch9wavefront6targetE1EE19radix_bits_per_passE ; @_ZN7rocprim17ROCPRIM_400000_NS16block_radix_sortIjLj256ELj4ENS0_10empty_typeELj1ELj1ELj0ELNS0_26block_radix_rank_algorithmE1ELNS0_18block_padding_hintE2ELNS0_4arch9wavefront6targetE1EE19radix_bits_per_passE
	.type	_ZN7rocprim17ROCPRIM_400000_NS16block_radix_sortIjLj256ELj4ENS0_10empty_typeELj1ELj1ELj0ELNS0_26block_radix_rank_algorithmE1ELNS0_18block_padding_hintE2ELNS0_4arch9wavefront6targetE1EE19radix_bits_per_passE,@object
	.section	.rodata._ZN7rocprim17ROCPRIM_400000_NS16block_radix_sortIjLj256ELj4ENS0_10empty_typeELj1ELj1ELj0ELNS0_26block_radix_rank_algorithmE1ELNS0_18block_padding_hintE2ELNS0_4arch9wavefront6targetE1EE19radix_bits_per_passE,"aG",@progbits,_ZN7rocprim17ROCPRIM_400000_NS16block_radix_sortIjLj256ELj4ENS0_10empty_typeELj1ELj1ELj0ELNS0_26block_radix_rank_algorithmE1ELNS0_18block_padding_hintE2ELNS0_4arch9wavefront6targetE1EE19radix_bits_per_passE,comdat
	.weak	_ZN7rocprim17ROCPRIM_400000_NS16block_radix_sortIjLj256ELj4ENS0_10empty_typeELj1ELj1ELj0ELNS0_26block_radix_rank_algorithmE1ELNS0_18block_padding_hintE2ELNS0_4arch9wavefront6targetE1EE19radix_bits_per_passE
	.p2align	2, 0x0
_ZN7rocprim17ROCPRIM_400000_NS16block_radix_sortIjLj256ELj4ENS0_10empty_typeELj1ELj1ELj0ELNS0_26block_radix_rank_algorithmE1ELNS0_18block_padding_hintE2ELNS0_4arch9wavefront6targetE1EE19radix_bits_per_passE:
	.long	8                               ; 0x8
	.size	_ZN7rocprim17ROCPRIM_400000_NS16block_radix_sortIjLj256ELj4ENS0_10empty_typeELj1ELj1ELj0ELNS0_26block_radix_rank_algorithmE1ELNS0_18block_padding_hintE2ELNS0_4arch9wavefront6targetE1EE19radix_bits_per_passE, 4

	.protected	_ZN7rocprim17ROCPRIM_400000_NS16block_radix_sortIlLj256ELj4ENS0_10empty_typeELj1ELj1ELj0ELNS0_26block_radix_rank_algorithmE1ELNS0_18block_padding_hintE2ELNS0_4arch9wavefront6targetE1EE19radix_bits_per_passE ; @_ZN7rocprim17ROCPRIM_400000_NS16block_radix_sortIlLj256ELj4ENS0_10empty_typeELj1ELj1ELj0ELNS0_26block_radix_rank_algorithmE1ELNS0_18block_padding_hintE2ELNS0_4arch9wavefront6targetE1EE19radix_bits_per_passE
	.type	_ZN7rocprim17ROCPRIM_400000_NS16block_radix_sortIlLj256ELj4ENS0_10empty_typeELj1ELj1ELj0ELNS0_26block_radix_rank_algorithmE1ELNS0_18block_padding_hintE2ELNS0_4arch9wavefront6targetE1EE19radix_bits_per_passE,@object
	.section	.rodata._ZN7rocprim17ROCPRIM_400000_NS16block_radix_sortIlLj256ELj4ENS0_10empty_typeELj1ELj1ELj0ELNS0_26block_radix_rank_algorithmE1ELNS0_18block_padding_hintE2ELNS0_4arch9wavefront6targetE1EE19radix_bits_per_passE,"aG",@progbits,_ZN7rocprim17ROCPRIM_400000_NS16block_radix_sortIlLj256ELj4ENS0_10empty_typeELj1ELj1ELj0ELNS0_26block_radix_rank_algorithmE1ELNS0_18block_padding_hintE2ELNS0_4arch9wavefront6targetE1EE19radix_bits_per_passE,comdat
	.weak	_ZN7rocprim17ROCPRIM_400000_NS16block_radix_sortIlLj256ELj4ENS0_10empty_typeELj1ELj1ELj0ELNS0_26block_radix_rank_algorithmE1ELNS0_18block_padding_hintE2ELNS0_4arch9wavefront6targetE1EE19radix_bits_per_passE
	.p2align	2, 0x0
_ZN7rocprim17ROCPRIM_400000_NS16block_radix_sortIlLj256ELj4ENS0_10empty_typeELj1ELj1ELj0ELNS0_26block_radix_rank_algorithmE1ELNS0_18block_padding_hintE2ELNS0_4arch9wavefront6targetE1EE19radix_bits_per_passE:
	.long	8                               ; 0x8
	.size	_ZN7rocprim17ROCPRIM_400000_NS16block_radix_sortIlLj256ELj4ENS0_10empty_typeELj1ELj1ELj0ELNS0_26block_radix_rank_algorithmE1ELNS0_18block_padding_hintE2ELNS0_4arch9wavefront6targetE1EE19radix_bits_per_passE, 4

	.protected	_ZN7rocprim17ROCPRIM_400000_NS16block_radix_sortImLj256ELj4ENS0_10empty_typeELj1ELj1ELj0ELNS0_26block_radix_rank_algorithmE1ELNS0_18block_padding_hintE2ELNS0_4arch9wavefront6targetE1EE19radix_bits_per_passE ; @_ZN7rocprim17ROCPRIM_400000_NS16block_radix_sortImLj256ELj4ENS0_10empty_typeELj1ELj1ELj0ELNS0_26block_radix_rank_algorithmE1ELNS0_18block_padding_hintE2ELNS0_4arch9wavefront6targetE1EE19radix_bits_per_passE
	.type	_ZN7rocprim17ROCPRIM_400000_NS16block_radix_sortImLj256ELj4ENS0_10empty_typeELj1ELj1ELj0ELNS0_26block_radix_rank_algorithmE1ELNS0_18block_padding_hintE2ELNS0_4arch9wavefront6targetE1EE19radix_bits_per_passE,@object
	.section	.rodata._ZN7rocprim17ROCPRIM_400000_NS16block_radix_sortImLj256ELj4ENS0_10empty_typeELj1ELj1ELj0ELNS0_26block_radix_rank_algorithmE1ELNS0_18block_padding_hintE2ELNS0_4arch9wavefront6targetE1EE19radix_bits_per_passE,"aG",@progbits,_ZN7rocprim17ROCPRIM_400000_NS16block_radix_sortImLj256ELj4ENS0_10empty_typeELj1ELj1ELj0ELNS0_26block_radix_rank_algorithmE1ELNS0_18block_padding_hintE2ELNS0_4arch9wavefront6targetE1EE19radix_bits_per_passE,comdat
	.weak	_ZN7rocprim17ROCPRIM_400000_NS16block_radix_sortImLj256ELj4ENS0_10empty_typeELj1ELj1ELj0ELNS0_26block_radix_rank_algorithmE1ELNS0_18block_padding_hintE2ELNS0_4arch9wavefront6targetE1EE19radix_bits_per_passE
	.p2align	2, 0x0
_ZN7rocprim17ROCPRIM_400000_NS16block_radix_sortImLj256ELj4ENS0_10empty_typeELj1ELj1ELj0ELNS0_26block_radix_rank_algorithmE1ELNS0_18block_padding_hintE2ELNS0_4arch9wavefront6targetE1EE19radix_bits_per_passE:
	.long	8                               ; 0x8
	.size	_ZN7rocprim17ROCPRIM_400000_NS16block_radix_sortImLj256ELj4ENS0_10empty_typeELj1ELj1ELj0ELNS0_26block_radix_rank_algorithmE1ELNS0_18block_padding_hintE2ELNS0_4arch9wavefront6targetE1EE19radix_bits_per_passE, 4

	.protected	_ZN7rocprim17ROCPRIM_400000_NS16block_radix_sortIxLj256ELj4ENS0_10empty_typeELj1ELj1ELj0ELNS0_26block_radix_rank_algorithmE1ELNS0_18block_padding_hintE2ELNS0_4arch9wavefront6targetE1EE19radix_bits_per_passE ; @_ZN7rocprim17ROCPRIM_400000_NS16block_radix_sortIxLj256ELj4ENS0_10empty_typeELj1ELj1ELj0ELNS0_26block_radix_rank_algorithmE1ELNS0_18block_padding_hintE2ELNS0_4arch9wavefront6targetE1EE19radix_bits_per_passE
	.type	_ZN7rocprim17ROCPRIM_400000_NS16block_radix_sortIxLj256ELj4ENS0_10empty_typeELj1ELj1ELj0ELNS0_26block_radix_rank_algorithmE1ELNS0_18block_padding_hintE2ELNS0_4arch9wavefront6targetE1EE19radix_bits_per_passE,@object
	.section	.rodata._ZN7rocprim17ROCPRIM_400000_NS16block_radix_sortIxLj256ELj4ENS0_10empty_typeELj1ELj1ELj0ELNS0_26block_radix_rank_algorithmE1ELNS0_18block_padding_hintE2ELNS0_4arch9wavefront6targetE1EE19radix_bits_per_passE,"aG",@progbits,_ZN7rocprim17ROCPRIM_400000_NS16block_radix_sortIxLj256ELj4ENS0_10empty_typeELj1ELj1ELj0ELNS0_26block_radix_rank_algorithmE1ELNS0_18block_padding_hintE2ELNS0_4arch9wavefront6targetE1EE19radix_bits_per_passE,comdat
	.weak	_ZN7rocprim17ROCPRIM_400000_NS16block_radix_sortIxLj256ELj4ENS0_10empty_typeELj1ELj1ELj0ELNS0_26block_radix_rank_algorithmE1ELNS0_18block_padding_hintE2ELNS0_4arch9wavefront6targetE1EE19radix_bits_per_passE
	.p2align	2, 0x0
_ZN7rocprim17ROCPRIM_400000_NS16block_radix_sortIxLj256ELj4ENS0_10empty_typeELj1ELj1ELj0ELNS0_26block_radix_rank_algorithmE1ELNS0_18block_padding_hintE2ELNS0_4arch9wavefront6targetE1EE19radix_bits_per_passE:
	.long	8                               ; 0x8
	.size	_ZN7rocprim17ROCPRIM_400000_NS16block_radix_sortIxLj256ELj4ENS0_10empty_typeELj1ELj1ELj0ELNS0_26block_radix_rank_algorithmE1ELNS0_18block_padding_hintE2ELNS0_4arch9wavefront6targetE1EE19radix_bits_per_passE, 4

	.protected	_ZN7rocprim17ROCPRIM_400000_NS16block_radix_sortIyLj256ELj4ENS0_10empty_typeELj1ELj1ELj0ELNS0_26block_radix_rank_algorithmE1ELNS0_18block_padding_hintE2ELNS0_4arch9wavefront6targetE1EE19radix_bits_per_passE ; @_ZN7rocprim17ROCPRIM_400000_NS16block_radix_sortIyLj256ELj4ENS0_10empty_typeELj1ELj1ELj0ELNS0_26block_radix_rank_algorithmE1ELNS0_18block_padding_hintE2ELNS0_4arch9wavefront6targetE1EE19radix_bits_per_passE
	.type	_ZN7rocprim17ROCPRIM_400000_NS16block_radix_sortIyLj256ELj4ENS0_10empty_typeELj1ELj1ELj0ELNS0_26block_radix_rank_algorithmE1ELNS0_18block_padding_hintE2ELNS0_4arch9wavefront6targetE1EE19radix_bits_per_passE,@object
	.section	.rodata._ZN7rocprim17ROCPRIM_400000_NS16block_radix_sortIyLj256ELj4ENS0_10empty_typeELj1ELj1ELj0ELNS0_26block_radix_rank_algorithmE1ELNS0_18block_padding_hintE2ELNS0_4arch9wavefront6targetE1EE19radix_bits_per_passE,"aG",@progbits,_ZN7rocprim17ROCPRIM_400000_NS16block_radix_sortIyLj256ELj4ENS0_10empty_typeELj1ELj1ELj0ELNS0_26block_radix_rank_algorithmE1ELNS0_18block_padding_hintE2ELNS0_4arch9wavefront6targetE1EE19radix_bits_per_passE,comdat
	.weak	_ZN7rocprim17ROCPRIM_400000_NS16block_radix_sortIyLj256ELj4ENS0_10empty_typeELj1ELj1ELj0ELNS0_26block_radix_rank_algorithmE1ELNS0_18block_padding_hintE2ELNS0_4arch9wavefront6targetE1EE19radix_bits_per_passE
	.p2align	2, 0x0
_ZN7rocprim17ROCPRIM_400000_NS16block_radix_sortIyLj256ELj4ENS0_10empty_typeELj1ELj1ELj0ELNS0_26block_radix_rank_algorithmE1ELNS0_18block_padding_hintE2ELNS0_4arch9wavefront6targetE1EE19radix_bits_per_passE:
	.long	8                               ; 0x8
	.size	_ZN7rocprim17ROCPRIM_400000_NS16block_radix_sortIyLj256ELj4ENS0_10empty_typeELj1ELj1ELj0ELNS0_26block_radix_rank_algorithmE1ELNS0_18block_padding_hintE2ELNS0_4arch9wavefront6targetE1EE19radix_bits_per_passE, 4

	.protected	_ZN7rocprim17ROCPRIM_400000_NS16block_radix_sortIfLj256ELj4ENS0_10empty_typeELj1ELj1ELj0ELNS0_26block_radix_rank_algorithmE1ELNS0_18block_padding_hintE2ELNS0_4arch9wavefront6targetE1EE19radix_bits_per_passE ; @_ZN7rocprim17ROCPRIM_400000_NS16block_radix_sortIfLj256ELj4ENS0_10empty_typeELj1ELj1ELj0ELNS0_26block_radix_rank_algorithmE1ELNS0_18block_padding_hintE2ELNS0_4arch9wavefront6targetE1EE19radix_bits_per_passE
	.type	_ZN7rocprim17ROCPRIM_400000_NS16block_radix_sortIfLj256ELj4ENS0_10empty_typeELj1ELj1ELj0ELNS0_26block_radix_rank_algorithmE1ELNS0_18block_padding_hintE2ELNS0_4arch9wavefront6targetE1EE19radix_bits_per_passE,@object
	.section	.rodata._ZN7rocprim17ROCPRIM_400000_NS16block_radix_sortIfLj256ELj4ENS0_10empty_typeELj1ELj1ELj0ELNS0_26block_radix_rank_algorithmE1ELNS0_18block_padding_hintE2ELNS0_4arch9wavefront6targetE1EE19radix_bits_per_passE,"aG",@progbits,_ZN7rocprim17ROCPRIM_400000_NS16block_radix_sortIfLj256ELj4ENS0_10empty_typeELj1ELj1ELj0ELNS0_26block_radix_rank_algorithmE1ELNS0_18block_padding_hintE2ELNS0_4arch9wavefront6targetE1EE19radix_bits_per_passE,comdat
	.weak	_ZN7rocprim17ROCPRIM_400000_NS16block_radix_sortIfLj256ELj4ENS0_10empty_typeELj1ELj1ELj0ELNS0_26block_radix_rank_algorithmE1ELNS0_18block_padding_hintE2ELNS0_4arch9wavefront6targetE1EE19radix_bits_per_passE
	.p2align	2, 0x0
_ZN7rocprim17ROCPRIM_400000_NS16block_radix_sortIfLj256ELj4ENS0_10empty_typeELj1ELj1ELj0ELNS0_26block_radix_rank_algorithmE1ELNS0_18block_padding_hintE2ELNS0_4arch9wavefront6targetE1EE19radix_bits_per_passE:
	.long	8                               ; 0x8
	.size	_ZN7rocprim17ROCPRIM_400000_NS16block_radix_sortIfLj256ELj4ENS0_10empty_typeELj1ELj1ELj0ELNS0_26block_radix_rank_algorithmE1ELNS0_18block_padding_hintE2ELNS0_4arch9wavefront6targetE1EE19radix_bits_per_passE, 4

	.protected	_ZN7rocprim17ROCPRIM_400000_NS16block_radix_sortIdLj256ELj4ENS0_10empty_typeELj1ELj1ELj0ELNS0_26block_radix_rank_algorithmE1ELNS0_18block_padding_hintE2ELNS0_4arch9wavefront6targetE1EE19radix_bits_per_passE ; @_ZN7rocprim17ROCPRIM_400000_NS16block_radix_sortIdLj256ELj4ENS0_10empty_typeELj1ELj1ELj0ELNS0_26block_radix_rank_algorithmE1ELNS0_18block_padding_hintE2ELNS0_4arch9wavefront6targetE1EE19radix_bits_per_passE
	.type	_ZN7rocprim17ROCPRIM_400000_NS16block_radix_sortIdLj256ELj4ENS0_10empty_typeELj1ELj1ELj0ELNS0_26block_radix_rank_algorithmE1ELNS0_18block_padding_hintE2ELNS0_4arch9wavefront6targetE1EE19radix_bits_per_passE,@object
	.section	.rodata._ZN7rocprim17ROCPRIM_400000_NS16block_radix_sortIdLj256ELj4ENS0_10empty_typeELj1ELj1ELj0ELNS0_26block_radix_rank_algorithmE1ELNS0_18block_padding_hintE2ELNS0_4arch9wavefront6targetE1EE19radix_bits_per_passE,"aG",@progbits,_ZN7rocprim17ROCPRIM_400000_NS16block_radix_sortIdLj256ELj4ENS0_10empty_typeELj1ELj1ELj0ELNS0_26block_radix_rank_algorithmE1ELNS0_18block_padding_hintE2ELNS0_4arch9wavefront6targetE1EE19radix_bits_per_passE,comdat
	.weak	_ZN7rocprim17ROCPRIM_400000_NS16block_radix_sortIdLj256ELj4ENS0_10empty_typeELj1ELj1ELj0ELNS0_26block_radix_rank_algorithmE1ELNS0_18block_padding_hintE2ELNS0_4arch9wavefront6targetE1EE19radix_bits_per_passE
	.p2align	2, 0x0
_ZN7rocprim17ROCPRIM_400000_NS16block_radix_sortIdLj256ELj4ENS0_10empty_typeELj1ELj1ELj0ELNS0_26block_radix_rank_algorithmE1ELNS0_18block_padding_hintE2ELNS0_4arch9wavefront6targetE1EE19radix_bits_per_passE:
	.long	8                               ; 0x8
	.size	_ZN7rocprim17ROCPRIM_400000_NS16block_radix_sortIdLj256ELj4ENS0_10empty_typeELj1ELj1ELj0ELNS0_26block_radix_rank_algorithmE1ELNS0_18block_padding_hintE2ELNS0_4arch9wavefront6targetE1EE19radix_bits_per_passE, 4

	.type	__hip_cuid_b1a5977a194f42d4,@object ; @__hip_cuid_b1a5977a194f42d4
	.section	.bss,"aw",@nobits
	.globl	__hip_cuid_b1a5977a194f42d4
__hip_cuid_b1a5977a194f42d4:
	.byte	0                               ; 0x0
	.size	__hip_cuid_b1a5977a194f42d4, 1

	.ident	"AMD clang version 19.0.0git (https://github.com/RadeonOpenCompute/llvm-project roc-6.4.0 25133 c7fe45cf4b819c5991fe208aaa96edf142730f1d)"
	.section	".note.GNU-stack","",@progbits
	.addrsig
	.addrsig_sym __hip_cuid_b1a5977a194f42d4
	.amdgpu_metadata
---
amdhsa.kernels:
  - .agpr_count:     0
    .args:
      - .offset:         0
        .size:           48
        .value_kind:     by_value
    .group_segment_fixed_size: 0
    .kernarg_segment_align: 8
    .kernarg_segment_size: 48
    .language:       OpenCL C
    .language_version:
      - 2
      - 0
    .max_flat_workgroup_size: 256
    .name:           _ZN7rocprim17ROCPRIM_400000_NS6detail17trampoline_kernelINS0_13kernel_configILj256ELj4ELj4294967295EEENS1_37radix_sort_block_sort_config_selectorIcNS0_10empty_typeEEEZNS1_21radix_sort_block_sortIS4_Lb0EPcS9_PS6_SA_NS0_19identity_decomposerEEE10hipError_tT1_T2_T3_T4_jRjT5_jjP12ihipStream_tbEUlT_E_NS1_11comp_targetILNS1_3genE0ELNS1_11target_archE4294967295ELNS1_3gpuE0ELNS1_3repE0EEENS1_44radix_sort_block_sort_config_static_selectorELNS0_4arch9wavefront6targetE1EEEvSD_
    .private_segment_fixed_size: 0
    .sgpr_count:     4
    .sgpr_spill_count: 0
    .symbol:         _ZN7rocprim17ROCPRIM_400000_NS6detail17trampoline_kernelINS0_13kernel_configILj256ELj4ELj4294967295EEENS1_37radix_sort_block_sort_config_selectorIcNS0_10empty_typeEEEZNS1_21radix_sort_block_sortIS4_Lb0EPcS9_PS6_SA_NS0_19identity_decomposerEEE10hipError_tT1_T2_T3_T4_jRjT5_jjP12ihipStream_tbEUlT_E_NS1_11comp_targetILNS1_3genE0ELNS1_11target_archE4294967295ELNS1_3gpuE0ELNS1_3repE0EEENS1_44radix_sort_block_sort_config_static_selectorELNS0_4arch9wavefront6targetE1EEEvSD_.kd
    .uniform_work_group_size: 1
    .uses_dynamic_stack: false
    .vgpr_count:     0
    .vgpr_spill_count: 0
    .wavefront_size: 64
  - .agpr_count:     0
    .args:
      - .offset:         0
        .size:           48
        .value_kind:     by_value
    .group_segment_fixed_size: 0
    .kernarg_segment_align: 8
    .kernarg_segment_size: 48
    .language:       OpenCL C
    .language_version:
      - 2
      - 0
    .max_flat_workgroup_size: 256
    .name:           _ZN7rocprim17ROCPRIM_400000_NS6detail17trampoline_kernelINS0_13kernel_configILj256ELj4ELj4294967295EEENS1_37radix_sort_block_sort_config_selectorIcNS0_10empty_typeEEEZNS1_21radix_sort_block_sortIS4_Lb0EPcS9_PS6_SA_NS0_19identity_decomposerEEE10hipError_tT1_T2_T3_T4_jRjT5_jjP12ihipStream_tbEUlT_E_NS1_11comp_targetILNS1_3genE5ELNS1_11target_archE942ELNS1_3gpuE9ELNS1_3repE0EEENS1_44radix_sort_block_sort_config_static_selectorELNS0_4arch9wavefront6targetE1EEEvSD_
    .private_segment_fixed_size: 0
    .sgpr_count:     4
    .sgpr_spill_count: 0
    .symbol:         _ZN7rocprim17ROCPRIM_400000_NS6detail17trampoline_kernelINS0_13kernel_configILj256ELj4ELj4294967295EEENS1_37radix_sort_block_sort_config_selectorIcNS0_10empty_typeEEEZNS1_21radix_sort_block_sortIS4_Lb0EPcS9_PS6_SA_NS0_19identity_decomposerEEE10hipError_tT1_T2_T3_T4_jRjT5_jjP12ihipStream_tbEUlT_E_NS1_11comp_targetILNS1_3genE5ELNS1_11target_archE942ELNS1_3gpuE9ELNS1_3repE0EEENS1_44radix_sort_block_sort_config_static_selectorELNS0_4arch9wavefront6targetE1EEEvSD_.kd
    .uniform_work_group_size: 1
    .uses_dynamic_stack: false
    .vgpr_count:     0
    .vgpr_spill_count: 0
    .wavefront_size: 64
  - .agpr_count:     0
    .args:
      - .offset:         0
        .size:           48
        .value_kind:     by_value
      - .offset:         48
        .size:           4
        .value_kind:     hidden_block_count_x
      - .offset:         52
        .size:           4
        .value_kind:     hidden_block_count_y
      - .offset:         56
        .size:           4
        .value_kind:     hidden_block_count_z
      - .offset:         60
        .size:           2
        .value_kind:     hidden_group_size_x
      - .offset:         62
        .size:           2
        .value_kind:     hidden_group_size_y
      - .offset:         64
        .size:           2
        .value_kind:     hidden_group_size_z
      - .offset:         66
        .size:           2
        .value_kind:     hidden_remainder_x
      - .offset:         68
        .size:           2
        .value_kind:     hidden_remainder_y
      - .offset:         70
        .size:           2
        .value_kind:     hidden_remainder_z
      - .offset:         88
        .size:           8
        .value_kind:     hidden_global_offset_x
      - .offset:         96
        .size:           8
        .value_kind:     hidden_global_offset_y
      - .offset:         104
        .size:           8
        .value_kind:     hidden_global_offset_z
      - .offset:         112
        .size:           2
        .value_kind:     hidden_grid_dims
    .group_segment_fixed_size: 4112
    .kernarg_segment_align: 8
    .kernarg_segment_size: 304
    .language:       OpenCL C
    .language_version:
      - 2
      - 0
    .max_flat_workgroup_size: 256
    .name:           _ZN7rocprim17ROCPRIM_400000_NS6detail17trampoline_kernelINS0_13kernel_configILj256ELj4ELj4294967295EEENS1_37radix_sort_block_sort_config_selectorIcNS0_10empty_typeEEEZNS1_21radix_sort_block_sortIS4_Lb0EPcS9_PS6_SA_NS0_19identity_decomposerEEE10hipError_tT1_T2_T3_T4_jRjT5_jjP12ihipStream_tbEUlT_E_NS1_11comp_targetILNS1_3genE4ELNS1_11target_archE910ELNS1_3gpuE8ELNS1_3repE0EEENS1_44radix_sort_block_sort_config_static_selectorELNS0_4arch9wavefront6targetE1EEEvSD_
    .private_segment_fixed_size: 0
    .sgpr_count:     46
    .sgpr_spill_count: 0
    .symbol:         _ZN7rocprim17ROCPRIM_400000_NS6detail17trampoline_kernelINS0_13kernel_configILj256ELj4ELj4294967295EEENS1_37radix_sort_block_sort_config_selectorIcNS0_10empty_typeEEEZNS1_21radix_sort_block_sortIS4_Lb0EPcS9_PS6_SA_NS0_19identity_decomposerEEE10hipError_tT1_T2_T3_T4_jRjT5_jjP12ihipStream_tbEUlT_E_NS1_11comp_targetILNS1_3genE4ELNS1_11target_archE910ELNS1_3gpuE8ELNS1_3repE0EEENS1_44radix_sort_block_sort_config_static_selectorELNS0_4arch9wavefront6targetE1EEEvSD_.kd
    .uniform_work_group_size: 1
    .uses_dynamic_stack: false
    .vgpr_count:     38
    .vgpr_spill_count: 0
    .wavefront_size: 64
  - .agpr_count:     0
    .args:
      - .offset:         0
        .size:           48
        .value_kind:     by_value
    .group_segment_fixed_size: 0
    .kernarg_segment_align: 8
    .kernarg_segment_size: 48
    .language:       OpenCL C
    .language_version:
      - 2
      - 0
    .max_flat_workgroup_size: 256
    .name:           _ZN7rocprim17ROCPRIM_400000_NS6detail17trampoline_kernelINS0_13kernel_configILj256ELj4ELj4294967295EEENS1_37radix_sort_block_sort_config_selectorIcNS0_10empty_typeEEEZNS1_21radix_sort_block_sortIS4_Lb0EPcS9_PS6_SA_NS0_19identity_decomposerEEE10hipError_tT1_T2_T3_T4_jRjT5_jjP12ihipStream_tbEUlT_E_NS1_11comp_targetILNS1_3genE3ELNS1_11target_archE908ELNS1_3gpuE7ELNS1_3repE0EEENS1_44radix_sort_block_sort_config_static_selectorELNS0_4arch9wavefront6targetE1EEEvSD_
    .private_segment_fixed_size: 0
    .sgpr_count:     4
    .sgpr_spill_count: 0
    .symbol:         _ZN7rocprim17ROCPRIM_400000_NS6detail17trampoline_kernelINS0_13kernel_configILj256ELj4ELj4294967295EEENS1_37radix_sort_block_sort_config_selectorIcNS0_10empty_typeEEEZNS1_21radix_sort_block_sortIS4_Lb0EPcS9_PS6_SA_NS0_19identity_decomposerEEE10hipError_tT1_T2_T3_T4_jRjT5_jjP12ihipStream_tbEUlT_E_NS1_11comp_targetILNS1_3genE3ELNS1_11target_archE908ELNS1_3gpuE7ELNS1_3repE0EEENS1_44radix_sort_block_sort_config_static_selectorELNS0_4arch9wavefront6targetE1EEEvSD_.kd
    .uniform_work_group_size: 1
    .uses_dynamic_stack: false
    .vgpr_count:     0
    .vgpr_spill_count: 0
    .wavefront_size: 64
  - .agpr_count:     0
    .args:
      - .offset:         0
        .size:           48
        .value_kind:     by_value
    .group_segment_fixed_size: 0
    .kernarg_segment_align: 8
    .kernarg_segment_size: 48
    .language:       OpenCL C
    .language_version:
      - 2
      - 0
    .max_flat_workgroup_size: 256
    .name:           _ZN7rocprim17ROCPRIM_400000_NS6detail17trampoline_kernelINS0_13kernel_configILj256ELj4ELj4294967295EEENS1_37radix_sort_block_sort_config_selectorIcNS0_10empty_typeEEEZNS1_21radix_sort_block_sortIS4_Lb0EPcS9_PS6_SA_NS0_19identity_decomposerEEE10hipError_tT1_T2_T3_T4_jRjT5_jjP12ihipStream_tbEUlT_E_NS1_11comp_targetILNS1_3genE2ELNS1_11target_archE906ELNS1_3gpuE6ELNS1_3repE0EEENS1_44radix_sort_block_sort_config_static_selectorELNS0_4arch9wavefront6targetE1EEEvSD_
    .private_segment_fixed_size: 0
    .sgpr_count:     4
    .sgpr_spill_count: 0
    .symbol:         _ZN7rocprim17ROCPRIM_400000_NS6detail17trampoline_kernelINS0_13kernel_configILj256ELj4ELj4294967295EEENS1_37radix_sort_block_sort_config_selectorIcNS0_10empty_typeEEEZNS1_21radix_sort_block_sortIS4_Lb0EPcS9_PS6_SA_NS0_19identity_decomposerEEE10hipError_tT1_T2_T3_T4_jRjT5_jjP12ihipStream_tbEUlT_E_NS1_11comp_targetILNS1_3genE2ELNS1_11target_archE906ELNS1_3gpuE6ELNS1_3repE0EEENS1_44radix_sort_block_sort_config_static_selectorELNS0_4arch9wavefront6targetE1EEEvSD_.kd
    .uniform_work_group_size: 1
    .uses_dynamic_stack: false
    .vgpr_count:     0
    .vgpr_spill_count: 0
    .wavefront_size: 64
  - .agpr_count:     0
    .args:
      - .offset:         0
        .size:           48
        .value_kind:     by_value
    .group_segment_fixed_size: 0
    .kernarg_segment_align: 8
    .kernarg_segment_size: 48
    .language:       OpenCL C
    .language_version:
      - 2
      - 0
    .max_flat_workgroup_size: 256
    .name:           _ZN7rocprim17ROCPRIM_400000_NS6detail17trampoline_kernelINS0_13kernel_configILj256ELj4ELj4294967295EEENS1_37radix_sort_block_sort_config_selectorIcNS0_10empty_typeEEEZNS1_21radix_sort_block_sortIS4_Lb0EPcS9_PS6_SA_NS0_19identity_decomposerEEE10hipError_tT1_T2_T3_T4_jRjT5_jjP12ihipStream_tbEUlT_E_NS1_11comp_targetILNS1_3genE10ELNS1_11target_archE1201ELNS1_3gpuE5ELNS1_3repE0EEENS1_44radix_sort_block_sort_config_static_selectorELNS0_4arch9wavefront6targetE1EEEvSD_
    .private_segment_fixed_size: 0
    .sgpr_count:     4
    .sgpr_spill_count: 0
    .symbol:         _ZN7rocprim17ROCPRIM_400000_NS6detail17trampoline_kernelINS0_13kernel_configILj256ELj4ELj4294967295EEENS1_37radix_sort_block_sort_config_selectorIcNS0_10empty_typeEEEZNS1_21radix_sort_block_sortIS4_Lb0EPcS9_PS6_SA_NS0_19identity_decomposerEEE10hipError_tT1_T2_T3_T4_jRjT5_jjP12ihipStream_tbEUlT_E_NS1_11comp_targetILNS1_3genE10ELNS1_11target_archE1201ELNS1_3gpuE5ELNS1_3repE0EEENS1_44radix_sort_block_sort_config_static_selectorELNS0_4arch9wavefront6targetE1EEEvSD_.kd
    .uniform_work_group_size: 1
    .uses_dynamic_stack: false
    .vgpr_count:     0
    .vgpr_spill_count: 0
    .wavefront_size: 64
  - .agpr_count:     0
    .args:
      - .offset:         0
        .size:           48
        .value_kind:     by_value
    .group_segment_fixed_size: 0
    .kernarg_segment_align: 8
    .kernarg_segment_size: 48
    .language:       OpenCL C
    .language_version:
      - 2
      - 0
    .max_flat_workgroup_size: 256
    .name:           _ZN7rocprim17ROCPRIM_400000_NS6detail17trampoline_kernelINS0_13kernel_configILj256ELj4ELj4294967295EEENS1_37radix_sort_block_sort_config_selectorIcNS0_10empty_typeEEEZNS1_21radix_sort_block_sortIS4_Lb0EPcS9_PS6_SA_NS0_19identity_decomposerEEE10hipError_tT1_T2_T3_T4_jRjT5_jjP12ihipStream_tbEUlT_E_NS1_11comp_targetILNS1_3genE10ELNS1_11target_archE1200ELNS1_3gpuE4ELNS1_3repE0EEENS1_44radix_sort_block_sort_config_static_selectorELNS0_4arch9wavefront6targetE1EEEvSD_
    .private_segment_fixed_size: 0
    .sgpr_count:     4
    .sgpr_spill_count: 0
    .symbol:         _ZN7rocprim17ROCPRIM_400000_NS6detail17trampoline_kernelINS0_13kernel_configILj256ELj4ELj4294967295EEENS1_37radix_sort_block_sort_config_selectorIcNS0_10empty_typeEEEZNS1_21radix_sort_block_sortIS4_Lb0EPcS9_PS6_SA_NS0_19identity_decomposerEEE10hipError_tT1_T2_T3_T4_jRjT5_jjP12ihipStream_tbEUlT_E_NS1_11comp_targetILNS1_3genE10ELNS1_11target_archE1200ELNS1_3gpuE4ELNS1_3repE0EEENS1_44radix_sort_block_sort_config_static_selectorELNS0_4arch9wavefront6targetE1EEEvSD_.kd
    .uniform_work_group_size: 1
    .uses_dynamic_stack: false
    .vgpr_count:     0
    .vgpr_spill_count: 0
    .wavefront_size: 64
  - .agpr_count:     0
    .args:
      - .offset:         0
        .size:           48
        .value_kind:     by_value
    .group_segment_fixed_size: 0
    .kernarg_segment_align: 8
    .kernarg_segment_size: 48
    .language:       OpenCL C
    .language_version:
      - 2
      - 0
    .max_flat_workgroup_size: 256
    .name:           _ZN7rocprim17ROCPRIM_400000_NS6detail17trampoline_kernelINS0_13kernel_configILj256ELj4ELj4294967295EEENS1_37radix_sort_block_sort_config_selectorIcNS0_10empty_typeEEEZNS1_21radix_sort_block_sortIS4_Lb0EPcS9_PS6_SA_NS0_19identity_decomposerEEE10hipError_tT1_T2_T3_T4_jRjT5_jjP12ihipStream_tbEUlT_E_NS1_11comp_targetILNS1_3genE9ELNS1_11target_archE1100ELNS1_3gpuE3ELNS1_3repE0EEENS1_44radix_sort_block_sort_config_static_selectorELNS0_4arch9wavefront6targetE1EEEvSD_
    .private_segment_fixed_size: 0
    .sgpr_count:     4
    .sgpr_spill_count: 0
    .symbol:         _ZN7rocprim17ROCPRIM_400000_NS6detail17trampoline_kernelINS0_13kernel_configILj256ELj4ELj4294967295EEENS1_37radix_sort_block_sort_config_selectorIcNS0_10empty_typeEEEZNS1_21radix_sort_block_sortIS4_Lb0EPcS9_PS6_SA_NS0_19identity_decomposerEEE10hipError_tT1_T2_T3_T4_jRjT5_jjP12ihipStream_tbEUlT_E_NS1_11comp_targetILNS1_3genE9ELNS1_11target_archE1100ELNS1_3gpuE3ELNS1_3repE0EEENS1_44radix_sort_block_sort_config_static_selectorELNS0_4arch9wavefront6targetE1EEEvSD_.kd
    .uniform_work_group_size: 1
    .uses_dynamic_stack: false
    .vgpr_count:     0
    .vgpr_spill_count: 0
    .wavefront_size: 64
  - .agpr_count:     0
    .args:
      - .offset:         0
        .size:           48
        .value_kind:     by_value
    .group_segment_fixed_size: 0
    .kernarg_segment_align: 8
    .kernarg_segment_size: 48
    .language:       OpenCL C
    .language_version:
      - 2
      - 0
    .max_flat_workgroup_size: 256
    .name:           _ZN7rocprim17ROCPRIM_400000_NS6detail17trampoline_kernelINS0_13kernel_configILj256ELj4ELj4294967295EEENS1_37radix_sort_block_sort_config_selectorIcNS0_10empty_typeEEEZNS1_21radix_sort_block_sortIS4_Lb0EPcS9_PS6_SA_NS0_19identity_decomposerEEE10hipError_tT1_T2_T3_T4_jRjT5_jjP12ihipStream_tbEUlT_E_NS1_11comp_targetILNS1_3genE8ELNS1_11target_archE1030ELNS1_3gpuE2ELNS1_3repE0EEENS1_44radix_sort_block_sort_config_static_selectorELNS0_4arch9wavefront6targetE1EEEvSD_
    .private_segment_fixed_size: 0
    .sgpr_count:     4
    .sgpr_spill_count: 0
    .symbol:         _ZN7rocprim17ROCPRIM_400000_NS6detail17trampoline_kernelINS0_13kernel_configILj256ELj4ELj4294967295EEENS1_37radix_sort_block_sort_config_selectorIcNS0_10empty_typeEEEZNS1_21radix_sort_block_sortIS4_Lb0EPcS9_PS6_SA_NS0_19identity_decomposerEEE10hipError_tT1_T2_T3_T4_jRjT5_jjP12ihipStream_tbEUlT_E_NS1_11comp_targetILNS1_3genE8ELNS1_11target_archE1030ELNS1_3gpuE2ELNS1_3repE0EEENS1_44radix_sort_block_sort_config_static_selectorELNS0_4arch9wavefront6targetE1EEEvSD_.kd
    .uniform_work_group_size: 1
    .uses_dynamic_stack: false
    .vgpr_count:     0
    .vgpr_spill_count: 0
    .wavefront_size: 64
  - .agpr_count:     0
    .args:           []
    .group_segment_fixed_size: 0
    .kernarg_segment_align: 4
    .kernarg_segment_size: 0
    .language:       OpenCL C
    .language_version:
      - 2
      - 0
    .max_flat_workgroup_size: 1024
    .name:           _ZN7rocprim17ROCPRIM_400000_NS6detail44device_merge_sort_compile_time_verifier_archINS1_11comp_targetILNS1_3genE0ELNS1_11target_archE4294967295ELNS1_3gpuE0ELNS1_3repE0EEES8_NS1_28merge_sort_block_sort_configILj256ELj4ELNS0_20block_sort_algorithmE0EEENS0_14default_configENS1_37merge_sort_block_sort_config_selectorIcNS0_10empty_typeEEENS1_38merge_sort_block_merge_config_selectorIcSE_EEEEvv
    .private_segment_fixed_size: 0
    .sgpr_count:     4
    .sgpr_spill_count: 0
    .symbol:         _ZN7rocprim17ROCPRIM_400000_NS6detail44device_merge_sort_compile_time_verifier_archINS1_11comp_targetILNS1_3genE0ELNS1_11target_archE4294967295ELNS1_3gpuE0ELNS1_3repE0EEES8_NS1_28merge_sort_block_sort_configILj256ELj4ELNS0_20block_sort_algorithmE0EEENS0_14default_configENS1_37merge_sort_block_sort_config_selectorIcNS0_10empty_typeEEENS1_38merge_sort_block_merge_config_selectorIcSE_EEEEvv.kd
    .uniform_work_group_size: 1
    .uses_dynamic_stack: false
    .vgpr_count:     0
    .vgpr_spill_count: 0
    .wavefront_size: 64
  - .agpr_count:     0
    .args:           []
    .group_segment_fixed_size: 0
    .kernarg_segment_align: 4
    .kernarg_segment_size: 0
    .language:       OpenCL C
    .language_version:
      - 2
      - 0
    .max_flat_workgroup_size: 1024
    .name:           _ZN7rocprim17ROCPRIM_400000_NS6detail44device_merge_sort_compile_time_verifier_archINS1_11comp_targetILNS1_3genE5ELNS1_11target_archE942ELNS1_3gpuE9ELNS1_3repE0EEES8_NS1_28merge_sort_block_sort_configILj256ELj4ELNS0_20block_sort_algorithmE0EEENS0_14default_configENS1_37merge_sort_block_sort_config_selectorIcNS0_10empty_typeEEENS1_38merge_sort_block_merge_config_selectorIcSE_EEEEvv
    .private_segment_fixed_size: 0
    .sgpr_count:     4
    .sgpr_spill_count: 0
    .symbol:         _ZN7rocprim17ROCPRIM_400000_NS6detail44device_merge_sort_compile_time_verifier_archINS1_11comp_targetILNS1_3genE5ELNS1_11target_archE942ELNS1_3gpuE9ELNS1_3repE0EEES8_NS1_28merge_sort_block_sort_configILj256ELj4ELNS0_20block_sort_algorithmE0EEENS0_14default_configENS1_37merge_sort_block_sort_config_selectorIcNS0_10empty_typeEEENS1_38merge_sort_block_merge_config_selectorIcSE_EEEEvv.kd
    .uniform_work_group_size: 1
    .uses_dynamic_stack: false
    .vgpr_count:     0
    .vgpr_spill_count: 0
    .wavefront_size: 64
  - .agpr_count:     0
    .args:           []
    .group_segment_fixed_size: 0
    .kernarg_segment_align: 4
    .kernarg_segment_size: 0
    .language:       OpenCL C
    .language_version:
      - 2
      - 0
    .max_flat_workgroup_size: 1024
    .name:           _ZN7rocprim17ROCPRIM_400000_NS6detail44device_merge_sort_compile_time_verifier_archINS1_11comp_targetILNS1_3genE4ELNS1_11target_archE910ELNS1_3gpuE8ELNS1_3repE0EEES8_NS1_28merge_sort_block_sort_configILj256ELj4ELNS0_20block_sort_algorithmE0EEENS0_14default_configENS1_37merge_sort_block_sort_config_selectorIcNS0_10empty_typeEEENS1_38merge_sort_block_merge_config_selectorIcSE_EEEEvv
    .private_segment_fixed_size: 0
    .sgpr_count:     4
    .sgpr_spill_count: 0
    .symbol:         _ZN7rocprim17ROCPRIM_400000_NS6detail44device_merge_sort_compile_time_verifier_archINS1_11comp_targetILNS1_3genE4ELNS1_11target_archE910ELNS1_3gpuE8ELNS1_3repE0EEES8_NS1_28merge_sort_block_sort_configILj256ELj4ELNS0_20block_sort_algorithmE0EEENS0_14default_configENS1_37merge_sort_block_sort_config_selectorIcNS0_10empty_typeEEENS1_38merge_sort_block_merge_config_selectorIcSE_EEEEvv.kd
    .uniform_work_group_size: 1
    .uses_dynamic_stack: false
    .vgpr_count:     0
    .vgpr_spill_count: 0
    .wavefront_size: 64
  - .agpr_count:     0
    .args:           []
    .group_segment_fixed_size: 0
    .kernarg_segment_align: 4
    .kernarg_segment_size: 0
    .language:       OpenCL C
    .language_version:
      - 2
      - 0
    .max_flat_workgroup_size: 1024
    .name:           _ZN7rocprim17ROCPRIM_400000_NS6detail44device_merge_sort_compile_time_verifier_archINS1_11comp_targetILNS1_3genE3ELNS1_11target_archE908ELNS1_3gpuE7ELNS1_3repE0EEES8_NS1_28merge_sort_block_sort_configILj256ELj4ELNS0_20block_sort_algorithmE0EEENS0_14default_configENS1_37merge_sort_block_sort_config_selectorIcNS0_10empty_typeEEENS1_38merge_sort_block_merge_config_selectorIcSE_EEEEvv
    .private_segment_fixed_size: 0
    .sgpr_count:     4
    .sgpr_spill_count: 0
    .symbol:         _ZN7rocprim17ROCPRIM_400000_NS6detail44device_merge_sort_compile_time_verifier_archINS1_11comp_targetILNS1_3genE3ELNS1_11target_archE908ELNS1_3gpuE7ELNS1_3repE0EEES8_NS1_28merge_sort_block_sort_configILj256ELj4ELNS0_20block_sort_algorithmE0EEENS0_14default_configENS1_37merge_sort_block_sort_config_selectorIcNS0_10empty_typeEEENS1_38merge_sort_block_merge_config_selectorIcSE_EEEEvv.kd
    .uniform_work_group_size: 1
    .uses_dynamic_stack: false
    .vgpr_count:     0
    .vgpr_spill_count: 0
    .wavefront_size: 64
  - .agpr_count:     0
    .args:           []
    .group_segment_fixed_size: 0
    .kernarg_segment_align: 4
    .kernarg_segment_size: 0
    .language:       OpenCL C
    .language_version:
      - 2
      - 0
    .max_flat_workgroup_size: 1024
    .name:           _ZN7rocprim17ROCPRIM_400000_NS6detail44device_merge_sort_compile_time_verifier_archINS1_11comp_targetILNS1_3genE2ELNS1_11target_archE906ELNS1_3gpuE6ELNS1_3repE0EEES8_NS1_28merge_sort_block_sort_configILj256ELj4ELNS0_20block_sort_algorithmE0EEENS0_14default_configENS1_37merge_sort_block_sort_config_selectorIcNS0_10empty_typeEEENS1_38merge_sort_block_merge_config_selectorIcSE_EEEEvv
    .private_segment_fixed_size: 0
    .sgpr_count:     4
    .sgpr_spill_count: 0
    .symbol:         _ZN7rocprim17ROCPRIM_400000_NS6detail44device_merge_sort_compile_time_verifier_archINS1_11comp_targetILNS1_3genE2ELNS1_11target_archE906ELNS1_3gpuE6ELNS1_3repE0EEES8_NS1_28merge_sort_block_sort_configILj256ELj4ELNS0_20block_sort_algorithmE0EEENS0_14default_configENS1_37merge_sort_block_sort_config_selectorIcNS0_10empty_typeEEENS1_38merge_sort_block_merge_config_selectorIcSE_EEEEvv.kd
    .uniform_work_group_size: 1
    .uses_dynamic_stack: false
    .vgpr_count:     0
    .vgpr_spill_count: 0
    .wavefront_size: 64
  - .agpr_count:     0
    .args:           []
    .group_segment_fixed_size: 0
    .kernarg_segment_align: 4
    .kernarg_segment_size: 0
    .language:       OpenCL C
    .language_version:
      - 2
      - 0
    .max_flat_workgroup_size: 1024
    .name:           _ZN7rocprim17ROCPRIM_400000_NS6detail44device_merge_sort_compile_time_verifier_archINS1_11comp_targetILNS1_3genE10ELNS1_11target_archE1201ELNS1_3gpuE5ELNS1_3repE0EEES8_NS1_28merge_sort_block_sort_configILj256ELj4ELNS0_20block_sort_algorithmE0EEENS0_14default_configENS1_37merge_sort_block_sort_config_selectorIcNS0_10empty_typeEEENS1_38merge_sort_block_merge_config_selectorIcSE_EEEEvv
    .private_segment_fixed_size: 0
    .sgpr_count:     4
    .sgpr_spill_count: 0
    .symbol:         _ZN7rocprim17ROCPRIM_400000_NS6detail44device_merge_sort_compile_time_verifier_archINS1_11comp_targetILNS1_3genE10ELNS1_11target_archE1201ELNS1_3gpuE5ELNS1_3repE0EEES8_NS1_28merge_sort_block_sort_configILj256ELj4ELNS0_20block_sort_algorithmE0EEENS0_14default_configENS1_37merge_sort_block_sort_config_selectorIcNS0_10empty_typeEEENS1_38merge_sort_block_merge_config_selectorIcSE_EEEEvv.kd
    .uniform_work_group_size: 1
    .uses_dynamic_stack: false
    .vgpr_count:     0
    .vgpr_spill_count: 0
    .wavefront_size: 64
  - .agpr_count:     0
    .args:           []
    .group_segment_fixed_size: 0
    .kernarg_segment_align: 4
    .kernarg_segment_size: 0
    .language:       OpenCL C
    .language_version:
      - 2
      - 0
    .max_flat_workgroup_size: 1024
    .name:           _ZN7rocprim17ROCPRIM_400000_NS6detail44device_merge_sort_compile_time_verifier_archINS1_11comp_targetILNS1_3genE10ELNS1_11target_archE1200ELNS1_3gpuE4ELNS1_3repE0EEENS3_ILS4_10ELS5_1201ELS6_5ELS7_0EEENS1_28merge_sort_block_sort_configILj256ELj4ELNS0_20block_sort_algorithmE0EEENS0_14default_configENS1_37merge_sort_block_sort_config_selectorIcNS0_10empty_typeEEENS1_38merge_sort_block_merge_config_selectorIcSF_EEEEvv
    .private_segment_fixed_size: 0
    .sgpr_count:     4
    .sgpr_spill_count: 0
    .symbol:         _ZN7rocprim17ROCPRIM_400000_NS6detail44device_merge_sort_compile_time_verifier_archINS1_11comp_targetILNS1_3genE10ELNS1_11target_archE1200ELNS1_3gpuE4ELNS1_3repE0EEENS3_ILS4_10ELS5_1201ELS6_5ELS7_0EEENS1_28merge_sort_block_sort_configILj256ELj4ELNS0_20block_sort_algorithmE0EEENS0_14default_configENS1_37merge_sort_block_sort_config_selectorIcNS0_10empty_typeEEENS1_38merge_sort_block_merge_config_selectorIcSF_EEEEvv.kd
    .uniform_work_group_size: 1
    .uses_dynamic_stack: false
    .vgpr_count:     0
    .vgpr_spill_count: 0
    .wavefront_size: 64
  - .agpr_count:     0
    .args:           []
    .group_segment_fixed_size: 0
    .kernarg_segment_align: 4
    .kernarg_segment_size: 0
    .language:       OpenCL C
    .language_version:
      - 2
      - 0
    .max_flat_workgroup_size: 1024
    .name:           _ZN7rocprim17ROCPRIM_400000_NS6detail44device_merge_sort_compile_time_verifier_archINS1_11comp_targetILNS1_3genE9ELNS1_11target_archE1100ELNS1_3gpuE3ELNS1_3repE0EEES8_NS1_28merge_sort_block_sort_configILj256ELj4ELNS0_20block_sort_algorithmE0EEENS0_14default_configENS1_37merge_sort_block_sort_config_selectorIcNS0_10empty_typeEEENS1_38merge_sort_block_merge_config_selectorIcSE_EEEEvv
    .private_segment_fixed_size: 0
    .sgpr_count:     4
    .sgpr_spill_count: 0
    .symbol:         _ZN7rocprim17ROCPRIM_400000_NS6detail44device_merge_sort_compile_time_verifier_archINS1_11comp_targetILNS1_3genE9ELNS1_11target_archE1100ELNS1_3gpuE3ELNS1_3repE0EEES8_NS1_28merge_sort_block_sort_configILj256ELj4ELNS0_20block_sort_algorithmE0EEENS0_14default_configENS1_37merge_sort_block_sort_config_selectorIcNS0_10empty_typeEEENS1_38merge_sort_block_merge_config_selectorIcSE_EEEEvv.kd
    .uniform_work_group_size: 1
    .uses_dynamic_stack: false
    .vgpr_count:     0
    .vgpr_spill_count: 0
    .wavefront_size: 64
  - .agpr_count:     0
    .args:           []
    .group_segment_fixed_size: 0
    .kernarg_segment_align: 4
    .kernarg_segment_size: 0
    .language:       OpenCL C
    .language_version:
      - 2
      - 0
    .max_flat_workgroup_size: 1024
    .name:           _ZN7rocprim17ROCPRIM_400000_NS6detail44device_merge_sort_compile_time_verifier_archINS1_11comp_targetILNS1_3genE8ELNS1_11target_archE1030ELNS1_3gpuE2ELNS1_3repE0EEES8_NS1_28merge_sort_block_sort_configILj256ELj4ELNS0_20block_sort_algorithmE0EEENS0_14default_configENS1_37merge_sort_block_sort_config_selectorIcNS0_10empty_typeEEENS1_38merge_sort_block_merge_config_selectorIcSE_EEEEvv
    .private_segment_fixed_size: 0
    .sgpr_count:     4
    .sgpr_spill_count: 0
    .symbol:         _ZN7rocprim17ROCPRIM_400000_NS6detail44device_merge_sort_compile_time_verifier_archINS1_11comp_targetILNS1_3genE8ELNS1_11target_archE1030ELNS1_3gpuE2ELNS1_3repE0EEES8_NS1_28merge_sort_block_sort_configILj256ELj4ELNS0_20block_sort_algorithmE0EEENS0_14default_configENS1_37merge_sort_block_sort_config_selectorIcNS0_10empty_typeEEENS1_38merge_sort_block_merge_config_selectorIcSE_EEEEvv.kd
    .uniform_work_group_size: 1
    .uses_dynamic_stack: false
    .vgpr_count:     0
    .vgpr_spill_count: 0
    .wavefront_size: 64
  - .agpr_count:     0
    .args:
      - .offset:         0
        .size:           40
        .value_kind:     by_value
    .group_segment_fixed_size: 0
    .kernarg_segment_align: 8
    .kernarg_segment_size: 40
    .language:       OpenCL C
    .language_version:
      - 2
      - 0
    .max_flat_workgroup_size: 128
    .name:           _ZN7rocprim17ROCPRIM_400000_NS6detail17trampoline_kernelINS0_14default_configENS1_38merge_sort_block_merge_config_selectorIcNS0_10empty_typeEEEZZNS1_27merge_sort_block_merge_implIS3_PcPS5_jNS1_19radix_merge_compareILb0ELb0EcNS0_19identity_decomposerEEEEE10hipError_tT0_T1_T2_jT3_P12ihipStream_tbPNSt15iterator_traitsISE_E10value_typeEPNSK_ISF_E10value_typeEPSG_NS1_7vsmem_tEENKUlT_SE_SF_SG_E_clIS8_S8_S9_S9_EESD_ST_SE_SF_SG_EUlST_E_NS1_11comp_targetILNS1_3genE0ELNS1_11target_archE4294967295ELNS1_3gpuE0ELNS1_3repE0EEENS1_48merge_mergepath_partition_config_static_selectorELNS0_4arch9wavefront6targetE1EEEvSF_
    .private_segment_fixed_size: 0
    .sgpr_count:     4
    .sgpr_spill_count: 0
    .symbol:         _ZN7rocprim17ROCPRIM_400000_NS6detail17trampoline_kernelINS0_14default_configENS1_38merge_sort_block_merge_config_selectorIcNS0_10empty_typeEEEZZNS1_27merge_sort_block_merge_implIS3_PcPS5_jNS1_19radix_merge_compareILb0ELb0EcNS0_19identity_decomposerEEEEE10hipError_tT0_T1_T2_jT3_P12ihipStream_tbPNSt15iterator_traitsISE_E10value_typeEPNSK_ISF_E10value_typeEPSG_NS1_7vsmem_tEENKUlT_SE_SF_SG_E_clIS8_S8_S9_S9_EESD_ST_SE_SF_SG_EUlST_E_NS1_11comp_targetILNS1_3genE0ELNS1_11target_archE4294967295ELNS1_3gpuE0ELNS1_3repE0EEENS1_48merge_mergepath_partition_config_static_selectorELNS0_4arch9wavefront6targetE1EEEvSF_.kd
    .uniform_work_group_size: 1
    .uses_dynamic_stack: false
    .vgpr_count:     0
    .vgpr_spill_count: 0
    .wavefront_size: 64
  - .agpr_count:     0
    .args:
      - .offset:         0
        .size:           40
        .value_kind:     by_value
    .group_segment_fixed_size: 0
    .kernarg_segment_align: 8
    .kernarg_segment_size: 40
    .language:       OpenCL C
    .language_version:
      - 2
      - 0
    .max_flat_workgroup_size: 128
    .name:           _ZN7rocprim17ROCPRIM_400000_NS6detail17trampoline_kernelINS0_14default_configENS1_38merge_sort_block_merge_config_selectorIcNS0_10empty_typeEEEZZNS1_27merge_sort_block_merge_implIS3_PcPS5_jNS1_19radix_merge_compareILb0ELb0EcNS0_19identity_decomposerEEEEE10hipError_tT0_T1_T2_jT3_P12ihipStream_tbPNSt15iterator_traitsISE_E10value_typeEPNSK_ISF_E10value_typeEPSG_NS1_7vsmem_tEENKUlT_SE_SF_SG_E_clIS8_S8_S9_S9_EESD_ST_SE_SF_SG_EUlST_E_NS1_11comp_targetILNS1_3genE10ELNS1_11target_archE1201ELNS1_3gpuE5ELNS1_3repE0EEENS1_48merge_mergepath_partition_config_static_selectorELNS0_4arch9wavefront6targetE1EEEvSF_
    .private_segment_fixed_size: 0
    .sgpr_count:     4
    .sgpr_spill_count: 0
    .symbol:         _ZN7rocprim17ROCPRIM_400000_NS6detail17trampoline_kernelINS0_14default_configENS1_38merge_sort_block_merge_config_selectorIcNS0_10empty_typeEEEZZNS1_27merge_sort_block_merge_implIS3_PcPS5_jNS1_19radix_merge_compareILb0ELb0EcNS0_19identity_decomposerEEEEE10hipError_tT0_T1_T2_jT3_P12ihipStream_tbPNSt15iterator_traitsISE_E10value_typeEPNSK_ISF_E10value_typeEPSG_NS1_7vsmem_tEENKUlT_SE_SF_SG_E_clIS8_S8_S9_S9_EESD_ST_SE_SF_SG_EUlST_E_NS1_11comp_targetILNS1_3genE10ELNS1_11target_archE1201ELNS1_3gpuE5ELNS1_3repE0EEENS1_48merge_mergepath_partition_config_static_selectorELNS0_4arch9wavefront6targetE1EEEvSF_.kd
    .uniform_work_group_size: 1
    .uses_dynamic_stack: false
    .vgpr_count:     0
    .vgpr_spill_count: 0
    .wavefront_size: 64
  - .agpr_count:     0
    .args:
      - .offset:         0
        .size:           40
        .value_kind:     by_value
    .group_segment_fixed_size: 0
    .kernarg_segment_align: 8
    .kernarg_segment_size: 40
    .language:       OpenCL C
    .language_version:
      - 2
      - 0
    .max_flat_workgroup_size: 128
    .name:           _ZN7rocprim17ROCPRIM_400000_NS6detail17trampoline_kernelINS0_14default_configENS1_38merge_sort_block_merge_config_selectorIcNS0_10empty_typeEEEZZNS1_27merge_sort_block_merge_implIS3_PcPS5_jNS1_19radix_merge_compareILb0ELb0EcNS0_19identity_decomposerEEEEE10hipError_tT0_T1_T2_jT3_P12ihipStream_tbPNSt15iterator_traitsISE_E10value_typeEPNSK_ISF_E10value_typeEPSG_NS1_7vsmem_tEENKUlT_SE_SF_SG_E_clIS8_S8_S9_S9_EESD_ST_SE_SF_SG_EUlST_E_NS1_11comp_targetILNS1_3genE5ELNS1_11target_archE942ELNS1_3gpuE9ELNS1_3repE0EEENS1_48merge_mergepath_partition_config_static_selectorELNS0_4arch9wavefront6targetE1EEEvSF_
    .private_segment_fixed_size: 0
    .sgpr_count:     4
    .sgpr_spill_count: 0
    .symbol:         _ZN7rocprim17ROCPRIM_400000_NS6detail17trampoline_kernelINS0_14default_configENS1_38merge_sort_block_merge_config_selectorIcNS0_10empty_typeEEEZZNS1_27merge_sort_block_merge_implIS3_PcPS5_jNS1_19radix_merge_compareILb0ELb0EcNS0_19identity_decomposerEEEEE10hipError_tT0_T1_T2_jT3_P12ihipStream_tbPNSt15iterator_traitsISE_E10value_typeEPNSK_ISF_E10value_typeEPSG_NS1_7vsmem_tEENKUlT_SE_SF_SG_E_clIS8_S8_S9_S9_EESD_ST_SE_SF_SG_EUlST_E_NS1_11comp_targetILNS1_3genE5ELNS1_11target_archE942ELNS1_3gpuE9ELNS1_3repE0EEENS1_48merge_mergepath_partition_config_static_selectorELNS0_4arch9wavefront6targetE1EEEvSF_.kd
    .uniform_work_group_size: 1
    .uses_dynamic_stack: false
    .vgpr_count:     0
    .vgpr_spill_count: 0
    .wavefront_size: 64
  - .agpr_count:     0
    .args:
      - .offset:         0
        .size:           40
        .value_kind:     by_value
    .group_segment_fixed_size: 0
    .kernarg_segment_align: 8
    .kernarg_segment_size: 40
    .language:       OpenCL C
    .language_version:
      - 2
      - 0
    .max_flat_workgroup_size: 128
    .name:           _ZN7rocprim17ROCPRIM_400000_NS6detail17trampoline_kernelINS0_14default_configENS1_38merge_sort_block_merge_config_selectorIcNS0_10empty_typeEEEZZNS1_27merge_sort_block_merge_implIS3_PcPS5_jNS1_19radix_merge_compareILb0ELb0EcNS0_19identity_decomposerEEEEE10hipError_tT0_T1_T2_jT3_P12ihipStream_tbPNSt15iterator_traitsISE_E10value_typeEPNSK_ISF_E10value_typeEPSG_NS1_7vsmem_tEENKUlT_SE_SF_SG_E_clIS8_S8_S9_S9_EESD_ST_SE_SF_SG_EUlST_E_NS1_11comp_targetILNS1_3genE4ELNS1_11target_archE910ELNS1_3gpuE8ELNS1_3repE0EEENS1_48merge_mergepath_partition_config_static_selectorELNS0_4arch9wavefront6targetE1EEEvSF_
    .private_segment_fixed_size: 0
    .sgpr_count:     12
    .sgpr_spill_count: 0
    .symbol:         _ZN7rocprim17ROCPRIM_400000_NS6detail17trampoline_kernelINS0_14default_configENS1_38merge_sort_block_merge_config_selectorIcNS0_10empty_typeEEEZZNS1_27merge_sort_block_merge_implIS3_PcPS5_jNS1_19radix_merge_compareILb0ELb0EcNS0_19identity_decomposerEEEEE10hipError_tT0_T1_T2_jT3_P12ihipStream_tbPNSt15iterator_traitsISE_E10value_typeEPNSK_ISF_E10value_typeEPSG_NS1_7vsmem_tEENKUlT_SE_SF_SG_E_clIS8_S8_S9_S9_EESD_ST_SE_SF_SG_EUlST_E_NS1_11comp_targetILNS1_3genE4ELNS1_11target_archE910ELNS1_3gpuE8ELNS1_3repE0EEENS1_48merge_mergepath_partition_config_static_selectorELNS0_4arch9wavefront6targetE1EEEvSF_.kd
    .uniform_work_group_size: 1
    .uses_dynamic_stack: false
    .vgpr_count:     16
    .vgpr_spill_count: 0
    .wavefront_size: 64
  - .agpr_count:     0
    .args:
      - .offset:         0
        .size:           40
        .value_kind:     by_value
    .group_segment_fixed_size: 0
    .kernarg_segment_align: 8
    .kernarg_segment_size: 40
    .language:       OpenCL C
    .language_version:
      - 2
      - 0
    .max_flat_workgroup_size: 128
    .name:           _ZN7rocprim17ROCPRIM_400000_NS6detail17trampoline_kernelINS0_14default_configENS1_38merge_sort_block_merge_config_selectorIcNS0_10empty_typeEEEZZNS1_27merge_sort_block_merge_implIS3_PcPS5_jNS1_19radix_merge_compareILb0ELb0EcNS0_19identity_decomposerEEEEE10hipError_tT0_T1_T2_jT3_P12ihipStream_tbPNSt15iterator_traitsISE_E10value_typeEPNSK_ISF_E10value_typeEPSG_NS1_7vsmem_tEENKUlT_SE_SF_SG_E_clIS8_S8_S9_S9_EESD_ST_SE_SF_SG_EUlST_E_NS1_11comp_targetILNS1_3genE3ELNS1_11target_archE908ELNS1_3gpuE7ELNS1_3repE0EEENS1_48merge_mergepath_partition_config_static_selectorELNS0_4arch9wavefront6targetE1EEEvSF_
    .private_segment_fixed_size: 0
    .sgpr_count:     4
    .sgpr_spill_count: 0
    .symbol:         _ZN7rocprim17ROCPRIM_400000_NS6detail17trampoline_kernelINS0_14default_configENS1_38merge_sort_block_merge_config_selectorIcNS0_10empty_typeEEEZZNS1_27merge_sort_block_merge_implIS3_PcPS5_jNS1_19radix_merge_compareILb0ELb0EcNS0_19identity_decomposerEEEEE10hipError_tT0_T1_T2_jT3_P12ihipStream_tbPNSt15iterator_traitsISE_E10value_typeEPNSK_ISF_E10value_typeEPSG_NS1_7vsmem_tEENKUlT_SE_SF_SG_E_clIS8_S8_S9_S9_EESD_ST_SE_SF_SG_EUlST_E_NS1_11comp_targetILNS1_3genE3ELNS1_11target_archE908ELNS1_3gpuE7ELNS1_3repE0EEENS1_48merge_mergepath_partition_config_static_selectorELNS0_4arch9wavefront6targetE1EEEvSF_.kd
    .uniform_work_group_size: 1
    .uses_dynamic_stack: false
    .vgpr_count:     0
    .vgpr_spill_count: 0
    .wavefront_size: 64
  - .agpr_count:     0
    .args:
      - .offset:         0
        .size:           40
        .value_kind:     by_value
    .group_segment_fixed_size: 0
    .kernarg_segment_align: 8
    .kernarg_segment_size: 40
    .language:       OpenCL C
    .language_version:
      - 2
      - 0
    .max_flat_workgroup_size: 128
    .name:           _ZN7rocprim17ROCPRIM_400000_NS6detail17trampoline_kernelINS0_14default_configENS1_38merge_sort_block_merge_config_selectorIcNS0_10empty_typeEEEZZNS1_27merge_sort_block_merge_implIS3_PcPS5_jNS1_19radix_merge_compareILb0ELb0EcNS0_19identity_decomposerEEEEE10hipError_tT0_T1_T2_jT3_P12ihipStream_tbPNSt15iterator_traitsISE_E10value_typeEPNSK_ISF_E10value_typeEPSG_NS1_7vsmem_tEENKUlT_SE_SF_SG_E_clIS8_S8_S9_S9_EESD_ST_SE_SF_SG_EUlST_E_NS1_11comp_targetILNS1_3genE2ELNS1_11target_archE906ELNS1_3gpuE6ELNS1_3repE0EEENS1_48merge_mergepath_partition_config_static_selectorELNS0_4arch9wavefront6targetE1EEEvSF_
    .private_segment_fixed_size: 0
    .sgpr_count:     4
    .sgpr_spill_count: 0
    .symbol:         _ZN7rocprim17ROCPRIM_400000_NS6detail17trampoline_kernelINS0_14default_configENS1_38merge_sort_block_merge_config_selectorIcNS0_10empty_typeEEEZZNS1_27merge_sort_block_merge_implIS3_PcPS5_jNS1_19radix_merge_compareILb0ELb0EcNS0_19identity_decomposerEEEEE10hipError_tT0_T1_T2_jT3_P12ihipStream_tbPNSt15iterator_traitsISE_E10value_typeEPNSK_ISF_E10value_typeEPSG_NS1_7vsmem_tEENKUlT_SE_SF_SG_E_clIS8_S8_S9_S9_EESD_ST_SE_SF_SG_EUlST_E_NS1_11comp_targetILNS1_3genE2ELNS1_11target_archE906ELNS1_3gpuE6ELNS1_3repE0EEENS1_48merge_mergepath_partition_config_static_selectorELNS0_4arch9wavefront6targetE1EEEvSF_.kd
    .uniform_work_group_size: 1
    .uses_dynamic_stack: false
    .vgpr_count:     0
    .vgpr_spill_count: 0
    .wavefront_size: 64
  - .agpr_count:     0
    .args:
      - .offset:         0
        .size:           40
        .value_kind:     by_value
    .group_segment_fixed_size: 0
    .kernarg_segment_align: 8
    .kernarg_segment_size: 40
    .language:       OpenCL C
    .language_version:
      - 2
      - 0
    .max_flat_workgroup_size: 128
    .name:           _ZN7rocprim17ROCPRIM_400000_NS6detail17trampoline_kernelINS0_14default_configENS1_38merge_sort_block_merge_config_selectorIcNS0_10empty_typeEEEZZNS1_27merge_sort_block_merge_implIS3_PcPS5_jNS1_19radix_merge_compareILb0ELb0EcNS0_19identity_decomposerEEEEE10hipError_tT0_T1_T2_jT3_P12ihipStream_tbPNSt15iterator_traitsISE_E10value_typeEPNSK_ISF_E10value_typeEPSG_NS1_7vsmem_tEENKUlT_SE_SF_SG_E_clIS8_S8_S9_S9_EESD_ST_SE_SF_SG_EUlST_E_NS1_11comp_targetILNS1_3genE9ELNS1_11target_archE1100ELNS1_3gpuE3ELNS1_3repE0EEENS1_48merge_mergepath_partition_config_static_selectorELNS0_4arch9wavefront6targetE1EEEvSF_
    .private_segment_fixed_size: 0
    .sgpr_count:     4
    .sgpr_spill_count: 0
    .symbol:         _ZN7rocprim17ROCPRIM_400000_NS6detail17trampoline_kernelINS0_14default_configENS1_38merge_sort_block_merge_config_selectorIcNS0_10empty_typeEEEZZNS1_27merge_sort_block_merge_implIS3_PcPS5_jNS1_19radix_merge_compareILb0ELb0EcNS0_19identity_decomposerEEEEE10hipError_tT0_T1_T2_jT3_P12ihipStream_tbPNSt15iterator_traitsISE_E10value_typeEPNSK_ISF_E10value_typeEPSG_NS1_7vsmem_tEENKUlT_SE_SF_SG_E_clIS8_S8_S9_S9_EESD_ST_SE_SF_SG_EUlST_E_NS1_11comp_targetILNS1_3genE9ELNS1_11target_archE1100ELNS1_3gpuE3ELNS1_3repE0EEENS1_48merge_mergepath_partition_config_static_selectorELNS0_4arch9wavefront6targetE1EEEvSF_.kd
    .uniform_work_group_size: 1
    .uses_dynamic_stack: false
    .vgpr_count:     0
    .vgpr_spill_count: 0
    .wavefront_size: 64
  - .agpr_count:     0
    .args:
      - .offset:         0
        .size:           40
        .value_kind:     by_value
    .group_segment_fixed_size: 0
    .kernarg_segment_align: 8
    .kernarg_segment_size: 40
    .language:       OpenCL C
    .language_version:
      - 2
      - 0
    .max_flat_workgroup_size: 128
    .name:           _ZN7rocprim17ROCPRIM_400000_NS6detail17trampoline_kernelINS0_14default_configENS1_38merge_sort_block_merge_config_selectorIcNS0_10empty_typeEEEZZNS1_27merge_sort_block_merge_implIS3_PcPS5_jNS1_19radix_merge_compareILb0ELb0EcNS0_19identity_decomposerEEEEE10hipError_tT0_T1_T2_jT3_P12ihipStream_tbPNSt15iterator_traitsISE_E10value_typeEPNSK_ISF_E10value_typeEPSG_NS1_7vsmem_tEENKUlT_SE_SF_SG_E_clIS8_S8_S9_S9_EESD_ST_SE_SF_SG_EUlST_E_NS1_11comp_targetILNS1_3genE8ELNS1_11target_archE1030ELNS1_3gpuE2ELNS1_3repE0EEENS1_48merge_mergepath_partition_config_static_selectorELNS0_4arch9wavefront6targetE1EEEvSF_
    .private_segment_fixed_size: 0
    .sgpr_count:     4
    .sgpr_spill_count: 0
    .symbol:         _ZN7rocprim17ROCPRIM_400000_NS6detail17trampoline_kernelINS0_14default_configENS1_38merge_sort_block_merge_config_selectorIcNS0_10empty_typeEEEZZNS1_27merge_sort_block_merge_implIS3_PcPS5_jNS1_19radix_merge_compareILb0ELb0EcNS0_19identity_decomposerEEEEE10hipError_tT0_T1_T2_jT3_P12ihipStream_tbPNSt15iterator_traitsISE_E10value_typeEPNSK_ISF_E10value_typeEPSG_NS1_7vsmem_tEENKUlT_SE_SF_SG_E_clIS8_S8_S9_S9_EESD_ST_SE_SF_SG_EUlST_E_NS1_11comp_targetILNS1_3genE8ELNS1_11target_archE1030ELNS1_3gpuE2ELNS1_3repE0EEENS1_48merge_mergepath_partition_config_static_selectorELNS0_4arch9wavefront6targetE1EEEvSF_.kd
    .uniform_work_group_size: 1
    .uses_dynamic_stack: false
    .vgpr_count:     0
    .vgpr_spill_count: 0
    .wavefront_size: 64
  - .agpr_count:     0
    .args:
      - .offset:         0
        .size:           64
        .value_kind:     by_value
    .group_segment_fixed_size: 0
    .kernarg_segment_align: 8
    .kernarg_segment_size: 64
    .language:       OpenCL C
    .language_version:
      - 2
      - 0
    .max_flat_workgroup_size: 128
    .name:           _ZN7rocprim17ROCPRIM_400000_NS6detail17trampoline_kernelINS0_14default_configENS1_38merge_sort_block_merge_config_selectorIcNS0_10empty_typeEEEZZNS1_27merge_sort_block_merge_implIS3_PcPS5_jNS1_19radix_merge_compareILb0ELb0EcNS0_19identity_decomposerEEEEE10hipError_tT0_T1_T2_jT3_P12ihipStream_tbPNSt15iterator_traitsISE_E10value_typeEPNSK_ISF_E10value_typeEPSG_NS1_7vsmem_tEENKUlT_SE_SF_SG_E_clIS8_S8_S9_S9_EESD_ST_SE_SF_SG_EUlST_E0_NS1_11comp_targetILNS1_3genE0ELNS1_11target_archE4294967295ELNS1_3gpuE0ELNS1_3repE0EEENS1_38merge_mergepath_config_static_selectorELNS0_4arch9wavefront6targetE1EEEvSF_
    .private_segment_fixed_size: 0
    .sgpr_count:     4
    .sgpr_spill_count: 0
    .symbol:         _ZN7rocprim17ROCPRIM_400000_NS6detail17trampoline_kernelINS0_14default_configENS1_38merge_sort_block_merge_config_selectorIcNS0_10empty_typeEEEZZNS1_27merge_sort_block_merge_implIS3_PcPS5_jNS1_19radix_merge_compareILb0ELb0EcNS0_19identity_decomposerEEEEE10hipError_tT0_T1_T2_jT3_P12ihipStream_tbPNSt15iterator_traitsISE_E10value_typeEPNSK_ISF_E10value_typeEPSG_NS1_7vsmem_tEENKUlT_SE_SF_SG_E_clIS8_S8_S9_S9_EESD_ST_SE_SF_SG_EUlST_E0_NS1_11comp_targetILNS1_3genE0ELNS1_11target_archE4294967295ELNS1_3gpuE0ELNS1_3repE0EEENS1_38merge_mergepath_config_static_selectorELNS0_4arch9wavefront6targetE1EEEvSF_.kd
    .uniform_work_group_size: 1
    .uses_dynamic_stack: false
    .vgpr_count:     0
    .vgpr_spill_count: 0
    .wavefront_size: 64
  - .agpr_count:     0
    .args:
      - .offset:         0
        .size:           64
        .value_kind:     by_value
    .group_segment_fixed_size: 0
    .kernarg_segment_align: 8
    .kernarg_segment_size: 64
    .language:       OpenCL C
    .language_version:
      - 2
      - 0
    .max_flat_workgroup_size: 128
    .name:           _ZN7rocprim17ROCPRIM_400000_NS6detail17trampoline_kernelINS0_14default_configENS1_38merge_sort_block_merge_config_selectorIcNS0_10empty_typeEEEZZNS1_27merge_sort_block_merge_implIS3_PcPS5_jNS1_19radix_merge_compareILb0ELb0EcNS0_19identity_decomposerEEEEE10hipError_tT0_T1_T2_jT3_P12ihipStream_tbPNSt15iterator_traitsISE_E10value_typeEPNSK_ISF_E10value_typeEPSG_NS1_7vsmem_tEENKUlT_SE_SF_SG_E_clIS8_S8_S9_S9_EESD_ST_SE_SF_SG_EUlST_E0_NS1_11comp_targetILNS1_3genE10ELNS1_11target_archE1201ELNS1_3gpuE5ELNS1_3repE0EEENS1_38merge_mergepath_config_static_selectorELNS0_4arch9wavefront6targetE1EEEvSF_
    .private_segment_fixed_size: 0
    .sgpr_count:     4
    .sgpr_spill_count: 0
    .symbol:         _ZN7rocprim17ROCPRIM_400000_NS6detail17trampoline_kernelINS0_14default_configENS1_38merge_sort_block_merge_config_selectorIcNS0_10empty_typeEEEZZNS1_27merge_sort_block_merge_implIS3_PcPS5_jNS1_19radix_merge_compareILb0ELb0EcNS0_19identity_decomposerEEEEE10hipError_tT0_T1_T2_jT3_P12ihipStream_tbPNSt15iterator_traitsISE_E10value_typeEPNSK_ISF_E10value_typeEPSG_NS1_7vsmem_tEENKUlT_SE_SF_SG_E_clIS8_S8_S9_S9_EESD_ST_SE_SF_SG_EUlST_E0_NS1_11comp_targetILNS1_3genE10ELNS1_11target_archE1201ELNS1_3gpuE5ELNS1_3repE0EEENS1_38merge_mergepath_config_static_selectorELNS0_4arch9wavefront6targetE1EEEvSF_.kd
    .uniform_work_group_size: 1
    .uses_dynamic_stack: false
    .vgpr_count:     0
    .vgpr_spill_count: 0
    .wavefront_size: 64
  - .agpr_count:     0
    .args:
      - .offset:         0
        .size:           64
        .value_kind:     by_value
    .group_segment_fixed_size: 0
    .kernarg_segment_align: 8
    .kernarg_segment_size: 64
    .language:       OpenCL C
    .language_version:
      - 2
      - 0
    .max_flat_workgroup_size: 128
    .name:           _ZN7rocprim17ROCPRIM_400000_NS6detail17trampoline_kernelINS0_14default_configENS1_38merge_sort_block_merge_config_selectorIcNS0_10empty_typeEEEZZNS1_27merge_sort_block_merge_implIS3_PcPS5_jNS1_19radix_merge_compareILb0ELb0EcNS0_19identity_decomposerEEEEE10hipError_tT0_T1_T2_jT3_P12ihipStream_tbPNSt15iterator_traitsISE_E10value_typeEPNSK_ISF_E10value_typeEPSG_NS1_7vsmem_tEENKUlT_SE_SF_SG_E_clIS8_S8_S9_S9_EESD_ST_SE_SF_SG_EUlST_E0_NS1_11comp_targetILNS1_3genE5ELNS1_11target_archE942ELNS1_3gpuE9ELNS1_3repE0EEENS1_38merge_mergepath_config_static_selectorELNS0_4arch9wavefront6targetE1EEEvSF_
    .private_segment_fixed_size: 0
    .sgpr_count:     4
    .sgpr_spill_count: 0
    .symbol:         _ZN7rocprim17ROCPRIM_400000_NS6detail17trampoline_kernelINS0_14default_configENS1_38merge_sort_block_merge_config_selectorIcNS0_10empty_typeEEEZZNS1_27merge_sort_block_merge_implIS3_PcPS5_jNS1_19radix_merge_compareILb0ELb0EcNS0_19identity_decomposerEEEEE10hipError_tT0_T1_T2_jT3_P12ihipStream_tbPNSt15iterator_traitsISE_E10value_typeEPNSK_ISF_E10value_typeEPSG_NS1_7vsmem_tEENKUlT_SE_SF_SG_E_clIS8_S8_S9_S9_EESD_ST_SE_SF_SG_EUlST_E0_NS1_11comp_targetILNS1_3genE5ELNS1_11target_archE942ELNS1_3gpuE9ELNS1_3repE0EEENS1_38merge_mergepath_config_static_selectorELNS0_4arch9wavefront6targetE1EEEvSF_.kd
    .uniform_work_group_size: 1
    .uses_dynamic_stack: false
    .vgpr_count:     0
    .vgpr_spill_count: 0
    .wavefront_size: 64
  - .agpr_count:     0
    .args:
      - .offset:         0
        .size:           64
        .value_kind:     by_value
      - .offset:         64
        .size:           4
        .value_kind:     hidden_block_count_x
      - .offset:         68
        .size:           4
        .value_kind:     hidden_block_count_y
      - .offset:         72
        .size:           4
        .value_kind:     hidden_block_count_z
      - .offset:         76
        .size:           2
        .value_kind:     hidden_group_size_x
      - .offset:         78
        .size:           2
        .value_kind:     hidden_group_size_y
      - .offset:         80
        .size:           2
        .value_kind:     hidden_group_size_z
      - .offset:         82
        .size:           2
        .value_kind:     hidden_remainder_x
      - .offset:         84
        .size:           2
        .value_kind:     hidden_remainder_y
      - .offset:         86
        .size:           2
        .value_kind:     hidden_remainder_z
      - .offset:         104
        .size:           8
        .value_kind:     hidden_global_offset_x
      - .offset:         112
        .size:           8
        .value_kind:     hidden_global_offset_y
      - .offset:         120
        .size:           8
        .value_kind:     hidden_global_offset_z
      - .offset:         128
        .size:           2
        .value_kind:     hidden_grid_dims
    .group_segment_fixed_size: 1056
    .kernarg_segment_align: 8
    .kernarg_segment_size: 320
    .language:       OpenCL C
    .language_version:
      - 2
      - 0
    .max_flat_workgroup_size: 128
    .name:           _ZN7rocprim17ROCPRIM_400000_NS6detail17trampoline_kernelINS0_14default_configENS1_38merge_sort_block_merge_config_selectorIcNS0_10empty_typeEEEZZNS1_27merge_sort_block_merge_implIS3_PcPS5_jNS1_19radix_merge_compareILb0ELb0EcNS0_19identity_decomposerEEEEE10hipError_tT0_T1_T2_jT3_P12ihipStream_tbPNSt15iterator_traitsISE_E10value_typeEPNSK_ISF_E10value_typeEPSG_NS1_7vsmem_tEENKUlT_SE_SF_SG_E_clIS8_S8_S9_S9_EESD_ST_SE_SF_SG_EUlST_E0_NS1_11comp_targetILNS1_3genE4ELNS1_11target_archE910ELNS1_3gpuE8ELNS1_3repE0EEENS1_38merge_mergepath_config_static_selectorELNS0_4arch9wavefront6targetE1EEEvSF_
    .private_segment_fixed_size: 0
    .sgpr_count:     28
    .sgpr_spill_count: 0
    .symbol:         _ZN7rocprim17ROCPRIM_400000_NS6detail17trampoline_kernelINS0_14default_configENS1_38merge_sort_block_merge_config_selectorIcNS0_10empty_typeEEEZZNS1_27merge_sort_block_merge_implIS3_PcPS5_jNS1_19radix_merge_compareILb0ELb0EcNS0_19identity_decomposerEEEEE10hipError_tT0_T1_T2_jT3_P12ihipStream_tbPNSt15iterator_traitsISE_E10value_typeEPNSK_ISF_E10value_typeEPSG_NS1_7vsmem_tEENKUlT_SE_SF_SG_E_clIS8_S8_S9_S9_EESD_ST_SE_SF_SG_EUlST_E0_NS1_11comp_targetILNS1_3genE4ELNS1_11target_archE910ELNS1_3gpuE8ELNS1_3repE0EEENS1_38merge_mergepath_config_static_selectorELNS0_4arch9wavefront6targetE1EEEvSF_.kd
    .uniform_work_group_size: 1
    .uses_dynamic_stack: false
    .vgpr_count:     28
    .vgpr_spill_count: 0
    .wavefront_size: 64
  - .agpr_count:     0
    .args:
      - .offset:         0
        .size:           64
        .value_kind:     by_value
    .group_segment_fixed_size: 0
    .kernarg_segment_align: 8
    .kernarg_segment_size: 64
    .language:       OpenCL C
    .language_version:
      - 2
      - 0
    .max_flat_workgroup_size: 128
    .name:           _ZN7rocprim17ROCPRIM_400000_NS6detail17trampoline_kernelINS0_14default_configENS1_38merge_sort_block_merge_config_selectorIcNS0_10empty_typeEEEZZNS1_27merge_sort_block_merge_implIS3_PcPS5_jNS1_19radix_merge_compareILb0ELb0EcNS0_19identity_decomposerEEEEE10hipError_tT0_T1_T2_jT3_P12ihipStream_tbPNSt15iterator_traitsISE_E10value_typeEPNSK_ISF_E10value_typeEPSG_NS1_7vsmem_tEENKUlT_SE_SF_SG_E_clIS8_S8_S9_S9_EESD_ST_SE_SF_SG_EUlST_E0_NS1_11comp_targetILNS1_3genE3ELNS1_11target_archE908ELNS1_3gpuE7ELNS1_3repE0EEENS1_38merge_mergepath_config_static_selectorELNS0_4arch9wavefront6targetE1EEEvSF_
    .private_segment_fixed_size: 0
    .sgpr_count:     4
    .sgpr_spill_count: 0
    .symbol:         _ZN7rocprim17ROCPRIM_400000_NS6detail17trampoline_kernelINS0_14default_configENS1_38merge_sort_block_merge_config_selectorIcNS0_10empty_typeEEEZZNS1_27merge_sort_block_merge_implIS3_PcPS5_jNS1_19radix_merge_compareILb0ELb0EcNS0_19identity_decomposerEEEEE10hipError_tT0_T1_T2_jT3_P12ihipStream_tbPNSt15iterator_traitsISE_E10value_typeEPNSK_ISF_E10value_typeEPSG_NS1_7vsmem_tEENKUlT_SE_SF_SG_E_clIS8_S8_S9_S9_EESD_ST_SE_SF_SG_EUlST_E0_NS1_11comp_targetILNS1_3genE3ELNS1_11target_archE908ELNS1_3gpuE7ELNS1_3repE0EEENS1_38merge_mergepath_config_static_selectorELNS0_4arch9wavefront6targetE1EEEvSF_.kd
    .uniform_work_group_size: 1
    .uses_dynamic_stack: false
    .vgpr_count:     0
    .vgpr_spill_count: 0
    .wavefront_size: 64
  - .agpr_count:     0
    .args:
      - .offset:         0
        .size:           64
        .value_kind:     by_value
    .group_segment_fixed_size: 0
    .kernarg_segment_align: 8
    .kernarg_segment_size: 64
    .language:       OpenCL C
    .language_version:
      - 2
      - 0
    .max_flat_workgroup_size: 128
    .name:           _ZN7rocprim17ROCPRIM_400000_NS6detail17trampoline_kernelINS0_14default_configENS1_38merge_sort_block_merge_config_selectorIcNS0_10empty_typeEEEZZNS1_27merge_sort_block_merge_implIS3_PcPS5_jNS1_19radix_merge_compareILb0ELb0EcNS0_19identity_decomposerEEEEE10hipError_tT0_T1_T2_jT3_P12ihipStream_tbPNSt15iterator_traitsISE_E10value_typeEPNSK_ISF_E10value_typeEPSG_NS1_7vsmem_tEENKUlT_SE_SF_SG_E_clIS8_S8_S9_S9_EESD_ST_SE_SF_SG_EUlST_E0_NS1_11comp_targetILNS1_3genE2ELNS1_11target_archE906ELNS1_3gpuE6ELNS1_3repE0EEENS1_38merge_mergepath_config_static_selectorELNS0_4arch9wavefront6targetE1EEEvSF_
    .private_segment_fixed_size: 0
    .sgpr_count:     4
    .sgpr_spill_count: 0
    .symbol:         _ZN7rocprim17ROCPRIM_400000_NS6detail17trampoline_kernelINS0_14default_configENS1_38merge_sort_block_merge_config_selectorIcNS0_10empty_typeEEEZZNS1_27merge_sort_block_merge_implIS3_PcPS5_jNS1_19radix_merge_compareILb0ELb0EcNS0_19identity_decomposerEEEEE10hipError_tT0_T1_T2_jT3_P12ihipStream_tbPNSt15iterator_traitsISE_E10value_typeEPNSK_ISF_E10value_typeEPSG_NS1_7vsmem_tEENKUlT_SE_SF_SG_E_clIS8_S8_S9_S9_EESD_ST_SE_SF_SG_EUlST_E0_NS1_11comp_targetILNS1_3genE2ELNS1_11target_archE906ELNS1_3gpuE6ELNS1_3repE0EEENS1_38merge_mergepath_config_static_selectorELNS0_4arch9wavefront6targetE1EEEvSF_.kd
    .uniform_work_group_size: 1
    .uses_dynamic_stack: false
    .vgpr_count:     0
    .vgpr_spill_count: 0
    .wavefront_size: 64
  - .agpr_count:     0
    .args:
      - .offset:         0
        .size:           64
        .value_kind:     by_value
    .group_segment_fixed_size: 0
    .kernarg_segment_align: 8
    .kernarg_segment_size: 64
    .language:       OpenCL C
    .language_version:
      - 2
      - 0
    .max_flat_workgroup_size: 128
    .name:           _ZN7rocprim17ROCPRIM_400000_NS6detail17trampoline_kernelINS0_14default_configENS1_38merge_sort_block_merge_config_selectorIcNS0_10empty_typeEEEZZNS1_27merge_sort_block_merge_implIS3_PcPS5_jNS1_19radix_merge_compareILb0ELb0EcNS0_19identity_decomposerEEEEE10hipError_tT0_T1_T2_jT3_P12ihipStream_tbPNSt15iterator_traitsISE_E10value_typeEPNSK_ISF_E10value_typeEPSG_NS1_7vsmem_tEENKUlT_SE_SF_SG_E_clIS8_S8_S9_S9_EESD_ST_SE_SF_SG_EUlST_E0_NS1_11comp_targetILNS1_3genE9ELNS1_11target_archE1100ELNS1_3gpuE3ELNS1_3repE0EEENS1_38merge_mergepath_config_static_selectorELNS0_4arch9wavefront6targetE1EEEvSF_
    .private_segment_fixed_size: 0
    .sgpr_count:     4
    .sgpr_spill_count: 0
    .symbol:         _ZN7rocprim17ROCPRIM_400000_NS6detail17trampoline_kernelINS0_14default_configENS1_38merge_sort_block_merge_config_selectorIcNS0_10empty_typeEEEZZNS1_27merge_sort_block_merge_implIS3_PcPS5_jNS1_19radix_merge_compareILb0ELb0EcNS0_19identity_decomposerEEEEE10hipError_tT0_T1_T2_jT3_P12ihipStream_tbPNSt15iterator_traitsISE_E10value_typeEPNSK_ISF_E10value_typeEPSG_NS1_7vsmem_tEENKUlT_SE_SF_SG_E_clIS8_S8_S9_S9_EESD_ST_SE_SF_SG_EUlST_E0_NS1_11comp_targetILNS1_3genE9ELNS1_11target_archE1100ELNS1_3gpuE3ELNS1_3repE0EEENS1_38merge_mergepath_config_static_selectorELNS0_4arch9wavefront6targetE1EEEvSF_.kd
    .uniform_work_group_size: 1
    .uses_dynamic_stack: false
    .vgpr_count:     0
    .vgpr_spill_count: 0
    .wavefront_size: 64
  - .agpr_count:     0
    .args:
      - .offset:         0
        .size:           64
        .value_kind:     by_value
    .group_segment_fixed_size: 0
    .kernarg_segment_align: 8
    .kernarg_segment_size: 64
    .language:       OpenCL C
    .language_version:
      - 2
      - 0
    .max_flat_workgroup_size: 128
    .name:           _ZN7rocprim17ROCPRIM_400000_NS6detail17trampoline_kernelINS0_14default_configENS1_38merge_sort_block_merge_config_selectorIcNS0_10empty_typeEEEZZNS1_27merge_sort_block_merge_implIS3_PcPS5_jNS1_19radix_merge_compareILb0ELb0EcNS0_19identity_decomposerEEEEE10hipError_tT0_T1_T2_jT3_P12ihipStream_tbPNSt15iterator_traitsISE_E10value_typeEPNSK_ISF_E10value_typeEPSG_NS1_7vsmem_tEENKUlT_SE_SF_SG_E_clIS8_S8_S9_S9_EESD_ST_SE_SF_SG_EUlST_E0_NS1_11comp_targetILNS1_3genE8ELNS1_11target_archE1030ELNS1_3gpuE2ELNS1_3repE0EEENS1_38merge_mergepath_config_static_selectorELNS0_4arch9wavefront6targetE1EEEvSF_
    .private_segment_fixed_size: 0
    .sgpr_count:     4
    .sgpr_spill_count: 0
    .symbol:         _ZN7rocprim17ROCPRIM_400000_NS6detail17trampoline_kernelINS0_14default_configENS1_38merge_sort_block_merge_config_selectorIcNS0_10empty_typeEEEZZNS1_27merge_sort_block_merge_implIS3_PcPS5_jNS1_19radix_merge_compareILb0ELb0EcNS0_19identity_decomposerEEEEE10hipError_tT0_T1_T2_jT3_P12ihipStream_tbPNSt15iterator_traitsISE_E10value_typeEPNSK_ISF_E10value_typeEPSG_NS1_7vsmem_tEENKUlT_SE_SF_SG_E_clIS8_S8_S9_S9_EESD_ST_SE_SF_SG_EUlST_E0_NS1_11comp_targetILNS1_3genE8ELNS1_11target_archE1030ELNS1_3gpuE2ELNS1_3repE0EEENS1_38merge_mergepath_config_static_selectorELNS0_4arch9wavefront6targetE1EEEvSF_.kd
    .uniform_work_group_size: 1
    .uses_dynamic_stack: false
    .vgpr_count:     0
    .vgpr_spill_count: 0
    .wavefront_size: 64
  - .agpr_count:     0
    .args:
      - .offset:         0
        .size:           48
        .value_kind:     by_value
    .group_segment_fixed_size: 0
    .kernarg_segment_align: 8
    .kernarg_segment_size: 48
    .language:       OpenCL C
    .language_version:
      - 2
      - 0
    .max_flat_workgroup_size: 256
    .name:           _ZN7rocprim17ROCPRIM_400000_NS6detail17trampoline_kernelINS0_14default_configENS1_38merge_sort_block_merge_config_selectorIcNS0_10empty_typeEEEZZNS1_27merge_sort_block_merge_implIS3_PcPS5_jNS1_19radix_merge_compareILb0ELb0EcNS0_19identity_decomposerEEEEE10hipError_tT0_T1_T2_jT3_P12ihipStream_tbPNSt15iterator_traitsISE_E10value_typeEPNSK_ISF_E10value_typeEPSG_NS1_7vsmem_tEENKUlT_SE_SF_SG_E_clIS8_S8_S9_S9_EESD_ST_SE_SF_SG_EUlST_E1_NS1_11comp_targetILNS1_3genE0ELNS1_11target_archE4294967295ELNS1_3gpuE0ELNS1_3repE0EEENS1_36merge_oddeven_config_static_selectorELNS0_4arch9wavefront6targetE1EEEvSF_
    .private_segment_fixed_size: 0
    .sgpr_count:     4
    .sgpr_spill_count: 0
    .symbol:         _ZN7rocprim17ROCPRIM_400000_NS6detail17trampoline_kernelINS0_14default_configENS1_38merge_sort_block_merge_config_selectorIcNS0_10empty_typeEEEZZNS1_27merge_sort_block_merge_implIS3_PcPS5_jNS1_19radix_merge_compareILb0ELb0EcNS0_19identity_decomposerEEEEE10hipError_tT0_T1_T2_jT3_P12ihipStream_tbPNSt15iterator_traitsISE_E10value_typeEPNSK_ISF_E10value_typeEPSG_NS1_7vsmem_tEENKUlT_SE_SF_SG_E_clIS8_S8_S9_S9_EESD_ST_SE_SF_SG_EUlST_E1_NS1_11comp_targetILNS1_3genE0ELNS1_11target_archE4294967295ELNS1_3gpuE0ELNS1_3repE0EEENS1_36merge_oddeven_config_static_selectorELNS0_4arch9wavefront6targetE1EEEvSF_.kd
    .uniform_work_group_size: 1
    .uses_dynamic_stack: false
    .vgpr_count:     0
    .vgpr_spill_count: 0
    .wavefront_size: 64
  - .agpr_count:     0
    .args:
      - .offset:         0
        .size:           48
        .value_kind:     by_value
    .group_segment_fixed_size: 0
    .kernarg_segment_align: 8
    .kernarg_segment_size: 48
    .language:       OpenCL C
    .language_version:
      - 2
      - 0
    .max_flat_workgroup_size: 256
    .name:           _ZN7rocprim17ROCPRIM_400000_NS6detail17trampoline_kernelINS0_14default_configENS1_38merge_sort_block_merge_config_selectorIcNS0_10empty_typeEEEZZNS1_27merge_sort_block_merge_implIS3_PcPS5_jNS1_19radix_merge_compareILb0ELb0EcNS0_19identity_decomposerEEEEE10hipError_tT0_T1_T2_jT3_P12ihipStream_tbPNSt15iterator_traitsISE_E10value_typeEPNSK_ISF_E10value_typeEPSG_NS1_7vsmem_tEENKUlT_SE_SF_SG_E_clIS8_S8_S9_S9_EESD_ST_SE_SF_SG_EUlST_E1_NS1_11comp_targetILNS1_3genE10ELNS1_11target_archE1201ELNS1_3gpuE5ELNS1_3repE0EEENS1_36merge_oddeven_config_static_selectorELNS0_4arch9wavefront6targetE1EEEvSF_
    .private_segment_fixed_size: 0
    .sgpr_count:     4
    .sgpr_spill_count: 0
    .symbol:         _ZN7rocprim17ROCPRIM_400000_NS6detail17trampoline_kernelINS0_14default_configENS1_38merge_sort_block_merge_config_selectorIcNS0_10empty_typeEEEZZNS1_27merge_sort_block_merge_implIS3_PcPS5_jNS1_19radix_merge_compareILb0ELb0EcNS0_19identity_decomposerEEEEE10hipError_tT0_T1_T2_jT3_P12ihipStream_tbPNSt15iterator_traitsISE_E10value_typeEPNSK_ISF_E10value_typeEPSG_NS1_7vsmem_tEENKUlT_SE_SF_SG_E_clIS8_S8_S9_S9_EESD_ST_SE_SF_SG_EUlST_E1_NS1_11comp_targetILNS1_3genE10ELNS1_11target_archE1201ELNS1_3gpuE5ELNS1_3repE0EEENS1_36merge_oddeven_config_static_selectorELNS0_4arch9wavefront6targetE1EEEvSF_.kd
    .uniform_work_group_size: 1
    .uses_dynamic_stack: false
    .vgpr_count:     0
    .vgpr_spill_count: 0
    .wavefront_size: 64
  - .agpr_count:     0
    .args:
      - .offset:         0
        .size:           48
        .value_kind:     by_value
    .group_segment_fixed_size: 0
    .kernarg_segment_align: 8
    .kernarg_segment_size: 48
    .language:       OpenCL C
    .language_version:
      - 2
      - 0
    .max_flat_workgroup_size: 256
    .name:           _ZN7rocprim17ROCPRIM_400000_NS6detail17trampoline_kernelINS0_14default_configENS1_38merge_sort_block_merge_config_selectorIcNS0_10empty_typeEEEZZNS1_27merge_sort_block_merge_implIS3_PcPS5_jNS1_19radix_merge_compareILb0ELb0EcNS0_19identity_decomposerEEEEE10hipError_tT0_T1_T2_jT3_P12ihipStream_tbPNSt15iterator_traitsISE_E10value_typeEPNSK_ISF_E10value_typeEPSG_NS1_7vsmem_tEENKUlT_SE_SF_SG_E_clIS8_S8_S9_S9_EESD_ST_SE_SF_SG_EUlST_E1_NS1_11comp_targetILNS1_3genE5ELNS1_11target_archE942ELNS1_3gpuE9ELNS1_3repE0EEENS1_36merge_oddeven_config_static_selectorELNS0_4arch9wavefront6targetE1EEEvSF_
    .private_segment_fixed_size: 0
    .sgpr_count:     4
    .sgpr_spill_count: 0
    .symbol:         _ZN7rocprim17ROCPRIM_400000_NS6detail17trampoline_kernelINS0_14default_configENS1_38merge_sort_block_merge_config_selectorIcNS0_10empty_typeEEEZZNS1_27merge_sort_block_merge_implIS3_PcPS5_jNS1_19radix_merge_compareILb0ELb0EcNS0_19identity_decomposerEEEEE10hipError_tT0_T1_T2_jT3_P12ihipStream_tbPNSt15iterator_traitsISE_E10value_typeEPNSK_ISF_E10value_typeEPSG_NS1_7vsmem_tEENKUlT_SE_SF_SG_E_clIS8_S8_S9_S9_EESD_ST_SE_SF_SG_EUlST_E1_NS1_11comp_targetILNS1_3genE5ELNS1_11target_archE942ELNS1_3gpuE9ELNS1_3repE0EEENS1_36merge_oddeven_config_static_selectorELNS0_4arch9wavefront6targetE1EEEvSF_.kd
    .uniform_work_group_size: 1
    .uses_dynamic_stack: false
    .vgpr_count:     0
    .vgpr_spill_count: 0
    .wavefront_size: 64
  - .agpr_count:     0
    .args:
      - .offset:         0
        .size:           48
        .value_kind:     by_value
    .group_segment_fixed_size: 0
    .kernarg_segment_align: 8
    .kernarg_segment_size: 48
    .language:       OpenCL C
    .language_version:
      - 2
      - 0
    .max_flat_workgroup_size: 256
    .name:           _ZN7rocprim17ROCPRIM_400000_NS6detail17trampoline_kernelINS0_14default_configENS1_38merge_sort_block_merge_config_selectorIcNS0_10empty_typeEEEZZNS1_27merge_sort_block_merge_implIS3_PcPS5_jNS1_19radix_merge_compareILb0ELb0EcNS0_19identity_decomposerEEEEE10hipError_tT0_T1_T2_jT3_P12ihipStream_tbPNSt15iterator_traitsISE_E10value_typeEPNSK_ISF_E10value_typeEPSG_NS1_7vsmem_tEENKUlT_SE_SF_SG_E_clIS8_S8_S9_S9_EESD_ST_SE_SF_SG_EUlST_E1_NS1_11comp_targetILNS1_3genE4ELNS1_11target_archE910ELNS1_3gpuE8ELNS1_3repE0EEENS1_36merge_oddeven_config_static_selectorELNS0_4arch9wavefront6targetE1EEEvSF_
    .private_segment_fixed_size: 0
    .sgpr_count:     24
    .sgpr_spill_count: 0
    .symbol:         _ZN7rocprim17ROCPRIM_400000_NS6detail17trampoline_kernelINS0_14default_configENS1_38merge_sort_block_merge_config_selectorIcNS0_10empty_typeEEEZZNS1_27merge_sort_block_merge_implIS3_PcPS5_jNS1_19radix_merge_compareILb0ELb0EcNS0_19identity_decomposerEEEEE10hipError_tT0_T1_T2_jT3_P12ihipStream_tbPNSt15iterator_traitsISE_E10value_typeEPNSK_ISF_E10value_typeEPSG_NS1_7vsmem_tEENKUlT_SE_SF_SG_E_clIS8_S8_S9_S9_EESD_ST_SE_SF_SG_EUlST_E1_NS1_11comp_targetILNS1_3genE4ELNS1_11target_archE910ELNS1_3gpuE8ELNS1_3repE0EEENS1_36merge_oddeven_config_static_selectorELNS0_4arch9wavefront6targetE1EEEvSF_.kd
    .uniform_work_group_size: 1
    .uses_dynamic_stack: false
    .vgpr_count:     8
    .vgpr_spill_count: 0
    .wavefront_size: 64
  - .agpr_count:     0
    .args:
      - .offset:         0
        .size:           48
        .value_kind:     by_value
    .group_segment_fixed_size: 0
    .kernarg_segment_align: 8
    .kernarg_segment_size: 48
    .language:       OpenCL C
    .language_version:
      - 2
      - 0
    .max_flat_workgroup_size: 256
    .name:           _ZN7rocprim17ROCPRIM_400000_NS6detail17trampoline_kernelINS0_14default_configENS1_38merge_sort_block_merge_config_selectorIcNS0_10empty_typeEEEZZNS1_27merge_sort_block_merge_implIS3_PcPS5_jNS1_19radix_merge_compareILb0ELb0EcNS0_19identity_decomposerEEEEE10hipError_tT0_T1_T2_jT3_P12ihipStream_tbPNSt15iterator_traitsISE_E10value_typeEPNSK_ISF_E10value_typeEPSG_NS1_7vsmem_tEENKUlT_SE_SF_SG_E_clIS8_S8_S9_S9_EESD_ST_SE_SF_SG_EUlST_E1_NS1_11comp_targetILNS1_3genE3ELNS1_11target_archE908ELNS1_3gpuE7ELNS1_3repE0EEENS1_36merge_oddeven_config_static_selectorELNS0_4arch9wavefront6targetE1EEEvSF_
    .private_segment_fixed_size: 0
    .sgpr_count:     4
    .sgpr_spill_count: 0
    .symbol:         _ZN7rocprim17ROCPRIM_400000_NS6detail17trampoline_kernelINS0_14default_configENS1_38merge_sort_block_merge_config_selectorIcNS0_10empty_typeEEEZZNS1_27merge_sort_block_merge_implIS3_PcPS5_jNS1_19radix_merge_compareILb0ELb0EcNS0_19identity_decomposerEEEEE10hipError_tT0_T1_T2_jT3_P12ihipStream_tbPNSt15iterator_traitsISE_E10value_typeEPNSK_ISF_E10value_typeEPSG_NS1_7vsmem_tEENKUlT_SE_SF_SG_E_clIS8_S8_S9_S9_EESD_ST_SE_SF_SG_EUlST_E1_NS1_11comp_targetILNS1_3genE3ELNS1_11target_archE908ELNS1_3gpuE7ELNS1_3repE0EEENS1_36merge_oddeven_config_static_selectorELNS0_4arch9wavefront6targetE1EEEvSF_.kd
    .uniform_work_group_size: 1
    .uses_dynamic_stack: false
    .vgpr_count:     0
    .vgpr_spill_count: 0
    .wavefront_size: 64
  - .agpr_count:     0
    .args:
      - .offset:         0
        .size:           48
        .value_kind:     by_value
    .group_segment_fixed_size: 0
    .kernarg_segment_align: 8
    .kernarg_segment_size: 48
    .language:       OpenCL C
    .language_version:
      - 2
      - 0
    .max_flat_workgroup_size: 256
    .name:           _ZN7rocprim17ROCPRIM_400000_NS6detail17trampoline_kernelINS0_14default_configENS1_38merge_sort_block_merge_config_selectorIcNS0_10empty_typeEEEZZNS1_27merge_sort_block_merge_implIS3_PcPS5_jNS1_19radix_merge_compareILb0ELb0EcNS0_19identity_decomposerEEEEE10hipError_tT0_T1_T2_jT3_P12ihipStream_tbPNSt15iterator_traitsISE_E10value_typeEPNSK_ISF_E10value_typeEPSG_NS1_7vsmem_tEENKUlT_SE_SF_SG_E_clIS8_S8_S9_S9_EESD_ST_SE_SF_SG_EUlST_E1_NS1_11comp_targetILNS1_3genE2ELNS1_11target_archE906ELNS1_3gpuE6ELNS1_3repE0EEENS1_36merge_oddeven_config_static_selectorELNS0_4arch9wavefront6targetE1EEEvSF_
    .private_segment_fixed_size: 0
    .sgpr_count:     4
    .sgpr_spill_count: 0
    .symbol:         _ZN7rocprim17ROCPRIM_400000_NS6detail17trampoline_kernelINS0_14default_configENS1_38merge_sort_block_merge_config_selectorIcNS0_10empty_typeEEEZZNS1_27merge_sort_block_merge_implIS3_PcPS5_jNS1_19radix_merge_compareILb0ELb0EcNS0_19identity_decomposerEEEEE10hipError_tT0_T1_T2_jT3_P12ihipStream_tbPNSt15iterator_traitsISE_E10value_typeEPNSK_ISF_E10value_typeEPSG_NS1_7vsmem_tEENKUlT_SE_SF_SG_E_clIS8_S8_S9_S9_EESD_ST_SE_SF_SG_EUlST_E1_NS1_11comp_targetILNS1_3genE2ELNS1_11target_archE906ELNS1_3gpuE6ELNS1_3repE0EEENS1_36merge_oddeven_config_static_selectorELNS0_4arch9wavefront6targetE1EEEvSF_.kd
    .uniform_work_group_size: 1
    .uses_dynamic_stack: false
    .vgpr_count:     0
    .vgpr_spill_count: 0
    .wavefront_size: 64
  - .agpr_count:     0
    .args:
      - .offset:         0
        .size:           48
        .value_kind:     by_value
    .group_segment_fixed_size: 0
    .kernarg_segment_align: 8
    .kernarg_segment_size: 48
    .language:       OpenCL C
    .language_version:
      - 2
      - 0
    .max_flat_workgroup_size: 256
    .name:           _ZN7rocprim17ROCPRIM_400000_NS6detail17trampoline_kernelINS0_14default_configENS1_38merge_sort_block_merge_config_selectorIcNS0_10empty_typeEEEZZNS1_27merge_sort_block_merge_implIS3_PcPS5_jNS1_19radix_merge_compareILb0ELb0EcNS0_19identity_decomposerEEEEE10hipError_tT0_T1_T2_jT3_P12ihipStream_tbPNSt15iterator_traitsISE_E10value_typeEPNSK_ISF_E10value_typeEPSG_NS1_7vsmem_tEENKUlT_SE_SF_SG_E_clIS8_S8_S9_S9_EESD_ST_SE_SF_SG_EUlST_E1_NS1_11comp_targetILNS1_3genE9ELNS1_11target_archE1100ELNS1_3gpuE3ELNS1_3repE0EEENS1_36merge_oddeven_config_static_selectorELNS0_4arch9wavefront6targetE1EEEvSF_
    .private_segment_fixed_size: 0
    .sgpr_count:     4
    .sgpr_spill_count: 0
    .symbol:         _ZN7rocprim17ROCPRIM_400000_NS6detail17trampoline_kernelINS0_14default_configENS1_38merge_sort_block_merge_config_selectorIcNS0_10empty_typeEEEZZNS1_27merge_sort_block_merge_implIS3_PcPS5_jNS1_19radix_merge_compareILb0ELb0EcNS0_19identity_decomposerEEEEE10hipError_tT0_T1_T2_jT3_P12ihipStream_tbPNSt15iterator_traitsISE_E10value_typeEPNSK_ISF_E10value_typeEPSG_NS1_7vsmem_tEENKUlT_SE_SF_SG_E_clIS8_S8_S9_S9_EESD_ST_SE_SF_SG_EUlST_E1_NS1_11comp_targetILNS1_3genE9ELNS1_11target_archE1100ELNS1_3gpuE3ELNS1_3repE0EEENS1_36merge_oddeven_config_static_selectorELNS0_4arch9wavefront6targetE1EEEvSF_.kd
    .uniform_work_group_size: 1
    .uses_dynamic_stack: false
    .vgpr_count:     0
    .vgpr_spill_count: 0
    .wavefront_size: 64
  - .agpr_count:     0
    .args:
      - .offset:         0
        .size:           48
        .value_kind:     by_value
    .group_segment_fixed_size: 0
    .kernarg_segment_align: 8
    .kernarg_segment_size: 48
    .language:       OpenCL C
    .language_version:
      - 2
      - 0
    .max_flat_workgroup_size: 256
    .name:           _ZN7rocprim17ROCPRIM_400000_NS6detail17trampoline_kernelINS0_14default_configENS1_38merge_sort_block_merge_config_selectorIcNS0_10empty_typeEEEZZNS1_27merge_sort_block_merge_implIS3_PcPS5_jNS1_19radix_merge_compareILb0ELb0EcNS0_19identity_decomposerEEEEE10hipError_tT0_T1_T2_jT3_P12ihipStream_tbPNSt15iterator_traitsISE_E10value_typeEPNSK_ISF_E10value_typeEPSG_NS1_7vsmem_tEENKUlT_SE_SF_SG_E_clIS8_S8_S9_S9_EESD_ST_SE_SF_SG_EUlST_E1_NS1_11comp_targetILNS1_3genE8ELNS1_11target_archE1030ELNS1_3gpuE2ELNS1_3repE0EEENS1_36merge_oddeven_config_static_selectorELNS0_4arch9wavefront6targetE1EEEvSF_
    .private_segment_fixed_size: 0
    .sgpr_count:     4
    .sgpr_spill_count: 0
    .symbol:         _ZN7rocprim17ROCPRIM_400000_NS6detail17trampoline_kernelINS0_14default_configENS1_38merge_sort_block_merge_config_selectorIcNS0_10empty_typeEEEZZNS1_27merge_sort_block_merge_implIS3_PcPS5_jNS1_19radix_merge_compareILb0ELb0EcNS0_19identity_decomposerEEEEE10hipError_tT0_T1_T2_jT3_P12ihipStream_tbPNSt15iterator_traitsISE_E10value_typeEPNSK_ISF_E10value_typeEPSG_NS1_7vsmem_tEENKUlT_SE_SF_SG_E_clIS8_S8_S9_S9_EESD_ST_SE_SF_SG_EUlST_E1_NS1_11comp_targetILNS1_3genE8ELNS1_11target_archE1030ELNS1_3gpuE2ELNS1_3repE0EEENS1_36merge_oddeven_config_static_selectorELNS0_4arch9wavefront6targetE1EEEvSF_.kd
    .uniform_work_group_size: 1
    .uses_dynamic_stack: false
    .vgpr_count:     0
    .vgpr_spill_count: 0
    .wavefront_size: 64
  - .agpr_count:     0
    .args:
      - .offset:         0
        .size:           40
        .value_kind:     by_value
    .group_segment_fixed_size: 0
    .kernarg_segment_align: 8
    .kernarg_segment_size: 40
    .language:       OpenCL C
    .language_version:
      - 2
      - 0
    .max_flat_workgroup_size: 128
    .name:           _ZN7rocprim17ROCPRIM_400000_NS6detail17trampoline_kernelINS0_14default_configENS1_25transform_config_selectorIcLb1EEEZNS1_14transform_implILb1ES3_S5_PcS7_NS0_8identityIcEEEE10hipError_tT2_T3_mT4_P12ihipStream_tbEUlT_E_NS1_11comp_targetILNS1_3genE0ELNS1_11target_archE4294967295ELNS1_3gpuE0ELNS1_3repE0EEENS1_30default_config_static_selectorELNS0_4arch9wavefront6targetE1EEEvT1_
    .private_segment_fixed_size: 0
    .sgpr_count:     4
    .sgpr_spill_count: 0
    .symbol:         _ZN7rocprim17ROCPRIM_400000_NS6detail17trampoline_kernelINS0_14default_configENS1_25transform_config_selectorIcLb1EEEZNS1_14transform_implILb1ES3_S5_PcS7_NS0_8identityIcEEEE10hipError_tT2_T3_mT4_P12ihipStream_tbEUlT_E_NS1_11comp_targetILNS1_3genE0ELNS1_11target_archE4294967295ELNS1_3gpuE0ELNS1_3repE0EEENS1_30default_config_static_selectorELNS0_4arch9wavefront6targetE1EEEvT1_.kd
    .uniform_work_group_size: 1
    .uses_dynamic_stack: false
    .vgpr_count:     0
    .vgpr_spill_count: 0
    .wavefront_size: 64
  - .agpr_count:     0
    .args:
      - .offset:         0
        .size:           40
        .value_kind:     by_value
    .group_segment_fixed_size: 0
    .kernarg_segment_align: 8
    .kernarg_segment_size: 40
    .language:       OpenCL C
    .language_version:
      - 2
      - 0
    .max_flat_workgroup_size: 1024
    .name:           _ZN7rocprim17ROCPRIM_400000_NS6detail17trampoline_kernelINS0_14default_configENS1_25transform_config_selectorIcLb1EEEZNS1_14transform_implILb1ES3_S5_PcS7_NS0_8identityIcEEEE10hipError_tT2_T3_mT4_P12ihipStream_tbEUlT_E_NS1_11comp_targetILNS1_3genE10ELNS1_11target_archE1201ELNS1_3gpuE5ELNS1_3repE0EEENS1_30default_config_static_selectorELNS0_4arch9wavefront6targetE1EEEvT1_
    .private_segment_fixed_size: 0
    .sgpr_count:     4
    .sgpr_spill_count: 0
    .symbol:         _ZN7rocprim17ROCPRIM_400000_NS6detail17trampoline_kernelINS0_14default_configENS1_25transform_config_selectorIcLb1EEEZNS1_14transform_implILb1ES3_S5_PcS7_NS0_8identityIcEEEE10hipError_tT2_T3_mT4_P12ihipStream_tbEUlT_E_NS1_11comp_targetILNS1_3genE10ELNS1_11target_archE1201ELNS1_3gpuE5ELNS1_3repE0EEENS1_30default_config_static_selectorELNS0_4arch9wavefront6targetE1EEEvT1_.kd
    .uniform_work_group_size: 1
    .uses_dynamic_stack: false
    .vgpr_count:     0
    .vgpr_spill_count: 0
    .wavefront_size: 64
  - .agpr_count:     0
    .args:
      - .offset:         0
        .size:           40
        .value_kind:     by_value
    .group_segment_fixed_size: 0
    .kernarg_segment_align: 8
    .kernarg_segment_size: 40
    .language:       OpenCL C
    .language_version:
      - 2
      - 0
    .max_flat_workgroup_size: 256
    .name:           _ZN7rocprim17ROCPRIM_400000_NS6detail17trampoline_kernelINS0_14default_configENS1_25transform_config_selectorIcLb1EEEZNS1_14transform_implILb1ES3_S5_PcS7_NS0_8identityIcEEEE10hipError_tT2_T3_mT4_P12ihipStream_tbEUlT_E_NS1_11comp_targetILNS1_3genE5ELNS1_11target_archE942ELNS1_3gpuE9ELNS1_3repE0EEENS1_30default_config_static_selectorELNS0_4arch9wavefront6targetE1EEEvT1_
    .private_segment_fixed_size: 0
    .sgpr_count:     4
    .sgpr_spill_count: 0
    .symbol:         _ZN7rocprim17ROCPRIM_400000_NS6detail17trampoline_kernelINS0_14default_configENS1_25transform_config_selectorIcLb1EEEZNS1_14transform_implILb1ES3_S5_PcS7_NS0_8identityIcEEEE10hipError_tT2_T3_mT4_P12ihipStream_tbEUlT_E_NS1_11comp_targetILNS1_3genE5ELNS1_11target_archE942ELNS1_3gpuE9ELNS1_3repE0EEENS1_30default_config_static_selectorELNS0_4arch9wavefront6targetE1EEEvT1_.kd
    .uniform_work_group_size: 1
    .uses_dynamic_stack: false
    .vgpr_count:     0
    .vgpr_spill_count: 0
    .wavefront_size: 64
  - .agpr_count:     0
    .args:
      - .offset:         0
        .size:           40
        .value_kind:     by_value
      - .offset:         40
        .size:           4
        .value_kind:     hidden_block_count_x
      - .offset:         44
        .size:           4
        .value_kind:     hidden_block_count_y
      - .offset:         48
        .size:           4
        .value_kind:     hidden_block_count_z
      - .offset:         52
        .size:           2
        .value_kind:     hidden_group_size_x
      - .offset:         54
        .size:           2
        .value_kind:     hidden_group_size_y
      - .offset:         56
        .size:           2
        .value_kind:     hidden_group_size_z
      - .offset:         58
        .size:           2
        .value_kind:     hidden_remainder_x
      - .offset:         60
        .size:           2
        .value_kind:     hidden_remainder_y
      - .offset:         62
        .size:           2
        .value_kind:     hidden_remainder_z
      - .offset:         80
        .size:           8
        .value_kind:     hidden_global_offset_x
      - .offset:         88
        .size:           8
        .value_kind:     hidden_global_offset_y
      - .offset:         96
        .size:           8
        .value_kind:     hidden_global_offset_z
      - .offset:         104
        .size:           2
        .value_kind:     hidden_grid_dims
    .group_segment_fixed_size: 0
    .kernarg_segment_align: 8
    .kernarg_segment_size: 296
    .language:       OpenCL C
    .language_version:
      - 2
      - 0
    .max_flat_workgroup_size: 1024
    .name:           _ZN7rocprim17ROCPRIM_400000_NS6detail17trampoline_kernelINS0_14default_configENS1_25transform_config_selectorIcLb1EEEZNS1_14transform_implILb1ES3_S5_PcS7_NS0_8identityIcEEEE10hipError_tT2_T3_mT4_P12ihipStream_tbEUlT_E_NS1_11comp_targetILNS1_3genE4ELNS1_11target_archE910ELNS1_3gpuE8ELNS1_3repE0EEENS1_30default_config_static_selectorELNS0_4arch9wavefront6targetE1EEEvT1_
    .private_segment_fixed_size: 0
    .sgpr_count:     42
    .sgpr_spill_count: 0
    .symbol:         _ZN7rocprim17ROCPRIM_400000_NS6detail17trampoline_kernelINS0_14default_configENS1_25transform_config_selectorIcLb1EEEZNS1_14transform_implILb1ES3_S5_PcS7_NS0_8identityIcEEEE10hipError_tT2_T3_mT4_P12ihipStream_tbEUlT_E_NS1_11comp_targetILNS1_3genE4ELNS1_11target_archE910ELNS1_3gpuE8ELNS1_3repE0EEENS1_30default_config_static_selectorELNS0_4arch9wavefront6targetE1EEEvT1_.kd
    .uniform_work_group_size: 1
    .uses_dynamic_stack: false
    .vgpr_count:     18
    .vgpr_spill_count: 0
    .wavefront_size: 64
  - .agpr_count:     0
    .args:
      - .offset:         0
        .size:           40
        .value_kind:     by_value
    .group_segment_fixed_size: 0
    .kernarg_segment_align: 8
    .kernarg_segment_size: 40
    .language:       OpenCL C
    .language_version:
      - 2
      - 0
    .max_flat_workgroup_size: 128
    .name:           _ZN7rocprim17ROCPRIM_400000_NS6detail17trampoline_kernelINS0_14default_configENS1_25transform_config_selectorIcLb1EEEZNS1_14transform_implILb1ES3_S5_PcS7_NS0_8identityIcEEEE10hipError_tT2_T3_mT4_P12ihipStream_tbEUlT_E_NS1_11comp_targetILNS1_3genE3ELNS1_11target_archE908ELNS1_3gpuE7ELNS1_3repE0EEENS1_30default_config_static_selectorELNS0_4arch9wavefront6targetE1EEEvT1_
    .private_segment_fixed_size: 0
    .sgpr_count:     4
    .sgpr_spill_count: 0
    .symbol:         _ZN7rocprim17ROCPRIM_400000_NS6detail17trampoline_kernelINS0_14default_configENS1_25transform_config_selectorIcLb1EEEZNS1_14transform_implILb1ES3_S5_PcS7_NS0_8identityIcEEEE10hipError_tT2_T3_mT4_P12ihipStream_tbEUlT_E_NS1_11comp_targetILNS1_3genE3ELNS1_11target_archE908ELNS1_3gpuE7ELNS1_3repE0EEENS1_30default_config_static_selectorELNS0_4arch9wavefront6targetE1EEEvT1_.kd
    .uniform_work_group_size: 1
    .uses_dynamic_stack: false
    .vgpr_count:     0
    .vgpr_spill_count: 0
    .wavefront_size: 64
  - .agpr_count:     0
    .args:
      - .offset:         0
        .size:           40
        .value_kind:     by_value
    .group_segment_fixed_size: 0
    .kernarg_segment_align: 8
    .kernarg_segment_size: 40
    .language:       OpenCL C
    .language_version:
      - 2
      - 0
    .max_flat_workgroup_size: 512
    .name:           _ZN7rocprim17ROCPRIM_400000_NS6detail17trampoline_kernelINS0_14default_configENS1_25transform_config_selectorIcLb1EEEZNS1_14transform_implILb1ES3_S5_PcS7_NS0_8identityIcEEEE10hipError_tT2_T3_mT4_P12ihipStream_tbEUlT_E_NS1_11comp_targetILNS1_3genE2ELNS1_11target_archE906ELNS1_3gpuE6ELNS1_3repE0EEENS1_30default_config_static_selectorELNS0_4arch9wavefront6targetE1EEEvT1_
    .private_segment_fixed_size: 0
    .sgpr_count:     4
    .sgpr_spill_count: 0
    .symbol:         _ZN7rocprim17ROCPRIM_400000_NS6detail17trampoline_kernelINS0_14default_configENS1_25transform_config_selectorIcLb1EEEZNS1_14transform_implILb1ES3_S5_PcS7_NS0_8identityIcEEEE10hipError_tT2_T3_mT4_P12ihipStream_tbEUlT_E_NS1_11comp_targetILNS1_3genE2ELNS1_11target_archE906ELNS1_3gpuE6ELNS1_3repE0EEENS1_30default_config_static_selectorELNS0_4arch9wavefront6targetE1EEEvT1_.kd
    .uniform_work_group_size: 1
    .uses_dynamic_stack: false
    .vgpr_count:     0
    .vgpr_spill_count: 0
    .wavefront_size: 64
  - .agpr_count:     0
    .args:
      - .offset:         0
        .size:           40
        .value_kind:     by_value
    .group_segment_fixed_size: 0
    .kernarg_segment_align: 8
    .kernarg_segment_size: 40
    .language:       OpenCL C
    .language_version:
      - 2
      - 0
    .max_flat_workgroup_size: 1024
    .name:           _ZN7rocprim17ROCPRIM_400000_NS6detail17trampoline_kernelINS0_14default_configENS1_25transform_config_selectorIcLb1EEEZNS1_14transform_implILb1ES3_S5_PcS7_NS0_8identityIcEEEE10hipError_tT2_T3_mT4_P12ihipStream_tbEUlT_E_NS1_11comp_targetILNS1_3genE9ELNS1_11target_archE1100ELNS1_3gpuE3ELNS1_3repE0EEENS1_30default_config_static_selectorELNS0_4arch9wavefront6targetE1EEEvT1_
    .private_segment_fixed_size: 0
    .sgpr_count:     4
    .sgpr_spill_count: 0
    .symbol:         _ZN7rocprim17ROCPRIM_400000_NS6detail17trampoline_kernelINS0_14default_configENS1_25transform_config_selectorIcLb1EEEZNS1_14transform_implILb1ES3_S5_PcS7_NS0_8identityIcEEEE10hipError_tT2_T3_mT4_P12ihipStream_tbEUlT_E_NS1_11comp_targetILNS1_3genE9ELNS1_11target_archE1100ELNS1_3gpuE3ELNS1_3repE0EEENS1_30default_config_static_selectorELNS0_4arch9wavefront6targetE1EEEvT1_.kd
    .uniform_work_group_size: 1
    .uses_dynamic_stack: false
    .vgpr_count:     0
    .vgpr_spill_count: 0
    .wavefront_size: 64
  - .agpr_count:     0
    .args:
      - .offset:         0
        .size:           40
        .value_kind:     by_value
    .group_segment_fixed_size: 0
    .kernarg_segment_align: 8
    .kernarg_segment_size: 40
    .language:       OpenCL C
    .language_version:
      - 2
      - 0
    .max_flat_workgroup_size: 1024
    .name:           _ZN7rocprim17ROCPRIM_400000_NS6detail17trampoline_kernelINS0_14default_configENS1_25transform_config_selectorIcLb1EEEZNS1_14transform_implILb1ES3_S5_PcS7_NS0_8identityIcEEEE10hipError_tT2_T3_mT4_P12ihipStream_tbEUlT_E_NS1_11comp_targetILNS1_3genE8ELNS1_11target_archE1030ELNS1_3gpuE2ELNS1_3repE0EEENS1_30default_config_static_selectorELNS0_4arch9wavefront6targetE1EEEvT1_
    .private_segment_fixed_size: 0
    .sgpr_count:     4
    .sgpr_spill_count: 0
    .symbol:         _ZN7rocprim17ROCPRIM_400000_NS6detail17trampoline_kernelINS0_14default_configENS1_25transform_config_selectorIcLb1EEEZNS1_14transform_implILb1ES3_S5_PcS7_NS0_8identityIcEEEE10hipError_tT2_T3_mT4_P12ihipStream_tbEUlT_E_NS1_11comp_targetILNS1_3genE8ELNS1_11target_archE1030ELNS1_3gpuE2ELNS1_3repE0EEENS1_30default_config_static_selectorELNS0_4arch9wavefront6targetE1EEEvT1_.kd
    .uniform_work_group_size: 1
    .uses_dynamic_stack: false
    .vgpr_count:     0
    .vgpr_spill_count: 0
    .wavefront_size: 64
  - .agpr_count:     0
    .args:
      - .offset:         0
        .size:           40
        .value_kind:     by_value
    .group_segment_fixed_size: 0
    .kernarg_segment_align: 8
    .kernarg_segment_size: 40
    .language:       OpenCL C
    .language_version:
      - 2
      - 0
    .max_flat_workgroup_size: 128
    .name:           _ZN7rocprim17ROCPRIM_400000_NS6detail17trampoline_kernelINS0_14default_configENS1_25transform_config_selectorINS0_10empty_typeELb1EEEZNS1_14transform_implILb1ES3_S6_PS5_S8_NS0_8identityIS5_EEEE10hipError_tT2_T3_mT4_P12ihipStream_tbEUlT_E_NS1_11comp_targetILNS1_3genE0ELNS1_11target_archE4294967295ELNS1_3gpuE0ELNS1_3repE0EEENS1_30default_config_static_selectorELNS0_4arch9wavefront6targetE1EEEvT1_
    .private_segment_fixed_size: 0
    .sgpr_count:     4
    .sgpr_spill_count: 0
    .symbol:         _ZN7rocprim17ROCPRIM_400000_NS6detail17trampoline_kernelINS0_14default_configENS1_25transform_config_selectorINS0_10empty_typeELb1EEEZNS1_14transform_implILb1ES3_S6_PS5_S8_NS0_8identityIS5_EEEE10hipError_tT2_T3_mT4_P12ihipStream_tbEUlT_E_NS1_11comp_targetILNS1_3genE0ELNS1_11target_archE4294967295ELNS1_3gpuE0ELNS1_3repE0EEENS1_30default_config_static_selectorELNS0_4arch9wavefront6targetE1EEEvT1_.kd
    .uniform_work_group_size: 1
    .uses_dynamic_stack: false
    .vgpr_count:     0
    .vgpr_spill_count: 0
    .wavefront_size: 64
  - .agpr_count:     0
    .args:
      - .offset:         0
        .size:           40
        .value_kind:     by_value
    .group_segment_fixed_size: 0
    .kernarg_segment_align: 8
    .kernarg_segment_size: 40
    .language:       OpenCL C
    .language_version:
      - 2
      - 0
    .max_flat_workgroup_size: 1024
    .name:           _ZN7rocprim17ROCPRIM_400000_NS6detail17trampoline_kernelINS0_14default_configENS1_25transform_config_selectorINS0_10empty_typeELb1EEEZNS1_14transform_implILb1ES3_S6_PS5_S8_NS0_8identityIS5_EEEE10hipError_tT2_T3_mT4_P12ihipStream_tbEUlT_E_NS1_11comp_targetILNS1_3genE10ELNS1_11target_archE1201ELNS1_3gpuE5ELNS1_3repE0EEENS1_30default_config_static_selectorELNS0_4arch9wavefront6targetE1EEEvT1_
    .private_segment_fixed_size: 0
    .sgpr_count:     4
    .sgpr_spill_count: 0
    .symbol:         _ZN7rocprim17ROCPRIM_400000_NS6detail17trampoline_kernelINS0_14default_configENS1_25transform_config_selectorINS0_10empty_typeELb1EEEZNS1_14transform_implILb1ES3_S6_PS5_S8_NS0_8identityIS5_EEEE10hipError_tT2_T3_mT4_P12ihipStream_tbEUlT_E_NS1_11comp_targetILNS1_3genE10ELNS1_11target_archE1201ELNS1_3gpuE5ELNS1_3repE0EEENS1_30default_config_static_selectorELNS0_4arch9wavefront6targetE1EEEvT1_.kd
    .uniform_work_group_size: 1
    .uses_dynamic_stack: false
    .vgpr_count:     0
    .vgpr_spill_count: 0
    .wavefront_size: 64
  - .agpr_count:     0
    .args:
      - .offset:         0
        .size:           40
        .value_kind:     by_value
    .group_segment_fixed_size: 0
    .kernarg_segment_align: 8
    .kernarg_segment_size: 40
    .language:       OpenCL C
    .language_version:
      - 2
      - 0
    .max_flat_workgroup_size: 256
    .name:           _ZN7rocprim17ROCPRIM_400000_NS6detail17trampoline_kernelINS0_14default_configENS1_25transform_config_selectorINS0_10empty_typeELb1EEEZNS1_14transform_implILb1ES3_S6_PS5_S8_NS0_8identityIS5_EEEE10hipError_tT2_T3_mT4_P12ihipStream_tbEUlT_E_NS1_11comp_targetILNS1_3genE5ELNS1_11target_archE942ELNS1_3gpuE9ELNS1_3repE0EEENS1_30default_config_static_selectorELNS0_4arch9wavefront6targetE1EEEvT1_
    .private_segment_fixed_size: 0
    .sgpr_count:     4
    .sgpr_spill_count: 0
    .symbol:         _ZN7rocprim17ROCPRIM_400000_NS6detail17trampoline_kernelINS0_14default_configENS1_25transform_config_selectorINS0_10empty_typeELb1EEEZNS1_14transform_implILb1ES3_S6_PS5_S8_NS0_8identityIS5_EEEE10hipError_tT2_T3_mT4_P12ihipStream_tbEUlT_E_NS1_11comp_targetILNS1_3genE5ELNS1_11target_archE942ELNS1_3gpuE9ELNS1_3repE0EEENS1_30default_config_static_selectorELNS0_4arch9wavefront6targetE1EEEvT1_.kd
    .uniform_work_group_size: 1
    .uses_dynamic_stack: false
    .vgpr_count:     0
    .vgpr_spill_count: 0
    .wavefront_size: 64
  - .agpr_count:     0
    .args:
      - .offset:         0
        .size:           40
        .value_kind:     by_value
    .group_segment_fixed_size: 0
    .kernarg_segment_align: 8
    .kernarg_segment_size: 40
    .language:       OpenCL C
    .language_version:
      - 2
      - 0
    .max_flat_workgroup_size: 1024
    .name:           _ZN7rocprim17ROCPRIM_400000_NS6detail17trampoline_kernelINS0_14default_configENS1_25transform_config_selectorINS0_10empty_typeELb1EEEZNS1_14transform_implILb1ES3_S6_PS5_S8_NS0_8identityIS5_EEEE10hipError_tT2_T3_mT4_P12ihipStream_tbEUlT_E_NS1_11comp_targetILNS1_3genE4ELNS1_11target_archE910ELNS1_3gpuE8ELNS1_3repE0EEENS1_30default_config_static_selectorELNS0_4arch9wavefront6targetE1EEEvT1_
    .private_segment_fixed_size: 0
    .sgpr_count:     4
    .sgpr_spill_count: 0
    .symbol:         _ZN7rocprim17ROCPRIM_400000_NS6detail17trampoline_kernelINS0_14default_configENS1_25transform_config_selectorINS0_10empty_typeELb1EEEZNS1_14transform_implILb1ES3_S6_PS5_S8_NS0_8identityIS5_EEEE10hipError_tT2_T3_mT4_P12ihipStream_tbEUlT_E_NS1_11comp_targetILNS1_3genE4ELNS1_11target_archE910ELNS1_3gpuE8ELNS1_3repE0EEENS1_30default_config_static_selectorELNS0_4arch9wavefront6targetE1EEEvT1_.kd
    .uniform_work_group_size: 1
    .uses_dynamic_stack: false
    .vgpr_count:     0
    .vgpr_spill_count: 0
    .wavefront_size: 64
  - .agpr_count:     0
    .args:
      - .offset:         0
        .size:           40
        .value_kind:     by_value
    .group_segment_fixed_size: 0
    .kernarg_segment_align: 8
    .kernarg_segment_size: 40
    .language:       OpenCL C
    .language_version:
      - 2
      - 0
    .max_flat_workgroup_size: 128
    .name:           _ZN7rocprim17ROCPRIM_400000_NS6detail17trampoline_kernelINS0_14default_configENS1_25transform_config_selectorINS0_10empty_typeELb1EEEZNS1_14transform_implILb1ES3_S6_PS5_S8_NS0_8identityIS5_EEEE10hipError_tT2_T3_mT4_P12ihipStream_tbEUlT_E_NS1_11comp_targetILNS1_3genE3ELNS1_11target_archE908ELNS1_3gpuE7ELNS1_3repE0EEENS1_30default_config_static_selectorELNS0_4arch9wavefront6targetE1EEEvT1_
    .private_segment_fixed_size: 0
    .sgpr_count:     4
    .sgpr_spill_count: 0
    .symbol:         _ZN7rocprim17ROCPRIM_400000_NS6detail17trampoline_kernelINS0_14default_configENS1_25transform_config_selectorINS0_10empty_typeELb1EEEZNS1_14transform_implILb1ES3_S6_PS5_S8_NS0_8identityIS5_EEEE10hipError_tT2_T3_mT4_P12ihipStream_tbEUlT_E_NS1_11comp_targetILNS1_3genE3ELNS1_11target_archE908ELNS1_3gpuE7ELNS1_3repE0EEENS1_30default_config_static_selectorELNS0_4arch9wavefront6targetE1EEEvT1_.kd
    .uniform_work_group_size: 1
    .uses_dynamic_stack: false
    .vgpr_count:     0
    .vgpr_spill_count: 0
    .wavefront_size: 64
  - .agpr_count:     0
    .args:
      - .offset:         0
        .size:           40
        .value_kind:     by_value
    .group_segment_fixed_size: 0
    .kernarg_segment_align: 8
    .kernarg_segment_size: 40
    .language:       OpenCL C
    .language_version:
      - 2
      - 0
    .max_flat_workgroup_size: 512
    .name:           _ZN7rocprim17ROCPRIM_400000_NS6detail17trampoline_kernelINS0_14default_configENS1_25transform_config_selectorINS0_10empty_typeELb1EEEZNS1_14transform_implILb1ES3_S6_PS5_S8_NS0_8identityIS5_EEEE10hipError_tT2_T3_mT4_P12ihipStream_tbEUlT_E_NS1_11comp_targetILNS1_3genE2ELNS1_11target_archE906ELNS1_3gpuE6ELNS1_3repE0EEENS1_30default_config_static_selectorELNS0_4arch9wavefront6targetE1EEEvT1_
    .private_segment_fixed_size: 0
    .sgpr_count:     4
    .sgpr_spill_count: 0
    .symbol:         _ZN7rocprim17ROCPRIM_400000_NS6detail17trampoline_kernelINS0_14default_configENS1_25transform_config_selectorINS0_10empty_typeELb1EEEZNS1_14transform_implILb1ES3_S6_PS5_S8_NS0_8identityIS5_EEEE10hipError_tT2_T3_mT4_P12ihipStream_tbEUlT_E_NS1_11comp_targetILNS1_3genE2ELNS1_11target_archE906ELNS1_3gpuE6ELNS1_3repE0EEENS1_30default_config_static_selectorELNS0_4arch9wavefront6targetE1EEEvT1_.kd
    .uniform_work_group_size: 1
    .uses_dynamic_stack: false
    .vgpr_count:     0
    .vgpr_spill_count: 0
    .wavefront_size: 64
  - .agpr_count:     0
    .args:
      - .offset:         0
        .size:           40
        .value_kind:     by_value
    .group_segment_fixed_size: 0
    .kernarg_segment_align: 8
    .kernarg_segment_size: 40
    .language:       OpenCL C
    .language_version:
      - 2
      - 0
    .max_flat_workgroup_size: 1024
    .name:           _ZN7rocprim17ROCPRIM_400000_NS6detail17trampoline_kernelINS0_14default_configENS1_25transform_config_selectorINS0_10empty_typeELb1EEEZNS1_14transform_implILb1ES3_S6_PS5_S8_NS0_8identityIS5_EEEE10hipError_tT2_T3_mT4_P12ihipStream_tbEUlT_E_NS1_11comp_targetILNS1_3genE9ELNS1_11target_archE1100ELNS1_3gpuE3ELNS1_3repE0EEENS1_30default_config_static_selectorELNS0_4arch9wavefront6targetE1EEEvT1_
    .private_segment_fixed_size: 0
    .sgpr_count:     4
    .sgpr_spill_count: 0
    .symbol:         _ZN7rocprim17ROCPRIM_400000_NS6detail17trampoline_kernelINS0_14default_configENS1_25transform_config_selectorINS0_10empty_typeELb1EEEZNS1_14transform_implILb1ES3_S6_PS5_S8_NS0_8identityIS5_EEEE10hipError_tT2_T3_mT4_P12ihipStream_tbEUlT_E_NS1_11comp_targetILNS1_3genE9ELNS1_11target_archE1100ELNS1_3gpuE3ELNS1_3repE0EEENS1_30default_config_static_selectorELNS0_4arch9wavefront6targetE1EEEvT1_.kd
    .uniform_work_group_size: 1
    .uses_dynamic_stack: false
    .vgpr_count:     0
    .vgpr_spill_count: 0
    .wavefront_size: 64
  - .agpr_count:     0
    .args:
      - .offset:         0
        .size:           40
        .value_kind:     by_value
    .group_segment_fixed_size: 0
    .kernarg_segment_align: 8
    .kernarg_segment_size: 40
    .language:       OpenCL C
    .language_version:
      - 2
      - 0
    .max_flat_workgroup_size: 1024
    .name:           _ZN7rocprim17ROCPRIM_400000_NS6detail17trampoline_kernelINS0_14default_configENS1_25transform_config_selectorINS0_10empty_typeELb1EEEZNS1_14transform_implILb1ES3_S6_PS5_S8_NS0_8identityIS5_EEEE10hipError_tT2_T3_mT4_P12ihipStream_tbEUlT_E_NS1_11comp_targetILNS1_3genE8ELNS1_11target_archE1030ELNS1_3gpuE2ELNS1_3repE0EEENS1_30default_config_static_selectorELNS0_4arch9wavefront6targetE1EEEvT1_
    .private_segment_fixed_size: 0
    .sgpr_count:     4
    .sgpr_spill_count: 0
    .symbol:         _ZN7rocprim17ROCPRIM_400000_NS6detail17trampoline_kernelINS0_14default_configENS1_25transform_config_selectorINS0_10empty_typeELb1EEEZNS1_14transform_implILb1ES3_S6_PS5_S8_NS0_8identityIS5_EEEE10hipError_tT2_T3_mT4_P12ihipStream_tbEUlT_E_NS1_11comp_targetILNS1_3genE8ELNS1_11target_archE1030ELNS1_3gpuE2ELNS1_3repE0EEENS1_30default_config_static_selectorELNS0_4arch9wavefront6targetE1EEEvT1_.kd
    .uniform_work_group_size: 1
    .uses_dynamic_stack: false
    .vgpr_count:     0
    .vgpr_spill_count: 0
    .wavefront_size: 64
  - .agpr_count:     0
    .args:
      - .offset:         0
        .size:           40
        .value_kind:     by_value
    .group_segment_fixed_size: 0
    .kernarg_segment_align: 8
    .kernarg_segment_size: 40
    .language:       OpenCL C
    .language_version:
      - 2
      - 0
    .max_flat_workgroup_size: 128
    .name:           _ZN7rocprim17ROCPRIM_400000_NS6detail17trampoline_kernelINS0_14default_configENS1_38merge_sort_block_merge_config_selectorIcNS0_10empty_typeEEEZZNS1_27merge_sort_block_merge_implIS3_PcPS5_jNS1_19radix_merge_compareILb0ELb1EcNS0_19identity_decomposerEEEEE10hipError_tT0_T1_T2_jT3_P12ihipStream_tbPNSt15iterator_traitsISE_E10value_typeEPNSK_ISF_E10value_typeEPSG_NS1_7vsmem_tEENKUlT_SE_SF_SG_E_clIS8_S8_S9_S9_EESD_ST_SE_SF_SG_EUlST_E_NS1_11comp_targetILNS1_3genE0ELNS1_11target_archE4294967295ELNS1_3gpuE0ELNS1_3repE0EEENS1_48merge_mergepath_partition_config_static_selectorELNS0_4arch9wavefront6targetE1EEEvSF_
    .private_segment_fixed_size: 0
    .sgpr_count:     4
    .sgpr_spill_count: 0
    .symbol:         _ZN7rocprim17ROCPRIM_400000_NS6detail17trampoline_kernelINS0_14default_configENS1_38merge_sort_block_merge_config_selectorIcNS0_10empty_typeEEEZZNS1_27merge_sort_block_merge_implIS3_PcPS5_jNS1_19radix_merge_compareILb0ELb1EcNS0_19identity_decomposerEEEEE10hipError_tT0_T1_T2_jT3_P12ihipStream_tbPNSt15iterator_traitsISE_E10value_typeEPNSK_ISF_E10value_typeEPSG_NS1_7vsmem_tEENKUlT_SE_SF_SG_E_clIS8_S8_S9_S9_EESD_ST_SE_SF_SG_EUlST_E_NS1_11comp_targetILNS1_3genE0ELNS1_11target_archE4294967295ELNS1_3gpuE0ELNS1_3repE0EEENS1_48merge_mergepath_partition_config_static_selectorELNS0_4arch9wavefront6targetE1EEEvSF_.kd
    .uniform_work_group_size: 1
    .uses_dynamic_stack: false
    .vgpr_count:     0
    .vgpr_spill_count: 0
    .wavefront_size: 64
  - .agpr_count:     0
    .args:
      - .offset:         0
        .size:           40
        .value_kind:     by_value
    .group_segment_fixed_size: 0
    .kernarg_segment_align: 8
    .kernarg_segment_size: 40
    .language:       OpenCL C
    .language_version:
      - 2
      - 0
    .max_flat_workgroup_size: 128
    .name:           _ZN7rocprim17ROCPRIM_400000_NS6detail17trampoline_kernelINS0_14default_configENS1_38merge_sort_block_merge_config_selectorIcNS0_10empty_typeEEEZZNS1_27merge_sort_block_merge_implIS3_PcPS5_jNS1_19radix_merge_compareILb0ELb1EcNS0_19identity_decomposerEEEEE10hipError_tT0_T1_T2_jT3_P12ihipStream_tbPNSt15iterator_traitsISE_E10value_typeEPNSK_ISF_E10value_typeEPSG_NS1_7vsmem_tEENKUlT_SE_SF_SG_E_clIS8_S8_S9_S9_EESD_ST_SE_SF_SG_EUlST_E_NS1_11comp_targetILNS1_3genE10ELNS1_11target_archE1201ELNS1_3gpuE5ELNS1_3repE0EEENS1_48merge_mergepath_partition_config_static_selectorELNS0_4arch9wavefront6targetE1EEEvSF_
    .private_segment_fixed_size: 0
    .sgpr_count:     4
    .sgpr_spill_count: 0
    .symbol:         _ZN7rocprim17ROCPRIM_400000_NS6detail17trampoline_kernelINS0_14default_configENS1_38merge_sort_block_merge_config_selectorIcNS0_10empty_typeEEEZZNS1_27merge_sort_block_merge_implIS3_PcPS5_jNS1_19radix_merge_compareILb0ELb1EcNS0_19identity_decomposerEEEEE10hipError_tT0_T1_T2_jT3_P12ihipStream_tbPNSt15iterator_traitsISE_E10value_typeEPNSK_ISF_E10value_typeEPSG_NS1_7vsmem_tEENKUlT_SE_SF_SG_E_clIS8_S8_S9_S9_EESD_ST_SE_SF_SG_EUlST_E_NS1_11comp_targetILNS1_3genE10ELNS1_11target_archE1201ELNS1_3gpuE5ELNS1_3repE0EEENS1_48merge_mergepath_partition_config_static_selectorELNS0_4arch9wavefront6targetE1EEEvSF_.kd
    .uniform_work_group_size: 1
    .uses_dynamic_stack: false
    .vgpr_count:     0
    .vgpr_spill_count: 0
    .wavefront_size: 64
  - .agpr_count:     0
    .args:
      - .offset:         0
        .size:           40
        .value_kind:     by_value
    .group_segment_fixed_size: 0
    .kernarg_segment_align: 8
    .kernarg_segment_size: 40
    .language:       OpenCL C
    .language_version:
      - 2
      - 0
    .max_flat_workgroup_size: 128
    .name:           _ZN7rocprim17ROCPRIM_400000_NS6detail17trampoline_kernelINS0_14default_configENS1_38merge_sort_block_merge_config_selectorIcNS0_10empty_typeEEEZZNS1_27merge_sort_block_merge_implIS3_PcPS5_jNS1_19radix_merge_compareILb0ELb1EcNS0_19identity_decomposerEEEEE10hipError_tT0_T1_T2_jT3_P12ihipStream_tbPNSt15iterator_traitsISE_E10value_typeEPNSK_ISF_E10value_typeEPSG_NS1_7vsmem_tEENKUlT_SE_SF_SG_E_clIS8_S8_S9_S9_EESD_ST_SE_SF_SG_EUlST_E_NS1_11comp_targetILNS1_3genE5ELNS1_11target_archE942ELNS1_3gpuE9ELNS1_3repE0EEENS1_48merge_mergepath_partition_config_static_selectorELNS0_4arch9wavefront6targetE1EEEvSF_
    .private_segment_fixed_size: 0
    .sgpr_count:     4
    .sgpr_spill_count: 0
    .symbol:         _ZN7rocprim17ROCPRIM_400000_NS6detail17trampoline_kernelINS0_14default_configENS1_38merge_sort_block_merge_config_selectorIcNS0_10empty_typeEEEZZNS1_27merge_sort_block_merge_implIS3_PcPS5_jNS1_19radix_merge_compareILb0ELb1EcNS0_19identity_decomposerEEEEE10hipError_tT0_T1_T2_jT3_P12ihipStream_tbPNSt15iterator_traitsISE_E10value_typeEPNSK_ISF_E10value_typeEPSG_NS1_7vsmem_tEENKUlT_SE_SF_SG_E_clIS8_S8_S9_S9_EESD_ST_SE_SF_SG_EUlST_E_NS1_11comp_targetILNS1_3genE5ELNS1_11target_archE942ELNS1_3gpuE9ELNS1_3repE0EEENS1_48merge_mergepath_partition_config_static_selectorELNS0_4arch9wavefront6targetE1EEEvSF_.kd
    .uniform_work_group_size: 1
    .uses_dynamic_stack: false
    .vgpr_count:     0
    .vgpr_spill_count: 0
    .wavefront_size: 64
  - .agpr_count:     0
    .args:
      - .offset:         0
        .size:           40
        .value_kind:     by_value
    .group_segment_fixed_size: 0
    .kernarg_segment_align: 8
    .kernarg_segment_size: 40
    .language:       OpenCL C
    .language_version:
      - 2
      - 0
    .max_flat_workgroup_size: 128
    .name:           _ZN7rocprim17ROCPRIM_400000_NS6detail17trampoline_kernelINS0_14default_configENS1_38merge_sort_block_merge_config_selectorIcNS0_10empty_typeEEEZZNS1_27merge_sort_block_merge_implIS3_PcPS5_jNS1_19radix_merge_compareILb0ELb1EcNS0_19identity_decomposerEEEEE10hipError_tT0_T1_T2_jT3_P12ihipStream_tbPNSt15iterator_traitsISE_E10value_typeEPNSK_ISF_E10value_typeEPSG_NS1_7vsmem_tEENKUlT_SE_SF_SG_E_clIS8_S8_S9_S9_EESD_ST_SE_SF_SG_EUlST_E_NS1_11comp_targetILNS1_3genE4ELNS1_11target_archE910ELNS1_3gpuE8ELNS1_3repE0EEENS1_48merge_mergepath_partition_config_static_selectorELNS0_4arch9wavefront6targetE1EEEvSF_
    .private_segment_fixed_size: 0
    .sgpr_count:     14
    .sgpr_spill_count: 0
    .symbol:         _ZN7rocprim17ROCPRIM_400000_NS6detail17trampoline_kernelINS0_14default_configENS1_38merge_sort_block_merge_config_selectorIcNS0_10empty_typeEEEZZNS1_27merge_sort_block_merge_implIS3_PcPS5_jNS1_19radix_merge_compareILb0ELb1EcNS0_19identity_decomposerEEEEE10hipError_tT0_T1_T2_jT3_P12ihipStream_tbPNSt15iterator_traitsISE_E10value_typeEPNSK_ISF_E10value_typeEPSG_NS1_7vsmem_tEENKUlT_SE_SF_SG_E_clIS8_S8_S9_S9_EESD_ST_SE_SF_SG_EUlST_E_NS1_11comp_targetILNS1_3genE4ELNS1_11target_archE910ELNS1_3gpuE8ELNS1_3repE0EEENS1_48merge_mergepath_partition_config_static_selectorELNS0_4arch9wavefront6targetE1EEEvSF_.kd
    .uniform_work_group_size: 1
    .uses_dynamic_stack: false
    .vgpr_count:     16
    .vgpr_spill_count: 0
    .wavefront_size: 64
  - .agpr_count:     0
    .args:
      - .offset:         0
        .size:           40
        .value_kind:     by_value
    .group_segment_fixed_size: 0
    .kernarg_segment_align: 8
    .kernarg_segment_size: 40
    .language:       OpenCL C
    .language_version:
      - 2
      - 0
    .max_flat_workgroup_size: 128
    .name:           _ZN7rocprim17ROCPRIM_400000_NS6detail17trampoline_kernelINS0_14default_configENS1_38merge_sort_block_merge_config_selectorIcNS0_10empty_typeEEEZZNS1_27merge_sort_block_merge_implIS3_PcPS5_jNS1_19radix_merge_compareILb0ELb1EcNS0_19identity_decomposerEEEEE10hipError_tT0_T1_T2_jT3_P12ihipStream_tbPNSt15iterator_traitsISE_E10value_typeEPNSK_ISF_E10value_typeEPSG_NS1_7vsmem_tEENKUlT_SE_SF_SG_E_clIS8_S8_S9_S9_EESD_ST_SE_SF_SG_EUlST_E_NS1_11comp_targetILNS1_3genE3ELNS1_11target_archE908ELNS1_3gpuE7ELNS1_3repE0EEENS1_48merge_mergepath_partition_config_static_selectorELNS0_4arch9wavefront6targetE1EEEvSF_
    .private_segment_fixed_size: 0
    .sgpr_count:     4
    .sgpr_spill_count: 0
    .symbol:         _ZN7rocprim17ROCPRIM_400000_NS6detail17trampoline_kernelINS0_14default_configENS1_38merge_sort_block_merge_config_selectorIcNS0_10empty_typeEEEZZNS1_27merge_sort_block_merge_implIS3_PcPS5_jNS1_19radix_merge_compareILb0ELb1EcNS0_19identity_decomposerEEEEE10hipError_tT0_T1_T2_jT3_P12ihipStream_tbPNSt15iterator_traitsISE_E10value_typeEPNSK_ISF_E10value_typeEPSG_NS1_7vsmem_tEENKUlT_SE_SF_SG_E_clIS8_S8_S9_S9_EESD_ST_SE_SF_SG_EUlST_E_NS1_11comp_targetILNS1_3genE3ELNS1_11target_archE908ELNS1_3gpuE7ELNS1_3repE0EEENS1_48merge_mergepath_partition_config_static_selectorELNS0_4arch9wavefront6targetE1EEEvSF_.kd
    .uniform_work_group_size: 1
    .uses_dynamic_stack: false
    .vgpr_count:     0
    .vgpr_spill_count: 0
    .wavefront_size: 64
  - .agpr_count:     0
    .args:
      - .offset:         0
        .size:           40
        .value_kind:     by_value
    .group_segment_fixed_size: 0
    .kernarg_segment_align: 8
    .kernarg_segment_size: 40
    .language:       OpenCL C
    .language_version:
      - 2
      - 0
    .max_flat_workgroup_size: 128
    .name:           _ZN7rocprim17ROCPRIM_400000_NS6detail17trampoline_kernelINS0_14default_configENS1_38merge_sort_block_merge_config_selectorIcNS0_10empty_typeEEEZZNS1_27merge_sort_block_merge_implIS3_PcPS5_jNS1_19radix_merge_compareILb0ELb1EcNS0_19identity_decomposerEEEEE10hipError_tT0_T1_T2_jT3_P12ihipStream_tbPNSt15iterator_traitsISE_E10value_typeEPNSK_ISF_E10value_typeEPSG_NS1_7vsmem_tEENKUlT_SE_SF_SG_E_clIS8_S8_S9_S9_EESD_ST_SE_SF_SG_EUlST_E_NS1_11comp_targetILNS1_3genE2ELNS1_11target_archE906ELNS1_3gpuE6ELNS1_3repE0EEENS1_48merge_mergepath_partition_config_static_selectorELNS0_4arch9wavefront6targetE1EEEvSF_
    .private_segment_fixed_size: 0
    .sgpr_count:     4
    .sgpr_spill_count: 0
    .symbol:         _ZN7rocprim17ROCPRIM_400000_NS6detail17trampoline_kernelINS0_14default_configENS1_38merge_sort_block_merge_config_selectorIcNS0_10empty_typeEEEZZNS1_27merge_sort_block_merge_implIS3_PcPS5_jNS1_19radix_merge_compareILb0ELb1EcNS0_19identity_decomposerEEEEE10hipError_tT0_T1_T2_jT3_P12ihipStream_tbPNSt15iterator_traitsISE_E10value_typeEPNSK_ISF_E10value_typeEPSG_NS1_7vsmem_tEENKUlT_SE_SF_SG_E_clIS8_S8_S9_S9_EESD_ST_SE_SF_SG_EUlST_E_NS1_11comp_targetILNS1_3genE2ELNS1_11target_archE906ELNS1_3gpuE6ELNS1_3repE0EEENS1_48merge_mergepath_partition_config_static_selectorELNS0_4arch9wavefront6targetE1EEEvSF_.kd
    .uniform_work_group_size: 1
    .uses_dynamic_stack: false
    .vgpr_count:     0
    .vgpr_spill_count: 0
    .wavefront_size: 64
  - .agpr_count:     0
    .args:
      - .offset:         0
        .size:           40
        .value_kind:     by_value
    .group_segment_fixed_size: 0
    .kernarg_segment_align: 8
    .kernarg_segment_size: 40
    .language:       OpenCL C
    .language_version:
      - 2
      - 0
    .max_flat_workgroup_size: 128
    .name:           _ZN7rocprim17ROCPRIM_400000_NS6detail17trampoline_kernelINS0_14default_configENS1_38merge_sort_block_merge_config_selectorIcNS0_10empty_typeEEEZZNS1_27merge_sort_block_merge_implIS3_PcPS5_jNS1_19radix_merge_compareILb0ELb1EcNS0_19identity_decomposerEEEEE10hipError_tT0_T1_T2_jT3_P12ihipStream_tbPNSt15iterator_traitsISE_E10value_typeEPNSK_ISF_E10value_typeEPSG_NS1_7vsmem_tEENKUlT_SE_SF_SG_E_clIS8_S8_S9_S9_EESD_ST_SE_SF_SG_EUlST_E_NS1_11comp_targetILNS1_3genE9ELNS1_11target_archE1100ELNS1_3gpuE3ELNS1_3repE0EEENS1_48merge_mergepath_partition_config_static_selectorELNS0_4arch9wavefront6targetE1EEEvSF_
    .private_segment_fixed_size: 0
    .sgpr_count:     4
    .sgpr_spill_count: 0
    .symbol:         _ZN7rocprim17ROCPRIM_400000_NS6detail17trampoline_kernelINS0_14default_configENS1_38merge_sort_block_merge_config_selectorIcNS0_10empty_typeEEEZZNS1_27merge_sort_block_merge_implIS3_PcPS5_jNS1_19radix_merge_compareILb0ELb1EcNS0_19identity_decomposerEEEEE10hipError_tT0_T1_T2_jT3_P12ihipStream_tbPNSt15iterator_traitsISE_E10value_typeEPNSK_ISF_E10value_typeEPSG_NS1_7vsmem_tEENKUlT_SE_SF_SG_E_clIS8_S8_S9_S9_EESD_ST_SE_SF_SG_EUlST_E_NS1_11comp_targetILNS1_3genE9ELNS1_11target_archE1100ELNS1_3gpuE3ELNS1_3repE0EEENS1_48merge_mergepath_partition_config_static_selectorELNS0_4arch9wavefront6targetE1EEEvSF_.kd
    .uniform_work_group_size: 1
    .uses_dynamic_stack: false
    .vgpr_count:     0
    .vgpr_spill_count: 0
    .wavefront_size: 64
  - .agpr_count:     0
    .args:
      - .offset:         0
        .size:           40
        .value_kind:     by_value
    .group_segment_fixed_size: 0
    .kernarg_segment_align: 8
    .kernarg_segment_size: 40
    .language:       OpenCL C
    .language_version:
      - 2
      - 0
    .max_flat_workgroup_size: 128
    .name:           _ZN7rocprim17ROCPRIM_400000_NS6detail17trampoline_kernelINS0_14default_configENS1_38merge_sort_block_merge_config_selectorIcNS0_10empty_typeEEEZZNS1_27merge_sort_block_merge_implIS3_PcPS5_jNS1_19radix_merge_compareILb0ELb1EcNS0_19identity_decomposerEEEEE10hipError_tT0_T1_T2_jT3_P12ihipStream_tbPNSt15iterator_traitsISE_E10value_typeEPNSK_ISF_E10value_typeEPSG_NS1_7vsmem_tEENKUlT_SE_SF_SG_E_clIS8_S8_S9_S9_EESD_ST_SE_SF_SG_EUlST_E_NS1_11comp_targetILNS1_3genE8ELNS1_11target_archE1030ELNS1_3gpuE2ELNS1_3repE0EEENS1_48merge_mergepath_partition_config_static_selectorELNS0_4arch9wavefront6targetE1EEEvSF_
    .private_segment_fixed_size: 0
    .sgpr_count:     4
    .sgpr_spill_count: 0
    .symbol:         _ZN7rocprim17ROCPRIM_400000_NS6detail17trampoline_kernelINS0_14default_configENS1_38merge_sort_block_merge_config_selectorIcNS0_10empty_typeEEEZZNS1_27merge_sort_block_merge_implIS3_PcPS5_jNS1_19radix_merge_compareILb0ELb1EcNS0_19identity_decomposerEEEEE10hipError_tT0_T1_T2_jT3_P12ihipStream_tbPNSt15iterator_traitsISE_E10value_typeEPNSK_ISF_E10value_typeEPSG_NS1_7vsmem_tEENKUlT_SE_SF_SG_E_clIS8_S8_S9_S9_EESD_ST_SE_SF_SG_EUlST_E_NS1_11comp_targetILNS1_3genE8ELNS1_11target_archE1030ELNS1_3gpuE2ELNS1_3repE0EEENS1_48merge_mergepath_partition_config_static_selectorELNS0_4arch9wavefront6targetE1EEEvSF_.kd
    .uniform_work_group_size: 1
    .uses_dynamic_stack: false
    .vgpr_count:     0
    .vgpr_spill_count: 0
    .wavefront_size: 64
  - .agpr_count:     0
    .args:
      - .offset:         0
        .size:           64
        .value_kind:     by_value
    .group_segment_fixed_size: 0
    .kernarg_segment_align: 8
    .kernarg_segment_size: 64
    .language:       OpenCL C
    .language_version:
      - 2
      - 0
    .max_flat_workgroup_size: 128
    .name:           _ZN7rocprim17ROCPRIM_400000_NS6detail17trampoline_kernelINS0_14default_configENS1_38merge_sort_block_merge_config_selectorIcNS0_10empty_typeEEEZZNS1_27merge_sort_block_merge_implIS3_PcPS5_jNS1_19radix_merge_compareILb0ELb1EcNS0_19identity_decomposerEEEEE10hipError_tT0_T1_T2_jT3_P12ihipStream_tbPNSt15iterator_traitsISE_E10value_typeEPNSK_ISF_E10value_typeEPSG_NS1_7vsmem_tEENKUlT_SE_SF_SG_E_clIS8_S8_S9_S9_EESD_ST_SE_SF_SG_EUlST_E0_NS1_11comp_targetILNS1_3genE0ELNS1_11target_archE4294967295ELNS1_3gpuE0ELNS1_3repE0EEENS1_38merge_mergepath_config_static_selectorELNS0_4arch9wavefront6targetE1EEEvSF_
    .private_segment_fixed_size: 0
    .sgpr_count:     4
    .sgpr_spill_count: 0
    .symbol:         _ZN7rocprim17ROCPRIM_400000_NS6detail17trampoline_kernelINS0_14default_configENS1_38merge_sort_block_merge_config_selectorIcNS0_10empty_typeEEEZZNS1_27merge_sort_block_merge_implIS3_PcPS5_jNS1_19radix_merge_compareILb0ELb1EcNS0_19identity_decomposerEEEEE10hipError_tT0_T1_T2_jT3_P12ihipStream_tbPNSt15iterator_traitsISE_E10value_typeEPNSK_ISF_E10value_typeEPSG_NS1_7vsmem_tEENKUlT_SE_SF_SG_E_clIS8_S8_S9_S9_EESD_ST_SE_SF_SG_EUlST_E0_NS1_11comp_targetILNS1_3genE0ELNS1_11target_archE4294967295ELNS1_3gpuE0ELNS1_3repE0EEENS1_38merge_mergepath_config_static_selectorELNS0_4arch9wavefront6targetE1EEEvSF_.kd
    .uniform_work_group_size: 1
    .uses_dynamic_stack: false
    .vgpr_count:     0
    .vgpr_spill_count: 0
    .wavefront_size: 64
  - .agpr_count:     0
    .args:
      - .offset:         0
        .size:           64
        .value_kind:     by_value
    .group_segment_fixed_size: 0
    .kernarg_segment_align: 8
    .kernarg_segment_size: 64
    .language:       OpenCL C
    .language_version:
      - 2
      - 0
    .max_flat_workgroup_size: 128
    .name:           _ZN7rocprim17ROCPRIM_400000_NS6detail17trampoline_kernelINS0_14default_configENS1_38merge_sort_block_merge_config_selectorIcNS0_10empty_typeEEEZZNS1_27merge_sort_block_merge_implIS3_PcPS5_jNS1_19radix_merge_compareILb0ELb1EcNS0_19identity_decomposerEEEEE10hipError_tT0_T1_T2_jT3_P12ihipStream_tbPNSt15iterator_traitsISE_E10value_typeEPNSK_ISF_E10value_typeEPSG_NS1_7vsmem_tEENKUlT_SE_SF_SG_E_clIS8_S8_S9_S9_EESD_ST_SE_SF_SG_EUlST_E0_NS1_11comp_targetILNS1_3genE10ELNS1_11target_archE1201ELNS1_3gpuE5ELNS1_3repE0EEENS1_38merge_mergepath_config_static_selectorELNS0_4arch9wavefront6targetE1EEEvSF_
    .private_segment_fixed_size: 0
    .sgpr_count:     4
    .sgpr_spill_count: 0
    .symbol:         _ZN7rocprim17ROCPRIM_400000_NS6detail17trampoline_kernelINS0_14default_configENS1_38merge_sort_block_merge_config_selectorIcNS0_10empty_typeEEEZZNS1_27merge_sort_block_merge_implIS3_PcPS5_jNS1_19radix_merge_compareILb0ELb1EcNS0_19identity_decomposerEEEEE10hipError_tT0_T1_T2_jT3_P12ihipStream_tbPNSt15iterator_traitsISE_E10value_typeEPNSK_ISF_E10value_typeEPSG_NS1_7vsmem_tEENKUlT_SE_SF_SG_E_clIS8_S8_S9_S9_EESD_ST_SE_SF_SG_EUlST_E0_NS1_11comp_targetILNS1_3genE10ELNS1_11target_archE1201ELNS1_3gpuE5ELNS1_3repE0EEENS1_38merge_mergepath_config_static_selectorELNS0_4arch9wavefront6targetE1EEEvSF_.kd
    .uniform_work_group_size: 1
    .uses_dynamic_stack: false
    .vgpr_count:     0
    .vgpr_spill_count: 0
    .wavefront_size: 64
  - .agpr_count:     0
    .args:
      - .offset:         0
        .size:           64
        .value_kind:     by_value
    .group_segment_fixed_size: 0
    .kernarg_segment_align: 8
    .kernarg_segment_size: 64
    .language:       OpenCL C
    .language_version:
      - 2
      - 0
    .max_flat_workgroup_size: 128
    .name:           _ZN7rocprim17ROCPRIM_400000_NS6detail17trampoline_kernelINS0_14default_configENS1_38merge_sort_block_merge_config_selectorIcNS0_10empty_typeEEEZZNS1_27merge_sort_block_merge_implIS3_PcPS5_jNS1_19radix_merge_compareILb0ELb1EcNS0_19identity_decomposerEEEEE10hipError_tT0_T1_T2_jT3_P12ihipStream_tbPNSt15iterator_traitsISE_E10value_typeEPNSK_ISF_E10value_typeEPSG_NS1_7vsmem_tEENKUlT_SE_SF_SG_E_clIS8_S8_S9_S9_EESD_ST_SE_SF_SG_EUlST_E0_NS1_11comp_targetILNS1_3genE5ELNS1_11target_archE942ELNS1_3gpuE9ELNS1_3repE0EEENS1_38merge_mergepath_config_static_selectorELNS0_4arch9wavefront6targetE1EEEvSF_
    .private_segment_fixed_size: 0
    .sgpr_count:     4
    .sgpr_spill_count: 0
    .symbol:         _ZN7rocprim17ROCPRIM_400000_NS6detail17trampoline_kernelINS0_14default_configENS1_38merge_sort_block_merge_config_selectorIcNS0_10empty_typeEEEZZNS1_27merge_sort_block_merge_implIS3_PcPS5_jNS1_19radix_merge_compareILb0ELb1EcNS0_19identity_decomposerEEEEE10hipError_tT0_T1_T2_jT3_P12ihipStream_tbPNSt15iterator_traitsISE_E10value_typeEPNSK_ISF_E10value_typeEPSG_NS1_7vsmem_tEENKUlT_SE_SF_SG_E_clIS8_S8_S9_S9_EESD_ST_SE_SF_SG_EUlST_E0_NS1_11comp_targetILNS1_3genE5ELNS1_11target_archE942ELNS1_3gpuE9ELNS1_3repE0EEENS1_38merge_mergepath_config_static_selectorELNS0_4arch9wavefront6targetE1EEEvSF_.kd
    .uniform_work_group_size: 1
    .uses_dynamic_stack: false
    .vgpr_count:     0
    .vgpr_spill_count: 0
    .wavefront_size: 64
  - .agpr_count:     0
    .args:
      - .offset:         0
        .size:           64
        .value_kind:     by_value
      - .offset:         64
        .size:           4
        .value_kind:     hidden_block_count_x
      - .offset:         68
        .size:           4
        .value_kind:     hidden_block_count_y
      - .offset:         72
        .size:           4
        .value_kind:     hidden_block_count_z
      - .offset:         76
        .size:           2
        .value_kind:     hidden_group_size_x
      - .offset:         78
        .size:           2
        .value_kind:     hidden_group_size_y
      - .offset:         80
        .size:           2
        .value_kind:     hidden_group_size_z
      - .offset:         82
        .size:           2
        .value_kind:     hidden_remainder_x
      - .offset:         84
        .size:           2
        .value_kind:     hidden_remainder_y
      - .offset:         86
        .size:           2
        .value_kind:     hidden_remainder_z
      - .offset:         104
        .size:           8
        .value_kind:     hidden_global_offset_x
      - .offset:         112
        .size:           8
        .value_kind:     hidden_global_offset_y
      - .offset:         120
        .size:           8
        .value_kind:     hidden_global_offset_z
      - .offset:         128
        .size:           2
        .value_kind:     hidden_grid_dims
    .group_segment_fixed_size: 1056
    .kernarg_segment_align: 8
    .kernarg_segment_size: 320
    .language:       OpenCL C
    .language_version:
      - 2
      - 0
    .max_flat_workgroup_size: 128
    .name:           _ZN7rocprim17ROCPRIM_400000_NS6detail17trampoline_kernelINS0_14default_configENS1_38merge_sort_block_merge_config_selectorIcNS0_10empty_typeEEEZZNS1_27merge_sort_block_merge_implIS3_PcPS5_jNS1_19radix_merge_compareILb0ELb1EcNS0_19identity_decomposerEEEEE10hipError_tT0_T1_T2_jT3_P12ihipStream_tbPNSt15iterator_traitsISE_E10value_typeEPNSK_ISF_E10value_typeEPSG_NS1_7vsmem_tEENKUlT_SE_SF_SG_E_clIS8_S8_S9_S9_EESD_ST_SE_SF_SG_EUlST_E0_NS1_11comp_targetILNS1_3genE4ELNS1_11target_archE910ELNS1_3gpuE8ELNS1_3repE0EEENS1_38merge_mergepath_config_static_selectorELNS0_4arch9wavefront6targetE1EEEvSF_
    .private_segment_fixed_size: 0
    .sgpr_count:     30
    .sgpr_spill_count: 0
    .symbol:         _ZN7rocprim17ROCPRIM_400000_NS6detail17trampoline_kernelINS0_14default_configENS1_38merge_sort_block_merge_config_selectorIcNS0_10empty_typeEEEZZNS1_27merge_sort_block_merge_implIS3_PcPS5_jNS1_19radix_merge_compareILb0ELb1EcNS0_19identity_decomposerEEEEE10hipError_tT0_T1_T2_jT3_P12ihipStream_tbPNSt15iterator_traitsISE_E10value_typeEPNSK_ISF_E10value_typeEPSG_NS1_7vsmem_tEENKUlT_SE_SF_SG_E_clIS8_S8_S9_S9_EESD_ST_SE_SF_SG_EUlST_E0_NS1_11comp_targetILNS1_3genE4ELNS1_11target_archE910ELNS1_3gpuE8ELNS1_3repE0EEENS1_38merge_mergepath_config_static_selectorELNS0_4arch9wavefront6targetE1EEEvSF_.kd
    .uniform_work_group_size: 1
    .uses_dynamic_stack: false
    .vgpr_count:     28
    .vgpr_spill_count: 0
    .wavefront_size: 64
  - .agpr_count:     0
    .args:
      - .offset:         0
        .size:           64
        .value_kind:     by_value
    .group_segment_fixed_size: 0
    .kernarg_segment_align: 8
    .kernarg_segment_size: 64
    .language:       OpenCL C
    .language_version:
      - 2
      - 0
    .max_flat_workgroup_size: 128
    .name:           _ZN7rocprim17ROCPRIM_400000_NS6detail17trampoline_kernelINS0_14default_configENS1_38merge_sort_block_merge_config_selectorIcNS0_10empty_typeEEEZZNS1_27merge_sort_block_merge_implIS3_PcPS5_jNS1_19radix_merge_compareILb0ELb1EcNS0_19identity_decomposerEEEEE10hipError_tT0_T1_T2_jT3_P12ihipStream_tbPNSt15iterator_traitsISE_E10value_typeEPNSK_ISF_E10value_typeEPSG_NS1_7vsmem_tEENKUlT_SE_SF_SG_E_clIS8_S8_S9_S9_EESD_ST_SE_SF_SG_EUlST_E0_NS1_11comp_targetILNS1_3genE3ELNS1_11target_archE908ELNS1_3gpuE7ELNS1_3repE0EEENS1_38merge_mergepath_config_static_selectorELNS0_4arch9wavefront6targetE1EEEvSF_
    .private_segment_fixed_size: 0
    .sgpr_count:     4
    .sgpr_spill_count: 0
    .symbol:         _ZN7rocprim17ROCPRIM_400000_NS6detail17trampoline_kernelINS0_14default_configENS1_38merge_sort_block_merge_config_selectorIcNS0_10empty_typeEEEZZNS1_27merge_sort_block_merge_implIS3_PcPS5_jNS1_19radix_merge_compareILb0ELb1EcNS0_19identity_decomposerEEEEE10hipError_tT0_T1_T2_jT3_P12ihipStream_tbPNSt15iterator_traitsISE_E10value_typeEPNSK_ISF_E10value_typeEPSG_NS1_7vsmem_tEENKUlT_SE_SF_SG_E_clIS8_S8_S9_S9_EESD_ST_SE_SF_SG_EUlST_E0_NS1_11comp_targetILNS1_3genE3ELNS1_11target_archE908ELNS1_3gpuE7ELNS1_3repE0EEENS1_38merge_mergepath_config_static_selectorELNS0_4arch9wavefront6targetE1EEEvSF_.kd
    .uniform_work_group_size: 1
    .uses_dynamic_stack: false
    .vgpr_count:     0
    .vgpr_spill_count: 0
    .wavefront_size: 64
  - .agpr_count:     0
    .args:
      - .offset:         0
        .size:           64
        .value_kind:     by_value
    .group_segment_fixed_size: 0
    .kernarg_segment_align: 8
    .kernarg_segment_size: 64
    .language:       OpenCL C
    .language_version:
      - 2
      - 0
    .max_flat_workgroup_size: 128
    .name:           _ZN7rocprim17ROCPRIM_400000_NS6detail17trampoline_kernelINS0_14default_configENS1_38merge_sort_block_merge_config_selectorIcNS0_10empty_typeEEEZZNS1_27merge_sort_block_merge_implIS3_PcPS5_jNS1_19radix_merge_compareILb0ELb1EcNS0_19identity_decomposerEEEEE10hipError_tT0_T1_T2_jT3_P12ihipStream_tbPNSt15iterator_traitsISE_E10value_typeEPNSK_ISF_E10value_typeEPSG_NS1_7vsmem_tEENKUlT_SE_SF_SG_E_clIS8_S8_S9_S9_EESD_ST_SE_SF_SG_EUlST_E0_NS1_11comp_targetILNS1_3genE2ELNS1_11target_archE906ELNS1_3gpuE6ELNS1_3repE0EEENS1_38merge_mergepath_config_static_selectorELNS0_4arch9wavefront6targetE1EEEvSF_
    .private_segment_fixed_size: 0
    .sgpr_count:     4
    .sgpr_spill_count: 0
    .symbol:         _ZN7rocprim17ROCPRIM_400000_NS6detail17trampoline_kernelINS0_14default_configENS1_38merge_sort_block_merge_config_selectorIcNS0_10empty_typeEEEZZNS1_27merge_sort_block_merge_implIS3_PcPS5_jNS1_19radix_merge_compareILb0ELb1EcNS0_19identity_decomposerEEEEE10hipError_tT0_T1_T2_jT3_P12ihipStream_tbPNSt15iterator_traitsISE_E10value_typeEPNSK_ISF_E10value_typeEPSG_NS1_7vsmem_tEENKUlT_SE_SF_SG_E_clIS8_S8_S9_S9_EESD_ST_SE_SF_SG_EUlST_E0_NS1_11comp_targetILNS1_3genE2ELNS1_11target_archE906ELNS1_3gpuE6ELNS1_3repE0EEENS1_38merge_mergepath_config_static_selectorELNS0_4arch9wavefront6targetE1EEEvSF_.kd
    .uniform_work_group_size: 1
    .uses_dynamic_stack: false
    .vgpr_count:     0
    .vgpr_spill_count: 0
    .wavefront_size: 64
  - .agpr_count:     0
    .args:
      - .offset:         0
        .size:           64
        .value_kind:     by_value
    .group_segment_fixed_size: 0
    .kernarg_segment_align: 8
    .kernarg_segment_size: 64
    .language:       OpenCL C
    .language_version:
      - 2
      - 0
    .max_flat_workgroup_size: 128
    .name:           _ZN7rocprim17ROCPRIM_400000_NS6detail17trampoline_kernelINS0_14default_configENS1_38merge_sort_block_merge_config_selectorIcNS0_10empty_typeEEEZZNS1_27merge_sort_block_merge_implIS3_PcPS5_jNS1_19radix_merge_compareILb0ELb1EcNS0_19identity_decomposerEEEEE10hipError_tT0_T1_T2_jT3_P12ihipStream_tbPNSt15iterator_traitsISE_E10value_typeEPNSK_ISF_E10value_typeEPSG_NS1_7vsmem_tEENKUlT_SE_SF_SG_E_clIS8_S8_S9_S9_EESD_ST_SE_SF_SG_EUlST_E0_NS1_11comp_targetILNS1_3genE9ELNS1_11target_archE1100ELNS1_3gpuE3ELNS1_3repE0EEENS1_38merge_mergepath_config_static_selectorELNS0_4arch9wavefront6targetE1EEEvSF_
    .private_segment_fixed_size: 0
    .sgpr_count:     4
    .sgpr_spill_count: 0
    .symbol:         _ZN7rocprim17ROCPRIM_400000_NS6detail17trampoline_kernelINS0_14default_configENS1_38merge_sort_block_merge_config_selectorIcNS0_10empty_typeEEEZZNS1_27merge_sort_block_merge_implIS3_PcPS5_jNS1_19radix_merge_compareILb0ELb1EcNS0_19identity_decomposerEEEEE10hipError_tT0_T1_T2_jT3_P12ihipStream_tbPNSt15iterator_traitsISE_E10value_typeEPNSK_ISF_E10value_typeEPSG_NS1_7vsmem_tEENKUlT_SE_SF_SG_E_clIS8_S8_S9_S9_EESD_ST_SE_SF_SG_EUlST_E0_NS1_11comp_targetILNS1_3genE9ELNS1_11target_archE1100ELNS1_3gpuE3ELNS1_3repE0EEENS1_38merge_mergepath_config_static_selectorELNS0_4arch9wavefront6targetE1EEEvSF_.kd
    .uniform_work_group_size: 1
    .uses_dynamic_stack: false
    .vgpr_count:     0
    .vgpr_spill_count: 0
    .wavefront_size: 64
  - .agpr_count:     0
    .args:
      - .offset:         0
        .size:           64
        .value_kind:     by_value
    .group_segment_fixed_size: 0
    .kernarg_segment_align: 8
    .kernarg_segment_size: 64
    .language:       OpenCL C
    .language_version:
      - 2
      - 0
    .max_flat_workgroup_size: 128
    .name:           _ZN7rocprim17ROCPRIM_400000_NS6detail17trampoline_kernelINS0_14default_configENS1_38merge_sort_block_merge_config_selectorIcNS0_10empty_typeEEEZZNS1_27merge_sort_block_merge_implIS3_PcPS5_jNS1_19radix_merge_compareILb0ELb1EcNS0_19identity_decomposerEEEEE10hipError_tT0_T1_T2_jT3_P12ihipStream_tbPNSt15iterator_traitsISE_E10value_typeEPNSK_ISF_E10value_typeEPSG_NS1_7vsmem_tEENKUlT_SE_SF_SG_E_clIS8_S8_S9_S9_EESD_ST_SE_SF_SG_EUlST_E0_NS1_11comp_targetILNS1_3genE8ELNS1_11target_archE1030ELNS1_3gpuE2ELNS1_3repE0EEENS1_38merge_mergepath_config_static_selectorELNS0_4arch9wavefront6targetE1EEEvSF_
    .private_segment_fixed_size: 0
    .sgpr_count:     4
    .sgpr_spill_count: 0
    .symbol:         _ZN7rocprim17ROCPRIM_400000_NS6detail17trampoline_kernelINS0_14default_configENS1_38merge_sort_block_merge_config_selectorIcNS0_10empty_typeEEEZZNS1_27merge_sort_block_merge_implIS3_PcPS5_jNS1_19radix_merge_compareILb0ELb1EcNS0_19identity_decomposerEEEEE10hipError_tT0_T1_T2_jT3_P12ihipStream_tbPNSt15iterator_traitsISE_E10value_typeEPNSK_ISF_E10value_typeEPSG_NS1_7vsmem_tEENKUlT_SE_SF_SG_E_clIS8_S8_S9_S9_EESD_ST_SE_SF_SG_EUlST_E0_NS1_11comp_targetILNS1_3genE8ELNS1_11target_archE1030ELNS1_3gpuE2ELNS1_3repE0EEENS1_38merge_mergepath_config_static_selectorELNS0_4arch9wavefront6targetE1EEEvSF_.kd
    .uniform_work_group_size: 1
    .uses_dynamic_stack: false
    .vgpr_count:     0
    .vgpr_spill_count: 0
    .wavefront_size: 64
  - .agpr_count:     0
    .args:
      - .offset:         0
        .size:           48
        .value_kind:     by_value
    .group_segment_fixed_size: 0
    .kernarg_segment_align: 8
    .kernarg_segment_size: 48
    .language:       OpenCL C
    .language_version:
      - 2
      - 0
    .max_flat_workgroup_size: 256
    .name:           _ZN7rocprim17ROCPRIM_400000_NS6detail17trampoline_kernelINS0_14default_configENS1_38merge_sort_block_merge_config_selectorIcNS0_10empty_typeEEEZZNS1_27merge_sort_block_merge_implIS3_PcPS5_jNS1_19radix_merge_compareILb0ELb1EcNS0_19identity_decomposerEEEEE10hipError_tT0_T1_T2_jT3_P12ihipStream_tbPNSt15iterator_traitsISE_E10value_typeEPNSK_ISF_E10value_typeEPSG_NS1_7vsmem_tEENKUlT_SE_SF_SG_E_clIS8_S8_S9_S9_EESD_ST_SE_SF_SG_EUlST_E1_NS1_11comp_targetILNS1_3genE0ELNS1_11target_archE4294967295ELNS1_3gpuE0ELNS1_3repE0EEENS1_36merge_oddeven_config_static_selectorELNS0_4arch9wavefront6targetE1EEEvSF_
    .private_segment_fixed_size: 0
    .sgpr_count:     4
    .sgpr_spill_count: 0
    .symbol:         _ZN7rocprim17ROCPRIM_400000_NS6detail17trampoline_kernelINS0_14default_configENS1_38merge_sort_block_merge_config_selectorIcNS0_10empty_typeEEEZZNS1_27merge_sort_block_merge_implIS3_PcPS5_jNS1_19radix_merge_compareILb0ELb1EcNS0_19identity_decomposerEEEEE10hipError_tT0_T1_T2_jT3_P12ihipStream_tbPNSt15iterator_traitsISE_E10value_typeEPNSK_ISF_E10value_typeEPSG_NS1_7vsmem_tEENKUlT_SE_SF_SG_E_clIS8_S8_S9_S9_EESD_ST_SE_SF_SG_EUlST_E1_NS1_11comp_targetILNS1_3genE0ELNS1_11target_archE4294967295ELNS1_3gpuE0ELNS1_3repE0EEENS1_36merge_oddeven_config_static_selectorELNS0_4arch9wavefront6targetE1EEEvSF_.kd
    .uniform_work_group_size: 1
    .uses_dynamic_stack: false
    .vgpr_count:     0
    .vgpr_spill_count: 0
    .wavefront_size: 64
  - .agpr_count:     0
    .args:
      - .offset:         0
        .size:           48
        .value_kind:     by_value
    .group_segment_fixed_size: 0
    .kernarg_segment_align: 8
    .kernarg_segment_size: 48
    .language:       OpenCL C
    .language_version:
      - 2
      - 0
    .max_flat_workgroup_size: 256
    .name:           _ZN7rocprim17ROCPRIM_400000_NS6detail17trampoline_kernelINS0_14default_configENS1_38merge_sort_block_merge_config_selectorIcNS0_10empty_typeEEEZZNS1_27merge_sort_block_merge_implIS3_PcPS5_jNS1_19radix_merge_compareILb0ELb1EcNS0_19identity_decomposerEEEEE10hipError_tT0_T1_T2_jT3_P12ihipStream_tbPNSt15iterator_traitsISE_E10value_typeEPNSK_ISF_E10value_typeEPSG_NS1_7vsmem_tEENKUlT_SE_SF_SG_E_clIS8_S8_S9_S9_EESD_ST_SE_SF_SG_EUlST_E1_NS1_11comp_targetILNS1_3genE10ELNS1_11target_archE1201ELNS1_3gpuE5ELNS1_3repE0EEENS1_36merge_oddeven_config_static_selectorELNS0_4arch9wavefront6targetE1EEEvSF_
    .private_segment_fixed_size: 0
    .sgpr_count:     4
    .sgpr_spill_count: 0
    .symbol:         _ZN7rocprim17ROCPRIM_400000_NS6detail17trampoline_kernelINS0_14default_configENS1_38merge_sort_block_merge_config_selectorIcNS0_10empty_typeEEEZZNS1_27merge_sort_block_merge_implIS3_PcPS5_jNS1_19radix_merge_compareILb0ELb1EcNS0_19identity_decomposerEEEEE10hipError_tT0_T1_T2_jT3_P12ihipStream_tbPNSt15iterator_traitsISE_E10value_typeEPNSK_ISF_E10value_typeEPSG_NS1_7vsmem_tEENKUlT_SE_SF_SG_E_clIS8_S8_S9_S9_EESD_ST_SE_SF_SG_EUlST_E1_NS1_11comp_targetILNS1_3genE10ELNS1_11target_archE1201ELNS1_3gpuE5ELNS1_3repE0EEENS1_36merge_oddeven_config_static_selectorELNS0_4arch9wavefront6targetE1EEEvSF_.kd
    .uniform_work_group_size: 1
    .uses_dynamic_stack: false
    .vgpr_count:     0
    .vgpr_spill_count: 0
    .wavefront_size: 64
  - .agpr_count:     0
    .args:
      - .offset:         0
        .size:           48
        .value_kind:     by_value
    .group_segment_fixed_size: 0
    .kernarg_segment_align: 8
    .kernarg_segment_size: 48
    .language:       OpenCL C
    .language_version:
      - 2
      - 0
    .max_flat_workgroup_size: 256
    .name:           _ZN7rocprim17ROCPRIM_400000_NS6detail17trampoline_kernelINS0_14default_configENS1_38merge_sort_block_merge_config_selectorIcNS0_10empty_typeEEEZZNS1_27merge_sort_block_merge_implIS3_PcPS5_jNS1_19radix_merge_compareILb0ELb1EcNS0_19identity_decomposerEEEEE10hipError_tT0_T1_T2_jT3_P12ihipStream_tbPNSt15iterator_traitsISE_E10value_typeEPNSK_ISF_E10value_typeEPSG_NS1_7vsmem_tEENKUlT_SE_SF_SG_E_clIS8_S8_S9_S9_EESD_ST_SE_SF_SG_EUlST_E1_NS1_11comp_targetILNS1_3genE5ELNS1_11target_archE942ELNS1_3gpuE9ELNS1_3repE0EEENS1_36merge_oddeven_config_static_selectorELNS0_4arch9wavefront6targetE1EEEvSF_
    .private_segment_fixed_size: 0
    .sgpr_count:     4
    .sgpr_spill_count: 0
    .symbol:         _ZN7rocprim17ROCPRIM_400000_NS6detail17trampoline_kernelINS0_14default_configENS1_38merge_sort_block_merge_config_selectorIcNS0_10empty_typeEEEZZNS1_27merge_sort_block_merge_implIS3_PcPS5_jNS1_19radix_merge_compareILb0ELb1EcNS0_19identity_decomposerEEEEE10hipError_tT0_T1_T2_jT3_P12ihipStream_tbPNSt15iterator_traitsISE_E10value_typeEPNSK_ISF_E10value_typeEPSG_NS1_7vsmem_tEENKUlT_SE_SF_SG_E_clIS8_S8_S9_S9_EESD_ST_SE_SF_SG_EUlST_E1_NS1_11comp_targetILNS1_3genE5ELNS1_11target_archE942ELNS1_3gpuE9ELNS1_3repE0EEENS1_36merge_oddeven_config_static_selectorELNS0_4arch9wavefront6targetE1EEEvSF_.kd
    .uniform_work_group_size: 1
    .uses_dynamic_stack: false
    .vgpr_count:     0
    .vgpr_spill_count: 0
    .wavefront_size: 64
  - .agpr_count:     0
    .args:
      - .offset:         0
        .size:           48
        .value_kind:     by_value
    .group_segment_fixed_size: 0
    .kernarg_segment_align: 8
    .kernarg_segment_size: 48
    .language:       OpenCL C
    .language_version:
      - 2
      - 0
    .max_flat_workgroup_size: 256
    .name:           _ZN7rocprim17ROCPRIM_400000_NS6detail17trampoline_kernelINS0_14default_configENS1_38merge_sort_block_merge_config_selectorIcNS0_10empty_typeEEEZZNS1_27merge_sort_block_merge_implIS3_PcPS5_jNS1_19radix_merge_compareILb0ELb1EcNS0_19identity_decomposerEEEEE10hipError_tT0_T1_T2_jT3_P12ihipStream_tbPNSt15iterator_traitsISE_E10value_typeEPNSK_ISF_E10value_typeEPSG_NS1_7vsmem_tEENKUlT_SE_SF_SG_E_clIS8_S8_S9_S9_EESD_ST_SE_SF_SG_EUlST_E1_NS1_11comp_targetILNS1_3genE4ELNS1_11target_archE910ELNS1_3gpuE8ELNS1_3repE0EEENS1_36merge_oddeven_config_static_selectorELNS0_4arch9wavefront6targetE1EEEvSF_
    .private_segment_fixed_size: 0
    .sgpr_count:     26
    .sgpr_spill_count: 0
    .symbol:         _ZN7rocprim17ROCPRIM_400000_NS6detail17trampoline_kernelINS0_14default_configENS1_38merge_sort_block_merge_config_selectorIcNS0_10empty_typeEEEZZNS1_27merge_sort_block_merge_implIS3_PcPS5_jNS1_19radix_merge_compareILb0ELb1EcNS0_19identity_decomposerEEEEE10hipError_tT0_T1_T2_jT3_P12ihipStream_tbPNSt15iterator_traitsISE_E10value_typeEPNSK_ISF_E10value_typeEPSG_NS1_7vsmem_tEENKUlT_SE_SF_SG_E_clIS8_S8_S9_S9_EESD_ST_SE_SF_SG_EUlST_E1_NS1_11comp_targetILNS1_3genE4ELNS1_11target_archE910ELNS1_3gpuE8ELNS1_3repE0EEENS1_36merge_oddeven_config_static_selectorELNS0_4arch9wavefront6targetE1EEEvSF_.kd
    .uniform_work_group_size: 1
    .uses_dynamic_stack: false
    .vgpr_count:     9
    .vgpr_spill_count: 0
    .wavefront_size: 64
  - .agpr_count:     0
    .args:
      - .offset:         0
        .size:           48
        .value_kind:     by_value
    .group_segment_fixed_size: 0
    .kernarg_segment_align: 8
    .kernarg_segment_size: 48
    .language:       OpenCL C
    .language_version:
      - 2
      - 0
    .max_flat_workgroup_size: 256
    .name:           _ZN7rocprim17ROCPRIM_400000_NS6detail17trampoline_kernelINS0_14default_configENS1_38merge_sort_block_merge_config_selectorIcNS0_10empty_typeEEEZZNS1_27merge_sort_block_merge_implIS3_PcPS5_jNS1_19radix_merge_compareILb0ELb1EcNS0_19identity_decomposerEEEEE10hipError_tT0_T1_T2_jT3_P12ihipStream_tbPNSt15iterator_traitsISE_E10value_typeEPNSK_ISF_E10value_typeEPSG_NS1_7vsmem_tEENKUlT_SE_SF_SG_E_clIS8_S8_S9_S9_EESD_ST_SE_SF_SG_EUlST_E1_NS1_11comp_targetILNS1_3genE3ELNS1_11target_archE908ELNS1_3gpuE7ELNS1_3repE0EEENS1_36merge_oddeven_config_static_selectorELNS0_4arch9wavefront6targetE1EEEvSF_
    .private_segment_fixed_size: 0
    .sgpr_count:     4
    .sgpr_spill_count: 0
    .symbol:         _ZN7rocprim17ROCPRIM_400000_NS6detail17trampoline_kernelINS0_14default_configENS1_38merge_sort_block_merge_config_selectorIcNS0_10empty_typeEEEZZNS1_27merge_sort_block_merge_implIS3_PcPS5_jNS1_19radix_merge_compareILb0ELb1EcNS0_19identity_decomposerEEEEE10hipError_tT0_T1_T2_jT3_P12ihipStream_tbPNSt15iterator_traitsISE_E10value_typeEPNSK_ISF_E10value_typeEPSG_NS1_7vsmem_tEENKUlT_SE_SF_SG_E_clIS8_S8_S9_S9_EESD_ST_SE_SF_SG_EUlST_E1_NS1_11comp_targetILNS1_3genE3ELNS1_11target_archE908ELNS1_3gpuE7ELNS1_3repE0EEENS1_36merge_oddeven_config_static_selectorELNS0_4arch9wavefront6targetE1EEEvSF_.kd
    .uniform_work_group_size: 1
    .uses_dynamic_stack: false
    .vgpr_count:     0
    .vgpr_spill_count: 0
    .wavefront_size: 64
  - .agpr_count:     0
    .args:
      - .offset:         0
        .size:           48
        .value_kind:     by_value
    .group_segment_fixed_size: 0
    .kernarg_segment_align: 8
    .kernarg_segment_size: 48
    .language:       OpenCL C
    .language_version:
      - 2
      - 0
    .max_flat_workgroup_size: 256
    .name:           _ZN7rocprim17ROCPRIM_400000_NS6detail17trampoline_kernelINS0_14default_configENS1_38merge_sort_block_merge_config_selectorIcNS0_10empty_typeEEEZZNS1_27merge_sort_block_merge_implIS3_PcPS5_jNS1_19radix_merge_compareILb0ELb1EcNS0_19identity_decomposerEEEEE10hipError_tT0_T1_T2_jT3_P12ihipStream_tbPNSt15iterator_traitsISE_E10value_typeEPNSK_ISF_E10value_typeEPSG_NS1_7vsmem_tEENKUlT_SE_SF_SG_E_clIS8_S8_S9_S9_EESD_ST_SE_SF_SG_EUlST_E1_NS1_11comp_targetILNS1_3genE2ELNS1_11target_archE906ELNS1_3gpuE6ELNS1_3repE0EEENS1_36merge_oddeven_config_static_selectorELNS0_4arch9wavefront6targetE1EEEvSF_
    .private_segment_fixed_size: 0
    .sgpr_count:     4
    .sgpr_spill_count: 0
    .symbol:         _ZN7rocprim17ROCPRIM_400000_NS6detail17trampoline_kernelINS0_14default_configENS1_38merge_sort_block_merge_config_selectorIcNS0_10empty_typeEEEZZNS1_27merge_sort_block_merge_implIS3_PcPS5_jNS1_19radix_merge_compareILb0ELb1EcNS0_19identity_decomposerEEEEE10hipError_tT0_T1_T2_jT3_P12ihipStream_tbPNSt15iterator_traitsISE_E10value_typeEPNSK_ISF_E10value_typeEPSG_NS1_7vsmem_tEENKUlT_SE_SF_SG_E_clIS8_S8_S9_S9_EESD_ST_SE_SF_SG_EUlST_E1_NS1_11comp_targetILNS1_3genE2ELNS1_11target_archE906ELNS1_3gpuE6ELNS1_3repE0EEENS1_36merge_oddeven_config_static_selectorELNS0_4arch9wavefront6targetE1EEEvSF_.kd
    .uniform_work_group_size: 1
    .uses_dynamic_stack: false
    .vgpr_count:     0
    .vgpr_spill_count: 0
    .wavefront_size: 64
  - .agpr_count:     0
    .args:
      - .offset:         0
        .size:           48
        .value_kind:     by_value
    .group_segment_fixed_size: 0
    .kernarg_segment_align: 8
    .kernarg_segment_size: 48
    .language:       OpenCL C
    .language_version:
      - 2
      - 0
    .max_flat_workgroup_size: 256
    .name:           _ZN7rocprim17ROCPRIM_400000_NS6detail17trampoline_kernelINS0_14default_configENS1_38merge_sort_block_merge_config_selectorIcNS0_10empty_typeEEEZZNS1_27merge_sort_block_merge_implIS3_PcPS5_jNS1_19radix_merge_compareILb0ELb1EcNS0_19identity_decomposerEEEEE10hipError_tT0_T1_T2_jT3_P12ihipStream_tbPNSt15iterator_traitsISE_E10value_typeEPNSK_ISF_E10value_typeEPSG_NS1_7vsmem_tEENKUlT_SE_SF_SG_E_clIS8_S8_S9_S9_EESD_ST_SE_SF_SG_EUlST_E1_NS1_11comp_targetILNS1_3genE9ELNS1_11target_archE1100ELNS1_3gpuE3ELNS1_3repE0EEENS1_36merge_oddeven_config_static_selectorELNS0_4arch9wavefront6targetE1EEEvSF_
    .private_segment_fixed_size: 0
    .sgpr_count:     4
    .sgpr_spill_count: 0
    .symbol:         _ZN7rocprim17ROCPRIM_400000_NS6detail17trampoline_kernelINS0_14default_configENS1_38merge_sort_block_merge_config_selectorIcNS0_10empty_typeEEEZZNS1_27merge_sort_block_merge_implIS3_PcPS5_jNS1_19radix_merge_compareILb0ELb1EcNS0_19identity_decomposerEEEEE10hipError_tT0_T1_T2_jT3_P12ihipStream_tbPNSt15iterator_traitsISE_E10value_typeEPNSK_ISF_E10value_typeEPSG_NS1_7vsmem_tEENKUlT_SE_SF_SG_E_clIS8_S8_S9_S9_EESD_ST_SE_SF_SG_EUlST_E1_NS1_11comp_targetILNS1_3genE9ELNS1_11target_archE1100ELNS1_3gpuE3ELNS1_3repE0EEENS1_36merge_oddeven_config_static_selectorELNS0_4arch9wavefront6targetE1EEEvSF_.kd
    .uniform_work_group_size: 1
    .uses_dynamic_stack: false
    .vgpr_count:     0
    .vgpr_spill_count: 0
    .wavefront_size: 64
  - .agpr_count:     0
    .args:
      - .offset:         0
        .size:           48
        .value_kind:     by_value
    .group_segment_fixed_size: 0
    .kernarg_segment_align: 8
    .kernarg_segment_size: 48
    .language:       OpenCL C
    .language_version:
      - 2
      - 0
    .max_flat_workgroup_size: 256
    .name:           _ZN7rocprim17ROCPRIM_400000_NS6detail17trampoline_kernelINS0_14default_configENS1_38merge_sort_block_merge_config_selectorIcNS0_10empty_typeEEEZZNS1_27merge_sort_block_merge_implIS3_PcPS5_jNS1_19radix_merge_compareILb0ELb1EcNS0_19identity_decomposerEEEEE10hipError_tT0_T1_T2_jT3_P12ihipStream_tbPNSt15iterator_traitsISE_E10value_typeEPNSK_ISF_E10value_typeEPSG_NS1_7vsmem_tEENKUlT_SE_SF_SG_E_clIS8_S8_S9_S9_EESD_ST_SE_SF_SG_EUlST_E1_NS1_11comp_targetILNS1_3genE8ELNS1_11target_archE1030ELNS1_3gpuE2ELNS1_3repE0EEENS1_36merge_oddeven_config_static_selectorELNS0_4arch9wavefront6targetE1EEEvSF_
    .private_segment_fixed_size: 0
    .sgpr_count:     4
    .sgpr_spill_count: 0
    .symbol:         _ZN7rocprim17ROCPRIM_400000_NS6detail17trampoline_kernelINS0_14default_configENS1_38merge_sort_block_merge_config_selectorIcNS0_10empty_typeEEEZZNS1_27merge_sort_block_merge_implIS3_PcPS5_jNS1_19radix_merge_compareILb0ELb1EcNS0_19identity_decomposerEEEEE10hipError_tT0_T1_T2_jT3_P12ihipStream_tbPNSt15iterator_traitsISE_E10value_typeEPNSK_ISF_E10value_typeEPSG_NS1_7vsmem_tEENKUlT_SE_SF_SG_E_clIS8_S8_S9_S9_EESD_ST_SE_SF_SG_EUlST_E1_NS1_11comp_targetILNS1_3genE8ELNS1_11target_archE1030ELNS1_3gpuE2ELNS1_3repE0EEENS1_36merge_oddeven_config_static_selectorELNS0_4arch9wavefront6targetE1EEEvSF_.kd
    .uniform_work_group_size: 1
    .uses_dynamic_stack: false
    .vgpr_count:     0
    .vgpr_spill_count: 0
    .wavefront_size: 64
  - .agpr_count:     0
    .args:
      - .offset:         0
        .size:           48
        .value_kind:     by_value
    .group_segment_fixed_size: 0
    .kernarg_segment_align: 8
    .kernarg_segment_size: 48
    .language:       OpenCL C
    .language_version:
      - 2
      - 0
    .max_flat_workgroup_size: 1024
    .name:           _ZN7rocprim17ROCPRIM_400000_NS6detail17trampoline_kernelINS0_14default_configENS1_35radix_sort_onesweep_config_selectorIcNS0_10empty_typeEEEZNS1_34radix_sort_onesweep_global_offsetsIS3_Lb0EPcPS5_mNS0_19identity_decomposerEEE10hipError_tT1_T2_PT3_SE_jT4_jjP12ihipStream_tbEUlT_E_NS1_11comp_targetILNS1_3genE0ELNS1_11target_archE4294967295ELNS1_3gpuE0ELNS1_3repE0EEENS1_52radix_sort_onesweep_histogram_config_static_selectorELNS0_4arch9wavefront6targetE1EEEvSC_
    .private_segment_fixed_size: 0
    .sgpr_count:     4
    .sgpr_spill_count: 0
    .symbol:         _ZN7rocprim17ROCPRIM_400000_NS6detail17trampoline_kernelINS0_14default_configENS1_35radix_sort_onesweep_config_selectorIcNS0_10empty_typeEEEZNS1_34radix_sort_onesweep_global_offsetsIS3_Lb0EPcPS5_mNS0_19identity_decomposerEEE10hipError_tT1_T2_PT3_SE_jT4_jjP12ihipStream_tbEUlT_E_NS1_11comp_targetILNS1_3genE0ELNS1_11target_archE4294967295ELNS1_3gpuE0ELNS1_3repE0EEENS1_52radix_sort_onesweep_histogram_config_static_selectorELNS0_4arch9wavefront6targetE1EEEvSC_.kd
    .uniform_work_group_size: 1
    .uses_dynamic_stack: false
    .vgpr_count:     0
    .vgpr_spill_count: 0
    .wavefront_size: 64
  - .agpr_count:     0
    .args:
      - .offset:         0
        .size:           48
        .value_kind:     by_value
    .group_segment_fixed_size: 0
    .kernarg_segment_align: 8
    .kernarg_segment_size: 48
    .language:       OpenCL C
    .language_version:
      - 2
      - 0
    .max_flat_workgroup_size: 1024
    .name:           _ZN7rocprim17ROCPRIM_400000_NS6detail17trampoline_kernelINS0_14default_configENS1_35radix_sort_onesweep_config_selectorIcNS0_10empty_typeEEEZNS1_34radix_sort_onesweep_global_offsetsIS3_Lb0EPcPS5_mNS0_19identity_decomposerEEE10hipError_tT1_T2_PT3_SE_jT4_jjP12ihipStream_tbEUlT_E_NS1_11comp_targetILNS1_3genE6ELNS1_11target_archE950ELNS1_3gpuE13ELNS1_3repE0EEENS1_52radix_sort_onesweep_histogram_config_static_selectorELNS0_4arch9wavefront6targetE1EEEvSC_
    .private_segment_fixed_size: 0
    .sgpr_count:     4
    .sgpr_spill_count: 0
    .symbol:         _ZN7rocprim17ROCPRIM_400000_NS6detail17trampoline_kernelINS0_14default_configENS1_35radix_sort_onesweep_config_selectorIcNS0_10empty_typeEEEZNS1_34radix_sort_onesweep_global_offsetsIS3_Lb0EPcPS5_mNS0_19identity_decomposerEEE10hipError_tT1_T2_PT3_SE_jT4_jjP12ihipStream_tbEUlT_E_NS1_11comp_targetILNS1_3genE6ELNS1_11target_archE950ELNS1_3gpuE13ELNS1_3repE0EEENS1_52radix_sort_onesweep_histogram_config_static_selectorELNS0_4arch9wavefront6targetE1EEEvSC_.kd
    .uniform_work_group_size: 1
    .uses_dynamic_stack: false
    .vgpr_count:     0
    .vgpr_spill_count: 0
    .wavefront_size: 64
  - .agpr_count:     0
    .args:
      - .offset:         0
        .size:           48
        .value_kind:     by_value
    .group_segment_fixed_size: 0
    .kernarg_segment_align: 8
    .kernarg_segment_size: 48
    .language:       OpenCL C
    .language_version:
      - 2
      - 0
    .max_flat_workgroup_size: 1024
    .name:           _ZN7rocprim17ROCPRIM_400000_NS6detail17trampoline_kernelINS0_14default_configENS1_35radix_sort_onesweep_config_selectorIcNS0_10empty_typeEEEZNS1_34radix_sort_onesweep_global_offsetsIS3_Lb0EPcPS5_mNS0_19identity_decomposerEEE10hipError_tT1_T2_PT3_SE_jT4_jjP12ihipStream_tbEUlT_E_NS1_11comp_targetILNS1_3genE5ELNS1_11target_archE942ELNS1_3gpuE9ELNS1_3repE0EEENS1_52radix_sort_onesweep_histogram_config_static_selectorELNS0_4arch9wavefront6targetE1EEEvSC_
    .private_segment_fixed_size: 0
    .sgpr_count:     4
    .sgpr_spill_count: 0
    .symbol:         _ZN7rocprim17ROCPRIM_400000_NS6detail17trampoline_kernelINS0_14default_configENS1_35radix_sort_onesweep_config_selectorIcNS0_10empty_typeEEEZNS1_34radix_sort_onesweep_global_offsetsIS3_Lb0EPcPS5_mNS0_19identity_decomposerEEE10hipError_tT1_T2_PT3_SE_jT4_jjP12ihipStream_tbEUlT_E_NS1_11comp_targetILNS1_3genE5ELNS1_11target_archE942ELNS1_3gpuE9ELNS1_3repE0EEENS1_52radix_sort_onesweep_histogram_config_static_selectorELNS0_4arch9wavefront6targetE1EEEvSC_.kd
    .uniform_work_group_size: 1
    .uses_dynamic_stack: false
    .vgpr_count:     0
    .vgpr_spill_count: 0
    .wavefront_size: 64
  - .agpr_count:     0
    .args:
      - .offset:         0
        .size:           48
        .value_kind:     by_value
    .group_segment_fixed_size: 0
    .kernarg_segment_align: 8
    .kernarg_segment_size: 48
    .language:       OpenCL C
    .language_version:
      - 2
      - 0
    .max_flat_workgroup_size: 512
    .name:           _ZN7rocprim17ROCPRIM_400000_NS6detail17trampoline_kernelINS0_14default_configENS1_35radix_sort_onesweep_config_selectorIcNS0_10empty_typeEEEZNS1_34radix_sort_onesweep_global_offsetsIS3_Lb0EPcPS5_mNS0_19identity_decomposerEEE10hipError_tT1_T2_PT3_SE_jT4_jjP12ihipStream_tbEUlT_E_NS1_11comp_targetILNS1_3genE2ELNS1_11target_archE906ELNS1_3gpuE6ELNS1_3repE0EEENS1_52radix_sort_onesweep_histogram_config_static_selectorELNS0_4arch9wavefront6targetE1EEEvSC_
    .private_segment_fixed_size: 0
    .sgpr_count:     4
    .sgpr_spill_count: 0
    .symbol:         _ZN7rocprim17ROCPRIM_400000_NS6detail17trampoline_kernelINS0_14default_configENS1_35radix_sort_onesweep_config_selectorIcNS0_10empty_typeEEEZNS1_34radix_sort_onesweep_global_offsetsIS3_Lb0EPcPS5_mNS0_19identity_decomposerEEE10hipError_tT1_T2_PT3_SE_jT4_jjP12ihipStream_tbEUlT_E_NS1_11comp_targetILNS1_3genE2ELNS1_11target_archE906ELNS1_3gpuE6ELNS1_3repE0EEENS1_52radix_sort_onesweep_histogram_config_static_selectorELNS0_4arch9wavefront6targetE1EEEvSC_.kd
    .uniform_work_group_size: 1
    .uses_dynamic_stack: false
    .vgpr_count:     0
    .vgpr_spill_count: 0
    .wavefront_size: 64
  - .agpr_count:     0
    .args:
      - .offset:         0
        .size:           48
        .value_kind:     by_value
    .group_segment_fixed_size: 512
    .kernarg_segment_align: 8
    .kernarg_segment_size: 48
    .language:       OpenCL C
    .language_version:
      - 2
      - 0
    .max_flat_workgroup_size: 512
    .name:           _ZN7rocprim17ROCPRIM_400000_NS6detail17trampoline_kernelINS0_14default_configENS1_35radix_sort_onesweep_config_selectorIcNS0_10empty_typeEEEZNS1_34radix_sort_onesweep_global_offsetsIS3_Lb0EPcPS5_mNS0_19identity_decomposerEEE10hipError_tT1_T2_PT3_SE_jT4_jjP12ihipStream_tbEUlT_E_NS1_11comp_targetILNS1_3genE4ELNS1_11target_archE910ELNS1_3gpuE8ELNS1_3repE0EEENS1_52radix_sort_onesweep_histogram_config_static_selectorELNS0_4arch9wavefront6targetE1EEEvSC_
    .private_segment_fixed_size: 0
    .sgpr_count:     22
    .sgpr_spill_count: 0
    .symbol:         _ZN7rocprim17ROCPRIM_400000_NS6detail17trampoline_kernelINS0_14default_configENS1_35radix_sort_onesweep_config_selectorIcNS0_10empty_typeEEEZNS1_34radix_sort_onesweep_global_offsetsIS3_Lb0EPcPS5_mNS0_19identity_decomposerEEE10hipError_tT1_T2_PT3_SE_jT4_jjP12ihipStream_tbEUlT_E_NS1_11comp_targetILNS1_3genE4ELNS1_11target_archE910ELNS1_3gpuE8ELNS1_3repE0EEENS1_52radix_sort_onesweep_histogram_config_static_selectorELNS0_4arch9wavefront6targetE1EEEvSC_.kd
    .uniform_work_group_size: 1
    .uses_dynamic_stack: false
    .vgpr_count:     47
    .vgpr_spill_count: 0
    .wavefront_size: 64
  - .agpr_count:     0
    .args:
      - .offset:         0
        .size:           48
        .value_kind:     by_value
    .group_segment_fixed_size: 0
    .kernarg_segment_align: 8
    .kernarg_segment_size: 48
    .language:       OpenCL C
    .language_version:
      - 2
      - 0
    .max_flat_workgroup_size: 1024
    .name:           _ZN7rocprim17ROCPRIM_400000_NS6detail17trampoline_kernelINS0_14default_configENS1_35radix_sort_onesweep_config_selectorIcNS0_10empty_typeEEEZNS1_34radix_sort_onesweep_global_offsetsIS3_Lb0EPcPS5_mNS0_19identity_decomposerEEE10hipError_tT1_T2_PT3_SE_jT4_jjP12ihipStream_tbEUlT_E_NS1_11comp_targetILNS1_3genE3ELNS1_11target_archE908ELNS1_3gpuE7ELNS1_3repE0EEENS1_52radix_sort_onesweep_histogram_config_static_selectorELNS0_4arch9wavefront6targetE1EEEvSC_
    .private_segment_fixed_size: 0
    .sgpr_count:     4
    .sgpr_spill_count: 0
    .symbol:         _ZN7rocprim17ROCPRIM_400000_NS6detail17trampoline_kernelINS0_14default_configENS1_35radix_sort_onesweep_config_selectorIcNS0_10empty_typeEEEZNS1_34radix_sort_onesweep_global_offsetsIS3_Lb0EPcPS5_mNS0_19identity_decomposerEEE10hipError_tT1_T2_PT3_SE_jT4_jjP12ihipStream_tbEUlT_E_NS1_11comp_targetILNS1_3genE3ELNS1_11target_archE908ELNS1_3gpuE7ELNS1_3repE0EEENS1_52radix_sort_onesweep_histogram_config_static_selectorELNS0_4arch9wavefront6targetE1EEEvSC_.kd
    .uniform_work_group_size: 1
    .uses_dynamic_stack: false
    .vgpr_count:     0
    .vgpr_spill_count: 0
    .wavefront_size: 64
  - .agpr_count:     0
    .args:
      - .offset:         0
        .size:           48
        .value_kind:     by_value
    .group_segment_fixed_size: 0
    .kernarg_segment_align: 8
    .kernarg_segment_size: 48
    .language:       OpenCL C
    .language_version:
      - 2
      - 0
    .max_flat_workgroup_size: 256
    .name:           _ZN7rocprim17ROCPRIM_400000_NS6detail17trampoline_kernelINS0_14default_configENS1_35radix_sort_onesweep_config_selectorIcNS0_10empty_typeEEEZNS1_34radix_sort_onesweep_global_offsetsIS3_Lb0EPcPS5_mNS0_19identity_decomposerEEE10hipError_tT1_T2_PT3_SE_jT4_jjP12ihipStream_tbEUlT_E_NS1_11comp_targetILNS1_3genE10ELNS1_11target_archE1201ELNS1_3gpuE5ELNS1_3repE0EEENS1_52radix_sort_onesweep_histogram_config_static_selectorELNS0_4arch9wavefront6targetE1EEEvSC_
    .private_segment_fixed_size: 0
    .sgpr_count:     4
    .sgpr_spill_count: 0
    .symbol:         _ZN7rocprim17ROCPRIM_400000_NS6detail17trampoline_kernelINS0_14default_configENS1_35radix_sort_onesweep_config_selectorIcNS0_10empty_typeEEEZNS1_34radix_sort_onesweep_global_offsetsIS3_Lb0EPcPS5_mNS0_19identity_decomposerEEE10hipError_tT1_T2_PT3_SE_jT4_jjP12ihipStream_tbEUlT_E_NS1_11comp_targetILNS1_3genE10ELNS1_11target_archE1201ELNS1_3gpuE5ELNS1_3repE0EEENS1_52radix_sort_onesweep_histogram_config_static_selectorELNS0_4arch9wavefront6targetE1EEEvSC_.kd
    .uniform_work_group_size: 1
    .uses_dynamic_stack: false
    .vgpr_count:     0
    .vgpr_spill_count: 0
    .wavefront_size: 64
  - .agpr_count:     0
    .args:
      - .offset:         0
        .size:           48
        .value_kind:     by_value
    .group_segment_fixed_size: 0
    .kernarg_segment_align: 8
    .kernarg_segment_size: 48
    .language:       OpenCL C
    .language_version:
      - 2
      - 0
    .max_flat_workgroup_size: 256
    .name:           _ZN7rocprim17ROCPRIM_400000_NS6detail17trampoline_kernelINS0_14default_configENS1_35radix_sort_onesweep_config_selectorIcNS0_10empty_typeEEEZNS1_34radix_sort_onesweep_global_offsetsIS3_Lb0EPcPS5_mNS0_19identity_decomposerEEE10hipError_tT1_T2_PT3_SE_jT4_jjP12ihipStream_tbEUlT_E_NS1_11comp_targetILNS1_3genE9ELNS1_11target_archE1100ELNS1_3gpuE3ELNS1_3repE0EEENS1_52radix_sort_onesweep_histogram_config_static_selectorELNS0_4arch9wavefront6targetE1EEEvSC_
    .private_segment_fixed_size: 0
    .sgpr_count:     4
    .sgpr_spill_count: 0
    .symbol:         _ZN7rocprim17ROCPRIM_400000_NS6detail17trampoline_kernelINS0_14default_configENS1_35radix_sort_onesweep_config_selectorIcNS0_10empty_typeEEEZNS1_34radix_sort_onesweep_global_offsetsIS3_Lb0EPcPS5_mNS0_19identity_decomposerEEE10hipError_tT1_T2_PT3_SE_jT4_jjP12ihipStream_tbEUlT_E_NS1_11comp_targetILNS1_3genE9ELNS1_11target_archE1100ELNS1_3gpuE3ELNS1_3repE0EEENS1_52radix_sort_onesweep_histogram_config_static_selectorELNS0_4arch9wavefront6targetE1EEEvSC_.kd
    .uniform_work_group_size: 1
    .uses_dynamic_stack: false
    .vgpr_count:     0
    .vgpr_spill_count: 0
    .wavefront_size: 64
  - .agpr_count:     0
    .args:
      - .offset:         0
        .size:           48
        .value_kind:     by_value
    .group_segment_fixed_size: 0
    .kernarg_segment_align: 8
    .kernarg_segment_size: 48
    .language:       OpenCL C
    .language_version:
      - 2
      - 0
    .max_flat_workgroup_size: 256
    .name:           _ZN7rocprim17ROCPRIM_400000_NS6detail17trampoline_kernelINS0_14default_configENS1_35radix_sort_onesweep_config_selectorIcNS0_10empty_typeEEEZNS1_34radix_sort_onesweep_global_offsetsIS3_Lb0EPcPS5_mNS0_19identity_decomposerEEE10hipError_tT1_T2_PT3_SE_jT4_jjP12ihipStream_tbEUlT_E_NS1_11comp_targetILNS1_3genE8ELNS1_11target_archE1030ELNS1_3gpuE2ELNS1_3repE0EEENS1_52radix_sort_onesweep_histogram_config_static_selectorELNS0_4arch9wavefront6targetE1EEEvSC_
    .private_segment_fixed_size: 0
    .sgpr_count:     4
    .sgpr_spill_count: 0
    .symbol:         _ZN7rocprim17ROCPRIM_400000_NS6detail17trampoline_kernelINS0_14default_configENS1_35radix_sort_onesweep_config_selectorIcNS0_10empty_typeEEEZNS1_34radix_sort_onesweep_global_offsetsIS3_Lb0EPcPS5_mNS0_19identity_decomposerEEE10hipError_tT1_T2_PT3_SE_jT4_jjP12ihipStream_tbEUlT_E_NS1_11comp_targetILNS1_3genE8ELNS1_11target_archE1030ELNS1_3gpuE2ELNS1_3repE0EEENS1_52radix_sort_onesweep_histogram_config_static_selectorELNS0_4arch9wavefront6targetE1EEEvSC_.kd
    .uniform_work_group_size: 1
    .uses_dynamic_stack: false
    .vgpr_count:     0
    .vgpr_spill_count: 0
    .wavefront_size: 64
  - .agpr_count:     0
    .args:
      - .address_space:  global
        .offset:         0
        .size:           8
        .value_kind:     global_buffer
    .group_segment_fixed_size: 0
    .kernarg_segment_align: 8
    .kernarg_segment_size: 8
    .language:       OpenCL C
    .language_version:
      - 2
      - 0
    .max_flat_workgroup_size: 1024
    .name:           _ZN7rocprim17ROCPRIM_400000_NS6detail17trampoline_kernelINS0_14default_configENS1_35radix_sort_onesweep_config_selectorIcNS0_10empty_typeEEEZNS1_34radix_sort_onesweep_global_offsetsIS3_Lb0EPcPS5_mNS0_19identity_decomposerEEE10hipError_tT1_T2_PT3_SE_jT4_jjP12ihipStream_tbEUlT_E0_NS1_11comp_targetILNS1_3genE0ELNS1_11target_archE4294967295ELNS1_3gpuE0ELNS1_3repE0EEENS1_52radix_sort_onesweep_histogram_config_static_selectorELNS0_4arch9wavefront6targetE1EEEvSC_
    .private_segment_fixed_size: 0
    .sgpr_count:     4
    .sgpr_spill_count: 0
    .symbol:         _ZN7rocprim17ROCPRIM_400000_NS6detail17trampoline_kernelINS0_14default_configENS1_35radix_sort_onesweep_config_selectorIcNS0_10empty_typeEEEZNS1_34radix_sort_onesweep_global_offsetsIS3_Lb0EPcPS5_mNS0_19identity_decomposerEEE10hipError_tT1_T2_PT3_SE_jT4_jjP12ihipStream_tbEUlT_E0_NS1_11comp_targetILNS1_3genE0ELNS1_11target_archE4294967295ELNS1_3gpuE0ELNS1_3repE0EEENS1_52radix_sort_onesweep_histogram_config_static_selectorELNS0_4arch9wavefront6targetE1EEEvSC_.kd
    .uniform_work_group_size: 1
    .uses_dynamic_stack: false
    .vgpr_count:     0
    .vgpr_spill_count: 0
    .wavefront_size: 64
  - .agpr_count:     0
    .args:
      - .address_space:  global
        .offset:         0
        .size:           8
        .value_kind:     global_buffer
    .group_segment_fixed_size: 0
    .kernarg_segment_align: 8
    .kernarg_segment_size: 8
    .language:       OpenCL C
    .language_version:
      - 2
      - 0
    .max_flat_workgroup_size: 1024
    .name:           _ZN7rocprim17ROCPRIM_400000_NS6detail17trampoline_kernelINS0_14default_configENS1_35radix_sort_onesweep_config_selectorIcNS0_10empty_typeEEEZNS1_34radix_sort_onesweep_global_offsetsIS3_Lb0EPcPS5_mNS0_19identity_decomposerEEE10hipError_tT1_T2_PT3_SE_jT4_jjP12ihipStream_tbEUlT_E0_NS1_11comp_targetILNS1_3genE6ELNS1_11target_archE950ELNS1_3gpuE13ELNS1_3repE0EEENS1_52radix_sort_onesweep_histogram_config_static_selectorELNS0_4arch9wavefront6targetE1EEEvSC_
    .private_segment_fixed_size: 0
    .sgpr_count:     4
    .sgpr_spill_count: 0
    .symbol:         _ZN7rocprim17ROCPRIM_400000_NS6detail17trampoline_kernelINS0_14default_configENS1_35radix_sort_onesweep_config_selectorIcNS0_10empty_typeEEEZNS1_34radix_sort_onesweep_global_offsetsIS3_Lb0EPcPS5_mNS0_19identity_decomposerEEE10hipError_tT1_T2_PT3_SE_jT4_jjP12ihipStream_tbEUlT_E0_NS1_11comp_targetILNS1_3genE6ELNS1_11target_archE950ELNS1_3gpuE13ELNS1_3repE0EEENS1_52radix_sort_onesweep_histogram_config_static_selectorELNS0_4arch9wavefront6targetE1EEEvSC_.kd
    .uniform_work_group_size: 1
    .uses_dynamic_stack: false
    .vgpr_count:     0
    .vgpr_spill_count: 0
    .wavefront_size: 64
  - .agpr_count:     0
    .args:
      - .address_space:  global
        .offset:         0
        .size:           8
        .value_kind:     global_buffer
    .group_segment_fixed_size: 0
    .kernarg_segment_align: 8
    .kernarg_segment_size: 8
    .language:       OpenCL C
    .language_version:
      - 2
      - 0
    .max_flat_workgroup_size: 1024
    .name:           _ZN7rocprim17ROCPRIM_400000_NS6detail17trampoline_kernelINS0_14default_configENS1_35radix_sort_onesweep_config_selectorIcNS0_10empty_typeEEEZNS1_34radix_sort_onesweep_global_offsetsIS3_Lb0EPcPS5_mNS0_19identity_decomposerEEE10hipError_tT1_T2_PT3_SE_jT4_jjP12ihipStream_tbEUlT_E0_NS1_11comp_targetILNS1_3genE5ELNS1_11target_archE942ELNS1_3gpuE9ELNS1_3repE0EEENS1_52radix_sort_onesweep_histogram_config_static_selectorELNS0_4arch9wavefront6targetE1EEEvSC_
    .private_segment_fixed_size: 0
    .sgpr_count:     4
    .sgpr_spill_count: 0
    .symbol:         _ZN7rocprim17ROCPRIM_400000_NS6detail17trampoline_kernelINS0_14default_configENS1_35radix_sort_onesweep_config_selectorIcNS0_10empty_typeEEEZNS1_34radix_sort_onesweep_global_offsetsIS3_Lb0EPcPS5_mNS0_19identity_decomposerEEE10hipError_tT1_T2_PT3_SE_jT4_jjP12ihipStream_tbEUlT_E0_NS1_11comp_targetILNS1_3genE5ELNS1_11target_archE942ELNS1_3gpuE9ELNS1_3repE0EEENS1_52radix_sort_onesweep_histogram_config_static_selectorELNS0_4arch9wavefront6targetE1EEEvSC_.kd
    .uniform_work_group_size: 1
    .uses_dynamic_stack: false
    .vgpr_count:     0
    .vgpr_spill_count: 0
    .wavefront_size: 64
  - .agpr_count:     0
    .args:
      - .address_space:  global
        .offset:         0
        .size:           8
        .value_kind:     global_buffer
    .group_segment_fixed_size: 0
    .kernarg_segment_align: 8
    .kernarg_segment_size: 8
    .language:       OpenCL C
    .language_version:
      - 2
      - 0
    .max_flat_workgroup_size: 512
    .name:           _ZN7rocprim17ROCPRIM_400000_NS6detail17trampoline_kernelINS0_14default_configENS1_35radix_sort_onesweep_config_selectorIcNS0_10empty_typeEEEZNS1_34radix_sort_onesweep_global_offsetsIS3_Lb0EPcPS5_mNS0_19identity_decomposerEEE10hipError_tT1_T2_PT3_SE_jT4_jjP12ihipStream_tbEUlT_E0_NS1_11comp_targetILNS1_3genE2ELNS1_11target_archE906ELNS1_3gpuE6ELNS1_3repE0EEENS1_52radix_sort_onesweep_histogram_config_static_selectorELNS0_4arch9wavefront6targetE1EEEvSC_
    .private_segment_fixed_size: 0
    .sgpr_count:     4
    .sgpr_spill_count: 0
    .symbol:         _ZN7rocprim17ROCPRIM_400000_NS6detail17trampoline_kernelINS0_14default_configENS1_35radix_sort_onesweep_config_selectorIcNS0_10empty_typeEEEZNS1_34radix_sort_onesweep_global_offsetsIS3_Lb0EPcPS5_mNS0_19identity_decomposerEEE10hipError_tT1_T2_PT3_SE_jT4_jjP12ihipStream_tbEUlT_E0_NS1_11comp_targetILNS1_3genE2ELNS1_11target_archE906ELNS1_3gpuE6ELNS1_3repE0EEENS1_52radix_sort_onesweep_histogram_config_static_selectorELNS0_4arch9wavefront6targetE1EEEvSC_.kd
    .uniform_work_group_size: 1
    .uses_dynamic_stack: false
    .vgpr_count:     0
    .vgpr_spill_count: 0
    .wavefront_size: 64
  - .agpr_count:     0
    .args:
      - .address_space:  global
        .offset:         0
        .size:           8
        .value_kind:     global_buffer
    .group_segment_fixed_size: 64
    .kernarg_segment_align: 8
    .kernarg_segment_size: 8
    .language:       OpenCL C
    .language_version:
      - 2
      - 0
    .max_flat_workgroup_size: 512
    .name:           _ZN7rocprim17ROCPRIM_400000_NS6detail17trampoline_kernelINS0_14default_configENS1_35radix_sort_onesweep_config_selectorIcNS0_10empty_typeEEEZNS1_34radix_sort_onesweep_global_offsetsIS3_Lb0EPcPS5_mNS0_19identity_decomposerEEE10hipError_tT1_T2_PT3_SE_jT4_jjP12ihipStream_tbEUlT_E0_NS1_11comp_targetILNS1_3genE4ELNS1_11target_archE910ELNS1_3gpuE8ELNS1_3repE0EEENS1_52radix_sort_onesweep_histogram_config_static_selectorELNS0_4arch9wavefront6targetE1EEEvSC_
    .private_segment_fixed_size: 0
    .sgpr_count:     16
    .sgpr_spill_count: 0
    .symbol:         _ZN7rocprim17ROCPRIM_400000_NS6detail17trampoline_kernelINS0_14default_configENS1_35radix_sort_onesweep_config_selectorIcNS0_10empty_typeEEEZNS1_34radix_sort_onesweep_global_offsetsIS3_Lb0EPcPS5_mNS0_19identity_decomposerEEE10hipError_tT1_T2_PT3_SE_jT4_jjP12ihipStream_tbEUlT_E0_NS1_11comp_targetILNS1_3genE4ELNS1_11target_archE910ELNS1_3gpuE8ELNS1_3repE0EEENS1_52radix_sort_onesweep_histogram_config_static_selectorELNS0_4arch9wavefront6targetE1EEEvSC_.kd
    .uniform_work_group_size: 1
    .uses_dynamic_stack: false
    .vgpr_count:     16
    .vgpr_spill_count: 0
    .wavefront_size: 64
  - .agpr_count:     0
    .args:
      - .address_space:  global
        .offset:         0
        .size:           8
        .value_kind:     global_buffer
    .group_segment_fixed_size: 0
    .kernarg_segment_align: 8
    .kernarg_segment_size: 8
    .language:       OpenCL C
    .language_version:
      - 2
      - 0
    .max_flat_workgroup_size: 1024
    .name:           _ZN7rocprim17ROCPRIM_400000_NS6detail17trampoline_kernelINS0_14default_configENS1_35radix_sort_onesweep_config_selectorIcNS0_10empty_typeEEEZNS1_34radix_sort_onesweep_global_offsetsIS3_Lb0EPcPS5_mNS0_19identity_decomposerEEE10hipError_tT1_T2_PT3_SE_jT4_jjP12ihipStream_tbEUlT_E0_NS1_11comp_targetILNS1_3genE3ELNS1_11target_archE908ELNS1_3gpuE7ELNS1_3repE0EEENS1_52radix_sort_onesweep_histogram_config_static_selectorELNS0_4arch9wavefront6targetE1EEEvSC_
    .private_segment_fixed_size: 0
    .sgpr_count:     4
    .sgpr_spill_count: 0
    .symbol:         _ZN7rocprim17ROCPRIM_400000_NS6detail17trampoline_kernelINS0_14default_configENS1_35radix_sort_onesweep_config_selectorIcNS0_10empty_typeEEEZNS1_34radix_sort_onesweep_global_offsetsIS3_Lb0EPcPS5_mNS0_19identity_decomposerEEE10hipError_tT1_T2_PT3_SE_jT4_jjP12ihipStream_tbEUlT_E0_NS1_11comp_targetILNS1_3genE3ELNS1_11target_archE908ELNS1_3gpuE7ELNS1_3repE0EEENS1_52radix_sort_onesweep_histogram_config_static_selectorELNS0_4arch9wavefront6targetE1EEEvSC_.kd
    .uniform_work_group_size: 1
    .uses_dynamic_stack: false
    .vgpr_count:     0
    .vgpr_spill_count: 0
    .wavefront_size: 64
  - .agpr_count:     0
    .args:
      - .address_space:  global
        .offset:         0
        .size:           8
        .value_kind:     global_buffer
    .group_segment_fixed_size: 0
    .kernarg_segment_align: 8
    .kernarg_segment_size: 8
    .language:       OpenCL C
    .language_version:
      - 2
      - 0
    .max_flat_workgroup_size: 256
    .name:           _ZN7rocprim17ROCPRIM_400000_NS6detail17trampoline_kernelINS0_14default_configENS1_35radix_sort_onesweep_config_selectorIcNS0_10empty_typeEEEZNS1_34radix_sort_onesweep_global_offsetsIS3_Lb0EPcPS5_mNS0_19identity_decomposerEEE10hipError_tT1_T2_PT3_SE_jT4_jjP12ihipStream_tbEUlT_E0_NS1_11comp_targetILNS1_3genE10ELNS1_11target_archE1201ELNS1_3gpuE5ELNS1_3repE0EEENS1_52radix_sort_onesweep_histogram_config_static_selectorELNS0_4arch9wavefront6targetE1EEEvSC_
    .private_segment_fixed_size: 0
    .sgpr_count:     4
    .sgpr_spill_count: 0
    .symbol:         _ZN7rocprim17ROCPRIM_400000_NS6detail17trampoline_kernelINS0_14default_configENS1_35radix_sort_onesweep_config_selectorIcNS0_10empty_typeEEEZNS1_34radix_sort_onesweep_global_offsetsIS3_Lb0EPcPS5_mNS0_19identity_decomposerEEE10hipError_tT1_T2_PT3_SE_jT4_jjP12ihipStream_tbEUlT_E0_NS1_11comp_targetILNS1_3genE10ELNS1_11target_archE1201ELNS1_3gpuE5ELNS1_3repE0EEENS1_52radix_sort_onesweep_histogram_config_static_selectorELNS0_4arch9wavefront6targetE1EEEvSC_.kd
    .uniform_work_group_size: 1
    .uses_dynamic_stack: false
    .vgpr_count:     0
    .vgpr_spill_count: 0
    .wavefront_size: 64
  - .agpr_count:     0
    .args:
      - .address_space:  global
        .offset:         0
        .size:           8
        .value_kind:     global_buffer
    .group_segment_fixed_size: 0
    .kernarg_segment_align: 8
    .kernarg_segment_size: 8
    .language:       OpenCL C
    .language_version:
      - 2
      - 0
    .max_flat_workgroup_size: 256
    .name:           _ZN7rocprim17ROCPRIM_400000_NS6detail17trampoline_kernelINS0_14default_configENS1_35radix_sort_onesweep_config_selectorIcNS0_10empty_typeEEEZNS1_34radix_sort_onesweep_global_offsetsIS3_Lb0EPcPS5_mNS0_19identity_decomposerEEE10hipError_tT1_T2_PT3_SE_jT4_jjP12ihipStream_tbEUlT_E0_NS1_11comp_targetILNS1_3genE9ELNS1_11target_archE1100ELNS1_3gpuE3ELNS1_3repE0EEENS1_52radix_sort_onesweep_histogram_config_static_selectorELNS0_4arch9wavefront6targetE1EEEvSC_
    .private_segment_fixed_size: 0
    .sgpr_count:     4
    .sgpr_spill_count: 0
    .symbol:         _ZN7rocprim17ROCPRIM_400000_NS6detail17trampoline_kernelINS0_14default_configENS1_35radix_sort_onesweep_config_selectorIcNS0_10empty_typeEEEZNS1_34radix_sort_onesweep_global_offsetsIS3_Lb0EPcPS5_mNS0_19identity_decomposerEEE10hipError_tT1_T2_PT3_SE_jT4_jjP12ihipStream_tbEUlT_E0_NS1_11comp_targetILNS1_3genE9ELNS1_11target_archE1100ELNS1_3gpuE3ELNS1_3repE0EEENS1_52radix_sort_onesweep_histogram_config_static_selectorELNS0_4arch9wavefront6targetE1EEEvSC_.kd
    .uniform_work_group_size: 1
    .uses_dynamic_stack: false
    .vgpr_count:     0
    .vgpr_spill_count: 0
    .wavefront_size: 64
  - .agpr_count:     0
    .args:
      - .address_space:  global
        .offset:         0
        .size:           8
        .value_kind:     global_buffer
    .group_segment_fixed_size: 0
    .kernarg_segment_align: 8
    .kernarg_segment_size: 8
    .language:       OpenCL C
    .language_version:
      - 2
      - 0
    .max_flat_workgroup_size: 256
    .name:           _ZN7rocprim17ROCPRIM_400000_NS6detail17trampoline_kernelINS0_14default_configENS1_35radix_sort_onesweep_config_selectorIcNS0_10empty_typeEEEZNS1_34radix_sort_onesweep_global_offsetsIS3_Lb0EPcPS5_mNS0_19identity_decomposerEEE10hipError_tT1_T2_PT3_SE_jT4_jjP12ihipStream_tbEUlT_E0_NS1_11comp_targetILNS1_3genE8ELNS1_11target_archE1030ELNS1_3gpuE2ELNS1_3repE0EEENS1_52radix_sort_onesweep_histogram_config_static_selectorELNS0_4arch9wavefront6targetE1EEEvSC_
    .private_segment_fixed_size: 0
    .sgpr_count:     4
    .sgpr_spill_count: 0
    .symbol:         _ZN7rocprim17ROCPRIM_400000_NS6detail17trampoline_kernelINS0_14default_configENS1_35radix_sort_onesweep_config_selectorIcNS0_10empty_typeEEEZNS1_34radix_sort_onesweep_global_offsetsIS3_Lb0EPcPS5_mNS0_19identity_decomposerEEE10hipError_tT1_T2_PT3_SE_jT4_jjP12ihipStream_tbEUlT_E0_NS1_11comp_targetILNS1_3genE8ELNS1_11target_archE1030ELNS1_3gpuE2ELNS1_3repE0EEENS1_52radix_sort_onesweep_histogram_config_static_selectorELNS0_4arch9wavefront6targetE1EEEvSC_.kd
    .uniform_work_group_size: 1
    .uses_dynamic_stack: false
    .vgpr_count:     0
    .vgpr_spill_count: 0
    .wavefront_size: 64
  - .agpr_count:     0
    .args:
      - .offset:         0
        .size:           88
        .value_kind:     by_value
    .group_segment_fixed_size: 0
    .kernarg_segment_align: 8
    .kernarg_segment_size: 88
    .language:       OpenCL C
    .language_version:
      - 2
      - 0
    .max_flat_workgroup_size: 1024
    .name:           _ZN7rocprim17ROCPRIM_400000_NS6detail17trampoline_kernelINS0_14default_configENS1_35radix_sort_onesweep_config_selectorIcNS0_10empty_typeEEEZZNS1_29radix_sort_onesweep_iterationIS3_Lb0EPcS8_PS5_S9_mNS0_19identity_decomposerENS1_16block_id_wrapperIjLb1EEEEE10hipError_tT1_PNSt15iterator_traitsISE_E10value_typeET2_T3_PNSF_ISK_E10value_typeET4_T5_PSP_SQ_PNS1_23onesweep_lookback_stateEbbT6_jjT7_P12ihipStream_tbENKUlT_T0_SE_SJ_E_clIS8_S8_S9_S9_EEDaSX_SY_SE_SJ_EUlSX_E_NS1_11comp_targetILNS1_3genE0ELNS1_11target_archE4294967295ELNS1_3gpuE0ELNS1_3repE0EEENS1_47radix_sort_onesweep_sort_config_static_selectorELNS0_4arch9wavefront6targetE1EEEvSE_
    .private_segment_fixed_size: 0
    .sgpr_count:     4
    .sgpr_spill_count: 0
    .symbol:         _ZN7rocprim17ROCPRIM_400000_NS6detail17trampoline_kernelINS0_14default_configENS1_35radix_sort_onesweep_config_selectorIcNS0_10empty_typeEEEZZNS1_29radix_sort_onesweep_iterationIS3_Lb0EPcS8_PS5_S9_mNS0_19identity_decomposerENS1_16block_id_wrapperIjLb1EEEEE10hipError_tT1_PNSt15iterator_traitsISE_E10value_typeET2_T3_PNSF_ISK_E10value_typeET4_T5_PSP_SQ_PNS1_23onesweep_lookback_stateEbbT6_jjT7_P12ihipStream_tbENKUlT_T0_SE_SJ_E_clIS8_S8_S9_S9_EEDaSX_SY_SE_SJ_EUlSX_E_NS1_11comp_targetILNS1_3genE0ELNS1_11target_archE4294967295ELNS1_3gpuE0ELNS1_3repE0EEENS1_47radix_sort_onesweep_sort_config_static_selectorELNS0_4arch9wavefront6targetE1EEEvSE_.kd
    .uniform_work_group_size: 1
    .uses_dynamic_stack: false
    .vgpr_count:     0
    .vgpr_spill_count: 0
    .wavefront_size: 64
  - .agpr_count:     0
    .args:
      - .offset:         0
        .size:           88
        .value_kind:     by_value
    .group_segment_fixed_size: 0
    .kernarg_segment_align: 8
    .kernarg_segment_size: 88
    .language:       OpenCL C
    .language_version:
      - 2
      - 0
    .max_flat_workgroup_size: 1024
    .name:           _ZN7rocprim17ROCPRIM_400000_NS6detail17trampoline_kernelINS0_14default_configENS1_35radix_sort_onesweep_config_selectorIcNS0_10empty_typeEEEZZNS1_29radix_sort_onesweep_iterationIS3_Lb0EPcS8_PS5_S9_mNS0_19identity_decomposerENS1_16block_id_wrapperIjLb1EEEEE10hipError_tT1_PNSt15iterator_traitsISE_E10value_typeET2_T3_PNSF_ISK_E10value_typeET4_T5_PSP_SQ_PNS1_23onesweep_lookback_stateEbbT6_jjT7_P12ihipStream_tbENKUlT_T0_SE_SJ_E_clIS8_S8_S9_S9_EEDaSX_SY_SE_SJ_EUlSX_E_NS1_11comp_targetILNS1_3genE6ELNS1_11target_archE950ELNS1_3gpuE13ELNS1_3repE0EEENS1_47radix_sort_onesweep_sort_config_static_selectorELNS0_4arch9wavefront6targetE1EEEvSE_
    .private_segment_fixed_size: 0
    .sgpr_count:     4
    .sgpr_spill_count: 0
    .symbol:         _ZN7rocprim17ROCPRIM_400000_NS6detail17trampoline_kernelINS0_14default_configENS1_35radix_sort_onesweep_config_selectorIcNS0_10empty_typeEEEZZNS1_29radix_sort_onesweep_iterationIS3_Lb0EPcS8_PS5_S9_mNS0_19identity_decomposerENS1_16block_id_wrapperIjLb1EEEEE10hipError_tT1_PNSt15iterator_traitsISE_E10value_typeET2_T3_PNSF_ISK_E10value_typeET4_T5_PSP_SQ_PNS1_23onesweep_lookback_stateEbbT6_jjT7_P12ihipStream_tbENKUlT_T0_SE_SJ_E_clIS8_S8_S9_S9_EEDaSX_SY_SE_SJ_EUlSX_E_NS1_11comp_targetILNS1_3genE6ELNS1_11target_archE950ELNS1_3gpuE13ELNS1_3repE0EEENS1_47radix_sort_onesweep_sort_config_static_selectorELNS0_4arch9wavefront6targetE1EEEvSE_.kd
    .uniform_work_group_size: 1
    .uses_dynamic_stack: false
    .vgpr_count:     0
    .vgpr_spill_count: 0
    .wavefront_size: 64
  - .agpr_count:     0
    .args:
      - .offset:         0
        .size:           88
        .value_kind:     by_value
    .group_segment_fixed_size: 0
    .kernarg_segment_align: 8
    .kernarg_segment_size: 88
    .language:       OpenCL C
    .language_version:
      - 2
      - 0
    .max_flat_workgroup_size: 1024
    .name:           _ZN7rocprim17ROCPRIM_400000_NS6detail17trampoline_kernelINS0_14default_configENS1_35radix_sort_onesweep_config_selectorIcNS0_10empty_typeEEEZZNS1_29radix_sort_onesweep_iterationIS3_Lb0EPcS8_PS5_S9_mNS0_19identity_decomposerENS1_16block_id_wrapperIjLb1EEEEE10hipError_tT1_PNSt15iterator_traitsISE_E10value_typeET2_T3_PNSF_ISK_E10value_typeET4_T5_PSP_SQ_PNS1_23onesweep_lookback_stateEbbT6_jjT7_P12ihipStream_tbENKUlT_T0_SE_SJ_E_clIS8_S8_S9_S9_EEDaSX_SY_SE_SJ_EUlSX_E_NS1_11comp_targetILNS1_3genE5ELNS1_11target_archE942ELNS1_3gpuE9ELNS1_3repE0EEENS1_47radix_sort_onesweep_sort_config_static_selectorELNS0_4arch9wavefront6targetE1EEEvSE_
    .private_segment_fixed_size: 0
    .sgpr_count:     4
    .sgpr_spill_count: 0
    .symbol:         _ZN7rocprim17ROCPRIM_400000_NS6detail17trampoline_kernelINS0_14default_configENS1_35radix_sort_onesweep_config_selectorIcNS0_10empty_typeEEEZZNS1_29radix_sort_onesweep_iterationIS3_Lb0EPcS8_PS5_S9_mNS0_19identity_decomposerENS1_16block_id_wrapperIjLb1EEEEE10hipError_tT1_PNSt15iterator_traitsISE_E10value_typeET2_T3_PNSF_ISK_E10value_typeET4_T5_PSP_SQ_PNS1_23onesweep_lookback_stateEbbT6_jjT7_P12ihipStream_tbENKUlT_T0_SE_SJ_E_clIS8_S8_S9_S9_EEDaSX_SY_SE_SJ_EUlSX_E_NS1_11comp_targetILNS1_3genE5ELNS1_11target_archE942ELNS1_3gpuE9ELNS1_3repE0EEENS1_47radix_sort_onesweep_sort_config_static_selectorELNS0_4arch9wavefront6targetE1EEEvSE_.kd
    .uniform_work_group_size: 1
    .uses_dynamic_stack: false
    .vgpr_count:     0
    .vgpr_spill_count: 0
    .wavefront_size: 64
  - .agpr_count:     0
    .args:
      - .offset:         0
        .size:           88
        .value_kind:     by_value
    .group_segment_fixed_size: 0
    .kernarg_segment_align: 8
    .kernarg_segment_size: 88
    .language:       OpenCL C
    .language_version:
      - 2
      - 0
    .max_flat_workgroup_size: 512
    .name:           _ZN7rocprim17ROCPRIM_400000_NS6detail17trampoline_kernelINS0_14default_configENS1_35radix_sort_onesweep_config_selectorIcNS0_10empty_typeEEEZZNS1_29radix_sort_onesweep_iterationIS3_Lb0EPcS8_PS5_S9_mNS0_19identity_decomposerENS1_16block_id_wrapperIjLb1EEEEE10hipError_tT1_PNSt15iterator_traitsISE_E10value_typeET2_T3_PNSF_ISK_E10value_typeET4_T5_PSP_SQ_PNS1_23onesweep_lookback_stateEbbT6_jjT7_P12ihipStream_tbENKUlT_T0_SE_SJ_E_clIS8_S8_S9_S9_EEDaSX_SY_SE_SJ_EUlSX_E_NS1_11comp_targetILNS1_3genE2ELNS1_11target_archE906ELNS1_3gpuE6ELNS1_3repE0EEENS1_47radix_sort_onesweep_sort_config_static_selectorELNS0_4arch9wavefront6targetE1EEEvSE_
    .private_segment_fixed_size: 0
    .sgpr_count:     4
    .sgpr_spill_count: 0
    .symbol:         _ZN7rocprim17ROCPRIM_400000_NS6detail17trampoline_kernelINS0_14default_configENS1_35radix_sort_onesweep_config_selectorIcNS0_10empty_typeEEEZZNS1_29radix_sort_onesweep_iterationIS3_Lb0EPcS8_PS5_S9_mNS0_19identity_decomposerENS1_16block_id_wrapperIjLb1EEEEE10hipError_tT1_PNSt15iterator_traitsISE_E10value_typeET2_T3_PNSF_ISK_E10value_typeET4_T5_PSP_SQ_PNS1_23onesweep_lookback_stateEbbT6_jjT7_P12ihipStream_tbENKUlT_T0_SE_SJ_E_clIS8_S8_S9_S9_EEDaSX_SY_SE_SJ_EUlSX_E_NS1_11comp_targetILNS1_3genE2ELNS1_11target_archE906ELNS1_3gpuE6ELNS1_3repE0EEENS1_47radix_sort_onesweep_sort_config_static_selectorELNS0_4arch9wavefront6targetE1EEEvSE_.kd
    .uniform_work_group_size: 1
    .uses_dynamic_stack: false
    .vgpr_count:     0
    .vgpr_spill_count: 0
    .wavefront_size: 64
  - .agpr_count:     0
    .args:
      - .offset:         0
        .size:           88
        .value_kind:     by_value
      - .offset:         88
        .size:           4
        .value_kind:     hidden_block_count_x
      - .offset:         92
        .size:           4
        .value_kind:     hidden_block_count_y
      - .offset:         96
        .size:           4
        .value_kind:     hidden_block_count_z
      - .offset:         100
        .size:           2
        .value_kind:     hidden_group_size_x
      - .offset:         102
        .size:           2
        .value_kind:     hidden_group_size_y
      - .offset:         104
        .size:           2
        .value_kind:     hidden_group_size_z
      - .offset:         106
        .size:           2
        .value_kind:     hidden_remainder_x
      - .offset:         108
        .size:           2
        .value_kind:     hidden_remainder_y
      - .offset:         110
        .size:           2
        .value_kind:     hidden_remainder_z
      - .offset:         128
        .size:           8
        .value_kind:     hidden_global_offset_x
      - .offset:         136
        .size:           8
        .value_kind:     hidden_global_offset_y
      - .offset:         144
        .size:           8
        .value_kind:     hidden_global_offset_z
      - .offset:         152
        .size:           2
        .value_kind:     hidden_grid_dims
    .group_segment_fixed_size: 16424
    .kernarg_segment_align: 8
    .kernarg_segment_size: 344
    .language:       OpenCL C
    .language_version:
      - 2
      - 0
    .max_flat_workgroup_size: 512
    .name:           _ZN7rocprim17ROCPRIM_400000_NS6detail17trampoline_kernelINS0_14default_configENS1_35radix_sort_onesweep_config_selectorIcNS0_10empty_typeEEEZZNS1_29radix_sort_onesweep_iterationIS3_Lb0EPcS8_PS5_S9_mNS0_19identity_decomposerENS1_16block_id_wrapperIjLb1EEEEE10hipError_tT1_PNSt15iterator_traitsISE_E10value_typeET2_T3_PNSF_ISK_E10value_typeET4_T5_PSP_SQ_PNS1_23onesweep_lookback_stateEbbT6_jjT7_P12ihipStream_tbENKUlT_T0_SE_SJ_E_clIS8_S8_S9_S9_EEDaSX_SY_SE_SJ_EUlSX_E_NS1_11comp_targetILNS1_3genE4ELNS1_11target_archE910ELNS1_3gpuE8ELNS1_3repE0EEENS1_47radix_sort_onesweep_sort_config_static_selectorELNS0_4arch9wavefront6targetE1EEEvSE_
    .private_segment_fixed_size: 0
    .sgpr_count:     34
    .sgpr_spill_count: 0
    .symbol:         _ZN7rocprim17ROCPRIM_400000_NS6detail17trampoline_kernelINS0_14default_configENS1_35radix_sort_onesweep_config_selectorIcNS0_10empty_typeEEEZZNS1_29radix_sort_onesweep_iterationIS3_Lb0EPcS8_PS5_S9_mNS0_19identity_decomposerENS1_16block_id_wrapperIjLb1EEEEE10hipError_tT1_PNSt15iterator_traitsISE_E10value_typeET2_T3_PNSF_ISK_E10value_typeET4_T5_PSP_SQ_PNS1_23onesweep_lookback_stateEbbT6_jjT7_P12ihipStream_tbENKUlT_T0_SE_SJ_E_clIS8_S8_S9_S9_EEDaSX_SY_SE_SJ_EUlSX_E_NS1_11comp_targetILNS1_3genE4ELNS1_11target_archE910ELNS1_3gpuE8ELNS1_3repE0EEENS1_47radix_sort_onesweep_sort_config_static_selectorELNS0_4arch9wavefront6targetE1EEEvSE_.kd
    .uniform_work_group_size: 1
    .uses_dynamic_stack: false
    .vgpr_count:     79
    .vgpr_spill_count: 0
    .wavefront_size: 64
  - .agpr_count:     0
    .args:
      - .offset:         0
        .size:           88
        .value_kind:     by_value
    .group_segment_fixed_size: 0
    .kernarg_segment_align: 8
    .kernarg_segment_size: 88
    .language:       OpenCL C
    .language_version:
      - 2
      - 0
    .max_flat_workgroup_size: 1024
    .name:           _ZN7rocprim17ROCPRIM_400000_NS6detail17trampoline_kernelINS0_14default_configENS1_35radix_sort_onesweep_config_selectorIcNS0_10empty_typeEEEZZNS1_29radix_sort_onesweep_iterationIS3_Lb0EPcS8_PS5_S9_mNS0_19identity_decomposerENS1_16block_id_wrapperIjLb1EEEEE10hipError_tT1_PNSt15iterator_traitsISE_E10value_typeET2_T3_PNSF_ISK_E10value_typeET4_T5_PSP_SQ_PNS1_23onesweep_lookback_stateEbbT6_jjT7_P12ihipStream_tbENKUlT_T0_SE_SJ_E_clIS8_S8_S9_S9_EEDaSX_SY_SE_SJ_EUlSX_E_NS1_11comp_targetILNS1_3genE3ELNS1_11target_archE908ELNS1_3gpuE7ELNS1_3repE0EEENS1_47radix_sort_onesweep_sort_config_static_selectorELNS0_4arch9wavefront6targetE1EEEvSE_
    .private_segment_fixed_size: 0
    .sgpr_count:     4
    .sgpr_spill_count: 0
    .symbol:         _ZN7rocprim17ROCPRIM_400000_NS6detail17trampoline_kernelINS0_14default_configENS1_35radix_sort_onesweep_config_selectorIcNS0_10empty_typeEEEZZNS1_29radix_sort_onesweep_iterationIS3_Lb0EPcS8_PS5_S9_mNS0_19identity_decomposerENS1_16block_id_wrapperIjLb1EEEEE10hipError_tT1_PNSt15iterator_traitsISE_E10value_typeET2_T3_PNSF_ISK_E10value_typeET4_T5_PSP_SQ_PNS1_23onesweep_lookback_stateEbbT6_jjT7_P12ihipStream_tbENKUlT_T0_SE_SJ_E_clIS8_S8_S9_S9_EEDaSX_SY_SE_SJ_EUlSX_E_NS1_11comp_targetILNS1_3genE3ELNS1_11target_archE908ELNS1_3gpuE7ELNS1_3repE0EEENS1_47radix_sort_onesweep_sort_config_static_selectorELNS0_4arch9wavefront6targetE1EEEvSE_.kd
    .uniform_work_group_size: 1
    .uses_dynamic_stack: false
    .vgpr_count:     0
    .vgpr_spill_count: 0
    .wavefront_size: 64
  - .agpr_count:     0
    .args:
      - .offset:         0
        .size:           88
        .value_kind:     by_value
    .group_segment_fixed_size: 0
    .kernarg_segment_align: 8
    .kernarg_segment_size: 88
    .language:       OpenCL C
    .language_version:
      - 2
      - 0
    .max_flat_workgroup_size: 256
    .name:           _ZN7rocprim17ROCPRIM_400000_NS6detail17trampoline_kernelINS0_14default_configENS1_35radix_sort_onesweep_config_selectorIcNS0_10empty_typeEEEZZNS1_29radix_sort_onesweep_iterationIS3_Lb0EPcS8_PS5_S9_mNS0_19identity_decomposerENS1_16block_id_wrapperIjLb1EEEEE10hipError_tT1_PNSt15iterator_traitsISE_E10value_typeET2_T3_PNSF_ISK_E10value_typeET4_T5_PSP_SQ_PNS1_23onesweep_lookback_stateEbbT6_jjT7_P12ihipStream_tbENKUlT_T0_SE_SJ_E_clIS8_S8_S9_S9_EEDaSX_SY_SE_SJ_EUlSX_E_NS1_11comp_targetILNS1_3genE10ELNS1_11target_archE1201ELNS1_3gpuE5ELNS1_3repE0EEENS1_47radix_sort_onesweep_sort_config_static_selectorELNS0_4arch9wavefront6targetE1EEEvSE_
    .private_segment_fixed_size: 0
    .sgpr_count:     4
    .sgpr_spill_count: 0
    .symbol:         _ZN7rocprim17ROCPRIM_400000_NS6detail17trampoline_kernelINS0_14default_configENS1_35radix_sort_onesweep_config_selectorIcNS0_10empty_typeEEEZZNS1_29radix_sort_onesweep_iterationIS3_Lb0EPcS8_PS5_S9_mNS0_19identity_decomposerENS1_16block_id_wrapperIjLb1EEEEE10hipError_tT1_PNSt15iterator_traitsISE_E10value_typeET2_T3_PNSF_ISK_E10value_typeET4_T5_PSP_SQ_PNS1_23onesweep_lookback_stateEbbT6_jjT7_P12ihipStream_tbENKUlT_T0_SE_SJ_E_clIS8_S8_S9_S9_EEDaSX_SY_SE_SJ_EUlSX_E_NS1_11comp_targetILNS1_3genE10ELNS1_11target_archE1201ELNS1_3gpuE5ELNS1_3repE0EEENS1_47radix_sort_onesweep_sort_config_static_selectorELNS0_4arch9wavefront6targetE1EEEvSE_.kd
    .uniform_work_group_size: 1
    .uses_dynamic_stack: false
    .vgpr_count:     0
    .vgpr_spill_count: 0
    .wavefront_size: 64
  - .agpr_count:     0
    .args:
      - .offset:         0
        .size:           88
        .value_kind:     by_value
    .group_segment_fixed_size: 0
    .kernarg_segment_align: 8
    .kernarg_segment_size: 88
    .language:       OpenCL C
    .language_version:
      - 2
      - 0
    .max_flat_workgroup_size: 256
    .name:           _ZN7rocprim17ROCPRIM_400000_NS6detail17trampoline_kernelINS0_14default_configENS1_35radix_sort_onesweep_config_selectorIcNS0_10empty_typeEEEZZNS1_29radix_sort_onesweep_iterationIS3_Lb0EPcS8_PS5_S9_mNS0_19identity_decomposerENS1_16block_id_wrapperIjLb1EEEEE10hipError_tT1_PNSt15iterator_traitsISE_E10value_typeET2_T3_PNSF_ISK_E10value_typeET4_T5_PSP_SQ_PNS1_23onesweep_lookback_stateEbbT6_jjT7_P12ihipStream_tbENKUlT_T0_SE_SJ_E_clIS8_S8_S9_S9_EEDaSX_SY_SE_SJ_EUlSX_E_NS1_11comp_targetILNS1_3genE9ELNS1_11target_archE1100ELNS1_3gpuE3ELNS1_3repE0EEENS1_47radix_sort_onesweep_sort_config_static_selectorELNS0_4arch9wavefront6targetE1EEEvSE_
    .private_segment_fixed_size: 0
    .sgpr_count:     4
    .sgpr_spill_count: 0
    .symbol:         _ZN7rocprim17ROCPRIM_400000_NS6detail17trampoline_kernelINS0_14default_configENS1_35radix_sort_onesweep_config_selectorIcNS0_10empty_typeEEEZZNS1_29radix_sort_onesweep_iterationIS3_Lb0EPcS8_PS5_S9_mNS0_19identity_decomposerENS1_16block_id_wrapperIjLb1EEEEE10hipError_tT1_PNSt15iterator_traitsISE_E10value_typeET2_T3_PNSF_ISK_E10value_typeET4_T5_PSP_SQ_PNS1_23onesweep_lookback_stateEbbT6_jjT7_P12ihipStream_tbENKUlT_T0_SE_SJ_E_clIS8_S8_S9_S9_EEDaSX_SY_SE_SJ_EUlSX_E_NS1_11comp_targetILNS1_3genE9ELNS1_11target_archE1100ELNS1_3gpuE3ELNS1_3repE0EEENS1_47radix_sort_onesweep_sort_config_static_selectorELNS0_4arch9wavefront6targetE1EEEvSE_.kd
    .uniform_work_group_size: 1
    .uses_dynamic_stack: false
    .vgpr_count:     0
    .vgpr_spill_count: 0
    .wavefront_size: 64
  - .agpr_count:     0
    .args:
      - .offset:         0
        .size:           88
        .value_kind:     by_value
    .group_segment_fixed_size: 0
    .kernarg_segment_align: 8
    .kernarg_segment_size: 88
    .language:       OpenCL C
    .language_version:
      - 2
      - 0
    .max_flat_workgroup_size: 256
    .name:           _ZN7rocprim17ROCPRIM_400000_NS6detail17trampoline_kernelINS0_14default_configENS1_35radix_sort_onesweep_config_selectorIcNS0_10empty_typeEEEZZNS1_29radix_sort_onesweep_iterationIS3_Lb0EPcS8_PS5_S9_mNS0_19identity_decomposerENS1_16block_id_wrapperIjLb1EEEEE10hipError_tT1_PNSt15iterator_traitsISE_E10value_typeET2_T3_PNSF_ISK_E10value_typeET4_T5_PSP_SQ_PNS1_23onesweep_lookback_stateEbbT6_jjT7_P12ihipStream_tbENKUlT_T0_SE_SJ_E_clIS8_S8_S9_S9_EEDaSX_SY_SE_SJ_EUlSX_E_NS1_11comp_targetILNS1_3genE8ELNS1_11target_archE1030ELNS1_3gpuE2ELNS1_3repE0EEENS1_47radix_sort_onesweep_sort_config_static_selectorELNS0_4arch9wavefront6targetE1EEEvSE_
    .private_segment_fixed_size: 0
    .sgpr_count:     4
    .sgpr_spill_count: 0
    .symbol:         _ZN7rocprim17ROCPRIM_400000_NS6detail17trampoline_kernelINS0_14default_configENS1_35radix_sort_onesweep_config_selectorIcNS0_10empty_typeEEEZZNS1_29radix_sort_onesweep_iterationIS3_Lb0EPcS8_PS5_S9_mNS0_19identity_decomposerENS1_16block_id_wrapperIjLb1EEEEE10hipError_tT1_PNSt15iterator_traitsISE_E10value_typeET2_T3_PNSF_ISK_E10value_typeET4_T5_PSP_SQ_PNS1_23onesweep_lookback_stateEbbT6_jjT7_P12ihipStream_tbENKUlT_T0_SE_SJ_E_clIS8_S8_S9_S9_EEDaSX_SY_SE_SJ_EUlSX_E_NS1_11comp_targetILNS1_3genE8ELNS1_11target_archE1030ELNS1_3gpuE2ELNS1_3repE0EEENS1_47radix_sort_onesweep_sort_config_static_selectorELNS0_4arch9wavefront6targetE1EEEvSE_.kd
    .uniform_work_group_size: 1
    .uses_dynamic_stack: false
    .vgpr_count:     0
    .vgpr_spill_count: 0
    .wavefront_size: 64
  - .agpr_count:     0
    .args:
      - .offset:         0
        .size:           88
        .value_kind:     by_value
    .group_segment_fixed_size: 0
    .kernarg_segment_align: 8
    .kernarg_segment_size: 88
    .language:       OpenCL C
    .language_version:
      - 2
      - 0
    .max_flat_workgroup_size: 1024
    .name:           _ZN7rocprim17ROCPRIM_400000_NS6detail17trampoline_kernelINS0_14default_configENS1_35radix_sort_onesweep_config_selectorIcNS0_10empty_typeEEEZZNS1_29radix_sort_onesweep_iterationIS3_Lb0EPcS8_PS5_S9_mNS0_19identity_decomposerENS1_16block_id_wrapperIjLb0EEEEE10hipError_tT1_PNSt15iterator_traitsISE_E10value_typeET2_T3_PNSF_ISK_E10value_typeET4_T5_PSP_SQ_PNS1_23onesweep_lookback_stateEbbT6_jjT7_P12ihipStream_tbENKUlT_T0_SE_SJ_E_clIS8_S8_S9_S9_EEDaSX_SY_SE_SJ_EUlSX_E_NS1_11comp_targetILNS1_3genE0ELNS1_11target_archE4294967295ELNS1_3gpuE0ELNS1_3repE0EEENS1_47radix_sort_onesweep_sort_config_static_selectorELNS0_4arch9wavefront6targetE1EEEvSE_
    .private_segment_fixed_size: 0
    .sgpr_count:     4
    .sgpr_spill_count: 0
    .symbol:         _ZN7rocprim17ROCPRIM_400000_NS6detail17trampoline_kernelINS0_14default_configENS1_35radix_sort_onesweep_config_selectorIcNS0_10empty_typeEEEZZNS1_29radix_sort_onesweep_iterationIS3_Lb0EPcS8_PS5_S9_mNS0_19identity_decomposerENS1_16block_id_wrapperIjLb0EEEEE10hipError_tT1_PNSt15iterator_traitsISE_E10value_typeET2_T3_PNSF_ISK_E10value_typeET4_T5_PSP_SQ_PNS1_23onesweep_lookback_stateEbbT6_jjT7_P12ihipStream_tbENKUlT_T0_SE_SJ_E_clIS8_S8_S9_S9_EEDaSX_SY_SE_SJ_EUlSX_E_NS1_11comp_targetILNS1_3genE0ELNS1_11target_archE4294967295ELNS1_3gpuE0ELNS1_3repE0EEENS1_47radix_sort_onesweep_sort_config_static_selectorELNS0_4arch9wavefront6targetE1EEEvSE_.kd
    .uniform_work_group_size: 1
    .uses_dynamic_stack: false
    .vgpr_count:     0
    .vgpr_spill_count: 0
    .wavefront_size: 64
  - .agpr_count:     0
    .args:
      - .offset:         0
        .size:           88
        .value_kind:     by_value
    .group_segment_fixed_size: 0
    .kernarg_segment_align: 8
    .kernarg_segment_size: 88
    .language:       OpenCL C
    .language_version:
      - 2
      - 0
    .max_flat_workgroup_size: 1024
    .name:           _ZN7rocprim17ROCPRIM_400000_NS6detail17trampoline_kernelINS0_14default_configENS1_35radix_sort_onesweep_config_selectorIcNS0_10empty_typeEEEZZNS1_29radix_sort_onesweep_iterationIS3_Lb0EPcS8_PS5_S9_mNS0_19identity_decomposerENS1_16block_id_wrapperIjLb0EEEEE10hipError_tT1_PNSt15iterator_traitsISE_E10value_typeET2_T3_PNSF_ISK_E10value_typeET4_T5_PSP_SQ_PNS1_23onesweep_lookback_stateEbbT6_jjT7_P12ihipStream_tbENKUlT_T0_SE_SJ_E_clIS8_S8_S9_S9_EEDaSX_SY_SE_SJ_EUlSX_E_NS1_11comp_targetILNS1_3genE6ELNS1_11target_archE950ELNS1_3gpuE13ELNS1_3repE0EEENS1_47radix_sort_onesweep_sort_config_static_selectorELNS0_4arch9wavefront6targetE1EEEvSE_
    .private_segment_fixed_size: 0
    .sgpr_count:     4
    .sgpr_spill_count: 0
    .symbol:         _ZN7rocprim17ROCPRIM_400000_NS6detail17trampoline_kernelINS0_14default_configENS1_35radix_sort_onesweep_config_selectorIcNS0_10empty_typeEEEZZNS1_29radix_sort_onesweep_iterationIS3_Lb0EPcS8_PS5_S9_mNS0_19identity_decomposerENS1_16block_id_wrapperIjLb0EEEEE10hipError_tT1_PNSt15iterator_traitsISE_E10value_typeET2_T3_PNSF_ISK_E10value_typeET4_T5_PSP_SQ_PNS1_23onesweep_lookback_stateEbbT6_jjT7_P12ihipStream_tbENKUlT_T0_SE_SJ_E_clIS8_S8_S9_S9_EEDaSX_SY_SE_SJ_EUlSX_E_NS1_11comp_targetILNS1_3genE6ELNS1_11target_archE950ELNS1_3gpuE13ELNS1_3repE0EEENS1_47radix_sort_onesweep_sort_config_static_selectorELNS0_4arch9wavefront6targetE1EEEvSE_.kd
    .uniform_work_group_size: 1
    .uses_dynamic_stack: false
    .vgpr_count:     0
    .vgpr_spill_count: 0
    .wavefront_size: 64
  - .agpr_count:     0
    .args:
      - .offset:         0
        .size:           88
        .value_kind:     by_value
    .group_segment_fixed_size: 0
    .kernarg_segment_align: 8
    .kernarg_segment_size: 88
    .language:       OpenCL C
    .language_version:
      - 2
      - 0
    .max_flat_workgroup_size: 1024
    .name:           _ZN7rocprim17ROCPRIM_400000_NS6detail17trampoline_kernelINS0_14default_configENS1_35radix_sort_onesweep_config_selectorIcNS0_10empty_typeEEEZZNS1_29radix_sort_onesweep_iterationIS3_Lb0EPcS8_PS5_S9_mNS0_19identity_decomposerENS1_16block_id_wrapperIjLb0EEEEE10hipError_tT1_PNSt15iterator_traitsISE_E10value_typeET2_T3_PNSF_ISK_E10value_typeET4_T5_PSP_SQ_PNS1_23onesweep_lookback_stateEbbT6_jjT7_P12ihipStream_tbENKUlT_T0_SE_SJ_E_clIS8_S8_S9_S9_EEDaSX_SY_SE_SJ_EUlSX_E_NS1_11comp_targetILNS1_3genE5ELNS1_11target_archE942ELNS1_3gpuE9ELNS1_3repE0EEENS1_47radix_sort_onesweep_sort_config_static_selectorELNS0_4arch9wavefront6targetE1EEEvSE_
    .private_segment_fixed_size: 0
    .sgpr_count:     4
    .sgpr_spill_count: 0
    .symbol:         _ZN7rocprim17ROCPRIM_400000_NS6detail17trampoline_kernelINS0_14default_configENS1_35radix_sort_onesweep_config_selectorIcNS0_10empty_typeEEEZZNS1_29radix_sort_onesweep_iterationIS3_Lb0EPcS8_PS5_S9_mNS0_19identity_decomposerENS1_16block_id_wrapperIjLb0EEEEE10hipError_tT1_PNSt15iterator_traitsISE_E10value_typeET2_T3_PNSF_ISK_E10value_typeET4_T5_PSP_SQ_PNS1_23onesweep_lookback_stateEbbT6_jjT7_P12ihipStream_tbENKUlT_T0_SE_SJ_E_clIS8_S8_S9_S9_EEDaSX_SY_SE_SJ_EUlSX_E_NS1_11comp_targetILNS1_3genE5ELNS1_11target_archE942ELNS1_3gpuE9ELNS1_3repE0EEENS1_47radix_sort_onesweep_sort_config_static_selectorELNS0_4arch9wavefront6targetE1EEEvSE_.kd
    .uniform_work_group_size: 1
    .uses_dynamic_stack: false
    .vgpr_count:     0
    .vgpr_spill_count: 0
    .wavefront_size: 64
  - .agpr_count:     0
    .args:
      - .offset:         0
        .size:           88
        .value_kind:     by_value
    .group_segment_fixed_size: 0
    .kernarg_segment_align: 8
    .kernarg_segment_size: 88
    .language:       OpenCL C
    .language_version:
      - 2
      - 0
    .max_flat_workgroup_size: 512
    .name:           _ZN7rocprim17ROCPRIM_400000_NS6detail17trampoline_kernelINS0_14default_configENS1_35radix_sort_onesweep_config_selectorIcNS0_10empty_typeEEEZZNS1_29radix_sort_onesweep_iterationIS3_Lb0EPcS8_PS5_S9_mNS0_19identity_decomposerENS1_16block_id_wrapperIjLb0EEEEE10hipError_tT1_PNSt15iterator_traitsISE_E10value_typeET2_T3_PNSF_ISK_E10value_typeET4_T5_PSP_SQ_PNS1_23onesweep_lookback_stateEbbT6_jjT7_P12ihipStream_tbENKUlT_T0_SE_SJ_E_clIS8_S8_S9_S9_EEDaSX_SY_SE_SJ_EUlSX_E_NS1_11comp_targetILNS1_3genE2ELNS1_11target_archE906ELNS1_3gpuE6ELNS1_3repE0EEENS1_47radix_sort_onesweep_sort_config_static_selectorELNS0_4arch9wavefront6targetE1EEEvSE_
    .private_segment_fixed_size: 0
    .sgpr_count:     4
    .sgpr_spill_count: 0
    .symbol:         _ZN7rocprim17ROCPRIM_400000_NS6detail17trampoline_kernelINS0_14default_configENS1_35radix_sort_onesweep_config_selectorIcNS0_10empty_typeEEEZZNS1_29radix_sort_onesweep_iterationIS3_Lb0EPcS8_PS5_S9_mNS0_19identity_decomposerENS1_16block_id_wrapperIjLb0EEEEE10hipError_tT1_PNSt15iterator_traitsISE_E10value_typeET2_T3_PNSF_ISK_E10value_typeET4_T5_PSP_SQ_PNS1_23onesweep_lookback_stateEbbT6_jjT7_P12ihipStream_tbENKUlT_T0_SE_SJ_E_clIS8_S8_S9_S9_EEDaSX_SY_SE_SJ_EUlSX_E_NS1_11comp_targetILNS1_3genE2ELNS1_11target_archE906ELNS1_3gpuE6ELNS1_3repE0EEENS1_47radix_sort_onesweep_sort_config_static_selectorELNS0_4arch9wavefront6targetE1EEEvSE_.kd
    .uniform_work_group_size: 1
    .uses_dynamic_stack: false
    .vgpr_count:     0
    .vgpr_spill_count: 0
    .wavefront_size: 64
  - .agpr_count:     0
    .args:
      - .offset:         0
        .size:           88
        .value_kind:     by_value
      - .offset:         88
        .size:           4
        .value_kind:     hidden_block_count_x
      - .offset:         92
        .size:           4
        .value_kind:     hidden_block_count_y
      - .offset:         96
        .size:           4
        .value_kind:     hidden_block_count_z
      - .offset:         100
        .size:           2
        .value_kind:     hidden_group_size_x
      - .offset:         102
        .size:           2
        .value_kind:     hidden_group_size_y
      - .offset:         104
        .size:           2
        .value_kind:     hidden_group_size_z
      - .offset:         106
        .size:           2
        .value_kind:     hidden_remainder_x
      - .offset:         108
        .size:           2
        .value_kind:     hidden_remainder_y
      - .offset:         110
        .size:           2
        .value_kind:     hidden_remainder_z
      - .offset:         128
        .size:           8
        .value_kind:     hidden_global_offset_x
      - .offset:         136
        .size:           8
        .value_kind:     hidden_global_offset_y
      - .offset:         144
        .size:           8
        .value_kind:     hidden_global_offset_z
      - .offset:         152
        .size:           2
        .value_kind:     hidden_grid_dims
    .group_segment_fixed_size: 16424
    .kernarg_segment_align: 8
    .kernarg_segment_size: 344
    .language:       OpenCL C
    .language_version:
      - 2
      - 0
    .max_flat_workgroup_size: 512
    .name:           _ZN7rocprim17ROCPRIM_400000_NS6detail17trampoline_kernelINS0_14default_configENS1_35radix_sort_onesweep_config_selectorIcNS0_10empty_typeEEEZZNS1_29radix_sort_onesweep_iterationIS3_Lb0EPcS8_PS5_S9_mNS0_19identity_decomposerENS1_16block_id_wrapperIjLb0EEEEE10hipError_tT1_PNSt15iterator_traitsISE_E10value_typeET2_T3_PNSF_ISK_E10value_typeET4_T5_PSP_SQ_PNS1_23onesweep_lookback_stateEbbT6_jjT7_P12ihipStream_tbENKUlT_T0_SE_SJ_E_clIS8_S8_S9_S9_EEDaSX_SY_SE_SJ_EUlSX_E_NS1_11comp_targetILNS1_3genE4ELNS1_11target_archE910ELNS1_3gpuE8ELNS1_3repE0EEENS1_47radix_sort_onesweep_sort_config_static_selectorELNS0_4arch9wavefront6targetE1EEEvSE_
    .private_segment_fixed_size: 0
    .sgpr_count:     34
    .sgpr_spill_count: 0
    .symbol:         _ZN7rocprim17ROCPRIM_400000_NS6detail17trampoline_kernelINS0_14default_configENS1_35radix_sort_onesweep_config_selectorIcNS0_10empty_typeEEEZZNS1_29radix_sort_onesweep_iterationIS3_Lb0EPcS8_PS5_S9_mNS0_19identity_decomposerENS1_16block_id_wrapperIjLb0EEEEE10hipError_tT1_PNSt15iterator_traitsISE_E10value_typeET2_T3_PNSF_ISK_E10value_typeET4_T5_PSP_SQ_PNS1_23onesweep_lookback_stateEbbT6_jjT7_P12ihipStream_tbENKUlT_T0_SE_SJ_E_clIS8_S8_S9_S9_EEDaSX_SY_SE_SJ_EUlSX_E_NS1_11comp_targetILNS1_3genE4ELNS1_11target_archE910ELNS1_3gpuE8ELNS1_3repE0EEENS1_47radix_sort_onesweep_sort_config_static_selectorELNS0_4arch9wavefront6targetE1EEEvSE_.kd
    .uniform_work_group_size: 1
    .uses_dynamic_stack: false
    .vgpr_count:     79
    .vgpr_spill_count: 0
    .wavefront_size: 64
  - .agpr_count:     0
    .args:
      - .offset:         0
        .size:           88
        .value_kind:     by_value
    .group_segment_fixed_size: 0
    .kernarg_segment_align: 8
    .kernarg_segment_size: 88
    .language:       OpenCL C
    .language_version:
      - 2
      - 0
    .max_flat_workgroup_size: 1024
    .name:           _ZN7rocprim17ROCPRIM_400000_NS6detail17trampoline_kernelINS0_14default_configENS1_35radix_sort_onesweep_config_selectorIcNS0_10empty_typeEEEZZNS1_29radix_sort_onesweep_iterationIS3_Lb0EPcS8_PS5_S9_mNS0_19identity_decomposerENS1_16block_id_wrapperIjLb0EEEEE10hipError_tT1_PNSt15iterator_traitsISE_E10value_typeET2_T3_PNSF_ISK_E10value_typeET4_T5_PSP_SQ_PNS1_23onesweep_lookback_stateEbbT6_jjT7_P12ihipStream_tbENKUlT_T0_SE_SJ_E_clIS8_S8_S9_S9_EEDaSX_SY_SE_SJ_EUlSX_E_NS1_11comp_targetILNS1_3genE3ELNS1_11target_archE908ELNS1_3gpuE7ELNS1_3repE0EEENS1_47radix_sort_onesweep_sort_config_static_selectorELNS0_4arch9wavefront6targetE1EEEvSE_
    .private_segment_fixed_size: 0
    .sgpr_count:     4
    .sgpr_spill_count: 0
    .symbol:         _ZN7rocprim17ROCPRIM_400000_NS6detail17trampoline_kernelINS0_14default_configENS1_35radix_sort_onesweep_config_selectorIcNS0_10empty_typeEEEZZNS1_29radix_sort_onesweep_iterationIS3_Lb0EPcS8_PS5_S9_mNS0_19identity_decomposerENS1_16block_id_wrapperIjLb0EEEEE10hipError_tT1_PNSt15iterator_traitsISE_E10value_typeET2_T3_PNSF_ISK_E10value_typeET4_T5_PSP_SQ_PNS1_23onesweep_lookback_stateEbbT6_jjT7_P12ihipStream_tbENKUlT_T0_SE_SJ_E_clIS8_S8_S9_S9_EEDaSX_SY_SE_SJ_EUlSX_E_NS1_11comp_targetILNS1_3genE3ELNS1_11target_archE908ELNS1_3gpuE7ELNS1_3repE0EEENS1_47radix_sort_onesweep_sort_config_static_selectorELNS0_4arch9wavefront6targetE1EEEvSE_.kd
    .uniform_work_group_size: 1
    .uses_dynamic_stack: false
    .vgpr_count:     0
    .vgpr_spill_count: 0
    .wavefront_size: 64
  - .agpr_count:     0
    .args:
      - .offset:         0
        .size:           88
        .value_kind:     by_value
    .group_segment_fixed_size: 0
    .kernarg_segment_align: 8
    .kernarg_segment_size: 88
    .language:       OpenCL C
    .language_version:
      - 2
      - 0
    .max_flat_workgroup_size: 256
    .name:           _ZN7rocprim17ROCPRIM_400000_NS6detail17trampoline_kernelINS0_14default_configENS1_35radix_sort_onesweep_config_selectorIcNS0_10empty_typeEEEZZNS1_29radix_sort_onesweep_iterationIS3_Lb0EPcS8_PS5_S9_mNS0_19identity_decomposerENS1_16block_id_wrapperIjLb0EEEEE10hipError_tT1_PNSt15iterator_traitsISE_E10value_typeET2_T3_PNSF_ISK_E10value_typeET4_T5_PSP_SQ_PNS1_23onesweep_lookback_stateEbbT6_jjT7_P12ihipStream_tbENKUlT_T0_SE_SJ_E_clIS8_S8_S9_S9_EEDaSX_SY_SE_SJ_EUlSX_E_NS1_11comp_targetILNS1_3genE10ELNS1_11target_archE1201ELNS1_3gpuE5ELNS1_3repE0EEENS1_47radix_sort_onesweep_sort_config_static_selectorELNS0_4arch9wavefront6targetE1EEEvSE_
    .private_segment_fixed_size: 0
    .sgpr_count:     4
    .sgpr_spill_count: 0
    .symbol:         _ZN7rocprim17ROCPRIM_400000_NS6detail17trampoline_kernelINS0_14default_configENS1_35radix_sort_onesweep_config_selectorIcNS0_10empty_typeEEEZZNS1_29radix_sort_onesweep_iterationIS3_Lb0EPcS8_PS5_S9_mNS0_19identity_decomposerENS1_16block_id_wrapperIjLb0EEEEE10hipError_tT1_PNSt15iterator_traitsISE_E10value_typeET2_T3_PNSF_ISK_E10value_typeET4_T5_PSP_SQ_PNS1_23onesweep_lookback_stateEbbT6_jjT7_P12ihipStream_tbENKUlT_T0_SE_SJ_E_clIS8_S8_S9_S9_EEDaSX_SY_SE_SJ_EUlSX_E_NS1_11comp_targetILNS1_3genE10ELNS1_11target_archE1201ELNS1_3gpuE5ELNS1_3repE0EEENS1_47radix_sort_onesweep_sort_config_static_selectorELNS0_4arch9wavefront6targetE1EEEvSE_.kd
    .uniform_work_group_size: 1
    .uses_dynamic_stack: false
    .vgpr_count:     0
    .vgpr_spill_count: 0
    .wavefront_size: 64
  - .agpr_count:     0
    .args:
      - .offset:         0
        .size:           88
        .value_kind:     by_value
    .group_segment_fixed_size: 0
    .kernarg_segment_align: 8
    .kernarg_segment_size: 88
    .language:       OpenCL C
    .language_version:
      - 2
      - 0
    .max_flat_workgroup_size: 256
    .name:           _ZN7rocprim17ROCPRIM_400000_NS6detail17trampoline_kernelINS0_14default_configENS1_35radix_sort_onesweep_config_selectorIcNS0_10empty_typeEEEZZNS1_29radix_sort_onesweep_iterationIS3_Lb0EPcS8_PS5_S9_mNS0_19identity_decomposerENS1_16block_id_wrapperIjLb0EEEEE10hipError_tT1_PNSt15iterator_traitsISE_E10value_typeET2_T3_PNSF_ISK_E10value_typeET4_T5_PSP_SQ_PNS1_23onesweep_lookback_stateEbbT6_jjT7_P12ihipStream_tbENKUlT_T0_SE_SJ_E_clIS8_S8_S9_S9_EEDaSX_SY_SE_SJ_EUlSX_E_NS1_11comp_targetILNS1_3genE9ELNS1_11target_archE1100ELNS1_3gpuE3ELNS1_3repE0EEENS1_47radix_sort_onesweep_sort_config_static_selectorELNS0_4arch9wavefront6targetE1EEEvSE_
    .private_segment_fixed_size: 0
    .sgpr_count:     4
    .sgpr_spill_count: 0
    .symbol:         _ZN7rocprim17ROCPRIM_400000_NS6detail17trampoline_kernelINS0_14default_configENS1_35radix_sort_onesweep_config_selectorIcNS0_10empty_typeEEEZZNS1_29radix_sort_onesweep_iterationIS3_Lb0EPcS8_PS5_S9_mNS0_19identity_decomposerENS1_16block_id_wrapperIjLb0EEEEE10hipError_tT1_PNSt15iterator_traitsISE_E10value_typeET2_T3_PNSF_ISK_E10value_typeET4_T5_PSP_SQ_PNS1_23onesweep_lookback_stateEbbT6_jjT7_P12ihipStream_tbENKUlT_T0_SE_SJ_E_clIS8_S8_S9_S9_EEDaSX_SY_SE_SJ_EUlSX_E_NS1_11comp_targetILNS1_3genE9ELNS1_11target_archE1100ELNS1_3gpuE3ELNS1_3repE0EEENS1_47radix_sort_onesweep_sort_config_static_selectorELNS0_4arch9wavefront6targetE1EEEvSE_.kd
    .uniform_work_group_size: 1
    .uses_dynamic_stack: false
    .vgpr_count:     0
    .vgpr_spill_count: 0
    .wavefront_size: 64
  - .agpr_count:     0
    .args:
      - .offset:         0
        .size:           88
        .value_kind:     by_value
    .group_segment_fixed_size: 0
    .kernarg_segment_align: 8
    .kernarg_segment_size: 88
    .language:       OpenCL C
    .language_version:
      - 2
      - 0
    .max_flat_workgroup_size: 256
    .name:           _ZN7rocprim17ROCPRIM_400000_NS6detail17trampoline_kernelINS0_14default_configENS1_35radix_sort_onesweep_config_selectorIcNS0_10empty_typeEEEZZNS1_29radix_sort_onesweep_iterationIS3_Lb0EPcS8_PS5_S9_mNS0_19identity_decomposerENS1_16block_id_wrapperIjLb0EEEEE10hipError_tT1_PNSt15iterator_traitsISE_E10value_typeET2_T3_PNSF_ISK_E10value_typeET4_T5_PSP_SQ_PNS1_23onesweep_lookback_stateEbbT6_jjT7_P12ihipStream_tbENKUlT_T0_SE_SJ_E_clIS8_S8_S9_S9_EEDaSX_SY_SE_SJ_EUlSX_E_NS1_11comp_targetILNS1_3genE8ELNS1_11target_archE1030ELNS1_3gpuE2ELNS1_3repE0EEENS1_47radix_sort_onesweep_sort_config_static_selectorELNS0_4arch9wavefront6targetE1EEEvSE_
    .private_segment_fixed_size: 0
    .sgpr_count:     4
    .sgpr_spill_count: 0
    .symbol:         _ZN7rocprim17ROCPRIM_400000_NS6detail17trampoline_kernelINS0_14default_configENS1_35radix_sort_onesweep_config_selectorIcNS0_10empty_typeEEEZZNS1_29radix_sort_onesweep_iterationIS3_Lb0EPcS8_PS5_S9_mNS0_19identity_decomposerENS1_16block_id_wrapperIjLb0EEEEE10hipError_tT1_PNSt15iterator_traitsISE_E10value_typeET2_T3_PNSF_ISK_E10value_typeET4_T5_PSP_SQ_PNS1_23onesweep_lookback_stateEbbT6_jjT7_P12ihipStream_tbENKUlT_T0_SE_SJ_E_clIS8_S8_S9_S9_EEDaSX_SY_SE_SJ_EUlSX_E_NS1_11comp_targetILNS1_3genE8ELNS1_11target_archE1030ELNS1_3gpuE2ELNS1_3repE0EEENS1_47radix_sort_onesweep_sort_config_static_selectorELNS0_4arch9wavefront6targetE1EEEvSE_.kd
    .uniform_work_group_size: 1
    .uses_dynamic_stack: false
    .vgpr_count:     0
    .vgpr_spill_count: 0
    .wavefront_size: 64
  - .agpr_count:     0
    .args:
      - .offset:         0
        .size:           48
        .value_kind:     by_value
    .group_segment_fixed_size: 0
    .kernarg_segment_align: 8
    .kernarg_segment_size: 48
    .language:       OpenCL C
    .language_version:
      - 2
      - 0
    .max_flat_workgroup_size: 256
    .name:           _ZN7rocprim17ROCPRIM_400000_NS6detail17trampoline_kernelINS0_13kernel_configILj256ELj4ELj4294967295EEENS1_37radix_sort_block_sort_config_selectorIaNS0_10empty_typeEEEZNS1_21radix_sort_block_sortIS4_Lb0EPaS9_PS6_SA_NS0_19identity_decomposerEEE10hipError_tT1_T2_T3_T4_jRjT5_jjP12ihipStream_tbEUlT_E_NS1_11comp_targetILNS1_3genE0ELNS1_11target_archE4294967295ELNS1_3gpuE0ELNS1_3repE0EEENS1_44radix_sort_block_sort_config_static_selectorELNS0_4arch9wavefront6targetE1EEEvSD_
    .private_segment_fixed_size: 0
    .sgpr_count:     4
    .sgpr_spill_count: 0
    .symbol:         _ZN7rocprim17ROCPRIM_400000_NS6detail17trampoline_kernelINS0_13kernel_configILj256ELj4ELj4294967295EEENS1_37radix_sort_block_sort_config_selectorIaNS0_10empty_typeEEEZNS1_21radix_sort_block_sortIS4_Lb0EPaS9_PS6_SA_NS0_19identity_decomposerEEE10hipError_tT1_T2_T3_T4_jRjT5_jjP12ihipStream_tbEUlT_E_NS1_11comp_targetILNS1_3genE0ELNS1_11target_archE4294967295ELNS1_3gpuE0ELNS1_3repE0EEENS1_44radix_sort_block_sort_config_static_selectorELNS0_4arch9wavefront6targetE1EEEvSD_.kd
    .uniform_work_group_size: 1
    .uses_dynamic_stack: false
    .vgpr_count:     0
    .vgpr_spill_count: 0
    .wavefront_size: 64
  - .agpr_count:     0
    .args:
      - .offset:         0
        .size:           48
        .value_kind:     by_value
    .group_segment_fixed_size: 0
    .kernarg_segment_align: 8
    .kernarg_segment_size: 48
    .language:       OpenCL C
    .language_version:
      - 2
      - 0
    .max_flat_workgroup_size: 256
    .name:           _ZN7rocprim17ROCPRIM_400000_NS6detail17trampoline_kernelINS0_13kernel_configILj256ELj4ELj4294967295EEENS1_37radix_sort_block_sort_config_selectorIaNS0_10empty_typeEEEZNS1_21radix_sort_block_sortIS4_Lb0EPaS9_PS6_SA_NS0_19identity_decomposerEEE10hipError_tT1_T2_T3_T4_jRjT5_jjP12ihipStream_tbEUlT_E_NS1_11comp_targetILNS1_3genE5ELNS1_11target_archE942ELNS1_3gpuE9ELNS1_3repE0EEENS1_44radix_sort_block_sort_config_static_selectorELNS0_4arch9wavefront6targetE1EEEvSD_
    .private_segment_fixed_size: 0
    .sgpr_count:     4
    .sgpr_spill_count: 0
    .symbol:         _ZN7rocprim17ROCPRIM_400000_NS6detail17trampoline_kernelINS0_13kernel_configILj256ELj4ELj4294967295EEENS1_37radix_sort_block_sort_config_selectorIaNS0_10empty_typeEEEZNS1_21radix_sort_block_sortIS4_Lb0EPaS9_PS6_SA_NS0_19identity_decomposerEEE10hipError_tT1_T2_T3_T4_jRjT5_jjP12ihipStream_tbEUlT_E_NS1_11comp_targetILNS1_3genE5ELNS1_11target_archE942ELNS1_3gpuE9ELNS1_3repE0EEENS1_44radix_sort_block_sort_config_static_selectorELNS0_4arch9wavefront6targetE1EEEvSD_.kd
    .uniform_work_group_size: 1
    .uses_dynamic_stack: false
    .vgpr_count:     0
    .vgpr_spill_count: 0
    .wavefront_size: 64
  - .agpr_count:     0
    .args:
      - .offset:         0
        .size:           48
        .value_kind:     by_value
      - .offset:         48
        .size:           4
        .value_kind:     hidden_block_count_x
      - .offset:         52
        .size:           4
        .value_kind:     hidden_block_count_y
      - .offset:         56
        .size:           4
        .value_kind:     hidden_block_count_z
      - .offset:         60
        .size:           2
        .value_kind:     hidden_group_size_x
      - .offset:         62
        .size:           2
        .value_kind:     hidden_group_size_y
      - .offset:         64
        .size:           2
        .value_kind:     hidden_group_size_z
      - .offset:         66
        .size:           2
        .value_kind:     hidden_remainder_x
      - .offset:         68
        .size:           2
        .value_kind:     hidden_remainder_y
      - .offset:         70
        .size:           2
        .value_kind:     hidden_remainder_z
      - .offset:         88
        .size:           8
        .value_kind:     hidden_global_offset_x
      - .offset:         96
        .size:           8
        .value_kind:     hidden_global_offset_y
      - .offset:         104
        .size:           8
        .value_kind:     hidden_global_offset_z
      - .offset:         112
        .size:           2
        .value_kind:     hidden_grid_dims
    .group_segment_fixed_size: 4112
    .kernarg_segment_align: 8
    .kernarg_segment_size: 304
    .language:       OpenCL C
    .language_version:
      - 2
      - 0
    .max_flat_workgroup_size: 256
    .name:           _ZN7rocprim17ROCPRIM_400000_NS6detail17trampoline_kernelINS0_13kernel_configILj256ELj4ELj4294967295EEENS1_37radix_sort_block_sort_config_selectorIaNS0_10empty_typeEEEZNS1_21radix_sort_block_sortIS4_Lb0EPaS9_PS6_SA_NS0_19identity_decomposerEEE10hipError_tT1_T2_T3_T4_jRjT5_jjP12ihipStream_tbEUlT_E_NS1_11comp_targetILNS1_3genE4ELNS1_11target_archE910ELNS1_3gpuE8ELNS1_3repE0EEENS1_44radix_sort_block_sort_config_static_selectorELNS0_4arch9wavefront6targetE1EEEvSD_
    .private_segment_fixed_size: 0
    .sgpr_count:     46
    .sgpr_spill_count: 0
    .symbol:         _ZN7rocprim17ROCPRIM_400000_NS6detail17trampoline_kernelINS0_13kernel_configILj256ELj4ELj4294967295EEENS1_37radix_sort_block_sort_config_selectorIaNS0_10empty_typeEEEZNS1_21radix_sort_block_sortIS4_Lb0EPaS9_PS6_SA_NS0_19identity_decomposerEEE10hipError_tT1_T2_T3_T4_jRjT5_jjP12ihipStream_tbEUlT_E_NS1_11comp_targetILNS1_3genE4ELNS1_11target_archE910ELNS1_3gpuE8ELNS1_3repE0EEENS1_44radix_sort_block_sort_config_static_selectorELNS0_4arch9wavefront6targetE1EEEvSD_.kd
    .uniform_work_group_size: 1
    .uses_dynamic_stack: false
    .vgpr_count:     38
    .vgpr_spill_count: 0
    .wavefront_size: 64
  - .agpr_count:     0
    .args:
      - .offset:         0
        .size:           48
        .value_kind:     by_value
    .group_segment_fixed_size: 0
    .kernarg_segment_align: 8
    .kernarg_segment_size: 48
    .language:       OpenCL C
    .language_version:
      - 2
      - 0
    .max_flat_workgroup_size: 256
    .name:           _ZN7rocprim17ROCPRIM_400000_NS6detail17trampoline_kernelINS0_13kernel_configILj256ELj4ELj4294967295EEENS1_37radix_sort_block_sort_config_selectorIaNS0_10empty_typeEEEZNS1_21radix_sort_block_sortIS4_Lb0EPaS9_PS6_SA_NS0_19identity_decomposerEEE10hipError_tT1_T2_T3_T4_jRjT5_jjP12ihipStream_tbEUlT_E_NS1_11comp_targetILNS1_3genE3ELNS1_11target_archE908ELNS1_3gpuE7ELNS1_3repE0EEENS1_44radix_sort_block_sort_config_static_selectorELNS0_4arch9wavefront6targetE1EEEvSD_
    .private_segment_fixed_size: 0
    .sgpr_count:     4
    .sgpr_spill_count: 0
    .symbol:         _ZN7rocprim17ROCPRIM_400000_NS6detail17trampoline_kernelINS0_13kernel_configILj256ELj4ELj4294967295EEENS1_37radix_sort_block_sort_config_selectorIaNS0_10empty_typeEEEZNS1_21radix_sort_block_sortIS4_Lb0EPaS9_PS6_SA_NS0_19identity_decomposerEEE10hipError_tT1_T2_T3_T4_jRjT5_jjP12ihipStream_tbEUlT_E_NS1_11comp_targetILNS1_3genE3ELNS1_11target_archE908ELNS1_3gpuE7ELNS1_3repE0EEENS1_44radix_sort_block_sort_config_static_selectorELNS0_4arch9wavefront6targetE1EEEvSD_.kd
    .uniform_work_group_size: 1
    .uses_dynamic_stack: false
    .vgpr_count:     0
    .vgpr_spill_count: 0
    .wavefront_size: 64
  - .agpr_count:     0
    .args:
      - .offset:         0
        .size:           48
        .value_kind:     by_value
    .group_segment_fixed_size: 0
    .kernarg_segment_align: 8
    .kernarg_segment_size: 48
    .language:       OpenCL C
    .language_version:
      - 2
      - 0
    .max_flat_workgroup_size: 256
    .name:           _ZN7rocprim17ROCPRIM_400000_NS6detail17trampoline_kernelINS0_13kernel_configILj256ELj4ELj4294967295EEENS1_37radix_sort_block_sort_config_selectorIaNS0_10empty_typeEEEZNS1_21radix_sort_block_sortIS4_Lb0EPaS9_PS6_SA_NS0_19identity_decomposerEEE10hipError_tT1_T2_T3_T4_jRjT5_jjP12ihipStream_tbEUlT_E_NS1_11comp_targetILNS1_3genE2ELNS1_11target_archE906ELNS1_3gpuE6ELNS1_3repE0EEENS1_44radix_sort_block_sort_config_static_selectorELNS0_4arch9wavefront6targetE1EEEvSD_
    .private_segment_fixed_size: 0
    .sgpr_count:     4
    .sgpr_spill_count: 0
    .symbol:         _ZN7rocprim17ROCPRIM_400000_NS6detail17trampoline_kernelINS0_13kernel_configILj256ELj4ELj4294967295EEENS1_37radix_sort_block_sort_config_selectorIaNS0_10empty_typeEEEZNS1_21radix_sort_block_sortIS4_Lb0EPaS9_PS6_SA_NS0_19identity_decomposerEEE10hipError_tT1_T2_T3_T4_jRjT5_jjP12ihipStream_tbEUlT_E_NS1_11comp_targetILNS1_3genE2ELNS1_11target_archE906ELNS1_3gpuE6ELNS1_3repE0EEENS1_44radix_sort_block_sort_config_static_selectorELNS0_4arch9wavefront6targetE1EEEvSD_.kd
    .uniform_work_group_size: 1
    .uses_dynamic_stack: false
    .vgpr_count:     0
    .vgpr_spill_count: 0
    .wavefront_size: 64
  - .agpr_count:     0
    .args:
      - .offset:         0
        .size:           48
        .value_kind:     by_value
    .group_segment_fixed_size: 0
    .kernarg_segment_align: 8
    .kernarg_segment_size: 48
    .language:       OpenCL C
    .language_version:
      - 2
      - 0
    .max_flat_workgroup_size: 256
    .name:           _ZN7rocprim17ROCPRIM_400000_NS6detail17trampoline_kernelINS0_13kernel_configILj256ELj4ELj4294967295EEENS1_37radix_sort_block_sort_config_selectorIaNS0_10empty_typeEEEZNS1_21radix_sort_block_sortIS4_Lb0EPaS9_PS6_SA_NS0_19identity_decomposerEEE10hipError_tT1_T2_T3_T4_jRjT5_jjP12ihipStream_tbEUlT_E_NS1_11comp_targetILNS1_3genE10ELNS1_11target_archE1201ELNS1_3gpuE5ELNS1_3repE0EEENS1_44radix_sort_block_sort_config_static_selectorELNS0_4arch9wavefront6targetE1EEEvSD_
    .private_segment_fixed_size: 0
    .sgpr_count:     4
    .sgpr_spill_count: 0
    .symbol:         _ZN7rocprim17ROCPRIM_400000_NS6detail17trampoline_kernelINS0_13kernel_configILj256ELj4ELj4294967295EEENS1_37radix_sort_block_sort_config_selectorIaNS0_10empty_typeEEEZNS1_21radix_sort_block_sortIS4_Lb0EPaS9_PS6_SA_NS0_19identity_decomposerEEE10hipError_tT1_T2_T3_T4_jRjT5_jjP12ihipStream_tbEUlT_E_NS1_11comp_targetILNS1_3genE10ELNS1_11target_archE1201ELNS1_3gpuE5ELNS1_3repE0EEENS1_44radix_sort_block_sort_config_static_selectorELNS0_4arch9wavefront6targetE1EEEvSD_.kd
    .uniform_work_group_size: 1
    .uses_dynamic_stack: false
    .vgpr_count:     0
    .vgpr_spill_count: 0
    .wavefront_size: 64
  - .agpr_count:     0
    .args:
      - .offset:         0
        .size:           48
        .value_kind:     by_value
    .group_segment_fixed_size: 0
    .kernarg_segment_align: 8
    .kernarg_segment_size: 48
    .language:       OpenCL C
    .language_version:
      - 2
      - 0
    .max_flat_workgroup_size: 256
    .name:           _ZN7rocprim17ROCPRIM_400000_NS6detail17trampoline_kernelINS0_13kernel_configILj256ELj4ELj4294967295EEENS1_37radix_sort_block_sort_config_selectorIaNS0_10empty_typeEEEZNS1_21radix_sort_block_sortIS4_Lb0EPaS9_PS6_SA_NS0_19identity_decomposerEEE10hipError_tT1_T2_T3_T4_jRjT5_jjP12ihipStream_tbEUlT_E_NS1_11comp_targetILNS1_3genE10ELNS1_11target_archE1200ELNS1_3gpuE4ELNS1_3repE0EEENS1_44radix_sort_block_sort_config_static_selectorELNS0_4arch9wavefront6targetE1EEEvSD_
    .private_segment_fixed_size: 0
    .sgpr_count:     4
    .sgpr_spill_count: 0
    .symbol:         _ZN7rocprim17ROCPRIM_400000_NS6detail17trampoline_kernelINS0_13kernel_configILj256ELj4ELj4294967295EEENS1_37radix_sort_block_sort_config_selectorIaNS0_10empty_typeEEEZNS1_21radix_sort_block_sortIS4_Lb0EPaS9_PS6_SA_NS0_19identity_decomposerEEE10hipError_tT1_T2_T3_T4_jRjT5_jjP12ihipStream_tbEUlT_E_NS1_11comp_targetILNS1_3genE10ELNS1_11target_archE1200ELNS1_3gpuE4ELNS1_3repE0EEENS1_44radix_sort_block_sort_config_static_selectorELNS0_4arch9wavefront6targetE1EEEvSD_.kd
    .uniform_work_group_size: 1
    .uses_dynamic_stack: false
    .vgpr_count:     0
    .vgpr_spill_count: 0
    .wavefront_size: 64
  - .agpr_count:     0
    .args:
      - .offset:         0
        .size:           48
        .value_kind:     by_value
    .group_segment_fixed_size: 0
    .kernarg_segment_align: 8
    .kernarg_segment_size: 48
    .language:       OpenCL C
    .language_version:
      - 2
      - 0
    .max_flat_workgroup_size: 256
    .name:           _ZN7rocprim17ROCPRIM_400000_NS6detail17trampoline_kernelINS0_13kernel_configILj256ELj4ELj4294967295EEENS1_37radix_sort_block_sort_config_selectorIaNS0_10empty_typeEEEZNS1_21radix_sort_block_sortIS4_Lb0EPaS9_PS6_SA_NS0_19identity_decomposerEEE10hipError_tT1_T2_T3_T4_jRjT5_jjP12ihipStream_tbEUlT_E_NS1_11comp_targetILNS1_3genE9ELNS1_11target_archE1100ELNS1_3gpuE3ELNS1_3repE0EEENS1_44radix_sort_block_sort_config_static_selectorELNS0_4arch9wavefront6targetE1EEEvSD_
    .private_segment_fixed_size: 0
    .sgpr_count:     4
    .sgpr_spill_count: 0
    .symbol:         _ZN7rocprim17ROCPRIM_400000_NS6detail17trampoline_kernelINS0_13kernel_configILj256ELj4ELj4294967295EEENS1_37radix_sort_block_sort_config_selectorIaNS0_10empty_typeEEEZNS1_21radix_sort_block_sortIS4_Lb0EPaS9_PS6_SA_NS0_19identity_decomposerEEE10hipError_tT1_T2_T3_T4_jRjT5_jjP12ihipStream_tbEUlT_E_NS1_11comp_targetILNS1_3genE9ELNS1_11target_archE1100ELNS1_3gpuE3ELNS1_3repE0EEENS1_44radix_sort_block_sort_config_static_selectorELNS0_4arch9wavefront6targetE1EEEvSD_.kd
    .uniform_work_group_size: 1
    .uses_dynamic_stack: false
    .vgpr_count:     0
    .vgpr_spill_count: 0
    .wavefront_size: 64
  - .agpr_count:     0
    .args:
      - .offset:         0
        .size:           48
        .value_kind:     by_value
    .group_segment_fixed_size: 0
    .kernarg_segment_align: 8
    .kernarg_segment_size: 48
    .language:       OpenCL C
    .language_version:
      - 2
      - 0
    .max_flat_workgroup_size: 256
    .name:           _ZN7rocprim17ROCPRIM_400000_NS6detail17trampoline_kernelINS0_13kernel_configILj256ELj4ELj4294967295EEENS1_37radix_sort_block_sort_config_selectorIaNS0_10empty_typeEEEZNS1_21radix_sort_block_sortIS4_Lb0EPaS9_PS6_SA_NS0_19identity_decomposerEEE10hipError_tT1_T2_T3_T4_jRjT5_jjP12ihipStream_tbEUlT_E_NS1_11comp_targetILNS1_3genE8ELNS1_11target_archE1030ELNS1_3gpuE2ELNS1_3repE0EEENS1_44radix_sort_block_sort_config_static_selectorELNS0_4arch9wavefront6targetE1EEEvSD_
    .private_segment_fixed_size: 0
    .sgpr_count:     4
    .sgpr_spill_count: 0
    .symbol:         _ZN7rocprim17ROCPRIM_400000_NS6detail17trampoline_kernelINS0_13kernel_configILj256ELj4ELj4294967295EEENS1_37radix_sort_block_sort_config_selectorIaNS0_10empty_typeEEEZNS1_21radix_sort_block_sortIS4_Lb0EPaS9_PS6_SA_NS0_19identity_decomposerEEE10hipError_tT1_T2_T3_T4_jRjT5_jjP12ihipStream_tbEUlT_E_NS1_11comp_targetILNS1_3genE8ELNS1_11target_archE1030ELNS1_3gpuE2ELNS1_3repE0EEENS1_44radix_sort_block_sort_config_static_selectorELNS0_4arch9wavefront6targetE1EEEvSD_.kd
    .uniform_work_group_size: 1
    .uses_dynamic_stack: false
    .vgpr_count:     0
    .vgpr_spill_count: 0
    .wavefront_size: 64
  - .agpr_count:     0
    .args:           []
    .group_segment_fixed_size: 0
    .kernarg_segment_align: 4
    .kernarg_segment_size: 0
    .language:       OpenCL C
    .language_version:
      - 2
      - 0
    .max_flat_workgroup_size: 1024
    .name:           _ZN7rocprim17ROCPRIM_400000_NS6detail44device_merge_sort_compile_time_verifier_archINS1_11comp_targetILNS1_3genE0ELNS1_11target_archE4294967295ELNS1_3gpuE0ELNS1_3repE0EEES8_NS1_28merge_sort_block_sort_configILj256ELj4ELNS0_20block_sort_algorithmE0EEENS0_14default_configENS1_37merge_sort_block_sort_config_selectorIaNS0_10empty_typeEEENS1_38merge_sort_block_merge_config_selectorIaSE_EEEEvv
    .private_segment_fixed_size: 0
    .sgpr_count:     4
    .sgpr_spill_count: 0
    .symbol:         _ZN7rocprim17ROCPRIM_400000_NS6detail44device_merge_sort_compile_time_verifier_archINS1_11comp_targetILNS1_3genE0ELNS1_11target_archE4294967295ELNS1_3gpuE0ELNS1_3repE0EEES8_NS1_28merge_sort_block_sort_configILj256ELj4ELNS0_20block_sort_algorithmE0EEENS0_14default_configENS1_37merge_sort_block_sort_config_selectorIaNS0_10empty_typeEEENS1_38merge_sort_block_merge_config_selectorIaSE_EEEEvv.kd
    .uniform_work_group_size: 1
    .uses_dynamic_stack: false
    .vgpr_count:     0
    .vgpr_spill_count: 0
    .wavefront_size: 64
  - .agpr_count:     0
    .args:           []
    .group_segment_fixed_size: 0
    .kernarg_segment_align: 4
    .kernarg_segment_size: 0
    .language:       OpenCL C
    .language_version:
      - 2
      - 0
    .max_flat_workgroup_size: 1024
    .name:           _ZN7rocprim17ROCPRIM_400000_NS6detail44device_merge_sort_compile_time_verifier_archINS1_11comp_targetILNS1_3genE5ELNS1_11target_archE942ELNS1_3gpuE9ELNS1_3repE0EEES8_NS1_28merge_sort_block_sort_configILj256ELj4ELNS0_20block_sort_algorithmE0EEENS0_14default_configENS1_37merge_sort_block_sort_config_selectorIaNS0_10empty_typeEEENS1_38merge_sort_block_merge_config_selectorIaSE_EEEEvv
    .private_segment_fixed_size: 0
    .sgpr_count:     4
    .sgpr_spill_count: 0
    .symbol:         _ZN7rocprim17ROCPRIM_400000_NS6detail44device_merge_sort_compile_time_verifier_archINS1_11comp_targetILNS1_3genE5ELNS1_11target_archE942ELNS1_3gpuE9ELNS1_3repE0EEES8_NS1_28merge_sort_block_sort_configILj256ELj4ELNS0_20block_sort_algorithmE0EEENS0_14default_configENS1_37merge_sort_block_sort_config_selectorIaNS0_10empty_typeEEENS1_38merge_sort_block_merge_config_selectorIaSE_EEEEvv.kd
    .uniform_work_group_size: 1
    .uses_dynamic_stack: false
    .vgpr_count:     0
    .vgpr_spill_count: 0
    .wavefront_size: 64
  - .agpr_count:     0
    .args:           []
    .group_segment_fixed_size: 0
    .kernarg_segment_align: 4
    .kernarg_segment_size: 0
    .language:       OpenCL C
    .language_version:
      - 2
      - 0
    .max_flat_workgroup_size: 1024
    .name:           _ZN7rocprim17ROCPRIM_400000_NS6detail44device_merge_sort_compile_time_verifier_archINS1_11comp_targetILNS1_3genE4ELNS1_11target_archE910ELNS1_3gpuE8ELNS1_3repE0EEES8_NS1_28merge_sort_block_sort_configILj256ELj4ELNS0_20block_sort_algorithmE0EEENS0_14default_configENS1_37merge_sort_block_sort_config_selectorIaNS0_10empty_typeEEENS1_38merge_sort_block_merge_config_selectorIaSE_EEEEvv
    .private_segment_fixed_size: 0
    .sgpr_count:     4
    .sgpr_spill_count: 0
    .symbol:         _ZN7rocprim17ROCPRIM_400000_NS6detail44device_merge_sort_compile_time_verifier_archINS1_11comp_targetILNS1_3genE4ELNS1_11target_archE910ELNS1_3gpuE8ELNS1_3repE0EEES8_NS1_28merge_sort_block_sort_configILj256ELj4ELNS0_20block_sort_algorithmE0EEENS0_14default_configENS1_37merge_sort_block_sort_config_selectorIaNS0_10empty_typeEEENS1_38merge_sort_block_merge_config_selectorIaSE_EEEEvv.kd
    .uniform_work_group_size: 1
    .uses_dynamic_stack: false
    .vgpr_count:     0
    .vgpr_spill_count: 0
    .wavefront_size: 64
  - .agpr_count:     0
    .args:           []
    .group_segment_fixed_size: 0
    .kernarg_segment_align: 4
    .kernarg_segment_size: 0
    .language:       OpenCL C
    .language_version:
      - 2
      - 0
    .max_flat_workgroup_size: 1024
    .name:           _ZN7rocprim17ROCPRIM_400000_NS6detail44device_merge_sort_compile_time_verifier_archINS1_11comp_targetILNS1_3genE3ELNS1_11target_archE908ELNS1_3gpuE7ELNS1_3repE0EEES8_NS1_28merge_sort_block_sort_configILj256ELj4ELNS0_20block_sort_algorithmE0EEENS0_14default_configENS1_37merge_sort_block_sort_config_selectorIaNS0_10empty_typeEEENS1_38merge_sort_block_merge_config_selectorIaSE_EEEEvv
    .private_segment_fixed_size: 0
    .sgpr_count:     4
    .sgpr_spill_count: 0
    .symbol:         _ZN7rocprim17ROCPRIM_400000_NS6detail44device_merge_sort_compile_time_verifier_archINS1_11comp_targetILNS1_3genE3ELNS1_11target_archE908ELNS1_3gpuE7ELNS1_3repE0EEES8_NS1_28merge_sort_block_sort_configILj256ELj4ELNS0_20block_sort_algorithmE0EEENS0_14default_configENS1_37merge_sort_block_sort_config_selectorIaNS0_10empty_typeEEENS1_38merge_sort_block_merge_config_selectorIaSE_EEEEvv.kd
    .uniform_work_group_size: 1
    .uses_dynamic_stack: false
    .vgpr_count:     0
    .vgpr_spill_count: 0
    .wavefront_size: 64
  - .agpr_count:     0
    .args:           []
    .group_segment_fixed_size: 0
    .kernarg_segment_align: 4
    .kernarg_segment_size: 0
    .language:       OpenCL C
    .language_version:
      - 2
      - 0
    .max_flat_workgroup_size: 1024
    .name:           _ZN7rocprim17ROCPRIM_400000_NS6detail44device_merge_sort_compile_time_verifier_archINS1_11comp_targetILNS1_3genE2ELNS1_11target_archE906ELNS1_3gpuE6ELNS1_3repE0EEES8_NS1_28merge_sort_block_sort_configILj256ELj4ELNS0_20block_sort_algorithmE0EEENS0_14default_configENS1_37merge_sort_block_sort_config_selectorIaNS0_10empty_typeEEENS1_38merge_sort_block_merge_config_selectorIaSE_EEEEvv
    .private_segment_fixed_size: 0
    .sgpr_count:     4
    .sgpr_spill_count: 0
    .symbol:         _ZN7rocprim17ROCPRIM_400000_NS6detail44device_merge_sort_compile_time_verifier_archINS1_11comp_targetILNS1_3genE2ELNS1_11target_archE906ELNS1_3gpuE6ELNS1_3repE0EEES8_NS1_28merge_sort_block_sort_configILj256ELj4ELNS0_20block_sort_algorithmE0EEENS0_14default_configENS1_37merge_sort_block_sort_config_selectorIaNS0_10empty_typeEEENS1_38merge_sort_block_merge_config_selectorIaSE_EEEEvv.kd
    .uniform_work_group_size: 1
    .uses_dynamic_stack: false
    .vgpr_count:     0
    .vgpr_spill_count: 0
    .wavefront_size: 64
  - .agpr_count:     0
    .args:           []
    .group_segment_fixed_size: 0
    .kernarg_segment_align: 4
    .kernarg_segment_size: 0
    .language:       OpenCL C
    .language_version:
      - 2
      - 0
    .max_flat_workgroup_size: 1024
    .name:           _ZN7rocprim17ROCPRIM_400000_NS6detail44device_merge_sort_compile_time_verifier_archINS1_11comp_targetILNS1_3genE10ELNS1_11target_archE1201ELNS1_3gpuE5ELNS1_3repE0EEES8_NS1_28merge_sort_block_sort_configILj256ELj4ELNS0_20block_sort_algorithmE0EEENS0_14default_configENS1_37merge_sort_block_sort_config_selectorIaNS0_10empty_typeEEENS1_38merge_sort_block_merge_config_selectorIaSE_EEEEvv
    .private_segment_fixed_size: 0
    .sgpr_count:     4
    .sgpr_spill_count: 0
    .symbol:         _ZN7rocprim17ROCPRIM_400000_NS6detail44device_merge_sort_compile_time_verifier_archINS1_11comp_targetILNS1_3genE10ELNS1_11target_archE1201ELNS1_3gpuE5ELNS1_3repE0EEES8_NS1_28merge_sort_block_sort_configILj256ELj4ELNS0_20block_sort_algorithmE0EEENS0_14default_configENS1_37merge_sort_block_sort_config_selectorIaNS0_10empty_typeEEENS1_38merge_sort_block_merge_config_selectorIaSE_EEEEvv.kd
    .uniform_work_group_size: 1
    .uses_dynamic_stack: false
    .vgpr_count:     0
    .vgpr_spill_count: 0
    .wavefront_size: 64
  - .agpr_count:     0
    .args:           []
    .group_segment_fixed_size: 0
    .kernarg_segment_align: 4
    .kernarg_segment_size: 0
    .language:       OpenCL C
    .language_version:
      - 2
      - 0
    .max_flat_workgroup_size: 1024
    .name:           _ZN7rocprim17ROCPRIM_400000_NS6detail44device_merge_sort_compile_time_verifier_archINS1_11comp_targetILNS1_3genE10ELNS1_11target_archE1200ELNS1_3gpuE4ELNS1_3repE0EEENS3_ILS4_10ELS5_1201ELS6_5ELS7_0EEENS1_28merge_sort_block_sort_configILj256ELj4ELNS0_20block_sort_algorithmE0EEENS0_14default_configENS1_37merge_sort_block_sort_config_selectorIaNS0_10empty_typeEEENS1_38merge_sort_block_merge_config_selectorIaSF_EEEEvv
    .private_segment_fixed_size: 0
    .sgpr_count:     4
    .sgpr_spill_count: 0
    .symbol:         _ZN7rocprim17ROCPRIM_400000_NS6detail44device_merge_sort_compile_time_verifier_archINS1_11comp_targetILNS1_3genE10ELNS1_11target_archE1200ELNS1_3gpuE4ELNS1_3repE0EEENS3_ILS4_10ELS5_1201ELS6_5ELS7_0EEENS1_28merge_sort_block_sort_configILj256ELj4ELNS0_20block_sort_algorithmE0EEENS0_14default_configENS1_37merge_sort_block_sort_config_selectorIaNS0_10empty_typeEEENS1_38merge_sort_block_merge_config_selectorIaSF_EEEEvv.kd
    .uniform_work_group_size: 1
    .uses_dynamic_stack: false
    .vgpr_count:     0
    .vgpr_spill_count: 0
    .wavefront_size: 64
  - .agpr_count:     0
    .args:           []
    .group_segment_fixed_size: 0
    .kernarg_segment_align: 4
    .kernarg_segment_size: 0
    .language:       OpenCL C
    .language_version:
      - 2
      - 0
    .max_flat_workgroup_size: 1024
    .name:           _ZN7rocprim17ROCPRIM_400000_NS6detail44device_merge_sort_compile_time_verifier_archINS1_11comp_targetILNS1_3genE9ELNS1_11target_archE1100ELNS1_3gpuE3ELNS1_3repE0EEES8_NS1_28merge_sort_block_sort_configILj256ELj4ELNS0_20block_sort_algorithmE0EEENS0_14default_configENS1_37merge_sort_block_sort_config_selectorIaNS0_10empty_typeEEENS1_38merge_sort_block_merge_config_selectorIaSE_EEEEvv
    .private_segment_fixed_size: 0
    .sgpr_count:     4
    .sgpr_spill_count: 0
    .symbol:         _ZN7rocprim17ROCPRIM_400000_NS6detail44device_merge_sort_compile_time_verifier_archINS1_11comp_targetILNS1_3genE9ELNS1_11target_archE1100ELNS1_3gpuE3ELNS1_3repE0EEES8_NS1_28merge_sort_block_sort_configILj256ELj4ELNS0_20block_sort_algorithmE0EEENS0_14default_configENS1_37merge_sort_block_sort_config_selectorIaNS0_10empty_typeEEENS1_38merge_sort_block_merge_config_selectorIaSE_EEEEvv.kd
    .uniform_work_group_size: 1
    .uses_dynamic_stack: false
    .vgpr_count:     0
    .vgpr_spill_count: 0
    .wavefront_size: 64
  - .agpr_count:     0
    .args:           []
    .group_segment_fixed_size: 0
    .kernarg_segment_align: 4
    .kernarg_segment_size: 0
    .language:       OpenCL C
    .language_version:
      - 2
      - 0
    .max_flat_workgroup_size: 1024
    .name:           _ZN7rocprim17ROCPRIM_400000_NS6detail44device_merge_sort_compile_time_verifier_archINS1_11comp_targetILNS1_3genE8ELNS1_11target_archE1030ELNS1_3gpuE2ELNS1_3repE0EEES8_NS1_28merge_sort_block_sort_configILj256ELj4ELNS0_20block_sort_algorithmE0EEENS0_14default_configENS1_37merge_sort_block_sort_config_selectorIaNS0_10empty_typeEEENS1_38merge_sort_block_merge_config_selectorIaSE_EEEEvv
    .private_segment_fixed_size: 0
    .sgpr_count:     4
    .sgpr_spill_count: 0
    .symbol:         _ZN7rocprim17ROCPRIM_400000_NS6detail44device_merge_sort_compile_time_verifier_archINS1_11comp_targetILNS1_3genE8ELNS1_11target_archE1030ELNS1_3gpuE2ELNS1_3repE0EEES8_NS1_28merge_sort_block_sort_configILj256ELj4ELNS0_20block_sort_algorithmE0EEENS0_14default_configENS1_37merge_sort_block_sort_config_selectorIaNS0_10empty_typeEEENS1_38merge_sort_block_merge_config_selectorIaSE_EEEEvv.kd
    .uniform_work_group_size: 1
    .uses_dynamic_stack: false
    .vgpr_count:     0
    .vgpr_spill_count: 0
    .wavefront_size: 64
  - .agpr_count:     0
    .args:
      - .offset:         0
        .size:           40
        .value_kind:     by_value
    .group_segment_fixed_size: 0
    .kernarg_segment_align: 8
    .kernarg_segment_size: 40
    .language:       OpenCL C
    .language_version:
      - 2
      - 0
    .max_flat_workgroup_size: 128
    .name:           _ZN7rocprim17ROCPRIM_400000_NS6detail17trampoline_kernelINS0_14default_configENS1_38merge_sort_block_merge_config_selectorIaNS0_10empty_typeEEEZZNS1_27merge_sort_block_merge_implIS3_PaPS5_jNS1_19radix_merge_compareILb0ELb0EaNS0_19identity_decomposerEEEEE10hipError_tT0_T1_T2_jT3_P12ihipStream_tbPNSt15iterator_traitsISE_E10value_typeEPNSK_ISF_E10value_typeEPSG_NS1_7vsmem_tEENKUlT_SE_SF_SG_E_clIS8_S8_S9_S9_EESD_ST_SE_SF_SG_EUlST_E_NS1_11comp_targetILNS1_3genE0ELNS1_11target_archE4294967295ELNS1_3gpuE0ELNS1_3repE0EEENS1_48merge_mergepath_partition_config_static_selectorELNS0_4arch9wavefront6targetE1EEEvSF_
    .private_segment_fixed_size: 0
    .sgpr_count:     4
    .sgpr_spill_count: 0
    .symbol:         _ZN7rocprim17ROCPRIM_400000_NS6detail17trampoline_kernelINS0_14default_configENS1_38merge_sort_block_merge_config_selectorIaNS0_10empty_typeEEEZZNS1_27merge_sort_block_merge_implIS3_PaPS5_jNS1_19radix_merge_compareILb0ELb0EaNS0_19identity_decomposerEEEEE10hipError_tT0_T1_T2_jT3_P12ihipStream_tbPNSt15iterator_traitsISE_E10value_typeEPNSK_ISF_E10value_typeEPSG_NS1_7vsmem_tEENKUlT_SE_SF_SG_E_clIS8_S8_S9_S9_EESD_ST_SE_SF_SG_EUlST_E_NS1_11comp_targetILNS1_3genE0ELNS1_11target_archE4294967295ELNS1_3gpuE0ELNS1_3repE0EEENS1_48merge_mergepath_partition_config_static_selectorELNS0_4arch9wavefront6targetE1EEEvSF_.kd
    .uniform_work_group_size: 1
    .uses_dynamic_stack: false
    .vgpr_count:     0
    .vgpr_spill_count: 0
    .wavefront_size: 64
  - .agpr_count:     0
    .args:
      - .offset:         0
        .size:           40
        .value_kind:     by_value
    .group_segment_fixed_size: 0
    .kernarg_segment_align: 8
    .kernarg_segment_size: 40
    .language:       OpenCL C
    .language_version:
      - 2
      - 0
    .max_flat_workgroup_size: 128
    .name:           _ZN7rocprim17ROCPRIM_400000_NS6detail17trampoline_kernelINS0_14default_configENS1_38merge_sort_block_merge_config_selectorIaNS0_10empty_typeEEEZZNS1_27merge_sort_block_merge_implIS3_PaPS5_jNS1_19radix_merge_compareILb0ELb0EaNS0_19identity_decomposerEEEEE10hipError_tT0_T1_T2_jT3_P12ihipStream_tbPNSt15iterator_traitsISE_E10value_typeEPNSK_ISF_E10value_typeEPSG_NS1_7vsmem_tEENKUlT_SE_SF_SG_E_clIS8_S8_S9_S9_EESD_ST_SE_SF_SG_EUlST_E_NS1_11comp_targetILNS1_3genE10ELNS1_11target_archE1201ELNS1_3gpuE5ELNS1_3repE0EEENS1_48merge_mergepath_partition_config_static_selectorELNS0_4arch9wavefront6targetE1EEEvSF_
    .private_segment_fixed_size: 0
    .sgpr_count:     4
    .sgpr_spill_count: 0
    .symbol:         _ZN7rocprim17ROCPRIM_400000_NS6detail17trampoline_kernelINS0_14default_configENS1_38merge_sort_block_merge_config_selectorIaNS0_10empty_typeEEEZZNS1_27merge_sort_block_merge_implIS3_PaPS5_jNS1_19radix_merge_compareILb0ELb0EaNS0_19identity_decomposerEEEEE10hipError_tT0_T1_T2_jT3_P12ihipStream_tbPNSt15iterator_traitsISE_E10value_typeEPNSK_ISF_E10value_typeEPSG_NS1_7vsmem_tEENKUlT_SE_SF_SG_E_clIS8_S8_S9_S9_EESD_ST_SE_SF_SG_EUlST_E_NS1_11comp_targetILNS1_3genE10ELNS1_11target_archE1201ELNS1_3gpuE5ELNS1_3repE0EEENS1_48merge_mergepath_partition_config_static_selectorELNS0_4arch9wavefront6targetE1EEEvSF_.kd
    .uniform_work_group_size: 1
    .uses_dynamic_stack: false
    .vgpr_count:     0
    .vgpr_spill_count: 0
    .wavefront_size: 64
  - .agpr_count:     0
    .args:
      - .offset:         0
        .size:           40
        .value_kind:     by_value
    .group_segment_fixed_size: 0
    .kernarg_segment_align: 8
    .kernarg_segment_size: 40
    .language:       OpenCL C
    .language_version:
      - 2
      - 0
    .max_flat_workgroup_size: 128
    .name:           _ZN7rocprim17ROCPRIM_400000_NS6detail17trampoline_kernelINS0_14default_configENS1_38merge_sort_block_merge_config_selectorIaNS0_10empty_typeEEEZZNS1_27merge_sort_block_merge_implIS3_PaPS5_jNS1_19radix_merge_compareILb0ELb0EaNS0_19identity_decomposerEEEEE10hipError_tT0_T1_T2_jT3_P12ihipStream_tbPNSt15iterator_traitsISE_E10value_typeEPNSK_ISF_E10value_typeEPSG_NS1_7vsmem_tEENKUlT_SE_SF_SG_E_clIS8_S8_S9_S9_EESD_ST_SE_SF_SG_EUlST_E_NS1_11comp_targetILNS1_3genE5ELNS1_11target_archE942ELNS1_3gpuE9ELNS1_3repE0EEENS1_48merge_mergepath_partition_config_static_selectorELNS0_4arch9wavefront6targetE1EEEvSF_
    .private_segment_fixed_size: 0
    .sgpr_count:     4
    .sgpr_spill_count: 0
    .symbol:         _ZN7rocprim17ROCPRIM_400000_NS6detail17trampoline_kernelINS0_14default_configENS1_38merge_sort_block_merge_config_selectorIaNS0_10empty_typeEEEZZNS1_27merge_sort_block_merge_implIS3_PaPS5_jNS1_19radix_merge_compareILb0ELb0EaNS0_19identity_decomposerEEEEE10hipError_tT0_T1_T2_jT3_P12ihipStream_tbPNSt15iterator_traitsISE_E10value_typeEPNSK_ISF_E10value_typeEPSG_NS1_7vsmem_tEENKUlT_SE_SF_SG_E_clIS8_S8_S9_S9_EESD_ST_SE_SF_SG_EUlST_E_NS1_11comp_targetILNS1_3genE5ELNS1_11target_archE942ELNS1_3gpuE9ELNS1_3repE0EEENS1_48merge_mergepath_partition_config_static_selectorELNS0_4arch9wavefront6targetE1EEEvSF_.kd
    .uniform_work_group_size: 1
    .uses_dynamic_stack: false
    .vgpr_count:     0
    .vgpr_spill_count: 0
    .wavefront_size: 64
  - .agpr_count:     0
    .args:
      - .offset:         0
        .size:           40
        .value_kind:     by_value
    .group_segment_fixed_size: 0
    .kernarg_segment_align: 8
    .kernarg_segment_size: 40
    .language:       OpenCL C
    .language_version:
      - 2
      - 0
    .max_flat_workgroup_size: 128
    .name:           _ZN7rocprim17ROCPRIM_400000_NS6detail17trampoline_kernelINS0_14default_configENS1_38merge_sort_block_merge_config_selectorIaNS0_10empty_typeEEEZZNS1_27merge_sort_block_merge_implIS3_PaPS5_jNS1_19radix_merge_compareILb0ELb0EaNS0_19identity_decomposerEEEEE10hipError_tT0_T1_T2_jT3_P12ihipStream_tbPNSt15iterator_traitsISE_E10value_typeEPNSK_ISF_E10value_typeEPSG_NS1_7vsmem_tEENKUlT_SE_SF_SG_E_clIS8_S8_S9_S9_EESD_ST_SE_SF_SG_EUlST_E_NS1_11comp_targetILNS1_3genE4ELNS1_11target_archE910ELNS1_3gpuE8ELNS1_3repE0EEENS1_48merge_mergepath_partition_config_static_selectorELNS0_4arch9wavefront6targetE1EEEvSF_
    .private_segment_fixed_size: 0
    .sgpr_count:     12
    .sgpr_spill_count: 0
    .symbol:         _ZN7rocprim17ROCPRIM_400000_NS6detail17trampoline_kernelINS0_14default_configENS1_38merge_sort_block_merge_config_selectorIaNS0_10empty_typeEEEZZNS1_27merge_sort_block_merge_implIS3_PaPS5_jNS1_19radix_merge_compareILb0ELb0EaNS0_19identity_decomposerEEEEE10hipError_tT0_T1_T2_jT3_P12ihipStream_tbPNSt15iterator_traitsISE_E10value_typeEPNSK_ISF_E10value_typeEPSG_NS1_7vsmem_tEENKUlT_SE_SF_SG_E_clIS8_S8_S9_S9_EESD_ST_SE_SF_SG_EUlST_E_NS1_11comp_targetILNS1_3genE4ELNS1_11target_archE910ELNS1_3gpuE8ELNS1_3repE0EEENS1_48merge_mergepath_partition_config_static_selectorELNS0_4arch9wavefront6targetE1EEEvSF_.kd
    .uniform_work_group_size: 1
    .uses_dynamic_stack: false
    .vgpr_count:     16
    .vgpr_spill_count: 0
    .wavefront_size: 64
  - .agpr_count:     0
    .args:
      - .offset:         0
        .size:           40
        .value_kind:     by_value
    .group_segment_fixed_size: 0
    .kernarg_segment_align: 8
    .kernarg_segment_size: 40
    .language:       OpenCL C
    .language_version:
      - 2
      - 0
    .max_flat_workgroup_size: 128
    .name:           _ZN7rocprim17ROCPRIM_400000_NS6detail17trampoline_kernelINS0_14default_configENS1_38merge_sort_block_merge_config_selectorIaNS0_10empty_typeEEEZZNS1_27merge_sort_block_merge_implIS3_PaPS5_jNS1_19radix_merge_compareILb0ELb0EaNS0_19identity_decomposerEEEEE10hipError_tT0_T1_T2_jT3_P12ihipStream_tbPNSt15iterator_traitsISE_E10value_typeEPNSK_ISF_E10value_typeEPSG_NS1_7vsmem_tEENKUlT_SE_SF_SG_E_clIS8_S8_S9_S9_EESD_ST_SE_SF_SG_EUlST_E_NS1_11comp_targetILNS1_3genE3ELNS1_11target_archE908ELNS1_3gpuE7ELNS1_3repE0EEENS1_48merge_mergepath_partition_config_static_selectorELNS0_4arch9wavefront6targetE1EEEvSF_
    .private_segment_fixed_size: 0
    .sgpr_count:     4
    .sgpr_spill_count: 0
    .symbol:         _ZN7rocprim17ROCPRIM_400000_NS6detail17trampoline_kernelINS0_14default_configENS1_38merge_sort_block_merge_config_selectorIaNS0_10empty_typeEEEZZNS1_27merge_sort_block_merge_implIS3_PaPS5_jNS1_19radix_merge_compareILb0ELb0EaNS0_19identity_decomposerEEEEE10hipError_tT0_T1_T2_jT3_P12ihipStream_tbPNSt15iterator_traitsISE_E10value_typeEPNSK_ISF_E10value_typeEPSG_NS1_7vsmem_tEENKUlT_SE_SF_SG_E_clIS8_S8_S9_S9_EESD_ST_SE_SF_SG_EUlST_E_NS1_11comp_targetILNS1_3genE3ELNS1_11target_archE908ELNS1_3gpuE7ELNS1_3repE0EEENS1_48merge_mergepath_partition_config_static_selectorELNS0_4arch9wavefront6targetE1EEEvSF_.kd
    .uniform_work_group_size: 1
    .uses_dynamic_stack: false
    .vgpr_count:     0
    .vgpr_spill_count: 0
    .wavefront_size: 64
  - .agpr_count:     0
    .args:
      - .offset:         0
        .size:           40
        .value_kind:     by_value
    .group_segment_fixed_size: 0
    .kernarg_segment_align: 8
    .kernarg_segment_size: 40
    .language:       OpenCL C
    .language_version:
      - 2
      - 0
    .max_flat_workgroup_size: 128
    .name:           _ZN7rocprim17ROCPRIM_400000_NS6detail17trampoline_kernelINS0_14default_configENS1_38merge_sort_block_merge_config_selectorIaNS0_10empty_typeEEEZZNS1_27merge_sort_block_merge_implIS3_PaPS5_jNS1_19radix_merge_compareILb0ELb0EaNS0_19identity_decomposerEEEEE10hipError_tT0_T1_T2_jT3_P12ihipStream_tbPNSt15iterator_traitsISE_E10value_typeEPNSK_ISF_E10value_typeEPSG_NS1_7vsmem_tEENKUlT_SE_SF_SG_E_clIS8_S8_S9_S9_EESD_ST_SE_SF_SG_EUlST_E_NS1_11comp_targetILNS1_3genE2ELNS1_11target_archE906ELNS1_3gpuE6ELNS1_3repE0EEENS1_48merge_mergepath_partition_config_static_selectorELNS0_4arch9wavefront6targetE1EEEvSF_
    .private_segment_fixed_size: 0
    .sgpr_count:     4
    .sgpr_spill_count: 0
    .symbol:         _ZN7rocprim17ROCPRIM_400000_NS6detail17trampoline_kernelINS0_14default_configENS1_38merge_sort_block_merge_config_selectorIaNS0_10empty_typeEEEZZNS1_27merge_sort_block_merge_implIS3_PaPS5_jNS1_19radix_merge_compareILb0ELb0EaNS0_19identity_decomposerEEEEE10hipError_tT0_T1_T2_jT3_P12ihipStream_tbPNSt15iterator_traitsISE_E10value_typeEPNSK_ISF_E10value_typeEPSG_NS1_7vsmem_tEENKUlT_SE_SF_SG_E_clIS8_S8_S9_S9_EESD_ST_SE_SF_SG_EUlST_E_NS1_11comp_targetILNS1_3genE2ELNS1_11target_archE906ELNS1_3gpuE6ELNS1_3repE0EEENS1_48merge_mergepath_partition_config_static_selectorELNS0_4arch9wavefront6targetE1EEEvSF_.kd
    .uniform_work_group_size: 1
    .uses_dynamic_stack: false
    .vgpr_count:     0
    .vgpr_spill_count: 0
    .wavefront_size: 64
  - .agpr_count:     0
    .args:
      - .offset:         0
        .size:           40
        .value_kind:     by_value
    .group_segment_fixed_size: 0
    .kernarg_segment_align: 8
    .kernarg_segment_size: 40
    .language:       OpenCL C
    .language_version:
      - 2
      - 0
    .max_flat_workgroup_size: 128
    .name:           _ZN7rocprim17ROCPRIM_400000_NS6detail17trampoline_kernelINS0_14default_configENS1_38merge_sort_block_merge_config_selectorIaNS0_10empty_typeEEEZZNS1_27merge_sort_block_merge_implIS3_PaPS5_jNS1_19radix_merge_compareILb0ELb0EaNS0_19identity_decomposerEEEEE10hipError_tT0_T1_T2_jT3_P12ihipStream_tbPNSt15iterator_traitsISE_E10value_typeEPNSK_ISF_E10value_typeEPSG_NS1_7vsmem_tEENKUlT_SE_SF_SG_E_clIS8_S8_S9_S9_EESD_ST_SE_SF_SG_EUlST_E_NS1_11comp_targetILNS1_3genE9ELNS1_11target_archE1100ELNS1_3gpuE3ELNS1_3repE0EEENS1_48merge_mergepath_partition_config_static_selectorELNS0_4arch9wavefront6targetE1EEEvSF_
    .private_segment_fixed_size: 0
    .sgpr_count:     4
    .sgpr_spill_count: 0
    .symbol:         _ZN7rocprim17ROCPRIM_400000_NS6detail17trampoline_kernelINS0_14default_configENS1_38merge_sort_block_merge_config_selectorIaNS0_10empty_typeEEEZZNS1_27merge_sort_block_merge_implIS3_PaPS5_jNS1_19radix_merge_compareILb0ELb0EaNS0_19identity_decomposerEEEEE10hipError_tT0_T1_T2_jT3_P12ihipStream_tbPNSt15iterator_traitsISE_E10value_typeEPNSK_ISF_E10value_typeEPSG_NS1_7vsmem_tEENKUlT_SE_SF_SG_E_clIS8_S8_S9_S9_EESD_ST_SE_SF_SG_EUlST_E_NS1_11comp_targetILNS1_3genE9ELNS1_11target_archE1100ELNS1_3gpuE3ELNS1_3repE0EEENS1_48merge_mergepath_partition_config_static_selectorELNS0_4arch9wavefront6targetE1EEEvSF_.kd
    .uniform_work_group_size: 1
    .uses_dynamic_stack: false
    .vgpr_count:     0
    .vgpr_spill_count: 0
    .wavefront_size: 64
  - .agpr_count:     0
    .args:
      - .offset:         0
        .size:           40
        .value_kind:     by_value
    .group_segment_fixed_size: 0
    .kernarg_segment_align: 8
    .kernarg_segment_size: 40
    .language:       OpenCL C
    .language_version:
      - 2
      - 0
    .max_flat_workgroup_size: 128
    .name:           _ZN7rocprim17ROCPRIM_400000_NS6detail17trampoline_kernelINS0_14default_configENS1_38merge_sort_block_merge_config_selectorIaNS0_10empty_typeEEEZZNS1_27merge_sort_block_merge_implIS3_PaPS5_jNS1_19radix_merge_compareILb0ELb0EaNS0_19identity_decomposerEEEEE10hipError_tT0_T1_T2_jT3_P12ihipStream_tbPNSt15iterator_traitsISE_E10value_typeEPNSK_ISF_E10value_typeEPSG_NS1_7vsmem_tEENKUlT_SE_SF_SG_E_clIS8_S8_S9_S9_EESD_ST_SE_SF_SG_EUlST_E_NS1_11comp_targetILNS1_3genE8ELNS1_11target_archE1030ELNS1_3gpuE2ELNS1_3repE0EEENS1_48merge_mergepath_partition_config_static_selectorELNS0_4arch9wavefront6targetE1EEEvSF_
    .private_segment_fixed_size: 0
    .sgpr_count:     4
    .sgpr_spill_count: 0
    .symbol:         _ZN7rocprim17ROCPRIM_400000_NS6detail17trampoline_kernelINS0_14default_configENS1_38merge_sort_block_merge_config_selectorIaNS0_10empty_typeEEEZZNS1_27merge_sort_block_merge_implIS3_PaPS5_jNS1_19radix_merge_compareILb0ELb0EaNS0_19identity_decomposerEEEEE10hipError_tT0_T1_T2_jT3_P12ihipStream_tbPNSt15iterator_traitsISE_E10value_typeEPNSK_ISF_E10value_typeEPSG_NS1_7vsmem_tEENKUlT_SE_SF_SG_E_clIS8_S8_S9_S9_EESD_ST_SE_SF_SG_EUlST_E_NS1_11comp_targetILNS1_3genE8ELNS1_11target_archE1030ELNS1_3gpuE2ELNS1_3repE0EEENS1_48merge_mergepath_partition_config_static_selectorELNS0_4arch9wavefront6targetE1EEEvSF_.kd
    .uniform_work_group_size: 1
    .uses_dynamic_stack: false
    .vgpr_count:     0
    .vgpr_spill_count: 0
    .wavefront_size: 64
  - .agpr_count:     0
    .args:
      - .offset:         0
        .size:           64
        .value_kind:     by_value
    .group_segment_fixed_size: 0
    .kernarg_segment_align: 8
    .kernarg_segment_size: 64
    .language:       OpenCL C
    .language_version:
      - 2
      - 0
    .max_flat_workgroup_size: 128
    .name:           _ZN7rocprim17ROCPRIM_400000_NS6detail17trampoline_kernelINS0_14default_configENS1_38merge_sort_block_merge_config_selectorIaNS0_10empty_typeEEEZZNS1_27merge_sort_block_merge_implIS3_PaPS5_jNS1_19radix_merge_compareILb0ELb0EaNS0_19identity_decomposerEEEEE10hipError_tT0_T1_T2_jT3_P12ihipStream_tbPNSt15iterator_traitsISE_E10value_typeEPNSK_ISF_E10value_typeEPSG_NS1_7vsmem_tEENKUlT_SE_SF_SG_E_clIS8_S8_S9_S9_EESD_ST_SE_SF_SG_EUlST_E0_NS1_11comp_targetILNS1_3genE0ELNS1_11target_archE4294967295ELNS1_3gpuE0ELNS1_3repE0EEENS1_38merge_mergepath_config_static_selectorELNS0_4arch9wavefront6targetE1EEEvSF_
    .private_segment_fixed_size: 0
    .sgpr_count:     4
    .sgpr_spill_count: 0
    .symbol:         _ZN7rocprim17ROCPRIM_400000_NS6detail17trampoline_kernelINS0_14default_configENS1_38merge_sort_block_merge_config_selectorIaNS0_10empty_typeEEEZZNS1_27merge_sort_block_merge_implIS3_PaPS5_jNS1_19radix_merge_compareILb0ELb0EaNS0_19identity_decomposerEEEEE10hipError_tT0_T1_T2_jT3_P12ihipStream_tbPNSt15iterator_traitsISE_E10value_typeEPNSK_ISF_E10value_typeEPSG_NS1_7vsmem_tEENKUlT_SE_SF_SG_E_clIS8_S8_S9_S9_EESD_ST_SE_SF_SG_EUlST_E0_NS1_11comp_targetILNS1_3genE0ELNS1_11target_archE4294967295ELNS1_3gpuE0ELNS1_3repE0EEENS1_38merge_mergepath_config_static_selectorELNS0_4arch9wavefront6targetE1EEEvSF_.kd
    .uniform_work_group_size: 1
    .uses_dynamic_stack: false
    .vgpr_count:     0
    .vgpr_spill_count: 0
    .wavefront_size: 64
  - .agpr_count:     0
    .args:
      - .offset:         0
        .size:           64
        .value_kind:     by_value
    .group_segment_fixed_size: 0
    .kernarg_segment_align: 8
    .kernarg_segment_size: 64
    .language:       OpenCL C
    .language_version:
      - 2
      - 0
    .max_flat_workgroup_size: 128
    .name:           _ZN7rocprim17ROCPRIM_400000_NS6detail17trampoline_kernelINS0_14default_configENS1_38merge_sort_block_merge_config_selectorIaNS0_10empty_typeEEEZZNS1_27merge_sort_block_merge_implIS3_PaPS5_jNS1_19radix_merge_compareILb0ELb0EaNS0_19identity_decomposerEEEEE10hipError_tT0_T1_T2_jT3_P12ihipStream_tbPNSt15iterator_traitsISE_E10value_typeEPNSK_ISF_E10value_typeEPSG_NS1_7vsmem_tEENKUlT_SE_SF_SG_E_clIS8_S8_S9_S9_EESD_ST_SE_SF_SG_EUlST_E0_NS1_11comp_targetILNS1_3genE10ELNS1_11target_archE1201ELNS1_3gpuE5ELNS1_3repE0EEENS1_38merge_mergepath_config_static_selectorELNS0_4arch9wavefront6targetE1EEEvSF_
    .private_segment_fixed_size: 0
    .sgpr_count:     4
    .sgpr_spill_count: 0
    .symbol:         _ZN7rocprim17ROCPRIM_400000_NS6detail17trampoline_kernelINS0_14default_configENS1_38merge_sort_block_merge_config_selectorIaNS0_10empty_typeEEEZZNS1_27merge_sort_block_merge_implIS3_PaPS5_jNS1_19radix_merge_compareILb0ELb0EaNS0_19identity_decomposerEEEEE10hipError_tT0_T1_T2_jT3_P12ihipStream_tbPNSt15iterator_traitsISE_E10value_typeEPNSK_ISF_E10value_typeEPSG_NS1_7vsmem_tEENKUlT_SE_SF_SG_E_clIS8_S8_S9_S9_EESD_ST_SE_SF_SG_EUlST_E0_NS1_11comp_targetILNS1_3genE10ELNS1_11target_archE1201ELNS1_3gpuE5ELNS1_3repE0EEENS1_38merge_mergepath_config_static_selectorELNS0_4arch9wavefront6targetE1EEEvSF_.kd
    .uniform_work_group_size: 1
    .uses_dynamic_stack: false
    .vgpr_count:     0
    .vgpr_spill_count: 0
    .wavefront_size: 64
  - .agpr_count:     0
    .args:
      - .offset:         0
        .size:           64
        .value_kind:     by_value
    .group_segment_fixed_size: 0
    .kernarg_segment_align: 8
    .kernarg_segment_size: 64
    .language:       OpenCL C
    .language_version:
      - 2
      - 0
    .max_flat_workgroup_size: 128
    .name:           _ZN7rocprim17ROCPRIM_400000_NS6detail17trampoline_kernelINS0_14default_configENS1_38merge_sort_block_merge_config_selectorIaNS0_10empty_typeEEEZZNS1_27merge_sort_block_merge_implIS3_PaPS5_jNS1_19radix_merge_compareILb0ELb0EaNS0_19identity_decomposerEEEEE10hipError_tT0_T1_T2_jT3_P12ihipStream_tbPNSt15iterator_traitsISE_E10value_typeEPNSK_ISF_E10value_typeEPSG_NS1_7vsmem_tEENKUlT_SE_SF_SG_E_clIS8_S8_S9_S9_EESD_ST_SE_SF_SG_EUlST_E0_NS1_11comp_targetILNS1_3genE5ELNS1_11target_archE942ELNS1_3gpuE9ELNS1_3repE0EEENS1_38merge_mergepath_config_static_selectorELNS0_4arch9wavefront6targetE1EEEvSF_
    .private_segment_fixed_size: 0
    .sgpr_count:     4
    .sgpr_spill_count: 0
    .symbol:         _ZN7rocprim17ROCPRIM_400000_NS6detail17trampoline_kernelINS0_14default_configENS1_38merge_sort_block_merge_config_selectorIaNS0_10empty_typeEEEZZNS1_27merge_sort_block_merge_implIS3_PaPS5_jNS1_19radix_merge_compareILb0ELb0EaNS0_19identity_decomposerEEEEE10hipError_tT0_T1_T2_jT3_P12ihipStream_tbPNSt15iterator_traitsISE_E10value_typeEPNSK_ISF_E10value_typeEPSG_NS1_7vsmem_tEENKUlT_SE_SF_SG_E_clIS8_S8_S9_S9_EESD_ST_SE_SF_SG_EUlST_E0_NS1_11comp_targetILNS1_3genE5ELNS1_11target_archE942ELNS1_3gpuE9ELNS1_3repE0EEENS1_38merge_mergepath_config_static_selectorELNS0_4arch9wavefront6targetE1EEEvSF_.kd
    .uniform_work_group_size: 1
    .uses_dynamic_stack: false
    .vgpr_count:     0
    .vgpr_spill_count: 0
    .wavefront_size: 64
  - .agpr_count:     0
    .args:
      - .offset:         0
        .size:           64
        .value_kind:     by_value
      - .offset:         64
        .size:           4
        .value_kind:     hidden_block_count_x
      - .offset:         68
        .size:           4
        .value_kind:     hidden_block_count_y
      - .offset:         72
        .size:           4
        .value_kind:     hidden_block_count_z
      - .offset:         76
        .size:           2
        .value_kind:     hidden_group_size_x
      - .offset:         78
        .size:           2
        .value_kind:     hidden_group_size_y
      - .offset:         80
        .size:           2
        .value_kind:     hidden_group_size_z
      - .offset:         82
        .size:           2
        .value_kind:     hidden_remainder_x
      - .offset:         84
        .size:           2
        .value_kind:     hidden_remainder_y
      - .offset:         86
        .size:           2
        .value_kind:     hidden_remainder_z
      - .offset:         104
        .size:           8
        .value_kind:     hidden_global_offset_x
      - .offset:         112
        .size:           8
        .value_kind:     hidden_global_offset_y
      - .offset:         120
        .size:           8
        .value_kind:     hidden_global_offset_z
      - .offset:         128
        .size:           2
        .value_kind:     hidden_grid_dims
    .group_segment_fixed_size: 1056
    .kernarg_segment_align: 8
    .kernarg_segment_size: 320
    .language:       OpenCL C
    .language_version:
      - 2
      - 0
    .max_flat_workgroup_size: 128
    .name:           _ZN7rocprim17ROCPRIM_400000_NS6detail17trampoline_kernelINS0_14default_configENS1_38merge_sort_block_merge_config_selectorIaNS0_10empty_typeEEEZZNS1_27merge_sort_block_merge_implIS3_PaPS5_jNS1_19radix_merge_compareILb0ELb0EaNS0_19identity_decomposerEEEEE10hipError_tT0_T1_T2_jT3_P12ihipStream_tbPNSt15iterator_traitsISE_E10value_typeEPNSK_ISF_E10value_typeEPSG_NS1_7vsmem_tEENKUlT_SE_SF_SG_E_clIS8_S8_S9_S9_EESD_ST_SE_SF_SG_EUlST_E0_NS1_11comp_targetILNS1_3genE4ELNS1_11target_archE910ELNS1_3gpuE8ELNS1_3repE0EEENS1_38merge_mergepath_config_static_selectorELNS0_4arch9wavefront6targetE1EEEvSF_
    .private_segment_fixed_size: 0
    .sgpr_count:     28
    .sgpr_spill_count: 0
    .symbol:         _ZN7rocprim17ROCPRIM_400000_NS6detail17trampoline_kernelINS0_14default_configENS1_38merge_sort_block_merge_config_selectorIaNS0_10empty_typeEEEZZNS1_27merge_sort_block_merge_implIS3_PaPS5_jNS1_19radix_merge_compareILb0ELb0EaNS0_19identity_decomposerEEEEE10hipError_tT0_T1_T2_jT3_P12ihipStream_tbPNSt15iterator_traitsISE_E10value_typeEPNSK_ISF_E10value_typeEPSG_NS1_7vsmem_tEENKUlT_SE_SF_SG_E_clIS8_S8_S9_S9_EESD_ST_SE_SF_SG_EUlST_E0_NS1_11comp_targetILNS1_3genE4ELNS1_11target_archE910ELNS1_3gpuE8ELNS1_3repE0EEENS1_38merge_mergepath_config_static_selectorELNS0_4arch9wavefront6targetE1EEEvSF_.kd
    .uniform_work_group_size: 1
    .uses_dynamic_stack: false
    .vgpr_count:     28
    .vgpr_spill_count: 0
    .wavefront_size: 64
  - .agpr_count:     0
    .args:
      - .offset:         0
        .size:           64
        .value_kind:     by_value
    .group_segment_fixed_size: 0
    .kernarg_segment_align: 8
    .kernarg_segment_size: 64
    .language:       OpenCL C
    .language_version:
      - 2
      - 0
    .max_flat_workgroup_size: 128
    .name:           _ZN7rocprim17ROCPRIM_400000_NS6detail17trampoline_kernelINS0_14default_configENS1_38merge_sort_block_merge_config_selectorIaNS0_10empty_typeEEEZZNS1_27merge_sort_block_merge_implIS3_PaPS5_jNS1_19radix_merge_compareILb0ELb0EaNS0_19identity_decomposerEEEEE10hipError_tT0_T1_T2_jT3_P12ihipStream_tbPNSt15iterator_traitsISE_E10value_typeEPNSK_ISF_E10value_typeEPSG_NS1_7vsmem_tEENKUlT_SE_SF_SG_E_clIS8_S8_S9_S9_EESD_ST_SE_SF_SG_EUlST_E0_NS1_11comp_targetILNS1_3genE3ELNS1_11target_archE908ELNS1_3gpuE7ELNS1_3repE0EEENS1_38merge_mergepath_config_static_selectorELNS0_4arch9wavefront6targetE1EEEvSF_
    .private_segment_fixed_size: 0
    .sgpr_count:     4
    .sgpr_spill_count: 0
    .symbol:         _ZN7rocprim17ROCPRIM_400000_NS6detail17trampoline_kernelINS0_14default_configENS1_38merge_sort_block_merge_config_selectorIaNS0_10empty_typeEEEZZNS1_27merge_sort_block_merge_implIS3_PaPS5_jNS1_19radix_merge_compareILb0ELb0EaNS0_19identity_decomposerEEEEE10hipError_tT0_T1_T2_jT3_P12ihipStream_tbPNSt15iterator_traitsISE_E10value_typeEPNSK_ISF_E10value_typeEPSG_NS1_7vsmem_tEENKUlT_SE_SF_SG_E_clIS8_S8_S9_S9_EESD_ST_SE_SF_SG_EUlST_E0_NS1_11comp_targetILNS1_3genE3ELNS1_11target_archE908ELNS1_3gpuE7ELNS1_3repE0EEENS1_38merge_mergepath_config_static_selectorELNS0_4arch9wavefront6targetE1EEEvSF_.kd
    .uniform_work_group_size: 1
    .uses_dynamic_stack: false
    .vgpr_count:     0
    .vgpr_spill_count: 0
    .wavefront_size: 64
  - .agpr_count:     0
    .args:
      - .offset:         0
        .size:           64
        .value_kind:     by_value
    .group_segment_fixed_size: 0
    .kernarg_segment_align: 8
    .kernarg_segment_size: 64
    .language:       OpenCL C
    .language_version:
      - 2
      - 0
    .max_flat_workgroup_size: 128
    .name:           _ZN7rocprim17ROCPRIM_400000_NS6detail17trampoline_kernelINS0_14default_configENS1_38merge_sort_block_merge_config_selectorIaNS0_10empty_typeEEEZZNS1_27merge_sort_block_merge_implIS3_PaPS5_jNS1_19radix_merge_compareILb0ELb0EaNS0_19identity_decomposerEEEEE10hipError_tT0_T1_T2_jT3_P12ihipStream_tbPNSt15iterator_traitsISE_E10value_typeEPNSK_ISF_E10value_typeEPSG_NS1_7vsmem_tEENKUlT_SE_SF_SG_E_clIS8_S8_S9_S9_EESD_ST_SE_SF_SG_EUlST_E0_NS1_11comp_targetILNS1_3genE2ELNS1_11target_archE906ELNS1_3gpuE6ELNS1_3repE0EEENS1_38merge_mergepath_config_static_selectorELNS0_4arch9wavefront6targetE1EEEvSF_
    .private_segment_fixed_size: 0
    .sgpr_count:     4
    .sgpr_spill_count: 0
    .symbol:         _ZN7rocprim17ROCPRIM_400000_NS6detail17trampoline_kernelINS0_14default_configENS1_38merge_sort_block_merge_config_selectorIaNS0_10empty_typeEEEZZNS1_27merge_sort_block_merge_implIS3_PaPS5_jNS1_19radix_merge_compareILb0ELb0EaNS0_19identity_decomposerEEEEE10hipError_tT0_T1_T2_jT3_P12ihipStream_tbPNSt15iterator_traitsISE_E10value_typeEPNSK_ISF_E10value_typeEPSG_NS1_7vsmem_tEENKUlT_SE_SF_SG_E_clIS8_S8_S9_S9_EESD_ST_SE_SF_SG_EUlST_E0_NS1_11comp_targetILNS1_3genE2ELNS1_11target_archE906ELNS1_3gpuE6ELNS1_3repE0EEENS1_38merge_mergepath_config_static_selectorELNS0_4arch9wavefront6targetE1EEEvSF_.kd
    .uniform_work_group_size: 1
    .uses_dynamic_stack: false
    .vgpr_count:     0
    .vgpr_spill_count: 0
    .wavefront_size: 64
  - .agpr_count:     0
    .args:
      - .offset:         0
        .size:           64
        .value_kind:     by_value
    .group_segment_fixed_size: 0
    .kernarg_segment_align: 8
    .kernarg_segment_size: 64
    .language:       OpenCL C
    .language_version:
      - 2
      - 0
    .max_flat_workgroup_size: 128
    .name:           _ZN7rocprim17ROCPRIM_400000_NS6detail17trampoline_kernelINS0_14default_configENS1_38merge_sort_block_merge_config_selectorIaNS0_10empty_typeEEEZZNS1_27merge_sort_block_merge_implIS3_PaPS5_jNS1_19radix_merge_compareILb0ELb0EaNS0_19identity_decomposerEEEEE10hipError_tT0_T1_T2_jT3_P12ihipStream_tbPNSt15iterator_traitsISE_E10value_typeEPNSK_ISF_E10value_typeEPSG_NS1_7vsmem_tEENKUlT_SE_SF_SG_E_clIS8_S8_S9_S9_EESD_ST_SE_SF_SG_EUlST_E0_NS1_11comp_targetILNS1_3genE9ELNS1_11target_archE1100ELNS1_3gpuE3ELNS1_3repE0EEENS1_38merge_mergepath_config_static_selectorELNS0_4arch9wavefront6targetE1EEEvSF_
    .private_segment_fixed_size: 0
    .sgpr_count:     4
    .sgpr_spill_count: 0
    .symbol:         _ZN7rocprim17ROCPRIM_400000_NS6detail17trampoline_kernelINS0_14default_configENS1_38merge_sort_block_merge_config_selectorIaNS0_10empty_typeEEEZZNS1_27merge_sort_block_merge_implIS3_PaPS5_jNS1_19radix_merge_compareILb0ELb0EaNS0_19identity_decomposerEEEEE10hipError_tT0_T1_T2_jT3_P12ihipStream_tbPNSt15iterator_traitsISE_E10value_typeEPNSK_ISF_E10value_typeEPSG_NS1_7vsmem_tEENKUlT_SE_SF_SG_E_clIS8_S8_S9_S9_EESD_ST_SE_SF_SG_EUlST_E0_NS1_11comp_targetILNS1_3genE9ELNS1_11target_archE1100ELNS1_3gpuE3ELNS1_3repE0EEENS1_38merge_mergepath_config_static_selectorELNS0_4arch9wavefront6targetE1EEEvSF_.kd
    .uniform_work_group_size: 1
    .uses_dynamic_stack: false
    .vgpr_count:     0
    .vgpr_spill_count: 0
    .wavefront_size: 64
  - .agpr_count:     0
    .args:
      - .offset:         0
        .size:           64
        .value_kind:     by_value
    .group_segment_fixed_size: 0
    .kernarg_segment_align: 8
    .kernarg_segment_size: 64
    .language:       OpenCL C
    .language_version:
      - 2
      - 0
    .max_flat_workgroup_size: 128
    .name:           _ZN7rocprim17ROCPRIM_400000_NS6detail17trampoline_kernelINS0_14default_configENS1_38merge_sort_block_merge_config_selectorIaNS0_10empty_typeEEEZZNS1_27merge_sort_block_merge_implIS3_PaPS5_jNS1_19radix_merge_compareILb0ELb0EaNS0_19identity_decomposerEEEEE10hipError_tT0_T1_T2_jT3_P12ihipStream_tbPNSt15iterator_traitsISE_E10value_typeEPNSK_ISF_E10value_typeEPSG_NS1_7vsmem_tEENKUlT_SE_SF_SG_E_clIS8_S8_S9_S9_EESD_ST_SE_SF_SG_EUlST_E0_NS1_11comp_targetILNS1_3genE8ELNS1_11target_archE1030ELNS1_3gpuE2ELNS1_3repE0EEENS1_38merge_mergepath_config_static_selectorELNS0_4arch9wavefront6targetE1EEEvSF_
    .private_segment_fixed_size: 0
    .sgpr_count:     4
    .sgpr_spill_count: 0
    .symbol:         _ZN7rocprim17ROCPRIM_400000_NS6detail17trampoline_kernelINS0_14default_configENS1_38merge_sort_block_merge_config_selectorIaNS0_10empty_typeEEEZZNS1_27merge_sort_block_merge_implIS3_PaPS5_jNS1_19radix_merge_compareILb0ELb0EaNS0_19identity_decomposerEEEEE10hipError_tT0_T1_T2_jT3_P12ihipStream_tbPNSt15iterator_traitsISE_E10value_typeEPNSK_ISF_E10value_typeEPSG_NS1_7vsmem_tEENKUlT_SE_SF_SG_E_clIS8_S8_S9_S9_EESD_ST_SE_SF_SG_EUlST_E0_NS1_11comp_targetILNS1_3genE8ELNS1_11target_archE1030ELNS1_3gpuE2ELNS1_3repE0EEENS1_38merge_mergepath_config_static_selectorELNS0_4arch9wavefront6targetE1EEEvSF_.kd
    .uniform_work_group_size: 1
    .uses_dynamic_stack: false
    .vgpr_count:     0
    .vgpr_spill_count: 0
    .wavefront_size: 64
  - .agpr_count:     0
    .args:
      - .offset:         0
        .size:           48
        .value_kind:     by_value
    .group_segment_fixed_size: 0
    .kernarg_segment_align: 8
    .kernarg_segment_size: 48
    .language:       OpenCL C
    .language_version:
      - 2
      - 0
    .max_flat_workgroup_size: 256
    .name:           _ZN7rocprim17ROCPRIM_400000_NS6detail17trampoline_kernelINS0_14default_configENS1_38merge_sort_block_merge_config_selectorIaNS0_10empty_typeEEEZZNS1_27merge_sort_block_merge_implIS3_PaPS5_jNS1_19radix_merge_compareILb0ELb0EaNS0_19identity_decomposerEEEEE10hipError_tT0_T1_T2_jT3_P12ihipStream_tbPNSt15iterator_traitsISE_E10value_typeEPNSK_ISF_E10value_typeEPSG_NS1_7vsmem_tEENKUlT_SE_SF_SG_E_clIS8_S8_S9_S9_EESD_ST_SE_SF_SG_EUlST_E1_NS1_11comp_targetILNS1_3genE0ELNS1_11target_archE4294967295ELNS1_3gpuE0ELNS1_3repE0EEENS1_36merge_oddeven_config_static_selectorELNS0_4arch9wavefront6targetE1EEEvSF_
    .private_segment_fixed_size: 0
    .sgpr_count:     4
    .sgpr_spill_count: 0
    .symbol:         _ZN7rocprim17ROCPRIM_400000_NS6detail17trampoline_kernelINS0_14default_configENS1_38merge_sort_block_merge_config_selectorIaNS0_10empty_typeEEEZZNS1_27merge_sort_block_merge_implIS3_PaPS5_jNS1_19radix_merge_compareILb0ELb0EaNS0_19identity_decomposerEEEEE10hipError_tT0_T1_T2_jT3_P12ihipStream_tbPNSt15iterator_traitsISE_E10value_typeEPNSK_ISF_E10value_typeEPSG_NS1_7vsmem_tEENKUlT_SE_SF_SG_E_clIS8_S8_S9_S9_EESD_ST_SE_SF_SG_EUlST_E1_NS1_11comp_targetILNS1_3genE0ELNS1_11target_archE4294967295ELNS1_3gpuE0ELNS1_3repE0EEENS1_36merge_oddeven_config_static_selectorELNS0_4arch9wavefront6targetE1EEEvSF_.kd
    .uniform_work_group_size: 1
    .uses_dynamic_stack: false
    .vgpr_count:     0
    .vgpr_spill_count: 0
    .wavefront_size: 64
  - .agpr_count:     0
    .args:
      - .offset:         0
        .size:           48
        .value_kind:     by_value
    .group_segment_fixed_size: 0
    .kernarg_segment_align: 8
    .kernarg_segment_size: 48
    .language:       OpenCL C
    .language_version:
      - 2
      - 0
    .max_flat_workgroup_size: 256
    .name:           _ZN7rocprim17ROCPRIM_400000_NS6detail17trampoline_kernelINS0_14default_configENS1_38merge_sort_block_merge_config_selectorIaNS0_10empty_typeEEEZZNS1_27merge_sort_block_merge_implIS3_PaPS5_jNS1_19radix_merge_compareILb0ELb0EaNS0_19identity_decomposerEEEEE10hipError_tT0_T1_T2_jT3_P12ihipStream_tbPNSt15iterator_traitsISE_E10value_typeEPNSK_ISF_E10value_typeEPSG_NS1_7vsmem_tEENKUlT_SE_SF_SG_E_clIS8_S8_S9_S9_EESD_ST_SE_SF_SG_EUlST_E1_NS1_11comp_targetILNS1_3genE10ELNS1_11target_archE1201ELNS1_3gpuE5ELNS1_3repE0EEENS1_36merge_oddeven_config_static_selectorELNS0_4arch9wavefront6targetE1EEEvSF_
    .private_segment_fixed_size: 0
    .sgpr_count:     4
    .sgpr_spill_count: 0
    .symbol:         _ZN7rocprim17ROCPRIM_400000_NS6detail17trampoline_kernelINS0_14default_configENS1_38merge_sort_block_merge_config_selectorIaNS0_10empty_typeEEEZZNS1_27merge_sort_block_merge_implIS3_PaPS5_jNS1_19radix_merge_compareILb0ELb0EaNS0_19identity_decomposerEEEEE10hipError_tT0_T1_T2_jT3_P12ihipStream_tbPNSt15iterator_traitsISE_E10value_typeEPNSK_ISF_E10value_typeEPSG_NS1_7vsmem_tEENKUlT_SE_SF_SG_E_clIS8_S8_S9_S9_EESD_ST_SE_SF_SG_EUlST_E1_NS1_11comp_targetILNS1_3genE10ELNS1_11target_archE1201ELNS1_3gpuE5ELNS1_3repE0EEENS1_36merge_oddeven_config_static_selectorELNS0_4arch9wavefront6targetE1EEEvSF_.kd
    .uniform_work_group_size: 1
    .uses_dynamic_stack: false
    .vgpr_count:     0
    .vgpr_spill_count: 0
    .wavefront_size: 64
  - .agpr_count:     0
    .args:
      - .offset:         0
        .size:           48
        .value_kind:     by_value
    .group_segment_fixed_size: 0
    .kernarg_segment_align: 8
    .kernarg_segment_size: 48
    .language:       OpenCL C
    .language_version:
      - 2
      - 0
    .max_flat_workgroup_size: 256
    .name:           _ZN7rocprim17ROCPRIM_400000_NS6detail17trampoline_kernelINS0_14default_configENS1_38merge_sort_block_merge_config_selectorIaNS0_10empty_typeEEEZZNS1_27merge_sort_block_merge_implIS3_PaPS5_jNS1_19radix_merge_compareILb0ELb0EaNS0_19identity_decomposerEEEEE10hipError_tT0_T1_T2_jT3_P12ihipStream_tbPNSt15iterator_traitsISE_E10value_typeEPNSK_ISF_E10value_typeEPSG_NS1_7vsmem_tEENKUlT_SE_SF_SG_E_clIS8_S8_S9_S9_EESD_ST_SE_SF_SG_EUlST_E1_NS1_11comp_targetILNS1_3genE5ELNS1_11target_archE942ELNS1_3gpuE9ELNS1_3repE0EEENS1_36merge_oddeven_config_static_selectorELNS0_4arch9wavefront6targetE1EEEvSF_
    .private_segment_fixed_size: 0
    .sgpr_count:     4
    .sgpr_spill_count: 0
    .symbol:         _ZN7rocprim17ROCPRIM_400000_NS6detail17trampoline_kernelINS0_14default_configENS1_38merge_sort_block_merge_config_selectorIaNS0_10empty_typeEEEZZNS1_27merge_sort_block_merge_implIS3_PaPS5_jNS1_19radix_merge_compareILb0ELb0EaNS0_19identity_decomposerEEEEE10hipError_tT0_T1_T2_jT3_P12ihipStream_tbPNSt15iterator_traitsISE_E10value_typeEPNSK_ISF_E10value_typeEPSG_NS1_7vsmem_tEENKUlT_SE_SF_SG_E_clIS8_S8_S9_S9_EESD_ST_SE_SF_SG_EUlST_E1_NS1_11comp_targetILNS1_3genE5ELNS1_11target_archE942ELNS1_3gpuE9ELNS1_3repE0EEENS1_36merge_oddeven_config_static_selectorELNS0_4arch9wavefront6targetE1EEEvSF_.kd
    .uniform_work_group_size: 1
    .uses_dynamic_stack: false
    .vgpr_count:     0
    .vgpr_spill_count: 0
    .wavefront_size: 64
  - .agpr_count:     0
    .args:
      - .offset:         0
        .size:           48
        .value_kind:     by_value
    .group_segment_fixed_size: 0
    .kernarg_segment_align: 8
    .kernarg_segment_size: 48
    .language:       OpenCL C
    .language_version:
      - 2
      - 0
    .max_flat_workgroup_size: 256
    .name:           _ZN7rocprim17ROCPRIM_400000_NS6detail17trampoline_kernelINS0_14default_configENS1_38merge_sort_block_merge_config_selectorIaNS0_10empty_typeEEEZZNS1_27merge_sort_block_merge_implIS3_PaPS5_jNS1_19radix_merge_compareILb0ELb0EaNS0_19identity_decomposerEEEEE10hipError_tT0_T1_T2_jT3_P12ihipStream_tbPNSt15iterator_traitsISE_E10value_typeEPNSK_ISF_E10value_typeEPSG_NS1_7vsmem_tEENKUlT_SE_SF_SG_E_clIS8_S8_S9_S9_EESD_ST_SE_SF_SG_EUlST_E1_NS1_11comp_targetILNS1_3genE4ELNS1_11target_archE910ELNS1_3gpuE8ELNS1_3repE0EEENS1_36merge_oddeven_config_static_selectorELNS0_4arch9wavefront6targetE1EEEvSF_
    .private_segment_fixed_size: 0
    .sgpr_count:     24
    .sgpr_spill_count: 0
    .symbol:         _ZN7rocprim17ROCPRIM_400000_NS6detail17trampoline_kernelINS0_14default_configENS1_38merge_sort_block_merge_config_selectorIaNS0_10empty_typeEEEZZNS1_27merge_sort_block_merge_implIS3_PaPS5_jNS1_19radix_merge_compareILb0ELb0EaNS0_19identity_decomposerEEEEE10hipError_tT0_T1_T2_jT3_P12ihipStream_tbPNSt15iterator_traitsISE_E10value_typeEPNSK_ISF_E10value_typeEPSG_NS1_7vsmem_tEENKUlT_SE_SF_SG_E_clIS8_S8_S9_S9_EESD_ST_SE_SF_SG_EUlST_E1_NS1_11comp_targetILNS1_3genE4ELNS1_11target_archE910ELNS1_3gpuE8ELNS1_3repE0EEENS1_36merge_oddeven_config_static_selectorELNS0_4arch9wavefront6targetE1EEEvSF_.kd
    .uniform_work_group_size: 1
    .uses_dynamic_stack: false
    .vgpr_count:     8
    .vgpr_spill_count: 0
    .wavefront_size: 64
  - .agpr_count:     0
    .args:
      - .offset:         0
        .size:           48
        .value_kind:     by_value
    .group_segment_fixed_size: 0
    .kernarg_segment_align: 8
    .kernarg_segment_size: 48
    .language:       OpenCL C
    .language_version:
      - 2
      - 0
    .max_flat_workgroup_size: 256
    .name:           _ZN7rocprim17ROCPRIM_400000_NS6detail17trampoline_kernelINS0_14default_configENS1_38merge_sort_block_merge_config_selectorIaNS0_10empty_typeEEEZZNS1_27merge_sort_block_merge_implIS3_PaPS5_jNS1_19radix_merge_compareILb0ELb0EaNS0_19identity_decomposerEEEEE10hipError_tT0_T1_T2_jT3_P12ihipStream_tbPNSt15iterator_traitsISE_E10value_typeEPNSK_ISF_E10value_typeEPSG_NS1_7vsmem_tEENKUlT_SE_SF_SG_E_clIS8_S8_S9_S9_EESD_ST_SE_SF_SG_EUlST_E1_NS1_11comp_targetILNS1_3genE3ELNS1_11target_archE908ELNS1_3gpuE7ELNS1_3repE0EEENS1_36merge_oddeven_config_static_selectorELNS0_4arch9wavefront6targetE1EEEvSF_
    .private_segment_fixed_size: 0
    .sgpr_count:     4
    .sgpr_spill_count: 0
    .symbol:         _ZN7rocprim17ROCPRIM_400000_NS6detail17trampoline_kernelINS0_14default_configENS1_38merge_sort_block_merge_config_selectorIaNS0_10empty_typeEEEZZNS1_27merge_sort_block_merge_implIS3_PaPS5_jNS1_19radix_merge_compareILb0ELb0EaNS0_19identity_decomposerEEEEE10hipError_tT0_T1_T2_jT3_P12ihipStream_tbPNSt15iterator_traitsISE_E10value_typeEPNSK_ISF_E10value_typeEPSG_NS1_7vsmem_tEENKUlT_SE_SF_SG_E_clIS8_S8_S9_S9_EESD_ST_SE_SF_SG_EUlST_E1_NS1_11comp_targetILNS1_3genE3ELNS1_11target_archE908ELNS1_3gpuE7ELNS1_3repE0EEENS1_36merge_oddeven_config_static_selectorELNS0_4arch9wavefront6targetE1EEEvSF_.kd
    .uniform_work_group_size: 1
    .uses_dynamic_stack: false
    .vgpr_count:     0
    .vgpr_spill_count: 0
    .wavefront_size: 64
  - .agpr_count:     0
    .args:
      - .offset:         0
        .size:           48
        .value_kind:     by_value
    .group_segment_fixed_size: 0
    .kernarg_segment_align: 8
    .kernarg_segment_size: 48
    .language:       OpenCL C
    .language_version:
      - 2
      - 0
    .max_flat_workgroup_size: 256
    .name:           _ZN7rocprim17ROCPRIM_400000_NS6detail17trampoline_kernelINS0_14default_configENS1_38merge_sort_block_merge_config_selectorIaNS0_10empty_typeEEEZZNS1_27merge_sort_block_merge_implIS3_PaPS5_jNS1_19radix_merge_compareILb0ELb0EaNS0_19identity_decomposerEEEEE10hipError_tT0_T1_T2_jT3_P12ihipStream_tbPNSt15iterator_traitsISE_E10value_typeEPNSK_ISF_E10value_typeEPSG_NS1_7vsmem_tEENKUlT_SE_SF_SG_E_clIS8_S8_S9_S9_EESD_ST_SE_SF_SG_EUlST_E1_NS1_11comp_targetILNS1_3genE2ELNS1_11target_archE906ELNS1_3gpuE6ELNS1_3repE0EEENS1_36merge_oddeven_config_static_selectorELNS0_4arch9wavefront6targetE1EEEvSF_
    .private_segment_fixed_size: 0
    .sgpr_count:     4
    .sgpr_spill_count: 0
    .symbol:         _ZN7rocprim17ROCPRIM_400000_NS6detail17trampoline_kernelINS0_14default_configENS1_38merge_sort_block_merge_config_selectorIaNS0_10empty_typeEEEZZNS1_27merge_sort_block_merge_implIS3_PaPS5_jNS1_19radix_merge_compareILb0ELb0EaNS0_19identity_decomposerEEEEE10hipError_tT0_T1_T2_jT3_P12ihipStream_tbPNSt15iterator_traitsISE_E10value_typeEPNSK_ISF_E10value_typeEPSG_NS1_7vsmem_tEENKUlT_SE_SF_SG_E_clIS8_S8_S9_S9_EESD_ST_SE_SF_SG_EUlST_E1_NS1_11comp_targetILNS1_3genE2ELNS1_11target_archE906ELNS1_3gpuE6ELNS1_3repE0EEENS1_36merge_oddeven_config_static_selectorELNS0_4arch9wavefront6targetE1EEEvSF_.kd
    .uniform_work_group_size: 1
    .uses_dynamic_stack: false
    .vgpr_count:     0
    .vgpr_spill_count: 0
    .wavefront_size: 64
  - .agpr_count:     0
    .args:
      - .offset:         0
        .size:           48
        .value_kind:     by_value
    .group_segment_fixed_size: 0
    .kernarg_segment_align: 8
    .kernarg_segment_size: 48
    .language:       OpenCL C
    .language_version:
      - 2
      - 0
    .max_flat_workgroup_size: 256
    .name:           _ZN7rocprim17ROCPRIM_400000_NS6detail17trampoline_kernelINS0_14default_configENS1_38merge_sort_block_merge_config_selectorIaNS0_10empty_typeEEEZZNS1_27merge_sort_block_merge_implIS3_PaPS5_jNS1_19radix_merge_compareILb0ELb0EaNS0_19identity_decomposerEEEEE10hipError_tT0_T1_T2_jT3_P12ihipStream_tbPNSt15iterator_traitsISE_E10value_typeEPNSK_ISF_E10value_typeEPSG_NS1_7vsmem_tEENKUlT_SE_SF_SG_E_clIS8_S8_S9_S9_EESD_ST_SE_SF_SG_EUlST_E1_NS1_11comp_targetILNS1_3genE9ELNS1_11target_archE1100ELNS1_3gpuE3ELNS1_3repE0EEENS1_36merge_oddeven_config_static_selectorELNS0_4arch9wavefront6targetE1EEEvSF_
    .private_segment_fixed_size: 0
    .sgpr_count:     4
    .sgpr_spill_count: 0
    .symbol:         _ZN7rocprim17ROCPRIM_400000_NS6detail17trampoline_kernelINS0_14default_configENS1_38merge_sort_block_merge_config_selectorIaNS0_10empty_typeEEEZZNS1_27merge_sort_block_merge_implIS3_PaPS5_jNS1_19radix_merge_compareILb0ELb0EaNS0_19identity_decomposerEEEEE10hipError_tT0_T1_T2_jT3_P12ihipStream_tbPNSt15iterator_traitsISE_E10value_typeEPNSK_ISF_E10value_typeEPSG_NS1_7vsmem_tEENKUlT_SE_SF_SG_E_clIS8_S8_S9_S9_EESD_ST_SE_SF_SG_EUlST_E1_NS1_11comp_targetILNS1_3genE9ELNS1_11target_archE1100ELNS1_3gpuE3ELNS1_3repE0EEENS1_36merge_oddeven_config_static_selectorELNS0_4arch9wavefront6targetE1EEEvSF_.kd
    .uniform_work_group_size: 1
    .uses_dynamic_stack: false
    .vgpr_count:     0
    .vgpr_spill_count: 0
    .wavefront_size: 64
  - .agpr_count:     0
    .args:
      - .offset:         0
        .size:           48
        .value_kind:     by_value
    .group_segment_fixed_size: 0
    .kernarg_segment_align: 8
    .kernarg_segment_size: 48
    .language:       OpenCL C
    .language_version:
      - 2
      - 0
    .max_flat_workgroup_size: 256
    .name:           _ZN7rocprim17ROCPRIM_400000_NS6detail17trampoline_kernelINS0_14default_configENS1_38merge_sort_block_merge_config_selectorIaNS0_10empty_typeEEEZZNS1_27merge_sort_block_merge_implIS3_PaPS5_jNS1_19radix_merge_compareILb0ELb0EaNS0_19identity_decomposerEEEEE10hipError_tT0_T1_T2_jT3_P12ihipStream_tbPNSt15iterator_traitsISE_E10value_typeEPNSK_ISF_E10value_typeEPSG_NS1_7vsmem_tEENKUlT_SE_SF_SG_E_clIS8_S8_S9_S9_EESD_ST_SE_SF_SG_EUlST_E1_NS1_11comp_targetILNS1_3genE8ELNS1_11target_archE1030ELNS1_3gpuE2ELNS1_3repE0EEENS1_36merge_oddeven_config_static_selectorELNS0_4arch9wavefront6targetE1EEEvSF_
    .private_segment_fixed_size: 0
    .sgpr_count:     4
    .sgpr_spill_count: 0
    .symbol:         _ZN7rocprim17ROCPRIM_400000_NS6detail17trampoline_kernelINS0_14default_configENS1_38merge_sort_block_merge_config_selectorIaNS0_10empty_typeEEEZZNS1_27merge_sort_block_merge_implIS3_PaPS5_jNS1_19radix_merge_compareILb0ELb0EaNS0_19identity_decomposerEEEEE10hipError_tT0_T1_T2_jT3_P12ihipStream_tbPNSt15iterator_traitsISE_E10value_typeEPNSK_ISF_E10value_typeEPSG_NS1_7vsmem_tEENKUlT_SE_SF_SG_E_clIS8_S8_S9_S9_EESD_ST_SE_SF_SG_EUlST_E1_NS1_11comp_targetILNS1_3genE8ELNS1_11target_archE1030ELNS1_3gpuE2ELNS1_3repE0EEENS1_36merge_oddeven_config_static_selectorELNS0_4arch9wavefront6targetE1EEEvSF_.kd
    .uniform_work_group_size: 1
    .uses_dynamic_stack: false
    .vgpr_count:     0
    .vgpr_spill_count: 0
    .wavefront_size: 64
  - .agpr_count:     0
    .args:
      - .offset:         0
        .size:           40
        .value_kind:     by_value
    .group_segment_fixed_size: 0
    .kernarg_segment_align: 8
    .kernarg_segment_size: 40
    .language:       OpenCL C
    .language_version:
      - 2
      - 0
    .max_flat_workgroup_size: 128
    .name:           _ZN7rocprim17ROCPRIM_400000_NS6detail17trampoline_kernelINS0_14default_configENS1_25transform_config_selectorIaLb1EEEZNS1_14transform_implILb1ES3_S5_PaS7_NS0_8identityIaEEEE10hipError_tT2_T3_mT4_P12ihipStream_tbEUlT_E_NS1_11comp_targetILNS1_3genE0ELNS1_11target_archE4294967295ELNS1_3gpuE0ELNS1_3repE0EEENS1_30default_config_static_selectorELNS0_4arch9wavefront6targetE1EEEvT1_
    .private_segment_fixed_size: 0
    .sgpr_count:     4
    .sgpr_spill_count: 0
    .symbol:         _ZN7rocprim17ROCPRIM_400000_NS6detail17trampoline_kernelINS0_14default_configENS1_25transform_config_selectorIaLb1EEEZNS1_14transform_implILb1ES3_S5_PaS7_NS0_8identityIaEEEE10hipError_tT2_T3_mT4_P12ihipStream_tbEUlT_E_NS1_11comp_targetILNS1_3genE0ELNS1_11target_archE4294967295ELNS1_3gpuE0ELNS1_3repE0EEENS1_30default_config_static_selectorELNS0_4arch9wavefront6targetE1EEEvT1_.kd
    .uniform_work_group_size: 1
    .uses_dynamic_stack: false
    .vgpr_count:     0
    .vgpr_spill_count: 0
    .wavefront_size: 64
  - .agpr_count:     0
    .args:
      - .offset:         0
        .size:           40
        .value_kind:     by_value
    .group_segment_fixed_size: 0
    .kernarg_segment_align: 8
    .kernarg_segment_size: 40
    .language:       OpenCL C
    .language_version:
      - 2
      - 0
    .max_flat_workgroup_size: 1024
    .name:           _ZN7rocprim17ROCPRIM_400000_NS6detail17trampoline_kernelINS0_14default_configENS1_25transform_config_selectorIaLb1EEEZNS1_14transform_implILb1ES3_S5_PaS7_NS0_8identityIaEEEE10hipError_tT2_T3_mT4_P12ihipStream_tbEUlT_E_NS1_11comp_targetILNS1_3genE10ELNS1_11target_archE1201ELNS1_3gpuE5ELNS1_3repE0EEENS1_30default_config_static_selectorELNS0_4arch9wavefront6targetE1EEEvT1_
    .private_segment_fixed_size: 0
    .sgpr_count:     4
    .sgpr_spill_count: 0
    .symbol:         _ZN7rocprim17ROCPRIM_400000_NS6detail17trampoline_kernelINS0_14default_configENS1_25transform_config_selectorIaLb1EEEZNS1_14transform_implILb1ES3_S5_PaS7_NS0_8identityIaEEEE10hipError_tT2_T3_mT4_P12ihipStream_tbEUlT_E_NS1_11comp_targetILNS1_3genE10ELNS1_11target_archE1201ELNS1_3gpuE5ELNS1_3repE0EEENS1_30default_config_static_selectorELNS0_4arch9wavefront6targetE1EEEvT1_.kd
    .uniform_work_group_size: 1
    .uses_dynamic_stack: false
    .vgpr_count:     0
    .vgpr_spill_count: 0
    .wavefront_size: 64
  - .agpr_count:     0
    .args:
      - .offset:         0
        .size:           40
        .value_kind:     by_value
    .group_segment_fixed_size: 0
    .kernarg_segment_align: 8
    .kernarg_segment_size: 40
    .language:       OpenCL C
    .language_version:
      - 2
      - 0
    .max_flat_workgroup_size: 256
    .name:           _ZN7rocprim17ROCPRIM_400000_NS6detail17trampoline_kernelINS0_14default_configENS1_25transform_config_selectorIaLb1EEEZNS1_14transform_implILb1ES3_S5_PaS7_NS0_8identityIaEEEE10hipError_tT2_T3_mT4_P12ihipStream_tbEUlT_E_NS1_11comp_targetILNS1_3genE5ELNS1_11target_archE942ELNS1_3gpuE9ELNS1_3repE0EEENS1_30default_config_static_selectorELNS0_4arch9wavefront6targetE1EEEvT1_
    .private_segment_fixed_size: 0
    .sgpr_count:     4
    .sgpr_spill_count: 0
    .symbol:         _ZN7rocprim17ROCPRIM_400000_NS6detail17trampoline_kernelINS0_14default_configENS1_25transform_config_selectorIaLb1EEEZNS1_14transform_implILb1ES3_S5_PaS7_NS0_8identityIaEEEE10hipError_tT2_T3_mT4_P12ihipStream_tbEUlT_E_NS1_11comp_targetILNS1_3genE5ELNS1_11target_archE942ELNS1_3gpuE9ELNS1_3repE0EEENS1_30default_config_static_selectorELNS0_4arch9wavefront6targetE1EEEvT1_.kd
    .uniform_work_group_size: 1
    .uses_dynamic_stack: false
    .vgpr_count:     0
    .vgpr_spill_count: 0
    .wavefront_size: 64
  - .agpr_count:     0
    .args:
      - .offset:         0
        .size:           40
        .value_kind:     by_value
      - .offset:         40
        .size:           4
        .value_kind:     hidden_block_count_x
      - .offset:         44
        .size:           4
        .value_kind:     hidden_block_count_y
      - .offset:         48
        .size:           4
        .value_kind:     hidden_block_count_z
      - .offset:         52
        .size:           2
        .value_kind:     hidden_group_size_x
      - .offset:         54
        .size:           2
        .value_kind:     hidden_group_size_y
      - .offset:         56
        .size:           2
        .value_kind:     hidden_group_size_z
      - .offset:         58
        .size:           2
        .value_kind:     hidden_remainder_x
      - .offset:         60
        .size:           2
        .value_kind:     hidden_remainder_y
      - .offset:         62
        .size:           2
        .value_kind:     hidden_remainder_z
      - .offset:         80
        .size:           8
        .value_kind:     hidden_global_offset_x
      - .offset:         88
        .size:           8
        .value_kind:     hidden_global_offset_y
      - .offset:         96
        .size:           8
        .value_kind:     hidden_global_offset_z
      - .offset:         104
        .size:           2
        .value_kind:     hidden_grid_dims
    .group_segment_fixed_size: 0
    .kernarg_segment_align: 8
    .kernarg_segment_size: 296
    .language:       OpenCL C
    .language_version:
      - 2
      - 0
    .max_flat_workgroup_size: 1024
    .name:           _ZN7rocprim17ROCPRIM_400000_NS6detail17trampoline_kernelINS0_14default_configENS1_25transform_config_selectorIaLb1EEEZNS1_14transform_implILb1ES3_S5_PaS7_NS0_8identityIaEEEE10hipError_tT2_T3_mT4_P12ihipStream_tbEUlT_E_NS1_11comp_targetILNS1_3genE4ELNS1_11target_archE910ELNS1_3gpuE8ELNS1_3repE0EEENS1_30default_config_static_selectorELNS0_4arch9wavefront6targetE1EEEvT1_
    .private_segment_fixed_size: 0
    .sgpr_count:     42
    .sgpr_spill_count: 0
    .symbol:         _ZN7rocprim17ROCPRIM_400000_NS6detail17trampoline_kernelINS0_14default_configENS1_25transform_config_selectorIaLb1EEEZNS1_14transform_implILb1ES3_S5_PaS7_NS0_8identityIaEEEE10hipError_tT2_T3_mT4_P12ihipStream_tbEUlT_E_NS1_11comp_targetILNS1_3genE4ELNS1_11target_archE910ELNS1_3gpuE8ELNS1_3repE0EEENS1_30default_config_static_selectorELNS0_4arch9wavefront6targetE1EEEvT1_.kd
    .uniform_work_group_size: 1
    .uses_dynamic_stack: false
    .vgpr_count:     18
    .vgpr_spill_count: 0
    .wavefront_size: 64
  - .agpr_count:     0
    .args:
      - .offset:         0
        .size:           40
        .value_kind:     by_value
    .group_segment_fixed_size: 0
    .kernarg_segment_align: 8
    .kernarg_segment_size: 40
    .language:       OpenCL C
    .language_version:
      - 2
      - 0
    .max_flat_workgroup_size: 128
    .name:           _ZN7rocprim17ROCPRIM_400000_NS6detail17trampoline_kernelINS0_14default_configENS1_25transform_config_selectorIaLb1EEEZNS1_14transform_implILb1ES3_S5_PaS7_NS0_8identityIaEEEE10hipError_tT2_T3_mT4_P12ihipStream_tbEUlT_E_NS1_11comp_targetILNS1_3genE3ELNS1_11target_archE908ELNS1_3gpuE7ELNS1_3repE0EEENS1_30default_config_static_selectorELNS0_4arch9wavefront6targetE1EEEvT1_
    .private_segment_fixed_size: 0
    .sgpr_count:     4
    .sgpr_spill_count: 0
    .symbol:         _ZN7rocprim17ROCPRIM_400000_NS6detail17trampoline_kernelINS0_14default_configENS1_25transform_config_selectorIaLb1EEEZNS1_14transform_implILb1ES3_S5_PaS7_NS0_8identityIaEEEE10hipError_tT2_T3_mT4_P12ihipStream_tbEUlT_E_NS1_11comp_targetILNS1_3genE3ELNS1_11target_archE908ELNS1_3gpuE7ELNS1_3repE0EEENS1_30default_config_static_selectorELNS0_4arch9wavefront6targetE1EEEvT1_.kd
    .uniform_work_group_size: 1
    .uses_dynamic_stack: false
    .vgpr_count:     0
    .vgpr_spill_count: 0
    .wavefront_size: 64
  - .agpr_count:     0
    .args:
      - .offset:         0
        .size:           40
        .value_kind:     by_value
    .group_segment_fixed_size: 0
    .kernarg_segment_align: 8
    .kernarg_segment_size: 40
    .language:       OpenCL C
    .language_version:
      - 2
      - 0
    .max_flat_workgroup_size: 512
    .name:           _ZN7rocprim17ROCPRIM_400000_NS6detail17trampoline_kernelINS0_14default_configENS1_25transform_config_selectorIaLb1EEEZNS1_14transform_implILb1ES3_S5_PaS7_NS0_8identityIaEEEE10hipError_tT2_T3_mT4_P12ihipStream_tbEUlT_E_NS1_11comp_targetILNS1_3genE2ELNS1_11target_archE906ELNS1_3gpuE6ELNS1_3repE0EEENS1_30default_config_static_selectorELNS0_4arch9wavefront6targetE1EEEvT1_
    .private_segment_fixed_size: 0
    .sgpr_count:     4
    .sgpr_spill_count: 0
    .symbol:         _ZN7rocprim17ROCPRIM_400000_NS6detail17trampoline_kernelINS0_14default_configENS1_25transform_config_selectorIaLb1EEEZNS1_14transform_implILb1ES3_S5_PaS7_NS0_8identityIaEEEE10hipError_tT2_T3_mT4_P12ihipStream_tbEUlT_E_NS1_11comp_targetILNS1_3genE2ELNS1_11target_archE906ELNS1_3gpuE6ELNS1_3repE0EEENS1_30default_config_static_selectorELNS0_4arch9wavefront6targetE1EEEvT1_.kd
    .uniform_work_group_size: 1
    .uses_dynamic_stack: false
    .vgpr_count:     0
    .vgpr_spill_count: 0
    .wavefront_size: 64
  - .agpr_count:     0
    .args:
      - .offset:         0
        .size:           40
        .value_kind:     by_value
    .group_segment_fixed_size: 0
    .kernarg_segment_align: 8
    .kernarg_segment_size: 40
    .language:       OpenCL C
    .language_version:
      - 2
      - 0
    .max_flat_workgroup_size: 1024
    .name:           _ZN7rocprim17ROCPRIM_400000_NS6detail17trampoline_kernelINS0_14default_configENS1_25transform_config_selectorIaLb1EEEZNS1_14transform_implILb1ES3_S5_PaS7_NS0_8identityIaEEEE10hipError_tT2_T3_mT4_P12ihipStream_tbEUlT_E_NS1_11comp_targetILNS1_3genE9ELNS1_11target_archE1100ELNS1_3gpuE3ELNS1_3repE0EEENS1_30default_config_static_selectorELNS0_4arch9wavefront6targetE1EEEvT1_
    .private_segment_fixed_size: 0
    .sgpr_count:     4
    .sgpr_spill_count: 0
    .symbol:         _ZN7rocprim17ROCPRIM_400000_NS6detail17trampoline_kernelINS0_14default_configENS1_25transform_config_selectorIaLb1EEEZNS1_14transform_implILb1ES3_S5_PaS7_NS0_8identityIaEEEE10hipError_tT2_T3_mT4_P12ihipStream_tbEUlT_E_NS1_11comp_targetILNS1_3genE9ELNS1_11target_archE1100ELNS1_3gpuE3ELNS1_3repE0EEENS1_30default_config_static_selectorELNS0_4arch9wavefront6targetE1EEEvT1_.kd
    .uniform_work_group_size: 1
    .uses_dynamic_stack: false
    .vgpr_count:     0
    .vgpr_spill_count: 0
    .wavefront_size: 64
  - .agpr_count:     0
    .args:
      - .offset:         0
        .size:           40
        .value_kind:     by_value
    .group_segment_fixed_size: 0
    .kernarg_segment_align: 8
    .kernarg_segment_size: 40
    .language:       OpenCL C
    .language_version:
      - 2
      - 0
    .max_flat_workgroup_size: 1024
    .name:           _ZN7rocprim17ROCPRIM_400000_NS6detail17trampoline_kernelINS0_14default_configENS1_25transform_config_selectorIaLb1EEEZNS1_14transform_implILb1ES3_S5_PaS7_NS0_8identityIaEEEE10hipError_tT2_T3_mT4_P12ihipStream_tbEUlT_E_NS1_11comp_targetILNS1_3genE8ELNS1_11target_archE1030ELNS1_3gpuE2ELNS1_3repE0EEENS1_30default_config_static_selectorELNS0_4arch9wavefront6targetE1EEEvT1_
    .private_segment_fixed_size: 0
    .sgpr_count:     4
    .sgpr_spill_count: 0
    .symbol:         _ZN7rocprim17ROCPRIM_400000_NS6detail17trampoline_kernelINS0_14default_configENS1_25transform_config_selectorIaLb1EEEZNS1_14transform_implILb1ES3_S5_PaS7_NS0_8identityIaEEEE10hipError_tT2_T3_mT4_P12ihipStream_tbEUlT_E_NS1_11comp_targetILNS1_3genE8ELNS1_11target_archE1030ELNS1_3gpuE2ELNS1_3repE0EEENS1_30default_config_static_selectorELNS0_4arch9wavefront6targetE1EEEvT1_.kd
    .uniform_work_group_size: 1
    .uses_dynamic_stack: false
    .vgpr_count:     0
    .vgpr_spill_count: 0
    .wavefront_size: 64
  - .agpr_count:     0
    .args:
      - .offset:         0
        .size:           40
        .value_kind:     by_value
    .group_segment_fixed_size: 0
    .kernarg_segment_align: 8
    .kernarg_segment_size: 40
    .language:       OpenCL C
    .language_version:
      - 2
      - 0
    .max_flat_workgroup_size: 128
    .name:           _ZN7rocprim17ROCPRIM_400000_NS6detail17trampoline_kernelINS0_14default_configENS1_38merge_sort_block_merge_config_selectorIaNS0_10empty_typeEEEZZNS1_27merge_sort_block_merge_implIS3_PaPS5_jNS1_19radix_merge_compareILb0ELb1EaNS0_19identity_decomposerEEEEE10hipError_tT0_T1_T2_jT3_P12ihipStream_tbPNSt15iterator_traitsISE_E10value_typeEPNSK_ISF_E10value_typeEPSG_NS1_7vsmem_tEENKUlT_SE_SF_SG_E_clIS8_S8_S9_S9_EESD_ST_SE_SF_SG_EUlST_E_NS1_11comp_targetILNS1_3genE0ELNS1_11target_archE4294967295ELNS1_3gpuE0ELNS1_3repE0EEENS1_48merge_mergepath_partition_config_static_selectorELNS0_4arch9wavefront6targetE1EEEvSF_
    .private_segment_fixed_size: 0
    .sgpr_count:     4
    .sgpr_spill_count: 0
    .symbol:         _ZN7rocprim17ROCPRIM_400000_NS6detail17trampoline_kernelINS0_14default_configENS1_38merge_sort_block_merge_config_selectorIaNS0_10empty_typeEEEZZNS1_27merge_sort_block_merge_implIS3_PaPS5_jNS1_19radix_merge_compareILb0ELb1EaNS0_19identity_decomposerEEEEE10hipError_tT0_T1_T2_jT3_P12ihipStream_tbPNSt15iterator_traitsISE_E10value_typeEPNSK_ISF_E10value_typeEPSG_NS1_7vsmem_tEENKUlT_SE_SF_SG_E_clIS8_S8_S9_S9_EESD_ST_SE_SF_SG_EUlST_E_NS1_11comp_targetILNS1_3genE0ELNS1_11target_archE4294967295ELNS1_3gpuE0ELNS1_3repE0EEENS1_48merge_mergepath_partition_config_static_selectorELNS0_4arch9wavefront6targetE1EEEvSF_.kd
    .uniform_work_group_size: 1
    .uses_dynamic_stack: false
    .vgpr_count:     0
    .vgpr_spill_count: 0
    .wavefront_size: 64
  - .agpr_count:     0
    .args:
      - .offset:         0
        .size:           40
        .value_kind:     by_value
    .group_segment_fixed_size: 0
    .kernarg_segment_align: 8
    .kernarg_segment_size: 40
    .language:       OpenCL C
    .language_version:
      - 2
      - 0
    .max_flat_workgroup_size: 128
    .name:           _ZN7rocprim17ROCPRIM_400000_NS6detail17trampoline_kernelINS0_14default_configENS1_38merge_sort_block_merge_config_selectorIaNS0_10empty_typeEEEZZNS1_27merge_sort_block_merge_implIS3_PaPS5_jNS1_19radix_merge_compareILb0ELb1EaNS0_19identity_decomposerEEEEE10hipError_tT0_T1_T2_jT3_P12ihipStream_tbPNSt15iterator_traitsISE_E10value_typeEPNSK_ISF_E10value_typeEPSG_NS1_7vsmem_tEENKUlT_SE_SF_SG_E_clIS8_S8_S9_S9_EESD_ST_SE_SF_SG_EUlST_E_NS1_11comp_targetILNS1_3genE10ELNS1_11target_archE1201ELNS1_3gpuE5ELNS1_3repE0EEENS1_48merge_mergepath_partition_config_static_selectorELNS0_4arch9wavefront6targetE1EEEvSF_
    .private_segment_fixed_size: 0
    .sgpr_count:     4
    .sgpr_spill_count: 0
    .symbol:         _ZN7rocprim17ROCPRIM_400000_NS6detail17trampoline_kernelINS0_14default_configENS1_38merge_sort_block_merge_config_selectorIaNS0_10empty_typeEEEZZNS1_27merge_sort_block_merge_implIS3_PaPS5_jNS1_19radix_merge_compareILb0ELb1EaNS0_19identity_decomposerEEEEE10hipError_tT0_T1_T2_jT3_P12ihipStream_tbPNSt15iterator_traitsISE_E10value_typeEPNSK_ISF_E10value_typeEPSG_NS1_7vsmem_tEENKUlT_SE_SF_SG_E_clIS8_S8_S9_S9_EESD_ST_SE_SF_SG_EUlST_E_NS1_11comp_targetILNS1_3genE10ELNS1_11target_archE1201ELNS1_3gpuE5ELNS1_3repE0EEENS1_48merge_mergepath_partition_config_static_selectorELNS0_4arch9wavefront6targetE1EEEvSF_.kd
    .uniform_work_group_size: 1
    .uses_dynamic_stack: false
    .vgpr_count:     0
    .vgpr_spill_count: 0
    .wavefront_size: 64
  - .agpr_count:     0
    .args:
      - .offset:         0
        .size:           40
        .value_kind:     by_value
    .group_segment_fixed_size: 0
    .kernarg_segment_align: 8
    .kernarg_segment_size: 40
    .language:       OpenCL C
    .language_version:
      - 2
      - 0
    .max_flat_workgroup_size: 128
    .name:           _ZN7rocprim17ROCPRIM_400000_NS6detail17trampoline_kernelINS0_14default_configENS1_38merge_sort_block_merge_config_selectorIaNS0_10empty_typeEEEZZNS1_27merge_sort_block_merge_implIS3_PaPS5_jNS1_19radix_merge_compareILb0ELb1EaNS0_19identity_decomposerEEEEE10hipError_tT0_T1_T2_jT3_P12ihipStream_tbPNSt15iterator_traitsISE_E10value_typeEPNSK_ISF_E10value_typeEPSG_NS1_7vsmem_tEENKUlT_SE_SF_SG_E_clIS8_S8_S9_S9_EESD_ST_SE_SF_SG_EUlST_E_NS1_11comp_targetILNS1_3genE5ELNS1_11target_archE942ELNS1_3gpuE9ELNS1_3repE0EEENS1_48merge_mergepath_partition_config_static_selectorELNS0_4arch9wavefront6targetE1EEEvSF_
    .private_segment_fixed_size: 0
    .sgpr_count:     4
    .sgpr_spill_count: 0
    .symbol:         _ZN7rocprim17ROCPRIM_400000_NS6detail17trampoline_kernelINS0_14default_configENS1_38merge_sort_block_merge_config_selectorIaNS0_10empty_typeEEEZZNS1_27merge_sort_block_merge_implIS3_PaPS5_jNS1_19radix_merge_compareILb0ELb1EaNS0_19identity_decomposerEEEEE10hipError_tT0_T1_T2_jT3_P12ihipStream_tbPNSt15iterator_traitsISE_E10value_typeEPNSK_ISF_E10value_typeEPSG_NS1_7vsmem_tEENKUlT_SE_SF_SG_E_clIS8_S8_S9_S9_EESD_ST_SE_SF_SG_EUlST_E_NS1_11comp_targetILNS1_3genE5ELNS1_11target_archE942ELNS1_3gpuE9ELNS1_3repE0EEENS1_48merge_mergepath_partition_config_static_selectorELNS0_4arch9wavefront6targetE1EEEvSF_.kd
    .uniform_work_group_size: 1
    .uses_dynamic_stack: false
    .vgpr_count:     0
    .vgpr_spill_count: 0
    .wavefront_size: 64
  - .agpr_count:     0
    .args:
      - .offset:         0
        .size:           40
        .value_kind:     by_value
    .group_segment_fixed_size: 0
    .kernarg_segment_align: 8
    .kernarg_segment_size: 40
    .language:       OpenCL C
    .language_version:
      - 2
      - 0
    .max_flat_workgroup_size: 128
    .name:           _ZN7rocprim17ROCPRIM_400000_NS6detail17trampoline_kernelINS0_14default_configENS1_38merge_sort_block_merge_config_selectorIaNS0_10empty_typeEEEZZNS1_27merge_sort_block_merge_implIS3_PaPS5_jNS1_19radix_merge_compareILb0ELb1EaNS0_19identity_decomposerEEEEE10hipError_tT0_T1_T2_jT3_P12ihipStream_tbPNSt15iterator_traitsISE_E10value_typeEPNSK_ISF_E10value_typeEPSG_NS1_7vsmem_tEENKUlT_SE_SF_SG_E_clIS8_S8_S9_S9_EESD_ST_SE_SF_SG_EUlST_E_NS1_11comp_targetILNS1_3genE4ELNS1_11target_archE910ELNS1_3gpuE8ELNS1_3repE0EEENS1_48merge_mergepath_partition_config_static_selectorELNS0_4arch9wavefront6targetE1EEEvSF_
    .private_segment_fixed_size: 0
    .sgpr_count:     14
    .sgpr_spill_count: 0
    .symbol:         _ZN7rocprim17ROCPRIM_400000_NS6detail17trampoline_kernelINS0_14default_configENS1_38merge_sort_block_merge_config_selectorIaNS0_10empty_typeEEEZZNS1_27merge_sort_block_merge_implIS3_PaPS5_jNS1_19radix_merge_compareILb0ELb1EaNS0_19identity_decomposerEEEEE10hipError_tT0_T1_T2_jT3_P12ihipStream_tbPNSt15iterator_traitsISE_E10value_typeEPNSK_ISF_E10value_typeEPSG_NS1_7vsmem_tEENKUlT_SE_SF_SG_E_clIS8_S8_S9_S9_EESD_ST_SE_SF_SG_EUlST_E_NS1_11comp_targetILNS1_3genE4ELNS1_11target_archE910ELNS1_3gpuE8ELNS1_3repE0EEENS1_48merge_mergepath_partition_config_static_selectorELNS0_4arch9wavefront6targetE1EEEvSF_.kd
    .uniform_work_group_size: 1
    .uses_dynamic_stack: false
    .vgpr_count:     16
    .vgpr_spill_count: 0
    .wavefront_size: 64
  - .agpr_count:     0
    .args:
      - .offset:         0
        .size:           40
        .value_kind:     by_value
    .group_segment_fixed_size: 0
    .kernarg_segment_align: 8
    .kernarg_segment_size: 40
    .language:       OpenCL C
    .language_version:
      - 2
      - 0
    .max_flat_workgroup_size: 128
    .name:           _ZN7rocprim17ROCPRIM_400000_NS6detail17trampoline_kernelINS0_14default_configENS1_38merge_sort_block_merge_config_selectorIaNS0_10empty_typeEEEZZNS1_27merge_sort_block_merge_implIS3_PaPS5_jNS1_19radix_merge_compareILb0ELb1EaNS0_19identity_decomposerEEEEE10hipError_tT0_T1_T2_jT3_P12ihipStream_tbPNSt15iterator_traitsISE_E10value_typeEPNSK_ISF_E10value_typeEPSG_NS1_7vsmem_tEENKUlT_SE_SF_SG_E_clIS8_S8_S9_S9_EESD_ST_SE_SF_SG_EUlST_E_NS1_11comp_targetILNS1_3genE3ELNS1_11target_archE908ELNS1_3gpuE7ELNS1_3repE0EEENS1_48merge_mergepath_partition_config_static_selectorELNS0_4arch9wavefront6targetE1EEEvSF_
    .private_segment_fixed_size: 0
    .sgpr_count:     4
    .sgpr_spill_count: 0
    .symbol:         _ZN7rocprim17ROCPRIM_400000_NS6detail17trampoline_kernelINS0_14default_configENS1_38merge_sort_block_merge_config_selectorIaNS0_10empty_typeEEEZZNS1_27merge_sort_block_merge_implIS3_PaPS5_jNS1_19radix_merge_compareILb0ELb1EaNS0_19identity_decomposerEEEEE10hipError_tT0_T1_T2_jT3_P12ihipStream_tbPNSt15iterator_traitsISE_E10value_typeEPNSK_ISF_E10value_typeEPSG_NS1_7vsmem_tEENKUlT_SE_SF_SG_E_clIS8_S8_S9_S9_EESD_ST_SE_SF_SG_EUlST_E_NS1_11comp_targetILNS1_3genE3ELNS1_11target_archE908ELNS1_3gpuE7ELNS1_3repE0EEENS1_48merge_mergepath_partition_config_static_selectorELNS0_4arch9wavefront6targetE1EEEvSF_.kd
    .uniform_work_group_size: 1
    .uses_dynamic_stack: false
    .vgpr_count:     0
    .vgpr_spill_count: 0
    .wavefront_size: 64
  - .agpr_count:     0
    .args:
      - .offset:         0
        .size:           40
        .value_kind:     by_value
    .group_segment_fixed_size: 0
    .kernarg_segment_align: 8
    .kernarg_segment_size: 40
    .language:       OpenCL C
    .language_version:
      - 2
      - 0
    .max_flat_workgroup_size: 128
    .name:           _ZN7rocprim17ROCPRIM_400000_NS6detail17trampoline_kernelINS0_14default_configENS1_38merge_sort_block_merge_config_selectorIaNS0_10empty_typeEEEZZNS1_27merge_sort_block_merge_implIS3_PaPS5_jNS1_19radix_merge_compareILb0ELb1EaNS0_19identity_decomposerEEEEE10hipError_tT0_T1_T2_jT3_P12ihipStream_tbPNSt15iterator_traitsISE_E10value_typeEPNSK_ISF_E10value_typeEPSG_NS1_7vsmem_tEENKUlT_SE_SF_SG_E_clIS8_S8_S9_S9_EESD_ST_SE_SF_SG_EUlST_E_NS1_11comp_targetILNS1_3genE2ELNS1_11target_archE906ELNS1_3gpuE6ELNS1_3repE0EEENS1_48merge_mergepath_partition_config_static_selectorELNS0_4arch9wavefront6targetE1EEEvSF_
    .private_segment_fixed_size: 0
    .sgpr_count:     4
    .sgpr_spill_count: 0
    .symbol:         _ZN7rocprim17ROCPRIM_400000_NS6detail17trampoline_kernelINS0_14default_configENS1_38merge_sort_block_merge_config_selectorIaNS0_10empty_typeEEEZZNS1_27merge_sort_block_merge_implIS3_PaPS5_jNS1_19radix_merge_compareILb0ELb1EaNS0_19identity_decomposerEEEEE10hipError_tT0_T1_T2_jT3_P12ihipStream_tbPNSt15iterator_traitsISE_E10value_typeEPNSK_ISF_E10value_typeEPSG_NS1_7vsmem_tEENKUlT_SE_SF_SG_E_clIS8_S8_S9_S9_EESD_ST_SE_SF_SG_EUlST_E_NS1_11comp_targetILNS1_3genE2ELNS1_11target_archE906ELNS1_3gpuE6ELNS1_3repE0EEENS1_48merge_mergepath_partition_config_static_selectorELNS0_4arch9wavefront6targetE1EEEvSF_.kd
    .uniform_work_group_size: 1
    .uses_dynamic_stack: false
    .vgpr_count:     0
    .vgpr_spill_count: 0
    .wavefront_size: 64
  - .agpr_count:     0
    .args:
      - .offset:         0
        .size:           40
        .value_kind:     by_value
    .group_segment_fixed_size: 0
    .kernarg_segment_align: 8
    .kernarg_segment_size: 40
    .language:       OpenCL C
    .language_version:
      - 2
      - 0
    .max_flat_workgroup_size: 128
    .name:           _ZN7rocprim17ROCPRIM_400000_NS6detail17trampoline_kernelINS0_14default_configENS1_38merge_sort_block_merge_config_selectorIaNS0_10empty_typeEEEZZNS1_27merge_sort_block_merge_implIS3_PaPS5_jNS1_19radix_merge_compareILb0ELb1EaNS0_19identity_decomposerEEEEE10hipError_tT0_T1_T2_jT3_P12ihipStream_tbPNSt15iterator_traitsISE_E10value_typeEPNSK_ISF_E10value_typeEPSG_NS1_7vsmem_tEENKUlT_SE_SF_SG_E_clIS8_S8_S9_S9_EESD_ST_SE_SF_SG_EUlST_E_NS1_11comp_targetILNS1_3genE9ELNS1_11target_archE1100ELNS1_3gpuE3ELNS1_3repE0EEENS1_48merge_mergepath_partition_config_static_selectorELNS0_4arch9wavefront6targetE1EEEvSF_
    .private_segment_fixed_size: 0
    .sgpr_count:     4
    .sgpr_spill_count: 0
    .symbol:         _ZN7rocprim17ROCPRIM_400000_NS6detail17trampoline_kernelINS0_14default_configENS1_38merge_sort_block_merge_config_selectorIaNS0_10empty_typeEEEZZNS1_27merge_sort_block_merge_implIS3_PaPS5_jNS1_19radix_merge_compareILb0ELb1EaNS0_19identity_decomposerEEEEE10hipError_tT0_T1_T2_jT3_P12ihipStream_tbPNSt15iterator_traitsISE_E10value_typeEPNSK_ISF_E10value_typeEPSG_NS1_7vsmem_tEENKUlT_SE_SF_SG_E_clIS8_S8_S9_S9_EESD_ST_SE_SF_SG_EUlST_E_NS1_11comp_targetILNS1_3genE9ELNS1_11target_archE1100ELNS1_3gpuE3ELNS1_3repE0EEENS1_48merge_mergepath_partition_config_static_selectorELNS0_4arch9wavefront6targetE1EEEvSF_.kd
    .uniform_work_group_size: 1
    .uses_dynamic_stack: false
    .vgpr_count:     0
    .vgpr_spill_count: 0
    .wavefront_size: 64
  - .agpr_count:     0
    .args:
      - .offset:         0
        .size:           40
        .value_kind:     by_value
    .group_segment_fixed_size: 0
    .kernarg_segment_align: 8
    .kernarg_segment_size: 40
    .language:       OpenCL C
    .language_version:
      - 2
      - 0
    .max_flat_workgroup_size: 128
    .name:           _ZN7rocprim17ROCPRIM_400000_NS6detail17trampoline_kernelINS0_14default_configENS1_38merge_sort_block_merge_config_selectorIaNS0_10empty_typeEEEZZNS1_27merge_sort_block_merge_implIS3_PaPS5_jNS1_19radix_merge_compareILb0ELb1EaNS0_19identity_decomposerEEEEE10hipError_tT0_T1_T2_jT3_P12ihipStream_tbPNSt15iterator_traitsISE_E10value_typeEPNSK_ISF_E10value_typeEPSG_NS1_7vsmem_tEENKUlT_SE_SF_SG_E_clIS8_S8_S9_S9_EESD_ST_SE_SF_SG_EUlST_E_NS1_11comp_targetILNS1_3genE8ELNS1_11target_archE1030ELNS1_3gpuE2ELNS1_3repE0EEENS1_48merge_mergepath_partition_config_static_selectorELNS0_4arch9wavefront6targetE1EEEvSF_
    .private_segment_fixed_size: 0
    .sgpr_count:     4
    .sgpr_spill_count: 0
    .symbol:         _ZN7rocprim17ROCPRIM_400000_NS6detail17trampoline_kernelINS0_14default_configENS1_38merge_sort_block_merge_config_selectorIaNS0_10empty_typeEEEZZNS1_27merge_sort_block_merge_implIS3_PaPS5_jNS1_19radix_merge_compareILb0ELb1EaNS0_19identity_decomposerEEEEE10hipError_tT0_T1_T2_jT3_P12ihipStream_tbPNSt15iterator_traitsISE_E10value_typeEPNSK_ISF_E10value_typeEPSG_NS1_7vsmem_tEENKUlT_SE_SF_SG_E_clIS8_S8_S9_S9_EESD_ST_SE_SF_SG_EUlST_E_NS1_11comp_targetILNS1_3genE8ELNS1_11target_archE1030ELNS1_3gpuE2ELNS1_3repE0EEENS1_48merge_mergepath_partition_config_static_selectorELNS0_4arch9wavefront6targetE1EEEvSF_.kd
    .uniform_work_group_size: 1
    .uses_dynamic_stack: false
    .vgpr_count:     0
    .vgpr_spill_count: 0
    .wavefront_size: 64
  - .agpr_count:     0
    .args:
      - .offset:         0
        .size:           64
        .value_kind:     by_value
    .group_segment_fixed_size: 0
    .kernarg_segment_align: 8
    .kernarg_segment_size: 64
    .language:       OpenCL C
    .language_version:
      - 2
      - 0
    .max_flat_workgroup_size: 128
    .name:           _ZN7rocprim17ROCPRIM_400000_NS6detail17trampoline_kernelINS0_14default_configENS1_38merge_sort_block_merge_config_selectorIaNS0_10empty_typeEEEZZNS1_27merge_sort_block_merge_implIS3_PaPS5_jNS1_19radix_merge_compareILb0ELb1EaNS0_19identity_decomposerEEEEE10hipError_tT0_T1_T2_jT3_P12ihipStream_tbPNSt15iterator_traitsISE_E10value_typeEPNSK_ISF_E10value_typeEPSG_NS1_7vsmem_tEENKUlT_SE_SF_SG_E_clIS8_S8_S9_S9_EESD_ST_SE_SF_SG_EUlST_E0_NS1_11comp_targetILNS1_3genE0ELNS1_11target_archE4294967295ELNS1_3gpuE0ELNS1_3repE0EEENS1_38merge_mergepath_config_static_selectorELNS0_4arch9wavefront6targetE1EEEvSF_
    .private_segment_fixed_size: 0
    .sgpr_count:     4
    .sgpr_spill_count: 0
    .symbol:         _ZN7rocprim17ROCPRIM_400000_NS6detail17trampoline_kernelINS0_14default_configENS1_38merge_sort_block_merge_config_selectorIaNS0_10empty_typeEEEZZNS1_27merge_sort_block_merge_implIS3_PaPS5_jNS1_19radix_merge_compareILb0ELb1EaNS0_19identity_decomposerEEEEE10hipError_tT0_T1_T2_jT3_P12ihipStream_tbPNSt15iterator_traitsISE_E10value_typeEPNSK_ISF_E10value_typeEPSG_NS1_7vsmem_tEENKUlT_SE_SF_SG_E_clIS8_S8_S9_S9_EESD_ST_SE_SF_SG_EUlST_E0_NS1_11comp_targetILNS1_3genE0ELNS1_11target_archE4294967295ELNS1_3gpuE0ELNS1_3repE0EEENS1_38merge_mergepath_config_static_selectorELNS0_4arch9wavefront6targetE1EEEvSF_.kd
    .uniform_work_group_size: 1
    .uses_dynamic_stack: false
    .vgpr_count:     0
    .vgpr_spill_count: 0
    .wavefront_size: 64
  - .agpr_count:     0
    .args:
      - .offset:         0
        .size:           64
        .value_kind:     by_value
    .group_segment_fixed_size: 0
    .kernarg_segment_align: 8
    .kernarg_segment_size: 64
    .language:       OpenCL C
    .language_version:
      - 2
      - 0
    .max_flat_workgroup_size: 128
    .name:           _ZN7rocprim17ROCPRIM_400000_NS6detail17trampoline_kernelINS0_14default_configENS1_38merge_sort_block_merge_config_selectorIaNS0_10empty_typeEEEZZNS1_27merge_sort_block_merge_implIS3_PaPS5_jNS1_19radix_merge_compareILb0ELb1EaNS0_19identity_decomposerEEEEE10hipError_tT0_T1_T2_jT3_P12ihipStream_tbPNSt15iterator_traitsISE_E10value_typeEPNSK_ISF_E10value_typeEPSG_NS1_7vsmem_tEENKUlT_SE_SF_SG_E_clIS8_S8_S9_S9_EESD_ST_SE_SF_SG_EUlST_E0_NS1_11comp_targetILNS1_3genE10ELNS1_11target_archE1201ELNS1_3gpuE5ELNS1_3repE0EEENS1_38merge_mergepath_config_static_selectorELNS0_4arch9wavefront6targetE1EEEvSF_
    .private_segment_fixed_size: 0
    .sgpr_count:     4
    .sgpr_spill_count: 0
    .symbol:         _ZN7rocprim17ROCPRIM_400000_NS6detail17trampoline_kernelINS0_14default_configENS1_38merge_sort_block_merge_config_selectorIaNS0_10empty_typeEEEZZNS1_27merge_sort_block_merge_implIS3_PaPS5_jNS1_19radix_merge_compareILb0ELb1EaNS0_19identity_decomposerEEEEE10hipError_tT0_T1_T2_jT3_P12ihipStream_tbPNSt15iterator_traitsISE_E10value_typeEPNSK_ISF_E10value_typeEPSG_NS1_7vsmem_tEENKUlT_SE_SF_SG_E_clIS8_S8_S9_S9_EESD_ST_SE_SF_SG_EUlST_E0_NS1_11comp_targetILNS1_3genE10ELNS1_11target_archE1201ELNS1_3gpuE5ELNS1_3repE0EEENS1_38merge_mergepath_config_static_selectorELNS0_4arch9wavefront6targetE1EEEvSF_.kd
    .uniform_work_group_size: 1
    .uses_dynamic_stack: false
    .vgpr_count:     0
    .vgpr_spill_count: 0
    .wavefront_size: 64
  - .agpr_count:     0
    .args:
      - .offset:         0
        .size:           64
        .value_kind:     by_value
    .group_segment_fixed_size: 0
    .kernarg_segment_align: 8
    .kernarg_segment_size: 64
    .language:       OpenCL C
    .language_version:
      - 2
      - 0
    .max_flat_workgroup_size: 128
    .name:           _ZN7rocprim17ROCPRIM_400000_NS6detail17trampoline_kernelINS0_14default_configENS1_38merge_sort_block_merge_config_selectorIaNS0_10empty_typeEEEZZNS1_27merge_sort_block_merge_implIS3_PaPS5_jNS1_19radix_merge_compareILb0ELb1EaNS0_19identity_decomposerEEEEE10hipError_tT0_T1_T2_jT3_P12ihipStream_tbPNSt15iterator_traitsISE_E10value_typeEPNSK_ISF_E10value_typeEPSG_NS1_7vsmem_tEENKUlT_SE_SF_SG_E_clIS8_S8_S9_S9_EESD_ST_SE_SF_SG_EUlST_E0_NS1_11comp_targetILNS1_3genE5ELNS1_11target_archE942ELNS1_3gpuE9ELNS1_3repE0EEENS1_38merge_mergepath_config_static_selectorELNS0_4arch9wavefront6targetE1EEEvSF_
    .private_segment_fixed_size: 0
    .sgpr_count:     4
    .sgpr_spill_count: 0
    .symbol:         _ZN7rocprim17ROCPRIM_400000_NS6detail17trampoline_kernelINS0_14default_configENS1_38merge_sort_block_merge_config_selectorIaNS0_10empty_typeEEEZZNS1_27merge_sort_block_merge_implIS3_PaPS5_jNS1_19radix_merge_compareILb0ELb1EaNS0_19identity_decomposerEEEEE10hipError_tT0_T1_T2_jT3_P12ihipStream_tbPNSt15iterator_traitsISE_E10value_typeEPNSK_ISF_E10value_typeEPSG_NS1_7vsmem_tEENKUlT_SE_SF_SG_E_clIS8_S8_S9_S9_EESD_ST_SE_SF_SG_EUlST_E0_NS1_11comp_targetILNS1_3genE5ELNS1_11target_archE942ELNS1_3gpuE9ELNS1_3repE0EEENS1_38merge_mergepath_config_static_selectorELNS0_4arch9wavefront6targetE1EEEvSF_.kd
    .uniform_work_group_size: 1
    .uses_dynamic_stack: false
    .vgpr_count:     0
    .vgpr_spill_count: 0
    .wavefront_size: 64
  - .agpr_count:     0
    .args:
      - .offset:         0
        .size:           64
        .value_kind:     by_value
      - .offset:         64
        .size:           4
        .value_kind:     hidden_block_count_x
      - .offset:         68
        .size:           4
        .value_kind:     hidden_block_count_y
      - .offset:         72
        .size:           4
        .value_kind:     hidden_block_count_z
      - .offset:         76
        .size:           2
        .value_kind:     hidden_group_size_x
      - .offset:         78
        .size:           2
        .value_kind:     hidden_group_size_y
      - .offset:         80
        .size:           2
        .value_kind:     hidden_group_size_z
      - .offset:         82
        .size:           2
        .value_kind:     hidden_remainder_x
      - .offset:         84
        .size:           2
        .value_kind:     hidden_remainder_y
      - .offset:         86
        .size:           2
        .value_kind:     hidden_remainder_z
      - .offset:         104
        .size:           8
        .value_kind:     hidden_global_offset_x
      - .offset:         112
        .size:           8
        .value_kind:     hidden_global_offset_y
      - .offset:         120
        .size:           8
        .value_kind:     hidden_global_offset_z
      - .offset:         128
        .size:           2
        .value_kind:     hidden_grid_dims
    .group_segment_fixed_size: 1056
    .kernarg_segment_align: 8
    .kernarg_segment_size: 320
    .language:       OpenCL C
    .language_version:
      - 2
      - 0
    .max_flat_workgroup_size: 128
    .name:           _ZN7rocprim17ROCPRIM_400000_NS6detail17trampoline_kernelINS0_14default_configENS1_38merge_sort_block_merge_config_selectorIaNS0_10empty_typeEEEZZNS1_27merge_sort_block_merge_implIS3_PaPS5_jNS1_19radix_merge_compareILb0ELb1EaNS0_19identity_decomposerEEEEE10hipError_tT0_T1_T2_jT3_P12ihipStream_tbPNSt15iterator_traitsISE_E10value_typeEPNSK_ISF_E10value_typeEPSG_NS1_7vsmem_tEENKUlT_SE_SF_SG_E_clIS8_S8_S9_S9_EESD_ST_SE_SF_SG_EUlST_E0_NS1_11comp_targetILNS1_3genE4ELNS1_11target_archE910ELNS1_3gpuE8ELNS1_3repE0EEENS1_38merge_mergepath_config_static_selectorELNS0_4arch9wavefront6targetE1EEEvSF_
    .private_segment_fixed_size: 0
    .sgpr_count:     30
    .sgpr_spill_count: 0
    .symbol:         _ZN7rocprim17ROCPRIM_400000_NS6detail17trampoline_kernelINS0_14default_configENS1_38merge_sort_block_merge_config_selectorIaNS0_10empty_typeEEEZZNS1_27merge_sort_block_merge_implIS3_PaPS5_jNS1_19radix_merge_compareILb0ELb1EaNS0_19identity_decomposerEEEEE10hipError_tT0_T1_T2_jT3_P12ihipStream_tbPNSt15iterator_traitsISE_E10value_typeEPNSK_ISF_E10value_typeEPSG_NS1_7vsmem_tEENKUlT_SE_SF_SG_E_clIS8_S8_S9_S9_EESD_ST_SE_SF_SG_EUlST_E0_NS1_11comp_targetILNS1_3genE4ELNS1_11target_archE910ELNS1_3gpuE8ELNS1_3repE0EEENS1_38merge_mergepath_config_static_selectorELNS0_4arch9wavefront6targetE1EEEvSF_.kd
    .uniform_work_group_size: 1
    .uses_dynamic_stack: false
    .vgpr_count:     28
    .vgpr_spill_count: 0
    .wavefront_size: 64
  - .agpr_count:     0
    .args:
      - .offset:         0
        .size:           64
        .value_kind:     by_value
    .group_segment_fixed_size: 0
    .kernarg_segment_align: 8
    .kernarg_segment_size: 64
    .language:       OpenCL C
    .language_version:
      - 2
      - 0
    .max_flat_workgroup_size: 128
    .name:           _ZN7rocprim17ROCPRIM_400000_NS6detail17trampoline_kernelINS0_14default_configENS1_38merge_sort_block_merge_config_selectorIaNS0_10empty_typeEEEZZNS1_27merge_sort_block_merge_implIS3_PaPS5_jNS1_19radix_merge_compareILb0ELb1EaNS0_19identity_decomposerEEEEE10hipError_tT0_T1_T2_jT3_P12ihipStream_tbPNSt15iterator_traitsISE_E10value_typeEPNSK_ISF_E10value_typeEPSG_NS1_7vsmem_tEENKUlT_SE_SF_SG_E_clIS8_S8_S9_S9_EESD_ST_SE_SF_SG_EUlST_E0_NS1_11comp_targetILNS1_3genE3ELNS1_11target_archE908ELNS1_3gpuE7ELNS1_3repE0EEENS1_38merge_mergepath_config_static_selectorELNS0_4arch9wavefront6targetE1EEEvSF_
    .private_segment_fixed_size: 0
    .sgpr_count:     4
    .sgpr_spill_count: 0
    .symbol:         _ZN7rocprim17ROCPRIM_400000_NS6detail17trampoline_kernelINS0_14default_configENS1_38merge_sort_block_merge_config_selectorIaNS0_10empty_typeEEEZZNS1_27merge_sort_block_merge_implIS3_PaPS5_jNS1_19radix_merge_compareILb0ELb1EaNS0_19identity_decomposerEEEEE10hipError_tT0_T1_T2_jT3_P12ihipStream_tbPNSt15iterator_traitsISE_E10value_typeEPNSK_ISF_E10value_typeEPSG_NS1_7vsmem_tEENKUlT_SE_SF_SG_E_clIS8_S8_S9_S9_EESD_ST_SE_SF_SG_EUlST_E0_NS1_11comp_targetILNS1_3genE3ELNS1_11target_archE908ELNS1_3gpuE7ELNS1_3repE0EEENS1_38merge_mergepath_config_static_selectorELNS0_4arch9wavefront6targetE1EEEvSF_.kd
    .uniform_work_group_size: 1
    .uses_dynamic_stack: false
    .vgpr_count:     0
    .vgpr_spill_count: 0
    .wavefront_size: 64
  - .agpr_count:     0
    .args:
      - .offset:         0
        .size:           64
        .value_kind:     by_value
    .group_segment_fixed_size: 0
    .kernarg_segment_align: 8
    .kernarg_segment_size: 64
    .language:       OpenCL C
    .language_version:
      - 2
      - 0
    .max_flat_workgroup_size: 128
    .name:           _ZN7rocprim17ROCPRIM_400000_NS6detail17trampoline_kernelINS0_14default_configENS1_38merge_sort_block_merge_config_selectorIaNS0_10empty_typeEEEZZNS1_27merge_sort_block_merge_implIS3_PaPS5_jNS1_19radix_merge_compareILb0ELb1EaNS0_19identity_decomposerEEEEE10hipError_tT0_T1_T2_jT3_P12ihipStream_tbPNSt15iterator_traitsISE_E10value_typeEPNSK_ISF_E10value_typeEPSG_NS1_7vsmem_tEENKUlT_SE_SF_SG_E_clIS8_S8_S9_S9_EESD_ST_SE_SF_SG_EUlST_E0_NS1_11comp_targetILNS1_3genE2ELNS1_11target_archE906ELNS1_3gpuE6ELNS1_3repE0EEENS1_38merge_mergepath_config_static_selectorELNS0_4arch9wavefront6targetE1EEEvSF_
    .private_segment_fixed_size: 0
    .sgpr_count:     4
    .sgpr_spill_count: 0
    .symbol:         _ZN7rocprim17ROCPRIM_400000_NS6detail17trampoline_kernelINS0_14default_configENS1_38merge_sort_block_merge_config_selectorIaNS0_10empty_typeEEEZZNS1_27merge_sort_block_merge_implIS3_PaPS5_jNS1_19radix_merge_compareILb0ELb1EaNS0_19identity_decomposerEEEEE10hipError_tT0_T1_T2_jT3_P12ihipStream_tbPNSt15iterator_traitsISE_E10value_typeEPNSK_ISF_E10value_typeEPSG_NS1_7vsmem_tEENKUlT_SE_SF_SG_E_clIS8_S8_S9_S9_EESD_ST_SE_SF_SG_EUlST_E0_NS1_11comp_targetILNS1_3genE2ELNS1_11target_archE906ELNS1_3gpuE6ELNS1_3repE0EEENS1_38merge_mergepath_config_static_selectorELNS0_4arch9wavefront6targetE1EEEvSF_.kd
    .uniform_work_group_size: 1
    .uses_dynamic_stack: false
    .vgpr_count:     0
    .vgpr_spill_count: 0
    .wavefront_size: 64
  - .agpr_count:     0
    .args:
      - .offset:         0
        .size:           64
        .value_kind:     by_value
    .group_segment_fixed_size: 0
    .kernarg_segment_align: 8
    .kernarg_segment_size: 64
    .language:       OpenCL C
    .language_version:
      - 2
      - 0
    .max_flat_workgroup_size: 128
    .name:           _ZN7rocprim17ROCPRIM_400000_NS6detail17trampoline_kernelINS0_14default_configENS1_38merge_sort_block_merge_config_selectorIaNS0_10empty_typeEEEZZNS1_27merge_sort_block_merge_implIS3_PaPS5_jNS1_19radix_merge_compareILb0ELb1EaNS0_19identity_decomposerEEEEE10hipError_tT0_T1_T2_jT3_P12ihipStream_tbPNSt15iterator_traitsISE_E10value_typeEPNSK_ISF_E10value_typeEPSG_NS1_7vsmem_tEENKUlT_SE_SF_SG_E_clIS8_S8_S9_S9_EESD_ST_SE_SF_SG_EUlST_E0_NS1_11comp_targetILNS1_3genE9ELNS1_11target_archE1100ELNS1_3gpuE3ELNS1_3repE0EEENS1_38merge_mergepath_config_static_selectorELNS0_4arch9wavefront6targetE1EEEvSF_
    .private_segment_fixed_size: 0
    .sgpr_count:     4
    .sgpr_spill_count: 0
    .symbol:         _ZN7rocprim17ROCPRIM_400000_NS6detail17trampoline_kernelINS0_14default_configENS1_38merge_sort_block_merge_config_selectorIaNS0_10empty_typeEEEZZNS1_27merge_sort_block_merge_implIS3_PaPS5_jNS1_19radix_merge_compareILb0ELb1EaNS0_19identity_decomposerEEEEE10hipError_tT0_T1_T2_jT3_P12ihipStream_tbPNSt15iterator_traitsISE_E10value_typeEPNSK_ISF_E10value_typeEPSG_NS1_7vsmem_tEENKUlT_SE_SF_SG_E_clIS8_S8_S9_S9_EESD_ST_SE_SF_SG_EUlST_E0_NS1_11comp_targetILNS1_3genE9ELNS1_11target_archE1100ELNS1_3gpuE3ELNS1_3repE0EEENS1_38merge_mergepath_config_static_selectorELNS0_4arch9wavefront6targetE1EEEvSF_.kd
    .uniform_work_group_size: 1
    .uses_dynamic_stack: false
    .vgpr_count:     0
    .vgpr_spill_count: 0
    .wavefront_size: 64
  - .agpr_count:     0
    .args:
      - .offset:         0
        .size:           64
        .value_kind:     by_value
    .group_segment_fixed_size: 0
    .kernarg_segment_align: 8
    .kernarg_segment_size: 64
    .language:       OpenCL C
    .language_version:
      - 2
      - 0
    .max_flat_workgroup_size: 128
    .name:           _ZN7rocprim17ROCPRIM_400000_NS6detail17trampoline_kernelINS0_14default_configENS1_38merge_sort_block_merge_config_selectorIaNS0_10empty_typeEEEZZNS1_27merge_sort_block_merge_implIS3_PaPS5_jNS1_19radix_merge_compareILb0ELb1EaNS0_19identity_decomposerEEEEE10hipError_tT0_T1_T2_jT3_P12ihipStream_tbPNSt15iterator_traitsISE_E10value_typeEPNSK_ISF_E10value_typeEPSG_NS1_7vsmem_tEENKUlT_SE_SF_SG_E_clIS8_S8_S9_S9_EESD_ST_SE_SF_SG_EUlST_E0_NS1_11comp_targetILNS1_3genE8ELNS1_11target_archE1030ELNS1_3gpuE2ELNS1_3repE0EEENS1_38merge_mergepath_config_static_selectorELNS0_4arch9wavefront6targetE1EEEvSF_
    .private_segment_fixed_size: 0
    .sgpr_count:     4
    .sgpr_spill_count: 0
    .symbol:         _ZN7rocprim17ROCPRIM_400000_NS6detail17trampoline_kernelINS0_14default_configENS1_38merge_sort_block_merge_config_selectorIaNS0_10empty_typeEEEZZNS1_27merge_sort_block_merge_implIS3_PaPS5_jNS1_19radix_merge_compareILb0ELb1EaNS0_19identity_decomposerEEEEE10hipError_tT0_T1_T2_jT3_P12ihipStream_tbPNSt15iterator_traitsISE_E10value_typeEPNSK_ISF_E10value_typeEPSG_NS1_7vsmem_tEENKUlT_SE_SF_SG_E_clIS8_S8_S9_S9_EESD_ST_SE_SF_SG_EUlST_E0_NS1_11comp_targetILNS1_3genE8ELNS1_11target_archE1030ELNS1_3gpuE2ELNS1_3repE0EEENS1_38merge_mergepath_config_static_selectorELNS0_4arch9wavefront6targetE1EEEvSF_.kd
    .uniform_work_group_size: 1
    .uses_dynamic_stack: false
    .vgpr_count:     0
    .vgpr_spill_count: 0
    .wavefront_size: 64
  - .agpr_count:     0
    .args:
      - .offset:         0
        .size:           48
        .value_kind:     by_value
    .group_segment_fixed_size: 0
    .kernarg_segment_align: 8
    .kernarg_segment_size: 48
    .language:       OpenCL C
    .language_version:
      - 2
      - 0
    .max_flat_workgroup_size: 256
    .name:           _ZN7rocprim17ROCPRIM_400000_NS6detail17trampoline_kernelINS0_14default_configENS1_38merge_sort_block_merge_config_selectorIaNS0_10empty_typeEEEZZNS1_27merge_sort_block_merge_implIS3_PaPS5_jNS1_19radix_merge_compareILb0ELb1EaNS0_19identity_decomposerEEEEE10hipError_tT0_T1_T2_jT3_P12ihipStream_tbPNSt15iterator_traitsISE_E10value_typeEPNSK_ISF_E10value_typeEPSG_NS1_7vsmem_tEENKUlT_SE_SF_SG_E_clIS8_S8_S9_S9_EESD_ST_SE_SF_SG_EUlST_E1_NS1_11comp_targetILNS1_3genE0ELNS1_11target_archE4294967295ELNS1_3gpuE0ELNS1_3repE0EEENS1_36merge_oddeven_config_static_selectorELNS0_4arch9wavefront6targetE1EEEvSF_
    .private_segment_fixed_size: 0
    .sgpr_count:     4
    .sgpr_spill_count: 0
    .symbol:         _ZN7rocprim17ROCPRIM_400000_NS6detail17trampoline_kernelINS0_14default_configENS1_38merge_sort_block_merge_config_selectorIaNS0_10empty_typeEEEZZNS1_27merge_sort_block_merge_implIS3_PaPS5_jNS1_19radix_merge_compareILb0ELb1EaNS0_19identity_decomposerEEEEE10hipError_tT0_T1_T2_jT3_P12ihipStream_tbPNSt15iterator_traitsISE_E10value_typeEPNSK_ISF_E10value_typeEPSG_NS1_7vsmem_tEENKUlT_SE_SF_SG_E_clIS8_S8_S9_S9_EESD_ST_SE_SF_SG_EUlST_E1_NS1_11comp_targetILNS1_3genE0ELNS1_11target_archE4294967295ELNS1_3gpuE0ELNS1_3repE0EEENS1_36merge_oddeven_config_static_selectorELNS0_4arch9wavefront6targetE1EEEvSF_.kd
    .uniform_work_group_size: 1
    .uses_dynamic_stack: false
    .vgpr_count:     0
    .vgpr_spill_count: 0
    .wavefront_size: 64
  - .agpr_count:     0
    .args:
      - .offset:         0
        .size:           48
        .value_kind:     by_value
    .group_segment_fixed_size: 0
    .kernarg_segment_align: 8
    .kernarg_segment_size: 48
    .language:       OpenCL C
    .language_version:
      - 2
      - 0
    .max_flat_workgroup_size: 256
    .name:           _ZN7rocprim17ROCPRIM_400000_NS6detail17trampoline_kernelINS0_14default_configENS1_38merge_sort_block_merge_config_selectorIaNS0_10empty_typeEEEZZNS1_27merge_sort_block_merge_implIS3_PaPS5_jNS1_19radix_merge_compareILb0ELb1EaNS0_19identity_decomposerEEEEE10hipError_tT0_T1_T2_jT3_P12ihipStream_tbPNSt15iterator_traitsISE_E10value_typeEPNSK_ISF_E10value_typeEPSG_NS1_7vsmem_tEENKUlT_SE_SF_SG_E_clIS8_S8_S9_S9_EESD_ST_SE_SF_SG_EUlST_E1_NS1_11comp_targetILNS1_3genE10ELNS1_11target_archE1201ELNS1_3gpuE5ELNS1_3repE0EEENS1_36merge_oddeven_config_static_selectorELNS0_4arch9wavefront6targetE1EEEvSF_
    .private_segment_fixed_size: 0
    .sgpr_count:     4
    .sgpr_spill_count: 0
    .symbol:         _ZN7rocprim17ROCPRIM_400000_NS6detail17trampoline_kernelINS0_14default_configENS1_38merge_sort_block_merge_config_selectorIaNS0_10empty_typeEEEZZNS1_27merge_sort_block_merge_implIS3_PaPS5_jNS1_19radix_merge_compareILb0ELb1EaNS0_19identity_decomposerEEEEE10hipError_tT0_T1_T2_jT3_P12ihipStream_tbPNSt15iterator_traitsISE_E10value_typeEPNSK_ISF_E10value_typeEPSG_NS1_7vsmem_tEENKUlT_SE_SF_SG_E_clIS8_S8_S9_S9_EESD_ST_SE_SF_SG_EUlST_E1_NS1_11comp_targetILNS1_3genE10ELNS1_11target_archE1201ELNS1_3gpuE5ELNS1_3repE0EEENS1_36merge_oddeven_config_static_selectorELNS0_4arch9wavefront6targetE1EEEvSF_.kd
    .uniform_work_group_size: 1
    .uses_dynamic_stack: false
    .vgpr_count:     0
    .vgpr_spill_count: 0
    .wavefront_size: 64
  - .agpr_count:     0
    .args:
      - .offset:         0
        .size:           48
        .value_kind:     by_value
    .group_segment_fixed_size: 0
    .kernarg_segment_align: 8
    .kernarg_segment_size: 48
    .language:       OpenCL C
    .language_version:
      - 2
      - 0
    .max_flat_workgroup_size: 256
    .name:           _ZN7rocprim17ROCPRIM_400000_NS6detail17trampoline_kernelINS0_14default_configENS1_38merge_sort_block_merge_config_selectorIaNS0_10empty_typeEEEZZNS1_27merge_sort_block_merge_implIS3_PaPS5_jNS1_19radix_merge_compareILb0ELb1EaNS0_19identity_decomposerEEEEE10hipError_tT0_T1_T2_jT3_P12ihipStream_tbPNSt15iterator_traitsISE_E10value_typeEPNSK_ISF_E10value_typeEPSG_NS1_7vsmem_tEENKUlT_SE_SF_SG_E_clIS8_S8_S9_S9_EESD_ST_SE_SF_SG_EUlST_E1_NS1_11comp_targetILNS1_3genE5ELNS1_11target_archE942ELNS1_3gpuE9ELNS1_3repE0EEENS1_36merge_oddeven_config_static_selectorELNS0_4arch9wavefront6targetE1EEEvSF_
    .private_segment_fixed_size: 0
    .sgpr_count:     4
    .sgpr_spill_count: 0
    .symbol:         _ZN7rocprim17ROCPRIM_400000_NS6detail17trampoline_kernelINS0_14default_configENS1_38merge_sort_block_merge_config_selectorIaNS0_10empty_typeEEEZZNS1_27merge_sort_block_merge_implIS3_PaPS5_jNS1_19radix_merge_compareILb0ELb1EaNS0_19identity_decomposerEEEEE10hipError_tT0_T1_T2_jT3_P12ihipStream_tbPNSt15iterator_traitsISE_E10value_typeEPNSK_ISF_E10value_typeEPSG_NS1_7vsmem_tEENKUlT_SE_SF_SG_E_clIS8_S8_S9_S9_EESD_ST_SE_SF_SG_EUlST_E1_NS1_11comp_targetILNS1_3genE5ELNS1_11target_archE942ELNS1_3gpuE9ELNS1_3repE0EEENS1_36merge_oddeven_config_static_selectorELNS0_4arch9wavefront6targetE1EEEvSF_.kd
    .uniform_work_group_size: 1
    .uses_dynamic_stack: false
    .vgpr_count:     0
    .vgpr_spill_count: 0
    .wavefront_size: 64
  - .agpr_count:     0
    .args:
      - .offset:         0
        .size:           48
        .value_kind:     by_value
    .group_segment_fixed_size: 0
    .kernarg_segment_align: 8
    .kernarg_segment_size: 48
    .language:       OpenCL C
    .language_version:
      - 2
      - 0
    .max_flat_workgroup_size: 256
    .name:           _ZN7rocprim17ROCPRIM_400000_NS6detail17trampoline_kernelINS0_14default_configENS1_38merge_sort_block_merge_config_selectorIaNS0_10empty_typeEEEZZNS1_27merge_sort_block_merge_implIS3_PaPS5_jNS1_19radix_merge_compareILb0ELb1EaNS0_19identity_decomposerEEEEE10hipError_tT0_T1_T2_jT3_P12ihipStream_tbPNSt15iterator_traitsISE_E10value_typeEPNSK_ISF_E10value_typeEPSG_NS1_7vsmem_tEENKUlT_SE_SF_SG_E_clIS8_S8_S9_S9_EESD_ST_SE_SF_SG_EUlST_E1_NS1_11comp_targetILNS1_3genE4ELNS1_11target_archE910ELNS1_3gpuE8ELNS1_3repE0EEENS1_36merge_oddeven_config_static_selectorELNS0_4arch9wavefront6targetE1EEEvSF_
    .private_segment_fixed_size: 0
    .sgpr_count:     26
    .sgpr_spill_count: 0
    .symbol:         _ZN7rocprim17ROCPRIM_400000_NS6detail17trampoline_kernelINS0_14default_configENS1_38merge_sort_block_merge_config_selectorIaNS0_10empty_typeEEEZZNS1_27merge_sort_block_merge_implIS3_PaPS5_jNS1_19radix_merge_compareILb0ELb1EaNS0_19identity_decomposerEEEEE10hipError_tT0_T1_T2_jT3_P12ihipStream_tbPNSt15iterator_traitsISE_E10value_typeEPNSK_ISF_E10value_typeEPSG_NS1_7vsmem_tEENKUlT_SE_SF_SG_E_clIS8_S8_S9_S9_EESD_ST_SE_SF_SG_EUlST_E1_NS1_11comp_targetILNS1_3genE4ELNS1_11target_archE910ELNS1_3gpuE8ELNS1_3repE0EEENS1_36merge_oddeven_config_static_selectorELNS0_4arch9wavefront6targetE1EEEvSF_.kd
    .uniform_work_group_size: 1
    .uses_dynamic_stack: false
    .vgpr_count:     9
    .vgpr_spill_count: 0
    .wavefront_size: 64
  - .agpr_count:     0
    .args:
      - .offset:         0
        .size:           48
        .value_kind:     by_value
    .group_segment_fixed_size: 0
    .kernarg_segment_align: 8
    .kernarg_segment_size: 48
    .language:       OpenCL C
    .language_version:
      - 2
      - 0
    .max_flat_workgroup_size: 256
    .name:           _ZN7rocprim17ROCPRIM_400000_NS6detail17trampoline_kernelINS0_14default_configENS1_38merge_sort_block_merge_config_selectorIaNS0_10empty_typeEEEZZNS1_27merge_sort_block_merge_implIS3_PaPS5_jNS1_19radix_merge_compareILb0ELb1EaNS0_19identity_decomposerEEEEE10hipError_tT0_T1_T2_jT3_P12ihipStream_tbPNSt15iterator_traitsISE_E10value_typeEPNSK_ISF_E10value_typeEPSG_NS1_7vsmem_tEENKUlT_SE_SF_SG_E_clIS8_S8_S9_S9_EESD_ST_SE_SF_SG_EUlST_E1_NS1_11comp_targetILNS1_3genE3ELNS1_11target_archE908ELNS1_3gpuE7ELNS1_3repE0EEENS1_36merge_oddeven_config_static_selectorELNS0_4arch9wavefront6targetE1EEEvSF_
    .private_segment_fixed_size: 0
    .sgpr_count:     4
    .sgpr_spill_count: 0
    .symbol:         _ZN7rocprim17ROCPRIM_400000_NS6detail17trampoline_kernelINS0_14default_configENS1_38merge_sort_block_merge_config_selectorIaNS0_10empty_typeEEEZZNS1_27merge_sort_block_merge_implIS3_PaPS5_jNS1_19radix_merge_compareILb0ELb1EaNS0_19identity_decomposerEEEEE10hipError_tT0_T1_T2_jT3_P12ihipStream_tbPNSt15iterator_traitsISE_E10value_typeEPNSK_ISF_E10value_typeEPSG_NS1_7vsmem_tEENKUlT_SE_SF_SG_E_clIS8_S8_S9_S9_EESD_ST_SE_SF_SG_EUlST_E1_NS1_11comp_targetILNS1_3genE3ELNS1_11target_archE908ELNS1_3gpuE7ELNS1_3repE0EEENS1_36merge_oddeven_config_static_selectorELNS0_4arch9wavefront6targetE1EEEvSF_.kd
    .uniform_work_group_size: 1
    .uses_dynamic_stack: false
    .vgpr_count:     0
    .vgpr_spill_count: 0
    .wavefront_size: 64
  - .agpr_count:     0
    .args:
      - .offset:         0
        .size:           48
        .value_kind:     by_value
    .group_segment_fixed_size: 0
    .kernarg_segment_align: 8
    .kernarg_segment_size: 48
    .language:       OpenCL C
    .language_version:
      - 2
      - 0
    .max_flat_workgroup_size: 256
    .name:           _ZN7rocprim17ROCPRIM_400000_NS6detail17trampoline_kernelINS0_14default_configENS1_38merge_sort_block_merge_config_selectorIaNS0_10empty_typeEEEZZNS1_27merge_sort_block_merge_implIS3_PaPS5_jNS1_19radix_merge_compareILb0ELb1EaNS0_19identity_decomposerEEEEE10hipError_tT0_T1_T2_jT3_P12ihipStream_tbPNSt15iterator_traitsISE_E10value_typeEPNSK_ISF_E10value_typeEPSG_NS1_7vsmem_tEENKUlT_SE_SF_SG_E_clIS8_S8_S9_S9_EESD_ST_SE_SF_SG_EUlST_E1_NS1_11comp_targetILNS1_3genE2ELNS1_11target_archE906ELNS1_3gpuE6ELNS1_3repE0EEENS1_36merge_oddeven_config_static_selectorELNS0_4arch9wavefront6targetE1EEEvSF_
    .private_segment_fixed_size: 0
    .sgpr_count:     4
    .sgpr_spill_count: 0
    .symbol:         _ZN7rocprim17ROCPRIM_400000_NS6detail17trampoline_kernelINS0_14default_configENS1_38merge_sort_block_merge_config_selectorIaNS0_10empty_typeEEEZZNS1_27merge_sort_block_merge_implIS3_PaPS5_jNS1_19radix_merge_compareILb0ELb1EaNS0_19identity_decomposerEEEEE10hipError_tT0_T1_T2_jT3_P12ihipStream_tbPNSt15iterator_traitsISE_E10value_typeEPNSK_ISF_E10value_typeEPSG_NS1_7vsmem_tEENKUlT_SE_SF_SG_E_clIS8_S8_S9_S9_EESD_ST_SE_SF_SG_EUlST_E1_NS1_11comp_targetILNS1_3genE2ELNS1_11target_archE906ELNS1_3gpuE6ELNS1_3repE0EEENS1_36merge_oddeven_config_static_selectorELNS0_4arch9wavefront6targetE1EEEvSF_.kd
    .uniform_work_group_size: 1
    .uses_dynamic_stack: false
    .vgpr_count:     0
    .vgpr_spill_count: 0
    .wavefront_size: 64
  - .agpr_count:     0
    .args:
      - .offset:         0
        .size:           48
        .value_kind:     by_value
    .group_segment_fixed_size: 0
    .kernarg_segment_align: 8
    .kernarg_segment_size: 48
    .language:       OpenCL C
    .language_version:
      - 2
      - 0
    .max_flat_workgroup_size: 256
    .name:           _ZN7rocprim17ROCPRIM_400000_NS6detail17trampoline_kernelINS0_14default_configENS1_38merge_sort_block_merge_config_selectorIaNS0_10empty_typeEEEZZNS1_27merge_sort_block_merge_implIS3_PaPS5_jNS1_19radix_merge_compareILb0ELb1EaNS0_19identity_decomposerEEEEE10hipError_tT0_T1_T2_jT3_P12ihipStream_tbPNSt15iterator_traitsISE_E10value_typeEPNSK_ISF_E10value_typeEPSG_NS1_7vsmem_tEENKUlT_SE_SF_SG_E_clIS8_S8_S9_S9_EESD_ST_SE_SF_SG_EUlST_E1_NS1_11comp_targetILNS1_3genE9ELNS1_11target_archE1100ELNS1_3gpuE3ELNS1_3repE0EEENS1_36merge_oddeven_config_static_selectorELNS0_4arch9wavefront6targetE1EEEvSF_
    .private_segment_fixed_size: 0
    .sgpr_count:     4
    .sgpr_spill_count: 0
    .symbol:         _ZN7rocprim17ROCPRIM_400000_NS6detail17trampoline_kernelINS0_14default_configENS1_38merge_sort_block_merge_config_selectorIaNS0_10empty_typeEEEZZNS1_27merge_sort_block_merge_implIS3_PaPS5_jNS1_19radix_merge_compareILb0ELb1EaNS0_19identity_decomposerEEEEE10hipError_tT0_T1_T2_jT3_P12ihipStream_tbPNSt15iterator_traitsISE_E10value_typeEPNSK_ISF_E10value_typeEPSG_NS1_7vsmem_tEENKUlT_SE_SF_SG_E_clIS8_S8_S9_S9_EESD_ST_SE_SF_SG_EUlST_E1_NS1_11comp_targetILNS1_3genE9ELNS1_11target_archE1100ELNS1_3gpuE3ELNS1_3repE0EEENS1_36merge_oddeven_config_static_selectorELNS0_4arch9wavefront6targetE1EEEvSF_.kd
    .uniform_work_group_size: 1
    .uses_dynamic_stack: false
    .vgpr_count:     0
    .vgpr_spill_count: 0
    .wavefront_size: 64
  - .agpr_count:     0
    .args:
      - .offset:         0
        .size:           48
        .value_kind:     by_value
    .group_segment_fixed_size: 0
    .kernarg_segment_align: 8
    .kernarg_segment_size: 48
    .language:       OpenCL C
    .language_version:
      - 2
      - 0
    .max_flat_workgroup_size: 256
    .name:           _ZN7rocprim17ROCPRIM_400000_NS6detail17trampoline_kernelINS0_14default_configENS1_38merge_sort_block_merge_config_selectorIaNS0_10empty_typeEEEZZNS1_27merge_sort_block_merge_implIS3_PaPS5_jNS1_19radix_merge_compareILb0ELb1EaNS0_19identity_decomposerEEEEE10hipError_tT0_T1_T2_jT3_P12ihipStream_tbPNSt15iterator_traitsISE_E10value_typeEPNSK_ISF_E10value_typeEPSG_NS1_7vsmem_tEENKUlT_SE_SF_SG_E_clIS8_S8_S9_S9_EESD_ST_SE_SF_SG_EUlST_E1_NS1_11comp_targetILNS1_3genE8ELNS1_11target_archE1030ELNS1_3gpuE2ELNS1_3repE0EEENS1_36merge_oddeven_config_static_selectorELNS0_4arch9wavefront6targetE1EEEvSF_
    .private_segment_fixed_size: 0
    .sgpr_count:     4
    .sgpr_spill_count: 0
    .symbol:         _ZN7rocprim17ROCPRIM_400000_NS6detail17trampoline_kernelINS0_14default_configENS1_38merge_sort_block_merge_config_selectorIaNS0_10empty_typeEEEZZNS1_27merge_sort_block_merge_implIS3_PaPS5_jNS1_19radix_merge_compareILb0ELb1EaNS0_19identity_decomposerEEEEE10hipError_tT0_T1_T2_jT3_P12ihipStream_tbPNSt15iterator_traitsISE_E10value_typeEPNSK_ISF_E10value_typeEPSG_NS1_7vsmem_tEENKUlT_SE_SF_SG_E_clIS8_S8_S9_S9_EESD_ST_SE_SF_SG_EUlST_E1_NS1_11comp_targetILNS1_3genE8ELNS1_11target_archE1030ELNS1_3gpuE2ELNS1_3repE0EEENS1_36merge_oddeven_config_static_selectorELNS0_4arch9wavefront6targetE1EEEvSF_.kd
    .uniform_work_group_size: 1
    .uses_dynamic_stack: false
    .vgpr_count:     0
    .vgpr_spill_count: 0
    .wavefront_size: 64
  - .agpr_count:     0
    .args:
      - .offset:         0
        .size:           48
        .value_kind:     by_value
    .group_segment_fixed_size: 0
    .kernarg_segment_align: 8
    .kernarg_segment_size: 48
    .language:       OpenCL C
    .language_version:
      - 2
      - 0
    .max_flat_workgroup_size: 1024
    .name:           _ZN7rocprim17ROCPRIM_400000_NS6detail17trampoline_kernelINS0_14default_configENS1_35radix_sort_onesweep_config_selectorIaNS0_10empty_typeEEEZNS1_34radix_sort_onesweep_global_offsetsIS3_Lb0EPaPS5_mNS0_19identity_decomposerEEE10hipError_tT1_T2_PT3_SE_jT4_jjP12ihipStream_tbEUlT_E_NS1_11comp_targetILNS1_3genE0ELNS1_11target_archE4294967295ELNS1_3gpuE0ELNS1_3repE0EEENS1_52radix_sort_onesweep_histogram_config_static_selectorELNS0_4arch9wavefront6targetE1EEEvSC_
    .private_segment_fixed_size: 0
    .sgpr_count:     4
    .sgpr_spill_count: 0
    .symbol:         _ZN7rocprim17ROCPRIM_400000_NS6detail17trampoline_kernelINS0_14default_configENS1_35radix_sort_onesweep_config_selectorIaNS0_10empty_typeEEEZNS1_34radix_sort_onesweep_global_offsetsIS3_Lb0EPaPS5_mNS0_19identity_decomposerEEE10hipError_tT1_T2_PT3_SE_jT4_jjP12ihipStream_tbEUlT_E_NS1_11comp_targetILNS1_3genE0ELNS1_11target_archE4294967295ELNS1_3gpuE0ELNS1_3repE0EEENS1_52radix_sort_onesweep_histogram_config_static_selectorELNS0_4arch9wavefront6targetE1EEEvSC_.kd
    .uniform_work_group_size: 1
    .uses_dynamic_stack: false
    .vgpr_count:     0
    .vgpr_spill_count: 0
    .wavefront_size: 64
  - .agpr_count:     0
    .args:
      - .offset:         0
        .size:           48
        .value_kind:     by_value
    .group_segment_fixed_size: 0
    .kernarg_segment_align: 8
    .kernarg_segment_size: 48
    .language:       OpenCL C
    .language_version:
      - 2
      - 0
    .max_flat_workgroup_size: 1024
    .name:           _ZN7rocprim17ROCPRIM_400000_NS6detail17trampoline_kernelINS0_14default_configENS1_35radix_sort_onesweep_config_selectorIaNS0_10empty_typeEEEZNS1_34radix_sort_onesweep_global_offsetsIS3_Lb0EPaPS5_mNS0_19identity_decomposerEEE10hipError_tT1_T2_PT3_SE_jT4_jjP12ihipStream_tbEUlT_E_NS1_11comp_targetILNS1_3genE6ELNS1_11target_archE950ELNS1_3gpuE13ELNS1_3repE0EEENS1_52radix_sort_onesweep_histogram_config_static_selectorELNS0_4arch9wavefront6targetE1EEEvSC_
    .private_segment_fixed_size: 0
    .sgpr_count:     4
    .sgpr_spill_count: 0
    .symbol:         _ZN7rocprim17ROCPRIM_400000_NS6detail17trampoline_kernelINS0_14default_configENS1_35radix_sort_onesweep_config_selectorIaNS0_10empty_typeEEEZNS1_34radix_sort_onesweep_global_offsetsIS3_Lb0EPaPS5_mNS0_19identity_decomposerEEE10hipError_tT1_T2_PT3_SE_jT4_jjP12ihipStream_tbEUlT_E_NS1_11comp_targetILNS1_3genE6ELNS1_11target_archE950ELNS1_3gpuE13ELNS1_3repE0EEENS1_52radix_sort_onesweep_histogram_config_static_selectorELNS0_4arch9wavefront6targetE1EEEvSC_.kd
    .uniform_work_group_size: 1
    .uses_dynamic_stack: false
    .vgpr_count:     0
    .vgpr_spill_count: 0
    .wavefront_size: 64
  - .agpr_count:     0
    .args:
      - .offset:         0
        .size:           48
        .value_kind:     by_value
    .group_segment_fixed_size: 0
    .kernarg_segment_align: 8
    .kernarg_segment_size: 48
    .language:       OpenCL C
    .language_version:
      - 2
      - 0
    .max_flat_workgroup_size: 1024
    .name:           _ZN7rocprim17ROCPRIM_400000_NS6detail17trampoline_kernelINS0_14default_configENS1_35radix_sort_onesweep_config_selectorIaNS0_10empty_typeEEEZNS1_34radix_sort_onesweep_global_offsetsIS3_Lb0EPaPS5_mNS0_19identity_decomposerEEE10hipError_tT1_T2_PT3_SE_jT4_jjP12ihipStream_tbEUlT_E_NS1_11comp_targetILNS1_3genE5ELNS1_11target_archE942ELNS1_3gpuE9ELNS1_3repE0EEENS1_52radix_sort_onesweep_histogram_config_static_selectorELNS0_4arch9wavefront6targetE1EEEvSC_
    .private_segment_fixed_size: 0
    .sgpr_count:     4
    .sgpr_spill_count: 0
    .symbol:         _ZN7rocprim17ROCPRIM_400000_NS6detail17trampoline_kernelINS0_14default_configENS1_35radix_sort_onesweep_config_selectorIaNS0_10empty_typeEEEZNS1_34radix_sort_onesweep_global_offsetsIS3_Lb0EPaPS5_mNS0_19identity_decomposerEEE10hipError_tT1_T2_PT3_SE_jT4_jjP12ihipStream_tbEUlT_E_NS1_11comp_targetILNS1_3genE5ELNS1_11target_archE942ELNS1_3gpuE9ELNS1_3repE0EEENS1_52radix_sort_onesweep_histogram_config_static_selectorELNS0_4arch9wavefront6targetE1EEEvSC_.kd
    .uniform_work_group_size: 1
    .uses_dynamic_stack: false
    .vgpr_count:     0
    .vgpr_spill_count: 0
    .wavefront_size: 64
  - .agpr_count:     0
    .args:
      - .offset:         0
        .size:           48
        .value_kind:     by_value
    .group_segment_fixed_size: 0
    .kernarg_segment_align: 8
    .kernarg_segment_size: 48
    .language:       OpenCL C
    .language_version:
      - 2
      - 0
    .max_flat_workgroup_size: 512
    .name:           _ZN7rocprim17ROCPRIM_400000_NS6detail17trampoline_kernelINS0_14default_configENS1_35radix_sort_onesweep_config_selectorIaNS0_10empty_typeEEEZNS1_34radix_sort_onesweep_global_offsetsIS3_Lb0EPaPS5_mNS0_19identity_decomposerEEE10hipError_tT1_T2_PT3_SE_jT4_jjP12ihipStream_tbEUlT_E_NS1_11comp_targetILNS1_3genE2ELNS1_11target_archE906ELNS1_3gpuE6ELNS1_3repE0EEENS1_52radix_sort_onesweep_histogram_config_static_selectorELNS0_4arch9wavefront6targetE1EEEvSC_
    .private_segment_fixed_size: 0
    .sgpr_count:     4
    .sgpr_spill_count: 0
    .symbol:         _ZN7rocprim17ROCPRIM_400000_NS6detail17trampoline_kernelINS0_14default_configENS1_35radix_sort_onesweep_config_selectorIaNS0_10empty_typeEEEZNS1_34radix_sort_onesweep_global_offsetsIS3_Lb0EPaPS5_mNS0_19identity_decomposerEEE10hipError_tT1_T2_PT3_SE_jT4_jjP12ihipStream_tbEUlT_E_NS1_11comp_targetILNS1_3genE2ELNS1_11target_archE906ELNS1_3gpuE6ELNS1_3repE0EEENS1_52radix_sort_onesweep_histogram_config_static_selectorELNS0_4arch9wavefront6targetE1EEEvSC_.kd
    .uniform_work_group_size: 1
    .uses_dynamic_stack: false
    .vgpr_count:     0
    .vgpr_spill_count: 0
    .wavefront_size: 64
  - .agpr_count:     0
    .args:
      - .offset:         0
        .size:           48
        .value_kind:     by_value
    .group_segment_fixed_size: 512
    .kernarg_segment_align: 8
    .kernarg_segment_size: 48
    .language:       OpenCL C
    .language_version:
      - 2
      - 0
    .max_flat_workgroup_size: 512
    .name:           _ZN7rocprim17ROCPRIM_400000_NS6detail17trampoline_kernelINS0_14default_configENS1_35radix_sort_onesweep_config_selectorIaNS0_10empty_typeEEEZNS1_34radix_sort_onesweep_global_offsetsIS3_Lb0EPaPS5_mNS0_19identity_decomposerEEE10hipError_tT1_T2_PT3_SE_jT4_jjP12ihipStream_tbEUlT_E_NS1_11comp_targetILNS1_3genE4ELNS1_11target_archE910ELNS1_3gpuE8ELNS1_3repE0EEENS1_52radix_sort_onesweep_histogram_config_static_selectorELNS0_4arch9wavefront6targetE1EEEvSC_
    .private_segment_fixed_size: 0
    .sgpr_count:     22
    .sgpr_spill_count: 0
    .symbol:         _ZN7rocprim17ROCPRIM_400000_NS6detail17trampoline_kernelINS0_14default_configENS1_35radix_sort_onesweep_config_selectorIaNS0_10empty_typeEEEZNS1_34radix_sort_onesweep_global_offsetsIS3_Lb0EPaPS5_mNS0_19identity_decomposerEEE10hipError_tT1_T2_PT3_SE_jT4_jjP12ihipStream_tbEUlT_E_NS1_11comp_targetILNS1_3genE4ELNS1_11target_archE910ELNS1_3gpuE8ELNS1_3repE0EEENS1_52radix_sort_onesweep_histogram_config_static_selectorELNS0_4arch9wavefront6targetE1EEEvSC_.kd
    .uniform_work_group_size: 1
    .uses_dynamic_stack: false
    .vgpr_count:     47
    .vgpr_spill_count: 0
    .wavefront_size: 64
  - .agpr_count:     0
    .args:
      - .offset:         0
        .size:           48
        .value_kind:     by_value
    .group_segment_fixed_size: 0
    .kernarg_segment_align: 8
    .kernarg_segment_size: 48
    .language:       OpenCL C
    .language_version:
      - 2
      - 0
    .max_flat_workgroup_size: 1024
    .name:           _ZN7rocprim17ROCPRIM_400000_NS6detail17trampoline_kernelINS0_14default_configENS1_35radix_sort_onesweep_config_selectorIaNS0_10empty_typeEEEZNS1_34radix_sort_onesweep_global_offsetsIS3_Lb0EPaPS5_mNS0_19identity_decomposerEEE10hipError_tT1_T2_PT3_SE_jT4_jjP12ihipStream_tbEUlT_E_NS1_11comp_targetILNS1_3genE3ELNS1_11target_archE908ELNS1_3gpuE7ELNS1_3repE0EEENS1_52radix_sort_onesweep_histogram_config_static_selectorELNS0_4arch9wavefront6targetE1EEEvSC_
    .private_segment_fixed_size: 0
    .sgpr_count:     4
    .sgpr_spill_count: 0
    .symbol:         _ZN7rocprim17ROCPRIM_400000_NS6detail17trampoline_kernelINS0_14default_configENS1_35radix_sort_onesweep_config_selectorIaNS0_10empty_typeEEEZNS1_34radix_sort_onesweep_global_offsetsIS3_Lb0EPaPS5_mNS0_19identity_decomposerEEE10hipError_tT1_T2_PT3_SE_jT4_jjP12ihipStream_tbEUlT_E_NS1_11comp_targetILNS1_3genE3ELNS1_11target_archE908ELNS1_3gpuE7ELNS1_3repE0EEENS1_52radix_sort_onesweep_histogram_config_static_selectorELNS0_4arch9wavefront6targetE1EEEvSC_.kd
    .uniform_work_group_size: 1
    .uses_dynamic_stack: false
    .vgpr_count:     0
    .vgpr_spill_count: 0
    .wavefront_size: 64
  - .agpr_count:     0
    .args:
      - .offset:         0
        .size:           48
        .value_kind:     by_value
    .group_segment_fixed_size: 0
    .kernarg_segment_align: 8
    .kernarg_segment_size: 48
    .language:       OpenCL C
    .language_version:
      - 2
      - 0
    .max_flat_workgroup_size: 256
    .name:           _ZN7rocprim17ROCPRIM_400000_NS6detail17trampoline_kernelINS0_14default_configENS1_35radix_sort_onesweep_config_selectorIaNS0_10empty_typeEEEZNS1_34radix_sort_onesweep_global_offsetsIS3_Lb0EPaPS5_mNS0_19identity_decomposerEEE10hipError_tT1_T2_PT3_SE_jT4_jjP12ihipStream_tbEUlT_E_NS1_11comp_targetILNS1_3genE10ELNS1_11target_archE1201ELNS1_3gpuE5ELNS1_3repE0EEENS1_52radix_sort_onesweep_histogram_config_static_selectorELNS0_4arch9wavefront6targetE1EEEvSC_
    .private_segment_fixed_size: 0
    .sgpr_count:     4
    .sgpr_spill_count: 0
    .symbol:         _ZN7rocprim17ROCPRIM_400000_NS6detail17trampoline_kernelINS0_14default_configENS1_35radix_sort_onesweep_config_selectorIaNS0_10empty_typeEEEZNS1_34radix_sort_onesweep_global_offsetsIS3_Lb0EPaPS5_mNS0_19identity_decomposerEEE10hipError_tT1_T2_PT3_SE_jT4_jjP12ihipStream_tbEUlT_E_NS1_11comp_targetILNS1_3genE10ELNS1_11target_archE1201ELNS1_3gpuE5ELNS1_3repE0EEENS1_52radix_sort_onesweep_histogram_config_static_selectorELNS0_4arch9wavefront6targetE1EEEvSC_.kd
    .uniform_work_group_size: 1
    .uses_dynamic_stack: false
    .vgpr_count:     0
    .vgpr_spill_count: 0
    .wavefront_size: 64
  - .agpr_count:     0
    .args:
      - .offset:         0
        .size:           48
        .value_kind:     by_value
    .group_segment_fixed_size: 0
    .kernarg_segment_align: 8
    .kernarg_segment_size: 48
    .language:       OpenCL C
    .language_version:
      - 2
      - 0
    .max_flat_workgroup_size: 256
    .name:           _ZN7rocprim17ROCPRIM_400000_NS6detail17trampoline_kernelINS0_14default_configENS1_35radix_sort_onesweep_config_selectorIaNS0_10empty_typeEEEZNS1_34radix_sort_onesweep_global_offsetsIS3_Lb0EPaPS5_mNS0_19identity_decomposerEEE10hipError_tT1_T2_PT3_SE_jT4_jjP12ihipStream_tbEUlT_E_NS1_11comp_targetILNS1_3genE9ELNS1_11target_archE1100ELNS1_3gpuE3ELNS1_3repE0EEENS1_52radix_sort_onesweep_histogram_config_static_selectorELNS0_4arch9wavefront6targetE1EEEvSC_
    .private_segment_fixed_size: 0
    .sgpr_count:     4
    .sgpr_spill_count: 0
    .symbol:         _ZN7rocprim17ROCPRIM_400000_NS6detail17trampoline_kernelINS0_14default_configENS1_35radix_sort_onesweep_config_selectorIaNS0_10empty_typeEEEZNS1_34radix_sort_onesweep_global_offsetsIS3_Lb0EPaPS5_mNS0_19identity_decomposerEEE10hipError_tT1_T2_PT3_SE_jT4_jjP12ihipStream_tbEUlT_E_NS1_11comp_targetILNS1_3genE9ELNS1_11target_archE1100ELNS1_3gpuE3ELNS1_3repE0EEENS1_52radix_sort_onesweep_histogram_config_static_selectorELNS0_4arch9wavefront6targetE1EEEvSC_.kd
    .uniform_work_group_size: 1
    .uses_dynamic_stack: false
    .vgpr_count:     0
    .vgpr_spill_count: 0
    .wavefront_size: 64
  - .agpr_count:     0
    .args:
      - .offset:         0
        .size:           48
        .value_kind:     by_value
    .group_segment_fixed_size: 0
    .kernarg_segment_align: 8
    .kernarg_segment_size: 48
    .language:       OpenCL C
    .language_version:
      - 2
      - 0
    .max_flat_workgroup_size: 256
    .name:           _ZN7rocprim17ROCPRIM_400000_NS6detail17trampoline_kernelINS0_14default_configENS1_35radix_sort_onesweep_config_selectorIaNS0_10empty_typeEEEZNS1_34radix_sort_onesweep_global_offsetsIS3_Lb0EPaPS5_mNS0_19identity_decomposerEEE10hipError_tT1_T2_PT3_SE_jT4_jjP12ihipStream_tbEUlT_E_NS1_11comp_targetILNS1_3genE8ELNS1_11target_archE1030ELNS1_3gpuE2ELNS1_3repE0EEENS1_52radix_sort_onesweep_histogram_config_static_selectorELNS0_4arch9wavefront6targetE1EEEvSC_
    .private_segment_fixed_size: 0
    .sgpr_count:     4
    .sgpr_spill_count: 0
    .symbol:         _ZN7rocprim17ROCPRIM_400000_NS6detail17trampoline_kernelINS0_14default_configENS1_35radix_sort_onesweep_config_selectorIaNS0_10empty_typeEEEZNS1_34radix_sort_onesweep_global_offsetsIS3_Lb0EPaPS5_mNS0_19identity_decomposerEEE10hipError_tT1_T2_PT3_SE_jT4_jjP12ihipStream_tbEUlT_E_NS1_11comp_targetILNS1_3genE8ELNS1_11target_archE1030ELNS1_3gpuE2ELNS1_3repE0EEENS1_52radix_sort_onesweep_histogram_config_static_selectorELNS0_4arch9wavefront6targetE1EEEvSC_.kd
    .uniform_work_group_size: 1
    .uses_dynamic_stack: false
    .vgpr_count:     0
    .vgpr_spill_count: 0
    .wavefront_size: 64
  - .agpr_count:     0
    .args:
      - .address_space:  global
        .offset:         0
        .size:           8
        .value_kind:     global_buffer
    .group_segment_fixed_size: 0
    .kernarg_segment_align: 8
    .kernarg_segment_size: 8
    .language:       OpenCL C
    .language_version:
      - 2
      - 0
    .max_flat_workgroup_size: 1024
    .name:           _ZN7rocprim17ROCPRIM_400000_NS6detail17trampoline_kernelINS0_14default_configENS1_35radix_sort_onesweep_config_selectorIaNS0_10empty_typeEEEZNS1_34radix_sort_onesweep_global_offsetsIS3_Lb0EPaPS5_mNS0_19identity_decomposerEEE10hipError_tT1_T2_PT3_SE_jT4_jjP12ihipStream_tbEUlT_E0_NS1_11comp_targetILNS1_3genE0ELNS1_11target_archE4294967295ELNS1_3gpuE0ELNS1_3repE0EEENS1_52radix_sort_onesweep_histogram_config_static_selectorELNS0_4arch9wavefront6targetE1EEEvSC_
    .private_segment_fixed_size: 0
    .sgpr_count:     4
    .sgpr_spill_count: 0
    .symbol:         _ZN7rocprim17ROCPRIM_400000_NS6detail17trampoline_kernelINS0_14default_configENS1_35radix_sort_onesweep_config_selectorIaNS0_10empty_typeEEEZNS1_34radix_sort_onesweep_global_offsetsIS3_Lb0EPaPS5_mNS0_19identity_decomposerEEE10hipError_tT1_T2_PT3_SE_jT4_jjP12ihipStream_tbEUlT_E0_NS1_11comp_targetILNS1_3genE0ELNS1_11target_archE4294967295ELNS1_3gpuE0ELNS1_3repE0EEENS1_52radix_sort_onesweep_histogram_config_static_selectorELNS0_4arch9wavefront6targetE1EEEvSC_.kd
    .uniform_work_group_size: 1
    .uses_dynamic_stack: false
    .vgpr_count:     0
    .vgpr_spill_count: 0
    .wavefront_size: 64
  - .agpr_count:     0
    .args:
      - .address_space:  global
        .offset:         0
        .size:           8
        .value_kind:     global_buffer
    .group_segment_fixed_size: 0
    .kernarg_segment_align: 8
    .kernarg_segment_size: 8
    .language:       OpenCL C
    .language_version:
      - 2
      - 0
    .max_flat_workgroup_size: 1024
    .name:           _ZN7rocprim17ROCPRIM_400000_NS6detail17trampoline_kernelINS0_14default_configENS1_35radix_sort_onesweep_config_selectorIaNS0_10empty_typeEEEZNS1_34radix_sort_onesweep_global_offsetsIS3_Lb0EPaPS5_mNS0_19identity_decomposerEEE10hipError_tT1_T2_PT3_SE_jT4_jjP12ihipStream_tbEUlT_E0_NS1_11comp_targetILNS1_3genE6ELNS1_11target_archE950ELNS1_3gpuE13ELNS1_3repE0EEENS1_52radix_sort_onesweep_histogram_config_static_selectorELNS0_4arch9wavefront6targetE1EEEvSC_
    .private_segment_fixed_size: 0
    .sgpr_count:     4
    .sgpr_spill_count: 0
    .symbol:         _ZN7rocprim17ROCPRIM_400000_NS6detail17trampoline_kernelINS0_14default_configENS1_35radix_sort_onesweep_config_selectorIaNS0_10empty_typeEEEZNS1_34radix_sort_onesweep_global_offsetsIS3_Lb0EPaPS5_mNS0_19identity_decomposerEEE10hipError_tT1_T2_PT3_SE_jT4_jjP12ihipStream_tbEUlT_E0_NS1_11comp_targetILNS1_3genE6ELNS1_11target_archE950ELNS1_3gpuE13ELNS1_3repE0EEENS1_52radix_sort_onesweep_histogram_config_static_selectorELNS0_4arch9wavefront6targetE1EEEvSC_.kd
    .uniform_work_group_size: 1
    .uses_dynamic_stack: false
    .vgpr_count:     0
    .vgpr_spill_count: 0
    .wavefront_size: 64
  - .agpr_count:     0
    .args:
      - .address_space:  global
        .offset:         0
        .size:           8
        .value_kind:     global_buffer
    .group_segment_fixed_size: 0
    .kernarg_segment_align: 8
    .kernarg_segment_size: 8
    .language:       OpenCL C
    .language_version:
      - 2
      - 0
    .max_flat_workgroup_size: 1024
    .name:           _ZN7rocprim17ROCPRIM_400000_NS6detail17trampoline_kernelINS0_14default_configENS1_35radix_sort_onesweep_config_selectorIaNS0_10empty_typeEEEZNS1_34radix_sort_onesweep_global_offsetsIS3_Lb0EPaPS5_mNS0_19identity_decomposerEEE10hipError_tT1_T2_PT3_SE_jT4_jjP12ihipStream_tbEUlT_E0_NS1_11comp_targetILNS1_3genE5ELNS1_11target_archE942ELNS1_3gpuE9ELNS1_3repE0EEENS1_52radix_sort_onesweep_histogram_config_static_selectorELNS0_4arch9wavefront6targetE1EEEvSC_
    .private_segment_fixed_size: 0
    .sgpr_count:     4
    .sgpr_spill_count: 0
    .symbol:         _ZN7rocprim17ROCPRIM_400000_NS6detail17trampoline_kernelINS0_14default_configENS1_35radix_sort_onesweep_config_selectorIaNS0_10empty_typeEEEZNS1_34radix_sort_onesweep_global_offsetsIS3_Lb0EPaPS5_mNS0_19identity_decomposerEEE10hipError_tT1_T2_PT3_SE_jT4_jjP12ihipStream_tbEUlT_E0_NS1_11comp_targetILNS1_3genE5ELNS1_11target_archE942ELNS1_3gpuE9ELNS1_3repE0EEENS1_52radix_sort_onesweep_histogram_config_static_selectorELNS0_4arch9wavefront6targetE1EEEvSC_.kd
    .uniform_work_group_size: 1
    .uses_dynamic_stack: false
    .vgpr_count:     0
    .vgpr_spill_count: 0
    .wavefront_size: 64
  - .agpr_count:     0
    .args:
      - .address_space:  global
        .offset:         0
        .size:           8
        .value_kind:     global_buffer
    .group_segment_fixed_size: 0
    .kernarg_segment_align: 8
    .kernarg_segment_size: 8
    .language:       OpenCL C
    .language_version:
      - 2
      - 0
    .max_flat_workgroup_size: 512
    .name:           _ZN7rocprim17ROCPRIM_400000_NS6detail17trampoline_kernelINS0_14default_configENS1_35radix_sort_onesweep_config_selectorIaNS0_10empty_typeEEEZNS1_34radix_sort_onesweep_global_offsetsIS3_Lb0EPaPS5_mNS0_19identity_decomposerEEE10hipError_tT1_T2_PT3_SE_jT4_jjP12ihipStream_tbEUlT_E0_NS1_11comp_targetILNS1_3genE2ELNS1_11target_archE906ELNS1_3gpuE6ELNS1_3repE0EEENS1_52radix_sort_onesweep_histogram_config_static_selectorELNS0_4arch9wavefront6targetE1EEEvSC_
    .private_segment_fixed_size: 0
    .sgpr_count:     4
    .sgpr_spill_count: 0
    .symbol:         _ZN7rocprim17ROCPRIM_400000_NS6detail17trampoline_kernelINS0_14default_configENS1_35radix_sort_onesweep_config_selectorIaNS0_10empty_typeEEEZNS1_34radix_sort_onesweep_global_offsetsIS3_Lb0EPaPS5_mNS0_19identity_decomposerEEE10hipError_tT1_T2_PT3_SE_jT4_jjP12ihipStream_tbEUlT_E0_NS1_11comp_targetILNS1_3genE2ELNS1_11target_archE906ELNS1_3gpuE6ELNS1_3repE0EEENS1_52radix_sort_onesweep_histogram_config_static_selectorELNS0_4arch9wavefront6targetE1EEEvSC_.kd
    .uniform_work_group_size: 1
    .uses_dynamic_stack: false
    .vgpr_count:     0
    .vgpr_spill_count: 0
    .wavefront_size: 64
  - .agpr_count:     0
    .args:
      - .address_space:  global
        .offset:         0
        .size:           8
        .value_kind:     global_buffer
    .group_segment_fixed_size: 64
    .kernarg_segment_align: 8
    .kernarg_segment_size: 8
    .language:       OpenCL C
    .language_version:
      - 2
      - 0
    .max_flat_workgroup_size: 512
    .name:           _ZN7rocprim17ROCPRIM_400000_NS6detail17trampoline_kernelINS0_14default_configENS1_35radix_sort_onesweep_config_selectorIaNS0_10empty_typeEEEZNS1_34radix_sort_onesweep_global_offsetsIS3_Lb0EPaPS5_mNS0_19identity_decomposerEEE10hipError_tT1_T2_PT3_SE_jT4_jjP12ihipStream_tbEUlT_E0_NS1_11comp_targetILNS1_3genE4ELNS1_11target_archE910ELNS1_3gpuE8ELNS1_3repE0EEENS1_52radix_sort_onesweep_histogram_config_static_selectorELNS0_4arch9wavefront6targetE1EEEvSC_
    .private_segment_fixed_size: 0
    .sgpr_count:     16
    .sgpr_spill_count: 0
    .symbol:         _ZN7rocprim17ROCPRIM_400000_NS6detail17trampoline_kernelINS0_14default_configENS1_35radix_sort_onesweep_config_selectorIaNS0_10empty_typeEEEZNS1_34radix_sort_onesweep_global_offsetsIS3_Lb0EPaPS5_mNS0_19identity_decomposerEEE10hipError_tT1_T2_PT3_SE_jT4_jjP12ihipStream_tbEUlT_E0_NS1_11comp_targetILNS1_3genE4ELNS1_11target_archE910ELNS1_3gpuE8ELNS1_3repE0EEENS1_52radix_sort_onesweep_histogram_config_static_selectorELNS0_4arch9wavefront6targetE1EEEvSC_.kd
    .uniform_work_group_size: 1
    .uses_dynamic_stack: false
    .vgpr_count:     16
    .vgpr_spill_count: 0
    .wavefront_size: 64
  - .agpr_count:     0
    .args:
      - .address_space:  global
        .offset:         0
        .size:           8
        .value_kind:     global_buffer
    .group_segment_fixed_size: 0
    .kernarg_segment_align: 8
    .kernarg_segment_size: 8
    .language:       OpenCL C
    .language_version:
      - 2
      - 0
    .max_flat_workgroup_size: 1024
    .name:           _ZN7rocprim17ROCPRIM_400000_NS6detail17trampoline_kernelINS0_14default_configENS1_35radix_sort_onesweep_config_selectorIaNS0_10empty_typeEEEZNS1_34radix_sort_onesweep_global_offsetsIS3_Lb0EPaPS5_mNS0_19identity_decomposerEEE10hipError_tT1_T2_PT3_SE_jT4_jjP12ihipStream_tbEUlT_E0_NS1_11comp_targetILNS1_3genE3ELNS1_11target_archE908ELNS1_3gpuE7ELNS1_3repE0EEENS1_52radix_sort_onesweep_histogram_config_static_selectorELNS0_4arch9wavefront6targetE1EEEvSC_
    .private_segment_fixed_size: 0
    .sgpr_count:     4
    .sgpr_spill_count: 0
    .symbol:         _ZN7rocprim17ROCPRIM_400000_NS6detail17trampoline_kernelINS0_14default_configENS1_35radix_sort_onesweep_config_selectorIaNS0_10empty_typeEEEZNS1_34radix_sort_onesweep_global_offsetsIS3_Lb0EPaPS5_mNS0_19identity_decomposerEEE10hipError_tT1_T2_PT3_SE_jT4_jjP12ihipStream_tbEUlT_E0_NS1_11comp_targetILNS1_3genE3ELNS1_11target_archE908ELNS1_3gpuE7ELNS1_3repE0EEENS1_52radix_sort_onesweep_histogram_config_static_selectorELNS0_4arch9wavefront6targetE1EEEvSC_.kd
    .uniform_work_group_size: 1
    .uses_dynamic_stack: false
    .vgpr_count:     0
    .vgpr_spill_count: 0
    .wavefront_size: 64
  - .agpr_count:     0
    .args:
      - .address_space:  global
        .offset:         0
        .size:           8
        .value_kind:     global_buffer
    .group_segment_fixed_size: 0
    .kernarg_segment_align: 8
    .kernarg_segment_size: 8
    .language:       OpenCL C
    .language_version:
      - 2
      - 0
    .max_flat_workgroup_size: 256
    .name:           _ZN7rocprim17ROCPRIM_400000_NS6detail17trampoline_kernelINS0_14default_configENS1_35radix_sort_onesweep_config_selectorIaNS0_10empty_typeEEEZNS1_34radix_sort_onesweep_global_offsetsIS3_Lb0EPaPS5_mNS0_19identity_decomposerEEE10hipError_tT1_T2_PT3_SE_jT4_jjP12ihipStream_tbEUlT_E0_NS1_11comp_targetILNS1_3genE10ELNS1_11target_archE1201ELNS1_3gpuE5ELNS1_3repE0EEENS1_52radix_sort_onesweep_histogram_config_static_selectorELNS0_4arch9wavefront6targetE1EEEvSC_
    .private_segment_fixed_size: 0
    .sgpr_count:     4
    .sgpr_spill_count: 0
    .symbol:         _ZN7rocprim17ROCPRIM_400000_NS6detail17trampoline_kernelINS0_14default_configENS1_35radix_sort_onesweep_config_selectorIaNS0_10empty_typeEEEZNS1_34radix_sort_onesweep_global_offsetsIS3_Lb0EPaPS5_mNS0_19identity_decomposerEEE10hipError_tT1_T2_PT3_SE_jT4_jjP12ihipStream_tbEUlT_E0_NS1_11comp_targetILNS1_3genE10ELNS1_11target_archE1201ELNS1_3gpuE5ELNS1_3repE0EEENS1_52radix_sort_onesweep_histogram_config_static_selectorELNS0_4arch9wavefront6targetE1EEEvSC_.kd
    .uniform_work_group_size: 1
    .uses_dynamic_stack: false
    .vgpr_count:     0
    .vgpr_spill_count: 0
    .wavefront_size: 64
  - .agpr_count:     0
    .args:
      - .address_space:  global
        .offset:         0
        .size:           8
        .value_kind:     global_buffer
    .group_segment_fixed_size: 0
    .kernarg_segment_align: 8
    .kernarg_segment_size: 8
    .language:       OpenCL C
    .language_version:
      - 2
      - 0
    .max_flat_workgroup_size: 256
    .name:           _ZN7rocprim17ROCPRIM_400000_NS6detail17trampoline_kernelINS0_14default_configENS1_35radix_sort_onesweep_config_selectorIaNS0_10empty_typeEEEZNS1_34radix_sort_onesweep_global_offsetsIS3_Lb0EPaPS5_mNS0_19identity_decomposerEEE10hipError_tT1_T2_PT3_SE_jT4_jjP12ihipStream_tbEUlT_E0_NS1_11comp_targetILNS1_3genE9ELNS1_11target_archE1100ELNS1_3gpuE3ELNS1_3repE0EEENS1_52radix_sort_onesweep_histogram_config_static_selectorELNS0_4arch9wavefront6targetE1EEEvSC_
    .private_segment_fixed_size: 0
    .sgpr_count:     4
    .sgpr_spill_count: 0
    .symbol:         _ZN7rocprim17ROCPRIM_400000_NS6detail17trampoline_kernelINS0_14default_configENS1_35radix_sort_onesweep_config_selectorIaNS0_10empty_typeEEEZNS1_34radix_sort_onesweep_global_offsetsIS3_Lb0EPaPS5_mNS0_19identity_decomposerEEE10hipError_tT1_T2_PT3_SE_jT4_jjP12ihipStream_tbEUlT_E0_NS1_11comp_targetILNS1_3genE9ELNS1_11target_archE1100ELNS1_3gpuE3ELNS1_3repE0EEENS1_52radix_sort_onesweep_histogram_config_static_selectorELNS0_4arch9wavefront6targetE1EEEvSC_.kd
    .uniform_work_group_size: 1
    .uses_dynamic_stack: false
    .vgpr_count:     0
    .vgpr_spill_count: 0
    .wavefront_size: 64
  - .agpr_count:     0
    .args:
      - .address_space:  global
        .offset:         0
        .size:           8
        .value_kind:     global_buffer
    .group_segment_fixed_size: 0
    .kernarg_segment_align: 8
    .kernarg_segment_size: 8
    .language:       OpenCL C
    .language_version:
      - 2
      - 0
    .max_flat_workgroup_size: 256
    .name:           _ZN7rocprim17ROCPRIM_400000_NS6detail17trampoline_kernelINS0_14default_configENS1_35radix_sort_onesweep_config_selectorIaNS0_10empty_typeEEEZNS1_34radix_sort_onesweep_global_offsetsIS3_Lb0EPaPS5_mNS0_19identity_decomposerEEE10hipError_tT1_T2_PT3_SE_jT4_jjP12ihipStream_tbEUlT_E0_NS1_11comp_targetILNS1_3genE8ELNS1_11target_archE1030ELNS1_3gpuE2ELNS1_3repE0EEENS1_52radix_sort_onesweep_histogram_config_static_selectorELNS0_4arch9wavefront6targetE1EEEvSC_
    .private_segment_fixed_size: 0
    .sgpr_count:     4
    .sgpr_spill_count: 0
    .symbol:         _ZN7rocprim17ROCPRIM_400000_NS6detail17trampoline_kernelINS0_14default_configENS1_35radix_sort_onesweep_config_selectorIaNS0_10empty_typeEEEZNS1_34radix_sort_onesweep_global_offsetsIS3_Lb0EPaPS5_mNS0_19identity_decomposerEEE10hipError_tT1_T2_PT3_SE_jT4_jjP12ihipStream_tbEUlT_E0_NS1_11comp_targetILNS1_3genE8ELNS1_11target_archE1030ELNS1_3gpuE2ELNS1_3repE0EEENS1_52radix_sort_onesweep_histogram_config_static_selectorELNS0_4arch9wavefront6targetE1EEEvSC_.kd
    .uniform_work_group_size: 1
    .uses_dynamic_stack: false
    .vgpr_count:     0
    .vgpr_spill_count: 0
    .wavefront_size: 64
  - .agpr_count:     0
    .args:
      - .offset:         0
        .size:           88
        .value_kind:     by_value
    .group_segment_fixed_size: 0
    .kernarg_segment_align: 8
    .kernarg_segment_size: 88
    .language:       OpenCL C
    .language_version:
      - 2
      - 0
    .max_flat_workgroup_size: 1024
    .name:           _ZN7rocprim17ROCPRIM_400000_NS6detail17trampoline_kernelINS0_14default_configENS1_35radix_sort_onesweep_config_selectorIaNS0_10empty_typeEEEZZNS1_29radix_sort_onesweep_iterationIS3_Lb0EPaS8_PS5_S9_mNS0_19identity_decomposerENS1_16block_id_wrapperIjLb1EEEEE10hipError_tT1_PNSt15iterator_traitsISE_E10value_typeET2_T3_PNSF_ISK_E10value_typeET4_T5_PSP_SQ_PNS1_23onesweep_lookback_stateEbbT6_jjT7_P12ihipStream_tbENKUlT_T0_SE_SJ_E_clIS8_S8_S9_S9_EEDaSX_SY_SE_SJ_EUlSX_E_NS1_11comp_targetILNS1_3genE0ELNS1_11target_archE4294967295ELNS1_3gpuE0ELNS1_3repE0EEENS1_47radix_sort_onesweep_sort_config_static_selectorELNS0_4arch9wavefront6targetE1EEEvSE_
    .private_segment_fixed_size: 0
    .sgpr_count:     4
    .sgpr_spill_count: 0
    .symbol:         _ZN7rocprim17ROCPRIM_400000_NS6detail17trampoline_kernelINS0_14default_configENS1_35radix_sort_onesweep_config_selectorIaNS0_10empty_typeEEEZZNS1_29radix_sort_onesweep_iterationIS3_Lb0EPaS8_PS5_S9_mNS0_19identity_decomposerENS1_16block_id_wrapperIjLb1EEEEE10hipError_tT1_PNSt15iterator_traitsISE_E10value_typeET2_T3_PNSF_ISK_E10value_typeET4_T5_PSP_SQ_PNS1_23onesweep_lookback_stateEbbT6_jjT7_P12ihipStream_tbENKUlT_T0_SE_SJ_E_clIS8_S8_S9_S9_EEDaSX_SY_SE_SJ_EUlSX_E_NS1_11comp_targetILNS1_3genE0ELNS1_11target_archE4294967295ELNS1_3gpuE0ELNS1_3repE0EEENS1_47radix_sort_onesweep_sort_config_static_selectorELNS0_4arch9wavefront6targetE1EEEvSE_.kd
    .uniform_work_group_size: 1
    .uses_dynamic_stack: false
    .vgpr_count:     0
    .vgpr_spill_count: 0
    .wavefront_size: 64
  - .agpr_count:     0
    .args:
      - .offset:         0
        .size:           88
        .value_kind:     by_value
    .group_segment_fixed_size: 0
    .kernarg_segment_align: 8
    .kernarg_segment_size: 88
    .language:       OpenCL C
    .language_version:
      - 2
      - 0
    .max_flat_workgroup_size: 1024
    .name:           _ZN7rocprim17ROCPRIM_400000_NS6detail17trampoline_kernelINS0_14default_configENS1_35radix_sort_onesweep_config_selectorIaNS0_10empty_typeEEEZZNS1_29radix_sort_onesweep_iterationIS3_Lb0EPaS8_PS5_S9_mNS0_19identity_decomposerENS1_16block_id_wrapperIjLb1EEEEE10hipError_tT1_PNSt15iterator_traitsISE_E10value_typeET2_T3_PNSF_ISK_E10value_typeET4_T5_PSP_SQ_PNS1_23onesweep_lookback_stateEbbT6_jjT7_P12ihipStream_tbENKUlT_T0_SE_SJ_E_clIS8_S8_S9_S9_EEDaSX_SY_SE_SJ_EUlSX_E_NS1_11comp_targetILNS1_3genE6ELNS1_11target_archE950ELNS1_3gpuE13ELNS1_3repE0EEENS1_47radix_sort_onesweep_sort_config_static_selectorELNS0_4arch9wavefront6targetE1EEEvSE_
    .private_segment_fixed_size: 0
    .sgpr_count:     4
    .sgpr_spill_count: 0
    .symbol:         _ZN7rocprim17ROCPRIM_400000_NS6detail17trampoline_kernelINS0_14default_configENS1_35radix_sort_onesweep_config_selectorIaNS0_10empty_typeEEEZZNS1_29radix_sort_onesweep_iterationIS3_Lb0EPaS8_PS5_S9_mNS0_19identity_decomposerENS1_16block_id_wrapperIjLb1EEEEE10hipError_tT1_PNSt15iterator_traitsISE_E10value_typeET2_T3_PNSF_ISK_E10value_typeET4_T5_PSP_SQ_PNS1_23onesweep_lookback_stateEbbT6_jjT7_P12ihipStream_tbENKUlT_T0_SE_SJ_E_clIS8_S8_S9_S9_EEDaSX_SY_SE_SJ_EUlSX_E_NS1_11comp_targetILNS1_3genE6ELNS1_11target_archE950ELNS1_3gpuE13ELNS1_3repE0EEENS1_47radix_sort_onesweep_sort_config_static_selectorELNS0_4arch9wavefront6targetE1EEEvSE_.kd
    .uniform_work_group_size: 1
    .uses_dynamic_stack: false
    .vgpr_count:     0
    .vgpr_spill_count: 0
    .wavefront_size: 64
  - .agpr_count:     0
    .args:
      - .offset:         0
        .size:           88
        .value_kind:     by_value
    .group_segment_fixed_size: 0
    .kernarg_segment_align: 8
    .kernarg_segment_size: 88
    .language:       OpenCL C
    .language_version:
      - 2
      - 0
    .max_flat_workgroup_size: 1024
    .name:           _ZN7rocprim17ROCPRIM_400000_NS6detail17trampoline_kernelINS0_14default_configENS1_35radix_sort_onesweep_config_selectorIaNS0_10empty_typeEEEZZNS1_29radix_sort_onesweep_iterationIS3_Lb0EPaS8_PS5_S9_mNS0_19identity_decomposerENS1_16block_id_wrapperIjLb1EEEEE10hipError_tT1_PNSt15iterator_traitsISE_E10value_typeET2_T3_PNSF_ISK_E10value_typeET4_T5_PSP_SQ_PNS1_23onesweep_lookback_stateEbbT6_jjT7_P12ihipStream_tbENKUlT_T0_SE_SJ_E_clIS8_S8_S9_S9_EEDaSX_SY_SE_SJ_EUlSX_E_NS1_11comp_targetILNS1_3genE5ELNS1_11target_archE942ELNS1_3gpuE9ELNS1_3repE0EEENS1_47radix_sort_onesweep_sort_config_static_selectorELNS0_4arch9wavefront6targetE1EEEvSE_
    .private_segment_fixed_size: 0
    .sgpr_count:     4
    .sgpr_spill_count: 0
    .symbol:         _ZN7rocprim17ROCPRIM_400000_NS6detail17trampoline_kernelINS0_14default_configENS1_35radix_sort_onesweep_config_selectorIaNS0_10empty_typeEEEZZNS1_29radix_sort_onesweep_iterationIS3_Lb0EPaS8_PS5_S9_mNS0_19identity_decomposerENS1_16block_id_wrapperIjLb1EEEEE10hipError_tT1_PNSt15iterator_traitsISE_E10value_typeET2_T3_PNSF_ISK_E10value_typeET4_T5_PSP_SQ_PNS1_23onesweep_lookback_stateEbbT6_jjT7_P12ihipStream_tbENKUlT_T0_SE_SJ_E_clIS8_S8_S9_S9_EEDaSX_SY_SE_SJ_EUlSX_E_NS1_11comp_targetILNS1_3genE5ELNS1_11target_archE942ELNS1_3gpuE9ELNS1_3repE0EEENS1_47radix_sort_onesweep_sort_config_static_selectorELNS0_4arch9wavefront6targetE1EEEvSE_.kd
    .uniform_work_group_size: 1
    .uses_dynamic_stack: false
    .vgpr_count:     0
    .vgpr_spill_count: 0
    .wavefront_size: 64
  - .agpr_count:     0
    .args:
      - .offset:         0
        .size:           88
        .value_kind:     by_value
    .group_segment_fixed_size: 0
    .kernarg_segment_align: 8
    .kernarg_segment_size: 88
    .language:       OpenCL C
    .language_version:
      - 2
      - 0
    .max_flat_workgroup_size: 512
    .name:           _ZN7rocprim17ROCPRIM_400000_NS6detail17trampoline_kernelINS0_14default_configENS1_35radix_sort_onesweep_config_selectorIaNS0_10empty_typeEEEZZNS1_29radix_sort_onesweep_iterationIS3_Lb0EPaS8_PS5_S9_mNS0_19identity_decomposerENS1_16block_id_wrapperIjLb1EEEEE10hipError_tT1_PNSt15iterator_traitsISE_E10value_typeET2_T3_PNSF_ISK_E10value_typeET4_T5_PSP_SQ_PNS1_23onesweep_lookback_stateEbbT6_jjT7_P12ihipStream_tbENKUlT_T0_SE_SJ_E_clIS8_S8_S9_S9_EEDaSX_SY_SE_SJ_EUlSX_E_NS1_11comp_targetILNS1_3genE2ELNS1_11target_archE906ELNS1_3gpuE6ELNS1_3repE0EEENS1_47radix_sort_onesweep_sort_config_static_selectorELNS0_4arch9wavefront6targetE1EEEvSE_
    .private_segment_fixed_size: 0
    .sgpr_count:     4
    .sgpr_spill_count: 0
    .symbol:         _ZN7rocprim17ROCPRIM_400000_NS6detail17trampoline_kernelINS0_14default_configENS1_35radix_sort_onesweep_config_selectorIaNS0_10empty_typeEEEZZNS1_29radix_sort_onesweep_iterationIS3_Lb0EPaS8_PS5_S9_mNS0_19identity_decomposerENS1_16block_id_wrapperIjLb1EEEEE10hipError_tT1_PNSt15iterator_traitsISE_E10value_typeET2_T3_PNSF_ISK_E10value_typeET4_T5_PSP_SQ_PNS1_23onesweep_lookback_stateEbbT6_jjT7_P12ihipStream_tbENKUlT_T0_SE_SJ_E_clIS8_S8_S9_S9_EEDaSX_SY_SE_SJ_EUlSX_E_NS1_11comp_targetILNS1_3genE2ELNS1_11target_archE906ELNS1_3gpuE6ELNS1_3repE0EEENS1_47radix_sort_onesweep_sort_config_static_selectorELNS0_4arch9wavefront6targetE1EEEvSE_.kd
    .uniform_work_group_size: 1
    .uses_dynamic_stack: false
    .vgpr_count:     0
    .vgpr_spill_count: 0
    .wavefront_size: 64
  - .agpr_count:     0
    .args:
      - .offset:         0
        .size:           88
        .value_kind:     by_value
      - .offset:         88
        .size:           4
        .value_kind:     hidden_block_count_x
      - .offset:         92
        .size:           4
        .value_kind:     hidden_block_count_y
      - .offset:         96
        .size:           4
        .value_kind:     hidden_block_count_z
      - .offset:         100
        .size:           2
        .value_kind:     hidden_group_size_x
      - .offset:         102
        .size:           2
        .value_kind:     hidden_group_size_y
      - .offset:         104
        .size:           2
        .value_kind:     hidden_group_size_z
      - .offset:         106
        .size:           2
        .value_kind:     hidden_remainder_x
      - .offset:         108
        .size:           2
        .value_kind:     hidden_remainder_y
      - .offset:         110
        .size:           2
        .value_kind:     hidden_remainder_z
      - .offset:         128
        .size:           8
        .value_kind:     hidden_global_offset_x
      - .offset:         136
        .size:           8
        .value_kind:     hidden_global_offset_y
      - .offset:         144
        .size:           8
        .value_kind:     hidden_global_offset_z
      - .offset:         152
        .size:           2
        .value_kind:     hidden_grid_dims
    .group_segment_fixed_size: 16424
    .kernarg_segment_align: 8
    .kernarg_segment_size: 344
    .language:       OpenCL C
    .language_version:
      - 2
      - 0
    .max_flat_workgroup_size: 512
    .name:           _ZN7rocprim17ROCPRIM_400000_NS6detail17trampoline_kernelINS0_14default_configENS1_35radix_sort_onesweep_config_selectorIaNS0_10empty_typeEEEZZNS1_29radix_sort_onesweep_iterationIS3_Lb0EPaS8_PS5_S9_mNS0_19identity_decomposerENS1_16block_id_wrapperIjLb1EEEEE10hipError_tT1_PNSt15iterator_traitsISE_E10value_typeET2_T3_PNSF_ISK_E10value_typeET4_T5_PSP_SQ_PNS1_23onesweep_lookback_stateEbbT6_jjT7_P12ihipStream_tbENKUlT_T0_SE_SJ_E_clIS8_S8_S9_S9_EEDaSX_SY_SE_SJ_EUlSX_E_NS1_11comp_targetILNS1_3genE4ELNS1_11target_archE910ELNS1_3gpuE8ELNS1_3repE0EEENS1_47radix_sort_onesweep_sort_config_static_selectorELNS0_4arch9wavefront6targetE1EEEvSE_
    .private_segment_fixed_size: 0
    .sgpr_count:     34
    .sgpr_spill_count: 0
    .symbol:         _ZN7rocprim17ROCPRIM_400000_NS6detail17trampoline_kernelINS0_14default_configENS1_35radix_sort_onesweep_config_selectorIaNS0_10empty_typeEEEZZNS1_29radix_sort_onesweep_iterationIS3_Lb0EPaS8_PS5_S9_mNS0_19identity_decomposerENS1_16block_id_wrapperIjLb1EEEEE10hipError_tT1_PNSt15iterator_traitsISE_E10value_typeET2_T3_PNSF_ISK_E10value_typeET4_T5_PSP_SQ_PNS1_23onesweep_lookback_stateEbbT6_jjT7_P12ihipStream_tbENKUlT_T0_SE_SJ_E_clIS8_S8_S9_S9_EEDaSX_SY_SE_SJ_EUlSX_E_NS1_11comp_targetILNS1_3genE4ELNS1_11target_archE910ELNS1_3gpuE8ELNS1_3repE0EEENS1_47radix_sort_onesweep_sort_config_static_selectorELNS0_4arch9wavefront6targetE1EEEvSE_.kd
    .uniform_work_group_size: 1
    .uses_dynamic_stack: false
    .vgpr_count:     79
    .vgpr_spill_count: 0
    .wavefront_size: 64
  - .agpr_count:     0
    .args:
      - .offset:         0
        .size:           88
        .value_kind:     by_value
    .group_segment_fixed_size: 0
    .kernarg_segment_align: 8
    .kernarg_segment_size: 88
    .language:       OpenCL C
    .language_version:
      - 2
      - 0
    .max_flat_workgroup_size: 1024
    .name:           _ZN7rocprim17ROCPRIM_400000_NS6detail17trampoline_kernelINS0_14default_configENS1_35radix_sort_onesweep_config_selectorIaNS0_10empty_typeEEEZZNS1_29radix_sort_onesweep_iterationIS3_Lb0EPaS8_PS5_S9_mNS0_19identity_decomposerENS1_16block_id_wrapperIjLb1EEEEE10hipError_tT1_PNSt15iterator_traitsISE_E10value_typeET2_T3_PNSF_ISK_E10value_typeET4_T5_PSP_SQ_PNS1_23onesweep_lookback_stateEbbT6_jjT7_P12ihipStream_tbENKUlT_T0_SE_SJ_E_clIS8_S8_S9_S9_EEDaSX_SY_SE_SJ_EUlSX_E_NS1_11comp_targetILNS1_3genE3ELNS1_11target_archE908ELNS1_3gpuE7ELNS1_3repE0EEENS1_47radix_sort_onesweep_sort_config_static_selectorELNS0_4arch9wavefront6targetE1EEEvSE_
    .private_segment_fixed_size: 0
    .sgpr_count:     4
    .sgpr_spill_count: 0
    .symbol:         _ZN7rocprim17ROCPRIM_400000_NS6detail17trampoline_kernelINS0_14default_configENS1_35radix_sort_onesweep_config_selectorIaNS0_10empty_typeEEEZZNS1_29radix_sort_onesweep_iterationIS3_Lb0EPaS8_PS5_S9_mNS0_19identity_decomposerENS1_16block_id_wrapperIjLb1EEEEE10hipError_tT1_PNSt15iterator_traitsISE_E10value_typeET2_T3_PNSF_ISK_E10value_typeET4_T5_PSP_SQ_PNS1_23onesweep_lookback_stateEbbT6_jjT7_P12ihipStream_tbENKUlT_T0_SE_SJ_E_clIS8_S8_S9_S9_EEDaSX_SY_SE_SJ_EUlSX_E_NS1_11comp_targetILNS1_3genE3ELNS1_11target_archE908ELNS1_3gpuE7ELNS1_3repE0EEENS1_47radix_sort_onesweep_sort_config_static_selectorELNS0_4arch9wavefront6targetE1EEEvSE_.kd
    .uniform_work_group_size: 1
    .uses_dynamic_stack: false
    .vgpr_count:     0
    .vgpr_spill_count: 0
    .wavefront_size: 64
  - .agpr_count:     0
    .args:
      - .offset:         0
        .size:           88
        .value_kind:     by_value
    .group_segment_fixed_size: 0
    .kernarg_segment_align: 8
    .kernarg_segment_size: 88
    .language:       OpenCL C
    .language_version:
      - 2
      - 0
    .max_flat_workgroup_size: 256
    .name:           _ZN7rocprim17ROCPRIM_400000_NS6detail17trampoline_kernelINS0_14default_configENS1_35radix_sort_onesweep_config_selectorIaNS0_10empty_typeEEEZZNS1_29radix_sort_onesweep_iterationIS3_Lb0EPaS8_PS5_S9_mNS0_19identity_decomposerENS1_16block_id_wrapperIjLb1EEEEE10hipError_tT1_PNSt15iterator_traitsISE_E10value_typeET2_T3_PNSF_ISK_E10value_typeET4_T5_PSP_SQ_PNS1_23onesweep_lookback_stateEbbT6_jjT7_P12ihipStream_tbENKUlT_T0_SE_SJ_E_clIS8_S8_S9_S9_EEDaSX_SY_SE_SJ_EUlSX_E_NS1_11comp_targetILNS1_3genE10ELNS1_11target_archE1201ELNS1_3gpuE5ELNS1_3repE0EEENS1_47radix_sort_onesweep_sort_config_static_selectorELNS0_4arch9wavefront6targetE1EEEvSE_
    .private_segment_fixed_size: 0
    .sgpr_count:     4
    .sgpr_spill_count: 0
    .symbol:         _ZN7rocprim17ROCPRIM_400000_NS6detail17trampoline_kernelINS0_14default_configENS1_35radix_sort_onesweep_config_selectorIaNS0_10empty_typeEEEZZNS1_29radix_sort_onesweep_iterationIS3_Lb0EPaS8_PS5_S9_mNS0_19identity_decomposerENS1_16block_id_wrapperIjLb1EEEEE10hipError_tT1_PNSt15iterator_traitsISE_E10value_typeET2_T3_PNSF_ISK_E10value_typeET4_T5_PSP_SQ_PNS1_23onesweep_lookback_stateEbbT6_jjT7_P12ihipStream_tbENKUlT_T0_SE_SJ_E_clIS8_S8_S9_S9_EEDaSX_SY_SE_SJ_EUlSX_E_NS1_11comp_targetILNS1_3genE10ELNS1_11target_archE1201ELNS1_3gpuE5ELNS1_3repE0EEENS1_47radix_sort_onesweep_sort_config_static_selectorELNS0_4arch9wavefront6targetE1EEEvSE_.kd
    .uniform_work_group_size: 1
    .uses_dynamic_stack: false
    .vgpr_count:     0
    .vgpr_spill_count: 0
    .wavefront_size: 64
  - .agpr_count:     0
    .args:
      - .offset:         0
        .size:           88
        .value_kind:     by_value
    .group_segment_fixed_size: 0
    .kernarg_segment_align: 8
    .kernarg_segment_size: 88
    .language:       OpenCL C
    .language_version:
      - 2
      - 0
    .max_flat_workgroup_size: 256
    .name:           _ZN7rocprim17ROCPRIM_400000_NS6detail17trampoline_kernelINS0_14default_configENS1_35radix_sort_onesweep_config_selectorIaNS0_10empty_typeEEEZZNS1_29radix_sort_onesweep_iterationIS3_Lb0EPaS8_PS5_S9_mNS0_19identity_decomposerENS1_16block_id_wrapperIjLb1EEEEE10hipError_tT1_PNSt15iterator_traitsISE_E10value_typeET2_T3_PNSF_ISK_E10value_typeET4_T5_PSP_SQ_PNS1_23onesweep_lookback_stateEbbT6_jjT7_P12ihipStream_tbENKUlT_T0_SE_SJ_E_clIS8_S8_S9_S9_EEDaSX_SY_SE_SJ_EUlSX_E_NS1_11comp_targetILNS1_3genE9ELNS1_11target_archE1100ELNS1_3gpuE3ELNS1_3repE0EEENS1_47radix_sort_onesweep_sort_config_static_selectorELNS0_4arch9wavefront6targetE1EEEvSE_
    .private_segment_fixed_size: 0
    .sgpr_count:     4
    .sgpr_spill_count: 0
    .symbol:         _ZN7rocprim17ROCPRIM_400000_NS6detail17trampoline_kernelINS0_14default_configENS1_35radix_sort_onesweep_config_selectorIaNS0_10empty_typeEEEZZNS1_29radix_sort_onesweep_iterationIS3_Lb0EPaS8_PS5_S9_mNS0_19identity_decomposerENS1_16block_id_wrapperIjLb1EEEEE10hipError_tT1_PNSt15iterator_traitsISE_E10value_typeET2_T3_PNSF_ISK_E10value_typeET4_T5_PSP_SQ_PNS1_23onesweep_lookback_stateEbbT6_jjT7_P12ihipStream_tbENKUlT_T0_SE_SJ_E_clIS8_S8_S9_S9_EEDaSX_SY_SE_SJ_EUlSX_E_NS1_11comp_targetILNS1_3genE9ELNS1_11target_archE1100ELNS1_3gpuE3ELNS1_3repE0EEENS1_47radix_sort_onesweep_sort_config_static_selectorELNS0_4arch9wavefront6targetE1EEEvSE_.kd
    .uniform_work_group_size: 1
    .uses_dynamic_stack: false
    .vgpr_count:     0
    .vgpr_spill_count: 0
    .wavefront_size: 64
  - .agpr_count:     0
    .args:
      - .offset:         0
        .size:           88
        .value_kind:     by_value
    .group_segment_fixed_size: 0
    .kernarg_segment_align: 8
    .kernarg_segment_size: 88
    .language:       OpenCL C
    .language_version:
      - 2
      - 0
    .max_flat_workgroup_size: 256
    .name:           _ZN7rocprim17ROCPRIM_400000_NS6detail17trampoline_kernelINS0_14default_configENS1_35radix_sort_onesweep_config_selectorIaNS0_10empty_typeEEEZZNS1_29radix_sort_onesweep_iterationIS3_Lb0EPaS8_PS5_S9_mNS0_19identity_decomposerENS1_16block_id_wrapperIjLb1EEEEE10hipError_tT1_PNSt15iterator_traitsISE_E10value_typeET2_T3_PNSF_ISK_E10value_typeET4_T5_PSP_SQ_PNS1_23onesweep_lookback_stateEbbT6_jjT7_P12ihipStream_tbENKUlT_T0_SE_SJ_E_clIS8_S8_S9_S9_EEDaSX_SY_SE_SJ_EUlSX_E_NS1_11comp_targetILNS1_3genE8ELNS1_11target_archE1030ELNS1_3gpuE2ELNS1_3repE0EEENS1_47radix_sort_onesweep_sort_config_static_selectorELNS0_4arch9wavefront6targetE1EEEvSE_
    .private_segment_fixed_size: 0
    .sgpr_count:     4
    .sgpr_spill_count: 0
    .symbol:         _ZN7rocprim17ROCPRIM_400000_NS6detail17trampoline_kernelINS0_14default_configENS1_35radix_sort_onesweep_config_selectorIaNS0_10empty_typeEEEZZNS1_29radix_sort_onesweep_iterationIS3_Lb0EPaS8_PS5_S9_mNS0_19identity_decomposerENS1_16block_id_wrapperIjLb1EEEEE10hipError_tT1_PNSt15iterator_traitsISE_E10value_typeET2_T3_PNSF_ISK_E10value_typeET4_T5_PSP_SQ_PNS1_23onesweep_lookback_stateEbbT6_jjT7_P12ihipStream_tbENKUlT_T0_SE_SJ_E_clIS8_S8_S9_S9_EEDaSX_SY_SE_SJ_EUlSX_E_NS1_11comp_targetILNS1_3genE8ELNS1_11target_archE1030ELNS1_3gpuE2ELNS1_3repE0EEENS1_47radix_sort_onesweep_sort_config_static_selectorELNS0_4arch9wavefront6targetE1EEEvSE_.kd
    .uniform_work_group_size: 1
    .uses_dynamic_stack: false
    .vgpr_count:     0
    .vgpr_spill_count: 0
    .wavefront_size: 64
  - .agpr_count:     0
    .args:
      - .offset:         0
        .size:           88
        .value_kind:     by_value
    .group_segment_fixed_size: 0
    .kernarg_segment_align: 8
    .kernarg_segment_size: 88
    .language:       OpenCL C
    .language_version:
      - 2
      - 0
    .max_flat_workgroup_size: 1024
    .name:           _ZN7rocprim17ROCPRIM_400000_NS6detail17trampoline_kernelINS0_14default_configENS1_35radix_sort_onesweep_config_selectorIaNS0_10empty_typeEEEZZNS1_29radix_sort_onesweep_iterationIS3_Lb0EPaS8_PS5_S9_mNS0_19identity_decomposerENS1_16block_id_wrapperIjLb0EEEEE10hipError_tT1_PNSt15iterator_traitsISE_E10value_typeET2_T3_PNSF_ISK_E10value_typeET4_T5_PSP_SQ_PNS1_23onesweep_lookback_stateEbbT6_jjT7_P12ihipStream_tbENKUlT_T0_SE_SJ_E_clIS8_S8_S9_S9_EEDaSX_SY_SE_SJ_EUlSX_E_NS1_11comp_targetILNS1_3genE0ELNS1_11target_archE4294967295ELNS1_3gpuE0ELNS1_3repE0EEENS1_47radix_sort_onesweep_sort_config_static_selectorELNS0_4arch9wavefront6targetE1EEEvSE_
    .private_segment_fixed_size: 0
    .sgpr_count:     4
    .sgpr_spill_count: 0
    .symbol:         _ZN7rocprim17ROCPRIM_400000_NS6detail17trampoline_kernelINS0_14default_configENS1_35radix_sort_onesweep_config_selectorIaNS0_10empty_typeEEEZZNS1_29radix_sort_onesweep_iterationIS3_Lb0EPaS8_PS5_S9_mNS0_19identity_decomposerENS1_16block_id_wrapperIjLb0EEEEE10hipError_tT1_PNSt15iterator_traitsISE_E10value_typeET2_T3_PNSF_ISK_E10value_typeET4_T5_PSP_SQ_PNS1_23onesweep_lookback_stateEbbT6_jjT7_P12ihipStream_tbENKUlT_T0_SE_SJ_E_clIS8_S8_S9_S9_EEDaSX_SY_SE_SJ_EUlSX_E_NS1_11comp_targetILNS1_3genE0ELNS1_11target_archE4294967295ELNS1_3gpuE0ELNS1_3repE0EEENS1_47radix_sort_onesweep_sort_config_static_selectorELNS0_4arch9wavefront6targetE1EEEvSE_.kd
    .uniform_work_group_size: 1
    .uses_dynamic_stack: false
    .vgpr_count:     0
    .vgpr_spill_count: 0
    .wavefront_size: 64
  - .agpr_count:     0
    .args:
      - .offset:         0
        .size:           88
        .value_kind:     by_value
    .group_segment_fixed_size: 0
    .kernarg_segment_align: 8
    .kernarg_segment_size: 88
    .language:       OpenCL C
    .language_version:
      - 2
      - 0
    .max_flat_workgroup_size: 1024
    .name:           _ZN7rocprim17ROCPRIM_400000_NS6detail17trampoline_kernelINS0_14default_configENS1_35radix_sort_onesweep_config_selectorIaNS0_10empty_typeEEEZZNS1_29radix_sort_onesweep_iterationIS3_Lb0EPaS8_PS5_S9_mNS0_19identity_decomposerENS1_16block_id_wrapperIjLb0EEEEE10hipError_tT1_PNSt15iterator_traitsISE_E10value_typeET2_T3_PNSF_ISK_E10value_typeET4_T5_PSP_SQ_PNS1_23onesweep_lookback_stateEbbT6_jjT7_P12ihipStream_tbENKUlT_T0_SE_SJ_E_clIS8_S8_S9_S9_EEDaSX_SY_SE_SJ_EUlSX_E_NS1_11comp_targetILNS1_3genE6ELNS1_11target_archE950ELNS1_3gpuE13ELNS1_3repE0EEENS1_47radix_sort_onesweep_sort_config_static_selectorELNS0_4arch9wavefront6targetE1EEEvSE_
    .private_segment_fixed_size: 0
    .sgpr_count:     4
    .sgpr_spill_count: 0
    .symbol:         _ZN7rocprim17ROCPRIM_400000_NS6detail17trampoline_kernelINS0_14default_configENS1_35radix_sort_onesweep_config_selectorIaNS0_10empty_typeEEEZZNS1_29radix_sort_onesweep_iterationIS3_Lb0EPaS8_PS5_S9_mNS0_19identity_decomposerENS1_16block_id_wrapperIjLb0EEEEE10hipError_tT1_PNSt15iterator_traitsISE_E10value_typeET2_T3_PNSF_ISK_E10value_typeET4_T5_PSP_SQ_PNS1_23onesweep_lookback_stateEbbT6_jjT7_P12ihipStream_tbENKUlT_T0_SE_SJ_E_clIS8_S8_S9_S9_EEDaSX_SY_SE_SJ_EUlSX_E_NS1_11comp_targetILNS1_3genE6ELNS1_11target_archE950ELNS1_3gpuE13ELNS1_3repE0EEENS1_47radix_sort_onesweep_sort_config_static_selectorELNS0_4arch9wavefront6targetE1EEEvSE_.kd
    .uniform_work_group_size: 1
    .uses_dynamic_stack: false
    .vgpr_count:     0
    .vgpr_spill_count: 0
    .wavefront_size: 64
  - .agpr_count:     0
    .args:
      - .offset:         0
        .size:           88
        .value_kind:     by_value
    .group_segment_fixed_size: 0
    .kernarg_segment_align: 8
    .kernarg_segment_size: 88
    .language:       OpenCL C
    .language_version:
      - 2
      - 0
    .max_flat_workgroup_size: 1024
    .name:           _ZN7rocprim17ROCPRIM_400000_NS6detail17trampoline_kernelINS0_14default_configENS1_35radix_sort_onesweep_config_selectorIaNS0_10empty_typeEEEZZNS1_29radix_sort_onesweep_iterationIS3_Lb0EPaS8_PS5_S9_mNS0_19identity_decomposerENS1_16block_id_wrapperIjLb0EEEEE10hipError_tT1_PNSt15iterator_traitsISE_E10value_typeET2_T3_PNSF_ISK_E10value_typeET4_T5_PSP_SQ_PNS1_23onesweep_lookback_stateEbbT6_jjT7_P12ihipStream_tbENKUlT_T0_SE_SJ_E_clIS8_S8_S9_S9_EEDaSX_SY_SE_SJ_EUlSX_E_NS1_11comp_targetILNS1_3genE5ELNS1_11target_archE942ELNS1_3gpuE9ELNS1_3repE0EEENS1_47radix_sort_onesweep_sort_config_static_selectorELNS0_4arch9wavefront6targetE1EEEvSE_
    .private_segment_fixed_size: 0
    .sgpr_count:     4
    .sgpr_spill_count: 0
    .symbol:         _ZN7rocprim17ROCPRIM_400000_NS6detail17trampoline_kernelINS0_14default_configENS1_35radix_sort_onesweep_config_selectorIaNS0_10empty_typeEEEZZNS1_29radix_sort_onesweep_iterationIS3_Lb0EPaS8_PS5_S9_mNS0_19identity_decomposerENS1_16block_id_wrapperIjLb0EEEEE10hipError_tT1_PNSt15iterator_traitsISE_E10value_typeET2_T3_PNSF_ISK_E10value_typeET4_T5_PSP_SQ_PNS1_23onesweep_lookback_stateEbbT6_jjT7_P12ihipStream_tbENKUlT_T0_SE_SJ_E_clIS8_S8_S9_S9_EEDaSX_SY_SE_SJ_EUlSX_E_NS1_11comp_targetILNS1_3genE5ELNS1_11target_archE942ELNS1_3gpuE9ELNS1_3repE0EEENS1_47radix_sort_onesweep_sort_config_static_selectorELNS0_4arch9wavefront6targetE1EEEvSE_.kd
    .uniform_work_group_size: 1
    .uses_dynamic_stack: false
    .vgpr_count:     0
    .vgpr_spill_count: 0
    .wavefront_size: 64
  - .agpr_count:     0
    .args:
      - .offset:         0
        .size:           88
        .value_kind:     by_value
    .group_segment_fixed_size: 0
    .kernarg_segment_align: 8
    .kernarg_segment_size: 88
    .language:       OpenCL C
    .language_version:
      - 2
      - 0
    .max_flat_workgroup_size: 512
    .name:           _ZN7rocprim17ROCPRIM_400000_NS6detail17trampoline_kernelINS0_14default_configENS1_35radix_sort_onesweep_config_selectorIaNS0_10empty_typeEEEZZNS1_29radix_sort_onesweep_iterationIS3_Lb0EPaS8_PS5_S9_mNS0_19identity_decomposerENS1_16block_id_wrapperIjLb0EEEEE10hipError_tT1_PNSt15iterator_traitsISE_E10value_typeET2_T3_PNSF_ISK_E10value_typeET4_T5_PSP_SQ_PNS1_23onesweep_lookback_stateEbbT6_jjT7_P12ihipStream_tbENKUlT_T0_SE_SJ_E_clIS8_S8_S9_S9_EEDaSX_SY_SE_SJ_EUlSX_E_NS1_11comp_targetILNS1_3genE2ELNS1_11target_archE906ELNS1_3gpuE6ELNS1_3repE0EEENS1_47radix_sort_onesweep_sort_config_static_selectorELNS0_4arch9wavefront6targetE1EEEvSE_
    .private_segment_fixed_size: 0
    .sgpr_count:     4
    .sgpr_spill_count: 0
    .symbol:         _ZN7rocprim17ROCPRIM_400000_NS6detail17trampoline_kernelINS0_14default_configENS1_35radix_sort_onesweep_config_selectorIaNS0_10empty_typeEEEZZNS1_29radix_sort_onesweep_iterationIS3_Lb0EPaS8_PS5_S9_mNS0_19identity_decomposerENS1_16block_id_wrapperIjLb0EEEEE10hipError_tT1_PNSt15iterator_traitsISE_E10value_typeET2_T3_PNSF_ISK_E10value_typeET4_T5_PSP_SQ_PNS1_23onesweep_lookback_stateEbbT6_jjT7_P12ihipStream_tbENKUlT_T0_SE_SJ_E_clIS8_S8_S9_S9_EEDaSX_SY_SE_SJ_EUlSX_E_NS1_11comp_targetILNS1_3genE2ELNS1_11target_archE906ELNS1_3gpuE6ELNS1_3repE0EEENS1_47radix_sort_onesweep_sort_config_static_selectorELNS0_4arch9wavefront6targetE1EEEvSE_.kd
    .uniform_work_group_size: 1
    .uses_dynamic_stack: false
    .vgpr_count:     0
    .vgpr_spill_count: 0
    .wavefront_size: 64
  - .agpr_count:     0
    .args:
      - .offset:         0
        .size:           88
        .value_kind:     by_value
      - .offset:         88
        .size:           4
        .value_kind:     hidden_block_count_x
      - .offset:         92
        .size:           4
        .value_kind:     hidden_block_count_y
      - .offset:         96
        .size:           4
        .value_kind:     hidden_block_count_z
      - .offset:         100
        .size:           2
        .value_kind:     hidden_group_size_x
      - .offset:         102
        .size:           2
        .value_kind:     hidden_group_size_y
      - .offset:         104
        .size:           2
        .value_kind:     hidden_group_size_z
      - .offset:         106
        .size:           2
        .value_kind:     hidden_remainder_x
      - .offset:         108
        .size:           2
        .value_kind:     hidden_remainder_y
      - .offset:         110
        .size:           2
        .value_kind:     hidden_remainder_z
      - .offset:         128
        .size:           8
        .value_kind:     hidden_global_offset_x
      - .offset:         136
        .size:           8
        .value_kind:     hidden_global_offset_y
      - .offset:         144
        .size:           8
        .value_kind:     hidden_global_offset_z
      - .offset:         152
        .size:           2
        .value_kind:     hidden_grid_dims
    .group_segment_fixed_size: 16424
    .kernarg_segment_align: 8
    .kernarg_segment_size: 344
    .language:       OpenCL C
    .language_version:
      - 2
      - 0
    .max_flat_workgroup_size: 512
    .name:           _ZN7rocprim17ROCPRIM_400000_NS6detail17trampoline_kernelINS0_14default_configENS1_35radix_sort_onesweep_config_selectorIaNS0_10empty_typeEEEZZNS1_29radix_sort_onesweep_iterationIS3_Lb0EPaS8_PS5_S9_mNS0_19identity_decomposerENS1_16block_id_wrapperIjLb0EEEEE10hipError_tT1_PNSt15iterator_traitsISE_E10value_typeET2_T3_PNSF_ISK_E10value_typeET4_T5_PSP_SQ_PNS1_23onesweep_lookback_stateEbbT6_jjT7_P12ihipStream_tbENKUlT_T0_SE_SJ_E_clIS8_S8_S9_S9_EEDaSX_SY_SE_SJ_EUlSX_E_NS1_11comp_targetILNS1_3genE4ELNS1_11target_archE910ELNS1_3gpuE8ELNS1_3repE0EEENS1_47radix_sort_onesweep_sort_config_static_selectorELNS0_4arch9wavefront6targetE1EEEvSE_
    .private_segment_fixed_size: 0
    .sgpr_count:     34
    .sgpr_spill_count: 0
    .symbol:         _ZN7rocprim17ROCPRIM_400000_NS6detail17trampoline_kernelINS0_14default_configENS1_35radix_sort_onesweep_config_selectorIaNS0_10empty_typeEEEZZNS1_29radix_sort_onesweep_iterationIS3_Lb0EPaS8_PS5_S9_mNS0_19identity_decomposerENS1_16block_id_wrapperIjLb0EEEEE10hipError_tT1_PNSt15iterator_traitsISE_E10value_typeET2_T3_PNSF_ISK_E10value_typeET4_T5_PSP_SQ_PNS1_23onesweep_lookback_stateEbbT6_jjT7_P12ihipStream_tbENKUlT_T0_SE_SJ_E_clIS8_S8_S9_S9_EEDaSX_SY_SE_SJ_EUlSX_E_NS1_11comp_targetILNS1_3genE4ELNS1_11target_archE910ELNS1_3gpuE8ELNS1_3repE0EEENS1_47radix_sort_onesweep_sort_config_static_selectorELNS0_4arch9wavefront6targetE1EEEvSE_.kd
    .uniform_work_group_size: 1
    .uses_dynamic_stack: false
    .vgpr_count:     79
    .vgpr_spill_count: 0
    .wavefront_size: 64
  - .agpr_count:     0
    .args:
      - .offset:         0
        .size:           88
        .value_kind:     by_value
    .group_segment_fixed_size: 0
    .kernarg_segment_align: 8
    .kernarg_segment_size: 88
    .language:       OpenCL C
    .language_version:
      - 2
      - 0
    .max_flat_workgroup_size: 1024
    .name:           _ZN7rocprim17ROCPRIM_400000_NS6detail17trampoline_kernelINS0_14default_configENS1_35radix_sort_onesweep_config_selectorIaNS0_10empty_typeEEEZZNS1_29radix_sort_onesweep_iterationIS3_Lb0EPaS8_PS5_S9_mNS0_19identity_decomposerENS1_16block_id_wrapperIjLb0EEEEE10hipError_tT1_PNSt15iterator_traitsISE_E10value_typeET2_T3_PNSF_ISK_E10value_typeET4_T5_PSP_SQ_PNS1_23onesweep_lookback_stateEbbT6_jjT7_P12ihipStream_tbENKUlT_T0_SE_SJ_E_clIS8_S8_S9_S9_EEDaSX_SY_SE_SJ_EUlSX_E_NS1_11comp_targetILNS1_3genE3ELNS1_11target_archE908ELNS1_3gpuE7ELNS1_3repE0EEENS1_47radix_sort_onesweep_sort_config_static_selectorELNS0_4arch9wavefront6targetE1EEEvSE_
    .private_segment_fixed_size: 0
    .sgpr_count:     4
    .sgpr_spill_count: 0
    .symbol:         _ZN7rocprim17ROCPRIM_400000_NS6detail17trampoline_kernelINS0_14default_configENS1_35radix_sort_onesweep_config_selectorIaNS0_10empty_typeEEEZZNS1_29radix_sort_onesweep_iterationIS3_Lb0EPaS8_PS5_S9_mNS0_19identity_decomposerENS1_16block_id_wrapperIjLb0EEEEE10hipError_tT1_PNSt15iterator_traitsISE_E10value_typeET2_T3_PNSF_ISK_E10value_typeET4_T5_PSP_SQ_PNS1_23onesweep_lookback_stateEbbT6_jjT7_P12ihipStream_tbENKUlT_T0_SE_SJ_E_clIS8_S8_S9_S9_EEDaSX_SY_SE_SJ_EUlSX_E_NS1_11comp_targetILNS1_3genE3ELNS1_11target_archE908ELNS1_3gpuE7ELNS1_3repE0EEENS1_47radix_sort_onesweep_sort_config_static_selectorELNS0_4arch9wavefront6targetE1EEEvSE_.kd
    .uniform_work_group_size: 1
    .uses_dynamic_stack: false
    .vgpr_count:     0
    .vgpr_spill_count: 0
    .wavefront_size: 64
  - .agpr_count:     0
    .args:
      - .offset:         0
        .size:           88
        .value_kind:     by_value
    .group_segment_fixed_size: 0
    .kernarg_segment_align: 8
    .kernarg_segment_size: 88
    .language:       OpenCL C
    .language_version:
      - 2
      - 0
    .max_flat_workgroup_size: 256
    .name:           _ZN7rocprim17ROCPRIM_400000_NS6detail17trampoline_kernelINS0_14default_configENS1_35radix_sort_onesweep_config_selectorIaNS0_10empty_typeEEEZZNS1_29radix_sort_onesweep_iterationIS3_Lb0EPaS8_PS5_S9_mNS0_19identity_decomposerENS1_16block_id_wrapperIjLb0EEEEE10hipError_tT1_PNSt15iterator_traitsISE_E10value_typeET2_T3_PNSF_ISK_E10value_typeET4_T5_PSP_SQ_PNS1_23onesweep_lookback_stateEbbT6_jjT7_P12ihipStream_tbENKUlT_T0_SE_SJ_E_clIS8_S8_S9_S9_EEDaSX_SY_SE_SJ_EUlSX_E_NS1_11comp_targetILNS1_3genE10ELNS1_11target_archE1201ELNS1_3gpuE5ELNS1_3repE0EEENS1_47radix_sort_onesweep_sort_config_static_selectorELNS0_4arch9wavefront6targetE1EEEvSE_
    .private_segment_fixed_size: 0
    .sgpr_count:     4
    .sgpr_spill_count: 0
    .symbol:         _ZN7rocprim17ROCPRIM_400000_NS6detail17trampoline_kernelINS0_14default_configENS1_35radix_sort_onesweep_config_selectorIaNS0_10empty_typeEEEZZNS1_29radix_sort_onesweep_iterationIS3_Lb0EPaS8_PS5_S9_mNS0_19identity_decomposerENS1_16block_id_wrapperIjLb0EEEEE10hipError_tT1_PNSt15iterator_traitsISE_E10value_typeET2_T3_PNSF_ISK_E10value_typeET4_T5_PSP_SQ_PNS1_23onesweep_lookback_stateEbbT6_jjT7_P12ihipStream_tbENKUlT_T0_SE_SJ_E_clIS8_S8_S9_S9_EEDaSX_SY_SE_SJ_EUlSX_E_NS1_11comp_targetILNS1_3genE10ELNS1_11target_archE1201ELNS1_3gpuE5ELNS1_3repE0EEENS1_47radix_sort_onesweep_sort_config_static_selectorELNS0_4arch9wavefront6targetE1EEEvSE_.kd
    .uniform_work_group_size: 1
    .uses_dynamic_stack: false
    .vgpr_count:     0
    .vgpr_spill_count: 0
    .wavefront_size: 64
  - .agpr_count:     0
    .args:
      - .offset:         0
        .size:           88
        .value_kind:     by_value
    .group_segment_fixed_size: 0
    .kernarg_segment_align: 8
    .kernarg_segment_size: 88
    .language:       OpenCL C
    .language_version:
      - 2
      - 0
    .max_flat_workgroup_size: 256
    .name:           _ZN7rocprim17ROCPRIM_400000_NS6detail17trampoline_kernelINS0_14default_configENS1_35radix_sort_onesweep_config_selectorIaNS0_10empty_typeEEEZZNS1_29radix_sort_onesweep_iterationIS3_Lb0EPaS8_PS5_S9_mNS0_19identity_decomposerENS1_16block_id_wrapperIjLb0EEEEE10hipError_tT1_PNSt15iterator_traitsISE_E10value_typeET2_T3_PNSF_ISK_E10value_typeET4_T5_PSP_SQ_PNS1_23onesweep_lookback_stateEbbT6_jjT7_P12ihipStream_tbENKUlT_T0_SE_SJ_E_clIS8_S8_S9_S9_EEDaSX_SY_SE_SJ_EUlSX_E_NS1_11comp_targetILNS1_3genE9ELNS1_11target_archE1100ELNS1_3gpuE3ELNS1_3repE0EEENS1_47radix_sort_onesweep_sort_config_static_selectorELNS0_4arch9wavefront6targetE1EEEvSE_
    .private_segment_fixed_size: 0
    .sgpr_count:     4
    .sgpr_spill_count: 0
    .symbol:         _ZN7rocprim17ROCPRIM_400000_NS6detail17trampoline_kernelINS0_14default_configENS1_35radix_sort_onesweep_config_selectorIaNS0_10empty_typeEEEZZNS1_29radix_sort_onesweep_iterationIS3_Lb0EPaS8_PS5_S9_mNS0_19identity_decomposerENS1_16block_id_wrapperIjLb0EEEEE10hipError_tT1_PNSt15iterator_traitsISE_E10value_typeET2_T3_PNSF_ISK_E10value_typeET4_T5_PSP_SQ_PNS1_23onesweep_lookback_stateEbbT6_jjT7_P12ihipStream_tbENKUlT_T0_SE_SJ_E_clIS8_S8_S9_S9_EEDaSX_SY_SE_SJ_EUlSX_E_NS1_11comp_targetILNS1_3genE9ELNS1_11target_archE1100ELNS1_3gpuE3ELNS1_3repE0EEENS1_47radix_sort_onesweep_sort_config_static_selectorELNS0_4arch9wavefront6targetE1EEEvSE_.kd
    .uniform_work_group_size: 1
    .uses_dynamic_stack: false
    .vgpr_count:     0
    .vgpr_spill_count: 0
    .wavefront_size: 64
  - .agpr_count:     0
    .args:
      - .offset:         0
        .size:           88
        .value_kind:     by_value
    .group_segment_fixed_size: 0
    .kernarg_segment_align: 8
    .kernarg_segment_size: 88
    .language:       OpenCL C
    .language_version:
      - 2
      - 0
    .max_flat_workgroup_size: 256
    .name:           _ZN7rocprim17ROCPRIM_400000_NS6detail17trampoline_kernelINS0_14default_configENS1_35radix_sort_onesweep_config_selectorIaNS0_10empty_typeEEEZZNS1_29radix_sort_onesweep_iterationIS3_Lb0EPaS8_PS5_S9_mNS0_19identity_decomposerENS1_16block_id_wrapperIjLb0EEEEE10hipError_tT1_PNSt15iterator_traitsISE_E10value_typeET2_T3_PNSF_ISK_E10value_typeET4_T5_PSP_SQ_PNS1_23onesweep_lookback_stateEbbT6_jjT7_P12ihipStream_tbENKUlT_T0_SE_SJ_E_clIS8_S8_S9_S9_EEDaSX_SY_SE_SJ_EUlSX_E_NS1_11comp_targetILNS1_3genE8ELNS1_11target_archE1030ELNS1_3gpuE2ELNS1_3repE0EEENS1_47radix_sort_onesweep_sort_config_static_selectorELNS0_4arch9wavefront6targetE1EEEvSE_
    .private_segment_fixed_size: 0
    .sgpr_count:     4
    .sgpr_spill_count: 0
    .symbol:         _ZN7rocprim17ROCPRIM_400000_NS6detail17trampoline_kernelINS0_14default_configENS1_35radix_sort_onesweep_config_selectorIaNS0_10empty_typeEEEZZNS1_29radix_sort_onesweep_iterationIS3_Lb0EPaS8_PS5_S9_mNS0_19identity_decomposerENS1_16block_id_wrapperIjLb0EEEEE10hipError_tT1_PNSt15iterator_traitsISE_E10value_typeET2_T3_PNSF_ISK_E10value_typeET4_T5_PSP_SQ_PNS1_23onesweep_lookback_stateEbbT6_jjT7_P12ihipStream_tbENKUlT_T0_SE_SJ_E_clIS8_S8_S9_S9_EEDaSX_SY_SE_SJ_EUlSX_E_NS1_11comp_targetILNS1_3genE8ELNS1_11target_archE1030ELNS1_3gpuE2ELNS1_3repE0EEENS1_47radix_sort_onesweep_sort_config_static_selectorELNS0_4arch9wavefront6targetE1EEEvSE_.kd
    .uniform_work_group_size: 1
    .uses_dynamic_stack: false
    .vgpr_count:     0
    .vgpr_spill_count: 0
    .wavefront_size: 64
  - .agpr_count:     0
    .args:
      - .offset:         0
        .size:           48
        .value_kind:     by_value
    .group_segment_fixed_size: 0
    .kernarg_segment_align: 8
    .kernarg_segment_size: 48
    .language:       OpenCL C
    .language_version:
      - 2
      - 0
    .max_flat_workgroup_size: 256
    .name:           _ZN7rocprim17ROCPRIM_400000_NS6detail17trampoline_kernelINS0_13kernel_configILj256ELj4ELj4294967295EEENS1_37radix_sort_block_sort_config_selectorIhNS0_10empty_typeEEEZNS1_21radix_sort_block_sortIS4_Lb0EPhS9_PS6_SA_NS0_19identity_decomposerEEE10hipError_tT1_T2_T3_T4_jRjT5_jjP12ihipStream_tbEUlT_E_NS1_11comp_targetILNS1_3genE0ELNS1_11target_archE4294967295ELNS1_3gpuE0ELNS1_3repE0EEENS1_44radix_sort_block_sort_config_static_selectorELNS0_4arch9wavefront6targetE1EEEvSD_
    .private_segment_fixed_size: 0
    .sgpr_count:     4
    .sgpr_spill_count: 0
    .symbol:         _ZN7rocprim17ROCPRIM_400000_NS6detail17trampoline_kernelINS0_13kernel_configILj256ELj4ELj4294967295EEENS1_37radix_sort_block_sort_config_selectorIhNS0_10empty_typeEEEZNS1_21radix_sort_block_sortIS4_Lb0EPhS9_PS6_SA_NS0_19identity_decomposerEEE10hipError_tT1_T2_T3_T4_jRjT5_jjP12ihipStream_tbEUlT_E_NS1_11comp_targetILNS1_3genE0ELNS1_11target_archE4294967295ELNS1_3gpuE0ELNS1_3repE0EEENS1_44radix_sort_block_sort_config_static_selectorELNS0_4arch9wavefront6targetE1EEEvSD_.kd
    .uniform_work_group_size: 1
    .uses_dynamic_stack: false
    .vgpr_count:     0
    .vgpr_spill_count: 0
    .wavefront_size: 64
  - .agpr_count:     0
    .args:
      - .offset:         0
        .size:           48
        .value_kind:     by_value
    .group_segment_fixed_size: 0
    .kernarg_segment_align: 8
    .kernarg_segment_size: 48
    .language:       OpenCL C
    .language_version:
      - 2
      - 0
    .max_flat_workgroup_size: 256
    .name:           _ZN7rocprim17ROCPRIM_400000_NS6detail17trampoline_kernelINS0_13kernel_configILj256ELj4ELj4294967295EEENS1_37radix_sort_block_sort_config_selectorIhNS0_10empty_typeEEEZNS1_21radix_sort_block_sortIS4_Lb0EPhS9_PS6_SA_NS0_19identity_decomposerEEE10hipError_tT1_T2_T3_T4_jRjT5_jjP12ihipStream_tbEUlT_E_NS1_11comp_targetILNS1_3genE5ELNS1_11target_archE942ELNS1_3gpuE9ELNS1_3repE0EEENS1_44radix_sort_block_sort_config_static_selectorELNS0_4arch9wavefront6targetE1EEEvSD_
    .private_segment_fixed_size: 0
    .sgpr_count:     4
    .sgpr_spill_count: 0
    .symbol:         _ZN7rocprim17ROCPRIM_400000_NS6detail17trampoline_kernelINS0_13kernel_configILj256ELj4ELj4294967295EEENS1_37radix_sort_block_sort_config_selectorIhNS0_10empty_typeEEEZNS1_21radix_sort_block_sortIS4_Lb0EPhS9_PS6_SA_NS0_19identity_decomposerEEE10hipError_tT1_T2_T3_T4_jRjT5_jjP12ihipStream_tbEUlT_E_NS1_11comp_targetILNS1_3genE5ELNS1_11target_archE942ELNS1_3gpuE9ELNS1_3repE0EEENS1_44radix_sort_block_sort_config_static_selectorELNS0_4arch9wavefront6targetE1EEEvSD_.kd
    .uniform_work_group_size: 1
    .uses_dynamic_stack: false
    .vgpr_count:     0
    .vgpr_spill_count: 0
    .wavefront_size: 64
  - .agpr_count:     0
    .args:
      - .offset:         0
        .size:           48
        .value_kind:     by_value
      - .offset:         48
        .size:           4
        .value_kind:     hidden_block_count_x
      - .offset:         52
        .size:           4
        .value_kind:     hidden_block_count_y
      - .offset:         56
        .size:           4
        .value_kind:     hidden_block_count_z
      - .offset:         60
        .size:           2
        .value_kind:     hidden_group_size_x
      - .offset:         62
        .size:           2
        .value_kind:     hidden_group_size_y
      - .offset:         64
        .size:           2
        .value_kind:     hidden_group_size_z
      - .offset:         66
        .size:           2
        .value_kind:     hidden_remainder_x
      - .offset:         68
        .size:           2
        .value_kind:     hidden_remainder_y
      - .offset:         70
        .size:           2
        .value_kind:     hidden_remainder_z
      - .offset:         88
        .size:           8
        .value_kind:     hidden_global_offset_x
      - .offset:         96
        .size:           8
        .value_kind:     hidden_global_offset_y
      - .offset:         104
        .size:           8
        .value_kind:     hidden_global_offset_z
      - .offset:         112
        .size:           2
        .value_kind:     hidden_grid_dims
    .group_segment_fixed_size: 4112
    .kernarg_segment_align: 8
    .kernarg_segment_size: 304
    .language:       OpenCL C
    .language_version:
      - 2
      - 0
    .max_flat_workgroup_size: 256
    .name:           _ZN7rocprim17ROCPRIM_400000_NS6detail17trampoline_kernelINS0_13kernel_configILj256ELj4ELj4294967295EEENS1_37radix_sort_block_sort_config_selectorIhNS0_10empty_typeEEEZNS1_21radix_sort_block_sortIS4_Lb0EPhS9_PS6_SA_NS0_19identity_decomposerEEE10hipError_tT1_T2_T3_T4_jRjT5_jjP12ihipStream_tbEUlT_E_NS1_11comp_targetILNS1_3genE4ELNS1_11target_archE910ELNS1_3gpuE8ELNS1_3repE0EEENS1_44radix_sort_block_sort_config_static_selectorELNS0_4arch9wavefront6targetE1EEEvSD_
    .private_segment_fixed_size: 0
    .sgpr_count:     46
    .sgpr_spill_count: 0
    .symbol:         _ZN7rocprim17ROCPRIM_400000_NS6detail17trampoline_kernelINS0_13kernel_configILj256ELj4ELj4294967295EEENS1_37radix_sort_block_sort_config_selectorIhNS0_10empty_typeEEEZNS1_21radix_sort_block_sortIS4_Lb0EPhS9_PS6_SA_NS0_19identity_decomposerEEE10hipError_tT1_T2_T3_T4_jRjT5_jjP12ihipStream_tbEUlT_E_NS1_11comp_targetILNS1_3genE4ELNS1_11target_archE910ELNS1_3gpuE8ELNS1_3repE0EEENS1_44radix_sort_block_sort_config_static_selectorELNS0_4arch9wavefront6targetE1EEEvSD_.kd
    .uniform_work_group_size: 1
    .uses_dynamic_stack: false
    .vgpr_count:     40
    .vgpr_spill_count: 0
    .wavefront_size: 64
  - .agpr_count:     0
    .args:
      - .offset:         0
        .size:           48
        .value_kind:     by_value
    .group_segment_fixed_size: 0
    .kernarg_segment_align: 8
    .kernarg_segment_size: 48
    .language:       OpenCL C
    .language_version:
      - 2
      - 0
    .max_flat_workgroup_size: 256
    .name:           _ZN7rocprim17ROCPRIM_400000_NS6detail17trampoline_kernelINS0_13kernel_configILj256ELj4ELj4294967295EEENS1_37radix_sort_block_sort_config_selectorIhNS0_10empty_typeEEEZNS1_21radix_sort_block_sortIS4_Lb0EPhS9_PS6_SA_NS0_19identity_decomposerEEE10hipError_tT1_T2_T3_T4_jRjT5_jjP12ihipStream_tbEUlT_E_NS1_11comp_targetILNS1_3genE3ELNS1_11target_archE908ELNS1_3gpuE7ELNS1_3repE0EEENS1_44radix_sort_block_sort_config_static_selectorELNS0_4arch9wavefront6targetE1EEEvSD_
    .private_segment_fixed_size: 0
    .sgpr_count:     4
    .sgpr_spill_count: 0
    .symbol:         _ZN7rocprim17ROCPRIM_400000_NS6detail17trampoline_kernelINS0_13kernel_configILj256ELj4ELj4294967295EEENS1_37radix_sort_block_sort_config_selectorIhNS0_10empty_typeEEEZNS1_21radix_sort_block_sortIS4_Lb0EPhS9_PS6_SA_NS0_19identity_decomposerEEE10hipError_tT1_T2_T3_T4_jRjT5_jjP12ihipStream_tbEUlT_E_NS1_11comp_targetILNS1_3genE3ELNS1_11target_archE908ELNS1_3gpuE7ELNS1_3repE0EEENS1_44radix_sort_block_sort_config_static_selectorELNS0_4arch9wavefront6targetE1EEEvSD_.kd
    .uniform_work_group_size: 1
    .uses_dynamic_stack: false
    .vgpr_count:     0
    .vgpr_spill_count: 0
    .wavefront_size: 64
  - .agpr_count:     0
    .args:
      - .offset:         0
        .size:           48
        .value_kind:     by_value
    .group_segment_fixed_size: 0
    .kernarg_segment_align: 8
    .kernarg_segment_size: 48
    .language:       OpenCL C
    .language_version:
      - 2
      - 0
    .max_flat_workgroup_size: 256
    .name:           _ZN7rocprim17ROCPRIM_400000_NS6detail17trampoline_kernelINS0_13kernel_configILj256ELj4ELj4294967295EEENS1_37radix_sort_block_sort_config_selectorIhNS0_10empty_typeEEEZNS1_21radix_sort_block_sortIS4_Lb0EPhS9_PS6_SA_NS0_19identity_decomposerEEE10hipError_tT1_T2_T3_T4_jRjT5_jjP12ihipStream_tbEUlT_E_NS1_11comp_targetILNS1_3genE2ELNS1_11target_archE906ELNS1_3gpuE6ELNS1_3repE0EEENS1_44radix_sort_block_sort_config_static_selectorELNS0_4arch9wavefront6targetE1EEEvSD_
    .private_segment_fixed_size: 0
    .sgpr_count:     4
    .sgpr_spill_count: 0
    .symbol:         _ZN7rocprim17ROCPRIM_400000_NS6detail17trampoline_kernelINS0_13kernel_configILj256ELj4ELj4294967295EEENS1_37radix_sort_block_sort_config_selectorIhNS0_10empty_typeEEEZNS1_21radix_sort_block_sortIS4_Lb0EPhS9_PS6_SA_NS0_19identity_decomposerEEE10hipError_tT1_T2_T3_T4_jRjT5_jjP12ihipStream_tbEUlT_E_NS1_11comp_targetILNS1_3genE2ELNS1_11target_archE906ELNS1_3gpuE6ELNS1_3repE0EEENS1_44radix_sort_block_sort_config_static_selectorELNS0_4arch9wavefront6targetE1EEEvSD_.kd
    .uniform_work_group_size: 1
    .uses_dynamic_stack: false
    .vgpr_count:     0
    .vgpr_spill_count: 0
    .wavefront_size: 64
  - .agpr_count:     0
    .args:
      - .offset:         0
        .size:           48
        .value_kind:     by_value
    .group_segment_fixed_size: 0
    .kernarg_segment_align: 8
    .kernarg_segment_size: 48
    .language:       OpenCL C
    .language_version:
      - 2
      - 0
    .max_flat_workgroup_size: 256
    .name:           _ZN7rocprim17ROCPRIM_400000_NS6detail17trampoline_kernelINS0_13kernel_configILj256ELj4ELj4294967295EEENS1_37radix_sort_block_sort_config_selectorIhNS0_10empty_typeEEEZNS1_21radix_sort_block_sortIS4_Lb0EPhS9_PS6_SA_NS0_19identity_decomposerEEE10hipError_tT1_T2_T3_T4_jRjT5_jjP12ihipStream_tbEUlT_E_NS1_11comp_targetILNS1_3genE10ELNS1_11target_archE1201ELNS1_3gpuE5ELNS1_3repE0EEENS1_44radix_sort_block_sort_config_static_selectorELNS0_4arch9wavefront6targetE1EEEvSD_
    .private_segment_fixed_size: 0
    .sgpr_count:     4
    .sgpr_spill_count: 0
    .symbol:         _ZN7rocprim17ROCPRIM_400000_NS6detail17trampoline_kernelINS0_13kernel_configILj256ELj4ELj4294967295EEENS1_37radix_sort_block_sort_config_selectorIhNS0_10empty_typeEEEZNS1_21radix_sort_block_sortIS4_Lb0EPhS9_PS6_SA_NS0_19identity_decomposerEEE10hipError_tT1_T2_T3_T4_jRjT5_jjP12ihipStream_tbEUlT_E_NS1_11comp_targetILNS1_3genE10ELNS1_11target_archE1201ELNS1_3gpuE5ELNS1_3repE0EEENS1_44radix_sort_block_sort_config_static_selectorELNS0_4arch9wavefront6targetE1EEEvSD_.kd
    .uniform_work_group_size: 1
    .uses_dynamic_stack: false
    .vgpr_count:     0
    .vgpr_spill_count: 0
    .wavefront_size: 64
  - .agpr_count:     0
    .args:
      - .offset:         0
        .size:           48
        .value_kind:     by_value
    .group_segment_fixed_size: 0
    .kernarg_segment_align: 8
    .kernarg_segment_size: 48
    .language:       OpenCL C
    .language_version:
      - 2
      - 0
    .max_flat_workgroup_size: 256
    .name:           _ZN7rocprim17ROCPRIM_400000_NS6detail17trampoline_kernelINS0_13kernel_configILj256ELj4ELj4294967295EEENS1_37radix_sort_block_sort_config_selectorIhNS0_10empty_typeEEEZNS1_21radix_sort_block_sortIS4_Lb0EPhS9_PS6_SA_NS0_19identity_decomposerEEE10hipError_tT1_T2_T3_T4_jRjT5_jjP12ihipStream_tbEUlT_E_NS1_11comp_targetILNS1_3genE10ELNS1_11target_archE1200ELNS1_3gpuE4ELNS1_3repE0EEENS1_44radix_sort_block_sort_config_static_selectorELNS0_4arch9wavefront6targetE1EEEvSD_
    .private_segment_fixed_size: 0
    .sgpr_count:     4
    .sgpr_spill_count: 0
    .symbol:         _ZN7rocprim17ROCPRIM_400000_NS6detail17trampoline_kernelINS0_13kernel_configILj256ELj4ELj4294967295EEENS1_37radix_sort_block_sort_config_selectorIhNS0_10empty_typeEEEZNS1_21radix_sort_block_sortIS4_Lb0EPhS9_PS6_SA_NS0_19identity_decomposerEEE10hipError_tT1_T2_T3_T4_jRjT5_jjP12ihipStream_tbEUlT_E_NS1_11comp_targetILNS1_3genE10ELNS1_11target_archE1200ELNS1_3gpuE4ELNS1_3repE0EEENS1_44radix_sort_block_sort_config_static_selectorELNS0_4arch9wavefront6targetE1EEEvSD_.kd
    .uniform_work_group_size: 1
    .uses_dynamic_stack: false
    .vgpr_count:     0
    .vgpr_spill_count: 0
    .wavefront_size: 64
  - .agpr_count:     0
    .args:
      - .offset:         0
        .size:           48
        .value_kind:     by_value
    .group_segment_fixed_size: 0
    .kernarg_segment_align: 8
    .kernarg_segment_size: 48
    .language:       OpenCL C
    .language_version:
      - 2
      - 0
    .max_flat_workgroup_size: 256
    .name:           _ZN7rocprim17ROCPRIM_400000_NS6detail17trampoline_kernelINS0_13kernel_configILj256ELj4ELj4294967295EEENS1_37radix_sort_block_sort_config_selectorIhNS0_10empty_typeEEEZNS1_21radix_sort_block_sortIS4_Lb0EPhS9_PS6_SA_NS0_19identity_decomposerEEE10hipError_tT1_T2_T3_T4_jRjT5_jjP12ihipStream_tbEUlT_E_NS1_11comp_targetILNS1_3genE9ELNS1_11target_archE1100ELNS1_3gpuE3ELNS1_3repE0EEENS1_44radix_sort_block_sort_config_static_selectorELNS0_4arch9wavefront6targetE1EEEvSD_
    .private_segment_fixed_size: 0
    .sgpr_count:     4
    .sgpr_spill_count: 0
    .symbol:         _ZN7rocprim17ROCPRIM_400000_NS6detail17trampoline_kernelINS0_13kernel_configILj256ELj4ELj4294967295EEENS1_37radix_sort_block_sort_config_selectorIhNS0_10empty_typeEEEZNS1_21radix_sort_block_sortIS4_Lb0EPhS9_PS6_SA_NS0_19identity_decomposerEEE10hipError_tT1_T2_T3_T4_jRjT5_jjP12ihipStream_tbEUlT_E_NS1_11comp_targetILNS1_3genE9ELNS1_11target_archE1100ELNS1_3gpuE3ELNS1_3repE0EEENS1_44radix_sort_block_sort_config_static_selectorELNS0_4arch9wavefront6targetE1EEEvSD_.kd
    .uniform_work_group_size: 1
    .uses_dynamic_stack: false
    .vgpr_count:     0
    .vgpr_spill_count: 0
    .wavefront_size: 64
  - .agpr_count:     0
    .args:
      - .offset:         0
        .size:           48
        .value_kind:     by_value
    .group_segment_fixed_size: 0
    .kernarg_segment_align: 8
    .kernarg_segment_size: 48
    .language:       OpenCL C
    .language_version:
      - 2
      - 0
    .max_flat_workgroup_size: 256
    .name:           _ZN7rocprim17ROCPRIM_400000_NS6detail17trampoline_kernelINS0_13kernel_configILj256ELj4ELj4294967295EEENS1_37radix_sort_block_sort_config_selectorIhNS0_10empty_typeEEEZNS1_21radix_sort_block_sortIS4_Lb0EPhS9_PS6_SA_NS0_19identity_decomposerEEE10hipError_tT1_T2_T3_T4_jRjT5_jjP12ihipStream_tbEUlT_E_NS1_11comp_targetILNS1_3genE8ELNS1_11target_archE1030ELNS1_3gpuE2ELNS1_3repE0EEENS1_44radix_sort_block_sort_config_static_selectorELNS0_4arch9wavefront6targetE1EEEvSD_
    .private_segment_fixed_size: 0
    .sgpr_count:     4
    .sgpr_spill_count: 0
    .symbol:         _ZN7rocprim17ROCPRIM_400000_NS6detail17trampoline_kernelINS0_13kernel_configILj256ELj4ELj4294967295EEENS1_37radix_sort_block_sort_config_selectorIhNS0_10empty_typeEEEZNS1_21radix_sort_block_sortIS4_Lb0EPhS9_PS6_SA_NS0_19identity_decomposerEEE10hipError_tT1_T2_T3_T4_jRjT5_jjP12ihipStream_tbEUlT_E_NS1_11comp_targetILNS1_3genE8ELNS1_11target_archE1030ELNS1_3gpuE2ELNS1_3repE0EEENS1_44radix_sort_block_sort_config_static_selectorELNS0_4arch9wavefront6targetE1EEEvSD_.kd
    .uniform_work_group_size: 1
    .uses_dynamic_stack: false
    .vgpr_count:     0
    .vgpr_spill_count: 0
    .wavefront_size: 64
  - .agpr_count:     0
    .args:           []
    .group_segment_fixed_size: 0
    .kernarg_segment_align: 4
    .kernarg_segment_size: 0
    .language:       OpenCL C
    .language_version:
      - 2
      - 0
    .max_flat_workgroup_size: 1024
    .name:           _ZN7rocprim17ROCPRIM_400000_NS6detail44device_merge_sort_compile_time_verifier_archINS1_11comp_targetILNS1_3genE0ELNS1_11target_archE4294967295ELNS1_3gpuE0ELNS1_3repE0EEES8_NS1_28merge_sort_block_sort_configILj256ELj4ELNS0_20block_sort_algorithmE0EEENS0_14default_configENS1_37merge_sort_block_sort_config_selectorIhNS0_10empty_typeEEENS1_38merge_sort_block_merge_config_selectorIhSE_EEEEvv
    .private_segment_fixed_size: 0
    .sgpr_count:     4
    .sgpr_spill_count: 0
    .symbol:         _ZN7rocprim17ROCPRIM_400000_NS6detail44device_merge_sort_compile_time_verifier_archINS1_11comp_targetILNS1_3genE0ELNS1_11target_archE4294967295ELNS1_3gpuE0ELNS1_3repE0EEES8_NS1_28merge_sort_block_sort_configILj256ELj4ELNS0_20block_sort_algorithmE0EEENS0_14default_configENS1_37merge_sort_block_sort_config_selectorIhNS0_10empty_typeEEENS1_38merge_sort_block_merge_config_selectorIhSE_EEEEvv.kd
    .uniform_work_group_size: 1
    .uses_dynamic_stack: false
    .vgpr_count:     0
    .vgpr_spill_count: 0
    .wavefront_size: 64
  - .agpr_count:     0
    .args:           []
    .group_segment_fixed_size: 0
    .kernarg_segment_align: 4
    .kernarg_segment_size: 0
    .language:       OpenCL C
    .language_version:
      - 2
      - 0
    .max_flat_workgroup_size: 1024
    .name:           _ZN7rocprim17ROCPRIM_400000_NS6detail44device_merge_sort_compile_time_verifier_archINS1_11comp_targetILNS1_3genE5ELNS1_11target_archE942ELNS1_3gpuE9ELNS1_3repE0EEES8_NS1_28merge_sort_block_sort_configILj256ELj4ELNS0_20block_sort_algorithmE0EEENS0_14default_configENS1_37merge_sort_block_sort_config_selectorIhNS0_10empty_typeEEENS1_38merge_sort_block_merge_config_selectorIhSE_EEEEvv
    .private_segment_fixed_size: 0
    .sgpr_count:     4
    .sgpr_spill_count: 0
    .symbol:         _ZN7rocprim17ROCPRIM_400000_NS6detail44device_merge_sort_compile_time_verifier_archINS1_11comp_targetILNS1_3genE5ELNS1_11target_archE942ELNS1_3gpuE9ELNS1_3repE0EEES8_NS1_28merge_sort_block_sort_configILj256ELj4ELNS0_20block_sort_algorithmE0EEENS0_14default_configENS1_37merge_sort_block_sort_config_selectorIhNS0_10empty_typeEEENS1_38merge_sort_block_merge_config_selectorIhSE_EEEEvv.kd
    .uniform_work_group_size: 1
    .uses_dynamic_stack: false
    .vgpr_count:     0
    .vgpr_spill_count: 0
    .wavefront_size: 64
  - .agpr_count:     0
    .args:           []
    .group_segment_fixed_size: 0
    .kernarg_segment_align: 4
    .kernarg_segment_size: 0
    .language:       OpenCL C
    .language_version:
      - 2
      - 0
    .max_flat_workgroup_size: 1024
    .name:           _ZN7rocprim17ROCPRIM_400000_NS6detail44device_merge_sort_compile_time_verifier_archINS1_11comp_targetILNS1_3genE4ELNS1_11target_archE910ELNS1_3gpuE8ELNS1_3repE0EEES8_NS1_28merge_sort_block_sort_configILj256ELj4ELNS0_20block_sort_algorithmE0EEENS0_14default_configENS1_37merge_sort_block_sort_config_selectorIhNS0_10empty_typeEEENS1_38merge_sort_block_merge_config_selectorIhSE_EEEEvv
    .private_segment_fixed_size: 0
    .sgpr_count:     4
    .sgpr_spill_count: 0
    .symbol:         _ZN7rocprim17ROCPRIM_400000_NS6detail44device_merge_sort_compile_time_verifier_archINS1_11comp_targetILNS1_3genE4ELNS1_11target_archE910ELNS1_3gpuE8ELNS1_3repE0EEES8_NS1_28merge_sort_block_sort_configILj256ELj4ELNS0_20block_sort_algorithmE0EEENS0_14default_configENS1_37merge_sort_block_sort_config_selectorIhNS0_10empty_typeEEENS1_38merge_sort_block_merge_config_selectorIhSE_EEEEvv.kd
    .uniform_work_group_size: 1
    .uses_dynamic_stack: false
    .vgpr_count:     0
    .vgpr_spill_count: 0
    .wavefront_size: 64
  - .agpr_count:     0
    .args:           []
    .group_segment_fixed_size: 0
    .kernarg_segment_align: 4
    .kernarg_segment_size: 0
    .language:       OpenCL C
    .language_version:
      - 2
      - 0
    .max_flat_workgroup_size: 1024
    .name:           _ZN7rocprim17ROCPRIM_400000_NS6detail44device_merge_sort_compile_time_verifier_archINS1_11comp_targetILNS1_3genE3ELNS1_11target_archE908ELNS1_3gpuE7ELNS1_3repE0EEES8_NS1_28merge_sort_block_sort_configILj256ELj4ELNS0_20block_sort_algorithmE0EEENS0_14default_configENS1_37merge_sort_block_sort_config_selectorIhNS0_10empty_typeEEENS1_38merge_sort_block_merge_config_selectorIhSE_EEEEvv
    .private_segment_fixed_size: 0
    .sgpr_count:     4
    .sgpr_spill_count: 0
    .symbol:         _ZN7rocprim17ROCPRIM_400000_NS6detail44device_merge_sort_compile_time_verifier_archINS1_11comp_targetILNS1_3genE3ELNS1_11target_archE908ELNS1_3gpuE7ELNS1_3repE0EEES8_NS1_28merge_sort_block_sort_configILj256ELj4ELNS0_20block_sort_algorithmE0EEENS0_14default_configENS1_37merge_sort_block_sort_config_selectorIhNS0_10empty_typeEEENS1_38merge_sort_block_merge_config_selectorIhSE_EEEEvv.kd
    .uniform_work_group_size: 1
    .uses_dynamic_stack: false
    .vgpr_count:     0
    .vgpr_spill_count: 0
    .wavefront_size: 64
  - .agpr_count:     0
    .args:           []
    .group_segment_fixed_size: 0
    .kernarg_segment_align: 4
    .kernarg_segment_size: 0
    .language:       OpenCL C
    .language_version:
      - 2
      - 0
    .max_flat_workgroup_size: 1024
    .name:           _ZN7rocprim17ROCPRIM_400000_NS6detail44device_merge_sort_compile_time_verifier_archINS1_11comp_targetILNS1_3genE2ELNS1_11target_archE906ELNS1_3gpuE6ELNS1_3repE0EEES8_NS1_28merge_sort_block_sort_configILj256ELj4ELNS0_20block_sort_algorithmE0EEENS0_14default_configENS1_37merge_sort_block_sort_config_selectorIhNS0_10empty_typeEEENS1_38merge_sort_block_merge_config_selectorIhSE_EEEEvv
    .private_segment_fixed_size: 0
    .sgpr_count:     4
    .sgpr_spill_count: 0
    .symbol:         _ZN7rocprim17ROCPRIM_400000_NS6detail44device_merge_sort_compile_time_verifier_archINS1_11comp_targetILNS1_3genE2ELNS1_11target_archE906ELNS1_3gpuE6ELNS1_3repE0EEES8_NS1_28merge_sort_block_sort_configILj256ELj4ELNS0_20block_sort_algorithmE0EEENS0_14default_configENS1_37merge_sort_block_sort_config_selectorIhNS0_10empty_typeEEENS1_38merge_sort_block_merge_config_selectorIhSE_EEEEvv.kd
    .uniform_work_group_size: 1
    .uses_dynamic_stack: false
    .vgpr_count:     0
    .vgpr_spill_count: 0
    .wavefront_size: 64
  - .agpr_count:     0
    .args:           []
    .group_segment_fixed_size: 0
    .kernarg_segment_align: 4
    .kernarg_segment_size: 0
    .language:       OpenCL C
    .language_version:
      - 2
      - 0
    .max_flat_workgroup_size: 1024
    .name:           _ZN7rocprim17ROCPRIM_400000_NS6detail44device_merge_sort_compile_time_verifier_archINS1_11comp_targetILNS1_3genE10ELNS1_11target_archE1201ELNS1_3gpuE5ELNS1_3repE0EEES8_NS1_28merge_sort_block_sort_configILj256ELj4ELNS0_20block_sort_algorithmE0EEENS0_14default_configENS1_37merge_sort_block_sort_config_selectorIhNS0_10empty_typeEEENS1_38merge_sort_block_merge_config_selectorIhSE_EEEEvv
    .private_segment_fixed_size: 0
    .sgpr_count:     4
    .sgpr_spill_count: 0
    .symbol:         _ZN7rocprim17ROCPRIM_400000_NS6detail44device_merge_sort_compile_time_verifier_archINS1_11comp_targetILNS1_3genE10ELNS1_11target_archE1201ELNS1_3gpuE5ELNS1_3repE0EEES8_NS1_28merge_sort_block_sort_configILj256ELj4ELNS0_20block_sort_algorithmE0EEENS0_14default_configENS1_37merge_sort_block_sort_config_selectorIhNS0_10empty_typeEEENS1_38merge_sort_block_merge_config_selectorIhSE_EEEEvv.kd
    .uniform_work_group_size: 1
    .uses_dynamic_stack: false
    .vgpr_count:     0
    .vgpr_spill_count: 0
    .wavefront_size: 64
  - .agpr_count:     0
    .args:           []
    .group_segment_fixed_size: 0
    .kernarg_segment_align: 4
    .kernarg_segment_size: 0
    .language:       OpenCL C
    .language_version:
      - 2
      - 0
    .max_flat_workgroup_size: 1024
    .name:           _ZN7rocprim17ROCPRIM_400000_NS6detail44device_merge_sort_compile_time_verifier_archINS1_11comp_targetILNS1_3genE10ELNS1_11target_archE1200ELNS1_3gpuE4ELNS1_3repE0EEENS3_ILS4_10ELS5_1201ELS6_5ELS7_0EEENS1_28merge_sort_block_sort_configILj256ELj4ELNS0_20block_sort_algorithmE0EEENS0_14default_configENS1_37merge_sort_block_sort_config_selectorIhNS0_10empty_typeEEENS1_38merge_sort_block_merge_config_selectorIhSF_EEEEvv
    .private_segment_fixed_size: 0
    .sgpr_count:     4
    .sgpr_spill_count: 0
    .symbol:         _ZN7rocprim17ROCPRIM_400000_NS6detail44device_merge_sort_compile_time_verifier_archINS1_11comp_targetILNS1_3genE10ELNS1_11target_archE1200ELNS1_3gpuE4ELNS1_3repE0EEENS3_ILS4_10ELS5_1201ELS6_5ELS7_0EEENS1_28merge_sort_block_sort_configILj256ELj4ELNS0_20block_sort_algorithmE0EEENS0_14default_configENS1_37merge_sort_block_sort_config_selectorIhNS0_10empty_typeEEENS1_38merge_sort_block_merge_config_selectorIhSF_EEEEvv.kd
    .uniform_work_group_size: 1
    .uses_dynamic_stack: false
    .vgpr_count:     0
    .vgpr_spill_count: 0
    .wavefront_size: 64
  - .agpr_count:     0
    .args:           []
    .group_segment_fixed_size: 0
    .kernarg_segment_align: 4
    .kernarg_segment_size: 0
    .language:       OpenCL C
    .language_version:
      - 2
      - 0
    .max_flat_workgroup_size: 1024
    .name:           _ZN7rocprim17ROCPRIM_400000_NS6detail44device_merge_sort_compile_time_verifier_archINS1_11comp_targetILNS1_3genE9ELNS1_11target_archE1100ELNS1_3gpuE3ELNS1_3repE0EEES8_NS1_28merge_sort_block_sort_configILj256ELj4ELNS0_20block_sort_algorithmE0EEENS0_14default_configENS1_37merge_sort_block_sort_config_selectorIhNS0_10empty_typeEEENS1_38merge_sort_block_merge_config_selectorIhSE_EEEEvv
    .private_segment_fixed_size: 0
    .sgpr_count:     4
    .sgpr_spill_count: 0
    .symbol:         _ZN7rocprim17ROCPRIM_400000_NS6detail44device_merge_sort_compile_time_verifier_archINS1_11comp_targetILNS1_3genE9ELNS1_11target_archE1100ELNS1_3gpuE3ELNS1_3repE0EEES8_NS1_28merge_sort_block_sort_configILj256ELj4ELNS0_20block_sort_algorithmE0EEENS0_14default_configENS1_37merge_sort_block_sort_config_selectorIhNS0_10empty_typeEEENS1_38merge_sort_block_merge_config_selectorIhSE_EEEEvv.kd
    .uniform_work_group_size: 1
    .uses_dynamic_stack: false
    .vgpr_count:     0
    .vgpr_spill_count: 0
    .wavefront_size: 64
  - .agpr_count:     0
    .args:           []
    .group_segment_fixed_size: 0
    .kernarg_segment_align: 4
    .kernarg_segment_size: 0
    .language:       OpenCL C
    .language_version:
      - 2
      - 0
    .max_flat_workgroup_size: 1024
    .name:           _ZN7rocprim17ROCPRIM_400000_NS6detail44device_merge_sort_compile_time_verifier_archINS1_11comp_targetILNS1_3genE8ELNS1_11target_archE1030ELNS1_3gpuE2ELNS1_3repE0EEES8_NS1_28merge_sort_block_sort_configILj256ELj4ELNS0_20block_sort_algorithmE0EEENS0_14default_configENS1_37merge_sort_block_sort_config_selectorIhNS0_10empty_typeEEENS1_38merge_sort_block_merge_config_selectorIhSE_EEEEvv
    .private_segment_fixed_size: 0
    .sgpr_count:     4
    .sgpr_spill_count: 0
    .symbol:         _ZN7rocprim17ROCPRIM_400000_NS6detail44device_merge_sort_compile_time_verifier_archINS1_11comp_targetILNS1_3genE8ELNS1_11target_archE1030ELNS1_3gpuE2ELNS1_3repE0EEES8_NS1_28merge_sort_block_sort_configILj256ELj4ELNS0_20block_sort_algorithmE0EEENS0_14default_configENS1_37merge_sort_block_sort_config_selectorIhNS0_10empty_typeEEENS1_38merge_sort_block_merge_config_selectorIhSE_EEEEvv.kd
    .uniform_work_group_size: 1
    .uses_dynamic_stack: false
    .vgpr_count:     0
    .vgpr_spill_count: 0
    .wavefront_size: 64
  - .agpr_count:     0
    .args:
      - .offset:         0
        .size:           40
        .value_kind:     by_value
    .group_segment_fixed_size: 0
    .kernarg_segment_align: 8
    .kernarg_segment_size: 40
    .language:       OpenCL C
    .language_version:
      - 2
      - 0
    .max_flat_workgroup_size: 128
    .name:           _ZN7rocprim17ROCPRIM_400000_NS6detail17trampoline_kernelINS0_14default_configENS1_38merge_sort_block_merge_config_selectorIhNS0_10empty_typeEEEZZNS1_27merge_sort_block_merge_implIS3_PhPS5_jNS1_19radix_merge_compareILb0ELb0EhNS0_19identity_decomposerEEEEE10hipError_tT0_T1_T2_jT3_P12ihipStream_tbPNSt15iterator_traitsISE_E10value_typeEPNSK_ISF_E10value_typeEPSG_NS1_7vsmem_tEENKUlT_SE_SF_SG_E_clIS8_S8_S9_S9_EESD_ST_SE_SF_SG_EUlST_E_NS1_11comp_targetILNS1_3genE0ELNS1_11target_archE4294967295ELNS1_3gpuE0ELNS1_3repE0EEENS1_48merge_mergepath_partition_config_static_selectorELNS0_4arch9wavefront6targetE1EEEvSF_
    .private_segment_fixed_size: 0
    .sgpr_count:     4
    .sgpr_spill_count: 0
    .symbol:         _ZN7rocprim17ROCPRIM_400000_NS6detail17trampoline_kernelINS0_14default_configENS1_38merge_sort_block_merge_config_selectorIhNS0_10empty_typeEEEZZNS1_27merge_sort_block_merge_implIS3_PhPS5_jNS1_19radix_merge_compareILb0ELb0EhNS0_19identity_decomposerEEEEE10hipError_tT0_T1_T2_jT3_P12ihipStream_tbPNSt15iterator_traitsISE_E10value_typeEPNSK_ISF_E10value_typeEPSG_NS1_7vsmem_tEENKUlT_SE_SF_SG_E_clIS8_S8_S9_S9_EESD_ST_SE_SF_SG_EUlST_E_NS1_11comp_targetILNS1_3genE0ELNS1_11target_archE4294967295ELNS1_3gpuE0ELNS1_3repE0EEENS1_48merge_mergepath_partition_config_static_selectorELNS0_4arch9wavefront6targetE1EEEvSF_.kd
    .uniform_work_group_size: 1
    .uses_dynamic_stack: false
    .vgpr_count:     0
    .vgpr_spill_count: 0
    .wavefront_size: 64
  - .agpr_count:     0
    .args:
      - .offset:         0
        .size:           40
        .value_kind:     by_value
    .group_segment_fixed_size: 0
    .kernarg_segment_align: 8
    .kernarg_segment_size: 40
    .language:       OpenCL C
    .language_version:
      - 2
      - 0
    .max_flat_workgroup_size: 128
    .name:           _ZN7rocprim17ROCPRIM_400000_NS6detail17trampoline_kernelINS0_14default_configENS1_38merge_sort_block_merge_config_selectorIhNS0_10empty_typeEEEZZNS1_27merge_sort_block_merge_implIS3_PhPS5_jNS1_19radix_merge_compareILb0ELb0EhNS0_19identity_decomposerEEEEE10hipError_tT0_T1_T2_jT3_P12ihipStream_tbPNSt15iterator_traitsISE_E10value_typeEPNSK_ISF_E10value_typeEPSG_NS1_7vsmem_tEENKUlT_SE_SF_SG_E_clIS8_S8_S9_S9_EESD_ST_SE_SF_SG_EUlST_E_NS1_11comp_targetILNS1_3genE10ELNS1_11target_archE1201ELNS1_3gpuE5ELNS1_3repE0EEENS1_48merge_mergepath_partition_config_static_selectorELNS0_4arch9wavefront6targetE1EEEvSF_
    .private_segment_fixed_size: 0
    .sgpr_count:     4
    .sgpr_spill_count: 0
    .symbol:         _ZN7rocprim17ROCPRIM_400000_NS6detail17trampoline_kernelINS0_14default_configENS1_38merge_sort_block_merge_config_selectorIhNS0_10empty_typeEEEZZNS1_27merge_sort_block_merge_implIS3_PhPS5_jNS1_19radix_merge_compareILb0ELb0EhNS0_19identity_decomposerEEEEE10hipError_tT0_T1_T2_jT3_P12ihipStream_tbPNSt15iterator_traitsISE_E10value_typeEPNSK_ISF_E10value_typeEPSG_NS1_7vsmem_tEENKUlT_SE_SF_SG_E_clIS8_S8_S9_S9_EESD_ST_SE_SF_SG_EUlST_E_NS1_11comp_targetILNS1_3genE10ELNS1_11target_archE1201ELNS1_3gpuE5ELNS1_3repE0EEENS1_48merge_mergepath_partition_config_static_selectorELNS0_4arch9wavefront6targetE1EEEvSF_.kd
    .uniform_work_group_size: 1
    .uses_dynamic_stack: false
    .vgpr_count:     0
    .vgpr_spill_count: 0
    .wavefront_size: 64
  - .agpr_count:     0
    .args:
      - .offset:         0
        .size:           40
        .value_kind:     by_value
    .group_segment_fixed_size: 0
    .kernarg_segment_align: 8
    .kernarg_segment_size: 40
    .language:       OpenCL C
    .language_version:
      - 2
      - 0
    .max_flat_workgroup_size: 128
    .name:           _ZN7rocprim17ROCPRIM_400000_NS6detail17trampoline_kernelINS0_14default_configENS1_38merge_sort_block_merge_config_selectorIhNS0_10empty_typeEEEZZNS1_27merge_sort_block_merge_implIS3_PhPS5_jNS1_19radix_merge_compareILb0ELb0EhNS0_19identity_decomposerEEEEE10hipError_tT0_T1_T2_jT3_P12ihipStream_tbPNSt15iterator_traitsISE_E10value_typeEPNSK_ISF_E10value_typeEPSG_NS1_7vsmem_tEENKUlT_SE_SF_SG_E_clIS8_S8_S9_S9_EESD_ST_SE_SF_SG_EUlST_E_NS1_11comp_targetILNS1_3genE5ELNS1_11target_archE942ELNS1_3gpuE9ELNS1_3repE0EEENS1_48merge_mergepath_partition_config_static_selectorELNS0_4arch9wavefront6targetE1EEEvSF_
    .private_segment_fixed_size: 0
    .sgpr_count:     4
    .sgpr_spill_count: 0
    .symbol:         _ZN7rocprim17ROCPRIM_400000_NS6detail17trampoline_kernelINS0_14default_configENS1_38merge_sort_block_merge_config_selectorIhNS0_10empty_typeEEEZZNS1_27merge_sort_block_merge_implIS3_PhPS5_jNS1_19radix_merge_compareILb0ELb0EhNS0_19identity_decomposerEEEEE10hipError_tT0_T1_T2_jT3_P12ihipStream_tbPNSt15iterator_traitsISE_E10value_typeEPNSK_ISF_E10value_typeEPSG_NS1_7vsmem_tEENKUlT_SE_SF_SG_E_clIS8_S8_S9_S9_EESD_ST_SE_SF_SG_EUlST_E_NS1_11comp_targetILNS1_3genE5ELNS1_11target_archE942ELNS1_3gpuE9ELNS1_3repE0EEENS1_48merge_mergepath_partition_config_static_selectorELNS0_4arch9wavefront6targetE1EEEvSF_.kd
    .uniform_work_group_size: 1
    .uses_dynamic_stack: false
    .vgpr_count:     0
    .vgpr_spill_count: 0
    .wavefront_size: 64
  - .agpr_count:     0
    .args:
      - .offset:         0
        .size:           40
        .value_kind:     by_value
    .group_segment_fixed_size: 0
    .kernarg_segment_align: 8
    .kernarg_segment_size: 40
    .language:       OpenCL C
    .language_version:
      - 2
      - 0
    .max_flat_workgroup_size: 128
    .name:           _ZN7rocprim17ROCPRIM_400000_NS6detail17trampoline_kernelINS0_14default_configENS1_38merge_sort_block_merge_config_selectorIhNS0_10empty_typeEEEZZNS1_27merge_sort_block_merge_implIS3_PhPS5_jNS1_19radix_merge_compareILb0ELb0EhNS0_19identity_decomposerEEEEE10hipError_tT0_T1_T2_jT3_P12ihipStream_tbPNSt15iterator_traitsISE_E10value_typeEPNSK_ISF_E10value_typeEPSG_NS1_7vsmem_tEENKUlT_SE_SF_SG_E_clIS8_S8_S9_S9_EESD_ST_SE_SF_SG_EUlST_E_NS1_11comp_targetILNS1_3genE4ELNS1_11target_archE910ELNS1_3gpuE8ELNS1_3repE0EEENS1_48merge_mergepath_partition_config_static_selectorELNS0_4arch9wavefront6targetE1EEEvSF_
    .private_segment_fixed_size: 0
    .sgpr_count:     12
    .sgpr_spill_count: 0
    .symbol:         _ZN7rocprim17ROCPRIM_400000_NS6detail17trampoline_kernelINS0_14default_configENS1_38merge_sort_block_merge_config_selectorIhNS0_10empty_typeEEEZZNS1_27merge_sort_block_merge_implIS3_PhPS5_jNS1_19radix_merge_compareILb0ELb0EhNS0_19identity_decomposerEEEEE10hipError_tT0_T1_T2_jT3_P12ihipStream_tbPNSt15iterator_traitsISE_E10value_typeEPNSK_ISF_E10value_typeEPSG_NS1_7vsmem_tEENKUlT_SE_SF_SG_E_clIS8_S8_S9_S9_EESD_ST_SE_SF_SG_EUlST_E_NS1_11comp_targetILNS1_3genE4ELNS1_11target_archE910ELNS1_3gpuE8ELNS1_3repE0EEENS1_48merge_mergepath_partition_config_static_selectorELNS0_4arch9wavefront6targetE1EEEvSF_.kd
    .uniform_work_group_size: 1
    .uses_dynamic_stack: false
    .vgpr_count:     16
    .vgpr_spill_count: 0
    .wavefront_size: 64
  - .agpr_count:     0
    .args:
      - .offset:         0
        .size:           40
        .value_kind:     by_value
    .group_segment_fixed_size: 0
    .kernarg_segment_align: 8
    .kernarg_segment_size: 40
    .language:       OpenCL C
    .language_version:
      - 2
      - 0
    .max_flat_workgroup_size: 128
    .name:           _ZN7rocprim17ROCPRIM_400000_NS6detail17trampoline_kernelINS0_14default_configENS1_38merge_sort_block_merge_config_selectorIhNS0_10empty_typeEEEZZNS1_27merge_sort_block_merge_implIS3_PhPS5_jNS1_19radix_merge_compareILb0ELb0EhNS0_19identity_decomposerEEEEE10hipError_tT0_T1_T2_jT3_P12ihipStream_tbPNSt15iterator_traitsISE_E10value_typeEPNSK_ISF_E10value_typeEPSG_NS1_7vsmem_tEENKUlT_SE_SF_SG_E_clIS8_S8_S9_S9_EESD_ST_SE_SF_SG_EUlST_E_NS1_11comp_targetILNS1_3genE3ELNS1_11target_archE908ELNS1_3gpuE7ELNS1_3repE0EEENS1_48merge_mergepath_partition_config_static_selectorELNS0_4arch9wavefront6targetE1EEEvSF_
    .private_segment_fixed_size: 0
    .sgpr_count:     4
    .sgpr_spill_count: 0
    .symbol:         _ZN7rocprim17ROCPRIM_400000_NS6detail17trampoline_kernelINS0_14default_configENS1_38merge_sort_block_merge_config_selectorIhNS0_10empty_typeEEEZZNS1_27merge_sort_block_merge_implIS3_PhPS5_jNS1_19radix_merge_compareILb0ELb0EhNS0_19identity_decomposerEEEEE10hipError_tT0_T1_T2_jT3_P12ihipStream_tbPNSt15iterator_traitsISE_E10value_typeEPNSK_ISF_E10value_typeEPSG_NS1_7vsmem_tEENKUlT_SE_SF_SG_E_clIS8_S8_S9_S9_EESD_ST_SE_SF_SG_EUlST_E_NS1_11comp_targetILNS1_3genE3ELNS1_11target_archE908ELNS1_3gpuE7ELNS1_3repE0EEENS1_48merge_mergepath_partition_config_static_selectorELNS0_4arch9wavefront6targetE1EEEvSF_.kd
    .uniform_work_group_size: 1
    .uses_dynamic_stack: false
    .vgpr_count:     0
    .vgpr_spill_count: 0
    .wavefront_size: 64
  - .agpr_count:     0
    .args:
      - .offset:         0
        .size:           40
        .value_kind:     by_value
    .group_segment_fixed_size: 0
    .kernarg_segment_align: 8
    .kernarg_segment_size: 40
    .language:       OpenCL C
    .language_version:
      - 2
      - 0
    .max_flat_workgroup_size: 128
    .name:           _ZN7rocprim17ROCPRIM_400000_NS6detail17trampoline_kernelINS0_14default_configENS1_38merge_sort_block_merge_config_selectorIhNS0_10empty_typeEEEZZNS1_27merge_sort_block_merge_implIS3_PhPS5_jNS1_19radix_merge_compareILb0ELb0EhNS0_19identity_decomposerEEEEE10hipError_tT0_T1_T2_jT3_P12ihipStream_tbPNSt15iterator_traitsISE_E10value_typeEPNSK_ISF_E10value_typeEPSG_NS1_7vsmem_tEENKUlT_SE_SF_SG_E_clIS8_S8_S9_S9_EESD_ST_SE_SF_SG_EUlST_E_NS1_11comp_targetILNS1_3genE2ELNS1_11target_archE906ELNS1_3gpuE6ELNS1_3repE0EEENS1_48merge_mergepath_partition_config_static_selectorELNS0_4arch9wavefront6targetE1EEEvSF_
    .private_segment_fixed_size: 0
    .sgpr_count:     4
    .sgpr_spill_count: 0
    .symbol:         _ZN7rocprim17ROCPRIM_400000_NS6detail17trampoline_kernelINS0_14default_configENS1_38merge_sort_block_merge_config_selectorIhNS0_10empty_typeEEEZZNS1_27merge_sort_block_merge_implIS3_PhPS5_jNS1_19radix_merge_compareILb0ELb0EhNS0_19identity_decomposerEEEEE10hipError_tT0_T1_T2_jT3_P12ihipStream_tbPNSt15iterator_traitsISE_E10value_typeEPNSK_ISF_E10value_typeEPSG_NS1_7vsmem_tEENKUlT_SE_SF_SG_E_clIS8_S8_S9_S9_EESD_ST_SE_SF_SG_EUlST_E_NS1_11comp_targetILNS1_3genE2ELNS1_11target_archE906ELNS1_3gpuE6ELNS1_3repE0EEENS1_48merge_mergepath_partition_config_static_selectorELNS0_4arch9wavefront6targetE1EEEvSF_.kd
    .uniform_work_group_size: 1
    .uses_dynamic_stack: false
    .vgpr_count:     0
    .vgpr_spill_count: 0
    .wavefront_size: 64
  - .agpr_count:     0
    .args:
      - .offset:         0
        .size:           40
        .value_kind:     by_value
    .group_segment_fixed_size: 0
    .kernarg_segment_align: 8
    .kernarg_segment_size: 40
    .language:       OpenCL C
    .language_version:
      - 2
      - 0
    .max_flat_workgroup_size: 128
    .name:           _ZN7rocprim17ROCPRIM_400000_NS6detail17trampoline_kernelINS0_14default_configENS1_38merge_sort_block_merge_config_selectorIhNS0_10empty_typeEEEZZNS1_27merge_sort_block_merge_implIS3_PhPS5_jNS1_19radix_merge_compareILb0ELb0EhNS0_19identity_decomposerEEEEE10hipError_tT0_T1_T2_jT3_P12ihipStream_tbPNSt15iterator_traitsISE_E10value_typeEPNSK_ISF_E10value_typeEPSG_NS1_7vsmem_tEENKUlT_SE_SF_SG_E_clIS8_S8_S9_S9_EESD_ST_SE_SF_SG_EUlST_E_NS1_11comp_targetILNS1_3genE9ELNS1_11target_archE1100ELNS1_3gpuE3ELNS1_3repE0EEENS1_48merge_mergepath_partition_config_static_selectorELNS0_4arch9wavefront6targetE1EEEvSF_
    .private_segment_fixed_size: 0
    .sgpr_count:     4
    .sgpr_spill_count: 0
    .symbol:         _ZN7rocprim17ROCPRIM_400000_NS6detail17trampoline_kernelINS0_14default_configENS1_38merge_sort_block_merge_config_selectorIhNS0_10empty_typeEEEZZNS1_27merge_sort_block_merge_implIS3_PhPS5_jNS1_19radix_merge_compareILb0ELb0EhNS0_19identity_decomposerEEEEE10hipError_tT0_T1_T2_jT3_P12ihipStream_tbPNSt15iterator_traitsISE_E10value_typeEPNSK_ISF_E10value_typeEPSG_NS1_7vsmem_tEENKUlT_SE_SF_SG_E_clIS8_S8_S9_S9_EESD_ST_SE_SF_SG_EUlST_E_NS1_11comp_targetILNS1_3genE9ELNS1_11target_archE1100ELNS1_3gpuE3ELNS1_3repE0EEENS1_48merge_mergepath_partition_config_static_selectorELNS0_4arch9wavefront6targetE1EEEvSF_.kd
    .uniform_work_group_size: 1
    .uses_dynamic_stack: false
    .vgpr_count:     0
    .vgpr_spill_count: 0
    .wavefront_size: 64
  - .agpr_count:     0
    .args:
      - .offset:         0
        .size:           40
        .value_kind:     by_value
    .group_segment_fixed_size: 0
    .kernarg_segment_align: 8
    .kernarg_segment_size: 40
    .language:       OpenCL C
    .language_version:
      - 2
      - 0
    .max_flat_workgroup_size: 128
    .name:           _ZN7rocprim17ROCPRIM_400000_NS6detail17trampoline_kernelINS0_14default_configENS1_38merge_sort_block_merge_config_selectorIhNS0_10empty_typeEEEZZNS1_27merge_sort_block_merge_implIS3_PhPS5_jNS1_19radix_merge_compareILb0ELb0EhNS0_19identity_decomposerEEEEE10hipError_tT0_T1_T2_jT3_P12ihipStream_tbPNSt15iterator_traitsISE_E10value_typeEPNSK_ISF_E10value_typeEPSG_NS1_7vsmem_tEENKUlT_SE_SF_SG_E_clIS8_S8_S9_S9_EESD_ST_SE_SF_SG_EUlST_E_NS1_11comp_targetILNS1_3genE8ELNS1_11target_archE1030ELNS1_3gpuE2ELNS1_3repE0EEENS1_48merge_mergepath_partition_config_static_selectorELNS0_4arch9wavefront6targetE1EEEvSF_
    .private_segment_fixed_size: 0
    .sgpr_count:     4
    .sgpr_spill_count: 0
    .symbol:         _ZN7rocprim17ROCPRIM_400000_NS6detail17trampoline_kernelINS0_14default_configENS1_38merge_sort_block_merge_config_selectorIhNS0_10empty_typeEEEZZNS1_27merge_sort_block_merge_implIS3_PhPS5_jNS1_19radix_merge_compareILb0ELb0EhNS0_19identity_decomposerEEEEE10hipError_tT0_T1_T2_jT3_P12ihipStream_tbPNSt15iterator_traitsISE_E10value_typeEPNSK_ISF_E10value_typeEPSG_NS1_7vsmem_tEENKUlT_SE_SF_SG_E_clIS8_S8_S9_S9_EESD_ST_SE_SF_SG_EUlST_E_NS1_11comp_targetILNS1_3genE8ELNS1_11target_archE1030ELNS1_3gpuE2ELNS1_3repE0EEENS1_48merge_mergepath_partition_config_static_selectorELNS0_4arch9wavefront6targetE1EEEvSF_.kd
    .uniform_work_group_size: 1
    .uses_dynamic_stack: false
    .vgpr_count:     0
    .vgpr_spill_count: 0
    .wavefront_size: 64
  - .agpr_count:     0
    .args:
      - .offset:         0
        .size:           64
        .value_kind:     by_value
    .group_segment_fixed_size: 0
    .kernarg_segment_align: 8
    .kernarg_segment_size: 64
    .language:       OpenCL C
    .language_version:
      - 2
      - 0
    .max_flat_workgroup_size: 128
    .name:           _ZN7rocprim17ROCPRIM_400000_NS6detail17trampoline_kernelINS0_14default_configENS1_38merge_sort_block_merge_config_selectorIhNS0_10empty_typeEEEZZNS1_27merge_sort_block_merge_implIS3_PhPS5_jNS1_19radix_merge_compareILb0ELb0EhNS0_19identity_decomposerEEEEE10hipError_tT0_T1_T2_jT3_P12ihipStream_tbPNSt15iterator_traitsISE_E10value_typeEPNSK_ISF_E10value_typeEPSG_NS1_7vsmem_tEENKUlT_SE_SF_SG_E_clIS8_S8_S9_S9_EESD_ST_SE_SF_SG_EUlST_E0_NS1_11comp_targetILNS1_3genE0ELNS1_11target_archE4294967295ELNS1_3gpuE0ELNS1_3repE0EEENS1_38merge_mergepath_config_static_selectorELNS0_4arch9wavefront6targetE1EEEvSF_
    .private_segment_fixed_size: 0
    .sgpr_count:     4
    .sgpr_spill_count: 0
    .symbol:         _ZN7rocprim17ROCPRIM_400000_NS6detail17trampoline_kernelINS0_14default_configENS1_38merge_sort_block_merge_config_selectorIhNS0_10empty_typeEEEZZNS1_27merge_sort_block_merge_implIS3_PhPS5_jNS1_19radix_merge_compareILb0ELb0EhNS0_19identity_decomposerEEEEE10hipError_tT0_T1_T2_jT3_P12ihipStream_tbPNSt15iterator_traitsISE_E10value_typeEPNSK_ISF_E10value_typeEPSG_NS1_7vsmem_tEENKUlT_SE_SF_SG_E_clIS8_S8_S9_S9_EESD_ST_SE_SF_SG_EUlST_E0_NS1_11comp_targetILNS1_3genE0ELNS1_11target_archE4294967295ELNS1_3gpuE0ELNS1_3repE0EEENS1_38merge_mergepath_config_static_selectorELNS0_4arch9wavefront6targetE1EEEvSF_.kd
    .uniform_work_group_size: 1
    .uses_dynamic_stack: false
    .vgpr_count:     0
    .vgpr_spill_count: 0
    .wavefront_size: 64
  - .agpr_count:     0
    .args:
      - .offset:         0
        .size:           64
        .value_kind:     by_value
    .group_segment_fixed_size: 0
    .kernarg_segment_align: 8
    .kernarg_segment_size: 64
    .language:       OpenCL C
    .language_version:
      - 2
      - 0
    .max_flat_workgroup_size: 128
    .name:           _ZN7rocprim17ROCPRIM_400000_NS6detail17trampoline_kernelINS0_14default_configENS1_38merge_sort_block_merge_config_selectorIhNS0_10empty_typeEEEZZNS1_27merge_sort_block_merge_implIS3_PhPS5_jNS1_19radix_merge_compareILb0ELb0EhNS0_19identity_decomposerEEEEE10hipError_tT0_T1_T2_jT3_P12ihipStream_tbPNSt15iterator_traitsISE_E10value_typeEPNSK_ISF_E10value_typeEPSG_NS1_7vsmem_tEENKUlT_SE_SF_SG_E_clIS8_S8_S9_S9_EESD_ST_SE_SF_SG_EUlST_E0_NS1_11comp_targetILNS1_3genE10ELNS1_11target_archE1201ELNS1_3gpuE5ELNS1_3repE0EEENS1_38merge_mergepath_config_static_selectorELNS0_4arch9wavefront6targetE1EEEvSF_
    .private_segment_fixed_size: 0
    .sgpr_count:     4
    .sgpr_spill_count: 0
    .symbol:         _ZN7rocprim17ROCPRIM_400000_NS6detail17trampoline_kernelINS0_14default_configENS1_38merge_sort_block_merge_config_selectorIhNS0_10empty_typeEEEZZNS1_27merge_sort_block_merge_implIS3_PhPS5_jNS1_19radix_merge_compareILb0ELb0EhNS0_19identity_decomposerEEEEE10hipError_tT0_T1_T2_jT3_P12ihipStream_tbPNSt15iterator_traitsISE_E10value_typeEPNSK_ISF_E10value_typeEPSG_NS1_7vsmem_tEENKUlT_SE_SF_SG_E_clIS8_S8_S9_S9_EESD_ST_SE_SF_SG_EUlST_E0_NS1_11comp_targetILNS1_3genE10ELNS1_11target_archE1201ELNS1_3gpuE5ELNS1_3repE0EEENS1_38merge_mergepath_config_static_selectorELNS0_4arch9wavefront6targetE1EEEvSF_.kd
    .uniform_work_group_size: 1
    .uses_dynamic_stack: false
    .vgpr_count:     0
    .vgpr_spill_count: 0
    .wavefront_size: 64
  - .agpr_count:     0
    .args:
      - .offset:         0
        .size:           64
        .value_kind:     by_value
    .group_segment_fixed_size: 0
    .kernarg_segment_align: 8
    .kernarg_segment_size: 64
    .language:       OpenCL C
    .language_version:
      - 2
      - 0
    .max_flat_workgroup_size: 128
    .name:           _ZN7rocprim17ROCPRIM_400000_NS6detail17trampoline_kernelINS0_14default_configENS1_38merge_sort_block_merge_config_selectorIhNS0_10empty_typeEEEZZNS1_27merge_sort_block_merge_implIS3_PhPS5_jNS1_19radix_merge_compareILb0ELb0EhNS0_19identity_decomposerEEEEE10hipError_tT0_T1_T2_jT3_P12ihipStream_tbPNSt15iterator_traitsISE_E10value_typeEPNSK_ISF_E10value_typeEPSG_NS1_7vsmem_tEENKUlT_SE_SF_SG_E_clIS8_S8_S9_S9_EESD_ST_SE_SF_SG_EUlST_E0_NS1_11comp_targetILNS1_3genE5ELNS1_11target_archE942ELNS1_3gpuE9ELNS1_3repE0EEENS1_38merge_mergepath_config_static_selectorELNS0_4arch9wavefront6targetE1EEEvSF_
    .private_segment_fixed_size: 0
    .sgpr_count:     4
    .sgpr_spill_count: 0
    .symbol:         _ZN7rocprim17ROCPRIM_400000_NS6detail17trampoline_kernelINS0_14default_configENS1_38merge_sort_block_merge_config_selectorIhNS0_10empty_typeEEEZZNS1_27merge_sort_block_merge_implIS3_PhPS5_jNS1_19radix_merge_compareILb0ELb0EhNS0_19identity_decomposerEEEEE10hipError_tT0_T1_T2_jT3_P12ihipStream_tbPNSt15iterator_traitsISE_E10value_typeEPNSK_ISF_E10value_typeEPSG_NS1_7vsmem_tEENKUlT_SE_SF_SG_E_clIS8_S8_S9_S9_EESD_ST_SE_SF_SG_EUlST_E0_NS1_11comp_targetILNS1_3genE5ELNS1_11target_archE942ELNS1_3gpuE9ELNS1_3repE0EEENS1_38merge_mergepath_config_static_selectorELNS0_4arch9wavefront6targetE1EEEvSF_.kd
    .uniform_work_group_size: 1
    .uses_dynamic_stack: false
    .vgpr_count:     0
    .vgpr_spill_count: 0
    .wavefront_size: 64
  - .agpr_count:     0
    .args:
      - .offset:         0
        .size:           64
        .value_kind:     by_value
      - .offset:         64
        .size:           4
        .value_kind:     hidden_block_count_x
      - .offset:         68
        .size:           4
        .value_kind:     hidden_block_count_y
      - .offset:         72
        .size:           4
        .value_kind:     hidden_block_count_z
      - .offset:         76
        .size:           2
        .value_kind:     hidden_group_size_x
      - .offset:         78
        .size:           2
        .value_kind:     hidden_group_size_y
      - .offset:         80
        .size:           2
        .value_kind:     hidden_group_size_z
      - .offset:         82
        .size:           2
        .value_kind:     hidden_remainder_x
      - .offset:         84
        .size:           2
        .value_kind:     hidden_remainder_y
      - .offset:         86
        .size:           2
        .value_kind:     hidden_remainder_z
      - .offset:         104
        .size:           8
        .value_kind:     hidden_global_offset_x
      - .offset:         112
        .size:           8
        .value_kind:     hidden_global_offset_y
      - .offset:         120
        .size:           8
        .value_kind:     hidden_global_offset_z
      - .offset:         128
        .size:           2
        .value_kind:     hidden_grid_dims
    .group_segment_fixed_size: 1056
    .kernarg_segment_align: 8
    .kernarg_segment_size: 320
    .language:       OpenCL C
    .language_version:
      - 2
      - 0
    .max_flat_workgroup_size: 128
    .name:           _ZN7rocprim17ROCPRIM_400000_NS6detail17trampoline_kernelINS0_14default_configENS1_38merge_sort_block_merge_config_selectorIhNS0_10empty_typeEEEZZNS1_27merge_sort_block_merge_implIS3_PhPS5_jNS1_19radix_merge_compareILb0ELb0EhNS0_19identity_decomposerEEEEE10hipError_tT0_T1_T2_jT3_P12ihipStream_tbPNSt15iterator_traitsISE_E10value_typeEPNSK_ISF_E10value_typeEPSG_NS1_7vsmem_tEENKUlT_SE_SF_SG_E_clIS8_S8_S9_S9_EESD_ST_SE_SF_SG_EUlST_E0_NS1_11comp_targetILNS1_3genE4ELNS1_11target_archE910ELNS1_3gpuE8ELNS1_3repE0EEENS1_38merge_mergepath_config_static_selectorELNS0_4arch9wavefront6targetE1EEEvSF_
    .private_segment_fixed_size: 0
    .sgpr_count:     28
    .sgpr_spill_count: 0
    .symbol:         _ZN7rocprim17ROCPRIM_400000_NS6detail17trampoline_kernelINS0_14default_configENS1_38merge_sort_block_merge_config_selectorIhNS0_10empty_typeEEEZZNS1_27merge_sort_block_merge_implIS3_PhPS5_jNS1_19radix_merge_compareILb0ELb0EhNS0_19identity_decomposerEEEEE10hipError_tT0_T1_T2_jT3_P12ihipStream_tbPNSt15iterator_traitsISE_E10value_typeEPNSK_ISF_E10value_typeEPSG_NS1_7vsmem_tEENKUlT_SE_SF_SG_E_clIS8_S8_S9_S9_EESD_ST_SE_SF_SG_EUlST_E0_NS1_11comp_targetILNS1_3genE4ELNS1_11target_archE910ELNS1_3gpuE8ELNS1_3repE0EEENS1_38merge_mergepath_config_static_selectorELNS0_4arch9wavefront6targetE1EEEvSF_.kd
    .uniform_work_group_size: 1
    .uses_dynamic_stack: false
    .vgpr_count:     28
    .vgpr_spill_count: 0
    .wavefront_size: 64
  - .agpr_count:     0
    .args:
      - .offset:         0
        .size:           64
        .value_kind:     by_value
    .group_segment_fixed_size: 0
    .kernarg_segment_align: 8
    .kernarg_segment_size: 64
    .language:       OpenCL C
    .language_version:
      - 2
      - 0
    .max_flat_workgroup_size: 128
    .name:           _ZN7rocprim17ROCPRIM_400000_NS6detail17trampoline_kernelINS0_14default_configENS1_38merge_sort_block_merge_config_selectorIhNS0_10empty_typeEEEZZNS1_27merge_sort_block_merge_implIS3_PhPS5_jNS1_19radix_merge_compareILb0ELb0EhNS0_19identity_decomposerEEEEE10hipError_tT0_T1_T2_jT3_P12ihipStream_tbPNSt15iterator_traitsISE_E10value_typeEPNSK_ISF_E10value_typeEPSG_NS1_7vsmem_tEENKUlT_SE_SF_SG_E_clIS8_S8_S9_S9_EESD_ST_SE_SF_SG_EUlST_E0_NS1_11comp_targetILNS1_3genE3ELNS1_11target_archE908ELNS1_3gpuE7ELNS1_3repE0EEENS1_38merge_mergepath_config_static_selectorELNS0_4arch9wavefront6targetE1EEEvSF_
    .private_segment_fixed_size: 0
    .sgpr_count:     4
    .sgpr_spill_count: 0
    .symbol:         _ZN7rocprim17ROCPRIM_400000_NS6detail17trampoline_kernelINS0_14default_configENS1_38merge_sort_block_merge_config_selectorIhNS0_10empty_typeEEEZZNS1_27merge_sort_block_merge_implIS3_PhPS5_jNS1_19radix_merge_compareILb0ELb0EhNS0_19identity_decomposerEEEEE10hipError_tT0_T1_T2_jT3_P12ihipStream_tbPNSt15iterator_traitsISE_E10value_typeEPNSK_ISF_E10value_typeEPSG_NS1_7vsmem_tEENKUlT_SE_SF_SG_E_clIS8_S8_S9_S9_EESD_ST_SE_SF_SG_EUlST_E0_NS1_11comp_targetILNS1_3genE3ELNS1_11target_archE908ELNS1_3gpuE7ELNS1_3repE0EEENS1_38merge_mergepath_config_static_selectorELNS0_4arch9wavefront6targetE1EEEvSF_.kd
    .uniform_work_group_size: 1
    .uses_dynamic_stack: false
    .vgpr_count:     0
    .vgpr_spill_count: 0
    .wavefront_size: 64
  - .agpr_count:     0
    .args:
      - .offset:         0
        .size:           64
        .value_kind:     by_value
    .group_segment_fixed_size: 0
    .kernarg_segment_align: 8
    .kernarg_segment_size: 64
    .language:       OpenCL C
    .language_version:
      - 2
      - 0
    .max_flat_workgroup_size: 128
    .name:           _ZN7rocprim17ROCPRIM_400000_NS6detail17trampoline_kernelINS0_14default_configENS1_38merge_sort_block_merge_config_selectorIhNS0_10empty_typeEEEZZNS1_27merge_sort_block_merge_implIS3_PhPS5_jNS1_19radix_merge_compareILb0ELb0EhNS0_19identity_decomposerEEEEE10hipError_tT0_T1_T2_jT3_P12ihipStream_tbPNSt15iterator_traitsISE_E10value_typeEPNSK_ISF_E10value_typeEPSG_NS1_7vsmem_tEENKUlT_SE_SF_SG_E_clIS8_S8_S9_S9_EESD_ST_SE_SF_SG_EUlST_E0_NS1_11comp_targetILNS1_3genE2ELNS1_11target_archE906ELNS1_3gpuE6ELNS1_3repE0EEENS1_38merge_mergepath_config_static_selectorELNS0_4arch9wavefront6targetE1EEEvSF_
    .private_segment_fixed_size: 0
    .sgpr_count:     4
    .sgpr_spill_count: 0
    .symbol:         _ZN7rocprim17ROCPRIM_400000_NS6detail17trampoline_kernelINS0_14default_configENS1_38merge_sort_block_merge_config_selectorIhNS0_10empty_typeEEEZZNS1_27merge_sort_block_merge_implIS3_PhPS5_jNS1_19radix_merge_compareILb0ELb0EhNS0_19identity_decomposerEEEEE10hipError_tT0_T1_T2_jT3_P12ihipStream_tbPNSt15iterator_traitsISE_E10value_typeEPNSK_ISF_E10value_typeEPSG_NS1_7vsmem_tEENKUlT_SE_SF_SG_E_clIS8_S8_S9_S9_EESD_ST_SE_SF_SG_EUlST_E0_NS1_11comp_targetILNS1_3genE2ELNS1_11target_archE906ELNS1_3gpuE6ELNS1_3repE0EEENS1_38merge_mergepath_config_static_selectorELNS0_4arch9wavefront6targetE1EEEvSF_.kd
    .uniform_work_group_size: 1
    .uses_dynamic_stack: false
    .vgpr_count:     0
    .vgpr_spill_count: 0
    .wavefront_size: 64
  - .agpr_count:     0
    .args:
      - .offset:         0
        .size:           64
        .value_kind:     by_value
    .group_segment_fixed_size: 0
    .kernarg_segment_align: 8
    .kernarg_segment_size: 64
    .language:       OpenCL C
    .language_version:
      - 2
      - 0
    .max_flat_workgroup_size: 128
    .name:           _ZN7rocprim17ROCPRIM_400000_NS6detail17trampoline_kernelINS0_14default_configENS1_38merge_sort_block_merge_config_selectorIhNS0_10empty_typeEEEZZNS1_27merge_sort_block_merge_implIS3_PhPS5_jNS1_19radix_merge_compareILb0ELb0EhNS0_19identity_decomposerEEEEE10hipError_tT0_T1_T2_jT3_P12ihipStream_tbPNSt15iterator_traitsISE_E10value_typeEPNSK_ISF_E10value_typeEPSG_NS1_7vsmem_tEENKUlT_SE_SF_SG_E_clIS8_S8_S9_S9_EESD_ST_SE_SF_SG_EUlST_E0_NS1_11comp_targetILNS1_3genE9ELNS1_11target_archE1100ELNS1_3gpuE3ELNS1_3repE0EEENS1_38merge_mergepath_config_static_selectorELNS0_4arch9wavefront6targetE1EEEvSF_
    .private_segment_fixed_size: 0
    .sgpr_count:     4
    .sgpr_spill_count: 0
    .symbol:         _ZN7rocprim17ROCPRIM_400000_NS6detail17trampoline_kernelINS0_14default_configENS1_38merge_sort_block_merge_config_selectorIhNS0_10empty_typeEEEZZNS1_27merge_sort_block_merge_implIS3_PhPS5_jNS1_19radix_merge_compareILb0ELb0EhNS0_19identity_decomposerEEEEE10hipError_tT0_T1_T2_jT3_P12ihipStream_tbPNSt15iterator_traitsISE_E10value_typeEPNSK_ISF_E10value_typeEPSG_NS1_7vsmem_tEENKUlT_SE_SF_SG_E_clIS8_S8_S9_S9_EESD_ST_SE_SF_SG_EUlST_E0_NS1_11comp_targetILNS1_3genE9ELNS1_11target_archE1100ELNS1_3gpuE3ELNS1_3repE0EEENS1_38merge_mergepath_config_static_selectorELNS0_4arch9wavefront6targetE1EEEvSF_.kd
    .uniform_work_group_size: 1
    .uses_dynamic_stack: false
    .vgpr_count:     0
    .vgpr_spill_count: 0
    .wavefront_size: 64
  - .agpr_count:     0
    .args:
      - .offset:         0
        .size:           64
        .value_kind:     by_value
    .group_segment_fixed_size: 0
    .kernarg_segment_align: 8
    .kernarg_segment_size: 64
    .language:       OpenCL C
    .language_version:
      - 2
      - 0
    .max_flat_workgroup_size: 128
    .name:           _ZN7rocprim17ROCPRIM_400000_NS6detail17trampoline_kernelINS0_14default_configENS1_38merge_sort_block_merge_config_selectorIhNS0_10empty_typeEEEZZNS1_27merge_sort_block_merge_implIS3_PhPS5_jNS1_19radix_merge_compareILb0ELb0EhNS0_19identity_decomposerEEEEE10hipError_tT0_T1_T2_jT3_P12ihipStream_tbPNSt15iterator_traitsISE_E10value_typeEPNSK_ISF_E10value_typeEPSG_NS1_7vsmem_tEENKUlT_SE_SF_SG_E_clIS8_S8_S9_S9_EESD_ST_SE_SF_SG_EUlST_E0_NS1_11comp_targetILNS1_3genE8ELNS1_11target_archE1030ELNS1_3gpuE2ELNS1_3repE0EEENS1_38merge_mergepath_config_static_selectorELNS0_4arch9wavefront6targetE1EEEvSF_
    .private_segment_fixed_size: 0
    .sgpr_count:     4
    .sgpr_spill_count: 0
    .symbol:         _ZN7rocprim17ROCPRIM_400000_NS6detail17trampoline_kernelINS0_14default_configENS1_38merge_sort_block_merge_config_selectorIhNS0_10empty_typeEEEZZNS1_27merge_sort_block_merge_implIS3_PhPS5_jNS1_19radix_merge_compareILb0ELb0EhNS0_19identity_decomposerEEEEE10hipError_tT0_T1_T2_jT3_P12ihipStream_tbPNSt15iterator_traitsISE_E10value_typeEPNSK_ISF_E10value_typeEPSG_NS1_7vsmem_tEENKUlT_SE_SF_SG_E_clIS8_S8_S9_S9_EESD_ST_SE_SF_SG_EUlST_E0_NS1_11comp_targetILNS1_3genE8ELNS1_11target_archE1030ELNS1_3gpuE2ELNS1_3repE0EEENS1_38merge_mergepath_config_static_selectorELNS0_4arch9wavefront6targetE1EEEvSF_.kd
    .uniform_work_group_size: 1
    .uses_dynamic_stack: false
    .vgpr_count:     0
    .vgpr_spill_count: 0
    .wavefront_size: 64
  - .agpr_count:     0
    .args:
      - .offset:         0
        .size:           48
        .value_kind:     by_value
    .group_segment_fixed_size: 0
    .kernarg_segment_align: 8
    .kernarg_segment_size: 48
    .language:       OpenCL C
    .language_version:
      - 2
      - 0
    .max_flat_workgroup_size: 256
    .name:           _ZN7rocprim17ROCPRIM_400000_NS6detail17trampoline_kernelINS0_14default_configENS1_38merge_sort_block_merge_config_selectorIhNS0_10empty_typeEEEZZNS1_27merge_sort_block_merge_implIS3_PhPS5_jNS1_19radix_merge_compareILb0ELb0EhNS0_19identity_decomposerEEEEE10hipError_tT0_T1_T2_jT3_P12ihipStream_tbPNSt15iterator_traitsISE_E10value_typeEPNSK_ISF_E10value_typeEPSG_NS1_7vsmem_tEENKUlT_SE_SF_SG_E_clIS8_S8_S9_S9_EESD_ST_SE_SF_SG_EUlST_E1_NS1_11comp_targetILNS1_3genE0ELNS1_11target_archE4294967295ELNS1_3gpuE0ELNS1_3repE0EEENS1_36merge_oddeven_config_static_selectorELNS0_4arch9wavefront6targetE1EEEvSF_
    .private_segment_fixed_size: 0
    .sgpr_count:     4
    .sgpr_spill_count: 0
    .symbol:         _ZN7rocprim17ROCPRIM_400000_NS6detail17trampoline_kernelINS0_14default_configENS1_38merge_sort_block_merge_config_selectorIhNS0_10empty_typeEEEZZNS1_27merge_sort_block_merge_implIS3_PhPS5_jNS1_19radix_merge_compareILb0ELb0EhNS0_19identity_decomposerEEEEE10hipError_tT0_T1_T2_jT3_P12ihipStream_tbPNSt15iterator_traitsISE_E10value_typeEPNSK_ISF_E10value_typeEPSG_NS1_7vsmem_tEENKUlT_SE_SF_SG_E_clIS8_S8_S9_S9_EESD_ST_SE_SF_SG_EUlST_E1_NS1_11comp_targetILNS1_3genE0ELNS1_11target_archE4294967295ELNS1_3gpuE0ELNS1_3repE0EEENS1_36merge_oddeven_config_static_selectorELNS0_4arch9wavefront6targetE1EEEvSF_.kd
    .uniform_work_group_size: 1
    .uses_dynamic_stack: false
    .vgpr_count:     0
    .vgpr_spill_count: 0
    .wavefront_size: 64
  - .agpr_count:     0
    .args:
      - .offset:         0
        .size:           48
        .value_kind:     by_value
    .group_segment_fixed_size: 0
    .kernarg_segment_align: 8
    .kernarg_segment_size: 48
    .language:       OpenCL C
    .language_version:
      - 2
      - 0
    .max_flat_workgroup_size: 256
    .name:           _ZN7rocprim17ROCPRIM_400000_NS6detail17trampoline_kernelINS0_14default_configENS1_38merge_sort_block_merge_config_selectorIhNS0_10empty_typeEEEZZNS1_27merge_sort_block_merge_implIS3_PhPS5_jNS1_19radix_merge_compareILb0ELb0EhNS0_19identity_decomposerEEEEE10hipError_tT0_T1_T2_jT3_P12ihipStream_tbPNSt15iterator_traitsISE_E10value_typeEPNSK_ISF_E10value_typeEPSG_NS1_7vsmem_tEENKUlT_SE_SF_SG_E_clIS8_S8_S9_S9_EESD_ST_SE_SF_SG_EUlST_E1_NS1_11comp_targetILNS1_3genE10ELNS1_11target_archE1201ELNS1_3gpuE5ELNS1_3repE0EEENS1_36merge_oddeven_config_static_selectorELNS0_4arch9wavefront6targetE1EEEvSF_
    .private_segment_fixed_size: 0
    .sgpr_count:     4
    .sgpr_spill_count: 0
    .symbol:         _ZN7rocprim17ROCPRIM_400000_NS6detail17trampoline_kernelINS0_14default_configENS1_38merge_sort_block_merge_config_selectorIhNS0_10empty_typeEEEZZNS1_27merge_sort_block_merge_implIS3_PhPS5_jNS1_19radix_merge_compareILb0ELb0EhNS0_19identity_decomposerEEEEE10hipError_tT0_T1_T2_jT3_P12ihipStream_tbPNSt15iterator_traitsISE_E10value_typeEPNSK_ISF_E10value_typeEPSG_NS1_7vsmem_tEENKUlT_SE_SF_SG_E_clIS8_S8_S9_S9_EESD_ST_SE_SF_SG_EUlST_E1_NS1_11comp_targetILNS1_3genE10ELNS1_11target_archE1201ELNS1_3gpuE5ELNS1_3repE0EEENS1_36merge_oddeven_config_static_selectorELNS0_4arch9wavefront6targetE1EEEvSF_.kd
    .uniform_work_group_size: 1
    .uses_dynamic_stack: false
    .vgpr_count:     0
    .vgpr_spill_count: 0
    .wavefront_size: 64
  - .agpr_count:     0
    .args:
      - .offset:         0
        .size:           48
        .value_kind:     by_value
    .group_segment_fixed_size: 0
    .kernarg_segment_align: 8
    .kernarg_segment_size: 48
    .language:       OpenCL C
    .language_version:
      - 2
      - 0
    .max_flat_workgroup_size: 256
    .name:           _ZN7rocprim17ROCPRIM_400000_NS6detail17trampoline_kernelINS0_14default_configENS1_38merge_sort_block_merge_config_selectorIhNS0_10empty_typeEEEZZNS1_27merge_sort_block_merge_implIS3_PhPS5_jNS1_19radix_merge_compareILb0ELb0EhNS0_19identity_decomposerEEEEE10hipError_tT0_T1_T2_jT3_P12ihipStream_tbPNSt15iterator_traitsISE_E10value_typeEPNSK_ISF_E10value_typeEPSG_NS1_7vsmem_tEENKUlT_SE_SF_SG_E_clIS8_S8_S9_S9_EESD_ST_SE_SF_SG_EUlST_E1_NS1_11comp_targetILNS1_3genE5ELNS1_11target_archE942ELNS1_3gpuE9ELNS1_3repE0EEENS1_36merge_oddeven_config_static_selectorELNS0_4arch9wavefront6targetE1EEEvSF_
    .private_segment_fixed_size: 0
    .sgpr_count:     4
    .sgpr_spill_count: 0
    .symbol:         _ZN7rocprim17ROCPRIM_400000_NS6detail17trampoline_kernelINS0_14default_configENS1_38merge_sort_block_merge_config_selectorIhNS0_10empty_typeEEEZZNS1_27merge_sort_block_merge_implIS3_PhPS5_jNS1_19radix_merge_compareILb0ELb0EhNS0_19identity_decomposerEEEEE10hipError_tT0_T1_T2_jT3_P12ihipStream_tbPNSt15iterator_traitsISE_E10value_typeEPNSK_ISF_E10value_typeEPSG_NS1_7vsmem_tEENKUlT_SE_SF_SG_E_clIS8_S8_S9_S9_EESD_ST_SE_SF_SG_EUlST_E1_NS1_11comp_targetILNS1_3genE5ELNS1_11target_archE942ELNS1_3gpuE9ELNS1_3repE0EEENS1_36merge_oddeven_config_static_selectorELNS0_4arch9wavefront6targetE1EEEvSF_.kd
    .uniform_work_group_size: 1
    .uses_dynamic_stack: false
    .vgpr_count:     0
    .vgpr_spill_count: 0
    .wavefront_size: 64
  - .agpr_count:     0
    .args:
      - .offset:         0
        .size:           48
        .value_kind:     by_value
    .group_segment_fixed_size: 0
    .kernarg_segment_align: 8
    .kernarg_segment_size: 48
    .language:       OpenCL C
    .language_version:
      - 2
      - 0
    .max_flat_workgroup_size: 256
    .name:           _ZN7rocprim17ROCPRIM_400000_NS6detail17trampoline_kernelINS0_14default_configENS1_38merge_sort_block_merge_config_selectorIhNS0_10empty_typeEEEZZNS1_27merge_sort_block_merge_implIS3_PhPS5_jNS1_19radix_merge_compareILb0ELb0EhNS0_19identity_decomposerEEEEE10hipError_tT0_T1_T2_jT3_P12ihipStream_tbPNSt15iterator_traitsISE_E10value_typeEPNSK_ISF_E10value_typeEPSG_NS1_7vsmem_tEENKUlT_SE_SF_SG_E_clIS8_S8_S9_S9_EESD_ST_SE_SF_SG_EUlST_E1_NS1_11comp_targetILNS1_3genE4ELNS1_11target_archE910ELNS1_3gpuE8ELNS1_3repE0EEENS1_36merge_oddeven_config_static_selectorELNS0_4arch9wavefront6targetE1EEEvSF_
    .private_segment_fixed_size: 0
    .sgpr_count:     24
    .sgpr_spill_count: 0
    .symbol:         _ZN7rocprim17ROCPRIM_400000_NS6detail17trampoline_kernelINS0_14default_configENS1_38merge_sort_block_merge_config_selectorIhNS0_10empty_typeEEEZZNS1_27merge_sort_block_merge_implIS3_PhPS5_jNS1_19radix_merge_compareILb0ELb0EhNS0_19identity_decomposerEEEEE10hipError_tT0_T1_T2_jT3_P12ihipStream_tbPNSt15iterator_traitsISE_E10value_typeEPNSK_ISF_E10value_typeEPSG_NS1_7vsmem_tEENKUlT_SE_SF_SG_E_clIS8_S8_S9_S9_EESD_ST_SE_SF_SG_EUlST_E1_NS1_11comp_targetILNS1_3genE4ELNS1_11target_archE910ELNS1_3gpuE8ELNS1_3repE0EEENS1_36merge_oddeven_config_static_selectorELNS0_4arch9wavefront6targetE1EEEvSF_.kd
    .uniform_work_group_size: 1
    .uses_dynamic_stack: false
    .vgpr_count:     8
    .vgpr_spill_count: 0
    .wavefront_size: 64
  - .agpr_count:     0
    .args:
      - .offset:         0
        .size:           48
        .value_kind:     by_value
    .group_segment_fixed_size: 0
    .kernarg_segment_align: 8
    .kernarg_segment_size: 48
    .language:       OpenCL C
    .language_version:
      - 2
      - 0
    .max_flat_workgroup_size: 256
    .name:           _ZN7rocprim17ROCPRIM_400000_NS6detail17trampoline_kernelINS0_14default_configENS1_38merge_sort_block_merge_config_selectorIhNS0_10empty_typeEEEZZNS1_27merge_sort_block_merge_implIS3_PhPS5_jNS1_19radix_merge_compareILb0ELb0EhNS0_19identity_decomposerEEEEE10hipError_tT0_T1_T2_jT3_P12ihipStream_tbPNSt15iterator_traitsISE_E10value_typeEPNSK_ISF_E10value_typeEPSG_NS1_7vsmem_tEENKUlT_SE_SF_SG_E_clIS8_S8_S9_S9_EESD_ST_SE_SF_SG_EUlST_E1_NS1_11comp_targetILNS1_3genE3ELNS1_11target_archE908ELNS1_3gpuE7ELNS1_3repE0EEENS1_36merge_oddeven_config_static_selectorELNS0_4arch9wavefront6targetE1EEEvSF_
    .private_segment_fixed_size: 0
    .sgpr_count:     4
    .sgpr_spill_count: 0
    .symbol:         _ZN7rocprim17ROCPRIM_400000_NS6detail17trampoline_kernelINS0_14default_configENS1_38merge_sort_block_merge_config_selectorIhNS0_10empty_typeEEEZZNS1_27merge_sort_block_merge_implIS3_PhPS5_jNS1_19radix_merge_compareILb0ELb0EhNS0_19identity_decomposerEEEEE10hipError_tT0_T1_T2_jT3_P12ihipStream_tbPNSt15iterator_traitsISE_E10value_typeEPNSK_ISF_E10value_typeEPSG_NS1_7vsmem_tEENKUlT_SE_SF_SG_E_clIS8_S8_S9_S9_EESD_ST_SE_SF_SG_EUlST_E1_NS1_11comp_targetILNS1_3genE3ELNS1_11target_archE908ELNS1_3gpuE7ELNS1_3repE0EEENS1_36merge_oddeven_config_static_selectorELNS0_4arch9wavefront6targetE1EEEvSF_.kd
    .uniform_work_group_size: 1
    .uses_dynamic_stack: false
    .vgpr_count:     0
    .vgpr_spill_count: 0
    .wavefront_size: 64
  - .agpr_count:     0
    .args:
      - .offset:         0
        .size:           48
        .value_kind:     by_value
    .group_segment_fixed_size: 0
    .kernarg_segment_align: 8
    .kernarg_segment_size: 48
    .language:       OpenCL C
    .language_version:
      - 2
      - 0
    .max_flat_workgroup_size: 256
    .name:           _ZN7rocprim17ROCPRIM_400000_NS6detail17trampoline_kernelINS0_14default_configENS1_38merge_sort_block_merge_config_selectorIhNS0_10empty_typeEEEZZNS1_27merge_sort_block_merge_implIS3_PhPS5_jNS1_19radix_merge_compareILb0ELb0EhNS0_19identity_decomposerEEEEE10hipError_tT0_T1_T2_jT3_P12ihipStream_tbPNSt15iterator_traitsISE_E10value_typeEPNSK_ISF_E10value_typeEPSG_NS1_7vsmem_tEENKUlT_SE_SF_SG_E_clIS8_S8_S9_S9_EESD_ST_SE_SF_SG_EUlST_E1_NS1_11comp_targetILNS1_3genE2ELNS1_11target_archE906ELNS1_3gpuE6ELNS1_3repE0EEENS1_36merge_oddeven_config_static_selectorELNS0_4arch9wavefront6targetE1EEEvSF_
    .private_segment_fixed_size: 0
    .sgpr_count:     4
    .sgpr_spill_count: 0
    .symbol:         _ZN7rocprim17ROCPRIM_400000_NS6detail17trampoline_kernelINS0_14default_configENS1_38merge_sort_block_merge_config_selectorIhNS0_10empty_typeEEEZZNS1_27merge_sort_block_merge_implIS3_PhPS5_jNS1_19radix_merge_compareILb0ELb0EhNS0_19identity_decomposerEEEEE10hipError_tT0_T1_T2_jT3_P12ihipStream_tbPNSt15iterator_traitsISE_E10value_typeEPNSK_ISF_E10value_typeEPSG_NS1_7vsmem_tEENKUlT_SE_SF_SG_E_clIS8_S8_S9_S9_EESD_ST_SE_SF_SG_EUlST_E1_NS1_11comp_targetILNS1_3genE2ELNS1_11target_archE906ELNS1_3gpuE6ELNS1_3repE0EEENS1_36merge_oddeven_config_static_selectorELNS0_4arch9wavefront6targetE1EEEvSF_.kd
    .uniform_work_group_size: 1
    .uses_dynamic_stack: false
    .vgpr_count:     0
    .vgpr_spill_count: 0
    .wavefront_size: 64
  - .agpr_count:     0
    .args:
      - .offset:         0
        .size:           48
        .value_kind:     by_value
    .group_segment_fixed_size: 0
    .kernarg_segment_align: 8
    .kernarg_segment_size: 48
    .language:       OpenCL C
    .language_version:
      - 2
      - 0
    .max_flat_workgroup_size: 256
    .name:           _ZN7rocprim17ROCPRIM_400000_NS6detail17trampoline_kernelINS0_14default_configENS1_38merge_sort_block_merge_config_selectorIhNS0_10empty_typeEEEZZNS1_27merge_sort_block_merge_implIS3_PhPS5_jNS1_19radix_merge_compareILb0ELb0EhNS0_19identity_decomposerEEEEE10hipError_tT0_T1_T2_jT3_P12ihipStream_tbPNSt15iterator_traitsISE_E10value_typeEPNSK_ISF_E10value_typeEPSG_NS1_7vsmem_tEENKUlT_SE_SF_SG_E_clIS8_S8_S9_S9_EESD_ST_SE_SF_SG_EUlST_E1_NS1_11comp_targetILNS1_3genE9ELNS1_11target_archE1100ELNS1_3gpuE3ELNS1_3repE0EEENS1_36merge_oddeven_config_static_selectorELNS0_4arch9wavefront6targetE1EEEvSF_
    .private_segment_fixed_size: 0
    .sgpr_count:     4
    .sgpr_spill_count: 0
    .symbol:         _ZN7rocprim17ROCPRIM_400000_NS6detail17trampoline_kernelINS0_14default_configENS1_38merge_sort_block_merge_config_selectorIhNS0_10empty_typeEEEZZNS1_27merge_sort_block_merge_implIS3_PhPS5_jNS1_19radix_merge_compareILb0ELb0EhNS0_19identity_decomposerEEEEE10hipError_tT0_T1_T2_jT3_P12ihipStream_tbPNSt15iterator_traitsISE_E10value_typeEPNSK_ISF_E10value_typeEPSG_NS1_7vsmem_tEENKUlT_SE_SF_SG_E_clIS8_S8_S9_S9_EESD_ST_SE_SF_SG_EUlST_E1_NS1_11comp_targetILNS1_3genE9ELNS1_11target_archE1100ELNS1_3gpuE3ELNS1_3repE0EEENS1_36merge_oddeven_config_static_selectorELNS0_4arch9wavefront6targetE1EEEvSF_.kd
    .uniform_work_group_size: 1
    .uses_dynamic_stack: false
    .vgpr_count:     0
    .vgpr_spill_count: 0
    .wavefront_size: 64
  - .agpr_count:     0
    .args:
      - .offset:         0
        .size:           48
        .value_kind:     by_value
    .group_segment_fixed_size: 0
    .kernarg_segment_align: 8
    .kernarg_segment_size: 48
    .language:       OpenCL C
    .language_version:
      - 2
      - 0
    .max_flat_workgroup_size: 256
    .name:           _ZN7rocprim17ROCPRIM_400000_NS6detail17trampoline_kernelINS0_14default_configENS1_38merge_sort_block_merge_config_selectorIhNS0_10empty_typeEEEZZNS1_27merge_sort_block_merge_implIS3_PhPS5_jNS1_19radix_merge_compareILb0ELb0EhNS0_19identity_decomposerEEEEE10hipError_tT0_T1_T2_jT3_P12ihipStream_tbPNSt15iterator_traitsISE_E10value_typeEPNSK_ISF_E10value_typeEPSG_NS1_7vsmem_tEENKUlT_SE_SF_SG_E_clIS8_S8_S9_S9_EESD_ST_SE_SF_SG_EUlST_E1_NS1_11comp_targetILNS1_3genE8ELNS1_11target_archE1030ELNS1_3gpuE2ELNS1_3repE0EEENS1_36merge_oddeven_config_static_selectorELNS0_4arch9wavefront6targetE1EEEvSF_
    .private_segment_fixed_size: 0
    .sgpr_count:     4
    .sgpr_spill_count: 0
    .symbol:         _ZN7rocprim17ROCPRIM_400000_NS6detail17trampoline_kernelINS0_14default_configENS1_38merge_sort_block_merge_config_selectorIhNS0_10empty_typeEEEZZNS1_27merge_sort_block_merge_implIS3_PhPS5_jNS1_19radix_merge_compareILb0ELb0EhNS0_19identity_decomposerEEEEE10hipError_tT0_T1_T2_jT3_P12ihipStream_tbPNSt15iterator_traitsISE_E10value_typeEPNSK_ISF_E10value_typeEPSG_NS1_7vsmem_tEENKUlT_SE_SF_SG_E_clIS8_S8_S9_S9_EESD_ST_SE_SF_SG_EUlST_E1_NS1_11comp_targetILNS1_3genE8ELNS1_11target_archE1030ELNS1_3gpuE2ELNS1_3repE0EEENS1_36merge_oddeven_config_static_selectorELNS0_4arch9wavefront6targetE1EEEvSF_.kd
    .uniform_work_group_size: 1
    .uses_dynamic_stack: false
    .vgpr_count:     0
    .vgpr_spill_count: 0
    .wavefront_size: 64
  - .agpr_count:     0
    .args:
      - .offset:         0
        .size:           40
        .value_kind:     by_value
    .group_segment_fixed_size: 0
    .kernarg_segment_align: 8
    .kernarg_segment_size: 40
    .language:       OpenCL C
    .language_version:
      - 2
      - 0
    .max_flat_workgroup_size: 128
    .name:           _ZN7rocprim17ROCPRIM_400000_NS6detail17trampoline_kernelINS0_14default_configENS1_25transform_config_selectorIhLb1EEEZNS1_14transform_implILb1ES3_S5_PhS7_NS0_8identityIhEEEE10hipError_tT2_T3_mT4_P12ihipStream_tbEUlT_E_NS1_11comp_targetILNS1_3genE0ELNS1_11target_archE4294967295ELNS1_3gpuE0ELNS1_3repE0EEENS1_30default_config_static_selectorELNS0_4arch9wavefront6targetE1EEEvT1_
    .private_segment_fixed_size: 0
    .sgpr_count:     4
    .sgpr_spill_count: 0
    .symbol:         _ZN7rocprim17ROCPRIM_400000_NS6detail17trampoline_kernelINS0_14default_configENS1_25transform_config_selectorIhLb1EEEZNS1_14transform_implILb1ES3_S5_PhS7_NS0_8identityIhEEEE10hipError_tT2_T3_mT4_P12ihipStream_tbEUlT_E_NS1_11comp_targetILNS1_3genE0ELNS1_11target_archE4294967295ELNS1_3gpuE0ELNS1_3repE0EEENS1_30default_config_static_selectorELNS0_4arch9wavefront6targetE1EEEvT1_.kd
    .uniform_work_group_size: 1
    .uses_dynamic_stack: false
    .vgpr_count:     0
    .vgpr_spill_count: 0
    .wavefront_size: 64
  - .agpr_count:     0
    .args:
      - .offset:         0
        .size:           40
        .value_kind:     by_value
    .group_segment_fixed_size: 0
    .kernarg_segment_align: 8
    .kernarg_segment_size: 40
    .language:       OpenCL C
    .language_version:
      - 2
      - 0
    .max_flat_workgroup_size: 1024
    .name:           _ZN7rocprim17ROCPRIM_400000_NS6detail17trampoline_kernelINS0_14default_configENS1_25transform_config_selectorIhLb1EEEZNS1_14transform_implILb1ES3_S5_PhS7_NS0_8identityIhEEEE10hipError_tT2_T3_mT4_P12ihipStream_tbEUlT_E_NS1_11comp_targetILNS1_3genE10ELNS1_11target_archE1201ELNS1_3gpuE5ELNS1_3repE0EEENS1_30default_config_static_selectorELNS0_4arch9wavefront6targetE1EEEvT1_
    .private_segment_fixed_size: 0
    .sgpr_count:     4
    .sgpr_spill_count: 0
    .symbol:         _ZN7rocprim17ROCPRIM_400000_NS6detail17trampoline_kernelINS0_14default_configENS1_25transform_config_selectorIhLb1EEEZNS1_14transform_implILb1ES3_S5_PhS7_NS0_8identityIhEEEE10hipError_tT2_T3_mT4_P12ihipStream_tbEUlT_E_NS1_11comp_targetILNS1_3genE10ELNS1_11target_archE1201ELNS1_3gpuE5ELNS1_3repE0EEENS1_30default_config_static_selectorELNS0_4arch9wavefront6targetE1EEEvT1_.kd
    .uniform_work_group_size: 1
    .uses_dynamic_stack: false
    .vgpr_count:     0
    .vgpr_spill_count: 0
    .wavefront_size: 64
  - .agpr_count:     0
    .args:
      - .offset:         0
        .size:           40
        .value_kind:     by_value
    .group_segment_fixed_size: 0
    .kernarg_segment_align: 8
    .kernarg_segment_size: 40
    .language:       OpenCL C
    .language_version:
      - 2
      - 0
    .max_flat_workgroup_size: 256
    .name:           _ZN7rocprim17ROCPRIM_400000_NS6detail17trampoline_kernelINS0_14default_configENS1_25transform_config_selectorIhLb1EEEZNS1_14transform_implILb1ES3_S5_PhS7_NS0_8identityIhEEEE10hipError_tT2_T3_mT4_P12ihipStream_tbEUlT_E_NS1_11comp_targetILNS1_3genE5ELNS1_11target_archE942ELNS1_3gpuE9ELNS1_3repE0EEENS1_30default_config_static_selectorELNS0_4arch9wavefront6targetE1EEEvT1_
    .private_segment_fixed_size: 0
    .sgpr_count:     4
    .sgpr_spill_count: 0
    .symbol:         _ZN7rocprim17ROCPRIM_400000_NS6detail17trampoline_kernelINS0_14default_configENS1_25transform_config_selectorIhLb1EEEZNS1_14transform_implILb1ES3_S5_PhS7_NS0_8identityIhEEEE10hipError_tT2_T3_mT4_P12ihipStream_tbEUlT_E_NS1_11comp_targetILNS1_3genE5ELNS1_11target_archE942ELNS1_3gpuE9ELNS1_3repE0EEENS1_30default_config_static_selectorELNS0_4arch9wavefront6targetE1EEEvT1_.kd
    .uniform_work_group_size: 1
    .uses_dynamic_stack: false
    .vgpr_count:     0
    .vgpr_spill_count: 0
    .wavefront_size: 64
  - .agpr_count:     0
    .args:
      - .offset:         0
        .size:           40
        .value_kind:     by_value
      - .offset:         40
        .size:           4
        .value_kind:     hidden_block_count_x
      - .offset:         44
        .size:           4
        .value_kind:     hidden_block_count_y
      - .offset:         48
        .size:           4
        .value_kind:     hidden_block_count_z
      - .offset:         52
        .size:           2
        .value_kind:     hidden_group_size_x
      - .offset:         54
        .size:           2
        .value_kind:     hidden_group_size_y
      - .offset:         56
        .size:           2
        .value_kind:     hidden_group_size_z
      - .offset:         58
        .size:           2
        .value_kind:     hidden_remainder_x
      - .offset:         60
        .size:           2
        .value_kind:     hidden_remainder_y
      - .offset:         62
        .size:           2
        .value_kind:     hidden_remainder_z
      - .offset:         80
        .size:           8
        .value_kind:     hidden_global_offset_x
      - .offset:         88
        .size:           8
        .value_kind:     hidden_global_offset_y
      - .offset:         96
        .size:           8
        .value_kind:     hidden_global_offset_z
      - .offset:         104
        .size:           2
        .value_kind:     hidden_grid_dims
    .group_segment_fixed_size: 0
    .kernarg_segment_align: 8
    .kernarg_segment_size: 296
    .language:       OpenCL C
    .language_version:
      - 2
      - 0
    .max_flat_workgroup_size: 1024
    .name:           _ZN7rocprim17ROCPRIM_400000_NS6detail17trampoline_kernelINS0_14default_configENS1_25transform_config_selectorIhLb1EEEZNS1_14transform_implILb1ES3_S5_PhS7_NS0_8identityIhEEEE10hipError_tT2_T3_mT4_P12ihipStream_tbEUlT_E_NS1_11comp_targetILNS1_3genE4ELNS1_11target_archE910ELNS1_3gpuE8ELNS1_3repE0EEENS1_30default_config_static_selectorELNS0_4arch9wavefront6targetE1EEEvT1_
    .private_segment_fixed_size: 0
    .sgpr_count:     42
    .sgpr_spill_count: 0
    .symbol:         _ZN7rocprim17ROCPRIM_400000_NS6detail17trampoline_kernelINS0_14default_configENS1_25transform_config_selectorIhLb1EEEZNS1_14transform_implILb1ES3_S5_PhS7_NS0_8identityIhEEEE10hipError_tT2_T3_mT4_P12ihipStream_tbEUlT_E_NS1_11comp_targetILNS1_3genE4ELNS1_11target_archE910ELNS1_3gpuE8ELNS1_3repE0EEENS1_30default_config_static_selectorELNS0_4arch9wavefront6targetE1EEEvT1_.kd
    .uniform_work_group_size: 1
    .uses_dynamic_stack: false
    .vgpr_count:     18
    .vgpr_spill_count: 0
    .wavefront_size: 64
  - .agpr_count:     0
    .args:
      - .offset:         0
        .size:           40
        .value_kind:     by_value
    .group_segment_fixed_size: 0
    .kernarg_segment_align: 8
    .kernarg_segment_size: 40
    .language:       OpenCL C
    .language_version:
      - 2
      - 0
    .max_flat_workgroup_size: 128
    .name:           _ZN7rocprim17ROCPRIM_400000_NS6detail17trampoline_kernelINS0_14default_configENS1_25transform_config_selectorIhLb1EEEZNS1_14transform_implILb1ES3_S5_PhS7_NS0_8identityIhEEEE10hipError_tT2_T3_mT4_P12ihipStream_tbEUlT_E_NS1_11comp_targetILNS1_3genE3ELNS1_11target_archE908ELNS1_3gpuE7ELNS1_3repE0EEENS1_30default_config_static_selectorELNS0_4arch9wavefront6targetE1EEEvT1_
    .private_segment_fixed_size: 0
    .sgpr_count:     4
    .sgpr_spill_count: 0
    .symbol:         _ZN7rocprim17ROCPRIM_400000_NS6detail17trampoline_kernelINS0_14default_configENS1_25transform_config_selectorIhLb1EEEZNS1_14transform_implILb1ES3_S5_PhS7_NS0_8identityIhEEEE10hipError_tT2_T3_mT4_P12ihipStream_tbEUlT_E_NS1_11comp_targetILNS1_3genE3ELNS1_11target_archE908ELNS1_3gpuE7ELNS1_3repE0EEENS1_30default_config_static_selectorELNS0_4arch9wavefront6targetE1EEEvT1_.kd
    .uniform_work_group_size: 1
    .uses_dynamic_stack: false
    .vgpr_count:     0
    .vgpr_spill_count: 0
    .wavefront_size: 64
  - .agpr_count:     0
    .args:
      - .offset:         0
        .size:           40
        .value_kind:     by_value
    .group_segment_fixed_size: 0
    .kernarg_segment_align: 8
    .kernarg_segment_size: 40
    .language:       OpenCL C
    .language_version:
      - 2
      - 0
    .max_flat_workgroup_size: 512
    .name:           _ZN7rocprim17ROCPRIM_400000_NS6detail17trampoline_kernelINS0_14default_configENS1_25transform_config_selectorIhLb1EEEZNS1_14transform_implILb1ES3_S5_PhS7_NS0_8identityIhEEEE10hipError_tT2_T3_mT4_P12ihipStream_tbEUlT_E_NS1_11comp_targetILNS1_3genE2ELNS1_11target_archE906ELNS1_3gpuE6ELNS1_3repE0EEENS1_30default_config_static_selectorELNS0_4arch9wavefront6targetE1EEEvT1_
    .private_segment_fixed_size: 0
    .sgpr_count:     4
    .sgpr_spill_count: 0
    .symbol:         _ZN7rocprim17ROCPRIM_400000_NS6detail17trampoline_kernelINS0_14default_configENS1_25transform_config_selectorIhLb1EEEZNS1_14transform_implILb1ES3_S5_PhS7_NS0_8identityIhEEEE10hipError_tT2_T3_mT4_P12ihipStream_tbEUlT_E_NS1_11comp_targetILNS1_3genE2ELNS1_11target_archE906ELNS1_3gpuE6ELNS1_3repE0EEENS1_30default_config_static_selectorELNS0_4arch9wavefront6targetE1EEEvT1_.kd
    .uniform_work_group_size: 1
    .uses_dynamic_stack: false
    .vgpr_count:     0
    .vgpr_spill_count: 0
    .wavefront_size: 64
  - .agpr_count:     0
    .args:
      - .offset:         0
        .size:           40
        .value_kind:     by_value
    .group_segment_fixed_size: 0
    .kernarg_segment_align: 8
    .kernarg_segment_size: 40
    .language:       OpenCL C
    .language_version:
      - 2
      - 0
    .max_flat_workgroup_size: 1024
    .name:           _ZN7rocprim17ROCPRIM_400000_NS6detail17trampoline_kernelINS0_14default_configENS1_25transform_config_selectorIhLb1EEEZNS1_14transform_implILb1ES3_S5_PhS7_NS0_8identityIhEEEE10hipError_tT2_T3_mT4_P12ihipStream_tbEUlT_E_NS1_11comp_targetILNS1_3genE9ELNS1_11target_archE1100ELNS1_3gpuE3ELNS1_3repE0EEENS1_30default_config_static_selectorELNS0_4arch9wavefront6targetE1EEEvT1_
    .private_segment_fixed_size: 0
    .sgpr_count:     4
    .sgpr_spill_count: 0
    .symbol:         _ZN7rocprim17ROCPRIM_400000_NS6detail17trampoline_kernelINS0_14default_configENS1_25transform_config_selectorIhLb1EEEZNS1_14transform_implILb1ES3_S5_PhS7_NS0_8identityIhEEEE10hipError_tT2_T3_mT4_P12ihipStream_tbEUlT_E_NS1_11comp_targetILNS1_3genE9ELNS1_11target_archE1100ELNS1_3gpuE3ELNS1_3repE0EEENS1_30default_config_static_selectorELNS0_4arch9wavefront6targetE1EEEvT1_.kd
    .uniform_work_group_size: 1
    .uses_dynamic_stack: false
    .vgpr_count:     0
    .vgpr_spill_count: 0
    .wavefront_size: 64
  - .agpr_count:     0
    .args:
      - .offset:         0
        .size:           40
        .value_kind:     by_value
    .group_segment_fixed_size: 0
    .kernarg_segment_align: 8
    .kernarg_segment_size: 40
    .language:       OpenCL C
    .language_version:
      - 2
      - 0
    .max_flat_workgroup_size: 1024
    .name:           _ZN7rocprim17ROCPRIM_400000_NS6detail17trampoline_kernelINS0_14default_configENS1_25transform_config_selectorIhLb1EEEZNS1_14transform_implILb1ES3_S5_PhS7_NS0_8identityIhEEEE10hipError_tT2_T3_mT4_P12ihipStream_tbEUlT_E_NS1_11comp_targetILNS1_3genE8ELNS1_11target_archE1030ELNS1_3gpuE2ELNS1_3repE0EEENS1_30default_config_static_selectorELNS0_4arch9wavefront6targetE1EEEvT1_
    .private_segment_fixed_size: 0
    .sgpr_count:     4
    .sgpr_spill_count: 0
    .symbol:         _ZN7rocprim17ROCPRIM_400000_NS6detail17trampoline_kernelINS0_14default_configENS1_25transform_config_selectorIhLb1EEEZNS1_14transform_implILb1ES3_S5_PhS7_NS0_8identityIhEEEE10hipError_tT2_T3_mT4_P12ihipStream_tbEUlT_E_NS1_11comp_targetILNS1_3genE8ELNS1_11target_archE1030ELNS1_3gpuE2ELNS1_3repE0EEENS1_30default_config_static_selectorELNS0_4arch9wavefront6targetE1EEEvT1_.kd
    .uniform_work_group_size: 1
    .uses_dynamic_stack: false
    .vgpr_count:     0
    .vgpr_spill_count: 0
    .wavefront_size: 64
  - .agpr_count:     0
    .args:
      - .offset:         0
        .size:           40
        .value_kind:     by_value
    .group_segment_fixed_size: 0
    .kernarg_segment_align: 8
    .kernarg_segment_size: 40
    .language:       OpenCL C
    .language_version:
      - 2
      - 0
    .max_flat_workgroup_size: 128
    .name:           _ZN7rocprim17ROCPRIM_400000_NS6detail17trampoline_kernelINS0_14default_configENS1_38merge_sort_block_merge_config_selectorIhNS0_10empty_typeEEEZZNS1_27merge_sort_block_merge_implIS3_PhPS5_jNS1_19radix_merge_compareILb0ELb1EhNS0_19identity_decomposerEEEEE10hipError_tT0_T1_T2_jT3_P12ihipStream_tbPNSt15iterator_traitsISE_E10value_typeEPNSK_ISF_E10value_typeEPSG_NS1_7vsmem_tEENKUlT_SE_SF_SG_E_clIS8_S8_S9_S9_EESD_ST_SE_SF_SG_EUlST_E_NS1_11comp_targetILNS1_3genE0ELNS1_11target_archE4294967295ELNS1_3gpuE0ELNS1_3repE0EEENS1_48merge_mergepath_partition_config_static_selectorELNS0_4arch9wavefront6targetE1EEEvSF_
    .private_segment_fixed_size: 0
    .sgpr_count:     4
    .sgpr_spill_count: 0
    .symbol:         _ZN7rocprim17ROCPRIM_400000_NS6detail17trampoline_kernelINS0_14default_configENS1_38merge_sort_block_merge_config_selectorIhNS0_10empty_typeEEEZZNS1_27merge_sort_block_merge_implIS3_PhPS5_jNS1_19radix_merge_compareILb0ELb1EhNS0_19identity_decomposerEEEEE10hipError_tT0_T1_T2_jT3_P12ihipStream_tbPNSt15iterator_traitsISE_E10value_typeEPNSK_ISF_E10value_typeEPSG_NS1_7vsmem_tEENKUlT_SE_SF_SG_E_clIS8_S8_S9_S9_EESD_ST_SE_SF_SG_EUlST_E_NS1_11comp_targetILNS1_3genE0ELNS1_11target_archE4294967295ELNS1_3gpuE0ELNS1_3repE0EEENS1_48merge_mergepath_partition_config_static_selectorELNS0_4arch9wavefront6targetE1EEEvSF_.kd
    .uniform_work_group_size: 1
    .uses_dynamic_stack: false
    .vgpr_count:     0
    .vgpr_spill_count: 0
    .wavefront_size: 64
  - .agpr_count:     0
    .args:
      - .offset:         0
        .size:           40
        .value_kind:     by_value
    .group_segment_fixed_size: 0
    .kernarg_segment_align: 8
    .kernarg_segment_size: 40
    .language:       OpenCL C
    .language_version:
      - 2
      - 0
    .max_flat_workgroup_size: 128
    .name:           _ZN7rocprim17ROCPRIM_400000_NS6detail17trampoline_kernelINS0_14default_configENS1_38merge_sort_block_merge_config_selectorIhNS0_10empty_typeEEEZZNS1_27merge_sort_block_merge_implIS3_PhPS5_jNS1_19radix_merge_compareILb0ELb1EhNS0_19identity_decomposerEEEEE10hipError_tT0_T1_T2_jT3_P12ihipStream_tbPNSt15iterator_traitsISE_E10value_typeEPNSK_ISF_E10value_typeEPSG_NS1_7vsmem_tEENKUlT_SE_SF_SG_E_clIS8_S8_S9_S9_EESD_ST_SE_SF_SG_EUlST_E_NS1_11comp_targetILNS1_3genE10ELNS1_11target_archE1201ELNS1_3gpuE5ELNS1_3repE0EEENS1_48merge_mergepath_partition_config_static_selectorELNS0_4arch9wavefront6targetE1EEEvSF_
    .private_segment_fixed_size: 0
    .sgpr_count:     4
    .sgpr_spill_count: 0
    .symbol:         _ZN7rocprim17ROCPRIM_400000_NS6detail17trampoline_kernelINS0_14default_configENS1_38merge_sort_block_merge_config_selectorIhNS0_10empty_typeEEEZZNS1_27merge_sort_block_merge_implIS3_PhPS5_jNS1_19radix_merge_compareILb0ELb1EhNS0_19identity_decomposerEEEEE10hipError_tT0_T1_T2_jT3_P12ihipStream_tbPNSt15iterator_traitsISE_E10value_typeEPNSK_ISF_E10value_typeEPSG_NS1_7vsmem_tEENKUlT_SE_SF_SG_E_clIS8_S8_S9_S9_EESD_ST_SE_SF_SG_EUlST_E_NS1_11comp_targetILNS1_3genE10ELNS1_11target_archE1201ELNS1_3gpuE5ELNS1_3repE0EEENS1_48merge_mergepath_partition_config_static_selectorELNS0_4arch9wavefront6targetE1EEEvSF_.kd
    .uniform_work_group_size: 1
    .uses_dynamic_stack: false
    .vgpr_count:     0
    .vgpr_spill_count: 0
    .wavefront_size: 64
  - .agpr_count:     0
    .args:
      - .offset:         0
        .size:           40
        .value_kind:     by_value
    .group_segment_fixed_size: 0
    .kernarg_segment_align: 8
    .kernarg_segment_size: 40
    .language:       OpenCL C
    .language_version:
      - 2
      - 0
    .max_flat_workgroup_size: 128
    .name:           _ZN7rocprim17ROCPRIM_400000_NS6detail17trampoline_kernelINS0_14default_configENS1_38merge_sort_block_merge_config_selectorIhNS0_10empty_typeEEEZZNS1_27merge_sort_block_merge_implIS3_PhPS5_jNS1_19radix_merge_compareILb0ELb1EhNS0_19identity_decomposerEEEEE10hipError_tT0_T1_T2_jT3_P12ihipStream_tbPNSt15iterator_traitsISE_E10value_typeEPNSK_ISF_E10value_typeEPSG_NS1_7vsmem_tEENKUlT_SE_SF_SG_E_clIS8_S8_S9_S9_EESD_ST_SE_SF_SG_EUlST_E_NS1_11comp_targetILNS1_3genE5ELNS1_11target_archE942ELNS1_3gpuE9ELNS1_3repE0EEENS1_48merge_mergepath_partition_config_static_selectorELNS0_4arch9wavefront6targetE1EEEvSF_
    .private_segment_fixed_size: 0
    .sgpr_count:     4
    .sgpr_spill_count: 0
    .symbol:         _ZN7rocprim17ROCPRIM_400000_NS6detail17trampoline_kernelINS0_14default_configENS1_38merge_sort_block_merge_config_selectorIhNS0_10empty_typeEEEZZNS1_27merge_sort_block_merge_implIS3_PhPS5_jNS1_19radix_merge_compareILb0ELb1EhNS0_19identity_decomposerEEEEE10hipError_tT0_T1_T2_jT3_P12ihipStream_tbPNSt15iterator_traitsISE_E10value_typeEPNSK_ISF_E10value_typeEPSG_NS1_7vsmem_tEENKUlT_SE_SF_SG_E_clIS8_S8_S9_S9_EESD_ST_SE_SF_SG_EUlST_E_NS1_11comp_targetILNS1_3genE5ELNS1_11target_archE942ELNS1_3gpuE9ELNS1_3repE0EEENS1_48merge_mergepath_partition_config_static_selectorELNS0_4arch9wavefront6targetE1EEEvSF_.kd
    .uniform_work_group_size: 1
    .uses_dynamic_stack: false
    .vgpr_count:     0
    .vgpr_spill_count: 0
    .wavefront_size: 64
  - .agpr_count:     0
    .args:
      - .offset:         0
        .size:           40
        .value_kind:     by_value
    .group_segment_fixed_size: 0
    .kernarg_segment_align: 8
    .kernarg_segment_size: 40
    .language:       OpenCL C
    .language_version:
      - 2
      - 0
    .max_flat_workgroup_size: 128
    .name:           _ZN7rocprim17ROCPRIM_400000_NS6detail17trampoline_kernelINS0_14default_configENS1_38merge_sort_block_merge_config_selectorIhNS0_10empty_typeEEEZZNS1_27merge_sort_block_merge_implIS3_PhPS5_jNS1_19radix_merge_compareILb0ELb1EhNS0_19identity_decomposerEEEEE10hipError_tT0_T1_T2_jT3_P12ihipStream_tbPNSt15iterator_traitsISE_E10value_typeEPNSK_ISF_E10value_typeEPSG_NS1_7vsmem_tEENKUlT_SE_SF_SG_E_clIS8_S8_S9_S9_EESD_ST_SE_SF_SG_EUlST_E_NS1_11comp_targetILNS1_3genE4ELNS1_11target_archE910ELNS1_3gpuE8ELNS1_3repE0EEENS1_48merge_mergepath_partition_config_static_selectorELNS0_4arch9wavefront6targetE1EEEvSF_
    .private_segment_fixed_size: 0
    .sgpr_count:     14
    .sgpr_spill_count: 0
    .symbol:         _ZN7rocprim17ROCPRIM_400000_NS6detail17trampoline_kernelINS0_14default_configENS1_38merge_sort_block_merge_config_selectorIhNS0_10empty_typeEEEZZNS1_27merge_sort_block_merge_implIS3_PhPS5_jNS1_19radix_merge_compareILb0ELb1EhNS0_19identity_decomposerEEEEE10hipError_tT0_T1_T2_jT3_P12ihipStream_tbPNSt15iterator_traitsISE_E10value_typeEPNSK_ISF_E10value_typeEPSG_NS1_7vsmem_tEENKUlT_SE_SF_SG_E_clIS8_S8_S9_S9_EESD_ST_SE_SF_SG_EUlST_E_NS1_11comp_targetILNS1_3genE4ELNS1_11target_archE910ELNS1_3gpuE8ELNS1_3repE0EEENS1_48merge_mergepath_partition_config_static_selectorELNS0_4arch9wavefront6targetE1EEEvSF_.kd
    .uniform_work_group_size: 1
    .uses_dynamic_stack: false
    .vgpr_count:     16
    .vgpr_spill_count: 0
    .wavefront_size: 64
  - .agpr_count:     0
    .args:
      - .offset:         0
        .size:           40
        .value_kind:     by_value
    .group_segment_fixed_size: 0
    .kernarg_segment_align: 8
    .kernarg_segment_size: 40
    .language:       OpenCL C
    .language_version:
      - 2
      - 0
    .max_flat_workgroup_size: 128
    .name:           _ZN7rocprim17ROCPRIM_400000_NS6detail17trampoline_kernelINS0_14default_configENS1_38merge_sort_block_merge_config_selectorIhNS0_10empty_typeEEEZZNS1_27merge_sort_block_merge_implIS3_PhPS5_jNS1_19radix_merge_compareILb0ELb1EhNS0_19identity_decomposerEEEEE10hipError_tT0_T1_T2_jT3_P12ihipStream_tbPNSt15iterator_traitsISE_E10value_typeEPNSK_ISF_E10value_typeEPSG_NS1_7vsmem_tEENKUlT_SE_SF_SG_E_clIS8_S8_S9_S9_EESD_ST_SE_SF_SG_EUlST_E_NS1_11comp_targetILNS1_3genE3ELNS1_11target_archE908ELNS1_3gpuE7ELNS1_3repE0EEENS1_48merge_mergepath_partition_config_static_selectorELNS0_4arch9wavefront6targetE1EEEvSF_
    .private_segment_fixed_size: 0
    .sgpr_count:     4
    .sgpr_spill_count: 0
    .symbol:         _ZN7rocprim17ROCPRIM_400000_NS6detail17trampoline_kernelINS0_14default_configENS1_38merge_sort_block_merge_config_selectorIhNS0_10empty_typeEEEZZNS1_27merge_sort_block_merge_implIS3_PhPS5_jNS1_19radix_merge_compareILb0ELb1EhNS0_19identity_decomposerEEEEE10hipError_tT0_T1_T2_jT3_P12ihipStream_tbPNSt15iterator_traitsISE_E10value_typeEPNSK_ISF_E10value_typeEPSG_NS1_7vsmem_tEENKUlT_SE_SF_SG_E_clIS8_S8_S9_S9_EESD_ST_SE_SF_SG_EUlST_E_NS1_11comp_targetILNS1_3genE3ELNS1_11target_archE908ELNS1_3gpuE7ELNS1_3repE0EEENS1_48merge_mergepath_partition_config_static_selectorELNS0_4arch9wavefront6targetE1EEEvSF_.kd
    .uniform_work_group_size: 1
    .uses_dynamic_stack: false
    .vgpr_count:     0
    .vgpr_spill_count: 0
    .wavefront_size: 64
  - .agpr_count:     0
    .args:
      - .offset:         0
        .size:           40
        .value_kind:     by_value
    .group_segment_fixed_size: 0
    .kernarg_segment_align: 8
    .kernarg_segment_size: 40
    .language:       OpenCL C
    .language_version:
      - 2
      - 0
    .max_flat_workgroup_size: 128
    .name:           _ZN7rocprim17ROCPRIM_400000_NS6detail17trampoline_kernelINS0_14default_configENS1_38merge_sort_block_merge_config_selectorIhNS0_10empty_typeEEEZZNS1_27merge_sort_block_merge_implIS3_PhPS5_jNS1_19radix_merge_compareILb0ELb1EhNS0_19identity_decomposerEEEEE10hipError_tT0_T1_T2_jT3_P12ihipStream_tbPNSt15iterator_traitsISE_E10value_typeEPNSK_ISF_E10value_typeEPSG_NS1_7vsmem_tEENKUlT_SE_SF_SG_E_clIS8_S8_S9_S9_EESD_ST_SE_SF_SG_EUlST_E_NS1_11comp_targetILNS1_3genE2ELNS1_11target_archE906ELNS1_3gpuE6ELNS1_3repE0EEENS1_48merge_mergepath_partition_config_static_selectorELNS0_4arch9wavefront6targetE1EEEvSF_
    .private_segment_fixed_size: 0
    .sgpr_count:     4
    .sgpr_spill_count: 0
    .symbol:         _ZN7rocprim17ROCPRIM_400000_NS6detail17trampoline_kernelINS0_14default_configENS1_38merge_sort_block_merge_config_selectorIhNS0_10empty_typeEEEZZNS1_27merge_sort_block_merge_implIS3_PhPS5_jNS1_19radix_merge_compareILb0ELb1EhNS0_19identity_decomposerEEEEE10hipError_tT0_T1_T2_jT3_P12ihipStream_tbPNSt15iterator_traitsISE_E10value_typeEPNSK_ISF_E10value_typeEPSG_NS1_7vsmem_tEENKUlT_SE_SF_SG_E_clIS8_S8_S9_S9_EESD_ST_SE_SF_SG_EUlST_E_NS1_11comp_targetILNS1_3genE2ELNS1_11target_archE906ELNS1_3gpuE6ELNS1_3repE0EEENS1_48merge_mergepath_partition_config_static_selectorELNS0_4arch9wavefront6targetE1EEEvSF_.kd
    .uniform_work_group_size: 1
    .uses_dynamic_stack: false
    .vgpr_count:     0
    .vgpr_spill_count: 0
    .wavefront_size: 64
  - .agpr_count:     0
    .args:
      - .offset:         0
        .size:           40
        .value_kind:     by_value
    .group_segment_fixed_size: 0
    .kernarg_segment_align: 8
    .kernarg_segment_size: 40
    .language:       OpenCL C
    .language_version:
      - 2
      - 0
    .max_flat_workgroup_size: 128
    .name:           _ZN7rocprim17ROCPRIM_400000_NS6detail17trampoline_kernelINS0_14default_configENS1_38merge_sort_block_merge_config_selectorIhNS0_10empty_typeEEEZZNS1_27merge_sort_block_merge_implIS3_PhPS5_jNS1_19radix_merge_compareILb0ELb1EhNS0_19identity_decomposerEEEEE10hipError_tT0_T1_T2_jT3_P12ihipStream_tbPNSt15iterator_traitsISE_E10value_typeEPNSK_ISF_E10value_typeEPSG_NS1_7vsmem_tEENKUlT_SE_SF_SG_E_clIS8_S8_S9_S9_EESD_ST_SE_SF_SG_EUlST_E_NS1_11comp_targetILNS1_3genE9ELNS1_11target_archE1100ELNS1_3gpuE3ELNS1_3repE0EEENS1_48merge_mergepath_partition_config_static_selectorELNS0_4arch9wavefront6targetE1EEEvSF_
    .private_segment_fixed_size: 0
    .sgpr_count:     4
    .sgpr_spill_count: 0
    .symbol:         _ZN7rocprim17ROCPRIM_400000_NS6detail17trampoline_kernelINS0_14default_configENS1_38merge_sort_block_merge_config_selectorIhNS0_10empty_typeEEEZZNS1_27merge_sort_block_merge_implIS3_PhPS5_jNS1_19radix_merge_compareILb0ELb1EhNS0_19identity_decomposerEEEEE10hipError_tT0_T1_T2_jT3_P12ihipStream_tbPNSt15iterator_traitsISE_E10value_typeEPNSK_ISF_E10value_typeEPSG_NS1_7vsmem_tEENKUlT_SE_SF_SG_E_clIS8_S8_S9_S9_EESD_ST_SE_SF_SG_EUlST_E_NS1_11comp_targetILNS1_3genE9ELNS1_11target_archE1100ELNS1_3gpuE3ELNS1_3repE0EEENS1_48merge_mergepath_partition_config_static_selectorELNS0_4arch9wavefront6targetE1EEEvSF_.kd
    .uniform_work_group_size: 1
    .uses_dynamic_stack: false
    .vgpr_count:     0
    .vgpr_spill_count: 0
    .wavefront_size: 64
  - .agpr_count:     0
    .args:
      - .offset:         0
        .size:           40
        .value_kind:     by_value
    .group_segment_fixed_size: 0
    .kernarg_segment_align: 8
    .kernarg_segment_size: 40
    .language:       OpenCL C
    .language_version:
      - 2
      - 0
    .max_flat_workgroup_size: 128
    .name:           _ZN7rocprim17ROCPRIM_400000_NS6detail17trampoline_kernelINS0_14default_configENS1_38merge_sort_block_merge_config_selectorIhNS0_10empty_typeEEEZZNS1_27merge_sort_block_merge_implIS3_PhPS5_jNS1_19radix_merge_compareILb0ELb1EhNS0_19identity_decomposerEEEEE10hipError_tT0_T1_T2_jT3_P12ihipStream_tbPNSt15iterator_traitsISE_E10value_typeEPNSK_ISF_E10value_typeEPSG_NS1_7vsmem_tEENKUlT_SE_SF_SG_E_clIS8_S8_S9_S9_EESD_ST_SE_SF_SG_EUlST_E_NS1_11comp_targetILNS1_3genE8ELNS1_11target_archE1030ELNS1_3gpuE2ELNS1_3repE0EEENS1_48merge_mergepath_partition_config_static_selectorELNS0_4arch9wavefront6targetE1EEEvSF_
    .private_segment_fixed_size: 0
    .sgpr_count:     4
    .sgpr_spill_count: 0
    .symbol:         _ZN7rocprim17ROCPRIM_400000_NS6detail17trampoline_kernelINS0_14default_configENS1_38merge_sort_block_merge_config_selectorIhNS0_10empty_typeEEEZZNS1_27merge_sort_block_merge_implIS3_PhPS5_jNS1_19radix_merge_compareILb0ELb1EhNS0_19identity_decomposerEEEEE10hipError_tT0_T1_T2_jT3_P12ihipStream_tbPNSt15iterator_traitsISE_E10value_typeEPNSK_ISF_E10value_typeEPSG_NS1_7vsmem_tEENKUlT_SE_SF_SG_E_clIS8_S8_S9_S9_EESD_ST_SE_SF_SG_EUlST_E_NS1_11comp_targetILNS1_3genE8ELNS1_11target_archE1030ELNS1_3gpuE2ELNS1_3repE0EEENS1_48merge_mergepath_partition_config_static_selectorELNS0_4arch9wavefront6targetE1EEEvSF_.kd
    .uniform_work_group_size: 1
    .uses_dynamic_stack: false
    .vgpr_count:     0
    .vgpr_spill_count: 0
    .wavefront_size: 64
  - .agpr_count:     0
    .args:
      - .offset:         0
        .size:           64
        .value_kind:     by_value
    .group_segment_fixed_size: 0
    .kernarg_segment_align: 8
    .kernarg_segment_size: 64
    .language:       OpenCL C
    .language_version:
      - 2
      - 0
    .max_flat_workgroup_size: 128
    .name:           _ZN7rocprim17ROCPRIM_400000_NS6detail17trampoline_kernelINS0_14default_configENS1_38merge_sort_block_merge_config_selectorIhNS0_10empty_typeEEEZZNS1_27merge_sort_block_merge_implIS3_PhPS5_jNS1_19radix_merge_compareILb0ELb1EhNS0_19identity_decomposerEEEEE10hipError_tT0_T1_T2_jT3_P12ihipStream_tbPNSt15iterator_traitsISE_E10value_typeEPNSK_ISF_E10value_typeEPSG_NS1_7vsmem_tEENKUlT_SE_SF_SG_E_clIS8_S8_S9_S9_EESD_ST_SE_SF_SG_EUlST_E0_NS1_11comp_targetILNS1_3genE0ELNS1_11target_archE4294967295ELNS1_3gpuE0ELNS1_3repE0EEENS1_38merge_mergepath_config_static_selectorELNS0_4arch9wavefront6targetE1EEEvSF_
    .private_segment_fixed_size: 0
    .sgpr_count:     4
    .sgpr_spill_count: 0
    .symbol:         _ZN7rocprim17ROCPRIM_400000_NS6detail17trampoline_kernelINS0_14default_configENS1_38merge_sort_block_merge_config_selectorIhNS0_10empty_typeEEEZZNS1_27merge_sort_block_merge_implIS3_PhPS5_jNS1_19radix_merge_compareILb0ELb1EhNS0_19identity_decomposerEEEEE10hipError_tT0_T1_T2_jT3_P12ihipStream_tbPNSt15iterator_traitsISE_E10value_typeEPNSK_ISF_E10value_typeEPSG_NS1_7vsmem_tEENKUlT_SE_SF_SG_E_clIS8_S8_S9_S9_EESD_ST_SE_SF_SG_EUlST_E0_NS1_11comp_targetILNS1_3genE0ELNS1_11target_archE4294967295ELNS1_3gpuE0ELNS1_3repE0EEENS1_38merge_mergepath_config_static_selectorELNS0_4arch9wavefront6targetE1EEEvSF_.kd
    .uniform_work_group_size: 1
    .uses_dynamic_stack: false
    .vgpr_count:     0
    .vgpr_spill_count: 0
    .wavefront_size: 64
  - .agpr_count:     0
    .args:
      - .offset:         0
        .size:           64
        .value_kind:     by_value
    .group_segment_fixed_size: 0
    .kernarg_segment_align: 8
    .kernarg_segment_size: 64
    .language:       OpenCL C
    .language_version:
      - 2
      - 0
    .max_flat_workgroup_size: 128
    .name:           _ZN7rocprim17ROCPRIM_400000_NS6detail17trampoline_kernelINS0_14default_configENS1_38merge_sort_block_merge_config_selectorIhNS0_10empty_typeEEEZZNS1_27merge_sort_block_merge_implIS3_PhPS5_jNS1_19radix_merge_compareILb0ELb1EhNS0_19identity_decomposerEEEEE10hipError_tT0_T1_T2_jT3_P12ihipStream_tbPNSt15iterator_traitsISE_E10value_typeEPNSK_ISF_E10value_typeEPSG_NS1_7vsmem_tEENKUlT_SE_SF_SG_E_clIS8_S8_S9_S9_EESD_ST_SE_SF_SG_EUlST_E0_NS1_11comp_targetILNS1_3genE10ELNS1_11target_archE1201ELNS1_3gpuE5ELNS1_3repE0EEENS1_38merge_mergepath_config_static_selectorELNS0_4arch9wavefront6targetE1EEEvSF_
    .private_segment_fixed_size: 0
    .sgpr_count:     4
    .sgpr_spill_count: 0
    .symbol:         _ZN7rocprim17ROCPRIM_400000_NS6detail17trampoline_kernelINS0_14default_configENS1_38merge_sort_block_merge_config_selectorIhNS0_10empty_typeEEEZZNS1_27merge_sort_block_merge_implIS3_PhPS5_jNS1_19radix_merge_compareILb0ELb1EhNS0_19identity_decomposerEEEEE10hipError_tT0_T1_T2_jT3_P12ihipStream_tbPNSt15iterator_traitsISE_E10value_typeEPNSK_ISF_E10value_typeEPSG_NS1_7vsmem_tEENKUlT_SE_SF_SG_E_clIS8_S8_S9_S9_EESD_ST_SE_SF_SG_EUlST_E0_NS1_11comp_targetILNS1_3genE10ELNS1_11target_archE1201ELNS1_3gpuE5ELNS1_3repE0EEENS1_38merge_mergepath_config_static_selectorELNS0_4arch9wavefront6targetE1EEEvSF_.kd
    .uniform_work_group_size: 1
    .uses_dynamic_stack: false
    .vgpr_count:     0
    .vgpr_spill_count: 0
    .wavefront_size: 64
  - .agpr_count:     0
    .args:
      - .offset:         0
        .size:           64
        .value_kind:     by_value
    .group_segment_fixed_size: 0
    .kernarg_segment_align: 8
    .kernarg_segment_size: 64
    .language:       OpenCL C
    .language_version:
      - 2
      - 0
    .max_flat_workgroup_size: 128
    .name:           _ZN7rocprim17ROCPRIM_400000_NS6detail17trampoline_kernelINS0_14default_configENS1_38merge_sort_block_merge_config_selectorIhNS0_10empty_typeEEEZZNS1_27merge_sort_block_merge_implIS3_PhPS5_jNS1_19radix_merge_compareILb0ELb1EhNS0_19identity_decomposerEEEEE10hipError_tT0_T1_T2_jT3_P12ihipStream_tbPNSt15iterator_traitsISE_E10value_typeEPNSK_ISF_E10value_typeEPSG_NS1_7vsmem_tEENKUlT_SE_SF_SG_E_clIS8_S8_S9_S9_EESD_ST_SE_SF_SG_EUlST_E0_NS1_11comp_targetILNS1_3genE5ELNS1_11target_archE942ELNS1_3gpuE9ELNS1_3repE0EEENS1_38merge_mergepath_config_static_selectorELNS0_4arch9wavefront6targetE1EEEvSF_
    .private_segment_fixed_size: 0
    .sgpr_count:     4
    .sgpr_spill_count: 0
    .symbol:         _ZN7rocprim17ROCPRIM_400000_NS6detail17trampoline_kernelINS0_14default_configENS1_38merge_sort_block_merge_config_selectorIhNS0_10empty_typeEEEZZNS1_27merge_sort_block_merge_implIS3_PhPS5_jNS1_19radix_merge_compareILb0ELb1EhNS0_19identity_decomposerEEEEE10hipError_tT0_T1_T2_jT3_P12ihipStream_tbPNSt15iterator_traitsISE_E10value_typeEPNSK_ISF_E10value_typeEPSG_NS1_7vsmem_tEENKUlT_SE_SF_SG_E_clIS8_S8_S9_S9_EESD_ST_SE_SF_SG_EUlST_E0_NS1_11comp_targetILNS1_3genE5ELNS1_11target_archE942ELNS1_3gpuE9ELNS1_3repE0EEENS1_38merge_mergepath_config_static_selectorELNS0_4arch9wavefront6targetE1EEEvSF_.kd
    .uniform_work_group_size: 1
    .uses_dynamic_stack: false
    .vgpr_count:     0
    .vgpr_spill_count: 0
    .wavefront_size: 64
  - .agpr_count:     0
    .args:
      - .offset:         0
        .size:           64
        .value_kind:     by_value
      - .offset:         64
        .size:           4
        .value_kind:     hidden_block_count_x
      - .offset:         68
        .size:           4
        .value_kind:     hidden_block_count_y
      - .offset:         72
        .size:           4
        .value_kind:     hidden_block_count_z
      - .offset:         76
        .size:           2
        .value_kind:     hidden_group_size_x
      - .offset:         78
        .size:           2
        .value_kind:     hidden_group_size_y
      - .offset:         80
        .size:           2
        .value_kind:     hidden_group_size_z
      - .offset:         82
        .size:           2
        .value_kind:     hidden_remainder_x
      - .offset:         84
        .size:           2
        .value_kind:     hidden_remainder_y
      - .offset:         86
        .size:           2
        .value_kind:     hidden_remainder_z
      - .offset:         104
        .size:           8
        .value_kind:     hidden_global_offset_x
      - .offset:         112
        .size:           8
        .value_kind:     hidden_global_offset_y
      - .offset:         120
        .size:           8
        .value_kind:     hidden_global_offset_z
      - .offset:         128
        .size:           2
        .value_kind:     hidden_grid_dims
    .group_segment_fixed_size: 1056
    .kernarg_segment_align: 8
    .kernarg_segment_size: 320
    .language:       OpenCL C
    .language_version:
      - 2
      - 0
    .max_flat_workgroup_size: 128
    .name:           _ZN7rocprim17ROCPRIM_400000_NS6detail17trampoline_kernelINS0_14default_configENS1_38merge_sort_block_merge_config_selectorIhNS0_10empty_typeEEEZZNS1_27merge_sort_block_merge_implIS3_PhPS5_jNS1_19radix_merge_compareILb0ELb1EhNS0_19identity_decomposerEEEEE10hipError_tT0_T1_T2_jT3_P12ihipStream_tbPNSt15iterator_traitsISE_E10value_typeEPNSK_ISF_E10value_typeEPSG_NS1_7vsmem_tEENKUlT_SE_SF_SG_E_clIS8_S8_S9_S9_EESD_ST_SE_SF_SG_EUlST_E0_NS1_11comp_targetILNS1_3genE4ELNS1_11target_archE910ELNS1_3gpuE8ELNS1_3repE0EEENS1_38merge_mergepath_config_static_selectorELNS0_4arch9wavefront6targetE1EEEvSF_
    .private_segment_fixed_size: 0
    .sgpr_count:     30
    .sgpr_spill_count: 0
    .symbol:         _ZN7rocprim17ROCPRIM_400000_NS6detail17trampoline_kernelINS0_14default_configENS1_38merge_sort_block_merge_config_selectorIhNS0_10empty_typeEEEZZNS1_27merge_sort_block_merge_implIS3_PhPS5_jNS1_19radix_merge_compareILb0ELb1EhNS0_19identity_decomposerEEEEE10hipError_tT0_T1_T2_jT3_P12ihipStream_tbPNSt15iterator_traitsISE_E10value_typeEPNSK_ISF_E10value_typeEPSG_NS1_7vsmem_tEENKUlT_SE_SF_SG_E_clIS8_S8_S9_S9_EESD_ST_SE_SF_SG_EUlST_E0_NS1_11comp_targetILNS1_3genE4ELNS1_11target_archE910ELNS1_3gpuE8ELNS1_3repE0EEENS1_38merge_mergepath_config_static_selectorELNS0_4arch9wavefront6targetE1EEEvSF_.kd
    .uniform_work_group_size: 1
    .uses_dynamic_stack: false
    .vgpr_count:     28
    .vgpr_spill_count: 0
    .wavefront_size: 64
  - .agpr_count:     0
    .args:
      - .offset:         0
        .size:           64
        .value_kind:     by_value
    .group_segment_fixed_size: 0
    .kernarg_segment_align: 8
    .kernarg_segment_size: 64
    .language:       OpenCL C
    .language_version:
      - 2
      - 0
    .max_flat_workgroup_size: 128
    .name:           _ZN7rocprim17ROCPRIM_400000_NS6detail17trampoline_kernelINS0_14default_configENS1_38merge_sort_block_merge_config_selectorIhNS0_10empty_typeEEEZZNS1_27merge_sort_block_merge_implIS3_PhPS5_jNS1_19radix_merge_compareILb0ELb1EhNS0_19identity_decomposerEEEEE10hipError_tT0_T1_T2_jT3_P12ihipStream_tbPNSt15iterator_traitsISE_E10value_typeEPNSK_ISF_E10value_typeEPSG_NS1_7vsmem_tEENKUlT_SE_SF_SG_E_clIS8_S8_S9_S9_EESD_ST_SE_SF_SG_EUlST_E0_NS1_11comp_targetILNS1_3genE3ELNS1_11target_archE908ELNS1_3gpuE7ELNS1_3repE0EEENS1_38merge_mergepath_config_static_selectorELNS0_4arch9wavefront6targetE1EEEvSF_
    .private_segment_fixed_size: 0
    .sgpr_count:     4
    .sgpr_spill_count: 0
    .symbol:         _ZN7rocprim17ROCPRIM_400000_NS6detail17trampoline_kernelINS0_14default_configENS1_38merge_sort_block_merge_config_selectorIhNS0_10empty_typeEEEZZNS1_27merge_sort_block_merge_implIS3_PhPS5_jNS1_19radix_merge_compareILb0ELb1EhNS0_19identity_decomposerEEEEE10hipError_tT0_T1_T2_jT3_P12ihipStream_tbPNSt15iterator_traitsISE_E10value_typeEPNSK_ISF_E10value_typeEPSG_NS1_7vsmem_tEENKUlT_SE_SF_SG_E_clIS8_S8_S9_S9_EESD_ST_SE_SF_SG_EUlST_E0_NS1_11comp_targetILNS1_3genE3ELNS1_11target_archE908ELNS1_3gpuE7ELNS1_3repE0EEENS1_38merge_mergepath_config_static_selectorELNS0_4arch9wavefront6targetE1EEEvSF_.kd
    .uniform_work_group_size: 1
    .uses_dynamic_stack: false
    .vgpr_count:     0
    .vgpr_spill_count: 0
    .wavefront_size: 64
  - .agpr_count:     0
    .args:
      - .offset:         0
        .size:           64
        .value_kind:     by_value
    .group_segment_fixed_size: 0
    .kernarg_segment_align: 8
    .kernarg_segment_size: 64
    .language:       OpenCL C
    .language_version:
      - 2
      - 0
    .max_flat_workgroup_size: 128
    .name:           _ZN7rocprim17ROCPRIM_400000_NS6detail17trampoline_kernelINS0_14default_configENS1_38merge_sort_block_merge_config_selectorIhNS0_10empty_typeEEEZZNS1_27merge_sort_block_merge_implIS3_PhPS5_jNS1_19radix_merge_compareILb0ELb1EhNS0_19identity_decomposerEEEEE10hipError_tT0_T1_T2_jT3_P12ihipStream_tbPNSt15iterator_traitsISE_E10value_typeEPNSK_ISF_E10value_typeEPSG_NS1_7vsmem_tEENKUlT_SE_SF_SG_E_clIS8_S8_S9_S9_EESD_ST_SE_SF_SG_EUlST_E0_NS1_11comp_targetILNS1_3genE2ELNS1_11target_archE906ELNS1_3gpuE6ELNS1_3repE0EEENS1_38merge_mergepath_config_static_selectorELNS0_4arch9wavefront6targetE1EEEvSF_
    .private_segment_fixed_size: 0
    .sgpr_count:     4
    .sgpr_spill_count: 0
    .symbol:         _ZN7rocprim17ROCPRIM_400000_NS6detail17trampoline_kernelINS0_14default_configENS1_38merge_sort_block_merge_config_selectorIhNS0_10empty_typeEEEZZNS1_27merge_sort_block_merge_implIS3_PhPS5_jNS1_19radix_merge_compareILb0ELb1EhNS0_19identity_decomposerEEEEE10hipError_tT0_T1_T2_jT3_P12ihipStream_tbPNSt15iterator_traitsISE_E10value_typeEPNSK_ISF_E10value_typeEPSG_NS1_7vsmem_tEENKUlT_SE_SF_SG_E_clIS8_S8_S9_S9_EESD_ST_SE_SF_SG_EUlST_E0_NS1_11comp_targetILNS1_3genE2ELNS1_11target_archE906ELNS1_3gpuE6ELNS1_3repE0EEENS1_38merge_mergepath_config_static_selectorELNS0_4arch9wavefront6targetE1EEEvSF_.kd
    .uniform_work_group_size: 1
    .uses_dynamic_stack: false
    .vgpr_count:     0
    .vgpr_spill_count: 0
    .wavefront_size: 64
  - .agpr_count:     0
    .args:
      - .offset:         0
        .size:           64
        .value_kind:     by_value
    .group_segment_fixed_size: 0
    .kernarg_segment_align: 8
    .kernarg_segment_size: 64
    .language:       OpenCL C
    .language_version:
      - 2
      - 0
    .max_flat_workgroup_size: 128
    .name:           _ZN7rocprim17ROCPRIM_400000_NS6detail17trampoline_kernelINS0_14default_configENS1_38merge_sort_block_merge_config_selectorIhNS0_10empty_typeEEEZZNS1_27merge_sort_block_merge_implIS3_PhPS5_jNS1_19radix_merge_compareILb0ELb1EhNS0_19identity_decomposerEEEEE10hipError_tT0_T1_T2_jT3_P12ihipStream_tbPNSt15iterator_traitsISE_E10value_typeEPNSK_ISF_E10value_typeEPSG_NS1_7vsmem_tEENKUlT_SE_SF_SG_E_clIS8_S8_S9_S9_EESD_ST_SE_SF_SG_EUlST_E0_NS1_11comp_targetILNS1_3genE9ELNS1_11target_archE1100ELNS1_3gpuE3ELNS1_3repE0EEENS1_38merge_mergepath_config_static_selectorELNS0_4arch9wavefront6targetE1EEEvSF_
    .private_segment_fixed_size: 0
    .sgpr_count:     4
    .sgpr_spill_count: 0
    .symbol:         _ZN7rocprim17ROCPRIM_400000_NS6detail17trampoline_kernelINS0_14default_configENS1_38merge_sort_block_merge_config_selectorIhNS0_10empty_typeEEEZZNS1_27merge_sort_block_merge_implIS3_PhPS5_jNS1_19radix_merge_compareILb0ELb1EhNS0_19identity_decomposerEEEEE10hipError_tT0_T1_T2_jT3_P12ihipStream_tbPNSt15iterator_traitsISE_E10value_typeEPNSK_ISF_E10value_typeEPSG_NS1_7vsmem_tEENKUlT_SE_SF_SG_E_clIS8_S8_S9_S9_EESD_ST_SE_SF_SG_EUlST_E0_NS1_11comp_targetILNS1_3genE9ELNS1_11target_archE1100ELNS1_3gpuE3ELNS1_3repE0EEENS1_38merge_mergepath_config_static_selectorELNS0_4arch9wavefront6targetE1EEEvSF_.kd
    .uniform_work_group_size: 1
    .uses_dynamic_stack: false
    .vgpr_count:     0
    .vgpr_spill_count: 0
    .wavefront_size: 64
  - .agpr_count:     0
    .args:
      - .offset:         0
        .size:           64
        .value_kind:     by_value
    .group_segment_fixed_size: 0
    .kernarg_segment_align: 8
    .kernarg_segment_size: 64
    .language:       OpenCL C
    .language_version:
      - 2
      - 0
    .max_flat_workgroup_size: 128
    .name:           _ZN7rocprim17ROCPRIM_400000_NS6detail17trampoline_kernelINS0_14default_configENS1_38merge_sort_block_merge_config_selectorIhNS0_10empty_typeEEEZZNS1_27merge_sort_block_merge_implIS3_PhPS5_jNS1_19radix_merge_compareILb0ELb1EhNS0_19identity_decomposerEEEEE10hipError_tT0_T1_T2_jT3_P12ihipStream_tbPNSt15iterator_traitsISE_E10value_typeEPNSK_ISF_E10value_typeEPSG_NS1_7vsmem_tEENKUlT_SE_SF_SG_E_clIS8_S8_S9_S9_EESD_ST_SE_SF_SG_EUlST_E0_NS1_11comp_targetILNS1_3genE8ELNS1_11target_archE1030ELNS1_3gpuE2ELNS1_3repE0EEENS1_38merge_mergepath_config_static_selectorELNS0_4arch9wavefront6targetE1EEEvSF_
    .private_segment_fixed_size: 0
    .sgpr_count:     4
    .sgpr_spill_count: 0
    .symbol:         _ZN7rocprim17ROCPRIM_400000_NS6detail17trampoline_kernelINS0_14default_configENS1_38merge_sort_block_merge_config_selectorIhNS0_10empty_typeEEEZZNS1_27merge_sort_block_merge_implIS3_PhPS5_jNS1_19radix_merge_compareILb0ELb1EhNS0_19identity_decomposerEEEEE10hipError_tT0_T1_T2_jT3_P12ihipStream_tbPNSt15iterator_traitsISE_E10value_typeEPNSK_ISF_E10value_typeEPSG_NS1_7vsmem_tEENKUlT_SE_SF_SG_E_clIS8_S8_S9_S9_EESD_ST_SE_SF_SG_EUlST_E0_NS1_11comp_targetILNS1_3genE8ELNS1_11target_archE1030ELNS1_3gpuE2ELNS1_3repE0EEENS1_38merge_mergepath_config_static_selectorELNS0_4arch9wavefront6targetE1EEEvSF_.kd
    .uniform_work_group_size: 1
    .uses_dynamic_stack: false
    .vgpr_count:     0
    .vgpr_spill_count: 0
    .wavefront_size: 64
  - .agpr_count:     0
    .args:
      - .offset:         0
        .size:           48
        .value_kind:     by_value
    .group_segment_fixed_size: 0
    .kernarg_segment_align: 8
    .kernarg_segment_size: 48
    .language:       OpenCL C
    .language_version:
      - 2
      - 0
    .max_flat_workgroup_size: 256
    .name:           _ZN7rocprim17ROCPRIM_400000_NS6detail17trampoline_kernelINS0_14default_configENS1_38merge_sort_block_merge_config_selectorIhNS0_10empty_typeEEEZZNS1_27merge_sort_block_merge_implIS3_PhPS5_jNS1_19radix_merge_compareILb0ELb1EhNS0_19identity_decomposerEEEEE10hipError_tT0_T1_T2_jT3_P12ihipStream_tbPNSt15iterator_traitsISE_E10value_typeEPNSK_ISF_E10value_typeEPSG_NS1_7vsmem_tEENKUlT_SE_SF_SG_E_clIS8_S8_S9_S9_EESD_ST_SE_SF_SG_EUlST_E1_NS1_11comp_targetILNS1_3genE0ELNS1_11target_archE4294967295ELNS1_3gpuE0ELNS1_3repE0EEENS1_36merge_oddeven_config_static_selectorELNS0_4arch9wavefront6targetE1EEEvSF_
    .private_segment_fixed_size: 0
    .sgpr_count:     4
    .sgpr_spill_count: 0
    .symbol:         _ZN7rocprim17ROCPRIM_400000_NS6detail17trampoline_kernelINS0_14default_configENS1_38merge_sort_block_merge_config_selectorIhNS0_10empty_typeEEEZZNS1_27merge_sort_block_merge_implIS3_PhPS5_jNS1_19radix_merge_compareILb0ELb1EhNS0_19identity_decomposerEEEEE10hipError_tT0_T1_T2_jT3_P12ihipStream_tbPNSt15iterator_traitsISE_E10value_typeEPNSK_ISF_E10value_typeEPSG_NS1_7vsmem_tEENKUlT_SE_SF_SG_E_clIS8_S8_S9_S9_EESD_ST_SE_SF_SG_EUlST_E1_NS1_11comp_targetILNS1_3genE0ELNS1_11target_archE4294967295ELNS1_3gpuE0ELNS1_3repE0EEENS1_36merge_oddeven_config_static_selectorELNS0_4arch9wavefront6targetE1EEEvSF_.kd
    .uniform_work_group_size: 1
    .uses_dynamic_stack: false
    .vgpr_count:     0
    .vgpr_spill_count: 0
    .wavefront_size: 64
  - .agpr_count:     0
    .args:
      - .offset:         0
        .size:           48
        .value_kind:     by_value
    .group_segment_fixed_size: 0
    .kernarg_segment_align: 8
    .kernarg_segment_size: 48
    .language:       OpenCL C
    .language_version:
      - 2
      - 0
    .max_flat_workgroup_size: 256
    .name:           _ZN7rocprim17ROCPRIM_400000_NS6detail17trampoline_kernelINS0_14default_configENS1_38merge_sort_block_merge_config_selectorIhNS0_10empty_typeEEEZZNS1_27merge_sort_block_merge_implIS3_PhPS5_jNS1_19radix_merge_compareILb0ELb1EhNS0_19identity_decomposerEEEEE10hipError_tT0_T1_T2_jT3_P12ihipStream_tbPNSt15iterator_traitsISE_E10value_typeEPNSK_ISF_E10value_typeEPSG_NS1_7vsmem_tEENKUlT_SE_SF_SG_E_clIS8_S8_S9_S9_EESD_ST_SE_SF_SG_EUlST_E1_NS1_11comp_targetILNS1_3genE10ELNS1_11target_archE1201ELNS1_3gpuE5ELNS1_3repE0EEENS1_36merge_oddeven_config_static_selectorELNS0_4arch9wavefront6targetE1EEEvSF_
    .private_segment_fixed_size: 0
    .sgpr_count:     4
    .sgpr_spill_count: 0
    .symbol:         _ZN7rocprim17ROCPRIM_400000_NS6detail17trampoline_kernelINS0_14default_configENS1_38merge_sort_block_merge_config_selectorIhNS0_10empty_typeEEEZZNS1_27merge_sort_block_merge_implIS3_PhPS5_jNS1_19radix_merge_compareILb0ELb1EhNS0_19identity_decomposerEEEEE10hipError_tT0_T1_T2_jT3_P12ihipStream_tbPNSt15iterator_traitsISE_E10value_typeEPNSK_ISF_E10value_typeEPSG_NS1_7vsmem_tEENKUlT_SE_SF_SG_E_clIS8_S8_S9_S9_EESD_ST_SE_SF_SG_EUlST_E1_NS1_11comp_targetILNS1_3genE10ELNS1_11target_archE1201ELNS1_3gpuE5ELNS1_3repE0EEENS1_36merge_oddeven_config_static_selectorELNS0_4arch9wavefront6targetE1EEEvSF_.kd
    .uniform_work_group_size: 1
    .uses_dynamic_stack: false
    .vgpr_count:     0
    .vgpr_spill_count: 0
    .wavefront_size: 64
  - .agpr_count:     0
    .args:
      - .offset:         0
        .size:           48
        .value_kind:     by_value
    .group_segment_fixed_size: 0
    .kernarg_segment_align: 8
    .kernarg_segment_size: 48
    .language:       OpenCL C
    .language_version:
      - 2
      - 0
    .max_flat_workgroup_size: 256
    .name:           _ZN7rocprim17ROCPRIM_400000_NS6detail17trampoline_kernelINS0_14default_configENS1_38merge_sort_block_merge_config_selectorIhNS0_10empty_typeEEEZZNS1_27merge_sort_block_merge_implIS3_PhPS5_jNS1_19radix_merge_compareILb0ELb1EhNS0_19identity_decomposerEEEEE10hipError_tT0_T1_T2_jT3_P12ihipStream_tbPNSt15iterator_traitsISE_E10value_typeEPNSK_ISF_E10value_typeEPSG_NS1_7vsmem_tEENKUlT_SE_SF_SG_E_clIS8_S8_S9_S9_EESD_ST_SE_SF_SG_EUlST_E1_NS1_11comp_targetILNS1_3genE5ELNS1_11target_archE942ELNS1_3gpuE9ELNS1_3repE0EEENS1_36merge_oddeven_config_static_selectorELNS0_4arch9wavefront6targetE1EEEvSF_
    .private_segment_fixed_size: 0
    .sgpr_count:     4
    .sgpr_spill_count: 0
    .symbol:         _ZN7rocprim17ROCPRIM_400000_NS6detail17trampoline_kernelINS0_14default_configENS1_38merge_sort_block_merge_config_selectorIhNS0_10empty_typeEEEZZNS1_27merge_sort_block_merge_implIS3_PhPS5_jNS1_19radix_merge_compareILb0ELb1EhNS0_19identity_decomposerEEEEE10hipError_tT0_T1_T2_jT3_P12ihipStream_tbPNSt15iterator_traitsISE_E10value_typeEPNSK_ISF_E10value_typeEPSG_NS1_7vsmem_tEENKUlT_SE_SF_SG_E_clIS8_S8_S9_S9_EESD_ST_SE_SF_SG_EUlST_E1_NS1_11comp_targetILNS1_3genE5ELNS1_11target_archE942ELNS1_3gpuE9ELNS1_3repE0EEENS1_36merge_oddeven_config_static_selectorELNS0_4arch9wavefront6targetE1EEEvSF_.kd
    .uniform_work_group_size: 1
    .uses_dynamic_stack: false
    .vgpr_count:     0
    .vgpr_spill_count: 0
    .wavefront_size: 64
  - .agpr_count:     0
    .args:
      - .offset:         0
        .size:           48
        .value_kind:     by_value
    .group_segment_fixed_size: 0
    .kernarg_segment_align: 8
    .kernarg_segment_size: 48
    .language:       OpenCL C
    .language_version:
      - 2
      - 0
    .max_flat_workgroup_size: 256
    .name:           _ZN7rocprim17ROCPRIM_400000_NS6detail17trampoline_kernelINS0_14default_configENS1_38merge_sort_block_merge_config_selectorIhNS0_10empty_typeEEEZZNS1_27merge_sort_block_merge_implIS3_PhPS5_jNS1_19radix_merge_compareILb0ELb1EhNS0_19identity_decomposerEEEEE10hipError_tT0_T1_T2_jT3_P12ihipStream_tbPNSt15iterator_traitsISE_E10value_typeEPNSK_ISF_E10value_typeEPSG_NS1_7vsmem_tEENKUlT_SE_SF_SG_E_clIS8_S8_S9_S9_EESD_ST_SE_SF_SG_EUlST_E1_NS1_11comp_targetILNS1_3genE4ELNS1_11target_archE910ELNS1_3gpuE8ELNS1_3repE0EEENS1_36merge_oddeven_config_static_selectorELNS0_4arch9wavefront6targetE1EEEvSF_
    .private_segment_fixed_size: 0
    .sgpr_count:     26
    .sgpr_spill_count: 0
    .symbol:         _ZN7rocprim17ROCPRIM_400000_NS6detail17trampoline_kernelINS0_14default_configENS1_38merge_sort_block_merge_config_selectorIhNS0_10empty_typeEEEZZNS1_27merge_sort_block_merge_implIS3_PhPS5_jNS1_19radix_merge_compareILb0ELb1EhNS0_19identity_decomposerEEEEE10hipError_tT0_T1_T2_jT3_P12ihipStream_tbPNSt15iterator_traitsISE_E10value_typeEPNSK_ISF_E10value_typeEPSG_NS1_7vsmem_tEENKUlT_SE_SF_SG_E_clIS8_S8_S9_S9_EESD_ST_SE_SF_SG_EUlST_E1_NS1_11comp_targetILNS1_3genE4ELNS1_11target_archE910ELNS1_3gpuE8ELNS1_3repE0EEENS1_36merge_oddeven_config_static_selectorELNS0_4arch9wavefront6targetE1EEEvSF_.kd
    .uniform_work_group_size: 1
    .uses_dynamic_stack: false
    .vgpr_count:     9
    .vgpr_spill_count: 0
    .wavefront_size: 64
  - .agpr_count:     0
    .args:
      - .offset:         0
        .size:           48
        .value_kind:     by_value
    .group_segment_fixed_size: 0
    .kernarg_segment_align: 8
    .kernarg_segment_size: 48
    .language:       OpenCL C
    .language_version:
      - 2
      - 0
    .max_flat_workgroup_size: 256
    .name:           _ZN7rocprim17ROCPRIM_400000_NS6detail17trampoline_kernelINS0_14default_configENS1_38merge_sort_block_merge_config_selectorIhNS0_10empty_typeEEEZZNS1_27merge_sort_block_merge_implIS3_PhPS5_jNS1_19radix_merge_compareILb0ELb1EhNS0_19identity_decomposerEEEEE10hipError_tT0_T1_T2_jT3_P12ihipStream_tbPNSt15iterator_traitsISE_E10value_typeEPNSK_ISF_E10value_typeEPSG_NS1_7vsmem_tEENKUlT_SE_SF_SG_E_clIS8_S8_S9_S9_EESD_ST_SE_SF_SG_EUlST_E1_NS1_11comp_targetILNS1_3genE3ELNS1_11target_archE908ELNS1_3gpuE7ELNS1_3repE0EEENS1_36merge_oddeven_config_static_selectorELNS0_4arch9wavefront6targetE1EEEvSF_
    .private_segment_fixed_size: 0
    .sgpr_count:     4
    .sgpr_spill_count: 0
    .symbol:         _ZN7rocprim17ROCPRIM_400000_NS6detail17trampoline_kernelINS0_14default_configENS1_38merge_sort_block_merge_config_selectorIhNS0_10empty_typeEEEZZNS1_27merge_sort_block_merge_implIS3_PhPS5_jNS1_19radix_merge_compareILb0ELb1EhNS0_19identity_decomposerEEEEE10hipError_tT0_T1_T2_jT3_P12ihipStream_tbPNSt15iterator_traitsISE_E10value_typeEPNSK_ISF_E10value_typeEPSG_NS1_7vsmem_tEENKUlT_SE_SF_SG_E_clIS8_S8_S9_S9_EESD_ST_SE_SF_SG_EUlST_E1_NS1_11comp_targetILNS1_3genE3ELNS1_11target_archE908ELNS1_3gpuE7ELNS1_3repE0EEENS1_36merge_oddeven_config_static_selectorELNS0_4arch9wavefront6targetE1EEEvSF_.kd
    .uniform_work_group_size: 1
    .uses_dynamic_stack: false
    .vgpr_count:     0
    .vgpr_spill_count: 0
    .wavefront_size: 64
  - .agpr_count:     0
    .args:
      - .offset:         0
        .size:           48
        .value_kind:     by_value
    .group_segment_fixed_size: 0
    .kernarg_segment_align: 8
    .kernarg_segment_size: 48
    .language:       OpenCL C
    .language_version:
      - 2
      - 0
    .max_flat_workgroup_size: 256
    .name:           _ZN7rocprim17ROCPRIM_400000_NS6detail17trampoline_kernelINS0_14default_configENS1_38merge_sort_block_merge_config_selectorIhNS0_10empty_typeEEEZZNS1_27merge_sort_block_merge_implIS3_PhPS5_jNS1_19radix_merge_compareILb0ELb1EhNS0_19identity_decomposerEEEEE10hipError_tT0_T1_T2_jT3_P12ihipStream_tbPNSt15iterator_traitsISE_E10value_typeEPNSK_ISF_E10value_typeEPSG_NS1_7vsmem_tEENKUlT_SE_SF_SG_E_clIS8_S8_S9_S9_EESD_ST_SE_SF_SG_EUlST_E1_NS1_11comp_targetILNS1_3genE2ELNS1_11target_archE906ELNS1_3gpuE6ELNS1_3repE0EEENS1_36merge_oddeven_config_static_selectorELNS0_4arch9wavefront6targetE1EEEvSF_
    .private_segment_fixed_size: 0
    .sgpr_count:     4
    .sgpr_spill_count: 0
    .symbol:         _ZN7rocprim17ROCPRIM_400000_NS6detail17trampoline_kernelINS0_14default_configENS1_38merge_sort_block_merge_config_selectorIhNS0_10empty_typeEEEZZNS1_27merge_sort_block_merge_implIS3_PhPS5_jNS1_19radix_merge_compareILb0ELb1EhNS0_19identity_decomposerEEEEE10hipError_tT0_T1_T2_jT3_P12ihipStream_tbPNSt15iterator_traitsISE_E10value_typeEPNSK_ISF_E10value_typeEPSG_NS1_7vsmem_tEENKUlT_SE_SF_SG_E_clIS8_S8_S9_S9_EESD_ST_SE_SF_SG_EUlST_E1_NS1_11comp_targetILNS1_3genE2ELNS1_11target_archE906ELNS1_3gpuE6ELNS1_3repE0EEENS1_36merge_oddeven_config_static_selectorELNS0_4arch9wavefront6targetE1EEEvSF_.kd
    .uniform_work_group_size: 1
    .uses_dynamic_stack: false
    .vgpr_count:     0
    .vgpr_spill_count: 0
    .wavefront_size: 64
  - .agpr_count:     0
    .args:
      - .offset:         0
        .size:           48
        .value_kind:     by_value
    .group_segment_fixed_size: 0
    .kernarg_segment_align: 8
    .kernarg_segment_size: 48
    .language:       OpenCL C
    .language_version:
      - 2
      - 0
    .max_flat_workgroup_size: 256
    .name:           _ZN7rocprim17ROCPRIM_400000_NS6detail17trampoline_kernelINS0_14default_configENS1_38merge_sort_block_merge_config_selectorIhNS0_10empty_typeEEEZZNS1_27merge_sort_block_merge_implIS3_PhPS5_jNS1_19radix_merge_compareILb0ELb1EhNS0_19identity_decomposerEEEEE10hipError_tT0_T1_T2_jT3_P12ihipStream_tbPNSt15iterator_traitsISE_E10value_typeEPNSK_ISF_E10value_typeEPSG_NS1_7vsmem_tEENKUlT_SE_SF_SG_E_clIS8_S8_S9_S9_EESD_ST_SE_SF_SG_EUlST_E1_NS1_11comp_targetILNS1_3genE9ELNS1_11target_archE1100ELNS1_3gpuE3ELNS1_3repE0EEENS1_36merge_oddeven_config_static_selectorELNS0_4arch9wavefront6targetE1EEEvSF_
    .private_segment_fixed_size: 0
    .sgpr_count:     4
    .sgpr_spill_count: 0
    .symbol:         _ZN7rocprim17ROCPRIM_400000_NS6detail17trampoline_kernelINS0_14default_configENS1_38merge_sort_block_merge_config_selectorIhNS0_10empty_typeEEEZZNS1_27merge_sort_block_merge_implIS3_PhPS5_jNS1_19radix_merge_compareILb0ELb1EhNS0_19identity_decomposerEEEEE10hipError_tT0_T1_T2_jT3_P12ihipStream_tbPNSt15iterator_traitsISE_E10value_typeEPNSK_ISF_E10value_typeEPSG_NS1_7vsmem_tEENKUlT_SE_SF_SG_E_clIS8_S8_S9_S9_EESD_ST_SE_SF_SG_EUlST_E1_NS1_11comp_targetILNS1_3genE9ELNS1_11target_archE1100ELNS1_3gpuE3ELNS1_3repE0EEENS1_36merge_oddeven_config_static_selectorELNS0_4arch9wavefront6targetE1EEEvSF_.kd
    .uniform_work_group_size: 1
    .uses_dynamic_stack: false
    .vgpr_count:     0
    .vgpr_spill_count: 0
    .wavefront_size: 64
  - .agpr_count:     0
    .args:
      - .offset:         0
        .size:           48
        .value_kind:     by_value
    .group_segment_fixed_size: 0
    .kernarg_segment_align: 8
    .kernarg_segment_size: 48
    .language:       OpenCL C
    .language_version:
      - 2
      - 0
    .max_flat_workgroup_size: 256
    .name:           _ZN7rocprim17ROCPRIM_400000_NS6detail17trampoline_kernelINS0_14default_configENS1_38merge_sort_block_merge_config_selectorIhNS0_10empty_typeEEEZZNS1_27merge_sort_block_merge_implIS3_PhPS5_jNS1_19radix_merge_compareILb0ELb1EhNS0_19identity_decomposerEEEEE10hipError_tT0_T1_T2_jT3_P12ihipStream_tbPNSt15iterator_traitsISE_E10value_typeEPNSK_ISF_E10value_typeEPSG_NS1_7vsmem_tEENKUlT_SE_SF_SG_E_clIS8_S8_S9_S9_EESD_ST_SE_SF_SG_EUlST_E1_NS1_11comp_targetILNS1_3genE8ELNS1_11target_archE1030ELNS1_3gpuE2ELNS1_3repE0EEENS1_36merge_oddeven_config_static_selectorELNS0_4arch9wavefront6targetE1EEEvSF_
    .private_segment_fixed_size: 0
    .sgpr_count:     4
    .sgpr_spill_count: 0
    .symbol:         _ZN7rocprim17ROCPRIM_400000_NS6detail17trampoline_kernelINS0_14default_configENS1_38merge_sort_block_merge_config_selectorIhNS0_10empty_typeEEEZZNS1_27merge_sort_block_merge_implIS3_PhPS5_jNS1_19radix_merge_compareILb0ELb1EhNS0_19identity_decomposerEEEEE10hipError_tT0_T1_T2_jT3_P12ihipStream_tbPNSt15iterator_traitsISE_E10value_typeEPNSK_ISF_E10value_typeEPSG_NS1_7vsmem_tEENKUlT_SE_SF_SG_E_clIS8_S8_S9_S9_EESD_ST_SE_SF_SG_EUlST_E1_NS1_11comp_targetILNS1_3genE8ELNS1_11target_archE1030ELNS1_3gpuE2ELNS1_3repE0EEENS1_36merge_oddeven_config_static_selectorELNS0_4arch9wavefront6targetE1EEEvSF_.kd
    .uniform_work_group_size: 1
    .uses_dynamic_stack: false
    .vgpr_count:     0
    .vgpr_spill_count: 0
    .wavefront_size: 64
  - .agpr_count:     0
    .args:
      - .offset:         0
        .size:           48
        .value_kind:     by_value
    .group_segment_fixed_size: 0
    .kernarg_segment_align: 8
    .kernarg_segment_size: 48
    .language:       OpenCL C
    .language_version:
      - 2
      - 0
    .max_flat_workgroup_size: 1024
    .name:           _ZN7rocprim17ROCPRIM_400000_NS6detail17trampoline_kernelINS0_14default_configENS1_35radix_sort_onesweep_config_selectorIhNS0_10empty_typeEEEZNS1_34radix_sort_onesweep_global_offsetsIS3_Lb0EPhPS5_mNS0_19identity_decomposerEEE10hipError_tT1_T2_PT3_SE_jT4_jjP12ihipStream_tbEUlT_E_NS1_11comp_targetILNS1_3genE0ELNS1_11target_archE4294967295ELNS1_3gpuE0ELNS1_3repE0EEENS1_52radix_sort_onesweep_histogram_config_static_selectorELNS0_4arch9wavefront6targetE1EEEvSC_
    .private_segment_fixed_size: 0
    .sgpr_count:     4
    .sgpr_spill_count: 0
    .symbol:         _ZN7rocprim17ROCPRIM_400000_NS6detail17trampoline_kernelINS0_14default_configENS1_35radix_sort_onesweep_config_selectorIhNS0_10empty_typeEEEZNS1_34radix_sort_onesweep_global_offsetsIS3_Lb0EPhPS5_mNS0_19identity_decomposerEEE10hipError_tT1_T2_PT3_SE_jT4_jjP12ihipStream_tbEUlT_E_NS1_11comp_targetILNS1_3genE0ELNS1_11target_archE4294967295ELNS1_3gpuE0ELNS1_3repE0EEENS1_52radix_sort_onesweep_histogram_config_static_selectorELNS0_4arch9wavefront6targetE1EEEvSC_.kd
    .uniform_work_group_size: 1
    .uses_dynamic_stack: false
    .vgpr_count:     0
    .vgpr_spill_count: 0
    .wavefront_size: 64
  - .agpr_count:     0
    .args:
      - .offset:         0
        .size:           48
        .value_kind:     by_value
    .group_segment_fixed_size: 0
    .kernarg_segment_align: 8
    .kernarg_segment_size: 48
    .language:       OpenCL C
    .language_version:
      - 2
      - 0
    .max_flat_workgroup_size: 1024
    .name:           _ZN7rocprim17ROCPRIM_400000_NS6detail17trampoline_kernelINS0_14default_configENS1_35radix_sort_onesweep_config_selectorIhNS0_10empty_typeEEEZNS1_34radix_sort_onesweep_global_offsetsIS3_Lb0EPhPS5_mNS0_19identity_decomposerEEE10hipError_tT1_T2_PT3_SE_jT4_jjP12ihipStream_tbEUlT_E_NS1_11comp_targetILNS1_3genE6ELNS1_11target_archE950ELNS1_3gpuE13ELNS1_3repE0EEENS1_52radix_sort_onesweep_histogram_config_static_selectorELNS0_4arch9wavefront6targetE1EEEvSC_
    .private_segment_fixed_size: 0
    .sgpr_count:     4
    .sgpr_spill_count: 0
    .symbol:         _ZN7rocprim17ROCPRIM_400000_NS6detail17trampoline_kernelINS0_14default_configENS1_35radix_sort_onesweep_config_selectorIhNS0_10empty_typeEEEZNS1_34radix_sort_onesweep_global_offsetsIS3_Lb0EPhPS5_mNS0_19identity_decomposerEEE10hipError_tT1_T2_PT3_SE_jT4_jjP12ihipStream_tbEUlT_E_NS1_11comp_targetILNS1_3genE6ELNS1_11target_archE950ELNS1_3gpuE13ELNS1_3repE0EEENS1_52radix_sort_onesweep_histogram_config_static_selectorELNS0_4arch9wavefront6targetE1EEEvSC_.kd
    .uniform_work_group_size: 1
    .uses_dynamic_stack: false
    .vgpr_count:     0
    .vgpr_spill_count: 0
    .wavefront_size: 64
  - .agpr_count:     0
    .args:
      - .offset:         0
        .size:           48
        .value_kind:     by_value
    .group_segment_fixed_size: 0
    .kernarg_segment_align: 8
    .kernarg_segment_size: 48
    .language:       OpenCL C
    .language_version:
      - 2
      - 0
    .max_flat_workgroup_size: 1024
    .name:           _ZN7rocprim17ROCPRIM_400000_NS6detail17trampoline_kernelINS0_14default_configENS1_35radix_sort_onesweep_config_selectorIhNS0_10empty_typeEEEZNS1_34radix_sort_onesweep_global_offsetsIS3_Lb0EPhPS5_mNS0_19identity_decomposerEEE10hipError_tT1_T2_PT3_SE_jT4_jjP12ihipStream_tbEUlT_E_NS1_11comp_targetILNS1_3genE5ELNS1_11target_archE942ELNS1_3gpuE9ELNS1_3repE0EEENS1_52radix_sort_onesweep_histogram_config_static_selectorELNS0_4arch9wavefront6targetE1EEEvSC_
    .private_segment_fixed_size: 0
    .sgpr_count:     4
    .sgpr_spill_count: 0
    .symbol:         _ZN7rocprim17ROCPRIM_400000_NS6detail17trampoline_kernelINS0_14default_configENS1_35radix_sort_onesweep_config_selectorIhNS0_10empty_typeEEEZNS1_34radix_sort_onesweep_global_offsetsIS3_Lb0EPhPS5_mNS0_19identity_decomposerEEE10hipError_tT1_T2_PT3_SE_jT4_jjP12ihipStream_tbEUlT_E_NS1_11comp_targetILNS1_3genE5ELNS1_11target_archE942ELNS1_3gpuE9ELNS1_3repE0EEENS1_52radix_sort_onesweep_histogram_config_static_selectorELNS0_4arch9wavefront6targetE1EEEvSC_.kd
    .uniform_work_group_size: 1
    .uses_dynamic_stack: false
    .vgpr_count:     0
    .vgpr_spill_count: 0
    .wavefront_size: 64
  - .agpr_count:     0
    .args:
      - .offset:         0
        .size:           48
        .value_kind:     by_value
    .group_segment_fixed_size: 0
    .kernarg_segment_align: 8
    .kernarg_segment_size: 48
    .language:       OpenCL C
    .language_version:
      - 2
      - 0
    .max_flat_workgroup_size: 512
    .name:           _ZN7rocprim17ROCPRIM_400000_NS6detail17trampoline_kernelINS0_14default_configENS1_35radix_sort_onesweep_config_selectorIhNS0_10empty_typeEEEZNS1_34radix_sort_onesweep_global_offsetsIS3_Lb0EPhPS5_mNS0_19identity_decomposerEEE10hipError_tT1_T2_PT3_SE_jT4_jjP12ihipStream_tbEUlT_E_NS1_11comp_targetILNS1_3genE2ELNS1_11target_archE906ELNS1_3gpuE6ELNS1_3repE0EEENS1_52radix_sort_onesweep_histogram_config_static_selectorELNS0_4arch9wavefront6targetE1EEEvSC_
    .private_segment_fixed_size: 0
    .sgpr_count:     4
    .sgpr_spill_count: 0
    .symbol:         _ZN7rocprim17ROCPRIM_400000_NS6detail17trampoline_kernelINS0_14default_configENS1_35radix_sort_onesweep_config_selectorIhNS0_10empty_typeEEEZNS1_34radix_sort_onesweep_global_offsetsIS3_Lb0EPhPS5_mNS0_19identity_decomposerEEE10hipError_tT1_T2_PT3_SE_jT4_jjP12ihipStream_tbEUlT_E_NS1_11comp_targetILNS1_3genE2ELNS1_11target_archE906ELNS1_3gpuE6ELNS1_3repE0EEENS1_52radix_sort_onesweep_histogram_config_static_selectorELNS0_4arch9wavefront6targetE1EEEvSC_.kd
    .uniform_work_group_size: 1
    .uses_dynamic_stack: false
    .vgpr_count:     0
    .vgpr_spill_count: 0
    .wavefront_size: 64
  - .agpr_count:     0
    .args:
      - .offset:         0
        .size:           48
        .value_kind:     by_value
    .group_segment_fixed_size: 512
    .kernarg_segment_align: 8
    .kernarg_segment_size: 48
    .language:       OpenCL C
    .language_version:
      - 2
      - 0
    .max_flat_workgroup_size: 512
    .name:           _ZN7rocprim17ROCPRIM_400000_NS6detail17trampoline_kernelINS0_14default_configENS1_35radix_sort_onesweep_config_selectorIhNS0_10empty_typeEEEZNS1_34radix_sort_onesweep_global_offsetsIS3_Lb0EPhPS5_mNS0_19identity_decomposerEEE10hipError_tT1_T2_PT3_SE_jT4_jjP12ihipStream_tbEUlT_E_NS1_11comp_targetILNS1_3genE4ELNS1_11target_archE910ELNS1_3gpuE8ELNS1_3repE0EEENS1_52radix_sort_onesweep_histogram_config_static_selectorELNS0_4arch9wavefront6targetE1EEEvSC_
    .private_segment_fixed_size: 0
    .sgpr_count:     22
    .sgpr_spill_count: 0
    .symbol:         _ZN7rocprim17ROCPRIM_400000_NS6detail17trampoline_kernelINS0_14default_configENS1_35radix_sort_onesweep_config_selectorIhNS0_10empty_typeEEEZNS1_34radix_sort_onesweep_global_offsetsIS3_Lb0EPhPS5_mNS0_19identity_decomposerEEE10hipError_tT1_T2_PT3_SE_jT4_jjP12ihipStream_tbEUlT_E_NS1_11comp_targetILNS1_3genE4ELNS1_11target_archE910ELNS1_3gpuE8ELNS1_3repE0EEENS1_52radix_sort_onesweep_histogram_config_static_selectorELNS0_4arch9wavefront6targetE1EEEvSC_.kd
    .uniform_work_group_size: 1
    .uses_dynamic_stack: false
    .vgpr_count:     47
    .vgpr_spill_count: 0
    .wavefront_size: 64
  - .agpr_count:     0
    .args:
      - .offset:         0
        .size:           48
        .value_kind:     by_value
    .group_segment_fixed_size: 0
    .kernarg_segment_align: 8
    .kernarg_segment_size: 48
    .language:       OpenCL C
    .language_version:
      - 2
      - 0
    .max_flat_workgroup_size: 1024
    .name:           _ZN7rocprim17ROCPRIM_400000_NS6detail17trampoline_kernelINS0_14default_configENS1_35radix_sort_onesweep_config_selectorIhNS0_10empty_typeEEEZNS1_34radix_sort_onesweep_global_offsetsIS3_Lb0EPhPS5_mNS0_19identity_decomposerEEE10hipError_tT1_T2_PT3_SE_jT4_jjP12ihipStream_tbEUlT_E_NS1_11comp_targetILNS1_3genE3ELNS1_11target_archE908ELNS1_3gpuE7ELNS1_3repE0EEENS1_52radix_sort_onesweep_histogram_config_static_selectorELNS0_4arch9wavefront6targetE1EEEvSC_
    .private_segment_fixed_size: 0
    .sgpr_count:     4
    .sgpr_spill_count: 0
    .symbol:         _ZN7rocprim17ROCPRIM_400000_NS6detail17trampoline_kernelINS0_14default_configENS1_35radix_sort_onesweep_config_selectorIhNS0_10empty_typeEEEZNS1_34radix_sort_onesweep_global_offsetsIS3_Lb0EPhPS5_mNS0_19identity_decomposerEEE10hipError_tT1_T2_PT3_SE_jT4_jjP12ihipStream_tbEUlT_E_NS1_11comp_targetILNS1_3genE3ELNS1_11target_archE908ELNS1_3gpuE7ELNS1_3repE0EEENS1_52radix_sort_onesweep_histogram_config_static_selectorELNS0_4arch9wavefront6targetE1EEEvSC_.kd
    .uniform_work_group_size: 1
    .uses_dynamic_stack: false
    .vgpr_count:     0
    .vgpr_spill_count: 0
    .wavefront_size: 64
  - .agpr_count:     0
    .args:
      - .offset:         0
        .size:           48
        .value_kind:     by_value
    .group_segment_fixed_size: 0
    .kernarg_segment_align: 8
    .kernarg_segment_size: 48
    .language:       OpenCL C
    .language_version:
      - 2
      - 0
    .max_flat_workgroup_size: 256
    .name:           _ZN7rocprim17ROCPRIM_400000_NS6detail17trampoline_kernelINS0_14default_configENS1_35radix_sort_onesweep_config_selectorIhNS0_10empty_typeEEEZNS1_34radix_sort_onesweep_global_offsetsIS3_Lb0EPhPS5_mNS0_19identity_decomposerEEE10hipError_tT1_T2_PT3_SE_jT4_jjP12ihipStream_tbEUlT_E_NS1_11comp_targetILNS1_3genE10ELNS1_11target_archE1201ELNS1_3gpuE5ELNS1_3repE0EEENS1_52radix_sort_onesweep_histogram_config_static_selectorELNS0_4arch9wavefront6targetE1EEEvSC_
    .private_segment_fixed_size: 0
    .sgpr_count:     4
    .sgpr_spill_count: 0
    .symbol:         _ZN7rocprim17ROCPRIM_400000_NS6detail17trampoline_kernelINS0_14default_configENS1_35radix_sort_onesweep_config_selectorIhNS0_10empty_typeEEEZNS1_34radix_sort_onesweep_global_offsetsIS3_Lb0EPhPS5_mNS0_19identity_decomposerEEE10hipError_tT1_T2_PT3_SE_jT4_jjP12ihipStream_tbEUlT_E_NS1_11comp_targetILNS1_3genE10ELNS1_11target_archE1201ELNS1_3gpuE5ELNS1_3repE0EEENS1_52radix_sort_onesweep_histogram_config_static_selectorELNS0_4arch9wavefront6targetE1EEEvSC_.kd
    .uniform_work_group_size: 1
    .uses_dynamic_stack: false
    .vgpr_count:     0
    .vgpr_spill_count: 0
    .wavefront_size: 64
  - .agpr_count:     0
    .args:
      - .offset:         0
        .size:           48
        .value_kind:     by_value
    .group_segment_fixed_size: 0
    .kernarg_segment_align: 8
    .kernarg_segment_size: 48
    .language:       OpenCL C
    .language_version:
      - 2
      - 0
    .max_flat_workgroup_size: 256
    .name:           _ZN7rocprim17ROCPRIM_400000_NS6detail17trampoline_kernelINS0_14default_configENS1_35radix_sort_onesweep_config_selectorIhNS0_10empty_typeEEEZNS1_34radix_sort_onesweep_global_offsetsIS3_Lb0EPhPS5_mNS0_19identity_decomposerEEE10hipError_tT1_T2_PT3_SE_jT4_jjP12ihipStream_tbEUlT_E_NS1_11comp_targetILNS1_3genE9ELNS1_11target_archE1100ELNS1_3gpuE3ELNS1_3repE0EEENS1_52radix_sort_onesweep_histogram_config_static_selectorELNS0_4arch9wavefront6targetE1EEEvSC_
    .private_segment_fixed_size: 0
    .sgpr_count:     4
    .sgpr_spill_count: 0
    .symbol:         _ZN7rocprim17ROCPRIM_400000_NS6detail17trampoline_kernelINS0_14default_configENS1_35radix_sort_onesweep_config_selectorIhNS0_10empty_typeEEEZNS1_34radix_sort_onesweep_global_offsetsIS3_Lb0EPhPS5_mNS0_19identity_decomposerEEE10hipError_tT1_T2_PT3_SE_jT4_jjP12ihipStream_tbEUlT_E_NS1_11comp_targetILNS1_3genE9ELNS1_11target_archE1100ELNS1_3gpuE3ELNS1_3repE0EEENS1_52radix_sort_onesweep_histogram_config_static_selectorELNS0_4arch9wavefront6targetE1EEEvSC_.kd
    .uniform_work_group_size: 1
    .uses_dynamic_stack: false
    .vgpr_count:     0
    .vgpr_spill_count: 0
    .wavefront_size: 64
  - .agpr_count:     0
    .args:
      - .offset:         0
        .size:           48
        .value_kind:     by_value
    .group_segment_fixed_size: 0
    .kernarg_segment_align: 8
    .kernarg_segment_size: 48
    .language:       OpenCL C
    .language_version:
      - 2
      - 0
    .max_flat_workgroup_size: 256
    .name:           _ZN7rocprim17ROCPRIM_400000_NS6detail17trampoline_kernelINS0_14default_configENS1_35radix_sort_onesweep_config_selectorIhNS0_10empty_typeEEEZNS1_34radix_sort_onesweep_global_offsetsIS3_Lb0EPhPS5_mNS0_19identity_decomposerEEE10hipError_tT1_T2_PT3_SE_jT4_jjP12ihipStream_tbEUlT_E_NS1_11comp_targetILNS1_3genE8ELNS1_11target_archE1030ELNS1_3gpuE2ELNS1_3repE0EEENS1_52radix_sort_onesweep_histogram_config_static_selectorELNS0_4arch9wavefront6targetE1EEEvSC_
    .private_segment_fixed_size: 0
    .sgpr_count:     4
    .sgpr_spill_count: 0
    .symbol:         _ZN7rocprim17ROCPRIM_400000_NS6detail17trampoline_kernelINS0_14default_configENS1_35radix_sort_onesweep_config_selectorIhNS0_10empty_typeEEEZNS1_34radix_sort_onesweep_global_offsetsIS3_Lb0EPhPS5_mNS0_19identity_decomposerEEE10hipError_tT1_T2_PT3_SE_jT4_jjP12ihipStream_tbEUlT_E_NS1_11comp_targetILNS1_3genE8ELNS1_11target_archE1030ELNS1_3gpuE2ELNS1_3repE0EEENS1_52radix_sort_onesweep_histogram_config_static_selectorELNS0_4arch9wavefront6targetE1EEEvSC_.kd
    .uniform_work_group_size: 1
    .uses_dynamic_stack: false
    .vgpr_count:     0
    .vgpr_spill_count: 0
    .wavefront_size: 64
  - .agpr_count:     0
    .args:
      - .address_space:  global
        .offset:         0
        .size:           8
        .value_kind:     global_buffer
    .group_segment_fixed_size: 0
    .kernarg_segment_align: 8
    .kernarg_segment_size: 8
    .language:       OpenCL C
    .language_version:
      - 2
      - 0
    .max_flat_workgroup_size: 1024
    .name:           _ZN7rocprim17ROCPRIM_400000_NS6detail17trampoline_kernelINS0_14default_configENS1_35radix_sort_onesweep_config_selectorIhNS0_10empty_typeEEEZNS1_34radix_sort_onesweep_global_offsetsIS3_Lb0EPhPS5_mNS0_19identity_decomposerEEE10hipError_tT1_T2_PT3_SE_jT4_jjP12ihipStream_tbEUlT_E0_NS1_11comp_targetILNS1_3genE0ELNS1_11target_archE4294967295ELNS1_3gpuE0ELNS1_3repE0EEENS1_52radix_sort_onesweep_histogram_config_static_selectorELNS0_4arch9wavefront6targetE1EEEvSC_
    .private_segment_fixed_size: 0
    .sgpr_count:     4
    .sgpr_spill_count: 0
    .symbol:         _ZN7rocprim17ROCPRIM_400000_NS6detail17trampoline_kernelINS0_14default_configENS1_35radix_sort_onesweep_config_selectorIhNS0_10empty_typeEEEZNS1_34radix_sort_onesweep_global_offsetsIS3_Lb0EPhPS5_mNS0_19identity_decomposerEEE10hipError_tT1_T2_PT3_SE_jT4_jjP12ihipStream_tbEUlT_E0_NS1_11comp_targetILNS1_3genE0ELNS1_11target_archE4294967295ELNS1_3gpuE0ELNS1_3repE0EEENS1_52radix_sort_onesweep_histogram_config_static_selectorELNS0_4arch9wavefront6targetE1EEEvSC_.kd
    .uniform_work_group_size: 1
    .uses_dynamic_stack: false
    .vgpr_count:     0
    .vgpr_spill_count: 0
    .wavefront_size: 64
  - .agpr_count:     0
    .args:
      - .address_space:  global
        .offset:         0
        .size:           8
        .value_kind:     global_buffer
    .group_segment_fixed_size: 0
    .kernarg_segment_align: 8
    .kernarg_segment_size: 8
    .language:       OpenCL C
    .language_version:
      - 2
      - 0
    .max_flat_workgroup_size: 1024
    .name:           _ZN7rocprim17ROCPRIM_400000_NS6detail17trampoline_kernelINS0_14default_configENS1_35radix_sort_onesweep_config_selectorIhNS0_10empty_typeEEEZNS1_34radix_sort_onesweep_global_offsetsIS3_Lb0EPhPS5_mNS0_19identity_decomposerEEE10hipError_tT1_T2_PT3_SE_jT4_jjP12ihipStream_tbEUlT_E0_NS1_11comp_targetILNS1_3genE6ELNS1_11target_archE950ELNS1_3gpuE13ELNS1_3repE0EEENS1_52radix_sort_onesweep_histogram_config_static_selectorELNS0_4arch9wavefront6targetE1EEEvSC_
    .private_segment_fixed_size: 0
    .sgpr_count:     4
    .sgpr_spill_count: 0
    .symbol:         _ZN7rocprim17ROCPRIM_400000_NS6detail17trampoline_kernelINS0_14default_configENS1_35radix_sort_onesweep_config_selectorIhNS0_10empty_typeEEEZNS1_34radix_sort_onesweep_global_offsetsIS3_Lb0EPhPS5_mNS0_19identity_decomposerEEE10hipError_tT1_T2_PT3_SE_jT4_jjP12ihipStream_tbEUlT_E0_NS1_11comp_targetILNS1_3genE6ELNS1_11target_archE950ELNS1_3gpuE13ELNS1_3repE0EEENS1_52radix_sort_onesweep_histogram_config_static_selectorELNS0_4arch9wavefront6targetE1EEEvSC_.kd
    .uniform_work_group_size: 1
    .uses_dynamic_stack: false
    .vgpr_count:     0
    .vgpr_spill_count: 0
    .wavefront_size: 64
  - .agpr_count:     0
    .args:
      - .address_space:  global
        .offset:         0
        .size:           8
        .value_kind:     global_buffer
    .group_segment_fixed_size: 0
    .kernarg_segment_align: 8
    .kernarg_segment_size: 8
    .language:       OpenCL C
    .language_version:
      - 2
      - 0
    .max_flat_workgroup_size: 1024
    .name:           _ZN7rocprim17ROCPRIM_400000_NS6detail17trampoline_kernelINS0_14default_configENS1_35radix_sort_onesweep_config_selectorIhNS0_10empty_typeEEEZNS1_34radix_sort_onesweep_global_offsetsIS3_Lb0EPhPS5_mNS0_19identity_decomposerEEE10hipError_tT1_T2_PT3_SE_jT4_jjP12ihipStream_tbEUlT_E0_NS1_11comp_targetILNS1_3genE5ELNS1_11target_archE942ELNS1_3gpuE9ELNS1_3repE0EEENS1_52radix_sort_onesweep_histogram_config_static_selectorELNS0_4arch9wavefront6targetE1EEEvSC_
    .private_segment_fixed_size: 0
    .sgpr_count:     4
    .sgpr_spill_count: 0
    .symbol:         _ZN7rocprim17ROCPRIM_400000_NS6detail17trampoline_kernelINS0_14default_configENS1_35radix_sort_onesweep_config_selectorIhNS0_10empty_typeEEEZNS1_34radix_sort_onesweep_global_offsetsIS3_Lb0EPhPS5_mNS0_19identity_decomposerEEE10hipError_tT1_T2_PT3_SE_jT4_jjP12ihipStream_tbEUlT_E0_NS1_11comp_targetILNS1_3genE5ELNS1_11target_archE942ELNS1_3gpuE9ELNS1_3repE0EEENS1_52radix_sort_onesweep_histogram_config_static_selectorELNS0_4arch9wavefront6targetE1EEEvSC_.kd
    .uniform_work_group_size: 1
    .uses_dynamic_stack: false
    .vgpr_count:     0
    .vgpr_spill_count: 0
    .wavefront_size: 64
  - .agpr_count:     0
    .args:
      - .address_space:  global
        .offset:         0
        .size:           8
        .value_kind:     global_buffer
    .group_segment_fixed_size: 0
    .kernarg_segment_align: 8
    .kernarg_segment_size: 8
    .language:       OpenCL C
    .language_version:
      - 2
      - 0
    .max_flat_workgroup_size: 512
    .name:           _ZN7rocprim17ROCPRIM_400000_NS6detail17trampoline_kernelINS0_14default_configENS1_35radix_sort_onesweep_config_selectorIhNS0_10empty_typeEEEZNS1_34radix_sort_onesweep_global_offsetsIS3_Lb0EPhPS5_mNS0_19identity_decomposerEEE10hipError_tT1_T2_PT3_SE_jT4_jjP12ihipStream_tbEUlT_E0_NS1_11comp_targetILNS1_3genE2ELNS1_11target_archE906ELNS1_3gpuE6ELNS1_3repE0EEENS1_52radix_sort_onesweep_histogram_config_static_selectorELNS0_4arch9wavefront6targetE1EEEvSC_
    .private_segment_fixed_size: 0
    .sgpr_count:     4
    .sgpr_spill_count: 0
    .symbol:         _ZN7rocprim17ROCPRIM_400000_NS6detail17trampoline_kernelINS0_14default_configENS1_35radix_sort_onesweep_config_selectorIhNS0_10empty_typeEEEZNS1_34radix_sort_onesweep_global_offsetsIS3_Lb0EPhPS5_mNS0_19identity_decomposerEEE10hipError_tT1_T2_PT3_SE_jT4_jjP12ihipStream_tbEUlT_E0_NS1_11comp_targetILNS1_3genE2ELNS1_11target_archE906ELNS1_3gpuE6ELNS1_3repE0EEENS1_52radix_sort_onesweep_histogram_config_static_selectorELNS0_4arch9wavefront6targetE1EEEvSC_.kd
    .uniform_work_group_size: 1
    .uses_dynamic_stack: false
    .vgpr_count:     0
    .vgpr_spill_count: 0
    .wavefront_size: 64
  - .agpr_count:     0
    .args:
      - .address_space:  global
        .offset:         0
        .size:           8
        .value_kind:     global_buffer
    .group_segment_fixed_size: 64
    .kernarg_segment_align: 8
    .kernarg_segment_size: 8
    .language:       OpenCL C
    .language_version:
      - 2
      - 0
    .max_flat_workgroup_size: 512
    .name:           _ZN7rocprim17ROCPRIM_400000_NS6detail17trampoline_kernelINS0_14default_configENS1_35radix_sort_onesweep_config_selectorIhNS0_10empty_typeEEEZNS1_34radix_sort_onesweep_global_offsetsIS3_Lb0EPhPS5_mNS0_19identity_decomposerEEE10hipError_tT1_T2_PT3_SE_jT4_jjP12ihipStream_tbEUlT_E0_NS1_11comp_targetILNS1_3genE4ELNS1_11target_archE910ELNS1_3gpuE8ELNS1_3repE0EEENS1_52radix_sort_onesweep_histogram_config_static_selectorELNS0_4arch9wavefront6targetE1EEEvSC_
    .private_segment_fixed_size: 0
    .sgpr_count:     16
    .sgpr_spill_count: 0
    .symbol:         _ZN7rocprim17ROCPRIM_400000_NS6detail17trampoline_kernelINS0_14default_configENS1_35radix_sort_onesweep_config_selectorIhNS0_10empty_typeEEEZNS1_34radix_sort_onesweep_global_offsetsIS3_Lb0EPhPS5_mNS0_19identity_decomposerEEE10hipError_tT1_T2_PT3_SE_jT4_jjP12ihipStream_tbEUlT_E0_NS1_11comp_targetILNS1_3genE4ELNS1_11target_archE910ELNS1_3gpuE8ELNS1_3repE0EEENS1_52radix_sort_onesweep_histogram_config_static_selectorELNS0_4arch9wavefront6targetE1EEEvSC_.kd
    .uniform_work_group_size: 1
    .uses_dynamic_stack: false
    .vgpr_count:     16
    .vgpr_spill_count: 0
    .wavefront_size: 64
  - .agpr_count:     0
    .args:
      - .address_space:  global
        .offset:         0
        .size:           8
        .value_kind:     global_buffer
    .group_segment_fixed_size: 0
    .kernarg_segment_align: 8
    .kernarg_segment_size: 8
    .language:       OpenCL C
    .language_version:
      - 2
      - 0
    .max_flat_workgroup_size: 1024
    .name:           _ZN7rocprim17ROCPRIM_400000_NS6detail17trampoline_kernelINS0_14default_configENS1_35radix_sort_onesweep_config_selectorIhNS0_10empty_typeEEEZNS1_34radix_sort_onesweep_global_offsetsIS3_Lb0EPhPS5_mNS0_19identity_decomposerEEE10hipError_tT1_T2_PT3_SE_jT4_jjP12ihipStream_tbEUlT_E0_NS1_11comp_targetILNS1_3genE3ELNS1_11target_archE908ELNS1_3gpuE7ELNS1_3repE0EEENS1_52radix_sort_onesweep_histogram_config_static_selectorELNS0_4arch9wavefront6targetE1EEEvSC_
    .private_segment_fixed_size: 0
    .sgpr_count:     4
    .sgpr_spill_count: 0
    .symbol:         _ZN7rocprim17ROCPRIM_400000_NS6detail17trampoline_kernelINS0_14default_configENS1_35radix_sort_onesweep_config_selectorIhNS0_10empty_typeEEEZNS1_34radix_sort_onesweep_global_offsetsIS3_Lb0EPhPS5_mNS0_19identity_decomposerEEE10hipError_tT1_T2_PT3_SE_jT4_jjP12ihipStream_tbEUlT_E0_NS1_11comp_targetILNS1_3genE3ELNS1_11target_archE908ELNS1_3gpuE7ELNS1_3repE0EEENS1_52radix_sort_onesweep_histogram_config_static_selectorELNS0_4arch9wavefront6targetE1EEEvSC_.kd
    .uniform_work_group_size: 1
    .uses_dynamic_stack: false
    .vgpr_count:     0
    .vgpr_spill_count: 0
    .wavefront_size: 64
  - .agpr_count:     0
    .args:
      - .address_space:  global
        .offset:         0
        .size:           8
        .value_kind:     global_buffer
    .group_segment_fixed_size: 0
    .kernarg_segment_align: 8
    .kernarg_segment_size: 8
    .language:       OpenCL C
    .language_version:
      - 2
      - 0
    .max_flat_workgroup_size: 256
    .name:           _ZN7rocprim17ROCPRIM_400000_NS6detail17trampoline_kernelINS0_14default_configENS1_35radix_sort_onesweep_config_selectorIhNS0_10empty_typeEEEZNS1_34radix_sort_onesweep_global_offsetsIS3_Lb0EPhPS5_mNS0_19identity_decomposerEEE10hipError_tT1_T2_PT3_SE_jT4_jjP12ihipStream_tbEUlT_E0_NS1_11comp_targetILNS1_3genE10ELNS1_11target_archE1201ELNS1_3gpuE5ELNS1_3repE0EEENS1_52radix_sort_onesweep_histogram_config_static_selectorELNS0_4arch9wavefront6targetE1EEEvSC_
    .private_segment_fixed_size: 0
    .sgpr_count:     4
    .sgpr_spill_count: 0
    .symbol:         _ZN7rocprim17ROCPRIM_400000_NS6detail17trampoline_kernelINS0_14default_configENS1_35radix_sort_onesweep_config_selectorIhNS0_10empty_typeEEEZNS1_34radix_sort_onesweep_global_offsetsIS3_Lb0EPhPS5_mNS0_19identity_decomposerEEE10hipError_tT1_T2_PT3_SE_jT4_jjP12ihipStream_tbEUlT_E0_NS1_11comp_targetILNS1_3genE10ELNS1_11target_archE1201ELNS1_3gpuE5ELNS1_3repE0EEENS1_52radix_sort_onesweep_histogram_config_static_selectorELNS0_4arch9wavefront6targetE1EEEvSC_.kd
    .uniform_work_group_size: 1
    .uses_dynamic_stack: false
    .vgpr_count:     0
    .vgpr_spill_count: 0
    .wavefront_size: 64
  - .agpr_count:     0
    .args:
      - .address_space:  global
        .offset:         0
        .size:           8
        .value_kind:     global_buffer
    .group_segment_fixed_size: 0
    .kernarg_segment_align: 8
    .kernarg_segment_size: 8
    .language:       OpenCL C
    .language_version:
      - 2
      - 0
    .max_flat_workgroup_size: 256
    .name:           _ZN7rocprim17ROCPRIM_400000_NS6detail17trampoline_kernelINS0_14default_configENS1_35radix_sort_onesweep_config_selectorIhNS0_10empty_typeEEEZNS1_34radix_sort_onesweep_global_offsetsIS3_Lb0EPhPS5_mNS0_19identity_decomposerEEE10hipError_tT1_T2_PT3_SE_jT4_jjP12ihipStream_tbEUlT_E0_NS1_11comp_targetILNS1_3genE9ELNS1_11target_archE1100ELNS1_3gpuE3ELNS1_3repE0EEENS1_52radix_sort_onesweep_histogram_config_static_selectorELNS0_4arch9wavefront6targetE1EEEvSC_
    .private_segment_fixed_size: 0
    .sgpr_count:     4
    .sgpr_spill_count: 0
    .symbol:         _ZN7rocprim17ROCPRIM_400000_NS6detail17trampoline_kernelINS0_14default_configENS1_35radix_sort_onesweep_config_selectorIhNS0_10empty_typeEEEZNS1_34radix_sort_onesweep_global_offsetsIS3_Lb0EPhPS5_mNS0_19identity_decomposerEEE10hipError_tT1_T2_PT3_SE_jT4_jjP12ihipStream_tbEUlT_E0_NS1_11comp_targetILNS1_3genE9ELNS1_11target_archE1100ELNS1_3gpuE3ELNS1_3repE0EEENS1_52radix_sort_onesweep_histogram_config_static_selectorELNS0_4arch9wavefront6targetE1EEEvSC_.kd
    .uniform_work_group_size: 1
    .uses_dynamic_stack: false
    .vgpr_count:     0
    .vgpr_spill_count: 0
    .wavefront_size: 64
  - .agpr_count:     0
    .args:
      - .address_space:  global
        .offset:         0
        .size:           8
        .value_kind:     global_buffer
    .group_segment_fixed_size: 0
    .kernarg_segment_align: 8
    .kernarg_segment_size: 8
    .language:       OpenCL C
    .language_version:
      - 2
      - 0
    .max_flat_workgroup_size: 256
    .name:           _ZN7rocprim17ROCPRIM_400000_NS6detail17trampoline_kernelINS0_14default_configENS1_35radix_sort_onesweep_config_selectorIhNS0_10empty_typeEEEZNS1_34radix_sort_onesweep_global_offsetsIS3_Lb0EPhPS5_mNS0_19identity_decomposerEEE10hipError_tT1_T2_PT3_SE_jT4_jjP12ihipStream_tbEUlT_E0_NS1_11comp_targetILNS1_3genE8ELNS1_11target_archE1030ELNS1_3gpuE2ELNS1_3repE0EEENS1_52radix_sort_onesweep_histogram_config_static_selectorELNS0_4arch9wavefront6targetE1EEEvSC_
    .private_segment_fixed_size: 0
    .sgpr_count:     4
    .sgpr_spill_count: 0
    .symbol:         _ZN7rocprim17ROCPRIM_400000_NS6detail17trampoline_kernelINS0_14default_configENS1_35radix_sort_onesweep_config_selectorIhNS0_10empty_typeEEEZNS1_34radix_sort_onesweep_global_offsetsIS3_Lb0EPhPS5_mNS0_19identity_decomposerEEE10hipError_tT1_T2_PT3_SE_jT4_jjP12ihipStream_tbEUlT_E0_NS1_11comp_targetILNS1_3genE8ELNS1_11target_archE1030ELNS1_3gpuE2ELNS1_3repE0EEENS1_52radix_sort_onesweep_histogram_config_static_selectorELNS0_4arch9wavefront6targetE1EEEvSC_.kd
    .uniform_work_group_size: 1
    .uses_dynamic_stack: false
    .vgpr_count:     0
    .vgpr_spill_count: 0
    .wavefront_size: 64
  - .agpr_count:     0
    .args:
      - .offset:         0
        .size:           88
        .value_kind:     by_value
    .group_segment_fixed_size: 0
    .kernarg_segment_align: 8
    .kernarg_segment_size: 88
    .language:       OpenCL C
    .language_version:
      - 2
      - 0
    .max_flat_workgroup_size: 1024
    .name:           _ZN7rocprim17ROCPRIM_400000_NS6detail17trampoline_kernelINS0_14default_configENS1_35radix_sort_onesweep_config_selectorIhNS0_10empty_typeEEEZZNS1_29radix_sort_onesweep_iterationIS3_Lb0EPhS8_PS5_S9_mNS0_19identity_decomposerENS1_16block_id_wrapperIjLb1EEEEE10hipError_tT1_PNSt15iterator_traitsISE_E10value_typeET2_T3_PNSF_ISK_E10value_typeET4_T5_PSP_SQ_PNS1_23onesweep_lookback_stateEbbT6_jjT7_P12ihipStream_tbENKUlT_T0_SE_SJ_E_clIS8_S8_S9_S9_EEDaSX_SY_SE_SJ_EUlSX_E_NS1_11comp_targetILNS1_3genE0ELNS1_11target_archE4294967295ELNS1_3gpuE0ELNS1_3repE0EEENS1_47radix_sort_onesweep_sort_config_static_selectorELNS0_4arch9wavefront6targetE1EEEvSE_
    .private_segment_fixed_size: 0
    .sgpr_count:     4
    .sgpr_spill_count: 0
    .symbol:         _ZN7rocprim17ROCPRIM_400000_NS6detail17trampoline_kernelINS0_14default_configENS1_35radix_sort_onesweep_config_selectorIhNS0_10empty_typeEEEZZNS1_29radix_sort_onesweep_iterationIS3_Lb0EPhS8_PS5_S9_mNS0_19identity_decomposerENS1_16block_id_wrapperIjLb1EEEEE10hipError_tT1_PNSt15iterator_traitsISE_E10value_typeET2_T3_PNSF_ISK_E10value_typeET4_T5_PSP_SQ_PNS1_23onesweep_lookback_stateEbbT6_jjT7_P12ihipStream_tbENKUlT_T0_SE_SJ_E_clIS8_S8_S9_S9_EEDaSX_SY_SE_SJ_EUlSX_E_NS1_11comp_targetILNS1_3genE0ELNS1_11target_archE4294967295ELNS1_3gpuE0ELNS1_3repE0EEENS1_47radix_sort_onesweep_sort_config_static_selectorELNS0_4arch9wavefront6targetE1EEEvSE_.kd
    .uniform_work_group_size: 1
    .uses_dynamic_stack: false
    .vgpr_count:     0
    .vgpr_spill_count: 0
    .wavefront_size: 64
  - .agpr_count:     0
    .args:
      - .offset:         0
        .size:           88
        .value_kind:     by_value
    .group_segment_fixed_size: 0
    .kernarg_segment_align: 8
    .kernarg_segment_size: 88
    .language:       OpenCL C
    .language_version:
      - 2
      - 0
    .max_flat_workgroup_size: 1024
    .name:           _ZN7rocprim17ROCPRIM_400000_NS6detail17trampoline_kernelINS0_14default_configENS1_35radix_sort_onesweep_config_selectorIhNS0_10empty_typeEEEZZNS1_29radix_sort_onesweep_iterationIS3_Lb0EPhS8_PS5_S9_mNS0_19identity_decomposerENS1_16block_id_wrapperIjLb1EEEEE10hipError_tT1_PNSt15iterator_traitsISE_E10value_typeET2_T3_PNSF_ISK_E10value_typeET4_T5_PSP_SQ_PNS1_23onesweep_lookback_stateEbbT6_jjT7_P12ihipStream_tbENKUlT_T0_SE_SJ_E_clIS8_S8_S9_S9_EEDaSX_SY_SE_SJ_EUlSX_E_NS1_11comp_targetILNS1_3genE6ELNS1_11target_archE950ELNS1_3gpuE13ELNS1_3repE0EEENS1_47radix_sort_onesweep_sort_config_static_selectorELNS0_4arch9wavefront6targetE1EEEvSE_
    .private_segment_fixed_size: 0
    .sgpr_count:     4
    .sgpr_spill_count: 0
    .symbol:         _ZN7rocprim17ROCPRIM_400000_NS6detail17trampoline_kernelINS0_14default_configENS1_35radix_sort_onesweep_config_selectorIhNS0_10empty_typeEEEZZNS1_29radix_sort_onesweep_iterationIS3_Lb0EPhS8_PS5_S9_mNS0_19identity_decomposerENS1_16block_id_wrapperIjLb1EEEEE10hipError_tT1_PNSt15iterator_traitsISE_E10value_typeET2_T3_PNSF_ISK_E10value_typeET4_T5_PSP_SQ_PNS1_23onesweep_lookback_stateEbbT6_jjT7_P12ihipStream_tbENKUlT_T0_SE_SJ_E_clIS8_S8_S9_S9_EEDaSX_SY_SE_SJ_EUlSX_E_NS1_11comp_targetILNS1_3genE6ELNS1_11target_archE950ELNS1_3gpuE13ELNS1_3repE0EEENS1_47radix_sort_onesweep_sort_config_static_selectorELNS0_4arch9wavefront6targetE1EEEvSE_.kd
    .uniform_work_group_size: 1
    .uses_dynamic_stack: false
    .vgpr_count:     0
    .vgpr_spill_count: 0
    .wavefront_size: 64
  - .agpr_count:     0
    .args:
      - .offset:         0
        .size:           88
        .value_kind:     by_value
    .group_segment_fixed_size: 0
    .kernarg_segment_align: 8
    .kernarg_segment_size: 88
    .language:       OpenCL C
    .language_version:
      - 2
      - 0
    .max_flat_workgroup_size: 1024
    .name:           _ZN7rocprim17ROCPRIM_400000_NS6detail17trampoline_kernelINS0_14default_configENS1_35radix_sort_onesweep_config_selectorIhNS0_10empty_typeEEEZZNS1_29radix_sort_onesweep_iterationIS3_Lb0EPhS8_PS5_S9_mNS0_19identity_decomposerENS1_16block_id_wrapperIjLb1EEEEE10hipError_tT1_PNSt15iterator_traitsISE_E10value_typeET2_T3_PNSF_ISK_E10value_typeET4_T5_PSP_SQ_PNS1_23onesweep_lookback_stateEbbT6_jjT7_P12ihipStream_tbENKUlT_T0_SE_SJ_E_clIS8_S8_S9_S9_EEDaSX_SY_SE_SJ_EUlSX_E_NS1_11comp_targetILNS1_3genE5ELNS1_11target_archE942ELNS1_3gpuE9ELNS1_3repE0EEENS1_47radix_sort_onesweep_sort_config_static_selectorELNS0_4arch9wavefront6targetE1EEEvSE_
    .private_segment_fixed_size: 0
    .sgpr_count:     4
    .sgpr_spill_count: 0
    .symbol:         _ZN7rocprim17ROCPRIM_400000_NS6detail17trampoline_kernelINS0_14default_configENS1_35radix_sort_onesweep_config_selectorIhNS0_10empty_typeEEEZZNS1_29radix_sort_onesweep_iterationIS3_Lb0EPhS8_PS5_S9_mNS0_19identity_decomposerENS1_16block_id_wrapperIjLb1EEEEE10hipError_tT1_PNSt15iterator_traitsISE_E10value_typeET2_T3_PNSF_ISK_E10value_typeET4_T5_PSP_SQ_PNS1_23onesweep_lookback_stateEbbT6_jjT7_P12ihipStream_tbENKUlT_T0_SE_SJ_E_clIS8_S8_S9_S9_EEDaSX_SY_SE_SJ_EUlSX_E_NS1_11comp_targetILNS1_3genE5ELNS1_11target_archE942ELNS1_3gpuE9ELNS1_3repE0EEENS1_47radix_sort_onesweep_sort_config_static_selectorELNS0_4arch9wavefront6targetE1EEEvSE_.kd
    .uniform_work_group_size: 1
    .uses_dynamic_stack: false
    .vgpr_count:     0
    .vgpr_spill_count: 0
    .wavefront_size: 64
  - .agpr_count:     0
    .args:
      - .offset:         0
        .size:           88
        .value_kind:     by_value
    .group_segment_fixed_size: 0
    .kernarg_segment_align: 8
    .kernarg_segment_size: 88
    .language:       OpenCL C
    .language_version:
      - 2
      - 0
    .max_flat_workgroup_size: 512
    .name:           _ZN7rocprim17ROCPRIM_400000_NS6detail17trampoline_kernelINS0_14default_configENS1_35radix_sort_onesweep_config_selectorIhNS0_10empty_typeEEEZZNS1_29radix_sort_onesweep_iterationIS3_Lb0EPhS8_PS5_S9_mNS0_19identity_decomposerENS1_16block_id_wrapperIjLb1EEEEE10hipError_tT1_PNSt15iterator_traitsISE_E10value_typeET2_T3_PNSF_ISK_E10value_typeET4_T5_PSP_SQ_PNS1_23onesweep_lookback_stateEbbT6_jjT7_P12ihipStream_tbENKUlT_T0_SE_SJ_E_clIS8_S8_S9_S9_EEDaSX_SY_SE_SJ_EUlSX_E_NS1_11comp_targetILNS1_3genE2ELNS1_11target_archE906ELNS1_3gpuE6ELNS1_3repE0EEENS1_47radix_sort_onesweep_sort_config_static_selectorELNS0_4arch9wavefront6targetE1EEEvSE_
    .private_segment_fixed_size: 0
    .sgpr_count:     4
    .sgpr_spill_count: 0
    .symbol:         _ZN7rocprim17ROCPRIM_400000_NS6detail17trampoline_kernelINS0_14default_configENS1_35radix_sort_onesweep_config_selectorIhNS0_10empty_typeEEEZZNS1_29radix_sort_onesweep_iterationIS3_Lb0EPhS8_PS5_S9_mNS0_19identity_decomposerENS1_16block_id_wrapperIjLb1EEEEE10hipError_tT1_PNSt15iterator_traitsISE_E10value_typeET2_T3_PNSF_ISK_E10value_typeET4_T5_PSP_SQ_PNS1_23onesweep_lookback_stateEbbT6_jjT7_P12ihipStream_tbENKUlT_T0_SE_SJ_E_clIS8_S8_S9_S9_EEDaSX_SY_SE_SJ_EUlSX_E_NS1_11comp_targetILNS1_3genE2ELNS1_11target_archE906ELNS1_3gpuE6ELNS1_3repE0EEENS1_47radix_sort_onesweep_sort_config_static_selectorELNS0_4arch9wavefront6targetE1EEEvSE_.kd
    .uniform_work_group_size: 1
    .uses_dynamic_stack: false
    .vgpr_count:     0
    .vgpr_spill_count: 0
    .wavefront_size: 64
  - .agpr_count:     0
    .args:
      - .offset:         0
        .size:           88
        .value_kind:     by_value
      - .offset:         88
        .size:           4
        .value_kind:     hidden_block_count_x
      - .offset:         92
        .size:           4
        .value_kind:     hidden_block_count_y
      - .offset:         96
        .size:           4
        .value_kind:     hidden_block_count_z
      - .offset:         100
        .size:           2
        .value_kind:     hidden_group_size_x
      - .offset:         102
        .size:           2
        .value_kind:     hidden_group_size_y
      - .offset:         104
        .size:           2
        .value_kind:     hidden_group_size_z
      - .offset:         106
        .size:           2
        .value_kind:     hidden_remainder_x
      - .offset:         108
        .size:           2
        .value_kind:     hidden_remainder_y
      - .offset:         110
        .size:           2
        .value_kind:     hidden_remainder_z
      - .offset:         128
        .size:           8
        .value_kind:     hidden_global_offset_x
      - .offset:         136
        .size:           8
        .value_kind:     hidden_global_offset_y
      - .offset:         144
        .size:           8
        .value_kind:     hidden_global_offset_z
      - .offset:         152
        .size:           2
        .value_kind:     hidden_grid_dims
    .group_segment_fixed_size: 16424
    .kernarg_segment_align: 8
    .kernarg_segment_size: 344
    .language:       OpenCL C
    .language_version:
      - 2
      - 0
    .max_flat_workgroup_size: 512
    .name:           _ZN7rocprim17ROCPRIM_400000_NS6detail17trampoline_kernelINS0_14default_configENS1_35radix_sort_onesweep_config_selectorIhNS0_10empty_typeEEEZZNS1_29radix_sort_onesweep_iterationIS3_Lb0EPhS8_PS5_S9_mNS0_19identity_decomposerENS1_16block_id_wrapperIjLb1EEEEE10hipError_tT1_PNSt15iterator_traitsISE_E10value_typeET2_T3_PNSF_ISK_E10value_typeET4_T5_PSP_SQ_PNS1_23onesweep_lookback_stateEbbT6_jjT7_P12ihipStream_tbENKUlT_T0_SE_SJ_E_clIS8_S8_S9_S9_EEDaSX_SY_SE_SJ_EUlSX_E_NS1_11comp_targetILNS1_3genE4ELNS1_11target_archE910ELNS1_3gpuE8ELNS1_3repE0EEENS1_47radix_sort_onesweep_sort_config_static_selectorELNS0_4arch9wavefront6targetE1EEEvSE_
    .private_segment_fixed_size: 0
    .sgpr_count:     34
    .sgpr_spill_count: 0
    .symbol:         _ZN7rocprim17ROCPRIM_400000_NS6detail17trampoline_kernelINS0_14default_configENS1_35radix_sort_onesweep_config_selectorIhNS0_10empty_typeEEEZZNS1_29radix_sort_onesweep_iterationIS3_Lb0EPhS8_PS5_S9_mNS0_19identity_decomposerENS1_16block_id_wrapperIjLb1EEEEE10hipError_tT1_PNSt15iterator_traitsISE_E10value_typeET2_T3_PNSF_ISK_E10value_typeET4_T5_PSP_SQ_PNS1_23onesweep_lookback_stateEbbT6_jjT7_P12ihipStream_tbENKUlT_T0_SE_SJ_E_clIS8_S8_S9_S9_EEDaSX_SY_SE_SJ_EUlSX_E_NS1_11comp_targetILNS1_3genE4ELNS1_11target_archE910ELNS1_3gpuE8ELNS1_3repE0EEENS1_47radix_sort_onesweep_sort_config_static_selectorELNS0_4arch9wavefront6targetE1EEEvSE_.kd
    .uniform_work_group_size: 1
    .uses_dynamic_stack: false
    .vgpr_count:     79
    .vgpr_spill_count: 0
    .wavefront_size: 64
  - .agpr_count:     0
    .args:
      - .offset:         0
        .size:           88
        .value_kind:     by_value
    .group_segment_fixed_size: 0
    .kernarg_segment_align: 8
    .kernarg_segment_size: 88
    .language:       OpenCL C
    .language_version:
      - 2
      - 0
    .max_flat_workgroup_size: 1024
    .name:           _ZN7rocprim17ROCPRIM_400000_NS6detail17trampoline_kernelINS0_14default_configENS1_35radix_sort_onesweep_config_selectorIhNS0_10empty_typeEEEZZNS1_29radix_sort_onesweep_iterationIS3_Lb0EPhS8_PS5_S9_mNS0_19identity_decomposerENS1_16block_id_wrapperIjLb1EEEEE10hipError_tT1_PNSt15iterator_traitsISE_E10value_typeET2_T3_PNSF_ISK_E10value_typeET4_T5_PSP_SQ_PNS1_23onesweep_lookback_stateEbbT6_jjT7_P12ihipStream_tbENKUlT_T0_SE_SJ_E_clIS8_S8_S9_S9_EEDaSX_SY_SE_SJ_EUlSX_E_NS1_11comp_targetILNS1_3genE3ELNS1_11target_archE908ELNS1_3gpuE7ELNS1_3repE0EEENS1_47radix_sort_onesweep_sort_config_static_selectorELNS0_4arch9wavefront6targetE1EEEvSE_
    .private_segment_fixed_size: 0
    .sgpr_count:     4
    .sgpr_spill_count: 0
    .symbol:         _ZN7rocprim17ROCPRIM_400000_NS6detail17trampoline_kernelINS0_14default_configENS1_35radix_sort_onesweep_config_selectorIhNS0_10empty_typeEEEZZNS1_29radix_sort_onesweep_iterationIS3_Lb0EPhS8_PS5_S9_mNS0_19identity_decomposerENS1_16block_id_wrapperIjLb1EEEEE10hipError_tT1_PNSt15iterator_traitsISE_E10value_typeET2_T3_PNSF_ISK_E10value_typeET4_T5_PSP_SQ_PNS1_23onesweep_lookback_stateEbbT6_jjT7_P12ihipStream_tbENKUlT_T0_SE_SJ_E_clIS8_S8_S9_S9_EEDaSX_SY_SE_SJ_EUlSX_E_NS1_11comp_targetILNS1_3genE3ELNS1_11target_archE908ELNS1_3gpuE7ELNS1_3repE0EEENS1_47radix_sort_onesweep_sort_config_static_selectorELNS0_4arch9wavefront6targetE1EEEvSE_.kd
    .uniform_work_group_size: 1
    .uses_dynamic_stack: false
    .vgpr_count:     0
    .vgpr_spill_count: 0
    .wavefront_size: 64
  - .agpr_count:     0
    .args:
      - .offset:         0
        .size:           88
        .value_kind:     by_value
    .group_segment_fixed_size: 0
    .kernarg_segment_align: 8
    .kernarg_segment_size: 88
    .language:       OpenCL C
    .language_version:
      - 2
      - 0
    .max_flat_workgroup_size: 256
    .name:           _ZN7rocprim17ROCPRIM_400000_NS6detail17trampoline_kernelINS0_14default_configENS1_35radix_sort_onesweep_config_selectorIhNS0_10empty_typeEEEZZNS1_29radix_sort_onesweep_iterationIS3_Lb0EPhS8_PS5_S9_mNS0_19identity_decomposerENS1_16block_id_wrapperIjLb1EEEEE10hipError_tT1_PNSt15iterator_traitsISE_E10value_typeET2_T3_PNSF_ISK_E10value_typeET4_T5_PSP_SQ_PNS1_23onesweep_lookback_stateEbbT6_jjT7_P12ihipStream_tbENKUlT_T0_SE_SJ_E_clIS8_S8_S9_S9_EEDaSX_SY_SE_SJ_EUlSX_E_NS1_11comp_targetILNS1_3genE10ELNS1_11target_archE1201ELNS1_3gpuE5ELNS1_3repE0EEENS1_47radix_sort_onesweep_sort_config_static_selectorELNS0_4arch9wavefront6targetE1EEEvSE_
    .private_segment_fixed_size: 0
    .sgpr_count:     4
    .sgpr_spill_count: 0
    .symbol:         _ZN7rocprim17ROCPRIM_400000_NS6detail17trampoline_kernelINS0_14default_configENS1_35radix_sort_onesweep_config_selectorIhNS0_10empty_typeEEEZZNS1_29radix_sort_onesweep_iterationIS3_Lb0EPhS8_PS5_S9_mNS0_19identity_decomposerENS1_16block_id_wrapperIjLb1EEEEE10hipError_tT1_PNSt15iterator_traitsISE_E10value_typeET2_T3_PNSF_ISK_E10value_typeET4_T5_PSP_SQ_PNS1_23onesweep_lookback_stateEbbT6_jjT7_P12ihipStream_tbENKUlT_T0_SE_SJ_E_clIS8_S8_S9_S9_EEDaSX_SY_SE_SJ_EUlSX_E_NS1_11comp_targetILNS1_3genE10ELNS1_11target_archE1201ELNS1_3gpuE5ELNS1_3repE0EEENS1_47radix_sort_onesweep_sort_config_static_selectorELNS0_4arch9wavefront6targetE1EEEvSE_.kd
    .uniform_work_group_size: 1
    .uses_dynamic_stack: false
    .vgpr_count:     0
    .vgpr_spill_count: 0
    .wavefront_size: 64
  - .agpr_count:     0
    .args:
      - .offset:         0
        .size:           88
        .value_kind:     by_value
    .group_segment_fixed_size: 0
    .kernarg_segment_align: 8
    .kernarg_segment_size: 88
    .language:       OpenCL C
    .language_version:
      - 2
      - 0
    .max_flat_workgroup_size: 256
    .name:           _ZN7rocprim17ROCPRIM_400000_NS6detail17trampoline_kernelINS0_14default_configENS1_35radix_sort_onesweep_config_selectorIhNS0_10empty_typeEEEZZNS1_29radix_sort_onesweep_iterationIS3_Lb0EPhS8_PS5_S9_mNS0_19identity_decomposerENS1_16block_id_wrapperIjLb1EEEEE10hipError_tT1_PNSt15iterator_traitsISE_E10value_typeET2_T3_PNSF_ISK_E10value_typeET4_T5_PSP_SQ_PNS1_23onesweep_lookback_stateEbbT6_jjT7_P12ihipStream_tbENKUlT_T0_SE_SJ_E_clIS8_S8_S9_S9_EEDaSX_SY_SE_SJ_EUlSX_E_NS1_11comp_targetILNS1_3genE9ELNS1_11target_archE1100ELNS1_3gpuE3ELNS1_3repE0EEENS1_47radix_sort_onesweep_sort_config_static_selectorELNS0_4arch9wavefront6targetE1EEEvSE_
    .private_segment_fixed_size: 0
    .sgpr_count:     4
    .sgpr_spill_count: 0
    .symbol:         _ZN7rocprim17ROCPRIM_400000_NS6detail17trampoline_kernelINS0_14default_configENS1_35radix_sort_onesweep_config_selectorIhNS0_10empty_typeEEEZZNS1_29radix_sort_onesweep_iterationIS3_Lb0EPhS8_PS5_S9_mNS0_19identity_decomposerENS1_16block_id_wrapperIjLb1EEEEE10hipError_tT1_PNSt15iterator_traitsISE_E10value_typeET2_T3_PNSF_ISK_E10value_typeET4_T5_PSP_SQ_PNS1_23onesweep_lookback_stateEbbT6_jjT7_P12ihipStream_tbENKUlT_T0_SE_SJ_E_clIS8_S8_S9_S9_EEDaSX_SY_SE_SJ_EUlSX_E_NS1_11comp_targetILNS1_3genE9ELNS1_11target_archE1100ELNS1_3gpuE3ELNS1_3repE0EEENS1_47radix_sort_onesweep_sort_config_static_selectorELNS0_4arch9wavefront6targetE1EEEvSE_.kd
    .uniform_work_group_size: 1
    .uses_dynamic_stack: false
    .vgpr_count:     0
    .vgpr_spill_count: 0
    .wavefront_size: 64
  - .agpr_count:     0
    .args:
      - .offset:         0
        .size:           88
        .value_kind:     by_value
    .group_segment_fixed_size: 0
    .kernarg_segment_align: 8
    .kernarg_segment_size: 88
    .language:       OpenCL C
    .language_version:
      - 2
      - 0
    .max_flat_workgroup_size: 256
    .name:           _ZN7rocprim17ROCPRIM_400000_NS6detail17trampoline_kernelINS0_14default_configENS1_35radix_sort_onesweep_config_selectorIhNS0_10empty_typeEEEZZNS1_29radix_sort_onesweep_iterationIS3_Lb0EPhS8_PS5_S9_mNS0_19identity_decomposerENS1_16block_id_wrapperIjLb1EEEEE10hipError_tT1_PNSt15iterator_traitsISE_E10value_typeET2_T3_PNSF_ISK_E10value_typeET4_T5_PSP_SQ_PNS1_23onesweep_lookback_stateEbbT6_jjT7_P12ihipStream_tbENKUlT_T0_SE_SJ_E_clIS8_S8_S9_S9_EEDaSX_SY_SE_SJ_EUlSX_E_NS1_11comp_targetILNS1_3genE8ELNS1_11target_archE1030ELNS1_3gpuE2ELNS1_3repE0EEENS1_47radix_sort_onesweep_sort_config_static_selectorELNS0_4arch9wavefront6targetE1EEEvSE_
    .private_segment_fixed_size: 0
    .sgpr_count:     4
    .sgpr_spill_count: 0
    .symbol:         _ZN7rocprim17ROCPRIM_400000_NS6detail17trampoline_kernelINS0_14default_configENS1_35radix_sort_onesweep_config_selectorIhNS0_10empty_typeEEEZZNS1_29radix_sort_onesweep_iterationIS3_Lb0EPhS8_PS5_S9_mNS0_19identity_decomposerENS1_16block_id_wrapperIjLb1EEEEE10hipError_tT1_PNSt15iterator_traitsISE_E10value_typeET2_T3_PNSF_ISK_E10value_typeET4_T5_PSP_SQ_PNS1_23onesweep_lookback_stateEbbT6_jjT7_P12ihipStream_tbENKUlT_T0_SE_SJ_E_clIS8_S8_S9_S9_EEDaSX_SY_SE_SJ_EUlSX_E_NS1_11comp_targetILNS1_3genE8ELNS1_11target_archE1030ELNS1_3gpuE2ELNS1_3repE0EEENS1_47radix_sort_onesweep_sort_config_static_selectorELNS0_4arch9wavefront6targetE1EEEvSE_.kd
    .uniform_work_group_size: 1
    .uses_dynamic_stack: false
    .vgpr_count:     0
    .vgpr_spill_count: 0
    .wavefront_size: 64
  - .agpr_count:     0
    .args:
      - .offset:         0
        .size:           88
        .value_kind:     by_value
    .group_segment_fixed_size: 0
    .kernarg_segment_align: 8
    .kernarg_segment_size: 88
    .language:       OpenCL C
    .language_version:
      - 2
      - 0
    .max_flat_workgroup_size: 1024
    .name:           _ZN7rocprim17ROCPRIM_400000_NS6detail17trampoline_kernelINS0_14default_configENS1_35radix_sort_onesweep_config_selectorIhNS0_10empty_typeEEEZZNS1_29radix_sort_onesweep_iterationIS3_Lb0EPhS8_PS5_S9_mNS0_19identity_decomposerENS1_16block_id_wrapperIjLb0EEEEE10hipError_tT1_PNSt15iterator_traitsISE_E10value_typeET2_T3_PNSF_ISK_E10value_typeET4_T5_PSP_SQ_PNS1_23onesweep_lookback_stateEbbT6_jjT7_P12ihipStream_tbENKUlT_T0_SE_SJ_E_clIS8_S8_S9_S9_EEDaSX_SY_SE_SJ_EUlSX_E_NS1_11comp_targetILNS1_3genE0ELNS1_11target_archE4294967295ELNS1_3gpuE0ELNS1_3repE0EEENS1_47radix_sort_onesweep_sort_config_static_selectorELNS0_4arch9wavefront6targetE1EEEvSE_
    .private_segment_fixed_size: 0
    .sgpr_count:     4
    .sgpr_spill_count: 0
    .symbol:         _ZN7rocprim17ROCPRIM_400000_NS6detail17trampoline_kernelINS0_14default_configENS1_35radix_sort_onesweep_config_selectorIhNS0_10empty_typeEEEZZNS1_29radix_sort_onesweep_iterationIS3_Lb0EPhS8_PS5_S9_mNS0_19identity_decomposerENS1_16block_id_wrapperIjLb0EEEEE10hipError_tT1_PNSt15iterator_traitsISE_E10value_typeET2_T3_PNSF_ISK_E10value_typeET4_T5_PSP_SQ_PNS1_23onesweep_lookback_stateEbbT6_jjT7_P12ihipStream_tbENKUlT_T0_SE_SJ_E_clIS8_S8_S9_S9_EEDaSX_SY_SE_SJ_EUlSX_E_NS1_11comp_targetILNS1_3genE0ELNS1_11target_archE4294967295ELNS1_3gpuE0ELNS1_3repE0EEENS1_47radix_sort_onesweep_sort_config_static_selectorELNS0_4arch9wavefront6targetE1EEEvSE_.kd
    .uniform_work_group_size: 1
    .uses_dynamic_stack: false
    .vgpr_count:     0
    .vgpr_spill_count: 0
    .wavefront_size: 64
  - .agpr_count:     0
    .args:
      - .offset:         0
        .size:           88
        .value_kind:     by_value
    .group_segment_fixed_size: 0
    .kernarg_segment_align: 8
    .kernarg_segment_size: 88
    .language:       OpenCL C
    .language_version:
      - 2
      - 0
    .max_flat_workgroup_size: 1024
    .name:           _ZN7rocprim17ROCPRIM_400000_NS6detail17trampoline_kernelINS0_14default_configENS1_35radix_sort_onesweep_config_selectorIhNS0_10empty_typeEEEZZNS1_29radix_sort_onesweep_iterationIS3_Lb0EPhS8_PS5_S9_mNS0_19identity_decomposerENS1_16block_id_wrapperIjLb0EEEEE10hipError_tT1_PNSt15iterator_traitsISE_E10value_typeET2_T3_PNSF_ISK_E10value_typeET4_T5_PSP_SQ_PNS1_23onesweep_lookback_stateEbbT6_jjT7_P12ihipStream_tbENKUlT_T0_SE_SJ_E_clIS8_S8_S9_S9_EEDaSX_SY_SE_SJ_EUlSX_E_NS1_11comp_targetILNS1_3genE6ELNS1_11target_archE950ELNS1_3gpuE13ELNS1_3repE0EEENS1_47radix_sort_onesweep_sort_config_static_selectorELNS0_4arch9wavefront6targetE1EEEvSE_
    .private_segment_fixed_size: 0
    .sgpr_count:     4
    .sgpr_spill_count: 0
    .symbol:         _ZN7rocprim17ROCPRIM_400000_NS6detail17trampoline_kernelINS0_14default_configENS1_35radix_sort_onesweep_config_selectorIhNS0_10empty_typeEEEZZNS1_29radix_sort_onesweep_iterationIS3_Lb0EPhS8_PS5_S9_mNS0_19identity_decomposerENS1_16block_id_wrapperIjLb0EEEEE10hipError_tT1_PNSt15iterator_traitsISE_E10value_typeET2_T3_PNSF_ISK_E10value_typeET4_T5_PSP_SQ_PNS1_23onesweep_lookback_stateEbbT6_jjT7_P12ihipStream_tbENKUlT_T0_SE_SJ_E_clIS8_S8_S9_S9_EEDaSX_SY_SE_SJ_EUlSX_E_NS1_11comp_targetILNS1_3genE6ELNS1_11target_archE950ELNS1_3gpuE13ELNS1_3repE0EEENS1_47radix_sort_onesweep_sort_config_static_selectorELNS0_4arch9wavefront6targetE1EEEvSE_.kd
    .uniform_work_group_size: 1
    .uses_dynamic_stack: false
    .vgpr_count:     0
    .vgpr_spill_count: 0
    .wavefront_size: 64
  - .agpr_count:     0
    .args:
      - .offset:         0
        .size:           88
        .value_kind:     by_value
    .group_segment_fixed_size: 0
    .kernarg_segment_align: 8
    .kernarg_segment_size: 88
    .language:       OpenCL C
    .language_version:
      - 2
      - 0
    .max_flat_workgroup_size: 1024
    .name:           _ZN7rocprim17ROCPRIM_400000_NS6detail17trampoline_kernelINS0_14default_configENS1_35radix_sort_onesweep_config_selectorIhNS0_10empty_typeEEEZZNS1_29radix_sort_onesweep_iterationIS3_Lb0EPhS8_PS5_S9_mNS0_19identity_decomposerENS1_16block_id_wrapperIjLb0EEEEE10hipError_tT1_PNSt15iterator_traitsISE_E10value_typeET2_T3_PNSF_ISK_E10value_typeET4_T5_PSP_SQ_PNS1_23onesweep_lookback_stateEbbT6_jjT7_P12ihipStream_tbENKUlT_T0_SE_SJ_E_clIS8_S8_S9_S9_EEDaSX_SY_SE_SJ_EUlSX_E_NS1_11comp_targetILNS1_3genE5ELNS1_11target_archE942ELNS1_3gpuE9ELNS1_3repE0EEENS1_47radix_sort_onesweep_sort_config_static_selectorELNS0_4arch9wavefront6targetE1EEEvSE_
    .private_segment_fixed_size: 0
    .sgpr_count:     4
    .sgpr_spill_count: 0
    .symbol:         _ZN7rocprim17ROCPRIM_400000_NS6detail17trampoline_kernelINS0_14default_configENS1_35radix_sort_onesweep_config_selectorIhNS0_10empty_typeEEEZZNS1_29radix_sort_onesweep_iterationIS3_Lb0EPhS8_PS5_S9_mNS0_19identity_decomposerENS1_16block_id_wrapperIjLb0EEEEE10hipError_tT1_PNSt15iterator_traitsISE_E10value_typeET2_T3_PNSF_ISK_E10value_typeET4_T5_PSP_SQ_PNS1_23onesweep_lookback_stateEbbT6_jjT7_P12ihipStream_tbENKUlT_T0_SE_SJ_E_clIS8_S8_S9_S9_EEDaSX_SY_SE_SJ_EUlSX_E_NS1_11comp_targetILNS1_3genE5ELNS1_11target_archE942ELNS1_3gpuE9ELNS1_3repE0EEENS1_47radix_sort_onesweep_sort_config_static_selectorELNS0_4arch9wavefront6targetE1EEEvSE_.kd
    .uniform_work_group_size: 1
    .uses_dynamic_stack: false
    .vgpr_count:     0
    .vgpr_spill_count: 0
    .wavefront_size: 64
  - .agpr_count:     0
    .args:
      - .offset:         0
        .size:           88
        .value_kind:     by_value
    .group_segment_fixed_size: 0
    .kernarg_segment_align: 8
    .kernarg_segment_size: 88
    .language:       OpenCL C
    .language_version:
      - 2
      - 0
    .max_flat_workgroup_size: 512
    .name:           _ZN7rocprim17ROCPRIM_400000_NS6detail17trampoline_kernelINS0_14default_configENS1_35radix_sort_onesweep_config_selectorIhNS0_10empty_typeEEEZZNS1_29radix_sort_onesweep_iterationIS3_Lb0EPhS8_PS5_S9_mNS0_19identity_decomposerENS1_16block_id_wrapperIjLb0EEEEE10hipError_tT1_PNSt15iterator_traitsISE_E10value_typeET2_T3_PNSF_ISK_E10value_typeET4_T5_PSP_SQ_PNS1_23onesweep_lookback_stateEbbT6_jjT7_P12ihipStream_tbENKUlT_T0_SE_SJ_E_clIS8_S8_S9_S9_EEDaSX_SY_SE_SJ_EUlSX_E_NS1_11comp_targetILNS1_3genE2ELNS1_11target_archE906ELNS1_3gpuE6ELNS1_3repE0EEENS1_47radix_sort_onesweep_sort_config_static_selectorELNS0_4arch9wavefront6targetE1EEEvSE_
    .private_segment_fixed_size: 0
    .sgpr_count:     4
    .sgpr_spill_count: 0
    .symbol:         _ZN7rocprim17ROCPRIM_400000_NS6detail17trampoline_kernelINS0_14default_configENS1_35radix_sort_onesweep_config_selectorIhNS0_10empty_typeEEEZZNS1_29radix_sort_onesweep_iterationIS3_Lb0EPhS8_PS5_S9_mNS0_19identity_decomposerENS1_16block_id_wrapperIjLb0EEEEE10hipError_tT1_PNSt15iterator_traitsISE_E10value_typeET2_T3_PNSF_ISK_E10value_typeET4_T5_PSP_SQ_PNS1_23onesweep_lookback_stateEbbT6_jjT7_P12ihipStream_tbENKUlT_T0_SE_SJ_E_clIS8_S8_S9_S9_EEDaSX_SY_SE_SJ_EUlSX_E_NS1_11comp_targetILNS1_3genE2ELNS1_11target_archE906ELNS1_3gpuE6ELNS1_3repE0EEENS1_47radix_sort_onesweep_sort_config_static_selectorELNS0_4arch9wavefront6targetE1EEEvSE_.kd
    .uniform_work_group_size: 1
    .uses_dynamic_stack: false
    .vgpr_count:     0
    .vgpr_spill_count: 0
    .wavefront_size: 64
  - .agpr_count:     0
    .args:
      - .offset:         0
        .size:           88
        .value_kind:     by_value
      - .offset:         88
        .size:           4
        .value_kind:     hidden_block_count_x
      - .offset:         92
        .size:           4
        .value_kind:     hidden_block_count_y
      - .offset:         96
        .size:           4
        .value_kind:     hidden_block_count_z
      - .offset:         100
        .size:           2
        .value_kind:     hidden_group_size_x
      - .offset:         102
        .size:           2
        .value_kind:     hidden_group_size_y
      - .offset:         104
        .size:           2
        .value_kind:     hidden_group_size_z
      - .offset:         106
        .size:           2
        .value_kind:     hidden_remainder_x
      - .offset:         108
        .size:           2
        .value_kind:     hidden_remainder_y
      - .offset:         110
        .size:           2
        .value_kind:     hidden_remainder_z
      - .offset:         128
        .size:           8
        .value_kind:     hidden_global_offset_x
      - .offset:         136
        .size:           8
        .value_kind:     hidden_global_offset_y
      - .offset:         144
        .size:           8
        .value_kind:     hidden_global_offset_z
      - .offset:         152
        .size:           2
        .value_kind:     hidden_grid_dims
    .group_segment_fixed_size: 16424
    .kernarg_segment_align: 8
    .kernarg_segment_size: 344
    .language:       OpenCL C
    .language_version:
      - 2
      - 0
    .max_flat_workgroup_size: 512
    .name:           _ZN7rocprim17ROCPRIM_400000_NS6detail17trampoline_kernelINS0_14default_configENS1_35radix_sort_onesweep_config_selectorIhNS0_10empty_typeEEEZZNS1_29radix_sort_onesweep_iterationIS3_Lb0EPhS8_PS5_S9_mNS0_19identity_decomposerENS1_16block_id_wrapperIjLb0EEEEE10hipError_tT1_PNSt15iterator_traitsISE_E10value_typeET2_T3_PNSF_ISK_E10value_typeET4_T5_PSP_SQ_PNS1_23onesweep_lookback_stateEbbT6_jjT7_P12ihipStream_tbENKUlT_T0_SE_SJ_E_clIS8_S8_S9_S9_EEDaSX_SY_SE_SJ_EUlSX_E_NS1_11comp_targetILNS1_3genE4ELNS1_11target_archE910ELNS1_3gpuE8ELNS1_3repE0EEENS1_47radix_sort_onesweep_sort_config_static_selectorELNS0_4arch9wavefront6targetE1EEEvSE_
    .private_segment_fixed_size: 0
    .sgpr_count:     34
    .sgpr_spill_count: 0
    .symbol:         _ZN7rocprim17ROCPRIM_400000_NS6detail17trampoline_kernelINS0_14default_configENS1_35radix_sort_onesweep_config_selectorIhNS0_10empty_typeEEEZZNS1_29radix_sort_onesweep_iterationIS3_Lb0EPhS8_PS5_S9_mNS0_19identity_decomposerENS1_16block_id_wrapperIjLb0EEEEE10hipError_tT1_PNSt15iterator_traitsISE_E10value_typeET2_T3_PNSF_ISK_E10value_typeET4_T5_PSP_SQ_PNS1_23onesweep_lookback_stateEbbT6_jjT7_P12ihipStream_tbENKUlT_T0_SE_SJ_E_clIS8_S8_S9_S9_EEDaSX_SY_SE_SJ_EUlSX_E_NS1_11comp_targetILNS1_3genE4ELNS1_11target_archE910ELNS1_3gpuE8ELNS1_3repE0EEENS1_47radix_sort_onesweep_sort_config_static_selectorELNS0_4arch9wavefront6targetE1EEEvSE_.kd
    .uniform_work_group_size: 1
    .uses_dynamic_stack: false
    .vgpr_count:     79
    .vgpr_spill_count: 0
    .wavefront_size: 64
  - .agpr_count:     0
    .args:
      - .offset:         0
        .size:           88
        .value_kind:     by_value
    .group_segment_fixed_size: 0
    .kernarg_segment_align: 8
    .kernarg_segment_size: 88
    .language:       OpenCL C
    .language_version:
      - 2
      - 0
    .max_flat_workgroup_size: 1024
    .name:           _ZN7rocprim17ROCPRIM_400000_NS6detail17trampoline_kernelINS0_14default_configENS1_35radix_sort_onesweep_config_selectorIhNS0_10empty_typeEEEZZNS1_29radix_sort_onesweep_iterationIS3_Lb0EPhS8_PS5_S9_mNS0_19identity_decomposerENS1_16block_id_wrapperIjLb0EEEEE10hipError_tT1_PNSt15iterator_traitsISE_E10value_typeET2_T3_PNSF_ISK_E10value_typeET4_T5_PSP_SQ_PNS1_23onesweep_lookback_stateEbbT6_jjT7_P12ihipStream_tbENKUlT_T0_SE_SJ_E_clIS8_S8_S9_S9_EEDaSX_SY_SE_SJ_EUlSX_E_NS1_11comp_targetILNS1_3genE3ELNS1_11target_archE908ELNS1_3gpuE7ELNS1_3repE0EEENS1_47radix_sort_onesweep_sort_config_static_selectorELNS0_4arch9wavefront6targetE1EEEvSE_
    .private_segment_fixed_size: 0
    .sgpr_count:     4
    .sgpr_spill_count: 0
    .symbol:         _ZN7rocprim17ROCPRIM_400000_NS6detail17trampoline_kernelINS0_14default_configENS1_35radix_sort_onesweep_config_selectorIhNS0_10empty_typeEEEZZNS1_29radix_sort_onesweep_iterationIS3_Lb0EPhS8_PS5_S9_mNS0_19identity_decomposerENS1_16block_id_wrapperIjLb0EEEEE10hipError_tT1_PNSt15iterator_traitsISE_E10value_typeET2_T3_PNSF_ISK_E10value_typeET4_T5_PSP_SQ_PNS1_23onesweep_lookback_stateEbbT6_jjT7_P12ihipStream_tbENKUlT_T0_SE_SJ_E_clIS8_S8_S9_S9_EEDaSX_SY_SE_SJ_EUlSX_E_NS1_11comp_targetILNS1_3genE3ELNS1_11target_archE908ELNS1_3gpuE7ELNS1_3repE0EEENS1_47radix_sort_onesweep_sort_config_static_selectorELNS0_4arch9wavefront6targetE1EEEvSE_.kd
    .uniform_work_group_size: 1
    .uses_dynamic_stack: false
    .vgpr_count:     0
    .vgpr_spill_count: 0
    .wavefront_size: 64
  - .agpr_count:     0
    .args:
      - .offset:         0
        .size:           88
        .value_kind:     by_value
    .group_segment_fixed_size: 0
    .kernarg_segment_align: 8
    .kernarg_segment_size: 88
    .language:       OpenCL C
    .language_version:
      - 2
      - 0
    .max_flat_workgroup_size: 256
    .name:           _ZN7rocprim17ROCPRIM_400000_NS6detail17trampoline_kernelINS0_14default_configENS1_35radix_sort_onesweep_config_selectorIhNS0_10empty_typeEEEZZNS1_29radix_sort_onesweep_iterationIS3_Lb0EPhS8_PS5_S9_mNS0_19identity_decomposerENS1_16block_id_wrapperIjLb0EEEEE10hipError_tT1_PNSt15iterator_traitsISE_E10value_typeET2_T3_PNSF_ISK_E10value_typeET4_T5_PSP_SQ_PNS1_23onesweep_lookback_stateEbbT6_jjT7_P12ihipStream_tbENKUlT_T0_SE_SJ_E_clIS8_S8_S9_S9_EEDaSX_SY_SE_SJ_EUlSX_E_NS1_11comp_targetILNS1_3genE10ELNS1_11target_archE1201ELNS1_3gpuE5ELNS1_3repE0EEENS1_47radix_sort_onesweep_sort_config_static_selectorELNS0_4arch9wavefront6targetE1EEEvSE_
    .private_segment_fixed_size: 0
    .sgpr_count:     4
    .sgpr_spill_count: 0
    .symbol:         _ZN7rocprim17ROCPRIM_400000_NS6detail17trampoline_kernelINS0_14default_configENS1_35radix_sort_onesweep_config_selectorIhNS0_10empty_typeEEEZZNS1_29radix_sort_onesweep_iterationIS3_Lb0EPhS8_PS5_S9_mNS0_19identity_decomposerENS1_16block_id_wrapperIjLb0EEEEE10hipError_tT1_PNSt15iterator_traitsISE_E10value_typeET2_T3_PNSF_ISK_E10value_typeET4_T5_PSP_SQ_PNS1_23onesweep_lookback_stateEbbT6_jjT7_P12ihipStream_tbENKUlT_T0_SE_SJ_E_clIS8_S8_S9_S9_EEDaSX_SY_SE_SJ_EUlSX_E_NS1_11comp_targetILNS1_3genE10ELNS1_11target_archE1201ELNS1_3gpuE5ELNS1_3repE0EEENS1_47radix_sort_onesweep_sort_config_static_selectorELNS0_4arch9wavefront6targetE1EEEvSE_.kd
    .uniform_work_group_size: 1
    .uses_dynamic_stack: false
    .vgpr_count:     0
    .vgpr_spill_count: 0
    .wavefront_size: 64
  - .agpr_count:     0
    .args:
      - .offset:         0
        .size:           88
        .value_kind:     by_value
    .group_segment_fixed_size: 0
    .kernarg_segment_align: 8
    .kernarg_segment_size: 88
    .language:       OpenCL C
    .language_version:
      - 2
      - 0
    .max_flat_workgroup_size: 256
    .name:           _ZN7rocprim17ROCPRIM_400000_NS6detail17trampoline_kernelINS0_14default_configENS1_35radix_sort_onesweep_config_selectorIhNS0_10empty_typeEEEZZNS1_29radix_sort_onesweep_iterationIS3_Lb0EPhS8_PS5_S9_mNS0_19identity_decomposerENS1_16block_id_wrapperIjLb0EEEEE10hipError_tT1_PNSt15iterator_traitsISE_E10value_typeET2_T3_PNSF_ISK_E10value_typeET4_T5_PSP_SQ_PNS1_23onesweep_lookback_stateEbbT6_jjT7_P12ihipStream_tbENKUlT_T0_SE_SJ_E_clIS8_S8_S9_S9_EEDaSX_SY_SE_SJ_EUlSX_E_NS1_11comp_targetILNS1_3genE9ELNS1_11target_archE1100ELNS1_3gpuE3ELNS1_3repE0EEENS1_47radix_sort_onesweep_sort_config_static_selectorELNS0_4arch9wavefront6targetE1EEEvSE_
    .private_segment_fixed_size: 0
    .sgpr_count:     4
    .sgpr_spill_count: 0
    .symbol:         _ZN7rocprim17ROCPRIM_400000_NS6detail17trampoline_kernelINS0_14default_configENS1_35radix_sort_onesweep_config_selectorIhNS0_10empty_typeEEEZZNS1_29radix_sort_onesweep_iterationIS3_Lb0EPhS8_PS5_S9_mNS0_19identity_decomposerENS1_16block_id_wrapperIjLb0EEEEE10hipError_tT1_PNSt15iterator_traitsISE_E10value_typeET2_T3_PNSF_ISK_E10value_typeET4_T5_PSP_SQ_PNS1_23onesweep_lookback_stateEbbT6_jjT7_P12ihipStream_tbENKUlT_T0_SE_SJ_E_clIS8_S8_S9_S9_EEDaSX_SY_SE_SJ_EUlSX_E_NS1_11comp_targetILNS1_3genE9ELNS1_11target_archE1100ELNS1_3gpuE3ELNS1_3repE0EEENS1_47radix_sort_onesweep_sort_config_static_selectorELNS0_4arch9wavefront6targetE1EEEvSE_.kd
    .uniform_work_group_size: 1
    .uses_dynamic_stack: false
    .vgpr_count:     0
    .vgpr_spill_count: 0
    .wavefront_size: 64
  - .agpr_count:     0
    .args:
      - .offset:         0
        .size:           88
        .value_kind:     by_value
    .group_segment_fixed_size: 0
    .kernarg_segment_align: 8
    .kernarg_segment_size: 88
    .language:       OpenCL C
    .language_version:
      - 2
      - 0
    .max_flat_workgroup_size: 256
    .name:           _ZN7rocprim17ROCPRIM_400000_NS6detail17trampoline_kernelINS0_14default_configENS1_35radix_sort_onesweep_config_selectorIhNS0_10empty_typeEEEZZNS1_29radix_sort_onesweep_iterationIS3_Lb0EPhS8_PS5_S9_mNS0_19identity_decomposerENS1_16block_id_wrapperIjLb0EEEEE10hipError_tT1_PNSt15iterator_traitsISE_E10value_typeET2_T3_PNSF_ISK_E10value_typeET4_T5_PSP_SQ_PNS1_23onesweep_lookback_stateEbbT6_jjT7_P12ihipStream_tbENKUlT_T0_SE_SJ_E_clIS8_S8_S9_S9_EEDaSX_SY_SE_SJ_EUlSX_E_NS1_11comp_targetILNS1_3genE8ELNS1_11target_archE1030ELNS1_3gpuE2ELNS1_3repE0EEENS1_47radix_sort_onesweep_sort_config_static_selectorELNS0_4arch9wavefront6targetE1EEEvSE_
    .private_segment_fixed_size: 0
    .sgpr_count:     4
    .sgpr_spill_count: 0
    .symbol:         _ZN7rocprim17ROCPRIM_400000_NS6detail17trampoline_kernelINS0_14default_configENS1_35radix_sort_onesweep_config_selectorIhNS0_10empty_typeEEEZZNS1_29radix_sort_onesweep_iterationIS3_Lb0EPhS8_PS5_S9_mNS0_19identity_decomposerENS1_16block_id_wrapperIjLb0EEEEE10hipError_tT1_PNSt15iterator_traitsISE_E10value_typeET2_T3_PNSF_ISK_E10value_typeET4_T5_PSP_SQ_PNS1_23onesweep_lookback_stateEbbT6_jjT7_P12ihipStream_tbENKUlT_T0_SE_SJ_E_clIS8_S8_S9_S9_EEDaSX_SY_SE_SJ_EUlSX_E_NS1_11comp_targetILNS1_3genE8ELNS1_11target_archE1030ELNS1_3gpuE2ELNS1_3repE0EEENS1_47radix_sort_onesweep_sort_config_static_selectorELNS0_4arch9wavefront6targetE1EEEvSE_.kd
    .uniform_work_group_size: 1
    .uses_dynamic_stack: false
    .vgpr_count:     0
    .vgpr_spill_count: 0
    .wavefront_size: 64
  - .agpr_count:     0
    .args:
      - .offset:         0
        .size:           48
        .value_kind:     by_value
    .group_segment_fixed_size: 0
    .kernarg_segment_align: 8
    .kernarg_segment_size: 48
    .language:       OpenCL C
    .language_version:
      - 2
      - 0
    .max_flat_workgroup_size: 256
    .name:           _ZN7rocprim17ROCPRIM_400000_NS6detail17trampoline_kernelINS0_13kernel_configILj256ELj4ELj4294967295EEENS1_37radix_sort_block_sort_config_selectorIsNS0_10empty_typeEEEZNS1_21radix_sort_block_sortIS4_Lb0EPsS9_PS6_SA_NS0_19identity_decomposerEEE10hipError_tT1_T2_T3_T4_jRjT5_jjP12ihipStream_tbEUlT_E_NS1_11comp_targetILNS1_3genE0ELNS1_11target_archE4294967295ELNS1_3gpuE0ELNS1_3repE0EEENS1_44radix_sort_block_sort_config_static_selectorELNS0_4arch9wavefront6targetE1EEEvSD_
    .private_segment_fixed_size: 0
    .sgpr_count:     4
    .sgpr_spill_count: 0
    .symbol:         _ZN7rocprim17ROCPRIM_400000_NS6detail17trampoline_kernelINS0_13kernel_configILj256ELj4ELj4294967295EEENS1_37radix_sort_block_sort_config_selectorIsNS0_10empty_typeEEEZNS1_21radix_sort_block_sortIS4_Lb0EPsS9_PS6_SA_NS0_19identity_decomposerEEE10hipError_tT1_T2_T3_T4_jRjT5_jjP12ihipStream_tbEUlT_E_NS1_11comp_targetILNS1_3genE0ELNS1_11target_archE4294967295ELNS1_3gpuE0ELNS1_3repE0EEENS1_44radix_sort_block_sort_config_static_selectorELNS0_4arch9wavefront6targetE1EEEvSD_.kd
    .uniform_work_group_size: 1
    .uses_dynamic_stack: false
    .vgpr_count:     0
    .vgpr_spill_count: 0
    .wavefront_size: 64
  - .agpr_count:     0
    .args:
      - .offset:         0
        .size:           48
        .value_kind:     by_value
    .group_segment_fixed_size: 0
    .kernarg_segment_align: 8
    .kernarg_segment_size: 48
    .language:       OpenCL C
    .language_version:
      - 2
      - 0
    .max_flat_workgroup_size: 256
    .name:           _ZN7rocprim17ROCPRIM_400000_NS6detail17trampoline_kernelINS0_13kernel_configILj256ELj4ELj4294967295EEENS1_37radix_sort_block_sort_config_selectorIsNS0_10empty_typeEEEZNS1_21radix_sort_block_sortIS4_Lb0EPsS9_PS6_SA_NS0_19identity_decomposerEEE10hipError_tT1_T2_T3_T4_jRjT5_jjP12ihipStream_tbEUlT_E_NS1_11comp_targetILNS1_3genE5ELNS1_11target_archE942ELNS1_3gpuE9ELNS1_3repE0EEENS1_44radix_sort_block_sort_config_static_selectorELNS0_4arch9wavefront6targetE1EEEvSD_
    .private_segment_fixed_size: 0
    .sgpr_count:     4
    .sgpr_spill_count: 0
    .symbol:         _ZN7rocprim17ROCPRIM_400000_NS6detail17trampoline_kernelINS0_13kernel_configILj256ELj4ELj4294967295EEENS1_37radix_sort_block_sort_config_selectorIsNS0_10empty_typeEEEZNS1_21radix_sort_block_sortIS4_Lb0EPsS9_PS6_SA_NS0_19identity_decomposerEEE10hipError_tT1_T2_T3_T4_jRjT5_jjP12ihipStream_tbEUlT_E_NS1_11comp_targetILNS1_3genE5ELNS1_11target_archE942ELNS1_3gpuE9ELNS1_3repE0EEENS1_44radix_sort_block_sort_config_static_selectorELNS0_4arch9wavefront6targetE1EEEvSD_.kd
    .uniform_work_group_size: 1
    .uses_dynamic_stack: false
    .vgpr_count:     0
    .vgpr_spill_count: 0
    .wavefront_size: 64
  - .agpr_count:     0
    .args:
      - .offset:         0
        .size:           48
        .value_kind:     by_value
      - .offset:         48
        .size:           4
        .value_kind:     hidden_block_count_x
      - .offset:         52
        .size:           4
        .value_kind:     hidden_block_count_y
      - .offset:         56
        .size:           4
        .value_kind:     hidden_block_count_z
      - .offset:         60
        .size:           2
        .value_kind:     hidden_group_size_x
      - .offset:         62
        .size:           2
        .value_kind:     hidden_group_size_y
      - .offset:         64
        .size:           2
        .value_kind:     hidden_group_size_z
      - .offset:         66
        .size:           2
        .value_kind:     hidden_remainder_x
      - .offset:         68
        .size:           2
        .value_kind:     hidden_remainder_y
      - .offset:         70
        .size:           2
        .value_kind:     hidden_remainder_z
      - .offset:         88
        .size:           8
        .value_kind:     hidden_global_offset_x
      - .offset:         96
        .size:           8
        .value_kind:     hidden_global_offset_y
      - .offset:         104
        .size:           8
        .value_kind:     hidden_global_offset_z
      - .offset:         112
        .size:           2
        .value_kind:     hidden_grid_dims
    .group_segment_fixed_size: 4112
    .kernarg_segment_align: 8
    .kernarg_segment_size: 304
    .language:       OpenCL C
    .language_version:
      - 2
      - 0
    .max_flat_workgroup_size: 256
    .name:           _ZN7rocprim17ROCPRIM_400000_NS6detail17trampoline_kernelINS0_13kernel_configILj256ELj4ELj4294967295EEENS1_37radix_sort_block_sort_config_selectorIsNS0_10empty_typeEEEZNS1_21radix_sort_block_sortIS4_Lb0EPsS9_PS6_SA_NS0_19identity_decomposerEEE10hipError_tT1_T2_T3_T4_jRjT5_jjP12ihipStream_tbEUlT_E_NS1_11comp_targetILNS1_3genE4ELNS1_11target_archE910ELNS1_3gpuE8ELNS1_3repE0EEENS1_44radix_sort_block_sort_config_static_selectorELNS0_4arch9wavefront6targetE1EEEvSD_
    .private_segment_fixed_size: 0
    .sgpr_count:     48
    .sgpr_spill_count: 0
    .symbol:         _ZN7rocprim17ROCPRIM_400000_NS6detail17trampoline_kernelINS0_13kernel_configILj256ELj4ELj4294967295EEENS1_37radix_sort_block_sort_config_selectorIsNS0_10empty_typeEEEZNS1_21radix_sort_block_sortIS4_Lb0EPsS9_PS6_SA_NS0_19identity_decomposerEEE10hipError_tT1_T2_T3_T4_jRjT5_jjP12ihipStream_tbEUlT_E_NS1_11comp_targetILNS1_3genE4ELNS1_11target_archE910ELNS1_3gpuE8ELNS1_3repE0EEENS1_44radix_sort_block_sort_config_static_selectorELNS0_4arch9wavefront6targetE1EEEvSD_.kd
    .uniform_work_group_size: 1
    .uses_dynamic_stack: false
    .vgpr_count:     38
    .vgpr_spill_count: 0
    .wavefront_size: 64
  - .agpr_count:     0
    .args:
      - .offset:         0
        .size:           48
        .value_kind:     by_value
    .group_segment_fixed_size: 0
    .kernarg_segment_align: 8
    .kernarg_segment_size: 48
    .language:       OpenCL C
    .language_version:
      - 2
      - 0
    .max_flat_workgroup_size: 256
    .name:           _ZN7rocprim17ROCPRIM_400000_NS6detail17trampoline_kernelINS0_13kernel_configILj256ELj4ELj4294967295EEENS1_37radix_sort_block_sort_config_selectorIsNS0_10empty_typeEEEZNS1_21radix_sort_block_sortIS4_Lb0EPsS9_PS6_SA_NS0_19identity_decomposerEEE10hipError_tT1_T2_T3_T4_jRjT5_jjP12ihipStream_tbEUlT_E_NS1_11comp_targetILNS1_3genE3ELNS1_11target_archE908ELNS1_3gpuE7ELNS1_3repE0EEENS1_44radix_sort_block_sort_config_static_selectorELNS0_4arch9wavefront6targetE1EEEvSD_
    .private_segment_fixed_size: 0
    .sgpr_count:     4
    .sgpr_spill_count: 0
    .symbol:         _ZN7rocprim17ROCPRIM_400000_NS6detail17trampoline_kernelINS0_13kernel_configILj256ELj4ELj4294967295EEENS1_37radix_sort_block_sort_config_selectorIsNS0_10empty_typeEEEZNS1_21radix_sort_block_sortIS4_Lb0EPsS9_PS6_SA_NS0_19identity_decomposerEEE10hipError_tT1_T2_T3_T4_jRjT5_jjP12ihipStream_tbEUlT_E_NS1_11comp_targetILNS1_3genE3ELNS1_11target_archE908ELNS1_3gpuE7ELNS1_3repE0EEENS1_44radix_sort_block_sort_config_static_selectorELNS0_4arch9wavefront6targetE1EEEvSD_.kd
    .uniform_work_group_size: 1
    .uses_dynamic_stack: false
    .vgpr_count:     0
    .vgpr_spill_count: 0
    .wavefront_size: 64
  - .agpr_count:     0
    .args:
      - .offset:         0
        .size:           48
        .value_kind:     by_value
    .group_segment_fixed_size: 0
    .kernarg_segment_align: 8
    .kernarg_segment_size: 48
    .language:       OpenCL C
    .language_version:
      - 2
      - 0
    .max_flat_workgroup_size: 256
    .name:           _ZN7rocprim17ROCPRIM_400000_NS6detail17trampoline_kernelINS0_13kernel_configILj256ELj4ELj4294967295EEENS1_37radix_sort_block_sort_config_selectorIsNS0_10empty_typeEEEZNS1_21radix_sort_block_sortIS4_Lb0EPsS9_PS6_SA_NS0_19identity_decomposerEEE10hipError_tT1_T2_T3_T4_jRjT5_jjP12ihipStream_tbEUlT_E_NS1_11comp_targetILNS1_3genE2ELNS1_11target_archE906ELNS1_3gpuE6ELNS1_3repE0EEENS1_44radix_sort_block_sort_config_static_selectorELNS0_4arch9wavefront6targetE1EEEvSD_
    .private_segment_fixed_size: 0
    .sgpr_count:     4
    .sgpr_spill_count: 0
    .symbol:         _ZN7rocprim17ROCPRIM_400000_NS6detail17trampoline_kernelINS0_13kernel_configILj256ELj4ELj4294967295EEENS1_37radix_sort_block_sort_config_selectorIsNS0_10empty_typeEEEZNS1_21radix_sort_block_sortIS4_Lb0EPsS9_PS6_SA_NS0_19identity_decomposerEEE10hipError_tT1_T2_T3_T4_jRjT5_jjP12ihipStream_tbEUlT_E_NS1_11comp_targetILNS1_3genE2ELNS1_11target_archE906ELNS1_3gpuE6ELNS1_3repE0EEENS1_44radix_sort_block_sort_config_static_selectorELNS0_4arch9wavefront6targetE1EEEvSD_.kd
    .uniform_work_group_size: 1
    .uses_dynamic_stack: false
    .vgpr_count:     0
    .vgpr_spill_count: 0
    .wavefront_size: 64
  - .agpr_count:     0
    .args:
      - .offset:         0
        .size:           48
        .value_kind:     by_value
    .group_segment_fixed_size: 0
    .kernarg_segment_align: 8
    .kernarg_segment_size: 48
    .language:       OpenCL C
    .language_version:
      - 2
      - 0
    .max_flat_workgroup_size: 256
    .name:           _ZN7rocprim17ROCPRIM_400000_NS6detail17trampoline_kernelINS0_13kernel_configILj256ELj4ELj4294967295EEENS1_37radix_sort_block_sort_config_selectorIsNS0_10empty_typeEEEZNS1_21radix_sort_block_sortIS4_Lb0EPsS9_PS6_SA_NS0_19identity_decomposerEEE10hipError_tT1_T2_T3_T4_jRjT5_jjP12ihipStream_tbEUlT_E_NS1_11comp_targetILNS1_3genE10ELNS1_11target_archE1201ELNS1_3gpuE5ELNS1_3repE0EEENS1_44radix_sort_block_sort_config_static_selectorELNS0_4arch9wavefront6targetE1EEEvSD_
    .private_segment_fixed_size: 0
    .sgpr_count:     4
    .sgpr_spill_count: 0
    .symbol:         _ZN7rocprim17ROCPRIM_400000_NS6detail17trampoline_kernelINS0_13kernel_configILj256ELj4ELj4294967295EEENS1_37radix_sort_block_sort_config_selectorIsNS0_10empty_typeEEEZNS1_21radix_sort_block_sortIS4_Lb0EPsS9_PS6_SA_NS0_19identity_decomposerEEE10hipError_tT1_T2_T3_T4_jRjT5_jjP12ihipStream_tbEUlT_E_NS1_11comp_targetILNS1_3genE10ELNS1_11target_archE1201ELNS1_3gpuE5ELNS1_3repE0EEENS1_44radix_sort_block_sort_config_static_selectorELNS0_4arch9wavefront6targetE1EEEvSD_.kd
    .uniform_work_group_size: 1
    .uses_dynamic_stack: false
    .vgpr_count:     0
    .vgpr_spill_count: 0
    .wavefront_size: 64
  - .agpr_count:     0
    .args:
      - .offset:         0
        .size:           48
        .value_kind:     by_value
    .group_segment_fixed_size: 0
    .kernarg_segment_align: 8
    .kernarg_segment_size: 48
    .language:       OpenCL C
    .language_version:
      - 2
      - 0
    .max_flat_workgroup_size: 256
    .name:           _ZN7rocprim17ROCPRIM_400000_NS6detail17trampoline_kernelINS0_13kernel_configILj256ELj4ELj4294967295EEENS1_37radix_sort_block_sort_config_selectorIsNS0_10empty_typeEEEZNS1_21radix_sort_block_sortIS4_Lb0EPsS9_PS6_SA_NS0_19identity_decomposerEEE10hipError_tT1_T2_T3_T4_jRjT5_jjP12ihipStream_tbEUlT_E_NS1_11comp_targetILNS1_3genE10ELNS1_11target_archE1200ELNS1_3gpuE4ELNS1_3repE0EEENS1_44radix_sort_block_sort_config_static_selectorELNS0_4arch9wavefront6targetE1EEEvSD_
    .private_segment_fixed_size: 0
    .sgpr_count:     4
    .sgpr_spill_count: 0
    .symbol:         _ZN7rocprim17ROCPRIM_400000_NS6detail17trampoline_kernelINS0_13kernel_configILj256ELj4ELj4294967295EEENS1_37radix_sort_block_sort_config_selectorIsNS0_10empty_typeEEEZNS1_21radix_sort_block_sortIS4_Lb0EPsS9_PS6_SA_NS0_19identity_decomposerEEE10hipError_tT1_T2_T3_T4_jRjT5_jjP12ihipStream_tbEUlT_E_NS1_11comp_targetILNS1_3genE10ELNS1_11target_archE1200ELNS1_3gpuE4ELNS1_3repE0EEENS1_44radix_sort_block_sort_config_static_selectorELNS0_4arch9wavefront6targetE1EEEvSD_.kd
    .uniform_work_group_size: 1
    .uses_dynamic_stack: false
    .vgpr_count:     0
    .vgpr_spill_count: 0
    .wavefront_size: 64
  - .agpr_count:     0
    .args:
      - .offset:         0
        .size:           48
        .value_kind:     by_value
    .group_segment_fixed_size: 0
    .kernarg_segment_align: 8
    .kernarg_segment_size: 48
    .language:       OpenCL C
    .language_version:
      - 2
      - 0
    .max_flat_workgroup_size: 256
    .name:           _ZN7rocprim17ROCPRIM_400000_NS6detail17trampoline_kernelINS0_13kernel_configILj256ELj4ELj4294967295EEENS1_37radix_sort_block_sort_config_selectorIsNS0_10empty_typeEEEZNS1_21radix_sort_block_sortIS4_Lb0EPsS9_PS6_SA_NS0_19identity_decomposerEEE10hipError_tT1_T2_T3_T4_jRjT5_jjP12ihipStream_tbEUlT_E_NS1_11comp_targetILNS1_3genE9ELNS1_11target_archE1100ELNS1_3gpuE3ELNS1_3repE0EEENS1_44radix_sort_block_sort_config_static_selectorELNS0_4arch9wavefront6targetE1EEEvSD_
    .private_segment_fixed_size: 0
    .sgpr_count:     4
    .sgpr_spill_count: 0
    .symbol:         _ZN7rocprim17ROCPRIM_400000_NS6detail17trampoline_kernelINS0_13kernel_configILj256ELj4ELj4294967295EEENS1_37radix_sort_block_sort_config_selectorIsNS0_10empty_typeEEEZNS1_21radix_sort_block_sortIS4_Lb0EPsS9_PS6_SA_NS0_19identity_decomposerEEE10hipError_tT1_T2_T3_T4_jRjT5_jjP12ihipStream_tbEUlT_E_NS1_11comp_targetILNS1_3genE9ELNS1_11target_archE1100ELNS1_3gpuE3ELNS1_3repE0EEENS1_44radix_sort_block_sort_config_static_selectorELNS0_4arch9wavefront6targetE1EEEvSD_.kd
    .uniform_work_group_size: 1
    .uses_dynamic_stack: false
    .vgpr_count:     0
    .vgpr_spill_count: 0
    .wavefront_size: 64
  - .agpr_count:     0
    .args:
      - .offset:         0
        .size:           48
        .value_kind:     by_value
    .group_segment_fixed_size: 0
    .kernarg_segment_align: 8
    .kernarg_segment_size: 48
    .language:       OpenCL C
    .language_version:
      - 2
      - 0
    .max_flat_workgroup_size: 256
    .name:           _ZN7rocprim17ROCPRIM_400000_NS6detail17trampoline_kernelINS0_13kernel_configILj256ELj4ELj4294967295EEENS1_37radix_sort_block_sort_config_selectorIsNS0_10empty_typeEEEZNS1_21radix_sort_block_sortIS4_Lb0EPsS9_PS6_SA_NS0_19identity_decomposerEEE10hipError_tT1_T2_T3_T4_jRjT5_jjP12ihipStream_tbEUlT_E_NS1_11comp_targetILNS1_3genE8ELNS1_11target_archE1030ELNS1_3gpuE2ELNS1_3repE0EEENS1_44radix_sort_block_sort_config_static_selectorELNS0_4arch9wavefront6targetE1EEEvSD_
    .private_segment_fixed_size: 0
    .sgpr_count:     4
    .sgpr_spill_count: 0
    .symbol:         _ZN7rocprim17ROCPRIM_400000_NS6detail17trampoline_kernelINS0_13kernel_configILj256ELj4ELj4294967295EEENS1_37radix_sort_block_sort_config_selectorIsNS0_10empty_typeEEEZNS1_21radix_sort_block_sortIS4_Lb0EPsS9_PS6_SA_NS0_19identity_decomposerEEE10hipError_tT1_T2_T3_T4_jRjT5_jjP12ihipStream_tbEUlT_E_NS1_11comp_targetILNS1_3genE8ELNS1_11target_archE1030ELNS1_3gpuE2ELNS1_3repE0EEENS1_44radix_sort_block_sort_config_static_selectorELNS0_4arch9wavefront6targetE1EEEvSD_.kd
    .uniform_work_group_size: 1
    .uses_dynamic_stack: false
    .vgpr_count:     0
    .vgpr_spill_count: 0
    .wavefront_size: 64
  - .agpr_count:     0
    .args:           []
    .group_segment_fixed_size: 0
    .kernarg_segment_align: 4
    .kernarg_segment_size: 0
    .language:       OpenCL C
    .language_version:
      - 2
      - 0
    .max_flat_workgroup_size: 1024
    .name:           _ZN7rocprim17ROCPRIM_400000_NS6detail44device_merge_sort_compile_time_verifier_archINS1_11comp_targetILNS1_3genE0ELNS1_11target_archE4294967295ELNS1_3gpuE0ELNS1_3repE0EEES8_NS1_28merge_sort_block_sort_configILj256ELj4ELNS0_20block_sort_algorithmE0EEENS0_14default_configENS1_37merge_sort_block_sort_config_selectorIsNS0_10empty_typeEEENS1_38merge_sort_block_merge_config_selectorIsSE_EEEEvv
    .private_segment_fixed_size: 0
    .sgpr_count:     4
    .sgpr_spill_count: 0
    .symbol:         _ZN7rocprim17ROCPRIM_400000_NS6detail44device_merge_sort_compile_time_verifier_archINS1_11comp_targetILNS1_3genE0ELNS1_11target_archE4294967295ELNS1_3gpuE0ELNS1_3repE0EEES8_NS1_28merge_sort_block_sort_configILj256ELj4ELNS0_20block_sort_algorithmE0EEENS0_14default_configENS1_37merge_sort_block_sort_config_selectorIsNS0_10empty_typeEEENS1_38merge_sort_block_merge_config_selectorIsSE_EEEEvv.kd
    .uniform_work_group_size: 1
    .uses_dynamic_stack: false
    .vgpr_count:     0
    .vgpr_spill_count: 0
    .wavefront_size: 64
  - .agpr_count:     0
    .args:           []
    .group_segment_fixed_size: 0
    .kernarg_segment_align: 4
    .kernarg_segment_size: 0
    .language:       OpenCL C
    .language_version:
      - 2
      - 0
    .max_flat_workgroup_size: 1024
    .name:           _ZN7rocprim17ROCPRIM_400000_NS6detail44device_merge_sort_compile_time_verifier_archINS1_11comp_targetILNS1_3genE5ELNS1_11target_archE942ELNS1_3gpuE9ELNS1_3repE0EEES8_NS1_28merge_sort_block_sort_configILj256ELj4ELNS0_20block_sort_algorithmE0EEENS0_14default_configENS1_37merge_sort_block_sort_config_selectorIsNS0_10empty_typeEEENS1_38merge_sort_block_merge_config_selectorIsSE_EEEEvv
    .private_segment_fixed_size: 0
    .sgpr_count:     4
    .sgpr_spill_count: 0
    .symbol:         _ZN7rocprim17ROCPRIM_400000_NS6detail44device_merge_sort_compile_time_verifier_archINS1_11comp_targetILNS1_3genE5ELNS1_11target_archE942ELNS1_3gpuE9ELNS1_3repE0EEES8_NS1_28merge_sort_block_sort_configILj256ELj4ELNS0_20block_sort_algorithmE0EEENS0_14default_configENS1_37merge_sort_block_sort_config_selectorIsNS0_10empty_typeEEENS1_38merge_sort_block_merge_config_selectorIsSE_EEEEvv.kd
    .uniform_work_group_size: 1
    .uses_dynamic_stack: false
    .vgpr_count:     0
    .vgpr_spill_count: 0
    .wavefront_size: 64
  - .agpr_count:     0
    .args:           []
    .group_segment_fixed_size: 0
    .kernarg_segment_align: 4
    .kernarg_segment_size: 0
    .language:       OpenCL C
    .language_version:
      - 2
      - 0
    .max_flat_workgroup_size: 1024
    .name:           _ZN7rocprim17ROCPRIM_400000_NS6detail44device_merge_sort_compile_time_verifier_archINS1_11comp_targetILNS1_3genE4ELNS1_11target_archE910ELNS1_3gpuE8ELNS1_3repE0EEES8_NS1_28merge_sort_block_sort_configILj256ELj4ELNS0_20block_sort_algorithmE0EEENS0_14default_configENS1_37merge_sort_block_sort_config_selectorIsNS0_10empty_typeEEENS1_38merge_sort_block_merge_config_selectorIsSE_EEEEvv
    .private_segment_fixed_size: 0
    .sgpr_count:     4
    .sgpr_spill_count: 0
    .symbol:         _ZN7rocprim17ROCPRIM_400000_NS6detail44device_merge_sort_compile_time_verifier_archINS1_11comp_targetILNS1_3genE4ELNS1_11target_archE910ELNS1_3gpuE8ELNS1_3repE0EEES8_NS1_28merge_sort_block_sort_configILj256ELj4ELNS0_20block_sort_algorithmE0EEENS0_14default_configENS1_37merge_sort_block_sort_config_selectorIsNS0_10empty_typeEEENS1_38merge_sort_block_merge_config_selectorIsSE_EEEEvv.kd
    .uniform_work_group_size: 1
    .uses_dynamic_stack: false
    .vgpr_count:     0
    .vgpr_spill_count: 0
    .wavefront_size: 64
  - .agpr_count:     0
    .args:           []
    .group_segment_fixed_size: 0
    .kernarg_segment_align: 4
    .kernarg_segment_size: 0
    .language:       OpenCL C
    .language_version:
      - 2
      - 0
    .max_flat_workgroup_size: 1024
    .name:           _ZN7rocprim17ROCPRIM_400000_NS6detail44device_merge_sort_compile_time_verifier_archINS1_11comp_targetILNS1_3genE3ELNS1_11target_archE908ELNS1_3gpuE7ELNS1_3repE0EEES8_NS1_28merge_sort_block_sort_configILj256ELj4ELNS0_20block_sort_algorithmE0EEENS0_14default_configENS1_37merge_sort_block_sort_config_selectorIsNS0_10empty_typeEEENS1_38merge_sort_block_merge_config_selectorIsSE_EEEEvv
    .private_segment_fixed_size: 0
    .sgpr_count:     4
    .sgpr_spill_count: 0
    .symbol:         _ZN7rocprim17ROCPRIM_400000_NS6detail44device_merge_sort_compile_time_verifier_archINS1_11comp_targetILNS1_3genE3ELNS1_11target_archE908ELNS1_3gpuE7ELNS1_3repE0EEES8_NS1_28merge_sort_block_sort_configILj256ELj4ELNS0_20block_sort_algorithmE0EEENS0_14default_configENS1_37merge_sort_block_sort_config_selectorIsNS0_10empty_typeEEENS1_38merge_sort_block_merge_config_selectorIsSE_EEEEvv.kd
    .uniform_work_group_size: 1
    .uses_dynamic_stack: false
    .vgpr_count:     0
    .vgpr_spill_count: 0
    .wavefront_size: 64
  - .agpr_count:     0
    .args:           []
    .group_segment_fixed_size: 0
    .kernarg_segment_align: 4
    .kernarg_segment_size: 0
    .language:       OpenCL C
    .language_version:
      - 2
      - 0
    .max_flat_workgroup_size: 1024
    .name:           _ZN7rocprim17ROCPRIM_400000_NS6detail44device_merge_sort_compile_time_verifier_archINS1_11comp_targetILNS1_3genE2ELNS1_11target_archE906ELNS1_3gpuE6ELNS1_3repE0EEES8_NS1_28merge_sort_block_sort_configILj256ELj4ELNS0_20block_sort_algorithmE0EEENS0_14default_configENS1_37merge_sort_block_sort_config_selectorIsNS0_10empty_typeEEENS1_38merge_sort_block_merge_config_selectorIsSE_EEEEvv
    .private_segment_fixed_size: 0
    .sgpr_count:     4
    .sgpr_spill_count: 0
    .symbol:         _ZN7rocprim17ROCPRIM_400000_NS6detail44device_merge_sort_compile_time_verifier_archINS1_11comp_targetILNS1_3genE2ELNS1_11target_archE906ELNS1_3gpuE6ELNS1_3repE0EEES8_NS1_28merge_sort_block_sort_configILj256ELj4ELNS0_20block_sort_algorithmE0EEENS0_14default_configENS1_37merge_sort_block_sort_config_selectorIsNS0_10empty_typeEEENS1_38merge_sort_block_merge_config_selectorIsSE_EEEEvv.kd
    .uniform_work_group_size: 1
    .uses_dynamic_stack: false
    .vgpr_count:     0
    .vgpr_spill_count: 0
    .wavefront_size: 64
  - .agpr_count:     0
    .args:           []
    .group_segment_fixed_size: 0
    .kernarg_segment_align: 4
    .kernarg_segment_size: 0
    .language:       OpenCL C
    .language_version:
      - 2
      - 0
    .max_flat_workgroup_size: 1024
    .name:           _ZN7rocprim17ROCPRIM_400000_NS6detail44device_merge_sort_compile_time_verifier_archINS1_11comp_targetILNS1_3genE10ELNS1_11target_archE1201ELNS1_3gpuE5ELNS1_3repE0EEES8_NS1_28merge_sort_block_sort_configILj256ELj4ELNS0_20block_sort_algorithmE0EEENS0_14default_configENS1_37merge_sort_block_sort_config_selectorIsNS0_10empty_typeEEENS1_38merge_sort_block_merge_config_selectorIsSE_EEEEvv
    .private_segment_fixed_size: 0
    .sgpr_count:     4
    .sgpr_spill_count: 0
    .symbol:         _ZN7rocprim17ROCPRIM_400000_NS6detail44device_merge_sort_compile_time_verifier_archINS1_11comp_targetILNS1_3genE10ELNS1_11target_archE1201ELNS1_3gpuE5ELNS1_3repE0EEES8_NS1_28merge_sort_block_sort_configILj256ELj4ELNS0_20block_sort_algorithmE0EEENS0_14default_configENS1_37merge_sort_block_sort_config_selectorIsNS0_10empty_typeEEENS1_38merge_sort_block_merge_config_selectorIsSE_EEEEvv.kd
    .uniform_work_group_size: 1
    .uses_dynamic_stack: false
    .vgpr_count:     0
    .vgpr_spill_count: 0
    .wavefront_size: 64
  - .agpr_count:     0
    .args:           []
    .group_segment_fixed_size: 0
    .kernarg_segment_align: 4
    .kernarg_segment_size: 0
    .language:       OpenCL C
    .language_version:
      - 2
      - 0
    .max_flat_workgroup_size: 1024
    .name:           _ZN7rocprim17ROCPRIM_400000_NS6detail44device_merge_sort_compile_time_verifier_archINS1_11comp_targetILNS1_3genE10ELNS1_11target_archE1200ELNS1_3gpuE4ELNS1_3repE0EEENS3_ILS4_10ELS5_1201ELS6_5ELS7_0EEENS1_28merge_sort_block_sort_configILj256ELj4ELNS0_20block_sort_algorithmE0EEENS0_14default_configENS1_37merge_sort_block_sort_config_selectorIsNS0_10empty_typeEEENS1_38merge_sort_block_merge_config_selectorIsSF_EEEEvv
    .private_segment_fixed_size: 0
    .sgpr_count:     4
    .sgpr_spill_count: 0
    .symbol:         _ZN7rocprim17ROCPRIM_400000_NS6detail44device_merge_sort_compile_time_verifier_archINS1_11comp_targetILNS1_3genE10ELNS1_11target_archE1200ELNS1_3gpuE4ELNS1_3repE0EEENS3_ILS4_10ELS5_1201ELS6_5ELS7_0EEENS1_28merge_sort_block_sort_configILj256ELj4ELNS0_20block_sort_algorithmE0EEENS0_14default_configENS1_37merge_sort_block_sort_config_selectorIsNS0_10empty_typeEEENS1_38merge_sort_block_merge_config_selectorIsSF_EEEEvv.kd
    .uniform_work_group_size: 1
    .uses_dynamic_stack: false
    .vgpr_count:     0
    .vgpr_spill_count: 0
    .wavefront_size: 64
  - .agpr_count:     0
    .args:           []
    .group_segment_fixed_size: 0
    .kernarg_segment_align: 4
    .kernarg_segment_size: 0
    .language:       OpenCL C
    .language_version:
      - 2
      - 0
    .max_flat_workgroup_size: 1024
    .name:           _ZN7rocprim17ROCPRIM_400000_NS6detail44device_merge_sort_compile_time_verifier_archINS1_11comp_targetILNS1_3genE9ELNS1_11target_archE1100ELNS1_3gpuE3ELNS1_3repE0EEES8_NS1_28merge_sort_block_sort_configILj256ELj4ELNS0_20block_sort_algorithmE0EEENS0_14default_configENS1_37merge_sort_block_sort_config_selectorIsNS0_10empty_typeEEENS1_38merge_sort_block_merge_config_selectorIsSE_EEEEvv
    .private_segment_fixed_size: 0
    .sgpr_count:     4
    .sgpr_spill_count: 0
    .symbol:         _ZN7rocprim17ROCPRIM_400000_NS6detail44device_merge_sort_compile_time_verifier_archINS1_11comp_targetILNS1_3genE9ELNS1_11target_archE1100ELNS1_3gpuE3ELNS1_3repE0EEES8_NS1_28merge_sort_block_sort_configILj256ELj4ELNS0_20block_sort_algorithmE0EEENS0_14default_configENS1_37merge_sort_block_sort_config_selectorIsNS0_10empty_typeEEENS1_38merge_sort_block_merge_config_selectorIsSE_EEEEvv.kd
    .uniform_work_group_size: 1
    .uses_dynamic_stack: false
    .vgpr_count:     0
    .vgpr_spill_count: 0
    .wavefront_size: 64
  - .agpr_count:     0
    .args:           []
    .group_segment_fixed_size: 0
    .kernarg_segment_align: 4
    .kernarg_segment_size: 0
    .language:       OpenCL C
    .language_version:
      - 2
      - 0
    .max_flat_workgroup_size: 1024
    .name:           _ZN7rocprim17ROCPRIM_400000_NS6detail44device_merge_sort_compile_time_verifier_archINS1_11comp_targetILNS1_3genE8ELNS1_11target_archE1030ELNS1_3gpuE2ELNS1_3repE0EEES8_NS1_28merge_sort_block_sort_configILj256ELj4ELNS0_20block_sort_algorithmE0EEENS0_14default_configENS1_37merge_sort_block_sort_config_selectorIsNS0_10empty_typeEEENS1_38merge_sort_block_merge_config_selectorIsSE_EEEEvv
    .private_segment_fixed_size: 0
    .sgpr_count:     4
    .sgpr_spill_count: 0
    .symbol:         _ZN7rocprim17ROCPRIM_400000_NS6detail44device_merge_sort_compile_time_verifier_archINS1_11comp_targetILNS1_3genE8ELNS1_11target_archE1030ELNS1_3gpuE2ELNS1_3repE0EEES8_NS1_28merge_sort_block_sort_configILj256ELj4ELNS0_20block_sort_algorithmE0EEENS0_14default_configENS1_37merge_sort_block_sort_config_selectorIsNS0_10empty_typeEEENS1_38merge_sort_block_merge_config_selectorIsSE_EEEEvv.kd
    .uniform_work_group_size: 1
    .uses_dynamic_stack: false
    .vgpr_count:     0
    .vgpr_spill_count: 0
    .wavefront_size: 64
  - .agpr_count:     0
    .args:
      - .offset:         0
        .size:           40
        .value_kind:     by_value
    .group_segment_fixed_size: 0
    .kernarg_segment_align: 8
    .kernarg_segment_size: 40
    .language:       OpenCL C
    .language_version:
      - 2
      - 0
    .max_flat_workgroup_size: 128
    .name:           _ZN7rocprim17ROCPRIM_400000_NS6detail17trampoline_kernelINS0_14default_configENS1_38merge_sort_block_merge_config_selectorIsNS0_10empty_typeEEEZZNS1_27merge_sort_block_merge_implIS3_PsPS5_jNS1_19radix_merge_compareILb0ELb0EsNS0_19identity_decomposerEEEEE10hipError_tT0_T1_T2_jT3_P12ihipStream_tbPNSt15iterator_traitsISE_E10value_typeEPNSK_ISF_E10value_typeEPSG_NS1_7vsmem_tEENKUlT_SE_SF_SG_E_clIS8_S8_S9_S9_EESD_ST_SE_SF_SG_EUlST_E_NS1_11comp_targetILNS1_3genE0ELNS1_11target_archE4294967295ELNS1_3gpuE0ELNS1_3repE0EEENS1_48merge_mergepath_partition_config_static_selectorELNS0_4arch9wavefront6targetE1EEEvSF_
    .private_segment_fixed_size: 0
    .sgpr_count:     4
    .sgpr_spill_count: 0
    .symbol:         _ZN7rocprim17ROCPRIM_400000_NS6detail17trampoline_kernelINS0_14default_configENS1_38merge_sort_block_merge_config_selectorIsNS0_10empty_typeEEEZZNS1_27merge_sort_block_merge_implIS3_PsPS5_jNS1_19radix_merge_compareILb0ELb0EsNS0_19identity_decomposerEEEEE10hipError_tT0_T1_T2_jT3_P12ihipStream_tbPNSt15iterator_traitsISE_E10value_typeEPNSK_ISF_E10value_typeEPSG_NS1_7vsmem_tEENKUlT_SE_SF_SG_E_clIS8_S8_S9_S9_EESD_ST_SE_SF_SG_EUlST_E_NS1_11comp_targetILNS1_3genE0ELNS1_11target_archE4294967295ELNS1_3gpuE0ELNS1_3repE0EEENS1_48merge_mergepath_partition_config_static_selectorELNS0_4arch9wavefront6targetE1EEEvSF_.kd
    .uniform_work_group_size: 1
    .uses_dynamic_stack: false
    .vgpr_count:     0
    .vgpr_spill_count: 0
    .wavefront_size: 64
  - .agpr_count:     0
    .args:
      - .offset:         0
        .size:           40
        .value_kind:     by_value
    .group_segment_fixed_size: 0
    .kernarg_segment_align: 8
    .kernarg_segment_size: 40
    .language:       OpenCL C
    .language_version:
      - 2
      - 0
    .max_flat_workgroup_size: 128
    .name:           _ZN7rocprim17ROCPRIM_400000_NS6detail17trampoline_kernelINS0_14default_configENS1_38merge_sort_block_merge_config_selectorIsNS0_10empty_typeEEEZZNS1_27merge_sort_block_merge_implIS3_PsPS5_jNS1_19radix_merge_compareILb0ELb0EsNS0_19identity_decomposerEEEEE10hipError_tT0_T1_T2_jT3_P12ihipStream_tbPNSt15iterator_traitsISE_E10value_typeEPNSK_ISF_E10value_typeEPSG_NS1_7vsmem_tEENKUlT_SE_SF_SG_E_clIS8_S8_S9_S9_EESD_ST_SE_SF_SG_EUlST_E_NS1_11comp_targetILNS1_3genE10ELNS1_11target_archE1201ELNS1_3gpuE5ELNS1_3repE0EEENS1_48merge_mergepath_partition_config_static_selectorELNS0_4arch9wavefront6targetE1EEEvSF_
    .private_segment_fixed_size: 0
    .sgpr_count:     4
    .sgpr_spill_count: 0
    .symbol:         _ZN7rocprim17ROCPRIM_400000_NS6detail17trampoline_kernelINS0_14default_configENS1_38merge_sort_block_merge_config_selectorIsNS0_10empty_typeEEEZZNS1_27merge_sort_block_merge_implIS3_PsPS5_jNS1_19radix_merge_compareILb0ELb0EsNS0_19identity_decomposerEEEEE10hipError_tT0_T1_T2_jT3_P12ihipStream_tbPNSt15iterator_traitsISE_E10value_typeEPNSK_ISF_E10value_typeEPSG_NS1_7vsmem_tEENKUlT_SE_SF_SG_E_clIS8_S8_S9_S9_EESD_ST_SE_SF_SG_EUlST_E_NS1_11comp_targetILNS1_3genE10ELNS1_11target_archE1201ELNS1_3gpuE5ELNS1_3repE0EEENS1_48merge_mergepath_partition_config_static_selectorELNS0_4arch9wavefront6targetE1EEEvSF_.kd
    .uniform_work_group_size: 1
    .uses_dynamic_stack: false
    .vgpr_count:     0
    .vgpr_spill_count: 0
    .wavefront_size: 64
  - .agpr_count:     0
    .args:
      - .offset:         0
        .size:           40
        .value_kind:     by_value
    .group_segment_fixed_size: 0
    .kernarg_segment_align: 8
    .kernarg_segment_size: 40
    .language:       OpenCL C
    .language_version:
      - 2
      - 0
    .max_flat_workgroup_size: 128
    .name:           _ZN7rocprim17ROCPRIM_400000_NS6detail17trampoline_kernelINS0_14default_configENS1_38merge_sort_block_merge_config_selectorIsNS0_10empty_typeEEEZZNS1_27merge_sort_block_merge_implIS3_PsPS5_jNS1_19radix_merge_compareILb0ELb0EsNS0_19identity_decomposerEEEEE10hipError_tT0_T1_T2_jT3_P12ihipStream_tbPNSt15iterator_traitsISE_E10value_typeEPNSK_ISF_E10value_typeEPSG_NS1_7vsmem_tEENKUlT_SE_SF_SG_E_clIS8_S8_S9_S9_EESD_ST_SE_SF_SG_EUlST_E_NS1_11comp_targetILNS1_3genE5ELNS1_11target_archE942ELNS1_3gpuE9ELNS1_3repE0EEENS1_48merge_mergepath_partition_config_static_selectorELNS0_4arch9wavefront6targetE1EEEvSF_
    .private_segment_fixed_size: 0
    .sgpr_count:     4
    .sgpr_spill_count: 0
    .symbol:         _ZN7rocprim17ROCPRIM_400000_NS6detail17trampoline_kernelINS0_14default_configENS1_38merge_sort_block_merge_config_selectorIsNS0_10empty_typeEEEZZNS1_27merge_sort_block_merge_implIS3_PsPS5_jNS1_19radix_merge_compareILb0ELb0EsNS0_19identity_decomposerEEEEE10hipError_tT0_T1_T2_jT3_P12ihipStream_tbPNSt15iterator_traitsISE_E10value_typeEPNSK_ISF_E10value_typeEPSG_NS1_7vsmem_tEENKUlT_SE_SF_SG_E_clIS8_S8_S9_S9_EESD_ST_SE_SF_SG_EUlST_E_NS1_11comp_targetILNS1_3genE5ELNS1_11target_archE942ELNS1_3gpuE9ELNS1_3repE0EEENS1_48merge_mergepath_partition_config_static_selectorELNS0_4arch9wavefront6targetE1EEEvSF_.kd
    .uniform_work_group_size: 1
    .uses_dynamic_stack: false
    .vgpr_count:     0
    .vgpr_spill_count: 0
    .wavefront_size: 64
  - .agpr_count:     0
    .args:
      - .offset:         0
        .size:           40
        .value_kind:     by_value
    .group_segment_fixed_size: 0
    .kernarg_segment_align: 8
    .kernarg_segment_size: 40
    .language:       OpenCL C
    .language_version:
      - 2
      - 0
    .max_flat_workgroup_size: 128
    .name:           _ZN7rocprim17ROCPRIM_400000_NS6detail17trampoline_kernelINS0_14default_configENS1_38merge_sort_block_merge_config_selectorIsNS0_10empty_typeEEEZZNS1_27merge_sort_block_merge_implIS3_PsPS5_jNS1_19radix_merge_compareILb0ELb0EsNS0_19identity_decomposerEEEEE10hipError_tT0_T1_T2_jT3_P12ihipStream_tbPNSt15iterator_traitsISE_E10value_typeEPNSK_ISF_E10value_typeEPSG_NS1_7vsmem_tEENKUlT_SE_SF_SG_E_clIS8_S8_S9_S9_EESD_ST_SE_SF_SG_EUlST_E_NS1_11comp_targetILNS1_3genE4ELNS1_11target_archE910ELNS1_3gpuE8ELNS1_3repE0EEENS1_48merge_mergepath_partition_config_static_selectorELNS0_4arch9wavefront6targetE1EEEvSF_
    .private_segment_fixed_size: 0
    .sgpr_count:     12
    .sgpr_spill_count: 0
    .symbol:         _ZN7rocprim17ROCPRIM_400000_NS6detail17trampoline_kernelINS0_14default_configENS1_38merge_sort_block_merge_config_selectorIsNS0_10empty_typeEEEZZNS1_27merge_sort_block_merge_implIS3_PsPS5_jNS1_19radix_merge_compareILb0ELb0EsNS0_19identity_decomposerEEEEE10hipError_tT0_T1_T2_jT3_P12ihipStream_tbPNSt15iterator_traitsISE_E10value_typeEPNSK_ISF_E10value_typeEPSG_NS1_7vsmem_tEENKUlT_SE_SF_SG_E_clIS8_S8_S9_S9_EESD_ST_SE_SF_SG_EUlST_E_NS1_11comp_targetILNS1_3genE4ELNS1_11target_archE910ELNS1_3gpuE8ELNS1_3repE0EEENS1_48merge_mergepath_partition_config_static_selectorELNS0_4arch9wavefront6targetE1EEEvSF_.kd
    .uniform_work_group_size: 1
    .uses_dynamic_stack: false
    .vgpr_count:     15
    .vgpr_spill_count: 0
    .wavefront_size: 64
  - .agpr_count:     0
    .args:
      - .offset:         0
        .size:           40
        .value_kind:     by_value
    .group_segment_fixed_size: 0
    .kernarg_segment_align: 8
    .kernarg_segment_size: 40
    .language:       OpenCL C
    .language_version:
      - 2
      - 0
    .max_flat_workgroup_size: 128
    .name:           _ZN7rocprim17ROCPRIM_400000_NS6detail17trampoline_kernelINS0_14default_configENS1_38merge_sort_block_merge_config_selectorIsNS0_10empty_typeEEEZZNS1_27merge_sort_block_merge_implIS3_PsPS5_jNS1_19radix_merge_compareILb0ELb0EsNS0_19identity_decomposerEEEEE10hipError_tT0_T1_T2_jT3_P12ihipStream_tbPNSt15iterator_traitsISE_E10value_typeEPNSK_ISF_E10value_typeEPSG_NS1_7vsmem_tEENKUlT_SE_SF_SG_E_clIS8_S8_S9_S9_EESD_ST_SE_SF_SG_EUlST_E_NS1_11comp_targetILNS1_3genE3ELNS1_11target_archE908ELNS1_3gpuE7ELNS1_3repE0EEENS1_48merge_mergepath_partition_config_static_selectorELNS0_4arch9wavefront6targetE1EEEvSF_
    .private_segment_fixed_size: 0
    .sgpr_count:     4
    .sgpr_spill_count: 0
    .symbol:         _ZN7rocprim17ROCPRIM_400000_NS6detail17trampoline_kernelINS0_14default_configENS1_38merge_sort_block_merge_config_selectorIsNS0_10empty_typeEEEZZNS1_27merge_sort_block_merge_implIS3_PsPS5_jNS1_19radix_merge_compareILb0ELb0EsNS0_19identity_decomposerEEEEE10hipError_tT0_T1_T2_jT3_P12ihipStream_tbPNSt15iterator_traitsISE_E10value_typeEPNSK_ISF_E10value_typeEPSG_NS1_7vsmem_tEENKUlT_SE_SF_SG_E_clIS8_S8_S9_S9_EESD_ST_SE_SF_SG_EUlST_E_NS1_11comp_targetILNS1_3genE3ELNS1_11target_archE908ELNS1_3gpuE7ELNS1_3repE0EEENS1_48merge_mergepath_partition_config_static_selectorELNS0_4arch9wavefront6targetE1EEEvSF_.kd
    .uniform_work_group_size: 1
    .uses_dynamic_stack: false
    .vgpr_count:     0
    .vgpr_spill_count: 0
    .wavefront_size: 64
  - .agpr_count:     0
    .args:
      - .offset:         0
        .size:           40
        .value_kind:     by_value
    .group_segment_fixed_size: 0
    .kernarg_segment_align: 8
    .kernarg_segment_size: 40
    .language:       OpenCL C
    .language_version:
      - 2
      - 0
    .max_flat_workgroup_size: 128
    .name:           _ZN7rocprim17ROCPRIM_400000_NS6detail17trampoline_kernelINS0_14default_configENS1_38merge_sort_block_merge_config_selectorIsNS0_10empty_typeEEEZZNS1_27merge_sort_block_merge_implIS3_PsPS5_jNS1_19radix_merge_compareILb0ELb0EsNS0_19identity_decomposerEEEEE10hipError_tT0_T1_T2_jT3_P12ihipStream_tbPNSt15iterator_traitsISE_E10value_typeEPNSK_ISF_E10value_typeEPSG_NS1_7vsmem_tEENKUlT_SE_SF_SG_E_clIS8_S8_S9_S9_EESD_ST_SE_SF_SG_EUlST_E_NS1_11comp_targetILNS1_3genE2ELNS1_11target_archE906ELNS1_3gpuE6ELNS1_3repE0EEENS1_48merge_mergepath_partition_config_static_selectorELNS0_4arch9wavefront6targetE1EEEvSF_
    .private_segment_fixed_size: 0
    .sgpr_count:     4
    .sgpr_spill_count: 0
    .symbol:         _ZN7rocprim17ROCPRIM_400000_NS6detail17trampoline_kernelINS0_14default_configENS1_38merge_sort_block_merge_config_selectorIsNS0_10empty_typeEEEZZNS1_27merge_sort_block_merge_implIS3_PsPS5_jNS1_19radix_merge_compareILb0ELb0EsNS0_19identity_decomposerEEEEE10hipError_tT0_T1_T2_jT3_P12ihipStream_tbPNSt15iterator_traitsISE_E10value_typeEPNSK_ISF_E10value_typeEPSG_NS1_7vsmem_tEENKUlT_SE_SF_SG_E_clIS8_S8_S9_S9_EESD_ST_SE_SF_SG_EUlST_E_NS1_11comp_targetILNS1_3genE2ELNS1_11target_archE906ELNS1_3gpuE6ELNS1_3repE0EEENS1_48merge_mergepath_partition_config_static_selectorELNS0_4arch9wavefront6targetE1EEEvSF_.kd
    .uniform_work_group_size: 1
    .uses_dynamic_stack: false
    .vgpr_count:     0
    .vgpr_spill_count: 0
    .wavefront_size: 64
  - .agpr_count:     0
    .args:
      - .offset:         0
        .size:           40
        .value_kind:     by_value
    .group_segment_fixed_size: 0
    .kernarg_segment_align: 8
    .kernarg_segment_size: 40
    .language:       OpenCL C
    .language_version:
      - 2
      - 0
    .max_flat_workgroup_size: 128
    .name:           _ZN7rocprim17ROCPRIM_400000_NS6detail17trampoline_kernelINS0_14default_configENS1_38merge_sort_block_merge_config_selectorIsNS0_10empty_typeEEEZZNS1_27merge_sort_block_merge_implIS3_PsPS5_jNS1_19radix_merge_compareILb0ELb0EsNS0_19identity_decomposerEEEEE10hipError_tT0_T1_T2_jT3_P12ihipStream_tbPNSt15iterator_traitsISE_E10value_typeEPNSK_ISF_E10value_typeEPSG_NS1_7vsmem_tEENKUlT_SE_SF_SG_E_clIS8_S8_S9_S9_EESD_ST_SE_SF_SG_EUlST_E_NS1_11comp_targetILNS1_3genE9ELNS1_11target_archE1100ELNS1_3gpuE3ELNS1_3repE0EEENS1_48merge_mergepath_partition_config_static_selectorELNS0_4arch9wavefront6targetE1EEEvSF_
    .private_segment_fixed_size: 0
    .sgpr_count:     4
    .sgpr_spill_count: 0
    .symbol:         _ZN7rocprim17ROCPRIM_400000_NS6detail17trampoline_kernelINS0_14default_configENS1_38merge_sort_block_merge_config_selectorIsNS0_10empty_typeEEEZZNS1_27merge_sort_block_merge_implIS3_PsPS5_jNS1_19radix_merge_compareILb0ELb0EsNS0_19identity_decomposerEEEEE10hipError_tT0_T1_T2_jT3_P12ihipStream_tbPNSt15iterator_traitsISE_E10value_typeEPNSK_ISF_E10value_typeEPSG_NS1_7vsmem_tEENKUlT_SE_SF_SG_E_clIS8_S8_S9_S9_EESD_ST_SE_SF_SG_EUlST_E_NS1_11comp_targetILNS1_3genE9ELNS1_11target_archE1100ELNS1_3gpuE3ELNS1_3repE0EEENS1_48merge_mergepath_partition_config_static_selectorELNS0_4arch9wavefront6targetE1EEEvSF_.kd
    .uniform_work_group_size: 1
    .uses_dynamic_stack: false
    .vgpr_count:     0
    .vgpr_spill_count: 0
    .wavefront_size: 64
  - .agpr_count:     0
    .args:
      - .offset:         0
        .size:           40
        .value_kind:     by_value
    .group_segment_fixed_size: 0
    .kernarg_segment_align: 8
    .kernarg_segment_size: 40
    .language:       OpenCL C
    .language_version:
      - 2
      - 0
    .max_flat_workgroup_size: 128
    .name:           _ZN7rocprim17ROCPRIM_400000_NS6detail17trampoline_kernelINS0_14default_configENS1_38merge_sort_block_merge_config_selectorIsNS0_10empty_typeEEEZZNS1_27merge_sort_block_merge_implIS3_PsPS5_jNS1_19radix_merge_compareILb0ELb0EsNS0_19identity_decomposerEEEEE10hipError_tT0_T1_T2_jT3_P12ihipStream_tbPNSt15iterator_traitsISE_E10value_typeEPNSK_ISF_E10value_typeEPSG_NS1_7vsmem_tEENKUlT_SE_SF_SG_E_clIS8_S8_S9_S9_EESD_ST_SE_SF_SG_EUlST_E_NS1_11comp_targetILNS1_3genE8ELNS1_11target_archE1030ELNS1_3gpuE2ELNS1_3repE0EEENS1_48merge_mergepath_partition_config_static_selectorELNS0_4arch9wavefront6targetE1EEEvSF_
    .private_segment_fixed_size: 0
    .sgpr_count:     4
    .sgpr_spill_count: 0
    .symbol:         _ZN7rocprim17ROCPRIM_400000_NS6detail17trampoline_kernelINS0_14default_configENS1_38merge_sort_block_merge_config_selectorIsNS0_10empty_typeEEEZZNS1_27merge_sort_block_merge_implIS3_PsPS5_jNS1_19radix_merge_compareILb0ELb0EsNS0_19identity_decomposerEEEEE10hipError_tT0_T1_T2_jT3_P12ihipStream_tbPNSt15iterator_traitsISE_E10value_typeEPNSK_ISF_E10value_typeEPSG_NS1_7vsmem_tEENKUlT_SE_SF_SG_E_clIS8_S8_S9_S9_EESD_ST_SE_SF_SG_EUlST_E_NS1_11comp_targetILNS1_3genE8ELNS1_11target_archE1030ELNS1_3gpuE2ELNS1_3repE0EEENS1_48merge_mergepath_partition_config_static_selectorELNS0_4arch9wavefront6targetE1EEEvSF_.kd
    .uniform_work_group_size: 1
    .uses_dynamic_stack: false
    .vgpr_count:     0
    .vgpr_spill_count: 0
    .wavefront_size: 64
  - .agpr_count:     0
    .args:
      - .offset:         0
        .size:           64
        .value_kind:     by_value
    .group_segment_fixed_size: 0
    .kernarg_segment_align: 8
    .kernarg_segment_size: 64
    .language:       OpenCL C
    .language_version:
      - 2
      - 0
    .max_flat_workgroup_size: 128
    .name:           _ZN7rocprim17ROCPRIM_400000_NS6detail17trampoline_kernelINS0_14default_configENS1_38merge_sort_block_merge_config_selectorIsNS0_10empty_typeEEEZZNS1_27merge_sort_block_merge_implIS3_PsPS5_jNS1_19radix_merge_compareILb0ELb0EsNS0_19identity_decomposerEEEEE10hipError_tT0_T1_T2_jT3_P12ihipStream_tbPNSt15iterator_traitsISE_E10value_typeEPNSK_ISF_E10value_typeEPSG_NS1_7vsmem_tEENKUlT_SE_SF_SG_E_clIS8_S8_S9_S9_EESD_ST_SE_SF_SG_EUlST_E0_NS1_11comp_targetILNS1_3genE0ELNS1_11target_archE4294967295ELNS1_3gpuE0ELNS1_3repE0EEENS1_38merge_mergepath_config_static_selectorELNS0_4arch9wavefront6targetE1EEEvSF_
    .private_segment_fixed_size: 0
    .sgpr_count:     4
    .sgpr_spill_count: 0
    .symbol:         _ZN7rocprim17ROCPRIM_400000_NS6detail17trampoline_kernelINS0_14default_configENS1_38merge_sort_block_merge_config_selectorIsNS0_10empty_typeEEEZZNS1_27merge_sort_block_merge_implIS3_PsPS5_jNS1_19radix_merge_compareILb0ELb0EsNS0_19identity_decomposerEEEEE10hipError_tT0_T1_T2_jT3_P12ihipStream_tbPNSt15iterator_traitsISE_E10value_typeEPNSK_ISF_E10value_typeEPSG_NS1_7vsmem_tEENKUlT_SE_SF_SG_E_clIS8_S8_S9_S9_EESD_ST_SE_SF_SG_EUlST_E0_NS1_11comp_targetILNS1_3genE0ELNS1_11target_archE4294967295ELNS1_3gpuE0ELNS1_3repE0EEENS1_38merge_mergepath_config_static_selectorELNS0_4arch9wavefront6targetE1EEEvSF_.kd
    .uniform_work_group_size: 1
    .uses_dynamic_stack: false
    .vgpr_count:     0
    .vgpr_spill_count: 0
    .wavefront_size: 64
  - .agpr_count:     0
    .args:
      - .offset:         0
        .size:           64
        .value_kind:     by_value
    .group_segment_fixed_size: 0
    .kernarg_segment_align: 8
    .kernarg_segment_size: 64
    .language:       OpenCL C
    .language_version:
      - 2
      - 0
    .max_flat_workgroup_size: 128
    .name:           _ZN7rocprim17ROCPRIM_400000_NS6detail17trampoline_kernelINS0_14default_configENS1_38merge_sort_block_merge_config_selectorIsNS0_10empty_typeEEEZZNS1_27merge_sort_block_merge_implIS3_PsPS5_jNS1_19radix_merge_compareILb0ELb0EsNS0_19identity_decomposerEEEEE10hipError_tT0_T1_T2_jT3_P12ihipStream_tbPNSt15iterator_traitsISE_E10value_typeEPNSK_ISF_E10value_typeEPSG_NS1_7vsmem_tEENKUlT_SE_SF_SG_E_clIS8_S8_S9_S9_EESD_ST_SE_SF_SG_EUlST_E0_NS1_11comp_targetILNS1_3genE10ELNS1_11target_archE1201ELNS1_3gpuE5ELNS1_3repE0EEENS1_38merge_mergepath_config_static_selectorELNS0_4arch9wavefront6targetE1EEEvSF_
    .private_segment_fixed_size: 0
    .sgpr_count:     4
    .sgpr_spill_count: 0
    .symbol:         _ZN7rocprim17ROCPRIM_400000_NS6detail17trampoline_kernelINS0_14default_configENS1_38merge_sort_block_merge_config_selectorIsNS0_10empty_typeEEEZZNS1_27merge_sort_block_merge_implIS3_PsPS5_jNS1_19radix_merge_compareILb0ELb0EsNS0_19identity_decomposerEEEEE10hipError_tT0_T1_T2_jT3_P12ihipStream_tbPNSt15iterator_traitsISE_E10value_typeEPNSK_ISF_E10value_typeEPSG_NS1_7vsmem_tEENKUlT_SE_SF_SG_E_clIS8_S8_S9_S9_EESD_ST_SE_SF_SG_EUlST_E0_NS1_11comp_targetILNS1_3genE10ELNS1_11target_archE1201ELNS1_3gpuE5ELNS1_3repE0EEENS1_38merge_mergepath_config_static_selectorELNS0_4arch9wavefront6targetE1EEEvSF_.kd
    .uniform_work_group_size: 1
    .uses_dynamic_stack: false
    .vgpr_count:     0
    .vgpr_spill_count: 0
    .wavefront_size: 64
  - .agpr_count:     0
    .args:
      - .offset:         0
        .size:           64
        .value_kind:     by_value
    .group_segment_fixed_size: 0
    .kernarg_segment_align: 8
    .kernarg_segment_size: 64
    .language:       OpenCL C
    .language_version:
      - 2
      - 0
    .max_flat_workgroup_size: 128
    .name:           _ZN7rocprim17ROCPRIM_400000_NS6detail17trampoline_kernelINS0_14default_configENS1_38merge_sort_block_merge_config_selectorIsNS0_10empty_typeEEEZZNS1_27merge_sort_block_merge_implIS3_PsPS5_jNS1_19radix_merge_compareILb0ELb0EsNS0_19identity_decomposerEEEEE10hipError_tT0_T1_T2_jT3_P12ihipStream_tbPNSt15iterator_traitsISE_E10value_typeEPNSK_ISF_E10value_typeEPSG_NS1_7vsmem_tEENKUlT_SE_SF_SG_E_clIS8_S8_S9_S9_EESD_ST_SE_SF_SG_EUlST_E0_NS1_11comp_targetILNS1_3genE5ELNS1_11target_archE942ELNS1_3gpuE9ELNS1_3repE0EEENS1_38merge_mergepath_config_static_selectorELNS0_4arch9wavefront6targetE1EEEvSF_
    .private_segment_fixed_size: 0
    .sgpr_count:     4
    .sgpr_spill_count: 0
    .symbol:         _ZN7rocprim17ROCPRIM_400000_NS6detail17trampoline_kernelINS0_14default_configENS1_38merge_sort_block_merge_config_selectorIsNS0_10empty_typeEEEZZNS1_27merge_sort_block_merge_implIS3_PsPS5_jNS1_19radix_merge_compareILb0ELb0EsNS0_19identity_decomposerEEEEE10hipError_tT0_T1_T2_jT3_P12ihipStream_tbPNSt15iterator_traitsISE_E10value_typeEPNSK_ISF_E10value_typeEPSG_NS1_7vsmem_tEENKUlT_SE_SF_SG_E_clIS8_S8_S9_S9_EESD_ST_SE_SF_SG_EUlST_E0_NS1_11comp_targetILNS1_3genE5ELNS1_11target_archE942ELNS1_3gpuE9ELNS1_3repE0EEENS1_38merge_mergepath_config_static_selectorELNS0_4arch9wavefront6targetE1EEEvSF_.kd
    .uniform_work_group_size: 1
    .uses_dynamic_stack: false
    .vgpr_count:     0
    .vgpr_spill_count: 0
    .wavefront_size: 64
  - .agpr_count:     0
    .args:
      - .offset:         0
        .size:           64
        .value_kind:     by_value
      - .offset:         64
        .size:           4
        .value_kind:     hidden_block_count_x
      - .offset:         68
        .size:           4
        .value_kind:     hidden_block_count_y
      - .offset:         72
        .size:           4
        .value_kind:     hidden_block_count_z
      - .offset:         76
        .size:           2
        .value_kind:     hidden_group_size_x
      - .offset:         78
        .size:           2
        .value_kind:     hidden_group_size_y
      - .offset:         80
        .size:           2
        .value_kind:     hidden_group_size_z
      - .offset:         82
        .size:           2
        .value_kind:     hidden_remainder_x
      - .offset:         84
        .size:           2
        .value_kind:     hidden_remainder_y
      - .offset:         86
        .size:           2
        .value_kind:     hidden_remainder_z
      - .offset:         104
        .size:           8
        .value_kind:     hidden_global_offset_x
      - .offset:         112
        .size:           8
        .value_kind:     hidden_global_offset_y
      - .offset:         120
        .size:           8
        .value_kind:     hidden_global_offset_z
      - .offset:         128
        .size:           2
        .value_kind:     hidden_grid_dims
    .group_segment_fixed_size: 2112
    .kernarg_segment_align: 8
    .kernarg_segment_size: 320
    .language:       OpenCL C
    .language_version:
      - 2
      - 0
    .max_flat_workgroup_size: 128
    .name:           _ZN7rocprim17ROCPRIM_400000_NS6detail17trampoline_kernelINS0_14default_configENS1_38merge_sort_block_merge_config_selectorIsNS0_10empty_typeEEEZZNS1_27merge_sort_block_merge_implIS3_PsPS5_jNS1_19radix_merge_compareILb0ELb0EsNS0_19identity_decomposerEEEEE10hipError_tT0_T1_T2_jT3_P12ihipStream_tbPNSt15iterator_traitsISE_E10value_typeEPNSK_ISF_E10value_typeEPSG_NS1_7vsmem_tEENKUlT_SE_SF_SG_E_clIS8_S8_S9_S9_EESD_ST_SE_SF_SG_EUlST_E0_NS1_11comp_targetILNS1_3genE4ELNS1_11target_archE910ELNS1_3gpuE8ELNS1_3repE0EEENS1_38merge_mergepath_config_static_selectorELNS0_4arch9wavefront6targetE1EEEvSF_
    .private_segment_fixed_size: 0
    .sgpr_count:     28
    .sgpr_spill_count: 0
    .symbol:         _ZN7rocprim17ROCPRIM_400000_NS6detail17trampoline_kernelINS0_14default_configENS1_38merge_sort_block_merge_config_selectorIsNS0_10empty_typeEEEZZNS1_27merge_sort_block_merge_implIS3_PsPS5_jNS1_19radix_merge_compareILb0ELb0EsNS0_19identity_decomposerEEEEE10hipError_tT0_T1_T2_jT3_P12ihipStream_tbPNSt15iterator_traitsISE_E10value_typeEPNSK_ISF_E10value_typeEPSG_NS1_7vsmem_tEENKUlT_SE_SF_SG_E_clIS8_S8_S9_S9_EESD_ST_SE_SF_SG_EUlST_E0_NS1_11comp_targetILNS1_3genE4ELNS1_11target_archE910ELNS1_3gpuE8ELNS1_3repE0EEENS1_38merge_mergepath_config_static_selectorELNS0_4arch9wavefront6targetE1EEEvSF_.kd
    .uniform_work_group_size: 1
    .uses_dynamic_stack: false
    .vgpr_count:     26
    .vgpr_spill_count: 0
    .wavefront_size: 64
  - .agpr_count:     0
    .args:
      - .offset:         0
        .size:           64
        .value_kind:     by_value
    .group_segment_fixed_size: 0
    .kernarg_segment_align: 8
    .kernarg_segment_size: 64
    .language:       OpenCL C
    .language_version:
      - 2
      - 0
    .max_flat_workgroup_size: 128
    .name:           _ZN7rocprim17ROCPRIM_400000_NS6detail17trampoline_kernelINS0_14default_configENS1_38merge_sort_block_merge_config_selectorIsNS0_10empty_typeEEEZZNS1_27merge_sort_block_merge_implIS3_PsPS5_jNS1_19radix_merge_compareILb0ELb0EsNS0_19identity_decomposerEEEEE10hipError_tT0_T1_T2_jT3_P12ihipStream_tbPNSt15iterator_traitsISE_E10value_typeEPNSK_ISF_E10value_typeEPSG_NS1_7vsmem_tEENKUlT_SE_SF_SG_E_clIS8_S8_S9_S9_EESD_ST_SE_SF_SG_EUlST_E0_NS1_11comp_targetILNS1_3genE3ELNS1_11target_archE908ELNS1_3gpuE7ELNS1_3repE0EEENS1_38merge_mergepath_config_static_selectorELNS0_4arch9wavefront6targetE1EEEvSF_
    .private_segment_fixed_size: 0
    .sgpr_count:     4
    .sgpr_spill_count: 0
    .symbol:         _ZN7rocprim17ROCPRIM_400000_NS6detail17trampoline_kernelINS0_14default_configENS1_38merge_sort_block_merge_config_selectorIsNS0_10empty_typeEEEZZNS1_27merge_sort_block_merge_implIS3_PsPS5_jNS1_19radix_merge_compareILb0ELb0EsNS0_19identity_decomposerEEEEE10hipError_tT0_T1_T2_jT3_P12ihipStream_tbPNSt15iterator_traitsISE_E10value_typeEPNSK_ISF_E10value_typeEPSG_NS1_7vsmem_tEENKUlT_SE_SF_SG_E_clIS8_S8_S9_S9_EESD_ST_SE_SF_SG_EUlST_E0_NS1_11comp_targetILNS1_3genE3ELNS1_11target_archE908ELNS1_3gpuE7ELNS1_3repE0EEENS1_38merge_mergepath_config_static_selectorELNS0_4arch9wavefront6targetE1EEEvSF_.kd
    .uniform_work_group_size: 1
    .uses_dynamic_stack: false
    .vgpr_count:     0
    .vgpr_spill_count: 0
    .wavefront_size: 64
  - .agpr_count:     0
    .args:
      - .offset:         0
        .size:           64
        .value_kind:     by_value
    .group_segment_fixed_size: 0
    .kernarg_segment_align: 8
    .kernarg_segment_size: 64
    .language:       OpenCL C
    .language_version:
      - 2
      - 0
    .max_flat_workgroup_size: 128
    .name:           _ZN7rocprim17ROCPRIM_400000_NS6detail17trampoline_kernelINS0_14default_configENS1_38merge_sort_block_merge_config_selectorIsNS0_10empty_typeEEEZZNS1_27merge_sort_block_merge_implIS3_PsPS5_jNS1_19radix_merge_compareILb0ELb0EsNS0_19identity_decomposerEEEEE10hipError_tT0_T1_T2_jT3_P12ihipStream_tbPNSt15iterator_traitsISE_E10value_typeEPNSK_ISF_E10value_typeEPSG_NS1_7vsmem_tEENKUlT_SE_SF_SG_E_clIS8_S8_S9_S9_EESD_ST_SE_SF_SG_EUlST_E0_NS1_11comp_targetILNS1_3genE2ELNS1_11target_archE906ELNS1_3gpuE6ELNS1_3repE0EEENS1_38merge_mergepath_config_static_selectorELNS0_4arch9wavefront6targetE1EEEvSF_
    .private_segment_fixed_size: 0
    .sgpr_count:     4
    .sgpr_spill_count: 0
    .symbol:         _ZN7rocprim17ROCPRIM_400000_NS6detail17trampoline_kernelINS0_14default_configENS1_38merge_sort_block_merge_config_selectorIsNS0_10empty_typeEEEZZNS1_27merge_sort_block_merge_implIS3_PsPS5_jNS1_19radix_merge_compareILb0ELb0EsNS0_19identity_decomposerEEEEE10hipError_tT0_T1_T2_jT3_P12ihipStream_tbPNSt15iterator_traitsISE_E10value_typeEPNSK_ISF_E10value_typeEPSG_NS1_7vsmem_tEENKUlT_SE_SF_SG_E_clIS8_S8_S9_S9_EESD_ST_SE_SF_SG_EUlST_E0_NS1_11comp_targetILNS1_3genE2ELNS1_11target_archE906ELNS1_3gpuE6ELNS1_3repE0EEENS1_38merge_mergepath_config_static_selectorELNS0_4arch9wavefront6targetE1EEEvSF_.kd
    .uniform_work_group_size: 1
    .uses_dynamic_stack: false
    .vgpr_count:     0
    .vgpr_spill_count: 0
    .wavefront_size: 64
  - .agpr_count:     0
    .args:
      - .offset:         0
        .size:           64
        .value_kind:     by_value
    .group_segment_fixed_size: 0
    .kernarg_segment_align: 8
    .kernarg_segment_size: 64
    .language:       OpenCL C
    .language_version:
      - 2
      - 0
    .max_flat_workgroup_size: 128
    .name:           _ZN7rocprim17ROCPRIM_400000_NS6detail17trampoline_kernelINS0_14default_configENS1_38merge_sort_block_merge_config_selectorIsNS0_10empty_typeEEEZZNS1_27merge_sort_block_merge_implIS3_PsPS5_jNS1_19radix_merge_compareILb0ELb0EsNS0_19identity_decomposerEEEEE10hipError_tT0_T1_T2_jT3_P12ihipStream_tbPNSt15iterator_traitsISE_E10value_typeEPNSK_ISF_E10value_typeEPSG_NS1_7vsmem_tEENKUlT_SE_SF_SG_E_clIS8_S8_S9_S9_EESD_ST_SE_SF_SG_EUlST_E0_NS1_11comp_targetILNS1_3genE9ELNS1_11target_archE1100ELNS1_3gpuE3ELNS1_3repE0EEENS1_38merge_mergepath_config_static_selectorELNS0_4arch9wavefront6targetE1EEEvSF_
    .private_segment_fixed_size: 0
    .sgpr_count:     4
    .sgpr_spill_count: 0
    .symbol:         _ZN7rocprim17ROCPRIM_400000_NS6detail17trampoline_kernelINS0_14default_configENS1_38merge_sort_block_merge_config_selectorIsNS0_10empty_typeEEEZZNS1_27merge_sort_block_merge_implIS3_PsPS5_jNS1_19radix_merge_compareILb0ELb0EsNS0_19identity_decomposerEEEEE10hipError_tT0_T1_T2_jT3_P12ihipStream_tbPNSt15iterator_traitsISE_E10value_typeEPNSK_ISF_E10value_typeEPSG_NS1_7vsmem_tEENKUlT_SE_SF_SG_E_clIS8_S8_S9_S9_EESD_ST_SE_SF_SG_EUlST_E0_NS1_11comp_targetILNS1_3genE9ELNS1_11target_archE1100ELNS1_3gpuE3ELNS1_3repE0EEENS1_38merge_mergepath_config_static_selectorELNS0_4arch9wavefront6targetE1EEEvSF_.kd
    .uniform_work_group_size: 1
    .uses_dynamic_stack: false
    .vgpr_count:     0
    .vgpr_spill_count: 0
    .wavefront_size: 64
  - .agpr_count:     0
    .args:
      - .offset:         0
        .size:           64
        .value_kind:     by_value
    .group_segment_fixed_size: 0
    .kernarg_segment_align: 8
    .kernarg_segment_size: 64
    .language:       OpenCL C
    .language_version:
      - 2
      - 0
    .max_flat_workgroup_size: 128
    .name:           _ZN7rocprim17ROCPRIM_400000_NS6detail17trampoline_kernelINS0_14default_configENS1_38merge_sort_block_merge_config_selectorIsNS0_10empty_typeEEEZZNS1_27merge_sort_block_merge_implIS3_PsPS5_jNS1_19radix_merge_compareILb0ELb0EsNS0_19identity_decomposerEEEEE10hipError_tT0_T1_T2_jT3_P12ihipStream_tbPNSt15iterator_traitsISE_E10value_typeEPNSK_ISF_E10value_typeEPSG_NS1_7vsmem_tEENKUlT_SE_SF_SG_E_clIS8_S8_S9_S9_EESD_ST_SE_SF_SG_EUlST_E0_NS1_11comp_targetILNS1_3genE8ELNS1_11target_archE1030ELNS1_3gpuE2ELNS1_3repE0EEENS1_38merge_mergepath_config_static_selectorELNS0_4arch9wavefront6targetE1EEEvSF_
    .private_segment_fixed_size: 0
    .sgpr_count:     4
    .sgpr_spill_count: 0
    .symbol:         _ZN7rocprim17ROCPRIM_400000_NS6detail17trampoline_kernelINS0_14default_configENS1_38merge_sort_block_merge_config_selectorIsNS0_10empty_typeEEEZZNS1_27merge_sort_block_merge_implIS3_PsPS5_jNS1_19radix_merge_compareILb0ELb0EsNS0_19identity_decomposerEEEEE10hipError_tT0_T1_T2_jT3_P12ihipStream_tbPNSt15iterator_traitsISE_E10value_typeEPNSK_ISF_E10value_typeEPSG_NS1_7vsmem_tEENKUlT_SE_SF_SG_E_clIS8_S8_S9_S9_EESD_ST_SE_SF_SG_EUlST_E0_NS1_11comp_targetILNS1_3genE8ELNS1_11target_archE1030ELNS1_3gpuE2ELNS1_3repE0EEENS1_38merge_mergepath_config_static_selectorELNS0_4arch9wavefront6targetE1EEEvSF_.kd
    .uniform_work_group_size: 1
    .uses_dynamic_stack: false
    .vgpr_count:     0
    .vgpr_spill_count: 0
    .wavefront_size: 64
  - .agpr_count:     0
    .args:
      - .offset:         0
        .size:           48
        .value_kind:     by_value
    .group_segment_fixed_size: 0
    .kernarg_segment_align: 8
    .kernarg_segment_size: 48
    .language:       OpenCL C
    .language_version:
      - 2
      - 0
    .max_flat_workgroup_size: 256
    .name:           _ZN7rocprim17ROCPRIM_400000_NS6detail17trampoline_kernelINS0_14default_configENS1_38merge_sort_block_merge_config_selectorIsNS0_10empty_typeEEEZZNS1_27merge_sort_block_merge_implIS3_PsPS5_jNS1_19radix_merge_compareILb0ELb0EsNS0_19identity_decomposerEEEEE10hipError_tT0_T1_T2_jT3_P12ihipStream_tbPNSt15iterator_traitsISE_E10value_typeEPNSK_ISF_E10value_typeEPSG_NS1_7vsmem_tEENKUlT_SE_SF_SG_E_clIS8_S8_S9_S9_EESD_ST_SE_SF_SG_EUlST_E1_NS1_11comp_targetILNS1_3genE0ELNS1_11target_archE4294967295ELNS1_3gpuE0ELNS1_3repE0EEENS1_36merge_oddeven_config_static_selectorELNS0_4arch9wavefront6targetE1EEEvSF_
    .private_segment_fixed_size: 0
    .sgpr_count:     4
    .sgpr_spill_count: 0
    .symbol:         _ZN7rocprim17ROCPRIM_400000_NS6detail17trampoline_kernelINS0_14default_configENS1_38merge_sort_block_merge_config_selectorIsNS0_10empty_typeEEEZZNS1_27merge_sort_block_merge_implIS3_PsPS5_jNS1_19radix_merge_compareILb0ELb0EsNS0_19identity_decomposerEEEEE10hipError_tT0_T1_T2_jT3_P12ihipStream_tbPNSt15iterator_traitsISE_E10value_typeEPNSK_ISF_E10value_typeEPSG_NS1_7vsmem_tEENKUlT_SE_SF_SG_E_clIS8_S8_S9_S9_EESD_ST_SE_SF_SG_EUlST_E1_NS1_11comp_targetILNS1_3genE0ELNS1_11target_archE4294967295ELNS1_3gpuE0ELNS1_3repE0EEENS1_36merge_oddeven_config_static_selectorELNS0_4arch9wavefront6targetE1EEEvSF_.kd
    .uniform_work_group_size: 1
    .uses_dynamic_stack: false
    .vgpr_count:     0
    .vgpr_spill_count: 0
    .wavefront_size: 64
  - .agpr_count:     0
    .args:
      - .offset:         0
        .size:           48
        .value_kind:     by_value
    .group_segment_fixed_size: 0
    .kernarg_segment_align: 8
    .kernarg_segment_size: 48
    .language:       OpenCL C
    .language_version:
      - 2
      - 0
    .max_flat_workgroup_size: 256
    .name:           _ZN7rocprim17ROCPRIM_400000_NS6detail17trampoline_kernelINS0_14default_configENS1_38merge_sort_block_merge_config_selectorIsNS0_10empty_typeEEEZZNS1_27merge_sort_block_merge_implIS3_PsPS5_jNS1_19radix_merge_compareILb0ELb0EsNS0_19identity_decomposerEEEEE10hipError_tT0_T1_T2_jT3_P12ihipStream_tbPNSt15iterator_traitsISE_E10value_typeEPNSK_ISF_E10value_typeEPSG_NS1_7vsmem_tEENKUlT_SE_SF_SG_E_clIS8_S8_S9_S9_EESD_ST_SE_SF_SG_EUlST_E1_NS1_11comp_targetILNS1_3genE10ELNS1_11target_archE1201ELNS1_3gpuE5ELNS1_3repE0EEENS1_36merge_oddeven_config_static_selectorELNS0_4arch9wavefront6targetE1EEEvSF_
    .private_segment_fixed_size: 0
    .sgpr_count:     4
    .sgpr_spill_count: 0
    .symbol:         _ZN7rocprim17ROCPRIM_400000_NS6detail17trampoline_kernelINS0_14default_configENS1_38merge_sort_block_merge_config_selectorIsNS0_10empty_typeEEEZZNS1_27merge_sort_block_merge_implIS3_PsPS5_jNS1_19radix_merge_compareILb0ELb0EsNS0_19identity_decomposerEEEEE10hipError_tT0_T1_T2_jT3_P12ihipStream_tbPNSt15iterator_traitsISE_E10value_typeEPNSK_ISF_E10value_typeEPSG_NS1_7vsmem_tEENKUlT_SE_SF_SG_E_clIS8_S8_S9_S9_EESD_ST_SE_SF_SG_EUlST_E1_NS1_11comp_targetILNS1_3genE10ELNS1_11target_archE1201ELNS1_3gpuE5ELNS1_3repE0EEENS1_36merge_oddeven_config_static_selectorELNS0_4arch9wavefront6targetE1EEEvSF_.kd
    .uniform_work_group_size: 1
    .uses_dynamic_stack: false
    .vgpr_count:     0
    .vgpr_spill_count: 0
    .wavefront_size: 64
  - .agpr_count:     0
    .args:
      - .offset:         0
        .size:           48
        .value_kind:     by_value
    .group_segment_fixed_size: 0
    .kernarg_segment_align: 8
    .kernarg_segment_size: 48
    .language:       OpenCL C
    .language_version:
      - 2
      - 0
    .max_flat_workgroup_size: 256
    .name:           _ZN7rocprim17ROCPRIM_400000_NS6detail17trampoline_kernelINS0_14default_configENS1_38merge_sort_block_merge_config_selectorIsNS0_10empty_typeEEEZZNS1_27merge_sort_block_merge_implIS3_PsPS5_jNS1_19radix_merge_compareILb0ELb0EsNS0_19identity_decomposerEEEEE10hipError_tT0_T1_T2_jT3_P12ihipStream_tbPNSt15iterator_traitsISE_E10value_typeEPNSK_ISF_E10value_typeEPSG_NS1_7vsmem_tEENKUlT_SE_SF_SG_E_clIS8_S8_S9_S9_EESD_ST_SE_SF_SG_EUlST_E1_NS1_11comp_targetILNS1_3genE5ELNS1_11target_archE942ELNS1_3gpuE9ELNS1_3repE0EEENS1_36merge_oddeven_config_static_selectorELNS0_4arch9wavefront6targetE1EEEvSF_
    .private_segment_fixed_size: 0
    .sgpr_count:     4
    .sgpr_spill_count: 0
    .symbol:         _ZN7rocprim17ROCPRIM_400000_NS6detail17trampoline_kernelINS0_14default_configENS1_38merge_sort_block_merge_config_selectorIsNS0_10empty_typeEEEZZNS1_27merge_sort_block_merge_implIS3_PsPS5_jNS1_19radix_merge_compareILb0ELb0EsNS0_19identity_decomposerEEEEE10hipError_tT0_T1_T2_jT3_P12ihipStream_tbPNSt15iterator_traitsISE_E10value_typeEPNSK_ISF_E10value_typeEPSG_NS1_7vsmem_tEENKUlT_SE_SF_SG_E_clIS8_S8_S9_S9_EESD_ST_SE_SF_SG_EUlST_E1_NS1_11comp_targetILNS1_3genE5ELNS1_11target_archE942ELNS1_3gpuE9ELNS1_3repE0EEENS1_36merge_oddeven_config_static_selectorELNS0_4arch9wavefront6targetE1EEEvSF_.kd
    .uniform_work_group_size: 1
    .uses_dynamic_stack: false
    .vgpr_count:     0
    .vgpr_spill_count: 0
    .wavefront_size: 64
  - .agpr_count:     0
    .args:
      - .offset:         0
        .size:           48
        .value_kind:     by_value
    .group_segment_fixed_size: 0
    .kernarg_segment_align: 8
    .kernarg_segment_size: 48
    .language:       OpenCL C
    .language_version:
      - 2
      - 0
    .max_flat_workgroup_size: 256
    .name:           _ZN7rocprim17ROCPRIM_400000_NS6detail17trampoline_kernelINS0_14default_configENS1_38merge_sort_block_merge_config_selectorIsNS0_10empty_typeEEEZZNS1_27merge_sort_block_merge_implIS3_PsPS5_jNS1_19radix_merge_compareILb0ELb0EsNS0_19identity_decomposerEEEEE10hipError_tT0_T1_T2_jT3_P12ihipStream_tbPNSt15iterator_traitsISE_E10value_typeEPNSK_ISF_E10value_typeEPSG_NS1_7vsmem_tEENKUlT_SE_SF_SG_E_clIS8_S8_S9_S9_EESD_ST_SE_SF_SG_EUlST_E1_NS1_11comp_targetILNS1_3genE4ELNS1_11target_archE910ELNS1_3gpuE8ELNS1_3repE0EEENS1_36merge_oddeven_config_static_selectorELNS0_4arch9wavefront6targetE1EEEvSF_
    .private_segment_fixed_size: 0
    .sgpr_count:     25
    .sgpr_spill_count: 0
    .symbol:         _ZN7rocprim17ROCPRIM_400000_NS6detail17trampoline_kernelINS0_14default_configENS1_38merge_sort_block_merge_config_selectorIsNS0_10empty_typeEEEZZNS1_27merge_sort_block_merge_implIS3_PsPS5_jNS1_19radix_merge_compareILb0ELb0EsNS0_19identity_decomposerEEEEE10hipError_tT0_T1_T2_jT3_P12ihipStream_tbPNSt15iterator_traitsISE_E10value_typeEPNSK_ISF_E10value_typeEPSG_NS1_7vsmem_tEENKUlT_SE_SF_SG_E_clIS8_S8_S9_S9_EESD_ST_SE_SF_SG_EUlST_E1_NS1_11comp_targetILNS1_3genE4ELNS1_11target_archE910ELNS1_3gpuE8ELNS1_3repE0EEENS1_36merge_oddeven_config_static_selectorELNS0_4arch9wavefront6targetE1EEEvSF_.kd
    .uniform_work_group_size: 1
    .uses_dynamic_stack: false
    .vgpr_count:     8
    .vgpr_spill_count: 0
    .wavefront_size: 64
  - .agpr_count:     0
    .args:
      - .offset:         0
        .size:           48
        .value_kind:     by_value
    .group_segment_fixed_size: 0
    .kernarg_segment_align: 8
    .kernarg_segment_size: 48
    .language:       OpenCL C
    .language_version:
      - 2
      - 0
    .max_flat_workgroup_size: 256
    .name:           _ZN7rocprim17ROCPRIM_400000_NS6detail17trampoline_kernelINS0_14default_configENS1_38merge_sort_block_merge_config_selectorIsNS0_10empty_typeEEEZZNS1_27merge_sort_block_merge_implIS3_PsPS5_jNS1_19radix_merge_compareILb0ELb0EsNS0_19identity_decomposerEEEEE10hipError_tT0_T1_T2_jT3_P12ihipStream_tbPNSt15iterator_traitsISE_E10value_typeEPNSK_ISF_E10value_typeEPSG_NS1_7vsmem_tEENKUlT_SE_SF_SG_E_clIS8_S8_S9_S9_EESD_ST_SE_SF_SG_EUlST_E1_NS1_11comp_targetILNS1_3genE3ELNS1_11target_archE908ELNS1_3gpuE7ELNS1_3repE0EEENS1_36merge_oddeven_config_static_selectorELNS0_4arch9wavefront6targetE1EEEvSF_
    .private_segment_fixed_size: 0
    .sgpr_count:     4
    .sgpr_spill_count: 0
    .symbol:         _ZN7rocprim17ROCPRIM_400000_NS6detail17trampoline_kernelINS0_14default_configENS1_38merge_sort_block_merge_config_selectorIsNS0_10empty_typeEEEZZNS1_27merge_sort_block_merge_implIS3_PsPS5_jNS1_19radix_merge_compareILb0ELb0EsNS0_19identity_decomposerEEEEE10hipError_tT0_T1_T2_jT3_P12ihipStream_tbPNSt15iterator_traitsISE_E10value_typeEPNSK_ISF_E10value_typeEPSG_NS1_7vsmem_tEENKUlT_SE_SF_SG_E_clIS8_S8_S9_S9_EESD_ST_SE_SF_SG_EUlST_E1_NS1_11comp_targetILNS1_3genE3ELNS1_11target_archE908ELNS1_3gpuE7ELNS1_3repE0EEENS1_36merge_oddeven_config_static_selectorELNS0_4arch9wavefront6targetE1EEEvSF_.kd
    .uniform_work_group_size: 1
    .uses_dynamic_stack: false
    .vgpr_count:     0
    .vgpr_spill_count: 0
    .wavefront_size: 64
  - .agpr_count:     0
    .args:
      - .offset:         0
        .size:           48
        .value_kind:     by_value
    .group_segment_fixed_size: 0
    .kernarg_segment_align: 8
    .kernarg_segment_size: 48
    .language:       OpenCL C
    .language_version:
      - 2
      - 0
    .max_flat_workgroup_size: 256
    .name:           _ZN7rocprim17ROCPRIM_400000_NS6detail17trampoline_kernelINS0_14default_configENS1_38merge_sort_block_merge_config_selectorIsNS0_10empty_typeEEEZZNS1_27merge_sort_block_merge_implIS3_PsPS5_jNS1_19radix_merge_compareILb0ELb0EsNS0_19identity_decomposerEEEEE10hipError_tT0_T1_T2_jT3_P12ihipStream_tbPNSt15iterator_traitsISE_E10value_typeEPNSK_ISF_E10value_typeEPSG_NS1_7vsmem_tEENKUlT_SE_SF_SG_E_clIS8_S8_S9_S9_EESD_ST_SE_SF_SG_EUlST_E1_NS1_11comp_targetILNS1_3genE2ELNS1_11target_archE906ELNS1_3gpuE6ELNS1_3repE0EEENS1_36merge_oddeven_config_static_selectorELNS0_4arch9wavefront6targetE1EEEvSF_
    .private_segment_fixed_size: 0
    .sgpr_count:     4
    .sgpr_spill_count: 0
    .symbol:         _ZN7rocprim17ROCPRIM_400000_NS6detail17trampoline_kernelINS0_14default_configENS1_38merge_sort_block_merge_config_selectorIsNS0_10empty_typeEEEZZNS1_27merge_sort_block_merge_implIS3_PsPS5_jNS1_19radix_merge_compareILb0ELb0EsNS0_19identity_decomposerEEEEE10hipError_tT0_T1_T2_jT3_P12ihipStream_tbPNSt15iterator_traitsISE_E10value_typeEPNSK_ISF_E10value_typeEPSG_NS1_7vsmem_tEENKUlT_SE_SF_SG_E_clIS8_S8_S9_S9_EESD_ST_SE_SF_SG_EUlST_E1_NS1_11comp_targetILNS1_3genE2ELNS1_11target_archE906ELNS1_3gpuE6ELNS1_3repE0EEENS1_36merge_oddeven_config_static_selectorELNS0_4arch9wavefront6targetE1EEEvSF_.kd
    .uniform_work_group_size: 1
    .uses_dynamic_stack: false
    .vgpr_count:     0
    .vgpr_spill_count: 0
    .wavefront_size: 64
  - .agpr_count:     0
    .args:
      - .offset:         0
        .size:           48
        .value_kind:     by_value
    .group_segment_fixed_size: 0
    .kernarg_segment_align: 8
    .kernarg_segment_size: 48
    .language:       OpenCL C
    .language_version:
      - 2
      - 0
    .max_flat_workgroup_size: 256
    .name:           _ZN7rocprim17ROCPRIM_400000_NS6detail17trampoline_kernelINS0_14default_configENS1_38merge_sort_block_merge_config_selectorIsNS0_10empty_typeEEEZZNS1_27merge_sort_block_merge_implIS3_PsPS5_jNS1_19radix_merge_compareILb0ELb0EsNS0_19identity_decomposerEEEEE10hipError_tT0_T1_T2_jT3_P12ihipStream_tbPNSt15iterator_traitsISE_E10value_typeEPNSK_ISF_E10value_typeEPSG_NS1_7vsmem_tEENKUlT_SE_SF_SG_E_clIS8_S8_S9_S9_EESD_ST_SE_SF_SG_EUlST_E1_NS1_11comp_targetILNS1_3genE9ELNS1_11target_archE1100ELNS1_3gpuE3ELNS1_3repE0EEENS1_36merge_oddeven_config_static_selectorELNS0_4arch9wavefront6targetE1EEEvSF_
    .private_segment_fixed_size: 0
    .sgpr_count:     4
    .sgpr_spill_count: 0
    .symbol:         _ZN7rocprim17ROCPRIM_400000_NS6detail17trampoline_kernelINS0_14default_configENS1_38merge_sort_block_merge_config_selectorIsNS0_10empty_typeEEEZZNS1_27merge_sort_block_merge_implIS3_PsPS5_jNS1_19radix_merge_compareILb0ELb0EsNS0_19identity_decomposerEEEEE10hipError_tT0_T1_T2_jT3_P12ihipStream_tbPNSt15iterator_traitsISE_E10value_typeEPNSK_ISF_E10value_typeEPSG_NS1_7vsmem_tEENKUlT_SE_SF_SG_E_clIS8_S8_S9_S9_EESD_ST_SE_SF_SG_EUlST_E1_NS1_11comp_targetILNS1_3genE9ELNS1_11target_archE1100ELNS1_3gpuE3ELNS1_3repE0EEENS1_36merge_oddeven_config_static_selectorELNS0_4arch9wavefront6targetE1EEEvSF_.kd
    .uniform_work_group_size: 1
    .uses_dynamic_stack: false
    .vgpr_count:     0
    .vgpr_spill_count: 0
    .wavefront_size: 64
  - .agpr_count:     0
    .args:
      - .offset:         0
        .size:           48
        .value_kind:     by_value
    .group_segment_fixed_size: 0
    .kernarg_segment_align: 8
    .kernarg_segment_size: 48
    .language:       OpenCL C
    .language_version:
      - 2
      - 0
    .max_flat_workgroup_size: 256
    .name:           _ZN7rocprim17ROCPRIM_400000_NS6detail17trampoline_kernelINS0_14default_configENS1_38merge_sort_block_merge_config_selectorIsNS0_10empty_typeEEEZZNS1_27merge_sort_block_merge_implIS3_PsPS5_jNS1_19radix_merge_compareILb0ELb0EsNS0_19identity_decomposerEEEEE10hipError_tT0_T1_T2_jT3_P12ihipStream_tbPNSt15iterator_traitsISE_E10value_typeEPNSK_ISF_E10value_typeEPSG_NS1_7vsmem_tEENKUlT_SE_SF_SG_E_clIS8_S8_S9_S9_EESD_ST_SE_SF_SG_EUlST_E1_NS1_11comp_targetILNS1_3genE8ELNS1_11target_archE1030ELNS1_3gpuE2ELNS1_3repE0EEENS1_36merge_oddeven_config_static_selectorELNS0_4arch9wavefront6targetE1EEEvSF_
    .private_segment_fixed_size: 0
    .sgpr_count:     4
    .sgpr_spill_count: 0
    .symbol:         _ZN7rocprim17ROCPRIM_400000_NS6detail17trampoline_kernelINS0_14default_configENS1_38merge_sort_block_merge_config_selectorIsNS0_10empty_typeEEEZZNS1_27merge_sort_block_merge_implIS3_PsPS5_jNS1_19radix_merge_compareILb0ELb0EsNS0_19identity_decomposerEEEEE10hipError_tT0_T1_T2_jT3_P12ihipStream_tbPNSt15iterator_traitsISE_E10value_typeEPNSK_ISF_E10value_typeEPSG_NS1_7vsmem_tEENKUlT_SE_SF_SG_E_clIS8_S8_S9_S9_EESD_ST_SE_SF_SG_EUlST_E1_NS1_11comp_targetILNS1_3genE8ELNS1_11target_archE1030ELNS1_3gpuE2ELNS1_3repE0EEENS1_36merge_oddeven_config_static_selectorELNS0_4arch9wavefront6targetE1EEEvSF_.kd
    .uniform_work_group_size: 1
    .uses_dynamic_stack: false
    .vgpr_count:     0
    .vgpr_spill_count: 0
    .wavefront_size: 64
  - .agpr_count:     0
    .args:
      - .offset:         0
        .size:           40
        .value_kind:     by_value
    .group_segment_fixed_size: 0
    .kernarg_segment_align: 8
    .kernarg_segment_size: 40
    .language:       OpenCL C
    .language_version:
      - 2
      - 0
    .max_flat_workgroup_size: 128
    .name:           _ZN7rocprim17ROCPRIM_400000_NS6detail17trampoline_kernelINS0_14default_configENS1_25transform_config_selectorIsLb1EEEZNS1_14transform_implILb1ES3_S5_PsS7_NS0_8identityIsEEEE10hipError_tT2_T3_mT4_P12ihipStream_tbEUlT_E_NS1_11comp_targetILNS1_3genE0ELNS1_11target_archE4294967295ELNS1_3gpuE0ELNS1_3repE0EEENS1_30default_config_static_selectorELNS0_4arch9wavefront6targetE1EEEvT1_
    .private_segment_fixed_size: 0
    .sgpr_count:     4
    .sgpr_spill_count: 0
    .symbol:         _ZN7rocprim17ROCPRIM_400000_NS6detail17trampoline_kernelINS0_14default_configENS1_25transform_config_selectorIsLb1EEEZNS1_14transform_implILb1ES3_S5_PsS7_NS0_8identityIsEEEE10hipError_tT2_T3_mT4_P12ihipStream_tbEUlT_E_NS1_11comp_targetILNS1_3genE0ELNS1_11target_archE4294967295ELNS1_3gpuE0ELNS1_3repE0EEENS1_30default_config_static_selectorELNS0_4arch9wavefront6targetE1EEEvT1_.kd
    .uniform_work_group_size: 1
    .uses_dynamic_stack: false
    .vgpr_count:     0
    .vgpr_spill_count: 0
    .wavefront_size: 64
  - .agpr_count:     0
    .args:
      - .offset:         0
        .size:           40
        .value_kind:     by_value
    .group_segment_fixed_size: 0
    .kernarg_segment_align: 8
    .kernarg_segment_size: 40
    .language:       OpenCL C
    .language_version:
      - 2
      - 0
    .max_flat_workgroup_size: 64
    .name:           _ZN7rocprim17ROCPRIM_400000_NS6detail17trampoline_kernelINS0_14default_configENS1_25transform_config_selectorIsLb1EEEZNS1_14transform_implILb1ES3_S5_PsS7_NS0_8identityIsEEEE10hipError_tT2_T3_mT4_P12ihipStream_tbEUlT_E_NS1_11comp_targetILNS1_3genE10ELNS1_11target_archE1201ELNS1_3gpuE5ELNS1_3repE0EEENS1_30default_config_static_selectorELNS0_4arch9wavefront6targetE1EEEvT1_
    .private_segment_fixed_size: 0
    .sgpr_count:     4
    .sgpr_spill_count: 0
    .symbol:         _ZN7rocprim17ROCPRIM_400000_NS6detail17trampoline_kernelINS0_14default_configENS1_25transform_config_selectorIsLb1EEEZNS1_14transform_implILb1ES3_S5_PsS7_NS0_8identityIsEEEE10hipError_tT2_T3_mT4_P12ihipStream_tbEUlT_E_NS1_11comp_targetILNS1_3genE10ELNS1_11target_archE1201ELNS1_3gpuE5ELNS1_3repE0EEENS1_30default_config_static_selectorELNS0_4arch9wavefront6targetE1EEEvT1_.kd
    .uniform_work_group_size: 1
    .uses_dynamic_stack: false
    .vgpr_count:     0
    .vgpr_spill_count: 0
    .wavefront_size: 64
  - .agpr_count:     0
    .args:
      - .offset:         0
        .size:           40
        .value_kind:     by_value
    .group_segment_fixed_size: 0
    .kernarg_segment_align: 8
    .kernarg_segment_size: 40
    .language:       OpenCL C
    .language_version:
      - 2
      - 0
    .max_flat_workgroup_size: 256
    .name:           _ZN7rocprim17ROCPRIM_400000_NS6detail17trampoline_kernelINS0_14default_configENS1_25transform_config_selectorIsLb1EEEZNS1_14transform_implILb1ES3_S5_PsS7_NS0_8identityIsEEEE10hipError_tT2_T3_mT4_P12ihipStream_tbEUlT_E_NS1_11comp_targetILNS1_3genE5ELNS1_11target_archE942ELNS1_3gpuE9ELNS1_3repE0EEENS1_30default_config_static_selectorELNS0_4arch9wavefront6targetE1EEEvT1_
    .private_segment_fixed_size: 0
    .sgpr_count:     4
    .sgpr_spill_count: 0
    .symbol:         _ZN7rocprim17ROCPRIM_400000_NS6detail17trampoline_kernelINS0_14default_configENS1_25transform_config_selectorIsLb1EEEZNS1_14transform_implILb1ES3_S5_PsS7_NS0_8identityIsEEEE10hipError_tT2_T3_mT4_P12ihipStream_tbEUlT_E_NS1_11comp_targetILNS1_3genE5ELNS1_11target_archE942ELNS1_3gpuE9ELNS1_3repE0EEENS1_30default_config_static_selectorELNS0_4arch9wavefront6targetE1EEEvT1_.kd
    .uniform_work_group_size: 1
    .uses_dynamic_stack: false
    .vgpr_count:     0
    .vgpr_spill_count: 0
    .wavefront_size: 64
  - .agpr_count:     0
    .args:
      - .offset:         0
        .size:           40
        .value_kind:     by_value
      - .offset:         40
        .size:           4
        .value_kind:     hidden_block_count_x
      - .offset:         44
        .size:           4
        .value_kind:     hidden_block_count_y
      - .offset:         48
        .size:           4
        .value_kind:     hidden_block_count_z
      - .offset:         52
        .size:           2
        .value_kind:     hidden_group_size_x
      - .offset:         54
        .size:           2
        .value_kind:     hidden_group_size_y
      - .offset:         56
        .size:           2
        .value_kind:     hidden_group_size_z
      - .offset:         58
        .size:           2
        .value_kind:     hidden_remainder_x
      - .offset:         60
        .size:           2
        .value_kind:     hidden_remainder_y
      - .offset:         62
        .size:           2
        .value_kind:     hidden_remainder_z
      - .offset:         80
        .size:           8
        .value_kind:     hidden_global_offset_x
      - .offset:         88
        .size:           8
        .value_kind:     hidden_global_offset_y
      - .offset:         96
        .size:           8
        .value_kind:     hidden_global_offset_z
      - .offset:         104
        .size:           2
        .value_kind:     hidden_grid_dims
    .group_segment_fixed_size: 0
    .kernarg_segment_align: 8
    .kernarg_segment_size: 296
    .language:       OpenCL C
    .language_version:
      - 2
      - 0
    .max_flat_workgroup_size: 1024
    .name:           _ZN7rocprim17ROCPRIM_400000_NS6detail17trampoline_kernelINS0_14default_configENS1_25transform_config_selectorIsLb1EEEZNS1_14transform_implILb1ES3_S5_PsS7_NS0_8identityIsEEEE10hipError_tT2_T3_mT4_P12ihipStream_tbEUlT_E_NS1_11comp_targetILNS1_3genE4ELNS1_11target_archE910ELNS1_3gpuE8ELNS1_3repE0EEENS1_30default_config_static_selectorELNS0_4arch9wavefront6targetE1EEEvT1_
    .private_segment_fixed_size: 0
    .sgpr_count:     26
    .sgpr_spill_count: 0
    .symbol:         _ZN7rocprim17ROCPRIM_400000_NS6detail17trampoline_kernelINS0_14default_configENS1_25transform_config_selectorIsLb1EEEZNS1_14transform_implILb1ES3_S5_PsS7_NS0_8identityIsEEEE10hipError_tT2_T3_mT4_P12ihipStream_tbEUlT_E_NS1_11comp_targetILNS1_3genE4ELNS1_11target_archE910ELNS1_3gpuE8ELNS1_3repE0EEENS1_30default_config_static_selectorELNS0_4arch9wavefront6targetE1EEEvT1_.kd
    .uniform_work_group_size: 1
    .uses_dynamic_stack: false
    .vgpr_count:     8
    .vgpr_spill_count: 0
    .wavefront_size: 64
  - .agpr_count:     0
    .args:
      - .offset:         0
        .size:           40
        .value_kind:     by_value
    .group_segment_fixed_size: 0
    .kernarg_segment_align: 8
    .kernarg_segment_size: 40
    .language:       OpenCL C
    .language_version:
      - 2
      - 0
    .max_flat_workgroup_size: 128
    .name:           _ZN7rocprim17ROCPRIM_400000_NS6detail17trampoline_kernelINS0_14default_configENS1_25transform_config_selectorIsLb1EEEZNS1_14transform_implILb1ES3_S5_PsS7_NS0_8identityIsEEEE10hipError_tT2_T3_mT4_P12ihipStream_tbEUlT_E_NS1_11comp_targetILNS1_3genE3ELNS1_11target_archE908ELNS1_3gpuE7ELNS1_3repE0EEENS1_30default_config_static_selectorELNS0_4arch9wavefront6targetE1EEEvT1_
    .private_segment_fixed_size: 0
    .sgpr_count:     4
    .sgpr_spill_count: 0
    .symbol:         _ZN7rocprim17ROCPRIM_400000_NS6detail17trampoline_kernelINS0_14default_configENS1_25transform_config_selectorIsLb1EEEZNS1_14transform_implILb1ES3_S5_PsS7_NS0_8identityIsEEEE10hipError_tT2_T3_mT4_P12ihipStream_tbEUlT_E_NS1_11comp_targetILNS1_3genE3ELNS1_11target_archE908ELNS1_3gpuE7ELNS1_3repE0EEENS1_30default_config_static_selectorELNS0_4arch9wavefront6targetE1EEEvT1_.kd
    .uniform_work_group_size: 1
    .uses_dynamic_stack: false
    .vgpr_count:     0
    .vgpr_spill_count: 0
    .wavefront_size: 64
  - .agpr_count:     0
    .args:
      - .offset:         0
        .size:           40
        .value_kind:     by_value
    .group_segment_fixed_size: 0
    .kernarg_segment_align: 8
    .kernarg_segment_size: 40
    .language:       OpenCL C
    .language_version:
      - 2
      - 0
    .max_flat_workgroup_size: 1024
    .name:           _ZN7rocprim17ROCPRIM_400000_NS6detail17trampoline_kernelINS0_14default_configENS1_25transform_config_selectorIsLb1EEEZNS1_14transform_implILb1ES3_S5_PsS7_NS0_8identityIsEEEE10hipError_tT2_T3_mT4_P12ihipStream_tbEUlT_E_NS1_11comp_targetILNS1_3genE2ELNS1_11target_archE906ELNS1_3gpuE6ELNS1_3repE0EEENS1_30default_config_static_selectorELNS0_4arch9wavefront6targetE1EEEvT1_
    .private_segment_fixed_size: 0
    .sgpr_count:     4
    .sgpr_spill_count: 0
    .symbol:         _ZN7rocprim17ROCPRIM_400000_NS6detail17trampoline_kernelINS0_14default_configENS1_25transform_config_selectorIsLb1EEEZNS1_14transform_implILb1ES3_S5_PsS7_NS0_8identityIsEEEE10hipError_tT2_T3_mT4_P12ihipStream_tbEUlT_E_NS1_11comp_targetILNS1_3genE2ELNS1_11target_archE906ELNS1_3gpuE6ELNS1_3repE0EEENS1_30default_config_static_selectorELNS0_4arch9wavefront6targetE1EEEvT1_.kd
    .uniform_work_group_size: 1
    .uses_dynamic_stack: false
    .vgpr_count:     0
    .vgpr_spill_count: 0
    .wavefront_size: 64
  - .agpr_count:     0
    .args:
      - .offset:         0
        .size:           40
        .value_kind:     by_value
    .group_segment_fixed_size: 0
    .kernarg_segment_align: 8
    .kernarg_segment_size: 40
    .language:       OpenCL C
    .language_version:
      - 2
      - 0
    .max_flat_workgroup_size: 1024
    .name:           _ZN7rocprim17ROCPRIM_400000_NS6detail17trampoline_kernelINS0_14default_configENS1_25transform_config_selectorIsLb1EEEZNS1_14transform_implILb1ES3_S5_PsS7_NS0_8identityIsEEEE10hipError_tT2_T3_mT4_P12ihipStream_tbEUlT_E_NS1_11comp_targetILNS1_3genE9ELNS1_11target_archE1100ELNS1_3gpuE3ELNS1_3repE0EEENS1_30default_config_static_selectorELNS0_4arch9wavefront6targetE1EEEvT1_
    .private_segment_fixed_size: 0
    .sgpr_count:     4
    .sgpr_spill_count: 0
    .symbol:         _ZN7rocprim17ROCPRIM_400000_NS6detail17trampoline_kernelINS0_14default_configENS1_25transform_config_selectorIsLb1EEEZNS1_14transform_implILb1ES3_S5_PsS7_NS0_8identityIsEEEE10hipError_tT2_T3_mT4_P12ihipStream_tbEUlT_E_NS1_11comp_targetILNS1_3genE9ELNS1_11target_archE1100ELNS1_3gpuE3ELNS1_3repE0EEENS1_30default_config_static_selectorELNS0_4arch9wavefront6targetE1EEEvT1_.kd
    .uniform_work_group_size: 1
    .uses_dynamic_stack: false
    .vgpr_count:     0
    .vgpr_spill_count: 0
    .wavefront_size: 64
  - .agpr_count:     0
    .args:
      - .offset:         0
        .size:           40
        .value_kind:     by_value
    .group_segment_fixed_size: 0
    .kernarg_segment_align: 8
    .kernarg_segment_size: 40
    .language:       OpenCL C
    .language_version:
      - 2
      - 0
    .max_flat_workgroup_size: 1024
    .name:           _ZN7rocprim17ROCPRIM_400000_NS6detail17trampoline_kernelINS0_14default_configENS1_25transform_config_selectorIsLb1EEEZNS1_14transform_implILb1ES3_S5_PsS7_NS0_8identityIsEEEE10hipError_tT2_T3_mT4_P12ihipStream_tbEUlT_E_NS1_11comp_targetILNS1_3genE8ELNS1_11target_archE1030ELNS1_3gpuE2ELNS1_3repE0EEENS1_30default_config_static_selectorELNS0_4arch9wavefront6targetE1EEEvT1_
    .private_segment_fixed_size: 0
    .sgpr_count:     4
    .sgpr_spill_count: 0
    .symbol:         _ZN7rocprim17ROCPRIM_400000_NS6detail17trampoline_kernelINS0_14default_configENS1_25transform_config_selectorIsLb1EEEZNS1_14transform_implILb1ES3_S5_PsS7_NS0_8identityIsEEEE10hipError_tT2_T3_mT4_P12ihipStream_tbEUlT_E_NS1_11comp_targetILNS1_3genE8ELNS1_11target_archE1030ELNS1_3gpuE2ELNS1_3repE0EEENS1_30default_config_static_selectorELNS0_4arch9wavefront6targetE1EEEvT1_.kd
    .uniform_work_group_size: 1
    .uses_dynamic_stack: false
    .vgpr_count:     0
    .vgpr_spill_count: 0
    .wavefront_size: 64
  - .agpr_count:     0
    .args:
      - .offset:         0
        .size:           40
        .value_kind:     by_value
    .group_segment_fixed_size: 0
    .kernarg_segment_align: 8
    .kernarg_segment_size: 40
    .language:       OpenCL C
    .language_version:
      - 2
      - 0
    .max_flat_workgroup_size: 128
    .name:           _ZN7rocprim17ROCPRIM_400000_NS6detail17trampoline_kernelINS0_14default_configENS1_38merge_sort_block_merge_config_selectorIsNS0_10empty_typeEEEZZNS1_27merge_sort_block_merge_implIS3_PsPS5_jNS1_19radix_merge_compareILb0ELb1EsNS0_19identity_decomposerEEEEE10hipError_tT0_T1_T2_jT3_P12ihipStream_tbPNSt15iterator_traitsISE_E10value_typeEPNSK_ISF_E10value_typeEPSG_NS1_7vsmem_tEENKUlT_SE_SF_SG_E_clIS8_S8_S9_S9_EESD_ST_SE_SF_SG_EUlST_E_NS1_11comp_targetILNS1_3genE0ELNS1_11target_archE4294967295ELNS1_3gpuE0ELNS1_3repE0EEENS1_48merge_mergepath_partition_config_static_selectorELNS0_4arch9wavefront6targetE1EEEvSF_
    .private_segment_fixed_size: 0
    .sgpr_count:     4
    .sgpr_spill_count: 0
    .symbol:         _ZN7rocprim17ROCPRIM_400000_NS6detail17trampoline_kernelINS0_14default_configENS1_38merge_sort_block_merge_config_selectorIsNS0_10empty_typeEEEZZNS1_27merge_sort_block_merge_implIS3_PsPS5_jNS1_19radix_merge_compareILb0ELb1EsNS0_19identity_decomposerEEEEE10hipError_tT0_T1_T2_jT3_P12ihipStream_tbPNSt15iterator_traitsISE_E10value_typeEPNSK_ISF_E10value_typeEPSG_NS1_7vsmem_tEENKUlT_SE_SF_SG_E_clIS8_S8_S9_S9_EESD_ST_SE_SF_SG_EUlST_E_NS1_11comp_targetILNS1_3genE0ELNS1_11target_archE4294967295ELNS1_3gpuE0ELNS1_3repE0EEENS1_48merge_mergepath_partition_config_static_selectorELNS0_4arch9wavefront6targetE1EEEvSF_.kd
    .uniform_work_group_size: 1
    .uses_dynamic_stack: false
    .vgpr_count:     0
    .vgpr_spill_count: 0
    .wavefront_size: 64
  - .agpr_count:     0
    .args:
      - .offset:         0
        .size:           40
        .value_kind:     by_value
    .group_segment_fixed_size: 0
    .kernarg_segment_align: 8
    .kernarg_segment_size: 40
    .language:       OpenCL C
    .language_version:
      - 2
      - 0
    .max_flat_workgroup_size: 128
    .name:           _ZN7rocprim17ROCPRIM_400000_NS6detail17trampoline_kernelINS0_14default_configENS1_38merge_sort_block_merge_config_selectorIsNS0_10empty_typeEEEZZNS1_27merge_sort_block_merge_implIS3_PsPS5_jNS1_19radix_merge_compareILb0ELb1EsNS0_19identity_decomposerEEEEE10hipError_tT0_T1_T2_jT3_P12ihipStream_tbPNSt15iterator_traitsISE_E10value_typeEPNSK_ISF_E10value_typeEPSG_NS1_7vsmem_tEENKUlT_SE_SF_SG_E_clIS8_S8_S9_S9_EESD_ST_SE_SF_SG_EUlST_E_NS1_11comp_targetILNS1_3genE10ELNS1_11target_archE1201ELNS1_3gpuE5ELNS1_3repE0EEENS1_48merge_mergepath_partition_config_static_selectorELNS0_4arch9wavefront6targetE1EEEvSF_
    .private_segment_fixed_size: 0
    .sgpr_count:     4
    .sgpr_spill_count: 0
    .symbol:         _ZN7rocprim17ROCPRIM_400000_NS6detail17trampoline_kernelINS0_14default_configENS1_38merge_sort_block_merge_config_selectorIsNS0_10empty_typeEEEZZNS1_27merge_sort_block_merge_implIS3_PsPS5_jNS1_19radix_merge_compareILb0ELb1EsNS0_19identity_decomposerEEEEE10hipError_tT0_T1_T2_jT3_P12ihipStream_tbPNSt15iterator_traitsISE_E10value_typeEPNSK_ISF_E10value_typeEPSG_NS1_7vsmem_tEENKUlT_SE_SF_SG_E_clIS8_S8_S9_S9_EESD_ST_SE_SF_SG_EUlST_E_NS1_11comp_targetILNS1_3genE10ELNS1_11target_archE1201ELNS1_3gpuE5ELNS1_3repE0EEENS1_48merge_mergepath_partition_config_static_selectorELNS0_4arch9wavefront6targetE1EEEvSF_.kd
    .uniform_work_group_size: 1
    .uses_dynamic_stack: false
    .vgpr_count:     0
    .vgpr_spill_count: 0
    .wavefront_size: 64
  - .agpr_count:     0
    .args:
      - .offset:         0
        .size:           40
        .value_kind:     by_value
    .group_segment_fixed_size: 0
    .kernarg_segment_align: 8
    .kernarg_segment_size: 40
    .language:       OpenCL C
    .language_version:
      - 2
      - 0
    .max_flat_workgroup_size: 128
    .name:           _ZN7rocprim17ROCPRIM_400000_NS6detail17trampoline_kernelINS0_14default_configENS1_38merge_sort_block_merge_config_selectorIsNS0_10empty_typeEEEZZNS1_27merge_sort_block_merge_implIS3_PsPS5_jNS1_19radix_merge_compareILb0ELb1EsNS0_19identity_decomposerEEEEE10hipError_tT0_T1_T2_jT3_P12ihipStream_tbPNSt15iterator_traitsISE_E10value_typeEPNSK_ISF_E10value_typeEPSG_NS1_7vsmem_tEENKUlT_SE_SF_SG_E_clIS8_S8_S9_S9_EESD_ST_SE_SF_SG_EUlST_E_NS1_11comp_targetILNS1_3genE5ELNS1_11target_archE942ELNS1_3gpuE9ELNS1_3repE0EEENS1_48merge_mergepath_partition_config_static_selectorELNS0_4arch9wavefront6targetE1EEEvSF_
    .private_segment_fixed_size: 0
    .sgpr_count:     4
    .sgpr_spill_count: 0
    .symbol:         _ZN7rocprim17ROCPRIM_400000_NS6detail17trampoline_kernelINS0_14default_configENS1_38merge_sort_block_merge_config_selectorIsNS0_10empty_typeEEEZZNS1_27merge_sort_block_merge_implIS3_PsPS5_jNS1_19radix_merge_compareILb0ELb1EsNS0_19identity_decomposerEEEEE10hipError_tT0_T1_T2_jT3_P12ihipStream_tbPNSt15iterator_traitsISE_E10value_typeEPNSK_ISF_E10value_typeEPSG_NS1_7vsmem_tEENKUlT_SE_SF_SG_E_clIS8_S8_S9_S9_EESD_ST_SE_SF_SG_EUlST_E_NS1_11comp_targetILNS1_3genE5ELNS1_11target_archE942ELNS1_3gpuE9ELNS1_3repE0EEENS1_48merge_mergepath_partition_config_static_selectorELNS0_4arch9wavefront6targetE1EEEvSF_.kd
    .uniform_work_group_size: 1
    .uses_dynamic_stack: false
    .vgpr_count:     0
    .vgpr_spill_count: 0
    .wavefront_size: 64
  - .agpr_count:     0
    .args:
      - .offset:         0
        .size:           40
        .value_kind:     by_value
    .group_segment_fixed_size: 0
    .kernarg_segment_align: 8
    .kernarg_segment_size: 40
    .language:       OpenCL C
    .language_version:
      - 2
      - 0
    .max_flat_workgroup_size: 128
    .name:           _ZN7rocprim17ROCPRIM_400000_NS6detail17trampoline_kernelINS0_14default_configENS1_38merge_sort_block_merge_config_selectorIsNS0_10empty_typeEEEZZNS1_27merge_sort_block_merge_implIS3_PsPS5_jNS1_19radix_merge_compareILb0ELb1EsNS0_19identity_decomposerEEEEE10hipError_tT0_T1_T2_jT3_P12ihipStream_tbPNSt15iterator_traitsISE_E10value_typeEPNSK_ISF_E10value_typeEPSG_NS1_7vsmem_tEENKUlT_SE_SF_SG_E_clIS8_S8_S9_S9_EESD_ST_SE_SF_SG_EUlST_E_NS1_11comp_targetILNS1_3genE4ELNS1_11target_archE910ELNS1_3gpuE8ELNS1_3repE0EEENS1_48merge_mergepath_partition_config_static_selectorELNS0_4arch9wavefront6targetE1EEEvSF_
    .private_segment_fixed_size: 0
    .sgpr_count:     14
    .sgpr_spill_count: 0
    .symbol:         _ZN7rocprim17ROCPRIM_400000_NS6detail17trampoline_kernelINS0_14default_configENS1_38merge_sort_block_merge_config_selectorIsNS0_10empty_typeEEEZZNS1_27merge_sort_block_merge_implIS3_PsPS5_jNS1_19radix_merge_compareILb0ELb1EsNS0_19identity_decomposerEEEEE10hipError_tT0_T1_T2_jT3_P12ihipStream_tbPNSt15iterator_traitsISE_E10value_typeEPNSK_ISF_E10value_typeEPSG_NS1_7vsmem_tEENKUlT_SE_SF_SG_E_clIS8_S8_S9_S9_EESD_ST_SE_SF_SG_EUlST_E_NS1_11comp_targetILNS1_3genE4ELNS1_11target_archE910ELNS1_3gpuE8ELNS1_3repE0EEENS1_48merge_mergepath_partition_config_static_selectorELNS0_4arch9wavefront6targetE1EEEvSF_.kd
    .uniform_work_group_size: 1
    .uses_dynamic_stack: false
    .vgpr_count:     15
    .vgpr_spill_count: 0
    .wavefront_size: 64
  - .agpr_count:     0
    .args:
      - .offset:         0
        .size:           40
        .value_kind:     by_value
    .group_segment_fixed_size: 0
    .kernarg_segment_align: 8
    .kernarg_segment_size: 40
    .language:       OpenCL C
    .language_version:
      - 2
      - 0
    .max_flat_workgroup_size: 128
    .name:           _ZN7rocprim17ROCPRIM_400000_NS6detail17trampoline_kernelINS0_14default_configENS1_38merge_sort_block_merge_config_selectorIsNS0_10empty_typeEEEZZNS1_27merge_sort_block_merge_implIS3_PsPS5_jNS1_19radix_merge_compareILb0ELb1EsNS0_19identity_decomposerEEEEE10hipError_tT0_T1_T2_jT3_P12ihipStream_tbPNSt15iterator_traitsISE_E10value_typeEPNSK_ISF_E10value_typeEPSG_NS1_7vsmem_tEENKUlT_SE_SF_SG_E_clIS8_S8_S9_S9_EESD_ST_SE_SF_SG_EUlST_E_NS1_11comp_targetILNS1_3genE3ELNS1_11target_archE908ELNS1_3gpuE7ELNS1_3repE0EEENS1_48merge_mergepath_partition_config_static_selectorELNS0_4arch9wavefront6targetE1EEEvSF_
    .private_segment_fixed_size: 0
    .sgpr_count:     4
    .sgpr_spill_count: 0
    .symbol:         _ZN7rocprim17ROCPRIM_400000_NS6detail17trampoline_kernelINS0_14default_configENS1_38merge_sort_block_merge_config_selectorIsNS0_10empty_typeEEEZZNS1_27merge_sort_block_merge_implIS3_PsPS5_jNS1_19radix_merge_compareILb0ELb1EsNS0_19identity_decomposerEEEEE10hipError_tT0_T1_T2_jT3_P12ihipStream_tbPNSt15iterator_traitsISE_E10value_typeEPNSK_ISF_E10value_typeEPSG_NS1_7vsmem_tEENKUlT_SE_SF_SG_E_clIS8_S8_S9_S9_EESD_ST_SE_SF_SG_EUlST_E_NS1_11comp_targetILNS1_3genE3ELNS1_11target_archE908ELNS1_3gpuE7ELNS1_3repE0EEENS1_48merge_mergepath_partition_config_static_selectorELNS0_4arch9wavefront6targetE1EEEvSF_.kd
    .uniform_work_group_size: 1
    .uses_dynamic_stack: false
    .vgpr_count:     0
    .vgpr_spill_count: 0
    .wavefront_size: 64
  - .agpr_count:     0
    .args:
      - .offset:         0
        .size:           40
        .value_kind:     by_value
    .group_segment_fixed_size: 0
    .kernarg_segment_align: 8
    .kernarg_segment_size: 40
    .language:       OpenCL C
    .language_version:
      - 2
      - 0
    .max_flat_workgroup_size: 128
    .name:           _ZN7rocprim17ROCPRIM_400000_NS6detail17trampoline_kernelINS0_14default_configENS1_38merge_sort_block_merge_config_selectorIsNS0_10empty_typeEEEZZNS1_27merge_sort_block_merge_implIS3_PsPS5_jNS1_19radix_merge_compareILb0ELb1EsNS0_19identity_decomposerEEEEE10hipError_tT0_T1_T2_jT3_P12ihipStream_tbPNSt15iterator_traitsISE_E10value_typeEPNSK_ISF_E10value_typeEPSG_NS1_7vsmem_tEENKUlT_SE_SF_SG_E_clIS8_S8_S9_S9_EESD_ST_SE_SF_SG_EUlST_E_NS1_11comp_targetILNS1_3genE2ELNS1_11target_archE906ELNS1_3gpuE6ELNS1_3repE0EEENS1_48merge_mergepath_partition_config_static_selectorELNS0_4arch9wavefront6targetE1EEEvSF_
    .private_segment_fixed_size: 0
    .sgpr_count:     4
    .sgpr_spill_count: 0
    .symbol:         _ZN7rocprim17ROCPRIM_400000_NS6detail17trampoline_kernelINS0_14default_configENS1_38merge_sort_block_merge_config_selectorIsNS0_10empty_typeEEEZZNS1_27merge_sort_block_merge_implIS3_PsPS5_jNS1_19radix_merge_compareILb0ELb1EsNS0_19identity_decomposerEEEEE10hipError_tT0_T1_T2_jT3_P12ihipStream_tbPNSt15iterator_traitsISE_E10value_typeEPNSK_ISF_E10value_typeEPSG_NS1_7vsmem_tEENKUlT_SE_SF_SG_E_clIS8_S8_S9_S9_EESD_ST_SE_SF_SG_EUlST_E_NS1_11comp_targetILNS1_3genE2ELNS1_11target_archE906ELNS1_3gpuE6ELNS1_3repE0EEENS1_48merge_mergepath_partition_config_static_selectorELNS0_4arch9wavefront6targetE1EEEvSF_.kd
    .uniform_work_group_size: 1
    .uses_dynamic_stack: false
    .vgpr_count:     0
    .vgpr_spill_count: 0
    .wavefront_size: 64
  - .agpr_count:     0
    .args:
      - .offset:         0
        .size:           40
        .value_kind:     by_value
    .group_segment_fixed_size: 0
    .kernarg_segment_align: 8
    .kernarg_segment_size: 40
    .language:       OpenCL C
    .language_version:
      - 2
      - 0
    .max_flat_workgroup_size: 128
    .name:           _ZN7rocprim17ROCPRIM_400000_NS6detail17trampoline_kernelINS0_14default_configENS1_38merge_sort_block_merge_config_selectorIsNS0_10empty_typeEEEZZNS1_27merge_sort_block_merge_implIS3_PsPS5_jNS1_19radix_merge_compareILb0ELb1EsNS0_19identity_decomposerEEEEE10hipError_tT0_T1_T2_jT3_P12ihipStream_tbPNSt15iterator_traitsISE_E10value_typeEPNSK_ISF_E10value_typeEPSG_NS1_7vsmem_tEENKUlT_SE_SF_SG_E_clIS8_S8_S9_S9_EESD_ST_SE_SF_SG_EUlST_E_NS1_11comp_targetILNS1_3genE9ELNS1_11target_archE1100ELNS1_3gpuE3ELNS1_3repE0EEENS1_48merge_mergepath_partition_config_static_selectorELNS0_4arch9wavefront6targetE1EEEvSF_
    .private_segment_fixed_size: 0
    .sgpr_count:     4
    .sgpr_spill_count: 0
    .symbol:         _ZN7rocprim17ROCPRIM_400000_NS6detail17trampoline_kernelINS0_14default_configENS1_38merge_sort_block_merge_config_selectorIsNS0_10empty_typeEEEZZNS1_27merge_sort_block_merge_implIS3_PsPS5_jNS1_19radix_merge_compareILb0ELb1EsNS0_19identity_decomposerEEEEE10hipError_tT0_T1_T2_jT3_P12ihipStream_tbPNSt15iterator_traitsISE_E10value_typeEPNSK_ISF_E10value_typeEPSG_NS1_7vsmem_tEENKUlT_SE_SF_SG_E_clIS8_S8_S9_S9_EESD_ST_SE_SF_SG_EUlST_E_NS1_11comp_targetILNS1_3genE9ELNS1_11target_archE1100ELNS1_3gpuE3ELNS1_3repE0EEENS1_48merge_mergepath_partition_config_static_selectorELNS0_4arch9wavefront6targetE1EEEvSF_.kd
    .uniform_work_group_size: 1
    .uses_dynamic_stack: false
    .vgpr_count:     0
    .vgpr_spill_count: 0
    .wavefront_size: 64
  - .agpr_count:     0
    .args:
      - .offset:         0
        .size:           40
        .value_kind:     by_value
    .group_segment_fixed_size: 0
    .kernarg_segment_align: 8
    .kernarg_segment_size: 40
    .language:       OpenCL C
    .language_version:
      - 2
      - 0
    .max_flat_workgroup_size: 128
    .name:           _ZN7rocprim17ROCPRIM_400000_NS6detail17trampoline_kernelINS0_14default_configENS1_38merge_sort_block_merge_config_selectorIsNS0_10empty_typeEEEZZNS1_27merge_sort_block_merge_implIS3_PsPS5_jNS1_19radix_merge_compareILb0ELb1EsNS0_19identity_decomposerEEEEE10hipError_tT0_T1_T2_jT3_P12ihipStream_tbPNSt15iterator_traitsISE_E10value_typeEPNSK_ISF_E10value_typeEPSG_NS1_7vsmem_tEENKUlT_SE_SF_SG_E_clIS8_S8_S9_S9_EESD_ST_SE_SF_SG_EUlST_E_NS1_11comp_targetILNS1_3genE8ELNS1_11target_archE1030ELNS1_3gpuE2ELNS1_3repE0EEENS1_48merge_mergepath_partition_config_static_selectorELNS0_4arch9wavefront6targetE1EEEvSF_
    .private_segment_fixed_size: 0
    .sgpr_count:     4
    .sgpr_spill_count: 0
    .symbol:         _ZN7rocprim17ROCPRIM_400000_NS6detail17trampoline_kernelINS0_14default_configENS1_38merge_sort_block_merge_config_selectorIsNS0_10empty_typeEEEZZNS1_27merge_sort_block_merge_implIS3_PsPS5_jNS1_19radix_merge_compareILb0ELb1EsNS0_19identity_decomposerEEEEE10hipError_tT0_T1_T2_jT3_P12ihipStream_tbPNSt15iterator_traitsISE_E10value_typeEPNSK_ISF_E10value_typeEPSG_NS1_7vsmem_tEENKUlT_SE_SF_SG_E_clIS8_S8_S9_S9_EESD_ST_SE_SF_SG_EUlST_E_NS1_11comp_targetILNS1_3genE8ELNS1_11target_archE1030ELNS1_3gpuE2ELNS1_3repE0EEENS1_48merge_mergepath_partition_config_static_selectorELNS0_4arch9wavefront6targetE1EEEvSF_.kd
    .uniform_work_group_size: 1
    .uses_dynamic_stack: false
    .vgpr_count:     0
    .vgpr_spill_count: 0
    .wavefront_size: 64
  - .agpr_count:     0
    .args:
      - .offset:         0
        .size:           64
        .value_kind:     by_value
    .group_segment_fixed_size: 0
    .kernarg_segment_align: 8
    .kernarg_segment_size: 64
    .language:       OpenCL C
    .language_version:
      - 2
      - 0
    .max_flat_workgroup_size: 128
    .name:           _ZN7rocprim17ROCPRIM_400000_NS6detail17trampoline_kernelINS0_14default_configENS1_38merge_sort_block_merge_config_selectorIsNS0_10empty_typeEEEZZNS1_27merge_sort_block_merge_implIS3_PsPS5_jNS1_19radix_merge_compareILb0ELb1EsNS0_19identity_decomposerEEEEE10hipError_tT0_T1_T2_jT3_P12ihipStream_tbPNSt15iterator_traitsISE_E10value_typeEPNSK_ISF_E10value_typeEPSG_NS1_7vsmem_tEENKUlT_SE_SF_SG_E_clIS8_S8_S9_S9_EESD_ST_SE_SF_SG_EUlST_E0_NS1_11comp_targetILNS1_3genE0ELNS1_11target_archE4294967295ELNS1_3gpuE0ELNS1_3repE0EEENS1_38merge_mergepath_config_static_selectorELNS0_4arch9wavefront6targetE1EEEvSF_
    .private_segment_fixed_size: 0
    .sgpr_count:     4
    .sgpr_spill_count: 0
    .symbol:         _ZN7rocprim17ROCPRIM_400000_NS6detail17trampoline_kernelINS0_14default_configENS1_38merge_sort_block_merge_config_selectorIsNS0_10empty_typeEEEZZNS1_27merge_sort_block_merge_implIS3_PsPS5_jNS1_19radix_merge_compareILb0ELb1EsNS0_19identity_decomposerEEEEE10hipError_tT0_T1_T2_jT3_P12ihipStream_tbPNSt15iterator_traitsISE_E10value_typeEPNSK_ISF_E10value_typeEPSG_NS1_7vsmem_tEENKUlT_SE_SF_SG_E_clIS8_S8_S9_S9_EESD_ST_SE_SF_SG_EUlST_E0_NS1_11comp_targetILNS1_3genE0ELNS1_11target_archE4294967295ELNS1_3gpuE0ELNS1_3repE0EEENS1_38merge_mergepath_config_static_selectorELNS0_4arch9wavefront6targetE1EEEvSF_.kd
    .uniform_work_group_size: 1
    .uses_dynamic_stack: false
    .vgpr_count:     0
    .vgpr_spill_count: 0
    .wavefront_size: 64
  - .agpr_count:     0
    .args:
      - .offset:         0
        .size:           64
        .value_kind:     by_value
    .group_segment_fixed_size: 0
    .kernarg_segment_align: 8
    .kernarg_segment_size: 64
    .language:       OpenCL C
    .language_version:
      - 2
      - 0
    .max_flat_workgroup_size: 128
    .name:           _ZN7rocprim17ROCPRIM_400000_NS6detail17trampoline_kernelINS0_14default_configENS1_38merge_sort_block_merge_config_selectorIsNS0_10empty_typeEEEZZNS1_27merge_sort_block_merge_implIS3_PsPS5_jNS1_19radix_merge_compareILb0ELb1EsNS0_19identity_decomposerEEEEE10hipError_tT0_T1_T2_jT3_P12ihipStream_tbPNSt15iterator_traitsISE_E10value_typeEPNSK_ISF_E10value_typeEPSG_NS1_7vsmem_tEENKUlT_SE_SF_SG_E_clIS8_S8_S9_S9_EESD_ST_SE_SF_SG_EUlST_E0_NS1_11comp_targetILNS1_3genE10ELNS1_11target_archE1201ELNS1_3gpuE5ELNS1_3repE0EEENS1_38merge_mergepath_config_static_selectorELNS0_4arch9wavefront6targetE1EEEvSF_
    .private_segment_fixed_size: 0
    .sgpr_count:     4
    .sgpr_spill_count: 0
    .symbol:         _ZN7rocprim17ROCPRIM_400000_NS6detail17trampoline_kernelINS0_14default_configENS1_38merge_sort_block_merge_config_selectorIsNS0_10empty_typeEEEZZNS1_27merge_sort_block_merge_implIS3_PsPS5_jNS1_19radix_merge_compareILb0ELb1EsNS0_19identity_decomposerEEEEE10hipError_tT0_T1_T2_jT3_P12ihipStream_tbPNSt15iterator_traitsISE_E10value_typeEPNSK_ISF_E10value_typeEPSG_NS1_7vsmem_tEENKUlT_SE_SF_SG_E_clIS8_S8_S9_S9_EESD_ST_SE_SF_SG_EUlST_E0_NS1_11comp_targetILNS1_3genE10ELNS1_11target_archE1201ELNS1_3gpuE5ELNS1_3repE0EEENS1_38merge_mergepath_config_static_selectorELNS0_4arch9wavefront6targetE1EEEvSF_.kd
    .uniform_work_group_size: 1
    .uses_dynamic_stack: false
    .vgpr_count:     0
    .vgpr_spill_count: 0
    .wavefront_size: 64
  - .agpr_count:     0
    .args:
      - .offset:         0
        .size:           64
        .value_kind:     by_value
    .group_segment_fixed_size: 0
    .kernarg_segment_align: 8
    .kernarg_segment_size: 64
    .language:       OpenCL C
    .language_version:
      - 2
      - 0
    .max_flat_workgroup_size: 128
    .name:           _ZN7rocprim17ROCPRIM_400000_NS6detail17trampoline_kernelINS0_14default_configENS1_38merge_sort_block_merge_config_selectorIsNS0_10empty_typeEEEZZNS1_27merge_sort_block_merge_implIS3_PsPS5_jNS1_19radix_merge_compareILb0ELb1EsNS0_19identity_decomposerEEEEE10hipError_tT0_T1_T2_jT3_P12ihipStream_tbPNSt15iterator_traitsISE_E10value_typeEPNSK_ISF_E10value_typeEPSG_NS1_7vsmem_tEENKUlT_SE_SF_SG_E_clIS8_S8_S9_S9_EESD_ST_SE_SF_SG_EUlST_E0_NS1_11comp_targetILNS1_3genE5ELNS1_11target_archE942ELNS1_3gpuE9ELNS1_3repE0EEENS1_38merge_mergepath_config_static_selectorELNS0_4arch9wavefront6targetE1EEEvSF_
    .private_segment_fixed_size: 0
    .sgpr_count:     4
    .sgpr_spill_count: 0
    .symbol:         _ZN7rocprim17ROCPRIM_400000_NS6detail17trampoline_kernelINS0_14default_configENS1_38merge_sort_block_merge_config_selectorIsNS0_10empty_typeEEEZZNS1_27merge_sort_block_merge_implIS3_PsPS5_jNS1_19radix_merge_compareILb0ELb1EsNS0_19identity_decomposerEEEEE10hipError_tT0_T1_T2_jT3_P12ihipStream_tbPNSt15iterator_traitsISE_E10value_typeEPNSK_ISF_E10value_typeEPSG_NS1_7vsmem_tEENKUlT_SE_SF_SG_E_clIS8_S8_S9_S9_EESD_ST_SE_SF_SG_EUlST_E0_NS1_11comp_targetILNS1_3genE5ELNS1_11target_archE942ELNS1_3gpuE9ELNS1_3repE0EEENS1_38merge_mergepath_config_static_selectorELNS0_4arch9wavefront6targetE1EEEvSF_.kd
    .uniform_work_group_size: 1
    .uses_dynamic_stack: false
    .vgpr_count:     0
    .vgpr_spill_count: 0
    .wavefront_size: 64
  - .agpr_count:     0
    .args:
      - .offset:         0
        .size:           64
        .value_kind:     by_value
      - .offset:         64
        .size:           4
        .value_kind:     hidden_block_count_x
      - .offset:         68
        .size:           4
        .value_kind:     hidden_block_count_y
      - .offset:         72
        .size:           4
        .value_kind:     hidden_block_count_z
      - .offset:         76
        .size:           2
        .value_kind:     hidden_group_size_x
      - .offset:         78
        .size:           2
        .value_kind:     hidden_group_size_y
      - .offset:         80
        .size:           2
        .value_kind:     hidden_group_size_z
      - .offset:         82
        .size:           2
        .value_kind:     hidden_remainder_x
      - .offset:         84
        .size:           2
        .value_kind:     hidden_remainder_y
      - .offset:         86
        .size:           2
        .value_kind:     hidden_remainder_z
      - .offset:         104
        .size:           8
        .value_kind:     hidden_global_offset_x
      - .offset:         112
        .size:           8
        .value_kind:     hidden_global_offset_y
      - .offset:         120
        .size:           8
        .value_kind:     hidden_global_offset_z
      - .offset:         128
        .size:           2
        .value_kind:     hidden_grid_dims
    .group_segment_fixed_size: 2112
    .kernarg_segment_align: 8
    .kernarg_segment_size: 320
    .language:       OpenCL C
    .language_version:
      - 2
      - 0
    .max_flat_workgroup_size: 128
    .name:           _ZN7rocprim17ROCPRIM_400000_NS6detail17trampoline_kernelINS0_14default_configENS1_38merge_sort_block_merge_config_selectorIsNS0_10empty_typeEEEZZNS1_27merge_sort_block_merge_implIS3_PsPS5_jNS1_19radix_merge_compareILb0ELb1EsNS0_19identity_decomposerEEEEE10hipError_tT0_T1_T2_jT3_P12ihipStream_tbPNSt15iterator_traitsISE_E10value_typeEPNSK_ISF_E10value_typeEPSG_NS1_7vsmem_tEENKUlT_SE_SF_SG_E_clIS8_S8_S9_S9_EESD_ST_SE_SF_SG_EUlST_E0_NS1_11comp_targetILNS1_3genE4ELNS1_11target_archE910ELNS1_3gpuE8ELNS1_3repE0EEENS1_38merge_mergepath_config_static_selectorELNS0_4arch9wavefront6targetE1EEEvSF_
    .private_segment_fixed_size: 0
    .sgpr_count:     29
    .sgpr_spill_count: 0
    .symbol:         _ZN7rocprim17ROCPRIM_400000_NS6detail17trampoline_kernelINS0_14default_configENS1_38merge_sort_block_merge_config_selectorIsNS0_10empty_typeEEEZZNS1_27merge_sort_block_merge_implIS3_PsPS5_jNS1_19radix_merge_compareILb0ELb1EsNS0_19identity_decomposerEEEEE10hipError_tT0_T1_T2_jT3_P12ihipStream_tbPNSt15iterator_traitsISE_E10value_typeEPNSK_ISF_E10value_typeEPSG_NS1_7vsmem_tEENKUlT_SE_SF_SG_E_clIS8_S8_S9_S9_EESD_ST_SE_SF_SG_EUlST_E0_NS1_11comp_targetILNS1_3genE4ELNS1_11target_archE910ELNS1_3gpuE8ELNS1_3repE0EEENS1_38merge_mergepath_config_static_selectorELNS0_4arch9wavefront6targetE1EEEvSF_.kd
    .uniform_work_group_size: 1
    .uses_dynamic_stack: false
    .vgpr_count:     26
    .vgpr_spill_count: 0
    .wavefront_size: 64
  - .agpr_count:     0
    .args:
      - .offset:         0
        .size:           64
        .value_kind:     by_value
    .group_segment_fixed_size: 0
    .kernarg_segment_align: 8
    .kernarg_segment_size: 64
    .language:       OpenCL C
    .language_version:
      - 2
      - 0
    .max_flat_workgroup_size: 128
    .name:           _ZN7rocprim17ROCPRIM_400000_NS6detail17trampoline_kernelINS0_14default_configENS1_38merge_sort_block_merge_config_selectorIsNS0_10empty_typeEEEZZNS1_27merge_sort_block_merge_implIS3_PsPS5_jNS1_19radix_merge_compareILb0ELb1EsNS0_19identity_decomposerEEEEE10hipError_tT0_T1_T2_jT3_P12ihipStream_tbPNSt15iterator_traitsISE_E10value_typeEPNSK_ISF_E10value_typeEPSG_NS1_7vsmem_tEENKUlT_SE_SF_SG_E_clIS8_S8_S9_S9_EESD_ST_SE_SF_SG_EUlST_E0_NS1_11comp_targetILNS1_3genE3ELNS1_11target_archE908ELNS1_3gpuE7ELNS1_3repE0EEENS1_38merge_mergepath_config_static_selectorELNS0_4arch9wavefront6targetE1EEEvSF_
    .private_segment_fixed_size: 0
    .sgpr_count:     4
    .sgpr_spill_count: 0
    .symbol:         _ZN7rocprim17ROCPRIM_400000_NS6detail17trampoline_kernelINS0_14default_configENS1_38merge_sort_block_merge_config_selectorIsNS0_10empty_typeEEEZZNS1_27merge_sort_block_merge_implIS3_PsPS5_jNS1_19radix_merge_compareILb0ELb1EsNS0_19identity_decomposerEEEEE10hipError_tT0_T1_T2_jT3_P12ihipStream_tbPNSt15iterator_traitsISE_E10value_typeEPNSK_ISF_E10value_typeEPSG_NS1_7vsmem_tEENKUlT_SE_SF_SG_E_clIS8_S8_S9_S9_EESD_ST_SE_SF_SG_EUlST_E0_NS1_11comp_targetILNS1_3genE3ELNS1_11target_archE908ELNS1_3gpuE7ELNS1_3repE0EEENS1_38merge_mergepath_config_static_selectorELNS0_4arch9wavefront6targetE1EEEvSF_.kd
    .uniform_work_group_size: 1
    .uses_dynamic_stack: false
    .vgpr_count:     0
    .vgpr_spill_count: 0
    .wavefront_size: 64
  - .agpr_count:     0
    .args:
      - .offset:         0
        .size:           64
        .value_kind:     by_value
    .group_segment_fixed_size: 0
    .kernarg_segment_align: 8
    .kernarg_segment_size: 64
    .language:       OpenCL C
    .language_version:
      - 2
      - 0
    .max_flat_workgroup_size: 128
    .name:           _ZN7rocprim17ROCPRIM_400000_NS6detail17trampoline_kernelINS0_14default_configENS1_38merge_sort_block_merge_config_selectorIsNS0_10empty_typeEEEZZNS1_27merge_sort_block_merge_implIS3_PsPS5_jNS1_19radix_merge_compareILb0ELb1EsNS0_19identity_decomposerEEEEE10hipError_tT0_T1_T2_jT3_P12ihipStream_tbPNSt15iterator_traitsISE_E10value_typeEPNSK_ISF_E10value_typeEPSG_NS1_7vsmem_tEENKUlT_SE_SF_SG_E_clIS8_S8_S9_S9_EESD_ST_SE_SF_SG_EUlST_E0_NS1_11comp_targetILNS1_3genE2ELNS1_11target_archE906ELNS1_3gpuE6ELNS1_3repE0EEENS1_38merge_mergepath_config_static_selectorELNS0_4arch9wavefront6targetE1EEEvSF_
    .private_segment_fixed_size: 0
    .sgpr_count:     4
    .sgpr_spill_count: 0
    .symbol:         _ZN7rocprim17ROCPRIM_400000_NS6detail17trampoline_kernelINS0_14default_configENS1_38merge_sort_block_merge_config_selectorIsNS0_10empty_typeEEEZZNS1_27merge_sort_block_merge_implIS3_PsPS5_jNS1_19radix_merge_compareILb0ELb1EsNS0_19identity_decomposerEEEEE10hipError_tT0_T1_T2_jT3_P12ihipStream_tbPNSt15iterator_traitsISE_E10value_typeEPNSK_ISF_E10value_typeEPSG_NS1_7vsmem_tEENKUlT_SE_SF_SG_E_clIS8_S8_S9_S9_EESD_ST_SE_SF_SG_EUlST_E0_NS1_11comp_targetILNS1_3genE2ELNS1_11target_archE906ELNS1_3gpuE6ELNS1_3repE0EEENS1_38merge_mergepath_config_static_selectorELNS0_4arch9wavefront6targetE1EEEvSF_.kd
    .uniform_work_group_size: 1
    .uses_dynamic_stack: false
    .vgpr_count:     0
    .vgpr_spill_count: 0
    .wavefront_size: 64
  - .agpr_count:     0
    .args:
      - .offset:         0
        .size:           64
        .value_kind:     by_value
    .group_segment_fixed_size: 0
    .kernarg_segment_align: 8
    .kernarg_segment_size: 64
    .language:       OpenCL C
    .language_version:
      - 2
      - 0
    .max_flat_workgroup_size: 128
    .name:           _ZN7rocprim17ROCPRIM_400000_NS6detail17trampoline_kernelINS0_14default_configENS1_38merge_sort_block_merge_config_selectorIsNS0_10empty_typeEEEZZNS1_27merge_sort_block_merge_implIS3_PsPS5_jNS1_19radix_merge_compareILb0ELb1EsNS0_19identity_decomposerEEEEE10hipError_tT0_T1_T2_jT3_P12ihipStream_tbPNSt15iterator_traitsISE_E10value_typeEPNSK_ISF_E10value_typeEPSG_NS1_7vsmem_tEENKUlT_SE_SF_SG_E_clIS8_S8_S9_S9_EESD_ST_SE_SF_SG_EUlST_E0_NS1_11comp_targetILNS1_3genE9ELNS1_11target_archE1100ELNS1_3gpuE3ELNS1_3repE0EEENS1_38merge_mergepath_config_static_selectorELNS0_4arch9wavefront6targetE1EEEvSF_
    .private_segment_fixed_size: 0
    .sgpr_count:     4
    .sgpr_spill_count: 0
    .symbol:         _ZN7rocprim17ROCPRIM_400000_NS6detail17trampoline_kernelINS0_14default_configENS1_38merge_sort_block_merge_config_selectorIsNS0_10empty_typeEEEZZNS1_27merge_sort_block_merge_implIS3_PsPS5_jNS1_19radix_merge_compareILb0ELb1EsNS0_19identity_decomposerEEEEE10hipError_tT0_T1_T2_jT3_P12ihipStream_tbPNSt15iterator_traitsISE_E10value_typeEPNSK_ISF_E10value_typeEPSG_NS1_7vsmem_tEENKUlT_SE_SF_SG_E_clIS8_S8_S9_S9_EESD_ST_SE_SF_SG_EUlST_E0_NS1_11comp_targetILNS1_3genE9ELNS1_11target_archE1100ELNS1_3gpuE3ELNS1_3repE0EEENS1_38merge_mergepath_config_static_selectorELNS0_4arch9wavefront6targetE1EEEvSF_.kd
    .uniform_work_group_size: 1
    .uses_dynamic_stack: false
    .vgpr_count:     0
    .vgpr_spill_count: 0
    .wavefront_size: 64
  - .agpr_count:     0
    .args:
      - .offset:         0
        .size:           64
        .value_kind:     by_value
    .group_segment_fixed_size: 0
    .kernarg_segment_align: 8
    .kernarg_segment_size: 64
    .language:       OpenCL C
    .language_version:
      - 2
      - 0
    .max_flat_workgroup_size: 128
    .name:           _ZN7rocprim17ROCPRIM_400000_NS6detail17trampoline_kernelINS0_14default_configENS1_38merge_sort_block_merge_config_selectorIsNS0_10empty_typeEEEZZNS1_27merge_sort_block_merge_implIS3_PsPS5_jNS1_19radix_merge_compareILb0ELb1EsNS0_19identity_decomposerEEEEE10hipError_tT0_T1_T2_jT3_P12ihipStream_tbPNSt15iterator_traitsISE_E10value_typeEPNSK_ISF_E10value_typeEPSG_NS1_7vsmem_tEENKUlT_SE_SF_SG_E_clIS8_S8_S9_S9_EESD_ST_SE_SF_SG_EUlST_E0_NS1_11comp_targetILNS1_3genE8ELNS1_11target_archE1030ELNS1_3gpuE2ELNS1_3repE0EEENS1_38merge_mergepath_config_static_selectorELNS0_4arch9wavefront6targetE1EEEvSF_
    .private_segment_fixed_size: 0
    .sgpr_count:     4
    .sgpr_spill_count: 0
    .symbol:         _ZN7rocprim17ROCPRIM_400000_NS6detail17trampoline_kernelINS0_14default_configENS1_38merge_sort_block_merge_config_selectorIsNS0_10empty_typeEEEZZNS1_27merge_sort_block_merge_implIS3_PsPS5_jNS1_19radix_merge_compareILb0ELb1EsNS0_19identity_decomposerEEEEE10hipError_tT0_T1_T2_jT3_P12ihipStream_tbPNSt15iterator_traitsISE_E10value_typeEPNSK_ISF_E10value_typeEPSG_NS1_7vsmem_tEENKUlT_SE_SF_SG_E_clIS8_S8_S9_S9_EESD_ST_SE_SF_SG_EUlST_E0_NS1_11comp_targetILNS1_3genE8ELNS1_11target_archE1030ELNS1_3gpuE2ELNS1_3repE0EEENS1_38merge_mergepath_config_static_selectorELNS0_4arch9wavefront6targetE1EEEvSF_.kd
    .uniform_work_group_size: 1
    .uses_dynamic_stack: false
    .vgpr_count:     0
    .vgpr_spill_count: 0
    .wavefront_size: 64
  - .agpr_count:     0
    .args:
      - .offset:         0
        .size:           48
        .value_kind:     by_value
    .group_segment_fixed_size: 0
    .kernarg_segment_align: 8
    .kernarg_segment_size: 48
    .language:       OpenCL C
    .language_version:
      - 2
      - 0
    .max_flat_workgroup_size: 256
    .name:           _ZN7rocprim17ROCPRIM_400000_NS6detail17trampoline_kernelINS0_14default_configENS1_38merge_sort_block_merge_config_selectorIsNS0_10empty_typeEEEZZNS1_27merge_sort_block_merge_implIS3_PsPS5_jNS1_19radix_merge_compareILb0ELb1EsNS0_19identity_decomposerEEEEE10hipError_tT0_T1_T2_jT3_P12ihipStream_tbPNSt15iterator_traitsISE_E10value_typeEPNSK_ISF_E10value_typeEPSG_NS1_7vsmem_tEENKUlT_SE_SF_SG_E_clIS8_S8_S9_S9_EESD_ST_SE_SF_SG_EUlST_E1_NS1_11comp_targetILNS1_3genE0ELNS1_11target_archE4294967295ELNS1_3gpuE0ELNS1_3repE0EEENS1_36merge_oddeven_config_static_selectorELNS0_4arch9wavefront6targetE1EEEvSF_
    .private_segment_fixed_size: 0
    .sgpr_count:     4
    .sgpr_spill_count: 0
    .symbol:         _ZN7rocprim17ROCPRIM_400000_NS6detail17trampoline_kernelINS0_14default_configENS1_38merge_sort_block_merge_config_selectorIsNS0_10empty_typeEEEZZNS1_27merge_sort_block_merge_implIS3_PsPS5_jNS1_19radix_merge_compareILb0ELb1EsNS0_19identity_decomposerEEEEE10hipError_tT0_T1_T2_jT3_P12ihipStream_tbPNSt15iterator_traitsISE_E10value_typeEPNSK_ISF_E10value_typeEPSG_NS1_7vsmem_tEENKUlT_SE_SF_SG_E_clIS8_S8_S9_S9_EESD_ST_SE_SF_SG_EUlST_E1_NS1_11comp_targetILNS1_3genE0ELNS1_11target_archE4294967295ELNS1_3gpuE0ELNS1_3repE0EEENS1_36merge_oddeven_config_static_selectorELNS0_4arch9wavefront6targetE1EEEvSF_.kd
    .uniform_work_group_size: 1
    .uses_dynamic_stack: false
    .vgpr_count:     0
    .vgpr_spill_count: 0
    .wavefront_size: 64
  - .agpr_count:     0
    .args:
      - .offset:         0
        .size:           48
        .value_kind:     by_value
    .group_segment_fixed_size: 0
    .kernarg_segment_align: 8
    .kernarg_segment_size: 48
    .language:       OpenCL C
    .language_version:
      - 2
      - 0
    .max_flat_workgroup_size: 256
    .name:           _ZN7rocprim17ROCPRIM_400000_NS6detail17trampoline_kernelINS0_14default_configENS1_38merge_sort_block_merge_config_selectorIsNS0_10empty_typeEEEZZNS1_27merge_sort_block_merge_implIS3_PsPS5_jNS1_19radix_merge_compareILb0ELb1EsNS0_19identity_decomposerEEEEE10hipError_tT0_T1_T2_jT3_P12ihipStream_tbPNSt15iterator_traitsISE_E10value_typeEPNSK_ISF_E10value_typeEPSG_NS1_7vsmem_tEENKUlT_SE_SF_SG_E_clIS8_S8_S9_S9_EESD_ST_SE_SF_SG_EUlST_E1_NS1_11comp_targetILNS1_3genE10ELNS1_11target_archE1201ELNS1_3gpuE5ELNS1_3repE0EEENS1_36merge_oddeven_config_static_selectorELNS0_4arch9wavefront6targetE1EEEvSF_
    .private_segment_fixed_size: 0
    .sgpr_count:     4
    .sgpr_spill_count: 0
    .symbol:         _ZN7rocprim17ROCPRIM_400000_NS6detail17trampoline_kernelINS0_14default_configENS1_38merge_sort_block_merge_config_selectorIsNS0_10empty_typeEEEZZNS1_27merge_sort_block_merge_implIS3_PsPS5_jNS1_19radix_merge_compareILb0ELb1EsNS0_19identity_decomposerEEEEE10hipError_tT0_T1_T2_jT3_P12ihipStream_tbPNSt15iterator_traitsISE_E10value_typeEPNSK_ISF_E10value_typeEPSG_NS1_7vsmem_tEENKUlT_SE_SF_SG_E_clIS8_S8_S9_S9_EESD_ST_SE_SF_SG_EUlST_E1_NS1_11comp_targetILNS1_3genE10ELNS1_11target_archE1201ELNS1_3gpuE5ELNS1_3repE0EEENS1_36merge_oddeven_config_static_selectorELNS0_4arch9wavefront6targetE1EEEvSF_.kd
    .uniform_work_group_size: 1
    .uses_dynamic_stack: false
    .vgpr_count:     0
    .vgpr_spill_count: 0
    .wavefront_size: 64
  - .agpr_count:     0
    .args:
      - .offset:         0
        .size:           48
        .value_kind:     by_value
    .group_segment_fixed_size: 0
    .kernarg_segment_align: 8
    .kernarg_segment_size: 48
    .language:       OpenCL C
    .language_version:
      - 2
      - 0
    .max_flat_workgroup_size: 256
    .name:           _ZN7rocprim17ROCPRIM_400000_NS6detail17trampoline_kernelINS0_14default_configENS1_38merge_sort_block_merge_config_selectorIsNS0_10empty_typeEEEZZNS1_27merge_sort_block_merge_implIS3_PsPS5_jNS1_19radix_merge_compareILb0ELb1EsNS0_19identity_decomposerEEEEE10hipError_tT0_T1_T2_jT3_P12ihipStream_tbPNSt15iterator_traitsISE_E10value_typeEPNSK_ISF_E10value_typeEPSG_NS1_7vsmem_tEENKUlT_SE_SF_SG_E_clIS8_S8_S9_S9_EESD_ST_SE_SF_SG_EUlST_E1_NS1_11comp_targetILNS1_3genE5ELNS1_11target_archE942ELNS1_3gpuE9ELNS1_3repE0EEENS1_36merge_oddeven_config_static_selectorELNS0_4arch9wavefront6targetE1EEEvSF_
    .private_segment_fixed_size: 0
    .sgpr_count:     4
    .sgpr_spill_count: 0
    .symbol:         _ZN7rocprim17ROCPRIM_400000_NS6detail17trampoline_kernelINS0_14default_configENS1_38merge_sort_block_merge_config_selectorIsNS0_10empty_typeEEEZZNS1_27merge_sort_block_merge_implIS3_PsPS5_jNS1_19radix_merge_compareILb0ELb1EsNS0_19identity_decomposerEEEEE10hipError_tT0_T1_T2_jT3_P12ihipStream_tbPNSt15iterator_traitsISE_E10value_typeEPNSK_ISF_E10value_typeEPSG_NS1_7vsmem_tEENKUlT_SE_SF_SG_E_clIS8_S8_S9_S9_EESD_ST_SE_SF_SG_EUlST_E1_NS1_11comp_targetILNS1_3genE5ELNS1_11target_archE942ELNS1_3gpuE9ELNS1_3repE0EEENS1_36merge_oddeven_config_static_selectorELNS0_4arch9wavefront6targetE1EEEvSF_.kd
    .uniform_work_group_size: 1
    .uses_dynamic_stack: false
    .vgpr_count:     0
    .vgpr_spill_count: 0
    .wavefront_size: 64
  - .agpr_count:     0
    .args:
      - .offset:         0
        .size:           48
        .value_kind:     by_value
    .group_segment_fixed_size: 0
    .kernarg_segment_align: 8
    .kernarg_segment_size: 48
    .language:       OpenCL C
    .language_version:
      - 2
      - 0
    .max_flat_workgroup_size: 256
    .name:           _ZN7rocprim17ROCPRIM_400000_NS6detail17trampoline_kernelINS0_14default_configENS1_38merge_sort_block_merge_config_selectorIsNS0_10empty_typeEEEZZNS1_27merge_sort_block_merge_implIS3_PsPS5_jNS1_19radix_merge_compareILb0ELb1EsNS0_19identity_decomposerEEEEE10hipError_tT0_T1_T2_jT3_P12ihipStream_tbPNSt15iterator_traitsISE_E10value_typeEPNSK_ISF_E10value_typeEPSG_NS1_7vsmem_tEENKUlT_SE_SF_SG_E_clIS8_S8_S9_S9_EESD_ST_SE_SF_SG_EUlST_E1_NS1_11comp_targetILNS1_3genE4ELNS1_11target_archE910ELNS1_3gpuE8ELNS1_3repE0EEENS1_36merge_oddeven_config_static_selectorELNS0_4arch9wavefront6targetE1EEEvSF_
    .private_segment_fixed_size: 0
    .sgpr_count:     25
    .sgpr_spill_count: 0
    .symbol:         _ZN7rocprim17ROCPRIM_400000_NS6detail17trampoline_kernelINS0_14default_configENS1_38merge_sort_block_merge_config_selectorIsNS0_10empty_typeEEEZZNS1_27merge_sort_block_merge_implIS3_PsPS5_jNS1_19radix_merge_compareILb0ELb1EsNS0_19identity_decomposerEEEEE10hipError_tT0_T1_T2_jT3_P12ihipStream_tbPNSt15iterator_traitsISE_E10value_typeEPNSK_ISF_E10value_typeEPSG_NS1_7vsmem_tEENKUlT_SE_SF_SG_E_clIS8_S8_S9_S9_EESD_ST_SE_SF_SG_EUlST_E1_NS1_11comp_targetILNS1_3genE4ELNS1_11target_archE910ELNS1_3gpuE8ELNS1_3repE0EEENS1_36merge_oddeven_config_static_selectorELNS0_4arch9wavefront6targetE1EEEvSF_.kd
    .uniform_work_group_size: 1
    .uses_dynamic_stack: false
    .vgpr_count:     9
    .vgpr_spill_count: 0
    .wavefront_size: 64
  - .agpr_count:     0
    .args:
      - .offset:         0
        .size:           48
        .value_kind:     by_value
    .group_segment_fixed_size: 0
    .kernarg_segment_align: 8
    .kernarg_segment_size: 48
    .language:       OpenCL C
    .language_version:
      - 2
      - 0
    .max_flat_workgroup_size: 256
    .name:           _ZN7rocprim17ROCPRIM_400000_NS6detail17trampoline_kernelINS0_14default_configENS1_38merge_sort_block_merge_config_selectorIsNS0_10empty_typeEEEZZNS1_27merge_sort_block_merge_implIS3_PsPS5_jNS1_19radix_merge_compareILb0ELb1EsNS0_19identity_decomposerEEEEE10hipError_tT0_T1_T2_jT3_P12ihipStream_tbPNSt15iterator_traitsISE_E10value_typeEPNSK_ISF_E10value_typeEPSG_NS1_7vsmem_tEENKUlT_SE_SF_SG_E_clIS8_S8_S9_S9_EESD_ST_SE_SF_SG_EUlST_E1_NS1_11comp_targetILNS1_3genE3ELNS1_11target_archE908ELNS1_3gpuE7ELNS1_3repE0EEENS1_36merge_oddeven_config_static_selectorELNS0_4arch9wavefront6targetE1EEEvSF_
    .private_segment_fixed_size: 0
    .sgpr_count:     4
    .sgpr_spill_count: 0
    .symbol:         _ZN7rocprim17ROCPRIM_400000_NS6detail17trampoline_kernelINS0_14default_configENS1_38merge_sort_block_merge_config_selectorIsNS0_10empty_typeEEEZZNS1_27merge_sort_block_merge_implIS3_PsPS5_jNS1_19radix_merge_compareILb0ELb1EsNS0_19identity_decomposerEEEEE10hipError_tT0_T1_T2_jT3_P12ihipStream_tbPNSt15iterator_traitsISE_E10value_typeEPNSK_ISF_E10value_typeEPSG_NS1_7vsmem_tEENKUlT_SE_SF_SG_E_clIS8_S8_S9_S9_EESD_ST_SE_SF_SG_EUlST_E1_NS1_11comp_targetILNS1_3genE3ELNS1_11target_archE908ELNS1_3gpuE7ELNS1_3repE0EEENS1_36merge_oddeven_config_static_selectorELNS0_4arch9wavefront6targetE1EEEvSF_.kd
    .uniform_work_group_size: 1
    .uses_dynamic_stack: false
    .vgpr_count:     0
    .vgpr_spill_count: 0
    .wavefront_size: 64
  - .agpr_count:     0
    .args:
      - .offset:         0
        .size:           48
        .value_kind:     by_value
    .group_segment_fixed_size: 0
    .kernarg_segment_align: 8
    .kernarg_segment_size: 48
    .language:       OpenCL C
    .language_version:
      - 2
      - 0
    .max_flat_workgroup_size: 256
    .name:           _ZN7rocprim17ROCPRIM_400000_NS6detail17trampoline_kernelINS0_14default_configENS1_38merge_sort_block_merge_config_selectorIsNS0_10empty_typeEEEZZNS1_27merge_sort_block_merge_implIS3_PsPS5_jNS1_19radix_merge_compareILb0ELb1EsNS0_19identity_decomposerEEEEE10hipError_tT0_T1_T2_jT3_P12ihipStream_tbPNSt15iterator_traitsISE_E10value_typeEPNSK_ISF_E10value_typeEPSG_NS1_7vsmem_tEENKUlT_SE_SF_SG_E_clIS8_S8_S9_S9_EESD_ST_SE_SF_SG_EUlST_E1_NS1_11comp_targetILNS1_3genE2ELNS1_11target_archE906ELNS1_3gpuE6ELNS1_3repE0EEENS1_36merge_oddeven_config_static_selectorELNS0_4arch9wavefront6targetE1EEEvSF_
    .private_segment_fixed_size: 0
    .sgpr_count:     4
    .sgpr_spill_count: 0
    .symbol:         _ZN7rocprim17ROCPRIM_400000_NS6detail17trampoline_kernelINS0_14default_configENS1_38merge_sort_block_merge_config_selectorIsNS0_10empty_typeEEEZZNS1_27merge_sort_block_merge_implIS3_PsPS5_jNS1_19radix_merge_compareILb0ELb1EsNS0_19identity_decomposerEEEEE10hipError_tT0_T1_T2_jT3_P12ihipStream_tbPNSt15iterator_traitsISE_E10value_typeEPNSK_ISF_E10value_typeEPSG_NS1_7vsmem_tEENKUlT_SE_SF_SG_E_clIS8_S8_S9_S9_EESD_ST_SE_SF_SG_EUlST_E1_NS1_11comp_targetILNS1_3genE2ELNS1_11target_archE906ELNS1_3gpuE6ELNS1_3repE0EEENS1_36merge_oddeven_config_static_selectorELNS0_4arch9wavefront6targetE1EEEvSF_.kd
    .uniform_work_group_size: 1
    .uses_dynamic_stack: false
    .vgpr_count:     0
    .vgpr_spill_count: 0
    .wavefront_size: 64
  - .agpr_count:     0
    .args:
      - .offset:         0
        .size:           48
        .value_kind:     by_value
    .group_segment_fixed_size: 0
    .kernarg_segment_align: 8
    .kernarg_segment_size: 48
    .language:       OpenCL C
    .language_version:
      - 2
      - 0
    .max_flat_workgroup_size: 256
    .name:           _ZN7rocprim17ROCPRIM_400000_NS6detail17trampoline_kernelINS0_14default_configENS1_38merge_sort_block_merge_config_selectorIsNS0_10empty_typeEEEZZNS1_27merge_sort_block_merge_implIS3_PsPS5_jNS1_19radix_merge_compareILb0ELb1EsNS0_19identity_decomposerEEEEE10hipError_tT0_T1_T2_jT3_P12ihipStream_tbPNSt15iterator_traitsISE_E10value_typeEPNSK_ISF_E10value_typeEPSG_NS1_7vsmem_tEENKUlT_SE_SF_SG_E_clIS8_S8_S9_S9_EESD_ST_SE_SF_SG_EUlST_E1_NS1_11comp_targetILNS1_3genE9ELNS1_11target_archE1100ELNS1_3gpuE3ELNS1_3repE0EEENS1_36merge_oddeven_config_static_selectorELNS0_4arch9wavefront6targetE1EEEvSF_
    .private_segment_fixed_size: 0
    .sgpr_count:     4
    .sgpr_spill_count: 0
    .symbol:         _ZN7rocprim17ROCPRIM_400000_NS6detail17trampoline_kernelINS0_14default_configENS1_38merge_sort_block_merge_config_selectorIsNS0_10empty_typeEEEZZNS1_27merge_sort_block_merge_implIS3_PsPS5_jNS1_19radix_merge_compareILb0ELb1EsNS0_19identity_decomposerEEEEE10hipError_tT0_T1_T2_jT3_P12ihipStream_tbPNSt15iterator_traitsISE_E10value_typeEPNSK_ISF_E10value_typeEPSG_NS1_7vsmem_tEENKUlT_SE_SF_SG_E_clIS8_S8_S9_S9_EESD_ST_SE_SF_SG_EUlST_E1_NS1_11comp_targetILNS1_3genE9ELNS1_11target_archE1100ELNS1_3gpuE3ELNS1_3repE0EEENS1_36merge_oddeven_config_static_selectorELNS0_4arch9wavefront6targetE1EEEvSF_.kd
    .uniform_work_group_size: 1
    .uses_dynamic_stack: false
    .vgpr_count:     0
    .vgpr_spill_count: 0
    .wavefront_size: 64
  - .agpr_count:     0
    .args:
      - .offset:         0
        .size:           48
        .value_kind:     by_value
    .group_segment_fixed_size: 0
    .kernarg_segment_align: 8
    .kernarg_segment_size: 48
    .language:       OpenCL C
    .language_version:
      - 2
      - 0
    .max_flat_workgroup_size: 256
    .name:           _ZN7rocprim17ROCPRIM_400000_NS6detail17trampoline_kernelINS0_14default_configENS1_38merge_sort_block_merge_config_selectorIsNS0_10empty_typeEEEZZNS1_27merge_sort_block_merge_implIS3_PsPS5_jNS1_19radix_merge_compareILb0ELb1EsNS0_19identity_decomposerEEEEE10hipError_tT0_T1_T2_jT3_P12ihipStream_tbPNSt15iterator_traitsISE_E10value_typeEPNSK_ISF_E10value_typeEPSG_NS1_7vsmem_tEENKUlT_SE_SF_SG_E_clIS8_S8_S9_S9_EESD_ST_SE_SF_SG_EUlST_E1_NS1_11comp_targetILNS1_3genE8ELNS1_11target_archE1030ELNS1_3gpuE2ELNS1_3repE0EEENS1_36merge_oddeven_config_static_selectorELNS0_4arch9wavefront6targetE1EEEvSF_
    .private_segment_fixed_size: 0
    .sgpr_count:     4
    .sgpr_spill_count: 0
    .symbol:         _ZN7rocprim17ROCPRIM_400000_NS6detail17trampoline_kernelINS0_14default_configENS1_38merge_sort_block_merge_config_selectorIsNS0_10empty_typeEEEZZNS1_27merge_sort_block_merge_implIS3_PsPS5_jNS1_19radix_merge_compareILb0ELb1EsNS0_19identity_decomposerEEEEE10hipError_tT0_T1_T2_jT3_P12ihipStream_tbPNSt15iterator_traitsISE_E10value_typeEPNSK_ISF_E10value_typeEPSG_NS1_7vsmem_tEENKUlT_SE_SF_SG_E_clIS8_S8_S9_S9_EESD_ST_SE_SF_SG_EUlST_E1_NS1_11comp_targetILNS1_3genE8ELNS1_11target_archE1030ELNS1_3gpuE2ELNS1_3repE0EEENS1_36merge_oddeven_config_static_selectorELNS0_4arch9wavefront6targetE1EEEvSF_.kd
    .uniform_work_group_size: 1
    .uses_dynamic_stack: false
    .vgpr_count:     0
    .vgpr_spill_count: 0
    .wavefront_size: 64
  - .agpr_count:     0
    .args:
      - .offset:         0
        .size:           48
        .value_kind:     by_value
    .group_segment_fixed_size: 0
    .kernarg_segment_align: 8
    .kernarg_segment_size: 48
    .language:       OpenCL C
    .language_version:
      - 2
      - 0
    .max_flat_workgroup_size: 512
    .name:           _ZN7rocprim17ROCPRIM_400000_NS6detail17trampoline_kernelINS0_14default_configENS1_35radix_sort_onesweep_config_selectorIsNS0_10empty_typeEEEZNS1_34radix_sort_onesweep_global_offsetsIS3_Lb0EPsPS5_mNS0_19identity_decomposerEEE10hipError_tT1_T2_PT3_SE_jT4_jjP12ihipStream_tbEUlT_E_NS1_11comp_targetILNS1_3genE0ELNS1_11target_archE4294967295ELNS1_3gpuE0ELNS1_3repE0EEENS1_52radix_sort_onesweep_histogram_config_static_selectorELNS0_4arch9wavefront6targetE1EEEvSC_
    .private_segment_fixed_size: 0
    .sgpr_count:     4
    .sgpr_spill_count: 0
    .symbol:         _ZN7rocprim17ROCPRIM_400000_NS6detail17trampoline_kernelINS0_14default_configENS1_35radix_sort_onesweep_config_selectorIsNS0_10empty_typeEEEZNS1_34radix_sort_onesweep_global_offsetsIS3_Lb0EPsPS5_mNS0_19identity_decomposerEEE10hipError_tT1_T2_PT3_SE_jT4_jjP12ihipStream_tbEUlT_E_NS1_11comp_targetILNS1_3genE0ELNS1_11target_archE4294967295ELNS1_3gpuE0ELNS1_3repE0EEENS1_52radix_sort_onesweep_histogram_config_static_selectorELNS0_4arch9wavefront6targetE1EEEvSC_.kd
    .uniform_work_group_size: 1
    .uses_dynamic_stack: false
    .vgpr_count:     0
    .vgpr_spill_count: 0
    .wavefront_size: 64
  - .agpr_count:     0
    .args:
      - .offset:         0
        .size:           48
        .value_kind:     by_value
    .group_segment_fixed_size: 0
    .kernarg_segment_align: 8
    .kernarg_segment_size: 48
    .language:       OpenCL C
    .language_version:
      - 2
      - 0
    .max_flat_workgroup_size: 1024
    .name:           _ZN7rocprim17ROCPRIM_400000_NS6detail17trampoline_kernelINS0_14default_configENS1_35radix_sort_onesweep_config_selectorIsNS0_10empty_typeEEEZNS1_34radix_sort_onesweep_global_offsetsIS3_Lb0EPsPS5_mNS0_19identity_decomposerEEE10hipError_tT1_T2_PT3_SE_jT4_jjP12ihipStream_tbEUlT_E_NS1_11comp_targetILNS1_3genE6ELNS1_11target_archE950ELNS1_3gpuE13ELNS1_3repE0EEENS1_52radix_sort_onesweep_histogram_config_static_selectorELNS0_4arch9wavefront6targetE1EEEvSC_
    .private_segment_fixed_size: 0
    .sgpr_count:     4
    .sgpr_spill_count: 0
    .symbol:         _ZN7rocprim17ROCPRIM_400000_NS6detail17trampoline_kernelINS0_14default_configENS1_35radix_sort_onesweep_config_selectorIsNS0_10empty_typeEEEZNS1_34radix_sort_onesweep_global_offsetsIS3_Lb0EPsPS5_mNS0_19identity_decomposerEEE10hipError_tT1_T2_PT3_SE_jT4_jjP12ihipStream_tbEUlT_E_NS1_11comp_targetILNS1_3genE6ELNS1_11target_archE950ELNS1_3gpuE13ELNS1_3repE0EEENS1_52radix_sort_onesweep_histogram_config_static_selectorELNS0_4arch9wavefront6targetE1EEEvSC_.kd
    .uniform_work_group_size: 1
    .uses_dynamic_stack: false
    .vgpr_count:     0
    .vgpr_spill_count: 0
    .wavefront_size: 64
  - .agpr_count:     0
    .args:
      - .offset:         0
        .size:           48
        .value_kind:     by_value
    .group_segment_fixed_size: 0
    .kernarg_segment_align: 8
    .kernarg_segment_size: 48
    .language:       OpenCL C
    .language_version:
      - 2
      - 0
    .max_flat_workgroup_size: 1024
    .name:           _ZN7rocprim17ROCPRIM_400000_NS6detail17trampoline_kernelINS0_14default_configENS1_35radix_sort_onesweep_config_selectorIsNS0_10empty_typeEEEZNS1_34radix_sort_onesweep_global_offsetsIS3_Lb0EPsPS5_mNS0_19identity_decomposerEEE10hipError_tT1_T2_PT3_SE_jT4_jjP12ihipStream_tbEUlT_E_NS1_11comp_targetILNS1_3genE5ELNS1_11target_archE942ELNS1_3gpuE9ELNS1_3repE0EEENS1_52radix_sort_onesweep_histogram_config_static_selectorELNS0_4arch9wavefront6targetE1EEEvSC_
    .private_segment_fixed_size: 0
    .sgpr_count:     4
    .sgpr_spill_count: 0
    .symbol:         _ZN7rocprim17ROCPRIM_400000_NS6detail17trampoline_kernelINS0_14default_configENS1_35radix_sort_onesweep_config_selectorIsNS0_10empty_typeEEEZNS1_34radix_sort_onesweep_global_offsetsIS3_Lb0EPsPS5_mNS0_19identity_decomposerEEE10hipError_tT1_T2_PT3_SE_jT4_jjP12ihipStream_tbEUlT_E_NS1_11comp_targetILNS1_3genE5ELNS1_11target_archE942ELNS1_3gpuE9ELNS1_3repE0EEENS1_52radix_sort_onesweep_histogram_config_static_selectorELNS0_4arch9wavefront6targetE1EEEvSC_.kd
    .uniform_work_group_size: 1
    .uses_dynamic_stack: false
    .vgpr_count:     0
    .vgpr_spill_count: 0
    .wavefront_size: 64
  - .agpr_count:     0
    .args:
      - .offset:         0
        .size:           48
        .value_kind:     by_value
    .group_segment_fixed_size: 0
    .kernarg_segment_align: 8
    .kernarg_segment_size: 48
    .language:       OpenCL C
    .language_version:
      - 2
      - 0
    .max_flat_workgroup_size: 512
    .name:           _ZN7rocprim17ROCPRIM_400000_NS6detail17trampoline_kernelINS0_14default_configENS1_35radix_sort_onesweep_config_selectorIsNS0_10empty_typeEEEZNS1_34radix_sort_onesweep_global_offsetsIS3_Lb0EPsPS5_mNS0_19identity_decomposerEEE10hipError_tT1_T2_PT3_SE_jT4_jjP12ihipStream_tbEUlT_E_NS1_11comp_targetILNS1_3genE2ELNS1_11target_archE906ELNS1_3gpuE6ELNS1_3repE0EEENS1_52radix_sort_onesweep_histogram_config_static_selectorELNS0_4arch9wavefront6targetE1EEEvSC_
    .private_segment_fixed_size: 0
    .sgpr_count:     4
    .sgpr_spill_count: 0
    .symbol:         _ZN7rocprim17ROCPRIM_400000_NS6detail17trampoline_kernelINS0_14default_configENS1_35radix_sort_onesweep_config_selectorIsNS0_10empty_typeEEEZNS1_34radix_sort_onesweep_global_offsetsIS3_Lb0EPsPS5_mNS0_19identity_decomposerEEE10hipError_tT1_T2_PT3_SE_jT4_jjP12ihipStream_tbEUlT_E_NS1_11comp_targetILNS1_3genE2ELNS1_11target_archE906ELNS1_3gpuE6ELNS1_3repE0EEENS1_52radix_sort_onesweep_histogram_config_static_selectorELNS0_4arch9wavefront6targetE1EEEvSC_.kd
    .uniform_work_group_size: 1
    .uses_dynamic_stack: false
    .vgpr_count:     0
    .vgpr_spill_count: 0
    .wavefront_size: 64
  - .agpr_count:     0
    .args:
      - .offset:         0
        .size:           48
        .value_kind:     by_value
    .group_segment_fixed_size: 8192
    .kernarg_segment_align: 8
    .kernarg_segment_size: 48
    .language:       OpenCL C
    .language_version:
      - 2
      - 0
    .max_flat_workgroup_size: 1024
    .name:           _ZN7rocprim17ROCPRIM_400000_NS6detail17trampoline_kernelINS0_14default_configENS1_35radix_sort_onesweep_config_selectorIsNS0_10empty_typeEEEZNS1_34radix_sort_onesweep_global_offsetsIS3_Lb0EPsPS5_mNS0_19identity_decomposerEEE10hipError_tT1_T2_PT3_SE_jT4_jjP12ihipStream_tbEUlT_E_NS1_11comp_targetILNS1_3genE4ELNS1_11target_archE910ELNS1_3gpuE8ELNS1_3repE0EEENS1_52radix_sort_onesweep_histogram_config_static_selectorELNS0_4arch9wavefront6targetE1EEEvSC_
    .private_segment_fixed_size: 0
    .sgpr_count:     22
    .sgpr_spill_count: 0
    .symbol:         _ZN7rocprim17ROCPRIM_400000_NS6detail17trampoline_kernelINS0_14default_configENS1_35radix_sort_onesweep_config_selectorIsNS0_10empty_typeEEEZNS1_34radix_sort_onesweep_global_offsetsIS3_Lb0EPsPS5_mNS0_19identity_decomposerEEE10hipError_tT1_T2_PT3_SE_jT4_jjP12ihipStream_tbEUlT_E_NS1_11comp_targetILNS1_3genE4ELNS1_11target_archE910ELNS1_3gpuE8ELNS1_3repE0EEENS1_52radix_sort_onesweep_histogram_config_static_selectorELNS0_4arch9wavefront6targetE1EEEvSC_.kd
    .uniform_work_group_size: 1
    .uses_dynamic_stack: false
    .vgpr_count:     24
    .vgpr_spill_count: 0
    .wavefront_size: 64
  - .agpr_count:     0
    .args:
      - .offset:         0
        .size:           48
        .value_kind:     by_value
    .group_segment_fixed_size: 0
    .kernarg_segment_align: 8
    .kernarg_segment_size: 48
    .language:       OpenCL C
    .language_version:
      - 2
      - 0
    .max_flat_workgroup_size: 512
    .name:           _ZN7rocprim17ROCPRIM_400000_NS6detail17trampoline_kernelINS0_14default_configENS1_35radix_sort_onesweep_config_selectorIsNS0_10empty_typeEEEZNS1_34radix_sort_onesweep_global_offsetsIS3_Lb0EPsPS5_mNS0_19identity_decomposerEEE10hipError_tT1_T2_PT3_SE_jT4_jjP12ihipStream_tbEUlT_E_NS1_11comp_targetILNS1_3genE3ELNS1_11target_archE908ELNS1_3gpuE7ELNS1_3repE0EEENS1_52radix_sort_onesweep_histogram_config_static_selectorELNS0_4arch9wavefront6targetE1EEEvSC_
    .private_segment_fixed_size: 0
    .sgpr_count:     4
    .sgpr_spill_count: 0
    .symbol:         _ZN7rocprim17ROCPRIM_400000_NS6detail17trampoline_kernelINS0_14default_configENS1_35radix_sort_onesweep_config_selectorIsNS0_10empty_typeEEEZNS1_34radix_sort_onesweep_global_offsetsIS3_Lb0EPsPS5_mNS0_19identity_decomposerEEE10hipError_tT1_T2_PT3_SE_jT4_jjP12ihipStream_tbEUlT_E_NS1_11comp_targetILNS1_3genE3ELNS1_11target_archE908ELNS1_3gpuE7ELNS1_3repE0EEENS1_52radix_sort_onesweep_histogram_config_static_selectorELNS0_4arch9wavefront6targetE1EEEvSC_.kd
    .uniform_work_group_size: 1
    .uses_dynamic_stack: false
    .vgpr_count:     0
    .vgpr_spill_count: 0
    .wavefront_size: 64
  - .agpr_count:     0
    .args:
      - .offset:         0
        .size:           48
        .value_kind:     by_value
    .group_segment_fixed_size: 0
    .kernarg_segment_align: 8
    .kernarg_segment_size: 48
    .language:       OpenCL C
    .language_version:
      - 2
      - 0
    .max_flat_workgroup_size: 256
    .name:           _ZN7rocprim17ROCPRIM_400000_NS6detail17trampoline_kernelINS0_14default_configENS1_35radix_sort_onesweep_config_selectorIsNS0_10empty_typeEEEZNS1_34radix_sort_onesweep_global_offsetsIS3_Lb0EPsPS5_mNS0_19identity_decomposerEEE10hipError_tT1_T2_PT3_SE_jT4_jjP12ihipStream_tbEUlT_E_NS1_11comp_targetILNS1_3genE10ELNS1_11target_archE1201ELNS1_3gpuE5ELNS1_3repE0EEENS1_52radix_sort_onesweep_histogram_config_static_selectorELNS0_4arch9wavefront6targetE1EEEvSC_
    .private_segment_fixed_size: 0
    .sgpr_count:     4
    .sgpr_spill_count: 0
    .symbol:         _ZN7rocprim17ROCPRIM_400000_NS6detail17trampoline_kernelINS0_14default_configENS1_35radix_sort_onesweep_config_selectorIsNS0_10empty_typeEEEZNS1_34radix_sort_onesweep_global_offsetsIS3_Lb0EPsPS5_mNS0_19identity_decomposerEEE10hipError_tT1_T2_PT3_SE_jT4_jjP12ihipStream_tbEUlT_E_NS1_11comp_targetILNS1_3genE10ELNS1_11target_archE1201ELNS1_3gpuE5ELNS1_3repE0EEENS1_52radix_sort_onesweep_histogram_config_static_selectorELNS0_4arch9wavefront6targetE1EEEvSC_.kd
    .uniform_work_group_size: 1
    .uses_dynamic_stack: false
    .vgpr_count:     0
    .vgpr_spill_count: 0
    .wavefront_size: 64
  - .agpr_count:     0
    .args:
      - .offset:         0
        .size:           48
        .value_kind:     by_value
    .group_segment_fixed_size: 0
    .kernarg_segment_align: 8
    .kernarg_segment_size: 48
    .language:       OpenCL C
    .language_version:
      - 2
      - 0
    .max_flat_workgroup_size: 256
    .name:           _ZN7rocprim17ROCPRIM_400000_NS6detail17trampoline_kernelINS0_14default_configENS1_35radix_sort_onesweep_config_selectorIsNS0_10empty_typeEEEZNS1_34radix_sort_onesweep_global_offsetsIS3_Lb0EPsPS5_mNS0_19identity_decomposerEEE10hipError_tT1_T2_PT3_SE_jT4_jjP12ihipStream_tbEUlT_E_NS1_11comp_targetILNS1_3genE9ELNS1_11target_archE1100ELNS1_3gpuE3ELNS1_3repE0EEENS1_52radix_sort_onesweep_histogram_config_static_selectorELNS0_4arch9wavefront6targetE1EEEvSC_
    .private_segment_fixed_size: 0
    .sgpr_count:     4
    .sgpr_spill_count: 0
    .symbol:         _ZN7rocprim17ROCPRIM_400000_NS6detail17trampoline_kernelINS0_14default_configENS1_35radix_sort_onesweep_config_selectorIsNS0_10empty_typeEEEZNS1_34radix_sort_onesweep_global_offsetsIS3_Lb0EPsPS5_mNS0_19identity_decomposerEEE10hipError_tT1_T2_PT3_SE_jT4_jjP12ihipStream_tbEUlT_E_NS1_11comp_targetILNS1_3genE9ELNS1_11target_archE1100ELNS1_3gpuE3ELNS1_3repE0EEENS1_52radix_sort_onesweep_histogram_config_static_selectorELNS0_4arch9wavefront6targetE1EEEvSC_.kd
    .uniform_work_group_size: 1
    .uses_dynamic_stack: false
    .vgpr_count:     0
    .vgpr_spill_count: 0
    .wavefront_size: 64
  - .agpr_count:     0
    .args:
      - .offset:         0
        .size:           48
        .value_kind:     by_value
    .group_segment_fixed_size: 0
    .kernarg_segment_align: 8
    .kernarg_segment_size: 48
    .language:       OpenCL C
    .language_version:
      - 2
      - 0
    .max_flat_workgroup_size: 256
    .name:           _ZN7rocprim17ROCPRIM_400000_NS6detail17trampoline_kernelINS0_14default_configENS1_35radix_sort_onesweep_config_selectorIsNS0_10empty_typeEEEZNS1_34radix_sort_onesweep_global_offsetsIS3_Lb0EPsPS5_mNS0_19identity_decomposerEEE10hipError_tT1_T2_PT3_SE_jT4_jjP12ihipStream_tbEUlT_E_NS1_11comp_targetILNS1_3genE8ELNS1_11target_archE1030ELNS1_3gpuE2ELNS1_3repE0EEENS1_52radix_sort_onesweep_histogram_config_static_selectorELNS0_4arch9wavefront6targetE1EEEvSC_
    .private_segment_fixed_size: 0
    .sgpr_count:     4
    .sgpr_spill_count: 0
    .symbol:         _ZN7rocprim17ROCPRIM_400000_NS6detail17trampoline_kernelINS0_14default_configENS1_35radix_sort_onesweep_config_selectorIsNS0_10empty_typeEEEZNS1_34radix_sort_onesweep_global_offsetsIS3_Lb0EPsPS5_mNS0_19identity_decomposerEEE10hipError_tT1_T2_PT3_SE_jT4_jjP12ihipStream_tbEUlT_E_NS1_11comp_targetILNS1_3genE8ELNS1_11target_archE1030ELNS1_3gpuE2ELNS1_3repE0EEENS1_52radix_sort_onesweep_histogram_config_static_selectorELNS0_4arch9wavefront6targetE1EEEvSC_.kd
    .uniform_work_group_size: 1
    .uses_dynamic_stack: false
    .vgpr_count:     0
    .vgpr_spill_count: 0
    .wavefront_size: 64
  - .agpr_count:     0
    .args:
      - .address_space:  global
        .offset:         0
        .size:           8
        .value_kind:     global_buffer
    .group_segment_fixed_size: 0
    .kernarg_segment_align: 8
    .kernarg_segment_size: 8
    .language:       OpenCL C
    .language_version:
      - 2
      - 0
    .max_flat_workgroup_size: 512
    .name:           _ZN7rocprim17ROCPRIM_400000_NS6detail17trampoline_kernelINS0_14default_configENS1_35radix_sort_onesweep_config_selectorIsNS0_10empty_typeEEEZNS1_34radix_sort_onesweep_global_offsetsIS3_Lb0EPsPS5_mNS0_19identity_decomposerEEE10hipError_tT1_T2_PT3_SE_jT4_jjP12ihipStream_tbEUlT_E0_NS1_11comp_targetILNS1_3genE0ELNS1_11target_archE4294967295ELNS1_3gpuE0ELNS1_3repE0EEENS1_52radix_sort_onesweep_histogram_config_static_selectorELNS0_4arch9wavefront6targetE1EEEvSC_
    .private_segment_fixed_size: 0
    .sgpr_count:     4
    .sgpr_spill_count: 0
    .symbol:         _ZN7rocprim17ROCPRIM_400000_NS6detail17trampoline_kernelINS0_14default_configENS1_35radix_sort_onesweep_config_selectorIsNS0_10empty_typeEEEZNS1_34radix_sort_onesweep_global_offsetsIS3_Lb0EPsPS5_mNS0_19identity_decomposerEEE10hipError_tT1_T2_PT3_SE_jT4_jjP12ihipStream_tbEUlT_E0_NS1_11comp_targetILNS1_3genE0ELNS1_11target_archE4294967295ELNS1_3gpuE0ELNS1_3repE0EEENS1_52radix_sort_onesweep_histogram_config_static_selectorELNS0_4arch9wavefront6targetE1EEEvSC_.kd
    .uniform_work_group_size: 1
    .uses_dynamic_stack: false
    .vgpr_count:     0
    .vgpr_spill_count: 0
    .wavefront_size: 64
  - .agpr_count:     0
    .args:
      - .address_space:  global
        .offset:         0
        .size:           8
        .value_kind:     global_buffer
    .group_segment_fixed_size: 0
    .kernarg_segment_align: 8
    .kernarg_segment_size: 8
    .language:       OpenCL C
    .language_version:
      - 2
      - 0
    .max_flat_workgroup_size: 1024
    .name:           _ZN7rocprim17ROCPRIM_400000_NS6detail17trampoline_kernelINS0_14default_configENS1_35radix_sort_onesweep_config_selectorIsNS0_10empty_typeEEEZNS1_34radix_sort_onesweep_global_offsetsIS3_Lb0EPsPS5_mNS0_19identity_decomposerEEE10hipError_tT1_T2_PT3_SE_jT4_jjP12ihipStream_tbEUlT_E0_NS1_11comp_targetILNS1_3genE6ELNS1_11target_archE950ELNS1_3gpuE13ELNS1_3repE0EEENS1_52radix_sort_onesweep_histogram_config_static_selectorELNS0_4arch9wavefront6targetE1EEEvSC_
    .private_segment_fixed_size: 0
    .sgpr_count:     4
    .sgpr_spill_count: 0
    .symbol:         _ZN7rocprim17ROCPRIM_400000_NS6detail17trampoline_kernelINS0_14default_configENS1_35radix_sort_onesweep_config_selectorIsNS0_10empty_typeEEEZNS1_34radix_sort_onesweep_global_offsetsIS3_Lb0EPsPS5_mNS0_19identity_decomposerEEE10hipError_tT1_T2_PT3_SE_jT4_jjP12ihipStream_tbEUlT_E0_NS1_11comp_targetILNS1_3genE6ELNS1_11target_archE950ELNS1_3gpuE13ELNS1_3repE0EEENS1_52radix_sort_onesweep_histogram_config_static_selectorELNS0_4arch9wavefront6targetE1EEEvSC_.kd
    .uniform_work_group_size: 1
    .uses_dynamic_stack: false
    .vgpr_count:     0
    .vgpr_spill_count: 0
    .wavefront_size: 64
  - .agpr_count:     0
    .args:
      - .address_space:  global
        .offset:         0
        .size:           8
        .value_kind:     global_buffer
    .group_segment_fixed_size: 0
    .kernarg_segment_align: 8
    .kernarg_segment_size: 8
    .language:       OpenCL C
    .language_version:
      - 2
      - 0
    .max_flat_workgroup_size: 1024
    .name:           _ZN7rocprim17ROCPRIM_400000_NS6detail17trampoline_kernelINS0_14default_configENS1_35radix_sort_onesweep_config_selectorIsNS0_10empty_typeEEEZNS1_34radix_sort_onesweep_global_offsetsIS3_Lb0EPsPS5_mNS0_19identity_decomposerEEE10hipError_tT1_T2_PT3_SE_jT4_jjP12ihipStream_tbEUlT_E0_NS1_11comp_targetILNS1_3genE5ELNS1_11target_archE942ELNS1_3gpuE9ELNS1_3repE0EEENS1_52radix_sort_onesweep_histogram_config_static_selectorELNS0_4arch9wavefront6targetE1EEEvSC_
    .private_segment_fixed_size: 0
    .sgpr_count:     4
    .sgpr_spill_count: 0
    .symbol:         _ZN7rocprim17ROCPRIM_400000_NS6detail17trampoline_kernelINS0_14default_configENS1_35radix_sort_onesweep_config_selectorIsNS0_10empty_typeEEEZNS1_34radix_sort_onesweep_global_offsetsIS3_Lb0EPsPS5_mNS0_19identity_decomposerEEE10hipError_tT1_T2_PT3_SE_jT4_jjP12ihipStream_tbEUlT_E0_NS1_11comp_targetILNS1_3genE5ELNS1_11target_archE942ELNS1_3gpuE9ELNS1_3repE0EEENS1_52radix_sort_onesweep_histogram_config_static_selectorELNS0_4arch9wavefront6targetE1EEEvSC_.kd
    .uniform_work_group_size: 1
    .uses_dynamic_stack: false
    .vgpr_count:     0
    .vgpr_spill_count: 0
    .wavefront_size: 64
  - .agpr_count:     0
    .args:
      - .address_space:  global
        .offset:         0
        .size:           8
        .value_kind:     global_buffer
    .group_segment_fixed_size: 0
    .kernarg_segment_align: 8
    .kernarg_segment_size: 8
    .language:       OpenCL C
    .language_version:
      - 2
      - 0
    .max_flat_workgroup_size: 512
    .name:           _ZN7rocprim17ROCPRIM_400000_NS6detail17trampoline_kernelINS0_14default_configENS1_35radix_sort_onesweep_config_selectorIsNS0_10empty_typeEEEZNS1_34radix_sort_onesweep_global_offsetsIS3_Lb0EPsPS5_mNS0_19identity_decomposerEEE10hipError_tT1_T2_PT3_SE_jT4_jjP12ihipStream_tbEUlT_E0_NS1_11comp_targetILNS1_3genE2ELNS1_11target_archE906ELNS1_3gpuE6ELNS1_3repE0EEENS1_52radix_sort_onesweep_histogram_config_static_selectorELNS0_4arch9wavefront6targetE1EEEvSC_
    .private_segment_fixed_size: 0
    .sgpr_count:     4
    .sgpr_spill_count: 0
    .symbol:         _ZN7rocprim17ROCPRIM_400000_NS6detail17trampoline_kernelINS0_14default_configENS1_35radix_sort_onesweep_config_selectorIsNS0_10empty_typeEEEZNS1_34radix_sort_onesweep_global_offsetsIS3_Lb0EPsPS5_mNS0_19identity_decomposerEEE10hipError_tT1_T2_PT3_SE_jT4_jjP12ihipStream_tbEUlT_E0_NS1_11comp_targetILNS1_3genE2ELNS1_11target_archE906ELNS1_3gpuE6ELNS1_3repE0EEENS1_52radix_sort_onesweep_histogram_config_static_selectorELNS0_4arch9wavefront6targetE1EEEvSC_.kd
    .uniform_work_group_size: 1
    .uses_dynamic_stack: false
    .vgpr_count:     0
    .vgpr_spill_count: 0
    .wavefront_size: 64
  - .agpr_count:     0
    .args:
      - .address_space:  global
        .offset:         0
        .size:           8
        .value_kind:     global_buffer
    .group_segment_fixed_size: 128
    .kernarg_segment_align: 8
    .kernarg_segment_size: 8
    .language:       OpenCL C
    .language_version:
      - 2
      - 0
    .max_flat_workgroup_size: 1024
    .name:           _ZN7rocprim17ROCPRIM_400000_NS6detail17trampoline_kernelINS0_14default_configENS1_35radix_sort_onesweep_config_selectorIsNS0_10empty_typeEEEZNS1_34radix_sort_onesweep_global_offsetsIS3_Lb0EPsPS5_mNS0_19identity_decomposerEEE10hipError_tT1_T2_PT3_SE_jT4_jjP12ihipStream_tbEUlT_E0_NS1_11comp_targetILNS1_3genE4ELNS1_11target_archE910ELNS1_3gpuE8ELNS1_3repE0EEENS1_52radix_sort_onesweep_histogram_config_static_selectorELNS0_4arch9wavefront6targetE1EEEvSC_
    .private_segment_fixed_size: 0
    .sgpr_count:     22
    .sgpr_spill_count: 0
    .symbol:         _ZN7rocprim17ROCPRIM_400000_NS6detail17trampoline_kernelINS0_14default_configENS1_35radix_sort_onesweep_config_selectorIsNS0_10empty_typeEEEZNS1_34radix_sort_onesweep_global_offsetsIS3_Lb0EPsPS5_mNS0_19identity_decomposerEEE10hipError_tT1_T2_PT3_SE_jT4_jjP12ihipStream_tbEUlT_E0_NS1_11comp_targetILNS1_3genE4ELNS1_11target_archE910ELNS1_3gpuE8ELNS1_3repE0EEENS1_52radix_sort_onesweep_histogram_config_static_selectorELNS0_4arch9wavefront6targetE1EEEvSC_.kd
    .uniform_work_group_size: 1
    .uses_dynamic_stack: false
    .vgpr_count:     13
    .vgpr_spill_count: 0
    .wavefront_size: 64
  - .agpr_count:     0
    .args:
      - .address_space:  global
        .offset:         0
        .size:           8
        .value_kind:     global_buffer
    .group_segment_fixed_size: 0
    .kernarg_segment_align: 8
    .kernarg_segment_size: 8
    .language:       OpenCL C
    .language_version:
      - 2
      - 0
    .max_flat_workgroup_size: 512
    .name:           _ZN7rocprim17ROCPRIM_400000_NS6detail17trampoline_kernelINS0_14default_configENS1_35radix_sort_onesweep_config_selectorIsNS0_10empty_typeEEEZNS1_34radix_sort_onesweep_global_offsetsIS3_Lb0EPsPS5_mNS0_19identity_decomposerEEE10hipError_tT1_T2_PT3_SE_jT4_jjP12ihipStream_tbEUlT_E0_NS1_11comp_targetILNS1_3genE3ELNS1_11target_archE908ELNS1_3gpuE7ELNS1_3repE0EEENS1_52radix_sort_onesweep_histogram_config_static_selectorELNS0_4arch9wavefront6targetE1EEEvSC_
    .private_segment_fixed_size: 0
    .sgpr_count:     4
    .sgpr_spill_count: 0
    .symbol:         _ZN7rocprim17ROCPRIM_400000_NS6detail17trampoline_kernelINS0_14default_configENS1_35radix_sort_onesweep_config_selectorIsNS0_10empty_typeEEEZNS1_34radix_sort_onesweep_global_offsetsIS3_Lb0EPsPS5_mNS0_19identity_decomposerEEE10hipError_tT1_T2_PT3_SE_jT4_jjP12ihipStream_tbEUlT_E0_NS1_11comp_targetILNS1_3genE3ELNS1_11target_archE908ELNS1_3gpuE7ELNS1_3repE0EEENS1_52radix_sort_onesweep_histogram_config_static_selectorELNS0_4arch9wavefront6targetE1EEEvSC_.kd
    .uniform_work_group_size: 1
    .uses_dynamic_stack: false
    .vgpr_count:     0
    .vgpr_spill_count: 0
    .wavefront_size: 64
  - .agpr_count:     0
    .args:
      - .address_space:  global
        .offset:         0
        .size:           8
        .value_kind:     global_buffer
    .group_segment_fixed_size: 0
    .kernarg_segment_align: 8
    .kernarg_segment_size: 8
    .language:       OpenCL C
    .language_version:
      - 2
      - 0
    .max_flat_workgroup_size: 256
    .name:           _ZN7rocprim17ROCPRIM_400000_NS6detail17trampoline_kernelINS0_14default_configENS1_35radix_sort_onesweep_config_selectorIsNS0_10empty_typeEEEZNS1_34radix_sort_onesweep_global_offsetsIS3_Lb0EPsPS5_mNS0_19identity_decomposerEEE10hipError_tT1_T2_PT3_SE_jT4_jjP12ihipStream_tbEUlT_E0_NS1_11comp_targetILNS1_3genE10ELNS1_11target_archE1201ELNS1_3gpuE5ELNS1_3repE0EEENS1_52radix_sort_onesweep_histogram_config_static_selectorELNS0_4arch9wavefront6targetE1EEEvSC_
    .private_segment_fixed_size: 0
    .sgpr_count:     4
    .sgpr_spill_count: 0
    .symbol:         _ZN7rocprim17ROCPRIM_400000_NS6detail17trampoline_kernelINS0_14default_configENS1_35radix_sort_onesweep_config_selectorIsNS0_10empty_typeEEEZNS1_34radix_sort_onesweep_global_offsetsIS3_Lb0EPsPS5_mNS0_19identity_decomposerEEE10hipError_tT1_T2_PT3_SE_jT4_jjP12ihipStream_tbEUlT_E0_NS1_11comp_targetILNS1_3genE10ELNS1_11target_archE1201ELNS1_3gpuE5ELNS1_3repE0EEENS1_52radix_sort_onesweep_histogram_config_static_selectorELNS0_4arch9wavefront6targetE1EEEvSC_.kd
    .uniform_work_group_size: 1
    .uses_dynamic_stack: false
    .vgpr_count:     0
    .vgpr_spill_count: 0
    .wavefront_size: 64
  - .agpr_count:     0
    .args:
      - .address_space:  global
        .offset:         0
        .size:           8
        .value_kind:     global_buffer
    .group_segment_fixed_size: 0
    .kernarg_segment_align: 8
    .kernarg_segment_size: 8
    .language:       OpenCL C
    .language_version:
      - 2
      - 0
    .max_flat_workgroup_size: 256
    .name:           _ZN7rocprim17ROCPRIM_400000_NS6detail17trampoline_kernelINS0_14default_configENS1_35radix_sort_onesweep_config_selectorIsNS0_10empty_typeEEEZNS1_34radix_sort_onesweep_global_offsetsIS3_Lb0EPsPS5_mNS0_19identity_decomposerEEE10hipError_tT1_T2_PT3_SE_jT4_jjP12ihipStream_tbEUlT_E0_NS1_11comp_targetILNS1_3genE9ELNS1_11target_archE1100ELNS1_3gpuE3ELNS1_3repE0EEENS1_52radix_sort_onesweep_histogram_config_static_selectorELNS0_4arch9wavefront6targetE1EEEvSC_
    .private_segment_fixed_size: 0
    .sgpr_count:     4
    .sgpr_spill_count: 0
    .symbol:         _ZN7rocprim17ROCPRIM_400000_NS6detail17trampoline_kernelINS0_14default_configENS1_35radix_sort_onesweep_config_selectorIsNS0_10empty_typeEEEZNS1_34radix_sort_onesweep_global_offsetsIS3_Lb0EPsPS5_mNS0_19identity_decomposerEEE10hipError_tT1_T2_PT3_SE_jT4_jjP12ihipStream_tbEUlT_E0_NS1_11comp_targetILNS1_3genE9ELNS1_11target_archE1100ELNS1_3gpuE3ELNS1_3repE0EEENS1_52radix_sort_onesweep_histogram_config_static_selectorELNS0_4arch9wavefront6targetE1EEEvSC_.kd
    .uniform_work_group_size: 1
    .uses_dynamic_stack: false
    .vgpr_count:     0
    .vgpr_spill_count: 0
    .wavefront_size: 64
  - .agpr_count:     0
    .args:
      - .address_space:  global
        .offset:         0
        .size:           8
        .value_kind:     global_buffer
    .group_segment_fixed_size: 0
    .kernarg_segment_align: 8
    .kernarg_segment_size: 8
    .language:       OpenCL C
    .language_version:
      - 2
      - 0
    .max_flat_workgroup_size: 256
    .name:           _ZN7rocprim17ROCPRIM_400000_NS6detail17trampoline_kernelINS0_14default_configENS1_35radix_sort_onesweep_config_selectorIsNS0_10empty_typeEEEZNS1_34radix_sort_onesweep_global_offsetsIS3_Lb0EPsPS5_mNS0_19identity_decomposerEEE10hipError_tT1_T2_PT3_SE_jT4_jjP12ihipStream_tbEUlT_E0_NS1_11comp_targetILNS1_3genE8ELNS1_11target_archE1030ELNS1_3gpuE2ELNS1_3repE0EEENS1_52radix_sort_onesweep_histogram_config_static_selectorELNS0_4arch9wavefront6targetE1EEEvSC_
    .private_segment_fixed_size: 0
    .sgpr_count:     4
    .sgpr_spill_count: 0
    .symbol:         _ZN7rocprim17ROCPRIM_400000_NS6detail17trampoline_kernelINS0_14default_configENS1_35radix_sort_onesweep_config_selectorIsNS0_10empty_typeEEEZNS1_34radix_sort_onesweep_global_offsetsIS3_Lb0EPsPS5_mNS0_19identity_decomposerEEE10hipError_tT1_T2_PT3_SE_jT4_jjP12ihipStream_tbEUlT_E0_NS1_11comp_targetILNS1_3genE8ELNS1_11target_archE1030ELNS1_3gpuE2ELNS1_3repE0EEENS1_52radix_sort_onesweep_histogram_config_static_selectorELNS0_4arch9wavefront6targetE1EEEvSC_.kd
    .uniform_work_group_size: 1
    .uses_dynamic_stack: false
    .vgpr_count:     0
    .vgpr_spill_count: 0
    .wavefront_size: 64
  - .agpr_count:     0
    .args:
      - .offset:         0
        .size:           88
        .value_kind:     by_value
    .group_segment_fixed_size: 0
    .kernarg_segment_align: 8
    .kernarg_segment_size: 88
    .language:       OpenCL C
    .language_version:
      - 2
      - 0
    .max_flat_workgroup_size: 512
    .name:           _ZN7rocprim17ROCPRIM_400000_NS6detail17trampoline_kernelINS0_14default_configENS1_35radix_sort_onesweep_config_selectorIsNS0_10empty_typeEEEZZNS1_29radix_sort_onesweep_iterationIS3_Lb0EPsS8_PS5_S9_mNS0_19identity_decomposerENS1_16block_id_wrapperIjLb1EEEEE10hipError_tT1_PNSt15iterator_traitsISE_E10value_typeET2_T3_PNSF_ISK_E10value_typeET4_T5_PSP_SQ_PNS1_23onesweep_lookback_stateEbbT6_jjT7_P12ihipStream_tbENKUlT_T0_SE_SJ_E_clIS8_S8_S9_S9_EEDaSX_SY_SE_SJ_EUlSX_E_NS1_11comp_targetILNS1_3genE0ELNS1_11target_archE4294967295ELNS1_3gpuE0ELNS1_3repE0EEENS1_47radix_sort_onesweep_sort_config_static_selectorELNS0_4arch9wavefront6targetE1EEEvSE_
    .private_segment_fixed_size: 0
    .sgpr_count:     4
    .sgpr_spill_count: 0
    .symbol:         _ZN7rocprim17ROCPRIM_400000_NS6detail17trampoline_kernelINS0_14default_configENS1_35radix_sort_onesweep_config_selectorIsNS0_10empty_typeEEEZZNS1_29radix_sort_onesweep_iterationIS3_Lb0EPsS8_PS5_S9_mNS0_19identity_decomposerENS1_16block_id_wrapperIjLb1EEEEE10hipError_tT1_PNSt15iterator_traitsISE_E10value_typeET2_T3_PNSF_ISK_E10value_typeET4_T5_PSP_SQ_PNS1_23onesweep_lookback_stateEbbT6_jjT7_P12ihipStream_tbENKUlT_T0_SE_SJ_E_clIS8_S8_S9_S9_EEDaSX_SY_SE_SJ_EUlSX_E_NS1_11comp_targetILNS1_3genE0ELNS1_11target_archE4294967295ELNS1_3gpuE0ELNS1_3repE0EEENS1_47radix_sort_onesweep_sort_config_static_selectorELNS0_4arch9wavefront6targetE1EEEvSE_.kd
    .uniform_work_group_size: 1
    .uses_dynamic_stack: false
    .vgpr_count:     0
    .vgpr_spill_count: 0
    .wavefront_size: 64
  - .agpr_count:     0
    .args:
      - .offset:         0
        .size:           88
        .value_kind:     by_value
    .group_segment_fixed_size: 0
    .kernarg_segment_align: 8
    .kernarg_segment_size: 88
    .language:       OpenCL C
    .language_version:
      - 2
      - 0
    .max_flat_workgroup_size: 1024
    .name:           _ZN7rocprim17ROCPRIM_400000_NS6detail17trampoline_kernelINS0_14default_configENS1_35radix_sort_onesweep_config_selectorIsNS0_10empty_typeEEEZZNS1_29radix_sort_onesweep_iterationIS3_Lb0EPsS8_PS5_S9_mNS0_19identity_decomposerENS1_16block_id_wrapperIjLb1EEEEE10hipError_tT1_PNSt15iterator_traitsISE_E10value_typeET2_T3_PNSF_ISK_E10value_typeET4_T5_PSP_SQ_PNS1_23onesweep_lookback_stateEbbT6_jjT7_P12ihipStream_tbENKUlT_T0_SE_SJ_E_clIS8_S8_S9_S9_EEDaSX_SY_SE_SJ_EUlSX_E_NS1_11comp_targetILNS1_3genE6ELNS1_11target_archE950ELNS1_3gpuE13ELNS1_3repE0EEENS1_47radix_sort_onesweep_sort_config_static_selectorELNS0_4arch9wavefront6targetE1EEEvSE_
    .private_segment_fixed_size: 0
    .sgpr_count:     4
    .sgpr_spill_count: 0
    .symbol:         _ZN7rocprim17ROCPRIM_400000_NS6detail17trampoline_kernelINS0_14default_configENS1_35radix_sort_onesweep_config_selectorIsNS0_10empty_typeEEEZZNS1_29radix_sort_onesweep_iterationIS3_Lb0EPsS8_PS5_S9_mNS0_19identity_decomposerENS1_16block_id_wrapperIjLb1EEEEE10hipError_tT1_PNSt15iterator_traitsISE_E10value_typeET2_T3_PNSF_ISK_E10value_typeET4_T5_PSP_SQ_PNS1_23onesweep_lookback_stateEbbT6_jjT7_P12ihipStream_tbENKUlT_T0_SE_SJ_E_clIS8_S8_S9_S9_EEDaSX_SY_SE_SJ_EUlSX_E_NS1_11comp_targetILNS1_3genE6ELNS1_11target_archE950ELNS1_3gpuE13ELNS1_3repE0EEENS1_47radix_sort_onesweep_sort_config_static_selectorELNS0_4arch9wavefront6targetE1EEEvSE_.kd
    .uniform_work_group_size: 1
    .uses_dynamic_stack: false
    .vgpr_count:     0
    .vgpr_spill_count: 0
    .wavefront_size: 64
  - .agpr_count:     0
    .args:
      - .offset:         0
        .size:           88
        .value_kind:     by_value
    .group_segment_fixed_size: 0
    .kernarg_segment_align: 8
    .kernarg_segment_size: 88
    .language:       OpenCL C
    .language_version:
      - 2
      - 0
    .max_flat_workgroup_size: 1024
    .name:           _ZN7rocprim17ROCPRIM_400000_NS6detail17trampoline_kernelINS0_14default_configENS1_35radix_sort_onesweep_config_selectorIsNS0_10empty_typeEEEZZNS1_29radix_sort_onesweep_iterationIS3_Lb0EPsS8_PS5_S9_mNS0_19identity_decomposerENS1_16block_id_wrapperIjLb1EEEEE10hipError_tT1_PNSt15iterator_traitsISE_E10value_typeET2_T3_PNSF_ISK_E10value_typeET4_T5_PSP_SQ_PNS1_23onesweep_lookback_stateEbbT6_jjT7_P12ihipStream_tbENKUlT_T0_SE_SJ_E_clIS8_S8_S9_S9_EEDaSX_SY_SE_SJ_EUlSX_E_NS1_11comp_targetILNS1_3genE5ELNS1_11target_archE942ELNS1_3gpuE9ELNS1_3repE0EEENS1_47radix_sort_onesweep_sort_config_static_selectorELNS0_4arch9wavefront6targetE1EEEvSE_
    .private_segment_fixed_size: 0
    .sgpr_count:     4
    .sgpr_spill_count: 0
    .symbol:         _ZN7rocprim17ROCPRIM_400000_NS6detail17trampoline_kernelINS0_14default_configENS1_35radix_sort_onesweep_config_selectorIsNS0_10empty_typeEEEZZNS1_29radix_sort_onesweep_iterationIS3_Lb0EPsS8_PS5_S9_mNS0_19identity_decomposerENS1_16block_id_wrapperIjLb1EEEEE10hipError_tT1_PNSt15iterator_traitsISE_E10value_typeET2_T3_PNSF_ISK_E10value_typeET4_T5_PSP_SQ_PNS1_23onesweep_lookback_stateEbbT6_jjT7_P12ihipStream_tbENKUlT_T0_SE_SJ_E_clIS8_S8_S9_S9_EEDaSX_SY_SE_SJ_EUlSX_E_NS1_11comp_targetILNS1_3genE5ELNS1_11target_archE942ELNS1_3gpuE9ELNS1_3repE0EEENS1_47radix_sort_onesweep_sort_config_static_selectorELNS0_4arch9wavefront6targetE1EEEvSE_.kd
    .uniform_work_group_size: 1
    .uses_dynamic_stack: false
    .vgpr_count:     0
    .vgpr_spill_count: 0
    .wavefront_size: 64
  - .agpr_count:     0
    .args:
      - .offset:         0
        .size:           88
        .value_kind:     by_value
    .group_segment_fixed_size: 0
    .kernarg_segment_align: 8
    .kernarg_segment_size: 88
    .language:       OpenCL C
    .language_version:
      - 2
      - 0
    .max_flat_workgroup_size: 512
    .name:           _ZN7rocprim17ROCPRIM_400000_NS6detail17trampoline_kernelINS0_14default_configENS1_35radix_sort_onesweep_config_selectorIsNS0_10empty_typeEEEZZNS1_29radix_sort_onesweep_iterationIS3_Lb0EPsS8_PS5_S9_mNS0_19identity_decomposerENS1_16block_id_wrapperIjLb1EEEEE10hipError_tT1_PNSt15iterator_traitsISE_E10value_typeET2_T3_PNSF_ISK_E10value_typeET4_T5_PSP_SQ_PNS1_23onesweep_lookback_stateEbbT6_jjT7_P12ihipStream_tbENKUlT_T0_SE_SJ_E_clIS8_S8_S9_S9_EEDaSX_SY_SE_SJ_EUlSX_E_NS1_11comp_targetILNS1_3genE2ELNS1_11target_archE906ELNS1_3gpuE6ELNS1_3repE0EEENS1_47radix_sort_onesweep_sort_config_static_selectorELNS0_4arch9wavefront6targetE1EEEvSE_
    .private_segment_fixed_size: 0
    .sgpr_count:     4
    .sgpr_spill_count: 0
    .symbol:         _ZN7rocprim17ROCPRIM_400000_NS6detail17trampoline_kernelINS0_14default_configENS1_35radix_sort_onesweep_config_selectorIsNS0_10empty_typeEEEZZNS1_29radix_sort_onesweep_iterationIS3_Lb0EPsS8_PS5_S9_mNS0_19identity_decomposerENS1_16block_id_wrapperIjLb1EEEEE10hipError_tT1_PNSt15iterator_traitsISE_E10value_typeET2_T3_PNSF_ISK_E10value_typeET4_T5_PSP_SQ_PNS1_23onesweep_lookback_stateEbbT6_jjT7_P12ihipStream_tbENKUlT_T0_SE_SJ_E_clIS8_S8_S9_S9_EEDaSX_SY_SE_SJ_EUlSX_E_NS1_11comp_targetILNS1_3genE2ELNS1_11target_archE906ELNS1_3gpuE6ELNS1_3repE0EEENS1_47radix_sort_onesweep_sort_config_static_selectorELNS0_4arch9wavefront6targetE1EEEvSE_.kd
    .uniform_work_group_size: 1
    .uses_dynamic_stack: false
    .vgpr_count:     0
    .vgpr_spill_count: 0
    .wavefront_size: 64
  - .agpr_count:     0
    .args:
      - .offset:         0
        .size:           88
        .value_kind:     by_value
      - .offset:         88
        .size:           4
        .value_kind:     hidden_block_count_x
      - .offset:         92
        .size:           4
        .value_kind:     hidden_block_count_y
      - .offset:         96
        .size:           4
        .value_kind:     hidden_block_count_z
      - .offset:         100
        .size:           2
        .value_kind:     hidden_group_size_x
      - .offset:         102
        .size:           2
        .value_kind:     hidden_group_size_y
      - .offset:         104
        .size:           2
        .value_kind:     hidden_group_size_z
      - .offset:         106
        .size:           2
        .value_kind:     hidden_remainder_x
      - .offset:         108
        .size:           2
        .value_kind:     hidden_remainder_y
      - .offset:         110
        .size:           2
        .value_kind:     hidden_remainder_z
      - .offset:         128
        .size:           8
        .value_kind:     hidden_global_offset_x
      - .offset:         136
        .size:           8
        .value_kind:     hidden_global_offset_y
      - .offset:         144
        .size:           8
        .value_kind:     hidden_global_offset_z
      - .offset:         152
        .size:           2
        .value_kind:     hidden_grid_dims
    .group_segment_fixed_size: 26632
    .kernarg_segment_align: 8
    .kernarg_segment_size: 344
    .language:       OpenCL C
    .language_version:
      - 2
      - 0
    .max_flat_workgroup_size: 1024
    .name:           _ZN7rocprim17ROCPRIM_400000_NS6detail17trampoline_kernelINS0_14default_configENS1_35radix_sort_onesweep_config_selectorIsNS0_10empty_typeEEEZZNS1_29radix_sort_onesweep_iterationIS3_Lb0EPsS8_PS5_S9_mNS0_19identity_decomposerENS1_16block_id_wrapperIjLb1EEEEE10hipError_tT1_PNSt15iterator_traitsISE_E10value_typeET2_T3_PNSF_ISK_E10value_typeET4_T5_PSP_SQ_PNS1_23onesweep_lookback_stateEbbT6_jjT7_P12ihipStream_tbENKUlT_T0_SE_SJ_E_clIS8_S8_S9_S9_EEDaSX_SY_SE_SJ_EUlSX_E_NS1_11comp_targetILNS1_3genE4ELNS1_11target_archE910ELNS1_3gpuE8ELNS1_3repE0EEENS1_47radix_sort_onesweep_sort_config_static_selectorELNS0_4arch9wavefront6targetE1EEEvSE_
    .private_segment_fixed_size: 0
    .sgpr_count:     39
    .sgpr_spill_count: 0
    .symbol:         _ZN7rocprim17ROCPRIM_400000_NS6detail17trampoline_kernelINS0_14default_configENS1_35radix_sort_onesweep_config_selectorIsNS0_10empty_typeEEEZZNS1_29radix_sort_onesweep_iterationIS3_Lb0EPsS8_PS5_S9_mNS0_19identity_decomposerENS1_16block_id_wrapperIjLb1EEEEE10hipError_tT1_PNSt15iterator_traitsISE_E10value_typeET2_T3_PNSF_ISK_E10value_typeET4_T5_PSP_SQ_PNS1_23onesweep_lookback_stateEbbT6_jjT7_P12ihipStream_tbENKUlT_T0_SE_SJ_E_clIS8_S8_S9_S9_EEDaSX_SY_SE_SJ_EUlSX_E_NS1_11comp_targetILNS1_3genE4ELNS1_11target_archE910ELNS1_3gpuE8ELNS1_3repE0EEENS1_47radix_sort_onesweep_sort_config_static_selectorELNS0_4arch9wavefront6targetE1EEEvSE_.kd
    .uniform_work_group_size: 1
    .uses_dynamic_stack: false
    .vgpr_count:     62
    .vgpr_spill_count: 0
    .wavefront_size: 64
  - .agpr_count:     0
    .args:
      - .offset:         0
        .size:           88
        .value_kind:     by_value
    .group_segment_fixed_size: 0
    .kernarg_segment_align: 8
    .kernarg_segment_size: 88
    .language:       OpenCL C
    .language_version:
      - 2
      - 0
    .max_flat_workgroup_size: 512
    .name:           _ZN7rocprim17ROCPRIM_400000_NS6detail17trampoline_kernelINS0_14default_configENS1_35radix_sort_onesweep_config_selectorIsNS0_10empty_typeEEEZZNS1_29radix_sort_onesweep_iterationIS3_Lb0EPsS8_PS5_S9_mNS0_19identity_decomposerENS1_16block_id_wrapperIjLb1EEEEE10hipError_tT1_PNSt15iterator_traitsISE_E10value_typeET2_T3_PNSF_ISK_E10value_typeET4_T5_PSP_SQ_PNS1_23onesweep_lookback_stateEbbT6_jjT7_P12ihipStream_tbENKUlT_T0_SE_SJ_E_clIS8_S8_S9_S9_EEDaSX_SY_SE_SJ_EUlSX_E_NS1_11comp_targetILNS1_3genE3ELNS1_11target_archE908ELNS1_3gpuE7ELNS1_3repE0EEENS1_47radix_sort_onesweep_sort_config_static_selectorELNS0_4arch9wavefront6targetE1EEEvSE_
    .private_segment_fixed_size: 0
    .sgpr_count:     4
    .sgpr_spill_count: 0
    .symbol:         _ZN7rocprim17ROCPRIM_400000_NS6detail17trampoline_kernelINS0_14default_configENS1_35radix_sort_onesweep_config_selectorIsNS0_10empty_typeEEEZZNS1_29radix_sort_onesweep_iterationIS3_Lb0EPsS8_PS5_S9_mNS0_19identity_decomposerENS1_16block_id_wrapperIjLb1EEEEE10hipError_tT1_PNSt15iterator_traitsISE_E10value_typeET2_T3_PNSF_ISK_E10value_typeET4_T5_PSP_SQ_PNS1_23onesweep_lookback_stateEbbT6_jjT7_P12ihipStream_tbENKUlT_T0_SE_SJ_E_clIS8_S8_S9_S9_EEDaSX_SY_SE_SJ_EUlSX_E_NS1_11comp_targetILNS1_3genE3ELNS1_11target_archE908ELNS1_3gpuE7ELNS1_3repE0EEENS1_47radix_sort_onesweep_sort_config_static_selectorELNS0_4arch9wavefront6targetE1EEEvSE_.kd
    .uniform_work_group_size: 1
    .uses_dynamic_stack: false
    .vgpr_count:     0
    .vgpr_spill_count: 0
    .wavefront_size: 64
  - .agpr_count:     0
    .args:
      - .offset:         0
        .size:           88
        .value_kind:     by_value
    .group_segment_fixed_size: 0
    .kernarg_segment_align: 8
    .kernarg_segment_size: 88
    .language:       OpenCL C
    .language_version:
      - 2
      - 0
    .max_flat_workgroup_size: 256
    .name:           _ZN7rocprim17ROCPRIM_400000_NS6detail17trampoline_kernelINS0_14default_configENS1_35radix_sort_onesweep_config_selectorIsNS0_10empty_typeEEEZZNS1_29radix_sort_onesweep_iterationIS3_Lb0EPsS8_PS5_S9_mNS0_19identity_decomposerENS1_16block_id_wrapperIjLb1EEEEE10hipError_tT1_PNSt15iterator_traitsISE_E10value_typeET2_T3_PNSF_ISK_E10value_typeET4_T5_PSP_SQ_PNS1_23onesweep_lookback_stateEbbT6_jjT7_P12ihipStream_tbENKUlT_T0_SE_SJ_E_clIS8_S8_S9_S9_EEDaSX_SY_SE_SJ_EUlSX_E_NS1_11comp_targetILNS1_3genE10ELNS1_11target_archE1201ELNS1_3gpuE5ELNS1_3repE0EEENS1_47radix_sort_onesweep_sort_config_static_selectorELNS0_4arch9wavefront6targetE1EEEvSE_
    .private_segment_fixed_size: 0
    .sgpr_count:     4
    .sgpr_spill_count: 0
    .symbol:         _ZN7rocprim17ROCPRIM_400000_NS6detail17trampoline_kernelINS0_14default_configENS1_35radix_sort_onesweep_config_selectorIsNS0_10empty_typeEEEZZNS1_29radix_sort_onesweep_iterationIS3_Lb0EPsS8_PS5_S9_mNS0_19identity_decomposerENS1_16block_id_wrapperIjLb1EEEEE10hipError_tT1_PNSt15iterator_traitsISE_E10value_typeET2_T3_PNSF_ISK_E10value_typeET4_T5_PSP_SQ_PNS1_23onesweep_lookback_stateEbbT6_jjT7_P12ihipStream_tbENKUlT_T0_SE_SJ_E_clIS8_S8_S9_S9_EEDaSX_SY_SE_SJ_EUlSX_E_NS1_11comp_targetILNS1_3genE10ELNS1_11target_archE1201ELNS1_3gpuE5ELNS1_3repE0EEENS1_47radix_sort_onesweep_sort_config_static_selectorELNS0_4arch9wavefront6targetE1EEEvSE_.kd
    .uniform_work_group_size: 1
    .uses_dynamic_stack: false
    .vgpr_count:     0
    .vgpr_spill_count: 0
    .wavefront_size: 64
  - .agpr_count:     0
    .args:
      - .offset:         0
        .size:           88
        .value_kind:     by_value
    .group_segment_fixed_size: 0
    .kernarg_segment_align: 8
    .kernarg_segment_size: 88
    .language:       OpenCL C
    .language_version:
      - 2
      - 0
    .max_flat_workgroup_size: 256
    .name:           _ZN7rocprim17ROCPRIM_400000_NS6detail17trampoline_kernelINS0_14default_configENS1_35radix_sort_onesweep_config_selectorIsNS0_10empty_typeEEEZZNS1_29radix_sort_onesweep_iterationIS3_Lb0EPsS8_PS5_S9_mNS0_19identity_decomposerENS1_16block_id_wrapperIjLb1EEEEE10hipError_tT1_PNSt15iterator_traitsISE_E10value_typeET2_T3_PNSF_ISK_E10value_typeET4_T5_PSP_SQ_PNS1_23onesweep_lookback_stateEbbT6_jjT7_P12ihipStream_tbENKUlT_T0_SE_SJ_E_clIS8_S8_S9_S9_EEDaSX_SY_SE_SJ_EUlSX_E_NS1_11comp_targetILNS1_3genE9ELNS1_11target_archE1100ELNS1_3gpuE3ELNS1_3repE0EEENS1_47radix_sort_onesweep_sort_config_static_selectorELNS0_4arch9wavefront6targetE1EEEvSE_
    .private_segment_fixed_size: 0
    .sgpr_count:     4
    .sgpr_spill_count: 0
    .symbol:         _ZN7rocprim17ROCPRIM_400000_NS6detail17trampoline_kernelINS0_14default_configENS1_35radix_sort_onesweep_config_selectorIsNS0_10empty_typeEEEZZNS1_29radix_sort_onesweep_iterationIS3_Lb0EPsS8_PS5_S9_mNS0_19identity_decomposerENS1_16block_id_wrapperIjLb1EEEEE10hipError_tT1_PNSt15iterator_traitsISE_E10value_typeET2_T3_PNSF_ISK_E10value_typeET4_T5_PSP_SQ_PNS1_23onesweep_lookback_stateEbbT6_jjT7_P12ihipStream_tbENKUlT_T0_SE_SJ_E_clIS8_S8_S9_S9_EEDaSX_SY_SE_SJ_EUlSX_E_NS1_11comp_targetILNS1_3genE9ELNS1_11target_archE1100ELNS1_3gpuE3ELNS1_3repE0EEENS1_47radix_sort_onesweep_sort_config_static_selectorELNS0_4arch9wavefront6targetE1EEEvSE_.kd
    .uniform_work_group_size: 1
    .uses_dynamic_stack: false
    .vgpr_count:     0
    .vgpr_spill_count: 0
    .wavefront_size: 64
  - .agpr_count:     0
    .args:
      - .offset:         0
        .size:           88
        .value_kind:     by_value
    .group_segment_fixed_size: 0
    .kernarg_segment_align: 8
    .kernarg_segment_size: 88
    .language:       OpenCL C
    .language_version:
      - 2
      - 0
    .max_flat_workgroup_size: 256
    .name:           _ZN7rocprim17ROCPRIM_400000_NS6detail17trampoline_kernelINS0_14default_configENS1_35radix_sort_onesweep_config_selectorIsNS0_10empty_typeEEEZZNS1_29radix_sort_onesweep_iterationIS3_Lb0EPsS8_PS5_S9_mNS0_19identity_decomposerENS1_16block_id_wrapperIjLb1EEEEE10hipError_tT1_PNSt15iterator_traitsISE_E10value_typeET2_T3_PNSF_ISK_E10value_typeET4_T5_PSP_SQ_PNS1_23onesweep_lookback_stateEbbT6_jjT7_P12ihipStream_tbENKUlT_T0_SE_SJ_E_clIS8_S8_S9_S9_EEDaSX_SY_SE_SJ_EUlSX_E_NS1_11comp_targetILNS1_3genE8ELNS1_11target_archE1030ELNS1_3gpuE2ELNS1_3repE0EEENS1_47radix_sort_onesweep_sort_config_static_selectorELNS0_4arch9wavefront6targetE1EEEvSE_
    .private_segment_fixed_size: 0
    .sgpr_count:     4
    .sgpr_spill_count: 0
    .symbol:         _ZN7rocprim17ROCPRIM_400000_NS6detail17trampoline_kernelINS0_14default_configENS1_35radix_sort_onesweep_config_selectorIsNS0_10empty_typeEEEZZNS1_29radix_sort_onesweep_iterationIS3_Lb0EPsS8_PS5_S9_mNS0_19identity_decomposerENS1_16block_id_wrapperIjLb1EEEEE10hipError_tT1_PNSt15iterator_traitsISE_E10value_typeET2_T3_PNSF_ISK_E10value_typeET4_T5_PSP_SQ_PNS1_23onesweep_lookback_stateEbbT6_jjT7_P12ihipStream_tbENKUlT_T0_SE_SJ_E_clIS8_S8_S9_S9_EEDaSX_SY_SE_SJ_EUlSX_E_NS1_11comp_targetILNS1_3genE8ELNS1_11target_archE1030ELNS1_3gpuE2ELNS1_3repE0EEENS1_47radix_sort_onesweep_sort_config_static_selectorELNS0_4arch9wavefront6targetE1EEEvSE_.kd
    .uniform_work_group_size: 1
    .uses_dynamic_stack: false
    .vgpr_count:     0
    .vgpr_spill_count: 0
    .wavefront_size: 64
  - .agpr_count:     0
    .args:
      - .offset:         0
        .size:           88
        .value_kind:     by_value
    .group_segment_fixed_size: 0
    .kernarg_segment_align: 8
    .kernarg_segment_size: 88
    .language:       OpenCL C
    .language_version:
      - 2
      - 0
    .max_flat_workgroup_size: 512
    .name:           _ZN7rocprim17ROCPRIM_400000_NS6detail17trampoline_kernelINS0_14default_configENS1_35radix_sort_onesweep_config_selectorIsNS0_10empty_typeEEEZZNS1_29radix_sort_onesweep_iterationIS3_Lb0EPsS8_PS5_S9_mNS0_19identity_decomposerENS1_16block_id_wrapperIjLb0EEEEE10hipError_tT1_PNSt15iterator_traitsISE_E10value_typeET2_T3_PNSF_ISK_E10value_typeET4_T5_PSP_SQ_PNS1_23onesweep_lookback_stateEbbT6_jjT7_P12ihipStream_tbENKUlT_T0_SE_SJ_E_clIS8_S8_S9_S9_EEDaSX_SY_SE_SJ_EUlSX_E_NS1_11comp_targetILNS1_3genE0ELNS1_11target_archE4294967295ELNS1_3gpuE0ELNS1_3repE0EEENS1_47radix_sort_onesweep_sort_config_static_selectorELNS0_4arch9wavefront6targetE1EEEvSE_
    .private_segment_fixed_size: 0
    .sgpr_count:     4
    .sgpr_spill_count: 0
    .symbol:         _ZN7rocprim17ROCPRIM_400000_NS6detail17trampoline_kernelINS0_14default_configENS1_35radix_sort_onesweep_config_selectorIsNS0_10empty_typeEEEZZNS1_29radix_sort_onesweep_iterationIS3_Lb0EPsS8_PS5_S9_mNS0_19identity_decomposerENS1_16block_id_wrapperIjLb0EEEEE10hipError_tT1_PNSt15iterator_traitsISE_E10value_typeET2_T3_PNSF_ISK_E10value_typeET4_T5_PSP_SQ_PNS1_23onesweep_lookback_stateEbbT6_jjT7_P12ihipStream_tbENKUlT_T0_SE_SJ_E_clIS8_S8_S9_S9_EEDaSX_SY_SE_SJ_EUlSX_E_NS1_11comp_targetILNS1_3genE0ELNS1_11target_archE4294967295ELNS1_3gpuE0ELNS1_3repE0EEENS1_47radix_sort_onesweep_sort_config_static_selectorELNS0_4arch9wavefront6targetE1EEEvSE_.kd
    .uniform_work_group_size: 1
    .uses_dynamic_stack: false
    .vgpr_count:     0
    .vgpr_spill_count: 0
    .wavefront_size: 64
  - .agpr_count:     0
    .args:
      - .offset:         0
        .size:           88
        .value_kind:     by_value
    .group_segment_fixed_size: 0
    .kernarg_segment_align: 8
    .kernarg_segment_size: 88
    .language:       OpenCL C
    .language_version:
      - 2
      - 0
    .max_flat_workgroup_size: 1024
    .name:           _ZN7rocprim17ROCPRIM_400000_NS6detail17trampoline_kernelINS0_14default_configENS1_35radix_sort_onesweep_config_selectorIsNS0_10empty_typeEEEZZNS1_29radix_sort_onesweep_iterationIS3_Lb0EPsS8_PS5_S9_mNS0_19identity_decomposerENS1_16block_id_wrapperIjLb0EEEEE10hipError_tT1_PNSt15iterator_traitsISE_E10value_typeET2_T3_PNSF_ISK_E10value_typeET4_T5_PSP_SQ_PNS1_23onesweep_lookback_stateEbbT6_jjT7_P12ihipStream_tbENKUlT_T0_SE_SJ_E_clIS8_S8_S9_S9_EEDaSX_SY_SE_SJ_EUlSX_E_NS1_11comp_targetILNS1_3genE6ELNS1_11target_archE950ELNS1_3gpuE13ELNS1_3repE0EEENS1_47radix_sort_onesweep_sort_config_static_selectorELNS0_4arch9wavefront6targetE1EEEvSE_
    .private_segment_fixed_size: 0
    .sgpr_count:     4
    .sgpr_spill_count: 0
    .symbol:         _ZN7rocprim17ROCPRIM_400000_NS6detail17trampoline_kernelINS0_14default_configENS1_35radix_sort_onesweep_config_selectorIsNS0_10empty_typeEEEZZNS1_29radix_sort_onesweep_iterationIS3_Lb0EPsS8_PS5_S9_mNS0_19identity_decomposerENS1_16block_id_wrapperIjLb0EEEEE10hipError_tT1_PNSt15iterator_traitsISE_E10value_typeET2_T3_PNSF_ISK_E10value_typeET4_T5_PSP_SQ_PNS1_23onesweep_lookback_stateEbbT6_jjT7_P12ihipStream_tbENKUlT_T0_SE_SJ_E_clIS8_S8_S9_S9_EEDaSX_SY_SE_SJ_EUlSX_E_NS1_11comp_targetILNS1_3genE6ELNS1_11target_archE950ELNS1_3gpuE13ELNS1_3repE0EEENS1_47radix_sort_onesweep_sort_config_static_selectorELNS0_4arch9wavefront6targetE1EEEvSE_.kd
    .uniform_work_group_size: 1
    .uses_dynamic_stack: false
    .vgpr_count:     0
    .vgpr_spill_count: 0
    .wavefront_size: 64
  - .agpr_count:     0
    .args:
      - .offset:         0
        .size:           88
        .value_kind:     by_value
    .group_segment_fixed_size: 0
    .kernarg_segment_align: 8
    .kernarg_segment_size: 88
    .language:       OpenCL C
    .language_version:
      - 2
      - 0
    .max_flat_workgroup_size: 1024
    .name:           _ZN7rocprim17ROCPRIM_400000_NS6detail17trampoline_kernelINS0_14default_configENS1_35radix_sort_onesweep_config_selectorIsNS0_10empty_typeEEEZZNS1_29radix_sort_onesweep_iterationIS3_Lb0EPsS8_PS5_S9_mNS0_19identity_decomposerENS1_16block_id_wrapperIjLb0EEEEE10hipError_tT1_PNSt15iterator_traitsISE_E10value_typeET2_T3_PNSF_ISK_E10value_typeET4_T5_PSP_SQ_PNS1_23onesweep_lookback_stateEbbT6_jjT7_P12ihipStream_tbENKUlT_T0_SE_SJ_E_clIS8_S8_S9_S9_EEDaSX_SY_SE_SJ_EUlSX_E_NS1_11comp_targetILNS1_3genE5ELNS1_11target_archE942ELNS1_3gpuE9ELNS1_3repE0EEENS1_47radix_sort_onesweep_sort_config_static_selectorELNS0_4arch9wavefront6targetE1EEEvSE_
    .private_segment_fixed_size: 0
    .sgpr_count:     4
    .sgpr_spill_count: 0
    .symbol:         _ZN7rocprim17ROCPRIM_400000_NS6detail17trampoline_kernelINS0_14default_configENS1_35radix_sort_onesweep_config_selectorIsNS0_10empty_typeEEEZZNS1_29radix_sort_onesweep_iterationIS3_Lb0EPsS8_PS5_S9_mNS0_19identity_decomposerENS1_16block_id_wrapperIjLb0EEEEE10hipError_tT1_PNSt15iterator_traitsISE_E10value_typeET2_T3_PNSF_ISK_E10value_typeET4_T5_PSP_SQ_PNS1_23onesweep_lookback_stateEbbT6_jjT7_P12ihipStream_tbENKUlT_T0_SE_SJ_E_clIS8_S8_S9_S9_EEDaSX_SY_SE_SJ_EUlSX_E_NS1_11comp_targetILNS1_3genE5ELNS1_11target_archE942ELNS1_3gpuE9ELNS1_3repE0EEENS1_47radix_sort_onesweep_sort_config_static_selectorELNS0_4arch9wavefront6targetE1EEEvSE_.kd
    .uniform_work_group_size: 1
    .uses_dynamic_stack: false
    .vgpr_count:     0
    .vgpr_spill_count: 0
    .wavefront_size: 64
  - .agpr_count:     0
    .args:
      - .offset:         0
        .size:           88
        .value_kind:     by_value
    .group_segment_fixed_size: 0
    .kernarg_segment_align: 8
    .kernarg_segment_size: 88
    .language:       OpenCL C
    .language_version:
      - 2
      - 0
    .max_flat_workgroup_size: 512
    .name:           _ZN7rocprim17ROCPRIM_400000_NS6detail17trampoline_kernelINS0_14default_configENS1_35radix_sort_onesweep_config_selectorIsNS0_10empty_typeEEEZZNS1_29radix_sort_onesweep_iterationIS3_Lb0EPsS8_PS5_S9_mNS0_19identity_decomposerENS1_16block_id_wrapperIjLb0EEEEE10hipError_tT1_PNSt15iterator_traitsISE_E10value_typeET2_T3_PNSF_ISK_E10value_typeET4_T5_PSP_SQ_PNS1_23onesweep_lookback_stateEbbT6_jjT7_P12ihipStream_tbENKUlT_T0_SE_SJ_E_clIS8_S8_S9_S9_EEDaSX_SY_SE_SJ_EUlSX_E_NS1_11comp_targetILNS1_3genE2ELNS1_11target_archE906ELNS1_3gpuE6ELNS1_3repE0EEENS1_47radix_sort_onesweep_sort_config_static_selectorELNS0_4arch9wavefront6targetE1EEEvSE_
    .private_segment_fixed_size: 0
    .sgpr_count:     4
    .sgpr_spill_count: 0
    .symbol:         _ZN7rocprim17ROCPRIM_400000_NS6detail17trampoline_kernelINS0_14default_configENS1_35radix_sort_onesweep_config_selectorIsNS0_10empty_typeEEEZZNS1_29radix_sort_onesweep_iterationIS3_Lb0EPsS8_PS5_S9_mNS0_19identity_decomposerENS1_16block_id_wrapperIjLb0EEEEE10hipError_tT1_PNSt15iterator_traitsISE_E10value_typeET2_T3_PNSF_ISK_E10value_typeET4_T5_PSP_SQ_PNS1_23onesweep_lookback_stateEbbT6_jjT7_P12ihipStream_tbENKUlT_T0_SE_SJ_E_clIS8_S8_S9_S9_EEDaSX_SY_SE_SJ_EUlSX_E_NS1_11comp_targetILNS1_3genE2ELNS1_11target_archE906ELNS1_3gpuE6ELNS1_3repE0EEENS1_47radix_sort_onesweep_sort_config_static_selectorELNS0_4arch9wavefront6targetE1EEEvSE_.kd
    .uniform_work_group_size: 1
    .uses_dynamic_stack: false
    .vgpr_count:     0
    .vgpr_spill_count: 0
    .wavefront_size: 64
  - .agpr_count:     0
    .args:
      - .offset:         0
        .size:           88
        .value_kind:     by_value
      - .offset:         88
        .size:           4
        .value_kind:     hidden_block_count_x
      - .offset:         92
        .size:           4
        .value_kind:     hidden_block_count_y
      - .offset:         96
        .size:           4
        .value_kind:     hidden_block_count_z
      - .offset:         100
        .size:           2
        .value_kind:     hidden_group_size_x
      - .offset:         102
        .size:           2
        .value_kind:     hidden_group_size_y
      - .offset:         104
        .size:           2
        .value_kind:     hidden_group_size_z
      - .offset:         106
        .size:           2
        .value_kind:     hidden_remainder_x
      - .offset:         108
        .size:           2
        .value_kind:     hidden_remainder_y
      - .offset:         110
        .size:           2
        .value_kind:     hidden_remainder_z
      - .offset:         128
        .size:           8
        .value_kind:     hidden_global_offset_x
      - .offset:         136
        .size:           8
        .value_kind:     hidden_global_offset_y
      - .offset:         144
        .size:           8
        .value_kind:     hidden_global_offset_z
      - .offset:         152
        .size:           2
        .value_kind:     hidden_grid_dims
    .group_segment_fixed_size: 26632
    .kernarg_segment_align: 8
    .kernarg_segment_size: 344
    .language:       OpenCL C
    .language_version:
      - 2
      - 0
    .max_flat_workgroup_size: 1024
    .name:           _ZN7rocprim17ROCPRIM_400000_NS6detail17trampoline_kernelINS0_14default_configENS1_35radix_sort_onesweep_config_selectorIsNS0_10empty_typeEEEZZNS1_29radix_sort_onesweep_iterationIS3_Lb0EPsS8_PS5_S9_mNS0_19identity_decomposerENS1_16block_id_wrapperIjLb0EEEEE10hipError_tT1_PNSt15iterator_traitsISE_E10value_typeET2_T3_PNSF_ISK_E10value_typeET4_T5_PSP_SQ_PNS1_23onesweep_lookback_stateEbbT6_jjT7_P12ihipStream_tbENKUlT_T0_SE_SJ_E_clIS8_S8_S9_S9_EEDaSX_SY_SE_SJ_EUlSX_E_NS1_11comp_targetILNS1_3genE4ELNS1_11target_archE910ELNS1_3gpuE8ELNS1_3repE0EEENS1_47radix_sort_onesweep_sort_config_static_selectorELNS0_4arch9wavefront6targetE1EEEvSE_
    .private_segment_fixed_size: 0
    .sgpr_count:     48
    .sgpr_spill_count: 0
    .symbol:         _ZN7rocprim17ROCPRIM_400000_NS6detail17trampoline_kernelINS0_14default_configENS1_35radix_sort_onesweep_config_selectorIsNS0_10empty_typeEEEZZNS1_29radix_sort_onesweep_iterationIS3_Lb0EPsS8_PS5_S9_mNS0_19identity_decomposerENS1_16block_id_wrapperIjLb0EEEEE10hipError_tT1_PNSt15iterator_traitsISE_E10value_typeET2_T3_PNSF_ISK_E10value_typeET4_T5_PSP_SQ_PNS1_23onesweep_lookback_stateEbbT6_jjT7_P12ihipStream_tbENKUlT_T0_SE_SJ_E_clIS8_S8_S9_S9_EEDaSX_SY_SE_SJ_EUlSX_E_NS1_11comp_targetILNS1_3genE4ELNS1_11target_archE910ELNS1_3gpuE8ELNS1_3repE0EEENS1_47radix_sort_onesweep_sort_config_static_selectorELNS0_4arch9wavefront6targetE1EEEvSE_.kd
    .uniform_work_group_size: 1
    .uses_dynamic_stack: false
    .vgpr_count:     62
    .vgpr_spill_count: 0
    .wavefront_size: 64
  - .agpr_count:     0
    .args:
      - .offset:         0
        .size:           88
        .value_kind:     by_value
    .group_segment_fixed_size: 0
    .kernarg_segment_align: 8
    .kernarg_segment_size: 88
    .language:       OpenCL C
    .language_version:
      - 2
      - 0
    .max_flat_workgroup_size: 512
    .name:           _ZN7rocprim17ROCPRIM_400000_NS6detail17trampoline_kernelINS0_14default_configENS1_35radix_sort_onesweep_config_selectorIsNS0_10empty_typeEEEZZNS1_29radix_sort_onesweep_iterationIS3_Lb0EPsS8_PS5_S9_mNS0_19identity_decomposerENS1_16block_id_wrapperIjLb0EEEEE10hipError_tT1_PNSt15iterator_traitsISE_E10value_typeET2_T3_PNSF_ISK_E10value_typeET4_T5_PSP_SQ_PNS1_23onesweep_lookback_stateEbbT6_jjT7_P12ihipStream_tbENKUlT_T0_SE_SJ_E_clIS8_S8_S9_S9_EEDaSX_SY_SE_SJ_EUlSX_E_NS1_11comp_targetILNS1_3genE3ELNS1_11target_archE908ELNS1_3gpuE7ELNS1_3repE0EEENS1_47radix_sort_onesweep_sort_config_static_selectorELNS0_4arch9wavefront6targetE1EEEvSE_
    .private_segment_fixed_size: 0
    .sgpr_count:     4
    .sgpr_spill_count: 0
    .symbol:         _ZN7rocprim17ROCPRIM_400000_NS6detail17trampoline_kernelINS0_14default_configENS1_35radix_sort_onesweep_config_selectorIsNS0_10empty_typeEEEZZNS1_29radix_sort_onesweep_iterationIS3_Lb0EPsS8_PS5_S9_mNS0_19identity_decomposerENS1_16block_id_wrapperIjLb0EEEEE10hipError_tT1_PNSt15iterator_traitsISE_E10value_typeET2_T3_PNSF_ISK_E10value_typeET4_T5_PSP_SQ_PNS1_23onesweep_lookback_stateEbbT6_jjT7_P12ihipStream_tbENKUlT_T0_SE_SJ_E_clIS8_S8_S9_S9_EEDaSX_SY_SE_SJ_EUlSX_E_NS1_11comp_targetILNS1_3genE3ELNS1_11target_archE908ELNS1_3gpuE7ELNS1_3repE0EEENS1_47radix_sort_onesweep_sort_config_static_selectorELNS0_4arch9wavefront6targetE1EEEvSE_.kd
    .uniform_work_group_size: 1
    .uses_dynamic_stack: false
    .vgpr_count:     0
    .vgpr_spill_count: 0
    .wavefront_size: 64
  - .agpr_count:     0
    .args:
      - .offset:         0
        .size:           88
        .value_kind:     by_value
    .group_segment_fixed_size: 0
    .kernarg_segment_align: 8
    .kernarg_segment_size: 88
    .language:       OpenCL C
    .language_version:
      - 2
      - 0
    .max_flat_workgroup_size: 256
    .name:           _ZN7rocprim17ROCPRIM_400000_NS6detail17trampoline_kernelINS0_14default_configENS1_35radix_sort_onesweep_config_selectorIsNS0_10empty_typeEEEZZNS1_29radix_sort_onesweep_iterationIS3_Lb0EPsS8_PS5_S9_mNS0_19identity_decomposerENS1_16block_id_wrapperIjLb0EEEEE10hipError_tT1_PNSt15iterator_traitsISE_E10value_typeET2_T3_PNSF_ISK_E10value_typeET4_T5_PSP_SQ_PNS1_23onesweep_lookback_stateEbbT6_jjT7_P12ihipStream_tbENKUlT_T0_SE_SJ_E_clIS8_S8_S9_S9_EEDaSX_SY_SE_SJ_EUlSX_E_NS1_11comp_targetILNS1_3genE10ELNS1_11target_archE1201ELNS1_3gpuE5ELNS1_3repE0EEENS1_47radix_sort_onesweep_sort_config_static_selectorELNS0_4arch9wavefront6targetE1EEEvSE_
    .private_segment_fixed_size: 0
    .sgpr_count:     4
    .sgpr_spill_count: 0
    .symbol:         _ZN7rocprim17ROCPRIM_400000_NS6detail17trampoline_kernelINS0_14default_configENS1_35radix_sort_onesweep_config_selectorIsNS0_10empty_typeEEEZZNS1_29radix_sort_onesweep_iterationIS3_Lb0EPsS8_PS5_S9_mNS0_19identity_decomposerENS1_16block_id_wrapperIjLb0EEEEE10hipError_tT1_PNSt15iterator_traitsISE_E10value_typeET2_T3_PNSF_ISK_E10value_typeET4_T5_PSP_SQ_PNS1_23onesweep_lookback_stateEbbT6_jjT7_P12ihipStream_tbENKUlT_T0_SE_SJ_E_clIS8_S8_S9_S9_EEDaSX_SY_SE_SJ_EUlSX_E_NS1_11comp_targetILNS1_3genE10ELNS1_11target_archE1201ELNS1_3gpuE5ELNS1_3repE0EEENS1_47radix_sort_onesweep_sort_config_static_selectorELNS0_4arch9wavefront6targetE1EEEvSE_.kd
    .uniform_work_group_size: 1
    .uses_dynamic_stack: false
    .vgpr_count:     0
    .vgpr_spill_count: 0
    .wavefront_size: 64
  - .agpr_count:     0
    .args:
      - .offset:         0
        .size:           88
        .value_kind:     by_value
    .group_segment_fixed_size: 0
    .kernarg_segment_align: 8
    .kernarg_segment_size: 88
    .language:       OpenCL C
    .language_version:
      - 2
      - 0
    .max_flat_workgroup_size: 256
    .name:           _ZN7rocprim17ROCPRIM_400000_NS6detail17trampoline_kernelINS0_14default_configENS1_35radix_sort_onesweep_config_selectorIsNS0_10empty_typeEEEZZNS1_29radix_sort_onesweep_iterationIS3_Lb0EPsS8_PS5_S9_mNS0_19identity_decomposerENS1_16block_id_wrapperIjLb0EEEEE10hipError_tT1_PNSt15iterator_traitsISE_E10value_typeET2_T3_PNSF_ISK_E10value_typeET4_T5_PSP_SQ_PNS1_23onesweep_lookback_stateEbbT6_jjT7_P12ihipStream_tbENKUlT_T0_SE_SJ_E_clIS8_S8_S9_S9_EEDaSX_SY_SE_SJ_EUlSX_E_NS1_11comp_targetILNS1_3genE9ELNS1_11target_archE1100ELNS1_3gpuE3ELNS1_3repE0EEENS1_47radix_sort_onesweep_sort_config_static_selectorELNS0_4arch9wavefront6targetE1EEEvSE_
    .private_segment_fixed_size: 0
    .sgpr_count:     4
    .sgpr_spill_count: 0
    .symbol:         _ZN7rocprim17ROCPRIM_400000_NS6detail17trampoline_kernelINS0_14default_configENS1_35radix_sort_onesweep_config_selectorIsNS0_10empty_typeEEEZZNS1_29radix_sort_onesweep_iterationIS3_Lb0EPsS8_PS5_S9_mNS0_19identity_decomposerENS1_16block_id_wrapperIjLb0EEEEE10hipError_tT1_PNSt15iterator_traitsISE_E10value_typeET2_T3_PNSF_ISK_E10value_typeET4_T5_PSP_SQ_PNS1_23onesweep_lookback_stateEbbT6_jjT7_P12ihipStream_tbENKUlT_T0_SE_SJ_E_clIS8_S8_S9_S9_EEDaSX_SY_SE_SJ_EUlSX_E_NS1_11comp_targetILNS1_3genE9ELNS1_11target_archE1100ELNS1_3gpuE3ELNS1_3repE0EEENS1_47radix_sort_onesweep_sort_config_static_selectorELNS0_4arch9wavefront6targetE1EEEvSE_.kd
    .uniform_work_group_size: 1
    .uses_dynamic_stack: false
    .vgpr_count:     0
    .vgpr_spill_count: 0
    .wavefront_size: 64
  - .agpr_count:     0
    .args:
      - .offset:         0
        .size:           88
        .value_kind:     by_value
    .group_segment_fixed_size: 0
    .kernarg_segment_align: 8
    .kernarg_segment_size: 88
    .language:       OpenCL C
    .language_version:
      - 2
      - 0
    .max_flat_workgroup_size: 256
    .name:           _ZN7rocprim17ROCPRIM_400000_NS6detail17trampoline_kernelINS0_14default_configENS1_35radix_sort_onesweep_config_selectorIsNS0_10empty_typeEEEZZNS1_29radix_sort_onesweep_iterationIS3_Lb0EPsS8_PS5_S9_mNS0_19identity_decomposerENS1_16block_id_wrapperIjLb0EEEEE10hipError_tT1_PNSt15iterator_traitsISE_E10value_typeET2_T3_PNSF_ISK_E10value_typeET4_T5_PSP_SQ_PNS1_23onesweep_lookback_stateEbbT6_jjT7_P12ihipStream_tbENKUlT_T0_SE_SJ_E_clIS8_S8_S9_S9_EEDaSX_SY_SE_SJ_EUlSX_E_NS1_11comp_targetILNS1_3genE8ELNS1_11target_archE1030ELNS1_3gpuE2ELNS1_3repE0EEENS1_47radix_sort_onesweep_sort_config_static_selectorELNS0_4arch9wavefront6targetE1EEEvSE_
    .private_segment_fixed_size: 0
    .sgpr_count:     4
    .sgpr_spill_count: 0
    .symbol:         _ZN7rocprim17ROCPRIM_400000_NS6detail17trampoline_kernelINS0_14default_configENS1_35radix_sort_onesweep_config_selectorIsNS0_10empty_typeEEEZZNS1_29radix_sort_onesweep_iterationIS3_Lb0EPsS8_PS5_S9_mNS0_19identity_decomposerENS1_16block_id_wrapperIjLb0EEEEE10hipError_tT1_PNSt15iterator_traitsISE_E10value_typeET2_T3_PNSF_ISK_E10value_typeET4_T5_PSP_SQ_PNS1_23onesweep_lookback_stateEbbT6_jjT7_P12ihipStream_tbENKUlT_T0_SE_SJ_E_clIS8_S8_S9_S9_EEDaSX_SY_SE_SJ_EUlSX_E_NS1_11comp_targetILNS1_3genE8ELNS1_11target_archE1030ELNS1_3gpuE2ELNS1_3repE0EEENS1_47radix_sort_onesweep_sort_config_static_selectorELNS0_4arch9wavefront6targetE1EEEvSE_.kd
    .uniform_work_group_size: 1
    .uses_dynamic_stack: false
    .vgpr_count:     0
    .vgpr_spill_count: 0
    .wavefront_size: 64
  - .agpr_count:     0
    .args:
      - .offset:         0
        .size:           48
        .value_kind:     by_value
    .group_segment_fixed_size: 0
    .kernarg_segment_align: 8
    .kernarg_segment_size: 48
    .language:       OpenCL C
    .language_version:
      - 2
      - 0
    .max_flat_workgroup_size: 256
    .name:           _ZN7rocprim17ROCPRIM_400000_NS6detail17trampoline_kernelINS0_13kernel_configILj256ELj4ELj4294967295EEENS1_37radix_sort_block_sort_config_selectorItNS0_10empty_typeEEEZNS1_21radix_sort_block_sortIS4_Lb0EPtS9_PS6_SA_NS0_19identity_decomposerEEE10hipError_tT1_T2_T3_T4_jRjT5_jjP12ihipStream_tbEUlT_E_NS1_11comp_targetILNS1_3genE0ELNS1_11target_archE4294967295ELNS1_3gpuE0ELNS1_3repE0EEENS1_44radix_sort_block_sort_config_static_selectorELNS0_4arch9wavefront6targetE1EEEvSD_
    .private_segment_fixed_size: 0
    .sgpr_count:     4
    .sgpr_spill_count: 0
    .symbol:         _ZN7rocprim17ROCPRIM_400000_NS6detail17trampoline_kernelINS0_13kernel_configILj256ELj4ELj4294967295EEENS1_37radix_sort_block_sort_config_selectorItNS0_10empty_typeEEEZNS1_21radix_sort_block_sortIS4_Lb0EPtS9_PS6_SA_NS0_19identity_decomposerEEE10hipError_tT1_T2_T3_T4_jRjT5_jjP12ihipStream_tbEUlT_E_NS1_11comp_targetILNS1_3genE0ELNS1_11target_archE4294967295ELNS1_3gpuE0ELNS1_3repE0EEENS1_44radix_sort_block_sort_config_static_selectorELNS0_4arch9wavefront6targetE1EEEvSD_.kd
    .uniform_work_group_size: 1
    .uses_dynamic_stack: false
    .vgpr_count:     0
    .vgpr_spill_count: 0
    .wavefront_size: 64
  - .agpr_count:     0
    .args:
      - .offset:         0
        .size:           48
        .value_kind:     by_value
    .group_segment_fixed_size: 0
    .kernarg_segment_align: 8
    .kernarg_segment_size: 48
    .language:       OpenCL C
    .language_version:
      - 2
      - 0
    .max_flat_workgroup_size: 256
    .name:           _ZN7rocprim17ROCPRIM_400000_NS6detail17trampoline_kernelINS0_13kernel_configILj256ELj4ELj4294967295EEENS1_37radix_sort_block_sort_config_selectorItNS0_10empty_typeEEEZNS1_21radix_sort_block_sortIS4_Lb0EPtS9_PS6_SA_NS0_19identity_decomposerEEE10hipError_tT1_T2_T3_T4_jRjT5_jjP12ihipStream_tbEUlT_E_NS1_11comp_targetILNS1_3genE5ELNS1_11target_archE942ELNS1_3gpuE9ELNS1_3repE0EEENS1_44radix_sort_block_sort_config_static_selectorELNS0_4arch9wavefront6targetE1EEEvSD_
    .private_segment_fixed_size: 0
    .sgpr_count:     4
    .sgpr_spill_count: 0
    .symbol:         _ZN7rocprim17ROCPRIM_400000_NS6detail17trampoline_kernelINS0_13kernel_configILj256ELj4ELj4294967295EEENS1_37radix_sort_block_sort_config_selectorItNS0_10empty_typeEEEZNS1_21radix_sort_block_sortIS4_Lb0EPtS9_PS6_SA_NS0_19identity_decomposerEEE10hipError_tT1_T2_T3_T4_jRjT5_jjP12ihipStream_tbEUlT_E_NS1_11comp_targetILNS1_3genE5ELNS1_11target_archE942ELNS1_3gpuE9ELNS1_3repE0EEENS1_44radix_sort_block_sort_config_static_selectorELNS0_4arch9wavefront6targetE1EEEvSD_.kd
    .uniform_work_group_size: 1
    .uses_dynamic_stack: false
    .vgpr_count:     0
    .vgpr_spill_count: 0
    .wavefront_size: 64
  - .agpr_count:     0
    .args:
      - .offset:         0
        .size:           48
        .value_kind:     by_value
      - .offset:         48
        .size:           4
        .value_kind:     hidden_block_count_x
      - .offset:         52
        .size:           4
        .value_kind:     hidden_block_count_y
      - .offset:         56
        .size:           4
        .value_kind:     hidden_block_count_z
      - .offset:         60
        .size:           2
        .value_kind:     hidden_group_size_x
      - .offset:         62
        .size:           2
        .value_kind:     hidden_group_size_y
      - .offset:         64
        .size:           2
        .value_kind:     hidden_group_size_z
      - .offset:         66
        .size:           2
        .value_kind:     hidden_remainder_x
      - .offset:         68
        .size:           2
        .value_kind:     hidden_remainder_y
      - .offset:         70
        .size:           2
        .value_kind:     hidden_remainder_z
      - .offset:         88
        .size:           8
        .value_kind:     hidden_global_offset_x
      - .offset:         96
        .size:           8
        .value_kind:     hidden_global_offset_y
      - .offset:         104
        .size:           8
        .value_kind:     hidden_global_offset_z
      - .offset:         112
        .size:           2
        .value_kind:     hidden_grid_dims
    .group_segment_fixed_size: 4112
    .kernarg_segment_align: 8
    .kernarg_segment_size: 304
    .language:       OpenCL C
    .language_version:
      - 2
      - 0
    .max_flat_workgroup_size: 256
    .name:           _ZN7rocprim17ROCPRIM_400000_NS6detail17trampoline_kernelINS0_13kernel_configILj256ELj4ELj4294967295EEENS1_37radix_sort_block_sort_config_selectorItNS0_10empty_typeEEEZNS1_21radix_sort_block_sortIS4_Lb0EPtS9_PS6_SA_NS0_19identity_decomposerEEE10hipError_tT1_T2_T3_T4_jRjT5_jjP12ihipStream_tbEUlT_E_NS1_11comp_targetILNS1_3genE4ELNS1_11target_archE910ELNS1_3gpuE8ELNS1_3repE0EEENS1_44radix_sort_block_sort_config_static_selectorELNS0_4arch9wavefront6targetE1EEEvSD_
    .private_segment_fixed_size: 0
    .sgpr_count:     48
    .sgpr_spill_count: 0
    .symbol:         _ZN7rocprim17ROCPRIM_400000_NS6detail17trampoline_kernelINS0_13kernel_configILj256ELj4ELj4294967295EEENS1_37radix_sort_block_sort_config_selectorItNS0_10empty_typeEEEZNS1_21radix_sort_block_sortIS4_Lb0EPtS9_PS6_SA_NS0_19identity_decomposerEEE10hipError_tT1_T2_T3_T4_jRjT5_jjP12ihipStream_tbEUlT_E_NS1_11comp_targetILNS1_3genE4ELNS1_11target_archE910ELNS1_3gpuE8ELNS1_3repE0EEENS1_44radix_sort_block_sort_config_static_selectorELNS0_4arch9wavefront6targetE1EEEvSD_.kd
    .uniform_work_group_size: 1
    .uses_dynamic_stack: false
    .vgpr_count:     38
    .vgpr_spill_count: 0
    .wavefront_size: 64
  - .agpr_count:     0
    .args:
      - .offset:         0
        .size:           48
        .value_kind:     by_value
    .group_segment_fixed_size: 0
    .kernarg_segment_align: 8
    .kernarg_segment_size: 48
    .language:       OpenCL C
    .language_version:
      - 2
      - 0
    .max_flat_workgroup_size: 256
    .name:           _ZN7rocprim17ROCPRIM_400000_NS6detail17trampoline_kernelINS0_13kernel_configILj256ELj4ELj4294967295EEENS1_37radix_sort_block_sort_config_selectorItNS0_10empty_typeEEEZNS1_21radix_sort_block_sortIS4_Lb0EPtS9_PS6_SA_NS0_19identity_decomposerEEE10hipError_tT1_T2_T3_T4_jRjT5_jjP12ihipStream_tbEUlT_E_NS1_11comp_targetILNS1_3genE3ELNS1_11target_archE908ELNS1_3gpuE7ELNS1_3repE0EEENS1_44radix_sort_block_sort_config_static_selectorELNS0_4arch9wavefront6targetE1EEEvSD_
    .private_segment_fixed_size: 0
    .sgpr_count:     4
    .sgpr_spill_count: 0
    .symbol:         _ZN7rocprim17ROCPRIM_400000_NS6detail17trampoline_kernelINS0_13kernel_configILj256ELj4ELj4294967295EEENS1_37radix_sort_block_sort_config_selectorItNS0_10empty_typeEEEZNS1_21radix_sort_block_sortIS4_Lb0EPtS9_PS6_SA_NS0_19identity_decomposerEEE10hipError_tT1_T2_T3_T4_jRjT5_jjP12ihipStream_tbEUlT_E_NS1_11comp_targetILNS1_3genE3ELNS1_11target_archE908ELNS1_3gpuE7ELNS1_3repE0EEENS1_44radix_sort_block_sort_config_static_selectorELNS0_4arch9wavefront6targetE1EEEvSD_.kd
    .uniform_work_group_size: 1
    .uses_dynamic_stack: false
    .vgpr_count:     0
    .vgpr_spill_count: 0
    .wavefront_size: 64
  - .agpr_count:     0
    .args:
      - .offset:         0
        .size:           48
        .value_kind:     by_value
    .group_segment_fixed_size: 0
    .kernarg_segment_align: 8
    .kernarg_segment_size: 48
    .language:       OpenCL C
    .language_version:
      - 2
      - 0
    .max_flat_workgroup_size: 256
    .name:           _ZN7rocprim17ROCPRIM_400000_NS6detail17trampoline_kernelINS0_13kernel_configILj256ELj4ELj4294967295EEENS1_37radix_sort_block_sort_config_selectorItNS0_10empty_typeEEEZNS1_21radix_sort_block_sortIS4_Lb0EPtS9_PS6_SA_NS0_19identity_decomposerEEE10hipError_tT1_T2_T3_T4_jRjT5_jjP12ihipStream_tbEUlT_E_NS1_11comp_targetILNS1_3genE2ELNS1_11target_archE906ELNS1_3gpuE6ELNS1_3repE0EEENS1_44radix_sort_block_sort_config_static_selectorELNS0_4arch9wavefront6targetE1EEEvSD_
    .private_segment_fixed_size: 0
    .sgpr_count:     4
    .sgpr_spill_count: 0
    .symbol:         _ZN7rocprim17ROCPRIM_400000_NS6detail17trampoline_kernelINS0_13kernel_configILj256ELj4ELj4294967295EEENS1_37radix_sort_block_sort_config_selectorItNS0_10empty_typeEEEZNS1_21radix_sort_block_sortIS4_Lb0EPtS9_PS6_SA_NS0_19identity_decomposerEEE10hipError_tT1_T2_T3_T4_jRjT5_jjP12ihipStream_tbEUlT_E_NS1_11comp_targetILNS1_3genE2ELNS1_11target_archE906ELNS1_3gpuE6ELNS1_3repE0EEENS1_44radix_sort_block_sort_config_static_selectorELNS0_4arch9wavefront6targetE1EEEvSD_.kd
    .uniform_work_group_size: 1
    .uses_dynamic_stack: false
    .vgpr_count:     0
    .vgpr_spill_count: 0
    .wavefront_size: 64
  - .agpr_count:     0
    .args:
      - .offset:         0
        .size:           48
        .value_kind:     by_value
    .group_segment_fixed_size: 0
    .kernarg_segment_align: 8
    .kernarg_segment_size: 48
    .language:       OpenCL C
    .language_version:
      - 2
      - 0
    .max_flat_workgroup_size: 256
    .name:           _ZN7rocprim17ROCPRIM_400000_NS6detail17trampoline_kernelINS0_13kernel_configILj256ELj4ELj4294967295EEENS1_37radix_sort_block_sort_config_selectorItNS0_10empty_typeEEEZNS1_21radix_sort_block_sortIS4_Lb0EPtS9_PS6_SA_NS0_19identity_decomposerEEE10hipError_tT1_T2_T3_T4_jRjT5_jjP12ihipStream_tbEUlT_E_NS1_11comp_targetILNS1_3genE10ELNS1_11target_archE1201ELNS1_3gpuE5ELNS1_3repE0EEENS1_44radix_sort_block_sort_config_static_selectorELNS0_4arch9wavefront6targetE1EEEvSD_
    .private_segment_fixed_size: 0
    .sgpr_count:     4
    .sgpr_spill_count: 0
    .symbol:         _ZN7rocprim17ROCPRIM_400000_NS6detail17trampoline_kernelINS0_13kernel_configILj256ELj4ELj4294967295EEENS1_37radix_sort_block_sort_config_selectorItNS0_10empty_typeEEEZNS1_21radix_sort_block_sortIS4_Lb0EPtS9_PS6_SA_NS0_19identity_decomposerEEE10hipError_tT1_T2_T3_T4_jRjT5_jjP12ihipStream_tbEUlT_E_NS1_11comp_targetILNS1_3genE10ELNS1_11target_archE1201ELNS1_3gpuE5ELNS1_3repE0EEENS1_44radix_sort_block_sort_config_static_selectorELNS0_4arch9wavefront6targetE1EEEvSD_.kd
    .uniform_work_group_size: 1
    .uses_dynamic_stack: false
    .vgpr_count:     0
    .vgpr_spill_count: 0
    .wavefront_size: 64
  - .agpr_count:     0
    .args:
      - .offset:         0
        .size:           48
        .value_kind:     by_value
    .group_segment_fixed_size: 0
    .kernarg_segment_align: 8
    .kernarg_segment_size: 48
    .language:       OpenCL C
    .language_version:
      - 2
      - 0
    .max_flat_workgroup_size: 256
    .name:           _ZN7rocprim17ROCPRIM_400000_NS6detail17trampoline_kernelINS0_13kernel_configILj256ELj4ELj4294967295EEENS1_37radix_sort_block_sort_config_selectorItNS0_10empty_typeEEEZNS1_21radix_sort_block_sortIS4_Lb0EPtS9_PS6_SA_NS0_19identity_decomposerEEE10hipError_tT1_T2_T3_T4_jRjT5_jjP12ihipStream_tbEUlT_E_NS1_11comp_targetILNS1_3genE10ELNS1_11target_archE1200ELNS1_3gpuE4ELNS1_3repE0EEENS1_44radix_sort_block_sort_config_static_selectorELNS0_4arch9wavefront6targetE1EEEvSD_
    .private_segment_fixed_size: 0
    .sgpr_count:     4
    .sgpr_spill_count: 0
    .symbol:         _ZN7rocprim17ROCPRIM_400000_NS6detail17trampoline_kernelINS0_13kernel_configILj256ELj4ELj4294967295EEENS1_37radix_sort_block_sort_config_selectorItNS0_10empty_typeEEEZNS1_21radix_sort_block_sortIS4_Lb0EPtS9_PS6_SA_NS0_19identity_decomposerEEE10hipError_tT1_T2_T3_T4_jRjT5_jjP12ihipStream_tbEUlT_E_NS1_11comp_targetILNS1_3genE10ELNS1_11target_archE1200ELNS1_3gpuE4ELNS1_3repE0EEENS1_44radix_sort_block_sort_config_static_selectorELNS0_4arch9wavefront6targetE1EEEvSD_.kd
    .uniform_work_group_size: 1
    .uses_dynamic_stack: false
    .vgpr_count:     0
    .vgpr_spill_count: 0
    .wavefront_size: 64
  - .agpr_count:     0
    .args:
      - .offset:         0
        .size:           48
        .value_kind:     by_value
    .group_segment_fixed_size: 0
    .kernarg_segment_align: 8
    .kernarg_segment_size: 48
    .language:       OpenCL C
    .language_version:
      - 2
      - 0
    .max_flat_workgroup_size: 256
    .name:           _ZN7rocprim17ROCPRIM_400000_NS6detail17trampoline_kernelINS0_13kernel_configILj256ELj4ELj4294967295EEENS1_37radix_sort_block_sort_config_selectorItNS0_10empty_typeEEEZNS1_21radix_sort_block_sortIS4_Lb0EPtS9_PS6_SA_NS0_19identity_decomposerEEE10hipError_tT1_T2_T3_T4_jRjT5_jjP12ihipStream_tbEUlT_E_NS1_11comp_targetILNS1_3genE9ELNS1_11target_archE1100ELNS1_3gpuE3ELNS1_3repE0EEENS1_44radix_sort_block_sort_config_static_selectorELNS0_4arch9wavefront6targetE1EEEvSD_
    .private_segment_fixed_size: 0
    .sgpr_count:     4
    .sgpr_spill_count: 0
    .symbol:         _ZN7rocprim17ROCPRIM_400000_NS6detail17trampoline_kernelINS0_13kernel_configILj256ELj4ELj4294967295EEENS1_37radix_sort_block_sort_config_selectorItNS0_10empty_typeEEEZNS1_21radix_sort_block_sortIS4_Lb0EPtS9_PS6_SA_NS0_19identity_decomposerEEE10hipError_tT1_T2_T3_T4_jRjT5_jjP12ihipStream_tbEUlT_E_NS1_11comp_targetILNS1_3genE9ELNS1_11target_archE1100ELNS1_3gpuE3ELNS1_3repE0EEENS1_44radix_sort_block_sort_config_static_selectorELNS0_4arch9wavefront6targetE1EEEvSD_.kd
    .uniform_work_group_size: 1
    .uses_dynamic_stack: false
    .vgpr_count:     0
    .vgpr_spill_count: 0
    .wavefront_size: 64
  - .agpr_count:     0
    .args:
      - .offset:         0
        .size:           48
        .value_kind:     by_value
    .group_segment_fixed_size: 0
    .kernarg_segment_align: 8
    .kernarg_segment_size: 48
    .language:       OpenCL C
    .language_version:
      - 2
      - 0
    .max_flat_workgroup_size: 256
    .name:           _ZN7rocprim17ROCPRIM_400000_NS6detail17trampoline_kernelINS0_13kernel_configILj256ELj4ELj4294967295EEENS1_37radix_sort_block_sort_config_selectorItNS0_10empty_typeEEEZNS1_21radix_sort_block_sortIS4_Lb0EPtS9_PS6_SA_NS0_19identity_decomposerEEE10hipError_tT1_T2_T3_T4_jRjT5_jjP12ihipStream_tbEUlT_E_NS1_11comp_targetILNS1_3genE8ELNS1_11target_archE1030ELNS1_3gpuE2ELNS1_3repE0EEENS1_44radix_sort_block_sort_config_static_selectorELNS0_4arch9wavefront6targetE1EEEvSD_
    .private_segment_fixed_size: 0
    .sgpr_count:     4
    .sgpr_spill_count: 0
    .symbol:         _ZN7rocprim17ROCPRIM_400000_NS6detail17trampoline_kernelINS0_13kernel_configILj256ELj4ELj4294967295EEENS1_37radix_sort_block_sort_config_selectorItNS0_10empty_typeEEEZNS1_21radix_sort_block_sortIS4_Lb0EPtS9_PS6_SA_NS0_19identity_decomposerEEE10hipError_tT1_T2_T3_T4_jRjT5_jjP12ihipStream_tbEUlT_E_NS1_11comp_targetILNS1_3genE8ELNS1_11target_archE1030ELNS1_3gpuE2ELNS1_3repE0EEENS1_44radix_sort_block_sort_config_static_selectorELNS0_4arch9wavefront6targetE1EEEvSD_.kd
    .uniform_work_group_size: 1
    .uses_dynamic_stack: false
    .vgpr_count:     0
    .vgpr_spill_count: 0
    .wavefront_size: 64
  - .agpr_count:     0
    .args:           []
    .group_segment_fixed_size: 0
    .kernarg_segment_align: 4
    .kernarg_segment_size: 0
    .language:       OpenCL C
    .language_version:
      - 2
      - 0
    .max_flat_workgroup_size: 1024
    .name:           _ZN7rocprim17ROCPRIM_400000_NS6detail44device_merge_sort_compile_time_verifier_archINS1_11comp_targetILNS1_3genE0ELNS1_11target_archE4294967295ELNS1_3gpuE0ELNS1_3repE0EEES8_NS1_28merge_sort_block_sort_configILj256ELj4ELNS0_20block_sort_algorithmE0EEENS0_14default_configENS1_37merge_sort_block_sort_config_selectorItNS0_10empty_typeEEENS1_38merge_sort_block_merge_config_selectorItSE_EEEEvv
    .private_segment_fixed_size: 0
    .sgpr_count:     4
    .sgpr_spill_count: 0
    .symbol:         _ZN7rocprim17ROCPRIM_400000_NS6detail44device_merge_sort_compile_time_verifier_archINS1_11comp_targetILNS1_3genE0ELNS1_11target_archE4294967295ELNS1_3gpuE0ELNS1_3repE0EEES8_NS1_28merge_sort_block_sort_configILj256ELj4ELNS0_20block_sort_algorithmE0EEENS0_14default_configENS1_37merge_sort_block_sort_config_selectorItNS0_10empty_typeEEENS1_38merge_sort_block_merge_config_selectorItSE_EEEEvv.kd
    .uniform_work_group_size: 1
    .uses_dynamic_stack: false
    .vgpr_count:     0
    .vgpr_spill_count: 0
    .wavefront_size: 64
  - .agpr_count:     0
    .args:           []
    .group_segment_fixed_size: 0
    .kernarg_segment_align: 4
    .kernarg_segment_size: 0
    .language:       OpenCL C
    .language_version:
      - 2
      - 0
    .max_flat_workgroup_size: 1024
    .name:           _ZN7rocprim17ROCPRIM_400000_NS6detail44device_merge_sort_compile_time_verifier_archINS1_11comp_targetILNS1_3genE5ELNS1_11target_archE942ELNS1_3gpuE9ELNS1_3repE0EEES8_NS1_28merge_sort_block_sort_configILj256ELj4ELNS0_20block_sort_algorithmE0EEENS0_14default_configENS1_37merge_sort_block_sort_config_selectorItNS0_10empty_typeEEENS1_38merge_sort_block_merge_config_selectorItSE_EEEEvv
    .private_segment_fixed_size: 0
    .sgpr_count:     4
    .sgpr_spill_count: 0
    .symbol:         _ZN7rocprim17ROCPRIM_400000_NS6detail44device_merge_sort_compile_time_verifier_archINS1_11comp_targetILNS1_3genE5ELNS1_11target_archE942ELNS1_3gpuE9ELNS1_3repE0EEES8_NS1_28merge_sort_block_sort_configILj256ELj4ELNS0_20block_sort_algorithmE0EEENS0_14default_configENS1_37merge_sort_block_sort_config_selectorItNS0_10empty_typeEEENS1_38merge_sort_block_merge_config_selectorItSE_EEEEvv.kd
    .uniform_work_group_size: 1
    .uses_dynamic_stack: false
    .vgpr_count:     0
    .vgpr_spill_count: 0
    .wavefront_size: 64
  - .agpr_count:     0
    .args:           []
    .group_segment_fixed_size: 0
    .kernarg_segment_align: 4
    .kernarg_segment_size: 0
    .language:       OpenCL C
    .language_version:
      - 2
      - 0
    .max_flat_workgroup_size: 1024
    .name:           _ZN7rocprim17ROCPRIM_400000_NS6detail44device_merge_sort_compile_time_verifier_archINS1_11comp_targetILNS1_3genE4ELNS1_11target_archE910ELNS1_3gpuE8ELNS1_3repE0EEES8_NS1_28merge_sort_block_sort_configILj256ELj4ELNS0_20block_sort_algorithmE0EEENS0_14default_configENS1_37merge_sort_block_sort_config_selectorItNS0_10empty_typeEEENS1_38merge_sort_block_merge_config_selectorItSE_EEEEvv
    .private_segment_fixed_size: 0
    .sgpr_count:     4
    .sgpr_spill_count: 0
    .symbol:         _ZN7rocprim17ROCPRIM_400000_NS6detail44device_merge_sort_compile_time_verifier_archINS1_11comp_targetILNS1_3genE4ELNS1_11target_archE910ELNS1_3gpuE8ELNS1_3repE0EEES8_NS1_28merge_sort_block_sort_configILj256ELj4ELNS0_20block_sort_algorithmE0EEENS0_14default_configENS1_37merge_sort_block_sort_config_selectorItNS0_10empty_typeEEENS1_38merge_sort_block_merge_config_selectorItSE_EEEEvv.kd
    .uniform_work_group_size: 1
    .uses_dynamic_stack: false
    .vgpr_count:     0
    .vgpr_spill_count: 0
    .wavefront_size: 64
  - .agpr_count:     0
    .args:           []
    .group_segment_fixed_size: 0
    .kernarg_segment_align: 4
    .kernarg_segment_size: 0
    .language:       OpenCL C
    .language_version:
      - 2
      - 0
    .max_flat_workgroup_size: 1024
    .name:           _ZN7rocprim17ROCPRIM_400000_NS6detail44device_merge_sort_compile_time_verifier_archINS1_11comp_targetILNS1_3genE3ELNS1_11target_archE908ELNS1_3gpuE7ELNS1_3repE0EEES8_NS1_28merge_sort_block_sort_configILj256ELj4ELNS0_20block_sort_algorithmE0EEENS0_14default_configENS1_37merge_sort_block_sort_config_selectorItNS0_10empty_typeEEENS1_38merge_sort_block_merge_config_selectorItSE_EEEEvv
    .private_segment_fixed_size: 0
    .sgpr_count:     4
    .sgpr_spill_count: 0
    .symbol:         _ZN7rocprim17ROCPRIM_400000_NS6detail44device_merge_sort_compile_time_verifier_archINS1_11comp_targetILNS1_3genE3ELNS1_11target_archE908ELNS1_3gpuE7ELNS1_3repE0EEES8_NS1_28merge_sort_block_sort_configILj256ELj4ELNS0_20block_sort_algorithmE0EEENS0_14default_configENS1_37merge_sort_block_sort_config_selectorItNS0_10empty_typeEEENS1_38merge_sort_block_merge_config_selectorItSE_EEEEvv.kd
    .uniform_work_group_size: 1
    .uses_dynamic_stack: false
    .vgpr_count:     0
    .vgpr_spill_count: 0
    .wavefront_size: 64
  - .agpr_count:     0
    .args:           []
    .group_segment_fixed_size: 0
    .kernarg_segment_align: 4
    .kernarg_segment_size: 0
    .language:       OpenCL C
    .language_version:
      - 2
      - 0
    .max_flat_workgroup_size: 1024
    .name:           _ZN7rocprim17ROCPRIM_400000_NS6detail44device_merge_sort_compile_time_verifier_archINS1_11comp_targetILNS1_3genE2ELNS1_11target_archE906ELNS1_3gpuE6ELNS1_3repE0EEES8_NS1_28merge_sort_block_sort_configILj256ELj4ELNS0_20block_sort_algorithmE0EEENS0_14default_configENS1_37merge_sort_block_sort_config_selectorItNS0_10empty_typeEEENS1_38merge_sort_block_merge_config_selectorItSE_EEEEvv
    .private_segment_fixed_size: 0
    .sgpr_count:     4
    .sgpr_spill_count: 0
    .symbol:         _ZN7rocprim17ROCPRIM_400000_NS6detail44device_merge_sort_compile_time_verifier_archINS1_11comp_targetILNS1_3genE2ELNS1_11target_archE906ELNS1_3gpuE6ELNS1_3repE0EEES8_NS1_28merge_sort_block_sort_configILj256ELj4ELNS0_20block_sort_algorithmE0EEENS0_14default_configENS1_37merge_sort_block_sort_config_selectorItNS0_10empty_typeEEENS1_38merge_sort_block_merge_config_selectorItSE_EEEEvv.kd
    .uniform_work_group_size: 1
    .uses_dynamic_stack: false
    .vgpr_count:     0
    .vgpr_spill_count: 0
    .wavefront_size: 64
  - .agpr_count:     0
    .args:           []
    .group_segment_fixed_size: 0
    .kernarg_segment_align: 4
    .kernarg_segment_size: 0
    .language:       OpenCL C
    .language_version:
      - 2
      - 0
    .max_flat_workgroup_size: 1024
    .name:           _ZN7rocprim17ROCPRIM_400000_NS6detail44device_merge_sort_compile_time_verifier_archINS1_11comp_targetILNS1_3genE10ELNS1_11target_archE1201ELNS1_3gpuE5ELNS1_3repE0EEES8_NS1_28merge_sort_block_sort_configILj256ELj4ELNS0_20block_sort_algorithmE0EEENS0_14default_configENS1_37merge_sort_block_sort_config_selectorItNS0_10empty_typeEEENS1_38merge_sort_block_merge_config_selectorItSE_EEEEvv
    .private_segment_fixed_size: 0
    .sgpr_count:     4
    .sgpr_spill_count: 0
    .symbol:         _ZN7rocprim17ROCPRIM_400000_NS6detail44device_merge_sort_compile_time_verifier_archINS1_11comp_targetILNS1_3genE10ELNS1_11target_archE1201ELNS1_3gpuE5ELNS1_3repE0EEES8_NS1_28merge_sort_block_sort_configILj256ELj4ELNS0_20block_sort_algorithmE0EEENS0_14default_configENS1_37merge_sort_block_sort_config_selectorItNS0_10empty_typeEEENS1_38merge_sort_block_merge_config_selectorItSE_EEEEvv.kd
    .uniform_work_group_size: 1
    .uses_dynamic_stack: false
    .vgpr_count:     0
    .vgpr_spill_count: 0
    .wavefront_size: 64
  - .agpr_count:     0
    .args:           []
    .group_segment_fixed_size: 0
    .kernarg_segment_align: 4
    .kernarg_segment_size: 0
    .language:       OpenCL C
    .language_version:
      - 2
      - 0
    .max_flat_workgroup_size: 1024
    .name:           _ZN7rocprim17ROCPRIM_400000_NS6detail44device_merge_sort_compile_time_verifier_archINS1_11comp_targetILNS1_3genE10ELNS1_11target_archE1200ELNS1_3gpuE4ELNS1_3repE0EEENS3_ILS4_10ELS5_1201ELS6_5ELS7_0EEENS1_28merge_sort_block_sort_configILj256ELj4ELNS0_20block_sort_algorithmE0EEENS0_14default_configENS1_37merge_sort_block_sort_config_selectorItNS0_10empty_typeEEENS1_38merge_sort_block_merge_config_selectorItSF_EEEEvv
    .private_segment_fixed_size: 0
    .sgpr_count:     4
    .sgpr_spill_count: 0
    .symbol:         _ZN7rocprim17ROCPRIM_400000_NS6detail44device_merge_sort_compile_time_verifier_archINS1_11comp_targetILNS1_3genE10ELNS1_11target_archE1200ELNS1_3gpuE4ELNS1_3repE0EEENS3_ILS4_10ELS5_1201ELS6_5ELS7_0EEENS1_28merge_sort_block_sort_configILj256ELj4ELNS0_20block_sort_algorithmE0EEENS0_14default_configENS1_37merge_sort_block_sort_config_selectorItNS0_10empty_typeEEENS1_38merge_sort_block_merge_config_selectorItSF_EEEEvv.kd
    .uniform_work_group_size: 1
    .uses_dynamic_stack: false
    .vgpr_count:     0
    .vgpr_spill_count: 0
    .wavefront_size: 64
  - .agpr_count:     0
    .args:           []
    .group_segment_fixed_size: 0
    .kernarg_segment_align: 4
    .kernarg_segment_size: 0
    .language:       OpenCL C
    .language_version:
      - 2
      - 0
    .max_flat_workgroup_size: 1024
    .name:           _ZN7rocprim17ROCPRIM_400000_NS6detail44device_merge_sort_compile_time_verifier_archINS1_11comp_targetILNS1_3genE9ELNS1_11target_archE1100ELNS1_3gpuE3ELNS1_3repE0EEES8_NS1_28merge_sort_block_sort_configILj256ELj4ELNS0_20block_sort_algorithmE0EEENS0_14default_configENS1_37merge_sort_block_sort_config_selectorItNS0_10empty_typeEEENS1_38merge_sort_block_merge_config_selectorItSE_EEEEvv
    .private_segment_fixed_size: 0
    .sgpr_count:     4
    .sgpr_spill_count: 0
    .symbol:         _ZN7rocprim17ROCPRIM_400000_NS6detail44device_merge_sort_compile_time_verifier_archINS1_11comp_targetILNS1_3genE9ELNS1_11target_archE1100ELNS1_3gpuE3ELNS1_3repE0EEES8_NS1_28merge_sort_block_sort_configILj256ELj4ELNS0_20block_sort_algorithmE0EEENS0_14default_configENS1_37merge_sort_block_sort_config_selectorItNS0_10empty_typeEEENS1_38merge_sort_block_merge_config_selectorItSE_EEEEvv.kd
    .uniform_work_group_size: 1
    .uses_dynamic_stack: false
    .vgpr_count:     0
    .vgpr_spill_count: 0
    .wavefront_size: 64
  - .agpr_count:     0
    .args:           []
    .group_segment_fixed_size: 0
    .kernarg_segment_align: 4
    .kernarg_segment_size: 0
    .language:       OpenCL C
    .language_version:
      - 2
      - 0
    .max_flat_workgroup_size: 1024
    .name:           _ZN7rocprim17ROCPRIM_400000_NS6detail44device_merge_sort_compile_time_verifier_archINS1_11comp_targetILNS1_3genE8ELNS1_11target_archE1030ELNS1_3gpuE2ELNS1_3repE0EEES8_NS1_28merge_sort_block_sort_configILj256ELj4ELNS0_20block_sort_algorithmE0EEENS0_14default_configENS1_37merge_sort_block_sort_config_selectorItNS0_10empty_typeEEENS1_38merge_sort_block_merge_config_selectorItSE_EEEEvv
    .private_segment_fixed_size: 0
    .sgpr_count:     4
    .sgpr_spill_count: 0
    .symbol:         _ZN7rocprim17ROCPRIM_400000_NS6detail44device_merge_sort_compile_time_verifier_archINS1_11comp_targetILNS1_3genE8ELNS1_11target_archE1030ELNS1_3gpuE2ELNS1_3repE0EEES8_NS1_28merge_sort_block_sort_configILj256ELj4ELNS0_20block_sort_algorithmE0EEENS0_14default_configENS1_37merge_sort_block_sort_config_selectorItNS0_10empty_typeEEENS1_38merge_sort_block_merge_config_selectorItSE_EEEEvv.kd
    .uniform_work_group_size: 1
    .uses_dynamic_stack: false
    .vgpr_count:     0
    .vgpr_spill_count: 0
    .wavefront_size: 64
  - .agpr_count:     0
    .args:
      - .offset:         0
        .size:           40
        .value_kind:     by_value
    .group_segment_fixed_size: 0
    .kernarg_segment_align: 8
    .kernarg_segment_size: 40
    .language:       OpenCL C
    .language_version:
      - 2
      - 0
    .max_flat_workgroup_size: 128
    .name:           _ZN7rocprim17ROCPRIM_400000_NS6detail17trampoline_kernelINS0_14default_configENS1_38merge_sort_block_merge_config_selectorItNS0_10empty_typeEEEZZNS1_27merge_sort_block_merge_implIS3_PtPS5_jNS1_19radix_merge_compareILb0ELb0EtNS0_19identity_decomposerEEEEE10hipError_tT0_T1_T2_jT3_P12ihipStream_tbPNSt15iterator_traitsISE_E10value_typeEPNSK_ISF_E10value_typeEPSG_NS1_7vsmem_tEENKUlT_SE_SF_SG_E_clIS8_S8_S9_S9_EESD_ST_SE_SF_SG_EUlST_E_NS1_11comp_targetILNS1_3genE0ELNS1_11target_archE4294967295ELNS1_3gpuE0ELNS1_3repE0EEENS1_48merge_mergepath_partition_config_static_selectorELNS0_4arch9wavefront6targetE1EEEvSF_
    .private_segment_fixed_size: 0
    .sgpr_count:     4
    .sgpr_spill_count: 0
    .symbol:         _ZN7rocprim17ROCPRIM_400000_NS6detail17trampoline_kernelINS0_14default_configENS1_38merge_sort_block_merge_config_selectorItNS0_10empty_typeEEEZZNS1_27merge_sort_block_merge_implIS3_PtPS5_jNS1_19radix_merge_compareILb0ELb0EtNS0_19identity_decomposerEEEEE10hipError_tT0_T1_T2_jT3_P12ihipStream_tbPNSt15iterator_traitsISE_E10value_typeEPNSK_ISF_E10value_typeEPSG_NS1_7vsmem_tEENKUlT_SE_SF_SG_E_clIS8_S8_S9_S9_EESD_ST_SE_SF_SG_EUlST_E_NS1_11comp_targetILNS1_3genE0ELNS1_11target_archE4294967295ELNS1_3gpuE0ELNS1_3repE0EEENS1_48merge_mergepath_partition_config_static_selectorELNS0_4arch9wavefront6targetE1EEEvSF_.kd
    .uniform_work_group_size: 1
    .uses_dynamic_stack: false
    .vgpr_count:     0
    .vgpr_spill_count: 0
    .wavefront_size: 64
  - .agpr_count:     0
    .args:
      - .offset:         0
        .size:           40
        .value_kind:     by_value
    .group_segment_fixed_size: 0
    .kernarg_segment_align: 8
    .kernarg_segment_size: 40
    .language:       OpenCL C
    .language_version:
      - 2
      - 0
    .max_flat_workgroup_size: 128
    .name:           _ZN7rocprim17ROCPRIM_400000_NS6detail17trampoline_kernelINS0_14default_configENS1_38merge_sort_block_merge_config_selectorItNS0_10empty_typeEEEZZNS1_27merge_sort_block_merge_implIS3_PtPS5_jNS1_19radix_merge_compareILb0ELb0EtNS0_19identity_decomposerEEEEE10hipError_tT0_T1_T2_jT3_P12ihipStream_tbPNSt15iterator_traitsISE_E10value_typeEPNSK_ISF_E10value_typeEPSG_NS1_7vsmem_tEENKUlT_SE_SF_SG_E_clIS8_S8_S9_S9_EESD_ST_SE_SF_SG_EUlST_E_NS1_11comp_targetILNS1_3genE10ELNS1_11target_archE1201ELNS1_3gpuE5ELNS1_3repE0EEENS1_48merge_mergepath_partition_config_static_selectorELNS0_4arch9wavefront6targetE1EEEvSF_
    .private_segment_fixed_size: 0
    .sgpr_count:     4
    .sgpr_spill_count: 0
    .symbol:         _ZN7rocprim17ROCPRIM_400000_NS6detail17trampoline_kernelINS0_14default_configENS1_38merge_sort_block_merge_config_selectorItNS0_10empty_typeEEEZZNS1_27merge_sort_block_merge_implIS3_PtPS5_jNS1_19radix_merge_compareILb0ELb0EtNS0_19identity_decomposerEEEEE10hipError_tT0_T1_T2_jT3_P12ihipStream_tbPNSt15iterator_traitsISE_E10value_typeEPNSK_ISF_E10value_typeEPSG_NS1_7vsmem_tEENKUlT_SE_SF_SG_E_clIS8_S8_S9_S9_EESD_ST_SE_SF_SG_EUlST_E_NS1_11comp_targetILNS1_3genE10ELNS1_11target_archE1201ELNS1_3gpuE5ELNS1_3repE0EEENS1_48merge_mergepath_partition_config_static_selectorELNS0_4arch9wavefront6targetE1EEEvSF_.kd
    .uniform_work_group_size: 1
    .uses_dynamic_stack: false
    .vgpr_count:     0
    .vgpr_spill_count: 0
    .wavefront_size: 64
  - .agpr_count:     0
    .args:
      - .offset:         0
        .size:           40
        .value_kind:     by_value
    .group_segment_fixed_size: 0
    .kernarg_segment_align: 8
    .kernarg_segment_size: 40
    .language:       OpenCL C
    .language_version:
      - 2
      - 0
    .max_flat_workgroup_size: 128
    .name:           _ZN7rocprim17ROCPRIM_400000_NS6detail17trampoline_kernelINS0_14default_configENS1_38merge_sort_block_merge_config_selectorItNS0_10empty_typeEEEZZNS1_27merge_sort_block_merge_implIS3_PtPS5_jNS1_19radix_merge_compareILb0ELb0EtNS0_19identity_decomposerEEEEE10hipError_tT0_T1_T2_jT3_P12ihipStream_tbPNSt15iterator_traitsISE_E10value_typeEPNSK_ISF_E10value_typeEPSG_NS1_7vsmem_tEENKUlT_SE_SF_SG_E_clIS8_S8_S9_S9_EESD_ST_SE_SF_SG_EUlST_E_NS1_11comp_targetILNS1_3genE5ELNS1_11target_archE942ELNS1_3gpuE9ELNS1_3repE0EEENS1_48merge_mergepath_partition_config_static_selectorELNS0_4arch9wavefront6targetE1EEEvSF_
    .private_segment_fixed_size: 0
    .sgpr_count:     4
    .sgpr_spill_count: 0
    .symbol:         _ZN7rocprim17ROCPRIM_400000_NS6detail17trampoline_kernelINS0_14default_configENS1_38merge_sort_block_merge_config_selectorItNS0_10empty_typeEEEZZNS1_27merge_sort_block_merge_implIS3_PtPS5_jNS1_19radix_merge_compareILb0ELb0EtNS0_19identity_decomposerEEEEE10hipError_tT0_T1_T2_jT3_P12ihipStream_tbPNSt15iterator_traitsISE_E10value_typeEPNSK_ISF_E10value_typeEPSG_NS1_7vsmem_tEENKUlT_SE_SF_SG_E_clIS8_S8_S9_S9_EESD_ST_SE_SF_SG_EUlST_E_NS1_11comp_targetILNS1_3genE5ELNS1_11target_archE942ELNS1_3gpuE9ELNS1_3repE0EEENS1_48merge_mergepath_partition_config_static_selectorELNS0_4arch9wavefront6targetE1EEEvSF_.kd
    .uniform_work_group_size: 1
    .uses_dynamic_stack: false
    .vgpr_count:     0
    .vgpr_spill_count: 0
    .wavefront_size: 64
  - .agpr_count:     0
    .args:
      - .offset:         0
        .size:           40
        .value_kind:     by_value
    .group_segment_fixed_size: 0
    .kernarg_segment_align: 8
    .kernarg_segment_size: 40
    .language:       OpenCL C
    .language_version:
      - 2
      - 0
    .max_flat_workgroup_size: 128
    .name:           _ZN7rocprim17ROCPRIM_400000_NS6detail17trampoline_kernelINS0_14default_configENS1_38merge_sort_block_merge_config_selectorItNS0_10empty_typeEEEZZNS1_27merge_sort_block_merge_implIS3_PtPS5_jNS1_19radix_merge_compareILb0ELb0EtNS0_19identity_decomposerEEEEE10hipError_tT0_T1_T2_jT3_P12ihipStream_tbPNSt15iterator_traitsISE_E10value_typeEPNSK_ISF_E10value_typeEPSG_NS1_7vsmem_tEENKUlT_SE_SF_SG_E_clIS8_S8_S9_S9_EESD_ST_SE_SF_SG_EUlST_E_NS1_11comp_targetILNS1_3genE4ELNS1_11target_archE910ELNS1_3gpuE8ELNS1_3repE0EEENS1_48merge_mergepath_partition_config_static_selectorELNS0_4arch9wavefront6targetE1EEEvSF_
    .private_segment_fixed_size: 0
    .sgpr_count:     12
    .sgpr_spill_count: 0
    .symbol:         _ZN7rocprim17ROCPRIM_400000_NS6detail17trampoline_kernelINS0_14default_configENS1_38merge_sort_block_merge_config_selectorItNS0_10empty_typeEEEZZNS1_27merge_sort_block_merge_implIS3_PtPS5_jNS1_19radix_merge_compareILb0ELb0EtNS0_19identity_decomposerEEEEE10hipError_tT0_T1_T2_jT3_P12ihipStream_tbPNSt15iterator_traitsISE_E10value_typeEPNSK_ISF_E10value_typeEPSG_NS1_7vsmem_tEENKUlT_SE_SF_SG_E_clIS8_S8_S9_S9_EESD_ST_SE_SF_SG_EUlST_E_NS1_11comp_targetILNS1_3genE4ELNS1_11target_archE910ELNS1_3gpuE8ELNS1_3repE0EEENS1_48merge_mergepath_partition_config_static_selectorELNS0_4arch9wavefront6targetE1EEEvSF_.kd
    .uniform_work_group_size: 1
    .uses_dynamic_stack: false
    .vgpr_count:     15
    .vgpr_spill_count: 0
    .wavefront_size: 64
  - .agpr_count:     0
    .args:
      - .offset:         0
        .size:           40
        .value_kind:     by_value
    .group_segment_fixed_size: 0
    .kernarg_segment_align: 8
    .kernarg_segment_size: 40
    .language:       OpenCL C
    .language_version:
      - 2
      - 0
    .max_flat_workgroup_size: 128
    .name:           _ZN7rocprim17ROCPRIM_400000_NS6detail17trampoline_kernelINS0_14default_configENS1_38merge_sort_block_merge_config_selectorItNS0_10empty_typeEEEZZNS1_27merge_sort_block_merge_implIS3_PtPS5_jNS1_19radix_merge_compareILb0ELb0EtNS0_19identity_decomposerEEEEE10hipError_tT0_T1_T2_jT3_P12ihipStream_tbPNSt15iterator_traitsISE_E10value_typeEPNSK_ISF_E10value_typeEPSG_NS1_7vsmem_tEENKUlT_SE_SF_SG_E_clIS8_S8_S9_S9_EESD_ST_SE_SF_SG_EUlST_E_NS1_11comp_targetILNS1_3genE3ELNS1_11target_archE908ELNS1_3gpuE7ELNS1_3repE0EEENS1_48merge_mergepath_partition_config_static_selectorELNS0_4arch9wavefront6targetE1EEEvSF_
    .private_segment_fixed_size: 0
    .sgpr_count:     4
    .sgpr_spill_count: 0
    .symbol:         _ZN7rocprim17ROCPRIM_400000_NS6detail17trampoline_kernelINS0_14default_configENS1_38merge_sort_block_merge_config_selectorItNS0_10empty_typeEEEZZNS1_27merge_sort_block_merge_implIS3_PtPS5_jNS1_19radix_merge_compareILb0ELb0EtNS0_19identity_decomposerEEEEE10hipError_tT0_T1_T2_jT3_P12ihipStream_tbPNSt15iterator_traitsISE_E10value_typeEPNSK_ISF_E10value_typeEPSG_NS1_7vsmem_tEENKUlT_SE_SF_SG_E_clIS8_S8_S9_S9_EESD_ST_SE_SF_SG_EUlST_E_NS1_11comp_targetILNS1_3genE3ELNS1_11target_archE908ELNS1_3gpuE7ELNS1_3repE0EEENS1_48merge_mergepath_partition_config_static_selectorELNS0_4arch9wavefront6targetE1EEEvSF_.kd
    .uniform_work_group_size: 1
    .uses_dynamic_stack: false
    .vgpr_count:     0
    .vgpr_spill_count: 0
    .wavefront_size: 64
  - .agpr_count:     0
    .args:
      - .offset:         0
        .size:           40
        .value_kind:     by_value
    .group_segment_fixed_size: 0
    .kernarg_segment_align: 8
    .kernarg_segment_size: 40
    .language:       OpenCL C
    .language_version:
      - 2
      - 0
    .max_flat_workgroup_size: 128
    .name:           _ZN7rocprim17ROCPRIM_400000_NS6detail17trampoline_kernelINS0_14default_configENS1_38merge_sort_block_merge_config_selectorItNS0_10empty_typeEEEZZNS1_27merge_sort_block_merge_implIS3_PtPS5_jNS1_19radix_merge_compareILb0ELb0EtNS0_19identity_decomposerEEEEE10hipError_tT0_T1_T2_jT3_P12ihipStream_tbPNSt15iterator_traitsISE_E10value_typeEPNSK_ISF_E10value_typeEPSG_NS1_7vsmem_tEENKUlT_SE_SF_SG_E_clIS8_S8_S9_S9_EESD_ST_SE_SF_SG_EUlST_E_NS1_11comp_targetILNS1_3genE2ELNS1_11target_archE906ELNS1_3gpuE6ELNS1_3repE0EEENS1_48merge_mergepath_partition_config_static_selectorELNS0_4arch9wavefront6targetE1EEEvSF_
    .private_segment_fixed_size: 0
    .sgpr_count:     4
    .sgpr_spill_count: 0
    .symbol:         _ZN7rocprim17ROCPRIM_400000_NS6detail17trampoline_kernelINS0_14default_configENS1_38merge_sort_block_merge_config_selectorItNS0_10empty_typeEEEZZNS1_27merge_sort_block_merge_implIS3_PtPS5_jNS1_19radix_merge_compareILb0ELb0EtNS0_19identity_decomposerEEEEE10hipError_tT0_T1_T2_jT3_P12ihipStream_tbPNSt15iterator_traitsISE_E10value_typeEPNSK_ISF_E10value_typeEPSG_NS1_7vsmem_tEENKUlT_SE_SF_SG_E_clIS8_S8_S9_S9_EESD_ST_SE_SF_SG_EUlST_E_NS1_11comp_targetILNS1_3genE2ELNS1_11target_archE906ELNS1_3gpuE6ELNS1_3repE0EEENS1_48merge_mergepath_partition_config_static_selectorELNS0_4arch9wavefront6targetE1EEEvSF_.kd
    .uniform_work_group_size: 1
    .uses_dynamic_stack: false
    .vgpr_count:     0
    .vgpr_spill_count: 0
    .wavefront_size: 64
  - .agpr_count:     0
    .args:
      - .offset:         0
        .size:           40
        .value_kind:     by_value
    .group_segment_fixed_size: 0
    .kernarg_segment_align: 8
    .kernarg_segment_size: 40
    .language:       OpenCL C
    .language_version:
      - 2
      - 0
    .max_flat_workgroup_size: 128
    .name:           _ZN7rocprim17ROCPRIM_400000_NS6detail17trampoline_kernelINS0_14default_configENS1_38merge_sort_block_merge_config_selectorItNS0_10empty_typeEEEZZNS1_27merge_sort_block_merge_implIS3_PtPS5_jNS1_19radix_merge_compareILb0ELb0EtNS0_19identity_decomposerEEEEE10hipError_tT0_T1_T2_jT3_P12ihipStream_tbPNSt15iterator_traitsISE_E10value_typeEPNSK_ISF_E10value_typeEPSG_NS1_7vsmem_tEENKUlT_SE_SF_SG_E_clIS8_S8_S9_S9_EESD_ST_SE_SF_SG_EUlST_E_NS1_11comp_targetILNS1_3genE9ELNS1_11target_archE1100ELNS1_3gpuE3ELNS1_3repE0EEENS1_48merge_mergepath_partition_config_static_selectorELNS0_4arch9wavefront6targetE1EEEvSF_
    .private_segment_fixed_size: 0
    .sgpr_count:     4
    .sgpr_spill_count: 0
    .symbol:         _ZN7rocprim17ROCPRIM_400000_NS6detail17trampoline_kernelINS0_14default_configENS1_38merge_sort_block_merge_config_selectorItNS0_10empty_typeEEEZZNS1_27merge_sort_block_merge_implIS3_PtPS5_jNS1_19radix_merge_compareILb0ELb0EtNS0_19identity_decomposerEEEEE10hipError_tT0_T1_T2_jT3_P12ihipStream_tbPNSt15iterator_traitsISE_E10value_typeEPNSK_ISF_E10value_typeEPSG_NS1_7vsmem_tEENKUlT_SE_SF_SG_E_clIS8_S8_S9_S9_EESD_ST_SE_SF_SG_EUlST_E_NS1_11comp_targetILNS1_3genE9ELNS1_11target_archE1100ELNS1_3gpuE3ELNS1_3repE0EEENS1_48merge_mergepath_partition_config_static_selectorELNS0_4arch9wavefront6targetE1EEEvSF_.kd
    .uniform_work_group_size: 1
    .uses_dynamic_stack: false
    .vgpr_count:     0
    .vgpr_spill_count: 0
    .wavefront_size: 64
  - .agpr_count:     0
    .args:
      - .offset:         0
        .size:           40
        .value_kind:     by_value
    .group_segment_fixed_size: 0
    .kernarg_segment_align: 8
    .kernarg_segment_size: 40
    .language:       OpenCL C
    .language_version:
      - 2
      - 0
    .max_flat_workgroup_size: 128
    .name:           _ZN7rocprim17ROCPRIM_400000_NS6detail17trampoline_kernelINS0_14default_configENS1_38merge_sort_block_merge_config_selectorItNS0_10empty_typeEEEZZNS1_27merge_sort_block_merge_implIS3_PtPS5_jNS1_19radix_merge_compareILb0ELb0EtNS0_19identity_decomposerEEEEE10hipError_tT0_T1_T2_jT3_P12ihipStream_tbPNSt15iterator_traitsISE_E10value_typeEPNSK_ISF_E10value_typeEPSG_NS1_7vsmem_tEENKUlT_SE_SF_SG_E_clIS8_S8_S9_S9_EESD_ST_SE_SF_SG_EUlST_E_NS1_11comp_targetILNS1_3genE8ELNS1_11target_archE1030ELNS1_3gpuE2ELNS1_3repE0EEENS1_48merge_mergepath_partition_config_static_selectorELNS0_4arch9wavefront6targetE1EEEvSF_
    .private_segment_fixed_size: 0
    .sgpr_count:     4
    .sgpr_spill_count: 0
    .symbol:         _ZN7rocprim17ROCPRIM_400000_NS6detail17trampoline_kernelINS0_14default_configENS1_38merge_sort_block_merge_config_selectorItNS0_10empty_typeEEEZZNS1_27merge_sort_block_merge_implIS3_PtPS5_jNS1_19radix_merge_compareILb0ELb0EtNS0_19identity_decomposerEEEEE10hipError_tT0_T1_T2_jT3_P12ihipStream_tbPNSt15iterator_traitsISE_E10value_typeEPNSK_ISF_E10value_typeEPSG_NS1_7vsmem_tEENKUlT_SE_SF_SG_E_clIS8_S8_S9_S9_EESD_ST_SE_SF_SG_EUlST_E_NS1_11comp_targetILNS1_3genE8ELNS1_11target_archE1030ELNS1_3gpuE2ELNS1_3repE0EEENS1_48merge_mergepath_partition_config_static_selectorELNS0_4arch9wavefront6targetE1EEEvSF_.kd
    .uniform_work_group_size: 1
    .uses_dynamic_stack: false
    .vgpr_count:     0
    .vgpr_spill_count: 0
    .wavefront_size: 64
  - .agpr_count:     0
    .args:
      - .offset:         0
        .size:           64
        .value_kind:     by_value
    .group_segment_fixed_size: 0
    .kernarg_segment_align: 8
    .kernarg_segment_size: 64
    .language:       OpenCL C
    .language_version:
      - 2
      - 0
    .max_flat_workgroup_size: 128
    .name:           _ZN7rocprim17ROCPRIM_400000_NS6detail17trampoline_kernelINS0_14default_configENS1_38merge_sort_block_merge_config_selectorItNS0_10empty_typeEEEZZNS1_27merge_sort_block_merge_implIS3_PtPS5_jNS1_19radix_merge_compareILb0ELb0EtNS0_19identity_decomposerEEEEE10hipError_tT0_T1_T2_jT3_P12ihipStream_tbPNSt15iterator_traitsISE_E10value_typeEPNSK_ISF_E10value_typeEPSG_NS1_7vsmem_tEENKUlT_SE_SF_SG_E_clIS8_S8_S9_S9_EESD_ST_SE_SF_SG_EUlST_E0_NS1_11comp_targetILNS1_3genE0ELNS1_11target_archE4294967295ELNS1_3gpuE0ELNS1_3repE0EEENS1_38merge_mergepath_config_static_selectorELNS0_4arch9wavefront6targetE1EEEvSF_
    .private_segment_fixed_size: 0
    .sgpr_count:     4
    .sgpr_spill_count: 0
    .symbol:         _ZN7rocprim17ROCPRIM_400000_NS6detail17trampoline_kernelINS0_14default_configENS1_38merge_sort_block_merge_config_selectorItNS0_10empty_typeEEEZZNS1_27merge_sort_block_merge_implIS3_PtPS5_jNS1_19radix_merge_compareILb0ELb0EtNS0_19identity_decomposerEEEEE10hipError_tT0_T1_T2_jT3_P12ihipStream_tbPNSt15iterator_traitsISE_E10value_typeEPNSK_ISF_E10value_typeEPSG_NS1_7vsmem_tEENKUlT_SE_SF_SG_E_clIS8_S8_S9_S9_EESD_ST_SE_SF_SG_EUlST_E0_NS1_11comp_targetILNS1_3genE0ELNS1_11target_archE4294967295ELNS1_3gpuE0ELNS1_3repE0EEENS1_38merge_mergepath_config_static_selectorELNS0_4arch9wavefront6targetE1EEEvSF_.kd
    .uniform_work_group_size: 1
    .uses_dynamic_stack: false
    .vgpr_count:     0
    .vgpr_spill_count: 0
    .wavefront_size: 64
  - .agpr_count:     0
    .args:
      - .offset:         0
        .size:           64
        .value_kind:     by_value
    .group_segment_fixed_size: 0
    .kernarg_segment_align: 8
    .kernarg_segment_size: 64
    .language:       OpenCL C
    .language_version:
      - 2
      - 0
    .max_flat_workgroup_size: 128
    .name:           _ZN7rocprim17ROCPRIM_400000_NS6detail17trampoline_kernelINS0_14default_configENS1_38merge_sort_block_merge_config_selectorItNS0_10empty_typeEEEZZNS1_27merge_sort_block_merge_implIS3_PtPS5_jNS1_19radix_merge_compareILb0ELb0EtNS0_19identity_decomposerEEEEE10hipError_tT0_T1_T2_jT3_P12ihipStream_tbPNSt15iterator_traitsISE_E10value_typeEPNSK_ISF_E10value_typeEPSG_NS1_7vsmem_tEENKUlT_SE_SF_SG_E_clIS8_S8_S9_S9_EESD_ST_SE_SF_SG_EUlST_E0_NS1_11comp_targetILNS1_3genE10ELNS1_11target_archE1201ELNS1_3gpuE5ELNS1_3repE0EEENS1_38merge_mergepath_config_static_selectorELNS0_4arch9wavefront6targetE1EEEvSF_
    .private_segment_fixed_size: 0
    .sgpr_count:     4
    .sgpr_spill_count: 0
    .symbol:         _ZN7rocprim17ROCPRIM_400000_NS6detail17trampoline_kernelINS0_14default_configENS1_38merge_sort_block_merge_config_selectorItNS0_10empty_typeEEEZZNS1_27merge_sort_block_merge_implIS3_PtPS5_jNS1_19radix_merge_compareILb0ELb0EtNS0_19identity_decomposerEEEEE10hipError_tT0_T1_T2_jT3_P12ihipStream_tbPNSt15iterator_traitsISE_E10value_typeEPNSK_ISF_E10value_typeEPSG_NS1_7vsmem_tEENKUlT_SE_SF_SG_E_clIS8_S8_S9_S9_EESD_ST_SE_SF_SG_EUlST_E0_NS1_11comp_targetILNS1_3genE10ELNS1_11target_archE1201ELNS1_3gpuE5ELNS1_3repE0EEENS1_38merge_mergepath_config_static_selectorELNS0_4arch9wavefront6targetE1EEEvSF_.kd
    .uniform_work_group_size: 1
    .uses_dynamic_stack: false
    .vgpr_count:     0
    .vgpr_spill_count: 0
    .wavefront_size: 64
  - .agpr_count:     0
    .args:
      - .offset:         0
        .size:           64
        .value_kind:     by_value
    .group_segment_fixed_size: 0
    .kernarg_segment_align: 8
    .kernarg_segment_size: 64
    .language:       OpenCL C
    .language_version:
      - 2
      - 0
    .max_flat_workgroup_size: 128
    .name:           _ZN7rocprim17ROCPRIM_400000_NS6detail17trampoline_kernelINS0_14default_configENS1_38merge_sort_block_merge_config_selectorItNS0_10empty_typeEEEZZNS1_27merge_sort_block_merge_implIS3_PtPS5_jNS1_19radix_merge_compareILb0ELb0EtNS0_19identity_decomposerEEEEE10hipError_tT0_T1_T2_jT3_P12ihipStream_tbPNSt15iterator_traitsISE_E10value_typeEPNSK_ISF_E10value_typeEPSG_NS1_7vsmem_tEENKUlT_SE_SF_SG_E_clIS8_S8_S9_S9_EESD_ST_SE_SF_SG_EUlST_E0_NS1_11comp_targetILNS1_3genE5ELNS1_11target_archE942ELNS1_3gpuE9ELNS1_3repE0EEENS1_38merge_mergepath_config_static_selectorELNS0_4arch9wavefront6targetE1EEEvSF_
    .private_segment_fixed_size: 0
    .sgpr_count:     4
    .sgpr_spill_count: 0
    .symbol:         _ZN7rocprim17ROCPRIM_400000_NS6detail17trampoline_kernelINS0_14default_configENS1_38merge_sort_block_merge_config_selectorItNS0_10empty_typeEEEZZNS1_27merge_sort_block_merge_implIS3_PtPS5_jNS1_19radix_merge_compareILb0ELb0EtNS0_19identity_decomposerEEEEE10hipError_tT0_T1_T2_jT3_P12ihipStream_tbPNSt15iterator_traitsISE_E10value_typeEPNSK_ISF_E10value_typeEPSG_NS1_7vsmem_tEENKUlT_SE_SF_SG_E_clIS8_S8_S9_S9_EESD_ST_SE_SF_SG_EUlST_E0_NS1_11comp_targetILNS1_3genE5ELNS1_11target_archE942ELNS1_3gpuE9ELNS1_3repE0EEENS1_38merge_mergepath_config_static_selectorELNS0_4arch9wavefront6targetE1EEEvSF_.kd
    .uniform_work_group_size: 1
    .uses_dynamic_stack: false
    .vgpr_count:     0
    .vgpr_spill_count: 0
    .wavefront_size: 64
  - .agpr_count:     0
    .args:
      - .offset:         0
        .size:           64
        .value_kind:     by_value
      - .offset:         64
        .size:           4
        .value_kind:     hidden_block_count_x
      - .offset:         68
        .size:           4
        .value_kind:     hidden_block_count_y
      - .offset:         72
        .size:           4
        .value_kind:     hidden_block_count_z
      - .offset:         76
        .size:           2
        .value_kind:     hidden_group_size_x
      - .offset:         78
        .size:           2
        .value_kind:     hidden_group_size_y
      - .offset:         80
        .size:           2
        .value_kind:     hidden_group_size_z
      - .offset:         82
        .size:           2
        .value_kind:     hidden_remainder_x
      - .offset:         84
        .size:           2
        .value_kind:     hidden_remainder_y
      - .offset:         86
        .size:           2
        .value_kind:     hidden_remainder_z
      - .offset:         104
        .size:           8
        .value_kind:     hidden_global_offset_x
      - .offset:         112
        .size:           8
        .value_kind:     hidden_global_offset_y
      - .offset:         120
        .size:           8
        .value_kind:     hidden_global_offset_z
      - .offset:         128
        .size:           2
        .value_kind:     hidden_grid_dims
    .group_segment_fixed_size: 2112
    .kernarg_segment_align: 8
    .kernarg_segment_size: 320
    .language:       OpenCL C
    .language_version:
      - 2
      - 0
    .max_flat_workgroup_size: 128
    .name:           _ZN7rocprim17ROCPRIM_400000_NS6detail17trampoline_kernelINS0_14default_configENS1_38merge_sort_block_merge_config_selectorItNS0_10empty_typeEEEZZNS1_27merge_sort_block_merge_implIS3_PtPS5_jNS1_19radix_merge_compareILb0ELb0EtNS0_19identity_decomposerEEEEE10hipError_tT0_T1_T2_jT3_P12ihipStream_tbPNSt15iterator_traitsISE_E10value_typeEPNSK_ISF_E10value_typeEPSG_NS1_7vsmem_tEENKUlT_SE_SF_SG_E_clIS8_S8_S9_S9_EESD_ST_SE_SF_SG_EUlST_E0_NS1_11comp_targetILNS1_3genE4ELNS1_11target_archE910ELNS1_3gpuE8ELNS1_3repE0EEENS1_38merge_mergepath_config_static_selectorELNS0_4arch9wavefront6targetE1EEEvSF_
    .private_segment_fixed_size: 0
    .sgpr_count:     28
    .sgpr_spill_count: 0
    .symbol:         _ZN7rocprim17ROCPRIM_400000_NS6detail17trampoline_kernelINS0_14default_configENS1_38merge_sort_block_merge_config_selectorItNS0_10empty_typeEEEZZNS1_27merge_sort_block_merge_implIS3_PtPS5_jNS1_19radix_merge_compareILb0ELb0EtNS0_19identity_decomposerEEEEE10hipError_tT0_T1_T2_jT3_P12ihipStream_tbPNSt15iterator_traitsISE_E10value_typeEPNSK_ISF_E10value_typeEPSG_NS1_7vsmem_tEENKUlT_SE_SF_SG_E_clIS8_S8_S9_S9_EESD_ST_SE_SF_SG_EUlST_E0_NS1_11comp_targetILNS1_3genE4ELNS1_11target_archE910ELNS1_3gpuE8ELNS1_3repE0EEENS1_38merge_mergepath_config_static_selectorELNS0_4arch9wavefront6targetE1EEEvSF_.kd
    .uniform_work_group_size: 1
    .uses_dynamic_stack: false
    .vgpr_count:     26
    .vgpr_spill_count: 0
    .wavefront_size: 64
  - .agpr_count:     0
    .args:
      - .offset:         0
        .size:           64
        .value_kind:     by_value
    .group_segment_fixed_size: 0
    .kernarg_segment_align: 8
    .kernarg_segment_size: 64
    .language:       OpenCL C
    .language_version:
      - 2
      - 0
    .max_flat_workgroup_size: 128
    .name:           _ZN7rocprim17ROCPRIM_400000_NS6detail17trampoline_kernelINS0_14default_configENS1_38merge_sort_block_merge_config_selectorItNS0_10empty_typeEEEZZNS1_27merge_sort_block_merge_implIS3_PtPS5_jNS1_19radix_merge_compareILb0ELb0EtNS0_19identity_decomposerEEEEE10hipError_tT0_T1_T2_jT3_P12ihipStream_tbPNSt15iterator_traitsISE_E10value_typeEPNSK_ISF_E10value_typeEPSG_NS1_7vsmem_tEENKUlT_SE_SF_SG_E_clIS8_S8_S9_S9_EESD_ST_SE_SF_SG_EUlST_E0_NS1_11comp_targetILNS1_3genE3ELNS1_11target_archE908ELNS1_3gpuE7ELNS1_3repE0EEENS1_38merge_mergepath_config_static_selectorELNS0_4arch9wavefront6targetE1EEEvSF_
    .private_segment_fixed_size: 0
    .sgpr_count:     4
    .sgpr_spill_count: 0
    .symbol:         _ZN7rocprim17ROCPRIM_400000_NS6detail17trampoline_kernelINS0_14default_configENS1_38merge_sort_block_merge_config_selectorItNS0_10empty_typeEEEZZNS1_27merge_sort_block_merge_implIS3_PtPS5_jNS1_19radix_merge_compareILb0ELb0EtNS0_19identity_decomposerEEEEE10hipError_tT0_T1_T2_jT3_P12ihipStream_tbPNSt15iterator_traitsISE_E10value_typeEPNSK_ISF_E10value_typeEPSG_NS1_7vsmem_tEENKUlT_SE_SF_SG_E_clIS8_S8_S9_S9_EESD_ST_SE_SF_SG_EUlST_E0_NS1_11comp_targetILNS1_3genE3ELNS1_11target_archE908ELNS1_3gpuE7ELNS1_3repE0EEENS1_38merge_mergepath_config_static_selectorELNS0_4arch9wavefront6targetE1EEEvSF_.kd
    .uniform_work_group_size: 1
    .uses_dynamic_stack: false
    .vgpr_count:     0
    .vgpr_spill_count: 0
    .wavefront_size: 64
  - .agpr_count:     0
    .args:
      - .offset:         0
        .size:           64
        .value_kind:     by_value
    .group_segment_fixed_size: 0
    .kernarg_segment_align: 8
    .kernarg_segment_size: 64
    .language:       OpenCL C
    .language_version:
      - 2
      - 0
    .max_flat_workgroup_size: 128
    .name:           _ZN7rocprim17ROCPRIM_400000_NS6detail17trampoline_kernelINS0_14default_configENS1_38merge_sort_block_merge_config_selectorItNS0_10empty_typeEEEZZNS1_27merge_sort_block_merge_implIS3_PtPS5_jNS1_19radix_merge_compareILb0ELb0EtNS0_19identity_decomposerEEEEE10hipError_tT0_T1_T2_jT3_P12ihipStream_tbPNSt15iterator_traitsISE_E10value_typeEPNSK_ISF_E10value_typeEPSG_NS1_7vsmem_tEENKUlT_SE_SF_SG_E_clIS8_S8_S9_S9_EESD_ST_SE_SF_SG_EUlST_E0_NS1_11comp_targetILNS1_3genE2ELNS1_11target_archE906ELNS1_3gpuE6ELNS1_3repE0EEENS1_38merge_mergepath_config_static_selectorELNS0_4arch9wavefront6targetE1EEEvSF_
    .private_segment_fixed_size: 0
    .sgpr_count:     4
    .sgpr_spill_count: 0
    .symbol:         _ZN7rocprim17ROCPRIM_400000_NS6detail17trampoline_kernelINS0_14default_configENS1_38merge_sort_block_merge_config_selectorItNS0_10empty_typeEEEZZNS1_27merge_sort_block_merge_implIS3_PtPS5_jNS1_19radix_merge_compareILb0ELb0EtNS0_19identity_decomposerEEEEE10hipError_tT0_T1_T2_jT3_P12ihipStream_tbPNSt15iterator_traitsISE_E10value_typeEPNSK_ISF_E10value_typeEPSG_NS1_7vsmem_tEENKUlT_SE_SF_SG_E_clIS8_S8_S9_S9_EESD_ST_SE_SF_SG_EUlST_E0_NS1_11comp_targetILNS1_3genE2ELNS1_11target_archE906ELNS1_3gpuE6ELNS1_3repE0EEENS1_38merge_mergepath_config_static_selectorELNS0_4arch9wavefront6targetE1EEEvSF_.kd
    .uniform_work_group_size: 1
    .uses_dynamic_stack: false
    .vgpr_count:     0
    .vgpr_spill_count: 0
    .wavefront_size: 64
  - .agpr_count:     0
    .args:
      - .offset:         0
        .size:           64
        .value_kind:     by_value
    .group_segment_fixed_size: 0
    .kernarg_segment_align: 8
    .kernarg_segment_size: 64
    .language:       OpenCL C
    .language_version:
      - 2
      - 0
    .max_flat_workgroup_size: 128
    .name:           _ZN7rocprim17ROCPRIM_400000_NS6detail17trampoline_kernelINS0_14default_configENS1_38merge_sort_block_merge_config_selectorItNS0_10empty_typeEEEZZNS1_27merge_sort_block_merge_implIS3_PtPS5_jNS1_19radix_merge_compareILb0ELb0EtNS0_19identity_decomposerEEEEE10hipError_tT0_T1_T2_jT3_P12ihipStream_tbPNSt15iterator_traitsISE_E10value_typeEPNSK_ISF_E10value_typeEPSG_NS1_7vsmem_tEENKUlT_SE_SF_SG_E_clIS8_S8_S9_S9_EESD_ST_SE_SF_SG_EUlST_E0_NS1_11comp_targetILNS1_3genE9ELNS1_11target_archE1100ELNS1_3gpuE3ELNS1_3repE0EEENS1_38merge_mergepath_config_static_selectorELNS0_4arch9wavefront6targetE1EEEvSF_
    .private_segment_fixed_size: 0
    .sgpr_count:     4
    .sgpr_spill_count: 0
    .symbol:         _ZN7rocprim17ROCPRIM_400000_NS6detail17trampoline_kernelINS0_14default_configENS1_38merge_sort_block_merge_config_selectorItNS0_10empty_typeEEEZZNS1_27merge_sort_block_merge_implIS3_PtPS5_jNS1_19radix_merge_compareILb0ELb0EtNS0_19identity_decomposerEEEEE10hipError_tT0_T1_T2_jT3_P12ihipStream_tbPNSt15iterator_traitsISE_E10value_typeEPNSK_ISF_E10value_typeEPSG_NS1_7vsmem_tEENKUlT_SE_SF_SG_E_clIS8_S8_S9_S9_EESD_ST_SE_SF_SG_EUlST_E0_NS1_11comp_targetILNS1_3genE9ELNS1_11target_archE1100ELNS1_3gpuE3ELNS1_3repE0EEENS1_38merge_mergepath_config_static_selectorELNS0_4arch9wavefront6targetE1EEEvSF_.kd
    .uniform_work_group_size: 1
    .uses_dynamic_stack: false
    .vgpr_count:     0
    .vgpr_spill_count: 0
    .wavefront_size: 64
  - .agpr_count:     0
    .args:
      - .offset:         0
        .size:           64
        .value_kind:     by_value
    .group_segment_fixed_size: 0
    .kernarg_segment_align: 8
    .kernarg_segment_size: 64
    .language:       OpenCL C
    .language_version:
      - 2
      - 0
    .max_flat_workgroup_size: 128
    .name:           _ZN7rocprim17ROCPRIM_400000_NS6detail17trampoline_kernelINS0_14default_configENS1_38merge_sort_block_merge_config_selectorItNS0_10empty_typeEEEZZNS1_27merge_sort_block_merge_implIS3_PtPS5_jNS1_19radix_merge_compareILb0ELb0EtNS0_19identity_decomposerEEEEE10hipError_tT0_T1_T2_jT3_P12ihipStream_tbPNSt15iterator_traitsISE_E10value_typeEPNSK_ISF_E10value_typeEPSG_NS1_7vsmem_tEENKUlT_SE_SF_SG_E_clIS8_S8_S9_S9_EESD_ST_SE_SF_SG_EUlST_E0_NS1_11comp_targetILNS1_3genE8ELNS1_11target_archE1030ELNS1_3gpuE2ELNS1_3repE0EEENS1_38merge_mergepath_config_static_selectorELNS0_4arch9wavefront6targetE1EEEvSF_
    .private_segment_fixed_size: 0
    .sgpr_count:     4
    .sgpr_spill_count: 0
    .symbol:         _ZN7rocprim17ROCPRIM_400000_NS6detail17trampoline_kernelINS0_14default_configENS1_38merge_sort_block_merge_config_selectorItNS0_10empty_typeEEEZZNS1_27merge_sort_block_merge_implIS3_PtPS5_jNS1_19radix_merge_compareILb0ELb0EtNS0_19identity_decomposerEEEEE10hipError_tT0_T1_T2_jT3_P12ihipStream_tbPNSt15iterator_traitsISE_E10value_typeEPNSK_ISF_E10value_typeEPSG_NS1_7vsmem_tEENKUlT_SE_SF_SG_E_clIS8_S8_S9_S9_EESD_ST_SE_SF_SG_EUlST_E0_NS1_11comp_targetILNS1_3genE8ELNS1_11target_archE1030ELNS1_3gpuE2ELNS1_3repE0EEENS1_38merge_mergepath_config_static_selectorELNS0_4arch9wavefront6targetE1EEEvSF_.kd
    .uniform_work_group_size: 1
    .uses_dynamic_stack: false
    .vgpr_count:     0
    .vgpr_spill_count: 0
    .wavefront_size: 64
  - .agpr_count:     0
    .args:
      - .offset:         0
        .size:           48
        .value_kind:     by_value
    .group_segment_fixed_size: 0
    .kernarg_segment_align: 8
    .kernarg_segment_size: 48
    .language:       OpenCL C
    .language_version:
      - 2
      - 0
    .max_flat_workgroup_size: 256
    .name:           _ZN7rocprim17ROCPRIM_400000_NS6detail17trampoline_kernelINS0_14default_configENS1_38merge_sort_block_merge_config_selectorItNS0_10empty_typeEEEZZNS1_27merge_sort_block_merge_implIS3_PtPS5_jNS1_19radix_merge_compareILb0ELb0EtNS0_19identity_decomposerEEEEE10hipError_tT0_T1_T2_jT3_P12ihipStream_tbPNSt15iterator_traitsISE_E10value_typeEPNSK_ISF_E10value_typeEPSG_NS1_7vsmem_tEENKUlT_SE_SF_SG_E_clIS8_S8_S9_S9_EESD_ST_SE_SF_SG_EUlST_E1_NS1_11comp_targetILNS1_3genE0ELNS1_11target_archE4294967295ELNS1_3gpuE0ELNS1_3repE0EEENS1_36merge_oddeven_config_static_selectorELNS0_4arch9wavefront6targetE1EEEvSF_
    .private_segment_fixed_size: 0
    .sgpr_count:     4
    .sgpr_spill_count: 0
    .symbol:         _ZN7rocprim17ROCPRIM_400000_NS6detail17trampoline_kernelINS0_14default_configENS1_38merge_sort_block_merge_config_selectorItNS0_10empty_typeEEEZZNS1_27merge_sort_block_merge_implIS3_PtPS5_jNS1_19radix_merge_compareILb0ELb0EtNS0_19identity_decomposerEEEEE10hipError_tT0_T1_T2_jT3_P12ihipStream_tbPNSt15iterator_traitsISE_E10value_typeEPNSK_ISF_E10value_typeEPSG_NS1_7vsmem_tEENKUlT_SE_SF_SG_E_clIS8_S8_S9_S9_EESD_ST_SE_SF_SG_EUlST_E1_NS1_11comp_targetILNS1_3genE0ELNS1_11target_archE4294967295ELNS1_3gpuE0ELNS1_3repE0EEENS1_36merge_oddeven_config_static_selectorELNS0_4arch9wavefront6targetE1EEEvSF_.kd
    .uniform_work_group_size: 1
    .uses_dynamic_stack: false
    .vgpr_count:     0
    .vgpr_spill_count: 0
    .wavefront_size: 64
  - .agpr_count:     0
    .args:
      - .offset:         0
        .size:           48
        .value_kind:     by_value
    .group_segment_fixed_size: 0
    .kernarg_segment_align: 8
    .kernarg_segment_size: 48
    .language:       OpenCL C
    .language_version:
      - 2
      - 0
    .max_flat_workgroup_size: 256
    .name:           _ZN7rocprim17ROCPRIM_400000_NS6detail17trampoline_kernelINS0_14default_configENS1_38merge_sort_block_merge_config_selectorItNS0_10empty_typeEEEZZNS1_27merge_sort_block_merge_implIS3_PtPS5_jNS1_19radix_merge_compareILb0ELb0EtNS0_19identity_decomposerEEEEE10hipError_tT0_T1_T2_jT3_P12ihipStream_tbPNSt15iterator_traitsISE_E10value_typeEPNSK_ISF_E10value_typeEPSG_NS1_7vsmem_tEENKUlT_SE_SF_SG_E_clIS8_S8_S9_S9_EESD_ST_SE_SF_SG_EUlST_E1_NS1_11comp_targetILNS1_3genE10ELNS1_11target_archE1201ELNS1_3gpuE5ELNS1_3repE0EEENS1_36merge_oddeven_config_static_selectorELNS0_4arch9wavefront6targetE1EEEvSF_
    .private_segment_fixed_size: 0
    .sgpr_count:     4
    .sgpr_spill_count: 0
    .symbol:         _ZN7rocprim17ROCPRIM_400000_NS6detail17trampoline_kernelINS0_14default_configENS1_38merge_sort_block_merge_config_selectorItNS0_10empty_typeEEEZZNS1_27merge_sort_block_merge_implIS3_PtPS5_jNS1_19radix_merge_compareILb0ELb0EtNS0_19identity_decomposerEEEEE10hipError_tT0_T1_T2_jT3_P12ihipStream_tbPNSt15iterator_traitsISE_E10value_typeEPNSK_ISF_E10value_typeEPSG_NS1_7vsmem_tEENKUlT_SE_SF_SG_E_clIS8_S8_S9_S9_EESD_ST_SE_SF_SG_EUlST_E1_NS1_11comp_targetILNS1_3genE10ELNS1_11target_archE1201ELNS1_3gpuE5ELNS1_3repE0EEENS1_36merge_oddeven_config_static_selectorELNS0_4arch9wavefront6targetE1EEEvSF_.kd
    .uniform_work_group_size: 1
    .uses_dynamic_stack: false
    .vgpr_count:     0
    .vgpr_spill_count: 0
    .wavefront_size: 64
  - .agpr_count:     0
    .args:
      - .offset:         0
        .size:           48
        .value_kind:     by_value
    .group_segment_fixed_size: 0
    .kernarg_segment_align: 8
    .kernarg_segment_size: 48
    .language:       OpenCL C
    .language_version:
      - 2
      - 0
    .max_flat_workgroup_size: 256
    .name:           _ZN7rocprim17ROCPRIM_400000_NS6detail17trampoline_kernelINS0_14default_configENS1_38merge_sort_block_merge_config_selectorItNS0_10empty_typeEEEZZNS1_27merge_sort_block_merge_implIS3_PtPS5_jNS1_19radix_merge_compareILb0ELb0EtNS0_19identity_decomposerEEEEE10hipError_tT0_T1_T2_jT3_P12ihipStream_tbPNSt15iterator_traitsISE_E10value_typeEPNSK_ISF_E10value_typeEPSG_NS1_7vsmem_tEENKUlT_SE_SF_SG_E_clIS8_S8_S9_S9_EESD_ST_SE_SF_SG_EUlST_E1_NS1_11comp_targetILNS1_3genE5ELNS1_11target_archE942ELNS1_3gpuE9ELNS1_3repE0EEENS1_36merge_oddeven_config_static_selectorELNS0_4arch9wavefront6targetE1EEEvSF_
    .private_segment_fixed_size: 0
    .sgpr_count:     4
    .sgpr_spill_count: 0
    .symbol:         _ZN7rocprim17ROCPRIM_400000_NS6detail17trampoline_kernelINS0_14default_configENS1_38merge_sort_block_merge_config_selectorItNS0_10empty_typeEEEZZNS1_27merge_sort_block_merge_implIS3_PtPS5_jNS1_19radix_merge_compareILb0ELb0EtNS0_19identity_decomposerEEEEE10hipError_tT0_T1_T2_jT3_P12ihipStream_tbPNSt15iterator_traitsISE_E10value_typeEPNSK_ISF_E10value_typeEPSG_NS1_7vsmem_tEENKUlT_SE_SF_SG_E_clIS8_S8_S9_S9_EESD_ST_SE_SF_SG_EUlST_E1_NS1_11comp_targetILNS1_3genE5ELNS1_11target_archE942ELNS1_3gpuE9ELNS1_3repE0EEENS1_36merge_oddeven_config_static_selectorELNS0_4arch9wavefront6targetE1EEEvSF_.kd
    .uniform_work_group_size: 1
    .uses_dynamic_stack: false
    .vgpr_count:     0
    .vgpr_spill_count: 0
    .wavefront_size: 64
  - .agpr_count:     0
    .args:
      - .offset:         0
        .size:           48
        .value_kind:     by_value
    .group_segment_fixed_size: 0
    .kernarg_segment_align: 8
    .kernarg_segment_size: 48
    .language:       OpenCL C
    .language_version:
      - 2
      - 0
    .max_flat_workgroup_size: 256
    .name:           _ZN7rocprim17ROCPRIM_400000_NS6detail17trampoline_kernelINS0_14default_configENS1_38merge_sort_block_merge_config_selectorItNS0_10empty_typeEEEZZNS1_27merge_sort_block_merge_implIS3_PtPS5_jNS1_19radix_merge_compareILb0ELb0EtNS0_19identity_decomposerEEEEE10hipError_tT0_T1_T2_jT3_P12ihipStream_tbPNSt15iterator_traitsISE_E10value_typeEPNSK_ISF_E10value_typeEPSG_NS1_7vsmem_tEENKUlT_SE_SF_SG_E_clIS8_S8_S9_S9_EESD_ST_SE_SF_SG_EUlST_E1_NS1_11comp_targetILNS1_3genE4ELNS1_11target_archE910ELNS1_3gpuE8ELNS1_3repE0EEENS1_36merge_oddeven_config_static_selectorELNS0_4arch9wavefront6targetE1EEEvSF_
    .private_segment_fixed_size: 0
    .sgpr_count:     25
    .sgpr_spill_count: 0
    .symbol:         _ZN7rocprim17ROCPRIM_400000_NS6detail17trampoline_kernelINS0_14default_configENS1_38merge_sort_block_merge_config_selectorItNS0_10empty_typeEEEZZNS1_27merge_sort_block_merge_implIS3_PtPS5_jNS1_19radix_merge_compareILb0ELb0EtNS0_19identity_decomposerEEEEE10hipError_tT0_T1_T2_jT3_P12ihipStream_tbPNSt15iterator_traitsISE_E10value_typeEPNSK_ISF_E10value_typeEPSG_NS1_7vsmem_tEENKUlT_SE_SF_SG_E_clIS8_S8_S9_S9_EESD_ST_SE_SF_SG_EUlST_E1_NS1_11comp_targetILNS1_3genE4ELNS1_11target_archE910ELNS1_3gpuE8ELNS1_3repE0EEENS1_36merge_oddeven_config_static_selectorELNS0_4arch9wavefront6targetE1EEEvSF_.kd
    .uniform_work_group_size: 1
    .uses_dynamic_stack: false
    .vgpr_count:     8
    .vgpr_spill_count: 0
    .wavefront_size: 64
  - .agpr_count:     0
    .args:
      - .offset:         0
        .size:           48
        .value_kind:     by_value
    .group_segment_fixed_size: 0
    .kernarg_segment_align: 8
    .kernarg_segment_size: 48
    .language:       OpenCL C
    .language_version:
      - 2
      - 0
    .max_flat_workgroup_size: 256
    .name:           _ZN7rocprim17ROCPRIM_400000_NS6detail17trampoline_kernelINS0_14default_configENS1_38merge_sort_block_merge_config_selectorItNS0_10empty_typeEEEZZNS1_27merge_sort_block_merge_implIS3_PtPS5_jNS1_19radix_merge_compareILb0ELb0EtNS0_19identity_decomposerEEEEE10hipError_tT0_T1_T2_jT3_P12ihipStream_tbPNSt15iterator_traitsISE_E10value_typeEPNSK_ISF_E10value_typeEPSG_NS1_7vsmem_tEENKUlT_SE_SF_SG_E_clIS8_S8_S9_S9_EESD_ST_SE_SF_SG_EUlST_E1_NS1_11comp_targetILNS1_3genE3ELNS1_11target_archE908ELNS1_3gpuE7ELNS1_3repE0EEENS1_36merge_oddeven_config_static_selectorELNS0_4arch9wavefront6targetE1EEEvSF_
    .private_segment_fixed_size: 0
    .sgpr_count:     4
    .sgpr_spill_count: 0
    .symbol:         _ZN7rocprim17ROCPRIM_400000_NS6detail17trampoline_kernelINS0_14default_configENS1_38merge_sort_block_merge_config_selectorItNS0_10empty_typeEEEZZNS1_27merge_sort_block_merge_implIS3_PtPS5_jNS1_19radix_merge_compareILb0ELb0EtNS0_19identity_decomposerEEEEE10hipError_tT0_T1_T2_jT3_P12ihipStream_tbPNSt15iterator_traitsISE_E10value_typeEPNSK_ISF_E10value_typeEPSG_NS1_7vsmem_tEENKUlT_SE_SF_SG_E_clIS8_S8_S9_S9_EESD_ST_SE_SF_SG_EUlST_E1_NS1_11comp_targetILNS1_3genE3ELNS1_11target_archE908ELNS1_3gpuE7ELNS1_3repE0EEENS1_36merge_oddeven_config_static_selectorELNS0_4arch9wavefront6targetE1EEEvSF_.kd
    .uniform_work_group_size: 1
    .uses_dynamic_stack: false
    .vgpr_count:     0
    .vgpr_spill_count: 0
    .wavefront_size: 64
  - .agpr_count:     0
    .args:
      - .offset:         0
        .size:           48
        .value_kind:     by_value
    .group_segment_fixed_size: 0
    .kernarg_segment_align: 8
    .kernarg_segment_size: 48
    .language:       OpenCL C
    .language_version:
      - 2
      - 0
    .max_flat_workgroup_size: 256
    .name:           _ZN7rocprim17ROCPRIM_400000_NS6detail17trampoline_kernelINS0_14default_configENS1_38merge_sort_block_merge_config_selectorItNS0_10empty_typeEEEZZNS1_27merge_sort_block_merge_implIS3_PtPS5_jNS1_19radix_merge_compareILb0ELb0EtNS0_19identity_decomposerEEEEE10hipError_tT0_T1_T2_jT3_P12ihipStream_tbPNSt15iterator_traitsISE_E10value_typeEPNSK_ISF_E10value_typeEPSG_NS1_7vsmem_tEENKUlT_SE_SF_SG_E_clIS8_S8_S9_S9_EESD_ST_SE_SF_SG_EUlST_E1_NS1_11comp_targetILNS1_3genE2ELNS1_11target_archE906ELNS1_3gpuE6ELNS1_3repE0EEENS1_36merge_oddeven_config_static_selectorELNS0_4arch9wavefront6targetE1EEEvSF_
    .private_segment_fixed_size: 0
    .sgpr_count:     4
    .sgpr_spill_count: 0
    .symbol:         _ZN7rocprim17ROCPRIM_400000_NS6detail17trampoline_kernelINS0_14default_configENS1_38merge_sort_block_merge_config_selectorItNS0_10empty_typeEEEZZNS1_27merge_sort_block_merge_implIS3_PtPS5_jNS1_19radix_merge_compareILb0ELb0EtNS0_19identity_decomposerEEEEE10hipError_tT0_T1_T2_jT3_P12ihipStream_tbPNSt15iterator_traitsISE_E10value_typeEPNSK_ISF_E10value_typeEPSG_NS1_7vsmem_tEENKUlT_SE_SF_SG_E_clIS8_S8_S9_S9_EESD_ST_SE_SF_SG_EUlST_E1_NS1_11comp_targetILNS1_3genE2ELNS1_11target_archE906ELNS1_3gpuE6ELNS1_3repE0EEENS1_36merge_oddeven_config_static_selectorELNS0_4arch9wavefront6targetE1EEEvSF_.kd
    .uniform_work_group_size: 1
    .uses_dynamic_stack: false
    .vgpr_count:     0
    .vgpr_spill_count: 0
    .wavefront_size: 64
  - .agpr_count:     0
    .args:
      - .offset:         0
        .size:           48
        .value_kind:     by_value
    .group_segment_fixed_size: 0
    .kernarg_segment_align: 8
    .kernarg_segment_size: 48
    .language:       OpenCL C
    .language_version:
      - 2
      - 0
    .max_flat_workgroup_size: 256
    .name:           _ZN7rocprim17ROCPRIM_400000_NS6detail17trampoline_kernelINS0_14default_configENS1_38merge_sort_block_merge_config_selectorItNS0_10empty_typeEEEZZNS1_27merge_sort_block_merge_implIS3_PtPS5_jNS1_19radix_merge_compareILb0ELb0EtNS0_19identity_decomposerEEEEE10hipError_tT0_T1_T2_jT3_P12ihipStream_tbPNSt15iterator_traitsISE_E10value_typeEPNSK_ISF_E10value_typeEPSG_NS1_7vsmem_tEENKUlT_SE_SF_SG_E_clIS8_S8_S9_S9_EESD_ST_SE_SF_SG_EUlST_E1_NS1_11comp_targetILNS1_3genE9ELNS1_11target_archE1100ELNS1_3gpuE3ELNS1_3repE0EEENS1_36merge_oddeven_config_static_selectorELNS0_4arch9wavefront6targetE1EEEvSF_
    .private_segment_fixed_size: 0
    .sgpr_count:     4
    .sgpr_spill_count: 0
    .symbol:         _ZN7rocprim17ROCPRIM_400000_NS6detail17trampoline_kernelINS0_14default_configENS1_38merge_sort_block_merge_config_selectorItNS0_10empty_typeEEEZZNS1_27merge_sort_block_merge_implIS3_PtPS5_jNS1_19radix_merge_compareILb0ELb0EtNS0_19identity_decomposerEEEEE10hipError_tT0_T1_T2_jT3_P12ihipStream_tbPNSt15iterator_traitsISE_E10value_typeEPNSK_ISF_E10value_typeEPSG_NS1_7vsmem_tEENKUlT_SE_SF_SG_E_clIS8_S8_S9_S9_EESD_ST_SE_SF_SG_EUlST_E1_NS1_11comp_targetILNS1_3genE9ELNS1_11target_archE1100ELNS1_3gpuE3ELNS1_3repE0EEENS1_36merge_oddeven_config_static_selectorELNS0_4arch9wavefront6targetE1EEEvSF_.kd
    .uniform_work_group_size: 1
    .uses_dynamic_stack: false
    .vgpr_count:     0
    .vgpr_spill_count: 0
    .wavefront_size: 64
  - .agpr_count:     0
    .args:
      - .offset:         0
        .size:           48
        .value_kind:     by_value
    .group_segment_fixed_size: 0
    .kernarg_segment_align: 8
    .kernarg_segment_size: 48
    .language:       OpenCL C
    .language_version:
      - 2
      - 0
    .max_flat_workgroup_size: 256
    .name:           _ZN7rocprim17ROCPRIM_400000_NS6detail17trampoline_kernelINS0_14default_configENS1_38merge_sort_block_merge_config_selectorItNS0_10empty_typeEEEZZNS1_27merge_sort_block_merge_implIS3_PtPS5_jNS1_19radix_merge_compareILb0ELb0EtNS0_19identity_decomposerEEEEE10hipError_tT0_T1_T2_jT3_P12ihipStream_tbPNSt15iterator_traitsISE_E10value_typeEPNSK_ISF_E10value_typeEPSG_NS1_7vsmem_tEENKUlT_SE_SF_SG_E_clIS8_S8_S9_S9_EESD_ST_SE_SF_SG_EUlST_E1_NS1_11comp_targetILNS1_3genE8ELNS1_11target_archE1030ELNS1_3gpuE2ELNS1_3repE0EEENS1_36merge_oddeven_config_static_selectorELNS0_4arch9wavefront6targetE1EEEvSF_
    .private_segment_fixed_size: 0
    .sgpr_count:     4
    .sgpr_spill_count: 0
    .symbol:         _ZN7rocprim17ROCPRIM_400000_NS6detail17trampoline_kernelINS0_14default_configENS1_38merge_sort_block_merge_config_selectorItNS0_10empty_typeEEEZZNS1_27merge_sort_block_merge_implIS3_PtPS5_jNS1_19radix_merge_compareILb0ELb0EtNS0_19identity_decomposerEEEEE10hipError_tT0_T1_T2_jT3_P12ihipStream_tbPNSt15iterator_traitsISE_E10value_typeEPNSK_ISF_E10value_typeEPSG_NS1_7vsmem_tEENKUlT_SE_SF_SG_E_clIS8_S8_S9_S9_EESD_ST_SE_SF_SG_EUlST_E1_NS1_11comp_targetILNS1_3genE8ELNS1_11target_archE1030ELNS1_3gpuE2ELNS1_3repE0EEENS1_36merge_oddeven_config_static_selectorELNS0_4arch9wavefront6targetE1EEEvSF_.kd
    .uniform_work_group_size: 1
    .uses_dynamic_stack: false
    .vgpr_count:     0
    .vgpr_spill_count: 0
    .wavefront_size: 64
  - .agpr_count:     0
    .args:
      - .offset:         0
        .size:           40
        .value_kind:     by_value
    .group_segment_fixed_size: 0
    .kernarg_segment_align: 8
    .kernarg_segment_size: 40
    .language:       OpenCL C
    .language_version:
      - 2
      - 0
    .max_flat_workgroup_size: 128
    .name:           _ZN7rocprim17ROCPRIM_400000_NS6detail17trampoline_kernelINS0_14default_configENS1_25transform_config_selectorItLb1EEEZNS1_14transform_implILb1ES3_S5_PtS7_NS0_8identityItEEEE10hipError_tT2_T3_mT4_P12ihipStream_tbEUlT_E_NS1_11comp_targetILNS1_3genE0ELNS1_11target_archE4294967295ELNS1_3gpuE0ELNS1_3repE0EEENS1_30default_config_static_selectorELNS0_4arch9wavefront6targetE1EEEvT1_
    .private_segment_fixed_size: 0
    .sgpr_count:     4
    .sgpr_spill_count: 0
    .symbol:         _ZN7rocprim17ROCPRIM_400000_NS6detail17trampoline_kernelINS0_14default_configENS1_25transform_config_selectorItLb1EEEZNS1_14transform_implILb1ES3_S5_PtS7_NS0_8identityItEEEE10hipError_tT2_T3_mT4_P12ihipStream_tbEUlT_E_NS1_11comp_targetILNS1_3genE0ELNS1_11target_archE4294967295ELNS1_3gpuE0ELNS1_3repE0EEENS1_30default_config_static_selectorELNS0_4arch9wavefront6targetE1EEEvT1_.kd
    .uniform_work_group_size: 1
    .uses_dynamic_stack: false
    .vgpr_count:     0
    .vgpr_spill_count: 0
    .wavefront_size: 64
  - .agpr_count:     0
    .args:
      - .offset:         0
        .size:           40
        .value_kind:     by_value
    .group_segment_fixed_size: 0
    .kernarg_segment_align: 8
    .kernarg_segment_size: 40
    .language:       OpenCL C
    .language_version:
      - 2
      - 0
    .max_flat_workgroup_size: 64
    .name:           _ZN7rocprim17ROCPRIM_400000_NS6detail17trampoline_kernelINS0_14default_configENS1_25transform_config_selectorItLb1EEEZNS1_14transform_implILb1ES3_S5_PtS7_NS0_8identityItEEEE10hipError_tT2_T3_mT4_P12ihipStream_tbEUlT_E_NS1_11comp_targetILNS1_3genE10ELNS1_11target_archE1201ELNS1_3gpuE5ELNS1_3repE0EEENS1_30default_config_static_selectorELNS0_4arch9wavefront6targetE1EEEvT1_
    .private_segment_fixed_size: 0
    .sgpr_count:     4
    .sgpr_spill_count: 0
    .symbol:         _ZN7rocprim17ROCPRIM_400000_NS6detail17trampoline_kernelINS0_14default_configENS1_25transform_config_selectorItLb1EEEZNS1_14transform_implILb1ES3_S5_PtS7_NS0_8identityItEEEE10hipError_tT2_T3_mT4_P12ihipStream_tbEUlT_E_NS1_11comp_targetILNS1_3genE10ELNS1_11target_archE1201ELNS1_3gpuE5ELNS1_3repE0EEENS1_30default_config_static_selectorELNS0_4arch9wavefront6targetE1EEEvT1_.kd
    .uniform_work_group_size: 1
    .uses_dynamic_stack: false
    .vgpr_count:     0
    .vgpr_spill_count: 0
    .wavefront_size: 64
  - .agpr_count:     0
    .args:
      - .offset:         0
        .size:           40
        .value_kind:     by_value
    .group_segment_fixed_size: 0
    .kernarg_segment_align: 8
    .kernarg_segment_size: 40
    .language:       OpenCL C
    .language_version:
      - 2
      - 0
    .max_flat_workgroup_size: 256
    .name:           _ZN7rocprim17ROCPRIM_400000_NS6detail17trampoline_kernelINS0_14default_configENS1_25transform_config_selectorItLb1EEEZNS1_14transform_implILb1ES3_S5_PtS7_NS0_8identityItEEEE10hipError_tT2_T3_mT4_P12ihipStream_tbEUlT_E_NS1_11comp_targetILNS1_3genE5ELNS1_11target_archE942ELNS1_3gpuE9ELNS1_3repE0EEENS1_30default_config_static_selectorELNS0_4arch9wavefront6targetE1EEEvT1_
    .private_segment_fixed_size: 0
    .sgpr_count:     4
    .sgpr_spill_count: 0
    .symbol:         _ZN7rocprim17ROCPRIM_400000_NS6detail17trampoline_kernelINS0_14default_configENS1_25transform_config_selectorItLb1EEEZNS1_14transform_implILb1ES3_S5_PtS7_NS0_8identityItEEEE10hipError_tT2_T3_mT4_P12ihipStream_tbEUlT_E_NS1_11comp_targetILNS1_3genE5ELNS1_11target_archE942ELNS1_3gpuE9ELNS1_3repE0EEENS1_30default_config_static_selectorELNS0_4arch9wavefront6targetE1EEEvT1_.kd
    .uniform_work_group_size: 1
    .uses_dynamic_stack: false
    .vgpr_count:     0
    .vgpr_spill_count: 0
    .wavefront_size: 64
  - .agpr_count:     0
    .args:
      - .offset:         0
        .size:           40
        .value_kind:     by_value
      - .offset:         40
        .size:           4
        .value_kind:     hidden_block_count_x
      - .offset:         44
        .size:           4
        .value_kind:     hidden_block_count_y
      - .offset:         48
        .size:           4
        .value_kind:     hidden_block_count_z
      - .offset:         52
        .size:           2
        .value_kind:     hidden_group_size_x
      - .offset:         54
        .size:           2
        .value_kind:     hidden_group_size_y
      - .offset:         56
        .size:           2
        .value_kind:     hidden_group_size_z
      - .offset:         58
        .size:           2
        .value_kind:     hidden_remainder_x
      - .offset:         60
        .size:           2
        .value_kind:     hidden_remainder_y
      - .offset:         62
        .size:           2
        .value_kind:     hidden_remainder_z
      - .offset:         80
        .size:           8
        .value_kind:     hidden_global_offset_x
      - .offset:         88
        .size:           8
        .value_kind:     hidden_global_offset_y
      - .offset:         96
        .size:           8
        .value_kind:     hidden_global_offset_z
      - .offset:         104
        .size:           2
        .value_kind:     hidden_grid_dims
    .group_segment_fixed_size: 0
    .kernarg_segment_align: 8
    .kernarg_segment_size: 296
    .language:       OpenCL C
    .language_version:
      - 2
      - 0
    .max_flat_workgroup_size: 1024
    .name:           _ZN7rocprim17ROCPRIM_400000_NS6detail17trampoline_kernelINS0_14default_configENS1_25transform_config_selectorItLb1EEEZNS1_14transform_implILb1ES3_S5_PtS7_NS0_8identityItEEEE10hipError_tT2_T3_mT4_P12ihipStream_tbEUlT_E_NS1_11comp_targetILNS1_3genE4ELNS1_11target_archE910ELNS1_3gpuE8ELNS1_3repE0EEENS1_30default_config_static_selectorELNS0_4arch9wavefront6targetE1EEEvT1_
    .private_segment_fixed_size: 0
    .sgpr_count:     26
    .sgpr_spill_count: 0
    .symbol:         _ZN7rocprim17ROCPRIM_400000_NS6detail17trampoline_kernelINS0_14default_configENS1_25transform_config_selectorItLb1EEEZNS1_14transform_implILb1ES3_S5_PtS7_NS0_8identityItEEEE10hipError_tT2_T3_mT4_P12ihipStream_tbEUlT_E_NS1_11comp_targetILNS1_3genE4ELNS1_11target_archE910ELNS1_3gpuE8ELNS1_3repE0EEENS1_30default_config_static_selectorELNS0_4arch9wavefront6targetE1EEEvT1_.kd
    .uniform_work_group_size: 1
    .uses_dynamic_stack: false
    .vgpr_count:     8
    .vgpr_spill_count: 0
    .wavefront_size: 64
  - .agpr_count:     0
    .args:
      - .offset:         0
        .size:           40
        .value_kind:     by_value
    .group_segment_fixed_size: 0
    .kernarg_segment_align: 8
    .kernarg_segment_size: 40
    .language:       OpenCL C
    .language_version:
      - 2
      - 0
    .max_flat_workgroup_size: 128
    .name:           _ZN7rocprim17ROCPRIM_400000_NS6detail17trampoline_kernelINS0_14default_configENS1_25transform_config_selectorItLb1EEEZNS1_14transform_implILb1ES3_S5_PtS7_NS0_8identityItEEEE10hipError_tT2_T3_mT4_P12ihipStream_tbEUlT_E_NS1_11comp_targetILNS1_3genE3ELNS1_11target_archE908ELNS1_3gpuE7ELNS1_3repE0EEENS1_30default_config_static_selectorELNS0_4arch9wavefront6targetE1EEEvT1_
    .private_segment_fixed_size: 0
    .sgpr_count:     4
    .sgpr_spill_count: 0
    .symbol:         _ZN7rocprim17ROCPRIM_400000_NS6detail17trampoline_kernelINS0_14default_configENS1_25transform_config_selectorItLb1EEEZNS1_14transform_implILb1ES3_S5_PtS7_NS0_8identityItEEEE10hipError_tT2_T3_mT4_P12ihipStream_tbEUlT_E_NS1_11comp_targetILNS1_3genE3ELNS1_11target_archE908ELNS1_3gpuE7ELNS1_3repE0EEENS1_30default_config_static_selectorELNS0_4arch9wavefront6targetE1EEEvT1_.kd
    .uniform_work_group_size: 1
    .uses_dynamic_stack: false
    .vgpr_count:     0
    .vgpr_spill_count: 0
    .wavefront_size: 64
  - .agpr_count:     0
    .args:
      - .offset:         0
        .size:           40
        .value_kind:     by_value
    .group_segment_fixed_size: 0
    .kernarg_segment_align: 8
    .kernarg_segment_size: 40
    .language:       OpenCL C
    .language_version:
      - 2
      - 0
    .max_flat_workgroup_size: 1024
    .name:           _ZN7rocprim17ROCPRIM_400000_NS6detail17trampoline_kernelINS0_14default_configENS1_25transform_config_selectorItLb1EEEZNS1_14transform_implILb1ES3_S5_PtS7_NS0_8identityItEEEE10hipError_tT2_T3_mT4_P12ihipStream_tbEUlT_E_NS1_11comp_targetILNS1_3genE2ELNS1_11target_archE906ELNS1_3gpuE6ELNS1_3repE0EEENS1_30default_config_static_selectorELNS0_4arch9wavefront6targetE1EEEvT1_
    .private_segment_fixed_size: 0
    .sgpr_count:     4
    .sgpr_spill_count: 0
    .symbol:         _ZN7rocprim17ROCPRIM_400000_NS6detail17trampoline_kernelINS0_14default_configENS1_25transform_config_selectorItLb1EEEZNS1_14transform_implILb1ES3_S5_PtS7_NS0_8identityItEEEE10hipError_tT2_T3_mT4_P12ihipStream_tbEUlT_E_NS1_11comp_targetILNS1_3genE2ELNS1_11target_archE906ELNS1_3gpuE6ELNS1_3repE0EEENS1_30default_config_static_selectorELNS0_4arch9wavefront6targetE1EEEvT1_.kd
    .uniform_work_group_size: 1
    .uses_dynamic_stack: false
    .vgpr_count:     0
    .vgpr_spill_count: 0
    .wavefront_size: 64
  - .agpr_count:     0
    .args:
      - .offset:         0
        .size:           40
        .value_kind:     by_value
    .group_segment_fixed_size: 0
    .kernarg_segment_align: 8
    .kernarg_segment_size: 40
    .language:       OpenCL C
    .language_version:
      - 2
      - 0
    .max_flat_workgroup_size: 1024
    .name:           _ZN7rocprim17ROCPRIM_400000_NS6detail17trampoline_kernelINS0_14default_configENS1_25transform_config_selectorItLb1EEEZNS1_14transform_implILb1ES3_S5_PtS7_NS0_8identityItEEEE10hipError_tT2_T3_mT4_P12ihipStream_tbEUlT_E_NS1_11comp_targetILNS1_3genE9ELNS1_11target_archE1100ELNS1_3gpuE3ELNS1_3repE0EEENS1_30default_config_static_selectorELNS0_4arch9wavefront6targetE1EEEvT1_
    .private_segment_fixed_size: 0
    .sgpr_count:     4
    .sgpr_spill_count: 0
    .symbol:         _ZN7rocprim17ROCPRIM_400000_NS6detail17trampoline_kernelINS0_14default_configENS1_25transform_config_selectorItLb1EEEZNS1_14transform_implILb1ES3_S5_PtS7_NS0_8identityItEEEE10hipError_tT2_T3_mT4_P12ihipStream_tbEUlT_E_NS1_11comp_targetILNS1_3genE9ELNS1_11target_archE1100ELNS1_3gpuE3ELNS1_3repE0EEENS1_30default_config_static_selectorELNS0_4arch9wavefront6targetE1EEEvT1_.kd
    .uniform_work_group_size: 1
    .uses_dynamic_stack: false
    .vgpr_count:     0
    .vgpr_spill_count: 0
    .wavefront_size: 64
  - .agpr_count:     0
    .args:
      - .offset:         0
        .size:           40
        .value_kind:     by_value
    .group_segment_fixed_size: 0
    .kernarg_segment_align: 8
    .kernarg_segment_size: 40
    .language:       OpenCL C
    .language_version:
      - 2
      - 0
    .max_flat_workgroup_size: 1024
    .name:           _ZN7rocprim17ROCPRIM_400000_NS6detail17trampoline_kernelINS0_14default_configENS1_25transform_config_selectorItLb1EEEZNS1_14transform_implILb1ES3_S5_PtS7_NS0_8identityItEEEE10hipError_tT2_T3_mT4_P12ihipStream_tbEUlT_E_NS1_11comp_targetILNS1_3genE8ELNS1_11target_archE1030ELNS1_3gpuE2ELNS1_3repE0EEENS1_30default_config_static_selectorELNS0_4arch9wavefront6targetE1EEEvT1_
    .private_segment_fixed_size: 0
    .sgpr_count:     4
    .sgpr_spill_count: 0
    .symbol:         _ZN7rocprim17ROCPRIM_400000_NS6detail17trampoline_kernelINS0_14default_configENS1_25transform_config_selectorItLb1EEEZNS1_14transform_implILb1ES3_S5_PtS7_NS0_8identityItEEEE10hipError_tT2_T3_mT4_P12ihipStream_tbEUlT_E_NS1_11comp_targetILNS1_3genE8ELNS1_11target_archE1030ELNS1_3gpuE2ELNS1_3repE0EEENS1_30default_config_static_selectorELNS0_4arch9wavefront6targetE1EEEvT1_.kd
    .uniform_work_group_size: 1
    .uses_dynamic_stack: false
    .vgpr_count:     0
    .vgpr_spill_count: 0
    .wavefront_size: 64
  - .agpr_count:     0
    .args:
      - .offset:         0
        .size:           40
        .value_kind:     by_value
    .group_segment_fixed_size: 0
    .kernarg_segment_align: 8
    .kernarg_segment_size: 40
    .language:       OpenCL C
    .language_version:
      - 2
      - 0
    .max_flat_workgroup_size: 128
    .name:           _ZN7rocprim17ROCPRIM_400000_NS6detail17trampoline_kernelINS0_14default_configENS1_38merge_sort_block_merge_config_selectorItNS0_10empty_typeEEEZZNS1_27merge_sort_block_merge_implIS3_PtPS5_jNS1_19radix_merge_compareILb0ELb1EtNS0_19identity_decomposerEEEEE10hipError_tT0_T1_T2_jT3_P12ihipStream_tbPNSt15iterator_traitsISE_E10value_typeEPNSK_ISF_E10value_typeEPSG_NS1_7vsmem_tEENKUlT_SE_SF_SG_E_clIS8_S8_S9_S9_EESD_ST_SE_SF_SG_EUlST_E_NS1_11comp_targetILNS1_3genE0ELNS1_11target_archE4294967295ELNS1_3gpuE0ELNS1_3repE0EEENS1_48merge_mergepath_partition_config_static_selectorELNS0_4arch9wavefront6targetE1EEEvSF_
    .private_segment_fixed_size: 0
    .sgpr_count:     4
    .sgpr_spill_count: 0
    .symbol:         _ZN7rocprim17ROCPRIM_400000_NS6detail17trampoline_kernelINS0_14default_configENS1_38merge_sort_block_merge_config_selectorItNS0_10empty_typeEEEZZNS1_27merge_sort_block_merge_implIS3_PtPS5_jNS1_19radix_merge_compareILb0ELb1EtNS0_19identity_decomposerEEEEE10hipError_tT0_T1_T2_jT3_P12ihipStream_tbPNSt15iterator_traitsISE_E10value_typeEPNSK_ISF_E10value_typeEPSG_NS1_7vsmem_tEENKUlT_SE_SF_SG_E_clIS8_S8_S9_S9_EESD_ST_SE_SF_SG_EUlST_E_NS1_11comp_targetILNS1_3genE0ELNS1_11target_archE4294967295ELNS1_3gpuE0ELNS1_3repE0EEENS1_48merge_mergepath_partition_config_static_selectorELNS0_4arch9wavefront6targetE1EEEvSF_.kd
    .uniform_work_group_size: 1
    .uses_dynamic_stack: false
    .vgpr_count:     0
    .vgpr_spill_count: 0
    .wavefront_size: 64
  - .agpr_count:     0
    .args:
      - .offset:         0
        .size:           40
        .value_kind:     by_value
    .group_segment_fixed_size: 0
    .kernarg_segment_align: 8
    .kernarg_segment_size: 40
    .language:       OpenCL C
    .language_version:
      - 2
      - 0
    .max_flat_workgroup_size: 128
    .name:           _ZN7rocprim17ROCPRIM_400000_NS6detail17trampoline_kernelINS0_14default_configENS1_38merge_sort_block_merge_config_selectorItNS0_10empty_typeEEEZZNS1_27merge_sort_block_merge_implIS3_PtPS5_jNS1_19radix_merge_compareILb0ELb1EtNS0_19identity_decomposerEEEEE10hipError_tT0_T1_T2_jT3_P12ihipStream_tbPNSt15iterator_traitsISE_E10value_typeEPNSK_ISF_E10value_typeEPSG_NS1_7vsmem_tEENKUlT_SE_SF_SG_E_clIS8_S8_S9_S9_EESD_ST_SE_SF_SG_EUlST_E_NS1_11comp_targetILNS1_3genE10ELNS1_11target_archE1201ELNS1_3gpuE5ELNS1_3repE0EEENS1_48merge_mergepath_partition_config_static_selectorELNS0_4arch9wavefront6targetE1EEEvSF_
    .private_segment_fixed_size: 0
    .sgpr_count:     4
    .sgpr_spill_count: 0
    .symbol:         _ZN7rocprim17ROCPRIM_400000_NS6detail17trampoline_kernelINS0_14default_configENS1_38merge_sort_block_merge_config_selectorItNS0_10empty_typeEEEZZNS1_27merge_sort_block_merge_implIS3_PtPS5_jNS1_19radix_merge_compareILb0ELb1EtNS0_19identity_decomposerEEEEE10hipError_tT0_T1_T2_jT3_P12ihipStream_tbPNSt15iterator_traitsISE_E10value_typeEPNSK_ISF_E10value_typeEPSG_NS1_7vsmem_tEENKUlT_SE_SF_SG_E_clIS8_S8_S9_S9_EESD_ST_SE_SF_SG_EUlST_E_NS1_11comp_targetILNS1_3genE10ELNS1_11target_archE1201ELNS1_3gpuE5ELNS1_3repE0EEENS1_48merge_mergepath_partition_config_static_selectorELNS0_4arch9wavefront6targetE1EEEvSF_.kd
    .uniform_work_group_size: 1
    .uses_dynamic_stack: false
    .vgpr_count:     0
    .vgpr_spill_count: 0
    .wavefront_size: 64
  - .agpr_count:     0
    .args:
      - .offset:         0
        .size:           40
        .value_kind:     by_value
    .group_segment_fixed_size: 0
    .kernarg_segment_align: 8
    .kernarg_segment_size: 40
    .language:       OpenCL C
    .language_version:
      - 2
      - 0
    .max_flat_workgroup_size: 128
    .name:           _ZN7rocprim17ROCPRIM_400000_NS6detail17trampoline_kernelINS0_14default_configENS1_38merge_sort_block_merge_config_selectorItNS0_10empty_typeEEEZZNS1_27merge_sort_block_merge_implIS3_PtPS5_jNS1_19radix_merge_compareILb0ELb1EtNS0_19identity_decomposerEEEEE10hipError_tT0_T1_T2_jT3_P12ihipStream_tbPNSt15iterator_traitsISE_E10value_typeEPNSK_ISF_E10value_typeEPSG_NS1_7vsmem_tEENKUlT_SE_SF_SG_E_clIS8_S8_S9_S9_EESD_ST_SE_SF_SG_EUlST_E_NS1_11comp_targetILNS1_3genE5ELNS1_11target_archE942ELNS1_3gpuE9ELNS1_3repE0EEENS1_48merge_mergepath_partition_config_static_selectorELNS0_4arch9wavefront6targetE1EEEvSF_
    .private_segment_fixed_size: 0
    .sgpr_count:     4
    .sgpr_spill_count: 0
    .symbol:         _ZN7rocprim17ROCPRIM_400000_NS6detail17trampoline_kernelINS0_14default_configENS1_38merge_sort_block_merge_config_selectorItNS0_10empty_typeEEEZZNS1_27merge_sort_block_merge_implIS3_PtPS5_jNS1_19radix_merge_compareILb0ELb1EtNS0_19identity_decomposerEEEEE10hipError_tT0_T1_T2_jT3_P12ihipStream_tbPNSt15iterator_traitsISE_E10value_typeEPNSK_ISF_E10value_typeEPSG_NS1_7vsmem_tEENKUlT_SE_SF_SG_E_clIS8_S8_S9_S9_EESD_ST_SE_SF_SG_EUlST_E_NS1_11comp_targetILNS1_3genE5ELNS1_11target_archE942ELNS1_3gpuE9ELNS1_3repE0EEENS1_48merge_mergepath_partition_config_static_selectorELNS0_4arch9wavefront6targetE1EEEvSF_.kd
    .uniform_work_group_size: 1
    .uses_dynamic_stack: false
    .vgpr_count:     0
    .vgpr_spill_count: 0
    .wavefront_size: 64
  - .agpr_count:     0
    .args:
      - .offset:         0
        .size:           40
        .value_kind:     by_value
    .group_segment_fixed_size: 0
    .kernarg_segment_align: 8
    .kernarg_segment_size: 40
    .language:       OpenCL C
    .language_version:
      - 2
      - 0
    .max_flat_workgroup_size: 128
    .name:           _ZN7rocprim17ROCPRIM_400000_NS6detail17trampoline_kernelINS0_14default_configENS1_38merge_sort_block_merge_config_selectorItNS0_10empty_typeEEEZZNS1_27merge_sort_block_merge_implIS3_PtPS5_jNS1_19radix_merge_compareILb0ELb1EtNS0_19identity_decomposerEEEEE10hipError_tT0_T1_T2_jT3_P12ihipStream_tbPNSt15iterator_traitsISE_E10value_typeEPNSK_ISF_E10value_typeEPSG_NS1_7vsmem_tEENKUlT_SE_SF_SG_E_clIS8_S8_S9_S9_EESD_ST_SE_SF_SG_EUlST_E_NS1_11comp_targetILNS1_3genE4ELNS1_11target_archE910ELNS1_3gpuE8ELNS1_3repE0EEENS1_48merge_mergepath_partition_config_static_selectorELNS0_4arch9wavefront6targetE1EEEvSF_
    .private_segment_fixed_size: 0
    .sgpr_count:     14
    .sgpr_spill_count: 0
    .symbol:         _ZN7rocprim17ROCPRIM_400000_NS6detail17trampoline_kernelINS0_14default_configENS1_38merge_sort_block_merge_config_selectorItNS0_10empty_typeEEEZZNS1_27merge_sort_block_merge_implIS3_PtPS5_jNS1_19radix_merge_compareILb0ELb1EtNS0_19identity_decomposerEEEEE10hipError_tT0_T1_T2_jT3_P12ihipStream_tbPNSt15iterator_traitsISE_E10value_typeEPNSK_ISF_E10value_typeEPSG_NS1_7vsmem_tEENKUlT_SE_SF_SG_E_clIS8_S8_S9_S9_EESD_ST_SE_SF_SG_EUlST_E_NS1_11comp_targetILNS1_3genE4ELNS1_11target_archE910ELNS1_3gpuE8ELNS1_3repE0EEENS1_48merge_mergepath_partition_config_static_selectorELNS0_4arch9wavefront6targetE1EEEvSF_.kd
    .uniform_work_group_size: 1
    .uses_dynamic_stack: false
    .vgpr_count:     15
    .vgpr_spill_count: 0
    .wavefront_size: 64
  - .agpr_count:     0
    .args:
      - .offset:         0
        .size:           40
        .value_kind:     by_value
    .group_segment_fixed_size: 0
    .kernarg_segment_align: 8
    .kernarg_segment_size: 40
    .language:       OpenCL C
    .language_version:
      - 2
      - 0
    .max_flat_workgroup_size: 128
    .name:           _ZN7rocprim17ROCPRIM_400000_NS6detail17trampoline_kernelINS0_14default_configENS1_38merge_sort_block_merge_config_selectorItNS0_10empty_typeEEEZZNS1_27merge_sort_block_merge_implIS3_PtPS5_jNS1_19radix_merge_compareILb0ELb1EtNS0_19identity_decomposerEEEEE10hipError_tT0_T1_T2_jT3_P12ihipStream_tbPNSt15iterator_traitsISE_E10value_typeEPNSK_ISF_E10value_typeEPSG_NS1_7vsmem_tEENKUlT_SE_SF_SG_E_clIS8_S8_S9_S9_EESD_ST_SE_SF_SG_EUlST_E_NS1_11comp_targetILNS1_3genE3ELNS1_11target_archE908ELNS1_3gpuE7ELNS1_3repE0EEENS1_48merge_mergepath_partition_config_static_selectorELNS0_4arch9wavefront6targetE1EEEvSF_
    .private_segment_fixed_size: 0
    .sgpr_count:     4
    .sgpr_spill_count: 0
    .symbol:         _ZN7rocprim17ROCPRIM_400000_NS6detail17trampoline_kernelINS0_14default_configENS1_38merge_sort_block_merge_config_selectorItNS0_10empty_typeEEEZZNS1_27merge_sort_block_merge_implIS3_PtPS5_jNS1_19radix_merge_compareILb0ELb1EtNS0_19identity_decomposerEEEEE10hipError_tT0_T1_T2_jT3_P12ihipStream_tbPNSt15iterator_traitsISE_E10value_typeEPNSK_ISF_E10value_typeEPSG_NS1_7vsmem_tEENKUlT_SE_SF_SG_E_clIS8_S8_S9_S9_EESD_ST_SE_SF_SG_EUlST_E_NS1_11comp_targetILNS1_3genE3ELNS1_11target_archE908ELNS1_3gpuE7ELNS1_3repE0EEENS1_48merge_mergepath_partition_config_static_selectorELNS0_4arch9wavefront6targetE1EEEvSF_.kd
    .uniform_work_group_size: 1
    .uses_dynamic_stack: false
    .vgpr_count:     0
    .vgpr_spill_count: 0
    .wavefront_size: 64
  - .agpr_count:     0
    .args:
      - .offset:         0
        .size:           40
        .value_kind:     by_value
    .group_segment_fixed_size: 0
    .kernarg_segment_align: 8
    .kernarg_segment_size: 40
    .language:       OpenCL C
    .language_version:
      - 2
      - 0
    .max_flat_workgroup_size: 128
    .name:           _ZN7rocprim17ROCPRIM_400000_NS6detail17trampoline_kernelINS0_14default_configENS1_38merge_sort_block_merge_config_selectorItNS0_10empty_typeEEEZZNS1_27merge_sort_block_merge_implIS3_PtPS5_jNS1_19radix_merge_compareILb0ELb1EtNS0_19identity_decomposerEEEEE10hipError_tT0_T1_T2_jT3_P12ihipStream_tbPNSt15iterator_traitsISE_E10value_typeEPNSK_ISF_E10value_typeEPSG_NS1_7vsmem_tEENKUlT_SE_SF_SG_E_clIS8_S8_S9_S9_EESD_ST_SE_SF_SG_EUlST_E_NS1_11comp_targetILNS1_3genE2ELNS1_11target_archE906ELNS1_3gpuE6ELNS1_3repE0EEENS1_48merge_mergepath_partition_config_static_selectorELNS0_4arch9wavefront6targetE1EEEvSF_
    .private_segment_fixed_size: 0
    .sgpr_count:     4
    .sgpr_spill_count: 0
    .symbol:         _ZN7rocprim17ROCPRIM_400000_NS6detail17trampoline_kernelINS0_14default_configENS1_38merge_sort_block_merge_config_selectorItNS0_10empty_typeEEEZZNS1_27merge_sort_block_merge_implIS3_PtPS5_jNS1_19radix_merge_compareILb0ELb1EtNS0_19identity_decomposerEEEEE10hipError_tT0_T1_T2_jT3_P12ihipStream_tbPNSt15iterator_traitsISE_E10value_typeEPNSK_ISF_E10value_typeEPSG_NS1_7vsmem_tEENKUlT_SE_SF_SG_E_clIS8_S8_S9_S9_EESD_ST_SE_SF_SG_EUlST_E_NS1_11comp_targetILNS1_3genE2ELNS1_11target_archE906ELNS1_3gpuE6ELNS1_3repE0EEENS1_48merge_mergepath_partition_config_static_selectorELNS0_4arch9wavefront6targetE1EEEvSF_.kd
    .uniform_work_group_size: 1
    .uses_dynamic_stack: false
    .vgpr_count:     0
    .vgpr_spill_count: 0
    .wavefront_size: 64
  - .agpr_count:     0
    .args:
      - .offset:         0
        .size:           40
        .value_kind:     by_value
    .group_segment_fixed_size: 0
    .kernarg_segment_align: 8
    .kernarg_segment_size: 40
    .language:       OpenCL C
    .language_version:
      - 2
      - 0
    .max_flat_workgroup_size: 128
    .name:           _ZN7rocprim17ROCPRIM_400000_NS6detail17trampoline_kernelINS0_14default_configENS1_38merge_sort_block_merge_config_selectorItNS0_10empty_typeEEEZZNS1_27merge_sort_block_merge_implIS3_PtPS5_jNS1_19radix_merge_compareILb0ELb1EtNS0_19identity_decomposerEEEEE10hipError_tT0_T1_T2_jT3_P12ihipStream_tbPNSt15iterator_traitsISE_E10value_typeEPNSK_ISF_E10value_typeEPSG_NS1_7vsmem_tEENKUlT_SE_SF_SG_E_clIS8_S8_S9_S9_EESD_ST_SE_SF_SG_EUlST_E_NS1_11comp_targetILNS1_3genE9ELNS1_11target_archE1100ELNS1_3gpuE3ELNS1_3repE0EEENS1_48merge_mergepath_partition_config_static_selectorELNS0_4arch9wavefront6targetE1EEEvSF_
    .private_segment_fixed_size: 0
    .sgpr_count:     4
    .sgpr_spill_count: 0
    .symbol:         _ZN7rocprim17ROCPRIM_400000_NS6detail17trampoline_kernelINS0_14default_configENS1_38merge_sort_block_merge_config_selectorItNS0_10empty_typeEEEZZNS1_27merge_sort_block_merge_implIS3_PtPS5_jNS1_19radix_merge_compareILb0ELb1EtNS0_19identity_decomposerEEEEE10hipError_tT0_T1_T2_jT3_P12ihipStream_tbPNSt15iterator_traitsISE_E10value_typeEPNSK_ISF_E10value_typeEPSG_NS1_7vsmem_tEENKUlT_SE_SF_SG_E_clIS8_S8_S9_S9_EESD_ST_SE_SF_SG_EUlST_E_NS1_11comp_targetILNS1_3genE9ELNS1_11target_archE1100ELNS1_3gpuE3ELNS1_3repE0EEENS1_48merge_mergepath_partition_config_static_selectorELNS0_4arch9wavefront6targetE1EEEvSF_.kd
    .uniform_work_group_size: 1
    .uses_dynamic_stack: false
    .vgpr_count:     0
    .vgpr_spill_count: 0
    .wavefront_size: 64
  - .agpr_count:     0
    .args:
      - .offset:         0
        .size:           40
        .value_kind:     by_value
    .group_segment_fixed_size: 0
    .kernarg_segment_align: 8
    .kernarg_segment_size: 40
    .language:       OpenCL C
    .language_version:
      - 2
      - 0
    .max_flat_workgroup_size: 128
    .name:           _ZN7rocprim17ROCPRIM_400000_NS6detail17trampoline_kernelINS0_14default_configENS1_38merge_sort_block_merge_config_selectorItNS0_10empty_typeEEEZZNS1_27merge_sort_block_merge_implIS3_PtPS5_jNS1_19radix_merge_compareILb0ELb1EtNS0_19identity_decomposerEEEEE10hipError_tT0_T1_T2_jT3_P12ihipStream_tbPNSt15iterator_traitsISE_E10value_typeEPNSK_ISF_E10value_typeEPSG_NS1_7vsmem_tEENKUlT_SE_SF_SG_E_clIS8_S8_S9_S9_EESD_ST_SE_SF_SG_EUlST_E_NS1_11comp_targetILNS1_3genE8ELNS1_11target_archE1030ELNS1_3gpuE2ELNS1_3repE0EEENS1_48merge_mergepath_partition_config_static_selectorELNS0_4arch9wavefront6targetE1EEEvSF_
    .private_segment_fixed_size: 0
    .sgpr_count:     4
    .sgpr_spill_count: 0
    .symbol:         _ZN7rocprim17ROCPRIM_400000_NS6detail17trampoline_kernelINS0_14default_configENS1_38merge_sort_block_merge_config_selectorItNS0_10empty_typeEEEZZNS1_27merge_sort_block_merge_implIS3_PtPS5_jNS1_19radix_merge_compareILb0ELb1EtNS0_19identity_decomposerEEEEE10hipError_tT0_T1_T2_jT3_P12ihipStream_tbPNSt15iterator_traitsISE_E10value_typeEPNSK_ISF_E10value_typeEPSG_NS1_7vsmem_tEENKUlT_SE_SF_SG_E_clIS8_S8_S9_S9_EESD_ST_SE_SF_SG_EUlST_E_NS1_11comp_targetILNS1_3genE8ELNS1_11target_archE1030ELNS1_3gpuE2ELNS1_3repE0EEENS1_48merge_mergepath_partition_config_static_selectorELNS0_4arch9wavefront6targetE1EEEvSF_.kd
    .uniform_work_group_size: 1
    .uses_dynamic_stack: false
    .vgpr_count:     0
    .vgpr_spill_count: 0
    .wavefront_size: 64
  - .agpr_count:     0
    .args:
      - .offset:         0
        .size:           64
        .value_kind:     by_value
    .group_segment_fixed_size: 0
    .kernarg_segment_align: 8
    .kernarg_segment_size: 64
    .language:       OpenCL C
    .language_version:
      - 2
      - 0
    .max_flat_workgroup_size: 128
    .name:           _ZN7rocprim17ROCPRIM_400000_NS6detail17trampoline_kernelINS0_14default_configENS1_38merge_sort_block_merge_config_selectorItNS0_10empty_typeEEEZZNS1_27merge_sort_block_merge_implIS3_PtPS5_jNS1_19radix_merge_compareILb0ELb1EtNS0_19identity_decomposerEEEEE10hipError_tT0_T1_T2_jT3_P12ihipStream_tbPNSt15iterator_traitsISE_E10value_typeEPNSK_ISF_E10value_typeEPSG_NS1_7vsmem_tEENKUlT_SE_SF_SG_E_clIS8_S8_S9_S9_EESD_ST_SE_SF_SG_EUlST_E0_NS1_11comp_targetILNS1_3genE0ELNS1_11target_archE4294967295ELNS1_3gpuE0ELNS1_3repE0EEENS1_38merge_mergepath_config_static_selectorELNS0_4arch9wavefront6targetE1EEEvSF_
    .private_segment_fixed_size: 0
    .sgpr_count:     4
    .sgpr_spill_count: 0
    .symbol:         _ZN7rocprim17ROCPRIM_400000_NS6detail17trampoline_kernelINS0_14default_configENS1_38merge_sort_block_merge_config_selectorItNS0_10empty_typeEEEZZNS1_27merge_sort_block_merge_implIS3_PtPS5_jNS1_19radix_merge_compareILb0ELb1EtNS0_19identity_decomposerEEEEE10hipError_tT0_T1_T2_jT3_P12ihipStream_tbPNSt15iterator_traitsISE_E10value_typeEPNSK_ISF_E10value_typeEPSG_NS1_7vsmem_tEENKUlT_SE_SF_SG_E_clIS8_S8_S9_S9_EESD_ST_SE_SF_SG_EUlST_E0_NS1_11comp_targetILNS1_3genE0ELNS1_11target_archE4294967295ELNS1_3gpuE0ELNS1_3repE0EEENS1_38merge_mergepath_config_static_selectorELNS0_4arch9wavefront6targetE1EEEvSF_.kd
    .uniform_work_group_size: 1
    .uses_dynamic_stack: false
    .vgpr_count:     0
    .vgpr_spill_count: 0
    .wavefront_size: 64
  - .agpr_count:     0
    .args:
      - .offset:         0
        .size:           64
        .value_kind:     by_value
    .group_segment_fixed_size: 0
    .kernarg_segment_align: 8
    .kernarg_segment_size: 64
    .language:       OpenCL C
    .language_version:
      - 2
      - 0
    .max_flat_workgroup_size: 128
    .name:           _ZN7rocprim17ROCPRIM_400000_NS6detail17trampoline_kernelINS0_14default_configENS1_38merge_sort_block_merge_config_selectorItNS0_10empty_typeEEEZZNS1_27merge_sort_block_merge_implIS3_PtPS5_jNS1_19radix_merge_compareILb0ELb1EtNS0_19identity_decomposerEEEEE10hipError_tT0_T1_T2_jT3_P12ihipStream_tbPNSt15iterator_traitsISE_E10value_typeEPNSK_ISF_E10value_typeEPSG_NS1_7vsmem_tEENKUlT_SE_SF_SG_E_clIS8_S8_S9_S9_EESD_ST_SE_SF_SG_EUlST_E0_NS1_11comp_targetILNS1_3genE10ELNS1_11target_archE1201ELNS1_3gpuE5ELNS1_3repE0EEENS1_38merge_mergepath_config_static_selectorELNS0_4arch9wavefront6targetE1EEEvSF_
    .private_segment_fixed_size: 0
    .sgpr_count:     4
    .sgpr_spill_count: 0
    .symbol:         _ZN7rocprim17ROCPRIM_400000_NS6detail17trampoline_kernelINS0_14default_configENS1_38merge_sort_block_merge_config_selectorItNS0_10empty_typeEEEZZNS1_27merge_sort_block_merge_implIS3_PtPS5_jNS1_19radix_merge_compareILb0ELb1EtNS0_19identity_decomposerEEEEE10hipError_tT0_T1_T2_jT3_P12ihipStream_tbPNSt15iterator_traitsISE_E10value_typeEPNSK_ISF_E10value_typeEPSG_NS1_7vsmem_tEENKUlT_SE_SF_SG_E_clIS8_S8_S9_S9_EESD_ST_SE_SF_SG_EUlST_E0_NS1_11comp_targetILNS1_3genE10ELNS1_11target_archE1201ELNS1_3gpuE5ELNS1_3repE0EEENS1_38merge_mergepath_config_static_selectorELNS0_4arch9wavefront6targetE1EEEvSF_.kd
    .uniform_work_group_size: 1
    .uses_dynamic_stack: false
    .vgpr_count:     0
    .vgpr_spill_count: 0
    .wavefront_size: 64
  - .agpr_count:     0
    .args:
      - .offset:         0
        .size:           64
        .value_kind:     by_value
    .group_segment_fixed_size: 0
    .kernarg_segment_align: 8
    .kernarg_segment_size: 64
    .language:       OpenCL C
    .language_version:
      - 2
      - 0
    .max_flat_workgroup_size: 128
    .name:           _ZN7rocprim17ROCPRIM_400000_NS6detail17trampoline_kernelINS0_14default_configENS1_38merge_sort_block_merge_config_selectorItNS0_10empty_typeEEEZZNS1_27merge_sort_block_merge_implIS3_PtPS5_jNS1_19radix_merge_compareILb0ELb1EtNS0_19identity_decomposerEEEEE10hipError_tT0_T1_T2_jT3_P12ihipStream_tbPNSt15iterator_traitsISE_E10value_typeEPNSK_ISF_E10value_typeEPSG_NS1_7vsmem_tEENKUlT_SE_SF_SG_E_clIS8_S8_S9_S9_EESD_ST_SE_SF_SG_EUlST_E0_NS1_11comp_targetILNS1_3genE5ELNS1_11target_archE942ELNS1_3gpuE9ELNS1_3repE0EEENS1_38merge_mergepath_config_static_selectorELNS0_4arch9wavefront6targetE1EEEvSF_
    .private_segment_fixed_size: 0
    .sgpr_count:     4
    .sgpr_spill_count: 0
    .symbol:         _ZN7rocprim17ROCPRIM_400000_NS6detail17trampoline_kernelINS0_14default_configENS1_38merge_sort_block_merge_config_selectorItNS0_10empty_typeEEEZZNS1_27merge_sort_block_merge_implIS3_PtPS5_jNS1_19radix_merge_compareILb0ELb1EtNS0_19identity_decomposerEEEEE10hipError_tT0_T1_T2_jT3_P12ihipStream_tbPNSt15iterator_traitsISE_E10value_typeEPNSK_ISF_E10value_typeEPSG_NS1_7vsmem_tEENKUlT_SE_SF_SG_E_clIS8_S8_S9_S9_EESD_ST_SE_SF_SG_EUlST_E0_NS1_11comp_targetILNS1_3genE5ELNS1_11target_archE942ELNS1_3gpuE9ELNS1_3repE0EEENS1_38merge_mergepath_config_static_selectorELNS0_4arch9wavefront6targetE1EEEvSF_.kd
    .uniform_work_group_size: 1
    .uses_dynamic_stack: false
    .vgpr_count:     0
    .vgpr_spill_count: 0
    .wavefront_size: 64
  - .agpr_count:     0
    .args:
      - .offset:         0
        .size:           64
        .value_kind:     by_value
      - .offset:         64
        .size:           4
        .value_kind:     hidden_block_count_x
      - .offset:         68
        .size:           4
        .value_kind:     hidden_block_count_y
      - .offset:         72
        .size:           4
        .value_kind:     hidden_block_count_z
      - .offset:         76
        .size:           2
        .value_kind:     hidden_group_size_x
      - .offset:         78
        .size:           2
        .value_kind:     hidden_group_size_y
      - .offset:         80
        .size:           2
        .value_kind:     hidden_group_size_z
      - .offset:         82
        .size:           2
        .value_kind:     hidden_remainder_x
      - .offset:         84
        .size:           2
        .value_kind:     hidden_remainder_y
      - .offset:         86
        .size:           2
        .value_kind:     hidden_remainder_z
      - .offset:         104
        .size:           8
        .value_kind:     hidden_global_offset_x
      - .offset:         112
        .size:           8
        .value_kind:     hidden_global_offset_y
      - .offset:         120
        .size:           8
        .value_kind:     hidden_global_offset_z
      - .offset:         128
        .size:           2
        .value_kind:     hidden_grid_dims
    .group_segment_fixed_size: 2112
    .kernarg_segment_align: 8
    .kernarg_segment_size: 320
    .language:       OpenCL C
    .language_version:
      - 2
      - 0
    .max_flat_workgroup_size: 128
    .name:           _ZN7rocprim17ROCPRIM_400000_NS6detail17trampoline_kernelINS0_14default_configENS1_38merge_sort_block_merge_config_selectorItNS0_10empty_typeEEEZZNS1_27merge_sort_block_merge_implIS3_PtPS5_jNS1_19radix_merge_compareILb0ELb1EtNS0_19identity_decomposerEEEEE10hipError_tT0_T1_T2_jT3_P12ihipStream_tbPNSt15iterator_traitsISE_E10value_typeEPNSK_ISF_E10value_typeEPSG_NS1_7vsmem_tEENKUlT_SE_SF_SG_E_clIS8_S8_S9_S9_EESD_ST_SE_SF_SG_EUlST_E0_NS1_11comp_targetILNS1_3genE4ELNS1_11target_archE910ELNS1_3gpuE8ELNS1_3repE0EEENS1_38merge_mergepath_config_static_selectorELNS0_4arch9wavefront6targetE1EEEvSF_
    .private_segment_fixed_size: 0
    .sgpr_count:     29
    .sgpr_spill_count: 0
    .symbol:         _ZN7rocprim17ROCPRIM_400000_NS6detail17trampoline_kernelINS0_14default_configENS1_38merge_sort_block_merge_config_selectorItNS0_10empty_typeEEEZZNS1_27merge_sort_block_merge_implIS3_PtPS5_jNS1_19radix_merge_compareILb0ELb1EtNS0_19identity_decomposerEEEEE10hipError_tT0_T1_T2_jT3_P12ihipStream_tbPNSt15iterator_traitsISE_E10value_typeEPNSK_ISF_E10value_typeEPSG_NS1_7vsmem_tEENKUlT_SE_SF_SG_E_clIS8_S8_S9_S9_EESD_ST_SE_SF_SG_EUlST_E0_NS1_11comp_targetILNS1_3genE4ELNS1_11target_archE910ELNS1_3gpuE8ELNS1_3repE0EEENS1_38merge_mergepath_config_static_selectorELNS0_4arch9wavefront6targetE1EEEvSF_.kd
    .uniform_work_group_size: 1
    .uses_dynamic_stack: false
    .vgpr_count:     26
    .vgpr_spill_count: 0
    .wavefront_size: 64
  - .agpr_count:     0
    .args:
      - .offset:         0
        .size:           64
        .value_kind:     by_value
    .group_segment_fixed_size: 0
    .kernarg_segment_align: 8
    .kernarg_segment_size: 64
    .language:       OpenCL C
    .language_version:
      - 2
      - 0
    .max_flat_workgroup_size: 128
    .name:           _ZN7rocprim17ROCPRIM_400000_NS6detail17trampoline_kernelINS0_14default_configENS1_38merge_sort_block_merge_config_selectorItNS0_10empty_typeEEEZZNS1_27merge_sort_block_merge_implIS3_PtPS5_jNS1_19radix_merge_compareILb0ELb1EtNS0_19identity_decomposerEEEEE10hipError_tT0_T1_T2_jT3_P12ihipStream_tbPNSt15iterator_traitsISE_E10value_typeEPNSK_ISF_E10value_typeEPSG_NS1_7vsmem_tEENKUlT_SE_SF_SG_E_clIS8_S8_S9_S9_EESD_ST_SE_SF_SG_EUlST_E0_NS1_11comp_targetILNS1_3genE3ELNS1_11target_archE908ELNS1_3gpuE7ELNS1_3repE0EEENS1_38merge_mergepath_config_static_selectorELNS0_4arch9wavefront6targetE1EEEvSF_
    .private_segment_fixed_size: 0
    .sgpr_count:     4
    .sgpr_spill_count: 0
    .symbol:         _ZN7rocprim17ROCPRIM_400000_NS6detail17trampoline_kernelINS0_14default_configENS1_38merge_sort_block_merge_config_selectorItNS0_10empty_typeEEEZZNS1_27merge_sort_block_merge_implIS3_PtPS5_jNS1_19radix_merge_compareILb0ELb1EtNS0_19identity_decomposerEEEEE10hipError_tT0_T1_T2_jT3_P12ihipStream_tbPNSt15iterator_traitsISE_E10value_typeEPNSK_ISF_E10value_typeEPSG_NS1_7vsmem_tEENKUlT_SE_SF_SG_E_clIS8_S8_S9_S9_EESD_ST_SE_SF_SG_EUlST_E0_NS1_11comp_targetILNS1_3genE3ELNS1_11target_archE908ELNS1_3gpuE7ELNS1_3repE0EEENS1_38merge_mergepath_config_static_selectorELNS0_4arch9wavefront6targetE1EEEvSF_.kd
    .uniform_work_group_size: 1
    .uses_dynamic_stack: false
    .vgpr_count:     0
    .vgpr_spill_count: 0
    .wavefront_size: 64
  - .agpr_count:     0
    .args:
      - .offset:         0
        .size:           64
        .value_kind:     by_value
    .group_segment_fixed_size: 0
    .kernarg_segment_align: 8
    .kernarg_segment_size: 64
    .language:       OpenCL C
    .language_version:
      - 2
      - 0
    .max_flat_workgroup_size: 128
    .name:           _ZN7rocprim17ROCPRIM_400000_NS6detail17trampoline_kernelINS0_14default_configENS1_38merge_sort_block_merge_config_selectorItNS0_10empty_typeEEEZZNS1_27merge_sort_block_merge_implIS3_PtPS5_jNS1_19radix_merge_compareILb0ELb1EtNS0_19identity_decomposerEEEEE10hipError_tT0_T1_T2_jT3_P12ihipStream_tbPNSt15iterator_traitsISE_E10value_typeEPNSK_ISF_E10value_typeEPSG_NS1_7vsmem_tEENKUlT_SE_SF_SG_E_clIS8_S8_S9_S9_EESD_ST_SE_SF_SG_EUlST_E0_NS1_11comp_targetILNS1_3genE2ELNS1_11target_archE906ELNS1_3gpuE6ELNS1_3repE0EEENS1_38merge_mergepath_config_static_selectorELNS0_4arch9wavefront6targetE1EEEvSF_
    .private_segment_fixed_size: 0
    .sgpr_count:     4
    .sgpr_spill_count: 0
    .symbol:         _ZN7rocprim17ROCPRIM_400000_NS6detail17trampoline_kernelINS0_14default_configENS1_38merge_sort_block_merge_config_selectorItNS0_10empty_typeEEEZZNS1_27merge_sort_block_merge_implIS3_PtPS5_jNS1_19radix_merge_compareILb0ELb1EtNS0_19identity_decomposerEEEEE10hipError_tT0_T1_T2_jT3_P12ihipStream_tbPNSt15iterator_traitsISE_E10value_typeEPNSK_ISF_E10value_typeEPSG_NS1_7vsmem_tEENKUlT_SE_SF_SG_E_clIS8_S8_S9_S9_EESD_ST_SE_SF_SG_EUlST_E0_NS1_11comp_targetILNS1_3genE2ELNS1_11target_archE906ELNS1_3gpuE6ELNS1_3repE0EEENS1_38merge_mergepath_config_static_selectorELNS0_4arch9wavefront6targetE1EEEvSF_.kd
    .uniform_work_group_size: 1
    .uses_dynamic_stack: false
    .vgpr_count:     0
    .vgpr_spill_count: 0
    .wavefront_size: 64
  - .agpr_count:     0
    .args:
      - .offset:         0
        .size:           64
        .value_kind:     by_value
    .group_segment_fixed_size: 0
    .kernarg_segment_align: 8
    .kernarg_segment_size: 64
    .language:       OpenCL C
    .language_version:
      - 2
      - 0
    .max_flat_workgroup_size: 128
    .name:           _ZN7rocprim17ROCPRIM_400000_NS6detail17trampoline_kernelINS0_14default_configENS1_38merge_sort_block_merge_config_selectorItNS0_10empty_typeEEEZZNS1_27merge_sort_block_merge_implIS3_PtPS5_jNS1_19radix_merge_compareILb0ELb1EtNS0_19identity_decomposerEEEEE10hipError_tT0_T1_T2_jT3_P12ihipStream_tbPNSt15iterator_traitsISE_E10value_typeEPNSK_ISF_E10value_typeEPSG_NS1_7vsmem_tEENKUlT_SE_SF_SG_E_clIS8_S8_S9_S9_EESD_ST_SE_SF_SG_EUlST_E0_NS1_11comp_targetILNS1_3genE9ELNS1_11target_archE1100ELNS1_3gpuE3ELNS1_3repE0EEENS1_38merge_mergepath_config_static_selectorELNS0_4arch9wavefront6targetE1EEEvSF_
    .private_segment_fixed_size: 0
    .sgpr_count:     4
    .sgpr_spill_count: 0
    .symbol:         _ZN7rocprim17ROCPRIM_400000_NS6detail17trampoline_kernelINS0_14default_configENS1_38merge_sort_block_merge_config_selectorItNS0_10empty_typeEEEZZNS1_27merge_sort_block_merge_implIS3_PtPS5_jNS1_19radix_merge_compareILb0ELb1EtNS0_19identity_decomposerEEEEE10hipError_tT0_T1_T2_jT3_P12ihipStream_tbPNSt15iterator_traitsISE_E10value_typeEPNSK_ISF_E10value_typeEPSG_NS1_7vsmem_tEENKUlT_SE_SF_SG_E_clIS8_S8_S9_S9_EESD_ST_SE_SF_SG_EUlST_E0_NS1_11comp_targetILNS1_3genE9ELNS1_11target_archE1100ELNS1_3gpuE3ELNS1_3repE0EEENS1_38merge_mergepath_config_static_selectorELNS0_4arch9wavefront6targetE1EEEvSF_.kd
    .uniform_work_group_size: 1
    .uses_dynamic_stack: false
    .vgpr_count:     0
    .vgpr_spill_count: 0
    .wavefront_size: 64
  - .agpr_count:     0
    .args:
      - .offset:         0
        .size:           64
        .value_kind:     by_value
    .group_segment_fixed_size: 0
    .kernarg_segment_align: 8
    .kernarg_segment_size: 64
    .language:       OpenCL C
    .language_version:
      - 2
      - 0
    .max_flat_workgroup_size: 128
    .name:           _ZN7rocprim17ROCPRIM_400000_NS6detail17trampoline_kernelINS0_14default_configENS1_38merge_sort_block_merge_config_selectorItNS0_10empty_typeEEEZZNS1_27merge_sort_block_merge_implIS3_PtPS5_jNS1_19radix_merge_compareILb0ELb1EtNS0_19identity_decomposerEEEEE10hipError_tT0_T1_T2_jT3_P12ihipStream_tbPNSt15iterator_traitsISE_E10value_typeEPNSK_ISF_E10value_typeEPSG_NS1_7vsmem_tEENKUlT_SE_SF_SG_E_clIS8_S8_S9_S9_EESD_ST_SE_SF_SG_EUlST_E0_NS1_11comp_targetILNS1_3genE8ELNS1_11target_archE1030ELNS1_3gpuE2ELNS1_3repE0EEENS1_38merge_mergepath_config_static_selectorELNS0_4arch9wavefront6targetE1EEEvSF_
    .private_segment_fixed_size: 0
    .sgpr_count:     4
    .sgpr_spill_count: 0
    .symbol:         _ZN7rocprim17ROCPRIM_400000_NS6detail17trampoline_kernelINS0_14default_configENS1_38merge_sort_block_merge_config_selectorItNS0_10empty_typeEEEZZNS1_27merge_sort_block_merge_implIS3_PtPS5_jNS1_19radix_merge_compareILb0ELb1EtNS0_19identity_decomposerEEEEE10hipError_tT0_T1_T2_jT3_P12ihipStream_tbPNSt15iterator_traitsISE_E10value_typeEPNSK_ISF_E10value_typeEPSG_NS1_7vsmem_tEENKUlT_SE_SF_SG_E_clIS8_S8_S9_S9_EESD_ST_SE_SF_SG_EUlST_E0_NS1_11comp_targetILNS1_3genE8ELNS1_11target_archE1030ELNS1_3gpuE2ELNS1_3repE0EEENS1_38merge_mergepath_config_static_selectorELNS0_4arch9wavefront6targetE1EEEvSF_.kd
    .uniform_work_group_size: 1
    .uses_dynamic_stack: false
    .vgpr_count:     0
    .vgpr_spill_count: 0
    .wavefront_size: 64
  - .agpr_count:     0
    .args:
      - .offset:         0
        .size:           48
        .value_kind:     by_value
    .group_segment_fixed_size: 0
    .kernarg_segment_align: 8
    .kernarg_segment_size: 48
    .language:       OpenCL C
    .language_version:
      - 2
      - 0
    .max_flat_workgroup_size: 256
    .name:           _ZN7rocprim17ROCPRIM_400000_NS6detail17trampoline_kernelINS0_14default_configENS1_38merge_sort_block_merge_config_selectorItNS0_10empty_typeEEEZZNS1_27merge_sort_block_merge_implIS3_PtPS5_jNS1_19radix_merge_compareILb0ELb1EtNS0_19identity_decomposerEEEEE10hipError_tT0_T1_T2_jT3_P12ihipStream_tbPNSt15iterator_traitsISE_E10value_typeEPNSK_ISF_E10value_typeEPSG_NS1_7vsmem_tEENKUlT_SE_SF_SG_E_clIS8_S8_S9_S9_EESD_ST_SE_SF_SG_EUlST_E1_NS1_11comp_targetILNS1_3genE0ELNS1_11target_archE4294967295ELNS1_3gpuE0ELNS1_3repE0EEENS1_36merge_oddeven_config_static_selectorELNS0_4arch9wavefront6targetE1EEEvSF_
    .private_segment_fixed_size: 0
    .sgpr_count:     4
    .sgpr_spill_count: 0
    .symbol:         _ZN7rocprim17ROCPRIM_400000_NS6detail17trampoline_kernelINS0_14default_configENS1_38merge_sort_block_merge_config_selectorItNS0_10empty_typeEEEZZNS1_27merge_sort_block_merge_implIS3_PtPS5_jNS1_19radix_merge_compareILb0ELb1EtNS0_19identity_decomposerEEEEE10hipError_tT0_T1_T2_jT3_P12ihipStream_tbPNSt15iterator_traitsISE_E10value_typeEPNSK_ISF_E10value_typeEPSG_NS1_7vsmem_tEENKUlT_SE_SF_SG_E_clIS8_S8_S9_S9_EESD_ST_SE_SF_SG_EUlST_E1_NS1_11comp_targetILNS1_3genE0ELNS1_11target_archE4294967295ELNS1_3gpuE0ELNS1_3repE0EEENS1_36merge_oddeven_config_static_selectorELNS0_4arch9wavefront6targetE1EEEvSF_.kd
    .uniform_work_group_size: 1
    .uses_dynamic_stack: false
    .vgpr_count:     0
    .vgpr_spill_count: 0
    .wavefront_size: 64
  - .agpr_count:     0
    .args:
      - .offset:         0
        .size:           48
        .value_kind:     by_value
    .group_segment_fixed_size: 0
    .kernarg_segment_align: 8
    .kernarg_segment_size: 48
    .language:       OpenCL C
    .language_version:
      - 2
      - 0
    .max_flat_workgroup_size: 256
    .name:           _ZN7rocprim17ROCPRIM_400000_NS6detail17trampoline_kernelINS0_14default_configENS1_38merge_sort_block_merge_config_selectorItNS0_10empty_typeEEEZZNS1_27merge_sort_block_merge_implIS3_PtPS5_jNS1_19radix_merge_compareILb0ELb1EtNS0_19identity_decomposerEEEEE10hipError_tT0_T1_T2_jT3_P12ihipStream_tbPNSt15iterator_traitsISE_E10value_typeEPNSK_ISF_E10value_typeEPSG_NS1_7vsmem_tEENKUlT_SE_SF_SG_E_clIS8_S8_S9_S9_EESD_ST_SE_SF_SG_EUlST_E1_NS1_11comp_targetILNS1_3genE10ELNS1_11target_archE1201ELNS1_3gpuE5ELNS1_3repE0EEENS1_36merge_oddeven_config_static_selectorELNS0_4arch9wavefront6targetE1EEEvSF_
    .private_segment_fixed_size: 0
    .sgpr_count:     4
    .sgpr_spill_count: 0
    .symbol:         _ZN7rocprim17ROCPRIM_400000_NS6detail17trampoline_kernelINS0_14default_configENS1_38merge_sort_block_merge_config_selectorItNS0_10empty_typeEEEZZNS1_27merge_sort_block_merge_implIS3_PtPS5_jNS1_19radix_merge_compareILb0ELb1EtNS0_19identity_decomposerEEEEE10hipError_tT0_T1_T2_jT3_P12ihipStream_tbPNSt15iterator_traitsISE_E10value_typeEPNSK_ISF_E10value_typeEPSG_NS1_7vsmem_tEENKUlT_SE_SF_SG_E_clIS8_S8_S9_S9_EESD_ST_SE_SF_SG_EUlST_E1_NS1_11comp_targetILNS1_3genE10ELNS1_11target_archE1201ELNS1_3gpuE5ELNS1_3repE0EEENS1_36merge_oddeven_config_static_selectorELNS0_4arch9wavefront6targetE1EEEvSF_.kd
    .uniform_work_group_size: 1
    .uses_dynamic_stack: false
    .vgpr_count:     0
    .vgpr_spill_count: 0
    .wavefront_size: 64
  - .agpr_count:     0
    .args:
      - .offset:         0
        .size:           48
        .value_kind:     by_value
    .group_segment_fixed_size: 0
    .kernarg_segment_align: 8
    .kernarg_segment_size: 48
    .language:       OpenCL C
    .language_version:
      - 2
      - 0
    .max_flat_workgroup_size: 256
    .name:           _ZN7rocprim17ROCPRIM_400000_NS6detail17trampoline_kernelINS0_14default_configENS1_38merge_sort_block_merge_config_selectorItNS0_10empty_typeEEEZZNS1_27merge_sort_block_merge_implIS3_PtPS5_jNS1_19radix_merge_compareILb0ELb1EtNS0_19identity_decomposerEEEEE10hipError_tT0_T1_T2_jT3_P12ihipStream_tbPNSt15iterator_traitsISE_E10value_typeEPNSK_ISF_E10value_typeEPSG_NS1_7vsmem_tEENKUlT_SE_SF_SG_E_clIS8_S8_S9_S9_EESD_ST_SE_SF_SG_EUlST_E1_NS1_11comp_targetILNS1_3genE5ELNS1_11target_archE942ELNS1_3gpuE9ELNS1_3repE0EEENS1_36merge_oddeven_config_static_selectorELNS0_4arch9wavefront6targetE1EEEvSF_
    .private_segment_fixed_size: 0
    .sgpr_count:     4
    .sgpr_spill_count: 0
    .symbol:         _ZN7rocprim17ROCPRIM_400000_NS6detail17trampoline_kernelINS0_14default_configENS1_38merge_sort_block_merge_config_selectorItNS0_10empty_typeEEEZZNS1_27merge_sort_block_merge_implIS3_PtPS5_jNS1_19radix_merge_compareILb0ELb1EtNS0_19identity_decomposerEEEEE10hipError_tT0_T1_T2_jT3_P12ihipStream_tbPNSt15iterator_traitsISE_E10value_typeEPNSK_ISF_E10value_typeEPSG_NS1_7vsmem_tEENKUlT_SE_SF_SG_E_clIS8_S8_S9_S9_EESD_ST_SE_SF_SG_EUlST_E1_NS1_11comp_targetILNS1_3genE5ELNS1_11target_archE942ELNS1_3gpuE9ELNS1_3repE0EEENS1_36merge_oddeven_config_static_selectorELNS0_4arch9wavefront6targetE1EEEvSF_.kd
    .uniform_work_group_size: 1
    .uses_dynamic_stack: false
    .vgpr_count:     0
    .vgpr_spill_count: 0
    .wavefront_size: 64
  - .agpr_count:     0
    .args:
      - .offset:         0
        .size:           48
        .value_kind:     by_value
    .group_segment_fixed_size: 0
    .kernarg_segment_align: 8
    .kernarg_segment_size: 48
    .language:       OpenCL C
    .language_version:
      - 2
      - 0
    .max_flat_workgroup_size: 256
    .name:           _ZN7rocprim17ROCPRIM_400000_NS6detail17trampoline_kernelINS0_14default_configENS1_38merge_sort_block_merge_config_selectorItNS0_10empty_typeEEEZZNS1_27merge_sort_block_merge_implIS3_PtPS5_jNS1_19radix_merge_compareILb0ELb1EtNS0_19identity_decomposerEEEEE10hipError_tT0_T1_T2_jT3_P12ihipStream_tbPNSt15iterator_traitsISE_E10value_typeEPNSK_ISF_E10value_typeEPSG_NS1_7vsmem_tEENKUlT_SE_SF_SG_E_clIS8_S8_S9_S9_EESD_ST_SE_SF_SG_EUlST_E1_NS1_11comp_targetILNS1_3genE4ELNS1_11target_archE910ELNS1_3gpuE8ELNS1_3repE0EEENS1_36merge_oddeven_config_static_selectorELNS0_4arch9wavefront6targetE1EEEvSF_
    .private_segment_fixed_size: 0
    .sgpr_count:     25
    .sgpr_spill_count: 0
    .symbol:         _ZN7rocprim17ROCPRIM_400000_NS6detail17trampoline_kernelINS0_14default_configENS1_38merge_sort_block_merge_config_selectorItNS0_10empty_typeEEEZZNS1_27merge_sort_block_merge_implIS3_PtPS5_jNS1_19radix_merge_compareILb0ELb1EtNS0_19identity_decomposerEEEEE10hipError_tT0_T1_T2_jT3_P12ihipStream_tbPNSt15iterator_traitsISE_E10value_typeEPNSK_ISF_E10value_typeEPSG_NS1_7vsmem_tEENKUlT_SE_SF_SG_E_clIS8_S8_S9_S9_EESD_ST_SE_SF_SG_EUlST_E1_NS1_11comp_targetILNS1_3genE4ELNS1_11target_archE910ELNS1_3gpuE8ELNS1_3repE0EEENS1_36merge_oddeven_config_static_selectorELNS0_4arch9wavefront6targetE1EEEvSF_.kd
    .uniform_work_group_size: 1
    .uses_dynamic_stack: false
    .vgpr_count:     9
    .vgpr_spill_count: 0
    .wavefront_size: 64
  - .agpr_count:     0
    .args:
      - .offset:         0
        .size:           48
        .value_kind:     by_value
    .group_segment_fixed_size: 0
    .kernarg_segment_align: 8
    .kernarg_segment_size: 48
    .language:       OpenCL C
    .language_version:
      - 2
      - 0
    .max_flat_workgroup_size: 256
    .name:           _ZN7rocprim17ROCPRIM_400000_NS6detail17trampoline_kernelINS0_14default_configENS1_38merge_sort_block_merge_config_selectorItNS0_10empty_typeEEEZZNS1_27merge_sort_block_merge_implIS3_PtPS5_jNS1_19radix_merge_compareILb0ELb1EtNS0_19identity_decomposerEEEEE10hipError_tT0_T1_T2_jT3_P12ihipStream_tbPNSt15iterator_traitsISE_E10value_typeEPNSK_ISF_E10value_typeEPSG_NS1_7vsmem_tEENKUlT_SE_SF_SG_E_clIS8_S8_S9_S9_EESD_ST_SE_SF_SG_EUlST_E1_NS1_11comp_targetILNS1_3genE3ELNS1_11target_archE908ELNS1_3gpuE7ELNS1_3repE0EEENS1_36merge_oddeven_config_static_selectorELNS0_4arch9wavefront6targetE1EEEvSF_
    .private_segment_fixed_size: 0
    .sgpr_count:     4
    .sgpr_spill_count: 0
    .symbol:         _ZN7rocprim17ROCPRIM_400000_NS6detail17trampoline_kernelINS0_14default_configENS1_38merge_sort_block_merge_config_selectorItNS0_10empty_typeEEEZZNS1_27merge_sort_block_merge_implIS3_PtPS5_jNS1_19radix_merge_compareILb0ELb1EtNS0_19identity_decomposerEEEEE10hipError_tT0_T1_T2_jT3_P12ihipStream_tbPNSt15iterator_traitsISE_E10value_typeEPNSK_ISF_E10value_typeEPSG_NS1_7vsmem_tEENKUlT_SE_SF_SG_E_clIS8_S8_S9_S9_EESD_ST_SE_SF_SG_EUlST_E1_NS1_11comp_targetILNS1_3genE3ELNS1_11target_archE908ELNS1_3gpuE7ELNS1_3repE0EEENS1_36merge_oddeven_config_static_selectorELNS0_4arch9wavefront6targetE1EEEvSF_.kd
    .uniform_work_group_size: 1
    .uses_dynamic_stack: false
    .vgpr_count:     0
    .vgpr_spill_count: 0
    .wavefront_size: 64
  - .agpr_count:     0
    .args:
      - .offset:         0
        .size:           48
        .value_kind:     by_value
    .group_segment_fixed_size: 0
    .kernarg_segment_align: 8
    .kernarg_segment_size: 48
    .language:       OpenCL C
    .language_version:
      - 2
      - 0
    .max_flat_workgroup_size: 256
    .name:           _ZN7rocprim17ROCPRIM_400000_NS6detail17trampoline_kernelINS0_14default_configENS1_38merge_sort_block_merge_config_selectorItNS0_10empty_typeEEEZZNS1_27merge_sort_block_merge_implIS3_PtPS5_jNS1_19radix_merge_compareILb0ELb1EtNS0_19identity_decomposerEEEEE10hipError_tT0_T1_T2_jT3_P12ihipStream_tbPNSt15iterator_traitsISE_E10value_typeEPNSK_ISF_E10value_typeEPSG_NS1_7vsmem_tEENKUlT_SE_SF_SG_E_clIS8_S8_S9_S9_EESD_ST_SE_SF_SG_EUlST_E1_NS1_11comp_targetILNS1_3genE2ELNS1_11target_archE906ELNS1_3gpuE6ELNS1_3repE0EEENS1_36merge_oddeven_config_static_selectorELNS0_4arch9wavefront6targetE1EEEvSF_
    .private_segment_fixed_size: 0
    .sgpr_count:     4
    .sgpr_spill_count: 0
    .symbol:         _ZN7rocprim17ROCPRIM_400000_NS6detail17trampoline_kernelINS0_14default_configENS1_38merge_sort_block_merge_config_selectorItNS0_10empty_typeEEEZZNS1_27merge_sort_block_merge_implIS3_PtPS5_jNS1_19radix_merge_compareILb0ELb1EtNS0_19identity_decomposerEEEEE10hipError_tT0_T1_T2_jT3_P12ihipStream_tbPNSt15iterator_traitsISE_E10value_typeEPNSK_ISF_E10value_typeEPSG_NS1_7vsmem_tEENKUlT_SE_SF_SG_E_clIS8_S8_S9_S9_EESD_ST_SE_SF_SG_EUlST_E1_NS1_11comp_targetILNS1_3genE2ELNS1_11target_archE906ELNS1_3gpuE6ELNS1_3repE0EEENS1_36merge_oddeven_config_static_selectorELNS0_4arch9wavefront6targetE1EEEvSF_.kd
    .uniform_work_group_size: 1
    .uses_dynamic_stack: false
    .vgpr_count:     0
    .vgpr_spill_count: 0
    .wavefront_size: 64
  - .agpr_count:     0
    .args:
      - .offset:         0
        .size:           48
        .value_kind:     by_value
    .group_segment_fixed_size: 0
    .kernarg_segment_align: 8
    .kernarg_segment_size: 48
    .language:       OpenCL C
    .language_version:
      - 2
      - 0
    .max_flat_workgroup_size: 256
    .name:           _ZN7rocprim17ROCPRIM_400000_NS6detail17trampoline_kernelINS0_14default_configENS1_38merge_sort_block_merge_config_selectorItNS0_10empty_typeEEEZZNS1_27merge_sort_block_merge_implIS3_PtPS5_jNS1_19radix_merge_compareILb0ELb1EtNS0_19identity_decomposerEEEEE10hipError_tT0_T1_T2_jT3_P12ihipStream_tbPNSt15iterator_traitsISE_E10value_typeEPNSK_ISF_E10value_typeEPSG_NS1_7vsmem_tEENKUlT_SE_SF_SG_E_clIS8_S8_S9_S9_EESD_ST_SE_SF_SG_EUlST_E1_NS1_11comp_targetILNS1_3genE9ELNS1_11target_archE1100ELNS1_3gpuE3ELNS1_3repE0EEENS1_36merge_oddeven_config_static_selectorELNS0_4arch9wavefront6targetE1EEEvSF_
    .private_segment_fixed_size: 0
    .sgpr_count:     4
    .sgpr_spill_count: 0
    .symbol:         _ZN7rocprim17ROCPRIM_400000_NS6detail17trampoline_kernelINS0_14default_configENS1_38merge_sort_block_merge_config_selectorItNS0_10empty_typeEEEZZNS1_27merge_sort_block_merge_implIS3_PtPS5_jNS1_19radix_merge_compareILb0ELb1EtNS0_19identity_decomposerEEEEE10hipError_tT0_T1_T2_jT3_P12ihipStream_tbPNSt15iterator_traitsISE_E10value_typeEPNSK_ISF_E10value_typeEPSG_NS1_7vsmem_tEENKUlT_SE_SF_SG_E_clIS8_S8_S9_S9_EESD_ST_SE_SF_SG_EUlST_E1_NS1_11comp_targetILNS1_3genE9ELNS1_11target_archE1100ELNS1_3gpuE3ELNS1_3repE0EEENS1_36merge_oddeven_config_static_selectorELNS0_4arch9wavefront6targetE1EEEvSF_.kd
    .uniform_work_group_size: 1
    .uses_dynamic_stack: false
    .vgpr_count:     0
    .vgpr_spill_count: 0
    .wavefront_size: 64
  - .agpr_count:     0
    .args:
      - .offset:         0
        .size:           48
        .value_kind:     by_value
    .group_segment_fixed_size: 0
    .kernarg_segment_align: 8
    .kernarg_segment_size: 48
    .language:       OpenCL C
    .language_version:
      - 2
      - 0
    .max_flat_workgroup_size: 256
    .name:           _ZN7rocprim17ROCPRIM_400000_NS6detail17trampoline_kernelINS0_14default_configENS1_38merge_sort_block_merge_config_selectorItNS0_10empty_typeEEEZZNS1_27merge_sort_block_merge_implIS3_PtPS5_jNS1_19radix_merge_compareILb0ELb1EtNS0_19identity_decomposerEEEEE10hipError_tT0_T1_T2_jT3_P12ihipStream_tbPNSt15iterator_traitsISE_E10value_typeEPNSK_ISF_E10value_typeEPSG_NS1_7vsmem_tEENKUlT_SE_SF_SG_E_clIS8_S8_S9_S9_EESD_ST_SE_SF_SG_EUlST_E1_NS1_11comp_targetILNS1_3genE8ELNS1_11target_archE1030ELNS1_3gpuE2ELNS1_3repE0EEENS1_36merge_oddeven_config_static_selectorELNS0_4arch9wavefront6targetE1EEEvSF_
    .private_segment_fixed_size: 0
    .sgpr_count:     4
    .sgpr_spill_count: 0
    .symbol:         _ZN7rocprim17ROCPRIM_400000_NS6detail17trampoline_kernelINS0_14default_configENS1_38merge_sort_block_merge_config_selectorItNS0_10empty_typeEEEZZNS1_27merge_sort_block_merge_implIS3_PtPS5_jNS1_19radix_merge_compareILb0ELb1EtNS0_19identity_decomposerEEEEE10hipError_tT0_T1_T2_jT3_P12ihipStream_tbPNSt15iterator_traitsISE_E10value_typeEPNSK_ISF_E10value_typeEPSG_NS1_7vsmem_tEENKUlT_SE_SF_SG_E_clIS8_S8_S9_S9_EESD_ST_SE_SF_SG_EUlST_E1_NS1_11comp_targetILNS1_3genE8ELNS1_11target_archE1030ELNS1_3gpuE2ELNS1_3repE0EEENS1_36merge_oddeven_config_static_selectorELNS0_4arch9wavefront6targetE1EEEvSF_.kd
    .uniform_work_group_size: 1
    .uses_dynamic_stack: false
    .vgpr_count:     0
    .vgpr_spill_count: 0
    .wavefront_size: 64
  - .agpr_count:     0
    .args:
      - .offset:         0
        .size:           48
        .value_kind:     by_value
    .group_segment_fixed_size: 0
    .kernarg_segment_align: 8
    .kernarg_segment_size: 48
    .language:       OpenCL C
    .language_version:
      - 2
      - 0
    .max_flat_workgroup_size: 512
    .name:           _ZN7rocprim17ROCPRIM_400000_NS6detail17trampoline_kernelINS0_14default_configENS1_35radix_sort_onesweep_config_selectorItNS0_10empty_typeEEEZNS1_34radix_sort_onesweep_global_offsetsIS3_Lb0EPtPS5_mNS0_19identity_decomposerEEE10hipError_tT1_T2_PT3_SE_jT4_jjP12ihipStream_tbEUlT_E_NS1_11comp_targetILNS1_3genE0ELNS1_11target_archE4294967295ELNS1_3gpuE0ELNS1_3repE0EEENS1_52radix_sort_onesweep_histogram_config_static_selectorELNS0_4arch9wavefront6targetE1EEEvSC_
    .private_segment_fixed_size: 0
    .sgpr_count:     4
    .sgpr_spill_count: 0
    .symbol:         _ZN7rocprim17ROCPRIM_400000_NS6detail17trampoline_kernelINS0_14default_configENS1_35radix_sort_onesweep_config_selectorItNS0_10empty_typeEEEZNS1_34radix_sort_onesweep_global_offsetsIS3_Lb0EPtPS5_mNS0_19identity_decomposerEEE10hipError_tT1_T2_PT3_SE_jT4_jjP12ihipStream_tbEUlT_E_NS1_11comp_targetILNS1_3genE0ELNS1_11target_archE4294967295ELNS1_3gpuE0ELNS1_3repE0EEENS1_52radix_sort_onesweep_histogram_config_static_selectorELNS0_4arch9wavefront6targetE1EEEvSC_.kd
    .uniform_work_group_size: 1
    .uses_dynamic_stack: false
    .vgpr_count:     0
    .vgpr_spill_count: 0
    .wavefront_size: 64
  - .agpr_count:     0
    .args:
      - .offset:         0
        .size:           48
        .value_kind:     by_value
    .group_segment_fixed_size: 0
    .kernarg_segment_align: 8
    .kernarg_segment_size: 48
    .language:       OpenCL C
    .language_version:
      - 2
      - 0
    .max_flat_workgroup_size: 1024
    .name:           _ZN7rocprim17ROCPRIM_400000_NS6detail17trampoline_kernelINS0_14default_configENS1_35radix_sort_onesweep_config_selectorItNS0_10empty_typeEEEZNS1_34radix_sort_onesweep_global_offsetsIS3_Lb0EPtPS5_mNS0_19identity_decomposerEEE10hipError_tT1_T2_PT3_SE_jT4_jjP12ihipStream_tbEUlT_E_NS1_11comp_targetILNS1_3genE6ELNS1_11target_archE950ELNS1_3gpuE13ELNS1_3repE0EEENS1_52radix_sort_onesweep_histogram_config_static_selectorELNS0_4arch9wavefront6targetE1EEEvSC_
    .private_segment_fixed_size: 0
    .sgpr_count:     4
    .sgpr_spill_count: 0
    .symbol:         _ZN7rocprim17ROCPRIM_400000_NS6detail17trampoline_kernelINS0_14default_configENS1_35radix_sort_onesweep_config_selectorItNS0_10empty_typeEEEZNS1_34radix_sort_onesweep_global_offsetsIS3_Lb0EPtPS5_mNS0_19identity_decomposerEEE10hipError_tT1_T2_PT3_SE_jT4_jjP12ihipStream_tbEUlT_E_NS1_11comp_targetILNS1_3genE6ELNS1_11target_archE950ELNS1_3gpuE13ELNS1_3repE0EEENS1_52radix_sort_onesweep_histogram_config_static_selectorELNS0_4arch9wavefront6targetE1EEEvSC_.kd
    .uniform_work_group_size: 1
    .uses_dynamic_stack: false
    .vgpr_count:     0
    .vgpr_spill_count: 0
    .wavefront_size: 64
  - .agpr_count:     0
    .args:
      - .offset:         0
        .size:           48
        .value_kind:     by_value
    .group_segment_fixed_size: 0
    .kernarg_segment_align: 8
    .kernarg_segment_size: 48
    .language:       OpenCL C
    .language_version:
      - 2
      - 0
    .max_flat_workgroup_size: 1024
    .name:           _ZN7rocprim17ROCPRIM_400000_NS6detail17trampoline_kernelINS0_14default_configENS1_35radix_sort_onesweep_config_selectorItNS0_10empty_typeEEEZNS1_34radix_sort_onesweep_global_offsetsIS3_Lb0EPtPS5_mNS0_19identity_decomposerEEE10hipError_tT1_T2_PT3_SE_jT4_jjP12ihipStream_tbEUlT_E_NS1_11comp_targetILNS1_3genE5ELNS1_11target_archE942ELNS1_3gpuE9ELNS1_3repE0EEENS1_52radix_sort_onesweep_histogram_config_static_selectorELNS0_4arch9wavefront6targetE1EEEvSC_
    .private_segment_fixed_size: 0
    .sgpr_count:     4
    .sgpr_spill_count: 0
    .symbol:         _ZN7rocprim17ROCPRIM_400000_NS6detail17trampoline_kernelINS0_14default_configENS1_35radix_sort_onesweep_config_selectorItNS0_10empty_typeEEEZNS1_34radix_sort_onesweep_global_offsetsIS3_Lb0EPtPS5_mNS0_19identity_decomposerEEE10hipError_tT1_T2_PT3_SE_jT4_jjP12ihipStream_tbEUlT_E_NS1_11comp_targetILNS1_3genE5ELNS1_11target_archE942ELNS1_3gpuE9ELNS1_3repE0EEENS1_52radix_sort_onesweep_histogram_config_static_selectorELNS0_4arch9wavefront6targetE1EEEvSC_.kd
    .uniform_work_group_size: 1
    .uses_dynamic_stack: false
    .vgpr_count:     0
    .vgpr_spill_count: 0
    .wavefront_size: 64
  - .agpr_count:     0
    .args:
      - .offset:         0
        .size:           48
        .value_kind:     by_value
    .group_segment_fixed_size: 0
    .kernarg_segment_align: 8
    .kernarg_segment_size: 48
    .language:       OpenCL C
    .language_version:
      - 2
      - 0
    .max_flat_workgroup_size: 512
    .name:           _ZN7rocprim17ROCPRIM_400000_NS6detail17trampoline_kernelINS0_14default_configENS1_35radix_sort_onesweep_config_selectorItNS0_10empty_typeEEEZNS1_34radix_sort_onesweep_global_offsetsIS3_Lb0EPtPS5_mNS0_19identity_decomposerEEE10hipError_tT1_T2_PT3_SE_jT4_jjP12ihipStream_tbEUlT_E_NS1_11comp_targetILNS1_3genE2ELNS1_11target_archE906ELNS1_3gpuE6ELNS1_3repE0EEENS1_52radix_sort_onesweep_histogram_config_static_selectorELNS0_4arch9wavefront6targetE1EEEvSC_
    .private_segment_fixed_size: 0
    .sgpr_count:     4
    .sgpr_spill_count: 0
    .symbol:         _ZN7rocprim17ROCPRIM_400000_NS6detail17trampoline_kernelINS0_14default_configENS1_35radix_sort_onesweep_config_selectorItNS0_10empty_typeEEEZNS1_34radix_sort_onesweep_global_offsetsIS3_Lb0EPtPS5_mNS0_19identity_decomposerEEE10hipError_tT1_T2_PT3_SE_jT4_jjP12ihipStream_tbEUlT_E_NS1_11comp_targetILNS1_3genE2ELNS1_11target_archE906ELNS1_3gpuE6ELNS1_3repE0EEENS1_52radix_sort_onesweep_histogram_config_static_selectorELNS0_4arch9wavefront6targetE1EEEvSC_.kd
    .uniform_work_group_size: 1
    .uses_dynamic_stack: false
    .vgpr_count:     0
    .vgpr_spill_count: 0
    .wavefront_size: 64
  - .agpr_count:     0
    .args:
      - .offset:         0
        .size:           48
        .value_kind:     by_value
    .group_segment_fixed_size: 8192
    .kernarg_segment_align: 8
    .kernarg_segment_size: 48
    .language:       OpenCL C
    .language_version:
      - 2
      - 0
    .max_flat_workgroup_size: 1024
    .name:           _ZN7rocprim17ROCPRIM_400000_NS6detail17trampoline_kernelINS0_14default_configENS1_35radix_sort_onesweep_config_selectorItNS0_10empty_typeEEEZNS1_34radix_sort_onesweep_global_offsetsIS3_Lb0EPtPS5_mNS0_19identity_decomposerEEE10hipError_tT1_T2_PT3_SE_jT4_jjP12ihipStream_tbEUlT_E_NS1_11comp_targetILNS1_3genE4ELNS1_11target_archE910ELNS1_3gpuE8ELNS1_3repE0EEENS1_52radix_sort_onesweep_histogram_config_static_selectorELNS0_4arch9wavefront6targetE1EEEvSC_
    .private_segment_fixed_size: 0
    .sgpr_count:     22
    .sgpr_spill_count: 0
    .symbol:         _ZN7rocprim17ROCPRIM_400000_NS6detail17trampoline_kernelINS0_14default_configENS1_35radix_sort_onesweep_config_selectorItNS0_10empty_typeEEEZNS1_34radix_sort_onesweep_global_offsetsIS3_Lb0EPtPS5_mNS0_19identity_decomposerEEE10hipError_tT1_T2_PT3_SE_jT4_jjP12ihipStream_tbEUlT_E_NS1_11comp_targetILNS1_3genE4ELNS1_11target_archE910ELNS1_3gpuE8ELNS1_3repE0EEENS1_52radix_sort_onesweep_histogram_config_static_selectorELNS0_4arch9wavefront6targetE1EEEvSC_.kd
    .uniform_work_group_size: 1
    .uses_dynamic_stack: false
    .vgpr_count:     27
    .vgpr_spill_count: 0
    .wavefront_size: 64
  - .agpr_count:     0
    .args:
      - .offset:         0
        .size:           48
        .value_kind:     by_value
    .group_segment_fixed_size: 0
    .kernarg_segment_align: 8
    .kernarg_segment_size: 48
    .language:       OpenCL C
    .language_version:
      - 2
      - 0
    .max_flat_workgroup_size: 512
    .name:           _ZN7rocprim17ROCPRIM_400000_NS6detail17trampoline_kernelINS0_14default_configENS1_35radix_sort_onesweep_config_selectorItNS0_10empty_typeEEEZNS1_34radix_sort_onesweep_global_offsetsIS3_Lb0EPtPS5_mNS0_19identity_decomposerEEE10hipError_tT1_T2_PT3_SE_jT4_jjP12ihipStream_tbEUlT_E_NS1_11comp_targetILNS1_3genE3ELNS1_11target_archE908ELNS1_3gpuE7ELNS1_3repE0EEENS1_52radix_sort_onesweep_histogram_config_static_selectorELNS0_4arch9wavefront6targetE1EEEvSC_
    .private_segment_fixed_size: 0
    .sgpr_count:     4
    .sgpr_spill_count: 0
    .symbol:         _ZN7rocprim17ROCPRIM_400000_NS6detail17trampoline_kernelINS0_14default_configENS1_35radix_sort_onesweep_config_selectorItNS0_10empty_typeEEEZNS1_34radix_sort_onesweep_global_offsetsIS3_Lb0EPtPS5_mNS0_19identity_decomposerEEE10hipError_tT1_T2_PT3_SE_jT4_jjP12ihipStream_tbEUlT_E_NS1_11comp_targetILNS1_3genE3ELNS1_11target_archE908ELNS1_3gpuE7ELNS1_3repE0EEENS1_52radix_sort_onesweep_histogram_config_static_selectorELNS0_4arch9wavefront6targetE1EEEvSC_.kd
    .uniform_work_group_size: 1
    .uses_dynamic_stack: false
    .vgpr_count:     0
    .vgpr_spill_count: 0
    .wavefront_size: 64
  - .agpr_count:     0
    .args:
      - .offset:         0
        .size:           48
        .value_kind:     by_value
    .group_segment_fixed_size: 0
    .kernarg_segment_align: 8
    .kernarg_segment_size: 48
    .language:       OpenCL C
    .language_version:
      - 2
      - 0
    .max_flat_workgroup_size: 256
    .name:           _ZN7rocprim17ROCPRIM_400000_NS6detail17trampoline_kernelINS0_14default_configENS1_35radix_sort_onesweep_config_selectorItNS0_10empty_typeEEEZNS1_34radix_sort_onesweep_global_offsetsIS3_Lb0EPtPS5_mNS0_19identity_decomposerEEE10hipError_tT1_T2_PT3_SE_jT4_jjP12ihipStream_tbEUlT_E_NS1_11comp_targetILNS1_3genE10ELNS1_11target_archE1201ELNS1_3gpuE5ELNS1_3repE0EEENS1_52radix_sort_onesweep_histogram_config_static_selectorELNS0_4arch9wavefront6targetE1EEEvSC_
    .private_segment_fixed_size: 0
    .sgpr_count:     4
    .sgpr_spill_count: 0
    .symbol:         _ZN7rocprim17ROCPRIM_400000_NS6detail17trampoline_kernelINS0_14default_configENS1_35radix_sort_onesweep_config_selectorItNS0_10empty_typeEEEZNS1_34radix_sort_onesweep_global_offsetsIS3_Lb0EPtPS5_mNS0_19identity_decomposerEEE10hipError_tT1_T2_PT3_SE_jT4_jjP12ihipStream_tbEUlT_E_NS1_11comp_targetILNS1_3genE10ELNS1_11target_archE1201ELNS1_3gpuE5ELNS1_3repE0EEENS1_52radix_sort_onesweep_histogram_config_static_selectorELNS0_4arch9wavefront6targetE1EEEvSC_.kd
    .uniform_work_group_size: 1
    .uses_dynamic_stack: false
    .vgpr_count:     0
    .vgpr_spill_count: 0
    .wavefront_size: 64
  - .agpr_count:     0
    .args:
      - .offset:         0
        .size:           48
        .value_kind:     by_value
    .group_segment_fixed_size: 0
    .kernarg_segment_align: 8
    .kernarg_segment_size: 48
    .language:       OpenCL C
    .language_version:
      - 2
      - 0
    .max_flat_workgroup_size: 256
    .name:           _ZN7rocprim17ROCPRIM_400000_NS6detail17trampoline_kernelINS0_14default_configENS1_35radix_sort_onesweep_config_selectorItNS0_10empty_typeEEEZNS1_34radix_sort_onesweep_global_offsetsIS3_Lb0EPtPS5_mNS0_19identity_decomposerEEE10hipError_tT1_T2_PT3_SE_jT4_jjP12ihipStream_tbEUlT_E_NS1_11comp_targetILNS1_3genE9ELNS1_11target_archE1100ELNS1_3gpuE3ELNS1_3repE0EEENS1_52radix_sort_onesweep_histogram_config_static_selectorELNS0_4arch9wavefront6targetE1EEEvSC_
    .private_segment_fixed_size: 0
    .sgpr_count:     4
    .sgpr_spill_count: 0
    .symbol:         _ZN7rocprim17ROCPRIM_400000_NS6detail17trampoline_kernelINS0_14default_configENS1_35radix_sort_onesweep_config_selectorItNS0_10empty_typeEEEZNS1_34radix_sort_onesweep_global_offsetsIS3_Lb0EPtPS5_mNS0_19identity_decomposerEEE10hipError_tT1_T2_PT3_SE_jT4_jjP12ihipStream_tbEUlT_E_NS1_11comp_targetILNS1_3genE9ELNS1_11target_archE1100ELNS1_3gpuE3ELNS1_3repE0EEENS1_52radix_sort_onesweep_histogram_config_static_selectorELNS0_4arch9wavefront6targetE1EEEvSC_.kd
    .uniform_work_group_size: 1
    .uses_dynamic_stack: false
    .vgpr_count:     0
    .vgpr_spill_count: 0
    .wavefront_size: 64
  - .agpr_count:     0
    .args:
      - .offset:         0
        .size:           48
        .value_kind:     by_value
    .group_segment_fixed_size: 0
    .kernarg_segment_align: 8
    .kernarg_segment_size: 48
    .language:       OpenCL C
    .language_version:
      - 2
      - 0
    .max_flat_workgroup_size: 256
    .name:           _ZN7rocprim17ROCPRIM_400000_NS6detail17trampoline_kernelINS0_14default_configENS1_35radix_sort_onesweep_config_selectorItNS0_10empty_typeEEEZNS1_34radix_sort_onesweep_global_offsetsIS3_Lb0EPtPS5_mNS0_19identity_decomposerEEE10hipError_tT1_T2_PT3_SE_jT4_jjP12ihipStream_tbEUlT_E_NS1_11comp_targetILNS1_3genE8ELNS1_11target_archE1030ELNS1_3gpuE2ELNS1_3repE0EEENS1_52radix_sort_onesweep_histogram_config_static_selectorELNS0_4arch9wavefront6targetE1EEEvSC_
    .private_segment_fixed_size: 0
    .sgpr_count:     4
    .sgpr_spill_count: 0
    .symbol:         _ZN7rocprim17ROCPRIM_400000_NS6detail17trampoline_kernelINS0_14default_configENS1_35radix_sort_onesweep_config_selectorItNS0_10empty_typeEEEZNS1_34radix_sort_onesweep_global_offsetsIS3_Lb0EPtPS5_mNS0_19identity_decomposerEEE10hipError_tT1_T2_PT3_SE_jT4_jjP12ihipStream_tbEUlT_E_NS1_11comp_targetILNS1_3genE8ELNS1_11target_archE1030ELNS1_3gpuE2ELNS1_3repE0EEENS1_52radix_sort_onesweep_histogram_config_static_selectorELNS0_4arch9wavefront6targetE1EEEvSC_.kd
    .uniform_work_group_size: 1
    .uses_dynamic_stack: false
    .vgpr_count:     0
    .vgpr_spill_count: 0
    .wavefront_size: 64
  - .agpr_count:     0
    .args:
      - .address_space:  global
        .offset:         0
        .size:           8
        .value_kind:     global_buffer
    .group_segment_fixed_size: 0
    .kernarg_segment_align: 8
    .kernarg_segment_size: 8
    .language:       OpenCL C
    .language_version:
      - 2
      - 0
    .max_flat_workgroup_size: 512
    .name:           _ZN7rocprim17ROCPRIM_400000_NS6detail17trampoline_kernelINS0_14default_configENS1_35radix_sort_onesweep_config_selectorItNS0_10empty_typeEEEZNS1_34radix_sort_onesweep_global_offsetsIS3_Lb0EPtPS5_mNS0_19identity_decomposerEEE10hipError_tT1_T2_PT3_SE_jT4_jjP12ihipStream_tbEUlT_E0_NS1_11comp_targetILNS1_3genE0ELNS1_11target_archE4294967295ELNS1_3gpuE0ELNS1_3repE0EEENS1_52radix_sort_onesweep_histogram_config_static_selectorELNS0_4arch9wavefront6targetE1EEEvSC_
    .private_segment_fixed_size: 0
    .sgpr_count:     4
    .sgpr_spill_count: 0
    .symbol:         _ZN7rocprim17ROCPRIM_400000_NS6detail17trampoline_kernelINS0_14default_configENS1_35radix_sort_onesweep_config_selectorItNS0_10empty_typeEEEZNS1_34radix_sort_onesweep_global_offsetsIS3_Lb0EPtPS5_mNS0_19identity_decomposerEEE10hipError_tT1_T2_PT3_SE_jT4_jjP12ihipStream_tbEUlT_E0_NS1_11comp_targetILNS1_3genE0ELNS1_11target_archE4294967295ELNS1_3gpuE0ELNS1_3repE0EEENS1_52radix_sort_onesweep_histogram_config_static_selectorELNS0_4arch9wavefront6targetE1EEEvSC_.kd
    .uniform_work_group_size: 1
    .uses_dynamic_stack: false
    .vgpr_count:     0
    .vgpr_spill_count: 0
    .wavefront_size: 64
  - .agpr_count:     0
    .args:
      - .address_space:  global
        .offset:         0
        .size:           8
        .value_kind:     global_buffer
    .group_segment_fixed_size: 0
    .kernarg_segment_align: 8
    .kernarg_segment_size: 8
    .language:       OpenCL C
    .language_version:
      - 2
      - 0
    .max_flat_workgroup_size: 1024
    .name:           _ZN7rocprim17ROCPRIM_400000_NS6detail17trampoline_kernelINS0_14default_configENS1_35radix_sort_onesweep_config_selectorItNS0_10empty_typeEEEZNS1_34radix_sort_onesweep_global_offsetsIS3_Lb0EPtPS5_mNS0_19identity_decomposerEEE10hipError_tT1_T2_PT3_SE_jT4_jjP12ihipStream_tbEUlT_E0_NS1_11comp_targetILNS1_3genE6ELNS1_11target_archE950ELNS1_3gpuE13ELNS1_3repE0EEENS1_52radix_sort_onesweep_histogram_config_static_selectorELNS0_4arch9wavefront6targetE1EEEvSC_
    .private_segment_fixed_size: 0
    .sgpr_count:     4
    .sgpr_spill_count: 0
    .symbol:         _ZN7rocprim17ROCPRIM_400000_NS6detail17trampoline_kernelINS0_14default_configENS1_35radix_sort_onesweep_config_selectorItNS0_10empty_typeEEEZNS1_34radix_sort_onesweep_global_offsetsIS3_Lb0EPtPS5_mNS0_19identity_decomposerEEE10hipError_tT1_T2_PT3_SE_jT4_jjP12ihipStream_tbEUlT_E0_NS1_11comp_targetILNS1_3genE6ELNS1_11target_archE950ELNS1_3gpuE13ELNS1_3repE0EEENS1_52radix_sort_onesweep_histogram_config_static_selectorELNS0_4arch9wavefront6targetE1EEEvSC_.kd
    .uniform_work_group_size: 1
    .uses_dynamic_stack: false
    .vgpr_count:     0
    .vgpr_spill_count: 0
    .wavefront_size: 64
  - .agpr_count:     0
    .args:
      - .address_space:  global
        .offset:         0
        .size:           8
        .value_kind:     global_buffer
    .group_segment_fixed_size: 0
    .kernarg_segment_align: 8
    .kernarg_segment_size: 8
    .language:       OpenCL C
    .language_version:
      - 2
      - 0
    .max_flat_workgroup_size: 1024
    .name:           _ZN7rocprim17ROCPRIM_400000_NS6detail17trampoline_kernelINS0_14default_configENS1_35radix_sort_onesweep_config_selectorItNS0_10empty_typeEEEZNS1_34radix_sort_onesweep_global_offsetsIS3_Lb0EPtPS5_mNS0_19identity_decomposerEEE10hipError_tT1_T2_PT3_SE_jT4_jjP12ihipStream_tbEUlT_E0_NS1_11comp_targetILNS1_3genE5ELNS1_11target_archE942ELNS1_3gpuE9ELNS1_3repE0EEENS1_52radix_sort_onesweep_histogram_config_static_selectorELNS0_4arch9wavefront6targetE1EEEvSC_
    .private_segment_fixed_size: 0
    .sgpr_count:     4
    .sgpr_spill_count: 0
    .symbol:         _ZN7rocprim17ROCPRIM_400000_NS6detail17trampoline_kernelINS0_14default_configENS1_35radix_sort_onesweep_config_selectorItNS0_10empty_typeEEEZNS1_34radix_sort_onesweep_global_offsetsIS3_Lb0EPtPS5_mNS0_19identity_decomposerEEE10hipError_tT1_T2_PT3_SE_jT4_jjP12ihipStream_tbEUlT_E0_NS1_11comp_targetILNS1_3genE5ELNS1_11target_archE942ELNS1_3gpuE9ELNS1_3repE0EEENS1_52radix_sort_onesweep_histogram_config_static_selectorELNS0_4arch9wavefront6targetE1EEEvSC_.kd
    .uniform_work_group_size: 1
    .uses_dynamic_stack: false
    .vgpr_count:     0
    .vgpr_spill_count: 0
    .wavefront_size: 64
  - .agpr_count:     0
    .args:
      - .address_space:  global
        .offset:         0
        .size:           8
        .value_kind:     global_buffer
    .group_segment_fixed_size: 0
    .kernarg_segment_align: 8
    .kernarg_segment_size: 8
    .language:       OpenCL C
    .language_version:
      - 2
      - 0
    .max_flat_workgroup_size: 512
    .name:           _ZN7rocprim17ROCPRIM_400000_NS6detail17trampoline_kernelINS0_14default_configENS1_35radix_sort_onesweep_config_selectorItNS0_10empty_typeEEEZNS1_34radix_sort_onesweep_global_offsetsIS3_Lb0EPtPS5_mNS0_19identity_decomposerEEE10hipError_tT1_T2_PT3_SE_jT4_jjP12ihipStream_tbEUlT_E0_NS1_11comp_targetILNS1_3genE2ELNS1_11target_archE906ELNS1_3gpuE6ELNS1_3repE0EEENS1_52radix_sort_onesweep_histogram_config_static_selectorELNS0_4arch9wavefront6targetE1EEEvSC_
    .private_segment_fixed_size: 0
    .sgpr_count:     4
    .sgpr_spill_count: 0
    .symbol:         _ZN7rocprim17ROCPRIM_400000_NS6detail17trampoline_kernelINS0_14default_configENS1_35radix_sort_onesweep_config_selectorItNS0_10empty_typeEEEZNS1_34radix_sort_onesweep_global_offsetsIS3_Lb0EPtPS5_mNS0_19identity_decomposerEEE10hipError_tT1_T2_PT3_SE_jT4_jjP12ihipStream_tbEUlT_E0_NS1_11comp_targetILNS1_3genE2ELNS1_11target_archE906ELNS1_3gpuE6ELNS1_3repE0EEENS1_52radix_sort_onesweep_histogram_config_static_selectorELNS0_4arch9wavefront6targetE1EEEvSC_.kd
    .uniform_work_group_size: 1
    .uses_dynamic_stack: false
    .vgpr_count:     0
    .vgpr_spill_count: 0
    .wavefront_size: 64
  - .agpr_count:     0
    .args:
      - .address_space:  global
        .offset:         0
        .size:           8
        .value_kind:     global_buffer
    .group_segment_fixed_size: 128
    .kernarg_segment_align: 8
    .kernarg_segment_size: 8
    .language:       OpenCL C
    .language_version:
      - 2
      - 0
    .max_flat_workgroup_size: 1024
    .name:           _ZN7rocprim17ROCPRIM_400000_NS6detail17trampoline_kernelINS0_14default_configENS1_35radix_sort_onesweep_config_selectorItNS0_10empty_typeEEEZNS1_34radix_sort_onesweep_global_offsetsIS3_Lb0EPtPS5_mNS0_19identity_decomposerEEE10hipError_tT1_T2_PT3_SE_jT4_jjP12ihipStream_tbEUlT_E0_NS1_11comp_targetILNS1_3genE4ELNS1_11target_archE910ELNS1_3gpuE8ELNS1_3repE0EEENS1_52radix_sort_onesweep_histogram_config_static_selectorELNS0_4arch9wavefront6targetE1EEEvSC_
    .private_segment_fixed_size: 0
    .sgpr_count:     22
    .sgpr_spill_count: 0
    .symbol:         _ZN7rocprim17ROCPRIM_400000_NS6detail17trampoline_kernelINS0_14default_configENS1_35radix_sort_onesweep_config_selectorItNS0_10empty_typeEEEZNS1_34radix_sort_onesweep_global_offsetsIS3_Lb0EPtPS5_mNS0_19identity_decomposerEEE10hipError_tT1_T2_PT3_SE_jT4_jjP12ihipStream_tbEUlT_E0_NS1_11comp_targetILNS1_3genE4ELNS1_11target_archE910ELNS1_3gpuE8ELNS1_3repE0EEENS1_52radix_sort_onesweep_histogram_config_static_selectorELNS0_4arch9wavefront6targetE1EEEvSC_.kd
    .uniform_work_group_size: 1
    .uses_dynamic_stack: false
    .vgpr_count:     13
    .vgpr_spill_count: 0
    .wavefront_size: 64
  - .agpr_count:     0
    .args:
      - .address_space:  global
        .offset:         0
        .size:           8
        .value_kind:     global_buffer
    .group_segment_fixed_size: 0
    .kernarg_segment_align: 8
    .kernarg_segment_size: 8
    .language:       OpenCL C
    .language_version:
      - 2
      - 0
    .max_flat_workgroup_size: 512
    .name:           _ZN7rocprim17ROCPRIM_400000_NS6detail17trampoline_kernelINS0_14default_configENS1_35radix_sort_onesweep_config_selectorItNS0_10empty_typeEEEZNS1_34radix_sort_onesweep_global_offsetsIS3_Lb0EPtPS5_mNS0_19identity_decomposerEEE10hipError_tT1_T2_PT3_SE_jT4_jjP12ihipStream_tbEUlT_E0_NS1_11comp_targetILNS1_3genE3ELNS1_11target_archE908ELNS1_3gpuE7ELNS1_3repE0EEENS1_52radix_sort_onesweep_histogram_config_static_selectorELNS0_4arch9wavefront6targetE1EEEvSC_
    .private_segment_fixed_size: 0
    .sgpr_count:     4
    .sgpr_spill_count: 0
    .symbol:         _ZN7rocprim17ROCPRIM_400000_NS6detail17trampoline_kernelINS0_14default_configENS1_35radix_sort_onesweep_config_selectorItNS0_10empty_typeEEEZNS1_34radix_sort_onesweep_global_offsetsIS3_Lb0EPtPS5_mNS0_19identity_decomposerEEE10hipError_tT1_T2_PT3_SE_jT4_jjP12ihipStream_tbEUlT_E0_NS1_11comp_targetILNS1_3genE3ELNS1_11target_archE908ELNS1_3gpuE7ELNS1_3repE0EEENS1_52radix_sort_onesweep_histogram_config_static_selectorELNS0_4arch9wavefront6targetE1EEEvSC_.kd
    .uniform_work_group_size: 1
    .uses_dynamic_stack: false
    .vgpr_count:     0
    .vgpr_spill_count: 0
    .wavefront_size: 64
  - .agpr_count:     0
    .args:
      - .address_space:  global
        .offset:         0
        .size:           8
        .value_kind:     global_buffer
    .group_segment_fixed_size: 0
    .kernarg_segment_align: 8
    .kernarg_segment_size: 8
    .language:       OpenCL C
    .language_version:
      - 2
      - 0
    .max_flat_workgroup_size: 256
    .name:           _ZN7rocprim17ROCPRIM_400000_NS6detail17trampoline_kernelINS0_14default_configENS1_35radix_sort_onesweep_config_selectorItNS0_10empty_typeEEEZNS1_34radix_sort_onesweep_global_offsetsIS3_Lb0EPtPS5_mNS0_19identity_decomposerEEE10hipError_tT1_T2_PT3_SE_jT4_jjP12ihipStream_tbEUlT_E0_NS1_11comp_targetILNS1_3genE10ELNS1_11target_archE1201ELNS1_3gpuE5ELNS1_3repE0EEENS1_52radix_sort_onesweep_histogram_config_static_selectorELNS0_4arch9wavefront6targetE1EEEvSC_
    .private_segment_fixed_size: 0
    .sgpr_count:     4
    .sgpr_spill_count: 0
    .symbol:         _ZN7rocprim17ROCPRIM_400000_NS6detail17trampoline_kernelINS0_14default_configENS1_35radix_sort_onesweep_config_selectorItNS0_10empty_typeEEEZNS1_34radix_sort_onesweep_global_offsetsIS3_Lb0EPtPS5_mNS0_19identity_decomposerEEE10hipError_tT1_T2_PT3_SE_jT4_jjP12ihipStream_tbEUlT_E0_NS1_11comp_targetILNS1_3genE10ELNS1_11target_archE1201ELNS1_3gpuE5ELNS1_3repE0EEENS1_52radix_sort_onesweep_histogram_config_static_selectorELNS0_4arch9wavefront6targetE1EEEvSC_.kd
    .uniform_work_group_size: 1
    .uses_dynamic_stack: false
    .vgpr_count:     0
    .vgpr_spill_count: 0
    .wavefront_size: 64
  - .agpr_count:     0
    .args:
      - .address_space:  global
        .offset:         0
        .size:           8
        .value_kind:     global_buffer
    .group_segment_fixed_size: 0
    .kernarg_segment_align: 8
    .kernarg_segment_size: 8
    .language:       OpenCL C
    .language_version:
      - 2
      - 0
    .max_flat_workgroup_size: 256
    .name:           _ZN7rocprim17ROCPRIM_400000_NS6detail17trampoline_kernelINS0_14default_configENS1_35radix_sort_onesweep_config_selectorItNS0_10empty_typeEEEZNS1_34radix_sort_onesweep_global_offsetsIS3_Lb0EPtPS5_mNS0_19identity_decomposerEEE10hipError_tT1_T2_PT3_SE_jT4_jjP12ihipStream_tbEUlT_E0_NS1_11comp_targetILNS1_3genE9ELNS1_11target_archE1100ELNS1_3gpuE3ELNS1_3repE0EEENS1_52radix_sort_onesweep_histogram_config_static_selectorELNS0_4arch9wavefront6targetE1EEEvSC_
    .private_segment_fixed_size: 0
    .sgpr_count:     4
    .sgpr_spill_count: 0
    .symbol:         _ZN7rocprim17ROCPRIM_400000_NS6detail17trampoline_kernelINS0_14default_configENS1_35radix_sort_onesweep_config_selectorItNS0_10empty_typeEEEZNS1_34radix_sort_onesweep_global_offsetsIS3_Lb0EPtPS5_mNS0_19identity_decomposerEEE10hipError_tT1_T2_PT3_SE_jT4_jjP12ihipStream_tbEUlT_E0_NS1_11comp_targetILNS1_3genE9ELNS1_11target_archE1100ELNS1_3gpuE3ELNS1_3repE0EEENS1_52radix_sort_onesweep_histogram_config_static_selectorELNS0_4arch9wavefront6targetE1EEEvSC_.kd
    .uniform_work_group_size: 1
    .uses_dynamic_stack: false
    .vgpr_count:     0
    .vgpr_spill_count: 0
    .wavefront_size: 64
  - .agpr_count:     0
    .args:
      - .address_space:  global
        .offset:         0
        .size:           8
        .value_kind:     global_buffer
    .group_segment_fixed_size: 0
    .kernarg_segment_align: 8
    .kernarg_segment_size: 8
    .language:       OpenCL C
    .language_version:
      - 2
      - 0
    .max_flat_workgroup_size: 256
    .name:           _ZN7rocprim17ROCPRIM_400000_NS6detail17trampoline_kernelINS0_14default_configENS1_35radix_sort_onesweep_config_selectorItNS0_10empty_typeEEEZNS1_34radix_sort_onesweep_global_offsetsIS3_Lb0EPtPS5_mNS0_19identity_decomposerEEE10hipError_tT1_T2_PT3_SE_jT4_jjP12ihipStream_tbEUlT_E0_NS1_11comp_targetILNS1_3genE8ELNS1_11target_archE1030ELNS1_3gpuE2ELNS1_3repE0EEENS1_52radix_sort_onesweep_histogram_config_static_selectorELNS0_4arch9wavefront6targetE1EEEvSC_
    .private_segment_fixed_size: 0
    .sgpr_count:     4
    .sgpr_spill_count: 0
    .symbol:         _ZN7rocprim17ROCPRIM_400000_NS6detail17trampoline_kernelINS0_14default_configENS1_35radix_sort_onesweep_config_selectorItNS0_10empty_typeEEEZNS1_34radix_sort_onesweep_global_offsetsIS3_Lb0EPtPS5_mNS0_19identity_decomposerEEE10hipError_tT1_T2_PT3_SE_jT4_jjP12ihipStream_tbEUlT_E0_NS1_11comp_targetILNS1_3genE8ELNS1_11target_archE1030ELNS1_3gpuE2ELNS1_3repE0EEENS1_52radix_sort_onesweep_histogram_config_static_selectorELNS0_4arch9wavefront6targetE1EEEvSC_.kd
    .uniform_work_group_size: 1
    .uses_dynamic_stack: false
    .vgpr_count:     0
    .vgpr_spill_count: 0
    .wavefront_size: 64
  - .agpr_count:     0
    .args:
      - .offset:         0
        .size:           88
        .value_kind:     by_value
    .group_segment_fixed_size: 0
    .kernarg_segment_align: 8
    .kernarg_segment_size: 88
    .language:       OpenCL C
    .language_version:
      - 2
      - 0
    .max_flat_workgroup_size: 512
    .name:           _ZN7rocprim17ROCPRIM_400000_NS6detail17trampoline_kernelINS0_14default_configENS1_35radix_sort_onesweep_config_selectorItNS0_10empty_typeEEEZZNS1_29radix_sort_onesweep_iterationIS3_Lb0EPtS8_PS5_S9_mNS0_19identity_decomposerENS1_16block_id_wrapperIjLb1EEEEE10hipError_tT1_PNSt15iterator_traitsISE_E10value_typeET2_T3_PNSF_ISK_E10value_typeET4_T5_PSP_SQ_PNS1_23onesweep_lookback_stateEbbT6_jjT7_P12ihipStream_tbENKUlT_T0_SE_SJ_E_clIS8_S8_S9_S9_EEDaSX_SY_SE_SJ_EUlSX_E_NS1_11comp_targetILNS1_3genE0ELNS1_11target_archE4294967295ELNS1_3gpuE0ELNS1_3repE0EEENS1_47radix_sort_onesweep_sort_config_static_selectorELNS0_4arch9wavefront6targetE1EEEvSE_
    .private_segment_fixed_size: 0
    .sgpr_count:     4
    .sgpr_spill_count: 0
    .symbol:         _ZN7rocprim17ROCPRIM_400000_NS6detail17trampoline_kernelINS0_14default_configENS1_35radix_sort_onesweep_config_selectorItNS0_10empty_typeEEEZZNS1_29radix_sort_onesweep_iterationIS3_Lb0EPtS8_PS5_S9_mNS0_19identity_decomposerENS1_16block_id_wrapperIjLb1EEEEE10hipError_tT1_PNSt15iterator_traitsISE_E10value_typeET2_T3_PNSF_ISK_E10value_typeET4_T5_PSP_SQ_PNS1_23onesweep_lookback_stateEbbT6_jjT7_P12ihipStream_tbENKUlT_T0_SE_SJ_E_clIS8_S8_S9_S9_EEDaSX_SY_SE_SJ_EUlSX_E_NS1_11comp_targetILNS1_3genE0ELNS1_11target_archE4294967295ELNS1_3gpuE0ELNS1_3repE0EEENS1_47radix_sort_onesweep_sort_config_static_selectorELNS0_4arch9wavefront6targetE1EEEvSE_.kd
    .uniform_work_group_size: 1
    .uses_dynamic_stack: false
    .vgpr_count:     0
    .vgpr_spill_count: 0
    .wavefront_size: 64
  - .agpr_count:     0
    .args:
      - .offset:         0
        .size:           88
        .value_kind:     by_value
    .group_segment_fixed_size: 0
    .kernarg_segment_align: 8
    .kernarg_segment_size: 88
    .language:       OpenCL C
    .language_version:
      - 2
      - 0
    .max_flat_workgroup_size: 1024
    .name:           _ZN7rocprim17ROCPRIM_400000_NS6detail17trampoline_kernelINS0_14default_configENS1_35radix_sort_onesweep_config_selectorItNS0_10empty_typeEEEZZNS1_29radix_sort_onesweep_iterationIS3_Lb0EPtS8_PS5_S9_mNS0_19identity_decomposerENS1_16block_id_wrapperIjLb1EEEEE10hipError_tT1_PNSt15iterator_traitsISE_E10value_typeET2_T3_PNSF_ISK_E10value_typeET4_T5_PSP_SQ_PNS1_23onesweep_lookback_stateEbbT6_jjT7_P12ihipStream_tbENKUlT_T0_SE_SJ_E_clIS8_S8_S9_S9_EEDaSX_SY_SE_SJ_EUlSX_E_NS1_11comp_targetILNS1_3genE6ELNS1_11target_archE950ELNS1_3gpuE13ELNS1_3repE0EEENS1_47radix_sort_onesweep_sort_config_static_selectorELNS0_4arch9wavefront6targetE1EEEvSE_
    .private_segment_fixed_size: 0
    .sgpr_count:     4
    .sgpr_spill_count: 0
    .symbol:         _ZN7rocprim17ROCPRIM_400000_NS6detail17trampoline_kernelINS0_14default_configENS1_35radix_sort_onesweep_config_selectorItNS0_10empty_typeEEEZZNS1_29radix_sort_onesweep_iterationIS3_Lb0EPtS8_PS5_S9_mNS0_19identity_decomposerENS1_16block_id_wrapperIjLb1EEEEE10hipError_tT1_PNSt15iterator_traitsISE_E10value_typeET2_T3_PNSF_ISK_E10value_typeET4_T5_PSP_SQ_PNS1_23onesweep_lookback_stateEbbT6_jjT7_P12ihipStream_tbENKUlT_T0_SE_SJ_E_clIS8_S8_S9_S9_EEDaSX_SY_SE_SJ_EUlSX_E_NS1_11comp_targetILNS1_3genE6ELNS1_11target_archE950ELNS1_3gpuE13ELNS1_3repE0EEENS1_47radix_sort_onesweep_sort_config_static_selectorELNS0_4arch9wavefront6targetE1EEEvSE_.kd
    .uniform_work_group_size: 1
    .uses_dynamic_stack: false
    .vgpr_count:     0
    .vgpr_spill_count: 0
    .wavefront_size: 64
  - .agpr_count:     0
    .args:
      - .offset:         0
        .size:           88
        .value_kind:     by_value
    .group_segment_fixed_size: 0
    .kernarg_segment_align: 8
    .kernarg_segment_size: 88
    .language:       OpenCL C
    .language_version:
      - 2
      - 0
    .max_flat_workgroup_size: 1024
    .name:           _ZN7rocprim17ROCPRIM_400000_NS6detail17trampoline_kernelINS0_14default_configENS1_35radix_sort_onesweep_config_selectorItNS0_10empty_typeEEEZZNS1_29radix_sort_onesweep_iterationIS3_Lb0EPtS8_PS5_S9_mNS0_19identity_decomposerENS1_16block_id_wrapperIjLb1EEEEE10hipError_tT1_PNSt15iterator_traitsISE_E10value_typeET2_T3_PNSF_ISK_E10value_typeET4_T5_PSP_SQ_PNS1_23onesweep_lookback_stateEbbT6_jjT7_P12ihipStream_tbENKUlT_T0_SE_SJ_E_clIS8_S8_S9_S9_EEDaSX_SY_SE_SJ_EUlSX_E_NS1_11comp_targetILNS1_3genE5ELNS1_11target_archE942ELNS1_3gpuE9ELNS1_3repE0EEENS1_47radix_sort_onesweep_sort_config_static_selectorELNS0_4arch9wavefront6targetE1EEEvSE_
    .private_segment_fixed_size: 0
    .sgpr_count:     4
    .sgpr_spill_count: 0
    .symbol:         _ZN7rocprim17ROCPRIM_400000_NS6detail17trampoline_kernelINS0_14default_configENS1_35radix_sort_onesweep_config_selectorItNS0_10empty_typeEEEZZNS1_29radix_sort_onesweep_iterationIS3_Lb0EPtS8_PS5_S9_mNS0_19identity_decomposerENS1_16block_id_wrapperIjLb1EEEEE10hipError_tT1_PNSt15iterator_traitsISE_E10value_typeET2_T3_PNSF_ISK_E10value_typeET4_T5_PSP_SQ_PNS1_23onesweep_lookback_stateEbbT6_jjT7_P12ihipStream_tbENKUlT_T0_SE_SJ_E_clIS8_S8_S9_S9_EEDaSX_SY_SE_SJ_EUlSX_E_NS1_11comp_targetILNS1_3genE5ELNS1_11target_archE942ELNS1_3gpuE9ELNS1_3repE0EEENS1_47radix_sort_onesweep_sort_config_static_selectorELNS0_4arch9wavefront6targetE1EEEvSE_.kd
    .uniform_work_group_size: 1
    .uses_dynamic_stack: false
    .vgpr_count:     0
    .vgpr_spill_count: 0
    .wavefront_size: 64
  - .agpr_count:     0
    .args:
      - .offset:         0
        .size:           88
        .value_kind:     by_value
    .group_segment_fixed_size: 0
    .kernarg_segment_align: 8
    .kernarg_segment_size: 88
    .language:       OpenCL C
    .language_version:
      - 2
      - 0
    .max_flat_workgroup_size: 512
    .name:           _ZN7rocprim17ROCPRIM_400000_NS6detail17trampoline_kernelINS0_14default_configENS1_35radix_sort_onesweep_config_selectorItNS0_10empty_typeEEEZZNS1_29radix_sort_onesweep_iterationIS3_Lb0EPtS8_PS5_S9_mNS0_19identity_decomposerENS1_16block_id_wrapperIjLb1EEEEE10hipError_tT1_PNSt15iterator_traitsISE_E10value_typeET2_T3_PNSF_ISK_E10value_typeET4_T5_PSP_SQ_PNS1_23onesweep_lookback_stateEbbT6_jjT7_P12ihipStream_tbENKUlT_T0_SE_SJ_E_clIS8_S8_S9_S9_EEDaSX_SY_SE_SJ_EUlSX_E_NS1_11comp_targetILNS1_3genE2ELNS1_11target_archE906ELNS1_3gpuE6ELNS1_3repE0EEENS1_47radix_sort_onesweep_sort_config_static_selectorELNS0_4arch9wavefront6targetE1EEEvSE_
    .private_segment_fixed_size: 0
    .sgpr_count:     4
    .sgpr_spill_count: 0
    .symbol:         _ZN7rocprim17ROCPRIM_400000_NS6detail17trampoline_kernelINS0_14default_configENS1_35radix_sort_onesweep_config_selectorItNS0_10empty_typeEEEZZNS1_29radix_sort_onesweep_iterationIS3_Lb0EPtS8_PS5_S9_mNS0_19identity_decomposerENS1_16block_id_wrapperIjLb1EEEEE10hipError_tT1_PNSt15iterator_traitsISE_E10value_typeET2_T3_PNSF_ISK_E10value_typeET4_T5_PSP_SQ_PNS1_23onesweep_lookback_stateEbbT6_jjT7_P12ihipStream_tbENKUlT_T0_SE_SJ_E_clIS8_S8_S9_S9_EEDaSX_SY_SE_SJ_EUlSX_E_NS1_11comp_targetILNS1_3genE2ELNS1_11target_archE906ELNS1_3gpuE6ELNS1_3repE0EEENS1_47radix_sort_onesweep_sort_config_static_selectorELNS0_4arch9wavefront6targetE1EEEvSE_.kd
    .uniform_work_group_size: 1
    .uses_dynamic_stack: false
    .vgpr_count:     0
    .vgpr_spill_count: 0
    .wavefront_size: 64
  - .agpr_count:     0
    .args:
      - .offset:         0
        .size:           88
        .value_kind:     by_value
      - .offset:         88
        .size:           4
        .value_kind:     hidden_block_count_x
      - .offset:         92
        .size:           4
        .value_kind:     hidden_block_count_y
      - .offset:         96
        .size:           4
        .value_kind:     hidden_block_count_z
      - .offset:         100
        .size:           2
        .value_kind:     hidden_group_size_x
      - .offset:         102
        .size:           2
        .value_kind:     hidden_group_size_y
      - .offset:         104
        .size:           2
        .value_kind:     hidden_group_size_z
      - .offset:         106
        .size:           2
        .value_kind:     hidden_remainder_x
      - .offset:         108
        .size:           2
        .value_kind:     hidden_remainder_y
      - .offset:         110
        .size:           2
        .value_kind:     hidden_remainder_z
      - .offset:         128
        .size:           8
        .value_kind:     hidden_global_offset_x
      - .offset:         136
        .size:           8
        .value_kind:     hidden_global_offset_y
      - .offset:         144
        .size:           8
        .value_kind:     hidden_global_offset_z
      - .offset:         152
        .size:           2
        .value_kind:     hidden_grid_dims
    .group_segment_fixed_size: 26632
    .kernarg_segment_align: 8
    .kernarg_segment_size: 344
    .language:       OpenCL C
    .language_version:
      - 2
      - 0
    .max_flat_workgroup_size: 1024
    .name:           _ZN7rocprim17ROCPRIM_400000_NS6detail17trampoline_kernelINS0_14default_configENS1_35radix_sort_onesweep_config_selectorItNS0_10empty_typeEEEZZNS1_29radix_sort_onesweep_iterationIS3_Lb0EPtS8_PS5_S9_mNS0_19identity_decomposerENS1_16block_id_wrapperIjLb1EEEEE10hipError_tT1_PNSt15iterator_traitsISE_E10value_typeET2_T3_PNSF_ISK_E10value_typeET4_T5_PSP_SQ_PNS1_23onesweep_lookback_stateEbbT6_jjT7_P12ihipStream_tbENKUlT_T0_SE_SJ_E_clIS8_S8_S9_S9_EEDaSX_SY_SE_SJ_EUlSX_E_NS1_11comp_targetILNS1_3genE4ELNS1_11target_archE910ELNS1_3gpuE8ELNS1_3repE0EEENS1_47radix_sort_onesweep_sort_config_static_selectorELNS0_4arch9wavefront6targetE1EEEvSE_
    .private_segment_fixed_size: 0
    .sgpr_count:     39
    .sgpr_spill_count: 0
    .symbol:         _ZN7rocprim17ROCPRIM_400000_NS6detail17trampoline_kernelINS0_14default_configENS1_35radix_sort_onesweep_config_selectorItNS0_10empty_typeEEEZZNS1_29radix_sort_onesweep_iterationIS3_Lb0EPtS8_PS5_S9_mNS0_19identity_decomposerENS1_16block_id_wrapperIjLb1EEEEE10hipError_tT1_PNSt15iterator_traitsISE_E10value_typeET2_T3_PNSF_ISK_E10value_typeET4_T5_PSP_SQ_PNS1_23onesweep_lookback_stateEbbT6_jjT7_P12ihipStream_tbENKUlT_T0_SE_SJ_E_clIS8_S8_S9_S9_EEDaSX_SY_SE_SJ_EUlSX_E_NS1_11comp_targetILNS1_3genE4ELNS1_11target_archE910ELNS1_3gpuE8ELNS1_3repE0EEENS1_47radix_sort_onesweep_sort_config_static_selectorELNS0_4arch9wavefront6targetE1EEEvSE_.kd
    .uniform_work_group_size: 1
    .uses_dynamic_stack: false
    .vgpr_count:     62
    .vgpr_spill_count: 0
    .wavefront_size: 64
  - .agpr_count:     0
    .args:
      - .offset:         0
        .size:           88
        .value_kind:     by_value
    .group_segment_fixed_size: 0
    .kernarg_segment_align: 8
    .kernarg_segment_size: 88
    .language:       OpenCL C
    .language_version:
      - 2
      - 0
    .max_flat_workgroup_size: 512
    .name:           _ZN7rocprim17ROCPRIM_400000_NS6detail17trampoline_kernelINS0_14default_configENS1_35radix_sort_onesweep_config_selectorItNS0_10empty_typeEEEZZNS1_29radix_sort_onesweep_iterationIS3_Lb0EPtS8_PS5_S9_mNS0_19identity_decomposerENS1_16block_id_wrapperIjLb1EEEEE10hipError_tT1_PNSt15iterator_traitsISE_E10value_typeET2_T3_PNSF_ISK_E10value_typeET4_T5_PSP_SQ_PNS1_23onesweep_lookback_stateEbbT6_jjT7_P12ihipStream_tbENKUlT_T0_SE_SJ_E_clIS8_S8_S9_S9_EEDaSX_SY_SE_SJ_EUlSX_E_NS1_11comp_targetILNS1_3genE3ELNS1_11target_archE908ELNS1_3gpuE7ELNS1_3repE0EEENS1_47radix_sort_onesweep_sort_config_static_selectorELNS0_4arch9wavefront6targetE1EEEvSE_
    .private_segment_fixed_size: 0
    .sgpr_count:     4
    .sgpr_spill_count: 0
    .symbol:         _ZN7rocprim17ROCPRIM_400000_NS6detail17trampoline_kernelINS0_14default_configENS1_35radix_sort_onesweep_config_selectorItNS0_10empty_typeEEEZZNS1_29radix_sort_onesweep_iterationIS3_Lb0EPtS8_PS5_S9_mNS0_19identity_decomposerENS1_16block_id_wrapperIjLb1EEEEE10hipError_tT1_PNSt15iterator_traitsISE_E10value_typeET2_T3_PNSF_ISK_E10value_typeET4_T5_PSP_SQ_PNS1_23onesweep_lookback_stateEbbT6_jjT7_P12ihipStream_tbENKUlT_T0_SE_SJ_E_clIS8_S8_S9_S9_EEDaSX_SY_SE_SJ_EUlSX_E_NS1_11comp_targetILNS1_3genE3ELNS1_11target_archE908ELNS1_3gpuE7ELNS1_3repE0EEENS1_47radix_sort_onesweep_sort_config_static_selectorELNS0_4arch9wavefront6targetE1EEEvSE_.kd
    .uniform_work_group_size: 1
    .uses_dynamic_stack: false
    .vgpr_count:     0
    .vgpr_spill_count: 0
    .wavefront_size: 64
  - .agpr_count:     0
    .args:
      - .offset:         0
        .size:           88
        .value_kind:     by_value
    .group_segment_fixed_size: 0
    .kernarg_segment_align: 8
    .kernarg_segment_size: 88
    .language:       OpenCL C
    .language_version:
      - 2
      - 0
    .max_flat_workgroup_size: 256
    .name:           _ZN7rocprim17ROCPRIM_400000_NS6detail17trampoline_kernelINS0_14default_configENS1_35radix_sort_onesweep_config_selectorItNS0_10empty_typeEEEZZNS1_29radix_sort_onesweep_iterationIS3_Lb0EPtS8_PS5_S9_mNS0_19identity_decomposerENS1_16block_id_wrapperIjLb1EEEEE10hipError_tT1_PNSt15iterator_traitsISE_E10value_typeET2_T3_PNSF_ISK_E10value_typeET4_T5_PSP_SQ_PNS1_23onesweep_lookback_stateEbbT6_jjT7_P12ihipStream_tbENKUlT_T0_SE_SJ_E_clIS8_S8_S9_S9_EEDaSX_SY_SE_SJ_EUlSX_E_NS1_11comp_targetILNS1_3genE10ELNS1_11target_archE1201ELNS1_3gpuE5ELNS1_3repE0EEENS1_47radix_sort_onesweep_sort_config_static_selectorELNS0_4arch9wavefront6targetE1EEEvSE_
    .private_segment_fixed_size: 0
    .sgpr_count:     4
    .sgpr_spill_count: 0
    .symbol:         _ZN7rocprim17ROCPRIM_400000_NS6detail17trampoline_kernelINS0_14default_configENS1_35radix_sort_onesweep_config_selectorItNS0_10empty_typeEEEZZNS1_29radix_sort_onesweep_iterationIS3_Lb0EPtS8_PS5_S9_mNS0_19identity_decomposerENS1_16block_id_wrapperIjLb1EEEEE10hipError_tT1_PNSt15iterator_traitsISE_E10value_typeET2_T3_PNSF_ISK_E10value_typeET4_T5_PSP_SQ_PNS1_23onesweep_lookback_stateEbbT6_jjT7_P12ihipStream_tbENKUlT_T0_SE_SJ_E_clIS8_S8_S9_S9_EEDaSX_SY_SE_SJ_EUlSX_E_NS1_11comp_targetILNS1_3genE10ELNS1_11target_archE1201ELNS1_3gpuE5ELNS1_3repE0EEENS1_47radix_sort_onesweep_sort_config_static_selectorELNS0_4arch9wavefront6targetE1EEEvSE_.kd
    .uniform_work_group_size: 1
    .uses_dynamic_stack: false
    .vgpr_count:     0
    .vgpr_spill_count: 0
    .wavefront_size: 64
  - .agpr_count:     0
    .args:
      - .offset:         0
        .size:           88
        .value_kind:     by_value
    .group_segment_fixed_size: 0
    .kernarg_segment_align: 8
    .kernarg_segment_size: 88
    .language:       OpenCL C
    .language_version:
      - 2
      - 0
    .max_flat_workgroup_size: 256
    .name:           _ZN7rocprim17ROCPRIM_400000_NS6detail17trampoline_kernelINS0_14default_configENS1_35radix_sort_onesweep_config_selectorItNS0_10empty_typeEEEZZNS1_29radix_sort_onesweep_iterationIS3_Lb0EPtS8_PS5_S9_mNS0_19identity_decomposerENS1_16block_id_wrapperIjLb1EEEEE10hipError_tT1_PNSt15iterator_traitsISE_E10value_typeET2_T3_PNSF_ISK_E10value_typeET4_T5_PSP_SQ_PNS1_23onesweep_lookback_stateEbbT6_jjT7_P12ihipStream_tbENKUlT_T0_SE_SJ_E_clIS8_S8_S9_S9_EEDaSX_SY_SE_SJ_EUlSX_E_NS1_11comp_targetILNS1_3genE9ELNS1_11target_archE1100ELNS1_3gpuE3ELNS1_3repE0EEENS1_47radix_sort_onesweep_sort_config_static_selectorELNS0_4arch9wavefront6targetE1EEEvSE_
    .private_segment_fixed_size: 0
    .sgpr_count:     4
    .sgpr_spill_count: 0
    .symbol:         _ZN7rocprim17ROCPRIM_400000_NS6detail17trampoline_kernelINS0_14default_configENS1_35radix_sort_onesweep_config_selectorItNS0_10empty_typeEEEZZNS1_29radix_sort_onesweep_iterationIS3_Lb0EPtS8_PS5_S9_mNS0_19identity_decomposerENS1_16block_id_wrapperIjLb1EEEEE10hipError_tT1_PNSt15iterator_traitsISE_E10value_typeET2_T3_PNSF_ISK_E10value_typeET4_T5_PSP_SQ_PNS1_23onesweep_lookback_stateEbbT6_jjT7_P12ihipStream_tbENKUlT_T0_SE_SJ_E_clIS8_S8_S9_S9_EEDaSX_SY_SE_SJ_EUlSX_E_NS1_11comp_targetILNS1_3genE9ELNS1_11target_archE1100ELNS1_3gpuE3ELNS1_3repE0EEENS1_47radix_sort_onesweep_sort_config_static_selectorELNS0_4arch9wavefront6targetE1EEEvSE_.kd
    .uniform_work_group_size: 1
    .uses_dynamic_stack: false
    .vgpr_count:     0
    .vgpr_spill_count: 0
    .wavefront_size: 64
  - .agpr_count:     0
    .args:
      - .offset:         0
        .size:           88
        .value_kind:     by_value
    .group_segment_fixed_size: 0
    .kernarg_segment_align: 8
    .kernarg_segment_size: 88
    .language:       OpenCL C
    .language_version:
      - 2
      - 0
    .max_flat_workgroup_size: 256
    .name:           _ZN7rocprim17ROCPRIM_400000_NS6detail17trampoline_kernelINS0_14default_configENS1_35radix_sort_onesweep_config_selectorItNS0_10empty_typeEEEZZNS1_29radix_sort_onesweep_iterationIS3_Lb0EPtS8_PS5_S9_mNS0_19identity_decomposerENS1_16block_id_wrapperIjLb1EEEEE10hipError_tT1_PNSt15iterator_traitsISE_E10value_typeET2_T3_PNSF_ISK_E10value_typeET4_T5_PSP_SQ_PNS1_23onesweep_lookback_stateEbbT6_jjT7_P12ihipStream_tbENKUlT_T0_SE_SJ_E_clIS8_S8_S9_S9_EEDaSX_SY_SE_SJ_EUlSX_E_NS1_11comp_targetILNS1_3genE8ELNS1_11target_archE1030ELNS1_3gpuE2ELNS1_3repE0EEENS1_47radix_sort_onesweep_sort_config_static_selectorELNS0_4arch9wavefront6targetE1EEEvSE_
    .private_segment_fixed_size: 0
    .sgpr_count:     4
    .sgpr_spill_count: 0
    .symbol:         _ZN7rocprim17ROCPRIM_400000_NS6detail17trampoline_kernelINS0_14default_configENS1_35radix_sort_onesweep_config_selectorItNS0_10empty_typeEEEZZNS1_29radix_sort_onesweep_iterationIS3_Lb0EPtS8_PS5_S9_mNS0_19identity_decomposerENS1_16block_id_wrapperIjLb1EEEEE10hipError_tT1_PNSt15iterator_traitsISE_E10value_typeET2_T3_PNSF_ISK_E10value_typeET4_T5_PSP_SQ_PNS1_23onesweep_lookback_stateEbbT6_jjT7_P12ihipStream_tbENKUlT_T0_SE_SJ_E_clIS8_S8_S9_S9_EEDaSX_SY_SE_SJ_EUlSX_E_NS1_11comp_targetILNS1_3genE8ELNS1_11target_archE1030ELNS1_3gpuE2ELNS1_3repE0EEENS1_47radix_sort_onesweep_sort_config_static_selectorELNS0_4arch9wavefront6targetE1EEEvSE_.kd
    .uniform_work_group_size: 1
    .uses_dynamic_stack: false
    .vgpr_count:     0
    .vgpr_spill_count: 0
    .wavefront_size: 64
  - .agpr_count:     0
    .args:
      - .offset:         0
        .size:           88
        .value_kind:     by_value
    .group_segment_fixed_size: 0
    .kernarg_segment_align: 8
    .kernarg_segment_size: 88
    .language:       OpenCL C
    .language_version:
      - 2
      - 0
    .max_flat_workgroup_size: 512
    .name:           _ZN7rocprim17ROCPRIM_400000_NS6detail17trampoline_kernelINS0_14default_configENS1_35radix_sort_onesweep_config_selectorItNS0_10empty_typeEEEZZNS1_29radix_sort_onesweep_iterationIS3_Lb0EPtS8_PS5_S9_mNS0_19identity_decomposerENS1_16block_id_wrapperIjLb0EEEEE10hipError_tT1_PNSt15iterator_traitsISE_E10value_typeET2_T3_PNSF_ISK_E10value_typeET4_T5_PSP_SQ_PNS1_23onesweep_lookback_stateEbbT6_jjT7_P12ihipStream_tbENKUlT_T0_SE_SJ_E_clIS8_S8_S9_S9_EEDaSX_SY_SE_SJ_EUlSX_E_NS1_11comp_targetILNS1_3genE0ELNS1_11target_archE4294967295ELNS1_3gpuE0ELNS1_3repE0EEENS1_47radix_sort_onesweep_sort_config_static_selectorELNS0_4arch9wavefront6targetE1EEEvSE_
    .private_segment_fixed_size: 0
    .sgpr_count:     4
    .sgpr_spill_count: 0
    .symbol:         _ZN7rocprim17ROCPRIM_400000_NS6detail17trampoline_kernelINS0_14default_configENS1_35radix_sort_onesweep_config_selectorItNS0_10empty_typeEEEZZNS1_29radix_sort_onesweep_iterationIS3_Lb0EPtS8_PS5_S9_mNS0_19identity_decomposerENS1_16block_id_wrapperIjLb0EEEEE10hipError_tT1_PNSt15iterator_traitsISE_E10value_typeET2_T3_PNSF_ISK_E10value_typeET4_T5_PSP_SQ_PNS1_23onesweep_lookback_stateEbbT6_jjT7_P12ihipStream_tbENKUlT_T0_SE_SJ_E_clIS8_S8_S9_S9_EEDaSX_SY_SE_SJ_EUlSX_E_NS1_11comp_targetILNS1_3genE0ELNS1_11target_archE4294967295ELNS1_3gpuE0ELNS1_3repE0EEENS1_47radix_sort_onesweep_sort_config_static_selectorELNS0_4arch9wavefront6targetE1EEEvSE_.kd
    .uniform_work_group_size: 1
    .uses_dynamic_stack: false
    .vgpr_count:     0
    .vgpr_spill_count: 0
    .wavefront_size: 64
  - .agpr_count:     0
    .args:
      - .offset:         0
        .size:           88
        .value_kind:     by_value
    .group_segment_fixed_size: 0
    .kernarg_segment_align: 8
    .kernarg_segment_size: 88
    .language:       OpenCL C
    .language_version:
      - 2
      - 0
    .max_flat_workgroup_size: 1024
    .name:           _ZN7rocprim17ROCPRIM_400000_NS6detail17trampoline_kernelINS0_14default_configENS1_35radix_sort_onesweep_config_selectorItNS0_10empty_typeEEEZZNS1_29radix_sort_onesweep_iterationIS3_Lb0EPtS8_PS5_S9_mNS0_19identity_decomposerENS1_16block_id_wrapperIjLb0EEEEE10hipError_tT1_PNSt15iterator_traitsISE_E10value_typeET2_T3_PNSF_ISK_E10value_typeET4_T5_PSP_SQ_PNS1_23onesweep_lookback_stateEbbT6_jjT7_P12ihipStream_tbENKUlT_T0_SE_SJ_E_clIS8_S8_S9_S9_EEDaSX_SY_SE_SJ_EUlSX_E_NS1_11comp_targetILNS1_3genE6ELNS1_11target_archE950ELNS1_3gpuE13ELNS1_3repE0EEENS1_47radix_sort_onesweep_sort_config_static_selectorELNS0_4arch9wavefront6targetE1EEEvSE_
    .private_segment_fixed_size: 0
    .sgpr_count:     4
    .sgpr_spill_count: 0
    .symbol:         _ZN7rocprim17ROCPRIM_400000_NS6detail17trampoline_kernelINS0_14default_configENS1_35radix_sort_onesweep_config_selectorItNS0_10empty_typeEEEZZNS1_29radix_sort_onesweep_iterationIS3_Lb0EPtS8_PS5_S9_mNS0_19identity_decomposerENS1_16block_id_wrapperIjLb0EEEEE10hipError_tT1_PNSt15iterator_traitsISE_E10value_typeET2_T3_PNSF_ISK_E10value_typeET4_T5_PSP_SQ_PNS1_23onesweep_lookback_stateEbbT6_jjT7_P12ihipStream_tbENKUlT_T0_SE_SJ_E_clIS8_S8_S9_S9_EEDaSX_SY_SE_SJ_EUlSX_E_NS1_11comp_targetILNS1_3genE6ELNS1_11target_archE950ELNS1_3gpuE13ELNS1_3repE0EEENS1_47radix_sort_onesweep_sort_config_static_selectorELNS0_4arch9wavefront6targetE1EEEvSE_.kd
    .uniform_work_group_size: 1
    .uses_dynamic_stack: false
    .vgpr_count:     0
    .vgpr_spill_count: 0
    .wavefront_size: 64
  - .agpr_count:     0
    .args:
      - .offset:         0
        .size:           88
        .value_kind:     by_value
    .group_segment_fixed_size: 0
    .kernarg_segment_align: 8
    .kernarg_segment_size: 88
    .language:       OpenCL C
    .language_version:
      - 2
      - 0
    .max_flat_workgroup_size: 1024
    .name:           _ZN7rocprim17ROCPRIM_400000_NS6detail17trampoline_kernelINS0_14default_configENS1_35radix_sort_onesweep_config_selectorItNS0_10empty_typeEEEZZNS1_29radix_sort_onesweep_iterationIS3_Lb0EPtS8_PS5_S9_mNS0_19identity_decomposerENS1_16block_id_wrapperIjLb0EEEEE10hipError_tT1_PNSt15iterator_traitsISE_E10value_typeET2_T3_PNSF_ISK_E10value_typeET4_T5_PSP_SQ_PNS1_23onesweep_lookback_stateEbbT6_jjT7_P12ihipStream_tbENKUlT_T0_SE_SJ_E_clIS8_S8_S9_S9_EEDaSX_SY_SE_SJ_EUlSX_E_NS1_11comp_targetILNS1_3genE5ELNS1_11target_archE942ELNS1_3gpuE9ELNS1_3repE0EEENS1_47radix_sort_onesweep_sort_config_static_selectorELNS0_4arch9wavefront6targetE1EEEvSE_
    .private_segment_fixed_size: 0
    .sgpr_count:     4
    .sgpr_spill_count: 0
    .symbol:         _ZN7rocprim17ROCPRIM_400000_NS6detail17trampoline_kernelINS0_14default_configENS1_35radix_sort_onesweep_config_selectorItNS0_10empty_typeEEEZZNS1_29radix_sort_onesweep_iterationIS3_Lb0EPtS8_PS5_S9_mNS0_19identity_decomposerENS1_16block_id_wrapperIjLb0EEEEE10hipError_tT1_PNSt15iterator_traitsISE_E10value_typeET2_T3_PNSF_ISK_E10value_typeET4_T5_PSP_SQ_PNS1_23onesweep_lookback_stateEbbT6_jjT7_P12ihipStream_tbENKUlT_T0_SE_SJ_E_clIS8_S8_S9_S9_EEDaSX_SY_SE_SJ_EUlSX_E_NS1_11comp_targetILNS1_3genE5ELNS1_11target_archE942ELNS1_3gpuE9ELNS1_3repE0EEENS1_47radix_sort_onesweep_sort_config_static_selectorELNS0_4arch9wavefront6targetE1EEEvSE_.kd
    .uniform_work_group_size: 1
    .uses_dynamic_stack: false
    .vgpr_count:     0
    .vgpr_spill_count: 0
    .wavefront_size: 64
  - .agpr_count:     0
    .args:
      - .offset:         0
        .size:           88
        .value_kind:     by_value
    .group_segment_fixed_size: 0
    .kernarg_segment_align: 8
    .kernarg_segment_size: 88
    .language:       OpenCL C
    .language_version:
      - 2
      - 0
    .max_flat_workgroup_size: 512
    .name:           _ZN7rocprim17ROCPRIM_400000_NS6detail17trampoline_kernelINS0_14default_configENS1_35radix_sort_onesweep_config_selectorItNS0_10empty_typeEEEZZNS1_29radix_sort_onesweep_iterationIS3_Lb0EPtS8_PS5_S9_mNS0_19identity_decomposerENS1_16block_id_wrapperIjLb0EEEEE10hipError_tT1_PNSt15iterator_traitsISE_E10value_typeET2_T3_PNSF_ISK_E10value_typeET4_T5_PSP_SQ_PNS1_23onesweep_lookback_stateEbbT6_jjT7_P12ihipStream_tbENKUlT_T0_SE_SJ_E_clIS8_S8_S9_S9_EEDaSX_SY_SE_SJ_EUlSX_E_NS1_11comp_targetILNS1_3genE2ELNS1_11target_archE906ELNS1_3gpuE6ELNS1_3repE0EEENS1_47radix_sort_onesweep_sort_config_static_selectorELNS0_4arch9wavefront6targetE1EEEvSE_
    .private_segment_fixed_size: 0
    .sgpr_count:     4
    .sgpr_spill_count: 0
    .symbol:         _ZN7rocprim17ROCPRIM_400000_NS6detail17trampoline_kernelINS0_14default_configENS1_35radix_sort_onesweep_config_selectorItNS0_10empty_typeEEEZZNS1_29radix_sort_onesweep_iterationIS3_Lb0EPtS8_PS5_S9_mNS0_19identity_decomposerENS1_16block_id_wrapperIjLb0EEEEE10hipError_tT1_PNSt15iterator_traitsISE_E10value_typeET2_T3_PNSF_ISK_E10value_typeET4_T5_PSP_SQ_PNS1_23onesweep_lookback_stateEbbT6_jjT7_P12ihipStream_tbENKUlT_T0_SE_SJ_E_clIS8_S8_S9_S9_EEDaSX_SY_SE_SJ_EUlSX_E_NS1_11comp_targetILNS1_3genE2ELNS1_11target_archE906ELNS1_3gpuE6ELNS1_3repE0EEENS1_47radix_sort_onesweep_sort_config_static_selectorELNS0_4arch9wavefront6targetE1EEEvSE_.kd
    .uniform_work_group_size: 1
    .uses_dynamic_stack: false
    .vgpr_count:     0
    .vgpr_spill_count: 0
    .wavefront_size: 64
  - .agpr_count:     0
    .args:
      - .offset:         0
        .size:           88
        .value_kind:     by_value
      - .offset:         88
        .size:           4
        .value_kind:     hidden_block_count_x
      - .offset:         92
        .size:           4
        .value_kind:     hidden_block_count_y
      - .offset:         96
        .size:           4
        .value_kind:     hidden_block_count_z
      - .offset:         100
        .size:           2
        .value_kind:     hidden_group_size_x
      - .offset:         102
        .size:           2
        .value_kind:     hidden_group_size_y
      - .offset:         104
        .size:           2
        .value_kind:     hidden_group_size_z
      - .offset:         106
        .size:           2
        .value_kind:     hidden_remainder_x
      - .offset:         108
        .size:           2
        .value_kind:     hidden_remainder_y
      - .offset:         110
        .size:           2
        .value_kind:     hidden_remainder_z
      - .offset:         128
        .size:           8
        .value_kind:     hidden_global_offset_x
      - .offset:         136
        .size:           8
        .value_kind:     hidden_global_offset_y
      - .offset:         144
        .size:           8
        .value_kind:     hidden_global_offset_z
      - .offset:         152
        .size:           2
        .value_kind:     hidden_grid_dims
    .group_segment_fixed_size: 26632
    .kernarg_segment_align: 8
    .kernarg_segment_size: 344
    .language:       OpenCL C
    .language_version:
      - 2
      - 0
    .max_flat_workgroup_size: 1024
    .name:           _ZN7rocprim17ROCPRIM_400000_NS6detail17trampoline_kernelINS0_14default_configENS1_35radix_sort_onesweep_config_selectorItNS0_10empty_typeEEEZZNS1_29radix_sort_onesweep_iterationIS3_Lb0EPtS8_PS5_S9_mNS0_19identity_decomposerENS1_16block_id_wrapperIjLb0EEEEE10hipError_tT1_PNSt15iterator_traitsISE_E10value_typeET2_T3_PNSF_ISK_E10value_typeET4_T5_PSP_SQ_PNS1_23onesweep_lookback_stateEbbT6_jjT7_P12ihipStream_tbENKUlT_T0_SE_SJ_E_clIS8_S8_S9_S9_EEDaSX_SY_SE_SJ_EUlSX_E_NS1_11comp_targetILNS1_3genE4ELNS1_11target_archE910ELNS1_3gpuE8ELNS1_3repE0EEENS1_47radix_sort_onesweep_sort_config_static_selectorELNS0_4arch9wavefront6targetE1EEEvSE_
    .private_segment_fixed_size: 0
    .sgpr_count:     35
    .sgpr_spill_count: 0
    .symbol:         _ZN7rocprim17ROCPRIM_400000_NS6detail17trampoline_kernelINS0_14default_configENS1_35radix_sort_onesweep_config_selectorItNS0_10empty_typeEEEZZNS1_29radix_sort_onesweep_iterationIS3_Lb0EPtS8_PS5_S9_mNS0_19identity_decomposerENS1_16block_id_wrapperIjLb0EEEEE10hipError_tT1_PNSt15iterator_traitsISE_E10value_typeET2_T3_PNSF_ISK_E10value_typeET4_T5_PSP_SQ_PNS1_23onesweep_lookback_stateEbbT6_jjT7_P12ihipStream_tbENKUlT_T0_SE_SJ_E_clIS8_S8_S9_S9_EEDaSX_SY_SE_SJ_EUlSX_E_NS1_11comp_targetILNS1_3genE4ELNS1_11target_archE910ELNS1_3gpuE8ELNS1_3repE0EEENS1_47radix_sort_onesweep_sort_config_static_selectorELNS0_4arch9wavefront6targetE1EEEvSE_.kd
    .uniform_work_group_size: 1
    .uses_dynamic_stack: false
    .vgpr_count:     62
    .vgpr_spill_count: 0
    .wavefront_size: 64
  - .agpr_count:     0
    .args:
      - .offset:         0
        .size:           88
        .value_kind:     by_value
    .group_segment_fixed_size: 0
    .kernarg_segment_align: 8
    .kernarg_segment_size: 88
    .language:       OpenCL C
    .language_version:
      - 2
      - 0
    .max_flat_workgroup_size: 512
    .name:           _ZN7rocprim17ROCPRIM_400000_NS6detail17trampoline_kernelINS0_14default_configENS1_35radix_sort_onesweep_config_selectorItNS0_10empty_typeEEEZZNS1_29radix_sort_onesweep_iterationIS3_Lb0EPtS8_PS5_S9_mNS0_19identity_decomposerENS1_16block_id_wrapperIjLb0EEEEE10hipError_tT1_PNSt15iterator_traitsISE_E10value_typeET2_T3_PNSF_ISK_E10value_typeET4_T5_PSP_SQ_PNS1_23onesweep_lookback_stateEbbT6_jjT7_P12ihipStream_tbENKUlT_T0_SE_SJ_E_clIS8_S8_S9_S9_EEDaSX_SY_SE_SJ_EUlSX_E_NS1_11comp_targetILNS1_3genE3ELNS1_11target_archE908ELNS1_3gpuE7ELNS1_3repE0EEENS1_47radix_sort_onesweep_sort_config_static_selectorELNS0_4arch9wavefront6targetE1EEEvSE_
    .private_segment_fixed_size: 0
    .sgpr_count:     4
    .sgpr_spill_count: 0
    .symbol:         _ZN7rocprim17ROCPRIM_400000_NS6detail17trampoline_kernelINS0_14default_configENS1_35radix_sort_onesweep_config_selectorItNS0_10empty_typeEEEZZNS1_29radix_sort_onesweep_iterationIS3_Lb0EPtS8_PS5_S9_mNS0_19identity_decomposerENS1_16block_id_wrapperIjLb0EEEEE10hipError_tT1_PNSt15iterator_traitsISE_E10value_typeET2_T3_PNSF_ISK_E10value_typeET4_T5_PSP_SQ_PNS1_23onesweep_lookback_stateEbbT6_jjT7_P12ihipStream_tbENKUlT_T0_SE_SJ_E_clIS8_S8_S9_S9_EEDaSX_SY_SE_SJ_EUlSX_E_NS1_11comp_targetILNS1_3genE3ELNS1_11target_archE908ELNS1_3gpuE7ELNS1_3repE0EEENS1_47radix_sort_onesweep_sort_config_static_selectorELNS0_4arch9wavefront6targetE1EEEvSE_.kd
    .uniform_work_group_size: 1
    .uses_dynamic_stack: false
    .vgpr_count:     0
    .vgpr_spill_count: 0
    .wavefront_size: 64
  - .agpr_count:     0
    .args:
      - .offset:         0
        .size:           88
        .value_kind:     by_value
    .group_segment_fixed_size: 0
    .kernarg_segment_align: 8
    .kernarg_segment_size: 88
    .language:       OpenCL C
    .language_version:
      - 2
      - 0
    .max_flat_workgroup_size: 256
    .name:           _ZN7rocprim17ROCPRIM_400000_NS6detail17trampoline_kernelINS0_14default_configENS1_35radix_sort_onesweep_config_selectorItNS0_10empty_typeEEEZZNS1_29radix_sort_onesweep_iterationIS3_Lb0EPtS8_PS5_S9_mNS0_19identity_decomposerENS1_16block_id_wrapperIjLb0EEEEE10hipError_tT1_PNSt15iterator_traitsISE_E10value_typeET2_T3_PNSF_ISK_E10value_typeET4_T5_PSP_SQ_PNS1_23onesweep_lookback_stateEbbT6_jjT7_P12ihipStream_tbENKUlT_T0_SE_SJ_E_clIS8_S8_S9_S9_EEDaSX_SY_SE_SJ_EUlSX_E_NS1_11comp_targetILNS1_3genE10ELNS1_11target_archE1201ELNS1_3gpuE5ELNS1_3repE0EEENS1_47radix_sort_onesweep_sort_config_static_selectorELNS0_4arch9wavefront6targetE1EEEvSE_
    .private_segment_fixed_size: 0
    .sgpr_count:     4
    .sgpr_spill_count: 0
    .symbol:         _ZN7rocprim17ROCPRIM_400000_NS6detail17trampoline_kernelINS0_14default_configENS1_35radix_sort_onesweep_config_selectorItNS0_10empty_typeEEEZZNS1_29radix_sort_onesweep_iterationIS3_Lb0EPtS8_PS5_S9_mNS0_19identity_decomposerENS1_16block_id_wrapperIjLb0EEEEE10hipError_tT1_PNSt15iterator_traitsISE_E10value_typeET2_T3_PNSF_ISK_E10value_typeET4_T5_PSP_SQ_PNS1_23onesweep_lookback_stateEbbT6_jjT7_P12ihipStream_tbENKUlT_T0_SE_SJ_E_clIS8_S8_S9_S9_EEDaSX_SY_SE_SJ_EUlSX_E_NS1_11comp_targetILNS1_3genE10ELNS1_11target_archE1201ELNS1_3gpuE5ELNS1_3repE0EEENS1_47radix_sort_onesweep_sort_config_static_selectorELNS0_4arch9wavefront6targetE1EEEvSE_.kd
    .uniform_work_group_size: 1
    .uses_dynamic_stack: false
    .vgpr_count:     0
    .vgpr_spill_count: 0
    .wavefront_size: 64
  - .agpr_count:     0
    .args:
      - .offset:         0
        .size:           88
        .value_kind:     by_value
    .group_segment_fixed_size: 0
    .kernarg_segment_align: 8
    .kernarg_segment_size: 88
    .language:       OpenCL C
    .language_version:
      - 2
      - 0
    .max_flat_workgroup_size: 256
    .name:           _ZN7rocprim17ROCPRIM_400000_NS6detail17trampoline_kernelINS0_14default_configENS1_35radix_sort_onesweep_config_selectorItNS0_10empty_typeEEEZZNS1_29radix_sort_onesweep_iterationIS3_Lb0EPtS8_PS5_S9_mNS0_19identity_decomposerENS1_16block_id_wrapperIjLb0EEEEE10hipError_tT1_PNSt15iterator_traitsISE_E10value_typeET2_T3_PNSF_ISK_E10value_typeET4_T5_PSP_SQ_PNS1_23onesweep_lookback_stateEbbT6_jjT7_P12ihipStream_tbENKUlT_T0_SE_SJ_E_clIS8_S8_S9_S9_EEDaSX_SY_SE_SJ_EUlSX_E_NS1_11comp_targetILNS1_3genE9ELNS1_11target_archE1100ELNS1_3gpuE3ELNS1_3repE0EEENS1_47radix_sort_onesweep_sort_config_static_selectorELNS0_4arch9wavefront6targetE1EEEvSE_
    .private_segment_fixed_size: 0
    .sgpr_count:     4
    .sgpr_spill_count: 0
    .symbol:         _ZN7rocprim17ROCPRIM_400000_NS6detail17trampoline_kernelINS0_14default_configENS1_35radix_sort_onesweep_config_selectorItNS0_10empty_typeEEEZZNS1_29radix_sort_onesweep_iterationIS3_Lb0EPtS8_PS5_S9_mNS0_19identity_decomposerENS1_16block_id_wrapperIjLb0EEEEE10hipError_tT1_PNSt15iterator_traitsISE_E10value_typeET2_T3_PNSF_ISK_E10value_typeET4_T5_PSP_SQ_PNS1_23onesweep_lookback_stateEbbT6_jjT7_P12ihipStream_tbENKUlT_T0_SE_SJ_E_clIS8_S8_S9_S9_EEDaSX_SY_SE_SJ_EUlSX_E_NS1_11comp_targetILNS1_3genE9ELNS1_11target_archE1100ELNS1_3gpuE3ELNS1_3repE0EEENS1_47radix_sort_onesweep_sort_config_static_selectorELNS0_4arch9wavefront6targetE1EEEvSE_.kd
    .uniform_work_group_size: 1
    .uses_dynamic_stack: false
    .vgpr_count:     0
    .vgpr_spill_count: 0
    .wavefront_size: 64
  - .agpr_count:     0
    .args:
      - .offset:         0
        .size:           88
        .value_kind:     by_value
    .group_segment_fixed_size: 0
    .kernarg_segment_align: 8
    .kernarg_segment_size: 88
    .language:       OpenCL C
    .language_version:
      - 2
      - 0
    .max_flat_workgroup_size: 256
    .name:           _ZN7rocprim17ROCPRIM_400000_NS6detail17trampoline_kernelINS0_14default_configENS1_35radix_sort_onesweep_config_selectorItNS0_10empty_typeEEEZZNS1_29radix_sort_onesweep_iterationIS3_Lb0EPtS8_PS5_S9_mNS0_19identity_decomposerENS1_16block_id_wrapperIjLb0EEEEE10hipError_tT1_PNSt15iterator_traitsISE_E10value_typeET2_T3_PNSF_ISK_E10value_typeET4_T5_PSP_SQ_PNS1_23onesweep_lookback_stateEbbT6_jjT7_P12ihipStream_tbENKUlT_T0_SE_SJ_E_clIS8_S8_S9_S9_EEDaSX_SY_SE_SJ_EUlSX_E_NS1_11comp_targetILNS1_3genE8ELNS1_11target_archE1030ELNS1_3gpuE2ELNS1_3repE0EEENS1_47radix_sort_onesweep_sort_config_static_selectorELNS0_4arch9wavefront6targetE1EEEvSE_
    .private_segment_fixed_size: 0
    .sgpr_count:     4
    .sgpr_spill_count: 0
    .symbol:         _ZN7rocprim17ROCPRIM_400000_NS6detail17trampoline_kernelINS0_14default_configENS1_35radix_sort_onesweep_config_selectorItNS0_10empty_typeEEEZZNS1_29radix_sort_onesweep_iterationIS3_Lb0EPtS8_PS5_S9_mNS0_19identity_decomposerENS1_16block_id_wrapperIjLb0EEEEE10hipError_tT1_PNSt15iterator_traitsISE_E10value_typeET2_T3_PNSF_ISK_E10value_typeET4_T5_PSP_SQ_PNS1_23onesweep_lookback_stateEbbT6_jjT7_P12ihipStream_tbENKUlT_T0_SE_SJ_E_clIS8_S8_S9_S9_EEDaSX_SY_SE_SJ_EUlSX_E_NS1_11comp_targetILNS1_3genE8ELNS1_11target_archE1030ELNS1_3gpuE2ELNS1_3repE0EEENS1_47radix_sort_onesweep_sort_config_static_selectorELNS0_4arch9wavefront6targetE1EEEvSE_.kd
    .uniform_work_group_size: 1
    .uses_dynamic_stack: false
    .vgpr_count:     0
    .vgpr_spill_count: 0
    .wavefront_size: 64
  - .agpr_count:     0
    .args:
      - .offset:         0
        .size:           48
        .value_kind:     by_value
    .group_segment_fixed_size: 0
    .kernarg_segment_align: 8
    .kernarg_segment_size: 48
    .language:       OpenCL C
    .language_version:
      - 2
      - 0
    .max_flat_workgroup_size: 256
    .name:           _ZN7rocprim17ROCPRIM_400000_NS6detail17trampoline_kernelINS0_13kernel_configILj256ELj4ELj4294967295EEENS1_37radix_sort_block_sort_config_selectorIiNS0_10empty_typeEEEZNS1_21radix_sort_block_sortIS4_Lb0EPiS9_PS6_SA_NS0_19identity_decomposerEEE10hipError_tT1_T2_T3_T4_jRjT5_jjP12ihipStream_tbEUlT_E_NS1_11comp_targetILNS1_3genE0ELNS1_11target_archE4294967295ELNS1_3gpuE0ELNS1_3repE0EEENS1_44radix_sort_block_sort_config_static_selectorELNS0_4arch9wavefront6targetE1EEEvSD_
    .private_segment_fixed_size: 0
    .sgpr_count:     4
    .sgpr_spill_count: 0
    .symbol:         _ZN7rocprim17ROCPRIM_400000_NS6detail17trampoline_kernelINS0_13kernel_configILj256ELj4ELj4294967295EEENS1_37radix_sort_block_sort_config_selectorIiNS0_10empty_typeEEEZNS1_21radix_sort_block_sortIS4_Lb0EPiS9_PS6_SA_NS0_19identity_decomposerEEE10hipError_tT1_T2_T3_T4_jRjT5_jjP12ihipStream_tbEUlT_E_NS1_11comp_targetILNS1_3genE0ELNS1_11target_archE4294967295ELNS1_3gpuE0ELNS1_3repE0EEENS1_44radix_sort_block_sort_config_static_selectorELNS0_4arch9wavefront6targetE1EEEvSD_.kd
    .uniform_work_group_size: 1
    .uses_dynamic_stack: false
    .vgpr_count:     0
    .vgpr_spill_count: 0
    .wavefront_size: 64
  - .agpr_count:     0
    .args:
      - .offset:         0
        .size:           48
        .value_kind:     by_value
    .group_segment_fixed_size: 0
    .kernarg_segment_align: 8
    .kernarg_segment_size: 48
    .language:       OpenCL C
    .language_version:
      - 2
      - 0
    .max_flat_workgroup_size: 256
    .name:           _ZN7rocprim17ROCPRIM_400000_NS6detail17trampoline_kernelINS0_13kernel_configILj256ELj4ELj4294967295EEENS1_37radix_sort_block_sort_config_selectorIiNS0_10empty_typeEEEZNS1_21radix_sort_block_sortIS4_Lb0EPiS9_PS6_SA_NS0_19identity_decomposerEEE10hipError_tT1_T2_T3_T4_jRjT5_jjP12ihipStream_tbEUlT_E_NS1_11comp_targetILNS1_3genE5ELNS1_11target_archE942ELNS1_3gpuE9ELNS1_3repE0EEENS1_44radix_sort_block_sort_config_static_selectorELNS0_4arch9wavefront6targetE1EEEvSD_
    .private_segment_fixed_size: 0
    .sgpr_count:     4
    .sgpr_spill_count: 0
    .symbol:         _ZN7rocprim17ROCPRIM_400000_NS6detail17trampoline_kernelINS0_13kernel_configILj256ELj4ELj4294967295EEENS1_37radix_sort_block_sort_config_selectorIiNS0_10empty_typeEEEZNS1_21radix_sort_block_sortIS4_Lb0EPiS9_PS6_SA_NS0_19identity_decomposerEEE10hipError_tT1_T2_T3_T4_jRjT5_jjP12ihipStream_tbEUlT_E_NS1_11comp_targetILNS1_3genE5ELNS1_11target_archE942ELNS1_3gpuE9ELNS1_3repE0EEENS1_44radix_sort_block_sort_config_static_selectorELNS0_4arch9wavefront6targetE1EEEvSD_.kd
    .uniform_work_group_size: 1
    .uses_dynamic_stack: false
    .vgpr_count:     0
    .vgpr_spill_count: 0
    .wavefront_size: 64
  - .agpr_count:     0
    .args:
      - .offset:         0
        .size:           48
        .value_kind:     by_value
      - .offset:         48
        .size:           4
        .value_kind:     hidden_block_count_x
      - .offset:         52
        .size:           4
        .value_kind:     hidden_block_count_y
      - .offset:         56
        .size:           4
        .value_kind:     hidden_block_count_z
      - .offset:         60
        .size:           2
        .value_kind:     hidden_group_size_x
      - .offset:         62
        .size:           2
        .value_kind:     hidden_group_size_y
      - .offset:         64
        .size:           2
        .value_kind:     hidden_group_size_z
      - .offset:         66
        .size:           2
        .value_kind:     hidden_remainder_x
      - .offset:         68
        .size:           2
        .value_kind:     hidden_remainder_y
      - .offset:         70
        .size:           2
        .value_kind:     hidden_remainder_z
      - .offset:         88
        .size:           8
        .value_kind:     hidden_global_offset_x
      - .offset:         96
        .size:           8
        .value_kind:     hidden_global_offset_y
      - .offset:         104
        .size:           8
        .value_kind:     hidden_global_offset_z
      - .offset:         112
        .size:           2
        .value_kind:     hidden_grid_dims
    .group_segment_fixed_size: 4112
    .kernarg_segment_align: 8
    .kernarg_segment_size: 304
    .language:       OpenCL C
    .language_version:
      - 2
      - 0
    .max_flat_workgroup_size: 256
    .name:           _ZN7rocprim17ROCPRIM_400000_NS6detail17trampoline_kernelINS0_13kernel_configILj256ELj4ELj4294967295EEENS1_37radix_sort_block_sort_config_selectorIiNS0_10empty_typeEEEZNS1_21radix_sort_block_sortIS4_Lb0EPiS9_PS6_SA_NS0_19identity_decomposerEEE10hipError_tT1_T2_T3_T4_jRjT5_jjP12ihipStream_tbEUlT_E_NS1_11comp_targetILNS1_3genE4ELNS1_11target_archE910ELNS1_3gpuE8ELNS1_3repE0EEENS1_44radix_sort_block_sort_config_static_selectorELNS0_4arch9wavefront6targetE1EEEvSD_
    .private_segment_fixed_size: 0
    .sgpr_count:     48
    .sgpr_spill_count: 0
    .symbol:         _ZN7rocprim17ROCPRIM_400000_NS6detail17trampoline_kernelINS0_13kernel_configILj256ELj4ELj4294967295EEENS1_37radix_sort_block_sort_config_selectorIiNS0_10empty_typeEEEZNS1_21radix_sort_block_sortIS4_Lb0EPiS9_PS6_SA_NS0_19identity_decomposerEEE10hipError_tT1_T2_T3_T4_jRjT5_jjP12ihipStream_tbEUlT_E_NS1_11comp_targetILNS1_3genE4ELNS1_11target_archE910ELNS1_3gpuE8ELNS1_3repE0EEENS1_44radix_sort_block_sort_config_static_selectorELNS0_4arch9wavefront6targetE1EEEvSD_.kd
    .uniform_work_group_size: 1
    .uses_dynamic_stack: false
    .vgpr_count:     39
    .vgpr_spill_count: 0
    .wavefront_size: 64
  - .agpr_count:     0
    .args:
      - .offset:         0
        .size:           48
        .value_kind:     by_value
    .group_segment_fixed_size: 0
    .kernarg_segment_align: 8
    .kernarg_segment_size: 48
    .language:       OpenCL C
    .language_version:
      - 2
      - 0
    .max_flat_workgroup_size: 256
    .name:           _ZN7rocprim17ROCPRIM_400000_NS6detail17trampoline_kernelINS0_13kernel_configILj256ELj4ELj4294967295EEENS1_37radix_sort_block_sort_config_selectorIiNS0_10empty_typeEEEZNS1_21radix_sort_block_sortIS4_Lb0EPiS9_PS6_SA_NS0_19identity_decomposerEEE10hipError_tT1_T2_T3_T4_jRjT5_jjP12ihipStream_tbEUlT_E_NS1_11comp_targetILNS1_3genE3ELNS1_11target_archE908ELNS1_3gpuE7ELNS1_3repE0EEENS1_44radix_sort_block_sort_config_static_selectorELNS0_4arch9wavefront6targetE1EEEvSD_
    .private_segment_fixed_size: 0
    .sgpr_count:     4
    .sgpr_spill_count: 0
    .symbol:         _ZN7rocprim17ROCPRIM_400000_NS6detail17trampoline_kernelINS0_13kernel_configILj256ELj4ELj4294967295EEENS1_37radix_sort_block_sort_config_selectorIiNS0_10empty_typeEEEZNS1_21radix_sort_block_sortIS4_Lb0EPiS9_PS6_SA_NS0_19identity_decomposerEEE10hipError_tT1_T2_T3_T4_jRjT5_jjP12ihipStream_tbEUlT_E_NS1_11comp_targetILNS1_3genE3ELNS1_11target_archE908ELNS1_3gpuE7ELNS1_3repE0EEENS1_44radix_sort_block_sort_config_static_selectorELNS0_4arch9wavefront6targetE1EEEvSD_.kd
    .uniform_work_group_size: 1
    .uses_dynamic_stack: false
    .vgpr_count:     0
    .vgpr_spill_count: 0
    .wavefront_size: 64
  - .agpr_count:     0
    .args:
      - .offset:         0
        .size:           48
        .value_kind:     by_value
    .group_segment_fixed_size: 0
    .kernarg_segment_align: 8
    .kernarg_segment_size: 48
    .language:       OpenCL C
    .language_version:
      - 2
      - 0
    .max_flat_workgroup_size: 256
    .name:           _ZN7rocprim17ROCPRIM_400000_NS6detail17trampoline_kernelINS0_13kernel_configILj256ELj4ELj4294967295EEENS1_37radix_sort_block_sort_config_selectorIiNS0_10empty_typeEEEZNS1_21radix_sort_block_sortIS4_Lb0EPiS9_PS6_SA_NS0_19identity_decomposerEEE10hipError_tT1_T2_T3_T4_jRjT5_jjP12ihipStream_tbEUlT_E_NS1_11comp_targetILNS1_3genE2ELNS1_11target_archE906ELNS1_3gpuE6ELNS1_3repE0EEENS1_44radix_sort_block_sort_config_static_selectorELNS0_4arch9wavefront6targetE1EEEvSD_
    .private_segment_fixed_size: 0
    .sgpr_count:     4
    .sgpr_spill_count: 0
    .symbol:         _ZN7rocprim17ROCPRIM_400000_NS6detail17trampoline_kernelINS0_13kernel_configILj256ELj4ELj4294967295EEENS1_37radix_sort_block_sort_config_selectorIiNS0_10empty_typeEEEZNS1_21radix_sort_block_sortIS4_Lb0EPiS9_PS6_SA_NS0_19identity_decomposerEEE10hipError_tT1_T2_T3_T4_jRjT5_jjP12ihipStream_tbEUlT_E_NS1_11comp_targetILNS1_3genE2ELNS1_11target_archE906ELNS1_3gpuE6ELNS1_3repE0EEENS1_44radix_sort_block_sort_config_static_selectorELNS0_4arch9wavefront6targetE1EEEvSD_.kd
    .uniform_work_group_size: 1
    .uses_dynamic_stack: false
    .vgpr_count:     0
    .vgpr_spill_count: 0
    .wavefront_size: 64
  - .agpr_count:     0
    .args:
      - .offset:         0
        .size:           48
        .value_kind:     by_value
    .group_segment_fixed_size: 0
    .kernarg_segment_align: 8
    .kernarg_segment_size: 48
    .language:       OpenCL C
    .language_version:
      - 2
      - 0
    .max_flat_workgroup_size: 256
    .name:           _ZN7rocprim17ROCPRIM_400000_NS6detail17trampoline_kernelINS0_13kernel_configILj256ELj4ELj4294967295EEENS1_37radix_sort_block_sort_config_selectorIiNS0_10empty_typeEEEZNS1_21radix_sort_block_sortIS4_Lb0EPiS9_PS6_SA_NS0_19identity_decomposerEEE10hipError_tT1_T2_T3_T4_jRjT5_jjP12ihipStream_tbEUlT_E_NS1_11comp_targetILNS1_3genE10ELNS1_11target_archE1201ELNS1_3gpuE5ELNS1_3repE0EEENS1_44radix_sort_block_sort_config_static_selectorELNS0_4arch9wavefront6targetE1EEEvSD_
    .private_segment_fixed_size: 0
    .sgpr_count:     4
    .sgpr_spill_count: 0
    .symbol:         _ZN7rocprim17ROCPRIM_400000_NS6detail17trampoline_kernelINS0_13kernel_configILj256ELj4ELj4294967295EEENS1_37radix_sort_block_sort_config_selectorIiNS0_10empty_typeEEEZNS1_21radix_sort_block_sortIS4_Lb0EPiS9_PS6_SA_NS0_19identity_decomposerEEE10hipError_tT1_T2_T3_T4_jRjT5_jjP12ihipStream_tbEUlT_E_NS1_11comp_targetILNS1_3genE10ELNS1_11target_archE1201ELNS1_3gpuE5ELNS1_3repE0EEENS1_44radix_sort_block_sort_config_static_selectorELNS0_4arch9wavefront6targetE1EEEvSD_.kd
    .uniform_work_group_size: 1
    .uses_dynamic_stack: false
    .vgpr_count:     0
    .vgpr_spill_count: 0
    .wavefront_size: 64
  - .agpr_count:     0
    .args:
      - .offset:         0
        .size:           48
        .value_kind:     by_value
    .group_segment_fixed_size: 0
    .kernarg_segment_align: 8
    .kernarg_segment_size: 48
    .language:       OpenCL C
    .language_version:
      - 2
      - 0
    .max_flat_workgroup_size: 256
    .name:           _ZN7rocprim17ROCPRIM_400000_NS6detail17trampoline_kernelINS0_13kernel_configILj256ELj4ELj4294967295EEENS1_37radix_sort_block_sort_config_selectorIiNS0_10empty_typeEEEZNS1_21radix_sort_block_sortIS4_Lb0EPiS9_PS6_SA_NS0_19identity_decomposerEEE10hipError_tT1_T2_T3_T4_jRjT5_jjP12ihipStream_tbEUlT_E_NS1_11comp_targetILNS1_3genE10ELNS1_11target_archE1200ELNS1_3gpuE4ELNS1_3repE0EEENS1_44radix_sort_block_sort_config_static_selectorELNS0_4arch9wavefront6targetE1EEEvSD_
    .private_segment_fixed_size: 0
    .sgpr_count:     4
    .sgpr_spill_count: 0
    .symbol:         _ZN7rocprim17ROCPRIM_400000_NS6detail17trampoline_kernelINS0_13kernel_configILj256ELj4ELj4294967295EEENS1_37radix_sort_block_sort_config_selectorIiNS0_10empty_typeEEEZNS1_21radix_sort_block_sortIS4_Lb0EPiS9_PS6_SA_NS0_19identity_decomposerEEE10hipError_tT1_T2_T3_T4_jRjT5_jjP12ihipStream_tbEUlT_E_NS1_11comp_targetILNS1_3genE10ELNS1_11target_archE1200ELNS1_3gpuE4ELNS1_3repE0EEENS1_44radix_sort_block_sort_config_static_selectorELNS0_4arch9wavefront6targetE1EEEvSD_.kd
    .uniform_work_group_size: 1
    .uses_dynamic_stack: false
    .vgpr_count:     0
    .vgpr_spill_count: 0
    .wavefront_size: 64
  - .agpr_count:     0
    .args:
      - .offset:         0
        .size:           48
        .value_kind:     by_value
    .group_segment_fixed_size: 0
    .kernarg_segment_align: 8
    .kernarg_segment_size: 48
    .language:       OpenCL C
    .language_version:
      - 2
      - 0
    .max_flat_workgroup_size: 256
    .name:           _ZN7rocprim17ROCPRIM_400000_NS6detail17trampoline_kernelINS0_13kernel_configILj256ELj4ELj4294967295EEENS1_37radix_sort_block_sort_config_selectorIiNS0_10empty_typeEEEZNS1_21radix_sort_block_sortIS4_Lb0EPiS9_PS6_SA_NS0_19identity_decomposerEEE10hipError_tT1_T2_T3_T4_jRjT5_jjP12ihipStream_tbEUlT_E_NS1_11comp_targetILNS1_3genE9ELNS1_11target_archE1100ELNS1_3gpuE3ELNS1_3repE0EEENS1_44radix_sort_block_sort_config_static_selectorELNS0_4arch9wavefront6targetE1EEEvSD_
    .private_segment_fixed_size: 0
    .sgpr_count:     4
    .sgpr_spill_count: 0
    .symbol:         _ZN7rocprim17ROCPRIM_400000_NS6detail17trampoline_kernelINS0_13kernel_configILj256ELj4ELj4294967295EEENS1_37radix_sort_block_sort_config_selectorIiNS0_10empty_typeEEEZNS1_21radix_sort_block_sortIS4_Lb0EPiS9_PS6_SA_NS0_19identity_decomposerEEE10hipError_tT1_T2_T3_T4_jRjT5_jjP12ihipStream_tbEUlT_E_NS1_11comp_targetILNS1_3genE9ELNS1_11target_archE1100ELNS1_3gpuE3ELNS1_3repE0EEENS1_44radix_sort_block_sort_config_static_selectorELNS0_4arch9wavefront6targetE1EEEvSD_.kd
    .uniform_work_group_size: 1
    .uses_dynamic_stack: false
    .vgpr_count:     0
    .vgpr_spill_count: 0
    .wavefront_size: 64
  - .agpr_count:     0
    .args:
      - .offset:         0
        .size:           48
        .value_kind:     by_value
    .group_segment_fixed_size: 0
    .kernarg_segment_align: 8
    .kernarg_segment_size: 48
    .language:       OpenCL C
    .language_version:
      - 2
      - 0
    .max_flat_workgroup_size: 256
    .name:           _ZN7rocprim17ROCPRIM_400000_NS6detail17trampoline_kernelINS0_13kernel_configILj256ELj4ELj4294967295EEENS1_37radix_sort_block_sort_config_selectorIiNS0_10empty_typeEEEZNS1_21radix_sort_block_sortIS4_Lb0EPiS9_PS6_SA_NS0_19identity_decomposerEEE10hipError_tT1_T2_T3_T4_jRjT5_jjP12ihipStream_tbEUlT_E_NS1_11comp_targetILNS1_3genE8ELNS1_11target_archE1030ELNS1_3gpuE2ELNS1_3repE0EEENS1_44radix_sort_block_sort_config_static_selectorELNS0_4arch9wavefront6targetE1EEEvSD_
    .private_segment_fixed_size: 0
    .sgpr_count:     4
    .sgpr_spill_count: 0
    .symbol:         _ZN7rocprim17ROCPRIM_400000_NS6detail17trampoline_kernelINS0_13kernel_configILj256ELj4ELj4294967295EEENS1_37radix_sort_block_sort_config_selectorIiNS0_10empty_typeEEEZNS1_21radix_sort_block_sortIS4_Lb0EPiS9_PS6_SA_NS0_19identity_decomposerEEE10hipError_tT1_T2_T3_T4_jRjT5_jjP12ihipStream_tbEUlT_E_NS1_11comp_targetILNS1_3genE8ELNS1_11target_archE1030ELNS1_3gpuE2ELNS1_3repE0EEENS1_44radix_sort_block_sort_config_static_selectorELNS0_4arch9wavefront6targetE1EEEvSD_.kd
    .uniform_work_group_size: 1
    .uses_dynamic_stack: false
    .vgpr_count:     0
    .vgpr_spill_count: 0
    .wavefront_size: 64
  - .agpr_count:     0
    .args:           []
    .group_segment_fixed_size: 0
    .kernarg_segment_align: 4
    .kernarg_segment_size: 0
    .language:       OpenCL C
    .language_version:
      - 2
      - 0
    .max_flat_workgroup_size: 1024
    .name:           _ZN7rocprim17ROCPRIM_400000_NS6detail44device_merge_sort_compile_time_verifier_archINS1_11comp_targetILNS1_3genE0ELNS1_11target_archE4294967295ELNS1_3gpuE0ELNS1_3repE0EEES8_NS1_28merge_sort_block_sort_configILj256ELj4ELNS0_20block_sort_algorithmE0EEENS0_14default_configENS1_37merge_sort_block_sort_config_selectorIiNS0_10empty_typeEEENS1_38merge_sort_block_merge_config_selectorIiSE_EEEEvv
    .private_segment_fixed_size: 0
    .sgpr_count:     4
    .sgpr_spill_count: 0
    .symbol:         _ZN7rocprim17ROCPRIM_400000_NS6detail44device_merge_sort_compile_time_verifier_archINS1_11comp_targetILNS1_3genE0ELNS1_11target_archE4294967295ELNS1_3gpuE0ELNS1_3repE0EEES8_NS1_28merge_sort_block_sort_configILj256ELj4ELNS0_20block_sort_algorithmE0EEENS0_14default_configENS1_37merge_sort_block_sort_config_selectorIiNS0_10empty_typeEEENS1_38merge_sort_block_merge_config_selectorIiSE_EEEEvv.kd
    .uniform_work_group_size: 1
    .uses_dynamic_stack: false
    .vgpr_count:     0
    .vgpr_spill_count: 0
    .wavefront_size: 64
  - .agpr_count:     0
    .args:           []
    .group_segment_fixed_size: 0
    .kernarg_segment_align: 4
    .kernarg_segment_size: 0
    .language:       OpenCL C
    .language_version:
      - 2
      - 0
    .max_flat_workgroup_size: 1024
    .name:           _ZN7rocprim17ROCPRIM_400000_NS6detail44device_merge_sort_compile_time_verifier_archINS1_11comp_targetILNS1_3genE5ELNS1_11target_archE942ELNS1_3gpuE9ELNS1_3repE0EEES8_NS1_28merge_sort_block_sort_configILj256ELj4ELNS0_20block_sort_algorithmE0EEENS0_14default_configENS1_37merge_sort_block_sort_config_selectorIiNS0_10empty_typeEEENS1_38merge_sort_block_merge_config_selectorIiSE_EEEEvv
    .private_segment_fixed_size: 0
    .sgpr_count:     4
    .sgpr_spill_count: 0
    .symbol:         _ZN7rocprim17ROCPRIM_400000_NS6detail44device_merge_sort_compile_time_verifier_archINS1_11comp_targetILNS1_3genE5ELNS1_11target_archE942ELNS1_3gpuE9ELNS1_3repE0EEES8_NS1_28merge_sort_block_sort_configILj256ELj4ELNS0_20block_sort_algorithmE0EEENS0_14default_configENS1_37merge_sort_block_sort_config_selectorIiNS0_10empty_typeEEENS1_38merge_sort_block_merge_config_selectorIiSE_EEEEvv.kd
    .uniform_work_group_size: 1
    .uses_dynamic_stack: false
    .vgpr_count:     0
    .vgpr_spill_count: 0
    .wavefront_size: 64
  - .agpr_count:     0
    .args:           []
    .group_segment_fixed_size: 0
    .kernarg_segment_align: 4
    .kernarg_segment_size: 0
    .language:       OpenCL C
    .language_version:
      - 2
      - 0
    .max_flat_workgroup_size: 1024
    .name:           _ZN7rocprim17ROCPRIM_400000_NS6detail44device_merge_sort_compile_time_verifier_archINS1_11comp_targetILNS1_3genE4ELNS1_11target_archE910ELNS1_3gpuE8ELNS1_3repE0EEES8_NS1_28merge_sort_block_sort_configILj256ELj4ELNS0_20block_sort_algorithmE0EEENS0_14default_configENS1_37merge_sort_block_sort_config_selectorIiNS0_10empty_typeEEENS1_38merge_sort_block_merge_config_selectorIiSE_EEEEvv
    .private_segment_fixed_size: 0
    .sgpr_count:     4
    .sgpr_spill_count: 0
    .symbol:         _ZN7rocprim17ROCPRIM_400000_NS6detail44device_merge_sort_compile_time_verifier_archINS1_11comp_targetILNS1_3genE4ELNS1_11target_archE910ELNS1_3gpuE8ELNS1_3repE0EEES8_NS1_28merge_sort_block_sort_configILj256ELj4ELNS0_20block_sort_algorithmE0EEENS0_14default_configENS1_37merge_sort_block_sort_config_selectorIiNS0_10empty_typeEEENS1_38merge_sort_block_merge_config_selectorIiSE_EEEEvv.kd
    .uniform_work_group_size: 1
    .uses_dynamic_stack: false
    .vgpr_count:     0
    .vgpr_spill_count: 0
    .wavefront_size: 64
  - .agpr_count:     0
    .args:           []
    .group_segment_fixed_size: 0
    .kernarg_segment_align: 4
    .kernarg_segment_size: 0
    .language:       OpenCL C
    .language_version:
      - 2
      - 0
    .max_flat_workgroup_size: 1024
    .name:           _ZN7rocprim17ROCPRIM_400000_NS6detail44device_merge_sort_compile_time_verifier_archINS1_11comp_targetILNS1_3genE3ELNS1_11target_archE908ELNS1_3gpuE7ELNS1_3repE0EEES8_NS1_28merge_sort_block_sort_configILj256ELj4ELNS0_20block_sort_algorithmE0EEENS0_14default_configENS1_37merge_sort_block_sort_config_selectorIiNS0_10empty_typeEEENS1_38merge_sort_block_merge_config_selectorIiSE_EEEEvv
    .private_segment_fixed_size: 0
    .sgpr_count:     4
    .sgpr_spill_count: 0
    .symbol:         _ZN7rocprim17ROCPRIM_400000_NS6detail44device_merge_sort_compile_time_verifier_archINS1_11comp_targetILNS1_3genE3ELNS1_11target_archE908ELNS1_3gpuE7ELNS1_3repE0EEES8_NS1_28merge_sort_block_sort_configILj256ELj4ELNS0_20block_sort_algorithmE0EEENS0_14default_configENS1_37merge_sort_block_sort_config_selectorIiNS0_10empty_typeEEENS1_38merge_sort_block_merge_config_selectorIiSE_EEEEvv.kd
    .uniform_work_group_size: 1
    .uses_dynamic_stack: false
    .vgpr_count:     0
    .vgpr_spill_count: 0
    .wavefront_size: 64
  - .agpr_count:     0
    .args:           []
    .group_segment_fixed_size: 0
    .kernarg_segment_align: 4
    .kernarg_segment_size: 0
    .language:       OpenCL C
    .language_version:
      - 2
      - 0
    .max_flat_workgroup_size: 1024
    .name:           _ZN7rocprim17ROCPRIM_400000_NS6detail44device_merge_sort_compile_time_verifier_archINS1_11comp_targetILNS1_3genE2ELNS1_11target_archE906ELNS1_3gpuE6ELNS1_3repE0EEES8_NS1_28merge_sort_block_sort_configILj256ELj4ELNS0_20block_sort_algorithmE0EEENS0_14default_configENS1_37merge_sort_block_sort_config_selectorIiNS0_10empty_typeEEENS1_38merge_sort_block_merge_config_selectorIiSE_EEEEvv
    .private_segment_fixed_size: 0
    .sgpr_count:     4
    .sgpr_spill_count: 0
    .symbol:         _ZN7rocprim17ROCPRIM_400000_NS6detail44device_merge_sort_compile_time_verifier_archINS1_11comp_targetILNS1_3genE2ELNS1_11target_archE906ELNS1_3gpuE6ELNS1_3repE0EEES8_NS1_28merge_sort_block_sort_configILj256ELj4ELNS0_20block_sort_algorithmE0EEENS0_14default_configENS1_37merge_sort_block_sort_config_selectorIiNS0_10empty_typeEEENS1_38merge_sort_block_merge_config_selectorIiSE_EEEEvv.kd
    .uniform_work_group_size: 1
    .uses_dynamic_stack: false
    .vgpr_count:     0
    .vgpr_spill_count: 0
    .wavefront_size: 64
  - .agpr_count:     0
    .args:           []
    .group_segment_fixed_size: 0
    .kernarg_segment_align: 4
    .kernarg_segment_size: 0
    .language:       OpenCL C
    .language_version:
      - 2
      - 0
    .max_flat_workgroup_size: 1024
    .name:           _ZN7rocprim17ROCPRIM_400000_NS6detail44device_merge_sort_compile_time_verifier_archINS1_11comp_targetILNS1_3genE10ELNS1_11target_archE1201ELNS1_3gpuE5ELNS1_3repE0EEES8_NS1_28merge_sort_block_sort_configILj256ELj4ELNS0_20block_sort_algorithmE0EEENS0_14default_configENS1_37merge_sort_block_sort_config_selectorIiNS0_10empty_typeEEENS1_38merge_sort_block_merge_config_selectorIiSE_EEEEvv
    .private_segment_fixed_size: 0
    .sgpr_count:     4
    .sgpr_spill_count: 0
    .symbol:         _ZN7rocprim17ROCPRIM_400000_NS6detail44device_merge_sort_compile_time_verifier_archINS1_11comp_targetILNS1_3genE10ELNS1_11target_archE1201ELNS1_3gpuE5ELNS1_3repE0EEES8_NS1_28merge_sort_block_sort_configILj256ELj4ELNS0_20block_sort_algorithmE0EEENS0_14default_configENS1_37merge_sort_block_sort_config_selectorIiNS0_10empty_typeEEENS1_38merge_sort_block_merge_config_selectorIiSE_EEEEvv.kd
    .uniform_work_group_size: 1
    .uses_dynamic_stack: false
    .vgpr_count:     0
    .vgpr_spill_count: 0
    .wavefront_size: 64
  - .agpr_count:     0
    .args:           []
    .group_segment_fixed_size: 0
    .kernarg_segment_align: 4
    .kernarg_segment_size: 0
    .language:       OpenCL C
    .language_version:
      - 2
      - 0
    .max_flat_workgroup_size: 1024
    .name:           _ZN7rocprim17ROCPRIM_400000_NS6detail44device_merge_sort_compile_time_verifier_archINS1_11comp_targetILNS1_3genE10ELNS1_11target_archE1200ELNS1_3gpuE4ELNS1_3repE0EEENS3_ILS4_10ELS5_1201ELS6_5ELS7_0EEENS1_28merge_sort_block_sort_configILj256ELj4ELNS0_20block_sort_algorithmE0EEENS0_14default_configENS1_37merge_sort_block_sort_config_selectorIiNS0_10empty_typeEEENS1_38merge_sort_block_merge_config_selectorIiSF_EEEEvv
    .private_segment_fixed_size: 0
    .sgpr_count:     4
    .sgpr_spill_count: 0
    .symbol:         _ZN7rocprim17ROCPRIM_400000_NS6detail44device_merge_sort_compile_time_verifier_archINS1_11comp_targetILNS1_3genE10ELNS1_11target_archE1200ELNS1_3gpuE4ELNS1_3repE0EEENS3_ILS4_10ELS5_1201ELS6_5ELS7_0EEENS1_28merge_sort_block_sort_configILj256ELj4ELNS0_20block_sort_algorithmE0EEENS0_14default_configENS1_37merge_sort_block_sort_config_selectorIiNS0_10empty_typeEEENS1_38merge_sort_block_merge_config_selectorIiSF_EEEEvv.kd
    .uniform_work_group_size: 1
    .uses_dynamic_stack: false
    .vgpr_count:     0
    .vgpr_spill_count: 0
    .wavefront_size: 64
  - .agpr_count:     0
    .args:           []
    .group_segment_fixed_size: 0
    .kernarg_segment_align: 4
    .kernarg_segment_size: 0
    .language:       OpenCL C
    .language_version:
      - 2
      - 0
    .max_flat_workgroup_size: 1024
    .name:           _ZN7rocprim17ROCPRIM_400000_NS6detail44device_merge_sort_compile_time_verifier_archINS1_11comp_targetILNS1_3genE9ELNS1_11target_archE1100ELNS1_3gpuE3ELNS1_3repE0EEES8_NS1_28merge_sort_block_sort_configILj256ELj4ELNS0_20block_sort_algorithmE0EEENS0_14default_configENS1_37merge_sort_block_sort_config_selectorIiNS0_10empty_typeEEENS1_38merge_sort_block_merge_config_selectorIiSE_EEEEvv
    .private_segment_fixed_size: 0
    .sgpr_count:     4
    .sgpr_spill_count: 0
    .symbol:         _ZN7rocprim17ROCPRIM_400000_NS6detail44device_merge_sort_compile_time_verifier_archINS1_11comp_targetILNS1_3genE9ELNS1_11target_archE1100ELNS1_3gpuE3ELNS1_3repE0EEES8_NS1_28merge_sort_block_sort_configILj256ELj4ELNS0_20block_sort_algorithmE0EEENS0_14default_configENS1_37merge_sort_block_sort_config_selectorIiNS0_10empty_typeEEENS1_38merge_sort_block_merge_config_selectorIiSE_EEEEvv.kd
    .uniform_work_group_size: 1
    .uses_dynamic_stack: false
    .vgpr_count:     0
    .vgpr_spill_count: 0
    .wavefront_size: 64
  - .agpr_count:     0
    .args:           []
    .group_segment_fixed_size: 0
    .kernarg_segment_align: 4
    .kernarg_segment_size: 0
    .language:       OpenCL C
    .language_version:
      - 2
      - 0
    .max_flat_workgroup_size: 1024
    .name:           _ZN7rocprim17ROCPRIM_400000_NS6detail44device_merge_sort_compile_time_verifier_archINS1_11comp_targetILNS1_3genE8ELNS1_11target_archE1030ELNS1_3gpuE2ELNS1_3repE0EEES8_NS1_28merge_sort_block_sort_configILj256ELj4ELNS0_20block_sort_algorithmE0EEENS0_14default_configENS1_37merge_sort_block_sort_config_selectorIiNS0_10empty_typeEEENS1_38merge_sort_block_merge_config_selectorIiSE_EEEEvv
    .private_segment_fixed_size: 0
    .sgpr_count:     4
    .sgpr_spill_count: 0
    .symbol:         _ZN7rocprim17ROCPRIM_400000_NS6detail44device_merge_sort_compile_time_verifier_archINS1_11comp_targetILNS1_3genE8ELNS1_11target_archE1030ELNS1_3gpuE2ELNS1_3repE0EEES8_NS1_28merge_sort_block_sort_configILj256ELj4ELNS0_20block_sort_algorithmE0EEENS0_14default_configENS1_37merge_sort_block_sort_config_selectorIiNS0_10empty_typeEEENS1_38merge_sort_block_merge_config_selectorIiSE_EEEEvv.kd
    .uniform_work_group_size: 1
    .uses_dynamic_stack: false
    .vgpr_count:     0
    .vgpr_spill_count: 0
    .wavefront_size: 64
  - .agpr_count:     0
    .args:
      - .offset:         0
        .size:           40
        .value_kind:     by_value
    .group_segment_fixed_size: 0
    .kernarg_segment_align: 8
    .kernarg_segment_size: 40
    .language:       OpenCL C
    .language_version:
      - 2
      - 0
    .max_flat_workgroup_size: 128
    .name:           _ZN7rocprim17ROCPRIM_400000_NS6detail17trampoline_kernelINS0_14default_configENS1_38merge_sort_block_merge_config_selectorIiNS0_10empty_typeEEEZZNS1_27merge_sort_block_merge_implIS3_PiPS5_jNS1_19radix_merge_compareILb0ELb0EiNS0_19identity_decomposerEEEEE10hipError_tT0_T1_T2_jT3_P12ihipStream_tbPNSt15iterator_traitsISE_E10value_typeEPNSK_ISF_E10value_typeEPSG_NS1_7vsmem_tEENKUlT_SE_SF_SG_E_clIS8_S8_S9_S9_EESD_ST_SE_SF_SG_EUlST_E_NS1_11comp_targetILNS1_3genE0ELNS1_11target_archE4294967295ELNS1_3gpuE0ELNS1_3repE0EEENS1_48merge_mergepath_partition_config_static_selectorELNS0_4arch9wavefront6targetE1EEEvSF_
    .private_segment_fixed_size: 0
    .sgpr_count:     4
    .sgpr_spill_count: 0
    .symbol:         _ZN7rocprim17ROCPRIM_400000_NS6detail17trampoline_kernelINS0_14default_configENS1_38merge_sort_block_merge_config_selectorIiNS0_10empty_typeEEEZZNS1_27merge_sort_block_merge_implIS3_PiPS5_jNS1_19radix_merge_compareILb0ELb0EiNS0_19identity_decomposerEEEEE10hipError_tT0_T1_T2_jT3_P12ihipStream_tbPNSt15iterator_traitsISE_E10value_typeEPNSK_ISF_E10value_typeEPSG_NS1_7vsmem_tEENKUlT_SE_SF_SG_E_clIS8_S8_S9_S9_EESD_ST_SE_SF_SG_EUlST_E_NS1_11comp_targetILNS1_3genE0ELNS1_11target_archE4294967295ELNS1_3gpuE0ELNS1_3repE0EEENS1_48merge_mergepath_partition_config_static_selectorELNS0_4arch9wavefront6targetE1EEEvSF_.kd
    .uniform_work_group_size: 1
    .uses_dynamic_stack: false
    .vgpr_count:     0
    .vgpr_spill_count: 0
    .wavefront_size: 64
  - .agpr_count:     0
    .args:
      - .offset:         0
        .size:           40
        .value_kind:     by_value
    .group_segment_fixed_size: 0
    .kernarg_segment_align: 8
    .kernarg_segment_size: 40
    .language:       OpenCL C
    .language_version:
      - 2
      - 0
    .max_flat_workgroup_size: 128
    .name:           _ZN7rocprim17ROCPRIM_400000_NS6detail17trampoline_kernelINS0_14default_configENS1_38merge_sort_block_merge_config_selectorIiNS0_10empty_typeEEEZZNS1_27merge_sort_block_merge_implIS3_PiPS5_jNS1_19radix_merge_compareILb0ELb0EiNS0_19identity_decomposerEEEEE10hipError_tT0_T1_T2_jT3_P12ihipStream_tbPNSt15iterator_traitsISE_E10value_typeEPNSK_ISF_E10value_typeEPSG_NS1_7vsmem_tEENKUlT_SE_SF_SG_E_clIS8_S8_S9_S9_EESD_ST_SE_SF_SG_EUlST_E_NS1_11comp_targetILNS1_3genE10ELNS1_11target_archE1201ELNS1_3gpuE5ELNS1_3repE0EEENS1_48merge_mergepath_partition_config_static_selectorELNS0_4arch9wavefront6targetE1EEEvSF_
    .private_segment_fixed_size: 0
    .sgpr_count:     4
    .sgpr_spill_count: 0
    .symbol:         _ZN7rocprim17ROCPRIM_400000_NS6detail17trampoline_kernelINS0_14default_configENS1_38merge_sort_block_merge_config_selectorIiNS0_10empty_typeEEEZZNS1_27merge_sort_block_merge_implIS3_PiPS5_jNS1_19radix_merge_compareILb0ELb0EiNS0_19identity_decomposerEEEEE10hipError_tT0_T1_T2_jT3_P12ihipStream_tbPNSt15iterator_traitsISE_E10value_typeEPNSK_ISF_E10value_typeEPSG_NS1_7vsmem_tEENKUlT_SE_SF_SG_E_clIS8_S8_S9_S9_EESD_ST_SE_SF_SG_EUlST_E_NS1_11comp_targetILNS1_3genE10ELNS1_11target_archE1201ELNS1_3gpuE5ELNS1_3repE0EEENS1_48merge_mergepath_partition_config_static_selectorELNS0_4arch9wavefront6targetE1EEEvSF_.kd
    .uniform_work_group_size: 1
    .uses_dynamic_stack: false
    .vgpr_count:     0
    .vgpr_spill_count: 0
    .wavefront_size: 64
  - .agpr_count:     0
    .args:
      - .offset:         0
        .size:           40
        .value_kind:     by_value
    .group_segment_fixed_size: 0
    .kernarg_segment_align: 8
    .kernarg_segment_size: 40
    .language:       OpenCL C
    .language_version:
      - 2
      - 0
    .max_flat_workgroup_size: 128
    .name:           _ZN7rocprim17ROCPRIM_400000_NS6detail17trampoline_kernelINS0_14default_configENS1_38merge_sort_block_merge_config_selectorIiNS0_10empty_typeEEEZZNS1_27merge_sort_block_merge_implIS3_PiPS5_jNS1_19radix_merge_compareILb0ELb0EiNS0_19identity_decomposerEEEEE10hipError_tT0_T1_T2_jT3_P12ihipStream_tbPNSt15iterator_traitsISE_E10value_typeEPNSK_ISF_E10value_typeEPSG_NS1_7vsmem_tEENKUlT_SE_SF_SG_E_clIS8_S8_S9_S9_EESD_ST_SE_SF_SG_EUlST_E_NS1_11comp_targetILNS1_3genE5ELNS1_11target_archE942ELNS1_3gpuE9ELNS1_3repE0EEENS1_48merge_mergepath_partition_config_static_selectorELNS0_4arch9wavefront6targetE1EEEvSF_
    .private_segment_fixed_size: 0
    .sgpr_count:     4
    .sgpr_spill_count: 0
    .symbol:         _ZN7rocprim17ROCPRIM_400000_NS6detail17trampoline_kernelINS0_14default_configENS1_38merge_sort_block_merge_config_selectorIiNS0_10empty_typeEEEZZNS1_27merge_sort_block_merge_implIS3_PiPS5_jNS1_19radix_merge_compareILb0ELb0EiNS0_19identity_decomposerEEEEE10hipError_tT0_T1_T2_jT3_P12ihipStream_tbPNSt15iterator_traitsISE_E10value_typeEPNSK_ISF_E10value_typeEPSG_NS1_7vsmem_tEENKUlT_SE_SF_SG_E_clIS8_S8_S9_S9_EESD_ST_SE_SF_SG_EUlST_E_NS1_11comp_targetILNS1_3genE5ELNS1_11target_archE942ELNS1_3gpuE9ELNS1_3repE0EEENS1_48merge_mergepath_partition_config_static_selectorELNS0_4arch9wavefront6targetE1EEEvSF_.kd
    .uniform_work_group_size: 1
    .uses_dynamic_stack: false
    .vgpr_count:     0
    .vgpr_spill_count: 0
    .wavefront_size: 64
  - .agpr_count:     0
    .args:
      - .offset:         0
        .size:           40
        .value_kind:     by_value
    .group_segment_fixed_size: 0
    .kernarg_segment_align: 8
    .kernarg_segment_size: 40
    .language:       OpenCL C
    .language_version:
      - 2
      - 0
    .max_flat_workgroup_size: 128
    .name:           _ZN7rocprim17ROCPRIM_400000_NS6detail17trampoline_kernelINS0_14default_configENS1_38merge_sort_block_merge_config_selectorIiNS0_10empty_typeEEEZZNS1_27merge_sort_block_merge_implIS3_PiPS5_jNS1_19radix_merge_compareILb0ELb0EiNS0_19identity_decomposerEEEEE10hipError_tT0_T1_T2_jT3_P12ihipStream_tbPNSt15iterator_traitsISE_E10value_typeEPNSK_ISF_E10value_typeEPSG_NS1_7vsmem_tEENKUlT_SE_SF_SG_E_clIS8_S8_S9_S9_EESD_ST_SE_SF_SG_EUlST_E_NS1_11comp_targetILNS1_3genE4ELNS1_11target_archE910ELNS1_3gpuE8ELNS1_3repE0EEENS1_48merge_mergepath_partition_config_static_selectorELNS0_4arch9wavefront6targetE1EEEvSF_
    .private_segment_fixed_size: 0
    .sgpr_count:     12
    .sgpr_spill_count: 0
    .symbol:         _ZN7rocprim17ROCPRIM_400000_NS6detail17trampoline_kernelINS0_14default_configENS1_38merge_sort_block_merge_config_selectorIiNS0_10empty_typeEEEZZNS1_27merge_sort_block_merge_implIS3_PiPS5_jNS1_19radix_merge_compareILb0ELb0EiNS0_19identity_decomposerEEEEE10hipError_tT0_T1_T2_jT3_P12ihipStream_tbPNSt15iterator_traitsISE_E10value_typeEPNSK_ISF_E10value_typeEPSG_NS1_7vsmem_tEENKUlT_SE_SF_SG_E_clIS8_S8_S9_S9_EESD_ST_SE_SF_SG_EUlST_E_NS1_11comp_targetILNS1_3genE4ELNS1_11target_archE910ELNS1_3gpuE8ELNS1_3repE0EEENS1_48merge_mergepath_partition_config_static_selectorELNS0_4arch9wavefront6targetE1EEEvSF_.kd
    .uniform_work_group_size: 1
    .uses_dynamic_stack: false
    .vgpr_count:     17
    .vgpr_spill_count: 0
    .wavefront_size: 64
  - .agpr_count:     0
    .args:
      - .offset:         0
        .size:           40
        .value_kind:     by_value
    .group_segment_fixed_size: 0
    .kernarg_segment_align: 8
    .kernarg_segment_size: 40
    .language:       OpenCL C
    .language_version:
      - 2
      - 0
    .max_flat_workgroup_size: 128
    .name:           _ZN7rocprim17ROCPRIM_400000_NS6detail17trampoline_kernelINS0_14default_configENS1_38merge_sort_block_merge_config_selectorIiNS0_10empty_typeEEEZZNS1_27merge_sort_block_merge_implIS3_PiPS5_jNS1_19radix_merge_compareILb0ELb0EiNS0_19identity_decomposerEEEEE10hipError_tT0_T1_T2_jT3_P12ihipStream_tbPNSt15iterator_traitsISE_E10value_typeEPNSK_ISF_E10value_typeEPSG_NS1_7vsmem_tEENKUlT_SE_SF_SG_E_clIS8_S8_S9_S9_EESD_ST_SE_SF_SG_EUlST_E_NS1_11comp_targetILNS1_3genE3ELNS1_11target_archE908ELNS1_3gpuE7ELNS1_3repE0EEENS1_48merge_mergepath_partition_config_static_selectorELNS0_4arch9wavefront6targetE1EEEvSF_
    .private_segment_fixed_size: 0
    .sgpr_count:     4
    .sgpr_spill_count: 0
    .symbol:         _ZN7rocprim17ROCPRIM_400000_NS6detail17trampoline_kernelINS0_14default_configENS1_38merge_sort_block_merge_config_selectorIiNS0_10empty_typeEEEZZNS1_27merge_sort_block_merge_implIS3_PiPS5_jNS1_19radix_merge_compareILb0ELb0EiNS0_19identity_decomposerEEEEE10hipError_tT0_T1_T2_jT3_P12ihipStream_tbPNSt15iterator_traitsISE_E10value_typeEPNSK_ISF_E10value_typeEPSG_NS1_7vsmem_tEENKUlT_SE_SF_SG_E_clIS8_S8_S9_S9_EESD_ST_SE_SF_SG_EUlST_E_NS1_11comp_targetILNS1_3genE3ELNS1_11target_archE908ELNS1_3gpuE7ELNS1_3repE0EEENS1_48merge_mergepath_partition_config_static_selectorELNS0_4arch9wavefront6targetE1EEEvSF_.kd
    .uniform_work_group_size: 1
    .uses_dynamic_stack: false
    .vgpr_count:     0
    .vgpr_spill_count: 0
    .wavefront_size: 64
  - .agpr_count:     0
    .args:
      - .offset:         0
        .size:           40
        .value_kind:     by_value
    .group_segment_fixed_size: 0
    .kernarg_segment_align: 8
    .kernarg_segment_size: 40
    .language:       OpenCL C
    .language_version:
      - 2
      - 0
    .max_flat_workgroup_size: 128
    .name:           _ZN7rocprim17ROCPRIM_400000_NS6detail17trampoline_kernelINS0_14default_configENS1_38merge_sort_block_merge_config_selectorIiNS0_10empty_typeEEEZZNS1_27merge_sort_block_merge_implIS3_PiPS5_jNS1_19radix_merge_compareILb0ELb0EiNS0_19identity_decomposerEEEEE10hipError_tT0_T1_T2_jT3_P12ihipStream_tbPNSt15iterator_traitsISE_E10value_typeEPNSK_ISF_E10value_typeEPSG_NS1_7vsmem_tEENKUlT_SE_SF_SG_E_clIS8_S8_S9_S9_EESD_ST_SE_SF_SG_EUlST_E_NS1_11comp_targetILNS1_3genE2ELNS1_11target_archE906ELNS1_3gpuE6ELNS1_3repE0EEENS1_48merge_mergepath_partition_config_static_selectorELNS0_4arch9wavefront6targetE1EEEvSF_
    .private_segment_fixed_size: 0
    .sgpr_count:     4
    .sgpr_spill_count: 0
    .symbol:         _ZN7rocprim17ROCPRIM_400000_NS6detail17trampoline_kernelINS0_14default_configENS1_38merge_sort_block_merge_config_selectorIiNS0_10empty_typeEEEZZNS1_27merge_sort_block_merge_implIS3_PiPS5_jNS1_19radix_merge_compareILb0ELb0EiNS0_19identity_decomposerEEEEE10hipError_tT0_T1_T2_jT3_P12ihipStream_tbPNSt15iterator_traitsISE_E10value_typeEPNSK_ISF_E10value_typeEPSG_NS1_7vsmem_tEENKUlT_SE_SF_SG_E_clIS8_S8_S9_S9_EESD_ST_SE_SF_SG_EUlST_E_NS1_11comp_targetILNS1_3genE2ELNS1_11target_archE906ELNS1_3gpuE6ELNS1_3repE0EEENS1_48merge_mergepath_partition_config_static_selectorELNS0_4arch9wavefront6targetE1EEEvSF_.kd
    .uniform_work_group_size: 1
    .uses_dynamic_stack: false
    .vgpr_count:     0
    .vgpr_spill_count: 0
    .wavefront_size: 64
  - .agpr_count:     0
    .args:
      - .offset:         0
        .size:           40
        .value_kind:     by_value
    .group_segment_fixed_size: 0
    .kernarg_segment_align: 8
    .kernarg_segment_size: 40
    .language:       OpenCL C
    .language_version:
      - 2
      - 0
    .max_flat_workgroup_size: 128
    .name:           _ZN7rocprim17ROCPRIM_400000_NS6detail17trampoline_kernelINS0_14default_configENS1_38merge_sort_block_merge_config_selectorIiNS0_10empty_typeEEEZZNS1_27merge_sort_block_merge_implIS3_PiPS5_jNS1_19radix_merge_compareILb0ELb0EiNS0_19identity_decomposerEEEEE10hipError_tT0_T1_T2_jT3_P12ihipStream_tbPNSt15iterator_traitsISE_E10value_typeEPNSK_ISF_E10value_typeEPSG_NS1_7vsmem_tEENKUlT_SE_SF_SG_E_clIS8_S8_S9_S9_EESD_ST_SE_SF_SG_EUlST_E_NS1_11comp_targetILNS1_3genE9ELNS1_11target_archE1100ELNS1_3gpuE3ELNS1_3repE0EEENS1_48merge_mergepath_partition_config_static_selectorELNS0_4arch9wavefront6targetE1EEEvSF_
    .private_segment_fixed_size: 0
    .sgpr_count:     4
    .sgpr_spill_count: 0
    .symbol:         _ZN7rocprim17ROCPRIM_400000_NS6detail17trampoline_kernelINS0_14default_configENS1_38merge_sort_block_merge_config_selectorIiNS0_10empty_typeEEEZZNS1_27merge_sort_block_merge_implIS3_PiPS5_jNS1_19radix_merge_compareILb0ELb0EiNS0_19identity_decomposerEEEEE10hipError_tT0_T1_T2_jT3_P12ihipStream_tbPNSt15iterator_traitsISE_E10value_typeEPNSK_ISF_E10value_typeEPSG_NS1_7vsmem_tEENKUlT_SE_SF_SG_E_clIS8_S8_S9_S9_EESD_ST_SE_SF_SG_EUlST_E_NS1_11comp_targetILNS1_3genE9ELNS1_11target_archE1100ELNS1_3gpuE3ELNS1_3repE0EEENS1_48merge_mergepath_partition_config_static_selectorELNS0_4arch9wavefront6targetE1EEEvSF_.kd
    .uniform_work_group_size: 1
    .uses_dynamic_stack: false
    .vgpr_count:     0
    .vgpr_spill_count: 0
    .wavefront_size: 64
  - .agpr_count:     0
    .args:
      - .offset:         0
        .size:           40
        .value_kind:     by_value
    .group_segment_fixed_size: 0
    .kernarg_segment_align: 8
    .kernarg_segment_size: 40
    .language:       OpenCL C
    .language_version:
      - 2
      - 0
    .max_flat_workgroup_size: 128
    .name:           _ZN7rocprim17ROCPRIM_400000_NS6detail17trampoline_kernelINS0_14default_configENS1_38merge_sort_block_merge_config_selectorIiNS0_10empty_typeEEEZZNS1_27merge_sort_block_merge_implIS3_PiPS5_jNS1_19radix_merge_compareILb0ELb0EiNS0_19identity_decomposerEEEEE10hipError_tT0_T1_T2_jT3_P12ihipStream_tbPNSt15iterator_traitsISE_E10value_typeEPNSK_ISF_E10value_typeEPSG_NS1_7vsmem_tEENKUlT_SE_SF_SG_E_clIS8_S8_S9_S9_EESD_ST_SE_SF_SG_EUlST_E_NS1_11comp_targetILNS1_3genE8ELNS1_11target_archE1030ELNS1_3gpuE2ELNS1_3repE0EEENS1_48merge_mergepath_partition_config_static_selectorELNS0_4arch9wavefront6targetE1EEEvSF_
    .private_segment_fixed_size: 0
    .sgpr_count:     4
    .sgpr_spill_count: 0
    .symbol:         _ZN7rocprim17ROCPRIM_400000_NS6detail17trampoline_kernelINS0_14default_configENS1_38merge_sort_block_merge_config_selectorIiNS0_10empty_typeEEEZZNS1_27merge_sort_block_merge_implIS3_PiPS5_jNS1_19radix_merge_compareILb0ELb0EiNS0_19identity_decomposerEEEEE10hipError_tT0_T1_T2_jT3_P12ihipStream_tbPNSt15iterator_traitsISE_E10value_typeEPNSK_ISF_E10value_typeEPSG_NS1_7vsmem_tEENKUlT_SE_SF_SG_E_clIS8_S8_S9_S9_EESD_ST_SE_SF_SG_EUlST_E_NS1_11comp_targetILNS1_3genE8ELNS1_11target_archE1030ELNS1_3gpuE2ELNS1_3repE0EEENS1_48merge_mergepath_partition_config_static_selectorELNS0_4arch9wavefront6targetE1EEEvSF_.kd
    .uniform_work_group_size: 1
    .uses_dynamic_stack: false
    .vgpr_count:     0
    .vgpr_spill_count: 0
    .wavefront_size: 64
  - .agpr_count:     0
    .args:
      - .offset:         0
        .size:           64
        .value_kind:     by_value
    .group_segment_fixed_size: 0
    .kernarg_segment_align: 8
    .kernarg_segment_size: 64
    .language:       OpenCL C
    .language_version:
      - 2
      - 0
    .max_flat_workgroup_size: 128
    .name:           _ZN7rocprim17ROCPRIM_400000_NS6detail17trampoline_kernelINS0_14default_configENS1_38merge_sort_block_merge_config_selectorIiNS0_10empty_typeEEEZZNS1_27merge_sort_block_merge_implIS3_PiPS5_jNS1_19radix_merge_compareILb0ELb0EiNS0_19identity_decomposerEEEEE10hipError_tT0_T1_T2_jT3_P12ihipStream_tbPNSt15iterator_traitsISE_E10value_typeEPNSK_ISF_E10value_typeEPSG_NS1_7vsmem_tEENKUlT_SE_SF_SG_E_clIS8_S8_S9_S9_EESD_ST_SE_SF_SG_EUlST_E0_NS1_11comp_targetILNS1_3genE0ELNS1_11target_archE4294967295ELNS1_3gpuE0ELNS1_3repE0EEENS1_38merge_mergepath_config_static_selectorELNS0_4arch9wavefront6targetE1EEEvSF_
    .private_segment_fixed_size: 0
    .sgpr_count:     4
    .sgpr_spill_count: 0
    .symbol:         _ZN7rocprim17ROCPRIM_400000_NS6detail17trampoline_kernelINS0_14default_configENS1_38merge_sort_block_merge_config_selectorIiNS0_10empty_typeEEEZZNS1_27merge_sort_block_merge_implIS3_PiPS5_jNS1_19radix_merge_compareILb0ELb0EiNS0_19identity_decomposerEEEEE10hipError_tT0_T1_T2_jT3_P12ihipStream_tbPNSt15iterator_traitsISE_E10value_typeEPNSK_ISF_E10value_typeEPSG_NS1_7vsmem_tEENKUlT_SE_SF_SG_E_clIS8_S8_S9_S9_EESD_ST_SE_SF_SG_EUlST_E0_NS1_11comp_targetILNS1_3genE0ELNS1_11target_archE4294967295ELNS1_3gpuE0ELNS1_3repE0EEENS1_38merge_mergepath_config_static_selectorELNS0_4arch9wavefront6targetE1EEEvSF_.kd
    .uniform_work_group_size: 1
    .uses_dynamic_stack: false
    .vgpr_count:     0
    .vgpr_spill_count: 0
    .wavefront_size: 64
  - .agpr_count:     0
    .args:
      - .offset:         0
        .size:           64
        .value_kind:     by_value
    .group_segment_fixed_size: 0
    .kernarg_segment_align: 8
    .kernarg_segment_size: 64
    .language:       OpenCL C
    .language_version:
      - 2
      - 0
    .max_flat_workgroup_size: 256
    .name:           _ZN7rocprim17ROCPRIM_400000_NS6detail17trampoline_kernelINS0_14default_configENS1_38merge_sort_block_merge_config_selectorIiNS0_10empty_typeEEEZZNS1_27merge_sort_block_merge_implIS3_PiPS5_jNS1_19radix_merge_compareILb0ELb0EiNS0_19identity_decomposerEEEEE10hipError_tT0_T1_T2_jT3_P12ihipStream_tbPNSt15iterator_traitsISE_E10value_typeEPNSK_ISF_E10value_typeEPSG_NS1_7vsmem_tEENKUlT_SE_SF_SG_E_clIS8_S8_S9_S9_EESD_ST_SE_SF_SG_EUlST_E0_NS1_11comp_targetILNS1_3genE10ELNS1_11target_archE1201ELNS1_3gpuE5ELNS1_3repE0EEENS1_38merge_mergepath_config_static_selectorELNS0_4arch9wavefront6targetE1EEEvSF_
    .private_segment_fixed_size: 0
    .sgpr_count:     4
    .sgpr_spill_count: 0
    .symbol:         _ZN7rocprim17ROCPRIM_400000_NS6detail17trampoline_kernelINS0_14default_configENS1_38merge_sort_block_merge_config_selectorIiNS0_10empty_typeEEEZZNS1_27merge_sort_block_merge_implIS3_PiPS5_jNS1_19radix_merge_compareILb0ELb0EiNS0_19identity_decomposerEEEEE10hipError_tT0_T1_T2_jT3_P12ihipStream_tbPNSt15iterator_traitsISE_E10value_typeEPNSK_ISF_E10value_typeEPSG_NS1_7vsmem_tEENKUlT_SE_SF_SG_E_clIS8_S8_S9_S9_EESD_ST_SE_SF_SG_EUlST_E0_NS1_11comp_targetILNS1_3genE10ELNS1_11target_archE1201ELNS1_3gpuE5ELNS1_3repE0EEENS1_38merge_mergepath_config_static_selectorELNS0_4arch9wavefront6targetE1EEEvSF_.kd
    .uniform_work_group_size: 1
    .uses_dynamic_stack: false
    .vgpr_count:     0
    .vgpr_spill_count: 0
    .wavefront_size: 64
  - .agpr_count:     0
    .args:
      - .offset:         0
        .size:           64
        .value_kind:     by_value
    .group_segment_fixed_size: 0
    .kernarg_segment_align: 8
    .kernarg_segment_size: 64
    .language:       OpenCL C
    .language_version:
      - 2
      - 0
    .max_flat_workgroup_size: 128
    .name:           _ZN7rocprim17ROCPRIM_400000_NS6detail17trampoline_kernelINS0_14default_configENS1_38merge_sort_block_merge_config_selectorIiNS0_10empty_typeEEEZZNS1_27merge_sort_block_merge_implIS3_PiPS5_jNS1_19radix_merge_compareILb0ELb0EiNS0_19identity_decomposerEEEEE10hipError_tT0_T1_T2_jT3_P12ihipStream_tbPNSt15iterator_traitsISE_E10value_typeEPNSK_ISF_E10value_typeEPSG_NS1_7vsmem_tEENKUlT_SE_SF_SG_E_clIS8_S8_S9_S9_EESD_ST_SE_SF_SG_EUlST_E0_NS1_11comp_targetILNS1_3genE5ELNS1_11target_archE942ELNS1_3gpuE9ELNS1_3repE0EEENS1_38merge_mergepath_config_static_selectorELNS0_4arch9wavefront6targetE1EEEvSF_
    .private_segment_fixed_size: 0
    .sgpr_count:     4
    .sgpr_spill_count: 0
    .symbol:         _ZN7rocprim17ROCPRIM_400000_NS6detail17trampoline_kernelINS0_14default_configENS1_38merge_sort_block_merge_config_selectorIiNS0_10empty_typeEEEZZNS1_27merge_sort_block_merge_implIS3_PiPS5_jNS1_19radix_merge_compareILb0ELb0EiNS0_19identity_decomposerEEEEE10hipError_tT0_T1_T2_jT3_P12ihipStream_tbPNSt15iterator_traitsISE_E10value_typeEPNSK_ISF_E10value_typeEPSG_NS1_7vsmem_tEENKUlT_SE_SF_SG_E_clIS8_S8_S9_S9_EESD_ST_SE_SF_SG_EUlST_E0_NS1_11comp_targetILNS1_3genE5ELNS1_11target_archE942ELNS1_3gpuE9ELNS1_3repE0EEENS1_38merge_mergepath_config_static_selectorELNS0_4arch9wavefront6targetE1EEEvSF_.kd
    .uniform_work_group_size: 1
    .uses_dynamic_stack: false
    .vgpr_count:     0
    .vgpr_spill_count: 0
    .wavefront_size: 64
  - .agpr_count:     0
    .args:
      - .offset:         0
        .size:           64
        .value_kind:     by_value
      - .offset:         64
        .size:           4
        .value_kind:     hidden_block_count_x
      - .offset:         68
        .size:           4
        .value_kind:     hidden_block_count_y
      - .offset:         72
        .size:           4
        .value_kind:     hidden_block_count_z
      - .offset:         76
        .size:           2
        .value_kind:     hidden_group_size_x
      - .offset:         78
        .size:           2
        .value_kind:     hidden_group_size_y
      - .offset:         80
        .size:           2
        .value_kind:     hidden_group_size_z
      - .offset:         82
        .size:           2
        .value_kind:     hidden_remainder_x
      - .offset:         84
        .size:           2
        .value_kind:     hidden_remainder_y
      - .offset:         86
        .size:           2
        .value_kind:     hidden_remainder_z
      - .offset:         104
        .size:           8
        .value_kind:     hidden_global_offset_x
      - .offset:         112
        .size:           8
        .value_kind:     hidden_global_offset_y
      - .offset:         120
        .size:           8
        .value_kind:     hidden_global_offset_z
      - .offset:         128
        .size:           2
        .value_kind:     hidden_grid_dims
    .group_segment_fixed_size: 4224
    .kernarg_segment_align: 8
    .kernarg_segment_size: 320
    .language:       OpenCL C
    .language_version:
      - 2
      - 0
    .max_flat_workgroup_size: 128
    .name:           _ZN7rocprim17ROCPRIM_400000_NS6detail17trampoline_kernelINS0_14default_configENS1_38merge_sort_block_merge_config_selectorIiNS0_10empty_typeEEEZZNS1_27merge_sort_block_merge_implIS3_PiPS5_jNS1_19radix_merge_compareILb0ELb0EiNS0_19identity_decomposerEEEEE10hipError_tT0_T1_T2_jT3_P12ihipStream_tbPNSt15iterator_traitsISE_E10value_typeEPNSK_ISF_E10value_typeEPSG_NS1_7vsmem_tEENKUlT_SE_SF_SG_E_clIS8_S8_S9_S9_EESD_ST_SE_SF_SG_EUlST_E0_NS1_11comp_targetILNS1_3genE4ELNS1_11target_archE910ELNS1_3gpuE8ELNS1_3repE0EEENS1_38merge_mergepath_config_static_selectorELNS0_4arch9wavefront6targetE1EEEvSF_
    .private_segment_fixed_size: 0
    .sgpr_count:     28
    .sgpr_spill_count: 0
    .symbol:         _ZN7rocprim17ROCPRIM_400000_NS6detail17trampoline_kernelINS0_14default_configENS1_38merge_sort_block_merge_config_selectorIiNS0_10empty_typeEEEZZNS1_27merge_sort_block_merge_implIS3_PiPS5_jNS1_19radix_merge_compareILb0ELb0EiNS0_19identity_decomposerEEEEE10hipError_tT0_T1_T2_jT3_P12ihipStream_tbPNSt15iterator_traitsISE_E10value_typeEPNSK_ISF_E10value_typeEPSG_NS1_7vsmem_tEENKUlT_SE_SF_SG_E_clIS8_S8_S9_S9_EESD_ST_SE_SF_SG_EUlST_E0_NS1_11comp_targetILNS1_3genE4ELNS1_11target_archE910ELNS1_3gpuE8ELNS1_3repE0EEENS1_38merge_mergepath_config_static_selectorELNS0_4arch9wavefront6targetE1EEEvSF_.kd
    .uniform_work_group_size: 1
    .uses_dynamic_stack: false
    .vgpr_count:     26
    .vgpr_spill_count: 0
    .wavefront_size: 64
  - .agpr_count:     0
    .args:
      - .offset:         0
        .size:           64
        .value_kind:     by_value
    .group_segment_fixed_size: 0
    .kernarg_segment_align: 8
    .kernarg_segment_size: 64
    .language:       OpenCL C
    .language_version:
      - 2
      - 0
    .max_flat_workgroup_size: 128
    .name:           _ZN7rocprim17ROCPRIM_400000_NS6detail17trampoline_kernelINS0_14default_configENS1_38merge_sort_block_merge_config_selectorIiNS0_10empty_typeEEEZZNS1_27merge_sort_block_merge_implIS3_PiPS5_jNS1_19radix_merge_compareILb0ELb0EiNS0_19identity_decomposerEEEEE10hipError_tT0_T1_T2_jT3_P12ihipStream_tbPNSt15iterator_traitsISE_E10value_typeEPNSK_ISF_E10value_typeEPSG_NS1_7vsmem_tEENKUlT_SE_SF_SG_E_clIS8_S8_S9_S9_EESD_ST_SE_SF_SG_EUlST_E0_NS1_11comp_targetILNS1_3genE3ELNS1_11target_archE908ELNS1_3gpuE7ELNS1_3repE0EEENS1_38merge_mergepath_config_static_selectorELNS0_4arch9wavefront6targetE1EEEvSF_
    .private_segment_fixed_size: 0
    .sgpr_count:     4
    .sgpr_spill_count: 0
    .symbol:         _ZN7rocprim17ROCPRIM_400000_NS6detail17trampoline_kernelINS0_14default_configENS1_38merge_sort_block_merge_config_selectorIiNS0_10empty_typeEEEZZNS1_27merge_sort_block_merge_implIS3_PiPS5_jNS1_19radix_merge_compareILb0ELb0EiNS0_19identity_decomposerEEEEE10hipError_tT0_T1_T2_jT3_P12ihipStream_tbPNSt15iterator_traitsISE_E10value_typeEPNSK_ISF_E10value_typeEPSG_NS1_7vsmem_tEENKUlT_SE_SF_SG_E_clIS8_S8_S9_S9_EESD_ST_SE_SF_SG_EUlST_E0_NS1_11comp_targetILNS1_3genE3ELNS1_11target_archE908ELNS1_3gpuE7ELNS1_3repE0EEENS1_38merge_mergepath_config_static_selectorELNS0_4arch9wavefront6targetE1EEEvSF_.kd
    .uniform_work_group_size: 1
    .uses_dynamic_stack: false
    .vgpr_count:     0
    .vgpr_spill_count: 0
    .wavefront_size: 64
  - .agpr_count:     0
    .args:
      - .offset:         0
        .size:           64
        .value_kind:     by_value
    .group_segment_fixed_size: 0
    .kernarg_segment_align: 8
    .kernarg_segment_size: 64
    .language:       OpenCL C
    .language_version:
      - 2
      - 0
    .max_flat_workgroup_size: 128
    .name:           _ZN7rocprim17ROCPRIM_400000_NS6detail17trampoline_kernelINS0_14default_configENS1_38merge_sort_block_merge_config_selectorIiNS0_10empty_typeEEEZZNS1_27merge_sort_block_merge_implIS3_PiPS5_jNS1_19radix_merge_compareILb0ELb0EiNS0_19identity_decomposerEEEEE10hipError_tT0_T1_T2_jT3_P12ihipStream_tbPNSt15iterator_traitsISE_E10value_typeEPNSK_ISF_E10value_typeEPSG_NS1_7vsmem_tEENKUlT_SE_SF_SG_E_clIS8_S8_S9_S9_EESD_ST_SE_SF_SG_EUlST_E0_NS1_11comp_targetILNS1_3genE2ELNS1_11target_archE906ELNS1_3gpuE6ELNS1_3repE0EEENS1_38merge_mergepath_config_static_selectorELNS0_4arch9wavefront6targetE1EEEvSF_
    .private_segment_fixed_size: 0
    .sgpr_count:     4
    .sgpr_spill_count: 0
    .symbol:         _ZN7rocprim17ROCPRIM_400000_NS6detail17trampoline_kernelINS0_14default_configENS1_38merge_sort_block_merge_config_selectorIiNS0_10empty_typeEEEZZNS1_27merge_sort_block_merge_implIS3_PiPS5_jNS1_19radix_merge_compareILb0ELb0EiNS0_19identity_decomposerEEEEE10hipError_tT0_T1_T2_jT3_P12ihipStream_tbPNSt15iterator_traitsISE_E10value_typeEPNSK_ISF_E10value_typeEPSG_NS1_7vsmem_tEENKUlT_SE_SF_SG_E_clIS8_S8_S9_S9_EESD_ST_SE_SF_SG_EUlST_E0_NS1_11comp_targetILNS1_3genE2ELNS1_11target_archE906ELNS1_3gpuE6ELNS1_3repE0EEENS1_38merge_mergepath_config_static_selectorELNS0_4arch9wavefront6targetE1EEEvSF_.kd
    .uniform_work_group_size: 1
    .uses_dynamic_stack: false
    .vgpr_count:     0
    .vgpr_spill_count: 0
    .wavefront_size: 64
  - .agpr_count:     0
    .args:
      - .offset:         0
        .size:           64
        .value_kind:     by_value
    .group_segment_fixed_size: 0
    .kernarg_segment_align: 8
    .kernarg_segment_size: 64
    .language:       OpenCL C
    .language_version:
      - 2
      - 0
    .max_flat_workgroup_size: 256
    .name:           _ZN7rocprim17ROCPRIM_400000_NS6detail17trampoline_kernelINS0_14default_configENS1_38merge_sort_block_merge_config_selectorIiNS0_10empty_typeEEEZZNS1_27merge_sort_block_merge_implIS3_PiPS5_jNS1_19radix_merge_compareILb0ELb0EiNS0_19identity_decomposerEEEEE10hipError_tT0_T1_T2_jT3_P12ihipStream_tbPNSt15iterator_traitsISE_E10value_typeEPNSK_ISF_E10value_typeEPSG_NS1_7vsmem_tEENKUlT_SE_SF_SG_E_clIS8_S8_S9_S9_EESD_ST_SE_SF_SG_EUlST_E0_NS1_11comp_targetILNS1_3genE9ELNS1_11target_archE1100ELNS1_3gpuE3ELNS1_3repE0EEENS1_38merge_mergepath_config_static_selectorELNS0_4arch9wavefront6targetE1EEEvSF_
    .private_segment_fixed_size: 0
    .sgpr_count:     4
    .sgpr_spill_count: 0
    .symbol:         _ZN7rocprim17ROCPRIM_400000_NS6detail17trampoline_kernelINS0_14default_configENS1_38merge_sort_block_merge_config_selectorIiNS0_10empty_typeEEEZZNS1_27merge_sort_block_merge_implIS3_PiPS5_jNS1_19radix_merge_compareILb0ELb0EiNS0_19identity_decomposerEEEEE10hipError_tT0_T1_T2_jT3_P12ihipStream_tbPNSt15iterator_traitsISE_E10value_typeEPNSK_ISF_E10value_typeEPSG_NS1_7vsmem_tEENKUlT_SE_SF_SG_E_clIS8_S8_S9_S9_EESD_ST_SE_SF_SG_EUlST_E0_NS1_11comp_targetILNS1_3genE9ELNS1_11target_archE1100ELNS1_3gpuE3ELNS1_3repE0EEENS1_38merge_mergepath_config_static_selectorELNS0_4arch9wavefront6targetE1EEEvSF_.kd
    .uniform_work_group_size: 1
    .uses_dynamic_stack: false
    .vgpr_count:     0
    .vgpr_spill_count: 0
    .wavefront_size: 64
  - .agpr_count:     0
    .args:
      - .offset:         0
        .size:           64
        .value_kind:     by_value
    .group_segment_fixed_size: 0
    .kernarg_segment_align: 8
    .kernarg_segment_size: 64
    .language:       OpenCL C
    .language_version:
      - 2
      - 0
    .max_flat_workgroup_size: 512
    .name:           _ZN7rocprim17ROCPRIM_400000_NS6detail17trampoline_kernelINS0_14default_configENS1_38merge_sort_block_merge_config_selectorIiNS0_10empty_typeEEEZZNS1_27merge_sort_block_merge_implIS3_PiPS5_jNS1_19radix_merge_compareILb0ELb0EiNS0_19identity_decomposerEEEEE10hipError_tT0_T1_T2_jT3_P12ihipStream_tbPNSt15iterator_traitsISE_E10value_typeEPNSK_ISF_E10value_typeEPSG_NS1_7vsmem_tEENKUlT_SE_SF_SG_E_clIS8_S8_S9_S9_EESD_ST_SE_SF_SG_EUlST_E0_NS1_11comp_targetILNS1_3genE8ELNS1_11target_archE1030ELNS1_3gpuE2ELNS1_3repE0EEENS1_38merge_mergepath_config_static_selectorELNS0_4arch9wavefront6targetE1EEEvSF_
    .private_segment_fixed_size: 0
    .sgpr_count:     4
    .sgpr_spill_count: 0
    .symbol:         _ZN7rocprim17ROCPRIM_400000_NS6detail17trampoline_kernelINS0_14default_configENS1_38merge_sort_block_merge_config_selectorIiNS0_10empty_typeEEEZZNS1_27merge_sort_block_merge_implIS3_PiPS5_jNS1_19radix_merge_compareILb0ELb0EiNS0_19identity_decomposerEEEEE10hipError_tT0_T1_T2_jT3_P12ihipStream_tbPNSt15iterator_traitsISE_E10value_typeEPNSK_ISF_E10value_typeEPSG_NS1_7vsmem_tEENKUlT_SE_SF_SG_E_clIS8_S8_S9_S9_EESD_ST_SE_SF_SG_EUlST_E0_NS1_11comp_targetILNS1_3genE8ELNS1_11target_archE1030ELNS1_3gpuE2ELNS1_3repE0EEENS1_38merge_mergepath_config_static_selectorELNS0_4arch9wavefront6targetE1EEEvSF_.kd
    .uniform_work_group_size: 1
    .uses_dynamic_stack: false
    .vgpr_count:     0
    .vgpr_spill_count: 0
    .wavefront_size: 64
  - .agpr_count:     0
    .args:
      - .offset:         0
        .size:           48
        .value_kind:     by_value
    .group_segment_fixed_size: 0
    .kernarg_segment_align: 8
    .kernarg_segment_size: 48
    .language:       OpenCL C
    .language_version:
      - 2
      - 0
    .max_flat_workgroup_size: 256
    .name:           _ZN7rocprim17ROCPRIM_400000_NS6detail17trampoline_kernelINS0_14default_configENS1_38merge_sort_block_merge_config_selectorIiNS0_10empty_typeEEEZZNS1_27merge_sort_block_merge_implIS3_PiPS5_jNS1_19radix_merge_compareILb0ELb0EiNS0_19identity_decomposerEEEEE10hipError_tT0_T1_T2_jT3_P12ihipStream_tbPNSt15iterator_traitsISE_E10value_typeEPNSK_ISF_E10value_typeEPSG_NS1_7vsmem_tEENKUlT_SE_SF_SG_E_clIS8_S8_S9_S9_EESD_ST_SE_SF_SG_EUlST_E1_NS1_11comp_targetILNS1_3genE0ELNS1_11target_archE4294967295ELNS1_3gpuE0ELNS1_3repE0EEENS1_36merge_oddeven_config_static_selectorELNS0_4arch9wavefront6targetE1EEEvSF_
    .private_segment_fixed_size: 0
    .sgpr_count:     4
    .sgpr_spill_count: 0
    .symbol:         _ZN7rocprim17ROCPRIM_400000_NS6detail17trampoline_kernelINS0_14default_configENS1_38merge_sort_block_merge_config_selectorIiNS0_10empty_typeEEEZZNS1_27merge_sort_block_merge_implIS3_PiPS5_jNS1_19radix_merge_compareILb0ELb0EiNS0_19identity_decomposerEEEEE10hipError_tT0_T1_T2_jT3_P12ihipStream_tbPNSt15iterator_traitsISE_E10value_typeEPNSK_ISF_E10value_typeEPSG_NS1_7vsmem_tEENKUlT_SE_SF_SG_E_clIS8_S8_S9_S9_EESD_ST_SE_SF_SG_EUlST_E1_NS1_11comp_targetILNS1_3genE0ELNS1_11target_archE4294967295ELNS1_3gpuE0ELNS1_3repE0EEENS1_36merge_oddeven_config_static_selectorELNS0_4arch9wavefront6targetE1EEEvSF_.kd
    .uniform_work_group_size: 1
    .uses_dynamic_stack: false
    .vgpr_count:     0
    .vgpr_spill_count: 0
    .wavefront_size: 64
  - .agpr_count:     0
    .args:
      - .offset:         0
        .size:           48
        .value_kind:     by_value
    .group_segment_fixed_size: 0
    .kernarg_segment_align: 8
    .kernarg_segment_size: 48
    .language:       OpenCL C
    .language_version:
      - 2
      - 0
    .max_flat_workgroup_size: 256
    .name:           _ZN7rocprim17ROCPRIM_400000_NS6detail17trampoline_kernelINS0_14default_configENS1_38merge_sort_block_merge_config_selectorIiNS0_10empty_typeEEEZZNS1_27merge_sort_block_merge_implIS3_PiPS5_jNS1_19radix_merge_compareILb0ELb0EiNS0_19identity_decomposerEEEEE10hipError_tT0_T1_T2_jT3_P12ihipStream_tbPNSt15iterator_traitsISE_E10value_typeEPNSK_ISF_E10value_typeEPSG_NS1_7vsmem_tEENKUlT_SE_SF_SG_E_clIS8_S8_S9_S9_EESD_ST_SE_SF_SG_EUlST_E1_NS1_11comp_targetILNS1_3genE10ELNS1_11target_archE1201ELNS1_3gpuE5ELNS1_3repE0EEENS1_36merge_oddeven_config_static_selectorELNS0_4arch9wavefront6targetE1EEEvSF_
    .private_segment_fixed_size: 0
    .sgpr_count:     4
    .sgpr_spill_count: 0
    .symbol:         _ZN7rocprim17ROCPRIM_400000_NS6detail17trampoline_kernelINS0_14default_configENS1_38merge_sort_block_merge_config_selectorIiNS0_10empty_typeEEEZZNS1_27merge_sort_block_merge_implIS3_PiPS5_jNS1_19radix_merge_compareILb0ELb0EiNS0_19identity_decomposerEEEEE10hipError_tT0_T1_T2_jT3_P12ihipStream_tbPNSt15iterator_traitsISE_E10value_typeEPNSK_ISF_E10value_typeEPSG_NS1_7vsmem_tEENKUlT_SE_SF_SG_E_clIS8_S8_S9_S9_EESD_ST_SE_SF_SG_EUlST_E1_NS1_11comp_targetILNS1_3genE10ELNS1_11target_archE1201ELNS1_3gpuE5ELNS1_3repE0EEENS1_36merge_oddeven_config_static_selectorELNS0_4arch9wavefront6targetE1EEEvSF_.kd
    .uniform_work_group_size: 1
    .uses_dynamic_stack: false
    .vgpr_count:     0
    .vgpr_spill_count: 0
    .wavefront_size: 64
  - .agpr_count:     0
    .args:
      - .offset:         0
        .size:           48
        .value_kind:     by_value
    .group_segment_fixed_size: 0
    .kernarg_segment_align: 8
    .kernarg_segment_size: 48
    .language:       OpenCL C
    .language_version:
      - 2
      - 0
    .max_flat_workgroup_size: 256
    .name:           _ZN7rocprim17ROCPRIM_400000_NS6detail17trampoline_kernelINS0_14default_configENS1_38merge_sort_block_merge_config_selectorIiNS0_10empty_typeEEEZZNS1_27merge_sort_block_merge_implIS3_PiPS5_jNS1_19radix_merge_compareILb0ELb0EiNS0_19identity_decomposerEEEEE10hipError_tT0_T1_T2_jT3_P12ihipStream_tbPNSt15iterator_traitsISE_E10value_typeEPNSK_ISF_E10value_typeEPSG_NS1_7vsmem_tEENKUlT_SE_SF_SG_E_clIS8_S8_S9_S9_EESD_ST_SE_SF_SG_EUlST_E1_NS1_11comp_targetILNS1_3genE5ELNS1_11target_archE942ELNS1_3gpuE9ELNS1_3repE0EEENS1_36merge_oddeven_config_static_selectorELNS0_4arch9wavefront6targetE1EEEvSF_
    .private_segment_fixed_size: 0
    .sgpr_count:     4
    .sgpr_spill_count: 0
    .symbol:         _ZN7rocprim17ROCPRIM_400000_NS6detail17trampoline_kernelINS0_14default_configENS1_38merge_sort_block_merge_config_selectorIiNS0_10empty_typeEEEZZNS1_27merge_sort_block_merge_implIS3_PiPS5_jNS1_19radix_merge_compareILb0ELb0EiNS0_19identity_decomposerEEEEE10hipError_tT0_T1_T2_jT3_P12ihipStream_tbPNSt15iterator_traitsISE_E10value_typeEPNSK_ISF_E10value_typeEPSG_NS1_7vsmem_tEENKUlT_SE_SF_SG_E_clIS8_S8_S9_S9_EESD_ST_SE_SF_SG_EUlST_E1_NS1_11comp_targetILNS1_3genE5ELNS1_11target_archE942ELNS1_3gpuE9ELNS1_3repE0EEENS1_36merge_oddeven_config_static_selectorELNS0_4arch9wavefront6targetE1EEEvSF_.kd
    .uniform_work_group_size: 1
    .uses_dynamic_stack: false
    .vgpr_count:     0
    .vgpr_spill_count: 0
    .wavefront_size: 64
  - .agpr_count:     0
    .args:
      - .offset:         0
        .size:           48
        .value_kind:     by_value
    .group_segment_fixed_size: 0
    .kernarg_segment_align: 8
    .kernarg_segment_size: 48
    .language:       OpenCL C
    .language_version:
      - 2
      - 0
    .max_flat_workgroup_size: 256
    .name:           _ZN7rocprim17ROCPRIM_400000_NS6detail17trampoline_kernelINS0_14default_configENS1_38merge_sort_block_merge_config_selectorIiNS0_10empty_typeEEEZZNS1_27merge_sort_block_merge_implIS3_PiPS5_jNS1_19radix_merge_compareILb0ELb0EiNS0_19identity_decomposerEEEEE10hipError_tT0_T1_T2_jT3_P12ihipStream_tbPNSt15iterator_traitsISE_E10value_typeEPNSK_ISF_E10value_typeEPSG_NS1_7vsmem_tEENKUlT_SE_SF_SG_E_clIS8_S8_S9_S9_EESD_ST_SE_SF_SG_EUlST_E1_NS1_11comp_targetILNS1_3genE4ELNS1_11target_archE910ELNS1_3gpuE8ELNS1_3repE0EEENS1_36merge_oddeven_config_static_selectorELNS0_4arch9wavefront6targetE1EEEvSF_
    .private_segment_fixed_size: 0
    .sgpr_count:     25
    .sgpr_spill_count: 0
    .symbol:         _ZN7rocprim17ROCPRIM_400000_NS6detail17trampoline_kernelINS0_14default_configENS1_38merge_sort_block_merge_config_selectorIiNS0_10empty_typeEEEZZNS1_27merge_sort_block_merge_implIS3_PiPS5_jNS1_19radix_merge_compareILb0ELb0EiNS0_19identity_decomposerEEEEE10hipError_tT0_T1_T2_jT3_P12ihipStream_tbPNSt15iterator_traitsISE_E10value_typeEPNSK_ISF_E10value_typeEPSG_NS1_7vsmem_tEENKUlT_SE_SF_SG_E_clIS8_S8_S9_S9_EESD_ST_SE_SF_SG_EUlST_E1_NS1_11comp_targetILNS1_3genE4ELNS1_11target_archE910ELNS1_3gpuE8ELNS1_3repE0EEENS1_36merge_oddeven_config_static_selectorELNS0_4arch9wavefront6targetE1EEEvSF_.kd
    .uniform_work_group_size: 1
    .uses_dynamic_stack: false
    .vgpr_count:     10
    .vgpr_spill_count: 0
    .wavefront_size: 64
  - .agpr_count:     0
    .args:
      - .offset:         0
        .size:           48
        .value_kind:     by_value
    .group_segment_fixed_size: 0
    .kernarg_segment_align: 8
    .kernarg_segment_size: 48
    .language:       OpenCL C
    .language_version:
      - 2
      - 0
    .max_flat_workgroup_size: 256
    .name:           _ZN7rocprim17ROCPRIM_400000_NS6detail17trampoline_kernelINS0_14default_configENS1_38merge_sort_block_merge_config_selectorIiNS0_10empty_typeEEEZZNS1_27merge_sort_block_merge_implIS3_PiPS5_jNS1_19radix_merge_compareILb0ELb0EiNS0_19identity_decomposerEEEEE10hipError_tT0_T1_T2_jT3_P12ihipStream_tbPNSt15iterator_traitsISE_E10value_typeEPNSK_ISF_E10value_typeEPSG_NS1_7vsmem_tEENKUlT_SE_SF_SG_E_clIS8_S8_S9_S9_EESD_ST_SE_SF_SG_EUlST_E1_NS1_11comp_targetILNS1_3genE3ELNS1_11target_archE908ELNS1_3gpuE7ELNS1_3repE0EEENS1_36merge_oddeven_config_static_selectorELNS0_4arch9wavefront6targetE1EEEvSF_
    .private_segment_fixed_size: 0
    .sgpr_count:     4
    .sgpr_spill_count: 0
    .symbol:         _ZN7rocprim17ROCPRIM_400000_NS6detail17trampoline_kernelINS0_14default_configENS1_38merge_sort_block_merge_config_selectorIiNS0_10empty_typeEEEZZNS1_27merge_sort_block_merge_implIS3_PiPS5_jNS1_19radix_merge_compareILb0ELb0EiNS0_19identity_decomposerEEEEE10hipError_tT0_T1_T2_jT3_P12ihipStream_tbPNSt15iterator_traitsISE_E10value_typeEPNSK_ISF_E10value_typeEPSG_NS1_7vsmem_tEENKUlT_SE_SF_SG_E_clIS8_S8_S9_S9_EESD_ST_SE_SF_SG_EUlST_E1_NS1_11comp_targetILNS1_3genE3ELNS1_11target_archE908ELNS1_3gpuE7ELNS1_3repE0EEENS1_36merge_oddeven_config_static_selectorELNS0_4arch9wavefront6targetE1EEEvSF_.kd
    .uniform_work_group_size: 1
    .uses_dynamic_stack: false
    .vgpr_count:     0
    .vgpr_spill_count: 0
    .wavefront_size: 64
  - .agpr_count:     0
    .args:
      - .offset:         0
        .size:           48
        .value_kind:     by_value
    .group_segment_fixed_size: 0
    .kernarg_segment_align: 8
    .kernarg_segment_size: 48
    .language:       OpenCL C
    .language_version:
      - 2
      - 0
    .max_flat_workgroup_size: 256
    .name:           _ZN7rocprim17ROCPRIM_400000_NS6detail17trampoline_kernelINS0_14default_configENS1_38merge_sort_block_merge_config_selectorIiNS0_10empty_typeEEEZZNS1_27merge_sort_block_merge_implIS3_PiPS5_jNS1_19radix_merge_compareILb0ELb0EiNS0_19identity_decomposerEEEEE10hipError_tT0_T1_T2_jT3_P12ihipStream_tbPNSt15iterator_traitsISE_E10value_typeEPNSK_ISF_E10value_typeEPSG_NS1_7vsmem_tEENKUlT_SE_SF_SG_E_clIS8_S8_S9_S9_EESD_ST_SE_SF_SG_EUlST_E1_NS1_11comp_targetILNS1_3genE2ELNS1_11target_archE906ELNS1_3gpuE6ELNS1_3repE0EEENS1_36merge_oddeven_config_static_selectorELNS0_4arch9wavefront6targetE1EEEvSF_
    .private_segment_fixed_size: 0
    .sgpr_count:     4
    .sgpr_spill_count: 0
    .symbol:         _ZN7rocprim17ROCPRIM_400000_NS6detail17trampoline_kernelINS0_14default_configENS1_38merge_sort_block_merge_config_selectorIiNS0_10empty_typeEEEZZNS1_27merge_sort_block_merge_implIS3_PiPS5_jNS1_19radix_merge_compareILb0ELb0EiNS0_19identity_decomposerEEEEE10hipError_tT0_T1_T2_jT3_P12ihipStream_tbPNSt15iterator_traitsISE_E10value_typeEPNSK_ISF_E10value_typeEPSG_NS1_7vsmem_tEENKUlT_SE_SF_SG_E_clIS8_S8_S9_S9_EESD_ST_SE_SF_SG_EUlST_E1_NS1_11comp_targetILNS1_3genE2ELNS1_11target_archE906ELNS1_3gpuE6ELNS1_3repE0EEENS1_36merge_oddeven_config_static_selectorELNS0_4arch9wavefront6targetE1EEEvSF_.kd
    .uniform_work_group_size: 1
    .uses_dynamic_stack: false
    .vgpr_count:     0
    .vgpr_spill_count: 0
    .wavefront_size: 64
  - .agpr_count:     0
    .args:
      - .offset:         0
        .size:           48
        .value_kind:     by_value
    .group_segment_fixed_size: 0
    .kernarg_segment_align: 8
    .kernarg_segment_size: 48
    .language:       OpenCL C
    .language_version:
      - 2
      - 0
    .max_flat_workgroup_size: 256
    .name:           _ZN7rocprim17ROCPRIM_400000_NS6detail17trampoline_kernelINS0_14default_configENS1_38merge_sort_block_merge_config_selectorIiNS0_10empty_typeEEEZZNS1_27merge_sort_block_merge_implIS3_PiPS5_jNS1_19radix_merge_compareILb0ELb0EiNS0_19identity_decomposerEEEEE10hipError_tT0_T1_T2_jT3_P12ihipStream_tbPNSt15iterator_traitsISE_E10value_typeEPNSK_ISF_E10value_typeEPSG_NS1_7vsmem_tEENKUlT_SE_SF_SG_E_clIS8_S8_S9_S9_EESD_ST_SE_SF_SG_EUlST_E1_NS1_11comp_targetILNS1_3genE9ELNS1_11target_archE1100ELNS1_3gpuE3ELNS1_3repE0EEENS1_36merge_oddeven_config_static_selectorELNS0_4arch9wavefront6targetE1EEEvSF_
    .private_segment_fixed_size: 0
    .sgpr_count:     4
    .sgpr_spill_count: 0
    .symbol:         _ZN7rocprim17ROCPRIM_400000_NS6detail17trampoline_kernelINS0_14default_configENS1_38merge_sort_block_merge_config_selectorIiNS0_10empty_typeEEEZZNS1_27merge_sort_block_merge_implIS3_PiPS5_jNS1_19radix_merge_compareILb0ELb0EiNS0_19identity_decomposerEEEEE10hipError_tT0_T1_T2_jT3_P12ihipStream_tbPNSt15iterator_traitsISE_E10value_typeEPNSK_ISF_E10value_typeEPSG_NS1_7vsmem_tEENKUlT_SE_SF_SG_E_clIS8_S8_S9_S9_EESD_ST_SE_SF_SG_EUlST_E1_NS1_11comp_targetILNS1_3genE9ELNS1_11target_archE1100ELNS1_3gpuE3ELNS1_3repE0EEENS1_36merge_oddeven_config_static_selectorELNS0_4arch9wavefront6targetE1EEEvSF_.kd
    .uniform_work_group_size: 1
    .uses_dynamic_stack: false
    .vgpr_count:     0
    .vgpr_spill_count: 0
    .wavefront_size: 64
  - .agpr_count:     0
    .args:
      - .offset:         0
        .size:           48
        .value_kind:     by_value
    .group_segment_fixed_size: 0
    .kernarg_segment_align: 8
    .kernarg_segment_size: 48
    .language:       OpenCL C
    .language_version:
      - 2
      - 0
    .max_flat_workgroup_size: 256
    .name:           _ZN7rocprim17ROCPRIM_400000_NS6detail17trampoline_kernelINS0_14default_configENS1_38merge_sort_block_merge_config_selectorIiNS0_10empty_typeEEEZZNS1_27merge_sort_block_merge_implIS3_PiPS5_jNS1_19radix_merge_compareILb0ELb0EiNS0_19identity_decomposerEEEEE10hipError_tT0_T1_T2_jT3_P12ihipStream_tbPNSt15iterator_traitsISE_E10value_typeEPNSK_ISF_E10value_typeEPSG_NS1_7vsmem_tEENKUlT_SE_SF_SG_E_clIS8_S8_S9_S9_EESD_ST_SE_SF_SG_EUlST_E1_NS1_11comp_targetILNS1_3genE8ELNS1_11target_archE1030ELNS1_3gpuE2ELNS1_3repE0EEENS1_36merge_oddeven_config_static_selectorELNS0_4arch9wavefront6targetE1EEEvSF_
    .private_segment_fixed_size: 0
    .sgpr_count:     4
    .sgpr_spill_count: 0
    .symbol:         _ZN7rocprim17ROCPRIM_400000_NS6detail17trampoline_kernelINS0_14default_configENS1_38merge_sort_block_merge_config_selectorIiNS0_10empty_typeEEEZZNS1_27merge_sort_block_merge_implIS3_PiPS5_jNS1_19radix_merge_compareILb0ELb0EiNS0_19identity_decomposerEEEEE10hipError_tT0_T1_T2_jT3_P12ihipStream_tbPNSt15iterator_traitsISE_E10value_typeEPNSK_ISF_E10value_typeEPSG_NS1_7vsmem_tEENKUlT_SE_SF_SG_E_clIS8_S8_S9_S9_EESD_ST_SE_SF_SG_EUlST_E1_NS1_11comp_targetILNS1_3genE8ELNS1_11target_archE1030ELNS1_3gpuE2ELNS1_3repE0EEENS1_36merge_oddeven_config_static_selectorELNS0_4arch9wavefront6targetE1EEEvSF_.kd
    .uniform_work_group_size: 1
    .uses_dynamic_stack: false
    .vgpr_count:     0
    .vgpr_spill_count: 0
    .wavefront_size: 64
  - .agpr_count:     0
    .args:
      - .offset:         0
        .size:           40
        .value_kind:     by_value
    .group_segment_fixed_size: 0
    .kernarg_segment_align: 8
    .kernarg_segment_size: 40
    .language:       OpenCL C
    .language_version:
      - 2
      - 0
    .max_flat_workgroup_size: 128
    .name:           _ZN7rocprim17ROCPRIM_400000_NS6detail17trampoline_kernelINS0_14default_configENS1_25transform_config_selectorIiLb1EEEZNS1_14transform_implILb1ES3_S5_PiS7_NS0_8identityIiEEEE10hipError_tT2_T3_mT4_P12ihipStream_tbEUlT_E_NS1_11comp_targetILNS1_3genE0ELNS1_11target_archE4294967295ELNS1_3gpuE0ELNS1_3repE0EEENS1_30default_config_static_selectorELNS0_4arch9wavefront6targetE1EEEvT1_
    .private_segment_fixed_size: 0
    .sgpr_count:     4
    .sgpr_spill_count: 0
    .symbol:         _ZN7rocprim17ROCPRIM_400000_NS6detail17trampoline_kernelINS0_14default_configENS1_25transform_config_selectorIiLb1EEEZNS1_14transform_implILb1ES3_S5_PiS7_NS0_8identityIiEEEE10hipError_tT2_T3_mT4_P12ihipStream_tbEUlT_E_NS1_11comp_targetILNS1_3genE0ELNS1_11target_archE4294967295ELNS1_3gpuE0ELNS1_3repE0EEENS1_30default_config_static_selectorELNS0_4arch9wavefront6targetE1EEEvT1_.kd
    .uniform_work_group_size: 1
    .uses_dynamic_stack: false
    .vgpr_count:     0
    .vgpr_spill_count: 0
    .wavefront_size: 64
  - .agpr_count:     0
    .args:
      - .offset:         0
        .size:           40
        .value_kind:     by_value
    .group_segment_fixed_size: 0
    .kernarg_segment_align: 8
    .kernarg_segment_size: 40
    .language:       OpenCL C
    .language_version:
      - 2
      - 0
    .max_flat_workgroup_size: 1024
    .name:           _ZN7rocprim17ROCPRIM_400000_NS6detail17trampoline_kernelINS0_14default_configENS1_25transform_config_selectorIiLb1EEEZNS1_14transform_implILb1ES3_S5_PiS7_NS0_8identityIiEEEE10hipError_tT2_T3_mT4_P12ihipStream_tbEUlT_E_NS1_11comp_targetILNS1_3genE10ELNS1_11target_archE1201ELNS1_3gpuE5ELNS1_3repE0EEENS1_30default_config_static_selectorELNS0_4arch9wavefront6targetE1EEEvT1_
    .private_segment_fixed_size: 0
    .sgpr_count:     4
    .sgpr_spill_count: 0
    .symbol:         _ZN7rocprim17ROCPRIM_400000_NS6detail17trampoline_kernelINS0_14default_configENS1_25transform_config_selectorIiLb1EEEZNS1_14transform_implILb1ES3_S5_PiS7_NS0_8identityIiEEEE10hipError_tT2_T3_mT4_P12ihipStream_tbEUlT_E_NS1_11comp_targetILNS1_3genE10ELNS1_11target_archE1201ELNS1_3gpuE5ELNS1_3repE0EEENS1_30default_config_static_selectorELNS0_4arch9wavefront6targetE1EEEvT1_.kd
    .uniform_work_group_size: 1
    .uses_dynamic_stack: false
    .vgpr_count:     0
    .vgpr_spill_count: 0
    .wavefront_size: 64
  - .agpr_count:     0
    .args:
      - .offset:         0
        .size:           40
        .value_kind:     by_value
    .group_segment_fixed_size: 0
    .kernarg_segment_align: 8
    .kernarg_segment_size: 40
    .language:       OpenCL C
    .language_version:
      - 2
      - 0
    .max_flat_workgroup_size: 256
    .name:           _ZN7rocprim17ROCPRIM_400000_NS6detail17trampoline_kernelINS0_14default_configENS1_25transform_config_selectorIiLb1EEEZNS1_14transform_implILb1ES3_S5_PiS7_NS0_8identityIiEEEE10hipError_tT2_T3_mT4_P12ihipStream_tbEUlT_E_NS1_11comp_targetILNS1_3genE5ELNS1_11target_archE942ELNS1_3gpuE9ELNS1_3repE0EEENS1_30default_config_static_selectorELNS0_4arch9wavefront6targetE1EEEvT1_
    .private_segment_fixed_size: 0
    .sgpr_count:     4
    .sgpr_spill_count: 0
    .symbol:         _ZN7rocprim17ROCPRIM_400000_NS6detail17trampoline_kernelINS0_14default_configENS1_25transform_config_selectorIiLb1EEEZNS1_14transform_implILb1ES3_S5_PiS7_NS0_8identityIiEEEE10hipError_tT2_T3_mT4_P12ihipStream_tbEUlT_E_NS1_11comp_targetILNS1_3genE5ELNS1_11target_archE942ELNS1_3gpuE9ELNS1_3repE0EEENS1_30default_config_static_selectorELNS0_4arch9wavefront6targetE1EEEvT1_.kd
    .uniform_work_group_size: 1
    .uses_dynamic_stack: false
    .vgpr_count:     0
    .vgpr_spill_count: 0
    .wavefront_size: 64
  - .agpr_count:     0
    .args:
      - .offset:         0
        .size:           40
        .value_kind:     by_value
      - .offset:         40
        .size:           4
        .value_kind:     hidden_block_count_x
      - .offset:         44
        .size:           4
        .value_kind:     hidden_block_count_y
      - .offset:         48
        .size:           4
        .value_kind:     hidden_block_count_z
      - .offset:         52
        .size:           2
        .value_kind:     hidden_group_size_x
      - .offset:         54
        .size:           2
        .value_kind:     hidden_group_size_y
      - .offset:         56
        .size:           2
        .value_kind:     hidden_group_size_z
      - .offset:         58
        .size:           2
        .value_kind:     hidden_remainder_x
      - .offset:         60
        .size:           2
        .value_kind:     hidden_remainder_y
      - .offset:         62
        .size:           2
        .value_kind:     hidden_remainder_z
      - .offset:         80
        .size:           8
        .value_kind:     hidden_global_offset_x
      - .offset:         88
        .size:           8
        .value_kind:     hidden_global_offset_y
      - .offset:         96
        .size:           8
        .value_kind:     hidden_global_offset_z
      - .offset:         104
        .size:           2
        .value_kind:     hidden_grid_dims
    .group_segment_fixed_size: 0
    .kernarg_segment_align: 8
    .kernarg_segment_size: 296
    .language:       OpenCL C
    .language_version:
      - 2
      - 0
    .max_flat_workgroup_size: 1024
    .name:           _ZN7rocprim17ROCPRIM_400000_NS6detail17trampoline_kernelINS0_14default_configENS1_25transform_config_selectorIiLb1EEEZNS1_14transform_implILb1ES3_S5_PiS7_NS0_8identityIiEEEE10hipError_tT2_T3_mT4_P12ihipStream_tbEUlT_E_NS1_11comp_targetILNS1_3genE4ELNS1_11target_archE910ELNS1_3gpuE8ELNS1_3repE0EEENS1_30default_config_static_selectorELNS0_4arch9wavefront6targetE1EEEvT1_
    .private_segment_fixed_size: 0
    .sgpr_count:     20
    .sgpr_spill_count: 0
    .symbol:         _ZN7rocprim17ROCPRIM_400000_NS6detail17trampoline_kernelINS0_14default_configENS1_25transform_config_selectorIiLb1EEEZNS1_14transform_implILb1ES3_S5_PiS7_NS0_8identityIiEEEE10hipError_tT2_T3_mT4_P12ihipStream_tbEUlT_E_NS1_11comp_targetILNS1_3genE4ELNS1_11target_archE910ELNS1_3gpuE8ELNS1_3repE0EEENS1_30default_config_static_selectorELNS0_4arch9wavefront6targetE1EEEvT1_.kd
    .uniform_work_group_size: 1
    .uses_dynamic_stack: false
    .vgpr_count:     8
    .vgpr_spill_count: 0
    .wavefront_size: 64
  - .agpr_count:     0
    .args:
      - .offset:         0
        .size:           40
        .value_kind:     by_value
    .group_segment_fixed_size: 0
    .kernarg_segment_align: 8
    .kernarg_segment_size: 40
    .language:       OpenCL C
    .language_version:
      - 2
      - 0
    .max_flat_workgroup_size: 128
    .name:           _ZN7rocprim17ROCPRIM_400000_NS6detail17trampoline_kernelINS0_14default_configENS1_25transform_config_selectorIiLb1EEEZNS1_14transform_implILb1ES3_S5_PiS7_NS0_8identityIiEEEE10hipError_tT2_T3_mT4_P12ihipStream_tbEUlT_E_NS1_11comp_targetILNS1_3genE3ELNS1_11target_archE908ELNS1_3gpuE7ELNS1_3repE0EEENS1_30default_config_static_selectorELNS0_4arch9wavefront6targetE1EEEvT1_
    .private_segment_fixed_size: 0
    .sgpr_count:     4
    .sgpr_spill_count: 0
    .symbol:         _ZN7rocprim17ROCPRIM_400000_NS6detail17trampoline_kernelINS0_14default_configENS1_25transform_config_selectorIiLb1EEEZNS1_14transform_implILb1ES3_S5_PiS7_NS0_8identityIiEEEE10hipError_tT2_T3_mT4_P12ihipStream_tbEUlT_E_NS1_11comp_targetILNS1_3genE3ELNS1_11target_archE908ELNS1_3gpuE7ELNS1_3repE0EEENS1_30default_config_static_selectorELNS0_4arch9wavefront6targetE1EEEvT1_.kd
    .uniform_work_group_size: 1
    .uses_dynamic_stack: false
    .vgpr_count:     0
    .vgpr_spill_count: 0
    .wavefront_size: 64
  - .agpr_count:     0
    .args:
      - .offset:         0
        .size:           40
        .value_kind:     by_value
    .group_segment_fixed_size: 0
    .kernarg_segment_align: 8
    .kernarg_segment_size: 40
    .language:       OpenCL C
    .language_version:
      - 2
      - 0
    .max_flat_workgroup_size: 1024
    .name:           _ZN7rocprim17ROCPRIM_400000_NS6detail17trampoline_kernelINS0_14default_configENS1_25transform_config_selectorIiLb1EEEZNS1_14transform_implILb1ES3_S5_PiS7_NS0_8identityIiEEEE10hipError_tT2_T3_mT4_P12ihipStream_tbEUlT_E_NS1_11comp_targetILNS1_3genE2ELNS1_11target_archE906ELNS1_3gpuE6ELNS1_3repE0EEENS1_30default_config_static_selectorELNS0_4arch9wavefront6targetE1EEEvT1_
    .private_segment_fixed_size: 0
    .sgpr_count:     4
    .sgpr_spill_count: 0
    .symbol:         _ZN7rocprim17ROCPRIM_400000_NS6detail17trampoline_kernelINS0_14default_configENS1_25transform_config_selectorIiLb1EEEZNS1_14transform_implILb1ES3_S5_PiS7_NS0_8identityIiEEEE10hipError_tT2_T3_mT4_P12ihipStream_tbEUlT_E_NS1_11comp_targetILNS1_3genE2ELNS1_11target_archE906ELNS1_3gpuE6ELNS1_3repE0EEENS1_30default_config_static_selectorELNS0_4arch9wavefront6targetE1EEEvT1_.kd
    .uniform_work_group_size: 1
    .uses_dynamic_stack: false
    .vgpr_count:     0
    .vgpr_spill_count: 0
    .wavefront_size: 64
  - .agpr_count:     0
    .args:
      - .offset:         0
        .size:           40
        .value_kind:     by_value
    .group_segment_fixed_size: 0
    .kernarg_segment_align: 8
    .kernarg_segment_size: 40
    .language:       OpenCL C
    .language_version:
      - 2
      - 0
    .max_flat_workgroup_size: 1024
    .name:           _ZN7rocprim17ROCPRIM_400000_NS6detail17trampoline_kernelINS0_14default_configENS1_25transform_config_selectorIiLb1EEEZNS1_14transform_implILb1ES3_S5_PiS7_NS0_8identityIiEEEE10hipError_tT2_T3_mT4_P12ihipStream_tbEUlT_E_NS1_11comp_targetILNS1_3genE9ELNS1_11target_archE1100ELNS1_3gpuE3ELNS1_3repE0EEENS1_30default_config_static_selectorELNS0_4arch9wavefront6targetE1EEEvT1_
    .private_segment_fixed_size: 0
    .sgpr_count:     4
    .sgpr_spill_count: 0
    .symbol:         _ZN7rocprim17ROCPRIM_400000_NS6detail17trampoline_kernelINS0_14default_configENS1_25transform_config_selectorIiLb1EEEZNS1_14transform_implILb1ES3_S5_PiS7_NS0_8identityIiEEEE10hipError_tT2_T3_mT4_P12ihipStream_tbEUlT_E_NS1_11comp_targetILNS1_3genE9ELNS1_11target_archE1100ELNS1_3gpuE3ELNS1_3repE0EEENS1_30default_config_static_selectorELNS0_4arch9wavefront6targetE1EEEvT1_.kd
    .uniform_work_group_size: 1
    .uses_dynamic_stack: false
    .vgpr_count:     0
    .vgpr_spill_count: 0
    .wavefront_size: 64
  - .agpr_count:     0
    .args:
      - .offset:         0
        .size:           40
        .value_kind:     by_value
    .group_segment_fixed_size: 0
    .kernarg_segment_align: 8
    .kernarg_segment_size: 40
    .language:       OpenCL C
    .language_version:
      - 2
      - 0
    .max_flat_workgroup_size: 1024
    .name:           _ZN7rocprim17ROCPRIM_400000_NS6detail17trampoline_kernelINS0_14default_configENS1_25transform_config_selectorIiLb1EEEZNS1_14transform_implILb1ES3_S5_PiS7_NS0_8identityIiEEEE10hipError_tT2_T3_mT4_P12ihipStream_tbEUlT_E_NS1_11comp_targetILNS1_3genE8ELNS1_11target_archE1030ELNS1_3gpuE2ELNS1_3repE0EEENS1_30default_config_static_selectorELNS0_4arch9wavefront6targetE1EEEvT1_
    .private_segment_fixed_size: 0
    .sgpr_count:     4
    .sgpr_spill_count: 0
    .symbol:         _ZN7rocprim17ROCPRIM_400000_NS6detail17trampoline_kernelINS0_14default_configENS1_25transform_config_selectorIiLb1EEEZNS1_14transform_implILb1ES3_S5_PiS7_NS0_8identityIiEEEE10hipError_tT2_T3_mT4_P12ihipStream_tbEUlT_E_NS1_11comp_targetILNS1_3genE8ELNS1_11target_archE1030ELNS1_3gpuE2ELNS1_3repE0EEENS1_30default_config_static_selectorELNS0_4arch9wavefront6targetE1EEEvT1_.kd
    .uniform_work_group_size: 1
    .uses_dynamic_stack: false
    .vgpr_count:     0
    .vgpr_spill_count: 0
    .wavefront_size: 64
  - .agpr_count:     0
    .args:
      - .offset:         0
        .size:           40
        .value_kind:     by_value
    .group_segment_fixed_size: 0
    .kernarg_segment_align: 8
    .kernarg_segment_size: 40
    .language:       OpenCL C
    .language_version:
      - 2
      - 0
    .max_flat_workgroup_size: 128
    .name:           _ZN7rocprim17ROCPRIM_400000_NS6detail17trampoline_kernelINS0_14default_configENS1_38merge_sort_block_merge_config_selectorIiNS0_10empty_typeEEEZZNS1_27merge_sort_block_merge_implIS3_PiPS5_jNS1_19radix_merge_compareILb0ELb1EiNS0_19identity_decomposerEEEEE10hipError_tT0_T1_T2_jT3_P12ihipStream_tbPNSt15iterator_traitsISE_E10value_typeEPNSK_ISF_E10value_typeEPSG_NS1_7vsmem_tEENKUlT_SE_SF_SG_E_clIS8_S8_S9_S9_EESD_ST_SE_SF_SG_EUlST_E_NS1_11comp_targetILNS1_3genE0ELNS1_11target_archE4294967295ELNS1_3gpuE0ELNS1_3repE0EEENS1_48merge_mergepath_partition_config_static_selectorELNS0_4arch9wavefront6targetE1EEEvSF_
    .private_segment_fixed_size: 0
    .sgpr_count:     4
    .sgpr_spill_count: 0
    .symbol:         _ZN7rocprim17ROCPRIM_400000_NS6detail17trampoline_kernelINS0_14default_configENS1_38merge_sort_block_merge_config_selectorIiNS0_10empty_typeEEEZZNS1_27merge_sort_block_merge_implIS3_PiPS5_jNS1_19radix_merge_compareILb0ELb1EiNS0_19identity_decomposerEEEEE10hipError_tT0_T1_T2_jT3_P12ihipStream_tbPNSt15iterator_traitsISE_E10value_typeEPNSK_ISF_E10value_typeEPSG_NS1_7vsmem_tEENKUlT_SE_SF_SG_E_clIS8_S8_S9_S9_EESD_ST_SE_SF_SG_EUlST_E_NS1_11comp_targetILNS1_3genE0ELNS1_11target_archE4294967295ELNS1_3gpuE0ELNS1_3repE0EEENS1_48merge_mergepath_partition_config_static_selectorELNS0_4arch9wavefront6targetE1EEEvSF_.kd
    .uniform_work_group_size: 1
    .uses_dynamic_stack: false
    .vgpr_count:     0
    .vgpr_spill_count: 0
    .wavefront_size: 64
  - .agpr_count:     0
    .args:
      - .offset:         0
        .size:           40
        .value_kind:     by_value
    .group_segment_fixed_size: 0
    .kernarg_segment_align: 8
    .kernarg_segment_size: 40
    .language:       OpenCL C
    .language_version:
      - 2
      - 0
    .max_flat_workgroup_size: 128
    .name:           _ZN7rocprim17ROCPRIM_400000_NS6detail17trampoline_kernelINS0_14default_configENS1_38merge_sort_block_merge_config_selectorIiNS0_10empty_typeEEEZZNS1_27merge_sort_block_merge_implIS3_PiPS5_jNS1_19radix_merge_compareILb0ELb1EiNS0_19identity_decomposerEEEEE10hipError_tT0_T1_T2_jT3_P12ihipStream_tbPNSt15iterator_traitsISE_E10value_typeEPNSK_ISF_E10value_typeEPSG_NS1_7vsmem_tEENKUlT_SE_SF_SG_E_clIS8_S8_S9_S9_EESD_ST_SE_SF_SG_EUlST_E_NS1_11comp_targetILNS1_3genE10ELNS1_11target_archE1201ELNS1_3gpuE5ELNS1_3repE0EEENS1_48merge_mergepath_partition_config_static_selectorELNS0_4arch9wavefront6targetE1EEEvSF_
    .private_segment_fixed_size: 0
    .sgpr_count:     4
    .sgpr_spill_count: 0
    .symbol:         _ZN7rocprim17ROCPRIM_400000_NS6detail17trampoline_kernelINS0_14default_configENS1_38merge_sort_block_merge_config_selectorIiNS0_10empty_typeEEEZZNS1_27merge_sort_block_merge_implIS3_PiPS5_jNS1_19radix_merge_compareILb0ELb1EiNS0_19identity_decomposerEEEEE10hipError_tT0_T1_T2_jT3_P12ihipStream_tbPNSt15iterator_traitsISE_E10value_typeEPNSK_ISF_E10value_typeEPSG_NS1_7vsmem_tEENKUlT_SE_SF_SG_E_clIS8_S8_S9_S9_EESD_ST_SE_SF_SG_EUlST_E_NS1_11comp_targetILNS1_3genE10ELNS1_11target_archE1201ELNS1_3gpuE5ELNS1_3repE0EEENS1_48merge_mergepath_partition_config_static_selectorELNS0_4arch9wavefront6targetE1EEEvSF_.kd
    .uniform_work_group_size: 1
    .uses_dynamic_stack: false
    .vgpr_count:     0
    .vgpr_spill_count: 0
    .wavefront_size: 64
  - .agpr_count:     0
    .args:
      - .offset:         0
        .size:           40
        .value_kind:     by_value
    .group_segment_fixed_size: 0
    .kernarg_segment_align: 8
    .kernarg_segment_size: 40
    .language:       OpenCL C
    .language_version:
      - 2
      - 0
    .max_flat_workgroup_size: 128
    .name:           _ZN7rocprim17ROCPRIM_400000_NS6detail17trampoline_kernelINS0_14default_configENS1_38merge_sort_block_merge_config_selectorIiNS0_10empty_typeEEEZZNS1_27merge_sort_block_merge_implIS3_PiPS5_jNS1_19radix_merge_compareILb0ELb1EiNS0_19identity_decomposerEEEEE10hipError_tT0_T1_T2_jT3_P12ihipStream_tbPNSt15iterator_traitsISE_E10value_typeEPNSK_ISF_E10value_typeEPSG_NS1_7vsmem_tEENKUlT_SE_SF_SG_E_clIS8_S8_S9_S9_EESD_ST_SE_SF_SG_EUlST_E_NS1_11comp_targetILNS1_3genE5ELNS1_11target_archE942ELNS1_3gpuE9ELNS1_3repE0EEENS1_48merge_mergepath_partition_config_static_selectorELNS0_4arch9wavefront6targetE1EEEvSF_
    .private_segment_fixed_size: 0
    .sgpr_count:     4
    .sgpr_spill_count: 0
    .symbol:         _ZN7rocprim17ROCPRIM_400000_NS6detail17trampoline_kernelINS0_14default_configENS1_38merge_sort_block_merge_config_selectorIiNS0_10empty_typeEEEZZNS1_27merge_sort_block_merge_implIS3_PiPS5_jNS1_19radix_merge_compareILb0ELb1EiNS0_19identity_decomposerEEEEE10hipError_tT0_T1_T2_jT3_P12ihipStream_tbPNSt15iterator_traitsISE_E10value_typeEPNSK_ISF_E10value_typeEPSG_NS1_7vsmem_tEENKUlT_SE_SF_SG_E_clIS8_S8_S9_S9_EESD_ST_SE_SF_SG_EUlST_E_NS1_11comp_targetILNS1_3genE5ELNS1_11target_archE942ELNS1_3gpuE9ELNS1_3repE0EEENS1_48merge_mergepath_partition_config_static_selectorELNS0_4arch9wavefront6targetE1EEEvSF_.kd
    .uniform_work_group_size: 1
    .uses_dynamic_stack: false
    .vgpr_count:     0
    .vgpr_spill_count: 0
    .wavefront_size: 64
  - .agpr_count:     0
    .args:
      - .offset:         0
        .size:           40
        .value_kind:     by_value
    .group_segment_fixed_size: 0
    .kernarg_segment_align: 8
    .kernarg_segment_size: 40
    .language:       OpenCL C
    .language_version:
      - 2
      - 0
    .max_flat_workgroup_size: 128
    .name:           _ZN7rocprim17ROCPRIM_400000_NS6detail17trampoline_kernelINS0_14default_configENS1_38merge_sort_block_merge_config_selectorIiNS0_10empty_typeEEEZZNS1_27merge_sort_block_merge_implIS3_PiPS5_jNS1_19radix_merge_compareILb0ELb1EiNS0_19identity_decomposerEEEEE10hipError_tT0_T1_T2_jT3_P12ihipStream_tbPNSt15iterator_traitsISE_E10value_typeEPNSK_ISF_E10value_typeEPSG_NS1_7vsmem_tEENKUlT_SE_SF_SG_E_clIS8_S8_S9_S9_EESD_ST_SE_SF_SG_EUlST_E_NS1_11comp_targetILNS1_3genE4ELNS1_11target_archE910ELNS1_3gpuE8ELNS1_3repE0EEENS1_48merge_mergepath_partition_config_static_selectorELNS0_4arch9wavefront6targetE1EEEvSF_
    .private_segment_fixed_size: 0
    .sgpr_count:     14
    .sgpr_spill_count: 0
    .symbol:         _ZN7rocprim17ROCPRIM_400000_NS6detail17trampoline_kernelINS0_14default_configENS1_38merge_sort_block_merge_config_selectorIiNS0_10empty_typeEEEZZNS1_27merge_sort_block_merge_implIS3_PiPS5_jNS1_19radix_merge_compareILb0ELb1EiNS0_19identity_decomposerEEEEE10hipError_tT0_T1_T2_jT3_P12ihipStream_tbPNSt15iterator_traitsISE_E10value_typeEPNSK_ISF_E10value_typeEPSG_NS1_7vsmem_tEENKUlT_SE_SF_SG_E_clIS8_S8_S9_S9_EESD_ST_SE_SF_SG_EUlST_E_NS1_11comp_targetILNS1_3genE4ELNS1_11target_archE910ELNS1_3gpuE8ELNS1_3repE0EEENS1_48merge_mergepath_partition_config_static_selectorELNS0_4arch9wavefront6targetE1EEEvSF_.kd
    .uniform_work_group_size: 1
    .uses_dynamic_stack: false
    .vgpr_count:     17
    .vgpr_spill_count: 0
    .wavefront_size: 64
  - .agpr_count:     0
    .args:
      - .offset:         0
        .size:           40
        .value_kind:     by_value
    .group_segment_fixed_size: 0
    .kernarg_segment_align: 8
    .kernarg_segment_size: 40
    .language:       OpenCL C
    .language_version:
      - 2
      - 0
    .max_flat_workgroup_size: 128
    .name:           _ZN7rocprim17ROCPRIM_400000_NS6detail17trampoline_kernelINS0_14default_configENS1_38merge_sort_block_merge_config_selectorIiNS0_10empty_typeEEEZZNS1_27merge_sort_block_merge_implIS3_PiPS5_jNS1_19radix_merge_compareILb0ELb1EiNS0_19identity_decomposerEEEEE10hipError_tT0_T1_T2_jT3_P12ihipStream_tbPNSt15iterator_traitsISE_E10value_typeEPNSK_ISF_E10value_typeEPSG_NS1_7vsmem_tEENKUlT_SE_SF_SG_E_clIS8_S8_S9_S9_EESD_ST_SE_SF_SG_EUlST_E_NS1_11comp_targetILNS1_3genE3ELNS1_11target_archE908ELNS1_3gpuE7ELNS1_3repE0EEENS1_48merge_mergepath_partition_config_static_selectorELNS0_4arch9wavefront6targetE1EEEvSF_
    .private_segment_fixed_size: 0
    .sgpr_count:     4
    .sgpr_spill_count: 0
    .symbol:         _ZN7rocprim17ROCPRIM_400000_NS6detail17trampoline_kernelINS0_14default_configENS1_38merge_sort_block_merge_config_selectorIiNS0_10empty_typeEEEZZNS1_27merge_sort_block_merge_implIS3_PiPS5_jNS1_19radix_merge_compareILb0ELb1EiNS0_19identity_decomposerEEEEE10hipError_tT0_T1_T2_jT3_P12ihipStream_tbPNSt15iterator_traitsISE_E10value_typeEPNSK_ISF_E10value_typeEPSG_NS1_7vsmem_tEENKUlT_SE_SF_SG_E_clIS8_S8_S9_S9_EESD_ST_SE_SF_SG_EUlST_E_NS1_11comp_targetILNS1_3genE3ELNS1_11target_archE908ELNS1_3gpuE7ELNS1_3repE0EEENS1_48merge_mergepath_partition_config_static_selectorELNS0_4arch9wavefront6targetE1EEEvSF_.kd
    .uniform_work_group_size: 1
    .uses_dynamic_stack: false
    .vgpr_count:     0
    .vgpr_spill_count: 0
    .wavefront_size: 64
  - .agpr_count:     0
    .args:
      - .offset:         0
        .size:           40
        .value_kind:     by_value
    .group_segment_fixed_size: 0
    .kernarg_segment_align: 8
    .kernarg_segment_size: 40
    .language:       OpenCL C
    .language_version:
      - 2
      - 0
    .max_flat_workgroup_size: 128
    .name:           _ZN7rocprim17ROCPRIM_400000_NS6detail17trampoline_kernelINS0_14default_configENS1_38merge_sort_block_merge_config_selectorIiNS0_10empty_typeEEEZZNS1_27merge_sort_block_merge_implIS3_PiPS5_jNS1_19radix_merge_compareILb0ELb1EiNS0_19identity_decomposerEEEEE10hipError_tT0_T1_T2_jT3_P12ihipStream_tbPNSt15iterator_traitsISE_E10value_typeEPNSK_ISF_E10value_typeEPSG_NS1_7vsmem_tEENKUlT_SE_SF_SG_E_clIS8_S8_S9_S9_EESD_ST_SE_SF_SG_EUlST_E_NS1_11comp_targetILNS1_3genE2ELNS1_11target_archE906ELNS1_3gpuE6ELNS1_3repE0EEENS1_48merge_mergepath_partition_config_static_selectorELNS0_4arch9wavefront6targetE1EEEvSF_
    .private_segment_fixed_size: 0
    .sgpr_count:     4
    .sgpr_spill_count: 0
    .symbol:         _ZN7rocprim17ROCPRIM_400000_NS6detail17trampoline_kernelINS0_14default_configENS1_38merge_sort_block_merge_config_selectorIiNS0_10empty_typeEEEZZNS1_27merge_sort_block_merge_implIS3_PiPS5_jNS1_19radix_merge_compareILb0ELb1EiNS0_19identity_decomposerEEEEE10hipError_tT0_T1_T2_jT3_P12ihipStream_tbPNSt15iterator_traitsISE_E10value_typeEPNSK_ISF_E10value_typeEPSG_NS1_7vsmem_tEENKUlT_SE_SF_SG_E_clIS8_S8_S9_S9_EESD_ST_SE_SF_SG_EUlST_E_NS1_11comp_targetILNS1_3genE2ELNS1_11target_archE906ELNS1_3gpuE6ELNS1_3repE0EEENS1_48merge_mergepath_partition_config_static_selectorELNS0_4arch9wavefront6targetE1EEEvSF_.kd
    .uniform_work_group_size: 1
    .uses_dynamic_stack: false
    .vgpr_count:     0
    .vgpr_spill_count: 0
    .wavefront_size: 64
  - .agpr_count:     0
    .args:
      - .offset:         0
        .size:           40
        .value_kind:     by_value
    .group_segment_fixed_size: 0
    .kernarg_segment_align: 8
    .kernarg_segment_size: 40
    .language:       OpenCL C
    .language_version:
      - 2
      - 0
    .max_flat_workgroup_size: 128
    .name:           _ZN7rocprim17ROCPRIM_400000_NS6detail17trampoline_kernelINS0_14default_configENS1_38merge_sort_block_merge_config_selectorIiNS0_10empty_typeEEEZZNS1_27merge_sort_block_merge_implIS3_PiPS5_jNS1_19radix_merge_compareILb0ELb1EiNS0_19identity_decomposerEEEEE10hipError_tT0_T1_T2_jT3_P12ihipStream_tbPNSt15iterator_traitsISE_E10value_typeEPNSK_ISF_E10value_typeEPSG_NS1_7vsmem_tEENKUlT_SE_SF_SG_E_clIS8_S8_S9_S9_EESD_ST_SE_SF_SG_EUlST_E_NS1_11comp_targetILNS1_3genE9ELNS1_11target_archE1100ELNS1_3gpuE3ELNS1_3repE0EEENS1_48merge_mergepath_partition_config_static_selectorELNS0_4arch9wavefront6targetE1EEEvSF_
    .private_segment_fixed_size: 0
    .sgpr_count:     4
    .sgpr_spill_count: 0
    .symbol:         _ZN7rocprim17ROCPRIM_400000_NS6detail17trampoline_kernelINS0_14default_configENS1_38merge_sort_block_merge_config_selectorIiNS0_10empty_typeEEEZZNS1_27merge_sort_block_merge_implIS3_PiPS5_jNS1_19radix_merge_compareILb0ELb1EiNS0_19identity_decomposerEEEEE10hipError_tT0_T1_T2_jT3_P12ihipStream_tbPNSt15iterator_traitsISE_E10value_typeEPNSK_ISF_E10value_typeEPSG_NS1_7vsmem_tEENKUlT_SE_SF_SG_E_clIS8_S8_S9_S9_EESD_ST_SE_SF_SG_EUlST_E_NS1_11comp_targetILNS1_3genE9ELNS1_11target_archE1100ELNS1_3gpuE3ELNS1_3repE0EEENS1_48merge_mergepath_partition_config_static_selectorELNS0_4arch9wavefront6targetE1EEEvSF_.kd
    .uniform_work_group_size: 1
    .uses_dynamic_stack: false
    .vgpr_count:     0
    .vgpr_spill_count: 0
    .wavefront_size: 64
  - .agpr_count:     0
    .args:
      - .offset:         0
        .size:           40
        .value_kind:     by_value
    .group_segment_fixed_size: 0
    .kernarg_segment_align: 8
    .kernarg_segment_size: 40
    .language:       OpenCL C
    .language_version:
      - 2
      - 0
    .max_flat_workgroup_size: 128
    .name:           _ZN7rocprim17ROCPRIM_400000_NS6detail17trampoline_kernelINS0_14default_configENS1_38merge_sort_block_merge_config_selectorIiNS0_10empty_typeEEEZZNS1_27merge_sort_block_merge_implIS3_PiPS5_jNS1_19radix_merge_compareILb0ELb1EiNS0_19identity_decomposerEEEEE10hipError_tT0_T1_T2_jT3_P12ihipStream_tbPNSt15iterator_traitsISE_E10value_typeEPNSK_ISF_E10value_typeEPSG_NS1_7vsmem_tEENKUlT_SE_SF_SG_E_clIS8_S8_S9_S9_EESD_ST_SE_SF_SG_EUlST_E_NS1_11comp_targetILNS1_3genE8ELNS1_11target_archE1030ELNS1_3gpuE2ELNS1_3repE0EEENS1_48merge_mergepath_partition_config_static_selectorELNS0_4arch9wavefront6targetE1EEEvSF_
    .private_segment_fixed_size: 0
    .sgpr_count:     4
    .sgpr_spill_count: 0
    .symbol:         _ZN7rocprim17ROCPRIM_400000_NS6detail17trampoline_kernelINS0_14default_configENS1_38merge_sort_block_merge_config_selectorIiNS0_10empty_typeEEEZZNS1_27merge_sort_block_merge_implIS3_PiPS5_jNS1_19radix_merge_compareILb0ELb1EiNS0_19identity_decomposerEEEEE10hipError_tT0_T1_T2_jT3_P12ihipStream_tbPNSt15iterator_traitsISE_E10value_typeEPNSK_ISF_E10value_typeEPSG_NS1_7vsmem_tEENKUlT_SE_SF_SG_E_clIS8_S8_S9_S9_EESD_ST_SE_SF_SG_EUlST_E_NS1_11comp_targetILNS1_3genE8ELNS1_11target_archE1030ELNS1_3gpuE2ELNS1_3repE0EEENS1_48merge_mergepath_partition_config_static_selectorELNS0_4arch9wavefront6targetE1EEEvSF_.kd
    .uniform_work_group_size: 1
    .uses_dynamic_stack: false
    .vgpr_count:     0
    .vgpr_spill_count: 0
    .wavefront_size: 64
  - .agpr_count:     0
    .args:
      - .offset:         0
        .size:           64
        .value_kind:     by_value
    .group_segment_fixed_size: 0
    .kernarg_segment_align: 8
    .kernarg_segment_size: 64
    .language:       OpenCL C
    .language_version:
      - 2
      - 0
    .max_flat_workgroup_size: 128
    .name:           _ZN7rocprim17ROCPRIM_400000_NS6detail17trampoline_kernelINS0_14default_configENS1_38merge_sort_block_merge_config_selectorIiNS0_10empty_typeEEEZZNS1_27merge_sort_block_merge_implIS3_PiPS5_jNS1_19radix_merge_compareILb0ELb1EiNS0_19identity_decomposerEEEEE10hipError_tT0_T1_T2_jT3_P12ihipStream_tbPNSt15iterator_traitsISE_E10value_typeEPNSK_ISF_E10value_typeEPSG_NS1_7vsmem_tEENKUlT_SE_SF_SG_E_clIS8_S8_S9_S9_EESD_ST_SE_SF_SG_EUlST_E0_NS1_11comp_targetILNS1_3genE0ELNS1_11target_archE4294967295ELNS1_3gpuE0ELNS1_3repE0EEENS1_38merge_mergepath_config_static_selectorELNS0_4arch9wavefront6targetE1EEEvSF_
    .private_segment_fixed_size: 0
    .sgpr_count:     4
    .sgpr_spill_count: 0
    .symbol:         _ZN7rocprim17ROCPRIM_400000_NS6detail17trampoline_kernelINS0_14default_configENS1_38merge_sort_block_merge_config_selectorIiNS0_10empty_typeEEEZZNS1_27merge_sort_block_merge_implIS3_PiPS5_jNS1_19radix_merge_compareILb0ELb1EiNS0_19identity_decomposerEEEEE10hipError_tT0_T1_T2_jT3_P12ihipStream_tbPNSt15iterator_traitsISE_E10value_typeEPNSK_ISF_E10value_typeEPSG_NS1_7vsmem_tEENKUlT_SE_SF_SG_E_clIS8_S8_S9_S9_EESD_ST_SE_SF_SG_EUlST_E0_NS1_11comp_targetILNS1_3genE0ELNS1_11target_archE4294967295ELNS1_3gpuE0ELNS1_3repE0EEENS1_38merge_mergepath_config_static_selectorELNS0_4arch9wavefront6targetE1EEEvSF_.kd
    .uniform_work_group_size: 1
    .uses_dynamic_stack: false
    .vgpr_count:     0
    .vgpr_spill_count: 0
    .wavefront_size: 64
  - .agpr_count:     0
    .args:
      - .offset:         0
        .size:           64
        .value_kind:     by_value
    .group_segment_fixed_size: 0
    .kernarg_segment_align: 8
    .kernarg_segment_size: 64
    .language:       OpenCL C
    .language_version:
      - 2
      - 0
    .max_flat_workgroup_size: 256
    .name:           _ZN7rocprim17ROCPRIM_400000_NS6detail17trampoline_kernelINS0_14default_configENS1_38merge_sort_block_merge_config_selectorIiNS0_10empty_typeEEEZZNS1_27merge_sort_block_merge_implIS3_PiPS5_jNS1_19radix_merge_compareILb0ELb1EiNS0_19identity_decomposerEEEEE10hipError_tT0_T1_T2_jT3_P12ihipStream_tbPNSt15iterator_traitsISE_E10value_typeEPNSK_ISF_E10value_typeEPSG_NS1_7vsmem_tEENKUlT_SE_SF_SG_E_clIS8_S8_S9_S9_EESD_ST_SE_SF_SG_EUlST_E0_NS1_11comp_targetILNS1_3genE10ELNS1_11target_archE1201ELNS1_3gpuE5ELNS1_3repE0EEENS1_38merge_mergepath_config_static_selectorELNS0_4arch9wavefront6targetE1EEEvSF_
    .private_segment_fixed_size: 0
    .sgpr_count:     4
    .sgpr_spill_count: 0
    .symbol:         _ZN7rocprim17ROCPRIM_400000_NS6detail17trampoline_kernelINS0_14default_configENS1_38merge_sort_block_merge_config_selectorIiNS0_10empty_typeEEEZZNS1_27merge_sort_block_merge_implIS3_PiPS5_jNS1_19radix_merge_compareILb0ELb1EiNS0_19identity_decomposerEEEEE10hipError_tT0_T1_T2_jT3_P12ihipStream_tbPNSt15iterator_traitsISE_E10value_typeEPNSK_ISF_E10value_typeEPSG_NS1_7vsmem_tEENKUlT_SE_SF_SG_E_clIS8_S8_S9_S9_EESD_ST_SE_SF_SG_EUlST_E0_NS1_11comp_targetILNS1_3genE10ELNS1_11target_archE1201ELNS1_3gpuE5ELNS1_3repE0EEENS1_38merge_mergepath_config_static_selectorELNS0_4arch9wavefront6targetE1EEEvSF_.kd
    .uniform_work_group_size: 1
    .uses_dynamic_stack: false
    .vgpr_count:     0
    .vgpr_spill_count: 0
    .wavefront_size: 64
  - .agpr_count:     0
    .args:
      - .offset:         0
        .size:           64
        .value_kind:     by_value
    .group_segment_fixed_size: 0
    .kernarg_segment_align: 8
    .kernarg_segment_size: 64
    .language:       OpenCL C
    .language_version:
      - 2
      - 0
    .max_flat_workgroup_size: 128
    .name:           _ZN7rocprim17ROCPRIM_400000_NS6detail17trampoline_kernelINS0_14default_configENS1_38merge_sort_block_merge_config_selectorIiNS0_10empty_typeEEEZZNS1_27merge_sort_block_merge_implIS3_PiPS5_jNS1_19radix_merge_compareILb0ELb1EiNS0_19identity_decomposerEEEEE10hipError_tT0_T1_T2_jT3_P12ihipStream_tbPNSt15iterator_traitsISE_E10value_typeEPNSK_ISF_E10value_typeEPSG_NS1_7vsmem_tEENKUlT_SE_SF_SG_E_clIS8_S8_S9_S9_EESD_ST_SE_SF_SG_EUlST_E0_NS1_11comp_targetILNS1_3genE5ELNS1_11target_archE942ELNS1_3gpuE9ELNS1_3repE0EEENS1_38merge_mergepath_config_static_selectorELNS0_4arch9wavefront6targetE1EEEvSF_
    .private_segment_fixed_size: 0
    .sgpr_count:     4
    .sgpr_spill_count: 0
    .symbol:         _ZN7rocprim17ROCPRIM_400000_NS6detail17trampoline_kernelINS0_14default_configENS1_38merge_sort_block_merge_config_selectorIiNS0_10empty_typeEEEZZNS1_27merge_sort_block_merge_implIS3_PiPS5_jNS1_19radix_merge_compareILb0ELb1EiNS0_19identity_decomposerEEEEE10hipError_tT0_T1_T2_jT3_P12ihipStream_tbPNSt15iterator_traitsISE_E10value_typeEPNSK_ISF_E10value_typeEPSG_NS1_7vsmem_tEENKUlT_SE_SF_SG_E_clIS8_S8_S9_S9_EESD_ST_SE_SF_SG_EUlST_E0_NS1_11comp_targetILNS1_3genE5ELNS1_11target_archE942ELNS1_3gpuE9ELNS1_3repE0EEENS1_38merge_mergepath_config_static_selectorELNS0_4arch9wavefront6targetE1EEEvSF_.kd
    .uniform_work_group_size: 1
    .uses_dynamic_stack: false
    .vgpr_count:     0
    .vgpr_spill_count: 0
    .wavefront_size: 64
  - .agpr_count:     0
    .args:
      - .offset:         0
        .size:           64
        .value_kind:     by_value
      - .offset:         64
        .size:           4
        .value_kind:     hidden_block_count_x
      - .offset:         68
        .size:           4
        .value_kind:     hidden_block_count_y
      - .offset:         72
        .size:           4
        .value_kind:     hidden_block_count_z
      - .offset:         76
        .size:           2
        .value_kind:     hidden_group_size_x
      - .offset:         78
        .size:           2
        .value_kind:     hidden_group_size_y
      - .offset:         80
        .size:           2
        .value_kind:     hidden_group_size_z
      - .offset:         82
        .size:           2
        .value_kind:     hidden_remainder_x
      - .offset:         84
        .size:           2
        .value_kind:     hidden_remainder_y
      - .offset:         86
        .size:           2
        .value_kind:     hidden_remainder_z
      - .offset:         104
        .size:           8
        .value_kind:     hidden_global_offset_x
      - .offset:         112
        .size:           8
        .value_kind:     hidden_global_offset_y
      - .offset:         120
        .size:           8
        .value_kind:     hidden_global_offset_z
      - .offset:         128
        .size:           2
        .value_kind:     hidden_grid_dims
    .group_segment_fixed_size: 4224
    .kernarg_segment_align: 8
    .kernarg_segment_size: 320
    .language:       OpenCL C
    .language_version:
      - 2
      - 0
    .max_flat_workgroup_size: 128
    .name:           _ZN7rocprim17ROCPRIM_400000_NS6detail17trampoline_kernelINS0_14default_configENS1_38merge_sort_block_merge_config_selectorIiNS0_10empty_typeEEEZZNS1_27merge_sort_block_merge_implIS3_PiPS5_jNS1_19radix_merge_compareILb0ELb1EiNS0_19identity_decomposerEEEEE10hipError_tT0_T1_T2_jT3_P12ihipStream_tbPNSt15iterator_traitsISE_E10value_typeEPNSK_ISF_E10value_typeEPSG_NS1_7vsmem_tEENKUlT_SE_SF_SG_E_clIS8_S8_S9_S9_EESD_ST_SE_SF_SG_EUlST_E0_NS1_11comp_targetILNS1_3genE4ELNS1_11target_archE910ELNS1_3gpuE8ELNS1_3repE0EEENS1_38merge_mergepath_config_static_selectorELNS0_4arch9wavefront6targetE1EEEvSF_
    .private_segment_fixed_size: 0
    .sgpr_count:     29
    .sgpr_spill_count: 0
    .symbol:         _ZN7rocprim17ROCPRIM_400000_NS6detail17trampoline_kernelINS0_14default_configENS1_38merge_sort_block_merge_config_selectorIiNS0_10empty_typeEEEZZNS1_27merge_sort_block_merge_implIS3_PiPS5_jNS1_19radix_merge_compareILb0ELb1EiNS0_19identity_decomposerEEEEE10hipError_tT0_T1_T2_jT3_P12ihipStream_tbPNSt15iterator_traitsISE_E10value_typeEPNSK_ISF_E10value_typeEPSG_NS1_7vsmem_tEENKUlT_SE_SF_SG_E_clIS8_S8_S9_S9_EESD_ST_SE_SF_SG_EUlST_E0_NS1_11comp_targetILNS1_3genE4ELNS1_11target_archE910ELNS1_3gpuE8ELNS1_3repE0EEENS1_38merge_mergepath_config_static_selectorELNS0_4arch9wavefront6targetE1EEEvSF_.kd
    .uniform_work_group_size: 1
    .uses_dynamic_stack: false
    .vgpr_count:     26
    .vgpr_spill_count: 0
    .wavefront_size: 64
  - .agpr_count:     0
    .args:
      - .offset:         0
        .size:           64
        .value_kind:     by_value
    .group_segment_fixed_size: 0
    .kernarg_segment_align: 8
    .kernarg_segment_size: 64
    .language:       OpenCL C
    .language_version:
      - 2
      - 0
    .max_flat_workgroup_size: 128
    .name:           _ZN7rocprim17ROCPRIM_400000_NS6detail17trampoline_kernelINS0_14default_configENS1_38merge_sort_block_merge_config_selectorIiNS0_10empty_typeEEEZZNS1_27merge_sort_block_merge_implIS3_PiPS5_jNS1_19radix_merge_compareILb0ELb1EiNS0_19identity_decomposerEEEEE10hipError_tT0_T1_T2_jT3_P12ihipStream_tbPNSt15iterator_traitsISE_E10value_typeEPNSK_ISF_E10value_typeEPSG_NS1_7vsmem_tEENKUlT_SE_SF_SG_E_clIS8_S8_S9_S9_EESD_ST_SE_SF_SG_EUlST_E0_NS1_11comp_targetILNS1_3genE3ELNS1_11target_archE908ELNS1_3gpuE7ELNS1_3repE0EEENS1_38merge_mergepath_config_static_selectorELNS0_4arch9wavefront6targetE1EEEvSF_
    .private_segment_fixed_size: 0
    .sgpr_count:     4
    .sgpr_spill_count: 0
    .symbol:         _ZN7rocprim17ROCPRIM_400000_NS6detail17trampoline_kernelINS0_14default_configENS1_38merge_sort_block_merge_config_selectorIiNS0_10empty_typeEEEZZNS1_27merge_sort_block_merge_implIS3_PiPS5_jNS1_19radix_merge_compareILb0ELb1EiNS0_19identity_decomposerEEEEE10hipError_tT0_T1_T2_jT3_P12ihipStream_tbPNSt15iterator_traitsISE_E10value_typeEPNSK_ISF_E10value_typeEPSG_NS1_7vsmem_tEENKUlT_SE_SF_SG_E_clIS8_S8_S9_S9_EESD_ST_SE_SF_SG_EUlST_E0_NS1_11comp_targetILNS1_3genE3ELNS1_11target_archE908ELNS1_3gpuE7ELNS1_3repE0EEENS1_38merge_mergepath_config_static_selectorELNS0_4arch9wavefront6targetE1EEEvSF_.kd
    .uniform_work_group_size: 1
    .uses_dynamic_stack: false
    .vgpr_count:     0
    .vgpr_spill_count: 0
    .wavefront_size: 64
  - .agpr_count:     0
    .args:
      - .offset:         0
        .size:           64
        .value_kind:     by_value
    .group_segment_fixed_size: 0
    .kernarg_segment_align: 8
    .kernarg_segment_size: 64
    .language:       OpenCL C
    .language_version:
      - 2
      - 0
    .max_flat_workgroup_size: 128
    .name:           _ZN7rocprim17ROCPRIM_400000_NS6detail17trampoline_kernelINS0_14default_configENS1_38merge_sort_block_merge_config_selectorIiNS0_10empty_typeEEEZZNS1_27merge_sort_block_merge_implIS3_PiPS5_jNS1_19radix_merge_compareILb0ELb1EiNS0_19identity_decomposerEEEEE10hipError_tT0_T1_T2_jT3_P12ihipStream_tbPNSt15iterator_traitsISE_E10value_typeEPNSK_ISF_E10value_typeEPSG_NS1_7vsmem_tEENKUlT_SE_SF_SG_E_clIS8_S8_S9_S9_EESD_ST_SE_SF_SG_EUlST_E0_NS1_11comp_targetILNS1_3genE2ELNS1_11target_archE906ELNS1_3gpuE6ELNS1_3repE0EEENS1_38merge_mergepath_config_static_selectorELNS0_4arch9wavefront6targetE1EEEvSF_
    .private_segment_fixed_size: 0
    .sgpr_count:     4
    .sgpr_spill_count: 0
    .symbol:         _ZN7rocprim17ROCPRIM_400000_NS6detail17trampoline_kernelINS0_14default_configENS1_38merge_sort_block_merge_config_selectorIiNS0_10empty_typeEEEZZNS1_27merge_sort_block_merge_implIS3_PiPS5_jNS1_19radix_merge_compareILb0ELb1EiNS0_19identity_decomposerEEEEE10hipError_tT0_T1_T2_jT3_P12ihipStream_tbPNSt15iterator_traitsISE_E10value_typeEPNSK_ISF_E10value_typeEPSG_NS1_7vsmem_tEENKUlT_SE_SF_SG_E_clIS8_S8_S9_S9_EESD_ST_SE_SF_SG_EUlST_E0_NS1_11comp_targetILNS1_3genE2ELNS1_11target_archE906ELNS1_3gpuE6ELNS1_3repE0EEENS1_38merge_mergepath_config_static_selectorELNS0_4arch9wavefront6targetE1EEEvSF_.kd
    .uniform_work_group_size: 1
    .uses_dynamic_stack: false
    .vgpr_count:     0
    .vgpr_spill_count: 0
    .wavefront_size: 64
  - .agpr_count:     0
    .args:
      - .offset:         0
        .size:           64
        .value_kind:     by_value
    .group_segment_fixed_size: 0
    .kernarg_segment_align: 8
    .kernarg_segment_size: 64
    .language:       OpenCL C
    .language_version:
      - 2
      - 0
    .max_flat_workgroup_size: 256
    .name:           _ZN7rocprim17ROCPRIM_400000_NS6detail17trampoline_kernelINS0_14default_configENS1_38merge_sort_block_merge_config_selectorIiNS0_10empty_typeEEEZZNS1_27merge_sort_block_merge_implIS3_PiPS5_jNS1_19radix_merge_compareILb0ELb1EiNS0_19identity_decomposerEEEEE10hipError_tT0_T1_T2_jT3_P12ihipStream_tbPNSt15iterator_traitsISE_E10value_typeEPNSK_ISF_E10value_typeEPSG_NS1_7vsmem_tEENKUlT_SE_SF_SG_E_clIS8_S8_S9_S9_EESD_ST_SE_SF_SG_EUlST_E0_NS1_11comp_targetILNS1_3genE9ELNS1_11target_archE1100ELNS1_3gpuE3ELNS1_3repE0EEENS1_38merge_mergepath_config_static_selectorELNS0_4arch9wavefront6targetE1EEEvSF_
    .private_segment_fixed_size: 0
    .sgpr_count:     4
    .sgpr_spill_count: 0
    .symbol:         _ZN7rocprim17ROCPRIM_400000_NS6detail17trampoline_kernelINS0_14default_configENS1_38merge_sort_block_merge_config_selectorIiNS0_10empty_typeEEEZZNS1_27merge_sort_block_merge_implIS3_PiPS5_jNS1_19radix_merge_compareILb0ELb1EiNS0_19identity_decomposerEEEEE10hipError_tT0_T1_T2_jT3_P12ihipStream_tbPNSt15iterator_traitsISE_E10value_typeEPNSK_ISF_E10value_typeEPSG_NS1_7vsmem_tEENKUlT_SE_SF_SG_E_clIS8_S8_S9_S9_EESD_ST_SE_SF_SG_EUlST_E0_NS1_11comp_targetILNS1_3genE9ELNS1_11target_archE1100ELNS1_3gpuE3ELNS1_3repE0EEENS1_38merge_mergepath_config_static_selectorELNS0_4arch9wavefront6targetE1EEEvSF_.kd
    .uniform_work_group_size: 1
    .uses_dynamic_stack: false
    .vgpr_count:     0
    .vgpr_spill_count: 0
    .wavefront_size: 64
  - .agpr_count:     0
    .args:
      - .offset:         0
        .size:           64
        .value_kind:     by_value
    .group_segment_fixed_size: 0
    .kernarg_segment_align: 8
    .kernarg_segment_size: 64
    .language:       OpenCL C
    .language_version:
      - 2
      - 0
    .max_flat_workgroup_size: 512
    .name:           _ZN7rocprim17ROCPRIM_400000_NS6detail17trampoline_kernelINS0_14default_configENS1_38merge_sort_block_merge_config_selectorIiNS0_10empty_typeEEEZZNS1_27merge_sort_block_merge_implIS3_PiPS5_jNS1_19radix_merge_compareILb0ELb1EiNS0_19identity_decomposerEEEEE10hipError_tT0_T1_T2_jT3_P12ihipStream_tbPNSt15iterator_traitsISE_E10value_typeEPNSK_ISF_E10value_typeEPSG_NS1_7vsmem_tEENKUlT_SE_SF_SG_E_clIS8_S8_S9_S9_EESD_ST_SE_SF_SG_EUlST_E0_NS1_11comp_targetILNS1_3genE8ELNS1_11target_archE1030ELNS1_3gpuE2ELNS1_3repE0EEENS1_38merge_mergepath_config_static_selectorELNS0_4arch9wavefront6targetE1EEEvSF_
    .private_segment_fixed_size: 0
    .sgpr_count:     4
    .sgpr_spill_count: 0
    .symbol:         _ZN7rocprim17ROCPRIM_400000_NS6detail17trampoline_kernelINS0_14default_configENS1_38merge_sort_block_merge_config_selectorIiNS0_10empty_typeEEEZZNS1_27merge_sort_block_merge_implIS3_PiPS5_jNS1_19radix_merge_compareILb0ELb1EiNS0_19identity_decomposerEEEEE10hipError_tT0_T1_T2_jT3_P12ihipStream_tbPNSt15iterator_traitsISE_E10value_typeEPNSK_ISF_E10value_typeEPSG_NS1_7vsmem_tEENKUlT_SE_SF_SG_E_clIS8_S8_S9_S9_EESD_ST_SE_SF_SG_EUlST_E0_NS1_11comp_targetILNS1_3genE8ELNS1_11target_archE1030ELNS1_3gpuE2ELNS1_3repE0EEENS1_38merge_mergepath_config_static_selectorELNS0_4arch9wavefront6targetE1EEEvSF_.kd
    .uniform_work_group_size: 1
    .uses_dynamic_stack: false
    .vgpr_count:     0
    .vgpr_spill_count: 0
    .wavefront_size: 64
  - .agpr_count:     0
    .args:
      - .offset:         0
        .size:           48
        .value_kind:     by_value
    .group_segment_fixed_size: 0
    .kernarg_segment_align: 8
    .kernarg_segment_size: 48
    .language:       OpenCL C
    .language_version:
      - 2
      - 0
    .max_flat_workgroup_size: 256
    .name:           _ZN7rocprim17ROCPRIM_400000_NS6detail17trampoline_kernelINS0_14default_configENS1_38merge_sort_block_merge_config_selectorIiNS0_10empty_typeEEEZZNS1_27merge_sort_block_merge_implIS3_PiPS5_jNS1_19radix_merge_compareILb0ELb1EiNS0_19identity_decomposerEEEEE10hipError_tT0_T1_T2_jT3_P12ihipStream_tbPNSt15iterator_traitsISE_E10value_typeEPNSK_ISF_E10value_typeEPSG_NS1_7vsmem_tEENKUlT_SE_SF_SG_E_clIS8_S8_S9_S9_EESD_ST_SE_SF_SG_EUlST_E1_NS1_11comp_targetILNS1_3genE0ELNS1_11target_archE4294967295ELNS1_3gpuE0ELNS1_3repE0EEENS1_36merge_oddeven_config_static_selectorELNS0_4arch9wavefront6targetE1EEEvSF_
    .private_segment_fixed_size: 0
    .sgpr_count:     4
    .sgpr_spill_count: 0
    .symbol:         _ZN7rocprim17ROCPRIM_400000_NS6detail17trampoline_kernelINS0_14default_configENS1_38merge_sort_block_merge_config_selectorIiNS0_10empty_typeEEEZZNS1_27merge_sort_block_merge_implIS3_PiPS5_jNS1_19radix_merge_compareILb0ELb1EiNS0_19identity_decomposerEEEEE10hipError_tT0_T1_T2_jT3_P12ihipStream_tbPNSt15iterator_traitsISE_E10value_typeEPNSK_ISF_E10value_typeEPSG_NS1_7vsmem_tEENKUlT_SE_SF_SG_E_clIS8_S8_S9_S9_EESD_ST_SE_SF_SG_EUlST_E1_NS1_11comp_targetILNS1_3genE0ELNS1_11target_archE4294967295ELNS1_3gpuE0ELNS1_3repE0EEENS1_36merge_oddeven_config_static_selectorELNS0_4arch9wavefront6targetE1EEEvSF_.kd
    .uniform_work_group_size: 1
    .uses_dynamic_stack: false
    .vgpr_count:     0
    .vgpr_spill_count: 0
    .wavefront_size: 64
  - .agpr_count:     0
    .args:
      - .offset:         0
        .size:           48
        .value_kind:     by_value
    .group_segment_fixed_size: 0
    .kernarg_segment_align: 8
    .kernarg_segment_size: 48
    .language:       OpenCL C
    .language_version:
      - 2
      - 0
    .max_flat_workgroup_size: 256
    .name:           _ZN7rocprim17ROCPRIM_400000_NS6detail17trampoline_kernelINS0_14default_configENS1_38merge_sort_block_merge_config_selectorIiNS0_10empty_typeEEEZZNS1_27merge_sort_block_merge_implIS3_PiPS5_jNS1_19radix_merge_compareILb0ELb1EiNS0_19identity_decomposerEEEEE10hipError_tT0_T1_T2_jT3_P12ihipStream_tbPNSt15iterator_traitsISE_E10value_typeEPNSK_ISF_E10value_typeEPSG_NS1_7vsmem_tEENKUlT_SE_SF_SG_E_clIS8_S8_S9_S9_EESD_ST_SE_SF_SG_EUlST_E1_NS1_11comp_targetILNS1_3genE10ELNS1_11target_archE1201ELNS1_3gpuE5ELNS1_3repE0EEENS1_36merge_oddeven_config_static_selectorELNS0_4arch9wavefront6targetE1EEEvSF_
    .private_segment_fixed_size: 0
    .sgpr_count:     4
    .sgpr_spill_count: 0
    .symbol:         _ZN7rocprim17ROCPRIM_400000_NS6detail17trampoline_kernelINS0_14default_configENS1_38merge_sort_block_merge_config_selectorIiNS0_10empty_typeEEEZZNS1_27merge_sort_block_merge_implIS3_PiPS5_jNS1_19radix_merge_compareILb0ELb1EiNS0_19identity_decomposerEEEEE10hipError_tT0_T1_T2_jT3_P12ihipStream_tbPNSt15iterator_traitsISE_E10value_typeEPNSK_ISF_E10value_typeEPSG_NS1_7vsmem_tEENKUlT_SE_SF_SG_E_clIS8_S8_S9_S9_EESD_ST_SE_SF_SG_EUlST_E1_NS1_11comp_targetILNS1_3genE10ELNS1_11target_archE1201ELNS1_3gpuE5ELNS1_3repE0EEENS1_36merge_oddeven_config_static_selectorELNS0_4arch9wavefront6targetE1EEEvSF_.kd
    .uniform_work_group_size: 1
    .uses_dynamic_stack: false
    .vgpr_count:     0
    .vgpr_spill_count: 0
    .wavefront_size: 64
  - .agpr_count:     0
    .args:
      - .offset:         0
        .size:           48
        .value_kind:     by_value
    .group_segment_fixed_size: 0
    .kernarg_segment_align: 8
    .kernarg_segment_size: 48
    .language:       OpenCL C
    .language_version:
      - 2
      - 0
    .max_flat_workgroup_size: 256
    .name:           _ZN7rocprim17ROCPRIM_400000_NS6detail17trampoline_kernelINS0_14default_configENS1_38merge_sort_block_merge_config_selectorIiNS0_10empty_typeEEEZZNS1_27merge_sort_block_merge_implIS3_PiPS5_jNS1_19radix_merge_compareILb0ELb1EiNS0_19identity_decomposerEEEEE10hipError_tT0_T1_T2_jT3_P12ihipStream_tbPNSt15iterator_traitsISE_E10value_typeEPNSK_ISF_E10value_typeEPSG_NS1_7vsmem_tEENKUlT_SE_SF_SG_E_clIS8_S8_S9_S9_EESD_ST_SE_SF_SG_EUlST_E1_NS1_11comp_targetILNS1_3genE5ELNS1_11target_archE942ELNS1_3gpuE9ELNS1_3repE0EEENS1_36merge_oddeven_config_static_selectorELNS0_4arch9wavefront6targetE1EEEvSF_
    .private_segment_fixed_size: 0
    .sgpr_count:     4
    .sgpr_spill_count: 0
    .symbol:         _ZN7rocprim17ROCPRIM_400000_NS6detail17trampoline_kernelINS0_14default_configENS1_38merge_sort_block_merge_config_selectorIiNS0_10empty_typeEEEZZNS1_27merge_sort_block_merge_implIS3_PiPS5_jNS1_19radix_merge_compareILb0ELb1EiNS0_19identity_decomposerEEEEE10hipError_tT0_T1_T2_jT3_P12ihipStream_tbPNSt15iterator_traitsISE_E10value_typeEPNSK_ISF_E10value_typeEPSG_NS1_7vsmem_tEENKUlT_SE_SF_SG_E_clIS8_S8_S9_S9_EESD_ST_SE_SF_SG_EUlST_E1_NS1_11comp_targetILNS1_3genE5ELNS1_11target_archE942ELNS1_3gpuE9ELNS1_3repE0EEENS1_36merge_oddeven_config_static_selectorELNS0_4arch9wavefront6targetE1EEEvSF_.kd
    .uniform_work_group_size: 1
    .uses_dynamic_stack: false
    .vgpr_count:     0
    .vgpr_spill_count: 0
    .wavefront_size: 64
  - .agpr_count:     0
    .args:
      - .offset:         0
        .size:           48
        .value_kind:     by_value
    .group_segment_fixed_size: 0
    .kernarg_segment_align: 8
    .kernarg_segment_size: 48
    .language:       OpenCL C
    .language_version:
      - 2
      - 0
    .max_flat_workgroup_size: 256
    .name:           _ZN7rocprim17ROCPRIM_400000_NS6detail17trampoline_kernelINS0_14default_configENS1_38merge_sort_block_merge_config_selectorIiNS0_10empty_typeEEEZZNS1_27merge_sort_block_merge_implIS3_PiPS5_jNS1_19radix_merge_compareILb0ELb1EiNS0_19identity_decomposerEEEEE10hipError_tT0_T1_T2_jT3_P12ihipStream_tbPNSt15iterator_traitsISE_E10value_typeEPNSK_ISF_E10value_typeEPSG_NS1_7vsmem_tEENKUlT_SE_SF_SG_E_clIS8_S8_S9_S9_EESD_ST_SE_SF_SG_EUlST_E1_NS1_11comp_targetILNS1_3genE4ELNS1_11target_archE910ELNS1_3gpuE8ELNS1_3repE0EEENS1_36merge_oddeven_config_static_selectorELNS0_4arch9wavefront6targetE1EEEvSF_
    .private_segment_fixed_size: 0
    .sgpr_count:     25
    .sgpr_spill_count: 0
    .symbol:         _ZN7rocprim17ROCPRIM_400000_NS6detail17trampoline_kernelINS0_14default_configENS1_38merge_sort_block_merge_config_selectorIiNS0_10empty_typeEEEZZNS1_27merge_sort_block_merge_implIS3_PiPS5_jNS1_19radix_merge_compareILb0ELb1EiNS0_19identity_decomposerEEEEE10hipError_tT0_T1_T2_jT3_P12ihipStream_tbPNSt15iterator_traitsISE_E10value_typeEPNSK_ISF_E10value_typeEPSG_NS1_7vsmem_tEENKUlT_SE_SF_SG_E_clIS8_S8_S9_S9_EESD_ST_SE_SF_SG_EUlST_E1_NS1_11comp_targetILNS1_3genE4ELNS1_11target_archE910ELNS1_3gpuE8ELNS1_3repE0EEENS1_36merge_oddeven_config_static_selectorELNS0_4arch9wavefront6targetE1EEEvSF_.kd
    .uniform_work_group_size: 1
    .uses_dynamic_stack: false
    .vgpr_count:     11
    .vgpr_spill_count: 0
    .wavefront_size: 64
  - .agpr_count:     0
    .args:
      - .offset:         0
        .size:           48
        .value_kind:     by_value
    .group_segment_fixed_size: 0
    .kernarg_segment_align: 8
    .kernarg_segment_size: 48
    .language:       OpenCL C
    .language_version:
      - 2
      - 0
    .max_flat_workgroup_size: 256
    .name:           _ZN7rocprim17ROCPRIM_400000_NS6detail17trampoline_kernelINS0_14default_configENS1_38merge_sort_block_merge_config_selectorIiNS0_10empty_typeEEEZZNS1_27merge_sort_block_merge_implIS3_PiPS5_jNS1_19radix_merge_compareILb0ELb1EiNS0_19identity_decomposerEEEEE10hipError_tT0_T1_T2_jT3_P12ihipStream_tbPNSt15iterator_traitsISE_E10value_typeEPNSK_ISF_E10value_typeEPSG_NS1_7vsmem_tEENKUlT_SE_SF_SG_E_clIS8_S8_S9_S9_EESD_ST_SE_SF_SG_EUlST_E1_NS1_11comp_targetILNS1_3genE3ELNS1_11target_archE908ELNS1_3gpuE7ELNS1_3repE0EEENS1_36merge_oddeven_config_static_selectorELNS0_4arch9wavefront6targetE1EEEvSF_
    .private_segment_fixed_size: 0
    .sgpr_count:     4
    .sgpr_spill_count: 0
    .symbol:         _ZN7rocprim17ROCPRIM_400000_NS6detail17trampoline_kernelINS0_14default_configENS1_38merge_sort_block_merge_config_selectorIiNS0_10empty_typeEEEZZNS1_27merge_sort_block_merge_implIS3_PiPS5_jNS1_19radix_merge_compareILb0ELb1EiNS0_19identity_decomposerEEEEE10hipError_tT0_T1_T2_jT3_P12ihipStream_tbPNSt15iterator_traitsISE_E10value_typeEPNSK_ISF_E10value_typeEPSG_NS1_7vsmem_tEENKUlT_SE_SF_SG_E_clIS8_S8_S9_S9_EESD_ST_SE_SF_SG_EUlST_E1_NS1_11comp_targetILNS1_3genE3ELNS1_11target_archE908ELNS1_3gpuE7ELNS1_3repE0EEENS1_36merge_oddeven_config_static_selectorELNS0_4arch9wavefront6targetE1EEEvSF_.kd
    .uniform_work_group_size: 1
    .uses_dynamic_stack: false
    .vgpr_count:     0
    .vgpr_spill_count: 0
    .wavefront_size: 64
  - .agpr_count:     0
    .args:
      - .offset:         0
        .size:           48
        .value_kind:     by_value
    .group_segment_fixed_size: 0
    .kernarg_segment_align: 8
    .kernarg_segment_size: 48
    .language:       OpenCL C
    .language_version:
      - 2
      - 0
    .max_flat_workgroup_size: 256
    .name:           _ZN7rocprim17ROCPRIM_400000_NS6detail17trampoline_kernelINS0_14default_configENS1_38merge_sort_block_merge_config_selectorIiNS0_10empty_typeEEEZZNS1_27merge_sort_block_merge_implIS3_PiPS5_jNS1_19radix_merge_compareILb0ELb1EiNS0_19identity_decomposerEEEEE10hipError_tT0_T1_T2_jT3_P12ihipStream_tbPNSt15iterator_traitsISE_E10value_typeEPNSK_ISF_E10value_typeEPSG_NS1_7vsmem_tEENKUlT_SE_SF_SG_E_clIS8_S8_S9_S9_EESD_ST_SE_SF_SG_EUlST_E1_NS1_11comp_targetILNS1_3genE2ELNS1_11target_archE906ELNS1_3gpuE6ELNS1_3repE0EEENS1_36merge_oddeven_config_static_selectorELNS0_4arch9wavefront6targetE1EEEvSF_
    .private_segment_fixed_size: 0
    .sgpr_count:     4
    .sgpr_spill_count: 0
    .symbol:         _ZN7rocprim17ROCPRIM_400000_NS6detail17trampoline_kernelINS0_14default_configENS1_38merge_sort_block_merge_config_selectorIiNS0_10empty_typeEEEZZNS1_27merge_sort_block_merge_implIS3_PiPS5_jNS1_19radix_merge_compareILb0ELb1EiNS0_19identity_decomposerEEEEE10hipError_tT0_T1_T2_jT3_P12ihipStream_tbPNSt15iterator_traitsISE_E10value_typeEPNSK_ISF_E10value_typeEPSG_NS1_7vsmem_tEENKUlT_SE_SF_SG_E_clIS8_S8_S9_S9_EESD_ST_SE_SF_SG_EUlST_E1_NS1_11comp_targetILNS1_3genE2ELNS1_11target_archE906ELNS1_3gpuE6ELNS1_3repE0EEENS1_36merge_oddeven_config_static_selectorELNS0_4arch9wavefront6targetE1EEEvSF_.kd
    .uniform_work_group_size: 1
    .uses_dynamic_stack: false
    .vgpr_count:     0
    .vgpr_spill_count: 0
    .wavefront_size: 64
  - .agpr_count:     0
    .args:
      - .offset:         0
        .size:           48
        .value_kind:     by_value
    .group_segment_fixed_size: 0
    .kernarg_segment_align: 8
    .kernarg_segment_size: 48
    .language:       OpenCL C
    .language_version:
      - 2
      - 0
    .max_flat_workgroup_size: 256
    .name:           _ZN7rocprim17ROCPRIM_400000_NS6detail17trampoline_kernelINS0_14default_configENS1_38merge_sort_block_merge_config_selectorIiNS0_10empty_typeEEEZZNS1_27merge_sort_block_merge_implIS3_PiPS5_jNS1_19radix_merge_compareILb0ELb1EiNS0_19identity_decomposerEEEEE10hipError_tT0_T1_T2_jT3_P12ihipStream_tbPNSt15iterator_traitsISE_E10value_typeEPNSK_ISF_E10value_typeEPSG_NS1_7vsmem_tEENKUlT_SE_SF_SG_E_clIS8_S8_S9_S9_EESD_ST_SE_SF_SG_EUlST_E1_NS1_11comp_targetILNS1_3genE9ELNS1_11target_archE1100ELNS1_3gpuE3ELNS1_3repE0EEENS1_36merge_oddeven_config_static_selectorELNS0_4arch9wavefront6targetE1EEEvSF_
    .private_segment_fixed_size: 0
    .sgpr_count:     4
    .sgpr_spill_count: 0
    .symbol:         _ZN7rocprim17ROCPRIM_400000_NS6detail17trampoline_kernelINS0_14default_configENS1_38merge_sort_block_merge_config_selectorIiNS0_10empty_typeEEEZZNS1_27merge_sort_block_merge_implIS3_PiPS5_jNS1_19radix_merge_compareILb0ELb1EiNS0_19identity_decomposerEEEEE10hipError_tT0_T1_T2_jT3_P12ihipStream_tbPNSt15iterator_traitsISE_E10value_typeEPNSK_ISF_E10value_typeEPSG_NS1_7vsmem_tEENKUlT_SE_SF_SG_E_clIS8_S8_S9_S9_EESD_ST_SE_SF_SG_EUlST_E1_NS1_11comp_targetILNS1_3genE9ELNS1_11target_archE1100ELNS1_3gpuE3ELNS1_3repE0EEENS1_36merge_oddeven_config_static_selectorELNS0_4arch9wavefront6targetE1EEEvSF_.kd
    .uniform_work_group_size: 1
    .uses_dynamic_stack: false
    .vgpr_count:     0
    .vgpr_spill_count: 0
    .wavefront_size: 64
  - .agpr_count:     0
    .args:
      - .offset:         0
        .size:           48
        .value_kind:     by_value
    .group_segment_fixed_size: 0
    .kernarg_segment_align: 8
    .kernarg_segment_size: 48
    .language:       OpenCL C
    .language_version:
      - 2
      - 0
    .max_flat_workgroup_size: 256
    .name:           _ZN7rocprim17ROCPRIM_400000_NS6detail17trampoline_kernelINS0_14default_configENS1_38merge_sort_block_merge_config_selectorIiNS0_10empty_typeEEEZZNS1_27merge_sort_block_merge_implIS3_PiPS5_jNS1_19radix_merge_compareILb0ELb1EiNS0_19identity_decomposerEEEEE10hipError_tT0_T1_T2_jT3_P12ihipStream_tbPNSt15iterator_traitsISE_E10value_typeEPNSK_ISF_E10value_typeEPSG_NS1_7vsmem_tEENKUlT_SE_SF_SG_E_clIS8_S8_S9_S9_EESD_ST_SE_SF_SG_EUlST_E1_NS1_11comp_targetILNS1_3genE8ELNS1_11target_archE1030ELNS1_3gpuE2ELNS1_3repE0EEENS1_36merge_oddeven_config_static_selectorELNS0_4arch9wavefront6targetE1EEEvSF_
    .private_segment_fixed_size: 0
    .sgpr_count:     4
    .sgpr_spill_count: 0
    .symbol:         _ZN7rocprim17ROCPRIM_400000_NS6detail17trampoline_kernelINS0_14default_configENS1_38merge_sort_block_merge_config_selectorIiNS0_10empty_typeEEEZZNS1_27merge_sort_block_merge_implIS3_PiPS5_jNS1_19radix_merge_compareILb0ELb1EiNS0_19identity_decomposerEEEEE10hipError_tT0_T1_T2_jT3_P12ihipStream_tbPNSt15iterator_traitsISE_E10value_typeEPNSK_ISF_E10value_typeEPSG_NS1_7vsmem_tEENKUlT_SE_SF_SG_E_clIS8_S8_S9_S9_EESD_ST_SE_SF_SG_EUlST_E1_NS1_11comp_targetILNS1_3genE8ELNS1_11target_archE1030ELNS1_3gpuE2ELNS1_3repE0EEENS1_36merge_oddeven_config_static_selectorELNS0_4arch9wavefront6targetE1EEEvSF_.kd
    .uniform_work_group_size: 1
    .uses_dynamic_stack: false
    .vgpr_count:     0
    .vgpr_spill_count: 0
    .wavefront_size: 64
  - .agpr_count:     0
    .args:
      - .offset:         0
        .size:           48
        .value_kind:     by_value
    .group_segment_fixed_size: 0
    .kernarg_segment_align: 8
    .kernarg_segment_size: 48
    .language:       OpenCL C
    .language_version:
      - 2
      - 0
    .max_flat_workgroup_size: 512
    .name:           _ZN7rocprim17ROCPRIM_400000_NS6detail17trampoline_kernelINS0_14default_configENS1_35radix_sort_onesweep_config_selectorIiNS0_10empty_typeEEEZNS1_34radix_sort_onesweep_global_offsetsIS3_Lb0EPiPS5_mNS0_19identity_decomposerEEE10hipError_tT1_T2_PT3_SE_jT4_jjP12ihipStream_tbEUlT_E_NS1_11comp_targetILNS1_3genE0ELNS1_11target_archE4294967295ELNS1_3gpuE0ELNS1_3repE0EEENS1_52radix_sort_onesweep_histogram_config_static_selectorELNS0_4arch9wavefront6targetE1EEEvSC_
    .private_segment_fixed_size: 0
    .sgpr_count:     4
    .sgpr_spill_count: 0
    .symbol:         _ZN7rocprim17ROCPRIM_400000_NS6detail17trampoline_kernelINS0_14default_configENS1_35radix_sort_onesweep_config_selectorIiNS0_10empty_typeEEEZNS1_34radix_sort_onesweep_global_offsetsIS3_Lb0EPiPS5_mNS0_19identity_decomposerEEE10hipError_tT1_T2_PT3_SE_jT4_jjP12ihipStream_tbEUlT_E_NS1_11comp_targetILNS1_3genE0ELNS1_11target_archE4294967295ELNS1_3gpuE0ELNS1_3repE0EEENS1_52radix_sort_onesweep_histogram_config_static_selectorELNS0_4arch9wavefront6targetE1EEEvSC_.kd
    .uniform_work_group_size: 1
    .uses_dynamic_stack: false
    .vgpr_count:     0
    .vgpr_spill_count: 0
    .wavefront_size: 64
  - .agpr_count:     0
    .args:
      - .offset:         0
        .size:           48
        .value_kind:     by_value
    .group_segment_fixed_size: 0
    .kernarg_segment_align: 8
    .kernarg_segment_size: 48
    .language:       OpenCL C
    .language_version:
      - 2
      - 0
    .max_flat_workgroup_size: 1024
    .name:           _ZN7rocprim17ROCPRIM_400000_NS6detail17trampoline_kernelINS0_14default_configENS1_35radix_sort_onesweep_config_selectorIiNS0_10empty_typeEEEZNS1_34radix_sort_onesweep_global_offsetsIS3_Lb0EPiPS5_mNS0_19identity_decomposerEEE10hipError_tT1_T2_PT3_SE_jT4_jjP12ihipStream_tbEUlT_E_NS1_11comp_targetILNS1_3genE6ELNS1_11target_archE950ELNS1_3gpuE13ELNS1_3repE0EEENS1_52radix_sort_onesweep_histogram_config_static_selectorELNS0_4arch9wavefront6targetE1EEEvSC_
    .private_segment_fixed_size: 0
    .sgpr_count:     4
    .sgpr_spill_count: 0
    .symbol:         _ZN7rocprim17ROCPRIM_400000_NS6detail17trampoline_kernelINS0_14default_configENS1_35radix_sort_onesweep_config_selectorIiNS0_10empty_typeEEEZNS1_34radix_sort_onesweep_global_offsetsIS3_Lb0EPiPS5_mNS0_19identity_decomposerEEE10hipError_tT1_T2_PT3_SE_jT4_jjP12ihipStream_tbEUlT_E_NS1_11comp_targetILNS1_3genE6ELNS1_11target_archE950ELNS1_3gpuE13ELNS1_3repE0EEENS1_52radix_sort_onesweep_histogram_config_static_selectorELNS0_4arch9wavefront6targetE1EEEvSC_.kd
    .uniform_work_group_size: 1
    .uses_dynamic_stack: false
    .vgpr_count:     0
    .vgpr_spill_count: 0
    .wavefront_size: 64
  - .agpr_count:     0
    .args:
      - .offset:         0
        .size:           48
        .value_kind:     by_value
    .group_segment_fixed_size: 0
    .kernarg_segment_align: 8
    .kernarg_segment_size: 48
    .language:       OpenCL C
    .language_version:
      - 2
      - 0
    .max_flat_workgroup_size: 1024
    .name:           _ZN7rocprim17ROCPRIM_400000_NS6detail17trampoline_kernelINS0_14default_configENS1_35radix_sort_onesweep_config_selectorIiNS0_10empty_typeEEEZNS1_34radix_sort_onesweep_global_offsetsIS3_Lb0EPiPS5_mNS0_19identity_decomposerEEE10hipError_tT1_T2_PT3_SE_jT4_jjP12ihipStream_tbEUlT_E_NS1_11comp_targetILNS1_3genE5ELNS1_11target_archE942ELNS1_3gpuE9ELNS1_3repE0EEENS1_52radix_sort_onesweep_histogram_config_static_selectorELNS0_4arch9wavefront6targetE1EEEvSC_
    .private_segment_fixed_size: 0
    .sgpr_count:     4
    .sgpr_spill_count: 0
    .symbol:         _ZN7rocprim17ROCPRIM_400000_NS6detail17trampoline_kernelINS0_14default_configENS1_35radix_sort_onesweep_config_selectorIiNS0_10empty_typeEEEZNS1_34radix_sort_onesweep_global_offsetsIS3_Lb0EPiPS5_mNS0_19identity_decomposerEEE10hipError_tT1_T2_PT3_SE_jT4_jjP12ihipStream_tbEUlT_E_NS1_11comp_targetILNS1_3genE5ELNS1_11target_archE942ELNS1_3gpuE9ELNS1_3repE0EEENS1_52radix_sort_onesweep_histogram_config_static_selectorELNS0_4arch9wavefront6targetE1EEEvSC_.kd
    .uniform_work_group_size: 1
    .uses_dynamic_stack: false
    .vgpr_count:     0
    .vgpr_spill_count: 0
    .wavefront_size: 64
  - .agpr_count:     0
    .args:
      - .offset:         0
        .size:           48
        .value_kind:     by_value
    .group_segment_fixed_size: 0
    .kernarg_segment_align: 8
    .kernarg_segment_size: 48
    .language:       OpenCL C
    .language_version:
      - 2
      - 0
    .max_flat_workgroup_size: 1024
    .name:           _ZN7rocprim17ROCPRIM_400000_NS6detail17trampoline_kernelINS0_14default_configENS1_35radix_sort_onesweep_config_selectorIiNS0_10empty_typeEEEZNS1_34radix_sort_onesweep_global_offsetsIS3_Lb0EPiPS5_mNS0_19identity_decomposerEEE10hipError_tT1_T2_PT3_SE_jT4_jjP12ihipStream_tbEUlT_E_NS1_11comp_targetILNS1_3genE2ELNS1_11target_archE906ELNS1_3gpuE6ELNS1_3repE0EEENS1_52radix_sort_onesweep_histogram_config_static_selectorELNS0_4arch9wavefront6targetE1EEEvSC_
    .private_segment_fixed_size: 0
    .sgpr_count:     4
    .sgpr_spill_count: 0
    .symbol:         _ZN7rocprim17ROCPRIM_400000_NS6detail17trampoline_kernelINS0_14default_configENS1_35radix_sort_onesweep_config_selectorIiNS0_10empty_typeEEEZNS1_34radix_sort_onesweep_global_offsetsIS3_Lb0EPiPS5_mNS0_19identity_decomposerEEE10hipError_tT1_T2_PT3_SE_jT4_jjP12ihipStream_tbEUlT_E_NS1_11comp_targetILNS1_3genE2ELNS1_11target_archE906ELNS1_3gpuE6ELNS1_3repE0EEENS1_52radix_sort_onesweep_histogram_config_static_selectorELNS0_4arch9wavefront6targetE1EEEvSC_.kd
    .uniform_work_group_size: 1
    .uses_dynamic_stack: false
    .vgpr_count:     0
    .vgpr_spill_count: 0
    .wavefront_size: 64
  - .agpr_count:     0
    .args:
      - .offset:         0
        .size:           48
        .value_kind:     by_value
    .group_segment_fixed_size: 16384
    .kernarg_segment_align: 8
    .kernarg_segment_size: 48
    .language:       OpenCL C
    .language_version:
      - 2
      - 0
    .max_flat_workgroup_size: 1024
    .name:           _ZN7rocprim17ROCPRIM_400000_NS6detail17trampoline_kernelINS0_14default_configENS1_35radix_sort_onesweep_config_selectorIiNS0_10empty_typeEEEZNS1_34radix_sort_onesweep_global_offsetsIS3_Lb0EPiPS5_mNS0_19identity_decomposerEEE10hipError_tT1_T2_PT3_SE_jT4_jjP12ihipStream_tbEUlT_E_NS1_11comp_targetILNS1_3genE4ELNS1_11target_archE910ELNS1_3gpuE8ELNS1_3repE0EEENS1_52radix_sort_onesweep_histogram_config_static_selectorELNS0_4arch9wavefront6targetE1EEEvSC_
    .private_segment_fixed_size: 0
    .sgpr_count:     22
    .sgpr_spill_count: 0
    .symbol:         _ZN7rocprim17ROCPRIM_400000_NS6detail17trampoline_kernelINS0_14default_configENS1_35radix_sort_onesweep_config_selectorIiNS0_10empty_typeEEEZNS1_34radix_sort_onesweep_global_offsetsIS3_Lb0EPiPS5_mNS0_19identity_decomposerEEE10hipError_tT1_T2_PT3_SE_jT4_jjP12ihipStream_tbEUlT_E_NS1_11comp_targetILNS1_3genE4ELNS1_11target_archE910ELNS1_3gpuE8ELNS1_3repE0EEENS1_52radix_sort_onesweep_histogram_config_static_selectorELNS0_4arch9wavefront6targetE1EEEvSC_.kd
    .uniform_work_group_size: 1
    .uses_dynamic_stack: false
    .vgpr_count:     28
    .vgpr_spill_count: 0
    .wavefront_size: 64
  - .agpr_count:     0
    .args:
      - .offset:         0
        .size:           48
        .value_kind:     by_value
    .group_segment_fixed_size: 0
    .kernarg_segment_align: 8
    .kernarg_segment_size: 48
    .language:       OpenCL C
    .language_version:
      - 2
      - 0
    .max_flat_workgroup_size: 512
    .name:           _ZN7rocprim17ROCPRIM_400000_NS6detail17trampoline_kernelINS0_14default_configENS1_35radix_sort_onesweep_config_selectorIiNS0_10empty_typeEEEZNS1_34radix_sort_onesweep_global_offsetsIS3_Lb0EPiPS5_mNS0_19identity_decomposerEEE10hipError_tT1_T2_PT3_SE_jT4_jjP12ihipStream_tbEUlT_E_NS1_11comp_targetILNS1_3genE3ELNS1_11target_archE908ELNS1_3gpuE7ELNS1_3repE0EEENS1_52radix_sort_onesweep_histogram_config_static_selectorELNS0_4arch9wavefront6targetE1EEEvSC_
    .private_segment_fixed_size: 0
    .sgpr_count:     4
    .sgpr_spill_count: 0
    .symbol:         _ZN7rocprim17ROCPRIM_400000_NS6detail17trampoline_kernelINS0_14default_configENS1_35radix_sort_onesweep_config_selectorIiNS0_10empty_typeEEEZNS1_34radix_sort_onesweep_global_offsetsIS3_Lb0EPiPS5_mNS0_19identity_decomposerEEE10hipError_tT1_T2_PT3_SE_jT4_jjP12ihipStream_tbEUlT_E_NS1_11comp_targetILNS1_3genE3ELNS1_11target_archE908ELNS1_3gpuE7ELNS1_3repE0EEENS1_52radix_sort_onesweep_histogram_config_static_selectorELNS0_4arch9wavefront6targetE1EEEvSC_.kd
    .uniform_work_group_size: 1
    .uses_dynamic_stack: false
    .vgpr_count:     0
    .vgpr_spill_count: 0
    .wavefront_size: 64
  - .agpr_count:     0
    .args:
      - .offset:         0
        .size:           48
        .value_kind:     by_value
    .group_segment_fixed_size: 0
    .kernarg_segment_align: 8
    .kernarg_segment_size: 48
    .language:       OpenCL C
    .language_version:
      - 2
      - 0
    .max_flat_workgroup_size: 1024
    .name:           _ZN7rocprim17ROCPRIM_400000_NS6detail17trampoline_kernelINS0_14default_configENS1_35radix_sort_onesweep_config_selectorIiNS0_10empty_typeEEEZNS1_34radix_sort_onesweep_global_offsetsIS3_Lb0EPiPS5_mNS0_19identity_decomposerEEE10hipError_tT1_T2_PT3_SE_jT4_jjP12ihipStream_tbEUlT_E_NS1_11comp_targetILNS1_3genE10ELNS1_11target_archE1201ELNS1_3gpuE5ELNS1_3repE0EEENS1_52radix_sort_onesweep_histogram_config_static_selectorELNS0_4arch9wavefront6targetE1EEEvSC_
    .private_segment_fixed_size: 0
    .sgpr_count:     4
    .sgpr_spill_count: 0
    .symbol:         _ZN7rocprim17ROCPRIM_400000_NS6detail17trampoline_kernelINS0_14default_configENS1_35radix_sort_onesweep_config_selectorIiNS0_10empty_typeEEEZNS1_34radix_sort_onesweep_global_offsetsIS3_Lb0EPiPS5_mNS0_19identity_decomposerEEE10hipError_tT1_T2_PT3_SE_jT4_jjP12ihipStream_tbEUlT_E_NS1_11comp_targetILNS1_3genE10ELNS1_11target_archE1201ELNS1_3gpuE5ELNS1_3repE0EEENS1_52radix_sort_onesweep_histogram_config_static_selectorELNS0_4arch9wavefront6targetE1EEEvSC_.kd
    .uniform_work_group_size: 1
    .uses_dynamic_stack: false
    .vgpr_count:     0
    .vgpr_spill_count: 0
    .wavefront_size: 64
  - .agpr_count:     0
    .args:
      - .offset:         0
        .size:           48
        .value_kind:     by_value
    .group_segment_fixed_size: 0
    .kernarg_segment_align: 8
    .kernarg_segment_size: 48
    .language:       OpenCL C
    .language_version:
      - 2
      - 0
    .max_flat_workgroup_size: 1024
    .name:           _ZN7rocprim17ROCPRIM_400000_NS6detail17trampoline_kernelINS0_14default_configENS1_35radix_sort_onesweep_config_selectorIiNS0_10empty_typeEEEZNS1_34radix_sort_onesweep_global_offsetsIS3_Lb0EPiPS5_mNS0_19identity_decomposerEEE10hipError_tT1_T2_PT3_SE_jT4_jjP12ihipStream_tbEUlT_E_NS1_11comp_targetILNS1_3genE9ELNS1_11target_archE1100ELNS1_3gpuE3ELNS1_3repE0EEENS1_52radix_sort_onesweep_histogram_config_static_selectorELNS0_4arch9wavefront6targetE1EEEvSC_
    .private_segment_fixed_size: 0
    .sgpr_count:     4
    .sgpr_spill_count: 0
    .symbol:         _ZN7rocprim17ROCPRIM_400000_NS6detail17trampoline_kernelINS0_14default_configENS1_35radix_sort_onesweep_config_selectorIiNS0_10empty_typeEEEZNS1_34radix_sort_onesweep_global_offsetsIS3_Lb0EPiPS5_mNS0_19identity_decomposerEEE10hipError_tT1_T2_PT3_SE_jT4_jjP12ihipStream_tbEUlT_E_NS1_11comp_targetILNS1_3genE9ELNS1_11target_archE1100ELNS1_3gpuE3ELNS1_3repE0EEENS1_52radix_sort_onesweep_histogram_config_static_selectorELNS0_4arch9wavefront6targetE1EEEvSC_.kd
    .uniform_work_group_size: 1
    .uses_dynamic_stack: false
    .vgpr_count:     0
    .vgpr_spill_count: 0
    .wavefront_size: 64
  - .agpr_count:     0
    .args:
      - .offset:         0
        .size:           48
        .value_kind:     by_value
    .group_segment_fixed_size: 0
    .kernarg_segment_align: 8
    .kernarg_segment_size: 48
    .language:       OpenCL C
    .language_version:
      - 2
      - 0
    .max_flat_workgroup_size: 1024
    .name:           _ZN7rocprim17ROCPRIM_400000_NS6detail17trampoline_kernelINS0_14default_configENS1_35radix_sort_onesweep_config_selectorIiNS0_10empty_typeEEEZNS1_34radix_sort_onesweep_global_offsetsIS3_Lb0EPiPS5_mNS0_19identity_decomposerEEE10hipError_tT1_T2_PT3_SE_jT4_jjP12ihipStream_tbEUlT_E_NS1_11comp_targetILNS1_3genE8ELNS1_11target_archE1030ELNS1_3gpuE2ELNS1_3repE0EEENS1_52radix_sort_onesweep_histogram_config_static_selectorELNS0_4arch9wavefront6targetE1EEEvSC_
    .private_segment_fixed_size: 0
    .sgpr_count:     4
    .sgpr_spill_count: 0
    .symbol:         _ZN7rocprim17ROCPRIM_400000_NS6detail17trampoline_kernelINS0_14default_configENS1_35radix_sort_onesweep_config_selectorIiNS0_10empty_typeEEEZNS1_34radix_sort_onesweep_global_offsetsIS3_Lb0EPiPS5_mNS0_19identity_decomposerEEE10hipError_tT1_T2_PT3_SE_jT4_jjP12ihipStream_tbEUlT_E_NS1_11comp_targetILNS1_3genE8ELNS1_11target_archE1030ELNS1_3gpuE2ELNS1_3repE0EEENS1_52radix_sort_onesweep_histogram_config_static_selectorELNS0_4arch9wavefront6targetE1EEEvSC_.kd
    .uniform_work_group_size: 1
    .uses_dynamic_stack: false
    .vgpr_count:     0
    .vgpr_spill_count: 0
    .wavefront_size: 64
  - .agpr_count:     0
    .args:
      - .address_space:  global
        .offset:         0
        .size:           8
        .value_kind:     global_buffer
    .group_segment_fixed_size: 0
    .kernarg_segment_align: 8
    .kernarg_segment_size: 8
    .language:       OpenCL C
    .language_version:
      - 2
      - 0
    .max_flat_workgroup_size: 512
    .name:           _ZN7rocprim17ROCPRIM_400000_NS6detail17trampoline_kernelINS0_14default_configENS1_35radix_sort_onesweep_config_selectorIiNS0_10empty_typeEEEZNS1_34radix_sort_onesweep_global_offsetsIS3_Lb0EPiPS5_mNS0_19identity_decomposerEEE10hipError_tT1_T2_PT3_SE_jT4_jjP12ihipStream_tbEUlT_E0_NS1_11comp_targetILNS1_3genE0ELNS1_11target_archE4294967295ELNS1_3gpuE0ELNS1_3repE0EEENS1_52radix_sort_onesweep_histogram_config_static_selectorELNS0_4arch9wavefront6targetE1EEEvSC_
    .private_segment_fixed_size: 0
    .sgpr_count:     4
    .sgpr_spill_count: 0
    .symbol:         _ZN7rocprim17ROCPRIM_400000_NS6detail17trampoline_kernelINS0_14default_configENS1_35radix_sort_onesweep_config_selectorIiNS0_10empty_typeEEEZNS1_34radix_sort_onesweep_global_offsetsIS3_Lb0EPiPS5_mNS0_19identity_decomposerEEE10hipError_tT1_T2_PT3_SE_jT4_jjP12ihipStream_tbEUlT_E0_NS1_11comp_targetILNS1_3genE0ELNS1_11target_archE4294967295ELNS1_3gpuE0ELNS1_3repE0EEENS1_52radix_sort_onesweep_histogram_config_static_selectorELNS0_4arch9wavefront6targetE1EEEvSC_.kd
    .uniform_work_group_size: 1
    .uses_dynamic_stack: false
    .vgpr_count:     0
    .vgpr_spill_count: 0
    .wavefront_size: 64
  - .agpr_count:     0
    .args:
      - .address_space:  global
        .offset:         0
        .size:           8
        .value_kind:     global_buffer
    .group_segment_fixed_size: 0
    .kernarg_segment_align: 8
    .kernarg_segment_size: 8
    .language:       OpenCL C
    .language_version:
      - 2
      - 0
    .max_flat_workgroup_size: 1024
    .name:           _ZN7rocprim17ROCPRIM_400000_NS6detail17trampoline_kernelINS0_14default_configENS1_35radix_sort_onesweep_config_selectorIiNS0_10empty_typeEEEZNS1_34radix_sort_onesweep_global_offsetsIS3_Lb0EPiPS5_mNS0_19identity_decomposerEEE10hipError_tT1_T2_PT3_SE_jT4_jjP12ihipStream_tbEUlT_E0_NS1_11comp_targetILNS1_3genE6ELNS1_11target_archE950ELNS1_3gpuE13ELNS1_3repE0EEENS1_52radix_sort_onesweep_histogram_config_static_selectorELNS0_4arch9wavefront6targetE1EEEvSC_
    .private_segment_fixed_size: 0
    .sgpr_count:     4
    .sgpr_spill_count: 0
    .symbol:         _ZN7rocprim17ROCPRIM_400000_NS6detail17trampoline_kernelINS0_14default_configENS1_35radix_sort_onesweep_config_selectorIiNS0_10empty_typeEEEZNS1_34radix_sort_onesweep_global_offsetsIS3_Lb0EPiPS5_mNS0_19identity_decomposerEEE10hipError_tT1_T2_PT3_SE_jT4_jjP12ihipStream_tbEUlT_E0_NS1_11comp_targetILNS1_3genE6ELNS1_11target_archE950ELNS1_3gpuE13ELNS1_3repE0EEENS1_52radix_sort_onesweep_histogram_config_static_selectorELNS0_4arch9wavefront6targetE1EEEvSC_.kd
    .uniform_work_group_size: 1
    .uses_dynamic_stack: false
    .vgpr_count:     0
    .vgpr_spill_count: 0
    .wavefront_size: 64
  - .agpr_count:     0
    .args:
      - .address_space:  global
        .offset:         0
        .size:           8
        .value_kind:     global_buffer
    .group_segment_fixed_size: 0
    .kernarg_segment_align: 8
    .kernarg_segment_size: 8
    .language:       OpenCL C
    .language_version:
      - 2
      - 0
    .max_flat_workgroup_size: 1024
    .name:           _ZN7rocprim17ROCPRIM_400000_NS6detail17trampoline_kernelINS0_14default_configENS1_35radix_sort_onesweep_config_selectorIiNS0_10empty_typeEEEZNS1_34radix_sort_onesweep_global_offsetsIS3_Lb0EPiPS5_mNS0_19identity_decomposerEEE10hipError_tT1_T2_PT3_SE_jT4_jjP12ihipStream_tbEUlT_E0_NS1_11comp_targetILNS1_3genE5ELNS1_11target_archE942ELNS1_3gpuE9ELNS1_3repE0EEENS1_52radix_sort_onesweep_histogram_config_static_selectorELNS0_4arch9wavefront6targetE1EEEvSC_
    .private_segment_fixed_size: 0
    .sgpr_count:     4
    .sgpr_spill_count: 0
    .symbol:         _ZN7rocprim17ROCPRIM_400000_NS6detail17trampoline_kernelINS0_14default_configENS1_35radix_sort_onesweep_config_selectorIiNS0_10empty_typeEEEZNS1_34radix_sort_onesweep_global_offsetsIS3_Lb0EPiPS5_mNS0_19identity_decomposerEEE10hipError_tT1_T2_PT3_SE_jT4_jjP12ihipStream_tbEUlT_E0_NS1_11comp_targetILNS1_3genE5ELNS1_11target_archE942ELNS1_3gpuE9ELNS1_3repE0EEENS1_52radix_sort_onesweep_histogram_config_static_selectorELNS0_4arch9wavefront6targetE1EEEvSC_.kd
    .uniform_work_group_size: 1
    .uses_dynamic_stack: false
    .vgpr_count:     0
    .vgpr_spill_count: 0
    .wavefront_size: 64
  - .agpr_count:     0
    .args:
      - .address_space:  global
        .offset:         0
        .size:           8
        .value_kind:     global_buffer
    .group_segment_fixed_size: 0
    .kernarg_segment_align: 8
    .kernarg_segment_size: 8
    .language:       OpenCL C
    .language_version:
      - 2
      - 0
    .max_flat_workgroup_size: 1024
    .name:           _ZN7rocprim17ROCPRIM_400000_NS6detail17trampoline_kernelINS0_14default_configENS1_35radix_sort_onesweep_config_selectorIiNS0_10empty_typeEEEZNS1_34radix_sort_onesweep_global_offsetsIS3_Lb0EPiPS5_mNS0_19identity_decomposerEEE10hipError_tT1_T2_PT3_SE_jT4_jjP12ihipStream_tbEUlT_E0_NS1_11comp_targetILNS1_3genE2ELNS1_11target_archE906ELNS1_3gpuE6ELNS1_3repE0EEENS1_52radix_sort_onesweep_histogram_config_static_selectorELNS0_4arch9wavefront6targetE1EEEvSC_
    .private_segment_fixed_size: 0
    .sgpr_count:     4
    .sgpr_spill_count: 0
    .symbol:         _ZN7rocprim17ROCPRIM_400000_NS6detail17trampoline_kernelINS0_14default_configENS1_35radix_sort_onesweep_config_selectorIiNS0_10empty_typeEEEZNS1_34radix_sort_onesweep_global_offsetsIS3_Lb0EPiPS5_mNS0_19identity_decomposerEEE10hipError_tT1_T2_PT3_SE_jT4_jjP12ihipStream_tbEUlT_E0_NS1_11comp_targetILNS1_3genE2ELNS1_11target_archE906ELNS1_3gpuE6ELNS1_3repE0EEENS1_52radix_sort_onesweep_histogram_config_static_selectorELNS0_4arch9wavefront6targetE1EEEvSC_.kd
    .uniform_work_group_size: 1
    .uses_dynamic_stack: false
    .vgpr_count:     0
    .vgpr_spill_count: 0
    .wavefront_size: 64
  - .agpr_count:     0
    .args:
      - .address_space:  global
        .offset:         0
        .size:           8
        .value_kind:     global_buffer
    .group_segment_fixed_size: 128
    .kernarg_segment_align: 8
    .kernarg_segment_size: 8
    .language:       OpenCL C
    .language_version:
      - 2
      - 0
    .max_flat_workgroup_size: 1024
    .name:           _ZN7rocprim17ROCPRIM_400000_NS6detail17trampoline_kernelINS0_14default_configENS1_35radix_sort_onesweep_config_selectorIiNS0_10empty_typeEEEZNS1_34radix_sort_onesweep_global_offsetsIS3_Lb0EPiPS5_mNS0_19identity_decomposerEEE10hipError_tT1_T2_PT3_SE_jT4_jjP12ihipStream_tbEUlT_E0_NS1_11comp_targetILNS1_3genE4ELNS1_11target_archE910ELNS1_3gpuE8ELNS1_3repE0EEENS1_52radix_sort_onesweep_histogram_config_static_selectorELNS0_4arch9wavefront6targetE1EEEvSC_
    .private_segment_fixed_size: 0
    .sgpr_count:     22
    .sgpr_spill_count: 0
    .symbol:         _ZN7rocprim17ROCPRIM_400000_NS6detail17trampoline_kernelINS0_14default_configENS1_35radix_sort_onesweep_config_selectorIiNS0_10empty_typeEEEZNS1_34radix_sort_onesweep_global_offsetsIS3_Lb0EPiPS5_mNS0_19identity_decomposerEEE10hipError_tT1_T2_PT3_SE_jT4_jjP12ihipStream_tbEUlT_E0_NS1_11comp_targetILNS1_3genE4ELNS1_11target_archE910ELNS1_3gpuE8ELNS1_3repE0EEENS1_52radix_sort_onesweep_histogram_config_static_selectorELNS0_4arch9wavefront6targetE1EEEvSC_.kd
    .uniform_work_group_size: 1
    .uses_dynamic_stack: false
    .vgpr_count:     13
    .vgpr_spill_count: 0
    .wavefront_size: 64
  - .agpr_count:     0
    .args:
      - .address_space:  global
        .offset:         0
        .size:           8
        .value_kind:     global_buffer
    .group_segment_fixed_size: 0
    .kernarg_segment_align: 8
    .kernarg_segment_size: 8
    .language:       OpenCL C
    .language_version:
      - 2
      - 0
    .max_flat_workgroup_size: 512
    .name:           _ZN7rocprim17ROCPRIM_400000_NS6detail17trampoline_kernelINS0_14default_configENS1_35radix_sort_onesweep_config_selectorIiNS0_10empty_typeEEEZNS1_34radix_sort_onesweep_global_offsetsIS3_Lb0EPiPS5_mNS0_19identity_decomposerEEE10hipError_tT1_T2_PT3_SE_jT4_jjP12ihipStream_tbEUlT_E0_NS1_11comp_targetILNS1_3genE3ELNS1_11target_archE908ELNS1_3gpuE7ELNS1_3repE0EEENS1_52radix_sort_onesweep_histogram_config_static_selectorELNS0_4arch9wavefront6targetE1EEEvSC_
    .private_segment_fixed_size: 0
    .sgpr_count:     4
    .sgpr_spill_count: 0
    .symbol:         _ZN7rocprim17ROCPRIM_400000_NS6detail17trampoline_kernelINS0_14default_configENS1_35radix_sort_onesweep_config_selectorIiNS0_10empty_typeEEEZNS1_34radix_sort_onesweep_global_offsetsIS3_Lb0EPiPS5_mNS0_19identity_decomposerEEE10hipError_tT1_T2_PT3_SE_jT4_jjP12ihipStream_tbEUlT_E0_NS1_11comp_targetILNS1_3genE3ELNS1_11target_archE908ELNS1_3gpuE7ELNS1_3repE0EEENS1_52radix_sort_onesweep_histogram_config_static_selectorELNS0_4arch9wavefront6targetE1EEEvSC_.kd
    .uniform_work_group_size: 1
    .uses_dynamic_stack: false
    .vgpr_count:     0
    .vgpr_spill_count: 0
    .wavefront_size: 64
  - .agpr_count:     0
    .args:
      - .address_space:  global
        .offset:         0
        .size:           8
        .value_kind:     global_buffer
    .group_segment_fixed_size: 0
    .kernarg_segment_align: 8
    .kernarg_segment_size: 8
    .language:       OpenCL C
    .language_version:
      - 2
      - 0
    .max_flat_workgroup_size: 1024
    .name:           _ZN7rocprim17ROCPRIM_400000_NS6detail17trampoline_kernelINS0_14default_configENS1_35radix_sort_onesweep_config_selectorIiNS0_10empty_typeEEEZNS1_34radix_sort_onesweep_global_offsetsIS3_Lb0EPiPS5_mNS0_19identity_decomposerEEE10hipError_tT1_T2_PT3_SE_jT4_jjP12ihipStream_tbEUlT_E0_NS1_11comp_targetILNS1_3genE10ELNS1_11target_archE1201ELNS1_3gpuE5ELNS1_3repE0EEENS1_52radix_sort_onesweep_histogram_config_static_selectorELNS0_4arch9wavefront6targetE1EEEvSC_
    .private_segment_fixed_size: 0
    .sgpr_count:     4
    .sgpr_spill_count: 0
    .symbol:         _ZN7rocprim17ROCPRIM_400000_NS6detail17trampoline_kernelINS0_14default_configENS1_35radix_sort_onesweep_config_selectorIiNS0_10empty_typeEEEZNS1_34radix_sort_onesweep_global_offsetsIS3_Lb0EPiPS5_mNS0_19identity_decomposerEEE10hipError_tT1_T2_PT3_SE_jT4_jjP12ihipStream_tbEUlT_E0_NS1_11comp_targetILNS1_3genE10ELNS1_11target_archE1201ELNS1_3gpuE5ELNS1_3repE0EEENS1_52radix_sort_onesweep_histogram_config_static_selectorELNS0_4arch9wavefront6targetE1EEEvSC_.kd
    .uniform_work_group_size: 1
    .uses_dynamic_stack: false
    .vgpr_count:     0
    .vgpr_spill_count: 0
    .wavefront_size: 64
  - .agpr_count:     0
    .args:
      - .address_space:  global
        .offset:         0
        .size:           8
        .value_kind:     global_buffer
    .group_segment_fixed_size: 0
    .kernarg_segment_align: 8
    .kernarg_segment_size: 8
    .language:       OpenCL C
    .language_version:
      - 2
      - 0
    .max_flat_workgroup_size: 1024
    .name:           _ZN7rocprim17ROCPRIM_400000_NS6detail17trampoline_kernelINS0_14default_configENS1_35radix_sort_onesweep_config_selectorIiNS0_10empty_typeEEEZNS1_34radix_sort_onesweep_global_offsetsIS3_Lb0EPiPS5_mNS0_19identity_decomposerEEE10hipError_tT1_T2_PT3_SE_jT4_jjP12ihipStream_tbEUlT_E0_NS1_11comp_targetILNS1_3genE9ELNS1_11target_archE1100ELNS1_3gpuE3ELNS1_3repE0EEENS1_52radix_sort_onesweep_histogram_config_static_selectorELNS0_4arch9wavefront6targetE1EEEvSC_
    .private_segment_fixed_size: 0
    .sgpr_count:     4
    .sgpr_spill_count: 0
    .symbol:         _ZN7rocprim17ROCPRIM_400000_NS6detail17trampoline_kernelINS0_14default_configENS1_35radix_sort_onesweep_config_selectorIiNS0_10empty_typeEEEZNS1_34radix_sort_onesweep_global_offsetsIS3_Lb0EPiPS5_mNS0_19identity_decomposerEEE10hipError_tT1_T2_PT3_SE_jT4_jjP12ihipStream_tbEUlT_E0_NS1_11comp_targetILNS1_3genE9ELNS1_11target_archE1100ELNS1_3gpuE3ELNS1_3repE0EEENS1_52radix_sort_onesweep_histogram_config_static_selectorELNS0_4arch9wavefront6targetE1EEEvSC_.kd
    .uniform_work_group_size: 1
    .uses_dynamic_stack: false
    .vgpr_count:     0
    .vgpr_spill_count: 0
    .wavefront_size: 64
  - .agpr_count:     0
    .args:
      - .address_space:  global
        .offset:         0
        .size:           8
        .value_kind:     global_buffer
    .group_segment_fixed_size: 0
    .kernarg_segment_align: 8
    .kernarg_segment_size: 8
    .language:       OpenCL C
    .language_version:
      - 2
      - 0
    .max_flat_workgroup_size: 1024
    .name:           _ZN7rocprim17ROCPRIM_400000_NS6detail17trampoline_kernelINS0_14default_configENS1_35radix_sort_onesweep_config_selectorIiNS0_10empty_typeEEEZNS1_34radix_sort_onesweep_global_offsetsIS3_Lb0EPiPS5_mNS0_19identity_decomposerEEE10hipError_tT1_T2_PT3_SE_jT4_jjP12ihipStream_tbEUlT_E0_NS1_11comp_targetILNS1_3genE8ELNS1_11target_archE1030ELNS1_3gpuE2ELNS1_3repE0EEENS1_52radix_sort_onesweep_histogram_config_static_selectorELNS0_4arch9wavefront6targetE1EEEvSC_
    .private_segment_fixed_size: 0
    .sgpr_count:     4
    .sgpr_spill_count: 0
    .symbol:         _ZN7rocprim17ROCPRIM_400000_NS6detail17trampoline_kernelINS0_14default_configENS1_35radix_sort_onesweep_config_selectorIiNS0_10empty_typeEEEZNS1_34radix_sort_onesweep_global_offsetsIS3_Lb0EPiPS5_mNS0_19identity_decomposerEEE10hipError_tT1_T2_PT3_SE_jT4_jjP12ihipStream_tbEUlT_E0_NS1_11comp_targetILNS1_3genE8ELNS1_11target_archE1030ELNS1_3gpuE2ELNS1_3repE0EEENS1_52radix_sort_onesweep_histogram_config_static_selectorELNS0_4arch9wavefront6targetE1EEEvSC_.kd
    .uniform_work_group_size: 1
    .uses_dynamic_stack: false
    .vgpr_count:     0
    .vgpr_spill_count: 0
    .wavefront_size: 64
  - .agpr_count:     0
    .args:
      - .offset:         0
        .size:           88
        .value_kind:     by_value
    .group_segment_fixed_size: 0
    .kernarg_segment_align: 8
    .kernarg_segment_size: 88
    .language:       OpenCL C
    .language_version:
      - 2
      - 0
    .max_flat_workgroup_size: 512
    .name:           _ZN7rocprim17ROCPRIM_400000_NS6detail17trampoline_kernelINS0_14default_configENS1_35radix_sort_onesweep_config_selectorIiNS0_10empty_typeEEEZZNS1_29radix_sort_onesweep_iterationIS3_Lb0EPiS8_PS5_S9_mNS0_19identity_decomposerENS1_16block_id_wrapperIjLb1EEEEE10hipError_tT1_PNSt15iterator_traitsISE_E10value_typeET2_T3_PNSF_ISK_E10value_typeET4_T5_PSP_SQ_PNS1_23onesweep_lookback_stateEbbT6_jjT7_P12ihipStream_tbENKUlT_T0_SE_SJ_E_clIS8_S8_S9_S9_EEDaSX_SY_SE_SJ_EUlSX_E_NS1_11comp_targetILNS1_3genE0ELNS1_11target_archE4294967295ELNS1_3gpuE0ELNS1_3repE0EEENS1_47radix_sort_onesweep_sort_config_static_selectorELNS0_4arch9wavefront6targetE1EEEvSE_
    .private_segment_fixed_size: 0
    .sgpr_count:     4
    .sgpr_spill_count: 0
    .symbol:         _ZN7rocprim17ROCPRIM_400000_NS6detail17trampoline_kernelINS0_14default_configENS1_35radix_sort_onesweep_config_selectorIiNS0_10empty_typeEEEZZNS1_29radix_sort_onesweep_iterationIS3_Lb0EPiS8_PS5_S9_mNS0_19identity_decomposerENS1_16block_id_wrapperIjLb1EEEEE10hipError_tT1_PNSt15iterator_traitsISE_E10value_typeET2_T3_PNSF_ISK_E10value_typeET4_T5_PSP_SQ_PNS1_23onesweep_lookback_stateEbbT6_jjT7_P12ihipStream_tbENKUlT_T0_SE_SJ_E_clIS8_S8_S9_S9_EEDaSX_SY_SE_SJ_EUlSX_E_NS1_11comp_targetILNS1_3genE0ELNS1_11target_archE4294967295ELNS1_3gpuE0ELNS1_3repE0EEENS1_47radix_sort_onesweep_sort_config_static_selectorELNS0_4arch9wavefront6targetE1EEEvSE_.kd
    .uniform_work_group_size: 1
    .uses_dynamic_stack: false
    .vgpr_count:     0
    .vgpr_spill_count: 0
    .wavefront_size: 64
  - .agpr_count:     0
    .args:
      - .offset:         0
        .size:           88
        .value_kind:     by_value
    .group_segment_fixed_size: 0
    .kernarg_segment_align: 8
    .kernarg_segment_size: 88
    .language:       OpenCL C
    .language_version:
      - 2
      - 0
    .max_flat_workgroup_size: 1024
    .name:           _ZN7rocprim17ROCPRIM_400000_NS6detail17trampoline_kernelINS0_14default_configENS1_35radix_sort_onesweep_config_selectorIiNS0_10empty_typeEEEZZNS1_29radix_sort_onesweep_iterationIS3_Lb0EPiS8_PS5_S9_mNS0_19identity_decomposerENS1_16block_id_wrapperIjLb1EEEEE10hipError_tT1_PNSt15iterator_traitsISE_E10value_typeET2_T3_PNSF_ISK_E10value_typeET4_T5_PSP_SQ_PNS1_23onesweep_lookback_stateEbbT6_jjT7_P12ihipStream_tbENKUlT_T0_SE_SJ_E_clIS8_S8_S9_S9_EEDaSX_SY_SE_SJ_EUlSX_E_NS1_11comp_targetILNS1_3genE6ELNS1_11target_archE950ELNS1_3gpuE13ELNS1_3repE0EEENS1_47radix_sort_onesweep_sort_config_static_selectorELNS0_4arch9wavefront6targetE1EEEvSE_
    .private_segment_fixed_size: 0
    .sgpr_count:     4
    .sgpr_spill_count: 0
    .symbol:         _ZN7rocprim17ROCPRIM_400000_NS6detail17trampoline_kernelINS0_14default_configENS1_35radix_sort_onesweep_config_selectorIiNS0_10empty_typeEEEZZNS1_29radix_sort_onesweep_iterationIS3_Lb0EPiS8_PS5_S9_mNS0_19identity_decomposerENS1_16block_id_wrapperIjLb1EEEEE10hipError_tT1_PNSt15iterator_traitsISE_E10value_typeET2_T3_PNSF_ISK_E10value_typeET4_T5_PSP_SQ_PNS1_23onesweep_lookback_stateEbbT6_jjT7_P12ihipStream_tbENKUlT_T0_SE_SJ_E_clIS8_S8_S9_S9_EEDaSX_SY_SE_SJ_EUlSX_E_NS1_11comp_targetILNS1_3genE6ELNS1_11target_archE950ELNS1_3gpuE13ELNS1_3repE0EEENS1_47radix_sort_onesweep_sort_config_static_selectorELNS0_4arch9wavefront6targetE1EEEvSE_.kd
    .uniform_work_group_size: 1
    .uses_dynamic_stack: false
    .vgpr_count:     0
    .vgpr_spill_count: 0
    .wavefront_size: 64
  - .agpr_count:     0
    .args:
      - .offset:         0
        .size:           88
        .value_kind:     by_value
    .group_segment_fixed_size: 0
    .kernarg_segment_align: 8
    .kernarg_segment_size: 88
    .language:       OpenCL C
    .language_version:
      - 2
      - 0
    .max_flat_workgroup_size: 1024
    .name:           _ZN7rocprim17ROCPRIM_400000_NS6detail17trampoline_kernelINS0_14default_configENS1_35radix_sort_onesweep_config_selectorIiNS0_10empty_typeEEEZZNS1_29radix_sort_onesweep_iterationIS3_Lb0EPiS8_PS5_S9_mNS0_19identity_decomposerENS1_16block_id_wrapperIjLb1EEEEE10hipError_tT1_PNSt15iterator_traitsISE_E10value_typeET2_T3_PNSF_ISK_E10value_typeET4_T5_PSP_SQ_PNS1_23onesweep_lookback_stateEbbT6_jjT7_P12ihipStream_tbENKUlT_T0_SE_SJ_E_clIS8_S8_S9_S9_EEDaSX_SY_SE_SJ_EUlSX_E_NS1_11comp_targetILNS1_3genE5ELNS1_11target_archE942ELNS1_3gpuE9ELNS1_3repE0EEENS1_47radix_sort_onesweep_sort_config_static_selectorELNS0_4arch9wavefront6targetE1EEEvSE_
    .private_segment_fixed_size: 0
    .sgpr_count:     4
    .sgpr_spill_count: 0
    .symbol:         _ZN7rocprim17ROCPRIM_400000_NS6detail17trampoline_kernelINS0_14default_configENS1_35radix_sort_onesweep_config_selectorIiNS0_10empty_typeEEEZZNS1_29radix_sort_onesweep_iterationIS3_Lb0EPiS8_PS5_S9_mNS0_19identity_decomposerENS1_16block_id_wrapperIjLb1EEEEE10hipError_tT1_PNSt15iterator_traitsISE_E10value_typeET2_T3_PNSF_ISK_E10value_typeET4_T5_PSP_SQ_PNS1_23onesweep_lookback_stateEbbT6_jjT7_P12ihipStream_tbENKUlT_T0_SE_SJ_E_clIS8_S8_S9_S9_EEDaSX_SY_SE_SJ_EUlSX_E_NS1_11comp_targetILNS1_3genE5ELNS1_11target_archE942ELNS1_3gpuE9ELNS1_3repE0EEENS1_47radix_sort_onesweep_sort_config_static_selectorELNS0_4arch9wavefront6targetE1EEEvSE_.kd
    .uniform_work_group_size: 1
    .uses_dynamic_stack: false
    .vgpr_count:     0
    .vgpr_spill_count: 0
    .wavefront_size: 64
  - .agpr_count:     0
    .args:
      - .offset:         0
        .size:           88
        .value_kind:     by_value
    .group_segment_fixed_size: 0
    .kernarg_segment_align: 8
    .kernarg_segment_size: 88
    .language:       OpenCL C
    .language_version:
      - 2
      - 0
    .max_flat_workgroup_size: 1024
    .name:           _ZN7rocprim17ROCPRIM_400000_NS6detail17trampoline_kernelINS0_14default_configENS1_35radix_sort_onesweep_config_selectorIiNS0_10empty_typeEEEZZNS1_29radix_sort_onesweep_iterationIS3_Lb0EPiS8_PS5_S9_mNS0_19identity_decomposerENS1_16block_id_wrapperIjLb1EEEEE10hipError_tT1_PNSt15iterator_traitsISE_E10value_typeET2_T3_PNSF_ISK_E10value_typeET4_T5_PSP_SQ_PNS1_23onesweep_lookback_stateEbbT6_jjT7_P12ihipStream_tbENKUlT_T0_SE_SJ_E_clIS8_S8_S9_S9_EEDaSX_SY_SE_SJ_EUlSX_E_NS1_11comp_targetILNS1_3genE2ELNS1_11target_archE906ELNS1_3gpuE6ELNS1_3repE0EEENS1_47radix_sort_onesweep_sort_config_static_selectorELNS0_4arch9wavefront6targetE1EEEvSE_
    .private_segment_fixed_size: 0
    .sgpr_count:     4
    .sgpr_spill_count: 0
    .symbol:         _ZN7rocprim17ROCPRIM_400000_NS6detail17trampoline_kernelINS0_14default_configENS1_35radix_sort_onesweep_config_selectorIiNS0_10empty_typeEEEZZNS1_29radix_sort_onesweep_iterationIS3_Lb0EPiS8_PS5_S9_mNS0_19identity_decomposerENS1_16block_id_wrapperIjLb1EEEEE10hipError_tT1_PNSt15iterator_traitsISE_E10value_typeET2_T3_PNSF_ISK_E10value_typeET4_T5_PSP_SQ_PNS1_23onesweep_lookback_stateEbbT6_jjT7_P12ihipStream_tbENKUlT_T0_SE_SJ_E_clIS8_S8_S9_S9_EEDaSX_SY_SE_SJ_EUlSX_E_NS1_11comp_targetILNS1_3genE2ELNS1_11target_archE906ELNS1_3gpuE6ELNS1_3repE0EEENS1_47radix_sort_onesweep_sort_config_static_selectorELNS0_4arch9wavefront6targetE1EEEvSE_.kd
    .uniform_work_group_size: 1
    .uses_dynamic_stack: false
    .vgpr_count:     0
    .vgpr_spill_count: 0
    .wavefront_size: 64
  - .agpr_count:     0
    .args:
      - .offset:         0
        .size:           88
        .value_kind:     by_value
      - .offset:         88
        .size:           4
        .value_kind:     hidden_block_count_x
      - .offset:         92
        .size:           4
        .value_kind:     hidden_block_count_y
      - .offset:         96
        .size:           4
        .value_kind:     hidden_block_count_z
      - .offset:         100
        .size:           2
        .value_kind:     hidden_group_size_x
      - .offset:         102
        .size:           2
        .value_kind:     hidden_group_size_y
      - .offset:         104
        .size:           2
        .value_kind:     hidden_group_size_z
      - .offset:         106
        .size:           2
        .value_kind:     hidden_remainder_x
      - .offset:         108
        .size:           2
        .value_kind:     hidden_remainder_y
      - .offset:         110
        .size:           2
        .value_kind:     hidden_remainder_z
      - .offset:         128
        .size:           8
        .value_kind:     hidden_global_offset_x
      - .offset:         136
        .size:           8
        .value_kind:     hidden_global_offset_y
      - .offset:         144
        .size:           8
        .value_kind:     hidden_global_offset_z
      - .offset:         152
        .size:           2
        .value_kind:     hidden_grid_dims
    .group_segment_fixed_size: 20552
    .kernarg_segment_align: 8
    .kernarg_segment_size: 344
    .language:       OpenCL C
    .language_version:
      - 2
      - 0
    .max_flat_workgroup_size: 1024
    .name:           _ZN7rocprim17ROCPRIM_400000_NS6detail17trampoline_kernelINS0_14default_configENS1_35radix_sort_onesweep_config_selectorIiNS0_10empty_typeEEEZZNS1_29radix_sort_onesweep_iterationIS3_Lb0EPiS8_PS5_S9_mNS0_19identity_decomposerENS1_16block_id_wrapperIjLb1EEEEE10hipError_tT1_PNSt15iterator_traitsISE_E10value_typeET2_T3_PNSF_ISK_E10value_typeET4_T5_PSP_SQ_PNS1_23onesweep_lookback_stateEbbT6_jjT7_P12ihipStream_tbENKUlT_T0_SE_SJ_E_clIS8_S8_S9_S9_EEDaSX_SY_SE_SJ_EUlSX_E_NS1_11comp_targetILNS1_3genE4ELNS1_11target_archE910ELNS1_3gpuE8ELNS1_3repE0EEENS1_47radix_sort_onesweep_sort_config_static_selectorELNS0_4arch9wavefront6targetE1EEEvSE_
    .private_segment_fixed_size: 0
    .sgpr_count:     39
    .sgpr_spill_count: 0
    .symbol:         _ZN7rocprim17ROCPRIM_400000_NS6detail17trampoline_kernelINS0_14default_configENS1_35radix_sort_onesweep_config_selectorIiNS0_10empty_typeEEEZZNS1_29radix_sort_onesweep_iterationIS3_Lb0EPiS8_PS5_S9_mNS0_19identity_decomposerENS1_16block_id_wrapperIjLb1EEEEE10hipError_tT1_PNSt15iterator_traitsISE_E10value_typeET2_T3_PNSF_ISK_E10value_typeET4_T5_PSP_SQ_PNS1_23onesweep_lookback_stateEbbT6_jjT7_P12ihipStream_tbENKUlT_T0_SE_SJ_E_clIS8_S8_S9_S9_EEDaSX_SY_SE_SJ_EUlSX_E_NS1_11comp_targetILNS1_3genE4ELNS1_11target_archE910ELNS1_3gpuE8ELNS1_3repE0EEENS1_47radix_sort_onesweep_sort_config_static_selectorELNS0_4arch9wavefront6targetE1EEEvSE_.kd
    .uniform_work_group_size: 1
    .uses_dynamic_stack: false
    .vgpr_count:     62
    .vgpr_spill_count: 0
    .wavefront_size: 64
  - .agpr_count:     0
    .args:
      - .offset:         0
        .size:           88
        .value_kind:     by_value
    .group_segment_fixed_size: 0
    .kernarg_segment_align: 8
    .kernarg_segment_size: 88
    .language:       OpenCL C
    .language_version:
      - 2
      - 0
    .max_flat_workgroup_size: 512
    .name:           _ZN7rocprim17ROCPRIM_400000_NS6detail17trampoline_kernelINS0_14default_configENS1_35radix_sort_onesweep_config_selectorIiNS0_10empty_typeEEEZZNS1_29radix_sort_onesweep_iterationIS3_Lb0EPiS8_PS5_S9_mNS0_19identity_decomposerENS1_16block_id_wrapperIjLb1EEEEE10hipError_tT1_PNSt15iterator_traitsISE_E10value_typeET2_T3_PNSF_ISK_E10value_typeET4_T5_PSP_SQ_PNS1_23onesweep_lookback_stateEbbT6_jjT7_P12ihipStream_tbENKUlT_T0_SE_SJ_E_clIS8_S8_S9_S9_EEDaSX_SY_SE_SJ_EUlSX_E_NS1_11comp_targetILNS1_3genE3ELNS1_11target_archE908ELNS1_3gpuE7ELNS1_3repE0EEENS1_47radix_sort_onesweep_sort_config_static_selectorELNS0_4arch9wavefront6targetE1EEEvSE_
    .private_segment_fixed_size: 0
    .sgpr_count:     4
    .sgpr_spill_count: 0
    .symbol:         _ZN7rocprim17ROCPRIM_400000_NS6detail17trampoline_kernelINS0_14default_configENS1_35radix_sort_onesweep_config_selectorIiNS0_10empty_typeEEEZZNS1_29radix_sort_onesweep_iterationIS3_Lb0EPiS8_PS5_S9_mNS0_19identity_decomposerENS1_16block_id_wrapperIjLb1EEEEE10hipError_tT1_PNSt15iterator_traitsISE_E10value_typeET2_T3_PNSF_ISK_E10value_typeET4_T5_PSP_SQ_PNS1_23onesweep_lookback_stateEbbT6_jjT7_P12ihipStream_tbENKUlT_T0_SE_SJ_E_clIS8_S8_S9_S9_EEDaSX_SY_SE_SJ_EUlSX_E_NS1_11comp_targetILNS1_3genE3ELNS1_11target_archE908ELNS1_3gpuE7ELNS1_3repE0EEENS1_47radix_sort_onesweep_sort_config_static_selectorELNS0_4arch9wavefront6targetE1EEEvSE_.kd
    .uniform_work_group_size: 1
    .uses_dynamic_stack: false
    .vgpr_count:     0
    .vgpr_spill_count: 0
    .wavefront_size: 64
  - .agpr_count:     0
    .args:
      - .offset:         0
        .size:           88
        .value_kind:     by_value
    .group_segment_fixed_size: 0
    .kernarg_segment_align: 8
    .kernarg_segment_size: 88
    .language:       OpenCL C
    .language_version:
      - 2
      - 0
    .max_flat_workgroup_size: 1024
    .name:           _ZN7rocprim17ROCPRIM_400000_NS6detail17trampoline_kernelINS0_14default_configENS1_35radix_sort_onesweep_config_selectorIiNS0_10empty_typeEEEZZNS1_29radix_sort_onesweep_iterationIS3_Lb0EPiS8_PS5_S9_mNS0_19identity_decomposerENS1_16block_id_wrapperIjLb1EEEEE10hipError_tT1_PNSt15iterator_traitsISE_E10value_typeET2_T3_PNSF_ISK_E10value_typeET4_T5_PSP_SQ_PNS1_23onesweep_lookback_stateEbbT6_jjT7_P12ihipStream_tbENKUlT_T0_SE_SJ_E_clIS8_S8_S9_S9_EEDaSX_SY_SE_SJ_EUlSX_E_NS1_11comp_targetILNS1_3genE10ELNS1_11target_archE1201ELNS1_3gpuE5ELNS1_3repE0EEENS1_47radix_sort_onesweep_sort_config_static_selectorELNS0_4arch9wavefront6targetE1EEEvSE_
    .private_segment_fixed_size: 0
    .sgpr_count:     4
    .sgpr_spill_count: 0
    .symbol:         _ZN7rocprim17ROCPRIM_400000_NS6detail17trampoline_kernelINS0_14default_configENS1_35radix_sort_onesweep_config_selectorIiNS0_10empty_typeEEEZZNS1_29radix_sort_onesweep_iterationIS3_Lb0EPiS8_PS5_S9_mNS0_19identity_decomposerENS1_16block_id_wrapperIjLb1EEEEE10hipError_tT1_PNSt15iterator_traitsISE_E10value_typeET2_T3_PNSF_ISK_E10value_typeET4_T5_PSP_SQ_PNS1_23onesweep_lookback_stateEbbT6_jjT7_P12ihipStream_tbENKUlT_T0_SE_SJ_E_clIS8_S8_S9_S9_EEDaSX_SY_SE_SJ_EUlSX_E_NS1_11comp_targetILNS1_3genE10ELNS1_11target_archE1201ELNS1_3gpuE5ELNS1_3repE0EEENS1_47radix_sort_onesweep_sort_config_static_selectorELNS0_4arch9wavefront6targetE1EEEvSE_.kd
    .uniform_work_group_size: 1
    .uses_dynamic_stack: false
    .vgpr_count:     0
    .vgpr_spill_count: 0
    .wavefront_size: 64
  - .agpr_count:     0
    .args:
      - .offset:         0
        .size:           88
        .value_kind:     by_value
    .group_segment_fixed_size: 0
    .kernarg_segment_align: 8
    .kernarg_segment_size: 88
    .language:       OpenCL C
    .language_version:
      - 2
      - 0
    .max_flat_workgroup_size: 1024
    .name:           _ZN7rocprim17ROCPRIM_400000_NS6detail17trampoline_kernelINS0_14default_configENS1_35radix_sort_onesweep_config_selectorIiNS0_10empty_typeEEEZZNS1_29radix_sort_onesweep_iterationIS3_Lb0EPiS8_PS5_S9_mNS0_19identity_decomposerENS1_16block_id_wrapperIjLb1EEEEE10hipError_tT1_PNSt15iterator_traitsISE_E10value_typeET2_T3_PNSF_ISK_E10value_typeET4_T5_PSP_SQ_PNS1_23onesweep_lookback_stateEbbT6_jjT7_P12ihipStream_tbENKUlT_T0_SE_SJ_E_clIS8_S8_S9_S9_EEDaSX_SY_SE_SJ_EUlSX_E_NS1_11comp_targetILNS1_3genE9ELNS1_11target_archE1100ELNS1_3gpuE3ELNS1_3repE0EEENS1_47radix_sort_onesweep_sort_config_static_selectorELNS0_4arch9wavefront6targetE1EEEvSE_
    .private_segment_fixed_size: 0
    .sgpr_count:     4
    .sgpr_spill_count: 0
    .symbol:         _ZN7rocprim17ROCPRIM_400000_NS6detail17trampoline_kernelINS0_14default_configENS1_35radix_sort_onesweep_config_selectorIiNS0_10empty_typeEEEZZNS1_29radix_sort_onesweep_iterationIS3_Lb0EPiS8_PS5_S9_mNS0_19identity_decomposerENS1_16block_id_wrapperIjLb1EEEEE10hipError_tT1_PNSt15iterator_traitsISE_E10value_typeET2_T3_PNSF_ISK_E10value_typeET4_T5_PSP_SQ_PNS1_23onesweep_lookback_stateEbbT6_jjT7_P12ihipStream_tbENKUlT_T0_SE_SJ_E_clIS8_S8_S9_S9_EEDaSX_SY_SE_SJ_EUlSX_E_NS1_11comp_targetILNS1_3genE9ELNS1_11target_archE1100ELNS1_3gpuE3ELNS1_3repE0EEENS1_47radix_sort_onesweep_sort_config_static_selectorELNS0_4arch9wavefront6targetE1EEEvSE_.kd
    .uniform_work_group_size: 1
    .uses_dynamic_stack: false
    .vgpr_count:     0
    .vgpr_spill_count: 0
    .wavefront_size: 64
  - .agpr_count:     0
    .args:
      - .offset:         0
        .size:           88
        .value_kind:     by_value
    .group_segment_fixed_size: 0
    .kernarg_segment_align: 8
    .kernarg_segment_size: 88
    .language:       OpenCL C
    .language_version:
      - 2
      - 0
    .max_flat_workgroup_size: 1024
    .name:           _ZN7rocprim17ROCPRIM_400000_NS6detail17trampoline_kernelINS0_14default_configENS1_35radix_sort_onesweep_config_selectorIiNS0_10empty_typeEEEZZNS1_29radix_sort_onesweep_iterationIS3_Lb0EPiS8_PS5_S9_mNS0_19identity_decomposerENS1_16block_id_wrapperIjLb1EEEEE10hipError_tT1_PNSt15iterator_traitsISE_E10value_typeET2_T3_PNSF_ISK_E10value_typeET4_T5_PSP_SQ_PNS1_23onesweep_lookback_stateEbbT6_jjT7_P12ihipStream_tbENKUlT_T0_SE_SJ_E_clIS8_S8_S9_S9_EEDaSX_SY_SE_SJ_EUlSX_E_NS1_11comp_targetILNS1_3genE8ELNS1_11target_archE1030ELNS1_3gpuE2ELNS1_3repE0EEENS1_47radix_sort_onesweep_sort_config_static_selectorELNS0_4arch9wavefront6targetE1EEEvSE_
    .private_segment_fixed_size: 0
    .sgpr_count:     4
    .sgpr_spill_count: 0
    .symbol:         _ZN7rocprim17ROCPRIM_400000_NS6detail17trampoline_kernelINS0_14default_configENS1_35radix_sort_onesweep_config_selectorIiNS0_10empty_typeEEEZZNS1_29radix_sort_onesweep_iterationIS3_Lb0EPiS8_PS5_S9_mNS0_19identity_decomposerENS1_16block_id_wrapperIjLb1EEEEE10hipError_tT1_PNSt15iterator_traitsISE_E10value_typeET2_T3_PNSF_ISK_E10value_typeET4_T5_PSP_SQ_PNS1_23onesweep_lookback_stateEbbT6_jjT7_P12ihipStream_tbENKUlT_T0_SE_SJ_E_clIS8_S8_S9_S9_EEDaSX_SY_SE_SJ_EUlSX_E_NS1_11comp_targetILNS1_3genE8ELNS1_11target_archE1030ELNS1_3gpuE2ELNS1_3repE0EEENS1_47radix_sort_onesweep_sort_config_static_selectorELNS0_4arch9wavefront6targetE1EEEvSE_.kd
    .uniform_work_group_size: 1
    .uses_dynamic_stack: false
    .vgpr_count:     0
    .vgpr_spill_count: 0
    .wavefront_size: 64
  - .agpr_count:     0
    .args:
      - .offset:         0
        .size:           88
        .value_kind:     by_value
    .group_segment_fixed_size: 0
    .kernarg_segment_align: 8
    .kernarg_segment_size: 88
    .language:       OpenCL C
    .language_version:
      - 2
      - 0
    .max_flat_workgroup_size: 512
    .name:           _ZN7rocprim17ROCPRIM_400000_NS6detail17trampoline_kernelINS0_14default_configENS1_35radix_sort_onesweep_config_selectorIiNS0_10empty_typeEEEZZNS1_29radix_sort_onesweep_iterationIS3_Lb0EPiS8_PS5_S9_mNS0_19identity_decomposerENS1_16block_id_wrapperIjLb0EEEEE10hipError_tT1_PNSt15iterator_traitsISE_E10value_typeET2_T3_PNSF_ISK_E10value_typeET4_T5_PSP_SQ_PNS1_23onesweep_lookback_stateEbbT6_jjT7_P12ihipStream_tbENKUlT_T0_SE_SJ_E_clIS8_S8_S9_S9_EEDaSX_SY_SE_SJ_EUlSX_E_NS1_11comp_targetILNS1_3genE0ELNS1_11target_archE4294967295ELNS1_3gpuE0ELNS1_3repE0EEENS1_47radix_sort_onesweep_sort_config_static_selectorELNS0_4arch9wavefront6targetE1EEEvSE_
    .private_segment_fixed_size: 0
    .sgpr_count:     4
    .sgpr_spill_count: 0
    .symbol:         _ZN7rocprim17ROCPRIM_400000_NS6detail17trampoline_kernelINS0_14default_configENS1_35radix_sort_onesweep_config_selectorIiNS0_10empty_typeEEEZZNS1_29radix_sort_onesweep_iterationIS3_Lb0EPiS8_PS5_S9_mNS0_19identity_decomposerENS1_16block_id_wrapperIjLb0EEEEE10hipError_tT1_PNSt15iterator_traitsISE_E10value_typeET2_T3_PNSF_ISK_E10value_typeET4_T5_PSP_SQ_PNS1_23onesweep_lookback_stateEbbT6_jjT7_P12ihipStream_tbENKUlT_T0_SE_SJ_E_clIS8_S8_S9_S9_EEDaSX_SY_SE_SJ_EUlSX_E_NS1_11comp_targetILNS1_3genE0ELNS1_11target_archE4294967295ELNS1_3gpuE0ELNS1_3repE0EEENS1_47radix_sort_onesweep_sort_config_static_selectorELNS0_4arch9wavefront6targetE1EEEvSE_.kd
    .uniform_work_group_size: 1
    .uses_dynamic_stack: false
    .vgpr_count:     0
    .vgpr_spill_count: 0
    .wavefront_size: 64
  - .agpr_count:     0
    .args:
      - .offset:         0
        .size:           88
        .value_kind:     by_value
    .group_segment_fixed_size: 0
    .kernarg_segment_align: 8
    .kernarg_segment_size: 88
    .language:       OpenCL C
    .language_version:
      - 2
      - 0
    .max_flat_workgroup_size: 1024
    .name:           _ZN7rocprim17ROCPRIM_400000_NS6detail17trampoline_kernelINS0_14default_configENS1_35radix_sort_onesweep_config_selectorIiNS0_10empty_typeEEEZZNS1_29radix_sort_onesweep_iterationIS3_Lb0EPiS8_PS5_S9_mNS0_19identity_decomposerENS1_16block_id_wrapperIjLb0EEEEE10hipError_tT1_PNSt15iterator_traitsISE_E10value_typeET2_T3_PNSF_ISK_E10value_typeET4_T5_PSP_SQ_PNS1_23onesweep_lookback_stateEbbT6_jjT7_P12ihipStream_tbENKUlT_T0_SE_SJ_E_clIS8_S8_S9_S9_EEDaSX_SY_SE_SJ_EUlSX_E_NS1_11comp_targetILNS1_3genE6ELNS1_11target_archE950ELNS1_3gpuE13ELNS1_3repE0EEENS1_47radix_sort_onesweep_sort_config_static_selectorELNS0_4arch9wavefront6targetE1EEEvSE_
    .private_segment_fixed_size: 0
    .sgpr_count:     4
    .sgpr_spill_count: 0
    .symbol:         _ZN7rocprim17ROCPRIM_400000_NS6detail17trampoline_kernelINS0_14default_configENS1_35radix_sort_onesweep_config_selectorIiNS0_10empty_typeEEEZZNS1_29radix_sort_onesweep_iterationIS3_Lb0EPiS8_PS5_S9_mNS0_19identity_decomposerENS1_16block_id_wrapperIjLb0EEEEE10hipError_tT1_PNSt15iterator_traitsISE_E10value_typeET2_T3_PNSF_ISK_E10value_typeET4_T5_PSP_SQ_PNS1_23onesweep_lookback_stateEbbT6_jjT7_P12ihipStream_tbENKUlT_T0_SE_SJ_E_clIS8_S8_S9_S9_EEDaSX_SY_SE_SJ_EUlSX_E_NS1_11comp_targetILNS1_3genE6ELNS1_11target_archE950ELNS1_3gpuE13ELNS1_3repE0EEENS1_47radix_sort_onesweep_sort_config_static_selectorELNS0_4arch9wavefront6targetE1EEEvSE_.kd
    .uniform_work_group_size: 1
    .uses_dynamic_stack: false
    .vgpr_count:     0
    .vgpr_spill_count: 0
    .wavefront_size: 64
  - .agpr_count:     0
    .args:
      - .offset:         0
        .size:           88
        .value_kind:     by_value
    .group_segment_fixed_size: 0
    .kernarg_segment_align: 8
    .kernarg_segment_size: 88
    .language:       OpenCL C
    .language_version:
      - 2
      - 0
    .max_flat_workgroup_size: 1024
    .name:           _ZN7rocprim17ROCPRIM_400000_NS6detail17trampoline_kernelINS0_14default_configENS1_35radix_sort_onesweep_config_selectorIiNS0_10empty_typeEEEZZNS1_29radix_sort_onesweep_iterationIS3_Lb0EPiS8_PS5_S9_mNS0_19identity_decomposerENS1_16block_id_wrapperIjLb0EEEEE10hipError_tT1_PNSt15iterator_traitsISE_E10value_typeET2_T3_PNSF_ISK_E10value_typeET4_T5_PSP_SQ_PNS1_23onesweep_lookback_stateEbbT6_jjT7_P12ihipStream_tbENKUlT_T0_SE_SJ_E_clIS8_S8_S9_S9_EEDaSX_SY_SE_SJ_EUlSX_E_NS1_11comp_targetILNS1_3genE5ELNS1_11target_archE942ELNS1_3gpuE9ELNS1_3repE0EEENS1_47radix_sort_onesweep_sort_config_static_selectorELNS0_4arch9wavefront6targetE1EEEvSE_
    .private_segment_fixed_size: 0
    .sgpr_count:     4
    .sgpr_spill_count: 0
    .symbol:         _ZN7rocprim17ROCPRIM_400000_NS6detail17trampoline_kernelINS0_14default_configENS1_35radix_sort_onesweep_config_selectorIiNS0_10empty_typeEEEZZNS1_29radix_sort_onesweep_iterationIS3_Lb0EPiS8_PS5_S9_mNS0_19identity_decomposerENS1_16block_id_wrapperIjLb0EEEEE10hipError_tT1_PNSt15iterator_traitsISE_E10value_typeET2_T3_PNSF_ISK_E10value_typeET4_T5_PSP_SQ_PNS1_23onesweep_lookback_stateEbbT6_jjT7_P12ihipStream_tbENKUlT_T0_SE_SJ_E_clIS8_S8_S9_S9_EEDaSX_SY_SE_SJ_EUlSX_E_NS1_11comp_targetILNS1_3genE5ELNS1_11target_archE942ELNS1_3gpuE9ELNS1_3repE0EEENS1_47radix_sort_onesweep_sort_config_static_selectorELNS0_4arch9wavefront6targetE1EEEvSE_.kd
    .uniform_work_group_size: 1
    .uses_dynamic_stack: false
    .vgpr_count:     0
    .vgpr_spill_count: 0
    .wavefront_size: 64
  - .agpr_count:     0
    .args:
      - .offset:         0
        .size:           88
        .value_kind:     by_value
    .group_segment_fixed_size: 0
    .kernarg_segment_align: 8
    .kernarg_segment_size: 88
    .language:       OpenCL C
    .language_version:
      - 2
      - 0
    .max_flat_workgroup_size: 1024
    .name:           _ZN7rocprim17ROCPRIM_400000_NS6detail17trampoline_kernelINS0_14default_configENS1_35radix_sort_onesweep_config_selectorIiNS0_10empty_typeEEEZZNS1_29radix_sort_onesweep_iterationIS3_Lb0EPiS8_PS5_S9_mNS0_19identity_decomposerENS1_16block_id_wrapperIjLb0EEEEE10hipError_tT1_PNSt15iterator_traitsISE_E10value_typeET2_T3_PNSF_ISK_E10value_typeET4_T5_PSP_SQ_PNS1_23onesweep_lookback_stateEbbT6_jjT7_P12ihipStream_tbENKUlT_T0_SE_SJ_E_clIS8_S8_S9_S9_EEDaSX_SY_SE_SJ_EUlSX_E_NS1_11comp_targetILNS1_3genE2ELNS1_11target_archE906ELNS1_3gpuE6ELNS1_3repE0EEENS1_47radix_sort_onesweep_sort_config_static_selectorELNS0_4arch9wavefront6targetE1EEEvSE_
    .private_segment_fixed_size: 0
    .sgpr_count:     4
    .sgpr_spill_count: 0
    .symbol:         _ZN7rocprim17ROCPRIM_400000_NS6detail17trampoline_kernelINS0_14default_configENS1_35radix_sort_onesweep_config_selectorIiNS0_10empty_typeEEEZZNS1_29radix_sort_onesweep_iterationIS3_Lb0EPiS8_PS5_S9_mNS0_19identity_decomposerENS1_16block_id_wrapperIjLb0EEEEE10hipError_tT1_PNSt15iterator_traitsISE_E10value_typeET2_T3_PNSF_ISK_E10value_typeET4_T5_PSP_SQ_PNS1_23onesweep_lookback_stateEbbT6_jjT7_P12ihipStream_tbENKUlT_T0_SE_SJ_E_clIS8_S8_S9_S9_EEDaSX_SY_SE_SJ_EUlSX_E_NS1_11comp_targetILNS1_3genE2ELNS1_11target_archE906ELNS1_3gpuE6ELNS1_3repE0EEENS1_47radix_sort_onesweep_sort_config_static_selectorELNS0_4arch9wavefront6targetE1EEEvSE_.kd
    .uniform_work_group_size: 1
    .uses_dynamic_stack: false
    .vgpr_count:     0
    .vgpr_spill_count: 0
    .wavefront_size: 64
  - .agpr_count:     0
    .args:
      - .offset:         0
        .size:           88
        .value_kind:     by_value
      - .offset:         88
        .size:           4
        .value_kind:     hidden_block_count_x
      - .offset:         92
        .size:           4
        .value_kind:     hidden_block_count_y
      - .offset:         96
        .size:           4
        .value_kind:     hidden_block_count_z
      - .offset:         100
        .size:           2
        .value_kind:     hidden_group_size_x
      - .offset:         102
        .size:           2
        .value_kind:     hidden_group_size_y
      - .offset:         104
        .size:           2
        .value_kind:     hidden_group_size_z
      - .offset:         106
        .size:           2
        .value_kind:     hidden_remainder_x
      - .offset:         108
        .size:           2
        .value_kind:     hidden_remainder_y
      - .offset:         110
        .size:           2
        .value_kind:     hidden_remainder_z
      - .offset:         128
        .size:           8
        .value_kind:     hidden_global_offset_x
      - .offset:         136
        .size:           8
        .value_kind:     hidden_global_offset_y
      - .offset:         144
        .size:           8
        .value_kind:     hidden_global_offset_z
      - .offset:         152
        .size:           2
        .value_kind:     hidden_grid_dims
    .group_segment_fixed_size: 20552
    .kernarg_segment_align: 8
    .kernarg_segment_size: 344
    .language:       OpenCL C
    .language_version:
      - 2
      - 0
    .max_flat_workgroup_size: 1024
    .name:           _ZN7rocprim17ROCPRIM_400000_NS6detail17trampoline_kernelINS0_14default_configENS1_35radix_sort_onesweep_config_selectorIiNS0_10empty_typeEEEZZNS1_29radix_sort_onesweep_iterationIS3_Lb0EPiS8_PS5_S9_mNS0_19identity_decomposerENS1_16block_id_wrapperIjLb0EEEEE10hipError_tT1_PNSt15iterator_traitsISE_E10value_typeET2_T3_PNSF_ISK_E10value_typeET4_T5_PSP_SQ_PNS1_23onesweep_lookback_stateEbbT6_jjT7_P12ihipStream_tbENKUlT_T0_SE_SJ_E_clIS8_S8_S9_S9_EEDaSX_SY_SE_SJ_EUlSX_E_NS1_11comp_targetILNS1_3genE4ELNS1_11target_archE910ELNS1_3gpuE8ELNS1_3repE0EEENS1_47radix_sort_onesweep_sort_config_static_selectorELNS0_4arch9wavefront6targetE1EEEvSE_
    .private_segment_fixed_size: 0
    .sgpr_count:     35
    .sgpr_spill_count: 0
    .symbol:         _ZN7rocprim17ROCPRIM_400000_NS6detail17trampoline_kernelINS0_14default_configENS1_35radix_sort_onesweep_config_selectorIiNS0_10empty_typeEEEZZNS1_29radix_sort_onesweep_iterationIS3_Lb0EPiS8_PS5_S9_mNS0_19identity_decomposerENS1_16block_id_wrapperIjLb0EEEEE10hipError_tT1_PNSt15iterator_traitsISE_E10value_typeET2_T3_PNSF_ISK_E10value_typeET4_T5_PSP_SQ_PNS1_23onesweep_lookback_stateEbbT6_jjT7_P12ihipStream_tbENKUlT_T0_SE_SJ_E_clIS8_S8_S9_S9_EEDaSX_SY_SE_SJ_EUlSX_E_NS1_11comp_targetILNS1_3genE4ELNS1_11target_archE910ELNS1_3gpuE8ELNS1_3repE0EEENS1_47radix_sort_onesweep_sort_config_static_selectorELNS0_4arch9wavefront6targetE1EEEvSE_.kd
    .uniform_work_group_size: 1
    .uses_dynamic_stack: false
    .vgpr_count:     63
    .vgpr_spill_count: 0
    .wavefront_size: 64
  - .agpr_count:     0
    .args:
      - .offset:         0
        .size:           88
        .value_kind:     by_value
    .group_segment_fixed_size: 0
    .kernarg_segment_align: 8
    .kernarg_segment_size: 88
    .language:       OpenCL C
    .language_version:
      - 2
      - 0
    .max_flat_workgroup_size: 512
    .name:           _ZN7rocprim17ROCPRIM_400000_NS6detail17trampoline_kernelINS0_14default_configENS1_35radix_sort_onesweep_config_selectorIiNS0_10empty_typeEEEZZNS1_29radix_sort_onesweep_iterationIS3_Lb0EPiS8_PS5_S9_mNS0_19identity_decomposerENS1_16block_id_wrapperIjLb0EEEEE10hipError_tT1_PNSt15iterator_traitsISE_E10value_typeET2_T3_PNSF_ISK_E10value_typeET4_T5_PSP_SQ_PNS1_23onesweep_lookback_stateEbbT6_jjT7_P12ihipStream_tbENKUlT_T0_SE_SJ_E_clIS8_S8_S9_S9_EEDaSX_SY_SE_SJ_EUlSX_E_NS1_11comp_targetILNS1_3genE3ELNS1_11target_archE908ELNS1_3gpuE7ELNS1_3repE0EEENS1_47radix_sort_onesweep_sort_config_static_selectorELNS0_4arch9wavefront6targetE1EEEvSE_
    .private_segment_fixed_size: 0
    .sgpr_count:     4
    .sgpr_spill_count: 0
    .symbol:         _ZN7rocprim17ROCPRIM_400000_NS6detail17trampoline_kernelINS0_14default_configENS1_35radix_sort_onesweep_config_selectorIiNS0_10empty_typeEEEZZNS1_29radix_sort_onesweep_iterationIS3_Lb0EPiS8_PS5_S9_mNS0_19identity_decomposerENS1_16block_id_wrapperIjLb0EEEEE10hipError_tT1_PNSt15iterator_traitsISE_E10value_typeET2_T3_PNSF_ISK_E10value_typeET4_T5_PSP_SQ_PNS1_23onesweep_lookback_stateEbbT6_jjT7_P12ihipStream_tbENKUlT_T0_SE_SJ_E_clIS8_S8_S9_S9_EEDaSX_SY_SE_SJ_EUlSX_E_NS1_11comp_targetILNS1_3genE3ELNS1_11target_archE908ELNS1_3gpuE7ELNS1_3repE0EEENS1_47radix_sort_onesweep_sort_config_static_selectorELNS0_4arch9wavefront6targetE1EEEvSE_.kd
    .uniform_work_group_size: 1
    .uses_dynamic_stack: false
    .vgpr_count:     0
    .vgpr_spill_count: 0
    .wavefront_size: 64
  - .agpr_count:     0
    .args:
      - .offset:         0
        .size:           88
        .value_kind:     by_value
    .group_segment_fixed_size: 0
    .kernarg_segment_align: 8
    .kernarg_segment_size: 88
    .language:       OpenCL C
    .language_version:
      - 2
      - 0
    .max_flat_workgroup_size: 1024
    .name:           _ZN7rocprim17ROCPRIM_400000_NS6detail17trampoline_kernelINS0_14default_configENS1_35radix_sort_onesweep_config_selectorIiNS0_10empty_typeEEEZZNS1_29radix_sort_onesweep_iterationIS3_Lb0EPiS8_PS5_S9_mNS0_19identity_decomposerENS1_16block_id_wrapperIjLb0EEEEE10hipError_tT1_PNSt15iterator_traitsISE_E10value_typeET2_T3_PNSF_ISK_E10value_typeET4_T5_PSP_SQ_PNS1_23onesweep_lookback_stateEbbT6_jjT7_P12ihipStream_tbENKUlT_T0_SE_SJ_E_clIS8_S8_S9_S9_EEDaSX_SY_SE_SJ_EUlSX_E_NS1_11comp_targetILNS1_3genE10ELNS1_11target_archE1201ELNS1_3gpuE5ELNS1_3repE0EEENS1_47radix_sort_onesweep_sort_config_static_selectorELNS0_4arch9wavefront6targetE1EEEvSE_
    .private_segment_fixed_size: 0
    .sgpr_count:     4
    .sgpr_spill_count: 0
    .symbol:         _ZN7rocprim17ROCPRIM_400000_NS6detail17trampoline_kernelINS0_14default_configENS1_35radix_sort_onesweep_config_selectorIiNS0_10empty_typeEEEZZNS1_29radix_sort_onesweep_iterationIS3_Lb0EPiS8_PS5_S9_mNS0_19identity_decomposerENS1_16block_id_wrapperIjLb0EEEEE10hipError_tT1_PNSt15iterator_traitsISE_E10value_typeET2_T3_PNSF_ISK_E10value_typeET4_T5_PSP_SQ_PNS1_23onesweep_lookback_stateEbbT6_jjT7_P12ihipStream_tbENKUlT_T0_SE_SJ_E_clIS8_S8_S9_S9_EEDaSX_SY_SE_SJ_EUlSX_E_NS1_11comp_targetILNS1_3genE10ELNS1_11target_archE1201ELNS1_3gpuE5ELNS1_3repE0EEENS1_47radix_sort_onesweep_sort_config_static_selectorELNS0_4arch9wavefront6targetE1EEEvSE_.kd
    .uniform_work_group_size: 1
    .uses_dynamic_stack: false
    .vgpr_count:     0
    .vgpr_spill_count: 0
    .wavefront_size: 64
  - .agpr_count:     0
    .args:
      - .offset:         0
        .size:           88
        .value_kind:     by_value
    .group_segment_fixed_size: 0
    .kernarg_segment_align: 8
    .kernarg_segment_size: 88
    .language:       OpenCL C
    .language_version:
      - 2
      - 0
    .max_flat_workgroup_size: 1024
    .name:           _ZN7rocprim17ROCPRIM_400000_NS6detail17trampoline_kernelINS0_14default_configENS1_35radix_sort_onesweep_config_selectorIiNS0_10empty_typeEEEZZNS1_29radix_sort_onesweep_iterationIS3_Lb0EPiS8_PS5_S9_mNS0_19identity_decomposerENS1_16block_id_wrapperIjLb0EEEEE10hipError_tT1_PNSt15iterator_traitsISE_E10value_typeET2_T3_PNSF_ISK_E10value_typeET4_T5_PSP_SQ_PNS1_23onesweep_lookback_stateEbbT6_jjT7_P12ihipStream_tbENKUlT_T0_SE_SJ_E_clIS8_S8_S9_S9_EEDaSX_SY_SE_SJ_EUlSX_E_NS1_11comp_targetILNS1_3genE9ELNS1_11target_archE1100ELNS1_3gpuE3ELNS1_3repE0EEENS1_47radix_sort_onesweep_sort_config_static_selectorELNS0_4arch9wavefront6targetE1EEEvSE_
    .private_segment_fixed_size: 0
    .sgpr_count:     4
    .sgpr_spill_count: 0
    .symbol:         _ZN7rocprim17ROCPRIM_400000_NS6detail17trampoline_kernelINS0_14default_configENS1_35radix_sort_onesweep_config_selectorIiNS0_10empty_typeEEEZZNS1_29radix_sort_onesweep_iterationIS3_Lb0EPiS8_PS5_S9_mNS0_19identity_decomposerENS1_16block_id_wrapperIjLb0EEEEE10hipError_tT1_PNSt15iterator_traitsISE_E10value_typeET2_T3_PNSF_ISK_E10value_typeET4_T5_PSP_SQ_PNS1_23onesweep_lookback_stateEbbT6_jjT7_P12ihipStream_tbENKUlT_T0_SE_SJ_E_clIS8_S8_S9_S9_EEDaSX_SY_SE_SJ_EUlSX_E_NS1_11comp_targetILNS1_3genE9ELNS1_11target_archE1100ELNS1_3gpuE3ELNS1_3repE0EEENS1_47radix_sort_onesweep_sort_config_static_selectorELNS0_4arch9wavefront6targetE1EEEvSE_.kd
    .uniform_work_group_size: 1
    .uses_dynamic_stack: false
    .vgpr_count:     0
    .vgpr_spill_count: 0
    .wavefront_size: 64
  - .agpr_count:     0
    .args:
      - .offset:         0
        .size:           88
        .value_kind:     by_value
    .group_segment_fixed_size: 0
    .kernarg_segment_align: 8
    .kernarg_segment_size: 88
    .language:       OpenCL C
    .language_version:
      - 2
      - 0
    .max_flat_workgroup_size: 1024
    .name:           _ZN7rocprim17ROCPRIM_400000_NS6detail17trampoline_kernelINS0_14default_configENS1_35radix_sort_onesweep_config_selectorIiNS0_10empty_typeEEEZZNS1_29radix_sort_onesweep_iterationIS3_Lb0EPiS8_PS5_S9_mNS0_19identity_decomposerENS1_16block_id_wrapperIjLb0EEEEE10hipError_tT1_PNSt15iterator_traitsISE_E10value_typeET2_T3_PNSF_ISK_E10value_typeET4_T5_PSP_SQ_PNS1_23onesweep_lookback_stateEbbT6_jjT7_P12ihipStream_tbENKUlT_T0_SE_SJ_E_clIS8_S8_S9_S9_EEDaSX_SY_SE_SJ_EUlSX_E_NS1_11comp_targetILNS1_3genE8ELNS1_11target_archE1030ELNS1_3gpuE2ELNS1_3repE0EEENS1_47radix_sort_onesweep_sort_config_static_selectorELNS0_4arch9wavefront6targetE1EEEvSE_
    .private_segment_fixed_size: 0
    .sgpr_count:     4
    .sgpr_spill_count: 0
    .symbol:         _ZN7rocprim17ROCPRIM_400000_NS6detail17trampoline_kernelINS0_14default_configENS1_35radix_sort_onesweep_config_selectorIiNS0_10empty_typeEEEZZNS1_29radix_sort_onesweep_iterationIS3_Lb0EPiS8_PS5_S9_mNS0_19identity_decomposerENS1_16block_id_wrapperIjLb0EEEEE10hipError_tT1_PNSt15iterator_traitsISE_E10value_typeET2_T3_PNSF_ISK_E10value_typeET4_T5_PSP_SQ_PNS1_23onesweep_lookback_stateEbbT6_jjT7_P12ihipStream_tbENKUlT_T0_SE_SJ_E_clIS8_S8_S9_S9_EEDaSX_SY_SE_SJ_EUlSX_E_NS1_11comp_targetILNS1_3genE8ELNS1_11target_archE1030ELNS1_3gpuE2ELNS1_3repE0EEENS1_47radix_sort_onesweep_sort_config_static_selectorELNS0_4arch9wavefront6targetE1EEEvSE_.kd
    .uniform_work_group_size: 1
    .uses_dynamic_stack: false
    .vgpr_count:     0
    .vgpr_spill_count: 0
    .wavefront_size: 64
  - .agpr_count:     0
    .args:
      - .offset:         0
        .size:           48
        .value_kind:     by_value
    .group_segment_fixed_size: 0
    .kernarg_segment_align: 8
    .kernarg_segment_size: 48
    .language:       OpenCL C
    .language_version:
      - 2
      - 0
    .max_flat_workgroup_size: 256
    .name:           _ZN7rocprim17ROCPRIM_400000_NS6detail17trampoline_kernelINS0_13kernel_configILj256ELj4ELj4294967295EEENS1_37radix_sort_block_sort_config_selectorIjNS0_10empty_typeEEEZNS1_21radix_sort_block_sortIS4_Lb0EPjS9_PS6_SA_NS0_19identity_decomposerEEE10hipError_tT1_T2_T3_T4_jRjT5_jjP12ihipStream_tbEUlT_E_NS1_11comp_targetILNS1_3genE0ELNS1_11target_archE4294967295ELNS1_3gpuE0ELNS1_3repE0EEENS1_44radix_sort_block_sort_config_static_selectorELNS0_4arch9wavefront6targetE1EEEvSD_
    .private_segment_fixed_size: 0
    .sgpr_count:     4
    .sgpr_spill_count: 0
    .symbol:         _ZN7rocprim17ROCPRIM_400000_NS6detail17trampoline_kernelINS0_13kernel_configILj256ELj4ELj4294967295EEENS1_37radix_sort_block_sort_config_selectorIjNS0_10empty_typeEEEZNS1_21radix_sort_block_sortIS4_Lb0EPjS9_PS6_SA_NS0_19identity_decomposerEEE10hipError_tT1_T2_T3_T4_jRjT5_jjP12ihipStream_tbEUlT_E_NS1_11comp_targetILNS1_3genE0ELNS1_11target_archE4294967295ELNS1_3gpuE0ELNS1_3repE0EEENS1_44radix_sort_block_sort_config_static_selectorELNS0_4arch9wavefront6targetE1EEEvSD_.kd
    .uniform_work_group_size: 1
    .uses_dynamic_stack: false
    .vgpr_count:     0
    .vgpr_spill_count: 0
    .wavefront_size: 64
  - .agpr_count:     0
    .args:
      - .offset:         0
        .size:           48
        .value_kind:     by_value
    .group_segment_fixed_size: 0
    .kernarg_segment_align: 8
    .kernarg_segment_size: 48
    .language:       OpenCL C
    .language_version:
      - 2
      - 0
    .max_flat_workgroup_size: 256
    .name:           _ZN7rocprim17ROCPRIM_400000_NS6detail17trampoline_kernelINS0_13kernel_configILj256ELj4ELj4294967295EEENS1_37radix_sort_block_sort_config_selectorIjNS0_10empty_typeEEEZNS1_21radix_sort_block_sortIS4_Lb0EPjS9_PS6_SA_NS0_19identity_decomposerEEE10hipError_tT1_T2_T3_T4_jRjT5_jjP12ihipStream_tbEUlT_E_NS1_11comp_targetILNS1_3genE5ELNS1_11target_archE942ELNS1_3gpuE9ELNS1_3repE0EEENS1_44radix_sort_block_sort_config_static_selectorELNS0_4arch9wavefront6targetE1EEEvSD_
    .private_segment_fixed_size: 0
    .sgpr_count:     4
    .sgpr_spill_count: 0
    .symbol:         _ZN7rocprim17ROCPRIM_400000_NS6detail17trampoline_kernelINS0_13kernel_configILj256ELj4ELj4294967295EEENS1_37radix_sort_block_sort_config_selectorIjNS0_10empty_typeEEEZNS1_21radix_sort_block_sortIS4_Lb0EPjS9_PS6_SA_NS0_19identity_decomposerEEE10hipError_tT1_T2_T3_T4_jRjT5_jjP12ihipStream_tbEUlT_E_NS1_11comp_targetILNS1_3genE5ELNS1_11target_archE942ELNS1_3gpuE9ELNS1_3repE0EEENS1_44radix_sort_block_sort_config_static_selectorELNS0_4arch9wavefront6targetE1EEEvSD_.kd
    .uniform_work_group_size: 1
    .uses_dynamic_stack: false
    .vgpr_count:     0
    .vgpr_spill_count: 0
    .wavefront_size: 64
  - .agpr_count:     0
    .args:
      - .offset:         0
        .size:           48
        .value_kind:     by_value
      - .offset:         48
        .size:           4
        .value_kind:     hidden_block_count_x
      - .offset:         52
        .size:           4
        .value_kind:     hidden_block_count_y
      - .offset:         56
        .size:           4
        .value_kind:     hidden_block_count_z
      - .offset:         60
        .size:           2
        .value_kind:     hidden_group_size_x
      - .offset:         62
        .size:           2
        .value_kind:     hidden_group_size_y
      - .offset:         64
        .size:           2
        .value_kind:     hidden_group_size_z
      - .offset:         66
        .size:           2
        .value_kind:     hidden_remainder_x
      - .offset:         68
        .size:           2
        .value_kind:     hidden_remainder_y
      - .offset:         70
        .size:           2
        .value_kind:     hidden_remainder_z
      - .offset:         88
        .size:           8
        .value_kind:     hidden_global_offset_x
      - .offset:         96
        .size:           8
        .value_kind:     hidden_global_offset_y
      - .offset:         104
        .size:           8
        .value_kind:     hidden_global_offset_z
      - .offset:         112
        .size:           2
        .value_kind:     hidden_grid_dims
    .group_segment_fixed_size: 4112
    .kernarg_segment_align: 8
    .kernarg_segment_size: 304
    .language:       OpenCL C
    .language_version:
      - 2
      - 0
    .max_flat_workgroup_size: 256
    .name:           _ZN7rocprim17ROCPRIM_400000_NS6detail17trampoline_kernelINS0_13kernel_configILj256ELj4ELj4294967295EEENS1_37radix_sort_block_sort_config_selectorIjNS0_10empty_typeEEEZNS1_21radix_sort_block_sortIS4_Lb0EPjS9_PS6_SA_NS0_19identity_decomposerEEE10hipError_tT1_T2_T3_T4_jRjT5_jjP12ihipStream_tbEUlT_E_NS1_11comp_targetILNS1_3genE4ELNS1_11target_archE910ELNS1_3gpuE8ELNS1_3repE0EEENS1_44radix_sort_block_sort_config_static_selectorELNS0_4arch9wavefront6targetE1EEEvSD_
    .private_segment_fixed_size: 0
    .sgpr_count:     48
    .sgpr_spill_count: 0
    .symbol:         _ZN7rocprim17ROCPRIM_400000_NS6detail17trampoline_kernelINS0_13kernel_configILj256ELj4ELj4294967295EEENS1_37radix_sort_block_sort_config_selectorIjNS0_10empty_typeEEEZNS1_21radix_sort_block_sortIS4_Lb0EPjS9_PS6_SA_NS0_19identity_decomposerEEE10hipError_tT1_T2_T3_T4_jRjT5_jjP12ihipStream_tbEUlT_E_NS1_11comp_targetILNS1_3genE4ELNS1_11target_archE910ELNS1_3gpuE8ELNS1_3repE0EEENS1_44radix_sort_block_sort_config_static_selectorELNS0_4arch9wavefront6targetE1EEEvSD_.kd
    .uniform_work_group_size: 1
    .uses_dynamic_stack: false
    .vgpr_count:     39
    .vgpr_spill_count: 0
    .wavefront_size: 64
  - .agpr_count:     0
    .args:
      - .offset:         0
        .size:           48
        .value_kind:     by_value
    .group_segment_fixed_size: 0
    .kernarg_segment_align: 8
    .kernarg_segment_size: 48
    .language:       OpenCL C
    .language_version:
      - 2
      - 0
    .max_flat_workgroup_size: 256
    .name:           _ZN7rocprim17ROCPRIM_400000_NS6detail17trampoline_kernelINS0_13kernel_configILj256ELj4ELj4294967295EEENS1_37radix_sort_block_sort_config_selectorIjNS0_10empty_typeEEEZNS1_21radix_sort_block_sortIS4_Lb0EPjS9_PS6_SA_NS0_19identity_decomposerEEE10hipError_tT1_T2_T3_T4_jRjT5_jjP12ihipStream_tbEUlT_E_NS1_11comp_targetILNS1_3genE3ELNS1_11target_archE908ELNS1_3gpuE7ELNS1_3repE0EEENS1_44radix_sort_block_sort_config_static_selectorELNS0_4arch9wavefront6targetE1EEEvSD_
    .private_segment_fixed_size: 0
    .sgpr_count:     4
    .sgpr_spill_count: 0
    .symbol:         _ZN7rocprim17ROCPRIM_400000_NS6detail17trampoline_kernelINS0_13kernel_configILj256ELj4ELj4294967295EEENS1_37radix_sort_block_sort_config_selectorIjNS0_10empty_typeEEEZNS1_21radix_sort_block_sortIS4_Lb0EPjS9_PS6_SA_NS0_19identity_decomposerEEE10hipError_tT1_T2_T3_T4_jRjT5_jjP12ihipStream_tbEUlT_E_NS1_11comp_targetILNS1_3genE3ELNS1_11target_archE908ELNS1_3gpuE7ELNS1_3repE0EEENS1_44radix_sort_block_sort_config_static_selectorELNS0_4arch9wavefront6targetE1EEEvSD_.kd
    .uniform_work_group_size: 1
    .uses_dynamic_stack: false
    .vgpr_count:     0
    .vgpr_spill_count: 0
    .wavefront_size: 64
  - .agpr_count:     0
    .args:
      - .offset:         0
        .size:           48
        .value_kind:     by_value
    .group_segment_fixed_size: 0
    .kernarg_segment_align: 8
    .kernarg_segment_size: 48
    .language:       OpenCL C
    .language_version:
      - 2
      - 0
    .max_flat_workgroup_size: 256
    .name:           _ZN7rocprim17ROCPRIM_400000_NS6detail17trampoline_kernelINS0_13kernel_configILj256ELj4ELj4294967295EEENS1_37radix_sort_block_sort_config_selectorIjNS0_10empty_typeEEEZNS1_21radix_sort_block_sortIS4_Lb0EPjS9_PS6_SA_NS0_19identity_decomposerEEE10hipError_tT1_T2_T3_T4_jRjT5_jjP12ihipStream_tbEUlT_E_NS1_11comp_targetILNS1_3genE2ELNS1_11target_archE906ELNS1_3gpuE6ELNS1_3repE0EEENS1_44radix_sort_block_sort_config_static_selectorELNS0_4arch9wavefront6targetE1EEEvSD_
    .private_segment_fixed_size: 0
    .sgpr_count:     4
    .sgpr_spill_count: 0
    .symbol:         _ZN7rocprim17ROCPRIM_400000_NS6detail17trampoline_kernelINS0_13kernel_configILj256ELj4ELj4294967295EEENS1_37radix_sort_block_sort_config_selectorIjNS0_10empty_typeEEEZNS1_21radix_sort_block_sortIS4_Lb0EPjS9_PS6_SA_NS0_19identity_decomposerEEE10hipError_tT1_T2_T3_T4_jRjT5_jjP12ihipStream_tbEUlT_E_NS1_11comp_targetILNS1_3genE2ELNS1_11target_archE906ELNS1_3gpuE6ELNS1_3repE0EEENS1_44radix_sort_block_sort_config_static_selectorELNS0_4arch9wavefront6targetE1EEEvSD_.kd
    .uniform_work_group_size: 1
    .uses_dynamic_stack: false
    .vgpr_count:     0
    .vgpr_spill_count: 0
    .wavefront_size: 64
  - .agpr_count:     0
    .args:
      - .offset:         0
        .size:           48
        .value_kind:     by_value
    .group_segment_fixed_size: 0
    .kernarg_segment_align: 8
    .kernarg_segment_size: 48
    .language:       OpenCL C
    .language_version:
      - 2
      - 0
    .max_flat_workgroup_size: 256
    .name:           _ZN7rocprim17ROCPRIM_400000_NS6detail17trampoline_kernelINS0_13kernel_configILj256ELj4ELj4294967295EEENS1_37radix_sort_block_sort_config_selectorIjNS0_10empty_typeEEEZNS1_21radix_sort_block_sortIS4_Lb0EPjS9_PS6_SA_NS0_19identity_decomposerEEE10hipError_tT1_T2_T3_T4_jRjT5_jjP12ihipStream_tbEUlT_E_NS1_11comp_targetILNS1_3genE10ELNS1_11target_archE1201ELNS1_3gpuE5ELNS1_3repE0EEENS1_44radix_sort_block_sort_config_static_selectorELNS0_4arch9wavefront6targetE1EEEvSD_
    .private_segment_fixed_size: 0
    .sgpr_count:     4
    .sgpr_spill_count: 0
    .symbol:         _ZN7rocprim17ROCPRIM_400000_NS6detail17trampoline_kernelINS0_13kernel_configILj256ELj4ELj4294967295EEENS1_37radix_sort_block_sort_config_selectorIjNS0_10empty_typeEEEZNS1_21radix_sort_block_sortIS4_Lb0EPjS9_PS6_SA_NS0_19identity_decomposerEEE10hipError_tT1_T2_T3_T4_jRjT5_jjP12ihipStream_tbEUlT_E_NS1_11comp_targetILNS1_3genE10ELNS1_11target_archE1201ELNS1_3gpuE5ELNS1_3repE0EEENS1_44radix_sort_block_sort_config_static_selectorELNS0_4arch9wavefront6targetE1EEEvSD_.kd
    .uniform_work_group_size: 1
    .uses_dynamic_stack: false
    .vgpr_count:     0
    .vgpr_spill_count: 0
    .wavefront_size: 64
  - .agpr_count:     0
    .args:
      - .offset:         0
        .size:           48
        .value_kind:     by_value
    .group_segment_fixed_size: 0
    .kernarg_segment_align: 8
    .kernarg_segment_size: 48
    .language:       OpenCL C
    .language_version:
      - 2
      - 0
    .max_flat_workgroup_size: 256
    .name:           _ZN7rocprim17ROCPRIM_400000_NS6detail17trampoline_kernelINS0_13kernel_configILj256ELj4ELj4294967295EEENS1_37radix_sort_block_sort_config_selectorIjNS0_10empty_typeEEEZNS1_21radix_sort_block_sortIS4_Lb0EPjS9_PS6_SA_NS0_19identity_decomposerEEE10hipError_tT1_T2_T3_T4_jRjT5_jjP12ihipStream_tbEUlT_E_NS1_11comp_targetILNS1_3genE10ELNS1_11target_archE1200ELNS1_3gpuE4ELNS1_3repE0EEENS1_44radix_sort_block_sort_config_static_selectorELNS0_4arch9wavefront6targetE1EEEvSD_
    .private_segment_fixed_size: 0
    .sgpr_count:     4
    .sgpr_spill_count: 0
    .symbol:         _ZN7rocprim17ROCPRIM_400000_NS6detail17trampoline_kernelINS0_13kernel_configILj256ELj4ELj4294967295EEENS1_37radix_sort_block_sort_config_selectorIjNS0_10empty_typeEEEZNS1_21radix_sort_block_sortIS4_Lb0EPjS9_PS6_SA_NS0_19identity_decomposerEEE10hipError_tT1_T2_T3_T4_jRjT5_jjP12ihipStream_tbEUlT_E_NS1_11comp_targetILNS1_3genE10ELNS1_11target_archE1200ELNS1_3gpuE4ELNS1_3repE0EEENS1_44radix_sort_block_sort_config_static_selectorELNS0_4arch9wavefront6targetE1EEEvSD_.kd
    .uniform_work_group_size: 1
    .uses_dynamic_stack: false
    .vgpr_count:     0
    .vgpr_spill_count: 0
    .wavefront_size: 64
  - .agpr_count:     0
    .args:
      - .offset:         0
        .size:           48
        .value_kind:     by_value
    .group_segment_fixed_size: 0
    .kernarg_segment_align: 8
    .kernarg_segment_size: 48
    .language:       OpenCL C
    .language_version:
      - 2
      - 0
    .max_flat_workgroup_size: 256
    .name:           _ZN7rocprim17ROCPRIM_400000_NS6detail17trampoline_kernelINS0_13kernel_configILj256ELj4ELj4294967295EEENS1_37radix_sort_block_sort_config_selectorIjNS0_10empty_typeEEEZNS1_21radix_sort_block_sortIS4_Lb0EPjS9_PS6_SA_NS0_19identity_decomposerEEE10hipError_tT1_T2_T3_T4_jRjT5_jjP12ihipStream_tbEUlT_E_NS1_11comp_targetILNS1_3genE9ELNS1_11target_archE1100ELNS1_3gpuE3ELNS1_3repE0EEENS1_44radix_sort_block_sort_config_static_selectorELNS0_4arch9wavefront6targetE1EEEvSD_
    .private_segment_fixed_size: 0
    .sgpr_count:     4
    .sgpr_spill_count: 0
    .symbol:         _ZN7rocprim17ROCPRIM_400000_NS6detail17trampoline_kernelINS0_13kernel_configILj256ELj4ELj4294967295EEENS1_37radix_sort_block_sort_config_selectorIjNS0_10empty_typeEEEZNS1_21radix_sort_block_sortIS4_Lb0EPjS9_PS6_SA_NS0_19identity_decomposerEEE10hipError_tT1_T2_T3_T4_jRjT5_jjP12ihipStream_tbEUlT_E_NS1_11comp_targetILNS1_3genE9ELNS1_11target_archE1100ELNS1_3gpuE3ELNS1_3repE0EEENS1_44radix_sort_block_sort_config_static_selectorELNS0_4arch9wavefront6targetE1EEEvSD_.kd
    .uniform_work_group_size: 1
    .uses_dynamic_stack: false
    .vgpr_count:     0
    .vgpr_spill_count: 0
    .wavefront_size: 64
  - .agpr_count:     0
    .args:
      - .offset:         0
        .size:           48
        .value_kind:     by_value
    .group_segment_fixed_size: 0
    .kernarg_segment_align: 8
    .kernarg_segment_size: 48
    .language:       OpenCL C
    .language_version:
      - 2
      - 0
    .max_flat_workgroup_size: 256
    .name:           _ZN7rocprim17ROCPRIM_400000_NS6detail17trampoline_kernelINS0_13kernel_configILj256ELj4ELj4294967295EEENS1_37radix_sort_block_sort_config_selectorIjNS0_10empty_typeEEEZNS1_21radix_sort_block_sortIS4_Lb0EPjS9_PS6_SA_NS0_19identity_decomposerEEE10hipError_tT1_T2_T3_T4_jRjT5_jjP12ihipStream_tbEUlT_E_NS1_11comp_targetILNS1_3genE8ELNS1_11target_archE1030ELNS1_3gpuE2ELNS1_3repE0EEENS1_44radix_sort_block_sort_config_static_selectorELNS0_4arch9wavefront6targetE1EEEvSD_
    .private_segment_fixed_size: 0
    .sgpr_count:     4
    .sgpr_spill_count: 0
    .symbol:         _ZN7rocprim17ROCPRIM_400000_NS6detail17trampoline_kernelINS0_13kernel_configILj256ELj4ELj4294967295EEENS1_37radix_sort_block_sort_config_selectorIjNS0_10empty_typeEEEZNS1_21radix_sort_block_sortIS4_Lb0EPjS9_PS6_SA_NS0_19identity_decomposerEEE10hipError_tT1_T2_T3_T4_jRjT5_jjP12ihipStream_tbEUlT_E_NS1_11comp_targetILNS1_3genE8ELNS1_11target_archE1030ELNS1_3gpuE2ELNS1_3repE0EEENS1_44radix_sort_block_sort_config_static_selectorELNS0_4arch9wavefront6targetE1EEEvSD_.kd
    .uniform_work_group_size: 1
    .uses_dynamic_stack: false
    .vgpr_count:     0
    .vgpr_spill_count: 0
    .wavefront_size: 64
  - .agpr_count:     0
    .args:           []
    .group_segment_fixed_size: 0
    .kernarg_segment_align: 4
    .kernarg_segment_size: 0
    .language:       OpenCL C
    .language_version:
      - 2
      - 0
    .max_flat_workgroup_size: 1024
    .name:           _ZN7rocprim17ROCPRIM_400000_NS6detail44device_merge_sort_compile_time_verifier_archINS1_11comp_targetILNS1_3genE0ELNS1_11target_archE4294967295ELNS1_3gpuE0ELNS1_3repE0EEES8_NS1_28merge_sort_block_sort_configILj256ELj4ELNS0_20block_sort_algorithmE0EEENS0_14default_configENS1_37merge_sort_block_sort_config_selectorIjNS0_10empty_typeEEENS1_38merge_sort_block_merge_config_selectorIjSE_EEEEvv
    .private_segment_fixed_size: 0
    .sgpr_count:     4
    .sgpr_spill_count: 0
    .symbol:         _ZN7rocprim17ROCPRIM_400000_NS6detail44device_merge_sort_compile_time_verifier_archINS1_11comp_targetILNS1_3genE0ELNS1_11target_archE4294967295ELNS1_3gpuE0ELNS1_3repE0EEES8_NS1_28merge_sort_block_sort_configILj256ELj4ELNS0_20block_sort_algorithmE0EEENS0_14default_configENS1_37merge_sort_block_sort_config_selectorIjNS0_10empty_typeEEENS1_38merge_sort_block_merge_config_selectorIjSE_EEEEvv.kd
    .uniform_work_group_size: 1
    .uses_dynamic_stack: false
    .vgpr_count:     0
    .vgpr_spill_count: 0
    .wavefront_size: 64
  - .agpr_count:     0
    .args:           []
    .group_segment_fixed_size: 0
    .kernarg_segment_align: 4
    .kernarg_segment_size: 0
    .language:       OpenCL C
    .language_version:
      - 2
      - 0
    .max_flat_workgroup_size: 1024
    .name:           _ZN7rocprim17ROCPRIM_400000_NS6detail44device_merge_sort_compile_time_verifier_archINS1_11comp_targetILNS1_3genE5ELNS1_11target_archE942ELNS1_3gpuE9ELNS1_3repE0EEES8_NS1_28merge_sort_block_sort_configILj256ELj4ELNS0_20block_sort_algorithmE0EEENS0_14default_configENS1_37merge_sort_block_sort_config_selectorIjNS0_10empty_typeEEENS1_38merge_sort_block_merge_config_selectorIjSE_EEEEvv
    .private_segment_fixed_size: 0
    .sgpr_count:     4
    .sgpr_spill_count: 0
    .symbol:         _ZN7rocprim17ROCPRIM_400000_NS6detail44device_merge_sort_compile_time_verifier_archINS1_11comp_targetILNS1_3genE5ELNS1_11target_archE942ELNS1_3gpuE9ELNS1_3repE0EEES8_NS1_28merge_sort_block_sort_configILj256ELj4ELNS0_20block_sort_algorithmE0EEENS0_14default_configENS1_37merge_sort_block_sort_config_selectorIjNS0_10empty_typeEEENS1_38merge_sort_block_merge_config_selectorIjSE_EEEEvv.kd
    .uniform_work_group_size: 1
    .uses_dynamic_stack: false
    .vgpr_count:     0
    .vgpr_spill_count: 0
    .wavefront_size: 64
  - .agpr_count:     0
    .args:           []
    .group_segment_fixed_size: 0
    .kernarg_segment_align: 4
    .kernarg_segment_size: 0
    .language:       OpenCL C
    .language_version:
      - 2
      - 0
    .max_flat_workgroup_size: 1024
    .name:           _ZN7rocprim17ROCPRIM_400000_NS6detail44device_merge_sort_compile_time_verifier_archINS1_11comp_targetILNS1_3genE4ELNS1_11target_archE910ELNS1_3gpuE8ELNS1_3repE0EEES8_NS1_28merge_sort_block_sort_configILj256ELj4ELNS0_20block_sort_algorithmE0EEENS0_14default_configENS1_37merge_sort_block_sort_config_selectorIjNS0_10empty_typeEEENS1_38merge_sort_block_merge_config_selectorIjSE_EEEEvv
    .private_segment_fixed_size: 0
    .sgpr_count:     4
    .sgpr_spill_count: 0
    .symbol:         _ZN7rocprim17ROCPRIM_400000_NS6detail44device_merge_sort_compile_time_verifier_archINS1_11comp_targetILNS1_3genE4ELNS1_11target_archE910ELNS1_3gpuE8ELNS1_3repE0EEES8_NS1_28merge_sort_block_sort_configILj256ELj4ELNS0_20block_sort_algorithmE0EEENS0_14default_configENS1_37merge_sort_block_sort_config_selectorIjNS0_10empty_typeEEENS1_38merge_sort_block_merge_config_selectorIjSE_EEEEvv.kd
    .uniform_work_group_size: 1
    .uses_dynamic_stack: false
    .vgpr_count:     0
    .vgpr_spill_count: 0
    .wavefront_size: 64
  - .agpr_count:     0
    .args:           []
    .group_segment_fixed_size: 0
    .kernarg_segment_align: 4
    .kernarg_segment_size: 0
    .language:       OpenCL C
    .language_version:
      - 2
      - 0
    .max_flat_workgroup_size: 1024
    .name:           _ZN7rocprim17ROCPRIM_400000_NS6detail44device_merge_sort_compile_time_verifier_archINS1_11comp_targetILNS1_3genE3ELNS1_11target_archE908ELNS1_3gpuE7ELNS1_3repE0EEES8_NS1_28merge_sort_block_sort_configILj256ELj4ELNS0_20block_sort_algorithmE0EEENS0_14default_configENS1_37merge_sort_block_sort_config_selectorIjNS0_10empty_typeEEENS1_38merge_sort_block_merge_config_selectorIjSE_EEEEvv
    .private_segment_fixed_size: 0
    .sgpr_count:     4
    .sgpr_spill_count: 0
    .symbol:         _ZN7rocprim17ROCPRIM_400000_NS6detail44device_merge_sort_compile_time_verifier_archINS1_11comp_targetILNS1_3genE3ELNS1_11target_archE908ELNS1_3gpuE7ELNS1_3repE0EEES8_NS1_28merge_sort_block_sort_configILj256ELj4ELNS0_20block_sort_algorithmE0EEENS0_14default_configENS1_37merge_sort_block_sort_config_selectorIjNS0_10empty_typeEEENS1_38merge_sort_block_merge_config_selectorIjSE_EEEEvv.kd
    .uniform_work_group_size: 1
    .uses_dynamic_stack: false
    .vgpr_count:     0
    .vgpr_spill_count: 0
    .wavefront_size: 64
  - .agpr_count:     0
    .args:           []
    .group_segment_fixed_size: 0
    .kernarg_segment_align: 4
    .kernarg_segment_size: 0
    .language:       OpenCL C
    .language_version:
      - 2
      - 0
    .max_flat_workgroup_size: 1024
    .name:           _ZN7rocprim17ROCPRIM_400000_NS6detail44device_merge_sort_compile_time_verifier_archINS1_11comp_targetILNS1_3genE2ELNS1_11target_archE906ELNS1_3gpuE6ELNS1_3repE0EEES8_NS1_28merge_sort_block_sort_configILj256ELj4ELNS0_20block_sort_algorithmE0EEENS0_14default_configENS1_37merge_sort_block_sort_config_selectorIjNS0_10empty_typeEEENS1_38merge_sort_block_merge_config_selectorIjSE_EEEEvv
    .private_segment_fixed_size: 0
    .sgpr_count:     4
    .sgpr_spill_count: 0
    .symbol:         _ZN7rocprim17ROCPRIM_400000_NS6detail44device_merge_sort_compile_time_verifier_archINS1_11comp_targetILNS1_3genE2ELNS1_11target_archE906ELNS1_3gpuE6ELNS1_3repE0EEES8_NS1_28merge_sort_block_sort_configILj256ELj4ELNS0_20block_sort_algorithmE0EEENS0_14default_configENS1_37merge_sort_block_sort_config_selectorIjNS0_10empty_typeEEENS1_38merge_sort_block_merge_config_selectorIjSE_EEEEvv.kd
    .uniform_work_group_size: 1
    .uses_dynamic_stack: false
    .vgpr_count:     0
    .vgpr_spill_count: 0
    .wavefront_size: 64
  - .agpr_count:     0
    .args:           []
    .group_segment_fixed_size: 0
    .kernarg_segment_align: 4
    .kernarg_segment_size: 0
    .language:       OpenCL C
    .language_version:
      - 2
      - 0
    .max_flat_workgroup_size: 1024
    .name:           _ZN7rocprim17ROCPRIM_400000_NS6detail44device_merge_sort_compile_time_verifier_archINS1_11comp_targetILNS1_3genE10ELNS1_11target_archE1201ELNS1_3gpuE5ELNS1_3repE0EEES8_NS1_28merge_sort_block_sort_configILj256ELj4ELNS0_20block_sort_algorithmE0EEENS0_14default_configENS1_37merge_sort_block_sort_config_selectorIjNS0_10empty_typeEEENS1_38merge_sort_block_merge_config_selectorIjSE_EEEEvv
    .private_segment_fixed_size: 0
    .sgpr_count:     4
    .sgpr_spill_count: 0
    .symbol:         _ZN7rocprim17ROCPRIM_400000_NS6detail44device_merge_sort_compile_time_verifier_archINS1_11comp_targetILNS1_3genE10ELNS1_11target_archE1201ELNS1_3gpuE5ELNS1_3repE0EEES8_NS1_28merge_sort_block_sort_configILj256ELj4ELNS0_20block_sort_algorithmE0EEENS0_14default_configENS1_37merge_sort_block_sort_config_selectorIjNS0_10empty_typeEEENS1_38merge_sort_block_merge_config_selectorIjSE_EEEEvv.kd
    .uniform_work_group_size: 1
    .uses_dynamic_stack: false
    .vgpr_count:     0
    .vgpr_spill_count: 0
    .wavefront_size: 64
  - .agpr_count:     0
    .args:           []
    .group_segment_fixed_size: 0
    .kernarg_segment_align: 4
    .kernarg_segment_size: 0
    .language:       OpenCL C
    .language_version:
      - 2
      - 0
    .max_flat_workgroup_size: 1024
    .name:           _ZN7rocprim17ROCPRIM_400000_NS6detail44device_merge_sort_compile_time_verifier_archINS1_11comp_targetILNS1_3genE10ELNS1_11target_archE1200ELNS1_3gpuE4ELNS1_3repE0EEENS3_ILS4_10ELS5_1201ELS6_5ELS7_0EEENS1_28merge_sort_block_sort_configILj256ELj4ELNS0_20block_sort_algorithmE0EEENS0_14default_configENS1_37merge_sort_block_sort_config_selectorIjNS0_10empty_typeEEENS1_38merge_sort_block_merge_config_selectorIjSF_EEEEvv
    .private_segment_fixed_size: 0
    .sgpr_count:     4
    .sgpr_spill_count: 0
    .symbol:         _ZN7rocprim17ROCPRIM_400000_NS6detail44device_merge_sort_compile_time_verifier_archINS1_11comp_targetILNS1_3genE10ELNS1_11target_archE1200ELNS1_3gpuE4ELNS1_3repE0EEENS3_ILS4_10ELS5_1201ELS6_5ELS7_0EEENS1_28merge_sort_block_sort_configILj256ELj4ELNS0_20block_sort_algorithmE0EEENS0_14default_configENS1_37merge_sort_block_sort_config_selectorIjNS0_10empty_typeEEENS1_38merge_sort_block_merge_config_selectorIjSF_EEEEvv.kd
    .uniform_work_group_size: 1
    .uses_dynamic_stack: false
    .vgpr_count:     0
    .vgpr_spill_count: 0
    .wavefront_size: 64
  - .agpr_count:     0
    .args:           []
    .group_segment_fixed_size: 0
    .kernarg_segment_align: 4
    .kernarg_segment_size: 0
    .language:       OpenCL C
    .language_version:
      - 2
      - 0
    .max_flat_workgroup_size: 1024
    .name:           _ZN7rocprim17ROCPRIM_400000_NS6detail44device_merge_sort_compile_time_verifier_archINS1_11comp_targetILNS1_3genE9ELNS1_11target_archE1100ELNS1_3gpuE3ELNS1_3repE0EEES8_NS1_28merge_sort_block_sort_configILj256ELj4ELNS0_20block_sort_algorithmE0EEENS0_14default_configENS1_37merge_sort_block_sort_config_selectorIjNS0_10empty_typeEEENS1_38merge_sort_block_merge_config_selectorIjSE_EEEEvv
    .private_segment_fixed_size: 0
    .sgpr_count:     4
    .sgpr_spill_count: 0
    .symbol:         _ZN7rocprim17ROCPRIM_400000_NS6detail44device_merge_sort_compile_time_verifier_archINS1_11comp_targetILNS1_3genE9ELNS1_11target_archE1100ELNS1_3gpuE3ELNS1_3repE0EEES8_NS1_28merge_sort_block_sort_configILj256ELj4ELNS0_20block_sort_algorithmE0EEENS0_14default_configENS1_37merge_sort_block_sort_config_selectorIjNS0_10empty_typeEEENS1_38merge_sort_block_merge_config_selectorIjSE_EEEEvv.kd
    .uniform_work_group_size: 1
    .uses_dynamic_stack: false
    .vgpr_count:     0
    .vgpr_spill_count: 0
    .wavefront_size: 64
  - .agpr_count:     0
    .args:           []
    .group_segment_fixed_size: 0
    .kernarg_segment_align: 4
    .kernarg_segment_size: 0
    .language:       OpenCL C
    .language_version:
      - 2
      - 0
    .max_flat_workgroup_size: 1024
    .name:           _ZN7rocprim17ROCPRIM_400000_NS6detail44device_merge_sort_compile_time_verifier_archINS1_11comp_targetILNS1_3genE8ELNS1_11target_archE1030ELNS1_3gpuE2ELNS1_3repE0EEES8_NS1_28merge_sort_block_sort_configILj256ELj4ELNS0_20block_sort_algorithmE0EEENS0_14default_configENS1_37merge_sort_block_sort_config_selectorIjNS0_10empty_typeEEENS1_38merge_sort_block_merge_config_selectorIjSE_EEEEvv
    .private_segment_fixed_size: 0
    .sgpr_count:     4
    .sgpr_spill_count: 0
    .symbol:         _ZN7rocprim17ROCPRIM_400000_NS6detail44device_merge_sort_compile_time_verifier_archINS1_11comp_targetILNS1_3genE8ELNS1_11target_archE1030ELNS1_3gpuE2ELNS1_3repE0EEES8_NS1_28merge_sort_block_sort_configILj256ELj4ELNS0_20block_sort_algorithmE0EEENS0_14default_configENS1_37merge_sort_block_sort_config_selectorIjNS0_10empty_typeEEENS1_38merge_sort_block_merge_config_selectorIjSE_EEEEvv.kd
    .uniform_work_group_size: 1
    .uses_dynamic_stack: false
    .vgpr_count:     0
    .vgpr_spill_count: 0
    .wavefront_size: 64
  - .agpr_count:     0
    .args:
      - .offset:         0
        .size:           40
        .value_kind:     by_value
    .group_segment_fixed_size: 0
    .kernarg_segment_align: 8
    .kernarg_segment_size: 40
    .language:       OpenCL C
    .language_version:
      - 2
      - 0
    .max_flat_workgroup_size: 128
    .name:           _ZN7rocprim17ROCPRIM_400000_NS6detail17trampoline_kernelINS0_14default_configENS1_38merge_sort_block_merge_config_selectorIjNS0_10empty_typeEEEZZNS1_27merge_sort_block_merge_implIS3_PjPS5_jNS1_19radix_merge_compareILb0ELb0EjNS0_19identity_decomposerEEEEE10hipError_tT0_T1_T2_jT3_P12ihipStream_tbPNSt15iterator_traitsISE_E10value_typeEPNSK_ISF_E10value_typeEPSG_NS1_7vsmem_tEENKUlT_SE_SF_SG_E_clIS8_S8_S9_S9_EESD_ST_SE_SF_SG_EUlST_E_NS1_11comp_targetILNS1_3genE0ELNS1_11target_archE4294967295ELNS1_3gpuE0ELNS1_3repE0EEENS1_48merge_mergepath_partition_config_static_selectorELNS0_4arch9wavefront6targetE1EEEvSF_
    .private_segment_fixed_size: 0
    .sgpr_count:     4
    .sgpr_spill_count: 0
    .symbol:         _ZN7rocprim17ROCPRIM_400000_NS6detail17trampoline_kernelINS0_14default_configENS1_38merge_sort_block_merge_config_selectorIjNS0_10empty_typeEEEZZNS1_27merge_sort_block_merge_implIS3_PjPS5_jNS1_19radix_merge_compareILb0ELb0EjNS0_19identity_decomposerEEEEE10hipError_tT0_T1_T2_jT3_P12ihipStream_tbPNSt15iterator_traitsISE_E10value_typeEPNSK_ISF_E10value_typeEPSG_NS1_7vsmem_tEENKUlT_SE_SF_SG_E_clIS8_S8_S9_S9_EESD_ST_SE_SF_SG_EUlST_E_NS1_11comp_targetILNS1_3genE0ELNS1_11target_archE4294967295ELNS1_3gpuE0ELNS1_3repE0EEENS1_48merge_mergepath_partition_config_static_selectorELNS0_4arch9wavefront6targetE1EEEvSF_.kd
    .uniform_work_group_size: 1
    .uses_dynamic_stack: false
    .vgpr_count:     0
    .vgpr_spill_count: 0
    .wavefront_size: 64
  - .agpr_count:     0
    .args:
      - .offset:         0
        .size:           40
        .value_kind:     by_value
    .group_segment_fixed_size: 0
    .kernarg_segment_align: 8
    .kernarg_segment_size: 40
    .language:       OpenCL C
    .language_version:
      - 2
      - 0
    .max_flat_workgroup_size: 128
    .name:           _ZN7rocprim17ROCPRIM_400000_NS6detail17trampoline_kernelINS0_14default_configENS1_38merge_sort_block_merge_config_selectorIjNS0_10empty_typeEEEZZNS1_27merge_sort_block_merge_implIS3_PjPS5_jNS1_19radix_merge_compareILb0ELb0EjNS0_19identity_decomposerEEEEE10hipError_tT0_T1_T2_jT3_P12ihipStream_tbPNSt15iterator_traitsISE_E10value_typeEPNSK_ISF_E10value_typeEPSG_NS1_7vsmem_tEENKUlT_SE_SF_SG_E_clIS8_S8_S9_S9_EESD_ST_SE_SF_SG_EUlST_E_NS1_11comp_targetILNS1_3genE10ELNS1_11target_archE1201ELNS1_3gpuE5ELNS1_3repE0EEENS1_48merge_mergepath_partition_config_static_selectorELNS0_4arch9wavefront6targetE1EEEvSF_
    .private_segment_fixed_size: 0
    .sgpr_count:     4
    .sgpr_spill_count: 0
    .symbol:         _ZN7rocprim17ROCPRIM_400000_NS6detail17trampoline_kernelINS0_14default_configENS1_38merge_sort_block_merge_config_selectorIjNS0_10empty_typeEEEZZNS1_27merge_sort_block_merge_implIS3_PjPS5_jNS1_19radix_merge_compareILb0ELb0EjNS0_19identity_decomposerEEEEE10hipError_tT0_T1_T2_jT3_P12ihipStream_tbPNSt15iterator_traitsISE_E10value_typeEPNSK_ISF_E10value_typeEPSG_NS1_7vsmem_tEENKUlT_SE_SF_SG_E_clIS8_S8_S9_S9_EESD_ST_SE_SF_SG_EUlST_E_NS1_11comp_targetILNS1_3genE10ELNS1_11target_archE1201ELNS1_3gpuE5ELNS1_3repE0EEENS1_48merge_mergepath_partition_config_static_selectorELNS0_4arch9wavefront6targetE1EEEvSF_.kd
    .uniform_work_group_size: 1
    .uses_dynamic_stack: false
    .vgpr_count:     0
    .vgpr_spill_count: 0
    .wavefront_size: 64
  - .agpr_count:     0
    .args:
      - .offset:         0
        .size:           40
        .value_kind:     by_value
    .group_segment_fixed_size: 0
    .kernarg_segment_align: 8
    .kernarg_segment_size: 40
    .language:       OpenCL C
    .language_version:
      - 2
      - 0
    .max_flat_workgroup_size: 128
    .name:           _ZN7rocprim17ROCPRIM_400000_NS6detail17trampoline_kernelINS0_14default_configENS1_38merge_sort_block_merge_config_selectorIjNS0_10empty_typeEEEZZNS1_27merge_sort_block_merge_implIS3_PjPS5_jNS1_19radix_merge_compareILb0ELb0EjNS0_19identity_decomposerEEEEE10hipError_tT0_T1_T2_jT3_P12ihipStream_tbPNSt15iterator_traitsISE_E10value_typeEPNSK_ISF_E10value_typeEPSG_NS1_7vsmem_tEENKUlT_SE_SF_SG_E_clIS8_S8_S9_S9_EESD_ST_SE_SF_SG_EUlST_E_NS1_11comp_targetILNS1_3genE5ELNS1_11target_archE942ELNS1_3gpuE9ELNS1_3repE0EEENS1_48merge_mergepath_partition_config_static_selectorELNS0_4arch9wavefront6targetE1EEEvSF_
    .private_segment_fixed_size: 0
    .sgpr_count:     4
    .sgpr_spill_count: 0
    .symbol:         _ZN7rocprim17ROCPRIM_400000_NS6detail17trampoline_kernelINS0_14default_configENS1_38merge_sort_block_merge_config_selectorIjNS0_10empty_typeEEEZZNS1_27merge_sort_block_merge_implIS3_PjPS5_jNS1_19radix_merge_compareILb0ELb0EjNS0_19identity_decomposerEEEEE10hipError_tT0_T1_T2_jT3_P12ihipStream_tbPNSt15iterator_traitsISE_E10value_typeEPNSK_ISF_E10value_typeEPSG_NS1_7vsmem_tEENKUlT_SE_SF_SG_E_clIS8_S8_S9_S9_EESD_ST_SE_SF_SG_EUlST_E_NS1_11comp_targetILNS1_3genE5ELNS1_11target_archE942ELNS1_3gpuE9ELNS1_3repE0EEENS1_48merge_mergepath_partition_config_static_selectorELNS0_4arch9wavefront6targetE1EEEvSF_.kd
    .uniform_work_group_size: 1
    .uses_dynamic_stack: false
    .vgpr_count:     0
    .vgpr_spill_count: 0
    .wavefront_size: 64
  - .agpr_count:     0
    .args:
      - .offset:         0
        .size:           40
        .value_kind:     by_value
    .group_segment_fixed_size: 0
    .kernarg_segment_align: 8
    .kernarg_segment_size: 40
    .language:       OpenCL C
    .language_version:
      - 2
      - 0
    .max_flat_workgroup_size: 128
    .name:           _ZN7rocprim17ROCPRIM_400000_NS6detail17trampoline_kernelINS0_14default_configENS1_38merge_sort_block_merge_config_selectorIjNS0_10empty_typeEEEZZNS1_27merge_sort_block_merge_implIS3_PjPS5_jNS1_19radix_merge_compareILb0ELb0EjNS0_19identity_decomposerEEEEE10hipError_tT0_T1_T2_jT3_P12ihipStream_tbPNSt15iterator_traitsISE_E10value_typeEPNSK_ISF_E10value_typeEPSG_NS1_7vsmem_tEENKUlT_SE_SF_SG_E_clIS8_S8_S9_S9_EESD_ST_SE_SF_SG_EUlST_E_NS1_11comp_targetILNS1_3genE4ELNS1_11target_archE910ELNS1_3gpuE8ELNS1_3repE0EEENS1_48merge_mergepath_partition_config_static_selectorELNS0_4arch9wavefront6targetE1EEEvSF_
    .private_segment_fixed_size: 0
    .sgpr_count:     12
    .sgpr_spill_count: 0
    .symbol:         _ZN7rocprim17ROCPRIM_400000_NS6detail17trampoline_kernelINS0_14default_configENS1_38merge_sort_block_merge_config_selectorIjNS0_10empty_typeEEEZZNS1_27merge_sort_block_merge_implIS3_PjPS5_jNS1_19radix_merge_compareILb0ELb0EjNS0_19identity_decomposerEEEEE10hipError_tT0_T1_T2_jT3_P12ihipStream_tbPNSt15iterator_traitsISE_E10value_typeEPNSK_ISF_E10value_typeEPSG_NS1_7vsmem_tEENKUlT_SE_SF_SG_E_clIS8_S8_S9_S9_EESD_ST_SE_SF_SG_EUlST_E_NS1_11comp_targetILNS1_3genE4ELNS1_11target_archE910ELNS1_3gpuE8ELNS1_3repE0EEENS1_48merge_mergepath_partition_config_static_selectorELNS0_4arch9wavefront6targetE1EEEvSF_.kd
    .uniform_work_group_size: 1
    .uses_dynamic_stack: false
    .vgpr_count:     17
    .vgpr_spill_count: 0
    .wavefront_size: 64
  - .agpr_count:     0
    .args:
      - .offset:         0
        .size:           40
        .value_kind:     by_value
    .group_segment_fixed_size: 0
    .kernarg_segment_align: 8
    .kernarg_segment_size: 40
    .language:       OpenCL C
    .language_version:
      - 2
      - 0
    .max_flat_workgroup_size: 128
    .name:           _ZN7rocprim17ROCPRIM_400000_NS6detail17trampoline_kernelINS0_14default_configENS1_38merge_sort_block_merge_config_selectorIjNS0_10empty_typeEEEZZNS1_27merge_sort_block_merge_implIS3_PjPS5_jNS1_19radix_merge_compareILb0ELb0EjNS0_19identity_decomposerEEEEE10hipError_tT0_T1_T2_jT3_P12ihipStream_tbPNSt15iterator_traitsISE_E10value_typeEPNSK_ISF_E10value_typeEPSG_NS1_7vsmem_tEENKUlT_SE_SF_SG_E_clIS8_S8_S9_S9_EESD_ST_SE_SF_SG_EUlST_E_NS1_11comp_targetILNS1_3genE3ELNS1_11target_archE908ELNS1_3gpuE7ELNS1_3repE0EEENS1_48merge_mergepath_partition_config_static_selectorELNS0_4arch9wavefront6targetE1EEEvSF_
    .private_segment_fixed_size: 0
    .sgpr_count:     4
    .sgpr_spill_count: 0
    .symbol:         _ZN7rocprim17ROCPRIM_400000_NS6detail17trampoline_kernelINS0_14default_configENS1_38merge_sort_block_merge_config_selectorIjNS0_10empty_typeEEEZZNS1_27merge_sort_block_merge_implIS3_PjPS5_jNS1_19radix_merge_compareILb0ELb0EjNS0_19identity_decomposerEEEEE10hipError_tT0_T1_T2_jT3_P12ihipStream_tbPNSt15iterator_traitsISE_E10value_typeEPNSK_ISF_E10value_typeEPSG_NS1_7vsmem_tEENKUlT_SE_SF_SG_E_clIS8_S8_S9_S9_EESD_ST_SE_SF_SG_EUlST_E_NS1_11comp_targetILNS1_3genE3ELNS1_11target_archE908ELNS1_3gpuE7ELNS1_3repE0EEENS1_48merge_mergepath_partition_config_static_selectorELNS0_4arch9wavefront6targetE1EEEvSF_.kd
    .uniform_work_group_size: 1
    .uses_dynamic_stack: false
    .vgpr_count:     0
    .vgpr_spill_count: 0
    .wavefront_size: 64
  - .agpr_count:     0
    .args:
      - .offset:         0
        .size:           40
        .value_kind:     by_value
    .group_segment_fixed_size: 0
    .kernarg_segment_align: 8
    .kernarg_segment_size: 40
    .language:       OpenCL C
    .language_version:
      - 2
      - 0
    .max_flat_workgroup_size: 128
    .name:           _ZN7rocprim17ROCPRIM_400000_NS6detail17trampoline_kernelINS0_14default_configENS1_38merge_sort_block_merge_config_selectorIjNS0_10empty_typeEEEZZNS1_27merge_sort_block_merge_implIS3_PjPS5_jNS1_19radix_merge_compareILb0ELb0EjNS0_19identity_decomposerEEEEE10hipError_tT0_T1_T2_jT3_P12ihipStream_tbPNSt15iterator_traitsISE_E10value_typeEPNSK_ISF_E10value_typeEPSG_NS1_7vsmem_tEENKUlT_SE_SF_SG_E_clIS8_S8_S9_S9_EESD_ST_SE_SF_SG_EUlST_E_NS1_11comp_targetILNS1_3genE2ELNS1_11target_archE906ELNS1_3gpuE6ELNS1_3repE0EEENS1_48merge_mergepath_partition_config_static_selectorELNS0_4arch9wavefront6targetE1EEEvSF_
    .private_segment_fixed_size: 0
    .sgpr_count:     4
    .sgpr_spill_count: 0
    .symbol:         _ZN7rocprim17ROCPRIM_400000_NS6detail17trampoline_kernelINS0_14default_configENS1_38merge_sort_block_merge_config_selectorIjNS0_10empty_typeEEEZZNS1_27merge_sort_block_merge_implIS3_PjPS5_jNS1_19radix_merge_compareILb0ELb0EjNS0_19identity_decomposerEEEEE10hipError_tT0_T1_T2_jT3_P12ihipStream_tbPNSt15iterator_traitsISE_E10value_typeEPNSK_ISF_E10value_typeEPSG_NS1_7vsmem_tEENKUlT_SE_SF_SG_E_clIS8_S8_S9_S9_EESD_ST_SE_SF_SG_EUlST_E_NS1_11comp_targetILNS1_3genE2ELNS1_11target_archE906ELNS1_3gpuE6ELNS1_3repE0EEENS1_48merge_mergepath_partition_config_static_selectorELNS0_4arch9wavefront6targetE1EEEvSF_.kd
    .uniform_work_group_size: 1
    .uses_dynamic_stack: false
    .vgpr_count:     0
    .vgpr_spill_count: 0
    .wavefront_size: 64
  - .agpr_count:     0
    .args:
      - .offset:         0
        .size:           40
        .value_kind:     by_value
    .group_segment_fixed_size: 0
    .kernarg_segment_align: 8
    .kernarg_segment_size: 40
    .language:       OpenCL C
    .language_version:
      - 2
      - 0
    .max_flat_workgroup_size: 128
    .name:           _ZN7rocprim17ROCPRIM_400000_NS6detail17trampoline_kernelINS0_14default_configENS1_38merge_sort_block_merge_config_selectorIjNS0_10empty_typeEEEZZNS1_27merge_sort_block_merge_implIS3_PjPS5_jNS1_19radix_merge_compareILb0ELb0EjNS0_19identity_decomposerEEEEE10hipError_tT0_T1_T2_jT3_P12ihipStream_tbPNSt15iterator_traitsISE_E10value_typeEPNSK_ISF_E10value_typeEPSG_NS1_7vsmem_tEENKUlT_SE_SF_SG_E_clIS8_S8_S9_S9_EESD_ST_SE_SF_SG_EUlST_E_NS1_11comp_targetILNS1_3genE9ELNS1_11target_archE1100ELNS1_3gpuE3ELNS1_3repE0EEENS1_48merge_mergepath_partition_config_static_selectorELNS0_4arch9wavefront6targetE1EEEvSF_
    .private_segment_fixed_size: 0
    .sgpr_count:     4
    .sgpr_spill_count: 0
    .symbol:         _ZN7rocprim17ROCPRIM_400000_NS6detail17trampoline_kernelINS0_14default_configENS1_38merge_sort_block_merge_config_selectorIjNS0_10empty_typeEEEZZNS1_27merge_sort_block_merge_implIS3_PjPS5_jNS1_19radix_merge_compareILb0ELb0EjNS0_19identity_decomposerEEEEE10hipError_tT0_T1_T2_jT3_P12ihipStream_tbPNSt15iterator_traitsISE_E10value_typeEPNSK_ISF_E10value_typeEPSG_NS1_7vsmem_tEENKUlT_SE_SF_SG_E_clIS8_S8_S9_S9_EESD_ST_SE_SF_SG_EUlST_E_NS1_11comp_targetILNS1_3genE9ELNS1_11target_archE1100ELNS1_3gpuE3ELNS1_3repE0EEENS1_48merge_mergepath_partition_config_static_selectorELNS0_4arch9wavefront6targetE1EEEvSF_.kd
    .uniform_work_group_size: 1
    .uses_dynamic_stack: false
    .vgpr_count:     0
    .vgpr_spill_count: 0
    .wavefront_size: 64
  - .agpr_count:     0
    .args:
      - .offset:         0
        .size:           40
        .value_kind:     by_value
    .group_segment_fixed_size: 0
    .kernarg_segment_align: 8
    .kernarg_segment_size: 40
    .language:       OpenCL C
    .language_version:
      - 2
      - 0
    .max_flat_workgroup_size: 128
    .name:           _ZN7rocprim17ROCPRIM_400000_NS6detail17trampoline_kernelINS0_14default_configENS1_38merge_sort_block_merge_config_selectorIjNS0_10empty_typeEEEZZNS1_27merge_sort_block_merge_implIS3_PjPS5_jNS1_19radix_merge_compareILb0ELb0EjNS0_19identity_decomposerEEEEE10hipError_tT0_T1_T2_jT3_P12ihipStream_tbPNSt15iterator_traitsISE_E10value_typeEPNSK_ISF_E10value_typeEPSG_NS1_7vsmem_tEENKUlT_SE_SF_SG_E_clIS8_S8_S9_S9_EESD_ST_SE_SF_SG_EUlST_E_NS1_11comp_targetILNS1_3genE8ELNS1_11target_archE1030ELNS1_3gpuE2ELNS1_3repE0EEENS1_48merge_mergepath_partition_config_static_selectorELNS0_4arch9wavefront6targetE1EEEvSF_
    .private_segment_fixed_size: 0
    .sgpr_count:     4
    .sgpr_spill_count: 0
    .symbol:         _ZN7rocprim17ROCPRIM_400000_NS6detail17trampoline_kernelINS0_14default_configENS1_38merge_sort_block_merge_config_selectorIjNS0_10empty_typeEEEZZNS1_27merge_sort_block_merge_implIS3_PjPS5_jNS1_19radix_merge_compareILb0ELb0EjNS0_19identity_decomposerEEEEE10hipError_tT0_T1_T2_jT3_P12ihipStream_tbPNSt15iterator_traitsISE_E10value_typeEPNSK_ISF_E10value_typeEPSG_NS1_7vsmem_tEENKUlT_SE_SF_SG_E_clIS8_S8_S9_S9_EESD_ST_SE_SF_SG_EUlST_E_NS1_11comp_targetILNS1_3genE8ELNS1_11target_archE1030ELNS1_3gpuE2ELNS1_3repE0EEENS1_48merge_mergepath_partition_config_static_selectorELNS0_4arch9wavefront6targetE1EEEvSF_.kd
    .uniform_work_group_size: 1
    .uses_dynamic_stack: false
    .vgpr_count:     0
    .vgpr_spill_count: 0
    .wavefront_size: 64
  - .agpr_count:     0
    .args:
      - .offset:         0
        .size:           64
        .value_kind:     by_value
    .group_segment_fixed_size: 0
    .kernarg_segment_align: 8
    .kernarg_segment_size: 64
    .language:       OpenCL C
    .language_version:
      - 2
      - 0
    .max_flat_workgroup_size: 128
    .name:           _ZN7rocprim17ROCPRIM_400000_NS6detail17trampoline_kernelINS0_14default_configENS1_38merge_sort_block_merge_config_selectorIjNS0_10empty_typeEEEZZNS1_27merge_sort_block_merge_implIS3_PjPS5_jNS1_19radix_merge_compareILb0ELb0EjNS0_19identity_decomposerEEEEE10hipError_tT0_T1_T2_jT3_P12ihipStream_tbPNSt15iterator_traitsISE_E10value_typeEPNSK_ISF_E10value_typeEPSG_NS1_7vsmem_tEENKUlT_SE_SF_SG_E_clIS8_S8_S9_S9_EESD_ST_SE_SF_SG_EUlST_E0_NS1_11comp_targetILNS1_3genE0ELNS1_11target_archE4294967295ELNS1_3gpuE0ELNS1_3repE0EEENS1_38merge_mergepath_config_static_selectorELNS0_4arch9wavefront6targetE1EEEvSF_
    .private_segment_fixed_size: 0
    .sgpr_count:     4
    .sgpr_spill_count: 0
    .symbol:         _ZN7rocprim17ROCPRIM_400000_NS6detail17trampoline_kernelINS0_14default_configENS1_38merge_sort_block_merge_config_selectorIjNS0_10empty_typeEEEZZNS1_27merge_sort_block_merge_implIS3_PjPS5_jNS1_19radix_merge_compareILb0ELb0EjNS0_19identity_decomposerEEEEE10hipError_tT0_T1_T2_jT3_P12ihipStream_tbPNSt15iterator_traitsISE_E10value_typeEPNSK_ISF_E10value_typeEPSG_NS1_7vsmem_tEENKUlT_SE_SF_SG_E_clIS8_S8_S9_S9_EESD_ST_SE_SF_SG_EUlST_E0_NS1_11comp_targetILNS1_3genE0ELNS1_11target_archE4294967295ELNS1_3gpuE0ELNS1_3repE0EEENS1_38merge_mergepath_config_static_selectorELNS0_4arch9wavefront6targetE1EEEvSF_.kd
    .uniform_work_group_size: 1
    .uses_dynamic_stack: false
    .vgpr_count:     0
    .vgpr_spill_count: 0
    .wavefront_size: 64
  - .agpr_count:     0
    .args:
      - .offset:         0
        .size:           64
        .value_kind:     by_value
    .group_segment_fixed_size: 0
    .kernarg_segment_align: 8
    .kernarg_segment_size: 64
    .language:       OpenCL C
    .language_version:
      - 2
      - 0
    .max_flat_workgroup_size: 256
    .name:           _ZN7rocprim17ROCPRIM_400000_NS6detail17trampoline_kernelINS0_14default_configENS1_38merge_sort_block_merge_config_selectorIjNS0_10empty_typeEEEZZNS1_27merge_sort_block_merge_implIS3_PjPS5_jNS1_19radix_merge_compareILb0ELb0EjNS0_19identity_decomposerEEEEE10hipError_tT0_T1_T2_jT3_P12ihipStream_tbPNSt15iterator_traitsISE_E10value_typeEPNSK_ISF_E10value_typeEPSG_NS1_7vsmem_tEENKUlT_SE_SF_SG_E_clIS8_S8_S9_S9_EESD_ST_SE_SF_SG_EUlST_E0_NS1_11comp_targetILNS1_3genE10ELNS1_11target_archE1201ELNS1_3gpuE5ELNS1_3repE0EEENS1_38merge_mergepath_config_static_selectorELNS0_4arch9wavefront6targetE1EEEvSF_
    .private_segment_fixed_size: 0
    .sgpr_count:     4
    .sgpr_spill_count: 0
    .symbol:         _ZN7rocprim17ROCPRIM_400000_NS6detail17trampoline_kernelINS0_14default_configENS1_38merge_sort_block_merge_config_selectorIjNS0_10empty_typeEEEZZNS1_27merge_sort_block_merge_implIS3_PjPS5_jNS1_19radix_merge_compareILb0ELb0EjNS0_19identity_decomposerEEEEE10hipError_tT0_T1_T2_jT3_P12ihipStream_tbPNSt15iterator_traitsISE_E10value_typeEPNSK_ISF_E10value_typeEPSG_NS1_7vsmem_tEENKUlT_SE_SF_SG_E_clIS8_S8_S9_S9_EESD_ST_SE_SF_SG_EUlST_E0_NS1_11comp_targetILNS1_3genE10ELNS1_11target_archE1201ELNS1_3gpuE5ELNS1_3repE0EEENS1_38merge_mergepath_config_static_selectorELNS0_4arch9wavefront6targetE1EEEvSF_.kd
    .uniform_work_group_size: 1
    .uses_dynamic_stack: false
    .vgpr_count:     0
    .vgpr_spill_count: 0
    .wavefront_size: 64
  - .agpr_count:     0
    .args:
      - .offset:         0
        .size:           64
        .value_kind:     by_value
    .group_segment_fixed_size: 0
    .kernarg_segment_align: 8
    .kernarg_segment_size: 64
    .language:       OpenCL C
    .language_version:
      - 2
      - 0
    .max_flat_workgroup_size: 128
    .name:           _ZN7rocprim17ROCPRIM_400000_NS6detail17trampoline_kernelINS0_14default_configENS1_38merge_sort_block_merge_config_selectorIjNS0_10empty_typeEEEZZNS1_27merge_sort_block_merge_implIS3_PjPS5_jNS1_19radix_merge_compareILb0ELb0EjNS0_19identity_decomposerEEEEE10hipError_tT0_T1_T2_jT3_P12ihipStream_tbPNSt15iterator_traitsISE_E10value_typeEPNSK_ISF_E10value_typeEPSG_NS1_7vsmem_tEENKUlT_SE_SF_SG_E_clIS8_S8_S9_S9_EESD_ST_SE_SF_SG_EUlST_E0_NS1_11comp_targetILNS1_3genE5ELNS1_11target_archE942ELNS1_3gpuE9ELNS1_3repE0EEENS1_38merge_mergepath_config_static_selectorELNS0_4arch9wavefront6targetE1EEEvSF_
    .private_segment_fixed_size: 0
    .sgpr_count:     4
    .sgpr_spill_count: 0
    .symbol:         _ZN7rocprim17ROCPRIM_400000_NS6detail17trampoline_kernelINS0_14default_configENS1_38merge_sort_block_merge_config_selectorIjNS0_10empty_typeEEEZZNS1_27merge_sort_block_merge_implIS3_PjPS5_jNS1_19radix_merge_compareILb0ELb0EjNS0_19identity_decomposerEEEEE10hipError_tT0_T1_T2_jT3_P12ihipStream_tbPNSt15iterator_traitsISE_E10value_typeEPNSK_ISF_E10value_typeEPSG_NS1_7vsmem_tEENKUlT_SE_SF_SG_E_clIS8_S8_S9_S9_EESD_ST_SE_SF_SG_EUlST_E0_NS1_11comp_targetILNS1_3genE5ELNS1_11target_archE942ELNS1_3gpuE9ELNS1_3repE0EEENS1_38merge_mergepath_config_static_selectorELNS0_4arch9wavefront6targetE1EEEvSF_.kd
    .uniform_work_group_size: 1
    .uses_dynamic_stack: false
    .vgpr_count:     0
    .vgpr_spill_count: 0
    .wavefront_size: 64
  - .agpr_count:     0
    .args:
      - .offset:         0
        .size:           64
        .value_kind:     by_value
      - .offset:         64
        .size:           4
        .value_kind:     hidden_block_count_x
      - .offset:         68
        .size:           4
        .value_kind:     hidden_block_count_y
      - .offset:         72
        .size:           4
        .value_kind:     hidden_block_count_z
      - .offset:         76
        .size:           2
        .value_kind:     hidden_group_size_x
      - .offset:         78
        .size:           2
        .value_kind:     hidden_group_size_y
      - .offset:         80
        .size:           2
        .value_kind:     hidden_group_size_z
      - .offset:         82
        .size:           2
        .value_kind:     hidden_remainder_x
      - .offset:         84
        .size:           2
        .value_kind:     hidden_remainder_y
      - .offset:         86
        .size:           2
        .value_kind:     hidden_remainder_z
      - .offset:         104
        .size:           8
        .value_kind:     hidden_global_offset_x
      - .offset:         112
        .size:           8
        .value_kind:     hidden_global_offset_y
      - .offset:         120
        .size:           8
        .value_kind:     hidden_global_offset_z
      - .offset:         128
        .size:           2
        .value_kind:     hidden_grid_dims
    .group_segment_fixed_size: 4224
    .kernarg_segment_align: 8
    .kernarg_segment_size: 320
    .language:       OpenCL C
    .language_version:
      - 2
      - 0
    .max_flat_workgroup_size: 128
    .name:           _ZN7rocprim17ROCPRIM_400000_NS6detail17trampoline_kernelINS0_14default_configENS1_38merge_sort_block_merge_config_selectorIjNS0_10empty_typeEEEZZNS1_27merge_sort_block_merge_implIS3_PjPS5_jNS1_19radix_merge_compareILb0ELb0EjNS0_19identity_decomposerEEEEE10hipError_tT0_T1_T2_jT3_P12ihipStream_tbPNSt15iterator_traitsISE_E10value_typeEPNSK_ISF_E10value_typeEPSG_NS1_7vsmem_tEENKUlT_SE_SF_SG_E_clIS8_S8_S9_S9_EESD_ST_SE_SF_SG_EUlST_E0_NS1_11comp_targetILNS1_3genE4ELNS1_11target_archE910ELNS1_3gpuE8ELNS1_3repE0EEENS1_38merge_mergepath_config_static_selectorELNS0_4arch9wavefront6targetE1EEEvSF_
    .private_segment_fixed_size: 0
    .sgpr_count:     28
    .sgpr_spill_count: 0
    .symbol:         _ZN7rocprim17ROCPRIM_400000_NS6detail17trampoline_kernelINS0_14default_configENS1_38merge_sort_block_merge_config_selectorIjNS0_10empty_typeEEEZZNS1_27merge_sort_block_merge_implIS3_PjPS5_jNS1_19radix_merge_compareILb0ELb0EjNS0_19identity_decomposerEEEEE10hipError_tT0_T1_T2_jT3_P12ihipStream_tbPNSt15iterator_traitsISE_E10value_typeEPNSK_ISF_E10value_typeEPSG_NS1_7vsmem_tEENKUlT_SE_SF_SG_E_clIS8_S8_S9_S9_EESD_ST_SE_SF_SG_EUlST_E0_NS1_11comp_targetILNS1_3genE4ELNS1_11target_archE910ELNS1_3gpuE8ELNS1_3repE0EEENS1_38merge_mergepath_config_static_selectorELNS0_4arch9wavefront6targetE1EEEvSF_.kd
    .uniform_work_group_size: 1
    .uses_dynamic_stack: false
    .vgpr_count:     26
    .vgpr_spill_count: 0
    .wavefront_size: 64
  - .agpr_count:     0
    .args:
      - .offset:         0
        .size:           64
        .value_kind:     by_value
    .group_segment_fixed_size: 0
    .kernarg_segment_align: 8
    .kernarg_segment_size: 64
    .language:       OpenCL C
    .language_version:
      - 2
      - 0
    .max_flat_workgroup_size: 128
    .name:           _ZN7rocprim17ROCPRIM_400000_NS6detail17trampoline_kernelINS0_14default_configENS1_38merge_sort_block_merge_config_selectorIjNS0_10empty_typeEEEZZNS1_27merge_sort_block_merge_implIS3_PjPS5_jNS1_19radix_merge_compareILb0ELb0EjNS0_19identity_decomposerEEEEE10hipError_tT0_T1_T2_jT3_P12ihipStream_tbPNSt15iterator_traitsISE_E10value_typeEPNSK_ISF_E10value_typeEPSG_NS1_7vsmem_tEENKUlT_SE_SF_SG_E_clIS8_S8_S9_S9_EESD_ST_SE_SF_SG_EUlST_E0_NS1_11comp_targetILNS1_3genE3ELNS1_11target_archE908ELNS1_3gpuE7ELNS1_3repE0EEENS1_38merge_mergepath_config_static_selectorELNS0_4arch9wavefront6targetE1EEEvSF_
    .private_segment_fixed_size: 0
    .sgpr_count:     4
    .sgpr_spill_count: 0
    .symbol:         _ZN7rocprim17ROCPRIM_400000_NS6detail17trampoline_kernelINS0_14default_configENS1_38merge_sort_block_merge_config_selectorIjNS0_10empty_typeEEEZZNS1_27merge_sort_block_merge_implIS3_PjPS5_jNS1_19radix_merge_compareILb0ELb0EjNS0_19identity_decomposerEEEEE10hipError_tT0_T1_T2_jT3_P12ihipStream_tbPNSt15iterator_traitsISE_E10value_typeEPNSK_ISF_E10value_typeEPSG_NS1_7vsmem_tEENKUlT_SE_SF_SG_E_clIS8_S8_S9_S9_EESD_ST_SE_SF_SG_EUlST_E0_NS1_11comp_targetILNS1_3genE3ELNS1_11target_archE908ELNS1_3gpuE7ELNS1_3repE0EEENS1_38merge_mergepath_config_static_selectorELNS0_4arch9wavefront6targetE1EEEvSF_.kd
    .uniform_work_group_size: 1
    .uses_dynamic_stack: false
    .vgpr_count:     0
    .vgpr_spill_count: 0
    .wavefront_size: 64
  - .agpr_count:     0
    .args:
      - .offset:         0
        .size:           64
        .value_kind:     by_value
    .group_segment_fixed_size: 0
    .kernarg_segment_align: 8
    .kernarg_segment_size: 64
    .language:       OpenCL C
    .language_version:
      - 2
      - 0
    .max_flat_workgroup_size: 128
    .name:           _ZN7rocprim17ROCPRIM_400000_NS6detail17trampoline_kernelINS0_14default_configENS1_38merge_sort_block_merge_config_selectorIjNS0_10empty_typeEEEZZNS1_27merge_sort_block_merge_implIS3_PjPS5_jNS1_19radix_merge_compareILb0ELb0EjNS0_19identity_decomposerEEEEE10hipError_tT0_T1_T2_jT3_P12ihipStream_tbPNSt15iterator_traitsISE_E10value_typeEPNSK_ISF_E10value_typeEPSG_NS1_7vsmem_tEENKUlT_SE_SF_SG_E_clIS8_S8_S9_S9_EESD_ST_SE_SF_SG_EUlST_E0_NS1_11comp_targetILNS1_3genE2ELNS1_11target_archE906ELNS1_3gpuE6ELNS1_3repE0EEENS1_38merge_mergepath_config_static_selectorELNS0_4arch9wavefront6targetE1EEEvSF_
    .private_segment_fixed_size: 0
    .sgpr_count:     4
    .sgpr_spill_count: 0
    .symbol:         _ZN7rocprim17ROCPRIM_400000_NS6detail17trampoline_kernelINS0_14default_configENS1_38merge_sort_block_merge_config_selectorIjNS0_10empty_typeEEEZZNS1_27merge_sort_block_merge_implIS3_PjPS5_jNS1_19radix_merge_compareILb0ELb0EjNS0_19identity_decomposerEEEEE10hipError_tT0_T1_T2_jT3_P12ihipStream_tbPNSt15iterator_traitsISE_E10value_typeEPNSK_ISF_E10value_typeEPSG_NS1_7vsmem_tEENKUlT_SE_SF_SG_E_clIS8_S8_S9_S9_EESD_ST_SE_SF_SG_EUlST_E0_NS1_11comp_targetILNS1_3genE2ELNS1_11target_archE906ELNS1_3gpuE6ELNS1_3repE0EEENS1_38merge_mergepath_config_static_selectorELNS0_4arch9wavefront6targetE1EEEvSF_.kd
    .uniform_work_group_size: 1
    .uses_dynamic_stack: false
    .vgpr_count:     0
    .vgpr_spill_count: 0
    .wavefront_size: 64
  - .agpr_count:     0
    .args:
      - .offset:         0
        .size:           64
        .value_kind:     by_value
    .group_segment_fixed_size: 0
    .kernarg_segment_align: 8
    .kernarg_segment_size: 64
    .language:       OpenCL C
    .language_version:
      - 2
      - 0
    .max_flat_workgroup_size: 256
    .name:           _ZN7rocprim17ROCPRIM_400000_NS6detail17trampoline_kernelINS0_14default_configENS1_38merge_sort_block_merge_config_selectorIjNS0_10empty_typeEEEZZNS1_27merge_sort_block_merge_implIS3_PjPS5_jNS1_19radix_merge_compareILb0ELb0EjNS0_19identity_decomposerEEEEE10hipError_tT0_T1_T2_jT3_P12ihipStream_tbPNSt15iterator_traitsISE_E10value_typeEPNSK_ISF_E10value_typeEPSG_NS1_7vsmem_tEENKUlT_SE_SF_SG_E_clIS8_S8_S9_S9_EESD_ST_SE_SF_SG_EUlST_E0_NS1_11comp_targetILNS1_3genE9ELNS1_11target_archE1100ELNS1_3gpuE3ELNS1_3repE0EEENS1_38merge_mergepath_config_static_selectorELNS0_4arch9wavefront6targetE1EEEvSF_
    .private_segment_fixed_size: 0
    .sgpr_count:     4
    .sgpr_spill_count: 0
    .symbol:         _ZN7rocprim17ROCPRIM_400000_NS6detail17trampoline_kernelINS0_14default_configENS1_38merge_sort_block_merge_config_selectorIjNS0_10empty_typeEEEZZNS1_27merge_sort_block_merge_implIS3_PjPS5_jNS1_19radix_merge_compareILb0ELb0EjNS0_19identity_decomposerEEEEE10hipError_tT0_T1_T2_jT3_P12ihipStream_tbPNSt15iterator_traitsISE_E10value_typeEPNSK_ISF_E10value_typeEPSG_NS1_7vsmem_tEENKUlT_SE_SF_SG_E_clIS8_S8_S9_S9_EESD_ST_SE_SF_SG_EUlST_E0_NS1_11comp_targetILNS1_3genE9ELNS1_11target_archE1100ELNS1_3gpuE3ELNS1_3repE0EEENS1_38merge_mergepath_config_static_selectorELNS0_4arch9wavefront6targetE1EEEvSF_.kd
    .uniform_work_group_size: 1
    .uses_dynamic_stack: false
    .vgpr_count:     0
    .vgpr_spill_count: 0
    .wavefront_size: 64
  - .agpr_count:     0
    .args:
      - .offset:         0
        .size:           64
        .value_kind:     by_value
    .group_segment_fixed_size: 0
    .kernarg_segment_align: 8
    .kernarg_segment_size: 64
    .language:       OpenCL C
    .language_version:
      - 2
      - 0
    .max_flat_workgroup_size: 512
    .name:           _ZN7rocprim17ROCPRIM_400000_NS6detail17trampoline_kernelINS0_14default_configENS1_38merge_sort_block_merge_config_selectorIjNS0_10empty_typeEEEZZNS1_27merge_sort_block_merge_implIS3_PjPS5_jNS1_19radix_merge_compareILb0ELb0EjNS0_19identity_decomposerEEEEE10hipError_tT0_T1_T2_jT3_P12ihipStream_tbPNSt15iterator_traitsISE_E10value_typeEPNSK_ISF_E10value_typeEPSG_NS1_7vsmem_tEENKUlT_SE_SF_SG_E_clIS8_S8_S9_S9_EESD_ST_SE_SF_SG_EUlST_E0_NS1_11comp_targetILNS1_3genE8ELNS1_11target_archE1030ELNS1_3gpuE2ELNS1_3repE0EEENS1_38merge_mergepath_config_static_selectorELNS0_4arch9wavefront6targetE1EEEvSF_
    .private_segment_fixed_size: 0
    .sgpr_count:     4
    .sgpr_spill_count: 0
    .symbol:         _ZN7rocprim17ROCPRIM_400000_NS6detail17trampoline_kernelINS0_14default_configENS1_38merge_sort_block_merge_config_selectorIjNS0_10empty_typeEEEZZNS1_27merge_sort_block_merge_implIS3_PjPS5_jNS1_19radix_merge_compareILb0ELb0EjNS0_19identity_decomposerEEEEE10hipError_tT0_T1_T2_jT3_P12ihipStream_tbPNSt15iterator_traitsISE_E10value_typeEPNSK_ISF_E10value_typeEPSG_NS1_7vsmem_tEENKUlT_SE_SF_SG_E_clIS8_S8_S9_S9_EESD_ST_SE_SF_SG_EUlST_E0_NS1_11comp_targetILNS1_3genE8ELNS1_11target_archE1030ELNS1_3gpuE2ELNS1_3repE0EEENS1_38merge_mergepath_config_static_selectorELNS0_4arch9wavefront6targetE1EEEvSF_.kd
    .uniform_work_group_size: 1
    .uses_dynamic_stack: false
    .vgpr_count:     0
    .vgpr_spill_count: 0
    .wavefront_size: 64
  - .agpr_count:     0
    .args:
      - .offset:         0
        .size:           48
        .value_kind:     by_value
    .group_segment_fixed_size: 0
    .kernarg_segment_align: 8
    .kernarg_segment_size: 48
    .language:       OpenCL C
    .language_version:
      - 2
      - 0
    .max_flat_workgroup_size: 256
    .name:           _ZN7rocprim17ROCPRIM_400000_NS6detail17trampoline_kernelINS0_14default_configENS1_38merge_sort_block_merge_config_selectorIjNS0_10empty_typeEEEZZNS1_27merge_sort_block_merge_implIS3_PjPS5_jNS1_19radix_merge_compareILb0ELb0EjNS0_19identity_decomposerEEEEE10hipError_tT0_T1_T2_jT3_P12ihipStream_tbPNSt15iterator_traitsISE_E10value_typeEPNSK_ISF_E10value_typeEPSG_NS1_7vsmem_tEENKUlT_SE_SF_SG_E_clIS8_S8_S9_S9_EESD_ST_SE_SF_SG_EUlST_E1_NS1_11comp_targetILNS1_3genE0ELNS1_11target_archE4294967295ELNS1_3gpuE0ELNS1_3repE0EEENS1_36merge_oddeven_config_static_selectorELNS0_4arch9wavefront6targetE1EEEvSF_
    .private_segment_fixed_size: 0
    .sgpr_count:     4
    .sgpr_spill_count: 0
    .symbol:         _ZN7rocprim17ROCPRIM_400000_NS6detail17trampoline_kernelINS0_14default_configENS1_38merge_sort_block_merge_config_selectorIjNS0_10empty_typeEEEZZNS1_27merge_sort_block_merge_implIS3_PjPS5_jNS1_19radix_merge_compareILb0ELb0EjNS0_19identity_decomposerEEEEE10hipError_tT0_T1_T2_jT3_P12ihipStream_tbPNSt15iterator_traitsISE_E10value_typeEPNSK_ISF_E10value_typeEPSG_NS1_7vsmem_tEENKUlT_SE_SF_SG_E_clIS8_S8_S9_S9_EESD_ST_SE_SF_SG_EUlST_E1_NS1_11comp_targetILNS1_3genE0ELNS1_11target_archE4294967295ELNS1_3gpuE0ELNS1_3repE0EEENS1_36merge_oddeven_config_static_selectorELNS0_4arch9wavefront6targetE1EEEvSF_.kd
    .uniform_work_group_size: 1
    .uses_dynamic_stack: false
    .vgpr_count:     0
    .vgpr_spill_count: 0
    .wavefront_size: 64
  - .agpr_count:     0
    .args:
      - .offset:         0
        .size:           48
        .value_kind:     by_value
    .group_segment_fixed_size: 0
    .kernarg_segment_align: 8
    .kernarg_segment_size: 48
    .language:       OpenCL C
    .language_version:
      - 2
      - 0
    .max_flat_workgroup_size: 256
    .name:           _ZN7rocprim17ROCPRIM_400000_NS6detail17trampoline_kernelINS0_14default_configENS1_38merge_sort_block_merge_config_selectorIjNS0_10empty_typeEEEZZNS1_27merge_sort_block_merge_implIS3_PjPS5_jNS1_19radix_merge_compareILb0ELb0EjNS0_19identity_decomposerEEEEE10hipError_tT0_T1_T2_jT3_P12ihipStream_tbPNSt15iterator_traitsISE_E10value_typeEPNSK_ISF_E10value_typeEPSG_NS1_7vsmem_tEENKUlT_SE_SF_SG_E_clIS8_S8_S9_S9_EESD_ST_SE_SF_SG_EUlST_E1_NS1_11comp_targetILNS1_3genE10ELNS1_11target_archE1201ELNS1_3gpuE5ELNS1_3repE0EEENS1_36merge_oddeven_config_static_selectorELNS0_4arch9wavefront6targetE1EEEvSF_
    .private_segment_fixed_size: 0
    .sgpr_count:     4
    .sgpr_spill_count: 0
    .symbol:         _ZN7rocprim17ROCPRIM_400000_NS6detail17trampoline_kernelINS0_14default_configENS1_38merge_sort_block_merge_config_selectorIjNS0_10empty_typeEEEZZNS1_27merge_sort_block_merge_implIS3_PjPS5_jNS1_19radix_merge_compareILb0ELb0EjNS0_19identity_decomposerEEEEE10hipError_tT0_T1_T2_jT3_P12ihipStream_tbPNSt15iterator_traitsISE_E10value_typeEPNSK_ISF_E10value_typeEPSG_NS1_7vsmem_tEENKUlT_SE_SF_SG_E_clIS8_S8_S9_S9_EESD_ST_SE_SF_SG_EUlST_E1_NS1_11comp_targetILNS1_3genE10ELNS1_11target_archE1201ELNS1_3gpuE5ELNS1_3repE0EEENS1_36merge_oddeven_config_static_selectorELNS0_4arch9wavefront6targetE1EEEvSF_.kd
    .uniform_work_group_size: 1
    .uses_dynamic_stack: false
    .vgpr_count:     0
    .vgpr_spill_count: 0
    .wavefront_size: 64
  - .agpr_count:     0
    .args:
      - .offset:         0
        .size:           48
        .value_kind:     by_value
    .group_segment_fixed_size: 0
    .kernarg_segment_align: 8
    .kernarg_segment_size: 48
    .language:       OpenCL C
    .language_version:
      - 2
      - 0
    .max_flat_workgroup_size: 256
    .name:           _ZN7rocprim17ROCPRIM_400000_NS6detail17trampoline_kernelINS0_14default_configENS1_38merge_sort_block_merge_config_selectorIjNS0_10empty_typeEEEZZNS1_27merge_sort_block_merge_implIS3_PjPS5_jNS1_19radix_merge_compareILb0ELb0EjNS0_19identity_decomposerEEEEE10hipError_tT0_T1_T2_jT3_P12ihipStream_tbPNSt15iterator_traitsISE_E10value_typeEPNSK_ISF_E10value_typeEPSG_NS1_7vsmem_tEENKUlT_SE_SF_SG_E_clIS8_S8_S9_S9_EESD_ST_SE_SF_SG_EUlST_E1_NS1_11comp_targetILNS1_3genE5ELNS1_11target_archE942ELNS1_3gpuE9ELNS1_3repE0EEENS1_36merge_oddeven_config_static_selectorELNS0_4arch9wavefront6targetE1EEEvSF_
    .private_segment_fixed_size: 0
    .sgpr_count:     4
    .sgpr_spill_count: 0
    .symbol:         _ZN7rocprim17ROCPRIM_400000_NS6detail17trampoline_kernelINS0_14default_configENS1_38merge_sort_block_merge_config_selectorIjNS0_10empty_typeEEEZZNS1_27merge_sort_block_merge_implIS3_PjPS5_jNS1_19radix_merge_compareILb0ELb0EjNS0_19identity_decomposerEEEEE10hipError_tT0_T1_T2_jT3_P12ihipStream_tbPNSt15iterator_traitsISE_E10value_typeEPNSK_ISF_E10value_typeEPSG_NS1_7vsmem_tEENKUlT_SE_SF_SG_E_clIS8_S8_S9_S9_EESD_ST_SE_SF_SG_EUlST_E1_NS1_11comp_targetILNS1_3genE5ELNS1_11target_archE942ELNS1_3gpuE9ELNS1_3repE0EEENS1_36merge_oddeven_config_static_selectorELNS0_4arch9wavefront6targetE1EEEvSF_.kd
    .uniform_work_group_size: 1
    .uses_dynamic_stack: false
    .vgpr_count:     0
    .vgpr_spill_count: 0
    .wavefront_size: 64
  - .agpr_count:     0
    .args:
      - .offset:         0
        .size:           48
        .value_kind:     by_value
    .group_segment_fixed_size: 0
    .kernarg_segment_align: 8
    .kernarg_segment_size: 48
    .language:       OpenCL C
    .language_version:
      - 2
      - 0
    .max_flat_workgroup_size: 256
    .name:           _ZN7rocprim17ROCPRIM_400000_NS6detail17trampoline_kernelINS0_14default_configENS1_38merge_sort_block_merge_config_selectorIjNS0_10empty_typeEEEZZNS1_27merge_sort_block_merge_implIS3_PjPS5_jNS1_19radix_merge_compareILb0ELb0EjNS0_19identity_decomposerEEEEE10hipError_tT0_T1_T2_jT3_P12ihipStream_tbPNSt15iterator_traitsISE_E10value_typeEPNSK_ISF_E10value_typeEPSG_NS1_7vsmem_tEENKUlT_SE_SF_SG_E_clIS8_S8_S9_S9_EESD_ST_SE_SF_SG_EUlST_E1_NS1_11comp_targetILNS1_3genE4ELNS1_11target_archE910ELNS1_3gpuE8ELNS1_3repE0EEENS1_36merge_oddeven_config_static_selectorELNS0_4arch9wavefront6targetE1EEEvSF_
    .private_segment_fixed_size: 0
    .sgpr_count:     25
    .sgpr_spill_count: 0
    .symbol:         _ZN7rocprim17ROCPRIM_400000_NS6detail17trampoline_kernelINS0_14default_configENS1_38merge_sort_block_merge_config_selectorIjNS0_10empty_typeEEEZZNS1_27merge_sort_block_merge_implIS3_PjPS5_jNS1_19radix_merge_compareILb0ELb0EjNS0_19identity_decomposerEEEEE10hipError_tT0_T1_T2_jT3_P12ihipStream_tbPNSt15iterator_traitsISE_E10value_typeEPNSK_ISF_E10value_typeEPSG_NS1_7vsmem_tEENKUlT_SE_SF_SG_E_clIS8_S8_S9_S9_EESD_ST_SE_SF_SG_EUlST_E1_NS1_11comp_targetILNS1_3genE4ELNS1_11target_archE910ELNS1_3gpuE8ELNS1_3repE0EEENS1_36merge_oddeven_config_static_selectorELNS0_4arch9wavefront6targetE1EEEvSF_.kd
    .uniform_work_group_size: 1
    .uses_dynamic_stack: false
    .vgpr_count:     10
    .vgpr_spill_count: 0
    .wavefront_size: 64
  - .agpr_count:     0
    .args:
      - .offset:         0
        .size:           48
        .value_kind:     by_value
    .group_segment_fixed_size: 0
    .kernarg_segment_align: 8
    .kernarg_segment_size: 48
    .language:       OpenCL C
    .language_version:
      - 2
      - 0
    .max_flat_workgroup_size: 256
    .name:           _ZN7rocprim17ROCPRIM_400000_NS6detail17trampoline_kernelINS0_14default_configENS1_38merge_sort_block_merge_config_selectorIjNS0_10empty_typeEEEZZNS1_27merge_sort_block_merge_implIS3_PjPS5_jNS1_19radix_merge_compareILb0ELb0EjNS0_19identity_decomposerEEEEE10hipError_tT0_T1_T2_jT3_P12ihipStream_tbPNSt15iterator_traitsISE_E10value_typeEPNSK_ISF_E10value_typeEPSG_NS1_7vsmem_tEENKUlT_SE_SF_SG_E_clIS8_S8_S9_S9_EESD_ST_SE_SF_SG_EUlST_E1_NS1_11comp_targetILNS1_3genE3ELNS1_11target_archE908ELNS1_3gpuE7ELNS1_3repE0EEENS1_36merge_oddeven_config_static_selectorELNS0_4arch9wavefront6targetE1EEEvSF_
    .private_segment_fixed_size: 0
    .sgpr_count:     4
    .sgpr_spill_count: 0
    .symbol:         _ZN7rocprim17ROCPRIM_400000_NS6detail17trampoline_kernelINS0_14default_configENS1_38merge_sort_block_merge_config_selectorIjNS0_10empty_typeEEEZZNS1_27merge_sort_block_merge_implIS3_PjPS5_jNS1_19radix_merge_compareILb0ELb0EjNS0_19identity_decomposerEEEEE10hipError_tT0_T1_T2_jT3_P12ihipStream_tbPNSt15iterator_traitsISE_E10value_typeEPNSK_ISF_E10value_typeEPSG_NS1_7vsmem_tEENKUlT_SE_SF_SG_E_clIS8_S8_S9_S9_EESD_ST_SE_SF_SG_EUlST_E1_NS1_11comp_targetILNS1_3genE3ELNS1_11target_archE908ELNS1_3gpuE7ELNS1_3repE0EEENS1_36merge_oddeven_config_static_selectorELNS0_4arch9wavefront6targetE1EEEvSF_.kd
    .uniform_work_group_size: 1
    .uses_dynamic_stack: false
    .vgpr_count:     0
    .vgpr_spill_count: 0
    .wavefront_size: 64
  - .agpr_count:     0
    .args:
      - .offset:         0
        .size:           48
        .value_kind:     by_value
    .group_segment_fixed_size: 0
    .kernarg_segment_align: 8
    .kernarg_segment_size: 48
    .language:       OpenCL C
    .language_version:
      - 2
      - 0
    .max_flat_workgroup_size: 256
    .name:           _ZN7rocprim17ROCPRIM_400000_NS6detail17trampoline_kernelINS0_14default_configENS1_38merge_sort_block_merge_config_selectorIjNS0_10empty_typeEEEZZNS1_27merge_sort_block_merge_implIS3_PjPS5_jNS1_19radix_merge_compareILb0ELb0EjNS0_19identity_decomposerEEEEE10hipError_tT0_T1_T2_jT3_P12ihipStream_tbPNSt15iterator_traitsISE_E10value_typeEPNSK_ISF_E10value_typeEPSG_NS1_7vsmem_tEENKUlT_SE_SF_SG_E_clIS8_S8_S9_S9_EESD_ST_SE_SF_SG_EUlST_E1_NS1_11comp_targetILNS1_3genE2ELNS1_11target_archE906ELNS1_3gpuE6ELNS1_3repE0EEENS1_36merge_oddeven_config_static_selectorELNS0_4arch9wavefront6targetE1EEEvSF_
    .private_segment_fixed_size: 0
    .sgpr_count:     4
    .sgpr_spill_count: 0
    .symbol:         _ZN7rocprim17ROCPRIM_400000_NS6detail17trampoline_kernelINS0_14default_configENS1_38merge_sort_block_merge_config_selectorIjNS0_10empty_typeEEEZZNS1_27merge_sort_block_merge_implIS3_PjPS5_jNS1_19radix_merge_compareILb0ELb0EjNS0_19identity_decomposerEEEEE10hipError_tT0_T1_T2_jT3_P12ihipStream_tbPNSt15iterator_traitsISE_E10value_typeEPNSK_ISF_E10value_typeEPSG_NS1_7vsmem_tEENKUlT_SE_SF_SG_E_clIS8_S8_S9_S9_EESD_ST_SE_SF_SG_EUlST_E1_NS1_11comp_targetILNS1_3genE2ELNS1_11target_archE906ELNS1_3gpuE6ELNS1_3repE0EEENS1_36merge_oddeven_config_static_selectorELNS0_4arch9wavefront6targetE1EEEvSF_.kd
    .uniform_work_group_size: 1
    .uses_dynamic_stack: false
    .vgpr_count:     0
    .vgpr_spill_count: 0
    .wavefront_size: 64
  - .agpr_count:     0
    .args:
      - .offset:         0
        .size:           48
        .value_kind:     by_value
    .group_segment_fixed_size: 0
    .kernarg_segment_align: 8
    .kernarg_segment_size: 48
    .language:       OpenCL C
    .language_version:
      - 2
      - 0
    .max_flat_workgroup_size: 256
    .name:           _ZN7rocprim17ROCPRIM_400000_NS6detail17trampoline_kernelINS0_14default_configENS1_38merge_sort_block_merge_config_selectorIjNS0_10empty_typeEEEZZNS1_27merge_sort_block_merge_implIS3_PjPS5_jNS1_19radix_merge_compareILb0ELb0EjNS0_19identity_decomposerEEEEE10hipError_tT0_T1_T2_jT3_P12ihipStream_tbPNSt15iterator_traitsISE_E10value_typeEPNSK_ISF_E10value_typeEPSG_NS1_7vsmem_tEENKUlT_SE_SF_SG_E_clIS8_S8_S9_S9_EESD_ST_SE_SF_SG_EUlST_E1_NS1_11comp_targetILNS1_3genE9ELNS1_11target_archE1100ELNS1_3gpuE3ELNS1_3repE0EEENS1_36merge_oddeven_config_static_selectorELNS0_4arch9wavefront6targetE1EEEvSF_
    .private_segment_fixed_size: 0
    .sgpr_count:     4
    .sgpr_spill_count: 0
    .symbol:         _ZN7rocprim17ROCPRIM_400000_NS6detail17trampoline_kernelINS0_14default_configENS1_38merge_sort_block_merge_config_selectorIjNS0_10empty_typeEEEZZNS1_27merge_sort_block_merge_implIS3_PjPS5_jNS1_19radix_merge_compareILb0ELb0EjNS0_19identity_decomposerEEEEE10hipError_tT0_T1_T2_jT3_P12ihipStream_tbPNSt15iterator_traitsISE_E10value_typeEPNSK_ISF_E10value_typeEPSG_NS1_7vsmem_tEENKUlT_SE_SF_SG_E_clIS8_S8_S9_S9_EESD_ST_SE_SF_SG_EUlST_E1_NS1_11comp_targetILNS1_3genE9ELNS1_11target_archE1100ELNS1_3gpuE3ELNS1_3repE0EEENS1_36merge_oddeven_config_static_selectorELNS0_4arch9wavefront6targetE1EEEvSF_.kd
    .uniform_work_group_size: 1
    .uses_dynamic_stack: false
    .vgpr_count:     0
    .vgpr_spill_count: 0
    .wavefront_size: 64
  - .agpr_count:     0
    .args:
      - .offset:         0
        .size:           48
        .value_kind:     by_value
    .group_segment_fixed_size: 0
    .kernarg_segment_align: 8
    .kernarg_segment_size: 48
    .language:       OpenCL C
    .language_version:
      - 2
      - 0
    .max_flat_workgroup_size: 256
    .name:           _ZN7rocprim17ROCPRIM_400000_NS6detail17trampoline_kernelINS0_14default_configENS1_38merge_sort_block_merge_config_selectorIjNS0_10empty_typeEEEZZNS1_27merge_sort_block_merge_implIS3_PjPS5_jNS1_19radix_merge_compareILb0ELb0EjNS0_19identity_decomposerEEEEE10hipError_tT0_T1_T2_jT3_P12ihipStream_tbPNSt15iterator_traitsISE_E10value_typeEPNSK_ISF_E10value_typeEPSG_NS1_7vsmem_tEENKUlT_SE_SF_SG_E_clIS8_S8_S9_S9_EESD_ST_SE_SF_SG_EUlST_E1_NS1_11comp_targetILNS1_3genE8ELNS1_11target_archE1030ELNS1_3gpuE2ELNS1_3repE0EEENS1_36merge_oddeven_config_static_selectorELNS0_4arch9wavefront6targetE1EEEvSF_
    .private_segment_fixed_size: 0
    .sgpr_count:     4
    .sgpr_spill_count: 0
    .symbol:         _ZN7rocprim17ROCPRIM_400000_NS6detail17trampoline_kernelINS0_14default_configENS1_38merge_sort_block_merge_config_selectorIjNS0_10empty_typeEEEZZNS1_27merge_sort_block_merge_implIS3_PjPS5_jNS1_19radix_merge_compareILb0ELb0EjNS0_19identity_decomposerEEEEE10hipError_tT0_T1_T2_jT3_P12ihipStream_tbPNSt15iterator_traitsISE_E10value_typeEPNSK_ISF_E10value_typeEPSG_NS1_7vsmem_tEENKUlT_SE_SF_SG_E_clIS8_S8_S9_S9_EESD_ST_SE_SF_SG_EUlST_E1_NS1_11comp_targetILNS1_3genE8ELNS1_11target_archE1030ELNS1_3gpuE2ELNS1_3repE0EEENS1_36merge_oddeven_config_static_selectorELNS0_4arch9wavefront6targetE1EEEvSF_.kd
    .uniform_work_group_size: 1
    .uses_dynamic_stack: false
    .vgpr_count:     0
    .vgpr_spill_count: 0
    .wavefront_size: 64
  - .agpr_count:     0
    .args:
      - .offset:         0
        .size:           40
        .value_kind:     by_value
    .group_segment_fixed_size: 0
    .kernarg_segment_align: 8
    .kernarg_segment_size: 40
    .language:       OpenCL C
    .language_version:
      - 2
      - 0
    .max_flat_workgroup_size: 128
    .name:           _ZN7rocprim17ROCPRIM_400000_NS6detail17trampoline_kernelINS0_14default_configENS1_25transform_config_selectorIjLb1EEEZNS1_14transform_implILb1ES3_S5_PjS7_NS0_8identityIjEEEE10hipError_tT2_T3_mT4_P12ihipStream_tbEUlT_E_NS1_11comp_targetILNS1_3genE0ELNS1_11target_archE4294967295ELNS1_3gpuE0ELNS1_3repE0EEENS1_30default_config_static_selectorELNS0_4arch9wavefront6targetE1EEEvT1_
    .private_segment_fixed_size: 0
    .sgpr_count:     4
    .sgpr_spill_count: 0
    .symbol:         _ZN7rocprim17ROCPRIM_400000_NS6detail17trampoline_kernelINS0_14default_configENS1_25transform_config_selectorIjLb1EEEZNS1_14transform_implILb1ES3_S5_PjS7_NS0_8identityIjEEEE10hipError_tT2_T3_mT4_P12ihipStream_tbEUlT_E_NS1_11comp_targetILNS1_3genE0ELNS1_11target_archE4294967295ELNS1_3gpuE0ELNS1_3repE0EEENS1_30default_config_static_selectorELNS0_4arch9wavefront6targetE1EEEvT1_.kd
    .uniform_work_group_size: 1
    .uses_dynamic_stack: false
    .vgpr_count:     0
    .vgpr_spill_count: 0
    .wavefront_size: 64
  - .agpr_count:     0
    .args:
      - .offset:         0
        .size:           40
        .value_kind:     by_value
    .group_segment_fixed_size: 0
    .kernarg_segment_align: 8
    .kernarg_segment_size: 40
    .language:       OpenCL C
    .language_version:
      - 2
      - 0
    .max_flat_workgroup_size: 1024
    .name:           _ZN7rocprim17ROCPRIM_400000_NS6detail17trampoline_kernelINS0_14default_configENS1_25transform_config_selectorIjLb1EEEZNS1_14transform_implILb1ES3_S5_PjS7_NS0_8identityIjEEEE10hipError_tT2_T3_mT4_P12ihipStream_tbEUlT_E_NS1_11comp_targetILNS1_3genE10ELNS1_11target_archE1201ELNS1_3gpuE5ELNS1_3repE0EEENS1_30default_config_static_selectorELNS0_4arch9wavefront6targetE1EEEvT1_
    .private_segment_fixed_size: 0
    .sgpr_count:     4
    .sgpr_spill_count: 0
    .symbol:         _ZN7rocprim17ROCPRIM_400000_NS6detail17trampoline_kernelINS0_14default_configENS1_25transform_config_selectorIjLb1EEEZNS1_14transform_implILb1ES3_S5_PjS7_NS0_8identityIjEEEE10hipError_tT2_T3_mT4_P12ihipStream_tbEUlT_E_NS1_11comp_targetILNS1_3genE10ELNS1_11target_archE1201ELNS1_3gpuE5ELNS1_3repE0EEENS1_30default_config_static_selectorELNS0_4arch9wavefront6targetE1EEEvT1_.kd
    .uniform_work_group_size: 1
    .uses_dynamic_stack: false
    .vgpr_count:     0
    .vgpr_spill_count: 0
    .wavefront_size: 64
  - .agpr_count:     0
    .args:
      - .offset:         0
        .size:           40
        .value_kind:     by_value
    .group_segment_fixed_size: 0
    .kernarg_segment_align: 8
    .kernarg_segment_size: 40
    .language:       OpenCL C
    .language_version:
      - 2
      - 0
    .max_flat_workgroup_size: 256
    .name:           _ZN7rocprim17ROCPRIM_400000_NS6detail17trampoline_kernelINS0_14default_configENS1_25transform_config_selectorIjLb1EEEZNS1_14transform_implILb1ES3_S5_PjS7_NS0_8identityIjEEEE10hipError_tT2_T3_mT4_P12ihipStream_tbEUlT_E_NS1_11comp_targetILNS1_3genE5ELNS1_11target_archE942ELNS1_3gpuE9ELNS1_3repE0EEENS1_30default_config_static_selectorELNS0_4arch9wavefront6targetE1EEEvT1_
    .private_segment_fixed_size: 0
    .sgpr_count:     4
    .sgpr_spill_count: 0
    .symbol:         _ZN7rocprim17ROCPRIM_400000_NS6detail17trampoline_kernelINS0_14default_configENS1_25transform_config_selectorIjLb1EEEZNS1_14transform_implILb1ES3_S5_PjS7_NS0_8identityIjEEEE10hipError_tT2_T3_mT4_P12ihipStream_tbEUlT_E_NS1_11comp_targetILNS1_3genE5ELNS1_11target_archE942ELNS1_3gpuE9ELNS1_3repE0EEENS1_30default_config_static_selectorELNS0_4arch9wavefront6targetE1EEEvT1_.kd
    .uniform_work_group_size: 1
    .uses_dynamic_stack: false
    .vgpr_count:     0
    .vgpr_spill_count: 0
    .wavefront_size: 64
  - .agpr_count:     0
    .args:
      - .offset:         0
        .size:           40
        .value_kind:     by_value
      - .offset:         40
        .size:           4
        .value_kind:     hidden_block_count_x
      - .offset:         44
        .size:           4
        .value_kind:     hidden_block_count_y
      - .offset:         48
        .size:           4
        .value_kind:     hidden_block_count_z
      - .offset:         52
        .size:           2
        .value_kind:     hidden_group_size_x
      - .offset:         54
        .size:           2
        .value_kind:     hidden_group_size_y
      - .offset:         56
        .size:           2
        .value_kind:     hidden_group_size_z
      - .offset:         58
        .size:           2
        .value_kind:     hidden_remainder_x
      - .offset:         60
        .size:           2
        .value_kind:     hidden_remainder_y
      - .offset:         62
        .size:           2
        .value_kind:     hidden_remainder_z
      - .offset:         80
        .size:           8
        .value_kind:     hidden_global_offset_x
      - .offset:         88
        .size:           8
        .value_kind:     hidden_global_offset_y
      - .offset:         96
        .size:           8
        .value_kind:     hidden_global_offset_z
      - .offset:         104
        .size:           2
        .value_kind:     hidden_grid_dims
    .group_segment_fixed_size: 0
    .kernarg_segment_align: 8
    .kernarg_segment_size: 296
    .language:       OpenCL C
    .language_version:
      - 2
      - 0
    .max_flat_workgroup_size: 1024
    .name:           _ZN7rocprim17ROCPRIM_400000_NS6detail17trampoline_kernelINS0_14default_configENS1_25transform_config_selectorIjLb1EEEZNS1_14transform_implILb1ES3_S5_PjS7_NS0_8identityIjEEEE10hipError_tT2_T3_mT4_P12ihipStream_tbEUlT_E_NS1_11comp_targetILNS1_3genE4ELNS1_11target_archE910ELNS1_3gpuE8ELNS1_3repE0EEENS1_30default_config_static_selectorELNS0_4arch9wavefront6targetE1EEEvT1_
    .private_segment_fixed_size: 0
    .sgpr_count:     20
    .sgpr_spill_count: 0
    .symbol:         _ZN7rocprim17ROCPRIM_400000_NS6detail17trampoline_kernelINS0_14default_configENS1_25transform_config_selectorIjLb1EEEZNS1_14transform_implILb1ES3_S5_PjS7_NS0_8identityIjEEEE10hipError_tT2_T3_mT4_P12ihipStream_tbEUlT_E_NS1_11comp_targetILNS1_3genE4ELNS1_11target_archE910ELNS1_3gpuE8ELNS1_3repE0EEENS1_30default_config_static_selectorELNS0_4arch9wavefront6targetE1EEEvT1_.kd
    .uniform_work_group_size: 1
    .uses_dynamic_stack: false
    .vgpr_count:     8
    .vgpr_spill_count: 0
    .wavefront_size: 64
  - .agpr_count:     0
    .args:
      - .offset:         0
        .size:           40
        .value_kind:     by_value
    .group_segment_fixed_size: 0
    .kernarg_segment_align: 8
    .kernarg_segment_size: 40
    .language:       OpenCL C
    .language_version:
      - 2
      - 0
    .max_flat_workgroup_size: 128
    .name:           _ZN7rocprim17ROCPRIM_400000_NS6detail17trampoline_kernelINS0_14default_configENS1_25transform_config_selectorIjLb1EEEZNS1_14transform_implILb1ES3_S5_PjS7_NS0_8identityIjEEEE10hipError_tT2_T3_mT4_P12ihipStream_tbEUlT_E_NS1_11comp_targetILNS1_3genE3ELNS1_11target_archE908ELNS1_3gpuE7ELNS1_3repE0EEENS1_30default_config_static_selectorELNS0_4arch9wavefront6targetE1EEEvT1_
    .private_segment_fixed_size: 0
    .sgpr_count:     4
    .sgpr_spill_count: 0
    .symbol:         _ZN7rocprim17ROCPRIM_400000_NS6detail17trampoline_kernelINS0_14default_configENS1_25transform_config_selectorIjLb1EEEZNS1_14transform_implILb1ES3_S5_PjS7_NS0_8identityIjEEEE10hipError_tT2_T3_mT4_P12ihipStream_tbEUlT_E_NS1_11comp_targetILNS1_3genE3ELNS1_11target_archE908ELNS1_3gpuE7ELNS1_3repE0EEENS1_30default_config_static_selectorELNS0_4arch9wavefront6targetE1EEEvT1_.kd
    .uniform_work_group_size: 1
    .uses_dynamic_stack: false
    .vgpr_count:     0
    .vgpr_spill_count: 0
    .wavefront_size: 64
  - .agpr_count:     0
    .args:
      - .offset:         0
        .size:           40
        .value_kind:     by_value
    .group_segment_fixed_size: 0
    .kernarg_segment_align: 8
    .kernarg_segment_size: 40
    .language:       OpenCL C
    .language_version:
      - 2
      - 0
    .max_flat_workgroup_size: 1024
    .name:           _ZN7rocprim17ROCPRIM_400000_NS6detail17trampoline_kernelINS0_14default_configENS1_25transform_config_selectorIjLb1EEEZNS1_14transform_implILb1ES3_S5_PjS7_NS0_8identityIjEEEE10hipError_tT2_T3_mT4_P12ihipStream_tbEUlT_E_NS1_11comp_targetILNS1_3genE2ELNS1_11target_archE906ELNS1_3gpuE6ELNS1_3repE0EEENS1_30default_config_static_selectorELNS0_4arch9wavefront6targetE1EEEvT1_
    .private_segment_fixed_size: 0
    .sgpr_count:     4
    .sgpr_spill_count: 0
    .symbol:         _ZN7rocprim17ROCPRIM_400000_NS6detail17trampoline_kernelINS0_14default_configENS1_25transform_config_selectorIjLb1EEEZNS1_14transform_implILb1ES3_S5_PjS7_NS0_8identityIjEEEE10hipError_tT2_T3_mT4_P12ihipStream_tbEUlT_E_NS1_11comp_targetILNS1_3genE2ELNS1_11target_archE906ELNS1_3gpuE6ELNS1_3repE0EEENS1_30default_config_static_selectorELNS0_4arch9wavefront6targetE1EEEvT1_.kd
    .uniform_work_group_size: 1
    .uses_dynamic_stack: false
    .vgpr_count:     0
    .vgpr_spill_count: 0
    .wavefront_size: 64
  - .agpr_count:     0
    .args:
      - .offset:         0
        .size:           40
        .value_kind:     by_value
    .group_segment_fixed_size: 0
    .kernarg_segment_align: 8
    .kernarg_segment_size: 40
    .language:       OpenCL C
    .language_version:
      - 2
      - 0
    .max_flat_workgroup_size: 1024
    .name:           _ZN7rocprim17ROCPRIM_400000_NS6detail17trampoline_kernelINS0_14default_configENS1_25transform_config_selectorIjLb1EEEZNS1_14transform_implILb1ES3_S5_PjS7_NS0_8identityIjEEEE10hipError_tT2_T3_mT4_P12ihipStream_tbEUlT_E_NS1_11comp_targetILNS1_3genE9ELNS1_11target_archE1100ELNS1_3gpuE3ELNS1_3repE0EEENS1_30default_config_static_selectorELNS0_4arch9wavefront6targetE1EEEvT1_
    .private_segment_fixed_size: 0
    .sgpr_count:     4
    .sgpr_spill_count: 0
    .symbol:         _ZN7rocprim17ROCPRIM_400000_NS6detail17trampoline_kernelINS0_14default_configENS1_25transform_config_selectorIjLb1EEEZNS1_14transform_implILb1ES3_S5_PjS7_NS0_8identityIjEEEE10hipError_tT2_T3_mT4_P12ihipStream_tbEUlT_E_NS1_11comp_targetILNS1_3genE9ELNS1_11target_archE1100ELNS1_3gpuE3ELNS1_3repE0EEENS1_30default_config_static_selectorELNS0_4arch9wavefront6targetE1EEEvT1_.kd
    .uniform_work_group_size: 1
    .uses_dynamic_stack: false
    .vgpr_count:     0
    .vgpr_spill_count: 0
    .wavefront_size: 64
  - .agpr_count:     0
    .args:
      - .offset:         0
        .size:           40
        .value_kind:     by_value
    .group_segment_fixed_size: 0
    .kernarg_segment_align: 8
    .kernarg_segment_size: 40
    .language:       OpenCL C
    .language_version:
      - 2
      - 0
    .max_flat_workgroup_size: 1024
    .name:           _ZN7rocprim17ROCPRIM_400000_NS6detail17trampoline_kernelINS0_14default_configENS1_25transform_config_selectorIjLb1EEEZNS1_14transform_implILb1ES3_S5_PjS7_NS0_8identityIjEEEE10hipError_tT2_T3_mT4_P12ihipStream_tbEUlT_E_NS1_11comp_targetILNS1_3genE8ELNS1_11target_archE1030ELNS1_3gpuE2ELNS1_3repE0EEENS1_30default_config_static_selectorELNS0_4arch9wavefront6targetE1EEEvT1_
    .private_segment_fixed_size: 0
    .sgpr_count:     4
    .sgpr_spill_count: 0
    .symbol:         _ZN7rocprim17ROCPRIM_400000_NS6detail17trampoline_kernelINS0_14default_configENS1_25transform_config_selectorIjLb1EEEZNS1_14transform_implILb1ES3_S5_PjS7_NS0_8identityIjEEEE10hipError_tT2_T3_mT4_P12ihipStream_tbEUlT_E_NS1_11comp_targetILNS1_3genE8ELNS1_11target_archE1030ELNS1_3gpuE2ELNS1_3repE0EEENS1_30default_config_static_selectorELNS0_4arch9wavefront6targetE1EEEvT1_.kd
    .uniform_work_group_size: 1
    .uses_dynamic_stack: false
    .vgpr_count:     0
    .vgpr_spill_count: 0
    .wavefront_size: 64
  - .agpr_count:     0
    .args:
      - .offset:         0
        .size:           40
        .value_kind:     by_value
    .group_segment_fixed_size: 0
    .kernarg_segment_align: 8
    .kernarg_segment_size: 40
    .language:       OpenCL C
    .language_version:
      - 2
      - 0
    .max_flat_workgroup_size: 128
    .name:           _ZN7rocprim17ROCPRIM_400000_NS6detail17trampoline_kernelINS0_14default_configENS1_38merge_sort_block_merge_config_selectorIjNS0_10empty_typeEEEZZNS1_27merge_sort_block_merge_implIS3_PjPS5_jNS1_19radix_merge_compareILb0ELb1EjNS0_19identity_decomposerEEEEE10hipError_tT0_T1_T2_jT3_P12ihipStream_tbPNSt15iterator_traitsISE_E10value_typeEPNSK_ISF_E10value_typeEPSG_NS1_7vsmem_tEENKUlT_SE_SF_SG_E_clIS8_S8_S9_S9_EESD_ST_SE_SF_SG_EUlST_E_NS1_11comp_targetILNS1_3genE0ELNS1_11target_archE4294967295ELNS1_3gpuE0ELNS1_3repE0EEENS1_48merge_mergepath_partition_config_static_selectorELNS0_4arch9wavefront6targetE1EEEvSF_
    .private_segment_fixed_size: 0
    .sgpr_count:     4
    .sgpr_spill_count: 0
    .symbol:         _ZN7rocprim17ROCPRIM_400000_NS6detail17trampoline_kernelINS0_14default_configENS1_38merge_sort_block_merge_config_selectorIjNS0_10empty_typeEEEZZNS1_27merge_sort_block_merge_implIS3_PjPS5_jNS1_19radix_merge_compareILb0ELb1EjNS0_19identity_decomposerEEEEE10hipError_tT0_T1_T2_jT3_P12ihipStream_tbPNSt15iterator_traitsISE_E10value_typeEPNSK_ISF_E10value_typeEPSG_NS1_7vsmem_tEENKUlT_SE_SF_SG_E_clIS8_S8_S9_S9_EESD_ST_SE_SF_SG_EUlST_E_NS1_11comp_targetILNS1_3genE0ELNS1_11target_archE4294967295ELNS1_3gpuE0ELNS1_3repE0EEENS1_48merge_mergepath_partition_config_static_selectorELNS0_4arch9wavefront6targetE1EEEvSF_.kd
    .uniform_work_group_size: 1
    .uses_dynamic_stack: false
    .vgpr_count:     0
    .vgpr_spill_count: 0
    .wavefront_size: 64
  - .agpr_count:     0
    .args:
      - .offset:         0
        .size:           40
        .value_kind:     by_value
    .group_segment_fixed_size: 0
    .kernarg_segment_align: 8
    .kernarg_segment_size: 40
    .language:       OpenCL C
    .language_version:
      - 2
      - 0
    .max_flat_workgroup_size: 128
    .name:           _ZN7rocprim17ROCPRIM_400000_NS6detail17trampoline_kernelINS0_14default_configENS1_38merge_sort_block_merge_config_selectorIjNS0_10empty_typeEEEZZNS1_27merge_sort_block_merge_implIS3_PjPS5_jNS1_19radix_merge_compareILb0ELb1EjNS0_19identity_decomposerEEEEE10hipError_tT0_T1_T2_jT3_P12ihipStream_tbPNSt15iterator_traitsISE_E10value_typeEPNSK_ISF_E10value_typeEPSG_NS1_7vsmem_tEENKUlT_SE_SF_SG_E_clIS8_S8_S9_S9_EESD_ST_SE_SF_SG_EUlST_E_NS1_11comp_targetILNS1_3genE10ELNS1_11target_archE1201ELNS1_3gpuE5ELNS1_3repE0EEENS1_48merge_mergepath_partition_config_static_selectorELNS0_4arch9wavefront6targetE1EEEvSF_
    .private_segment_fixed_size: 0
    .sgpr_count:     4
    .sgpr_spill_count: 0
    .symbol:         _ZN7rocprim17ROCPRIM_400000_NS6detail17trampoline_kernelINS0_14default_configENS1_38merge_sort_block_merge_config_selectorIjNS0_10empty_typeEEEZZNS1_27merge_sort_block_merge_implIS3_PjPS5_jNS1_19radix_merge_compareILb0ELb1EjNS0_19identity_decomposerEEEEE10hipError_tT0_T1_T2_jT3_P12ihipStream_tbPNSt15iterator_traitsISE_E10value_typeEPNSK_ISF_E10value_typeEPSG_NS1_7vsmem_tEENKUlT_SE_SF_SG_E_clIS8_S8_S9_S9_EESD_ST_SE_SF_SG_EUlST_E_NS1_11comp_targetILNS1_3genE10ELNS1_11target_archE1201ELNS1_3gpuE5ELNS1_3repE0EEENS1_48merge_mergepath_partition_config_static_selectorELNS0_4arch9wavefront6targetE1EEEvSF_.kd
    .uniform_work_group_size: 1
    .uses_dynamic_stack: false
    .vgpr_count:     0
    .vgpr_spill_count: 0
    .wavefront_size: 64
  - .agpr_count:     0
    .args:
      - .offset:         0
        .size:           40
        .value_kind:     by_value
    .group_segment_fixed_size: 0
    .kernarg_segment_align: 8
    .kernarg_segment_size: 40
    .language:       OpenCL C
    .language_version:
      - 2
      - 0
    .max_flat_workgroup_size: 128
    .name:           _ZN7rocprim17ROCPRIM_400000_NS6detail17trampoline_kernelINS0_14default_configENS1_38merge_sort_block_merge_config_selectorIjNS0_10empty_typeEEEZZNS1_27merge_sort_block_merge_implIS3_PjPS5_jNS1_19radix_merge_compareILb0ELb1EjNS0_19identity_decomposerEEEEE10hipError_tT0_T1_T2_jT3_P12ihipStream_tbPNSt15iterator_traitsISE_E10value_typeEPNSK_ISF_E10value_typeEPSG_NS1_7vsmem_tEENKUlT_SE_SF_SG_E_clIS8_S8_S9_S9_EESD_ST_SE_SF_SG_EUlST_E_NS1_11comp_targetILNS1_3genE5ELNS1_11target_archE942ELNS1_3gpuE9ELNS1_3repE0EEENS1_48merge_mergepath_partition_config_static_selectorELNS0_4arch9wavefront6targetE1EEEvSF_
    .private_segment_fixed_size: 0
    .sgpr_count:     4
    .sgpr_spill_count: 0
    .symbol:         _ZN7rocprim17ROCPRIM_400000_NS6detail17trampoline_kernelINS0_14default_configENS1_38merge_sort_block_merge_config_selectorIjNS0_10empty_typeEEEZZNS1_27merge_sort_block_merge_implIS3_PjPS5_jNS1_19radix_merge_compareILb0ELb1EjNS0_19identity_decomposerEEEEE10hipError_tT0_T1_T2_jT3_P12ihipStream_tbPNSt15iterator_traitsISE_E10value_typeEPNSK_ISF_E10value_typeEPSG_NS1_7vsmem_tEENKUlT_SE_SF_SG_E_clIS8_S8_S9_S9_EESD_ST_SE_SF_SG_EUlST_E_NS1_11comp_targetILNS1_3genE5ELNS1_11target_archE942ELNS1_3gpuE9ELNS1_3repE0EEENS1_48merge_mergepath_partition_config_static_selectorELNS0_4arch9wavefront6targetE1EEEvSF_.kd
    .uniform_work_group_size: 1
    .uses_dynamic_stack: false
    .vgpr_count:     0
    .vgpr_spill_count: 0
    .wavefront_size: 64
  - .agpr_count:     0
    .args:
      - .offset:         0
        .size:           40
        .value_kind:     by_value
    .group_segment_fixed_size: 0
    .kernarg_segment_align: 8
    .kernarg_segment_size: 40
    .language:       OpenCL C
    .language_version:
      - 2
      - 0
    .max_flat_workgroup_size: 128
    .name:           _ZN7rocprim17ROCPRIM_400000_NS6detail17trampoline_kernelINS0_14default_configENS1_38merge_sort_block_merge_config_selectorIjNS0_10empty_typeEEEZZNS1_27merge_sort_block_merge_implIS3_PjPS5_jNS1_19radix_merge_compareILb0ELb1EjNS0_19identity_decomposerEEEEE10hipError_tT0_T1_T2_jT3_P12ihipStream_tbPNSt15iterator_traitsISE_E10value_typeEPNSK_ISF_E10value_typeEPSG_NS1_7vsmem_tEENKUlT_SE_SF_SG_E_clIS8_S8_S9_S9_EESD_ST_SE_SF_SG_EUlST_E_NS1_11comp_targetILNS1_3genE4ELNS1_11target_archE910ELNS1_3gpuE8ELNS1_3repE0EEENS1_48merge_mergepath_partition_config_static_selectorELNS0_4arch9wavefront6targetE1EEEvSF_
    .private_segment_fixed_size: 0
    .sgpr_count:     14
    .sgpr_spill_count: 0
    .symbol:         _ZN7rocprim17ROCPRIM_400000_NS6detail17trampoline_kernelINS0_14default_configENS1_38merge_sort_block_merge_config_selectorIjNS0_10empty_typeEEEZZNS1_27merge_sort_block_merge_implIS3_PjPS5_jNS1_19radix_merge_compareILb0ELb1EjNS0_19identity_decomposerEEEEE10hipError_tT0_T1_T2_jT3_P12ihipStream_tbPNSt15iterator_traitsISE_E10value_typeEPNSK_ISF_E10value_typeEPSG_NS1_7vsmem_tEENKUlT_SE_SF_SG_E_clIS8_S8_S9_S9_EESD_ST_SE_SF_SG_EUlST_E_NS1_11comp_targetILNS1_3genE4ELNS1_11target_archE910ELNS1_3gpuE8ELNS1_3repE0EEENS1_48merge_mergepath_partition_config_static_selectorELNS0_4arch9wavefront6targetE1EEEvSF_.kd
    .uniform_work_group_size: 1
    .uses_dynamic_stack: false
    .vgpr_count:     17
    .vgpr_spill_count: 0
    .wavefront_size: 64
  - .agpr_count:     0
    .args:
      - .offset:         0
        .size:           40
        .value_kind:     by_value
    .group_segment_fixed_size: 0
    .kernarg_segment_align: 8
    .kernarg_segment_size: 40
    .language:       OpenCL C
    .language_version:
      - 2
      - 0
    .max_flat_workgroup_size: 128
    .name:           _ZN7rocprim17ROCPRIM_400000_NS6detail17trampoline_kernelINS0_14default_configENS1_38merge_sort_block_merge_config_selectorIjNS0_10empty_typeEEEZZNS1_27merge_sort_block_merge_implIS3_PjPS5_jNS1_19radix_merge_compareILb0ELb1EjNS0_19identity_decomposerEEEEE10hipError_tT0_T1_T2_jT3_P12ihipStream_tbPNSt15iterator_traitsISE_E10value_typeEPNSK_ISF_E10value_typeEPSG_NS1_7vsmem_tEENKUlT_SE_SF_SG_E_clIS8_S8_S9_S9_EESD_ST_SE_SF_SG_EUlST_E_NS1_11comp_targetILNS1_3genE3ELNS1_11target_archE908ELNS1_3gpuE7ELNS1_3repE0EEENS1_48merge_mergepath_partition_config_static_selectorELNS0_4arch9wavefront6targetE1EEEvSF_
    .private_segment_fixed_size: 0
    .sgpr_count:     4
    .sgpr_spill_count: 0
    .symbol:         _ZN7rocprim17ROCPRIM_400000_NS6detail17trampoline_kernelINS0_14default_configENS1_38merge_sort_block_merge_config_selectorIjNS0_10empty_typeEEEZZNS1_27merge_sort_block_merge_implIS3_PjPS5_jNS1_19radix_merge_compareILb0ELb1EjNS0_19identity_decomposerEEEEE10hipError_tT0_T1_T2_jT3_P12ihipStream_tbPNSt15iterator_traitsISE_E10value_typeEPNSK_ISF_E10value_typeEPSG_NS1_7vsmem_tEENKUlT_SE_SF_SG_E_clIS8_S8_S9_S9_EESD_ST_SE_SF_SG_EUlST_E_NS1_11comp_targetILNS1_3genE3ELNS1_11target_archE908ELNS1_3gpuE7ELNS1_3repE0EEENS1_48merge_mergepath_partition_config_static_selectorELNS0_4arch9wavefront6targetE1EEEvSF_.kd
    .uniform_work_group_size: 1
    .uses_dynamic_stack: false
    .vgpr_count:     0
    .vgpr_spill_count: 0
    .wavefront_size: 64
  - .agpr_count:     0
    .args:
      - .offset:         0
        .size:           40
        .value_kind:     by_value
    .group_segment_fixed_size: 0
    .kernarg_segment_align: 8
    .kernarg_segment_size: 40
    .language:       OpenCL C
    .language_version:
      - 2
      - 0
    .max_flat_workgroup_size: 128
    .name:           _ZN7rocprim17ROCPRIM_400000_NS6detail17trampoline_kernelINS0_14default_configENS1_38merge_sort_block_merge_config_selectorIjNS0_10empty_typeEEEZZNS1_27merge_sort_block_merge_implIS3_PjPS5_jNS1_19radix_merge_compareILb0ELb1EjNS0_19identity_decomposerEEEEE10hipError_tT0_T1_T2_jT3_P12ihipStream_tbPNSt15iterator_traitsISE_E10value_typeEPNSK_ISF_E10value_typeEPSG_NS1_7vsmem_tEENKUlT_SE_SF_SG_E_clIS8_S8_S9_S9_EESD_ST_SE_SF_SG_EUlST_E_NS1_11comp_targetILNS1_3genE2ELNS1_11target_archE906ELNS1_3gpuE6ELNS1_3repE0EEENS1_48merge_mergepath_partition_config_static_selectorELNS0_4arch9wavefront6targetE1EEEvSF_
    .private_segment_fixed_size: 0
    .sgpr_count:     4
    .sgpr_spill_count: 0
    .symbol:         _ZN7rocprim17ROCPRIM_400000_NS6detail17trampoline_kernelINS0_14default_configENS1_38merge_sort_block_merge_config_selectorIjNS0_10empty_typeEEEZZNS1_27merge_sort_block_merge_implIS3_PjPS5_jNS1_19radix_merge_compareILb0ELb1EjNS0_19identity_decomposerEEEEE10hipError_tT0_T1_T2_jT3_P12ihipStream_tbPNSt15iterator_traitsISE_E10value_typeEPNSK_ISF_E10value_typeEPSG_NS1_7vsmem_tEENKUlT_SE_SF_SG_E_clIS8_S8_S9_S9_EESD_ST_SE_SF_SG_EUlST_E_NS1_11comp_targetILNS1_3genE2ELNS1_11target_archE906ELNS1_3gpuE6ELNS1_3repE0EEENS1_48merge_mergepath_partition_config_static_selectorELNS0_4arch9wavefront6targetE1EEEvSF_.kd
    .uniform_work_group_size: 1
    .uses_dynamic_stack: false
    .vgpr_count:     0
    .vgpr_spill_count: 0
    .wavefront_size: 64
  - .agpr_count:     0
    .args:
      - .offset:         0
        .size:           40
        .value_kind:     by_value
    .group_segment_fixed_size: 0
    .kernarg_segment_align: 8
    .kernarg_segment_size: 40
    .language:       OpenCL C
    .language_version:
      - 2
      - 0
    .max_flat_workgroup_size: 128
    .name:           _ZN7rocprim17ROCPRIM_400000_NS6detail17trampoline_kernelINS0_14default_configENS1_38merge_sort_block_merge_config_selectorIjNS0_10empty_typeEEEZZNS1_27merge_sort_block_merge_implIS3_PjPS5_jNS1_19radix_merge_compareILb0ELb1EjNS0_19identity_decomposerEEEEE10hipError_tT0_T1_T2_jT3_P12ihipStream_tbPNSt15iterator_traitsISE_E10value_typeEPNSK_ISF_E10value_typeEPSG_NS1_7vsmem_tEENKUlT_SE_SF_SG_E_clIS8_S8_S9_S9_EESD_ST_SE_SF_SG_EUlST_E_NS1_11comp_targetILNS1_3genE9ELNS1_11target_archE1100ELNS1_3gpuE3ELNS1_3repE0EEENS1_48merge_mergepath_partition_config_static_selectorELNS0_4arch9wavefront6targetE1EEEvSF_
    .private_segment_fixed_size: 0
    .sgpr_count:     4
    .sgpr_spill_count: 0
    .symbol:         _ZN7rocprim17ROCPRIM_400000_NS6detail17trampoline_kernelINS0_14default_configENS1_38merge_sort_block_merge_config_selectorIjNS0_10empty_typeEEEZZNS1_27merge_sort_block_merge_implIS3_PjPS5_jNS1_19radix_merge_compareILb0ELb1EjNS0_19identity_decomposerEEEEE10hipError_tT0_T1_T2_jT3_P12ihipStream_tbPNSt15iterator_traitsISE_E10value_typeEPNSK_ISF_E10value_typeEPSG_NS1_7vsmem_tEENKUlT_SE_SF_SG_E_clIS8_S8_S9_S9_EESD_ST_SE_SF_SG_EUlST_E_NS1_11comp_targetILNS1_3genE9ELNS1_11target_archE1100ELNS1_3gpuE3ELNS1_3repE0EEENS1_48merge_mergepath_partition_config_static_selectorELNS0_4arch9wavefront6targetE1EEEvSF_.kd
    .uniform_work_group_size: 1
    .uses_dynamic_stack: false
    .vgpr_count:     0
    .vgpr_spill_count: 0
    .wavefront_size: 64
  - .agpr_count:     0
    .args:
      - .offset:         0
        .size:           40
        .value_kind:     by_value
    .group_segment_fixed_size: 0
    .kernarg_segment_align: 8
    .kernarg_segment_size: 40
    .language:       OpenCL C
    .language_version:
      - 2
      - 0
    .max_flat_workgroup_size: 128
    .name:           _ZN7rocprim17ROCPRIM_400000_NS6detail17trampoline_kernelINS0_14default_configENS1_38merge_sort_block_merge_config_selectorIjNS0_10empty_typeEEEZZNS1_27merge_sort_block_merge_implIS3_PjPS5_jNS1_19radix_merge_compareILb0ELb1EjNS0_19identity_decomposerEEEEE10hipError_tT0_T1_T2_jT3_P12ihipStream_tbPNSt15iterator_traitsISE_E10value_typeEPNSK_ISF_E10value_typeEPSG_NS1_7vsmem_tEENKUlT_SE_SF_SG_E_clIS8_S8_S9_S9_EESD_ST_SE_SF_SG_EUlST_E_NS1_11comp_targetILNS1_3genE8ELNS1_11target_archE1030ELNS1_3gpuE2ELNS1_3repE0EEENS1_48merge_mergepath_partition_config_static_selectorELNS0_4arch9wavefront6targetE1EEEvSF_
    .private_segment_fixed_size: 0
    .sgpr_count:     4
    .sgpr_spill_count: 0
    .symbol:         _ZN7rocprim17ROCPRIM_400000_NS6detail17trampoline_kernelINS0_14default_configENS1_38merge_sort_block_merge_config_selectorIjNS0_10empty_typeEEEZZNS1_27merge_sort_block_merge_implIS3_PjPS5_jNS1_19radix_merge_compareILb0ELb1EjNS0_19identity_decomposerEEEEE10hipError_tT0_T1_T2_jT3_P12ihipStream_tbPNSt15iterator_traitsISE_E10value_typeEPNSK_ISF_E10value_typeEPSG_NS1_7vsmem_tEENKUlT_SE_SF_SG_E_clIS8_S8_S9_S9_EESD_ST_SE_SF_SG_EUlST_E_NS1_11comp_targetILNS1_3genE8ELNS1_11target_archE1030ELNS1_3gpuE2ELNS1_3repE0EEENS1_48merge_mergepath_partition_config_static_selectorELNS0_4arch9wavefront6targetE1EEEvSF_.kd
    .uniform_work_group_size: 1
    .uses_dynamic_stack: false
    .vgpr_count:     0
    .vgpr_spill_count: 0
    .wavefront_size: 64
  - .agpr_count:     0
    .args:
      - .offset:         0
        .size:           64
        .value_kind:     by_value
    .group_segment_fixed_size: 0
    .kernarg_segment_align: 8
    .kernarg_segment_size: 64
    .language:       OpenCL C
    .language_version:
      - 2
      - 0
    .max_flat_workgroup_size: 128
    .name:           _ZN7rocprim17ROCPRIM_400000_NS6detail17trampoline_kernelINS0_14default_configENS1_38merge_sort_block_merge_config_selectorIjNS0_10empty_typeEEEZZNS1_27merge_sort_block_merge_implIS3_PjPS5_jNS1_19radix_merge_compareILb0ELb1EjNS0_19identity_decomposerEEEEE10hipError_tT0_T1_T2_jT3_P12ihipStream_tbPNSt15iterator_traitsISE_E10value_typeEPNSK_ISF_E10value_typeEPSG_NS1_7vsmem_tEENKUlT_SE_SF_SG_E_clIS8_S8_S9_S9_EESD_ST_SE_SF_SG_EUlST_E0_NS1_11comp_targetILNS1_3genE0ELNS1_11target_archE4294967295ELNS1_3gpuE0ELNS1_3repE0EEENS1_38merge_mergepath_config_static_selectorELNS0_4arch9wavefront6targetE1EEEvSF_
    .private_segment_fixed_size: 0
    .sgpr_count:     4
    .sgpr_spill_count: 0
    .symbol:         _ZN7rocprim17ROCPRIM_400000_NS6detail17trampoline_kernelINS0_14default_configENS1_38merge_sort_block_merge_config_selectorIjNS0_10empty_typeEEEZZNS1_27merge_sort_block_merge_implIS3_PjPS5_jNS1_19radix_merge_compareILb0ELb1EjNS0_19identity_decomposerEEEEE10hipError_tT0_T1_T2_jT3_P12ihipStream_tbPNSt15iterator_traitsISE_E10value_typeEPNSK_ISF_E10value_typeEPSG_NS1_7vsmem_tEENKUlT_SE_SF_SG_E_clIS8_S8_S9_S9_EESD_ST_SE_SF_SG_EUlST_E0_NS1_11comp_targetILNS1_3genE0ELNS1_11target_archE4294967295ELNS1_3gpuE0ELNS1_3repE0EEENS1_38merge_mergepath_config_static_selectorELNS0_4arch9wavefront6targetE1EEEvSF_.kd
    .uniform_work_group_size: 1
    .uses_dynamic_stack: false
    .vgpr_count:     0
    .vgpr_spill_count: 0
    .wavefront_size: 64
  - .agpr_count:     0
    .args:
      - .offset:         0
        .size:           64
        .value_kind:     by_value
    .group_segment_fixed_size: 0
    .kernarg_segment_align: 8
    .kernarg_segment_size: 64
    .language:       OpenCL C
    .language_version:
      - 2
      - 0
    .max_flat_workgroup_size: 256
    .name:           _ZN7rocprim17ROCPRIM_400000_NS6detail17trampoline_kernelINS0_14default_configENS1_38merge_sort_block_merge_config_selectorIjNS0_10empty_typeEEEZZNS1_27merge_sort_block_merge_implIS3_PjPS5_jNS1_19radix_merge_compareILb0ELb1EjNS0_19identity_decomposerEEEEE10hipError_tT0_T1_T2_jT3_P12ihipStream_tbPNSt15iterator_traitsISE_E10value_typeEPNSK_ISF_E10value_typeEPSG_NS1_7vsmem_tEENKUlT_SE_SF_SG_E_clIS8_S8_S9_S9_EESD_ST_SE_SF_SG_EUlST_E0_NS1_11comp_targetILNS1_3genE10ELNS1_11target_archE1201ELNS1_3gpuE5ELNS1_3repE0EEENS1_38merge_mergepath_config_static_selectorELNS0_4arch9wavefront6targetE1EEEvSF_
    .private_segment_fixed_size: 0
    .sgpr_count:     4
    .sgpr_spill_count: 0
    .symbol:         _ZN7rocprim17ROCPRIM_400000_NS6detail17trampoline_kernelINS0_14default_configENS1_38merge_sort_block_merge_config_selectorIjNS0_10empty_typeEEEZZNS1_27merge_sort_block_merge_implIS3_PjPS5_jNS1_19radix_merge_compareILb0ELb1EjNS0_19identity_decomposerEEEEE10hipError_tT0_T1_T2_jT3_P12ihipStream_tbPNSt15iterator_traitsISE_E10value_typeEPNSK_ISF_E10value_typeEPSG_NS1_7vsmem_tEENKUlT_SE_SF_SG_E_clIS8_S8_S9_S9_EESD_ST_SE_SF_SG_EUlST_E0_NS1_11comp_targetILNS1_3genE10ELNS1_11target_archE1201ELNS1_3gpuE5ELNS1_3repE0EEENS1_38merge_mergepath_config_static_selectorELNS0_4arch9wavefront6targetE1EEEvSF_.kd
    .uniform_work_group_size: 1
    .uses_dynamic_stack: false
    .vgpr_count:     0
    .vgpr_spill_count: 0
    .wavefront_size: 64
  - .agpr_count:     0
    .args:
      - .offset:         0
        .size:           64
        .value_kind:     by_value
    .group_segment_fixed_size: 0
    .kernarg_segment_align: 8
    .kernarg_segment_size: 64
    .language:       OpenCL C
    .language_version:
      - 2
      - 0
    .max_flat_workgroup_size: 128
    .name:           _ZN7rocprim17ROCPRIM_400000_NS6detail17trampoline_kernelINS0_14default_configENS1_38merge_sort_block_merge_config_selectorIjNS0_10empty_typeEEEZZNS1_27merge_sort_block_merge_implIS3_PjPS5_jNS1_19radix_merge_compareILb0ELb1EjNS0_19identity_decomposerEEEEE10hipError_tT0_T1_T2_jT3_P12ihipStream_tbPNSt15iterator_traitsISE_E10value_typeEPNSK_ISF_E10value_typeEPSG_NS1_7vsmem_tEENKUlT_SE_SF_SG_E_clIS8_S8_S9_S9_EESD_ST_SE_SF_SG_EUlST_E0_NS1_11comp_targetILNS1_3genE5ELNS1_11target_archE942ELNS1_3gpuE9ELNS1_3repE0EEENS1_38merge_mergepath_config_static_selectorELNS0_4arch9wavefront6targetE1EEEvSF_
    .private_segment_fixed_size: 0
    .sgpr_count:     4
    .sgpr_spill_count: 0
    .symbol:         _ZN7rocprim17ROCPRIM_400000_NS6detail17trampoline_kernelINS0_14default_configENS1_38merge_sort_block_merge_config_selectorIjNS0_10empty_typeEEEZZNS1_27merge_sort_block_merge_implIS3_PjPS5_jNS1_19radix_merge_compareILb0ELb1EjNS0_19identity_decomposerEEEEE10hipError_tT0_T1_T2_jT3_P12ihipStream_tbPNSt15iterator_traitsISE_E10value_typeEPNSK_ISF_E10value_typeEPSG_NS1_7vsmem_tEENKUlT_SE_SF_SG_E_clIS8_S8_S9_S9_EESD_ST_SE_SF_SG_EUlST_E0_NS1_11comp_targetILNS1_3genE5ELNS1_11target_archE942ELNS1_3gpuE9ELNS1_3repE0EEENS1_38merge_mergepath_config_static_selectorELNS0_4arch9wavefront6targetE1EEEvSF_.kd
    .uniform_work_group_size: 1
    .uses_dynamic_stack: false
    .vgpr_count:     0
    .vgpr_spill_count: 0
    .wavefront_size: 64
  - .agpr_count:     0
    .args:
      - .offset:         0
        .size:           64
        .value_kind:     by_value
      - .offset:         64
        .size:           4
        .value_kind:     hidden_block_count_x
      - .offset:         68
        .size:           4
        .value_kind:     hidden_block_count_y
      - .offset:         72
        .size:           4
        .value_kind:     hidden_block_count_z
      - .offset:         76
        .size:           2
        .value_kind:     hidden_group_size_x
      - .offset:         78
        .size:           2
        .value_kind:     hidden_group_size_y
      - .offset:         80
        .size:           2
        .value_kind:     hidden_group_size_z
      - .offset:         82
        .size:           2
        .value_kind:     hidden_remainder_x
      - .offset:         84
        .size:           2
        .value_kind:     hidden_remainder_y
      - .offset:         86
        .size:           2
        .value_kind:     hidden_remainder_z
      - .offset:         104
        .size:           8
        .value_kind:     hidden_global_offset_x
      - .offset:         112
        .size:           8
        .value_kind:     hidden_global_offset_y
      - .offset:         120
        .size:           8
        .value_kind:     hidden_global_offset_z
      - .offset:         128
        .size:           2
        .value_kind:     hidden_grid_dims
    .group_segment_fixed_size: 4224
    .kernarg_segment_align: 8
    .kernarg_segment_size: 320
    .language:       OpenCL C
    .language_version:
      - 2
      - 0
    .max_flat_workgroup_size: 128
    .name:           _ZN7rocprim17ROCPRIM_400000_NS6detail17trampoline_kernelINS0_14default_configENS1_38merge_sort_block_merge_config_selectorIjNS0_10empty_typeEEEZZNS1_27merge_sort_block_merge_implIS3_PjPS5_jNS1_19radix_merge_compareILb0ELb1EjNS0_19identity_decomposerEEEEE10hipError_tT0_T1_T2_jT3_P12ihipStream_tbPNSt15iterator_traitsISE_E10value_typeEPNSK_ISF_E10value_typeEPSG_NS1_7vsmem_tEENKUlT_SE_SF_SG_E_clIS8_S8_S9_S9_EESD_ST_SE_SF_SG_EUlST_E0_NS1_11comp_targetILNS1_3genE4ELNS1_11target_archE910ELNS1_3gpuE8ELNS1_3repE0EEENS1_38merge_mergepath_config_static_selectorELNS0_4arch9wavefront6targetE1EEEvSF_
    .private_segment_fixed_size: 0
    .sgpr_count:     29
    .sgpr_spill_count: 0
    .symbol:         _ZN7rocprim17ROCPRIM_400000_NS6detail17trampoline_kernelINS0_14default_configENS1_38merge_sort_block_merge_config_selectorIjNS0_10empty_typeEEEZZNS1_27merge_sort_block_merge_implIS3_PjPS5_jNS1_19radix_merge_compareILb0ELb1EjNS0_19identity_decomposerEEEEE10hipError_tT0_T1_T2_jT3_P12ihipStream_tbPNSt15iterator_traitsISE_E10value_typeEPNSK_ISF_E10value_typeEPSG_NS1_7vsmem_tEENKUlT_SE_SF_SG_E_clIS8_S8_S9_S9_EESD_ST_SE_SF_SG_EUlST_E0_NS1_11comp_targetILNS1_3genE4ELNS1_11target_archE910ELNS1_3gpuE8ELNS1_3repE0EEENS1_38merge_mergepath_config_static_selectorELNS0_4arch9wavefront6targetE1EEEvSF_.kd
    .uniform_work_group_size: 1
    .uses_dynamic_stack: false
    .vgpr_count:     26
    .vgpr_spill_count: 0
    .wavefront_size: 64
  - .agpr_count:     0
    .args:
      - .offset:         0
        .size:           64
        .value_kind:     by_value
    .group_segment_fixed_size: 0
    .kernarg_segment_align: 8
    .kernarg_segment_size: 64
    .language:       OpenCL C
    .language_version:
      - 2
      - 0
    .max_flat_workgroup_size: 128
    .name:           _ZN7rocprim17ROCPRIM_400000_NS6detail17trampoline_kernelINS0_14default_configENS1_38merge_sort_block_merge_config_selectorIjNS0_10empty_typeEEEZZNS1_27merge_sort_block_merge_implIS3_PjPS5_jNS1_19radix_merge_compareILb0ELb1EjNS0_19identity_decomposerEEEEE10hipError_tT0_T1_T2_jT3_P12ihipStream_tbPNSt15iterator_traitsISE_E10value_typeEPNSK_ISF_E10value_typeEPSG_NS1_7vsmem_tEENKUlT_SE_SF_SG_E_clIS8_S8_S9_S9_EESD_ST_SE_SF_SG_EUlST_E0_NS1_11comp_targetILNS1_3genE3ELNS1_11target_archE908ELNS1_3gpuE7ELNS1_3repE0EEENS1_38merge_mergepath_config_static_selectorELNS0_4arch9wavefront6targetE1EEEvSF_
    .private_segment_fixed_size: 0
    .sgpr_count:     4
    .sgpr_spill_count: 0
    .symbol:         _ZN7rocprim17ROCPRIM_400000_NS6detail17trampoline_kernelINS0_14default_configENS1_38merge_sort_block_merge_config_selectorIjNS0_10empty_typeEEEZZNS1_27merge_sort_block_merge_implIS3_PjPS5_jNS1_19radix_merge_compareILb0ELb1EjNS0_19identity_decomposerEEEEE10hipError_tT0_T1_T2_jT3_P12ihipStream_tbPNSt15iterator_traitsISE_E10value_typeEPNSK_ISF_E10value_typeEPSG_NS1_7vsmem_tEENKUlT_SE_SF_SG_E_clIS8_S8_S9_S9_EESD_ST_SE_SF_SG_EUlST_E0_NS1_11comp_targetILNS1_3genE3ELNS1_11target_archE908ELNS1_3gpuE7ELNS1_3repE0EEENS1_38merge_mergepath_config_static_selectorELNS0_4arch9wavefront6targetE1EEEvSF_.kd
    .uniform_work_group_size: 1
    .uses_dynamic_stack: false
    .vgpr_count:     0
    .vgpr_spill_count: 0
    .wavefront_size: 64
  - .agpr_count:     0
    .args:
      - .offset:         0
        .size:           64
        .value_kind:     by_value
    .group_segment_fixed_size: 0
    .kernarg_segment_align: 8
    .kernarg_segment_size: 64
    .language:       OpenCL C
    .language_version:
      - 2
      - 0
    .max_flat_workgroup_size: 128
    .name:           _ZN7rocprim17ROCPRIM_400000_NS6detail17trampoline_kernelINS0_14default_configENS1_38merge_sort_block_merge_config_selectorIjNS0_10empty_typeEEEZZNS1_27merge_sort_block_merge_implIS3_PjPS5_jNS1_19radix_merge_compareILb0ELb1EjNS0_19identity_decomposerEEEEE10hipError_tT0_T1_T2_jT3_P12ihipStream_tbPNSt15iterator_traitsISE_E10value_typeEPNSK_ISF_E10value_typeEPSG_NS1_7vsmem_tEENKUlT_SE_SF_SG_E_clIS8_S8_S9_S9_EESD_ST_SE_SF_SG_EUlST_E0_NS1_11comp_targetILNS1_3genE2ELNS1_11target_archE906ELNS1_3gpuE6ELNS1_3repE0EEENS1_38merge_mergepath_config_static_selectorELNS0_4arch9wavefront6targetE1EEEvSF_
    .private_segment_fixed_size: 0
    .sgpr_count:     4
    .sgpr_spill_count: 0
    .symbol:         _ZN7rocprim17ROCPRIM_400000_NS6detail17trampoline_kernelINS0_14default_configENS1_38merge_sort_block_merge_config_selectorIjNS0_10empty_typeEEEZZNS1_27merge_sort_block_merge_implIS3_PjPS5_jNS1_19radix_merge_compareILb0ELb1EjNS0_19identity_decomposerEEEEE10hipError_tT0_T1_T2_jT3_P12ihipStream_tbPNSt15iterator_traitsISE_E10value_typeEPNSK_ISF_E10value_typeEPSG_NS1_7vsmem_tEENKUlT_SE_SF_SG_E_clIS8_S8_S9_S9_EESD_ST_SE_SF_SG_EUlST_E0_NS1_11comp_targetILNS1_3genE2ELNS1_11target_archE906ELNS1_3gpuE6ELNS1_3repE0EEENS1_38merge_mergepath_config_static_selectorELNS0_4arch9wavefront6targetE1EEEvSF_.kd
    .uniform_work_group_size: 1
    .uses_dynamic_stack: false
    .vgpr_count:     0
    .vgpr_spill_count: 0
    .wavefront_size: 64
  - .agpr_count:     0
    .args:
      - .offset:         0
        .size:           64
        .value_kind:     by_value
    .group_segment_fixed_size: 0
    .kernarg_segment_align: 8
    .kernarg_segment_size: 64
    .language:       OpenCL C
    .language_version:
      - 2
      - 0
    .max_flat_workgroup_size: 256
    .name:           _ZN7rocprim17ROCPRIM_400000_NS6detail17trampoline_kernelINS0_14default_configENS1_38merge_sort_block_merge_config_selectorIjNS0_10empty_typeEEEZZNS1_27merge_sort_block_merge_implIS3_PjPS5_jNS1_19radix_merge_compareILb0ELb1EjNS0_19identity_decomposerEEEEE10hipError_tT0_T1_T2_jT3_P12ihipStream_tbPNSt15iterator_traitsISE_E10value_typeEPNSK_ISF_E10value_typeEPSG_NS1_7vsmem_tEENKUlT_SE_SF_SG_E_clIS8_S8_S9_S9_EESD_ST_SE_SF_SG_EUlST_E0_NS1_11comp_targetILNS1_3genE9ELNS1_11target_archE1100ELNS1_3gpuE3ELNS1_3repE0EEENS1_38merge_mergepath_config_static_selectorELNS0_4arch9wavefront6targetE1EEEvSF_
    .private_segment_fixed_size: 0
    .sgpr_count:     4
    .sgpr_spill_count: 0
    .symbol:         _ZN7rocprim17ROCPRIM_400000_NS6detail17trampoline_kernelINS0_14default_configENS1_38merge_sort_block_merge_config_selectorIjNS0_10empty_typeEEEZZNS1_27merge_sort_block_merge_implIS3_PjPS5_jNS1_19radix_merge_compareILb0ELb1EjNS0_19identity_decomposerEEEEE10hipError_tT0_T1_T2_jT3_P12ihipStream_tbPNSt15iterator_traitsISE_E10value_typeEPNSK_ISF_E10value_typeEPSG_NS1_7vsmem_tEENKUlT_SE_SF_SG_E_clIS8_S8_S9_S9_EESD_ST_SE_SF_SG_EUlST_E0_NS1_11comp_targetILNS1_3genE9ELNS1_11target_archE1100ELNS1_3gpuE3ELNS1_3repE0EEENS1_38merge_mergepath_config_static_selectorELNS0_4arch9wavefront6targetE1EEEvSF_.kd
    .uniform_work_group_size: 1
    .uses_dynamic_stack: false
    .vgpr_count:     0
    .vgpr_spill_count: 0
    .wavefront_size: 64
  - .agpr_count:     0
    .args:
      - .offset:         0
        .size:           64
        .value_kind:     by_value
    .group_segment_fixed_size: 0
    .kernarg_segment_align: 8
    .kernarg_segment_size: 64
    .language:       OpenCL C
    .language_version:
      - 2
      - 0
    .max_flat_workgroup_size: 512
    .name:           _ZN7rocprim17ROCPRIM_400000_NS6detail17trampoline_kernelINS0_14default_configENS1_38merge_sort_block_merge_config_selectorIjNS0_10empty_typeEEEZZNS1_27merge_sort_block_merge_implIS3_PjPS5_jNS1_19radix_merge_compareILb0ELb1EjNS0_19identity_decomposerEEEEE10hipError_tT0_T1_T2_jT3_P12ihipStream_tbPNSt15iterator_traitsISE_E10value_typeEPNSK_ISF_E10value_typeEPSG_NS1_7vsmem_tEENKUlT_SE_SF_SG_E_clIS8_S8_S9_S9_EESD_ST_SE_SF_SG_EUlST_E0_NS1_11comp_targetILNS1_3genE8ELNS1_11target_archE1030ELNS1_3gpuE2ELNS1_3repE0EEENS1_38merge_mergepath_config_static_selectorELNS0_4arch9wavefront6targetE1EEEvSF_
    .private_segment_fixed_size: 0
    .sgpr_count:     4
    .sgpr_spill_count: 0
    .symbol:         _ZN7rocprim17ROCPRIM_400000_NS6detail17trampoline_kernelINS0_14default_configENS1_38merge_sort_block_merge_config_selectorIjNS0_10empty_typeEEEZZNS1_27merge_sort_block_merge_implIS3_PjPS5_jNS1_19radix_merge_compareILb0ELb1EjNS0_19identity_decomposerEEEEE10hipError_tT0_T1_T2_jT3_P12ihipStream_tbPNSt15iterator_traitsISE_E10value_typeEPNSK_ISF_E10value_typeEPSG_NS1_7vsmem_tEENKUlT_SE_SF_SG_E_clIS8_S8_S9_S9_EESD_ST_SE_SF_SG_EUlST_E0_NS1_11comp_targetILNS1_3genE8ELNS1_11target_archE1030ELNS1_3gpuE2ELNS1_3repE0EEENS1_38merge_mergepath_config_static_selectorELNS0_4arch9wavefront6targetE1EEEvSF_.kd
    .uniform_work_group_size: 1
    .uses_dynamic_stack: false
    .vgpr_count:     0
    .vgpr_spill_count: 0
    .wavefront_size: 64
  - .agpr_count:     0
    .args:
      - .offset:         0
        .size:           48
        .value_kind:     by_value
    .group_segment_fixed_size: 0
    .kernarg_segment_align: 8
    .kernarg_segment_size: 48
    .language:       OpenCL C
    .language_version:
      - 2
      - 0
    .max_flat_workgroup_size: 256
    .name:           _ZN7rocprim17ROCPRIM_400000_NS6detail17trampoline_kernelINS0_14default_configENS1_38merge_sort_block_merge_config_selectorIjNS0_10empty_typeEEEZZNS1_27merge_sort_block_merge_implIS3_PjPS5_jNS1_19radix_merge_compareILb0ELb1EjNS0_19identity_decomposerEEEEE10hipError_tT0_T1_T2_jT3_P12ihipStream_tbPNSt15iterator_traitsISE_E10value_typeEPNSK_ISF_E10value_typeEPSG_NS1_7vsmem_tEENKUlT_SE_SF_SG_E_clIS8_S8_S9_S9_EESD_ST_SE_SF_SG_EUlST_E1_NS1_11comp_targetILNS1_3genE0ELNS1_11target_archE4294967295ELNS1_3gpuE0ELNS1_3repE0EEENS1_36merge_oddeven_config_static_selectorELNS0_4arch9wavefront6targetE1EEEvSF_
    .private_segment_fixed_size: 0
    .sgpr_count:     4
    .sgpr_spill_count: 0
    .symbol:         _ZN7rocprim17ROCPRIM_400000_NS6detail17trampoline_kernelINS0_14default_configENS1_38merge_sort_block_merge_config_selectorIjNS0_10empty_typeEEEZZNS1_27merge_sort_block_merge_implIS3_PjPS5_jNS1_19radix_merge_compareILb0ELb1EjNS0_19identity_decomposerEEEEE10hipError_tT0_T1_T2_jT3_P12ihipStream_tbPNSt15iterator_traitsISE_E10value_typeEPNSK_ISF_E10value_typeEPSG_NS1_7vsmem_tEENKUlT_SE_SF_SG_E_clIS8_S8_S9_S9_EESD_ST_SE_SF_SG_EUlST_E1_NS1_11comp_targetILNS1_3genE0ELNS1_11target_archE4294967295ELNS1_3gpuE0ELNS1_3repE0EEENS1_36merge_oddeven_config_static_selectorELNS0_4arch9wavefront6targetE1EEEvSF_.kd
    .uniform_work_group_size: 1
    .uses_dynamic_stack: false
    .vgpr_count:     0
    .vgpr_spill_count: 0
    .wavefront_size: 64
  - .agpr_count:     0
    .args:
      - .offset:         0
        .size:           48
        .value_kind:     by_value
    .group_segment_fixed_size: 0
    .kernarg_segment_align: 8
    .kernarg_segment_size: 48
    .language:       OpenCL C
    .language_version:
      - 2
      - 0
    .max_flat_workgroup_size: 256
    .name:           _ZN7rocprim17ROCPRIM_400000_NS6detail17trampoline_kernelINS0_14default_configENS1_38merge_sort_block_merge_config_selectorIjNS0_10empty_typeEEEZZNS1_27merge_sort_block_merge_implIS3_PjPS5_jNS1_19radix_merge_compareILb0ELb1EjNS0_19identity_decomposerEEEEE10hipError_tT0_T1_T2_jT3_P12ihipStream_tbPNSt15iterator_traitsISE_E10value_typeEPNSK_ISF_E10value_typeEPSG_NS1_7vsmem_tEENKUlT_SE_SF_SG_E_clIS8_S8_S9_S9_EESD_ST_SE_SF_SG_EUlST_E1_NS1_11comp_targetILNS1_3genE10ELNS1_11target_archE1201ELNS1_3gpuE5ELNS1_3repE0EEENS1_36merge_oddeven_config_static_selectorELNS0_4arch9wavefront6targetE1EEEvSF_
    .private_segment_fixed_size: 0
    .sgpr_count:     4
    .sgpr_spill_count: 0
    .symbol:         _ZN7rocprim17ROCPRIM_400000_NS6detail17trampoline_kernelINS0_14default_configENS1_38merge_sort_block_merge_config_selectorIjNS0_10empty_typeEEEZZNS1_27merge_sort_block_merge_implIS3_PjPS5_jNS1_19radix_merge_compareILb0ELb1EjNS0_19identity_decomposerEEEEE10hipError_tT0_T1_T2_jT3_P12ihipStream_tbPNSt15iterator_traitsISE_E10value_typeEPNSK_ISF_E10value_typeEPSG_NS1_7vsmem_tEENKUlT_SE_SF_SG_E_clIS8_S8_S9_S9_EESD_ST_SE_SF_SG_EUlST_E1_NS1_11comp_targetILNS1_3genE10ELNS1_11target_archE1201ELNS1_3gpuE5ELNS1_3repE0EEENS1_36merge_oddeven_config_static_selectorELNS0_4arch9wavefront6targetE1EEEvSF_.kd
    .uniform_work_group_size: 1
    .uses_dynamic_stack: false
    .vgpr_count:     0
    .vgpr_spill_count: 0
    .wavefront_size: 64
  - .agpr_count:     0
    .args:
      - .offset:         0
        .size:           48
        .value_kind:     by_value
    .group_segment_fixed_size: 0
    .kernarg_segment_align: 8
    .kernarg_segment_size: 48
    .language:       OpenCL C
    .language_version:
      - 2
      - 0
    .max_flat_workgroup_size: 256
    .name:           _ZN7rocprim17ROCPRIM_400000_NS6detail17trampoline_kernelINS0_14default_configENS1_38merge_sort_block_merge_config_selectorIjNS0_10empty_typeEEEZZNS1_27merge_sort_block_merge_implIS3_PjPS5_jNS1_19radix_merge_compareILb0ELb1EjNS0_19identity_decomposerEEEEE10hipError_tT0_T1_T2_jT3_P12ihipStream_tbPNSt15iterator_traitsISE_E10value_typeEPNSK_ISF_E10value_typeEPSG_NS1_7vsmem_tEENKUlT_SE_SF_SG_E_clIS8_S8_S9_S9_EESD_ST_SE_SF_SG_EUlST_E1_NS1_11comp_targetILNS1_3genE5ELNS1_11target_archE942ELNS1_3gpuE9ELNS1_3repE0EEENS1_36merge_oddeven_config_static_selectorELNS0_4arch9wavefront6targetE1EEEvSF_
    .private_segment_fixed_size: 0
    .sgpr_count:     4
    .sgpr_spill_count: 0
    .symbol:         _ZN7rocprim17ROCPRIM_400000_NS6detail17trampoline_kernelINS0_14default_configENS1_38merge_sort_block_merge_config_selectorIjNS0_10empty_typeEEEZZNS1_27merge_sort_block_merge_implIS3_PjPS5_jNS1_19radix_merge_compareILb0ELb1EjNS0_19identity_decomposerEEEEE10hipError_tT0_T1_T2_jT3_P12ihipStream_tbPNSt15iterator_traitsISE_E10value_typeEPNSK_ISF_E10value_typeEPSG_NS1_7vsmem_tEENKUlT_SE_SF_SG_E_clIS8_S8_S9_S9_EESD_ST_SE_SF_SG_EUlST_E1_NS1_11comp_targetILNS1_3genE5ELNS1_11target_archE942ELNS1_3gpuE9ELNS1_3repE0EEENS1_36merge_oddeven_config_static_selectorELNS0_4arch9wavefront6targetE1EEEvSF_.kd
    .uniform_work_group_size: 1
    .uses_dynamic_stack: false
    .vgpr_count:     0
    .vgpr_spill_count: 0
    .wavefront_size: 64
  - .agpr_count:     0
    .args:
      - .offset:         0
        .size:           48
        .value_kind:     by_value
    .group_segment_fixed_size: 0
    .kernarg_segment_align: 8
    .kernarg_segment_size: 48
    .language:       OpenCL C
    .language_version:
      - 2
      - 0
    .max_flat_workgroup_size: 256
    .name:           _ZN7rocprim17ROCPRIM_400000_NS6detail17trampoline_kernelINS0_14default_configENS1_38merge_sort_block_merge_config_selectorIjNS0_10empty_typeEEEZZNS1_27merge_sort_block_merge_implIS3_PjPS5_jNS1_19radix_merge_compareILb0ELb1EjNS0_19identity_decomposerEEEEE10hipError_tT0_T1_T2_jT3_P12ihipStream_tbPNSt15iterator_traitsISE_E10value_typeEPNSK_ISF_E10value_typeEPSG_NS1_7vsmem_tEENKUlT_SE_SF_SG_E_clIS8_S8_S9_S9_EESD_ST_SE_SF_SG_EUlST_E1_NS1_11comp_targetILNS1_3genE4ELNS1_11target_archE910ELNS1_3gpuE8ELNS1_3repE0EEENS1_36merge_oddeven_config_static_selectorELNS0_4arch9wavefront6targetE1EEEvSF_
    .private_segment_fixed_size: 0
    .sgpr_count:     25
    .sgpr_spill_count: 0
    .symbol:         _ZN7rocprim17ROCPRIM_400000_NS6detail17trampoline_kernelINS0_14default_configENS1_38merge_sort_block_merge_config_selectorIjNS0_10empty_typeEEEZZNS1_27merge_sort_block_merge_implIS3_PjPS5_jNS1_19radix_merge_compareILb0ELb1EjNS0_19identity_decomposerEEEEE10hipError_tT0_T1_T2_jT3_P12ihipStream_tbPNSt15iterator_traitsISE_E10value_typeEPNSK_ISF_E10value_typeEPSG_NS1_7vsmem_tEENKUlT_SE_SF_SG_E_clIS8_S8_S9_S9_EESD_ST_SE_SF_SG_EUlST_E1_NS1_11comp_targetILNS1_3genE4ELNS1_11target_archE910ELNS1_3gpuE8ELNS1_3repE0EEENS1_36merge_oddeven_config_static_selectorELNS0_4arch9wavefront6targetE1EEEvSF_.kd
    .uniform_work_group_size: 1
    .uses_dynamic_stack: false
    .vgpr_count:     11
    .vgpr_spill_count: 0
    .wavefront_size: 64
  - .agpr_count:     0
    .args:
      - .offset:         0
        .size:           48
        .value_kind:     by_value
    .group_segment_fixed_size: 0
    .kernarg_segment_align: 8
    .kernarg_segment_size: 48
    .language:       OpenCL C
    .language_version:
      - 2
      - 0
    .max_flat_workgroup_size: 256
    .name:           _ZN7rocprim17ROCPRIM_400000_NS6detail17trampoline_kernelINS0_14default_configENS1_38merge_sort_block_merge_config_selectorIjNS0_10empty_typeEEEZZNS1_27merge_sort_block_merge_implIS3_PjPS5_jNS1_19radix_merge_compareILb0ELb1EjNS0_19identity_decomposerEEEEE10hipError_tT0_T1_T2_jT3_P12ihipStream_tbPNSt15iterator_traitsISE_E10value_typeEPNSK_ISF_E10value_typeEPSG_NS1_7vsmem_tEENKUlT_SE_SF_SG_E_clIS8_S8_S9_S9_EESD_ST_SE_SF_SG_EUlST_E1_NS1_11comp_targetILNS1_3genE3ELNS1_11target_archE908ELNS1_3gpuE7ELNS1_3repE0EEENS1_36merge_oddeven_config_static_selectorELNS0_4arch9wavefront6targetE1EEEvSF_
    .private_segment_fixed_size: 0
    .sgpr_count:     4
    .sgpr_spill_count: 0
    .symbol:         _ZN7rocprim17ROCPRIM_400000_NS6detail17trampoline_kernelINS0_14default_configENS1_38merge_sort_block_merge_config_selectorIjNS0_10empty_typeEEEZZNS1_27merge_sort_block_merge_implIS3_PjPS5_jNS1_19radix_merge_compareILb0ELb1EjNS0_19identity_decomposerEEEEE10hipError_tT0_T1_T2_jT3_P12ihipStream_tbPNSt15iterator_traitsISE_E10value_typeEPNSK_ISF_E10value_typeEPSG_NS1_7vsmem_tEENKUlT_SE_SF_SG_E_clIS8_S8_S9_S9_EESD_ST_SE_SF_SG_EUlST_E1_NS1_11comp_targetILNS1_3genE3ELNS1_11target_archE908ELNS1_3gpuE7ELNS1_3repE0EEENS1_36merge_oddeven_config_static_selectorELNS0_4arch9wavefront6targetE1EEEvSF_.kd
    .uniform_work_group_size: 1
    .uses_dynamic_stack: false
    .vgpr_count:     0
    .vgpr_spill_count: 0
    .wavefront_size: 64
  - .agpr_count:     0
    .args:
      - .offset:         0
        .size:           48
        .value_kind:     by_value
    .group_segment_fixed_size: 0
    .kernarg_segment_align: 8
    .kernarg_segment_size: 48
    .language:       OpenCL C
    .language_version:
      - 2
      - 0
    .max_flat_workgroup_size: 256
    .name:           _ZN7rocprim17ROCPRIM_400000_NS6detail17trampoline_kernelINS0_14default_configENS1_38merge_sort_block_merge_config_selectorIjNS0_10empty_typeEEEZZNS1_27merge_sort_block_merge_implIS3_PjPS5_jNS1_19radix_merge_compareILb0ELb1EjNS0_19identity_decomposerEEEEE10hipError_tT0_T1_T2_jT3_P12ihipStream_tbPNSt15iterator_traitsISE_E10value_typeEPNSK_ISF_E10value_typeEPSG_NS1_7vsmem_tEENKUlT_SE_SF_SG_E_clIS8_S8_S9_S9_EESD_ST_SE_SF_SG_EUlST_E1_NS1_11comp_targetILNS1_3genE2ELNS1_11target_archE906ELNS1_3gpuE6ELNS1_3repE0EEENS1_36merge_oddeven_config_static_selectorELNS0_4arch9wavefront6targetE1EEEvSF_
    .private_segment_fixed_size: 0
    .sgpr_count:     4
    .sgpr_spill_count: 0
    .symbol:         _ZN7rocprim17ROCPRIM_400000_NS6detail17trampoline_kernelINS0_14default_configENS1_38merge_sort_block_merge_config_selectorIjNS0_10empty_typeEEEZZNS1_27merge_sort_block_merge_implIS3_PjPS5_jNS1_19radix_merge_compareILb0ELb1EjNS0_19identity_decomposerEEEEE10hipError_tT0_T1_T2_jT3_P12ihipStream_tbPNSt15iterator_traitsISE_E10value_typeEPNSK_ISF_E10value_typeEPSG_NS1_7vsmem_tEENKUlT_SE_SF_SG_E_clIS8_S8_S9_S9_EESD_ST_SE_SF_SG_EUlST_E1_NS1_11comp_targetILNS1_3genE2ELNS1_11target_archE906ELNS1_3gpuE6ELNS1_3repE0EEENS1_36merge_oddeven_config_static_selectorELNS0_4arch9wavefront6targetE1EEEvSF_.kd
    .uniform_work_group_size: 1
    .uses_dynamic_stack: false
    .vgpr_count:     0
    .vgpr_spill_count: 0
    .wavefront_size: 64
  - .agpr_count:     0
    .args:
      - .offset:         0
        .size:           48
        .value_kind:     by_value
    .group_segment_fixed_size: 0
    .kernarg_segment_align: 8
    .kernarg_segment_size: 48
    .language:       OpenCL C
    .language_version:
      - 2
      - 0
    .max_flat_workgroup_size: 256
    .name:           _ZN7rocprim17ROCPRIM_400000_NS6detail17trampoline_kernelINS0_14default_configENS1_38merge_sort_block_merge_config_selectorIjNS0_10empty_typeEEEZZNS1_27merge_sort_block_merge_implIS3_PjPS5_jNS1_19radix_merge_compareILb0ELb1EjNS0_19identity_decomposerEEEEE10hipError_tT0_T1_T2_jT3_P12ihipStream_tbPNSt15iterator_traitsISE_E10value_typeEPNSK_ISF_E10value_typeEPSG_NS1_7vsmem_tEENKUlT_SE_SF_SG_E_clIS8_S8_S9_S9_EESD_ST_SE_SF_SG_EUlST_E1_NS1_11comp_targetILNS1_3genE9ELNS1_11target_archE1100ELNS1_3gpuE3ELNS1_3repE0EEENS1_36merge_oddeven_config_static_selectorELNS0_4arch9wavefront6targetE1EEEvSF_
    .private_segment_fixed_size: 0
    .sgpr_count:     4
    .sgpr_spill_count: 0
    .symbol:         _ZN7rocprim17ROCPRIM_400000_NS6detail17trampoline_kernelINS0_14default_configENS1_38merge_sort_block_merge_config_selectorIjNS0_10empty_typeEEEZZNS1_27merge_sort_block_merge_implIS3_PjPS5_jNS1_19radix_merge_compareILb0ELb1EjNS0_19identity_decomposerEEEEE10hipError_tT0_T1_T2_jT3_P12ihipStream_tbPNSt15iterator_traitsISE_E10value_typeEPNSK_ISF_E10value_typeEPSG_NS1_7vsmem_tEENKUlT_SE_SF_SG_E_clIS8_S8_S9_S9_EESD_ST_SE_SF_SG_EUlST_E1_NS1_11comp_targetILNS1_3genE9ELNS1_11target_archE1100ELNS1_3gpuE3ELNS1_3repE0EEENS1_36merge_oddeven_config_static_selectorELNS0_4arch9wavefront6targetE1EEEvSF_.kd
    .uniform_work_group_size: 1
    .uses_dynamic_stack: false
    .vgpr_count:     0
    .vgpr_spill_count: 0
    .wavefront_size: 64
  - .agpr_count:     0
    .args:
      - .offset:         0
        .size:           48
        .value_kind:     by_value
    .group_segment_fixed_size: 0
    .kernarg_segment_align: 8
    .kernarg_segment_size: 48
    .language:       OpenCL C
    .language_version:
      - 2
      - 0
    .max_flat_workgroup_size: 256
    .name:           _ZN7rocprim17ROCPRIM_400000_NS6detail17trampoline_kernelINS0_14default_configENS1_38merge_sort_block_merge_config_selectorIjNS0_10empty_typeEEEZZNS1_27merge_sort_block_merge_implIS3_PjPS5_jNS1_19radix_merge_compareILb0ELb1EjNS0_19identity_decomposerEEEEE10hipError_tT0_T1_T2_jT3_P12ihipStream_tbPNSt15iterator_traitsISE_E10value_typeEPNSK_ISF_E10value_typeEPSG_NS1_7vsmem_tEENKUlT_SE_SF_SG_E_clIS8_S8_S9_S9_EESD_ST_SE_SF_SG_EUlST_E1_NS1_11comp_targetILNS1_3genE8ELNS1_11target_archE1030ELNS1_3gpuE2ELNS1_3repE0EEENS1_36merge_oddeven_config_static_selectorELNS0_4arch9wavefront6targetE1EEEvSF_
    .private_segment_fixed_size: 0
    .sgpr_count:     4
    .sgpr_spill_count: 0
    .symbol:         _ZN7rocprim17ROCPRIM_400000_NS6detail17trampoline_kernelINS0_14default_configENS1_38merge_sort_block_merge_config_selectorIjNS0_10empty_typeEEEZZNS1_27merge_sort_block_merge_implIS3_PjPS5_jNS1_19radix_merge_compareILb0ELb1EjNS0_19identity_decomposerEEEEE10hipError_tT0_T1_T2_jT3_P12ihipStream_tbPNSt15iterator_traitsISE_E10value_typeEPNSK_ISF_E10value_typeEPSG_NS1_7vsmem_tEENKUlT_SE_SF_SG_E_clIS8_S8_S9_S9_EESD_ST_SE_SF_SG_EUlST_E1_NS1_11comp_targetILNS1_3genE8ELNS1_11target_archE1030ELNS1_3gpuE2ELNS1_3repE0EEENS1_36merge_oddeven_config_static_selectorELNS0_4arch9wavefront6targetE1EEEvSF_.kd
    .uniform_work_group_size: 1
    .uses_dynamic_stack: false
    .vgpr_count:     0
    .vgpr_spill_count: 0
    .wavefront_size: 64
  - .agpr_count:     0
    .args:
      - .offset:         0
        .size:           48
        .value_kind:     by_value
    .group_segment_fixed_size: 0
    .kernarg_segment_align: 8
    .kernarg_segment_size: 48
    .language:       OpenCL C
    .language_version:
      - 2
      - 0
    .max_flat_workgroup_size: 512
    .name:           _ZN7rocprim17ROCPRIM_400000_NS6detail17trampoline_kernelINS0_14default_configENS1_35radix_sort_onesweep_config_selectorIjNS0_10empty_typeEEEZNS1_34radix_sort_onesweep_global_offsetsIS3_Lb0EPjPS5_mNS0_19identity_decomposerEEE10hipError_tT1_T2_PT3_SE_jT4_jjP12ihipStream_tbEUlT_E_NS1_11comp_targetILNS1_3genE0ELNS1_11target_archE4294967295ELNS1_3gpuE0ELNS1_3repE0EEENS1_52radix_sort_onesweep_histogram_config_static_selectorELNS0_4arch9wavefront6targetE1EEEvSC_
    .private_segment_fixed_size: 0
    .sgpr_count:     4
    .sgpr_spill_count: 0
    .symbol:         _ZN7rocprim17ROCPRIM_400000_NS6detail17trampoline_kernelINS0_14default_configENS1_35radix_sort_onesweep_config_selectorIjNS0_10empty_typeEEEZNS1_34radix_sort_onesweep_global_offsetsIS3_Lb0EPjPS5_mNS0_19identity_decomposerEEE10hipError_tT1_T2_PT3_SE_jT4_jjP12ihipStream_tbEUlT_E_NS1_11comp_targetILNS1_3genE0ELNS1_11target_archE4294967295ELNS1_3gpuE0ELNS1_3repE0EEENS1_52radix_sort_onesweep_histogram_config_static_selectorELNS0_4arch9wavefront6targetE1EEEvSC_.kd
    .uniform_work_group_size: 1
    .uses_dynamic_stack: false
    .vgpr_count:     0
    .vgpr_spill_count: 0
    .wavefront_size: 64
  - .agpr_count:     0
    .args:
      - .offset:         0
        .size:           48
        .value_kind:     by_value
    .group_segment_fixed_size: 0
    .kernarg_segment_align: 8
    .kernarg_segment_size: 48
    .language:       OpenCL C
    .language_version:
      - 2
      - 0
    .max_flat_workgroup_size: 1024
    .name:           _ZN7rocprim17ROCPRIM_400000_NS6detail17trampoline_kernelINS0_14default_configENS1_35radix_sort_onesweep_config_selectorIjNS0_10empty_typeEEEZNS1_34radix_sort_onesweep_global_offsetsIS3_Lb0EPjPS5_mNS0_19identity_decomposerEEE10hipError_tT1_T2_PT3_SE_jT4_jjP12ihipStream_tbEUlT_E_NS1_11comp_targetILNS1_3genE6ELNS1_11target_archE950ELNS1_3gpuE13ELNS1_3repE0EEENS1_52radix_sort_onesweep_histogram_config_static_selectorELNS0_4arch9wavefront6targetE1EEEvSC_
    .private_segment_fixed_size: 0
    .sgpr_count:     4
    .sgpr_spill_count: 0
    .symbol:         _ZN7rocprim17ROCPRIM_400000_NS6detail17trampoline_kernelINS0_14default_configENS1_35radix_sort_onesweep_config_selectorIjNS0_10empty_typeEEEZNS1_34radix_sort_onesweep_global_offsetsIS3_Lb0EPjPS5_mNS0_19identity_decomposerEEE10hipError_tT1_T2_PT3_SE_jT4_jjP12ihipStream_tbEUlT_E_NS1_11comp_targetILNS1_3genE6ELNS1_11target_archE950ELNS1_3gpuE13ELNS1_3repE0EEENS1_52radix_sort_onesweep_histogram_config_static_selectorELNS0_4arch9wavefront6targetE1EEEvSC_.kd
    .uniform_work_group_size: 1
    .uses_dynamic_stack: false
    .vgpr_count:     0
    .vgpr_spill_count: 0
    .wavefront_size: 64
  - .agpr_count:     0
    .args:
      - .offset:         0
        .size:           48
        .value_kind:     by_value
    .group_segment_fixed_size: 0
    .kernarg_segment_align: 8
    .kernarg_segment_size: 48
    .language:       OpenCL C
    .language_version:
      - 2
      - 0
    .max_flat_workgroup_size: 1024
    .name:           _ZN7rocprim17ROCPRIM_400000_NS6detail17trampoline_kernelINS0_14default_configENS1_35radix_sort_onesweep_config_selectorIjNS0_10empty_typeEEEZNS1_34radix_sort_onesweep_global_offsetsIS3_Lb0EPjPS5_mNS0_19identity_decomposerEEE10hipError_tT1_T2_PT3_SE_jT4_jjP12ihipStream_tbEUlT_E_NS1_11comp_targetILNS1_3genE5ELNS1_11target_archE942ELNS1_3gpuE9ELNS1_3repE0EEENS1_52radix_sort_onesweep_histogram_config_static_selectorELNS0_4arch9wavefront6targetE1EEEvSC_
    .private_segment_fixed_size: 0
    .sgpr_count:     4
    .sgpr_spill_count: 0
    .symbol:         _ZN7rocprim17ROCPRIM_400000_NS6detail17trampoline_kernelINS0_14default_configENS1_35radix_sort_onesweep_config_selectorIjNS0_10empty_typeEEEZNS1_34radix_sort_onesweep_global_offsetsIS3_Lb0EPjPS5_mNS0_19identity_decomposerEEE10hipError_tT1_T2_PT3_SE_jT4_jjP12ihipStream_tbEUlT_E_NS1_11comp_targetILNS1_3genE5ELNS1_11target_archE942ELNS1_3gpuE9ELNS1_3repE0EEENS1_52radix_sort_onesweep_histogram_config_static_selectorELNS0_4arch9wavefront6targetE1EEEvSC_.kd
    .uniform_work_group_size: 1
    .uses_dynamic_stack: false
    .vgpr_count:     0
    .vgpr_spill_count: 0
    .wavefront_size: 64
  - .agpr_count:     0
    .args:
      - .offset:         0
        .size:           48
        .value_kind:     by_value
    .group_segment_fixed_size: 0
    .kernarg_segment_align: 8
    .kernarg_segment_size: 48
    .language:       OpenCL C
    .language_version:
      - 2
      - 0
    .max_flat_workgroup_size: 1024
    .name:           _ZN7rocprim17ROCPRIM_400000_NS6detail17trampoline_kernelINS0_14default_configENS1_35radix_sort_onesweep_config_selectorIjNS0_10empty_typeEEEZNS1_34radix_sort_onesweep_global_offsetsIS3_Lb0EPjPS5_mNS0_19identity_decomposerEEE10hipError_tT1_T2_PT3_SE_jT4_jjP12ihipStream_tbEUlT_E_NS1_11comp_targetILNS1_3genE2ELNS1_11target_archE906ELNS1_3gpuE6ELNS1_3repE0EEENS1_52radix_sort_onesweep_histogram_config_static_selectorELNS0_4arch9wavefront6targetE1EEEvSC_
    .private_segment_fixed_size: 0
    .sgpr_count:     4
    .sgpr_spill_count: 0
    .symbol:         _ZN7rocprim17ROCPRIM_400000_NS6detail17trampoline_kernelINS0_14default_configENS1_35radix_sort_onesweep_config_selectorIjNS0_10empty_typeEEEZNS1_34radix_sort_onesweep_global_offsetsIS3_Lb0EPjPS5_mNS0_19identity_decomposerEEE10hipError_tT1_T2_PT3_SE_jT4_jjP12ihipStream_tbEUlT_E_NS1_11comp_targetILNS1_3genE2ELNS1_11target_archE906ELNS1_3gpuE6ELNS1_3repE0EEENS1_52radix_sort_onesweep_histogram_config_static_selectorELNS0_4arch9wavefront6targetE1EEEvSC_.kd
    .uniform_work_group_size: 1
    .uses_dynamic_stack: false
    .vgpr_count:     0
    .vgpr_spill_count: 0
    .wavefront_size: 64
  - .agpr_count:     0
    .args:
      - .offset:         0
        .size:           48
        .value_kind:     by_value
    .group_segment_fixed_size: 16384
    .kernarg_segment_align: 8
    .kernarg_segment_size: 48
    .language:       OpenCL C
    .language_version:
      - 2
      - 0
    .max_flat_workgroup_size: 1024
    .name:           _ZN7rocprim17ROCPRIM_400000_NS6detail17trampoline_kernelINS0_14default_configENS1_35radix_sort_onesweep_config_selectorIjNS0_10empty_typeEEEZNS1_34radix_sort_onesweep_global_offsetsIS3_Lb0EPjPS5_mNS0_19identity_decomposerEEE10hipError_tT1_T2_PT3_SE_jT4_jjP12ihipStream_tbEUlT_E_NS1_11comp_targetILNS1_3genE4ELNS1_11target_archE910ELNS1_3gpuE8ELNS1_3repE0EEENS1_52radix_sort_onesweep_histogram_config_static_selectorELNS0_4arch9wavefront6targetE1EEEvSC_
    .private_segment_fixed_size: 0
    .sgpr_count:     22
    .sgpr_spill_count: 0
    .symbol:         _ZN7rocprim17ROCPRIM_400000_NS6detail17trampoline_kernelINS0_14default_configENS1_35radix_sort_onesweep_config_selectorIjNS0_10empty_typeEEEZNS1_34radix_sort_onesweep_global_offsetsIS3_Lb0EPjPS5_mNS0_19identity_decomposerEEE10hipError_tT1_T2_PT3_SE_jT4_jjP12ihipStream_tbEUlT_E_NS1_11comp_targetILNS1_3genE4ELNS1_11target_archE910ELNS1_3gpuE8ELNS1_3repE0EEENS1_52radix_sort_onesweep_histogram_config_static_selectorELNS0_4arch9wavefront6targetE1EEEvSC_.kd
    .uniform_work_group_size: 1
    .uses_dynamic_stack: false
    .vgpr_count:     28
    .vgpr_spill_count: 0
    .wavefront_size: 64
  - .agpr_count:     0
    .args:
      - .offset:         0
        .size:           48
        .value_kind:     by_value
    .group_segment_fixed_size: 0
    .kernarg_segment_align: 8
    .kernarg_segment_size: 48
    .language:       OpenCL C
    .language_version:
      - 2
      - 0
    .max_flat_workgroup_size: 512
    .name:           _ZN7rocprim17ROCPRIM_400000_NS6detail17trampoline_kernelINS0_14default_configENS1_35radix_sort_onesweep_config_selectorIjNS0_10empty_typeEEEZNS1_34radix_sort_onesweep_global_offsetsIS3_Lb0EPjPS5_mNS0_19identity_decomposerEEE10hipError_tT1_T2_PT3_SE_jT4_jjP12ihipStream_tbEUlT_E_NS1_11comp_targetILNS1_3genE3ELNS1_11target_archE908ELNS1_3gpuE7ELNS1_3repE0EEENS1_52radix_sort_onesweep_histogram_config_static_selectorELNS0_4arch9wavefront6targetE1EEEvSC_
    .private_segment_fixed_size: 0
    .sgpr_count:     4
    .sgpr_spill_count: 0
    .symbol:         _ZN7rocprim17ROCPRIM_400000_NS6detail17trampoline_kernelINS0_14default_configENS1_35radix_sort_onesweep_config_selectorIjNS0_10empty_typeEEEZNS1_34radix_sort_onesweep_global_offsetsIS3_Lb0EPjPS5_mNS0_19identity_decomposerEEE10hipError_tT1_T2_PT3_SE_jT4_jjP12ihipStream_tbEUlT_E_NS1_11comp_targetILNS1_3genE3ELNS1_11target_archE908ELNS1_3gpuE7ELNS1_3repE0EEENS1_52radix_sort_onesweep_histogram_config_static_selectorELNS0_4arch9wavefront6targetE1EEEvSC_.kd
    .uniform_work_group_size: 1
    .uses_dynamic_stack: false
    .vgpr_count:     0
    .vgpr_spill_count: 0
    .wavefront_size: 64
  - .agpr_count:     0
    .args:
      - .offset:         0
        .size:           48
        .value_kind:     by_value
    .group_segment_fixed_size: 0
    .kernarg_segment_align: 8
    .kernarg_segment_size: 48
    .language:       OpenCL C
    .language_version:
      - 2
      - 0
    .max_flat_workgroup_size: 1024
    .name:           _ZN7rocprim17ROCPRIM_400000_NS6detail17trampoline_kernelINS0_14default_configENS1_35radix_sort_onesweep_config_selectorIjNS0_10empty_typeEEEZNS1_34radix_sort_onesweep_global_offsetsIS3_Lb0EPjPS5_mNS0_19identity_decomposerEEE10hipError_tT1_T2_PT3_SE_jT4_jjP12ihipStream_tbEUlT_E_NS1_11comp_targetILNS1_3genE10ELNS1_11target_archE1201ELNS1_3gpuE5ELNS1_3repE0EEENS1_52radix_sort_onesweep_histogram_config_static_selectorELNS0_4arch9wavefront6targetE1EEEvSC_
    .private_segment_fixed_size: 0
    .sgpr_count:     4
    .sgpr_spill_count: 0
    .symbol:         _ZN7rocprim17ROCPRIM_400000_NS6detail17trampoline_kernelINS0_14default_configENS1_35radix_sort_onesweep_config_selectorIjNS0_10empty_typeEEEZNS1_34radix_sort_onesweep_global_offsetsIS3_Lb0EPjPS5_mNS0_19identity_decomposerEEE10hipError_tT1_T2_PT3_SE_jT4_jjP12ihipStream_tbEUlT_E_NS1_11comp_targetILNS1_3genE10ELNS1_11target_archE1201ELNS1_3gpuE5ELNS1_3repE0EEENS1_52radix_sort_onesweep_histogram_config_static_selectorELNS0_4arch9wavefront6targetE1EEEvSC_.kd
    .uniform_work_group_size: 1
    .uses_dynamic_stack: false
    .vgpr_count:     0
    .vgpr_spill_count: 0
    .wavefront_size: 64
  - .agpr_count:     0
    .args:
      - .offset:         0
        .size:           48
        .value_kind:     by_value
    .group_segment_fixed_size: 0
    .kernarg_segment_align: 8
    .kernarg_segment_size: 48
    .language:       OpenCL C
    .language_version:
      - 2
      - 0
    .max_flat_workgroup_size: 1024
    .name:           _ZN7rocprim17ROCPRIM_400000_NS6detail17trampoline_kernelINS0_14default_configENS1_35radix_sort_onesweep_config_selectorIjNS0_10empty_typeEEEZNS1_34radix_sort_onesweep_global_offsetsIS3_Lb0EPjPS5_mNS0_19identity_decomposerEEE10hipError_tT1_T2_PT3_SE_jT4_jjP12ihipStream_tbEUlT_E_NS1_11comp_targetILNS1_3genE9ELNS1_11target_archE1100ELNS1_3gpuE3ELNS1_3repE0EEENS1_52radix_sort_onesweep_histogram_config_static_selectorELNS0_4arch9wavefront6targetE1EEEvSC_
    .private_segment_fixed_size: 0
    .sgpr_count:     4
    .sgpr_spill_count: 0
    .symbol:         _ZN7rocprim17ROCPRIM_400000_NS6detail17trampoline_kernelINS0_14default_configENS1_35radix_sort_onesweep_config_selectorIjNS0_10empty_typeEEEZNS1_34radix_sort_onesweep_global_offsetsIS3_Lb0EPjPS5_mNS0_19identity_decomposerEEE10hipError_tT1_T2_PT3_SE_jT4_jjP12ihipStream_tbEUlT_E_NS1_11comp_targetILNS1_3genE9ELNS1_11target_archE1100ELNS1_3gpuE3ELNS1_3repE0EEENS1_52radix_sort_onesweep_histogram_config_static_selectorELNS0_4arch9wavefront6targetE1EEEvSC_.kd
    .uniform_work_group_size: 1
    .uses_dynamic_stack: false
    .vgpr_count:     0
    .vgpr_spill_count: 0
    .wavefront_size: 64
  - .agpr_count:     0
    .args:
      - .offset:         0
        .size:           48
        .value_kind:     by_value
    .group_segment_fixed_size: 0
    .kernarg_segment_align: 8
    .kernarg_segment_size: 48
    .language:       OpenCL C
    .language_version:
      - 2
      - 0
    .max_flat_workgroup_size: 1024
    .name:           _ZN7rocprim17ROCPRIM_400000_NS6detail17trampoline_kernelINS0_14default_configENS1_35radix_sort_onesweep_config_selectorIjNS0_10empty_typeEEEZNS1_34radix_sort_onesweep_global_offsetsIS3_Lb0EPjPS5_mNS0_19identity_decomposerEEE10hipError_tT1_T2_PT3_SE_jT4_jjP12ihipStream_tbEUlT_E_NS1_11comp_targetILNS1_3genE8ELNS1_11target_archE1030ELNS1_3gpuE2ELNS1_3repE0EEENS1_52radix_sort_onesweep_histogram_config_static_selectorELNS0_4arch9wavefront6targetE1EEEvSC_
    .private_segment_fixed_size: 0
    .sgpr_count:     4
    .sgpr_spill_count: 0
    .symbol:         _ZN7rocprim17ROCPRIM_400000_NS6detail17trampoline_kernelINS0_14default_configENS1_35radix_sort_onesweep_config_selectorIjNS0_10empty_typeEEEZNS1_34radix_sort_onesweep_global_offsetsIS3_Lb0EPjPS5_mNS0_19identity_decomposerEEE10hipError_tT1_T2_PT3_SE_jT4_jjP12ihipStream_tbEUlT_E_NS1_11comp_targetILNS1_3genE8ELNS1_11target_archE1030ELNS1_3gpuE2ELNS1_3repE0EEENS1_52radix_sort_onesweep_histogram_config_static_selectorELNS0_4arch9wavefront6targetE1EEEvSC_.kd
    .uniform_work_group_size: 1
    .uses_dynamic_stack: false
    .vgpr_count:     0
    .vgpr_spill_count: 0
    .wavefront_size: 64
  - .agpr_count:     0
    .args:
      - .address_space:  global
        .offset:         0
        .size:           8
        .value_kind:     global_buffer
    .group_segment_fixed_size: 0
    .kernarg_segment_align: 8
    .kernarg_segment_size: 8
    .language:       OpenCL C
    .language_version:
      - 2
      - 0
    .max_flat_workgroup_size: 512
    .name:           _ZN7rocprim17ROCPRIM_400000_NS6detail17trampoline_kernelINS0_14default_configENS1_35radix_sort_onesweep_config_selectorIjNS0_10empty_typeEEEZNS1_34radix_sort_onesweep_global_offsetsIS3_Lb0EPjPS5_mNS0_19identity_decomposerEEE10hipError_tT1_T2_PT3_SE_jT4_jjP12ihipStream_tbEUlT_E0_NS1_11comp_targetILNS1_3genE0ELNS1_11target_archE4294967295ELNS1_3gpuE0ELNS1_3repE0EEENS1_52radix_sort_onesweep_histogram_config_static_selectorELNS0_4arch9wavefront6targetE1EEEvSC_
    .private_segment_fixed_size: 0
    .sgpr_count:     4
    .sgpr_spill_count: 0
    .symbol:         _ZN7rocprim17ROCPRIM_400000_NS6detail17trampoline_kernelINS0_14default_configENS1_35radix_sort_onesweep_config_selectorIjNS0_10empty_typeEEEZNS1_34radix_sort_onesweep_global_offsetsIS3_Lb0EPjPS5_mNS0_19identity_decomposerEEE10hipError_tT1_T2_PT3_SE_jT4_jjP12ihipStream_tbEUlT_E0_NS1_11comp_targetILNS1_3genE0ELNS1_11target_archE4294967295ELNS1_3gpuE0ELNS1_3repE0EEENS1_52radix_sort_onesweep_histogram_config_static_selectorELNS0_4arch9wavefront6targetE1EEEvSC_.kd
    .uniform_work_group_size: 1
    .uses_dynamic_stack: false
    .vgpr_count:     0
    .vgpr_spill_count: 0
    .wavefront_size: 64
  - .agpr_count:     0
    .args:
      - .address_space:  global
        .offset:         0
        .size:           8
        .value_kind:     global_buffer
    .group_segment_fixed_size: 0
    .kernarg_segment_align: 8
    .kernarg_segment_size: 8
    .language:       OpenCL C
    .language_version:
      - 2
      - 0
    .max_flat_workgroup_size: 1024
    .name:           _ZN7rocprim17ROCPRIM_400000_NS6detail17trampoline_kernelINS0_14default_configENS1_35radix_sort_onesweep_config_selectorIjNS0_10empty_typeEEEZNS1_34radix_sort_onesweep_global_offsetsIS3_Lb0EPjPS5_mNS0_19identity_decomposerEEE10hipError_tT1_T2_PT3_SE_jT4_jjP12ihipStream_tbEUlT_E0_NS1_11comp_targetILNS1_3genE6ELNS1_11target_archE950ELNS1_3gpuE13ELNS1_3repE0EEENS1_52radix_sort_onesweep_histogram_config_static_selectorELNS0_4arch9wavefront6targetE1EEEvSC_
    .private_segment_fixed_size: 0
    .sgpr_count:     4
    .sgpr_spill_count: 0
    .symbol:         _ZN7rocprim17ROCPRIM_400000_NS6detail17trampoline_kernelINS0_14default_configENS1_35radix_sort_onesweep_config_selectorIjNS0_10empty_typeEEEZNS1_34radix_sort_onesweep_global_offsetsIS3_Lb0EPjPS5_mNS0_19identity_decomposerEEE10hipError_tT1_T2_PT3_SE_jT4_jjP12ihipStream_tbEUlT_E0_NS1_11comp_targetILNS1_3genE6ELNS1_11target_archE950ELNS1_3gpuE13ELNS1_3repE0EEENS1_52radix_sort_onesweep_histogram_config_static_selectorELNS0_4arch9wavefront6targetE1EEEvSC_.kd
    .uniform_work_group_size: 1
    .uses_dynamic_stack: false
    .vgpr_count:     0
    .vgpr_spill_count: 0
    .wavefront_size: 64
  - .agpr_count:     0
    .args:
      - .address_space:  global
        .offset:         0
        .size:           8
        .value_kind:     global_buffer
    .group_segment_fixed_size: 0
    .kernarg_segment_align: 8
    .kernarg_segment_size: 8
    .language:       OpenCL C
    .language_version:
      - 2
      - 0
    .max_flat_workgroup_size: 1024
    .name:           _ZN7rocprim17ROCPRIM_400000_NS6detail17trampoline_kernelINS0_14default_configENS1_35radix_sort_onesweep_config_selectorIjNS0_10empty_typeEEEZNS1_34radix_sort_onesweep_global_offsetsIS3_Lb0EPjPS5_mNS0_19identity_decomposerEEE10hipError_tT1_T2_PT3_SE_jT4_jjP12ihipStream_tbEUlT_E0_NS1_11comp_targetILNS1_3genE5ELNS1_11target_archE942ELNS1_3gpuE9ELNS1_3repE0EEENS1_52radix_sort_onesweep_histogram_config_static_selectorELNS0_4arch9wavefront6targetE1EEEvSC_
    .private_segment_fixed_size: 0
    .sgpr_count:     4
    .sgpr_spill_count: 0
    .symbol:         _ZN7rocprim17ROCPRIM_400000_NS6detail17trampoline_kernelINS0_14default_configENS1_35radix_sort_onesweep_config_selectorIjNS0_10empty_typeEEEZNS1_34radix_sort_onesweep_global_offsetsIS3_Lb0EPjPS5_mNS0_19identity_decomposerEEE10hipError_tT1_T2_PT3_SE_jT4_jjP12ihipStream_tbEUlT_E0_NS1_11comp_targetILNS1_3genE5ELNS1_11target_archE942ELNS1_3gpuE9ELNS1_3repE0EEENS1_52radix_sort_onesweep_histogram_config_static_selectorELNS0_4arch9wavefront6targetE1EEEvSC_.kd
    .uniform_work_group_size: 1
    .uses_dynamic_stack: false
    .vgpr_count:     0
    .vgpr_spill_count: 0
    .wavefront_size: 64
  - .agpr_count:     0
    .args:
      - .address_space:  global
        .offset:         0
        .size:           8
        .value_kind:     global_buffer
    .group_segment_fixed_size: 0
    .kernarg_segment_align: 8
    .kernarg_segment_size: 8
    .language:       OpenCL C
    .language_version:
      - 2
      - 0
    .max_flat_workgroup_size: 1024
    .name:           _ZN7rocprim17ROCPRIM_400000_NS6detail17trampoline_kernelINS0_14default_configENS1_35radix_sort_onesweep_config_selectorIjNS0_10empty_typeEEEZNS1_34radix_sort_onesweep_global_offsetsIS3_Lb0EPjPS5_mNS0_19identity_decomposerEEE10hipError_tT1_T2_PT3_SE_jT4_jjP12ihipStream_tbEUlT_E0_NS1_11comp_targetILNS1_3genE2ELNS1_11target_archE906ELNS1_3gpuE6ELNS1_3repE0EEENS1_52radix_sort_onesweep_histogram_config_static_selectorELNS0_4arch9wavefront6targetE1EEEvSC_
    .private_segment_fixed_size: 0
    .sgpr_count:     4
    .sgpr_spill_count: 0
    .symbol:         _ZN7rocprim17ROCPRIM_400000_NS6detail17trampoline_kernelINS0_14default_configENS1_35radix_sort_onesweep_config_selectorIjNS0_10empty_typeEEEZNS1_34radix_sort_onesweep_global_offsetsIS3_Lb0EPjPS5_mNS0_19identity_decomposerEEE10hipError_tT1_T2_PT3_SE_jT4_jjP12ihipStream_tbEUlT_E0_NS1_11comp_targetILNS1_3genE2ELNS1_11target_archE906ELNS1_3gpuE6ELNS1_3repE0EEENS1_52radix_sort_onesweep_histogram_config_static_selectorELNS0_4arch9wavefront6targetE1EEEvSC_.kd
    .uniform_work_group_size: 1
    .uses_dynamic_stack: false
    .vgpr_count:     0
    .vgpr_spill_count: 0
    .wavefront_size: 64
  - .agpr_count:     0
    .args:
      - .address_space:  global
        .offset:         0
        .size:           8
        .value_kind:     global_buffer
    .group_segment_fixed_size: 128
    .kernarg_segment_align: 8
    .kernarg_segment_size: 8
    .language:       OpenCL C
    .language_version:
      - 2
      - 0
    .max_flat_workgroup_size: 1024
    .name:           _ZN7rocprim17ROCPRIM_400000_NS6detail17trampoline_kernelINS0_14default_configENS1_35radix_sort_onesweep_config_selectorIjNS0_10empty_typeEEEZNS1_34radix_sort_onesweep_global_offsetsIS3_Lb0EPjPS5_mNS0_19identity_decomposerEEE10hipError_tT1_T2_PT3_SE_jT4_jjP12ihipStream_tbEUlT_E0_NS1_11comp_targetILNS1_3genE4ELNS1_11target_archE910ELNS1_3gpuE8ELNS1_3repE0EEENS1_52radix_sort_onesweep_histogram_config_static_selectorELNS0_4arch9wavefront6targetE1EEEvSC_
    .private_segment_fixed_size: 0
    .sgpr_count:     22
    .sgpr_spill_count: 0
    .symbol:         _ZN7rocprim17ROCPRIM_400000_NS6detail17trampoline_kernelINS0_14default_configENS1_35radix_sort_onesweep_config_selectorIjNS0_10empty_typeEEEZNS1_34radix_sort_onesweep_global_offsetsIS3_Lb0EPjPS5_mNS0_19identity_decomposerEEE10hipError_tT1_T2_PT3_SE_jT4_jjP12ihipStream_tbEUlT_E0_NS1_11comp_targetILNS1_3genE4ELNS1_11target_archE910ELNS1_3gpuE8ELNS1_3repE0EEENS1_52radix_sort_onesweep_histogram_config_static_selectorELNS0_4arch9wavefront6targetE1EEEvSC_.kd
    .uniform_work_group_size: 1
    .uses_dynamic_stack: false
    .vgpr_count:     13
    .vgpr_spill_count: 0
    .wavefront_size: 64
  - .agpr_count:     0
    .args:
      - .address_space:  global
        .offset:         0
        .size:           8
        .value_kind:     global_buffer
    .group_segment_fixed_size: 0
    .kernarg_segment_align: 8
    .kernarg_segment_size: 8
    .language:       OpenCL C
    .language_version:
      - 2
      - 0
    .max_flat_workgroup_size: 512
    .name:           _ZN7rocprim17ROCPRIM_400000_NS6detail17trampoline_kernelINS0_14default_configENS1_35radix_sort_onesweep_config_selectorIjNS0_10empty_typeEEEZNS1_34radix_sort_onesweep_global_offsetsIS3_Lb0EPjPS5_mNS0_19identity_decomposerEEE10hipError_tT1_T2_PT3_SE_jT4_jjP12ihipStream_tbEUlT_E0_NS1_11comp_targetILNS1_3genE3ELNS1_11target_archE908ELNS1_3gpuE7ELNS1_3repE0EEENS1_52radix_sort_onesweep_histogram_config_static_selectorELNS0_4arch9wavefront6targetE1EEEvSC_
    .private_segment_fixed_size: 0
    .sgpr_count:     4
    .sgpr_spill_count: 0
    .symbol:         _ZN7rocprim17ROCPRIM_400000_NS6detail17trampoline_kernelINS0_14default_configENS1_35radix_sort_onesweep_config_selectorIjNS0_10empty_typeEEEZNS1_34radix_sort_onesweep_global_offsetsIS3_Lb0EPjPS5_mNS0_19identity_decomposerEEE10hipError_tT1_T2_PT3_SE_jT4_jjP12ihipStream_tbEUlT_E0_NS1_11comp_targetILNS1_3genE3ELNS1_11target_archE908ELNS1_3gpuE7ELNS1_3repE0EEENS1_52radix_sort_onesweep_histogram_config_static_selectorELNS0_4arch9wavefront6targetE1EEEvSC_.kd
    .uniform_work_group_size: 1
    .uses_dynamic_stack: false
    .vgpr_count:     0
    .vgpr_spill_count: 0
    .wavefront_size: 64
  - .agpr_count:     0
    .args:
      - .address_space:  global
        .offset:         0
        .size:           8
        .value_kind:     global_buffer
    .group_segment_fixed_size: 0
    .kernarg_segment_align: 8
    .kernarg_segment_size: 8
    .language:       OpenCL C
    .language_version:
      - 2
      - 0
    .max_flat_workgroup_size: 1024
    .name:           _ZN7rocprim17ROCPRIM_400000_NS6detail17trampoline_kernelINS0_14default_configENS1_35radix_sort_onesweep_config_selectorIjNS0_10empty_typeEEEZNS1_34radix_sort_onesweep_global_offsetsIS3_Lb0EPjPS5_mNS0_19identity_decomposerEEE10hipError_tT1_T2_PT3_SE_jT4_jjP12ihipStream_tbEUlT_E0_NS1_11comp_targetILNS1_3genE10ELNS1_11target_archE1201ELNS1_3gpuE5ELNS1_3repE0EEENS1_52radix_sort_onesweep_histogram_config_static_selectorELNS0_4arch9wavefront6targetE1EEEvSC_
    .private_segment_fixed_size: 0
    .sgpr_count:     4
    .sgpr_spill_count: 0
    .symbol:         _ZN7rocprim17ROCPRIM_400000_NS6detail17trampoline_kernelINS0_14default_configENS1_35radix_sort_onesweep_config_selectorIjNS0_10empty_typeEEEZNS1_34radix_sort_onesweep_global_offsetsIS3_Lb0EPjPS5_mNS0_19identity_decomposerEEE10hipError_tT1_T2_PT3_SE_jT4_jjP12ihipStream_tbEUlT_E0_NS1_11comp_targetILNS1_3genE10ELNS1_11target_archE1201ELNS1_3gpuE5ELNS1_3repE0EEENS1_52radix_sort_onesweep_histogram_config_static_selectorELNS0_4arch9wavefront6targetE1EEEvSC_.kd
    .uniform_work_group_size: 1
    .uses_dynamic_stack: false
    .vgpr_count:     0
    .vgpr_spill_count: 0
    .wavefront_size: 64
  - .agpr_count:     0
    .args:
      - .address_space:  global
        .offset:         0
        .size:           8
        .value_kind:     global_buffer
    .group_segment_fixed_size: 0
    .kernarg_segment_align: 8
    .kernarg_segment_size: 8
    .language:       OpenCL C
    .language_version:
      - 2
      - 0
    .max_flat_workgroup_size: 1024
    .name:           _ZN7rocprim17ROCPRIM_400000_NS6detail17trampoline_kernelINS0_14default_configENS1_35radix_sort_onesweep_config_selectorIjNS0_10empty_typeEEEZNS1_34radix_sort_onesweep_global_offsetsIS3_Lb0EPjPS5_mNS0_19identity_decomposerEEE10hipError_tT1_T2_PT3_SE_jT4_jjP12ihipStream_tbEUlT_E0_NS1_11comp_targetILNS1_3genE9ELNS1_11target_archE1100ELNS1_3gpuE3ELNS1_3repE0EEENS1_52radix_sort_onesweep_histogram_config_static_selectorELNS0_4arch9wavefront6targetE1EEEvSC_
    .private_segment_fixed_size: 0
    .sgpr_count:     4
    .sgpr_spill_count: 0
    .symbol:         _ZN7rocprim17ROCPRIM_400000_NS6detail17trampoline_kernelINS0_14default_configENS1_35radix_sort_onesweep_config_selectorIjNS0_10empty_typeEEEZNS1_34radix_sort_onesweep_global_offsetsIS3_Lb0EPjPS5_mNS0_19identity_decomposerEEE10hipError_tT1_T2_PT3_SE_jT4_jjP12ihipStream_tbEUlT_E0_NS1_11comp_targetILNS1_3genE9ELNS1_11target_archE1100ELNS1_3gpuE3ELNS1_3repE0EEENS1_52radix_sort_onesweep_histogram_config_static_selectorELNS0_4arch9wavefront6targetE1EEEvSC_.kd
    .uniform_work_group_size: 1
    .uses_dynamic_stack: false
    .vgpr_count:     0
    .vgpr_spill_count: 0
    .wavefront_size: 64
  - .agpr_count:     0
    .args:
      - .address_space:  global
        .offset:         0
        .size:           8
        .value_kind:     global_buffer
    .group_segment_fixed_size: 0
    .kernarg_segment_align: 8
    .kernarg_segment_size: 8
    .language:       OpenCL C
    .language_version:
      - 2
      - 0
    .max_flat_workgroup_size: 1024
    .name:           _ZN7rocprim17ROCPRIM_400000_NS6detail17trampoline_kernelINS0_14default_configENS1_35radix_sort_onesweep_config_selectorIjNS0_10empty_typeEEEZNS1_34radix_sort_onesweep_global_offsetsIS3_Lb0EPjPS5_mNS0_19identity_decomposerEEE10hipError_tT1_T2_PT3_SE_jT4_jjP12ihipStream_tbEUlT_E0_NS1_11comp_targetILNS1_3genE8ELNS1_11target_archE1030ELNS1_3gpuE2ELNS1_3repE0EEENS1_52radix_sort_onesweep_histogram_config_static_selectorELNS0_4arch9wavefront6targetE1EEEvSC_
    .private_segment_fixed_size: 0
    .sgpr_count:     4
    .sgpr_spill_count: 0
    .symbol:         _ZN7rocprim17ROCPRIM_400000_NS6detail17trampoline_kernelINS0_14default_configENS1_35radix_sort_onesweep_config_selectorIjNS0_10empty_typeEEEZNS1_34radix_sort_onesweep_global_offsetsIS3_Lb0EPjPS5_mNS0_19identity_decomposerEEE10hipError_tT1_T2_PT3_SE_jT4_jjP12ihipStream_tbEUlT_E0_NS1_11comp_targetILNS1_3genE8ELNS1_11target_archE1030ELNS1_3gpuE2ELNS1_3repE0EEENS1_52radix_sort_onesweep_histogram_config_static_selectorELNS0_4arch9wavefront6targetE1EEEvSC_.kd
    .uniform_work_group_size: 1
    .uses_dynamic_stack: false
    .vgpr_count:     0
    .vgpr_spill_count: 0
    .wavefront_size: 64
  - .agpr_count:     0
    .args:
      - .offset:         0
        .size:           88
        .value_kind:     by_value
    .group_segment_fixed_size: 0
    .kernarg_segment_align: 8
    .kernarg_segment_size: 88
    .language:       OpenCL C
    .language_version:
      - 2
      - 0
    .max_flat_workgroup_size: 512
    .name:           _ZN7rocprim17ROCPRIM_400000_NS6detail17trampoline_kernelINS0_14default_configENS1_35radix_sort_onesweep_config_selectorIjNS0_10empty_typeEEEZZNS1_29radix_sort_onesweep_iterationIS3_Lb0EPjS8_PS5_S9_mNS0_19identity_decomposerENS1_16block_id_wrapperIjLb1EEEEE10hipError_tT1_PNSt15iterator_traitsISE_E10value_typeET2_T3_PNSF_ISK_E10value_typeET4_T5_PSP_SQ_PNS1_23onesweep_lookback_stateEbbT6_jjT7_P12ihipStream_tbENKUlT_T0_SE_SJ_E_clIS8_S8_S9_S9_EEDaSX_SY_SE_SJ_EUlSX_E_NS1_11comp_targetILNS1_3genE0ELNS1_11target_archE4294967295ELNS1_3gpuE0ELNS1_3repE0EEENS1_47radix_sort_onesweep_sort_config_static_selectorELNS0_4arch9wavefront6targetE1EEEvSE_
    .private_segment_fixed_size: 0
    .sgpr_count:     4
    .sgpr_spill_count: 0
    .symbol:         _ZN7rocprim17ROCPRIM_400000_NS6detail17trampoline_kernelINS0_14default_configENS1_35radix_sort_onesweep_config_selectorIjNS0_10empty_typeEEEZZNS1_29radix_sort_onesweep_iterationIS3_Lb0EPjS8_PS5_S9_mNS0_19identity_decomposerENS1_16block_id_wrapperIjLb1EEEEE10hipError_tT1_PNSt15iterator_traitsISE_E10value_typeET2_T3_PNSF_ISK_E10value_typeET4_T5_PSP_SQ_PNS1_23onesweep_lookback_stateEbbT6_jjT7_P12ihipStream_tbENKUlT_T0_SE_SJ_E_clIS8_S8_S9_S9_EEDaSX_SY_SE_SJ_EUlSX_E_NS1_11comp_targetILNS1_3genE0ELNS1_11target_archE4294967295ELNS1_3gpuE0ELNS1_3repE0EEENS1_47radix_sort_onesweep_sort_config_static_selectorELNS0_4arch9wavefront6targetE1EEEvSE_.kd
    .uniform_work_group_size: 1
    .uses_dynamic_stack: false
    .vgpr_count:     0
    .vgpr_spill_count: 0
    .wavefront_size: 64
  - .agpr_count:     0
    .args:
      - .offset:         0
        .size:           88
        .value_kind:     by_value
    .group_segment_fixed_size: 0
    .kernarg_segment_align: 8
    .kernarg_segment_size: 88
    .language:       OpenCL C
    .language_version:
      - 2
      - 0
    .max_flat_workgroup_size: 1024
    .name:           _ZN7rocprim17ROCPRIM_400000_NS6detail17trampoline_kernelINS0_14default_configENS1_35radix_sort_onesweep_config_selectorIjNS0_10empty_typeEEEZZNS1_29radix_sort_onesweep_iterationIS3_Lb0EPjS8_PS5_S9_mNS0_19identity_decomposerENS1_16block_id_wrapperIjLb1EEEEE10hipError_tT1_PNSt15iterator_traitsISE_E10value_typeET2_T3_PNSF_ISK_E10value_typeET4_T5_PSP_SQ_PNS1_23onesweep_lookback_stateEbbT6_jjT7_P12ihipStream_tbENKUlT_T0_SE_SJ_E_clIS8_S8_S9_S9_EEDaSX_SY_SE_SJ_EUlSX_E_NS1_11comp_targetILNS1_3genE6ELNS1_11target_archE950ELNS1_3gpuE13ELNS1_3repE0EEENS1_47radix_sort_onesweep_sort_config_static_selectorELNS0_4arch9wavefront6targetE1EEEvSE_
    .private_segment_fixed_size: 0
    .sgpr_count:     4
    .sgpr_spill_count: 0
    .symbol:         _ZN7rocprim17ROCPRIM_400000_NS6detail17trampoline_kernelINS0_14default_configENS1_35radix_sort_onesweep_config_selectorIjNS0_10empty_typeEEEZZNS1_29radix_sort_onesweep_iterationIS3_Lb0EPjS8_PS5_S9_mNS0_19identity_decomposerENS1_16block_id_wrapperIjLb1EEEEE10hipError_tT1_PNSt15iterator_traitsISE_E10value_typeET2_T3_PNSF_ISK_E10value_typeET4_T5_PSP_SQ_PNS1_23onesweep_lookback_stateEbbT6_jjT7_P12ihipStream_tbENKUlT_T0_SE_SJ_E_clIS8_S8_S9_S9_EEDaSX_SY_SE_SJ_EUlSX_E_NS1_11comp_targetILNS1_3genE6ELNS1_11target_archE950ELNS1_3gpuE13ELNS1_3repE0EEENS1_47radix_sort_onesweep_sort_config_static_selectorELNS0_4arch9wavefront6targetE1EEEvSE_.kd
    .uniform_work_group_size: 1
    .uses_dynamic_stack: false
    .vgpr_count:     0
    .vgpr_spill_count: 0
    .wavefront_size: 64
  - .agpr_count:     0
    .args:
      - .offset:         0
        .size:           88
        .value_kind:     by_value
    .group_segment_fixed_size: 0
    .kernarg_segment_align: 8
    .kernarg_segment_size: 88
    .language:       OpenCL C
    .language_version:
      - 2
      - 0
    .max_flat_workgroup_size: 1024
    .name:           _ZN7rocprim17ROCPRIM_400000_NS6detail17trampoline_kernelINS0_14default_configENS1_35radix_sort_onesweep_config_selectorIjNS0_10empty_typeEEEZZNS1_29radix_sort_onesweep_iterationIS3_Lb0EPjS8_PS5_S9_mNS0_19identity_decomposerENS1_16block_id_wrapperIjLb1EEEEE10hipError_tT1_PNSt15iterator_traitsISE_E10value_typeET2_T3_PNSF_ISK_E10value_typeET4_T5_PSP_SQ_PNS1_23onesweep_lookback_stateEbbT6_jjT7_P12ihipStream_tbENKUlT_T0_SE_SJ_E_clIS8_S8_S9_S9_EEDaSX_SY_SE_SJ_EUlSX_E_NS1_11comp_targetILNS1_3genE5ELNS1_11target_archE942ELNS1_3gpuE9ELNS1_3repE0EEENS1_47radix_sort_onesweep_sort_config_static_selectorELNS0_4arch9wavefront6targetE1EEEvSE_
    .private_segment_fixed_size: 0
    .sgpr_count:     4
    .sgpr_spill_count: 0
    .symbol:         _ZN7rocprim17ROCPRIM_400000_NS6detail17trampoline_kernelINS0_14default_configENS1_35radix_sort_onesweep_config_selectorIjNS0_10empty_typeEEEZZNS1_29radix_sort_onesweep_iterationIS3_Lb0EPjS8_PS5_S9_mNS0_19identity_decomposerENS1_16block_id_wrapperIjLb1EEEEE10hipError_tT1_PNSt15iterator_traitsISE_E10value_typeET2_T3_PNSF_ISK_E10value_typeET4_T5_PSP_SQ_PNS1_23onesweep_lookback_stateEbbT6_jjT7_P12ihipStream_tbENKUlT_T0_SE_SJ_E_clIS8_S8_S9_S9_EEDaSX_SY_SE_SJ_EUlSX_E_NS1_11comp_targetILNS1_3genE5ELNS1_11target_archE942ELNS1_3gpuE9ELNS1_3repE0EEENS1_47radix_sort_onesweep_sort_config_static_selectorELNS0_4arch9wavefront6targetE1EEEvSE_.kd
    .uniform_work_group_size: 1
    .uses_dynamic_stack: false
    .vgpr_count:     0
    .vgpr_spill_count: 0
    .wavefront_size: 64
  - .agpr_count:     0
    .args:
      - .offset:         0
        .size:           88
        .value_kind:     by_value
    .group_segment_fixed_size: 0
    .kernarg_segment_align: 8
    .kernarg_segment_size: 88
    .language:       OpenCL C
    .language_version:
      - 2
      - 0
    .max_flat_workgroup_size: 1024
    .name:           _ZN7rocprim17ROCPRIM_400000_NS6detail17trampoline_kernelINS0_14default_configENS1_35radix_sort_onesweep_config_selectorIjNS0_10empty_typeEEEZZNS1_29radix_sort_onesweep_iterationIS3_Lb0EPjS8_PS5_S9_mNS0_19identity_decomposerENS1_16block_id_wrapperIjLb1EEEEE10hipError_tT1_PNSt15iterator_traitsISE_E10value_typeET2_T3_PNSF_ISK_E10value_typeET4_T5_PSP_SQ_PNS1_23onesweep_lookback_stateEbbT6_jjT7_P12ihipStream_tbENKUlT_T0_SE_SJ_E_clIS8_S8_S9_S9_EEDaSX_SY_SE_SJ_EUlSX_E_NS1_11comp_targetILNS1_3genE2ELNS1_11target_archE906ELNS1_3gpuE6ELNS1_3repE0EEENS1_47radix_sort_onesweep_sort_config_static_selectorELNS0_4arch9wavefront6targetE1EEEvSE_
    .private_segment_fixed_size: 0
    .sgpr_count:     4
    .sgpr_spill_count: 0
    .symbol:         _ZN7rocprim17ROCPRIM_400000_NS6detail17trampoline_kernelINS0_14default_configENS1_35radix_sort_onesweep_config_selectorIjNS0_10empty_typeEEEZZNS1_29radix_sort_onesweep_iterationIS3_Lb0EPjS8_PS5_S9_mNS0_19identity_decomposerENS1_16block_id_wrapperIjLb1EEEEE10hipError_tT1_PNSt15iterator_traitsISE_E10value_typeET2_T3_PNSF_ISK_E10value_typeET4_T5_PSP_SQ_PNS1_23onesweep_lookback_stateEbbT6_jjT7_P12ihipStream_tbENKUlT_T0_SE_SJ_E_clIS8_S8_S9_S9_EEDaSX_SY_SE_SJ_EUlSX_E_NS1_11comp_targetILNS1_3genE2ELNS1_11target_archE906ELNS1_3gpuE6ELNS1_3repE0EEENS1_47radix_sort_onesweep_sort_config_static_selectorELNS0_4arch9wavefront6targetE1EEEvSE_.kd
    .uniform_work_group_size: 1
    .uses_dynamic_stack: false
    .vgpr_count:     0
    .vgpr_spill_count: 0
    .wavefront_size: 64
  - .agpr_count:     0
    .args:
      - .offset:         0
        .size:           88
        .value_kind:     by_value
      - .offset:         88
        .size:           4
        .value_kind:     hidden_block_count_x
      - .offset:         92
        .size:           4
        .value_kind:     hidden_block_count_y
      - .offset:         96
        .size:           4
        .value_kind:     hidden_block_count_z
      - .offset:         100
        .size:           2
        .value_kind:     hidden_group_size_x
      - .offset:         102
        .size:           2
        .value_kind:     hidden_group_size_y
      - .offset:         104
        .size:           2
        .value_kind:     hidden_group_size_z
      - .offset:         106
        .size:           2
        .value_kind:     hidden_remainder_x
      - .offset:         108
        .size:           2
        .value_kind:     hidden_remainder_y
      - .offset:         110
        .size:           2
        .value_kind:     hidden_remainder_z
      - .offset:         128
        .size:           8
        .value_kind:     hidden_global_offset_x
      - .offset:         136
        .size:           8
        .value_kind:     hidden_global_offset_y
      - .offset:         144
        .size:           8
        .value_kind:     hidden_global_offset_z
      - .offset:         152
        .size:           2
        .value_kind:     hidden_grid_dims
    .group_segment_fixed_size: 20552
    .kernarg_segment_align: 8
    .kernarg_segment_size: 344
    .language:       OpenCL C
    .language_version:
      - 2
      - 0
    .max_flat_workgroup_size: 1024
    .name:           _ZN7rocprim17ROCPRIM_400000_NS6detail17trampoline_kernelINS0_14default_configENS1_35radix_sort_onesweep_config_selectorIjNS0_10empty_typeEEEZZNS1_29radix_sort_onesweep_iterationIS3_Lb0EPjS8_PS5_S9_mNS0_19identity_decomposerENS1_16block_id_wrapperIjLb1EEEEE10hipError_tT1_PNSt15iterator_traitsISE_E10value_typeET2_T3_PNSF_ISK_E10value_typeET4_T5_PSP_SQ_PNS1_23onesweep_lookback_stateEbbT6_jjT7_P12ihipStream_tbENKUlT_T0_SE_SJ_E_clIS8_S8_S9_S9_EEDaSX_SY_SE_SJ_EUlSX_E_NS1_11comp_targetILNS1_3genE4ELNS1_11target_archE910ELNS1_3gpuE8ELNS1_3repE0EEENS1_47radix_sort_onesweep_sort_config_static_selectorELNS0_4arch9wavefront6targetE1EEEvSE_
    .private_segment_fixed_size: 0
    .sgpr_count:     39
    .sgpr_spill_count: 0
    .symbol:         _ZN7rocprim17ROCPRIM_400000_NS6detail17trampoline_kernelINS0_14default_configENS1_35radix_sort_onesweep_config_selectorIjNS0_10empty_typeEEEZZNS1_29radix_sort_onesweep_iterationIS3_Lb0EPjS8_PS5_S9_mNS0_19identity_decomposerENS1_16block_id_wrapperIjLb1EEEEE10hipError_tT1_PNSt15iterator_traitsISE_E10value_typeET2_T3_PNSF_ISK_E10value_typeET4_T5_PSP_SQ_PNS1_23onesweep_lookback_stateEbbT6_jjT7_P12ihipStream_tbENKUlT_T0_SE_SJ_E_clIS8_S8_S9_S9_EEDaSX_SY_SE_SJ_EUlSX_E_NS1_11comp_targetILNS1_3genE4ELNS1_11target_archE910ELNS1_3gpuE8ELNS1_3repE0EEENS1_47radix_sort_onesweep_sort_config_static_selectorELNS0_4arch9wavefront6targetE1EEEvSE_.kd
    .uniform_work_group_size: 1
    .uses_dynamic_stack: false
    .vgpr_count:     62
    .vgpr_spill_count: 0
    .wavefront_size: 64
  - .agpr_count:     0
    .args:
      - .offset:         0
        .size:           88
        .value_kind:     by_value
    .group_segment_fixed_size: 0
    .kernarg_segment_align: 8
    .kernarg_segment_size: 88
    .language:       OpenCL C
    .language_version:
      - 2
      - 0
    .max_flat_workgroup_size: 512
    .name:           _ZN7rocprim17ROCPRIM_400000_NS6detail17trampoline_kernelINS0_14default_configENS1_35radix_sort_onesweep_config_selectorIjNS0_10empty_typeEEEZZNS1_29radix_sort_onesweep_iterationIS3_Lb0EPjS8_PS5_S9_mNS0_19identity_decomposerENS1_16block_id_wrapperIjLb1EEEEE10hipError_tT1_PNSt15iterator_traitsISE_E10value_typeET2_T3_PNSF_ISK_E10value_typeET4_T5_PSP_SQ_PNS1_23onesweep_lookback_stateEbbT6_jjT7_P12ihipStream_tbENKUlT_T0_SE_SJ_E_clIS8_S8_S9_S9_EEDaSX_SY_SE_SJ_EUlSX_E_NS1_11comp_targetILNS1_3genE3ELNS1_11target_archE908ELNS1_3gpuE7ELNS1_3repE0EEENS1_47radix_sort_onesweep_sort_config_static_selectorELNS0_4arch9wavefront6targetE1EEEvSE_
    .private_segment_fixed_size: 0
    .sgpr_count:     4
    .sgpr_spill_count: 0
    .symbol:         _ZN7rocprim17ROCPRIM_400000_NS6detail17trampoline_kernelINS0_14default_configENS1_35radix_sort_onesweep_config_selectorIjNS0_10empty_typeEEEZZNS1_29radix_sort_onesweep_iterationIS3_Lb0EPjS8_PS5_S9_mNS0_19identity_decomposerENS1_16block_id_wrapperIjLb1EEEEE10hipError_tT1_PNSt15iterator_traitsISE_E10value_typeET2_T3_PNSF_ISK_E10value_typeET4_T5_PSP_SQ_PNS1_23onesweep_lookback_stateEbbT6_jjT7_P12ihipStream_tbENKUlT_T0_SE_SJ_E_clIS8_S8_S9_S9_EEDaSX_SY_SE_SJ_EUlSX_E_NS1_11comp_targetILNS1_3genE3ELNS1_11target_archE908ELNS1_3gpuE7ELNS1_3repE0EEENS1_47radix_sort_onesweep_sort_config_static_selectorELNS0_4arch9wavefront6targetE1EEEvSE_.kd
    .uniform_work_group_size: 1
    .uses_dynamic_stack: false
    .vgpr_count:     0
    .vgpr_spill_count: 0
    .wavefront_size: 64
  - .agpr_count:     0
    .args:
      - .offset:         0
        .size:           88
        .value_kind:     by_value
    .group_segment_fixed_size: 0
    .kernarg_segment_align: 8
    .kernarg_segment_size: 88
    .language:       OpenCL C
    .language_version:
      - 2
      - 0
    .max_flat_workgroup_size: 1024
    .name:           _ZN7rocprim17ROCPRIM_400000_NS6detail17trampoline_kernelINS0_14default_configENS1_35radix_sort_onesweep_config_selectorIjNS0_10empty_typeEEEZZNS1_29radix_sort_onesweep_iterationIS3_Lb0EPjS8_PS5_S9_mNS0_19identity_decomposerENS1_16block_id_wrapperIjLb1EEEEE10hipError_tT1_PNSt15iterator_traitsISE_E10value_typeET2_T3_PNSF_ISK_E10value_typeET4_T5_PSP_SQ_PNS1_23onesweep_lookback_stateEbbT6_jjT7_P12ihipStream_tbENKUlT_T0_SE_SJ_E_clIS8_S8_S9_S9_EEDaSX_SY_SE_SJ_EUlSX_E_NS1_11comp_targetILNS1_3genE10ELNS1_11target_archE1201ELNS1_3gpuE5ELNS1_3repE0EEENS1_47radix_sort_onesweep_sort_config_static_selectorELNS0_4arch9wavefront6targetE1EEEvSE_
    .private_segment_fixed_size: 0
    .sgpr_count:     4
    .sgpr_spill_count: 0
    .symbol:         _ZN7rocprim17ROCPRIM_400000_NS6detail17trampoline_kernelINS0_14default_configENS1_35radix_sort_onesweep_config_selectorIjNS0_10empty_typeEEEZZNS1_29radix_sort_onesweep_iterationIS3_Lb0EPjS8_PS5_S9_mNS0_19identity_decomposerENS1_16block_id_wrapperIjLb1EEEEE10hipError_tT1_PNSt15iterator_traitsISE_E10value_typeET2_T3_PNSF_ISK_E10value_typeET4_T5_PSP_SQ_PNS1_23onesweep_lookback_stateEbbT6_jjT7_P12ihipStream_tbENKUlT_T0_SE_SJ_E_clIS8_S8_S9_S9_EEDaSX_SY_SE_SJ_EUlSX_E_NS1_11comp_targetILNS1_3genE10ELNS1_11target_archE1201ELNS1_3gpuE5ELNS1_3repE0EEENS1_47radix_sort_onesweep_sort_config_static_selectorELNS0_4arch9wavefront6targetE1EEEvSE_.kd
    .uniform_work_group_size: 1
    .uses_dynamic_stack: false
    .vgpr_count:     0
    .vgpr_spill_count: 0
    .wavefront_size: 64
  - .agpr_count:     0
    .args:
      - .offset:         0
        .size:           88
        .value_kind:     by_value
    .group_segment_fixed_size: 0
    .kernarg_segment_align: 8
    .kernarg_segment_size: 88
    .language:       OpenCL C
    .language_version:
      - 2
      - 0
    .max_flat_workgroup_size: 1024
    .name:           _ZN7rocprim17ROCPRIM_400000_NS6detail17trampoline_kernelINS0_14default_configENS1_35radix_sort_onesweep_config_selectorIjNS0_10empty_typeEEEZZNS1_29radix_sort_onesweep_iterationIS3_Lb0EPjS8_PS5_S9_mNS0_19identity_decomposerENS1_16block_id_wrapperIjLb1EEEEE10hipError_tT1_PNSt15iterator_traitsISE_E10value_typeET2_T3_PNSF_ISK_E10value_typeET4_T5_PSP_SQ_PNS1_23onesweep_lookback_stateEbbT6_jjT7_P12ihipStream_tbENKUlT_T0_SE_SJ_E_clIS8_S8_S9_S9_EEDaSX_SY_SE_SJ_EUlSX_E_NS1_11comp_targetILNS1_3genE9ELNS1_11target_archE1100ELNS1_3gpuE3ELNS1_3repE0EEENS1_47radix_sort_onesweep_sort_config_static_selectorELNS0_4arch9wavefront6targetE1EEEvSE_
    .private_segment_fixed_size: 0
    .sgpr_count:     4
    .sgpr_spill_count: 0
    .symbol:         _ZN7rocprim17ROCPRIM_400000_NS6detail17trampoline_kernelINS0_14default_configENS1_35radix_sort_onesweep_config_selectorIjNS0_10empty_typeEEEZZNS1_29radix_sort_onesweep_iterationIS3_Lb0EPjS8_PS5_S9_mNS0_19identity_decomposerENS1_16block_id_wrapperIjLb1EEEEE10hipError_tT1_PNSt15iterator_traitsISE_E10value_typeET2_T3_PNSF_ISK_E10value_typeET4_T5_PSP_SQ_PNS1_23onesweep_lookback_stateEbbT6_jjT7_P12ihipStream_tbENKUlT_T0_SE_SJ_E_clIS8_S8_S9_S9_EEDaSX_SY_SE_SJ_EUlSX_E_NS1_11comp_targetILNS1_3genE9ELNS1_11target_archE1100ELNS1_3gpuE3ELNS1_3repE0EEENS1_47radix_sort_onesweep_sort_config_static_selectorELNS0_4arch9wavefront6targetE1EEEvSE_.kd
    .uniform_work_group_size: 1
    .uses_dynamic_stack: false
    .vgpr_count:     0
    .vgpr_spill_count: 0
    .wavefront_size: 64
  - .agpr_count:     0
    .args:
      - .offset:         0
        .size:           88
        .value_kind:     by_value
    .group_segment_fixed_size: 0
    .kernarg_segment_align: 8
    .kernarg_segment_size: 88
    .language:       OpenCL C
    .language_version:
      - 2
      - 0
    .max_flat_workgroup_size: 1024
    .name:           _ZN7rocprim17ROCPRIM_400000_NS6detail17trampoline_kernelINS0_14default_configENS1_35radix_sort_onesweep_config_selectorIjNS0_10empty_typeEEEZZNS1_29radix_sort_onesweep_iterationIS3_Lb0EPjS8_PS5_S9_mNS0_19identity_decomposerENS1_16block_id_wrapperIjLb1EEEEE10hipError_tT1_PNSt15iterator_traitsISE_E10value_typeET2_T3_PNSF_ISK_E10value_typeET4_T5_PSP_SQ_PNS1_23onesweep_lookback_stateEbbT6_jjT7_P12ihipStream_tbENKUlT_T0_SE_SJ_E_clIS8_S8_S9_S9_EEDaSX_SY_SE_SJ_EUlSX_E_NS1_11comp_targetILNS1_3genE8ELNS1_11target_archE1030ELNS1_3gpuE2ELNS1_3repE0EEENS1_47radix_sort_onesweep_sort_config_static_selectorELNS0_4arch9wavefront6targetE1EEEvSE_
    .private_segment_fixed_size: 0
    .sgpr_count:     4
    .sgpr_spill_count: 0
    .symbol:         _ZN7rocprim17ROCPRIM_400000_NS6detail17trampoline_kernelINS0_14default_configENS1_35radix_sort_onesweep_config_selectorIjNS0_10empty_typeEEEZZNS1_29radix_sort_onesweep_iterationIS3_Lb0EPjS8_PS5_S9_mNS0_19identity_decomposerENS1_16block_id_wrapperIjLb1EEEEE10hipError_tT1_PNSt15iterator_traitsISE_E10value_typeET2_T3_PNSF_ISK_E10value_typeET4_T5_PSP_SQ_PNS1_23onesweep_lookback_stateEbbT6_jjT7_P12ihipStream_tbENKUlT_T0_SE_SJ_E_clIS8_S8_S9_S9_EEDaSX_SY_SE_SJ_EUlSX_E_NS1_11comp_targetILNS1_3genE8ELNS1_11target_archE1030ELNS1_3gpuE2ELNS1_3repE0EEENS1_47radix_sort_onesweep_sort_config_static_selectorELNS0_4arch9wavefront6targetE1EEEvSE_.kd
    .uniform_work_group_size: 1
    .uses_dynamic_stack: false
    .vgpr_count:     0
    .vgpr_spill_count: 0
    .wavefront_size: 64
  - .agpr_count:     0
    .args:
      - .offset:         0
        .size:           88
        .value_kind:     by_value
    .group_segment_fixed_size: 0
    .kernarg_segment_align: 8
    .kernarg_segment_size: 88
    .language:       OpenCL C
    .language_version:
      - 2
      - 0
    .max_flat_workgroup_size: 512
    .name:           _ZN7rocprim17ROCPRIM_400000_NS6detail17trampoline_kernelINS0_14default_configENS1_35radix_sort_onesweep_config_selectorIjNS0_10empty_typeEEEZZNS1_29radix_sort_onesweep_iterationIS3_Lb0EPjS8_PS5_S9_mNS0_19identity_decomposerENS1_16block_id_wrapperIjLb0EEEEE10hipError_tT1_PNSt15iterator_traitsISE_E10value_typeET2_T3_PNSF_ISK_E10value_typeET4_T5_PSP_SQ_PNS1_23onesweep_lookback_stateEbbT6_jjT7_P12ihipStream_tbENKUlT_T0_SE_SJ_E_clIS8_S8_S9_S9_EEDaSX_SY_SE_SJ_EUlSX_E_NS1_11comp_targetILNS1_3genE0ELNS1_11target_archE4294967295ELNS1_3gpuE0ELNS1_3repE0EEENS1_47radix_sort_onesweep_sort_config_static_selectorELNS0_4arch9wavefront6targetE1EEEvSE_
    .private_segment_fixed_size: 0
    .sgpr_count:     4
    .sgpr_spill_count: 0
    .symbol:         _ZN7rocprim17ROCPRIM_400000_NS6detail17trampoline_kernelINS0_14default_configENS1_35radix_sort_onesweep_config_selectorIjNS0_10empty_typeEEEZZNS1_29radix_sort_onesweep_iterationIS3_Lb0EPjS8_PS5_S9_mNS0_19identity_decomposerENS1_16block_id_wrapperIjLb0EEEEE10hipError_tT1_PNSt15iterator_traitsISE_E10value_typeET2_T3_PNSF_ISK_E10value_typeET4_T5_PSP_SQ_PNS1_23onesweep_lookback_stateEbbT6_jjT7_P12ihipStream_tbENKUlT_T0_SE_SJ_E_clIS8_S8_S9_S9_EEDaSX_SY_SE_SJ_EUlSX_E_NS1_11comp_targetILNS1_3genE0ELNS1_11target_archE4294967295ELNS1_3gpuE0ELNS1_3repE0EEENS1_47radix_sort_onesweep_sort_config_static_selectorELNS0_4arch9wavefront6targetE1EEEvSE_.kd
    .uniform_work_group_size: 1
    .uses_dynamic_stack: false
    .vgpr_count:     0
    .vgpr_spill_count: 0
    .wavefront_size: 64
  - .agpr_count:     0
    .args:
      - .offset:         0
        .size:           88
        .value_kind:     by_value
    .group_segment_fixed_size: 0
    .kernarg_segment_align: 8
    .kernarg_segment_size: 88
    .language:       OpenCL C
    .language_version:
      - 2
      - 0
    .max_flat_workgroup_size: 1024
    .name:           _ZN7rocprim17ROCPRIM_400000_NS6detail17trampoline_kernelINS0_14default_configENS1_35radix_sort_onesweep_config_selectorIjNS0_10empty_typeEEEZZNS1_29radix_sort_onesweep_iterationIS3_Lb0EPjS8_PS5_S9_mNS0_19identity_decomposerENS1_16block_id_wrapperIjLb0EEEEE10hipError_tT1_PNSt15iterator_traitsISE_E10value_typeET2_T3_PNSF_ISK_E10value_typeET4_T5_PSP_SQ_PNS1_23onesweep_lookback_stateEbbT6_jjT7_P12ihipStream_tbENKUlT_T0_SE_SJ_E_clIS8_S8_S9_S9_EEDaSX_SY_SE_SJ_EUlSX_E_NS1_11comp_targetILNS1_3genE6ELNS1_11target_archE950ELNS1_3gpuE13ELNS1_3repE0EEENS1_47radix_sort_onesweep_sort_config_static_selectorELNS0_4arch9wavefront6targetE1EEEvSE_
    .private_segment_fixed_size: 0
    .sgpr_count:     4
    .sgpr_spill_count: 0
    .symbol:         _ZN7rocprim17ROCPRIM_400000_NS6detail17trampoline_kernelINS0_14default_configENS1_35radix_sort_onesweep_config_selectorIjNS0_10empty_typeEEEZZNS1_29radix_sort_onesweep_iterationIS3_Lb0EPjS8_PS5_S9_mNS0_19identity_decomposerENS1_16block_id_wrapperIjLb0EEEEE10hipError_tT1_PNSt15iterator_traitsISE_E10value_typeET2_T3_PNSF_ISK_E10value_typeET4_T5_PSP_SQ_PNS1_23onesweep_lookback_stateEbbT6_jjT7_P12ihipStream_tbENKUlT_T0_SE_SJ_E_clIS8_S8_S9_S9_EEDaSX_SY_SE_SJ_EUlSX_E_NS1_11comp_targetILNS1_3genE6ELNS1_11target_archE950ELNS1_3gpuE13ELNS1_3repE0EEENS1_47radix_sort_onesweep_sort_config_static_selectorELNS0_4arch9wavefront6targetE1EEEvSE_.kd
    .uniform_work_group_size: 1
    .uses_dynamic_stack: false
    .vgpr_count:     0
    .vgpr_spill_count: 0
    .wavefront_size: 64
  - .agpr_count:     0
    .args:
      - .offset:         0
        .size:           88
        .value_kind:     by_value
    .group_segment_fixed_size: 0
    .kernarg_segment_align: 8
    .kernarg_segment_size: 88
    .language:       OpenCL C
    .language_version:
      - 2
      - 0
    .max_flat_workgroup_size: 1024
    .name:           _ZN7rocprim17ROCPRIM_400000_NS6detail17trampoline_kernelINS0_14default_configENS1_35radix_sort_onesweep_config_selectorIjNS0_10empty_typeEEEZZNS1_29radix_sort_onesweep_iterationIS3_Lb0EPjS8_PS5_S9_mNS0_19identity_decomposerENS1_16block_id_wrapperIjLb0EEEEE10hipError_tT1_PNSt15iterator_traitsISE_E10value_typeET2_T3_PNSF_ISK_E10value_typeET4_T5_PSP_SQ_PNS1_23onesweep_lookback_stateEbbT6_jjT7_P12ihipStream_tbENKUlT_T0_SE_SJ_E_clIS8_S8_S9_S9_EEDaSX_SY_SE_SJ_EUlSX_E_NS1_11comp_targetILNS1_3genE5ELNS1_11target_archE942ELNS1_3gpuE9ELNS1_3repE0EEENS1_47radix_sort_onesweep_sort_config_static_selectorELNS0_4arch9wavefront6targetE1EEEvSE_
    .private_segment_fixed_size: 0
    .sgpr_count:     4
    .sgpr_spill_count: 0
    .symbol:         _ZN7rocprim17ROCPRIM_400000_NS6detail17trampoline_kernelINS0_14default_configENS1_35radix_sort_onesweep_config_selectorIjNS0_10empty_typeEEEZZNS1_29radix_sort_onesweep_iterationIS3_Lb0EPjS8_PS5_S9_mNS0_19identity_decomposerENS1_16block_id_wrapperIjLb0EEEEE10hipError_tT1_PNSt15iterator_traitsISE_E10value_typeET2_T3_PNSF_ISK_E10value_typeET4_T5_PSP_SQ_PNS1_23onesweep_lookback_stateEbbT6_jjT7_P12ihipStream_tbENKUlT_T0_SE_SJ_E_clIS8_S8_S9_S9_EEDaSX_SY_SE_SJ_EUlSX_E_NS1_11comp_targetILNS1_3genE5ELNS1_11target_archE942ELNS1_3gpuE9ELNS1_3repE0EEENS1_47radix_sort_onesweep_sort_config_static_selectorELNS0_4arch9wavefront6targetE1EEEvSE_.kd
    .uniform_work_group_size: 1
    .uses_dynamic_stack: false
    .vgpr_count:     0
    .vgpr_spill_count: 0
    .wavefront_size: 64
  - .agpr_count:     0
    .args:
      - .offset:         0
        .size:           88
        .value_kind:     by_value
    .group_segment_fixed_size: 0
    .kernarg_segment_align: 8
    .kernarg_segment_size: 88
    .language:       OpenCL C
    .language_version:
      - 2
      - 0
    .max_flat_workgroup_size: 1024
    .name:           _ZN7rocprim17ROCPRIM_400000_NS6detail17trampoline_kernelINS0_14default_configENS1_35radix_sort_onesweep_config_selectorIjNS0_10empty_typeEEEZZNS1_29radix_sort_onesweep_iterationIS3_Lb0EPjS8_PS5_S9_mNS0_19identity_decomposerENS1_16block_id_wrapperIjLb0EEEEE10hipError_tT1_PNSt15iterator_traitsISE_E10value_typeET2_T3_PNSF_ISK_E10value_typeET4_T5_PSP_SQ_PNS1_23onesweep_lookback_stateEbbT6_jjT7_P12ihipStream_tbENKUlT_T0_SE_SJ_E_clIS8_S8_S9_S9_EEDaSX_SY_SE_SJ_EUlSX_E_NS1_11comp_targetILNS1_3genE2ELNS1_11target_archE906ELNS1_3gpuE6ELNS1_3repE0EEENS1_47radix_sort_onesweep_sort_config_static_selectorELNS0_4arch9wavefront6targetE1EEEvSE_
    .private_segment_fixed_size: 0
    .sgpr_count:     4
    .sgpr_spill_count: 0
    .symbol:         _ZN7rocprim17ROCPRIM_400000_NS6detail17trampoline_kernelINS0_14default_configENS1_35radix_sort_onesweep_config_selectorIjNS0_10empty_typeEEEZZNS1_29radix_sort_onesweep_iterationIS3_Lb0EPjS8_PS5_S9_mNS0_19identity_decomposerENS1_16block_id_wrapperIjLb0EEEEE10hipError_tT1_PNSt15iterator_traitsISE_E10value_typeET2_T3_PNSF_ISK_E10value_typeET4_T5_PSP_SQ_PNS1_23onesweep_lookback_stateEbbT6_jjT7_P12ihipStream_tbENKUlT_T0_SE_SJ_E_clIS8_S8_S9_S9_EEDaSX_SY_SE_SJ_EUlSX_E_NS1_11comp_targetILNS1_3genE2ELNS1_11target_archE906ELNS1_3gpuE6ELNS1_3repE0EEENS1_47radix_sort_onesweep_sort_config_static_selectorELNS0_4arch9wavefront6targetE1EEEvSE_.kd
    .uniform_work_group_size: 1
    .uses_dynamic_stack: false
    .vgpr_count:     0
    .vgpr_spill_count: 0
    .wavefront_size: 64
  - .agpr_count:     0
    .args:
      - .offset:         0
        .size:           88
        .value_kind:     by_value
      - .offset:         88
        .size:           4
        .value_kind:     hidden_block_count_x
      - .offset:         92
        .size:           4
        .value_kind:     hidden_block_count_y
      - .offset:         96
        .size:           4
        .value_kind:     hidden_block_count_z
      - .offset:         100
        .size:           2
        .value_kind:     hidden_group_size_x
      - .offset:         102
        .size:           2
        .value_kind:     hidden_group_size_y
      - .offset:         104
        .size:           2
        .value_kind:     hidden_group_size_z
      - .offset:         106
        .size:           2
        .value_kind:     hidden_remainder_x
      - .offset:         108
        .size:           2
        .value_kind:     hidden_remainder_y
      - .offset:         110
        .size:           2
        .value_kind:     hidden_remainder_z
      - .offset:         128
        .size:           8
        .value_kind:     hidden_global_offset_x
      - .offset:         136
        .size:           8
        .value_kind:     hidden_global_offset_y
      - .offset:         144
        .size:           8
        .value_kind:     hidden_global_offset_z
      - .offset:         152
        .size:           2
        .value_kind:     hidden_grid_dims
    .group_segment_fixed_size: 20552
    .kernarg_segment_align: 8
    .kernarg_segment_size: 344
    .language:       OpenCL C
    .language_version:
      - 2
      - 0
    .max_flat_workgroup_size: 1024
    .name:           _ZN7rocprim17ROCPRIM_400000_NS6detail17trampoline_kernelINS0_14default_configENS1_35radix_sort_onesweep_config_selectorIjNS0_10empty_typeEEEZZNS1_29radix_sort_onesweep_iterationIS3_Lb0EPjS8_PS5_S9_mNS0_19identity_decomposerENS1_16block_id_wrapperIjLb0EEEEE10hipError_tT1_PNSt15iterator_traitsISE_E10value_typeET2_T3_PNSF_ISK_E10value_typeET4_T5_PSP_SQ_PNS1_23onesweep_lookback_stateEbbT6_jjT7_P12ihipStream_tbENKUlT_T0_SE_SJ_E_clIS8_S8_S9_S9_EEDaSX_SY_SE_SJ_EUlSX_E_NS1_11comp_targetILNS1_3genE4ELNS1_11target_archE910ELNS1_3gpuE8ELNS1_3repE0EEENS1_47radix_sort_onesweep_sort_config_static_selectorELNS0_4arch9wavefront6targetE1EEEvSE_
    .private_segment_fixed_size: 0
    .sgpr_count:     35
    .sgpr_spill_count: 0
    .symbol:         _ZN7rocprim17ROCPRIM_400000_NS6detail17trampoline_kernelINS0_14default_configENS1_35radix_sort_onesweep_config_selectorIjNS0_10empty_typeEEEZZNS1_29radix_sort_onesweep_iterationIS3_Lb0EPjS8_PS5_S9_mNS0_19identity_decomposerENS1_16block_id_wrapperIjLb0EEEEE10hipError_tT1_PNSt15iterator_traitsISE_E10value_typeET2_T3_PNSF_ISK_E10value_typeET4_T5_PSP_SQ_PNS1_23onesweep_lookback_stateEbbT6_jjT7_P12ihipStream_tbENKUlT_T0_SE_SJ_E_clIS8_S8_S9_S9_EEDaSX_SY_SE_SJ_EUlSX_E_NS1_11comp_targetILNS1_3genE4ELNS1_11target_archE910ELNS1_3gpuE8ELNS1_3repE0EEENS1_47radix_sort_onesweep_sort_config_static_selectorELNS0_4arch9wavefront6targetE1EEEvSE_.kd
    .uniform_work_group_size: 1
    .uses_dynamic_stack: false
    .vgpr_count:     63
    .vgpr_spill_count: 0
    .wavefront_size: 64
  - .agpr_count:     0
    .args:
      - .offset:         0
        .size:           88
        .value_kind:     by_value
    .group_segment_fixed_size: 0
    .kernarg_segment_align: 8
    .kernarg_segment_size: 88
    .language:       OpenCL C
    .language_version:
      - 2
      - 0
    .max_flat_workgroup_size: 512
    .name:           _ZN7rocprim17ROCPRIM_400000_NS6detail17trampoline_kernelINS0_14default_configENS1_35radix_sort_onesweep_config_selectorIjNS0_10empty_typeEEEZZNS1_29radix_sort_onesweep_iterationIS3_Lb0EPjS8_PS5_S9_mNS0_19identity_decomposerENS1_16block_id_wrapperIjLb0EEEEE10hipError_tT1_PNSt15iterator_traitsISE_E10value_typeET2_T3_PNSF_ISK_E10value_typeET4_T5_PSP_SQ_PNS1_23onesweep_lookback_stateEbbT6_jjT7_P12ihipStream_tbENKUlT_T0_SE_SJ_E_clIS8_S8_S9_S9_EEDaSX_SY_SE_SJ_EUlSX_E_NS1_11comp_targetILNS1_3genE3ELNS1_11target_archE908ELNS1_3gpuE7ELNS1_3repE0EEENS1_47radix_sort_onesweep_sort_config_static_selectorELNS0_4arch9wavefront6targetE1EEEvSE_
    .private_segment_fixed_size: 0
    .sgpr_count:     4
    .sgpr_spill_count: 0
    .symbol:         _ZN7rocprim17ROCPRIM_400000_NS6detail17trampoline_kernelINS0_14default_configENS1_35radix_sort_onesweep_config_selectorIjNS0_10empty_typeEEEZZNS1_29radix_sort_onesweep_iterationIS3_Lb0EPjS8_PS5_S9_mNS0_19identity_decomposerENS1_16block_id_wrapperIjLb0EEEEE10hipError_tT1_PNSt15iterator_traitsISE_E10value_typeET2_T3_PNSF_ISK_E10value_typeET4_T5_PSP_SQ_PNS1_23onesweep_lookback_stateEbbT6_jjT7_P12ihipStream_tbENKUlT_T0_SE_SJ_E_clIS8_S8_S9_S9_EEDaSX_SY_SE_SJ_EUlSX_E_NS1_11comp_targetILNS1_3genE3ELNS1_11target_archE908ELNS1_3gpuE7ELNS1_3repE0EEENS1_47radix_sort_onesweep_sort_config_static_selectorELNS0_4arch9wavefront6targetE1EEEvSE_.kd
    .uniform_work_group_size: 1
    .uses_dynamic_stack: false
    .vgpr_count:     0
    .vgpr_spill_count: 0
    .wavefront_size: 64
  - .agpr_count:     0
    .args:
      - .offset:         0
        .size:           88
        .value_kind:     by_value
    .group_segment_fixed_size: 0
    .kernarg_segment_align: 8
    .kernarg_segment_size: 88
    .language:       OpenCL C
    .language_version:
      - 2
      - 0
    .max_flat_workgroup_size: 1024
    .name:           _ZN7rocprim17ROCPRIM_400000_NS6detail17trampoline_kernelINS0_14default_configENS1_35radix_sort_onesweep_config_selectorIjNS0_10empty_typeEEEZZNS1_29radix_sort_onesweep_iterationIS3_Lb0EPjS8_PS5_S9_mNS0_19identity_decomposerENS1_16block_id_wrapperIjLb0EEEEE10hipError_tT1_PNSt15iterator_traitsISE_E10value_typeET2_T3_PNSF_ISK_E10value_typeET4_T5_PSP_SQ_PNS1_23onesweep_lookback_stateEbbT6_jjT7_P12ihipStream_tbENKUlT_T0_SE_SJ_E_clIS8_S8_S9_S9_EEDaSX_SY_SE_SJ_EUlSX_E_NS1_11comp_targetILNS1_3genE10ELNS1_11target_archE1201ELNS1_3gpuE5ELNS1_3repE0EEENS1_47radix_sort_onesweep_sort_config_static_selectorELNS0_4arch9wavefront6targetE1EEEvSE_
    .private_segment_fixed_size: 0
    .sgpr_count:     4
    .sgpr_spill_count: 0
    .symbol:         _ZN7rocprim17ROCPRIM_400000_NS6detail17trampoline_kernelINS0_14default_configENS1_35radix_sort_onesweep_config_selectorIjNS0_10empty_typeEEEZZNS1_29radix_sort_onesweep_iterationIS3_Lb0EPjS8_PS5_S9_mNS0_19identity_decomposerENS1_16block_id_wrapperIjLb0EEEEE10hipError_tT1_PNSt15iterator_traitsISE_E10value_typeET2_T3_PNSF_ISK_E10value_typeET4_T5_PSP_SQ_PNS1_23onesweep_lookback_stateEbbT6_jjT7_P12ihipStream_tbENKUlT_T0_SE_SJ_E_clIS8_S8_S9_S9_EEDaSX_SY_SE_SJ_EUlSX_E_NS1_11comp_targetILNS1_3genE10ELNS1_11target_archE1201ELNS1_3gpuE5ELNS1_3repE0EEENS1_47radix_sort_onesweep_sort_config_static_selectorELNS0_4arch9wavefront6targetE1EEEvSE_.kd
    .uniform_work_group_size: 1
    .uses_dynamic_stack: false
    .vgpr_count:     0
    .vgpr_spill_count: 0
    .wavefront_size: 64
  - .agpr_count:     0
    .args:
      - .offset:         0
        .size:           88
        .value_kind:     by_value
    .group_segment_fixed_size: 0
    .kernarg_segment_align: 8
    .kernarg_segment_size: 88
    .language:       OpenCL C
    .language_version:
      - 2
      - 0
    .max_flat_workgroup_size: 1024
    .name:           _ZN7rocprim17ROCPRIM_400000_NS6detail17trampoline_kernelINS0_14default_configENS1_35radix_sort_onesweep_config_selectorIjNS0_10empty_typeEEEZZNS1_29radix_sort_onesweep_iterationIS3_Lb0EPjS8_PS5_S9_mNS0_19identity_decomposerENS1_16block_id_wrapperIjLb0EEEEE10hipError_tT1_PNSt15iterator_traitsISE_E10value_typeET2_T3_PNSF_ISK_E10value_typeET4_T5_PSP_SQ_PNS1_23onesweep_lookback_stateEbbT6_jjT7_P12ihipStream_tbENKUlT_T0_SE_SJ_E_clIS8_S8_S9_S9_EEDaSX_SY_SE_SJ_EUlSX_E_NS1_11comp_targetILNS1_3genE9ELNS1_11target_archE1100ELNS1_3gpuE3ELNS1_3repE0EEENS1_47radix_sort_onesweep_sort_config_static_selectorELNS0_4arch9wavefront6targetE1EEEvSE_
    .private_segment_fixed_size: 0
    .sgpr_count:     4
    .sgpr_spill_count: 0
    .symbol:         _ZN7rocprim17ROCPRIM_400000_NS6detail17trampoline_kernelINS0_14default_configENS1_35radix_sort_onesweep_config_selectorIjNS0_10empty_typeEEEZZNS1_29radix_sort_onesweep_iterationIS3_Lb0EPjS8_PS5_S9_mNS0_19identity_decomposerENS1_16block_id_wrapperIjLb0EEEEE10hipError_tT1_PNSt15iterator_traitsISE_E10value_typeET2_T3_PNSF_ISK_E10value_typeET4_T5_PSP_SQ_PNS1_23onesweep_lookback_stateEbbT6_jjT7_P12ihipStream_tbENKUlT_T0_SE_SJ_E_clIS8_S8_S9_S9_EEDaSX_SY_SE_SJ_EUlSX_E_NS1_11comp_targetILNS1_3genE9ELNS1_11target_archE1100ELNS1_3gpuE3ELNS1_3repE0EEENS1_47radix_sort_onesweep_sort_config_static_selectorELNS0_4arch9wavefront6targetE1EEEvSE_.kd
    .uniform_work_group_size: 1
    .uses_dynamic_stack: false
    .vgpr_count:     0
    .vgpr_spill_count: 0
    .wavefront_size: 64
  - .agpr_count:     0
    .args:
      - .offset:         0
        .size:           88
        .value_kind:     by_value
    .group_segment_fixed_size: 0
    .kernarg_segment_align: 8
    .kernarg_segment_size: 88
    .language:       OpenCL C
    .language_version:
      - 2
      - 0
    .max_flat_workgroup_size: 1024
    .name:           _ZN7rocprim17ROCPRIM_400000_NS6detail17trampoline_kernelINS0_14default_configENS1_35radix_sort_onesweep_config_selectorIjNS0_10empty_typeEEEZZNS1_29radix_sort_onesweep_iterationIS3_Lb0EPjS8_PS5_S9_mNS0_19identity_decomposerENS1_16block_id_wrapperIjLb0EEEEE10hipError_tT1_PNSt15iterator_traitsISE_E10value_typeET2_T3_PNSF_ISK_E10value_typeET4_T5_PSP_SQ_PNS1_23onesweep_lookback_stateEbbT6_jjT7_P12ihipStream_tbENKUlT_T0_SE_SJ_E_clIS8_S8_S9_S9_EEDaSX_SY_SE_SJ_EUlSX_E_NS1_11comp_targetILNS1_3genE8ELNS1_11target_archE1030ELNS1_3gpuE2ELNS1_3repE0EEENS1_47radix_sort_onesweep_sort_config_static_selectorELNS0_4arch9wavefront6targetE1EEEvSE_
    .private_segment_fixed_size: 0
    .sgpr_count:     4
    .sgpr_spill_count: 0
    .symbol:         _ZN7rocprim17ROCPRIM_400000_NS6detail17trampoline_kernelINS0_14default_configENS1_35radix_sort_onesweep_config_selectorIjNS0_10empty_typeEEEZZNS1_29radix_sort_onesweep_iterationIS3_Lb0EPjS8_PS5_S9_mNS0_19identity_decomposerENS1_16block_id_wrapperIjLb0EEEEE10hipError_tT1_PNSt15iterator_traitsISE_E10value_typeET2_T3_PNSF_ISK_E10value_typeET4_T5_PSP_SQ_PNS1_23onesweep_lookback_stateEbbT6_jjT7_P12ihipStream_tbENKUlT_T0_SE_SJ_E_clIS8_S8_S9_S9_EEDaSX_SY_SE_SJ_EUlSX_E_NS1_11comp_targetILNS1_3genE8ELNS1_11target_archE1030ELNS1_3gpuE2ELNS1_3repE0EEENS1_47radix_sort_onesweep_sort_config_static_selectorELNS0_4arch9wavefront6targetE1EEEvSE_.kd
    .uniform_work_group_size: 1
    .uses_dynamic_stack: false
    .vgpr_count:     0
    .vgpr_spill_count: 0
    .wavefront_size: 64
  - .agpr_count:     0
    .args:
      - .offset:         0
        .size:           48
        .value_kind:     by_value
    .group_segment_fixed_size: 0
    .kernarg_segment_align: 8
    .kernarg_segment_size: 48
    .language:       OpenCL C
    .language_version:
      - 2
      - 0
    .max_flat_workgroup_size: 256
    .name:           _ZN7rocprim17ROCPRIM_400000_NS6detail17trampoline_kernelINS0_13kernel_configILj256ELj4ELj4294967295EEENS1_37radix_sort_block_sort_config_selectorIlNS0_10empty_typeEEEZNS1_21radix_sort_block_sortIS4_Lb0EPlS9_PS6_SA_NS0_19identity_decomposerEEE10hipError_tT1_T2_T3_T4_jRjT5_jjP12ihipStream_tbEUlT_E_NS1_11comp_targetILNS1_3genE0ELNS1_11target_archE4294967295ELNS1_3gpuE0ELNS1_3repE0EEENS1_44radix_sort_block_sort_config_static_selectorELNS0_4arch9wavefront6targetE1EEEvSD_
    .private_segment_fixed_size: 0
    .sgpr_count:     4
    .sgpr_spill_count: 0
    .symbol:         _ZN7rocprim17ROCPRIM_400000_NS6detail17trampoline_kernelINS0_13kernel_configILj256ELj4ELj4294967295EEENS1_37radix_sort_block_sort_config_selectorIlNS0_10empty_typeEEEZNS1_21radix_sort_block_sortIS4_Lb0EPlS9_PS6_SA_NS0_19identity_decomposerEEE10hipError_tT1_T2_T3_T4_jRjT5_jjP12ihipStream_tbEUlT_E_NS1_11comp_targetILNS1_3genE0ELNS1_11target_archE4294967295ELNS1_3gpuE0ELNS1_3repE0EEENS1_44radix_sort_block_sort_config_static_selectorELNS0_4arch9wavefront6targetE1EEEvSD_.kd
    .uniform_work_group_size: 1
    .uses_dynamic_stack: false
    .vgpr_count:     0
    .vgpr_spill_count: 0
    .wavefront_size: 64
  - .agpr_count:     0
    .args:
      - .offset:         0
        .size:           48
        .value_kind:     by_value
    .group_segment_fixed_size: 0
    .kernarg_segment_align: 8
    .kernarg_segment_size: 48
    .language:       OpenCL C
    .language_version:
      - 2
      - 0
    .max_flat_workgroup_size: 256
    .name:           _ZN7rocprim17ROCPRIM_400000_NS6detail17trampoline_kernelINS0_13kernel_configILj256ELj4ELj4294967295EEENS1_37radix_sort_block_sort_config_selectorIlNS0_10empty_typeEEEZNS1_21radix_sort_block_sortIS4_Lb0EPlS9_PS6_SA_NS0_19identity_decomposerEEE10hipError_tT1_T2_T3_T4_jRjT5_jjP12ihipStream_tbEUlT_E_NS1_11comp_targetILNS1_3genE5ELNS1_11target_archE942ELNS1_3gpuE9ELNS1_3repE0EEENS1_44radix_sort_block_sort_config_static_selectorELNS0_4arch9wavefront6targetE1EEEvSD_
    .private_segment_fixed_size: 0
    .sgpr_count:     4
    .sgpr_spill_count: 0
    .symbol:         _ZN7rocprim17ROCPRIM_400000_NS6detail17trampoline_kernelINS0_13kernel_configILj256ELj4ELj4294967295EEENS1_37radix_sort_block_sort_config_selectorIlNS0_10empty_typeEEEZNS1_21radix_sort_block_sortIS4_Lb0EPlS9_PS6_SA_NS0_19identity_decomposerEEE10hipError_tT1_T2_T3_T4_jRjT5_jjP12ihipStream_tbEUlT_E_NS1_11comp_targetILNS1_3genE5ELNS1_11target_archE942ELNS1_3gpuE9ELNS1_3repE0EEENS1_44radix_sort_block_sort_config_static_selectorELNS0_4arch9wavefront6targetE1EEEvSD_.kd
    .uniform_work_group_size: 1
    .uses_dynamic_stack: false
    .vgpr_count:     0
    .vgpr_spill_count: 0
    .wavefront_size: 64
  - .agpr_count:     0
    .args:
      - .offset:         0
        .size:           48
        .value_kind:     by_value
      - .offset:         48
        .size:           4
        .value_kind:     hidden_block_count_x
      - .offset:         52
        .size:           4
        .value_kind:     hidden_block_count_y
      - .offset:         56
        .size:           4
        .value_kind:     hidden_block_count_z
      - .offset:         60
        .size:           2
        .value_kind:     hidden_group_size_x
      - .offset:         62
        .size:           2
        .value_kind:     hidden_group_size_y
      - .offset:         64
        .size:           2
        .value_kind:     hidden_group_size_z
      - .offset:         66
        .size:           2
        .value_kind:     hidden_remainder_x
      - .offset:         68
        .size:           2
        .value_kind:     hidden_remainder_y
      - .offset:         70
        .size:           2
        .value_kind:     hidden_remainder_z
      - .offset:         88
        .size:           8
        .value_kind:     hidden_global_offset_x
      - .offset:         96
        .size:           8
        .value_kind:     hidden_global_offset_y
      - .offset:         104
        .size:           8
        .value_kind:     hidden_global_offset_z
      - .offset:         112
        .size:           2
        .value_kind:     hidden_grid_dims
    .group_segment_fixed_size: 8192
    .kernarg_segment_align: 8
    .kernarg_segment_size: 304
    .language:       OpenCL C
    .language_version:
      - 2
      - 0
    .max_flat_workgroup_size: 256
    .name:           _ZN7rocprim17ROCPRIM_400000_NS6detail17trampoline_kernelINS0_13kernel_configILj256ELj4ELj4294967295EEENS1_37radix_sort_block_sort_config_selectorIlNS0_10empty_typeEEEZNS1_21radix_sort_block_sortIS4_Lb0EPlS9_PS6_SA_NS0_19identity_decomposerEEE10hipError_tT1_T2_T3_T4_jRjT5_jjP12ihipStream_tbEUlT_E_NS1_11comp_targetILNS1_3genE4ELNS1_11target_archE910ELNS1_3gpuE8ELNS1_3repE0EEENS1_44radix_sort_block_sort_config_static_selectorELNS0_4arch9wavefront6targetE1EEEvSD_
    .private_segment_fixed_size: 0
    .sgpr_count:     48
    .sgpr_spill_count: 0
    .symbol:         _ZN7rocprim17ROCPRIM_400000_NS6detail17trampoline_kernelINS0_13kernel_configILj256ELj4ELj4294967295EEENS1_37radix_sort_block_sort_config_selectorIlNS0_10empty_typeEEEZNS1_21radix_sort_block_sortIS4_Lb0EPlS9_PS6_SA_NS0_19identity_decomposerEEE10hipError_tT1_T2_T3_T4_jRjT5_jjP12ihipStream_tbEUlT_E_NS1_11comp_targetILNS1_3genE4ELNS1_11target_archE910ELNS1_3gpuE8ELNS1_3repE0EEENS1_44radix_sort_block_sort_config_static_selectorELNS0_4arch9wavefront6targetE1EEEvSD_.kd
    .uniform_work_group_size: 1
    .uses_dynamic_stack: false
    .vgpr_count:     42
    .vgpr_spill_count: 0
    .wavefront_size: 64
  - .agpr_count:     0
    .args:
      - .offset:         0
        .size:           48
        .value_kind:     by_value
    .group_segment_fixed_size: 0
    .kernarg_segment_align: 8
    .kernarg_segment_size: 48
    .language:       OpenCL C
    .language_version:
      - 2
      - 0
    .max_flat_workgroup_size: 256
    .name:           _ZN7rocprim17ROCPRIM_400000_NS6detail17trampoline_kernelINS0_13kernel_configILj256ELj4ELj4294967295EEENS1_37radix_sort_block_sort_config_selectorIlNS0_10empty_typeEEEZNS1_21radix_sort_block_sortIS4_Lb0EPlS9_PS6_SA_NS0_19identity_decomposerEEE10hipError_tT1_T2_T3_T4_jRjT5_jjP12ihipStream_tbEUlT_E_NS1_11comp_targetILNS1_3genE3ELNS1_11target_archE908ELNS1_3gpuE7ELNS1_3repE0EEENS1_44radix_sort_block_sort_config_static_selectorELNS0_4arch9wavefront6targetE1EEEvSD_
    .private_segment_fixed_size: 0
    .sgpr_count:     4
    .sgpr_spill_count: 0
    .symbol:         _ZN7rocprim17ROCPRIM_400000_NS6detail17trampoline_kernelINS0_13kernel_configILj256ELj4ELj4294967295EEENS1_37radix_sort_block_sort_config_selectorIlNS0_10empty_typeEEEZNS1_21radix_sort_block_sortIS4_Lb0EPlS9_PS6_SA_NS0_19identity_decomposerEEE10hipError_tT1_T2_T3_T4_jRjT5_jjP12ihipStream_tbEUlT_E_NS1_11comp_targetILNS1_3genE3ELNS1_11target_archE908ELNS1_3gpuE7ELNS1_3repE0EEENS1_44radix_sort_block_sort_config_static_selectorELNS0_4arch9wavefront6targetE1EEEvSD_.kd
    .uniform_work_group_size: 1
    .uses_dynamic_stack: false
    .vgpr_count:     0
    .vgpr_spill_count: 0
    .wavefront_size: 64
  - .agpr_count:     0
    .args:
      - .offset:         0
        .size:           48
        .value_kind:     by_value
    .group_segment_fixed_size: 0
    .kernarg_segment_align: 8
    .kernarg_segment_size: 48
    .language:       OpenCL C
    .language_version:
      - 2
      - 0
    .max_flat_workgroup_size: 256
    .name:           _ZN7rocprim17ROCPRIM_400000_NS6detail17trampoline_kernelINS0_13kernel_configILj256ELj4ELj4294967295EEENS1_37radix_sort_block_sort_config_selectorIlNS0_10empty_typeEEEZNS1_21radix_sort_block_sortIS4_Lb0EPlS9_PS6_SA_NS0_19identity_decomposerEEE10hipError_tT1_T2_T3_T4_jRjT5_jjP12ihipStream_tbEUlT_E_NS1_11comp_targetILNS1_3genE2ELNS1_11target_archE906ELNS1_3gpuE6ELNS1_3repE0EEENS1_44radix_sort_block_sort_config_static_selectorELNS0_4arch9wavefront6targetE1EEEvSD_
    .private_segment_fixed_size: 0
    .sgpr_count:     4
    .sgpr_spill_count: 0
    .symbol:         _ZN7rocprim17ROCPRIM_400000_NS6detail17trampoline_kernelINS0_13kernel_configILj256ELj4ELj4294967295EEENS1_37radix_sort_block_sort_config_selectorIlNS0_10empty_typeEEEZNS1_21radix_sort_block_sortIS4_Lb0EPlS9_PS6_SA_NS0_19identity_decomposerEEE10hipError_tT1_T2_T3_T4_jRjT5_jjP12ihipStream_tbEUlT_E_NS1_11comp_targetILNS1_3genE2ELNS1_11target_archE906ELNS1_3gpuE6ELNS1_3repE0EEENS1_44radix_sort_block_sort_config_static_selectorELNS0_4arch9wavefront6targetE1EEEvSD_.kd
    .uniform_work_group_size: 1
    .uses_dynamic_stack: false
    .vgpr_count:     0
    .vgpr_spill_count: 0
    .wavefront_size: 64
  - .agpr_count:     0
    .args:
      - .offset:         0
        .size:           48
        .value_kind:     by_value
    .group_segment_fixed_size: 0
    .kernarg_segment_align: 8
    .kernarg_segment_size: 48
    .language:       OpenCL C
    .language_version:
      - 2
      - 0
    .max_flat_workgroup_size: 256
    .name:           _ZN7rocprim17ROCPRIM_400000_NS6detail17trampoline_kernelINS0_13kernel_configILj256ELj4ELj4294967295EEENS1_37radix_sort_block_sort_config_selectorIlNS0_10empty_typeEEEZNS1_21radix_sort_block_sortIS4_Lb0EPlS9_PS6_SA_NS0_19identity_decomposerEEE10hipError_tT1_T2_T3_T4_jRjT5_jjP12ihipStream_tbEUlT_E_NS1_11comp_targetILNS1_3genE10ELNS1_11target_archE1201ELNS1_3gpuE5ELNS1_3repE0EEENS1_44radix_sort_block_sort_config_static_selectorELNS0_4arch9wavefront6targetE1EEEvSD_
    .private_segment_fixed_size: 0
    .sgpr_count:     4
    .sgpr_spill_count: 0
    .symbol:         _ZN7rocprim17ROCPRIM_400000_NS6detail17trampoline_kernelINS0_13kernel_configILj256ELj4ELj4294967295EEENS1_37radix_sort_block_sort_config_selectorIlNS0_10empty_typeEEEZNS1_21radix_sort_block_sortIS4_Lb0EPlS9_PS6_SA_NS0_19identity_decomposerEEE10hipError_tT1_T2_T3_T4_jRjT5_jjP12ihipStream_tbEUlT_E_NS1_11comp_targetILNS1_3genE10ELNS1_11target_archE1201ELNS1_3gpuE5ELNS1_3repE0EEENS1_44radix_sort_block_sort_config_static_selectorELNS0_4arch9wavefront6targetE1EEEvSD_.kd
    .uniform_work_group_size: 1
    .uses_dynamic_stack: false
    .vgpr_count:     0
    .vgpr_spill_count: 0
    .wavefront_size: 64
  - .agpr_count:     0
    .args:
      - .offset:         0
        .size:           48
        .value_kind:     by_value
    .group_segment_fixed_size: 0
    .kernarg_segment_align: 8
    .kernarg_segment_size: 48
    .language:       OpenCL C
    .language_version:
      - 2
      - 0
    .max_flat_workgroup_size: 256
    .name:           _ZN7rocprim17ROCPRIM_400000_NS6detail17trampoline_kernelINS0_13kernel_configILj256ELj4ELj4294967295EEENS1_37radix_sort_block_sort_config_selectorIlNS0_10empty_typeEEEZNS1_21radix_sort_block_sortIS4_Lb0EPlS9_PS6_SA_NS0_19identity_decomposerEEE10hipError_tT1_T2_T3_T4_jRjT5_jjP12ihipStream_tbEUlT_E_NS1_11comp_targetILNS1_3genE10ELNS1_11target_archE1200ELNS1_3gpuE4ELNS1_3repE0EEENS1_44radix_sort_block_sort_config_static_selectorELNS0_4arch9wavefront6targetE1EEEvSD_
    .private_segment_fixed_size: 0
    .sgpr_count:     4
    .sgpr_spill_count: 0
    .symbol:         _ZN7rocprim17ROCPRIM_400000_NS6detail17trampoline_kernelINS0_13kernel_configILj256ELj4ELj4294967295EEENS1_37radix_sort_block_sort_config_selectorIlNS0_10empty_typeEEEZNS1_21radix_sort_block_sortIS4_Lb0EPlS9_PS6_SA_NS0_19identity_decomposerEEE10hipError_tT1_T2_T3_T4_jRjT5_jjP12ihipStream_tbEUlT_E_NS1_11comp_targetILNS1_3genE10ELNS1_11target_archE1200ELNS1_3gpuE4ELNS1_3repE0EEENS1_44radix_sort_block_sort_config_static_selectorELNS0_4arch9wavefront6targetE1EEEvSD_.kd
    .uniform_work_group_size: 1
    .uses_dynamic_stack: false
    .vgpr_count:     0
    .vgpr_spill_count: 0
    .wavefront_size: 64
  - .agpr_count:     0
    .args:
      - .offset:         0
        .size:           48
        .value_kind:     by_value
    .group_segment_fixed_size: 0
    .kernarg_segment_align: 8
    .kernarg_segment_size: 48
    .language:       OpenCL C
    .language_version:
      - 2
      - 0
    .max_flat_workgroup_size: 256
    .name:           _ZN7rocprim17ROCPRIM_400000_NS6detail17trampoline_kernelINS0_13kernel_configILj256ELj4ELj4294967295EEENS1_37radix_sort_block_sort_config_selectorIlNS0_10empty_typeEEEZNS1_21radix_sort_block_sortIS4_Lb0EPlS9_PS6_SA_NS0_19identity_decomposerEEE10hipError_tT1_T2_T3_T4_jRjT5_jjP12ihipStream_tbEUlT_E_NS1_11comp_targetILNS1_3genE9ELNS1_11target_archE1100ELNS1_3gpuE3ELNS1_3repE0EEENS1_44radix_sort_block_sort_config_static_selectorELNS0_4arch9wavefront6targetE1EEEvSD_
    .private_segment_fixed_size: 0
    .sgpr_count:     4
    .sgpr_spill_count: 0
    .symbol:         _ZN7rocprim17ROCPRIM_400000_NS6detail17trampoline_kernelINS0_13kernel_configILj256ELj4ELj4294967295EEENS1_37radix_sort_block_sort_config_selectorIlNS0_10empty_typeEEEZNS1_21radix_sort_block_sortIS4_Lb0EPlS9_PS6_SA_NS0_19identity_decomposerEEE10hipError_tT1_T2_T3_T4_jRjT5_jjP12ihipStream_tbEUlT_E_NS1_11comp_targetILNS1_3genE9ELNS1_11target_archE1100ELNS1_3gpuE3ELNS1_3repE0EEENS1_44radix_sort_block_sort_config_static_selectorELNS0_4arch9wavefront6targetE1EEEvSD_.kd
    .uniform_work_group_size: 1
    .uses_dynamic_stack: false
    .vgpr_count:     0
    .vgpr_spill_count: 0
    .wavefront_size: 64
  - .agpr_count:     0
    .args:
      - .offset:         0
        .size:           48
        .value_kind:     by_value
    .group_segment_fixed_size: 0
    .kernarg_segment_align: 8
    .kernarg_segment_size: 48
    .language:       OpenCL C
    .language_version:
      - 2
      - 0
    .max_flat_workgroup_size: 256
    .name:           _ZN7rocprim17ROCPRIM_400000_NS6detail17trampoline_kernelINS0_13kernel_configILj256ELj4ELj4294967295EEENS1_37radix_sort_block_sort_config_selectorIlNS0_10empty_typeEEEZNS1_21radix_sort_block_sortIS4_Lb0EPlS9_PS6_SA_NS0_19identity_decomposerEEE10hipError_tT1_T2_T3_T4_jRjT5_jjP12ihipStream_tbEUlT_E_NS1_11comp_targetILNS1_3genE8ELNS1_11target_archE1030ELNS1_3gpuE2ELNS1_3repE0EEENS1_44radix_sort_block_sort_config_static_selectorELNS0_4arch9wavefront6targetE1EEEvSD_
    .private_segment_fixed_size: 0
    .sgpr_count:     4
    .sgpr_spill_count: 0
    .symbol:         _ZN7rocprim17ROCPRIM_400000_NS6detail17trampoline_kernelINS0_13kernel_configILj256ELj4ELj4294967295EEENS1_37radix_sort_block_sort_config_selectorIlNS0_10empty_typeEEEZNS1_21radix_sort_block_sortIS4_Lb0EPlS9_PS6_SA_NS0_19identity_decomposerEEE10hipError_tT1_T2_T3_T4_jRjT5_jjP12ihipStream_tbEUlT_E_NS1_11comp_targetILNS1_3genE8ELNS1_11target_archE1030ELNS1_3gpuE2ELNS1_3repE0EEENS1_44radix_sort_block_sort_config_static_selectorELNS0_4arch9wavefront6targetE1EEEvSD_.kd
    .uniform_work_group_size: 1
    .uses_dynamic_stack: false
    .vgpr_count:     0
    .vgpr_spill_count: 0
    .wavefront_size: 64
  - .agpr_count:     0
    .args:           []
    .group_segment_fixed_size: 0
    .kernarg_segment_align: 4
    .kernarg_segment_size: 0
    .language:       OpenCL C
    .language_version:
      - 2
      - 0
    .max_flat_workgroup_size: 1024
    .name:           _ZN7rocprim17ROCPRIM_400000_NS6detail44device_merge_sort_compile_time_verifier_archINS1_11comp_targetILNS1_3genE0ELNS1_11target_archE4294967295ELNS1_3gpuE0ELNS1_3repE0EEES8_NS1_28merge_sort_block_sort_configILj256ELj4ELNS0_20block_sort_algorithmE0EEENS0_14default_configENS1_37merge_sort_block_sort_config_selectorIlNS0_10empty_typeEEENS1_38merge_sort_block_merge_config_selectorIlSE_EEEEvv
    .private_segment_fixed_size: 0
    .sgpr_count:     4
    .sgpr_spill_count: 0
    .symbol:         _ZN7rocprim17ROCPRIM_400000_NS6detail44device_merge_sort_compile_time_verifier_archINS1_11comp_targetILNS1_3genE0ELNS1_11target_archE4294967295ELNS1_3gpuE0ELNS1_3repE0EEES8_NS1_28merge_sort_block_sort_configILj256ELj4ELNS0_20block_sort_algorithmE0EEENS0_14default_configENS1_37merge_sort_block_sort_config_selectorIlNS0_10empty_typeEEENS1_38merge_sort_block_merge_config_selectorIlSE_EEEEvv.kd
    .uniform_work_group_size: 1
    .uses_dynamic_stack: false
    .vgpr_count:     0
    .vgpr_spill_count: 0
    .wavefront_size: 64
  - .agpr_count:     0
    .args:           []
    .group_segment_fixed_size: 0
    .kernarg_segment_align: 4
    .kernarg_segment_size: 0
    .language:       OpenCL C
    .language_version:
      - 2
      - 0
    .max_flat_workgroup_size: 1024
    .name:           _ZN7rocprim17ROCPRIM_400000_NS6detail44device_merge_sort_compile_time_verifier_archINS1_11comp_targetILNS1_3genE5ELNS1_11target_archE942ELNS1_3gpuE9ELNS1_3repE0EEES8_NS1_28merge_sort_block_sort_configILj256ELj4ELNS0_20block_sort_algorithmE0EEENS0_14default_configENS1_37merge_sort_block_sort_config_selectorIlNS0_10empty_typeEEENS1_38merge_sort_block_merge_config_selectorIlSE_EEEEvv
    .private_segment_fixed_size: 0
    .sgpr_count:     4
    .sgpr_spill_count: 0
    .symbol:         _ZN7rocprim17ROCPRIM_400000_NS6detail44device_merge_sort_compile_time_verifier_archINS1_11comp_targetILNS1_3genE5ELNS1_11target_archE942ELNS1_3gpuE9ELNS1_3repE0EEES8_NS1_28merge_sort_block_sort_configILj256ELj4ELNS0_20block_sort_algorithmE0EEENS0_14default_configENS1_37merge_sort_block_sort_config_selectorIlNS0_10empty_typeEEENS1_38merge_sort_block_merge_config_selectorIlSE_EEEEvv.kd
    .uniform_work_group_size: 1
    .uses_dynamic_stack: false
    .vgpr_count:     0
    .vgpr_spill_count: 0
    .wavefront_size: 64
  - .agpr_count:     0
    .args:           []
    .group_segment_fixed_size: 0
    .kernarg_segment_align: 4
    .kernarg_segment_size: 0
    .language:       OpenCL C
    .language_version:
      - 2
      - 0
    .max_flat_workgroup_size: 1024
    .name:           _ZN7rocprim17ROCPRIM_400000_NS6detail44device_merge_sort_compile_time_verifier_archINS1_11comp_targetILNS1_3genE4ELNS1_11target_archE910ELNS1_3gpuE8ELNS1_3repE0EEES8_NS1_28merge_sort_block_sort_configILj256ELj4ELNS0_20block_sort_algorithmE0EEENS0_14default_configENS1_37merge_sort_block_sort_config_selectorIlNS0_10empty_typeEEENS1_38merge_sort_block_merge_config_selectorIlSE_EEEEvv
    .private_segment_fixed_size: 0
    .sgpr_count:     4
    .sgpr_spill_count: 0
    .symbol:         _ZN7rocprim17ROCPRIM_400000_NS6detail44device_merge_sort_compile_time_verifier_archINS1_11comp_targetILNS1_3genE4ELNS1_11target_archE910ELNS1_3gpuE8ELNS1_3repE0EEES8_NS1_28merge_sort_block_sort_configILj256ELj4ELNS0_20block_sort_algorithmE0EEENS0_14default_configENS1_37merge_sort_block_sort_config_selectorIlNS0_10empty_typeEEENS1_38merge_sort_block_merge_config_selectorIlSE_EEEEvv.kd
    .uniform_work_group_size: 1
    .uses_dynamic_stack: false
    .vgpr_count:     0
    .vgpr_spill_count: 0
    .wavefront_size: 64
  - .agpr_count:     0
    .args:           []
    .group_segment_fixed_size: 0
    .kernarg_segment_align: 4
    .kernarg_segment_size: 0
    .language:       OpenCL C
    .language_version:
      - 2
      - 0
    .max_flat_workgroup_size: 1024
    .name:           _ZN7rocprim17ROCPRIM_400000_NS6detail44device_merge_sort_compile_time_verifier_archINS1_11comp_targetILNS1_3genE3ELNS1_11target_archE908ELNS1_3gpuE7ELNS1_3repE0EEES8_NS1_28merge_sort_block_sort_configILj256ELj4ELNS0_20block_sort_algorithmE0EEENS0_14default_configENS1_37merge_sort_block_sort_config_selectorIlNS0_10empty_typeEEENS1_38merge_sort_block_merge_config_selectorIlSE_EEEEvv
    .private_segment_fixed_size: 0
    .sgpr_count:     4
    .sgpr_spill_count: 0
    .symbol:         _ZN7rocprim17ROCPRIM_400000_NS6detail44device_merge_sort_compile_time_verifier_archINS1_11comp_targetILNS1_3genE3ELNS1_11target_archE908ELNS1_3gpuE7ELNS1_3repE0EEES8_NS1_28merge_sort_block_sort_configILj256ELj4ELNS0_20block_sort_algorithmE0EEENS0_14default_configENS1_37merge_sort_block_sort_config_selectorIlNS0_10empty_typeEEENS1_38merge_sort_block_merge_config_selectorIlSE_EEEEvv.kd
    .uniform_work_group_size: 1
    .uses_dynamic_stack: false
    .vgpr_count:     0
    .vgpr_spill_count: 0
    .wavefront_size: 64
  - .agpr_count:     0
    .args:           []
    .group_segment_fixed_size: 0
    .kernarg_segment_align: 4
    .kernarg_segment_size: 0
    .language:       OpenCL C
    .language_version:
      - 2
      - 0
    .max_flat_workgroup_size: 1024
    .name:           _ZN7rocprim17ROCPRIM_400000_NS6detail44device_merge_sort_compile_time_verifier_archINS1_11comp_targetILNS1_3genE2ELNS1_11target_archE906ELNS1_3gpuE6ELNS1_3repE0EEES8_NS1_28merge_sort_block_sort_configILj256ELj4ELNS0_20block_sort_algorithmE0EEENS0_14default_configENS1_37merge_sort_block_sort_config_selectorIlNS0_10empty_typeEEENS1_38merge_sort_block_merge_config_selectorIlSE_EEEEvv
    .private_segment_fixed_size: 0
    .sgpr_count:     4
    .sgpr_spill_count: 0
    .symbol:         _ZN7rocprim17ROCPRIM_400000_NS6detail44device_merge_sort_compile_time_verifier_archINS1_11comp_targetILNS1_3genE2ELNS1_11target_archE906ELNS1_3gpuE6ELNS1_3repE0EEES8_NS1_28merge_sort_block_sort_configILj256ELj4ELNS0_20block_sort_algorithmE0EEENS0_14default_configENS1_37merge_sort_block_sort_config_selectorIlNS0_10empty_typeEEENS1_38merge_sort_block_merge_config_selectorIlSE_EEEEvv.kd
    .uniform_work_group_size: 1
    .uses_dynamic_stack: false
    .vgpr_count:     0
    .vgpr_spill_count: 0
    .wavefront_size: 64
  - .agpr_count:     0
    .args:           []
    .group_segment_fixed_size: 0
    .kernarg_segment_align: 4
    .kernarg_segment_size: 0
    .language:       OpenCL C
    .language_version:
      - 2
      - 0
    .max_flat_workgroup_size: 1024
    .name:           _ZN7rocprim17ROCPRIM_400000_NS6detail44device_merge_sort_compile_time_verifier_archINS1_11comp_targetILNS1_3genE10ELNS1_11target_archE1201ELNS1_3gpuE5ELNS1_3repE0EEES8_NS1_28merge_sort_block_sort_configILj256ELj4ELNS0_20block_sort_algorithmE0EEENS0_14default_configENS1_37merge_sort_block_sort_config_selectorIlNS0_10empty_typeEEENS1_38merge_sort_block_merge_config_selectorIlSE_EEEEvv
    .private_segment_fixed_size: 0
    .sgpr_count:     4
    .sgpr_spill_count: 0
    .symbol:         _ZN7rocprim17ROCPRIM_400000_NS6detail44device_merge_sort_compile_time_verifier_archINS1_11comp_targetILNS1_3genE10ELNS1_11target_archE1201ELNS1_3gpuE5ELNS1_3repE0EEES8_NS1_28merge_sort_block_sort_configILj256ELj4ELNS0_20block_sort_algorithmE0EEENS0_14default_configENS1_37merge_sort_block_sort_config_selectorIlNS0_10empty_typeEEENS1_38merge_sort_block_merge_config_selectorIlSE_EEEEvv.kd
    .uniform_work_group_size: 1
    .uses_dynamic_stack: false
    .vgpr_count:     0
    .vgpr_spill_count: 0
    .wavefront_size: 64
  - .agpr_count:     0
    .args:           []
    .group_segment_fixed_size: 0
    .kernarg_segment_align: 4
    .kernarg_segment_size: 0
    .language:       OpenCL C
    .language_version:
      - 2
      - 0
    .max_flat_workgroup_size: 1024
    .name:           _ZN7rocprim17ROCPRIM_400000_NS6detail44device_merge_sort_compile_time_verifier_archINS1_11comp_targetILNS1_3genE10ELNS1_11target_archE1200ELNS1_3gpuE4ELNS1_3repE0EEENS3_ILS4_10ELS5_1201ELS6_5ELS7_0EEENS1_28merge_sort_block_sort_configILj256ELj4ELNS0_20block_sort_algorithmE0EEENS0_14default_configENS1_37merge_sort_block_sort_config_selectorIlNS0_10empty_typeEEENS1_38merge_sort_block_merge_config_selectorIlSF_EEEEvv
    .private_segment_fixed_size: 0
    .sgpr_count:     4
    .sgpr_spill_count: 0
    .symbol:         _ZN7rocprim17ROCPRIM_400000_NS6detail44device_merge_sort_compile_time_verifier_archINS1_11comp_targetILNS1_3genE10ELNS1_11target_archE1200ELNS1_3gpuE4ELNS1_3repE0EEENS3_ILS4_10ELS5_1201ELS6_5ELS7_0EEENS1_28merge_sort_block_sort_configILj256ELj4ELNS0_20block_sort_algorithmE0EEENS0_14default_configENS1_37merge_sort_block_sort_config_selectorIlNS0_10empty_typeEEENS1_38merge_sort_block_merge_config_selectorIlSF_EEEEvv.kd
    .uniform_work_group_size: 1
    .uses_dynamic_stack: false
    .vgpr_count:     0
    .vgpr_spill_count: 0
    .wavefront_size: 64
  - .agpr_count:     0
    .args:           []
    .group_segment_fixed_size: 0
    .kernarg_segment_align: 4
    .kernarg_segment_size: 0
    .language:       OpenCL C
    .language_version:
      - 2
      - 0
    .max_flat_workgroup_size: 1024
    .name:           _ZN7rocprim17ROCPRIM_400000_NS6detail44device_merge_sort_compile_time_verifier_archINS1_11comp_targetILNS1_3genE9ELNS1_11target_archE1100ELNS1_3gpuE3ELNS1_3repE0EEES8_NS1_28merge_sort_block_sort_configILj256ELj4ELNS0_20block_sort_algorithmE0EEENS0_14default_configENS1_37merge_sort_block_sort_config_selectorIlNS0_10empty_typeEEENS1_38merge_sort_block_merge_config_selectorIlSE_EEEEvv
    .private_segment_fixed_size: 0
    .sgpr_count:     4
    .sgpr_spill_count: 0
    .symbol:         _ZN7rocprim17ROCPRIM_400000_NS6detail44device_merge_sort_compile_time_verifier_archINS1_11comp_targetILNS1_3genE9ELNS1_11target_archE1100ELNS1_3gpuE3ELNS1_3repE0EEES8_NS1_28merge_sort_block_sort_configILj256ELj4ELNS0_20block_sort_algorithmE0EEENS0_14default_configENS1_37merge_sort_block_sort_config_selectorIlNS0_10empty_typeEEENS1_38merge_sort_block_merge_config_selectorIlSE_EEEEvv.kd
    .uniform_work_group_size: 1
    .uses_dynamic_stack: false
    .vgpr_count:     0
    .vgpr_spill_count: 0
    .wavefront_size: 64
  - .agpr_count:     0
    .args:           []
    .group_segment_fixed_size: 0
    .kernarg_segment_align: 4
    .kernarg_segment_size: 0
    .language:       OpenCL C
    .language_version:
      - 2
      - 0
    .max_flat_workgroup_size: 1024
    .name:           _ZN7rocprim17ROCPRIM_400000_NS6detail44device_merge_sort_compile_time_verifier_archINS1_11comp_targetILNS1_3genE8ELNS1_11target_archE1030ELNS1_3gpuE2ELNS1_3repE0EEES8_NS1_28merge_sort_block_sort_configILj256ELj4ELNS0_20block_sort_algorithmE0EEENS0_14default_configENS1_37merge_sort_block_sort_config_selectorIlNS0_10empty_typeEEENS1_38merge_sort_block_merge_config_selectorIlSE_EEEEvv
    .private_segment_fixed_size: 0
    .sgpr_count:     4
    .sgpr_spill_count: 0
    .symbol:         _ZN7rocprim17ROCPRIM_400000_NS6detail44device_merge_sort_compile_time_verifier_archINS1_11comp_targetILNS1_3genE8ELNS1_11target_archE1030ELNS1_3gpuE2ELNS1_3repE0EEES8_NS1_28merge_sort_block_sort_configILj256ELj4ELNS0_20block_sort_algorithmE0EEENS0_14default_configENS1_37merge_sort_block_sort_config_selectorIlNS0_10empty_typeEEENS1_38merge_sort_block_merge_config_selectorIlSE_EEEEvv.kd
    .uniform_work_group_size: 1
    .uses_dynamic_stack: false
    .vgpr_count:     0
    .vgpr_spill_count: 0
    .wavefront_size: 64
  - .agpr_count:     0
    .args:
      - .offset:         0
        .size:           40
        .value_kind:     by_value
    .group_segment_fixed_size: 0
    .kernarg_segment_align: 8
    .kernarg_segment_size: 40
    .language:       OpenCL C
    .language_version:
      - 2
      - 0
    .max_flat_workgroup_size: 128
    .name:           _ZN7rocprim17ROCPRIM_400000_NS6detail17trampoline_kernelINS0_14default_configENS1_38merge_sort_block_merge_config_selectorIlNS0_10empty_typeEEEZZNS1_27merge_sort_block_merge_implIS3_PlPS5_jNS1_19radix_merge_compareILb0ELb0ElNS0_19identity_decomposerEEEEE10hipError_tT0_T1_T2_jT3_P12ihipStream_tbPNSt15iterator_traitsISE_E10value_typeEPNSK_ISF_E10value_typeEPSG_NS1_7vsmem_tEENKUlT_SE_SF_SG_E_clIS8_S8_S9_S9_EESD_ST_SE_SF_SG_EUlST_E_NS1_11comp_targetILNS1_3genE0ELNS1_11target_archE4294967295ELNS1_3gpuE0ELNS1_3repE0EEENS1_48merge_mergepath_partition_config_static_selectorELNS0_4arch9wavefront6targetE1EEEvSF_
    .private_segment_fixed_size: 0
    .sgpr_count:     4
    .sgpr_spill_count: 0
    .symbol:         _ZN7rocprim17ROCPRIM_400000_NS6detail17trampoline_kernelINS0_14default_configENS1_38merge_sort_block_merge_config_selectorIlNS0_10empty_typeEEEZZNS1_27merge_sort_block_merge_implIS3_PlPS5_jNS1_19radix_merge_compareILb0ELb0ElNS0_19identity_decomposerEEEEE10hipError_tT0_T1_T2_jT3_P12ihipStream_tbPNSt15iterator_traitsISE_E10value_typeEPNSK_ISF_E10value_typeEPSG_NS1_7vsmem_tEENKUlT_SE_SF_SG_E_clIS8_S8_S9_S9_EESD_ST_SE_SF_SG_EUlST_E_NS1_11comp_targetILNS1_3genE0ELNS1_11target_archE4294967295ELNS1_3gpuE0ELNS1_3repE0EEENS1_48merge_mergepath_partition_config_static_selectorELNS0_4arch9wavefront6targetE1EEEvSF_.kd
    .uniform_work_group_size: 1
    .uses_dynamic_stack: false
    .vgpr_count:     0
    .vgpr_spill_count: 0
    .wavefront_size: 64
  - .agpr_count:     0
    .args:
      - .offset:         0
        .size:           40
        .value_kind:     by_value
    .group_segment_fixed_size: 0
    .kernarg_segment_align: 8
    .kernarg_segment_size: 40
    .language:       OpenCL C
    .language_version:
      - 2
      - 0
    .max_flat_workgroup_size: 128
    .name:           _ZN7rocprim17ROCPRIM_400000_NS6detail17trampoline_kernelINS0_14default_configENS1_38merge_sort_block_merge_config_selectorIlNS0_10empty_typeEEEZZNS1_27merge_sort_block_merge_implIS3_PlPS5_jNS1_19radix_merge_compareILb0ELb0ElNS0_19identity_decomposerEEEEE10hipError_tT0_T1_T2_jT3_P12ihipStream_tbPNSt15iterator_traitsISE_E10value_typeEPNSK_ISF_E10value_typeEPSG_NS1_7vsmem_tEENKUlT_SE_SF_SG_E_clIS8_S8_S9_S9_EESD_ST_SE_SF_SG_EUlST_E_NS1_11comp_targetILNS1_3genE10ELNS1_11target_archE1201ELNS1_3gpuE5ELNS1_3repE0EEENS1_48merge_mergepath_partition_config_static_selectorELNS0_4arch9wavefront6targetE1EEEvSF_
    .private_segment_fixed_size: 0
    .sgpr_count:     4
    .sgpr_spill_count: 0
    .symbol:         _ZN7rocprim17ROCPRIM_400000_NS6detail17trampoline_kernelINS0_14default_configENS1_38merge_sort_block_merge_config_selectorIlNS0_10empty_typeEEEZZNS1_27merge_sort_block_merge_implIS3_PlPS5_jNS1_19radix_merge_compareILb0ELb0ElNS0_19identity_decomposerEEEEE10hipError_tT0_T1_T2_jT3_P12ihipStream_tbPNSt15iterator_traitsISE_E10value_typeEPNSK_ISF_E10value_typeEPSG_NS1_7vsmem_tEENKUlT_SE_SF_SG_E_clIS8_S8_S9_S9_EESD_ST_SE_SF_SG_EUlST_E_NS1_11comp_targetILNS1_3genE10ELNS1_11target_archE1201ELNS1_3gpuE5ELNS1_3repE0EEENS1_48merge_mergepath_partition_config_static_selectorELNS0_4arch9wavefront6targetE1EEEvSF_.kd
    .uniform_work_group_size: 1
    .uses_dynamic_stack: false
    .vgpr_count:     0
    .vgpr_spill_count: 0
    .wavefront_size: 64
  - .agpr_count:     0
    .args:
      - .offset:         0
        .size:           40
        .value_kind:     by_value
    .group_segment_fixed_size: 0
    .kernarg_segment_align: 8
    .kernarg_segment_size: 40
    .language:       OpenCL C
    .language_version:
      - 2
      - 0
    .max_flat_workgroup_size: 128
    .name:           _ZN7rocprim17ROCPRIM_400000_NS6detail17trampoline_kernelINS0_14default_configENS1_38merge_sort_block_merge_config_selectorIlNS0_10empty_typeEEEZZNS1_27merge_sort_block_merge_implIS3_PlPS5_jNS1_19radix_merge_compareILb0ELb0ElNS0_19identity_decomposerEEEEE10hipError_tT0_T1_T2_jT3_P12ihipStream_tbPNSt15iterator_traitsISE_E10value_typeEPNSK_ISF_E10value_typeEPSG_NS1_7vsmem_tEENKUlT_SE_SF_SG_E_clIS8_S8_S9_S9_EESD_ST_SE_SF_SG_EUlST_E_NS1_11comp_targetILNS1_3genE5ELNS1_11target_archE942ELNS1_3gpuE9ELNS1_3repE0EEENS1_48merge_mergepath_partition_config_static_selectorELNS0_4arch9wavefront6targetE1EEEvSF_
    .private_segment_fixed_size: 0
    .sgpr_count:     4
    .sgpr_spill_count: 0
    .symbol:         _ZN7rocprim17ROCPRIM_400000_NS6detail17trampoline_kernelINS0_14default_configENS1_38merge_sort_block_merge_config_selectorIlNS0_10empty_typeEEEZZNS1_27merge_sort_block_merge_implIS3_PlPS5_jNS1_19radix_merge_compareILb0ELb0ElNS0_19identity_decomposerEEEEE10hipError_tT0_T1_T2_jT3_P12ihipStream_tbPNSt15iterator_traitsISE_E10value_typeEPNSK_ISF_E10value_typeEPSG_NS1_7vsmem_tEENKUlT_SE_SF_SG_E_clIS8_S8_S9_S9_EESD_ST_SE_SF_SG_EUlST_E_NS1_11comp_targetILNS1_3genE5ELNS1_11target_archE942ELNS1_3gpuE9ELNS1_3repE0EEENS1_48merge_mergepath_partition_config_static_selectorELNS0_4arch9wavefront6targetE1EEEvSF_.kd
    .uniform_work_group_size: 1
    .uses_dynamic_stack: false
    .vgpr_count:     0
    .vgpr_spill_count: 0
    .wavefront_size: 64
  - .agpr_count:     0
    .args:
      - .offset:         0
        .size:           40
        .value_kind:     by_value
    .group_segment_fixed_size: 0
    .kernarg_segment_align: 8
    .kernarg_segment_size: 40
    .language:       OpenCL C
    .language_version:
      - 2
      - 0
    .max_flat_workgroup_size: 128
    .name:           _ZN7rocprim17ROCPRIM_400000_NS6detail17trampoline_kernelINS0_14default_configENS1_38merge_sort_block_merge_config_selectorIlNS0_10empty_typeEEEZZNS1_27merge_sort_block_merge_implIS3_PlPS5_jNS1_19radix_merge_compareILb0ELb0ElNS0_19identity_decomposerEEEEE10hipError_tT0_T1_T2_jT3_P12ihipStream_tbPNSt15iterator_traitsISE_E10value_typeEPNSK_ISF_E10value_typeEPSG_NS1_7vsmem_tEENKUlT_SE_SF_SG_E_clIS8_S8_S9_S9_EESD_ST_SE_SF_SG_EUlST_E_NS1_11comp_targetILNS1_3genE4ELNS1_11target_archE910ELNS1_3gpuE8ELNS1_3repE0EEENS1_48merge_mergepath_partition_config_static_selectorELNS0_4arch9wavefront6targetE1EEEvSF_
    .private_segment_fixed_size: 0
    .sgpr_count:     12
    .sgpr_spill_count: 0
    .symbol:         _ZN7rocprim17ROCPRIM_400000_NS6detail17trampoline_kernelINS0_14default_configENS1_38merge_sort_block_merge_config_selectorIlNS0_10empty_typeEEEZZNS1_27merge_sort_block_merge_implIS3_PlPS5_jNS1_19radix_merge_compareILb0ELb0ElNS0_19identity_decomposerEEEEE10hipError_tT0_T1_T2_jT3_P12ihipStream_tbPNSt15iterator_traitsISE_E10value_typeEPNSK_ISF_E10value_typeEPSG_NS1_7vsmem_tEENKUlT_SE_SF_SG_E_clIS8_S8_S9_S9_EESD_ST_SE_SF_SG_EUlST_E_NS1_11comp_targetILNS1_3genE4ELNS1_11target_archE910ELNS1_3gpuE8ELNS1_3repE0EEENS1_48merge_mergepath_partition_config_static_selectorELNS0_4arch9wavefront6targetE1EEEvSF_.kd
    .uniform_work_group_size: 1
    .uses_dynamic_stack: false
    .vgpr_count:     20
    .vgpr_spill_count: 0
    .wavefront_size: 64
  - .agpr_count:     0
    .args:
      - .offset:         0
        .size:           40
        .value_kind:     by_value
    .group_segment_fixed_size: 0
    .kernarg_segment_align: 8
    .kernarg_segment_size: 40
    .language:       OpenCL C
    .language_version:
      - 2
      - 0
    .max_flat_workgroup_size: 128
    .name:           _ZN7rocprim17ROCPRIM_400000_NS6detail17trampoline_kernelINS0_14default_configENS1_38merge_sort_block_merge_config_selectorIlNS0_10empty_typeEEEZZNS1_27merge_sort_block_merge_implIS3_PlPS5_jNS1_19radix_merge_compareILb0ELb0ElNS0_19identity_decomposerEEEEE10hipError_tT0_T1_T2_jT3_P12ihipStream_tbPNSt15iterator_traitsISE_E10value_typeEPNSK_ISF_E10value_typeEPSG_NS1_7vsmem_tEENKUlT_SE_SF_SG_E_clIS8_S8_S9_S9_EESD_ST_SE_SF_SG_EUlST_E_NS1_11comp_targetILNS1_3genE3ELNS1_11target_archE908ELNS1_3gpuE7ELNS1_3repE0EEENS1_48merge_mergepath_partition_config_static_selectorELNS0_4arch9wavefront6targetE1EEEvSF_
    .private_segment_fixed_size: 0
    .sgpr_count:     4
    .sgpr_spill_count: 0
    .symbol:         _ZN7rocprim17ROCPRIM_400000_NS6detail17trampoline_kernelINS0_14default_configENS1_38merge_sort_block_merge_config_selectorIlNS0_10empty_typeEEEZZNS1_27merge_sort_block_merge_implIS3_PlPS5_jNS1_19radix_merge_compareILb0ELb0ElNS0_19identity_decomposerEEEEE10hipError_tT0_T1_T2_jT3_P12ihipStream_tbPNSt15iterator_traitsISE_E10value_typeEPNSK_ISF_E10value_typeEPSG_NS1_7vsmem_tEENKUlT_SE_SF_SG_E_clIS8_S8_S9_S9_EESD_ST_SE_SF_SG_EUlST_E_NS1_11comp_targetILNS1_3genE3ELNS1_11target_archE908ELNS1_3gpuE7ELNS1_3repE0EEENS1_48merge_mergepath_partition_config_static_selectorELNS0_4arch9wavefront6targetE1EEEvSF_.kd
    .uniform_work_group_size: 1
    .uses_dynamic_stack: false
    .vgpr_count:     0
    .vgpr_spill_count: 0
    .wavefront_size: 64
  - .agpr_count:     0
    .args:
      - .offset:         0
        .size:           40
        .value_kind:     by_value
    .group_segment_fixed_size: 0
    .kernarg_segment_align: 8
    .kernarg_segment_size: 40
    .language:       OpenCL C
    .language_version:
      - 2
      - 0
    .max_flat_workgroup_size: 128
    .name:           _ZN7rocprim17ROCPRIM_400000_NS6detail17trampoline_kernelINS0_14default_configENS1_38merge_sort_block_merge_config_selectorIlNS0_10empty_typeEEEZZNS1_27merge_sort_block_merge_implIS3_PlPS5_jNS1_19radix_merge_compareILb0ELb0ElNS0_19identity_decomposerEEEEE10hipError_tT0_T1_T2_jT3_P12ihipStream_tbPNSt15iterator_traitsISE_E10value_typeEPNSK_ISF_E10value_typeEPSG_NS1_7vsmem_tEENKUlT_SE_SF_SG_E_clIS8_S8_S9_S9_EESD_ST_SE_SF_SG_EUlST_E_NS1_11comp_targetILNS1_3genE2ELNS1_11target_archE906ELNS1_3gpuE6ELNS1_3repE0EEENS1_48merge_mergepath_partition_config_static_selectorELNS0_4arch9wavefront6targetE1EEEvSF_
    .private_segment_fixed_size: 0
    .sgpr_count:     4
    .sgpr_spill_count: 0
    .symbol:         _ZN7rocprim17ROCPRIM_400000_NS6detail17trampoline_kernelINS0_14default_configENS1_38merge_sort_block_merge_config_selectorIlNS0_10empty_typeEEEZZNS1_27merge_sort_block_merge_implIS3_PlPS5_jNS1_19radix_merge_compareILb0ELb0ElNS0_19identity_decomposerEEEEE10hipError_tT0_T1_T2_jT3_P12ihipStream_tbPNSt15iterator_traitsISE_E10value_typeEPNSK_ISF_E10value_typeEPSG_NS1_7vsmem_tEENKUlT_SE_SF_SG_E_clIS8_S8_S9_S9_EESD_ST_SE_SF_SG_EUlST_E_NS1_11comp_targetILNS1_3genE2ELNS1_11target_archE906ELNS1_3gpuE6ELNS1_3repE0EEENS1_48merge_mergepath_partition_config_static_selectorELNS0_4arch9wavefront6targetE1EEEvSF_.kd
    .uniform_work_group_size: 1
    .uses_dynamic_stack: false
    .vgpr_count:     0
    .vgpr_spill_count: 0
    .wavefront_size: 64
  - .agpr_count:     0
    .args:
      - .offset:         0
        .size:           40
        .value_kind:     by_value
    .group_segment_fixed_size: 0
    .kernarg_segment_align: 8
    .kernarg_segment_size: 40
    .language:       OpenCL C
    .language_version:
      - 2
      - 0
    .max_flat_workgroup_size: 128
    .name:           _ZN7rocprim17ROCPRIM_400000_NS6detail17trampoline_kernelINS0_14default_configENS1_38merge_sort_block_merge_config_selectorIlNS0_10empty_typeEEEZZNS1_27merge_sort_block_merge_implIS3_PlPS5_jNS1_19radix_merge_compareILb0ELb0ElNS0_19identity_decomposerEEEEE10hipError_tT0_T1_T2_jT3_P12ihipStream_tbPNSt15iterator_traitsISE_E10value_typeEPNSK_ISF_E10value_typeEPSG_NS1_7vsmem_tEENKUlT_SE_SF_SG_E_clIS8_S8_S9_S9_EESD_ST_SE_SF_SG_EUlST_E_NS1_11comp_targetILNS1_3genE9ELNS1_11target_archE1100ELNS1_3gpuE3ELNS1_3repE0EEENS1_48merge_mergepath_partition_config_static_selectorELNS0_4arch9wavefront6targetE1EEEvSF_
    .private_segment_fixed_size: 0
    .sgpr_count:     4
    .sgpr_spill_count: 0
    .symbol:         _ZN7rocprim17ROCPRIM_400000_NS6detail17trampoline_kernelINS0_14default_configENS1_38merge_sort_block_merge_config_selectorIlNS0_10empty_typeEEEZZNS1_27merge_sort_block_merge_implIS3_PlPS5_jNS1_19radix_merge_compareILb0ELb0ElNS0_19identity_decomposerEEEEE10hipError_tT0_T1_T2_jT3_P12ihipStream_tbPNSt15iterator_traitsISE_E10value_typeEPNSK_ISF_E10value_typeEPSG_NS1_7vsmem_tEENKUlT_SE_SF_SG_E_clIS8_S8_S9_S9_EESD_ST_SE_SF_SG_EUlST_E_NS1_11comp_targetILNS1_3genE9ELNS1_11target_archE1100ELNS1_3gpuE3ELNS1_3repE0EEENS1_48merge_mergepath_partition_config_static_selectorELNS0_4arch9wavefront6targetE1EEEvSF_.kd
    .uniform_work_group_size: 1
    .uses_dynamic_stack: false
    .vgpr_count:     0
    .vgpr_spill_count: 0
    .wavefront_size: 64
  - .agpr_count:     0
    .args:
      - .offset:         0
        .size:           40
        .value_kind:     by_value
    .group_segment_fixed_size: 0
    .kernarg_segment_align: 8
    .kernarg_segment_size: 40
    .language:       OpenCL C
    .language_version:
      - 2
      - 0
    .max_flat_workgroup_size: 128
    .name:           _ZN7rocprim17ROCPRIM_400000_NS6detail17trampoline_kernelINS0_14default_configENS1_38merge_sort_block_merge_config_selectorIlNS0_10empty_typeEEEZZNS1_27merge_sort_block_merge_implIS3_PlPS5_jNS1_19radix_merge_compareILb0ELb0ElNS0_19identity_decomposerEEEEE10hipError_tT0_T1_T2_jT3_P12ihipStream_tbPNSt15iterator_traitsISE_E10value_typeEPNSK_ISF_E10value_typeEPSG_NS1_7vsmem_tEENKUlT_SE_SF_SG_E_clIS8_S8_S9_S9_EESD_ST_SE_SF_SG_EUlST_E_NS1_11comp_targetILNS1_3genE8ELNS1_11target_archE1030ELNS1_3gpuE2ELNS1_3repE0EEENS1_48merge_mergepath_partition_config_static_selectorELNS0_4arch9wavefront6targetE1EEEvSF_
    .private_segment_fixed_size: 0
    .sgpr_count:     4
    .sgpr_spill_count: 0
    .symbol:         _ZN7rocprim17ROCPRIM_400000_NS6detail17trampoline_kernelINS0_14default_configENS1_38merge_sort_block_merge_config_selectorIlNS0_10empty_typeEEEZZNS1_27merge_sort_block_merge_implIS3_PlPS5_jNS1_19radix_merge_compareILb0ELb0ElNS0_19identity_decomposerEEEEE10hipError_tT0_T1_T2_jT3_P12ihipStream_tbPNSt15iterator_traitsISE_E10value_typeEPNSK_ISF_E10value_typeEPSG_NS1_7vsmem_tEENKUlT_SE_SF_SG_E_clIS8_S8_S9_S9_EESD_ST_SE_SF_SG_EUlST_E_NS1_11comp_targetILNS1_3genE8ELNS1_11target_archE1030ELNS1_3gpuE2ELNS1_3repE0EEENS1_48merge_mergepath_partition_config_static_selectorELNS0_4arch9wavefront6targetE1EEEvSF_.kd
    .uniform_work_group_size: 1
    .uses_dynamic_stack: false
    .vgpr_count:     0
    .vgpr_spill_count: 0
    .wavefront_size: 64
  - .agpr_count:     0
    .args:
      - .offset:         0
        .size:           64
        .value_kind:     by_value
    .group_segment_fixed_size: 0
    .kernarg_segment_align: 8
    .kernarg_segment_size: 64
    .language:       OpenCL C
    .language_version:
      - 2
      - 0
    .max_flat_workgroup_size: 128
    .name:           _ZN7rocprim17ROCPRIM_400000_NS6detail17trampoline_kernelINS0_14default_configENS1_38merge_sort_block_merge_config_selectorIlNS0_10empty_typeEEEZZNS1_27merge_sort_block_merge_implIS3_PlPS5_jNS1_19radix_merge_compareILb0ELb0ElNS0_19identity_decomposerEEEEE10hipError_tT0_T1_T2_jT3_P12ihipStream_tbPNSt15iterator_traitsISE_E10value_typeEPNSK_ISF_E10value_typeEPSG_NS1_7vsmem_tEENKUlT_SE_SF_SG_E_clIS8_S8_S9_S9_EESD_ST_SE_SF_SG_EUlST_E0_NS1_11comp_targetILNS1_3genE0ELNS1_11target_archE4294967295ELNS1_3gpuE0ELNS1_3repE0EEENS1_38merge_mergepath_config_static_selectorELNS0_4arch9wavefront6targetE1EEEvSF_
    .private_segment_fixed_size: 0
    .sgpr_count:     4
    .sgpr_spill_count: 0
    .symbol:         _ZN7rocprim17ROCPRIM_400000_NS6detail17trampoline_kernelINS0_14default_configENS1_38merge_sort_block_merge_config_selectorIlNS0_10empty_typeEEEZZNS1_27merge_sort_block_merge_implIS3_PlPS5_jNS1_19radix_merge_compareILb0ELb0ElNS0_19identity_decomposerEEEEE10hipError_tT0_T1_T2_jT3_P12ihipStream_tbPNSt15iterator_traitsISE_E10value_typeEPNSK_ISF_E10value_typeEPSG_NS1_7vsmem_tEENKUlT_SE_SF_SG_E_clIS8_S8_S9_S9_EESD_ST_SE_SF_SG_EUlST_E0_NS1_11comp_targetILNS1_3genE0ELNS1_11target_archE4294967295ELNS1_3gpuE0ELNS1_3repE0EEENS1_38merge_mergepath_config_static_selectorELNS0_4arch9wavefront6targetE1EEEvSF_.kd
    .uniform_work_group_size: 1
    .uses_dynamic_stack: false
    .vgpr_count:     0
    .vgpr_spill_count: 0
    .wavefront_size: 64
  - .agpr_count:     0
    .args:
      - .offset:         0
        .size:           64
        .value_kind:     by_value
    .group_segment_fixed_size: 0
    .kernarg_segment_align: 8
    .kernarg_segment_size: 64
    .language:       OpenCL C
    .language_version:
      - 2
      - 0
    .max_flat_workgroup_size: 512
    .name:           _ZN7rocprim17ROCPRIM_400000_NS6detail17trampoline_kernelINS0_14default_configENS1_38merge_sort_block_merge_config_selectorIlNS0_10empty_typeEEEZZNS1_27merge_sort_block_merge_implIS3_PlPS5_jNS1_19radix_merge_compareILb0ELb0ElNS0_19identity_decomposerEEEEE10hipError_tT0_T1_T2_jT3_P12ihipStream_tbPNSt15iterator_traitsISE_E10value_typeEPNSK_ISF_E10value_typeEPSG_NS1_7vsmem_tEENKUlT_SE_SF_SG_E_clIS8_S8_S9_S9_EESD_ST_SE_SF_SG_EUlST_E0_NS1_11comp_targetILNS1_3genE10ELNS1_11target_archE1201ELNS1_3gpuE5ELNS1_3repE0EEENS1_38merge_mergepath_config_static_selectorELNS0_4arch9wavefront6targetE1EEEvSF_
    .private_segment_fixed_size: 0
    .sgpr_count:     4
    .sgpr_spill_count: 0
    .symbol:         _ZN7rocprim17ROCPRIM_400000_NS6detail17trampoline_kernelINS0_14default_configENS1_38merge_sort_block_merge_config_selectorIlNS0_10empty_typeEEEZZNS1_27merge_sort_block_merge_implIS3_PlPS5_jNS1_19radix_merge_compareILb0ELb0ElNS0_19identity_decomposerEEEEE10hipError_tT0_T1_T2_jT3_P12ihipStream_tbPNSt15iterator_traitsISE_E10value_typeEPNSK_ISF_E10value_typeEPSG_NS1_7vsmem_tEENKUlT_SE_SF_SG_E_clIS8_S8_S9_S9_EESD_ST_SE_SF_SG_EUlST_E0_NS1_11comp_targetILNS1_3genE10ELNS1_11target_archE1201ELNS1_3gpuE5ELNS1_3repE0EEENS1_38merge_mergepath_config_static_selectorELNS0_4arch9wavefront6targetE1EEEvSF_.kd
    .uniform_work_group_size: 1
    .uses_dynamic_stack: false
    .vgpr_count:     0
    .vgpr_spill_count: 0
    .wavefront_size: 64
  - .agpr_count:     0
    .args:
      - .offset:         0
        .size:           64
        .value_kind:     by_value
    .group_segment_fixed_size: 0
    .kernarg_segment_align: 8
    .kernarg_segment_size: 64
    .language:       OpenCL C
    .language_version:
      - 2
      - 0
    .max_flat_workgroup_size: 128
    .name:           _ZN7rocprim17ROCPRIM_400000_NS6detail17trampoline_kernelINS0_14default_configENS1_38merge_sort_block_merge_config_selectorIlNS0_10empty_typeEEEZZNS1_27merge_sort_block_merge_implIS3_PlPS5_jNS1_19radix_merge_compareILb0ELb0ElNS0_19identity_decomposerEEEEE10hipError_tT0_T1_T2_jT3_P12ihipStream_tbPNSt15iterator_traitsISE_E10value_typeEPNSK_ISF_E10value_typeEPSG_NS1_7vsmem_tEENKUlT_SE_SF_SG_E_clIS8_S8_S9_S9_EESD_ST_SE_SF_SG_EUlST_E0_NS1_11comp_targetILNS1_3genE5ELNS1_11target_archE942ELNS1_3gpuE9ELNS1_3repE0EEENS1_38merge_mergepath_config_static_selectorELNS0_4arch9wavefront6targetE1EEEvSF_
    .private_segment_fixed_size: 0
    .sgpr_count:     4
    .sgpr_spill_count: 0
    .symbol:         _ZN7rocprim17ROCPRIM_400000_NS6detail17trampoline_kernelINS0_14default_configENS1_38merge_sort_block_merge_config_selectorIlNS0_10empty_typeEEEZZNS1_27merge_sort_block_merge_implIS3_PlPS5_jNS1_19radix_merge_compareILb0ELb0ElNS0_19identity_decomposerEEEEE10hipError_tT0_T1_T2_jT3_P12ihipStream_tbPNSt15iterator_traitsISE_E10value_typeEPNSK_ISF_E10value_typeEPSG_NS1_7vsmem_tEENKUlT_SE_SF_SG_E_clIS8_S8_S9_S9_EESD_ST_SE_SF_SG_EUlST_E0_NS1_11comp_targetILNS1_3genE5ELNS1_11target_archE942ELNS1_3gpuE9ELNS1_3repE0EEENS1_38merge_mergepath_config_static_selectorELNS0_4arch9wavefront6targetE1EEEvSF_.kd
    .uniform_work_group_size: 1
    .uses_dynamic_stack: false
    .vgpr_count:     0
    .vgpr_spill_count: 0
    .wavefront_size: 64
  - .agpr_count:     0
    .args:
      - .offset:         0
        .size:           64
        .value_kind:     by_value
      - .offset:         64
        .size:           4
        .value_kind:     hidden_block_count_x
      - .offset:         68
        .size:           4
        .value_kind:     hidden_block_count_y
      - .offset:         72
        .size:           4
        .value_kind:     hidden_block_count_z
      - .offset:         76
        .size:           2
        .value_kind:     hidden_group_size_x
      - .offset:         78
        .size:           2
        .value_kind:     hidden_group_size_y
      - .offset:         80
        .size:           2
        .value_kind:     hidden_group_size_z
      - .offset:         82
        .size:           2
        .value_kind:     hidden_remainder_x
      - .offset:         84
        .size:           2
        .value_kind:     hidden_remainder_y
      - .offset:         86
        .size:           2
        .value_kind:     hidden_remainder_z
      - .offset:         104
        .size:           8
        .value_kind:     hidden_global_offset_x
      - .offset:         112
        .size:           8
        .value_kind:     hidden_global_offset_y
      - .offset:         120
        .size:           8
        .value_kind:     hidden_global_offset_z
      - .offset:         128
        .size:           2
        .value_kind:     hidden_grid_dims
    .group_segment_fixed_size: 8448
    .kernarg_segment_align: 8
    .kernarg_segment_size: 320
    .language:       OpenCL C
    .language_version:
      - 2
      - 0
    .max_flat_workgroup_size: 256
    .name:           _ZN7rocprim17ROCPRIM_400000_NS6detail17trampoline_kernelINS0_14default_configENS1_38merge_sort_block_merge_config_selectorIlNS0_10empty_typeEEEZZNS1_27merge_sort_block_merge_implIS3_PlPS5_jNS1_19radix_merge_compareILb0ELb0ElNS0_19identity_decomposerEEEEE10hipError_tT0_T1_T2_jT3_P12ihipStream_tbPNSt15iterator_traitsISE_E10value_typeEPNSK_ISF_E10value_typeEPSG_NS1_7vsmem_tEENKUlT_SE_SF_SG_E_clIS8_S8_S9_S9_EESD_ST_SE_SF_SG_EUlST_E0_NS1_11comp_targetILNS1_3genE4ELNS1_11target_archE910ELNS1_3gpuE8ELNS1_3repE0EEENS1_38merge_mergepath_config_static_selectorELNS0_4arch9wavefront6targetE1EEEvSF_
    .private_segment_fixed_size: 0
    .sgpr_count:     27
    .sgpr_spill_count: 0
    .symbol:         _ZN7rocprim17ROCPRIM_400000_NS6detail17trampoline_kernelINS0_14default_configENS1_38merge_sort_block_merge_config_selectorIlNS0_10empty_typeEEEZZNS1_27merge_sort_block_merge_implIS3_PlPS5_jNS1_19radix_merge_compareILb0ELb0ElNS0_19identity_decomposerEEEEE10hipError_tT0_T1_T2_jT3_P12ihipStream_tbPNSt15iterator_traitsISE_E10value_typeEPNSK_ISF_E10value_typeEPSG_NS1_7vsmem_tEENKUlT_SE_SF_SG_E_clIS8_S8_S9_S9_EESD_ST_SE_SF_SG_EUlST_E0_NS1_11comp_targetILNS1_3genE4ELNS1_11target_archE910ELNS1_3gpuE8ELNS1_3repE0EEENS1_38merge_mergepath_config_static_selectorELNS0_4arch9wavefront6targetE1EEEvSF_.kd
    .uniform_work_group_size: 1
    .uses_dynamic_stack: false
    .vgpr_count:     21
    .vgpr_spill_count: 0
    .wavefront_size: 64
  - .agpr_count:     0
    .args:
      - .offset:         0
        .size:           64
        .value_kind:     by_value
    .group_segment_fixed_size: 0
    .kernarg_segment_align: 8
    .kernarg_segment_size: 64
    .language:       OpenCL C
    .language_version:
      - 2
      - 0
    .max_flat_workgroup_size: 128
    .name:           _ZN7rocprim17ROCPRIM_400000_NS6detail17trampoline_kernelINS0_14default_configENS1_38merge_sort_block_merge_config_selectorIlNS0_10empty_typeEEEZZNS1_27merge_sort_block_merge_implIS3_PlPS5_jNS1_19radix_merge_compareILb0ELb0ElNS0_19identity_decomposerEEEEE10hipError_tT0_T1_T2_jT3_P12ihipStream_tbPNSt15iterator_traitsISE_E10value_typeEPNSK_ISF_E10value_typeEPSG_NS1_7vsmem_tEENKUlT_SE_SF_SG_E_clIS8_S8_S9_S9_EESD_ST_SE_SF_SG_EUlST_E0_NS1_11comp_targetILNS1_3genE3ELNS1_11target_archE908ELNS1_3gpuE7ELNS1_3repE0EEENS1_38merge_mergepath_config_static_selectorELNS0_4arch9wavefront6targetE1EEEvSF_
    .private_segment_fixed_size: 0
    .sgpr_count:     4
    .sgpr_spill_count: 0
    .symbol:         _ZN7rocprim17ROCPRIM_400000_NS6detail17trampoline_kernelINS0_14default_configENS1_38merge_sort_block_merge_config_selectorIlNS0_10empty_typeEEEZZNS1_27merge_sort_block_merge_implIS3_PlPS5_jNS1_19radix_merge_compareILb0ELb0ElNS0_19identity_decomposerEEEEE10hipError_tT0_T1_T2_jT3_P12ihipStream_tbPNSt15iterator_traitsISE_E10value_typeEPNSK_ISF_E10value_typeEPSG_NS1_7vsmem_tEENKUlT_SE_SF_SG_E_clIS8_S8_S9_S9_EESD_ST_SE_SF_SG_EUlST_E0_NS1_11comp_targetILNS1_3genE3ELNS1_11target_archE908ELNS1_3gpuE7ELNS1_3repE0EEENS1_38merge_mergepath_config_static_selectorELNS0_4arch9wavefront6targetE1EEEvSF_.kd
    .uniform_work_group_size: 1
    .uses_dynamic_stack: false
    .vgpr_count:     0
    .vgpr_spill_count: 0
    .wavefront_size: 64
  - .agpr_count:     0
    .args:
      - .offset:         0
        .size:           64
        .value_kind:     by_value
    .group_segment_fixed_size: 0
    .kernarg_segment_align: 8
    .kernarg_segment_size: 64
    .language:       OpenCL C
    .language_version:
      - 2
      - 0
    .max_flat_workgroup_size: 256
    .name:           _ZN7rocprim17ROCPRIM_400000_NS6detail17trampoline_kernelINS0_14default_configENS1_38merge_sort_block_merge_config_selectorIlNS0_10empty_typeEEEZZNS1_27merge_sort_block_merge_implIS3_PlPS5_jNS1_19radix_merge_compareILb0ELb0ElNS0_19identity_decomposerEEEEE10hipError_tT0_T1_T2_jT3_P12ihipStream_tbPNSt15iterator_traitsISE_E10value_typeEPNSK_ISF_E10value_typeEPSG_NS1_7vsmem_tEENKUlT_SE_SF_SG_E_clIS8_S8_S9_S9_EESD_ST_SE_SF_SG_EUlST_E0_NS1_11comp_targetILNS1_3genE2ELNS1_11target_archE906ELNS1_3gpuE6ELNS1_3repE0EEENS1_38merge_mergepath_config_static_selectorELNS0_4arch9wavefront6targetE1EEEvSF_
    .private_segment_fixed_size: 0
    .sgpr_count:     4
    .sgpr_spill_count: 0
    .symbol:         _ZN7rocprim17ROCPRIM_400000_NS6detail17trampoline_kernelINS0_14default_configENS1_38merge_sort_block_merge_config_selectorIlNS0_10empty_typeEEEZZNS1_27merge_sort_block_merge_implIS3_PlPS5_jNS1_19radix_merge_compareILb0ELb0ElNS0_19identity_decomposerEEEEE10hipError_tT0_T1_T2_jT3_P12ihipStream_tbPNSt15iterator_traitsISE_E10value_typeEPNSK_ISF_E10value_typeEPSG_NS1_7vsmem_tEENKUlT_SE_SF_SG_E_clIS8_S8_S9_S9_EESD_ST_SE_SF_SG_EUlST_E0_NS1_11comp_targetILNS1_3genE2ELNS1_11target_archE906ELNS1_3gpuE6ELNS1_3repE0EEENS1_38merge_mergepath_config_static_selectorELNS0_4arch9wavefront6targetE1EEEvSF_.kd
    .uniform_work_group_size: 1
    .uses_dynamic_stack: false
    .vgpr_count:     0
    .vgpr_spill_count: 0
    .wavefront_size: 64
  - .agpr_count:     0
    .args:
      - .offset:         0
        .size:           64
        .value_kind:     by_value
    .group_segment_fixed_size: 0
    .kernarg_segment_align: 8
    .kernarg_segment_size: 64
    .language:       OpenCL C
    .language_version:
      - 2
      - 0
    .max_flat_workgroup_size: 512
    .name:           _ZN7rocprim17ROCPRIM_400000_NS6detail17trampoline_kernelINS0_14default_configENS1_38merge_sort_block_merge_config_selectorIlNS0_10empty_typeEEEZZNS1_27merge_sort_block_merge_implIS3_PlPS5_jNS1_19radix_merge_compareILb0ELb0ElNS0_19identity_decomposerEEEEE10hipError_tT0_T1_T2_jT3_P12ihipStream_tbPNSt15iterator_traitsISE_E10value_typeEPNSK_ISF_E10value_typeEPSG_NS1_7vsmem_tEENKUlT_SE_SF_SG_E_clIS8_S8_S9_S9_EESD_ST_SE_SF_SG_EUlST_E0_NS1_11comp_targetILNS1_3genE9ELNS1_11target_archE1100ELNS1_3gpuE3ELNS1_3repE0EEENS1_38merge_mergepath_config_static_selectorELNS0_4arch9wavefront6targetE1EEEvSF_
    .private_segment_fixed_size: 0
    .sgpr_count:     4
    .sgpr_spill_count: 0
    .symbol:         _ZN7rocprim17ROCPRIM_400000_NS6detail17trampoline_kernelINS0_14default_configENS1_38merge_sort_block_merge_config_selectorIlNS0_10empty_typeEEEZZNS1_27merge_sort_block_merge_implIS3_PlPS5_jNS1_19radix_merge_compareILb0ELb0ElNS0_19identity_decomposerEEEEE10hipError_tT0_T1_T2_jT3_P12ihipStream_tbPNSt15iterator_traitsISE_E10value_typeEPNSK_ISF_E10value_typeEPSG_NS1_7vsmem_tEENKUlT_SE_SF_SG_E_clIS8_S8_S9_S9_EESD_ST_SE_SF_SG_EUlST_E0_NS1_11comp_targetILNS1_3genE9ELNS1_11target_archE1100ELNS1_3gpuE3ELNS1_3repE0EEENS1_38merge_mergepath_config_static_selectorELNS0_4arch9wavefront6targetE1EEEvSF_.kd
    .uniform_work_group_size: 1
    .uses_dynamic_stack: false
    .vgpr_count:     0
    .vgpr_spill_count: 0
    .wavefront_size: 64
  - .agpr_count:     0
    .args:
      - .offset:         0
        .size:           64
        .value_kind:     by_value
    .group_segment_fixed_size: 0
    .kernarg_segment_align: 8
    .kernarg_segment_size: 64
    .language:       OpenCL C
    .language_version:
      - 2
      - 0
    .max_flat_workgroup_size: 1024
    .name:           _ZN7rocprim17ROCPRIM_400000_NS6detail17trampoline_kernelINS0_14default_configENS1_38merge_sort_block_merge_config_selectorIlNS0_10empty_typeEEEZZNS1_27merge_sort_block_merge_implIS3_PlPS5_jNS1_19radix_merge_compareILb0ELb0ElNS0_19identity_decomposerEEEEE10hipError_tT0_T1_T2_jT3_P12ihipStream_tbPNSt15iterator_traitsISE_E10value_typeEPNSK_ISF_E10value_typeEPSG_NS1_7vsmem_tEENKUlT_SE_SF_SG_E_clIS8_S8_S9_S9_EESD_ST_SE_SF_SG_EUlST_E0_NS1_11comp_targetILNS1_3genE8ELNS1_11target_archE1030ELNS1_3gpuE2ELNS1_3repE0EEENS1_38merge_mergepath_config_static_selectorELNS0_4arch9wavefront6targetE1EEEvSF_
    .private_segment_fixed_size: 0
    .sgpr_count:     4
    .sgpr_spill_count: 0
    .symbol:         _ZN7rocprim17ROCPRIM_400000_NS6detail17trampoline_kernelINS0_14default_configENS1_38merge_sort_block_merge_config_selectorIlNS0_10empty_typeEEEZZNS1_27merge_sort_block_merge_implIS3_PlPS5_jNS1_19radix_merge_compareILb0ELb0ElNS0_19identity_decomposerEEEEE10hipError_tT0_T1_T2_jT3_P12ihipStream_tbPNSt15iterator_traitsISE_E10value_typeEPNSK_ISF_E10value_typeEPSG_NS1_7vsmem_tEENKUlT_SE_SF_SG_E_clIS8_S8_S9_S9_EESD_ST_SE_SF_SG_EUlST_E0_NS1_11comp_targetILNS1_3genE8ELNS1_11target_archE1030ELNS1_3gpuE2ELNS1_3repE0EEENS1_38merge_mergepath_config_static_selectorELNS0_4arch9wavefront6targetE1EEEvSF_.kd
    .uniform_work_group_size: 1
    .uses_dynamic_stack: false
    .vgpr_count:     0
    .vgpr_spill_count: 0
    .wavefront_size: 64
  - .agpr_count:     0
    .args:
      - .offset:         0
        .size:           48
        .value_kind:     by_value
    .group_segment_fixed_size: 0
    .kernarg_segment_align: 8
    .kernarg_segment_size: 48
    .language:       OpenCL C
    .language_version:
      - 2
      - 0
    .max_flat_workgroup_size: 256
    .name:           _ZN7rocprim17ROCPRIM_400000_NS6detail17trampoline_kernelINS0_14default_configENS1_38merge_sort_block_merge_config_selectorIlNS0_10empty_typeEEEZZNS1_27merge_sort_block_merge_implIS3_PlPS5_jNS1_19radix_merge_compareILb0ELb0ElNS0_19identity_decomposerEEEEE10hipError_tT0_T1_T2_jT3_P12ihipStream_tbPNSt15iterator_traitsISE_E10value_typeEPNSK_ISF_E10value_typeEPSG_NS1_7vsmem_tEENKUlT_SE_SF_SG_E_clIS8_S8_S9_S9_EESD_ST_SE_SF_SG_EUlST_E1_NS1_11comp_targetILNS1_3genE0ELNS1_11target_archE4294967295ELNS1_3gpuE0ELNS1_3repE0EEENS1_36merge_oddeven_config_static_selectorELNS0_4arch9wavefront6targetE1EEEvSF_
    .private_segment_fixed_size: 0
    .sgpr_count:     4
    .sgpr_spill_count: 0
    .symbol:         _ZN7rocprim17ROCPRIM_400000_NS6detail17trampoline_kernelINS0_14default_configENS1_38merge_sort_block_merge_config_selectorIlNS0_10empty_typeEEEZZNS1_27merge_sort_block_merge_implIS3_PlPS5_jNS1_19radix_merge_compareILb0ELb0ElNS0_19identity_decomposerEEEEE10hipError_tT0_T1_T2_jT3_P12ihipStream_tbPNSt15iterator_traitsISE_E10value_typeEPNSK_ISF_E10value_typeEPSG_NS1_7vsmem_tEENKUlT_SE_SF_SG_E_clIS8_S8_S9_S9_EESD_ST_SE_SF_SG_EUlST_E1_NS1_11comp_targetILNS1_3genE0ELNS1_11target_archE4294967295ELNS1_3gpuE0ELNS1_3repE0EEENS1_36merge_oddeven_config_static_selectorELNS0_4arch9wavefront6targetE1EEEvSF_.kd
    .uniform_work_group_size: 1
    .uses_dynamic_stack: false
    .vgpr_count:     0
    .vgpr_spill_count: 0
    .wavefront_size: 64
  - .agpr_count:     0
    .args:
      - .offset:         0
        .size:           48
        .value_kind:     by_value
    .group_segment_fixed_size: 0
    .kernarg_segment_align: 8
    .kernarg_segment_size: 48
    .language:       OpenCL C
    .language_version:
      - 2
      - 0
    .max_flat_workgroup_size: 256
    .name:           _ZN7rocprim17ROCPRIM_400000_NS6detail17trampoline_kernelINS0_14default_configENS1_38merge_sort_block_merge_config_selectorIlNS0_10empty_typeEEEZZNS1_27merge_sort_block_merge_implIS3_PlPS5_jNS1_19radix_merge_compareILb0ELb0ElNS0_19identity_decomposerEEEEE10hipError_tT0_T1_T2_jT3_P12ihipStream_tbPNSt15iterator_traitsISE_E10value_typeEPNSK_ISF_E10value_typeEPSG_NS1_7vsmem_tEENKUlT_SE_SF_SG_E_clIS8_S8_S9_S9_EESD_ST_SE_SF_SG_EUlST_E1_NS1_11comp_targetILNS1_3genE10ELNS1_11target_archE1201ELNS1_3gpuE5ELNS1_3repE0EEENS1_36merge_oddeven_config_static_selectorELNS0_4arch9wavefront6targetE1EEEvSF_
    .private_segment_fixed_size: 0
    .sgpr_count:     4
    .sgpr_spill_count: 0
    .symbol:         _ZN7rocprim17ROCPRIM_400000_NS6detail17trampoline_kernelINS0_14default_configENS1_38merge_sort_block_merge_config_selectorIlNS0_10empty_typeEEEZZNS1_27merge_sort_block_merge_implIS3_PlPS5_jNS1_19radix_merge_compareILb0ELb0ElNS0_19identity_decomposerEEEEE10hipError_tT0_T1_T2_jT3_P12ihipStream_tbPNSt15iterator_traitsISE_E10value_typeEPNSK_ISF_E10value_typeEPSG_NS1_7vsmem_tEENKUlT_SE_SF_SG_E_clIS8_S8_S9_S9_EESD_ST_SE_SF_SG_EUlST_E1_NS1_11comp_targetILNS1_3genE10ELNS1_11target_archE1201ELNS1_3gpuE5ELNS1_3repE0EEENS1_36merge_oddeven_config_static_selectorELNS0_4arch9wavefront6targetE1EEEvSF_.kd
    .uniform_work_group_size: 1
    .uses_dynamic_stack: false
    .vgpr_count:     0
    .vgpr_spill_count: 0
    .wavefront_size: 64
  - .agpr_count:     0
    .args:
      - .offset:         0
        .size:           48
        .value_kind:     by_value
    .group_segment_fixed_size: 0
    .kernarg_segment_align: 8
    .kernarg_segment_size: 48
    .language:       OpenCL C
    .language_version:
      - 2
      - 0
    .max_flat_workgroup_size: 256
    .name:           _ZN7rocprim17ROCPRIM_400000_NS6detail17trampoline_kernelINS0_14default_configENS1_38merge_sort_block_merge_config_selectorIlNS0_10empty_typeEEEZZNS1_27merge_sort_block_merge_implIS3_PlPS5_jNS1_19radix_merge_compareILb0ELb0ElNS0_19identity_decomposerEEEEE10hipError_tT0_T1_T2_jT3_P12ihipStream_tbPNSt15iterator_traitsISE_E10value_typeEPNSK_ISF_E10value_typeEPSG_NS1_7vsmem_tEENKUlT_SE_SF_SG_E_clIS8_S8_S9_S9_EESD_ST_SE_SF_SG_EUlST_E1_NS1_11comp_targetILNS1_3genE5ELNS1_11target_archE942ELNS1_3gpuE9ELNS1_3repE0EEENS1_36merge_oddeven_config_static_selectorELNS0_4arch9wavefront6targetE1EEEvSF_
    .private_segment_fixed_size: 0
    .sgpr_count:     4
    .sgpr_spill_count: 0
    .symbol:         _ZN7rocprim17ROCPRIM_400000_NS6detail17trampoline_kernelINS0_14default_configENS1_38merge_sort_block_merge_config_selectorIlNS0_10empty_typeEEEZZNS1_27merge_sort_block_merge_implIS3_PlPS5_jNS1_19radix_merge_compareILb0ELb0ElNS0_19identity_decomposerEEEEE10hipError_tT0_T1_T2_jT3_P12ihipStream_tbPNSt15iterator_traitsISE_E10value_typeEPNSK_ISF_E10value_typeEPSG_NS1_7vsmem_tEENKUlT_SE_SF_SG_E_clIS8_S8_S9_S9_EESD_ST_SE_SF_SG_EUlST_E1_NS1_11comp_targetILNS1_3genE5ELNS1_11target_archE942ELNS1_3gpuE9ELNS1_3repE0EEENS1_36merge_oddeven_config_static_selectorELNS0_4arch9wavefront6targetE1EEEvSF_.kd
    .uniform_work_group_size: 1
    .uses_dynamic_stack: false
    .vgpr_count:     0
    .vgpr_spill_count: 0
    .wavefront_size: 64
  - .agpr_count:     0
    .args:
      - .offset:         0
        .size:           48
        .value_kind:     by_value
    .group_segment_fixed_size: 0
    .kernarg_segment_align: 8
    .kernarg_segment_size: 48
    .language:       OpenCL C
    .language_version:
      - 2
      - 0
    .max_flat_workgroup_size: 256
    .name:           _ZN7rocprim17ROCPRIM_400000_NS6detail17trampoline_kernelINS0_14default_configENS1_38merge_sort_block_merge_config_selectorIlNS0_10empty_typeEEEZZNS1_27merge_sort_block_merge_implIS3_PlPS5_jNS1_19radix_merge_compareILb0ELb0ElNS0_19identity_decomposerEEEEE10hipError_tT0_T1_T2_jT3_P12ihipStream_tbPNSt15iterator_traitsISE_E10value_typeEPNSK_ISF_E10value_typeEPSG_NS1_7vsmem_tEENKUlT_SE_SF_SG_E_clIS8_S8_S9_S9_EESD_ST_SE_SF_SG_EUlST_E1_NS1_11comp_targetILNS1_3genE4ELNS1_11target_archE910ELNS1_3gpuE8ELNS1_3repE0EEENS1_36merge_oddeven_config_static_selectorELNS0_4arch9wavefront6targetE1EEEvSF_
    .private_segment_fixed_size: 0
    .sgpr_count:     25
    .sgpr_spill_count: 0
    .symbol:         _ZN7rocprim17ROCPRIM_400000_NS6detail17trampoline_kernelINS0_14default_configENS1_38merge_sort_block_merge_config_selectorIlNS0_10empty_typeEEEZZNS1_27merge_sort_block_merge_implIS3_PlPS5_jNS1_19radix_merge_compareILb0ELb0ElNS0_19identity_decomposerEEEEE10hipError_tT0_T1_T2_jT3_P12ihipStream_tbPNSt15iterator_traitsISE_E10value_typeEPNSK_ISF_E10value_typeEPSG_NS1_7vsmem_tEENKUlT_SE_SF_SG_E_clIS8_S8_S9_S9_EESD_ST_SE_SF_SG_EUlST_E1_NS1_11comp_targetILNS1_3genE4ELNS1_11target_archE910ELNS1_3gpuE8ELNS1_3repE0EEENS1_36merge_oddeven_config_static_selectorELNS0_4arch9wavefront6targetE1EEEvSF_.kd
    .uniform_work_group_size: 1
    .uses_dynamic_stack: false
    .vgpr_count:     12
    .vgpr_spill_count: 0
    .wavefront_size: 64
  - .agpr_count:     0
    .args:
      - .offset:         0
        .size:           48
        .value_kind:     by_value
    .group_segment_fixed_size: 0
    .kernarg_segment_align: 8
    .kernarg_segment_size: 48
    .language:       OpenCL C
    .language_version:
      - 2
      - 0
    .max_flat_workgroup_size: 256
    .name:           _ZN7rocprim17ROCPRIM_400000_NS6detail17trampoline_kernelINS0_14default_configENS1_38merge_sort_block_merge_config_selectorIlNS0_10empty_typeEEEZZNS1_27merge_sort_block_merge_implIS3_PlPS5_jNS1_19radix_merge_compareILb0ELb0ElNS0_19identity_decomposerEEEEE10hipError_tT0_T1_T2_jT3_P12ihipStream_tbPNSt15iterator_traitsISE_E10value_typeEPNSK_ISF_E10value_typeEPSG_NS1_7vsmem_tEENKUlT_SE_SF_SG_E_clIS8_S8_S9_S9_EESD_ST_SE_SF_SG_EUlST_E1_NS1_11comp_targetILNS1_3genE3ELNS1_11target_archE908ELNS1_3gpuE7ELNS1_3repE0EEENS1_36merge_oddeven_config_static_selectorELNS0_4arch9wavefront6targetE1EEEvSF_
    .private_segment_fixed_size: 0
    .sgpr_count:     4
    .sgpr_spill_count: 0
    .symbol:         _ZN7rocprim17ROCPRIM_400000_NS6detail17trampoline_kernelINS0_14default_configENS1_38merge_sort_block_merge_config_selectorIlNS0_10empty_typeEEEZZNS1_27merge_sort_block_merge_implIS3_PlPS5_jNS1_19radix_merge_compareILb0ELb0ElNS0_19identity_decomposerEEEEE10hipError_tT0_T1_T2_jT3_P12ihipStream_tbPNSt15iterator_traitsISE_E10value_typeEPNSK_ISF_E10value_typeEPSG_NS1_7vsmem_tEENKUlT_SE_SF_SG_E_clIS8_S8_S9_S9_EESD_ST_SE_SF_SG_EUlST_E1_NS1_11comp_targetILNS1_3genE3ELNS1_11target_archE908ELNS1_3gpuE7ELNS1_3repE0EEENS1_36merge_oddeven_config_static_selectorELNS0_4arch9wavefront6targetE1EEEvSF_.kd
    .uniform_work_group_size: 1
    .uses_dynamic_stack: false
    .vgpr_count:     0
    .vgpr_spill_count: 0
    .wavefront_size: 64
  - .agpr_count:     0
    .args:
      - .offset:         0
        .size:           48
        .value_kind:     by_value
    .group_segment_fixed_size: 0
    .kernarg_segment_align: 8
    .kernarg_segment_size: 48
    .language:       OpenCL C
    .language_version:
      - 2
      - 0
    .max_flat_workgroup_size: 256
    .name:           _ZN7rocprim17ROCPRIM_400000_NS6detail17trampoline_kernelINS0_14default_configENS1_38merge_sort_block_merge_config_selectorIlNS0_10empty_typeEEEZZNS1_27merge_sort_block_merge_implIS3_PlPS5_jNS1_19radix_merge_compareILb0ELb0ElNS0_19identity_decomposerEEEEE10hipError_tT0_T1_T2_jT3_P12ihipStream_tbPNSt15iterator_traitsISE_E10value_typeEPNSK_ISF_E10value_typeEPSG_NS1_7vsmem_tEENKUlT_SE_SF_SG_E_clIS8_S8_S9_S9_EESD_ST_SE_SF_SG_EUlST_E1_NS1_11comp_targetILNS1_3genE2ELNS1_11target_archE906ELNS1_3gpuE6ELNS1_3repE0EEENS1_36merge_oddeven_config_static_selectorELNS0_4arch9wavefront6targetE1EEEvSF_
    .private_segment_fixed_size: 0
    .sgpr_count:     4
    .sgpr_spill_count: 0
    .symbol:         _ZN7rocprim17ROCPRIM_400000_NS6detail17trampoline_kernelINS0_14default_configENS1_38merge_sort_block_merge_config_selectorIlNS0_10empty_typeEEEZZNS1_27merge_sort_block_merge_implIS3_PlPS5_jNS1_19radix_merge_compareILb0ELb0ElNS0_19identity_decomposerEEEEE10hipError_tT0_T1_T2_jT3_P12ihipStream_tbPNSt15iterator_traitsISE_E10value_typeEPNSK_ISF_E10value_typeEPSG_NS1_7vsmem_tEENKUlT_SE_SF_SG_E_clIS8_S8_S9_S9_EESD_ST_SE_SF_SG_EUlST_E1_NS1_11comp_targetILNS1_3genE2ELNS1_11target_archE906ELNS1_3gpuE6ELNS1_3repE0EEENS1_36merge_oddeven_config_static_selectorELNS0_4arch9wavefront6targetE1EEEvSF_.kd
    .uniform_work_group_size: 1
    .uses_dynamic_stack: false
    .vgpr_count:     0
    .vgpr_spill_count: 0
    .wavefront_size: 64
  - .agpr_count:     0
    .args:
      - .offset:         0
        .size:           48
        .value_kind:     by_value
    .group_segment_fixed_size: 0
    .kernarg_segment_align: 8
    .kernarg_segment_size: 48
    .language:       OpenCL C
    .language_version:
      - 2
      - 0
    .max_flat_workgroup_size: 256
    .name:           _ZN7rocprim17ROCPRIM_400000_NS6detail17trampoline_kernelINS0_14default_configENS1_38merge_sort_block_merge_config_selectorIlNS0_10empty_typeEEEZZNS1_27merge_sort_block_merge_implIS3_PlPS5_jNS1_19radix_merge_compareILb0ELb0ElNS0_19identity_decomposerEEEEE10hipError_tT0_T1_T2_jT3_P12ihipStream_tbPNSt15iterator_traitsISE_E10value_typeEPNSK_ISF_E10value_typeEPSG_NS1_7vsmem_tEENKUlT_SE_SF_SG_E_clIS8_S8_S9_S9_EESD_ST_SE_SF_SG_EUlST_E1_NS1_11comp_targetILNS1_3genE9ELNS1_11target_archE1100ELNS1_3gpuE3ELNS1_3repE0EEENS1_36merge_oddeven_config_static_selectorELNS0_4arch9wavefront6targetE1EEEvSF_
    .private_segment_fixed_size: 0
    .sgpr_count:     4
    .sgpr_spill_count: 0
    .symbol:         _ZN7rocprim17ROCPRIM_400000_NS6detail17trampoline_kernelINS0_14default_configENS1_38merge_sort_block_merge_config_selectorIlNS0_10empty_typeEEEZZNS1_27merge_sort_block_merge_implIS3_PlPS5_jNS1_19radix_merge_compareILb0ELb0ElNS0_19identity_decomposerEEEEE10hipError_tT0_T1_T2_jT3_P12ihipStream_tbPNSt15iterator_traitsISE_E10value_typeEPNSK_ISF_E10value_typeEPSG_NS1_7vsmem_tEENKUlT_SE_SF_SG_E_clIS8_S8_S9_S9_EESD_ST_SE_SF_SG_EUlST_E1_NS1_11comp_targetILNS1_3genE9ELNS1_11target_archE1100ELNS1_3gpuE3ELNS1_3repE0EEENS1_36merge_oddeven_config_static_selectorELNS0_4arch9wavefront6targetE1EEEvSF_.kd
    .uniform_work_group_size: 1
    .uses_dynamic_stack: false
    .vgpr_count:     0
    .vgpr_spill_count: 0
    .wavefront_size: 64
  - .agpr_count:     0
    .args:
      - .offset:         0
        .size:           48
        .value_kind:     by_value
    .group_segment_fixed_size: 0
    .kernarg_segment_align: 8
    .kernarg_segment_size: 48
    .language:       OpenCL C
    .language_version:
      - 2
      - 0
    .max_flat_workgroup_size: 256
    .name:           _ZN7rocprim17ROCPRIM_400000_NS6detail17trampoline_kernelINS0_14default_configENS1_38merge_sort_block_merge_config_selectorIlNS0_10empty_typeEEEZZNS1_27merge_sort_block_merge_implIS3_PlPS5_jNS1_19radix_merge_compareILb0ELb0ElNS0_19identity_decomposerEEEEE10hipError_tT0_T1_T2_jT3_P12ihipStream_tbPNSt15iterator_traitsISE_E10value_typeEPNSK_ISF_E10value_typeEPSG_NS1_7vsmem_tEENKUlT_SE_SF_SG_E_clIS8_S8_S9_S9_EESD_ST_SE_SF_SG_EUlST_E1_NS1_11comp_targetILNS1_3genE8ELNS1_11target_archE1030ELNS1_3gpuE2ELNS1_3repE0EEENS1_36merge_oddeven_config_static_selectorELNS0_4arch9wavefront6targetE1EEEvSF_
    .private_segment_fixed_size: 0
    .sgpr_count:     4
    .sgpr_spill_count: 0
    .symbol:         _ZN7rocprim17ROCPRIM_400000_NS6detail17trampoline_kernelINS0_14default_configENS1_38merge_sort_block_merge_config_selectorIlNS0_10empty_typeEEEZZNS1_27merge_sort_block_merge_implIS3_PlPS5_jNS1_19radix_merge_compareILb0ELb0ElNS0_19identity_decomposerEEEEE10hipError_tT0_T1_T2_jT3_P12ihipStream_tbPNSt15iterator_traitsISE_E10value_typeEPNSK_ISF_E10value_typeEPSG_NS1_7vsmem_tEENKUlT_SE_SF_SG_E_clIS8_S8_S9_S9_EESD_ST_SE_SF_SG_EUlST_E1_NS1_11comp_targetILNS1_3genE8ELNS1_11target_archE1030ELNS1_3gpuE2ELNS1_3repE0EEENS1_36merge_oddeven_config_static_selectorELNS0_4arch9wavefront6targetE1EEEvSF_.kd
    .uniform_work_group_size: 1
    .uses_dynamic_stack: false
    .vgpr_count:     0
    .vgpr_spill_count: 0
    .wavefront_size: 64
  - .agpr_count:     0
    .args:
      - .offset:         0
        .size:           40
        .value_kind:     by_value
    .group_segment_fixed_size: 0
    .kernarg_segment_align: 8
    .kernarg_segment_size: 40
    .language:       OpenCL C
    .language_version:
      - 2
      - 0
    .max_flat_workgroup_size: 128
    .name:           _ZN7rocprim17ROCPRIM_400000_NS6detail17trampoline_kernelINS0_14default_configENS1_25transform_config_selectorIlLb1EEEZNS1_14transform_implILb1ES3_S5_PlS7_NS0_8identityIlEEEE10hipError_tT2_T3_mT4_P12ihipStream_tbEUlT_E_NS1_11comp_targetILNS1_3genE0ELNS1_11target_archE4294967295ELNS1_3gpuE0ELNS1_3repE0EEENS1_30default_config_static_selectorELNS0_4arch9wavefront6targetE1EEEvT1_
    .private_segment_fixed_size: 0
    .sgpr_count:     4
    .sgpr_spill_count: 0
    .symbol:         _ZN7rocprim17ROCPRIM_400000_NS6detail17trampoline_kernelINS0_14default_configENS1_25transform_config_selectorIlLb1EEEZNS1_14transform_implILb1ES3_S5_PlS7_NS0_8identityIlEEEE10hipError_tT2_T3_mT4_P12ihipStream_tbEUlT_E_NS1_11comp_targetILNS1_3genE0ELNS1_11target_archE4294967295ELNS1_3gpuE0ELNS1_3repE0EEENS1_30default_config_static_selectorELNS0_4arch9wavefront6targetE1EEEvT1_.kd
    .uniform_work_group_size: 1
    .uses_dynamic_stack: false
    .vgpr_count:     0
    .vgpr_spill_count: 0
    .wavefront_size: 64
  - .agpr_count:     0
    .args:
      - .offset:         0
        .size:           40
        .value_kind:     by_value
    .group_segment_fixed_size: 0
    .kernarg_segment_align: 8
    .kernarg_segment_size: 40
    .language:       OpenCL C
    .language_version:
      - 2
      - 0
    .max_flat_workgroup_size: 1024
    .name:           _ZN7rocprim17ROCPRIM_400000_NS6detail17trampoline_kernelINS0_14default_configENS1_25transform_config_selectorIlLb1EEEZNS1_14transform_implILb1ES3_S5_PlS7_NS0_8identityIlEEEE10hipError_tT2_T3_mT4_P12ihipStream_tbEUlT_E_NS1_11comp_targetILNS1_3genE10ELNS1_11target_archE1201ELNS1_3gpuE5ELNS1_3repE0EEENS1_30default_config_static_selectorELNS0_4arch9wavefront6targetE1EEEvT1_
    .private_segment_fixed_size: 0
    .sgpr_count:     4
    .sgpr_spill_count: 0
    .symbol:         _ZN7rocprim17ROCPRIM_400000_NS6detail17trampoline_kernelINS0_14default_configENS1_25transform_config_selectorIlLb1EEEZNS1_14transform_implILb1ES3_S5_PlS7_NS0_8identityIlEEEE10hipError_tT2_T3_mT4_P12ihipStream_tbEUlT_E_NS1_11comp_targetILNS1_3genE10ELNS1_11target_archE1201ELNS1_3gpuE5ELNS1_3repE0EEENS1_30default_config_static_selectorELNS0_4arch9wavefront6targetE1EEEvT1_.kd
    .uniform_work_group_size: 1
    .uses_dynamic_stack: false
    .vgpr_count:     0
    .vgpr_spill_count: 0
    .wavefront_size: 64
  - .agpr_count:     0
    .args:
      - .offset:         0
        .size:           40
        .value_kind:     by_value
    .group_segment_fixed_size: 0
    .kernarg_segment_align: 8
    .kernarg_segment_size: 40
    .language:       OpenCL C
    .language_version:
      - 2
      - 0
    .max_flat_workgroup_size: 512
    .name:           _ZN7rocprim17ROCPRIM_400000_NS6detail17trampoline_kernelINS0_14default_configENS1_25transform_config_selectorIlLb1EEEZNS1_14transform_implILb1ES3_S5_PlS7_NS0_8identityIlEEEE10hipError_tT2_T3_mT4_P12ihipStream_tbEUlT_E_NS1_11comp_targetILNS1_3genE5ELNS1_11target_archE942ELNS1_3gpuE9ELNS1_3repE0EEENS1_30default_config_static_selectorELNS0_4arch9wavefront6targetE1EEEvT1_
    .private_segment_fixed_size: 0
    .sgpr_count:     4
    .sgpr_spill_count: 0
    .symbol:         _ZN7rocprim17ROCPRIM_400000_NS6detail17trampoline_kernelINS0_14default_configENS1_25transform_config_selectorIlLb1EEEZNS1_14transform_implILb1ES3_S5_PlS7_NS0_8identityIlEEEE10hipError_tT2_T3_mT4_P12ihipStream_tbEUlT_E_NS1_11comp_targetILNS1_3genE5ELNS1_11target_archE942ELNS1_3gpuE9ELNS1_3repE0EEENS1_30default_config_static_selectorELNS0_4arch9wavefront6targetE1EEEvT1_.kd
    .uniform_work_group_size: 1
    .uses_dynamic_stack: false
    .vgpr_count:     0
    .vgpr_spill_count: 0
    .wavefront_size: 64
  - .agpr_count:     0
    .args:
      - .offset:         0
        .size:           40
        .value_kind:     by_value
      - .offset:         40
        .size:           4
        .value_kind:     hidden_block_count_x
      - .offset:         44
        .size:           4
        .value_kind:     hidden_block_count_y
      - .offset:         48
        .size:           4
        .value_kind:     hidden_block_count_z
      - .offset:         52
        .size:           2
        .value_kind:     hidden_group_size_x
      - .offset:         54
        .size:           2
        .value_kind:     hidden_group_size_y
      - .offset:         56
        .size:           2
        .value_kind:     hidden_group_size_z
      - .offset:         58
        .size:           2
        .value_kind:     hidden_remainder_x
      - .offset:         60
        .size:           2
        .value_kind:     hidden_remainder_y
      - .offset:         62
        .size:           2
        .value_kind:     hidden_remainder_z
      - .offset:         80
        .size:           8
        .value_kind:     hidden_global_offset_x
      - .offset:         88
        .size:           8
        .value_kind:     hidden_global_offset_y
      - .offset:         96
        .size:           8
        .value_kind:     hidden_global_offset_z
      - .offset:         104
        .size:           2
        .value_kind:     hidden_grid_dims
    .group_segment_fixed_size: 0
    .kernarg_segment_align: 8
    .kernarg_segment_size: 296
    .language:       OpenCL C
    .language_version:
      - 2
      - 0
    .max_flat_workgroup_size: 1024
    .name:           _ZN7rocprim17ROCPRIM_400000_NS6detail17trampoline_kernelINS0_14default_configENS1_25transform_config_selectorIlLb1EEEZNS1_14transform_implILb1ES3_S5_PlS7_NS0_8identityIlEEEE10hipError_tT2_T3_mT4_P12ihipStream_tbEUlT_E_NS1_11comp_targetILNS1_3genE4ELNS1_11target_archE910ELNS1_3gpuE8ELNS1_3repE0EEENS1_30default_config_static_selectorELNS0_4arch9wavefront6targetE1EEEvT1_
    .private_segment_fixed_size: 0
    .sgpr_count:     20
    .sgpr_spill_count: 0
    .symbol:         _ZN7rocprim17ROCPRIM_400000_NS6detail17trampoline_kernelINS0_14default_configENS1_25transform_config_selectorIlLb1EEEZNS1_14transform_implILb1ES3_S5_PlS7_NS0_8identityIlEEEE10hipError_tT2_T3_mT4_P12ihipStream_tbEUlT_E_NS1_11comp_targetILNS1_3genE4ELNS1_11target_archE910ELNS1_3gpuE8ELNS1_3repE0EEENS1_30default_config_static_selectorELNS0_4arch9wavefront6targetE1EEEvT1_.kd
    .uniform_work_group_size: 1
    .uses_dynamic_stack: false
    .vgpr_count:     7
    .vgpr_spill_count: 0
    .wavefront_size: 64
  - .agpr_count:     0
    .args:
      - .offset:         0
        .size:           40
        .value_kind:     by_value
    .group_segment_fixed_size: 0
    .kernarg_segment_align: 8
    .kernarg_segment_size: 40
    .language:       OpenCL C
    .language_version:
      - 2
      - 0
    .max_flat_workgroup_size: 128
    .name:           _ZN7rocprim17ROCPRIM_400000_NS6detail17trampoline_kernelINS0_14default_configENS1_25transform_config_selectorIlLb1EEEZNS1_14transform_implILb1ES3_S5_PlS7_NS0_8identityIlEEEE10hipError_tT2_T3_mT4_P12ihipStream_tbEUlT_E_NS1_11comp_targetILNS1_3genE3ELNS1_11target_archE908ELNS1_3gpuE7ELNS1_3repE0EEENS1_30default_config_static_selectorELNS0_4arch9wavefront6targetE1EEEvT1_
    .private_segment_fixed_size: 0
    .sgpr_count:     4
    .sgpr_spill_count: 0
    .symbol:         _ZN7rocprim17ROCPRIM_400000_NS6detail17trampoline_kernelINS0_14default_configENS1_25transform_config_selectorIlLb1EEEZNS1_14transform_implILb1ES3_S5_PlS7_NS0_8identityIlEEEE10hipError_tT2_T3_mT4_P12ihipStream_tbEUlT_E_NS1_11comp_targetILNS1_3genE3ELNS1_11target_archE908ELNS1_3gpuE7ELNS1_3repE0EEENS1_30default_config_static_selectorELNS0_4arch9wavefront6targetE1EEEvT1_.kd
    .uniform_work_group_size: 1
    .uses_dynamic_stack: false
    .vgpr_count:     0
    .vgpr_spill_count: 0
    .wavefront_size: 64
  - .agpr_count:     0
    .args:
      - .offset:         0
        .size:           40
        .value_kind:     by_value
    .group_segment_fixed_size: 0
    .kernarg_segment_align: 8
    .kernarg_segment_size: 40
    .language:       OpenCL C
    .language_version:
      - 2
      - 0
    .max_flat_workgroup_size: 512
    .name:           _ZN7rocprim17ROCPRIM_400000_NS6detail17trampoline_kernelINS0_14default_configENS1_25transform_config_selectorIlLb1EEEZNS1_14transform_implILb1ES3_S5_PlS7_NS0_8identityIlEEEE10hipError_tT2_T3_mT4_P12ihipStream_tbEUlT_E_NS1_11comp_targetILNS1_3genE2ELNS1_11target_archE906ELNS1_3gpuE6ELNS1_3repE0EEENS1_30default_config_static_selectorELNS0_4arch9wavefront6targetE1EEEvT1_
    .private_segment_fixed_size: 0
    .sgpr_count:     4
    .sgpr_spill_count: 0
    .symbol:         _ZN7rocprim17ROCPRIM_400000_NS6detail17trampoline_kernelINS0_14default_configENS1_25transform_config_selectorIlLb1EEEZNS1_14transform_implILb1ES3_S5_PlS7_NS0_8identityIlEEEE10hipError_tT2_T3_mT4_P12ihipStream_tbEUlT_E_NS1_11comp_targetILNS1_3genE2ELNS1_11target_archE906ELNS1_3gpuE6ELNS1_3repE0EEENS1_30default_config_static_selectorELNS0_4arch9wavefront6targetE1EEEvT1_.kd
    .uniform_work_group_size: 1
    .uses_dynamic_stack: false
    .vgpr_count:     0
    .vgpr_spill_count: 0
    .wavefront_size: 64
  - .agpr_count:     0
    .args:
      - .offset:         0
        .size:           40
        .value_kind:     by_value
    .group_segment_fixed_size: 0
    .kernarg_segment_align: 8
    .kernarg_segment_size: 40
    .language:       OpenCL C
    .language_version:
      - 2
      - 0
    .max_flat_workgroup_size: 1024
    .name:           _ZN7rocprim17ROCPRIM_400000_NS6detail17trampoline_kernelINS0_14default_configENS1_25transform_config_selectorIlLb1EEEZNS1_14transform_implILb1ES3_S5_PlS7_NS0_8identityIlEEEE10hipError_tT2_T3_mT4_P12ihipStream_tbEUlT_E_NS1_11comp_targetILNS1_3genE9ELNS1_11target_archE1100ELNS1_3gpuE3ELNS1_3repE0EEENS1_30default_config_static_selectorELNS0_4arch9wavefront6targetE1EEEvT1_
    .private_segment_fixed_size: 0
    .sgpr_count:     4
    .sgpr_spill_count: 0
    .symbol:         _ZN7rocprim17ROCPRIM_400000_NS6detail17trampoline_kernelINS0_14default_configENS1_25transform_config_selectorIlLb1EEEZNS1_14transform_implILb1ES3_S5_PlS7_NS0_8identityIlEEEE10hipError_tT2_T3_mT4_P12ihipStream_tbEUlT_E_NS1_11comp_targetILNS1_3genE9ELNS1_11target_archE1100ELNS1_3gpuE3ELNS1_3repE0EEENS1_30default_config_static_selectorELNS0_4arch9wavefront6targetE1EEEvT1_.kd
    .uniform_work_group_size: 1
    .uses_dynamic_stack: false
    .vgpr_count:     0
    .vgpr_spill_count: 0
    .wavefront_size: 64
  - .agpr_count:     0
    .args:
      - .offset:         0
        .size:           40
        .value_kind:     by_value
    .group_segment_fixed_size: 0
    .kernarg_segment_align: 8
    .kernarg_segment_size: 40
    .language:       OpenCL C
    .language_version:
      - 2
      - 0
    .max_flat_workgroup_size: 1024
    .name:           _ZN7rocprim17ROCPRIM_400000_NS6detail17trampoline_kernelINS0_14default_configENS1_25transform_config_selectorIlLb1EEEZNS1_14transform_implILb1ES3_S5_PlS7_NS0_8identityIlEEEE10hipError_tT2_T3_mT4_P12ihipStream_tbEUlT_E_NS1_11comp_targetILNS1_3genE8ELNS1_11target_archE1030ELNS1_3gpuE2ELNS1_3repE0EEENS1_30default_config_static_selectorELNS0_4arch9wavefront6targetE1EEEvT1_
    .private_segment_fixed_size: 0
    .sgpr_count:     4
    .sgpr_spill_count: 0
    .symbol:         _ZN7rocprim17ROCPRIM_400000_NS6detail17trampoline_kernelINS0_14default_configENS1_25transform_config_selectorIlLb1EEEZNS1_14transform_implILb1ES3_S5_PlS7_NS0_8identityIlEEEE10hipError_tT2_T3_mT4_P12ihipStream_tbEUlT_E_NS1_11comp_targetILNS1_3genE8ELNS1_11target_archE1030ELNS1_3gpuE2ELNS1_3repE0EEENS1_30default_config_static_selectorELNS0_4arch9wavefront6targetE1EEEvT1_.kd
    .uniform_work_group_size: 1
    .uses_dynamic_stack: false
    .vgpr_count:     0
    .vgpr_spill_count: 0
    .wavefront_size: 64
  - .agpr_count:     0
    .args:
      - .offset:         0
        .size:           40
        .value_kind:     by_value
    .group_segment_fixed_size: 0
    .kernarg_segment_align: 8
    .kernarg_segment_size: 40
    .language:       OpenCL C
    .language_version:
      - 2
      - 0
    .max_flat_workgroup_size: 128
    .name:           _ZN7rocprim17ROCPRIM_400000_NS6detail17trampoline_kernelINS0_14default_configENS1_38merge_sort_block_merge_config_selectorIlNS0_10empty_typeEEEZZNS1_27merge_sort_block_merge_implIS3_PlPS5_jNS1_19radix_merge_compareILb0ELb1ElNS0_19identity_decomposerEEEEE10hipError_tT0_T1_T2_jT3_P12ihipStream_tbPNSt15iterator_traitsISE_E10value_typeEPNSK_ISF_E10value_typeEPSG_NS1_7vsmem_tEENKUlT_SE_SF_SG_E_clIS8_S8_S9_S9_EESD_ST_SE_SF_SG_EUlST_E_NS1_11comp_targetILNS1_3genE0ELNS1_11target_archE4294967295ELNS1_3gpuE0ELNS1_3repE0EEENS1_48merge_mergepath_partition_config_static_selectorELNS0_4arch9wavefront6targetE1EEEvSF_
    .private_segment_fixed_size: 0
    .sgpr_count:     4
    .sgpr_spill_count: 0
    .symbol:         _ZN7rocprim17ROCPRIM_400000_NS6detail17trampoline_kernelINS0_14default_configENS1_38merge_sort_block_merge_config_selectorIlNS0_10empty_typeEEEZZNS1_27merge_sort_block_merge_implIS3_PlPS5_jNS1_19radix_merge_compareILb0ELb1ElNS0_19identity_decomposerEEEEE10hipError_tT0_T1_T2_jT3_P12ihipStream_tbPNSt15iterator_traitsISE_E10value_typeEPNSK_ISF_E10value_typeEPSG_NS1_7vsmem_tEENKUlT_SE_SF_SG_E_clIS8_S8_S9_S9_EESD_ST_SE_SF_SG_EUlST_E_NS1_11comp_targetILNS1_3genE0ELNS1_11target_archE4294967295ELNS1_3gpuE0ELNS1_3repE0EEENS1_48merge_mergepath_partition_config_static_selectorELNS0_4arch9wavefront6targetE1EEEvSF_.kd
    .uniform_work_group_size: 1
    .uses_dynamic_stack: false
    .vgpr_count:     0
    .vgpr_spill_count: 0
    .wavefront_size: 64
  - .agpr_count:     0
    .args:
      - .offset:         0
        .size:           40
        .value_kind:     by_value
    .group_segment_fixed_size: 0
    .kernarg_segment_align: 8
    .kernarg_segment_size: 40
    .language:       OpenCL C
    .language_version:
      - 2
      - 0
    .max_flat_workgroup_size: 128
    .name:           _ZN7rocprim17ROCPRIM_400000_NS6detail17trampoline_kernelINS0_14default_configENS1_38merge_sort_block_merge_config_selectorIlNS0_10empty_typeEEEZZNS1_27merge_sort_block_merge_implIS3_PlPS5_jNS1_19radix_merge_compareILb0ELb1ElNS0_19identity_decomposerEEEEE10hipError_tT0_T1_T2_jT3_P12ihipStream_tbPNSt15iterator_traitsISE_E10value_typeEPNSK_ISF_E10value_typeEPSG_NS1_7vsmem_tEENKUlT_SE_SF_SG_E_clIS8_S8_S9_S9_EESD_ST_SE_SF_SG_EUlST_E_NS1_11comp_targetILNS1_3genE10ELNS1_11target_archE1201ELNS1_3gpuE5ELNS1_3repE0EEENS1_48merge_mergepath_partition_config_static_selectorELNS0_4arch9wavefront6targetE1EEEvSF_
    .private_segment_fixed_size: 0
    .sgpr_count:     4
    .sgpr_spill_count: 0
    .symbol:         _ZN7rocprim17ROCPRIM_400000_NS6detail17trampoline_kernelINS0_14default_configENS1_38merge_sort_block_merge_config_selectorIlNS0_10empty_typeEEEZZNS1_27merge_sort_block_merge_implIS3_PlPS5_jNS1_19radix_merge_compareILb0ELb1ElNS0_19identity_decomposerEEEEE10hipError_tT0_T1_T2_jT3_P12ihipStream_tbPNSt15iterator_traitsISE_E10value_typeEPNSK_ISF_E10value_typeEPSG_NS1_7vsmem_tEENKUlT_SE_SF_SG_E_clIS8_S8_S9_S9_EESD_ST_SE_SF_SG_EUlST_E_NS1_11comp_targetILNS1_3genE10ELNS1_11target_archE1201ELNS1_3gpuE5ELNS1_3repE0EEENS1_48merge_mergepath_partition_config_static_selectorELNS0_4arch9wavefront6targetE1EEEvSF_.kd
    .uniform_work_group_size: 1
    .uses_dynamic_stack: false
    .vgpr_count:     0
    .vgpr_spill_count: 0
    .wavefront_size: 64
  - .agpr_count:     0
    .args:
      - .offset:         0
        .size:           40
        .value_kind:     by_value
    .group_segment_fixed_size: 0
    .kernarg_segment_align: 8
    .kernarg_segment_size: 40
    .language:       OpenCL C
    .language_version:
      - 2
      - 0
    .max_flat_workgroup_size: 128
    .name:           _ZN7rocprim17ROCPRIM_400000_NS6detail17trampoline_kernelINS0_14default_configENS1_38merge_sort_block_merge_config_selectorIlNS0_10empty_typeEEEZZNS1_27merge_sort_block_merge_implIS3_PlPS5_jNS1_19radix_merge_compareILb0ELb1ElNS0_19identity_decomposerEEEEE10hipError_tT0_T1_T2_jT3_P12ihipStream_tbPNSt15iterator_traitsISE_E10value_typeEPNSK_ISF_E10value_typeEPSG_NS1_7vsmem_tEENKUlT_SE_SF_SG_E_clIS8_S8_S9_S9_EESD_ST_SE_SF_SG_EUlST_E_NS1_11comp_targetILNS1_3genE5ELNS1_11target_archE942ELNS1_3gpuE9ELNS1_3repE0EEENS1_48merge_mergepath_partition_config_static_selectorELNS0_4arch9wavefront6targetE1EEEvSF_
    .private_segment_fixed_size: 0
    .sgpr_count:     4
    .sgpr_spill_count: 0
    .symbol:         _ZN7rocprim17ROCPRIM_400000_NS6detail17trampoline_kernelINS0_14default_configENS1_38merge_sort_block_merge_config_selectorIlNS0_10empty_typeEEEZZNS1_27merge_sort_block_merge_implIS3_PlPS5_jNS1_19radix_merge_compareILb0ELb1ElNS0_19identity_decomposerEEEEE10hipError_tT0_T1_T2_jT3_P12ihipStream_tbPNSt15iterator_traitsISE_E10value_typeEPNSK_ISF_E10value_typeEPSG_NS1_7vsmem_tEENKUlT_SE_SF_SG_E_clIS8_S8_S9_S9_EESD_ST_SE_SF_SG_EUlST_E_NS1_11comp_targetILNS1_3genE5ELNS1_11target_archE942ELNS1_3gpuE9ELNS1_3repE0EEENS1_48merge_mergepath_partition_config_static_selectorELNS0_4arch9wavefront6targetE1EEEvSF_.kd
    .uniform_work_group_size: 1
    .uses_dynamic_stack: false
    .vgpr_count:     0
    .vgpr_spill_count: 0
    .wavefront_size: 64
  - .agpr_count:     0
    .args:
      - .offset:         0
        .size:           40
        .value_kind:     by_value
    .group_segment_fixed_size: 0
    .kernarg_segment_align: 8
    .kernarg_segment_size: 40
    .language:       OpenCL C
    .language_version:
      - 2
      - 0
    .max_flat_workgroup_size: 128
    .name:           _ZN7rocprim17ROCPRIM_400000_NS6detail17trampoline_kernelINS0_14default_configENS1_38merge_sort_block_merge_config_selectorIlNS0_10empty_typeEEEZZNS1_27merge_sort_block_merge_implIS3_PlPS5_jNS1_19radix_merge_compareILb0ELb1ElNS0_19identity_decomposerEEEEE10hipError_tT0_T1_T2_jT3_P12ihipStream_tbPNSt15iterator_traitsISE_E10value_typeEPNSK_ISF_E10value_typeEPSG_NS1_7vsmem_tEENKUlT_SE_SF_SG_E_clIS8_S8_S9_S9_EESD_ST_SE_SF_SG_EUlST_E_NS1_11comp_targetILNS1_3genE4ELNS1_11target_archE910ELNS1_3gpuE8ELNS1_3repE0EEENS1_48merge_mergepath_partition_config_static_selectorELNS0_4arch9wavefront6targetE1EEEvSF_
    .private_segment_fixed_size: 0
    .sgpr_count:     14
    .sgpr_spill_count: 0
    .symbol:         _ZN7rocprim17ROCPRIM_400000_NS6detail17trampoline_kernelINS0_14default_configENS1_38merge_sort_block_merge_config_selectorIlNS0_10empty_typeEEEZZNS1_27merge_sort_block_merge_implIS3_PlPS5_jNS1_19radix_merge_compareILb0ELb1ElNS0_19identity_decomposerEEEEE10hipError_tT0_T1_T2_jT3_P12ihipStream_tbPNSt15iterator_traitsISE_E10value_typeEPNSK_ISF_E10value_typeEPSG_NS1_7vsmem_tEENKUlT_SE_SF_SG_E_clIS8_S8_S9_S9_EESD_ST_SE_SF_SG_EUlST_E_NS1_11comp_targetILNS1_3genE4ELNS1_11target_archE910ELNS1_3gpuE8ELNS1_3repE0EEENS1_48merge_mergepath_partition_config_static_selectorELNS0_4arch9wavefront6targetE1EEEvSF_.kd
    .uniform_work_group_size: 1
    .uses_dynamic_stack: false
    .vgpr_count:     16
    .vgpr_spill_count: 0
    .wavefront_size: 64
  - .agpr_count:     0
    .args:
      - .offset:         0
        .size:           40
        .value_kind:     by_value
    .group_segment_fixed_size: 0
    .kernarg_segment_align: 8
    .kernarg_segment_size: 40
    .language:       OpenCL C
    .language_version:
      - 2
      - 0
    .max_flat_workgroup_size: 128
    .name:           _ZN7rocprim17ROCPRIM_400000_NS6detail17trampoline_kernelINS0_14default_configENS1_38merge_sort_block_merge_config_selectorIlNS0_10empty_typeEEEZZNS1_27merge_sort_block_merge_implIS3_PlPS5_jNS1_19radix_merge_compareILb0ELb1ElNS0_19identity_decomposerEEEEE10hipError_tT0_T1_T2_jT3_P12ihipStream_tbPNSt15iterator_traitsISE_E10value_typeEPNSK_ISF_E10value_typeEPSG_NS1_7vsmem_tEENKUlT_SE_SF_SG_E_clIS8_S8_S9_S9_EESD_ST_SE_SF_SG_EUlST_E_NS1_11comp_targetILNS1_3genE3ELNS1_11target_archE908ELNS1_3gpuE7ELNS1_3repE0EEENS1_48merge_mergepath_partition_config_static_selectorELNS0_4arch9wavefront6targetE1EEEvSF_
    .private_segment_fixed_size: 0
    .sgpr_count:     4
    .sgpr_spill_count: 0
    .symbol:         _ZN7rocprim17ROCPRIM_400000_NS6detail17trampoline_kernelINS0_14default_configENS1_38merge_sort_block_merge_config_selectorIlNS0_10empty_typeEEEZZNS1_27merge_sort_block_merge_implIS3_PlPS5_jNS1_19radix_merge_compareILb0ELb1ElNS0_19identity_decomposerEEEEE10hipError_tT0_T1_T2_jT3_P12ihipStream_tbPNSt15iterator_traitsISE_E10value_typeEPNSK_ISF_E10value_typeEPSG_NS1_7vsmem_tEENKUlT_SE_SF_SG_E_clIS8_S8_S9_S9_EESD_ST_SE_SF_SG_EUlST_E_NS1_11comp_targetILNS1_3genE3ELNS1_11target_archE908ELNS1_3gpuE7ELNS1_3repE0EEENS1_48merge_mergepath_partition_config_static_selectorELNS0_4arch9wavefront6targetE1EEEvSF_.kd
    .uniform_work_group_size: 1
    .uses_dynamic_stack: false
    .vgpr_count:     0
    .vgpr_spill_count: 0
    .wavefront_size: 64
  - .agpr_count:     0
    .args:
      - .offset:         0
        .size:           40
        .value_kind:     by_value
    .group_segment_fixed_size: 0
    .kernarg_segment_align: 8
    .kernarg_segment_size: 40
    .language:       OpenCL C
    .language_version:
      - 2
      - 0
    .max_flat_workgroup_size: 128
    .name:           _ZN7rocprim17ROCPRIM_400000_NS6detail17trampoline_kernelINS0_14default_configENS1_38merge_sort_block_merge_config_selectorIlNS0_10empty_typeEEEZZNS1_27merge_sort_block_merge_implIS3_PlPS5_jNS1_19radix_merge_compareILb0ELb1ElNS0_19identity_decomposerEEEEE10hipError_tT0_T1_T2_jT3_P12ihipStream_tbPNSt15iterator_traitsISE_E10value_typeEPNSK_ISF_E10value_typeEPSG_NS1_7vsmem_tEENKUlT_SE_SF_SG_E_clIS8_S8_S9_S9_EESD_ST_SE_SF_SG_EUlST_E_NS1_11comp_targetILNS1_3genE2ELNS1_11target_archE906ELNS1_3gpuE6ELNS1_3repE0EEENS1_48merge_mergepath_partition_config_static_selectorELNS0_4arch9wavefront6targetE1EEEvSF_
    .private_segment_fixed_size: 0
    .sgpr_count:     4
    .sgpr_spill_count: 0
    .symbol:         _ZN7rocprim17ROCPRIM_400000_NS6detail17trampoline_kernelINS0_14default_configENS1_38merge_sort_block_merge_config_selectorIlNS0_10empty_typeEEEZZNS1_27merge_sort_block_merge_implIS3_PlPS5_jNS1_19radix_merge_compareILb0ELb1ElNS0_19identity_decomposerEEEEE10hipError_tT0_T1_T2_jT3_P12ihipStream_tbPNSt15iterator_traitsISE_E10value_typeEPNSK_ISF_E10value_typeEPSG_NS1_7vsmem_tEENKUlT_SE_SF_SG_E_clIS8_S8_S9_S9_EESD_ST_SE_SF_SG_EUlST_E_NS1_11comp_targetILNS1_3genE2ELNS1_11target_archE906ELNS1_3gpuE6ELNS1_3repE0EEENS1_48merge_mergepath_partition_config_static_selectorELNS0_4arch9wavefront6targetE1EEEvSF_.kd
    .uniform_work_group_size: 1
    .uses_dynamic_stack: false
    .vgpr_count:     0
    .vgpr_spill_count: 0
    .wavefront_size: 64
  - .agpr_count:     0
    .args:
      - .offset:         0
        .size:           40
        .value_kind:     by_value
    .group_segment_fixed_size: 0
    .kernarg_segment_align: 8
    .kernarg_segment_size: 40
    .language:       OpenCL C
    .language_version:
      - 2
      - 0
    .max_flat_workgroup_size: 128
    .name:           _ZN7rocprim17ROCPRIM_400000_NS6detail17trampoline_kernelINS0_14default_configENS1_38merge_sort_block_merge_config_selectorIlNS0_10empty_typeEEEZZNS1_27merge_sort_block_merge_implIS3_PlPS5_jNS1_19radix_merge_compareILb0ELb1ElNS0_19identity_decomposerEEEEE10hipError_tT0_T1_T2_jT3_P12ihipStream_tbPNSt15iterator_traitsISE_E10value_typeEPNSK_ISF_E10value_typeEPSG_NS1_7vsmem_tEENKUlT_SE_SF_SG_E_clIS8_S8_S9_S9_EESD_ST_SE_SF_SG_EUlST_E_NS1_11comp_targetILNS1_3genE9ELNS1_11target_archE1100ELNS1_3gpuE3ELNS1_3repE0EEENS1_48merge_mergepath_partition_config_static_selectorELNS0_4arch9wavefront6targetE1EEEvSF_
    .private_segment_fixed_size: 0
    .sgpr_count:     4
    .sgpr_spill_count: 0
    .symbol:         _ZN7rocprim17ROCPRIM_400000_NS6detail17trampoline_kernelINS0_14default_configENS1_38merge_sort_block_merge_config_selectorIlNS0_10empty_typeEEEZZNS1_27merge_sort_block_merge_implIS3_PlPS5_jNS1_19radix_merge_compareILb0ELb1ElNS0_19identity_decomposerEEEEE10hipError_tT0_T1_T2_jT3_P12ihipStream_tbPNSt15iterator_traitsISE_E10value_typeEPNSK_ISF_E10value_typeEPSG_NS1_7vsmem_tEENKUlT_SE_SF_SG_E_clIS8_S8_S9_S9_EESD_ST_SE_SF_SG_EUlST_E_NS1_11comp_targetILNS1_3genE9ELNS1_11target_archE1100ELNS1_3gpuE3ELNS1_3repE0EEENS1_48merge_mergepath_partition_config_static_selectorELNS0_4arch9wavefront6targetE1EEEvSF_.kd
    .uniform_work_group_size: 1
    .uses_dynamic_stack: false
    .vgpr_count:     0
    .vgpr_spill_count: 0
    .wavefront_size: 64
  - .agpr_count:     0
    .args:
      - .offset:         0
        .size:           40
        .value_kind:     by_value
    .group_segment_fixed_size: 0
    .kernarg_segment_align: 8
    .kernarg_segment_size: 40
    .language:       OpenCL C
    .language_version:
      - 2
      - 0
    .max_flat_workgroup_size: 128
    .name:           _ZN7rocprim17ROCPRIM_400000_NS6detail17trampoline_kernelINS0_14default_configENS1_38merge_sort_block_merge_config_selectorIlNS0_10empty_typeEEEZZNS1_27merge_sort_block_merge_implIS3_PlPS5_jNS1_19radix_merge_compareILb0ELb1ElNS0_19identity_decomposerEEEEE10hipError_tT0_T1_T2_jT3_P12ihipStream_tbPNSt15iterator_traitsISE_E10value_typeEPNSK_ISF_E10value_typeEPSG_NS1_7vsmem_tEENKUlT_SE_SF_SG_E_clIS8_S8_S9_S9_EESD_ST_SE_SF_SG_EUlST_E_NS1_11comp_targetILNS1_3genE8ELNS1_11target_archE1030ELNS1_3gpuE2ELNS1_3repE0EEENS1_48merge_mergepath_partition_config_static_selectorELNS0_4arch9wavefront6targetE1EEEvSF_
    .private_segment_fixed_size: 0
    .sgpr_count:     4
    .sgpr_spill_count: 0
    .symbol:         _ZN7rocprim17ROCPRIM_400000_NS6detail17trampoline_kernelINS0_14default_configENS1_38merge_sort_block_merge_config_selectorIlNS0_10empty_typeEEEZZNS1_27merge_sort_block_merge_implIS3_PlPS5_jNS1_19radix_merge_compareILb0ELb1ElNS0_19identity_decomposerEEEEE10hipError_tT0_T1_T2_jT3_P12ihipStream_tbPNSt15iterator_traitsISE_E10value_typeEPNSK_ISF_E10value_typeEPSG_NS1_7vsmem_tEENKUlT_SE_SF_SG_E_clIS8_S8_S9_S9_EESD_ST_SE_SF_SG_EUlST_E_NS1_11comp_targetILNS1_3genE8ELNS1_11target_archE1030ELNS1_3gpuE2ELNS1_3repE0EEENS1_48merge_mergepath_partition_config_static_selectorELNS0_4arch9wavefront6targetE1EEEvSF_.kd
    .uniform_work_group_size: 1
    .uses_dynamic_stack: false
    .vgpr_count:     0
    .vgpr_spill_count: 0
    .wavefront_size: 64
  - .agpr_count:     0
    .args:
      - .offset:         0
        .size:           72
        .value_kind:     by_value
    .group_segment_fixed_size: 0
    .kernarg_segment_align: 8
    .kernarg_segment_size: 72
    .language:       OpenCL C
    .language_version:
      - 2
      - 0
    .max_flat_workgroup_size: 128
    .name:           _ZN7rocprim17ROCPRIM_400000_NS6detail17trampoline_kernelINS0_14default_configENS1_38merge_sort_block_merge_config_selectorIlNS0_10empty_typeEEEZZNS1_27merge_sort_block_merge_implIS3_PlPS5_jNS1_19radix_merge_compareILb0ELb1ElNS0_19identity_decomposerEEEEE10hipError_tT0_T1_T2_jT3_P12ihipStream_tbPNSt15iterator_traitsISE_E10value_typeEPNSK_ISF_E10value_typeEPSG_NS1_7vsmem_tEENKUlT_SE_SF_SG_E_clIS8_S8_S9_S9_EESD_ST_SE_SF_SG_EUlST_E0_NS1_11comp_targetILNS1_3genE0ELNS1_11target_archE4294967295ELNS1_3gpuE0ELNS1_3repE0EEENS1_38merge_mergepath_config_static_selectorELNS0_4arch9wavefront6targetE1EEEvSF_
    .private_segment_fixed_size: 0
    .sgpr_count:     4
    .sgpr_spill_count: 0
    .symbol:         _ZN7rocprim17ROCPRIM_400000_NS6detail17trampoline_kernelINS0_14default_configENS1_38merge_sort_block_merge_config_selectorIlNS0_10empty_typeEEEZZNS1_27merge_sort_block_merge_implIS3_PlPS5_jNS1_19radix_merge_compareILb0ELb1ElNS0_19identity_decomposerEEEEE10hipError_tT0_T1_T2_jT3_P12ihipStream_tbPNSt15iterator_traitsISE_E10value_typeEPNSK_ISF_E10value_typeEPSG_NS1_7vsmem_tEENKUlT_SE_SF_SG_E_clIS8_S8_S9_S9_EESD_ST_SE_SF_SG_EUlST_E0_NS1_11comp_targetILNS1_3genE0ELNS1_11target_archE4294967295ELNS1_3gpuE0ELNS1_3repE0EEENS1_38merge_mergepath_config_static_selectorELNS0_4arch9wavefront6targetE1EEEvSF_.kd
    .uniform_work_group_size: 1
    .uses_dynamic_stack: false
    .vgpr_count:     0
    .vgpr_spill_count: 0
    .wavefront_size: 64
  - .agpr_count:     0
    .args:
      - .offset:         0
        .size:           72
        .value_kind:     by_value
    .group_segment_fixed_size: 0
    .kernarg_segment_align: 8
    .kernarg_segment_size: 72
    .language:       OpenCL C
    .language_version:
      - 2
      - 0
    .max_flat_workgroup_size: 512
    .name:           _ZN7rocprim17ROCPRIM_400000_NS6detail17trampoline_kernelINS0_14default_configENS1_38merge_sort_block_merge_config_selectorIlNS0_10empty_typeEEEZZNS1_27merge_sort_block_merge_implIS3_PlPS5_jNS1_19radix_merge_compareILb0ELb1ElNS0_19identity_decomposerEEEEE10hipError_tT0_T1_T2_jT3_P12ihipStream_tbPNSt15iterator_traitsISE_E10value_typeEPNSK_ISF_E10value_typeEPSG_NS1_7vsmem_tEENKUlT_SE_SF_SG_E_clIS8_S8_S9_S9_EESD_ST_SE_SF_SG_EUlST_E0_NS1_11comp_targetILNS1_3genE10ELNS1_11target_archE1201ELNS1_3gpuE5ELNS1_3repE0EEENS1_38merge_mergepath_config_static_selectorELNS0_4arch9wavefront6targetE1EEEvSF_
    .private_segment_fixed_size: 0
    .sgpr_count:     4
    .sgpr_spill_count: 0
    .symbol:         _ZN7rocprim17ROCPRIM_400000_NS6detail17trampoline_kernelINS0_14default_configENS1_38merge_sort_block_merge_config_selectorIlNS0_10empty_typeEEEZZNS1_27merge_sort_block_merge_implIS3_PlPS5_jNS1_19radix_merge_compareILb0ELb1ElNS0_19identity_decomposerEEEEE10hipError_tT0_T1_T2_jT3_P12ihipStream_tbPNSt15iterator_traitsISE_E10value_typeEPNSK_ISF_E10value_typeEPSG_NS1_7vsmem_tEENKUlT_SE_SF_SG_E_clIS8_S8_S9_S9_EESD_ST_SE_SF_SG_EUlST_E0_NS1_11comp_targetILNS1_3genE10ELNS1_11target_archE1201ELNS1_3gpuE5ELNS1_3repE0EEENS1_38merge_mergepath_config_static_selectorELNS0_4arch9wavefront6targetE1EEEvSF_.kd
    .uniform_work_group_size: 1
    .uses_dynamic_stack: false
    .vgpr_count:     0
    .vgpr_spill_count: 0
    .wavefront_size: 64
  - .agpr_count:     0
    .args:
      - .offset:         0
        .size:           72
        .value_kind:     by_value
    .group_segment_fixed_size: 0
    .kernarg_segment_align: 8
    .kernarg_segment_size: 72
    .language:       OpenCL C
    .language_version:
      - 2
      - 0
    .max_flat_workgroup_size: 128
    .name:           _ZN7rocprim17ROCPRIM_400000_NS6detail17trampoline_kernelINS0_14default_configENS1_38merge_sort_block_merge_config_selectorIlNS0_10empty_typeEEEZZNS1_27merge_sort_block_merge_implIS3_PlPS5_jNS1_19radix_merge_compareILb0ELb1ElNS0_19identity_decomposerEEEEE10hipError_tT0_T1_T2_jT3_P12ihipStream_tbPNSt15iterator_traitsISE_E10value_typeEPNSK_ISF_E10value_typeEPSG_NS1_7vsmem_tEENKUlT_SE_SF_SG_E_clIS8_S8_S9_S9_EESD_ST_SE_SF_SG_EUlST_E0_NS1_11comp_targetILNS1_3genE5ELNS1_11target_archE942ELNS1_3gpuE9ELNS1_3repE0EEENS1_38merge_mergepath_config_static_selectorELNS0_4arch9wavefront6targetE1EEEvSF_
    .private_segment_fixed_size: 0
    .sgpr_count:     4
    .sgpr_spill_count: 0
    .symbol:         _ZN7rocprim17ROCPRIM_400000_NS6detail17trampoline_kernelINS0_14default_configENS1_38merge_sort_block_merge_config_selectorIlNS0_10empty_typeEEEZZNS1_27merge_sort_block_merge_implIS3_PlPS5_jNS1_19radix_merge_compareILb0ELb1ElNS0_19identity_decomposerEEEEE10hipError_tT0_T1_T2_jT3_P12ihipStream_tbPNSt15iterator_traitsISE_E10value_typeEPNSK_ISF_E10value_typeEPSG_NS1_7vsmem_tEENKUlT_SE_SF_SG_E_clIS8_S8_S9_S9_EESD_ST_SE_SF_SG_EUlST_E0_NS1_11comp_targetILNS1_3genE5ELNS1_11target_archE942ELNS1_3gpuE9ELNS1_3repE0EEENS1_38merge_mergepath_config_static_selectorELNS0_4arch9wavefront6targetE1EEEvSF_.kd
    .uniform_work_group_size: 1
    .uses_dynamic_stack: false
    .vgpr_count:     0
    .vgpr_spill_count: 0
    .wavefront_size: 64
  - .agpr_count:     0
    .args:
      - .offset:         0
        .size:           72
        .value_kind:     by_value
      - .offset:         72
        .size:           4
        .value_kind:     hidden_block_count_x
      - .offset:         76
        .size:           4
        .value_kind:     hidden_block_count_y
      - .offset:         80
        .size:           4
        .value_kind:     hidden_block_count_z
      - .offset:         84
        .size:           2
        .value_kind:     hidden_group_size_x
      - .offset:         86
        .size:           2
        .value_kind:     hidden_group_size_y
      - .offset:         88
        .size:           2
        .value_kind:     hidden_group_size_z
      - .offset:         90
        .size:           2
        .value_kind:     hidden_remainder_x
      - .offset:         92
        .size:           2
        .value_kind:     hidden_remainder_y
      - .offset:         94
        .size:           2
        .value_kind:     hidden_remainder_z
      - .offset:         112
        .size:           8
        .value_kind:     hidden_global_offset_x
      - .offset:         120
        .size:           8
        .value_kind:     hidden_global_offset_y
      - .offset:         128
        .size:           8
        .value_kind:     hidden_global_offset_z
      - .offset:         136
        .size:           2
        .value_kind:     hidden_grid_dims
    .group_segment_fixed_size: 8448
    .kernarg_segment_align: 8
    .kernarg_segment_size: 328
    .language:       OpenCL C
    .language_version:
      - 2
      - 0
    .max_flat_workgroup_size: 256
    .name:           _ZN7rocprim17ROCPRIM_400000_NS6detail17trampoline_kernelINS0_14default_configENS1_38merge_sort_block_merge_config_selectorIlNS0_10empty_typeEEEZZNS1_27merge_sort_block_merge_implIS3_PlPS5_jNS1_19radix_merge_compareILb0ELb1ElNS0_19identity_decomposerEEEEE10hipError_tT0_T1_T2_jT3_P12ihipStream_tbPNSt15iterator_traitsISE_E10value_typeEPNSK_ISF_E10value_typeEPSG_NS1_7vsmem_tEENKUlT_SE_SF_SG_E_clIS8_S8_S9_S9_EESD_ST_SE_SF_SG_EUlST_E0_NS1_11comp_targetILNS1_3genE4ELNS1_11target_archE910ELNS1_3gpuE8ELNS1_3repE0EEENS1_38merge_mergepath_config_static_selectorELNS0_4arch9wavefront6targetE1EEEvSF_
    .private_segment_fixed_size: 0
    .sgpr_count:     30
    .sgpr_spill_count: 0
    .symbol:         _ZN7rocprim17ROCPRIM_400000_NS6detail17trampoline_kernelINS0_14default_configENS1_38merge_sort_block_merge_config_selectorIlNS0_10empty_typeEEEZZNS1_27merge_sort_block_merge_implIS3_PlPS5_jNS1_19radix_merge_compareILb0ELb1ElNS0_19identity_decomposerEEEEE10hipError_tT0_T1_T2_jT3_P12ihipStream_tbPNSt15iterator_traitsISE_E10value_typeEPNSK_ISF_E10value_typeEPSG_NS1_7vsmem_tEENKUlT_SE_SF_SG_E_clIS8_S8_S9_S9_EESD_ST_SE_SF_SG_EUlST_E0_NS1_11comp_targetILNS1_3genE4ELNS1_11target_archE910ELNS1_3gpuE8ELNS1_3repE0EEENS1_38merge_mergepath_config_static_selectorELNS0_4arch9wavefront6targetE1EEEvSF_.kd
    .uniform_work_group_size: 1
    .uses_dynamic_stack: false
    .vgpr_count:     23
    .vgpr_spill_count: 0
    .wavefront_size: 64
  - .agpr_count:     0
    .args:
      - .offset:         0
        .size:           72
        .value_kind:     by_value
    .group_segment_fixed_size: 0
    .kernarg_segment_align: 8
    .kernarg_segment_size: 72
    .language:       OpenCL C
    .language_version:
      - 2
      - 0
    .max_flat_workgroup_size: 128
    .name:           _ZN7rocprim17ROCPRIM_400000_NS6detail17trampoline_kernelINS0_14default_configENS1_38merge_sort_block_merge_config_selectorIlNS0_10empty_typeEEEZZNS1_27merge_sort_block_merge_implIS3_PlPS5_jNS1_19radix_merge_compareILb0ELb1ElNS0_19identity_decomposerEEEEE10hipError_tT0_T1_T2_jT3_P12ihipStream_tbPNSt15iterator_traitsISE_E10value_typeEPNSK_ISF_E10value_typeEPSG_NS1_7vsmem_tEENKUlT_SE_SF_SG_E_clIS8_S8_S9_S9_EESD_ST_SE_SF_SG_EUlST_E0_NS1_11comp_targetILNS1_3genE3ELNS1_11target_archE908ELNS1_3gpuE7ELNS1_3repE0EEENS1_38merge_mergepath_config_static_selectorELNS0_4arch9wavefront6targetE1EEEvSF_
    .private_segment_fixed_size: 0
    .sgpr_count:     4
    .sgpr_spill_count: 0
    .symbol:         _ZN7rocprim17ROCPRIM_400000_NS6detail17trampoline_kernelINS0_14default_configENS1_38merge_sort_block_merge_config_selectorIlNS0_10empty_typeEEEZZNS1_27merge_sort_block_merge_implIS3_PlPS5_jNS1_19radix_merge_compareILb0ELb1ElNS0_19identity_decomposerEEEEE10hipError_tT0_T1_T2_jT3_P12ihipStream_tbPNSt15iterator_traitsISE_E10value_typeEPNSK_ISF_E10value_typeEPSG_NS1_7vsmem_tEENKUlT_SE_SF_SG_E_clIS8_S8_S9_S9_EESD_ST_SE_SF_SG_EUlST_E0_NS1_11comp_targetILNS1_3genE3ELNS1_11target_archE908ELNS1_3gpuE7ELNS1_3repE0EEENS1_38merge_mergepath_config_static_selectorELNS0_4arch9wavefront6targetE1EEEvSF_.kd
    .uniform_work_group_size: 1
    .uses_dynamic_stack: false
    .vgpr_count:     0
    .vgpr_spill_count: 0
    .wavefront_size: 64
  - .agpr_count:     0
    .args:
      - .offset:         0
        .size:           72
        .value_kind:     by_value
    .group_segment_fixed_size: 0
    .kernarg_segment_align: 8
    .kernarg_segment_size: 72
    .language:       OpenCL C
    .language_version:
      - 2
      - 0
    .max_flat_workgroup_size: 256
    .name:           _ZN7rocprim17ROCPRIM_400000_NS6detail17trampoline_kernelINS0_14default_configENS1_38merge_sort_block_merge_config_selectorIlNS0_10empty_typeEEEZZNS1_27merge_sort_block_merge_implIS3_PlPS5_jNS1_19radix_merge_compareILb0ELb1ElNS0_19identity_decomposerEEEEE10hipError_tT0_T1_T2_jT3_P12ihipStream_tbPNSt15iterator_traitsISE_E10value_typeEPNSK_ISF_E10value_typeEPSG_NS1_7vsmem_tEENKUlT_SE_SF_SG_E_clIS8_S8_S9_S9_EESD_ST_SE_SF_SG_EUlST_E0_NS1_11comp_targetILNS1_3genE2ELNS1_11target_archE906ELNS1_3gpuE6ELNS1_3repE0EEENS1_38merge_mergepath_config_static_selectorELNS0_4arch9wavefront6targetE1EEEvSF_
    .private_segment_fixed_size: 0
    .sgpr_count:     4
    .sgpr_spill_count: 0
    .symbol:         _ZN7rocprim17ROCPRIM_400000_NS6detail17trampoline_kernelINS0_14default_configENS1_38merge_sort_block_merge_config_selectorIlNS0_10empty_typeEEEZZNS1_27merge_sort_block_merge_implIS3_PlPS5_jNS1_19radix_merge_compareILb0ELb1ElNS0_19identity_decomposerEEEEE10hipError_tT0_T1_T2_jT3_P12ihipStream_tbPNSt15iterator_traitsISE_E10value_typeEPNSK_ISF_E10value_typeEPSG_NS1_7vsmem_tEENKUlT_SE_SF_SG_E_clIS8_S8_S9_S9_EESD_ST_SE_SF_SG_EUlST_E0_NS1_11comp_targetILNS1_3genE2ELNS1_11target_archE906ELNS1_3gpuE6ELNS1_3repE0EEENS1_38merge_mergepath_config_static_selectorELNS0_4arch9wavefront6targetE1EEEvSF_.kd
    .uniform_work_group_size: 1
    .uses_dynamic_stack: false
    .vgpr_count:     0
    .vgpr_spill_count: 0
    .wavefront_size: 64
  - .agpr_count:     0
    .args:
      - .offset:         0
        .size:           72
        .value_kind:     by_value
    .group_segment_fixed_size: 0
    .kernarg_segment_align: 8
    .kernarg_segment_size: 72
    .language:       OpenCL C
    .language_version:
      - 2
      - 0
    .max_flat_workgroup_size: 512
    .name:           _ZN7rocprim17ROCPRIM_400000_NS6detail17trampoline_kernelINS0_14default_configENS1_38merge_sort_block_merge_config_selectorIlNS0_10empty_typeEEEZZNS1_27merge_sort_block_merge_implIS3_PlPS5_jNS1_19radix_merge_compareILb0ELb1ElNS0_19identity_decomposerEEEEE10hipError_tT0_T1_T2_jT3_P12ihipStream_tbPNSt15iterator_traitsISE_E10value_typeEPNSK_ISF_E10value_typeEPSG_NS1_7vsmem_tEENKUlT_SE_SF_SG_E_clIS8_S8_S9_S9_EESD_ST_SE_SF_SG_EUlST_E0_NS1_11comp_targetILNS1_3genE9ELNS1_11target_archE1100ELNS1_3gpuE3ELNS1_3repE0EEENS1_38merge_mergepath_config_static_selectorELNS0_4arch9wavefront6targetE1EEEvSF_
    .private_segment_fixed_size: 0
    .sgpr_count:     4
    .sgpr_spill_count: 0
    .symbol:         _ZN7rocprim17ROCPRIM_400000_NS6detail17trampoline_kernelINS0_14default_configENS1_38merge_sort_block_merge_config_selectorIlNS0_10empty_typeEEEZZNS1_27merge_sort_block_merge_implIS3_PlPS5_jNS1_19radix_merge_compareILb0ELb1ElNS0_19identity_decomposerEEEEE10hipError_tT0_T1_T2_jT3_P12ihipStream_tbPNSt15iterator_traitsISE_E10value_typeEPNSK_ISF_E10value_typeEPSG_NS1_7vsmem_tEENKUlT_SE_SF_SG_E_clIS8_S8_S9_S9_EESD_ST_SE_SF_SG_EUlST_E0_NS1_11comp_targetILNS1_3genE9ELNS1_11target_archE1100ELNS1_3gpuE3ELNS1_3repE0EEENS1_38merge_mergepath_config_static_selectorELNS0_4arch9wavefront6targetE1EEEvSF_.kd
    .uniform_work_group_size: 1
    .uses_dynamic_stack: false
    .vgpr_count:     0
    .vgpr_spill_count: 0
    .wavefront_size: 64
  - .agpr_count:     0
    .args:
      - .offset:         0
        .size:           72
        .value_kind:     by_value
    .group_segment_fixed_size: 0
    .kernarg_segment_align: 8
    .kernarg_segment_size: 72
    .language:       OpenCL C
    .language_version:
      - 2
      - 0
    .max_flat_workgroup_size: 1024
    .name:           _ZN7rocprim17ROCPRIM_400000_NS6detail17trampoline_kernelINS0_14default_configENS1_38merge_sort_block_merge_config_selectorIlNS0_10empty_typeEEEZZNS1_27merge_sort_block_merge_implIS3_PlPS5_jNS1_19radix_merge_compareILb0ELb1ElNS0_19identity_decomposerEEEEE10hipError_tT0_T1_T2_jT3_P12ihipStream_tbPNSt15iterator_traitsISE_E10value_typeEPNSK_ISF_E10value_typeEPSG_NS1_7vsmem_tEENKUlT_SE_SF_SG_E_clIS8_S8_S9_S9_EESD_ST_SE_SF_SG_EUlST_E0_NS1_11comp_targetILNS1_3genE8ELNS1_11target_archE1030ELNS1_3gpuE2ELNS1_3repE0EEENS1_38merge_mergepath_config_static_selectorELNS0_4arch9wavefront6targetE1EEEvSF_
    .private_segment_fixed_size: 0
    .sgpr_count:     4
    .sgpr_spill_count: 0
    .symbol:         _ZN7rocprim17ROCPRIM_400000_NS6detail17trampoline_kernelINS0_14default_configENS1_38merge_sort_block_merge_config_selectorIlNS0_10empty_typeEEEZZNS1_27merge_sort_block_merge_implIS3_PlPS5_jNS1_19radix_merge_compareILb0ELb1ElNS0_19identity_decomposerEEEEE10hipError_tT0_T1_T2_jT3_P12ihipStream_tbPNSt15iterator_traitsISE_E10value_typeEPNSK_ISF_E10value_typeEPSG_NS1_7vsmem_tEENKUlT_SE_SF_SG_E_clIS8_S8_S9_S9_EESD_ST_SE_SF_SG_EUlST_E0_NS1_11comp_targetILNS1_3genE8ELNS1_11target_archE1030ELNS1_3gpuE2ELNS1_3repE0EEENS1_38merge_mergepath_config_static_selectorELNS0_4arch9wavefront6targetE1EEEvSF_.kd
    .uniform_work_group_size: 1
    .uses_dynamic_stack: false
    .vgpr_count:     0
    .vgpr_spill_count: 0
    .wavefront_size: 64
  - .agpr_count:     0
    .args:
      - .offset:         0
        .size:           48
        .value_kind:     by_value
    .group_segment_fixed_size: 0
    .kernarg_segment_align: 8
    .kernarg_segment_size: 48
    .language:       OpenCL C
    .language_version:
      - 2
      - 0
    .max_flat_workgroup_size: 256
    .name:           _ZN7rocprim17ROCPRIM_400000_NS6detail17trampoline_kernelINS0_14default_configENS1_38merge_sort_block_merge_config_selectorIlNS0_10empty_typeEEEZZNS1_27merge_sort_block_merge_implIS3_PlPS5_jNS1_19radix_merge_compareILb0ELb1ElNS0_19identity_decomposerEEEEE10hipError_tT0_T1_T2_jT3_P12ihipStream_tbPNSt15iterator_traitsISE_E10value_typeEPNSK_ISF_E10value_typeEPSG_NS1_7vsmem_tEENKUlT_SE_SF_SG_E_clIS8_S8_S9_S9_EESD_ST_SE_SF_SG_EUlST_E1_NS1_11comp_targetILNS1_3genE0ELNS1_11target_archE4294967295ELNS1_3gpuE0ELNS1_3repE0EEENS1_36merge_oddeven_config_static_selectorELNS0_4arch9wavefront6targetE1EEEvSF_
    .private_segment_fixed_size: 0
    .sgpr_count:     4
    .sgpr_spill_count: 0
    .symbol:         _ZN7rocprim17ROCPRIM_400000_NS6detail17trampoline_kernelINS0_14default_configENS1_38merge_sort_block_merge_config_selectorIlNS0_10empty_typeEEEZZNS1_27merge_sort_block_merge_implIS3_PlPS5_jNS1_19radix_merge_compareILb0ELb1ElNS0_19identity_decomposerEEEEE10hipError_tT0_T1_T2_jT3_P12ihipStream_tbPNSt15iterator_traitsISE_E10value_typeEPNSK_ISF_E10value_typeEPSG_NS1_7vsmem_tEENKUlT_SE_SF_SG_E_clIS8_S8_S9_S9_EESD_ST_SE_SF_SG_EUlST_E1_NS1_11comp_targetILNS1_3genE0ELNS1_11target_archE4294967295ELNS1_3gpuE0ELNS1_3repE0EEENS1_36merge_oddeven_config_static_selectorELNS0_4arch9wavefront6targetE1EEEvSF_.kd
    .uniform_work_group_size: 1
    .uses_dynamic_stack: false
    .vgpr_count:     0
    .vgpr_spill_count: 0
    .wavefront_size: 64
  - .agpr_count:     0
    .args:
      - .offset:         0
        .size:           48
        .value_kind:     by_value
    .group_segment_fixed_size: 0
    .kernarg_segment_align: 8
    .kernarg_segment_size: 48
    .language:       OpenCL C
    .language_version:
      - 2
      - 0
    .max_flat_workgroup_size: 256
    .name:           _ZN7rocprim17ROCPRIM_400000_NS6detail17trampoline_kernelINS0_14default_configENS1_38merge_sort_block_merge_config_selectorIlNS0_10empty_typeEEEZZNS1_27merge_sort_block_merge_implIS3_PlPS5_jNS1_19radix_merge_compareILb0ELb1ElNS0_19identity_decomposerEEEEE10hipError_tT0_T1_T2_jT3_P12ihipStream_tbPNSt15iterator_traitsISE_E10value_typeEPNSK_ISF_E10value_typeEPSG_NS1_7vsmem_tEENKUlT_SE_SF_SG_E_clIS8_S8_S9_S9_EESD_ST_SE_SF_SG_EUlST_E1_NS1_11comp_targetILNS1_3genE10ELNS1_11target_archE1201ELNS1_3gpuE5ELNS1_3repE0EEENS1_36merge_oddeven_config_static_selectorELNS0_4arch9wavefront6targetE1EEEvSF_
    .private_segment_fixed_size: 0
    .sgpr_count:     4
    .sgpr_spill_count: 0
    .symbol:         _ZN7rocprim17ROCPRIM_400000_NS6detail17trampoline_kernelINS0_14default_configENS1_38merge_sort_block_merge_config_selectorIlNS0_10empty_typeEEEZZNS1_27merge_sort_block_merge_implIS3_PlPS5_jNS1_19radix_merge_compareILb0ELb1ElNS0_19identity_decomposerEEEEE10hipError_tT0_T1_T2_jT3_P12ihipStream_tbPNSt15iterator_traitsISE_E10value_typeEPNSK_ISF_E10value_typeEPSG_NS1_7vsmem_tEENKUlT_SE_SF_SG_E_clIS8_S8_S9_S9_EESD_ST_SE_SF_SG_EUlST_E1_NS1_11comp_targetILNS1_3genE10ELNS1_11target_archE1201ELNS1_3gpuE5ELNS1_3repE0EEENS1_36merge_oddeven_config_static_selectorELNS0_4arch9wavefront6targetE1EEEvSF_.kd
    .uniform_work_group_size: 1
    .uses_dynamic_stack: false
    .vgpr_count:     0
    .vgpr_spill_count: 0
    .wavefront_size: 64
  - .agpr_count:     0
    .args:
      - .offset:         0
        .size:           48
        .value_kind:     by_value
    .group_segment_fixed_size: 0
    .kernarg_segment_align: 8
    .kernarg_segment_size: 48
    .language:       OpenCL C
    .language_version:
      - 2
      - 0
    .max_flat_workgroup_size: 256
    .name:           _ZN7rocprim17ROCPRIM_400000_NS6detail17trampoline_kernelINS0_14default_configENS1_38merge_sort_block_merge_config_selectorIlNS0_10empty_typeEEEZZNS1_27merge_sort_block_merge_implIS3_PlPS5_jNS1_19radix_merge_compareILb0ELb1ElNS0_19identity_decomposerEEEEE10hipError_tT0_T1_T2_jT3_P12ihipStream_tbPNSt15iterator_traitsISE_E10value_typeEPNSK_ISF_E10value_typeEPSG_NS1_7vsmem_tEENKUlT_SE_SF_SG_E_clIS8_S8_S9_S9_EESD_ST_SE_SF_SG_EUlST_E1_NS1_11comp_targetILNS1_3genE5ELNS1_11target_archE942ELNS1_3gpuE9ELNS1_3repE0EEENS1_36merge_oddeven_config_static_selectorELNS0_4arch9wavefront6targetE1EEEvSF_
    .private_segment_fixed_size: 0
    .sgpr_count:     4
    .sgpr_spill_count: 0
    .symbol:         _ZN7rocprim17ROCPRIM_400000_NS6detail17trampoline_kernelINS0_14default_configENS1_38merge_sort_block_merge_config_selectorIlNS0_10empty_typeEEEZZNS1_27merge_sort_block_merge_implIS3_PlPS5_jNS1_19radix_merge_compareILb0ELb1ElNS0_19identity_decomposerEEEEE10hipError_tT0_T1_T2_jT3_P12ihipStream_tbPNSt15iterator_traitsISE_E10value_typeEPNSK_ISF_E10value_typeEPSG_NS1_7vsmem_tEENKUlT_SE_SF_SG_E_clIS8_S8_S9_S9_EESD_ST_SE_SF_SG_EUlST_E1_NS1_11comp_targetILNS1_3genE5ELNS1_11target_archE942ELNS1_3gpuE9ELNS1_3repE0EEENS1_36merge_oddeven_config_static_selectorELNS0_4arch9wavefront6targetE1EEEvSF_.kd
    .uniform_work_group_size: 1
    .uses_dynamic_stack: false
    .vgpr_count:     0
    .vgpr_spill_count: 0
    .wavefront_size: 64
  - .agpr_count:     0
    .args:
      - .offset:         0
        .size:           48
        .value_kind:     by_value
    .group_segment_fixed_size: 0
    .kernarg_segment_align: 8
    .kernarg_segment_size: 48
    .language:       OpenCL C
    .language_version:
      - 2
      - 0
    .max_flat_workgroup_size: 256
    .name:           _ZN7rocprim17ROCPRIM_400000_NS6detail17trampoline_kernelINS0_14default_configENS1_38merge_sort_block_merge_config_selectorIlNS0_10empty_typeEEEZZNS1_27merge_sort_block_merge_implIS3_PlPS5_jNS1_19radix_merge_compareILb0ELb1ElNS0_19identity_decomposerEEEEE10hipError_tT0_T1_T2_jT3_P12ihipStream_tbPNSt15iterator_traitsISE_E10value_typeEPNSK_ISF_E10value_typeEPSG_NS1_7vsmem_tEENKUlT_SE_SF_SG_E_clIS8_S8_S9_S9_EESD_ST_SE_SF_SG_EUlST_E1_NS1_11comp_targetILNS1_3genE4ELNS1_11target_archE910ELNS1_3gpuE8ELNS1_3repE0EEENS1_36merge_oddeven_config_static_selectorELNS0_4arch9wavefront6targetE1EEEvSF_
    .private_segment_fixed_size: 0
    .sgpr_count:     25
    .sgpr_spill_count: 0
    .symbol:         _ZN7rocprim17ROCPRIM_400000_NS6detail17trampoline_kernelINS0_14default_configENS1_38merge_sort_block_merge_config_selectorIlNS0_10empty_typeEEEZZNS1_27merge_sort_block_merge_implIS3_PlPS5_jNS1_19radix_merge_compareILb0ELb1ElNS0_19identity_decomposerEEEEE10hipError_tT0_T1_T2_jT3_P12ihipStream_tbPNSt15iterator_traitsISE_E10value_typeEPNSK_ISF_E10value_typeEPSG_NS1_7vsmem_tEENKUlT_SE_SF_SG_E_clIS8_S8_S9_S9_EESD_ST_SE_SF_SG_EUlST_E1_NS1_11comp_targetILNS1_3genE4ELNS1_11target_archE910ELNS1_3gpuE8ELNS1_3repE0EEENS1_36merge_oddeven_config_static_selectorELNS0_4arch9wavefront6targetE1EEEvSF_.kd
    .uniform_work_group_size: 1
    .uses_dynamic_stack: false
    .vgpr_count:     14
    .vgpr_spill_count: 0
    .wavefront_size: 64
  - .agpr_count:     0
    .args:
      - .offset:         0
        .size:           48
        .value_kind:     by_value
    .group_segment_fixed_size: 0
    .kernarg_segment_align: 8
    .kernarg_segment_size: 48
    .language:       OpenCL C
    .language_version:
      - 2
      - 0
    .max_flat_workgroup_size: 256
    .name:           _ZN7rocprim17ROCPRIM_400000_NS6detail17trampoline_kernelINS0_14default_configENS1_38merge_sort_block_merge_config_selectorIlNS0_10empty_typeEEEZZNS1_27merge_sort_block_merge_implIS3_PlPS5_jNS1_19radix_merge_compareILb0ELb1ElNS0_19identity_decomposerEEEEE10hipError_tT0_T1_T2_jT3_P12ihipStream_tbPNSt15iterator_traitsISE_E10value_typeEPNSK_ISF_E10value_typeEPSG_NS1_7vsmem_tEENKUlT_SE_SF_SG_E_clIS8_S8_S9_S9_EESD_ST_SE_SF_SG_EUlST_E1_NS1_11comp_targetILNS1_3genE3ELNS1_11target_archE908ELNS1_3gpuE7ELNS1_3repE0EEENS1_36merge_oddeven_config_static_selectorELNS0_4arch9wavefront6targetE1EEEvSF_
    .private_segment_fixed_size: 0
    .sgpr_count:     4
    .sgpr_spill_count: 0
    .symbol:         _ZN7rocprim17ROCPRIM_400000_NS6detail17trampoline_kernelINS0_14default_configENS1_38merge_sort_block_merge_config_selectorIlNS0_10empty_typeEEEZZNS1_27merge_sort_block_merge_implIS3_PlPS5_jNS1_19radix_merge_compareILb0ELb1ElNS0_19identity_decomposerEEEEE10hipError_tT0_T1_T2_jT3_P12ihipStream_tbPNSt15iterator_traitsISE_E10value_typeEPNSK_ISF_E10value_typeEPSG_NS1_7vsmem_tEENKUlT_SE_SF_SG_E_clIS8_S8_S9_S9_EESD_ST_SE_SF_SG_EUlST_E1_NS1_11comp_targetILNS1_3genE3ELNS1_11target_archE908ELNS1_3gpuE7ELNS1_3repE0EEENS1_36merge_oddeven_config_static_selectorELNS0_4arch9wavefront6targetE1EEEvSF_.kd
    .uniform_work_group_size: 1
    .uses_dynamic_stack: false
    .vgpr_count:     0
    .vgpr_spill_count: 0
    .wavefront_size: 64
  - .agpr_count:     0
    .args:
      - .offset:         0
        .size:           48
        .value_kind:     by_value
    .group_segment_fixed_size: 0
    .kernarg_segment_align: 8
    .kernarg_segment_size: 48
    .language:       OpenCL C
    .language_version:
      - 2
      - 0
    .max_flat_workgroup_size: 256
    .name:           _ZN7rocprim17ROCPRIM_400000_NS6detail17trampoline_kernelINS0_14default_configENS1_38merge_sort_block_merge_config_selectorIlNS0_10empty_typeEEEZZNS1_27merge_sort_block_merge_implIS3_PlPS5_jNS1_19radix_merge_compareILb0ELb1ElNS0_19identity_decomposerEEEEE10hipError_tT0_T1_T2_jT3_P12ihipStream_tbPNSt15iterator_traitsISE_E10value_typeEPNSK_ISF_E10value_typeEPSG_NS1_7vsmem_tEENKUlT_SE_SF_SG_E_clIS8_S8_S9_S9_EESD_ST_SE_SF_SG_EUlST_E1_NS1_11comp_targetILNS1_3genE2ELNS1_11target_archE906ELNS1_3gpuE6ELNS1_3repE0EEENS1_36merge_oddeven_config_static_selectorELNS0_4arch9wavefront6targetE1EEEvSF_
    .private_segment_fixed_size: 0
    .sgpr_count:     4
    .sgpr_spill_count: 0
    .symbol:         _ZN7rocprim17ROCPRIM_400000_NS6detail17trampoline_kernelINS0_14default_configENS1_38merge_sort_block_merge_config_selectorIlNS0_10empty_typeEEEZZNS1_27merge_sort_block_merge_implIS3_PlPS5_jNS1_19radix_merge_compareILb0ELb1ElNS0_19identity_decomposerEEEEE10hipError_tT0_T1_T2_jT3_P12ihipStream_tbPNSt15iterator_traitsISE_E10value_typeEPNSK_ISF_E10value_typeEPSG_NS1_7vsmem_tEENKUlT_SE_SF_SG_E_clIS8_S8_S9_S9_EESD_ST_SE_SF_SG_EUlST_E1_NS1_11comp_targetILNS1_3genE2ELNS1_11target_archE906ELNS1_3gpuE6ELNS1_3repE0EEENS1_36merge_oddeven_config_static_selectorELNS0_4arch9wavefront6targetE1EEEvSF_.kd
    .uniform_work_group_size: 1
    .uses_dynamic_stack: false
    .vgpr_count:     0
    .vgpr_spill_count: 0
    .wavefront_size: 64
  - .agpr_count:     0
    .args:
      - .offset:         0
        .size:           48
        .value_kind:     by_value
    .group_segment_fixed_size: 0
    .kernarg_segment_align: 8
    .kernarg_segment_size: 48
    .language:       OpenCL C
    .language_version:
      - 2
      - 0
    .max_flat_workgroup_size: 256
    .name:           _ZN7rocprim17ROCPRIM_400000_NS6detail17trampoline_kernelINS0_14default_configENS1_38merge_sort_block_merge_config_selectorIlNS0_10empty_typeEEEZZNS1_27merge_sort_block_merge_implIS3_PlPS5_jNS1_19radix_merge_compareILb0ELb1ElNS0_19identity_decomposerEEEEE10hipError_tT0_T1_T2_jT3_P12ihipStream_tbPNSt15iterator_traitsISE_E10value_typeEPNSK_ISF_E10value_typeEPSG_NS1_7vsmem_tEENKUlT_SE_SF_SG_E_clIS8_S8_S9_S9_EESD_ST_SE_SF_SG_EUlST_E1_NS1_11comp_targetILNS1_3genE9ELNS1_11target_archE1100ELNS1_3gpuE3ELNS1_3repE0EEENS1_36merge_oddeven_config_static_selectorELNS0_4arch9wavefront6targetE1EEEvSF_
    .private_segment_fixed_size: 0
    .sgpr_count:     4
    .sgpr_spill_count: 0
    .symbol:         _ZN7rocprim17ROCPRIM_400000_NS6detail17trampoline_kernelINS0_14default_configENS1_38merge_sort_block_merge_config_selectorIlNS0_10empty_typeEEEZZNS1_27merge_sort_block_merge_implIS3_PlPS5_jNS1_19radix_merge_compareILb0ELb1ElNS0_19identity_decomposerEEEEE10hipError_tT0_T1_T2_jT3_P12ihipStream_tbPNSt15iterator_traitsISE_E10value_typeEPNSK_ISF_E10value_typeEPSG_NS1_7vsmem_tEENKUlT_SE_SF_SG_E_clIS8_S8_S9_S9_EESD_ST_SE_SF_SG_EUlST_E1_NS1_11comp_targetILNS1_3genE9ELNS1_11target_archE1100ELNS1_3gpuE3ELNS1_3repE0EEENS1_36merge_oddeven_config_static_selectorELNS0_4arch9wavefront6targetE1EEEvSF_.kd
    .uniform_work_group_size: 1
    .uses_dynamic_stack: false
    .vgpr_count:     0
    .vgpr_spill_count: 0
    .wavefront_size: 64
  - .agpr_count:     0
    .args:
      - .offset:         0
        .size:           48
        .value_kind:     by_value
    .group_segment_fixed_size: 0
    .kernarg_segment_align: 8
    .kernarg_segment_size: 48
    .language:       OpenCL C
    .language_version:
      - 2
      - 0
    .max_flat_workgroup_size: 256
    .name:           _ZN7rocprim17ROCPRIM_400000_NS6detail17trampoline_kernelINS0_14default_configENS1_38merge_sort_block_merge_config_selectorIlNS0_10empty_typeEEEZZNS1_27merge_sort_block_merge_implIS3_PlPS5_jNS1_19radix_merge_compareILb0ELb1ElNS0_19identity_decomposerEEEEE10hipError_tT0_T1_T2_jT3_P12ihipStream_tbPNSt15iterator_traitsISE_E10value_typeEPNSK_ISF_E10value_typeEPSG_NS1_7vsmem_tEENKUlT_SE_SF_SG_E_clIS8_S8_S9_S9_EESD_ST_SE_SF_SG_EUlST_E1_NS1_11comp_targetILNS1_3genE8ELNS1_11target_archE1030ELNS1_3gpuE2ELNS1_3repE0EEENS1_36merge_oddeven_config_static_selectorELNS0_4arch9wavefront6targetE1EEEvSF_
    .private_segment_fixed_size: 0
    .sgpr_count:     4
    .sgpr_spill_count: 0
    .symbol:         _ZN7rocprim17ROCPRIM_400000_NS6detail17trampoline_kernelINS0_14default_configENS1_38merge_sort_block_merge_config_selectorIlNS0_10empty_typeEEEZZNS1_27merge_sort_block_merge_implIS3_PlPS5_jNS1_19radix_merge_compareILb0ELb1ElNS0_19identity_decomposerEEEEE10hipError_tT0_T1_T2_jT3_P12ihipStream_tbPNSt15iterator_traitsISE_E10value_typeEPNSK_ISF_E10value_typeEPSG_NS1_7vsmem_tEENKUlT_SE_SF_SG_E_clIS8_S8_S9_S9_EESD_ST_SE_SF_SG_EUlST_E1_NS1_11comp_targetILNS1_3genE8ELNS1_11target_archE1030ELNS1_3gpuE2ELNS1_3repE0EEENS1_36merge_oddeven_config_static_selectorELNS0_4arch9wavefront6targetE1EEEvSF_.kd
    .uniform_work_group_size: 1
    .uses_dynamic_stack: false
    .vgpr_count:     0
    .vgpr_spill_count: 0
    .wavefront_size: 64
  - .agpr_count:     0
    .args:
      - .offset:         0
        .size:           48
        .value_kind:     by_value
    .group_segment_fixed_size: 0
    .kernarg_segment_align: 8
    .kernarg_segment_size: 48
    .language:       OpenCL C
    .language_version:
      - 2
      - 0
    .max_flat_workgroup_size: 512
    .name:           _ZN7rocprim17ROCPRIM_400000_NS6detail17trampoline_kernelINS0_14default_configENS1_35radix_sort_onesweep_config_selectorIlNS0_10empty_typeEEEZNS1_34radix_sort_onesweep_global_offsetsIS3_Lb0EPlPS5_mNS0_19identity_decomposerEEE10hipError_tT1_T2_PT3_SE_jT4_jjP12ihipStream_tbEUlT_E_NS1_11comp_targetILNS1_3genE0ELNS1_11target_archE4294967295ELNS1_3gpuE0ELNS1_3repE0EEENS1_52radix_sort_onesweep_histogram_config_static_selectorELNS0_4arch9wavefront6targetE1EEEvSC_
    .private_segment_fixed_size: 0
    .sgpr_count:     4
    .sgpr_spill_count: 0
    .symbol:         _ZN7rocprim17ROCPRIM_400000_NS6detail17trampoline_kernelINS0_14default_configENS1_35radix_sort_onesweep_config_selectorIlNS0_10empty_typeEEEZNS1_34radix_sort_onesweep_global_offsetsIS3_Lb0EPlPS5_mNS0_19identity_decomposerEEE10hipError_tT1_T2_PT3_SE_jT4_jjP12ihipStream_tbEUlT_E_NS1_11comp_targetILNS1_3genE0ELNS1_11target_archE4294967295ELNS1_3gpuE0ELNS1_3repE0EEENS1_52radix_sort_onesweep_histogram_config_static_selectorELNS0_4arch9wavefront6targetE1EEEvSC_.kd
    .uniform_work_group_size: 1
    .uses_dynamic_stack: false
    .vgpr_count:     0
    .vgpr_spill_count: 0
    .wavefront_size: 64
  - .agpr_count:     0
    .args:
      - .offset:         0
        .size:           48
        .value_kind:     by_value
    .group_segment_fixed_size: 0
    .kernarg_segment_align: 8
    .kernarg_segment_size: 48
    .language:       OpenCL C
    .language_version:
      - 2
      - 0
    .max_flat_workgroup_size: 512
    .name:           _ZN7rocprim17ROCPRIM_400000_NS6detail17trampoline_kernelINS0_14default_configENS1_35radix_sort_onesweep_config_selectorIlNS0_10empty_typeEEEZNS1_34radix_sort_onesweep_global_offsetsIS3_Lb0EPlPS5_mNS0_19identity_decomposerEEE10hipError_tT1_T2_PT3_SE_jT4_jjP12ihipStream_tbEUlT_E_NS1_11comp_targetILNS1_3genE6ELNS1_11target_archE950ELNS1_3gpuE13ELNS1_3repE0EEENS1_52radix_sort_onesweep_histogram_config_static_selectorELNS0_4arch9wavefront6targetE1EEEvSC_
    .private_segment_fixed_size: 0
    .sgpr_count:     4
    .sgpr_spill_count: 0
    .symbol:         _ZN7rocprim17ROCPRIM_400000_NS6detail17trampoline_kernelINS0_14default_configENS1_35radix_sort_onesweep_config_selectorIlNS0_10empty_typeEEEZNS1_34radix_sort_onesweep_global_offsetsIS3_Lb0EPlPS5_mNS0_19identity_decomposerEEE10hipError_tT1_T2_PT3_SE_jT4_jjP12ihipStream_tbEUlT_E_NS1_11comp_targetILNS1_3genE6ELNS1_11target_archE950ELNS1_3gpuE13ELNS1_3repE0EEENS1_52radix_sort_onesweep_histogram_config_static_selectorELNS0_4arch9wavefront6targetE1EEEvSC_.kd
    .uniform_work_group_size: 1
    .uses_dynamic_stack: false
    .vgpr_count:     0
    .vgpr_spill_count: 0
    .wavefront_size: 64
  - .agpr_count:     0
    .args:
      - .offset:         0
        .size:           48
        .value_kind:     by_value
    .group_segment_fixed_size: 0
    .kernarg_segment_align: 8
    .kernarg_segment_size: 48
    .language:       OpenCL C
    .language_version:
      - 2
      - 0
    .max_flat_workgroup_size: 512
    .name:           _ZN7rocprim17ROCPRIM_400000_NS6detail17trampoline_kernelINS0_14default_configENS1_35radix_sort_onesweep_config_selectorIlNS0_10empty_typeEEEZNS1_34radix_sort_onesweep_global_offsetsIS3_Lb0EPlPS5_mNS0_19identity_decomposerEEE10hipError_tT1_T2_PT3_SE_jT4_jjP12ihipStream_tbEUlT_E_NS1_11comp_targetILNS1_3genE5ELNS1_11target_archE942ELNS1_3gpuE9ELNS1_3repE0EEENS1_52radix_sort_onesweep_histogram_config_static_selectorELNS0_4arch9wavefront6targetE1EEEvSC_
    .private_segment_fixed_size: 0
    .sgpr_count:     4
    .sgpr_spill_count: 0
    .symbol:         _ZN7rocprim17ROCPRIM_400000_NS6detail17trampoline_kernelINS0_14default_configENS1_35radix_sort_onesweep_config_selectorIlNS0_10empty_typeEEEZNS1_34radix_sort_onesweep_global_offsetsIS3_Lb0EPlPS5_mNS0_19identity_decomposerEEE10hipError_tT1_T2_PT3_SE_jT4_jjP12ihipStream_tbEUlT_E_NS1_11comp_targetILNS1_3genE5ELNS1_11target_archE942ELNS1_3gpuE9ELNS1_3repE0EEENS1_52radix_sort_onesweep_histogram_config_static_selectorELNS0_4arch9wavefront6targetE1EEEvSC_.kd
    .uniform_work_group_size: 1
    .uses_dynamic_stack: false
    .vgpr_count:     0
    .vgpr_spill_count: 0
    .wavefront_size: 64
  - .agpr_count:     0
    .args:
      - .offset:         0
        .size:           48
        .value_kind:     by_value
    .group_segment_fixed_size: 0
    .kernarg_segment_align: 8
    .kernarg_segment_size: 48
    .language:       OpenCL C
    .language_version:
      - 2
      - 0
    .max_flat_workgroup_size: 512
    .name:           _ZN7rocprim17ROCPRIM_400000_NS6detail17trampoline_kernelINS0_14default_configENS1_35radix_sort_onesweep_config_selectorIlNS0_10empty_typeEEEZNS1_34radix_sort_onesweep_global_offsetsIS3_Lb0EPlPS5_mNS0_19identity_decomposerEEE10hipError_tT1_T2_PT3_SE_jT4_jjP12ihipStream_tbEUlT_E_NS1_11comp_targetILNS1_3genE2ELNS1_11target_archE906ELNS1_3gpuE6ELNS1_3repE0EEENS1_52radix_sort_onesweep_histogram_config_static_selectorELNS0_4arch9wavefront6targetE1EEEvSC_
    .private_segment_fixed_size: 0
    .sgpr_count:     4
    .sgpr_spill_count: 0
    .symbol:         _ZN7rocprim17ROCPRIM_400000_NS6detail17trampoline_kernelINS0_14default_configENS1_35radix_sort_onesweep_config_selectorIlNS0_10empty_typeEEEZNS1_34radix_sort_onesweep_global_offsetsIS3_Lb0EPlPS5_mNS0_19identity_decomposerEEE10hipError_tT1_T2_PT3_SE_jT4_jjP12ihipStream_tbEUlT_E_NS1_11comp_targetILNS1_3genE2ELNS1_11target_archE906ELNS1_3gpuE6ELNS1_3repE0EEENS1_52radix_sort_onesweep_histogram_config_static_selectorELNS0_4arch9wavefront6targetE1EEEvSC_.kd
    .uniform_work_group_size: 1
    .uses_dynamic_stack: false
    .vgpr_count:     0
    .vgpr_spill_count: 0
    .wavefront_size: 64
  - .agpr_count:     0
    .args:
      - .offset:         0
        .size:           48
        .value_kind:     by_value
    .group_segment_fixed_size: 32768
    .kernarg_segment_align: 8
    .kernarg_segment_size: 48
    .language:       OpenCL C
    .language_version:
      - 2
      - 0
    .max_flat_workgroup_size: 1024
    .name:           _ZN7rocprim17ROCPRIM_400000_NS6detail17trampoline_kernelINS0_14default_configENS1_35radix_sort_onesweep_config_selectorIlNS0_10empty_typeEEEZNS1_34radix_sort_onesweep_global_offsetsIS3_Lb0EPlPS5_mNS0_19identity_decomposerEEE10hipError_tT1_T2_PT3_SE_jT4_jjP12ihipStream_tbEUlT_E_NS1_11comp_targetILNS1_3genE4ELNS1_11target_archE910ELNS1_3gpuE8ELNS1_3repE0EEENS1_52radix_sort_onesweep_histogram_config_static_selectorELNS0_4arch9wavefront6targetE1EEEvSC_
    .private_segment_fixed_size: 0
    .sgpr_count:     22
    .sgpr_spill_count: 0
    .symbol:         _ZN7rocprim17ROCPRIM_400000_NS6detail17trampoline_kernelINS0_14default_configENS1_35radix_sort_onesweep_config_selectorIlNS0_10empty_typeEEEZNS1_34radix_sort_onesweep_global_offsetsIS3_Lb0EPlPS5_mNS0_19identity_decomposerEEE10hipError_tT1_T2_PT3_SE_jT4_jjP12ihipStream_tbEUlT_E_NS1_11comp_targetILNS1_3genE4ELNS1_11target_archE910ELNS1_3gpuE8ELNS1_3repE0EEENS1_52radix_sort_onesweep_histogram_config_static_selectorELNS0_4arch9wavefront6targetE1EEEvSC_.kd
    .uniform_work_group_size: 1
    .uses_dynamic_stack: false
    .vgpr_count:     30
    .vgpr_spill_count: 0
    .wavefront_size: 64
  - .agpr_count:     0
    .args:
      - .offset:         0
        .size:           48
        .value_kind:     by_value
    .group_segment_fixed_size: 0
    .kernarg_segment_align: 8
    .kernarg_segment_size: 48
    .language:       OpenCL C
    .language_version:
      - 2
      - 0
    .max_flat_workgroup_size: 512
    .name:           _ZN7rocprim17ROCPRIM_400000_NS6detail17trampoline_kernelINS0_14default_configENS1_35radix_sort_onesweep_config_selectorIlNS0_10empty_typeEEEZNS1_34radix_sort_onesweep_global_offsetsIS3_Lb0EPlPS5_mNS0_19identity_decomposerEEE10hipError_tT1_T2_PT3_SE_jT4_jjP12ihipStream_tbEUlT_E_NS1_11comp_targetILNS1_3genE3ELNS1_11target_archE908ELNS1_3gpuE7ELNS1_3repE0EEENS1_52radix_sort_onesweep_histogram_config_static_selectorELNS0_4arch9wavefront6targetE1EEEvSC_
    .private_segment_fixed_size: 0
    .sgpr_count:     4
    .sgpr_spill_count: 0
    .symbol:         _ZN7rocprim17ROCPRIM_400000_NS6detail17trampoline_kernelINS0_14default_configENS1_35radix_sort_onesweep_config_selectorIlNS0_10empty_typeEEEZNS1_34radix_sort_onesweep_global_offsetsIS3_Lb0EPlPS5_mNS0_19identity_decomposerEEE10hipError_tT1_T2_PT3_SE_jT4_jjP12ihipStream_tbEUlT_E_NS1_11comp_targetILNS1_3genE3ELNS1_11target_archE908ELNS1_3gpuE7ELNS1_3repE0EEENS1_52radix_sort_onesweep_histogram_config_static_selectorELNS0_4arch9wavefront6targetE1EEEvSC_.kd
    .uniform_work_group_size: 1
    .uses_dynamic_stack: false
    .vgpr_count:     0
    .vgpr_spill_count: 0
    .wavefront_size: 64
  - .agpr_count:     0
    .args:
      - .offset:         0
        .size:           48
        .value_kind:     by_value
    .group_segment_fixed_size: 0
    .kernarg_segment_align: 8
    .kernarg_segment_size: 48
    .language:       OpenCL C
    .language_version:
      - 2
      - 0
    .max_flat_workgroup_size: 512
    .name:           _ZN7rocprim17ROCPRIM_400000_NS6detail17trampoline_kernelINS0_14default_configENS1_35radix_sort_onesweep_config_selectorIlNS0_10empty_typeEEEZNS1_34radix_sort_onesweep_global_offsetsIS3_Lb0EPlPS5_mNS0_19identity_decomposerEEE10hipError_tT1_T2_PT3_SE_jT4_jjP12ihipStream_tbEUlT_E_NS1_11comp_targetILNS1_3genE10ELNS1_11target_archE1201ELNS1_3gpuE5ELNS1_3repE0EEENS1_52radix_sort_onesweep_histogram_config_static_selectorELNS0_4arch9wavefront6targetE1EEEvSC_
    .private_segment_fixed_size: 0
    .sgpr_count:     4
    .sgpr_spill_count: 0
    .symbol:         _ZN7rocprim17ROCPRIM_400000_NS6detail17trampoline_kernelINS0_14default_configENS1_35radix_sort_onesweep_config_selectorIlNS0_10empty_typeEEEZNS1_34radix_sort_onesweep_global_offsetsIS3_Lb0EPlPS5_mNS0_19identity_decomposerEEE10hipError_tT1_T2_PT3_SE_jT4_jjP12ihipStream_tbEUlT_E_NS1_11comp_targetILNS1_3genE10ELNS1_11target_archE1201ELNS1_3gpuE5ELNS1_3repE0EEENS1_52radix_sort_onesweep_histogram_config_static_selectorELNS0_4arch9wavefront6targetE1EEEvSC_.kd
    .uniform_work_group_size: 1
    .uses_dynamic_stack: false
    .vgpr_count:     0
    .vgpr_spill_count: 0
    .wavefront_size: 64
  - .agpr_count:     0
    .args:
      - .offset:         0
        .size:           48
        .value_kind:     by_value
    .group_segment_fixed_size: 0
    .kernarg_segment_align: 8
    .kernarg_segment_size: 48
    .language:       OpenCL C
    .language_version:
      - 2
      - 0
    .max_flat_workgroup_size: 1024
    .name:           _ZN7rocprim17ROCPRIM_400000_NS6detail17trampoline_kernelINS0_14default_configENS1_35radix_sort_onesweep_config_selectorIlNS0_10empty_typeEEEZNS1_34radix_sort_onesweep_global_offsetsIS3_Lb0EPlPS5_mNS0_19identity_decomposerEEE10hipError_tT1_T2_PT3_SE_jT4_jjP12ihipStream_tbEUlT_E_NS1_11comp_targetILNS1_3genE9ELNS1_11target_archE1100ELNS1_3gpuE3ELNS1_3repE0EEENS1_52radix_sort_onesweep_histogram_config_static_selectorELNS0_4arch9wavefront6targetE1EEEvSC_
    .private_segment_fixed_size: 0
    .sgpr_count:     4
    .sgpr_spill_count: 0
    .symbol:         _ZN7rocprim17ROCPRIM_400000_NS6detail17trampoline_kernelINS0_14default_configENS1_35radix_sort_onesweep_config_selectorIlNS0_10empty_typeEEEZNS1_34radix_sort_onesweep_global_offsetsIS3_Lb0EPlPS5_mNS0_19identity_decomposerEEE10hipError_tT1_T2_PT3_SE_jT4_jjP12ihipStream_tbEUlT_E_NS1_11comp_targetILNS1_3genE9ELNS1_11target_archE1100ELNS1_3gpuE3ELNS1_3repE0EEENS1_52radix_sort_onesweep_histogram_config_static_selectorELNS0_4arch9wavefront6targetE1EEEvSC_.kd
    .uniform_work_group_size: 1
    .uses_dynamic_stack: false
    .vgpr_count:     0
    .vgpr_spill_count: 0
    .wavefront_size: 64
  - .agpr_count:     0
    .args:
      - .offset:         0
        .size:           48
        .value_kind:     by_value
    .group_segment_fixed_size: 0
    .kernarg_segment_align: 8
    .kernarg_segment_size: 48
    .language:       OpenCL C
    .language_version:
      - 2
      - 0
    .max_flat_workgroup_size: 1024
    .name:           _ZN7rocprim17ROCPRIM_400000_NS6detail17trampoline_kernelINS0_14default_configENS1_35radix_sort_onesweep_config_selectorIlNS0_10empty_typeEEEZNS1_34radix_sort_onesweep_global_offsetsIS3_Lb0EPlPS5_mNS0_19identity_decomposerEEE10hipError_tT1_T2_PT3_SE_jT4_jjP12ihipStream_tbEUlT_E_NS1_11comp_targetILNS1_3genE8ELNS1_11target_archE1030ELNS1_3gpuE2ELNS1_3repE0EEENS1_52radix_sort_onesweep_histogram_config_static_selectorELNS0_4arch9wavefront6targetE1EEEvSC_
    .private_segment_fixed_size: 0
    .sgpr_count:     4
    .sgpr_spill_count: 0
    .symbol:         _ZN7rocprim17ROCPRIM_400000_NS6detail17trampoline_kernelINS0_14default_configENS1_35radix_sort_onesweep_config_selectorIlNS0_10empty_typeEEEZNS1_34radix_sort_onesweep_global_offsetsIS3_Lb0EPlPS5_mNS0_19identity_decomposerEEE10hipError_tT1_T2_PT3_SE_jT4_jjP12ihipStream_tbEUlT_E_NS1_11comp_targetILNS1_3genE8ELNS1_11target_archE1030ELNS1_3gpuE2ELNS1_3repE0EEENS1_52radix_sort_onesweep_histogram_config_static_selectorELNS0_4arch9wavefront6targetE1EEEvSC_.kd
    .uniform_work_group_size: 1
    .uses_dynamic_stack: false
    .vgpr_count:     0
    .vgpr_spill_count: 0
    .wavefront_size: 64
  - .agpr_count:     0
    .args:
      - .address_space:  global
        .offset:         0
        .size:           8
        .value_kind:     global_buffer
    .group_segment_fixed_size: 0
    .kernarg_segment_align: 8
    .kernarg_segment_size: 8
    .language:       OpenCL C
    .language_version:
      - 2
      - 0
    .max_flat_workgroup_size: 512
    .name:           _ZN7rocprim17ROCPRIM_400000_NS6detail17trampoline_kernelINS0_14default_configENS1_35radix_sort_onesweep_config_selectorIlNS0_10empty_typeEEEZNS1_34radix_sort_onesweep_global_offsetsIS3_Lb0EPlPS5_mNS0_19identity_decomposerEEE10hipError_tT1_T2_PT3_SE_jT4_jjP12ihipStream_tbEUlT_E0_NS1_11comp_targetILNS1_3genE0ELNS1_11target_archE4294967295ELNS1_3gpuE0ELNS1_3repE0EEENS1_52radix_sort_onesweep_histogram_config_static_selectorELNS0_4arch9wavefront6targetE1EEEvSC_
    .private_segment_fixed_size: 0
    .sgpr_count:     4
    .sgpr_spill_count: 0
    .symbol:         _ZN7rocprim17ROCPRIM_400000_NS6detail17trampoline_kernelINS0_14default_configENS1_35radix_sort_onesweep_config_selectorIlNS0_10empty_typeEEEZNS1_34radix_sort_onesweep_global_offsetsIS3_Lb0EPlPS5_mNS0_19identity_decomposerEEE10hipError_tT1_T2_PT3_SE_jT4_jjP12ihipStream_tbEUlT_E0_NS1_11comp_targetILNS1_3genE0ELNS1_11target_archE4294967295ELNS1_3gpuE0ELNS1_3repE0EEENS1_52radix_sort_onesweep_histogram_config_static_selectorELNS0_4arch9wavefront6targetE1EEEvSC_.kd
    .uniform_work_group_size: 1
    .uses_dynamic_stack: false
    .vgpr_count:     0
    .vgpr_spill_count: 0
    .wavefront_size: 64
  - .agpr_count:     0
    .args:
      - .address_space:  global
        .offset:         0
        .size:           8
        .value_kind:     global_buffer
    .group_segment_fixed_size: 0
    .kernarg_segment_align: 8
    .kernarg_segment_size: 8
    .language:       OpenCL C
    .language_version:
      - 2
      - 0
    .max_flat_workgroup_size: 512
    .name:           _ZN7rocprim17ROCPRIM_400000_NS6detail17trampoline_kernelINS0_14default_configENS1_35radix_sort_onesweep_config_selectorIlNS0_10empty_typeEEEZNS1_34radix_sort_onesweep_global_offsetsIS3_Lb0EPlPS5_mNS0_19identity_decomposerEEE10hipError_tT1_T2_PT3_SE_jT4_jjP12ihipStream_tbEUlT_E0_NS1_11comp_targetILNS1_3genE6ELNS1_11target_archE950ELNS1_3gpuE13ELNS1_3repE0EEENS1_52radix_sort_onesweep_histogram_config_static_selectorELNS0_4arch9wavefront6targetE1EEEvSC_
    .private_segment_fixed_size: 0
    .sgpr_count:     4
    .sgpr_spill_count: 0
    .symbol:         _ZN7rocprim17ROCPRIM_400000_NS6detail17trampoline_kernelINS0_14default_configENS1_35radix_sort_onesweep_config_selectorIlNS0_10empty_typeEEEZNS1_34radix_sort_onesweep_global_offsetsIS3_Lb0EPlPS5_mNS0_19identity_decomposerEEE10hipError_tT1_T2_PT3_SE_jT4_jjP12ihipStream_tbEUlT_E0_NS1_11comp_targetILNS1_3genE6ELNS1_11target_archE950ELNS1_3gpuE13ELNS1_3repE0EEENS1_52radix_sort_onesweep_histogram_config_static_selectorELNS0_4arch9wavefront6targetE1EEEvSC_.kd
    .uniform_work_group_size: 1
    .uses_dynamic_stack: false
    .vgpr_count:     0
    .vgpr_spill_count: 0
    .wavefront_size: 64
  - .agpr_count:     0
    .args:
      - .address_space:  global
        .offset:         0
        .size:           8
        .value_kind:     global_buffer
    .group_segment_fixed_size: 0
    .kernarg_segment_align: 8
    .kernarg_segment_size: 8
    .language:       OpenCL C
    .language_version:
      - 2
      - 0
    .max_flat_workgroup_size: 512
    .name:           _ZN7rocprim17ROCPRIM_400000_NS6detail17trampoline_kernelINS0_14default_configENS1_35radix_sort_onesweep_config_selectorIlNS0_10empty_typeEEEZNS1_34radix_sort_onesweep_global_offsetsIS3_Lb0EPlPS5_mNS0_19identity_decomposerEEE10hipError_tT1_T2_PT3_SE_jT4_jjP12ihipStream_tbEUlT_E0_NS1_11comp_targetILNS1_3genE5ELNS1_11target_archE942ELNS1_3gpuE9ELNS1_3repE0EEENS1_52radix_sort_onesweep_histogram_config_static_selectorELNS0_4arch9wavefront6targetE1EEEvSC_
    .private_segment_fixed_size: 0
    .sgpr_count:     4
    .sgpr_spill_count: 0
    .symbol:         _ZN7rocprim17ROCPRIM_400000_NS6detail17trampoline_kernelINS0_14default_configENS1_35radix_sort_onesweep_config_selectorIlNS0_10empty_typeEEEZNS1_34radix_sort_onesweep_global_offsetsIS3_Lb0EPlPS5_mNS0_19identity_decomposerEEE10hipError_tT1_T2_PT3_SE_jT4_jjP12ihipStream_tbEUlT_E0_NS1_11comp_targetILNS1_3genE5ELNS1_11target_archE942ELNS1_3gpuE9ELNS1_3repE0EEENS1_52radix_sort_onesweep_histogram_config_static_selectorELNS0_4arch9wavefront6targetE1EEEvSC_.kd
    .uniform_work_group_size: 1
    .uses_dynamic_stack: false
    .vgpr_count:     0
    .vgpr_spill_count: 0
    .wavefront_size: 64
  - .agpr_count:     0
    .args:
      - .address_space:  global
        .offset:         0
        .size:           8
        .value_kind:     global_buffer
    .group_segment_fixed_size: 0
    .kernarg_segment_align: 8
    .kernarg_segment_size: 8
    .language:       OpenCL C
    .language_version:
      - 2
      - 0
    .max_flat_workgroup_size: 512
    .name:           _ZN7rocprim17ROCPRIM_400000_NS6detail17trampoline_kernelINS0_14default_configENS1_35radix_sort_onesweep_config_selectorIlNS0_10empty_typeEEEZNS1_34radix_sort_onesweep_global_offsetsIS3_Lb0EPlPS5_mNS0_19identity_decomposerEEE10hipError_tT1_T2_PT3_SE_jT4_jjP12ihipStream_tbEUlT_E0_NS1_11comp_targetILNS1_3genE2ELNS1_11target_archE906ELNS1_3gpuE6ELNS1_3repE0EEENS1_52radix_sort_onesweep_histogram_config_static_selectorELNS0_4arch9wavefront6targetE1EEEvSC_
    .private_segment_fixed_size: 0
    .sgpr_count:     4
    .sgpr_spill_count: 0
    .symbol:         _ZN7rocprim17ROCPRIM_400000_NS6detail17trampoline_kernelINS0_14default_configENS1_35radix_sort_onesweep_config_selectorIlNS0_10empty_typeEEEZNS1_34radix_sort_onesweep_global_offsetsIS3_Lb0EPlPS5_mNS0_19identity_decomposerEEE10hipError_tT1_T2_PT3_SE_jT4_jjP12ihipStream_tbEUlT_E0_NS1_11comp_targetILNS1_3genE2ELNS1_11target_archE906ELNS1_3gpuE6ELNS1_3repE0EEENS1_52radix_sort_onesweep_histogram_config_static_selectorELNS0_4arch9wavefront6targetE1EEEvSC_.kd
    .uniform_work_group_size: 1
    .uses_dynamic_stack: false
    .vgpr_count:     0
    .vgpr_spill_count: 0
    .wavefront_size: 64
  - .agpr_count:     0
    .args:
      - .address_space:  global
        .offset:         0
        .size:           8
        .value_kind:     global_buffer
    .group_segment_fixed_size: 128
    .kernarg_segment_align: 8
    .kernarg_segment_size: 8
    .language:       OpenCL C
    .language_version:
      - 2
      - 0
    .max_flat_workgroup_size: 1024
    .name:           _ZN7rocprim17ROCPRIM_400000_NS6detail17trampoline_kernelINS0_14default_configENS1_35radix_sort_onesweep_config_selectorIlNS0_10empty_typeEEEZNS1_34radix_sort_onesweep_global_offsetsIS3_Lb0EPlPS5_mNS0_19identity_decomposerEEE10hipError_tT1_T2_PT3_SE_jT4_jjP12ihipStream_tbEUlT_E0_NS1_11comp_targetILNS1_3genE4ELNS1_11target_archE910ELNS1_3gpuE8ELNS1_3repE0EEENS1_52radix_sort_onesweep_histogram_config_static_selectorELNS0_4arch9wavefront6targetE1EEEvSC_
    .private_segment_fixed_size: 0
    .sgpr_count:     22
    .sgpr_spill_count: 0
    .symbol:         _ZN7rocprim17ROCPRIM_400000_NS6detail17trampoline_kernelINS0_14default_configENS1_35radix_sort_onesweep_config_selectorIlNS0_10empty_typeEEEZNS1_34radix_sort_onesweep_global_offsetsIS3_Lb0EPlPS5_mNS0_19identity_decomposerEEE10hipError_tT1_T2_PT3_SE_jT4_jjP12ihipStream_tbEUlT_E0_NS1_11comp_targetILNS1_3genE4ELNS1_11target_archE910ELNS1_3gpuE8ELNS1_3repE0EEENS1_52radix_sort_onesweep_histogram_config_static_selectorELNS0_4arch9wavefront6targetE1EEEvSC_.kd
    .uniform_work_group_size: 1
    .uses_dynamic_stack: false
    .vgpr_count:     13
    .vgpr_spill_count: 0
    .wavefront_size: 64
  - .agpr_count:     0
    .args:
      - .address_space:  global
        .offset:         0
        .size:           8
        .value_kind:     global_buffer
    .group_segment_fixed_size: 0
    .kernarg_segment_align: 8
    .kernarg_segment_size: 8
    .language:       OpenCL C
    .language_version:
      - 2
      - 0
    .max_flat_workgroup_size: 512
    .name:           _ZN7rocprim17ROCPRIM_400000_NS6detail17trampoline_kernelINS0_14default_configENS1_35radix_sort_onesweep_config_selectorIlNS0_10empty_typeEEEZNS1_34radix_sort_onesweep_global_offsetsIS3_Lb0EPlPS5_mNS0_19identity_decomposerEEE10hipError_tT1_T2_PT3_SE_jT4_jjP12ihipStream_tbEUlT_E0_NS1_11comp_targetILNS1_3genE3ELNS1_11target_archE908ELNS1_3gpuE7ELNS1_3repE0EEENS1_52radix_sort_onesweep_histogram_config_static_selectorELNS0_4arch9wavefront6targetE1EEEvSC_
    .private_segment_fixed_size: 0
    .sgpr_count:     4
    .sgpr_spill_count: 0
    .symbol:         _ZN7rocprim17ROCPRIM_400000_NS6detail17trampoline_kernelINS0_14default_configENS1_35radix_sort_onesweep_config_selectorIlNS0_10empty_typeEEEZNS1_34radix_sort_onesweep_global_offsetsIS3_Lb0EPlPS5_mNS0_19identity_decomposerEEE10hipError_tT1_T2_PT3_SE_jT4_jjP12ihipStream_tbEUlT_E0_NS1_11comp_targetILNS1_3genE3ELNS1_11target_archE908ELNS1_3gpuE7ELNS1_3repE0EEENS1_52radix_sort_onesweep_histogram_config_static_selectorELNS0_4arch9wavefront6targetE1EEEvSC_.kd
    .uniform_work_group_size: 1
    .uses_dynamic_stack: false
    .vgpr_count:     0
    .vgpr_spill_count: 0
    .wavefront_size: 64
  - .agpr_count:     0
    .args:
      - .address_space:  global
        .offset:         0
        .size:           8
        .value_kind:     global_buffer
    .group_segment_fixed_size: 0
    .kernarg_segment_align: 8
    .kernarg_segment_size: 8
    .language:       OpenCL C
    .language_version:
      - 2
      - 0
    .max_flat_workgroup_size: 512
    .name:           _ZN7rocprim17ROCPRIM_400000_NS6detail17trampoline_kernelINS0_14default_configENS1_35radix_sort_onesweep_config_selectorIlNS0_10empty_typeEEEZNS1_34radix_sort_onesweep_global_offsetsIS3_Lb0EPlPS5_mNS0_19identity_decomposerEEE10hipError_tT1_T2_PT3_SE_jT4_jjP12ihipStream_tbEUlT_E0_NS1_11comp_targetILNS1_3genE10ELNS1_11target_archE1201ELNS1_3gpuE5ELNS1_3repE0EEENS1_52radix_sort_onesweep_histogram_config_static_selectorELNS0_4arch9wavefront6targetE1EEEvSC_
    .private_segment_fixed_size: 0
    .sgpr_count:     4
    .sgpr_spill_count: 0
    .symbol:         _ZN7rocprim17ROCPRIM_400000_NS6detail17trampoline_kernelINS0_14default_configENS1_35radix_sort_onesweep_config_selectorIlNS0_10empty_typeEEEZNS1_34radix_sort_onesweep_global_offsetsIS3_Lb0EPlPS5_mNS0_19identity_decomposerEEE10hipError_tT1_T2_PT3_SE_jT4_jjP12ihipStream_tbEUlT_E0_NS1_11comp_targetILNS1_3genE10ELNS1_11target_archE1201ELNS1_3gpuE5ELNS1_3repE0EEENS1_52radix_sort_onesweep_histogram_config_static_selectorELNS0_4arch9wavefront6targetE1EEEvSC_.kd
    .uniform_work_group_size: 1
    .uses_dynamic_stack: false
    .vgpr_count:     0
    .vgpr_spill_count: 0
    .wavefront_size: 64
  - .agpr_count:     0
    .args:
      - .address_space:  global
        .offset:         0
        .size:           8
        .value_kind:     global_buffer
    .group_segment_fixed_size: 0
    .kernarg_segment_align: 8
    .kernarg_segment_size: 8
    .language:       OpenCL C
    .language_version:
      - 2
      - 0
    .max_flat_workgroup_size: 1024
    .name:           _ZN7rocprim17ROCPRIM_400000_NS6detail17trampoline_kernelINS0_14default_configENS1_35radix_sort_onesweep_config_selectorIlNS0_10empty_typeEEEZNS1_34radix_sort_onesweep_global_offsetsIS3_Lb0EPlPS5_mNS0_19identity_decomposerEEE10hipError_tT1_T2_PT3_SE_jT4_jjP12ihipStream_tbEUlT_E0_NS1_11comp_targetILNS1_3genE9ELNS1_11target_archE1100ELNS1_3gpuE3ELNS1_3repE0EEENS1_52radix_sort_onesweep_histogram_config_static_selectorELNS0_4arch9wavefront6targetE1EEEvSC_
    .private_segment_fixed_size: 0
    .sgpr_count:     4
    .sgpr_spill_count: 0
    .symbol:         _ZN7rocprim17ROCPRIM_400000_NS6detail17trampoline_kernelINS0_14default_configENS1_35radix_sort_onesweep_config_selectorIlNS0_10empty_typeEEEZNS1_34radix_sort_onesweep_global_offsetsIS3_Lb0EPlPS5_mNS0_19identity_decomposerEEE10hipError_tT1_T2_PT3_SE_jT4_jjP12ihipStream_tbEUlT_E0_NS1_11comp_targetILNS1_3genE9ELNS1_11target_archE1100ELNS1_3gpuE3ELNS1_3repE0EEENS1_52radix_sort_onesweep_histogram_config_static_selectorELNS0_4arch9wavefront6targetE1EEEvSC_.kd
    .uniform_work_group_size: 1
    .uses_dynamic_stack: false
    .vgpr_count:     0
    .vgpr_spill_count: 0
    .wavefront_size: 64
  - .agpr_count:     0
    .args:
      - .address_space:  global
        .offset:         0
        .size:           8
        .value_kind:     global_buffer
    .group_segment_fixed_size: 0
    .kernarg_segment_align: 8
    .kernarg_segment_size: 8
    .language:       OpenCL C
    .language_version:
      - 2
      - 0
    .max_flat_workgroup_size: 1024
    .name:           _ZN7rocprim17ROCPRIM_400000_NS6detail17trampoline_kernelINS0_14default_configENS1_35radix_sort_onesweep_config_selectorIlNS0_10empty_typeEEEZNS1_34radix_sort_onesweep_global_offsetsIS3_Lb0EPlPS5_mNS0_19identity_decomposerEEE10hipError_tT1_T2_PT3_SE_jT4_jjP12ihipStream_tbEUlT_E0_NS1_11comp_targetILNS1_3genE8ELNS1_11target_archE1030ELNS1_3gpuE2ELNS1_3repE0EEENS1_52radix_sort_onesweep_histogram_config_static_selectorELNS0_4arch9wavefront6targetE1EEEvSC_
    .private_segment_fixed_size: 0
    .sgpr_count:     4
    .sgpr_spill_count: 0
    .symbol:         _ZN7rocprim17ROCPRIM_400000_NS6detail17trampoline_kernelINS0_14default_configENS1_35radix_sort_onesweep_config_selectorIlNS0_10empty_typeEEEZNS1_34radix_sort_onesweep_global_offsetsIS3_Lb0EPlPS5_mNS0_19identity_decomposerEEE10hipError_tT1_T2_PT3_SE_jT4_jjP12ihipStream_tbEUlT_E0_NS1_11comp_targetILNS1_3genE8ELNS1_11target_archE1030ELNS1_3gpuE2ELNS1_3repE0EEENS1_52radix_sort_onesweep_histogram_config_static_selectorELNS0_4arch9wavefront6targetE1EEEvSC_.kd
    .uniform_work_group_size: 1
    .uses_dynamic_stack: false
    .vgpr_count:     0
    .vgpr_spill_count: 0
    .wavefront_size: 64
  - .agpr_count:     0
    .args:
      - .offset:         0
        .size:           88
        .value_kind:     by_value
    .group_segment_fixed_size: 0
    .kernarg_segment_align: 8
    .kernarg_segment_size: 88
    .language:       OpenCL C
    .language_version:
      - 2
      - 0
    .max_flat_workgroup_size: 512
    .name:           _ZN7rocprim17ROCPRIM_400000_NS6detail17trampoline_kernelINS0_14default_configENS1_35radix_sort_onesweep_config_selectorIlNS0_10empty_typeEEEZZNS1_29radix_sort_onesweep_iterationIS3_Lb0EPlS8_PS5_S9_mNS0_19identity_decomposerENS1_16block_id_wrapperIjLb1EEEEE10hipError_tT1_PNSt15iterator_traitsISE_E10value_typeET2_T3_PNSF_ISK_E10value_typeET4_T5_PSP_SQ_PNS1_23onesweep_lookback_stateEbbT6_jjT7_P12ihipStream_tbENKUlT_T0_SE_SJ_E_clIS8_S8_S9_S9_EEDaSX_SY_SE_SJ_EUlSX_E_NS1_11comp_targetILNS1_3genE0ELNS1_11target_archE4294967295ELNS1_3gpuE0ELNS1_3repE0EEENS1_47radix_sort_onesweep_sort_config_static_selectorELNS0_4arch9wavefront6targetE1EEEvSE_
    .private_segment_fixed_size: 0
    .sgpr_count:     4
    .sgpr_spill_count: 0
    .symbol:         _ZN7rocprim17ROCPRIM_400000_NS6detail17trampoline_kernelINS0_14default_configENS1_35radix_sort_onesweep_config_selectorIlNS0_10empty_typeEEEZZNS1_29radix_sort_onesweep_iterationIS3_Lb0EPlS8_PS5_S9_mNS0_19identity_decomposerENS1_16block_id_wrapperIjLb1EEEEE10hipError_tT1_PNSt15iterator_traitsISE_E10value_typeET2_T3_PNSF_ISK_E10value_typeET4_T5_PSP_SQ_PNS1_23onesweep_lookback_stateEbbT6_jjT7_P12ihipStream_tbENKUlT_T0_SE_SJ_E_clIS8_S8_S9_S9_EEDaSX_SY_SE_SJ_EUlSX_E_NS1_11comp_targetILNS1_3genE0ELNS1_11target_archE4294967295ELNS1_3gpuE0ELNS1_3repE0EEENS1_47radix_sort_onesweep_sort_config_static_selectorELNS0_4arch9wavefront6targetE1EEEvSE_.kd
    .uniform_work_group_size: 1
    .uses_dynamic_stack: false
    .vgpr_count:     0
    .vgpr_spill_count: 0
    .wavefront_size: 64
  - .agpr_count:     0
    .args:
      - .offset:         0
        .size:           88
        .value_kind:     by_value
    .group_segment_fixed_size: 0
    .kernarg_segment_align: 8
    .kernarg_segment_size: 88
    .language:       OpenCL C
    .language_version:
      - 2
      - 0
    .max_flat_workgroup_size: 512
    .name:           _ZN7rocprim17ROCPRIM_400000_NS6detail17trampoline_kernelINS0_14default_configENS1_35radix_sort_onesweep_config_selectorIlNS0_10empty_typeEEEZZNS1_29radix_sort_onesweep_iterationIS3_Lb0EPlS8_PS5_S9_mNS0_19identity_decomposerENS1_16block_id_wrapperIjLb1EEEEE10hipError_tT1_PNSt15iterator_traitsISE_E10value_typeET2_T3_PNSF_ISK_E10value_typeET4_T5_PSP_SQ_PNS1_23onesweep_lookback_stateEbbT6_jjT7_P12ihipStream_tbENKUlT_T0_SE_SJ_E_clIS8_S8_S9_S9_EEDaSX_SY_SE_SJ_EUlSX_E_NS1_11comp_targetILNS1_3genE6ELNS1_11target_archE950ELNS1_3gpuE13ELNS1_3repE0EEENS1_47radix_sort_onesweep_sort_config_static_selectorELNS0_4arch9wavefront6targetE1EEEvSE_
    .private_segment_fixed_size: 0
    .sgpr_count:     4
    .sgpr_spill_count: 0
    .symbol:         _ZN7rocprim17ROCPRIM_400000_NS6detail17trampoline_kernelINS0_14default_configENS1_35radix_sort_onesweep_config_selectorIlNS0_10empty_typeEEEZZNS1_29radix_sort_onesweep_iterationIS3_Lb0EPlS8_PS5_S9_mNS0_19identity_decomposerENS1_16block_id_wrapperIjLb1EEEEE10hipError_tT1_PNSt15iterator_traitsISE_E10value_typeET2_T3_PNSF_ISK_E10value_typeET4_T5_PSP_SQ_PNS1_23onesweep_lookback_stateEbbT6_jjT7_P12ihipStream_tbENKUlT_T0_SE_SJ_E_clIS8_S8_S9_S9_EEDaSX_SY_SE_SJ_EUlSX_E_NS1_11comp_targetILNS1_3genE6ELNS1_11target_archE950ELNS1_3gpuE13ELNS1_3repE0EEENS1_47radix_sort_onesweep_sort_config_static_selectorELNS0_4arch9wavefront6targetE1EEEvSE_.kd
    .uniform_work_group_size: 1
    .uses_dynamic_stack: false
    .vgpr_count:     0
    .vgpr_spill_count: 0
    .wavefront_size: 64
  - .agpr_count:     0
    .args:
      - .offset:         0
        .size:           88
        .value_kind:     by_value
    .group_segment_fixed_size: 0
    .kernarg_segment_align: 8
    .kernarg_segment_size: 88
    .language:       OpenCL C
    .language_version:
      - 2
      - 0
    .max_flat_workgroup_size: 512
    .name:           _ZN7rocprim17ROCPRIM_400000_NS6detail17trampoline_kernelINS0_14default_configENS1_35radix_sort_onesweep_config_selectorIlNS0_10empty_typeEEEZZNS1_29radix_sort_onesweep_iterationIS3_Lb0EPlS8_PS5_S9_mNS0_19identity_decomposerENS1_16block_id_wrapperIjLb1EEEEE10hipError_tT1_PNSt15iterator_traitsISE_E10value_typeET2_T3_PNSF_ISK_E10value_typeET4_T5_PSP_SQ_PNS1_23onesweep_lookback_stateEbbT6_jjT7_P12ihipStream_tbENKUlT_T0_SE_SJ_E_clIS8_S8_S9_S9_EEDaSX_SY_SE_SJ_EUlSX_E_NS1_11comp_targetILNS1_3genE5ELNS1_11target_archE942ELNS1_3gpuE9ELNS1_3repE0EEENS1_47radix_sort_onesweep_sort_config_static_selectorELNS0_4arch9wavefront6targetE1EEEvSE_
    .private_segment_fixed_size: 0
    .sgpr_count:     4
    .sgpr_spill_count: 0
    .symbol:         _ZN7rocprim17ROCPRIM_400000_NS6detail17trampoline_kernelINS0_14default_configENS1_35radix_sort_onesweep_config_selectorIlNS0_10empty_typeEEEZZNS1_29radix_sort_onesweep_iterationIS3_Lb0EPlS8_PS5_S9_mNS0_19identity_decomposerENS1_16block_id_wrapperIjLb1EEEEE10hipError_tT1_PNSt15iterator_traitsISE_E10value_typeET2_T3_PNSF_ISK_E10value_typeET4_T5_PSP_SQ_PNS1_23onesweep_lookback_stateEbbT6_jjT7_P12ihipStream_tbENKUlT_T0_SE_SJ_E_clIS8_S8_S9_S9_EEDaSX_SY_SE_SJ_EUlSX_E_NS1_11comp_targetILNS1_3genE5ELNS1_11target_archE942ELNS1_3gpuE9ELNS1_3repE0EEENS1_47radix_sort_onesweep_sort_config_static_selectorELNS0_4arch9wavefront6targetE1EEEvSE_.kd
    .uniform_work_group_size: 1
    .uses_dynamic_stack: false
    .vgpr_count:     0
    .vgpr_spill_count: 0
    .wavefront_size: 64
  - .agpr_count:     0
    .args:
      - .offset:         0
        .size:           88
        .value_kind:     by_value
    .group_segment_fixed_size: 0
    .kernarg_segment_align: 8
    .kernarg_segment_size: 88
    .language:       OpenCL C
    .language_version:
      - 2
      - 0
    .max_flat_workgroup_size: 512
    .name:           _ZN7rocprim17ROCPRIM_400000_NS6detail17trampoline_kernelINS0_14default_configENS1_35radix_sort_onesweep_config_selectorIlNS0_10empty_typeEEEZZNS1_29radix_sort_onesweep_iterationIS3_Lb0EPlS8_PS5_S9_mNS0_19identity_decomposerENS1_16block_id_wrapperIjLb1EEEEE10hipError_tT1_PNSt15iterator_traitsISE_E10value_typeET2_T3_PNSF_ISK_E10value_typeET4_T5_PSP_SQ_PNS1_23onesweep_lookback_stateEbbT6_jjT7_P12ihipStream_tbENKUlT_T0_SE_SJ_E_clIS8_S8_S9_S9_EEDaSX_SY_SE_SJ_EUlSX_E_NS1_11comp_targetILNS1_3genE2ELNS1_11target_archE906ELNS1_3gpuE6ELNS1_3repE0EEENS1_47radix_sort_onesweep_sort_config_static_selectorELNS0_4arch9wavefront6targetE1EEEvSE_
    .private_segment_fixed_size: 0
    .sgpr_count:     4
    .sgpr_spill_count: 0
    .symbol:         _ZN7rocprim17ROCPRIM_400000_NS6detail17trampoline_kernelINS0_14default_configENS1_35radix_sort_onesweep_config_selectorIlNS0_10empty_typeEEEZZNS1_29radix_sort_onesweep_iterationIS3_Lb0EPlS8_PS5_S9_mNS0_19identity_decomposerENS1_16block_id_wrapperIjLb1EEEEE10hipError_tT1_PNSt15iterator_traitsISE_E10value_typeET2_T3_PNSF_ISK_E10value_typeET4_T5_PSP_SQ_PNS1_23onesweep_lookback_stateEbbT6_jjT7_P12ihipStream_tbENKUlT_T0_SE_SJ_E_clIS8_S8_S9_S9_EEDaSX_SY_SE_SJ_EUlSX_E_NS1_11comp_targetILNS1_3genE2ELNS1_11target_archE906ELNS1_3gpuE6ELNS1_3repE0EEENS1_47radix_sort_onesweep_sort_config_static_selectorELNS0_4arch9wavefront6targetE1EEEvSE_.kd
    .uniform_work_group_size: 1
    .uses_dynamic_stack: false
    .vgpr_count:     0
    .vgpr_spill_count: 0
    .wavefront_size: 64
  - .agpr_count:     0
    .args:
      - .offset:         0
        .size:           88
        .value_kind:     by_value
      - .offset:         88
        .size:           4
        .value_kind:     hidden_block_count_x
      - .offset:         92
        .size:           4
        .value_kind:     hidden_block_count_y
      - .offset:         96
        .size:           4
        .value_kind:     hidden_block_count_z
      - .offset:         100
        .size:           2
        .value_kind:     hidden_group_size_x
      - .offset:         102
        .size:           2
        .value_kind:     hidden_group_size_y
      - .offset:         104
        .size:           2
        .value_kind:     hidden_group_size_z
      - .offset:         106
        .size:           2
        .value_kind:     hidden_remainder_x
      - .offset:         108
        .size:           2
        .value_kind:     hidden_remainder_y
      - .offset:         110
        .size:           2
        .value_kind:     hidden_remainder_z
      - .offset:         128
        .size:           8
        .value_kind:     hidden_global_offset_x
      - .offset:         136
        .size:           8
        .value_kind:     hidden_global_offset_y
      - .offset:         144
        .size:           8
        .value_kind:     hidden_global_offset_z
      - .offset:         152
        .size:           2
        .value_kind:     hidden_grid_dims
    .group_segment_fixed_size: 20552
    .kernarg_segment_align: 8
    .kernarg_segment_size: 344
    .language:       OpenCL C
    .language_version:
      - 2
      - 0
    .max_flat_workgroup_size: 1024
    .name:           _ZN7rocprim17ROCPRIM_400000_NS6detail17trampoline_kernelINS0_14default_configENS1_35radix_sort_onesweep_config_selectorIlNS0_10empty_typeEEEZZNS1_29radix_sort_onesweep_iterationIS3_Lb0EPlS8_PS5_S9_mNS0_19identity_decomposerENS1_16block_id_wrapperIjLb1EEEEE10hipError_tT1_PNSt15iterator_traitsISE_E10value_typeET2_T3_PNSF_ISK_E10value_typeET4_T5_PSP_SQ_PNS1_23onesweep_lookback_stateEbbT6_jjT7_P12ihipStream_tbENKUlT_T0_SE_SJ_E_clIS8_S8_S9_S9_EEDaSX_SY_SE_SJ_EUlSX_E_NS1_11comp_targetILNS1_3genE4ELNS1_11target_archE910ELNS1_3gpuE8ELNS1_3repE0EEENS1_47radix_sort_onesweep_sort_config_static_selectorELNS0_4arch9wavefront6targetE1EEEvSE_
    .private_segment_fixed_size: 0
    .sgpr_count:     38
    .sgpr_spill_count: 0
    .symbol:         _ZN7rocprim17ROCPRIM_400000_NS6detail17trampoline_kernelINS0_14default_configENS1_35radix_sort_onesweep_config_selectorIlNS0_10empty_typeEEEZZNS1_29radix_sort_onesweep_iterationIS3_Lb0EPlS8_PS5_S9_mNS0_19identity_decomposerENS1_16block_id_wrapperIjLb1EEEEE10hipError_tT1_PNSt15iterator_traitsISE_E10value_typeET2_T3_PNSF_ISK_E10value_typeET4_T5_PSP_SQ_PNS1_23onesweep_lookback_stateEbbT6_jjT7_P12ihipStream_tbENKUlT_T0_SE_SJ_E_clIS8_S8_S9_S9_EEDaSX_SY_SE_SJ_EUlSX_E_NS1_11comp_targetILNS1_3genE4ELNS1_11target_archE910ELNS1_3gpuE8ELNS1_3repE0EEENS1_47radix_sort_onesweep_sort_config_static_selectorELNS0_4arch9wavefront6targetE1EEEvSE_.kd
    .uniform_work_group_size: 1
    .uses_dynamic_stack: false
    .vgpr_count:     55
    .vgpr_spill_count: 0
    .wavefront_size: 64
  - .agpr_count:     0
    .args:
      - .offset:         0
        .size:           88
        .value_kind:     by_value
    .group_segment_fixed_size: 0
    .kernarg_segment_align: 8
    .kernarg_segment_size: 88
    .language:       OpenCL C
    .language_version:
      - 2
      - 0
    .max_flat_workgroup_size: 512
    .name:           _ZN7rocprim17ROCPRIM_400000_NS6detail17trampoline_kernelINS0_14default_configENS1_35radix_sort_onesweep_config_selectorIlNS0_10empty_typeEEEZZNS1_29radix_sort_onesweep_iterationIS3_Lb0EPlS8_PS5_S9_mNS0_19identity_decomposerENS1_16block_id_wrapperIjLb1EEEEE10hipError_tT1_PNSt15iterator_traitsISE_E10value_typeET2_T3_PNSF_ISK_E10value_typeET4_T5_PSP_SQ_PNS1_23onesweep_lookback_stateEbbT6_jjT7_P12ihipStream_tbENKUlT_T0_SE_SJ_E_clIS8_S8_S9_S9_EEDaSX_SY_SE_SJ_EUlSX_E_NS1_11comp_targetILNS1_3genE3ELNS1_11target_archE908ELNS1_3gpuE7ELNS1_3repE0EEENS1_47radix_sort_onesweep_sort_config_static_selectorELNS0_4arch9wavefront6targetE1EEEvSE_
    .private_segment_fixed_size: 0
    .sgpr_count:     4
    .sgpr_spill_count: 0
    .symbol:         _ZN7rocprim17ROCPRIM_400000_NS6detail17trampoline_kernelINS0_14default_configENS1_35radix_sort_onesweep_config_selectorIlNS0_10empty_typeEEEZZNS1_29radix_sort_onesweep_iterationIS3_Lb0EPlS8_PS5_S9_mNS0_19identity_decomposerENS1_16block_id_wrapperIjLb1EEEEE10hipError_tT1_PNSt15iterator_traitsISE_E10value_typeET2_T3_PNSF_ISK_E10value_typeET4_T5_PSP_SQ_PNS1_23onesweep_lookback_stateEbbT6_jjT7_P12ihipStream_tbENKUlT_T0_SE_SJ_E_clIS8_S8_S9_S9_EEDaSX_SY_SE_SJ_EUlSX_E_NS1_11comp_targetILNS1_3genE3ELNS1_11target_archE908ELNS1_3gpuE7ELNS1_3repE0EEENS1_47radix_sort_onesweep_sort_config_static_selectorELNS0_4arch9wavefront6targetE1EEEvSE_.kd
    .uniform_work_group_size: 1
    .uses_dynamic_stack: false
    .vgpr_count:     0
    .vgpr_spill_count: 0
    .wavefront_size: 64
  - .agpr_count:     0
    .args:
      - .offset:         0
        .size:           88
        .value_kind:     by_value
    .group_segment_fixed_size: 0
    .kernarg_segment_align: 8
    .kernarg_segment_size: 88
    .language:       OpenCL C
    .language_version:
      - 2
      - 0
    .max_flat_workgroup_size: 512
    .name:           _ZN7rocprim17ROCPRIM_400000_NS6detail17trampoline_kernelINS0_14default_configENS1_35radix_sort_onesweep_config_selectorIlNS0_10empty_typeEEEZZNS1_29radix_sort_onesweep_iterationIS3_Lb0EPlS8_PS5_S9_mNS0_19identity_decomposerENS1_16block_id_wrapperIjLb1EEEEE10hipError_tT1_PNSt15iterator_traitsISE_E10value_typeET2_T3_PNSF_ISK_E10value_typeET4_T5_PSP_SQ_PNS1_23onesweep_lookback_stateEbbT6_jjT7_P12ihipStream_tbENKUlT_T0_SE_SJ_E_clIS8_S8_S9_S9_EEDaSX_SY_SE_SJ_EUlSX_E_NS1_11comp_targetILNS1_3genE10ELNS1_11target_archE1201ELNS1_3gpuE5ELNS1_3repE0EEENS1_47radix_sort_onesweep_sort_config_static_selectorELNS0_4arch9wavefront6targetE1EEEvSE_
    .private_segment_fixed_size: 0
    .sgpr_count:     4
    .sgpr_spill_count: 0
    .symbol:         _ZN7rocprim17ROCPRIM_400000_NS6detail17trampoline_kernelINS0_14default_configENS1_35radix_sort_onesweep_config_selectorIlNS0_10empty_typeEEEZZNS1_29radix_sort_onesweep_iterationIS3_Lb0EPlS8_PS5_S9_mNS0_19identity_decomposerENS1_16block_id_wrapperIjLb1EEEEE10hipError_tT1_PNSt15iterator_traitsISE_E10value_typeET2_T3_PNSF_ISK_E10value_typeET4_T5_PSP_SQ_PNS1_23onesweep_lookback_stateEbbT6_jjT7_P12ihipStream_tbENKUlT_T0_SE_SJ_E_clIS8_S8_S9_S9_EEDaSX_SY_SE_SJ_EUlSX_E_NS1_11comp_targetILNS1_3genE10ELNS1_11target_archE1201ELNS1_3gpuE5ELNS1_3repE0EEENS1_47radix_sort_onesweep_sort_config_static_selectorELNS0_4arch9wavefront6targetE1EEEvSE_.kd
    .uniform_work_group_size: 1
    .uses_dynamic_stack: false
    .vgpr_count:     0
    .vgpr_spill_count: 0
    .wavefront_size: 64
  - .agpr_count:     0
    .args:
      - .offset:         0
        .size:           88
        .value_kind:     by_value
    .group_segment_fixed_size: 0
    .kernarg_segment_align: 8
    .kernarg_segment_size: 88
    .language:       OpenCL C
    .language_version:
      - 2
      - 0
    .max_flat_workgroup_size: 1024
    .name:           _ZN7rocprim17ROCPRIM_400000_NS6detail17trampoline_kernelINS0_14default_configENS1_35radix_sort_onesweep_config_selectorIlNS0_10empty_typeEEEZZNS1_29radix_sort_onesweep_iterationIS3_Lb0EPlS8_PS5_S9_mNS0_19identity_decomposerENS1_16block_id_wrapperIjLb1EEEEE10hipError_tT1_PNSt15iterator_traitsISE_E10value_typeET2_T3_PNSF_ISK_E10value_typeET4_T5_PSP_SQ_PNS1_23onesweep_lookback_stateEbbT6_jjT7_P12ihipStream_tbENKUlT_T0_SE_SJ_E_clIS8_S8_S9_S9_EEDaSX_SY_SE_SJ_EUlSX_E_NS1_11comp_targetILNS1_3genE9ELNS1_11target_archE1100ELNS1_3gpuE3ELNS1_3repE0EEENS1_47radix_sort_onesweep_sort_config_static_selectorELNS0_4arch9wavefront6targetE1EEEvSE_
    .private_segment_fixed_size: 0
    .sgpr_count:     4
    .sgpr_spill_count: 0
    .symbol:         _ZN7rocprim17ROCPRIM_400000_NS6detail17trampoline_kernelINS0_14default_configENS1_35radix_sort_onesweep_config_selectorIlNS0_10empty_typeEEEZZNS1_29radix_sort_onesweep_iterationIS3_Lb0EPlS8_PS5_S9_mNS0_19identity_decomposerENS1_16block_id_wrapperIjLb1EEEEE10hipError_tT1_PNSt15iterator_traitsISE_E10value_typeET2_T3_PNSF_ISK_E10value_typeET4_T5_PSP_SQ_PNS1_23onesweep_lookback_stateEbbT6_jjT7_P12ihipStream_tbENKUlT_T0_SE_SJ_E_clIS8_S8_S9_S9_EEDaSX_SY_SE_SJ_EUlSX_E_NS1_11comp_targetILNS1_3genE9ELNS1_11target_archE1100ELNS1_3gpuE3ELNS1_3repE0EEENS1_47radix_sort_onesweep_sort_config_static_selectorELNS0_4arch9wavefront6targetE1EEEvSE_.kd
    .uniform_work_group_size: 1
    .uses_dynamic_stack: false
    .vgpr_count:     0
    .vgpr_spill_count: 0
    .wavefront_size: 64
  - .agpr_count:     0
    .args:
      - .offset:         0
        .size:           88
        .value_kind:     by_value
    .group_segment_fixed_size: 0
    .kernarg_segment_align: 8
    .kernarg_segment_size: 88
    .language:       OpenCL C
    .language_version:
      - 2
      - 0
    .max_flat_workgroup_size: 1024
    .name:           _ZN7rocprim17ROCPRIM_400000_NS6detail17trampoline_kernelINS0_14default_configENS1_35radix_sort_onesweep_config_selectorIlNS0_10empty_typeEEEZZNS1_29radix_sort_onesweep_iterationIS3_Lb0EPlS8_PS5_S9_mNS0_19identity_decomposerENS1_16block_id_wrapperIjLb1EEEEE10hipError_tT1_PNSt15iterator_traitsISE_E10value_typeET2_T3_PNSF_ISK_E10value_typeET4_T5_PSP_SQ_PNS1_23onesweep_lookback_stateEbbT6_jjT7_P12ihipStream_tbENKUlT_T0_SE_SJ_E_clIS8_S8_S9_S9_EEDaSX_SY_SE_SJ_EUlSX_E_NS1_11comp_targetILNS1_3genE8ELNS1_11target_archE1030ELNS1_3gpuE2ELNS1_3repE0EEENS1_47radix_sort_onesweep_sort_config_static_selectorELNS0_4arch9wavefront6targetE1EEEvSE_
    .private_segment_fixed_size: 0
    .sgpr_count:     4
    .sgpr_spill_count: 0
    .symbol:         _ZN7rocprim17ROCPRIM_400000_NS6detail17trampoline_kernelINS0_14default_configENS1_35radix_sort_onesweep_config_selectorIlNS0_10empty_typeEEEZZNS1_29radix_sort_onesweep_iterationIS3_Lb0EPlS8_PS5_S9_mNS0_19identity_decomposerENS1_16block_id_wrapperIjLb1EEEEE10hipError_tT1_PNSt15iterator_traitsISE_E10value_typeET2_T3_PNSF_ISK_E10value_typeET4_T5_PSP_SQ_PNS1_23onesweep_lookback_stateEbbT6_jjT7_P12ihipStream_tbENKUlT_T0_SE_SJ_E_clIS8_S8_S9_S9_EEDaSX_SY_SE_SJ_EUlSX_E_NS1_11comp_targetILNS1_3genE8ELNS1_11target_archE1030ELNS1_3gpuE2ELNS1_3repE0EEENS1_47radix_sort_onesweep_sort_config_static_selectorELNS0_4arch9wavefront6targetE1EEEvSE_.kd
    .uniform_work_group_size: 1
    .uses_dynamic_stack: false
    .vgpr_count:     0
    .vgpr_spill_count: 0
    .wavefront_size: 64
  - .agpr_count:     0
    .args:
      - .offset:         0
        .size:           88
        .value_kind:     by_value
    .group_segment_fixed_size: 0
    .kernarg_segment_align: 8
    .kernarg_segment_size: 88
    .language:       OpenCL C
    .language_version:
      - 2
      - 0
    .max_flat_workgroup_size: 512
    .name:           _ZN7rocprim17ROCPRIM_400000_NS6detail17trampoline_kernelINS0_14default_configENS1_35radix_sort_onesweep_config_selectorIlNS0_10empty_typeEEEZZNS1_29radix_sort_onesweep_iterationIS3_Lb0EPlS8_PS5_S9_mNS0_19identity_decomposerENS1_16block_id_wrapperIjLb0EEEEE10hipError_tT1_PNSt15iterator_traitsISE_E10value_typeET2_T3_PNSF_ISK_E10value_typeET4_T5_PSP_SQ_PNS1_23onesweep_lookback_stateEbbT6_jjT7_P12ihipStream_tbENKUlT_T0_SE_SJ_E_clIS8_S8_S9_S9_EEDaSX_SY_SE_SJ_EUlSX_E_NS1_11comp_targetILNS1_3genE0ELNS1_11target_archE4294967295ELNS1_3gpuE0ELNS1_3repE0EEENS1_47radix_sort_onesweep_sort_config_static_selectorELNS0_4arch9wavefront6targetE1EEEvSE_
    .private_segment_fixed_size: 0
    .sgpr_count:     4
    .sgpr_spill_count: 0
    .symbol:         _ZN7rocprim17ROCPRIM_400000_NS6detail17trampoline_kernelINS0_14default_configENS1_35radix_sort_onesweep_config_selectorIlNS0_10empty_typeEEEZZNS1_29radix_sort_onesweep_iterationIS3_Lb0EPlS8_PS5_S9_mNS0_19identity_decomposerENS1_16block_id_wrapperIjLb0EEEEE10hipError_tT1_PNSt15iterator_traitsISE_E10value_typeET2_T3_PNSF_ISK_E10value_typeET4_T5_PSP_SQ_PNS1_23onesweep_lookback_stateEbbT6_jjT7_P12ihipStream_tbENKUlT_T0_SE_SJ_E_clIS8_S8_S9_S9_EEDaSX_SY_SE_SJ_EUlSX_E_NS1_11comp_targetILNS1_3genE0ELNS1_11target_archE4294967295ELNS1_3gpuE0ELNS1_3repE0EEENS1_47radix_sort_onesweep_sort_config_static_selectorELNS0_4arch9wavefront6targetE1EEEvSE_.kd
    .uniform_work_group_size: 1
    .uses_dynamic_stack: false
    .vgpr_count:     0
    .vgpr_spill_count: 0
    .wavefront_size: 64
  - .agpr_count:     0
    .args:
      - .offset:         0
        .size:           88
        .value_kind:     by_value
    .group_segment_fixed_size: 0
    .kernarg_segment_align: 8
    .kernarg_segment_size: 88
    .language:       OpenCL C
    .language_version:
      - 2
      - 0
    .max_flat_workgroup_size: 512
    .name:           _ZN7rocprim17ROCPRIM_400000_NS6detail17trampoline_kernelINS0_14default_configENS1_35radix_sort_onesweep_config_selectorIlNS0_10empty_typeEEEZZNS1_29radix_sort_onesweep_iterationIS3_Lb0EPlS8_PS5_S9_mNS0_19identity_decomposerENS1_16block_id_wrapperIjLb0EEEEE10hipError_tT1_PNSt15iterator_traitsISE_E10value_typeET2_T3_PNSF_ISK_E10value_typeET4_T5_PSP_SQ_PNS1_23onesweep_lookback_stateEbbT6_jjT7_P12ihipStream_tbENKUlT_T0_SE_SJ_E_clIS8_S8_S9_S9_EEDaSX_SY_SE_SJ_EUlSX_E_NS1_11comp_targetILNS1_3genE6ELNS1_11target_archE950ELNS1_3gpuE13ELNS1_3repE0EEENS1_47radix_sort_onesweep_sort_config_static_selectorELNS0_4arch9wavefront6targetE1EEEvSE_
    .private_segment_fixed_size: 0
    .sgpr_count:     4
    .sgpr_spill_count: 0
    .symbol:         _ZN7rocprim17ROCPRIM_400000_NS6detail17trampoline_kernelINS0_14default_configENS1_35radix_sort_onesweep_config_selectorIlNS0_10empty_typeEEEZZNS1_29radix_sort_onesweep_iterationIS3_Lb0EPlS8_PS5_S9_mNS0_19identity_decomposerENS1_16block_id_wrapperIjLb0EEEEE10hipError_tT1_PNSt15iterator_traitsISE_E10value_typeET2_T3_PNSF_ISK_E10value_typeET4_T5_PSP_SQ_PNS1_23onesweep_lookback_stateEbbT6_jjT7_P12ihipStream_tbENKUlT_T0_SE_SJ_E_clIS8_S8_S9_S9_EEDaSX_SY_SE_SJ_EUlSX_E_NS1_11comp_targetILNS1_3genE6ELNS1_11target_archE950ELNS1_3gpuE13ELNS1_3repE0EEENS1_47radix_sort_onesweep_sort_config_static_selectorELNS0_4arch9wavefront6targetE1EEEvSE_.kd
    .uniform_work_group_size: 1
    .uses_dynamic_stack: false
    .vgpr_count:     0
    .vgpr_spill_count: 0
    .wavefront_size: 64
  - .agpr_count:     0
    .args:
      - .offset:         0
        .size:           88
        .value_kind:     by_value
    .group_segment_fixed_size: 0
    .kernarg_segment_align: 8
    .kernarg_segment_size: 88
    .language:       OpenCL C
    .language_version:
      - 2
      - 0
    .max_flat_workgroup_size: 512
    .name:           _ZN7rocprim17ROCPRIM_400000_NS6detail17trampoline_kernelINS0_14default_configENS1_35radix_sort_onesweep_config_selectorIlNS0_10empty_typeEEEZZNS1_29radix_sort_onesweep_iterationIS3_Lb0EPlS8_PS5_S9_mNS0_19identity_decomposerENS1_16block_id_wrapperIjLb0EEEEE10hipError_tT1_PNSt15iterator_traitsISE_E10value_typeET2_T3_PNSF_ISK_E10value_typeET4_T5_PSP_SQ_PNS1_23onesweep_lookback_stateEbbT6_jjT7_P12ihipStream_tbENKUlT_T0_SE_SJ_E_clIS8_S8_S9_S9_EEDaSX_SY_SE_SJ_EUlSX_E_NS1_11comp_targetILNS1_3genE5ELNS1_11target_archE942ELNS1_3gpuE9ELNS1_3repE0EEENS1_47radix_sort_onesweep_sort_config_static_selectorELNS0_4arch9wavefront6targetE1EEEvSE_
    .private_segment_fixed_size: 0
    .sgpr_count:     4
    .sgpr_spill_count: 0
    .symbol:         _ZN7rocprim17ROCPRIM_400000_NS6detail17trampoline_kernelINS0_14default_configENS1_35radix_sort_onesweep_config_selectorIlNS0_10empty_typeEEEZZNS1_29radix_sort_onesweep_iterationIS3_Lb0EPlS8_PS5_S9_mNS0_19identity_decomposerENS1_16block_id_wrapperIjLb0EEEEE10hipError_tT1_PNSt15iterator_traitsISE_E10value_typeET2_T3_PNSF_ISK_E10value_typeET4_T5_PSP_SQ_PNS1_23onesweep_lookback_stateEbbT6_jjT7_P12ihipStream_tbENKUlT_T0_SE_SJ_E_clIS8_S8_S9_S9_EEDaSX_SY_SE_SJ_EUlSX_E_NS1_11comp_targetILNS1_3genE5ELNS1_11target_archE942ELNS1_3gpuE9ELNS1_3repE0EEENS1_47radix_sort_onesweep_sort_config_static_selectorELNS0_4arch9wavefront6targetE1EEEvSE_.kd
    .uniform_work_group_size: 1
    .uses_dynamic_stack: false
    .vgpr_count:     0
    .vgpr_spill_count: 0
    .wavefront_size: 64
  - .agpr_count:     0
    .args:
      - .offset:         0
        .size:           88
        .value_kind:     by_value
    .group_segment_fixed_size: 0
    .kernarg_segment_align: 8
    .kernarg_segment_size: 88
    .language:       OpenCL C
    .language_version:
      - 2
      - 0
    .max_flat_workgroup_size: 512
    .name:           _ZN7rocprim17ROCPRIM_400000_NS6detail17trampoline_kernelINS0_14default_configENS1_35radix_sort_onesweep_config_selectorIlNS0_10empty_typeEEEZZNS1_29radix_sort_onesweep_iterationIS3_Lb0EPlS8_PS5_S9_mNS0_19identity_decomposerENS1_16block_id_wrapperIjLb0EEEEE10hipError_tT1_PNSt15iterator_traitsISE_E10value_typeET2_T3_PNSF_ISK_E10value_typeET4_T5_PSP_SQ_PNS1_23onesweep_lookback_stateEbbT6_jjT7_P12ihipStream_tbENKUlT_T0_SE_SJ_E_clIS8_S8_S9_S9_EEDaSX_SY_SE_SJ_EUlSX_E_NS1_11comp_targetILNS1_3genE2ELNS1_11target_archE906ELNS1_3gpuE6ELNS1_3repE0EEENS1_47radix_sort_onesweep_sort_config_static_selectorELNS0_4arch9wavefront6targetE1EEEvSE_
    .private_segment_fixed_size: 0
    .sgpr_count:     4
    .sgpr_spill_count: 0
    .symbol:         _ZN7rocprim17ROCPRIM_400000_NS6detail17trampoline_kernelINS0_14default_configENS1_35radix_sort_onesweep_config_selectorIlNS0_10empty_typeEEEZZNS1_29radix_sort_onesweep_iterationIS3_Lb0EPlS8_PS5_S9_mNS0_19identity_decomposerENS1_16block_id_wrapperIjLb0EEEEE10hipError_tT1_PNSt15iterator_traitsISE_E10value_typeET2_T3_PNSF_ISK_E10value_typeET4_T5_PSP_SQ_PNS1_23onesweep_lookback_stateEbbT6_jjT7_P12ihipStream_tbENKUlT_T0_SE_SJ_E_clIS8_S8_S9_S9_EEDaSX_SY_SE_SJ_EUlSX_E_NS1_11comp_targetILNS1_3genE2ELNS1_11target_archE906ELNS1_3gpuE6ELNS1_3repE0EEENS1_47radix_sort_onesweep_sort_config_static_selectorELNS0_4arch9wavefront6targetE1EEEvSE_.kd
    .uniform_work_group_size: 1
    .uses_dynamic_stack: false
    .vgpr_count:     0
    .vgpr_spill_count: 0
    .wavefront_size: 64
  - .agpr_count:     0
    .args:
      - .offset:         0
        .size:           88
        .value_kind:     by_value
      - .offset:         88
        .size:           4
        .value_kind:     hidden_block_count_x
      - .offset:         92
        .size:           4
        .value_kind:     hidden_block_count_y
      - .offset:         96
        .size:           4
        .value_kind:     hidden_block_count_z
      - .offset:         100
        .size:           2
        .value_kind:     hidden_group_size_x
      - .offset:         102
        .size:           2
        .value_kind:     hidden_group_size_y
      - .offset:         104
        .size:           2
        .value_kind:     hidden_group_size_z
      - .offset:         106
        .size:           2
        .value_kind:     hidden_remainder_x
      - .offset:         108
        .size:           2
        .value_kind:     hidden_remainder_y
      - .offset:         110
        .size:           2
        .value_kind:     hidden_remainder_z
      - .offset:         128
        .size:           8
        .value_kind:     hidden_global_offset_x
      - .offset:         136
        .size:           8
        .value_kind:     hidden_global_offset_y
      - .offset:         144
        .size:           8
        .value_kind:     hidden_global_offset_z
      - .offset:         152
        .size:           2
        .value_kind:     hidden_grid_dims
    .group_segment_fixed_size: 20552
    .kernarg_segment_align: 8
    .kernarg_segment_size: 344
    .language:       OpenCL C
    .language_version:
      - 2
      - 0
    .max_flat_workgroup_size: 1024
    .name:           _ZN7rocprim17ROCPRIM_400000_NS6detail17trampoline_kernelINS0_14default_configENS1_35radix_sort_onesweep_config_selectorIlNS0_10empty_typeEEEZZNS1_29radix_sort_onesweep_iterationIS3_Lb0EPlS8_PS5_S9_mNS0_19identity_decomposerENS1_16block_id_wrapperIjLb0EEEEE10hipError_tT1_PNSt15iterator_traitsISE_E10value_typeET2_T3_PNSF_ISK_E10value_typeET4_T5_PSP_SQ_PNS1_23onesweep_lookback_stateEbbT6_jjT7_P12ihipStream_tbENKUlT_T0_SE_SJ_E_clIS8_S8_S9_S9_EEDaSX_SY_SE_SJ_EUlSX_E_NS1_11comp_targetILNS1_3genE4ELNS1_11target_archE910ELNS1_3gpuE8ELNS1_3repE0EEENS1_47radix_sort_onesweep_sort_config_static_selectorELNS0_4arch9wavefront6targetE1EEEvSE_
    .private_segment_fixed_size: 0
    .sgpr_count:     34
    .sgpr_spill_count: 0
    .symbol:         _ZN7rocprim17ROCPRIM_400000_NS6detail17trampoline_kernelINS0_14default_configENS1_35radix_sort_onesweep_config_selectorIlNS0_10empty_typeEEEZZNS1_29radix_sort_onesweep_iterationIS3_Lb0EPlS8_PS5_S9_mNS0_19identity_decomposerENS1_16block_id_wrapperIjLb0EEEEE10hipError_tT1_PNSt15iterator_traitsISE_E10value_typeET2_T3_PNSF_ISK_E10value_typeET4_T5_PSP_SQ_PNS1_23onesweep_lookback_stateEbbT6_jjT7_P12ihipStream_tbENKUlT_T0_SE_SJ_E_clIS8_S8_S9_S9_EEDaSX_SY_SE_SJ_EUlSX_E_NS1_11comp_targetILNS1_3genE4ELNS1_11target_archE910ELNS1_3gpuE8ELNS1_3repE0EEENS1_47radix_sort_onesweep_sort_config_static_selectorELNS0_4arch9wavefront6targetE1EEEvSE_.kd
    .uniform_work_group_size: 1
    .uses_dynamic_stack: false
    .vgpr_count:     55
    .vgpr_spill_count: 0
    .wavefront_size: 64
  - .agpr_count:     0
    .args:
      - .offset:         0
        .size:           88
        .value_kind:     by_value
    .group_segment_fixed_size: 0
    .kernarg_segment_align: 8
    .kernarg_segment_size: 88
    .language:       OpenCL C
    .language_version:
      - 2
      - 0
    .max_flat_workgroup_size: 512
    .name:           _ZN7rocprim17ROCPRIM_400000_NS6detail17trampoline_kernelINS0_14default_configENS1_35radix_sort_onesweep_config_selectorIlNS0_10empty_typeEEEZZNS1_29radix_sort_onesweep_iterationIS3_Lb0EPlS8_PS5_S9_mNS0_19identity_decomposerENS1_16block_id_wrapperIjLb0EEEEE10hipError_tT1_PNSt15iterator_traitsISE_E10value_typeET2_T3_PNSF_ISK_E10value_typeET4_T5_PSP_SQ_PNS1_23onesweep_lookback_stateEbbT6_jjT7_P12ihipStream_tbENKUlT_T0_SE_SJ_E_clIS8_S8_S9_S9_EEDaSX_SY_SE_SJ_EUlSX_E_NS1_11comp_targetILNS1_3genE3ELNS1_11target_archE908ELNS1_3gpuE7ELNS1_3repE0EEENS1_47radix_sort_onesweep_sort_config_static_selectorELNS0_4arch9wavefront6targetE1EEEvSE_
    .private_segment_fixed_size: 0
    .sgpr_count:     4
    .sgpr_spill_count: 0
    .symbol:         _ZN7rocprim17ROCPRIM_400000_NS6detail17trampoline_kernelINS0_14default_configENS1_35radix_sort_onesweep_config_selectorIlNS0_10empty_typeEEEZZNS1_29radix_sort_onesweep_iterationIS3_Lb0EPlS8_PS5_S9_mNS0_19identity_decomposerENS1_16block_id_wrapperIjLb0EEEEE10hipError_tT1_PNSt15iterator_traitsISE_E10value_typeET2_T3_PNSF_ISK_E10value_typeET4_T5_PSP_SQ_PNS1_23onesweep_lookback_stateEbbT6_jjT7_P12ihipStream_tbENKUlT_T0_SE_SJ_E_clIS8_S8_S9_S9_EEDaSX_SY_SE_SJ_EUlSX_E_NS1_11comp_targetILNS1_3genE3ELNS1_11target_archE908ELNS1_3gpuE7ELNS1_3repE0EEENS1_47radix_sort_onesweep_sort_config_static_selectorELNS0_4arch9wavefront6targetE1EEEvSE_.kd
    .uniform_work_group_size: 1
    .uses_dynamic_stack: false
    .vgpr_count:     0
    .vgpr_spill_count: 0
    .wavefront_size: 64
  - .agpr_count:     0
    .args:
      - .offset:         0
        .size:           88
        .value_kind:     by_value
    .group_segment_fixed_size: 0
    .kernarg_segment_align: 8
    .kernarg_segment_size: 88
    .language:       OpenCL C
    .language_version:
      - 2
      - 0
    .max_flat_workgroup_size: 512
    .name:           _ZN7rocprim17ROCPRIM_400000_NS6detail17trampoline_kernelINS0_14default_configENS1_35radix_sort_onesweep_config_selectorIlNS0_10empty_typeEEEZZNS1_29radix_sort_onesweep_iterationIS3_Lb0EPlS8_PS5_S9_mNS0_19identity_decomposerENS1_16block_id_wrapperIjLb0EEEEE10hipError_tT1_PNSt15iterator_traitsISE_E10value_typeET2_T3_PNSF_ISK_E10value_typeET4_T5_PSP_SQ_PNS1_23onesweep_lookback_stateEbbT6_jjT7_P12ihipStream_tbENKUlT_T0_SE_SJ_E_clIS8_S8_S9_S9_EEDaSX_SY_SE_SJ_EUlSX_E_NS1_11comp_targetILNS1_3genE10ELNS1_11target_archE1201ELNS1_3gpuE5ELNS1_3repE0EEENS1_47radix_sort_onesweep_sort_config_static_selectorELNS0_4arch9wavefront6targetE1EEEvSE_
    .private_segment_fixed_size: 0
    .sgpr_count:     4
    .sgpr_spill_count: 0
    .symbol:         _ZN7rocprim17ROCPRIM_400000_NS6detail17trampoline_kernelINS0_14default_configENS1_35radix_sort_onesweep_config_selectorIlNS0_10empty_typeEEEZZNS1_29radix_sort_onesweep_iterationIS3_Lb0EPlS8_PS5_S9_mNS0_19identity_decomposerENS1_16block_id_wrapperIjLb0EEEEE10hipError_tT1_PNSt15iterator_traitsISE_E10value_typeET2_T3_PNSF_ISK_E10value_typeET4_T5_PSP_SQ_PNS1_23onesweep_lookback_stateEbbT6_jjT7_P12ihipStream_tbENKUlT_T0_SE_SJ_E_clIS8_S8_S9_S9_EEDaSX_SY_SE_SJ_EUlSX_E_NS1_11comp_targetILNS1_3genE10ELNS1_11target_archE1201ELNS1_3gpuE5ELNS1_3repE0EEENS1_47radix_sort_onesweep_sort_config_static_selectorELNS0_4arch9wavefront6targetE1EEEvSE_.kd
    .uniform_work_group_size: 1
    .uses_dynamic_stack: false
    .vgpr_count:     0
    .vgpr_spill_count: 0
    .wavefront_size: 64
  - .agpr_count:     0
    .args:
      - .offset:         0
        .size:           88
        .value_kind:     by_value
    .group_segment_fixed_size: 0
    .kernarg_segment_align: 8
    .kernarg_segment_size: 88
    .language:       OpenCL C
    .language_version:
      - 2
      - 0
    .max_flat_workgroup_size: 1024
    .name:           _ZN7rocprim17ROCPRIM_400000_NS6detail17trampoline_kernelINS0_14default_configENS1_35radix_sort_onesweep_config_selectorIlNS0_10empty_typeEEEZZNS1_29radix_sort_onesweep_iterationIS3_Lb0EPlS8_PS5_S9_mNS0_19identity_decomposerENS1_16block_id_wrapperIjLb0EEEEE10hipError_tT1_PNSt15iterator_traitsISE_E10value_typeET2_T3_PNSF_ISK_E10value_typeET4_T5_PSP_SQ_PNS1_23onesweep_lookback_stateEbbT6_jjT7_P12ihipStream_tbENKUlT_T0_SE_SJ_E_clIS8_S8_S9_S9_EEDaSX_SY_SE_SJ_EUlSX_E_NS1_11comp_targetILNS1_3genE9ELNS1_11target_archE1100ELNS1_3gpuE3ELNS1_3repE0EEENS1_47radix_sort_onesweep_sort_config_static_selectorELNS0_4arch9wavefront6targetE1EEEvSE_
    .private_segment_fixed_size: 0
    .sgpr_count:     4
    .sgpr_spill_count: 0
    .symbol:         _ZN7rocprim17ROCPRIM_400000_NS6detail17trampoline_kernelINS0_14default_configENS1_35radix_sort_onesweep_config_selectorIlNS0_10empty_typeEEEZZNS1_29radix_sort_onesweep_iterationIS3_Lb0EPlS8_PS5_S9_mNS0_19identity_decomposerENS1_16block_id_wrapperIjLb0EEEEE10hipError_tT1_PNSt15iterator_traitsISE_E10value_typeET2_T3_PNSF_ISK_E10value_typeET4_T5_PSP_SQ_PNS1_23onesweep_lookback_stateEbbT6_jjT7_P12ihipStream_tbENKUlT_T0_SE_SJ_E_clIS8_S8_S9_S9_EEDaSX_SY_SE_SJ_EUlSX_E_NS1_11comp_targetILNS1_3genE9ELNS1_11target_archE1100ELNS1_3gpuE3ELNS1_3repE0EEENS1_47radix_sort_onesweep_sort_config_static_selectorELNS0_4arch9wavefront6targetE1EEEvSE_.kd
    .uniform_work_group_size: 1
    .uses_dynamic_stack: false
    .vgpr_count:     0
    .vgpr_spill_count: 0
    .wavefront_size: 64
  - .agpr_count:     0
    .args:
      - .offset:         0
        .size:           88
        .value_kind:     by_value
    .group_segment_fixed_size: 0
    .kernarg_segment_align: 8
    .kernarg_segment_size: 88
    .language:       OpenCL C
    .language_version:
      - 2
      - 0
    .max_flat_workgroup_size: 1024
    .name:           _ZN7rocprim17ROCPRIM_400000_NS6detail17trampoline_kernelINS0_14default_configENS1_35radix_sort_onesweep_config_selectorIlNS0_10empty_typeEEEZZNS1_29radix_sort_onesweep_iterationIS3_Lb0EPlS8_PS5_S9_mNS0_19identity_decomposerENS1_16block_id_wrapperIjLb0EEEEE10hipError_tT1_PNSt15iterator_traitsISE_E10value_typeET2_T3_PNSF_ISK_E10value_typeET4_T5_PSP_SQ_PNS1_23onesweep_lookback_stateEbbT6_jjT7_P12ihipStream_tbENKUlT_T0_SE_SJ_E_clIS8_S8_S9_S9_EEDaSX_SY_SE_SJ_EUlSX_E_NS1_11comp_targetILNS1_3genE8ELNS1_11target_archE1030ELNS1_3gpuE2ELNS1_3repE0EEENS1_47radix_sort_onesweep_sort_config_static_selectorELNS0_4arch9wavefront6targetE1EEEvSE_
    .private_segment_fixed_size: 0
    .sgpr_count:     4
    .sgpr_spill_count: 0
    .symbol:         _ZN7rocprim17ROCPRIM_400000_NS6detail17trampoline_kernelINS0_14default_configENS1_35radix_sort_onesweep_config_selectorIlNS0_10empty_typeEEEZZNS1_29radix_sort_onesweep_iterationIS3_Lb0EPlS8_PS5_S9_mNS0_19identity_decomposerENS1_16block_id_wrapperIjLb0EEEEE10hipError_tT1_PNSt15iterator_traitsISE_E10value_typeET2_T3_PNSF_ISK_E10value_typeET4_T5_PSP_SQ_PNS1_23onesweep_lookback_stateEbbT6_jjT7_P12ihipStream_tbENKUlT_T0_SE_SJ_E_clIS8_S8_S9_S9_EEDaSX_SY_SE_SJ_EUlSX_E_NS1_11comp_targetILNS1_3genE8ELNS1_11target_archE1030ELNS1_3gpuE2ELNS1_3repE0EEENS1_47radix_sort_onesweep_sort_config_static_selectorELNS0_4arch9wavefront6targetE1EEEvSE_.kd
    .uniform_work_group_size: 1
    .uses_dynamic_stack: false
    .vgpr_count:     0
    .vgpr_spill_count: 0
    .wavefront_size: 64
  - .agpr_count:     0
    .args:
      - .offset:         0
        .size:           48
        .value_kind:     by_value
    .group_segment_fixed_size: 0
    .kernarg_segment_align: 8
    .kernarg_segment_size: 48
    .language:       OpenCL C
    .language_version:
      - 2
      - 0
    .max_flat_workgroup_size: 256
    .name:           _ZN7rocprim17ROCPRIM_400000_NS6detail17trampoline_kernelINS0_13kernel_configILj256ELj4ELj4294967295EEENS1_37radix_sort_block_sort_config_selectorImNS0_10empty_typeEEEZNS1_21radix_sort_block_sortIS4_Lb0EPmS9_PS6_SA_NS0_19identity_decomposerEEE10hipError_tT1_T2_T3_T4_jRjT5_jjP12ihipStream_tbEUlT_E_NS1_11comp_targetILNS1_3genE0ELNS1_11target_archE4294967295ELNS1_3gpuE0ELNS1_3repE0EEENS1_44radix_sort_block_sort_config_static_selectorELNS0_4arch9wavefront6targetE1EEEvSD_
    .private_segment_fixed_size: 0
    .sgpr_count:     4
    .sgpr_spill_count: 0
    .symbol:         _ZN7rocprim17ROCPRIM_400000_NS6detail17trampoline_kernelINS0_13kernel_configILj256ELj4ELj4294967295EEENS1_37radix_sort_block_sort_config_selectorImNS0_10empty_typeEEEZNS1_21radix_sort_block_sortIS4_Lb0EPmS9_PS6_SA_NS0_19identity_decomposerEEE10hipError_tT1_T2_T3_T4_jRjT5_jjP12ihipStream_tbEUlT_E_NS1_11comp_targetILNS1_3genE0ELNS1_11target_archE4294967295ELNS1_3gpuE0ELNS1_3repE0EEENS1_44radix_sort_block_sort_config_static_selectorELNS0_4arch9wavefront6targetE1EEEvSD_.kd
    .uniform_work_group_size: 1
    .uses_dynamic_stack: false
    .vgpr_count:     0
    .vgpr_spill_count: 0
    .wavefront_size: 64
  - .agpr_count:     0
    .args:
      - .offset:         0
        .size:           48
        .value_kind:     by_value
    .group_segment_fixed_size: 0
    .kernarg_segment_align: 8
    .kernarg_segment_size: 48
    .language:       OpenCL C
    .language_version:
      - 2
      - 0
    .max_flat_workgroup_size: 256
    .name:           _ZN7rocprim17ROCPRIM_400000_NS6detail17trampoline_kernelINS0_13kernel_configILj256ELj4ELj4294967295EEENS1_37radix_sort_block_sort_config_selectorImNS0_10empty_typeEEEZNS1_21radix_sort_block_sortIS4_Lb0EPmS9_PS6_SA_NS0_19identity_decomposerEEE10hipError_tT1_T2_T3_T4_jRjT5_jjP12ihipStream_tbEUlT_E_NS1_11comp_targetILNS1_3genE5ELNS1_11target_archE942ELNS1_3gpuE9ELNS1_3repE0EEENS1_44radix_sort_block_sort_config_static_selectorELNS0_4arch9wavefront6targetE1EEEvSD_
    .private_segment_fixed_size: 0
    .sgpr_count:     4
    .sgpr_spill_count: 0
    .symbol:         _ZN7rocprim17ROCPRIM_400000_NS6detail17trampoline_kernelINS0_13kernel_configILj256ELj4ELj4294967295EEENS1_37radix_sort_block_sort_config_selectorImNS0_10empty_typeEEEZNS1_21radix_sort_block_sortIS4_Lb0EPmS9_PS6_SA_NS0_19identity_decomposerEEE10hipError_tT1_T2_T3_T4_jRjT5_jjP12ihipStream_tbEUlT_E_NS1_11comp_targetILNS1_3genE5ELNS1_11target_archE942ELNS1_3gpuE9ELNS1_3repE0EEENS1_44radix_sort_block_sort_config_static_selectorELNS0_4arch9wavefront6targetE1EEEvSD_.kd
    .uniform_work_group_size: 1
    .uses_dynamic_stack: false
    .vgpr_count:     0
    .vgpr_spill_count: 0
    .wavefront_size: 64
  - .agpr_count:     0
    .args:
      - .offset:         0
        .size:           48
        .value_kind:     by_value
      - .offset:         48
        .size:           4
        .value_kind:     hidden_block_count_x
      - .offset:         52
        .size:           4
        .value_kind:     hidden_block_count_y
      - .offset:         56
        .size:           4
        .value_kind:     hidden_block_count_z
      - .offset:         60
        .size:           2
        .value_kind:     hidden_group_size_x
      - .offset:         62
        .size:           2
        .value_kind:     hidden_group_size_y
      - .offset:         64
        .size:           2
        .value_kind:     hidden_group_size_z
      - .offset:         66
        .size:           2
        .value_kind:     hidden_remainder_x
      - .offset:         68
        .size:           2
        .value_kind:     hidden_remainder_y
      - .offset:         70
        .size:           2
        .value_kind:     hidden_remainder_z
      - .offset:         88
        .size:           8
        .value_kind:     hidden_global_offset_x
      - .offset:         96
        .size:           8
        .value_kind:     hidden_global_offset_y
      - .offset:         104
        .size:           8
        .value_kind:     hidden_global_offset_z
      - .offset:         112
        .size:           2
        .value_kind:     hidden_grid_dims
    .group_segment_fixed_size: 8192
    .kernarg_segment_align: 8
    .kernarg_segment_size: 304
    .language:       OpenCL C
    .language_version:
      - 2
      - 0
    .max_flat_workgroup_size: 256
    .name:           _ZN7rocprim17ROCPRIM_400000_NS6detail17trampoline_kernelINS0_13kernel_configILj256ELj4ELj4294967295EEENS1_37radix_sort_block_sort_config_selectorImNS0_10empty_typeEEEZNS1_21radix_sort_block_sortIS4_Lb0EPmS9_PS6_SA_NS0_19identity_decomposerEEE10hipError_tT1_T2_T3_T4_jRjT5_jjP12ihipStream_tbEUlT_E_NS1_11comp_targetILNS1_3genE4ELNS1_11target_archE910ELNS1_3gpuE8ELNS1_3repE0EEENS1_44radix_sort_block_sort_config_static_selectorELNS0_4arch9wavefront6targetE1EEEvSD_
    .private_segment_fixed_size: 0
    .sgpr_count:     48
    .sgpr_spill_count: 0
    .symbol:         _ZN7rocprim17ROCPRIM_400000_NS6detail17trampoline_kernelINS0_13kernel_configILj256ELj4ELj4294967295EEENS1_37radix_sort_block_sort_config_selectorImNS0_10empty_typeEEEZNS1_21radix_sort_block_sortIS4_Lb0EPmS9_PS6_SA_NS0_19identity_decomposerEEE10hipError_tT1_T2_T3_T4_jRjT5_jjP12ihipStream_tbEUlT_E_NS1_11comp_targetILNS1_3genE4ELNS1_11target_archE910ELNS1_3gpuE8ELNS1_3repE0EEENS1_44radix_sort_block_sort_config_static_selectorELNS0_4arch9wavefront6targetE1EEEvSD_.kd
    .uniform_work_group_size: 1
    .uses_dynamic_stack: false
    .vgpr_count:     42
    .vgpr_spill_count: 0
    .wavefront_size: 64
  - .agpr_count:     0
    .args:
      - .offset:         0
        .size:           48
        .value_kind:     by_value
    .group_segment_fixed_size: 0
    .kernarg_segment_align: 8
    .kernarg_segment_size: 48
    .language:       OpenCL C
    .language_version:
      - 2
      - 0
    .max_flat_workgroup_size: 256
    .name:           _ZN7rocprim17ROCPRIM_400000_NS6detail17trampoline_kernelINS0_13kernel_configILj256ELj4ELj4294967295EEENS1_37radix_sort_block_sort_config_selectorImNS0_10empty_typeEEEZNS1_21radix_sort_block_sortIS4_Lb0EPmS9_PS6_SA_NS0_19identity_decomposerEEE10hipError_tT1_T2_T3_T4_jRjT5_jjP12ihipStream_tbEUlT_E_NS1_11comp_targetILNS1_3genE3ELNS1_11target_archE908ELNS1_3gpuE7ELNS1_3repE0EEENS1_44radix_sort_block_sort_config_static_selectorELNS0_4arch9wavefront6targetE1EEEvSD_
    .private_segment_fixed_size: 0
    .sgpr_count:     4
    .sgpr_spill_count: 0
    .symbol:         _ZN7rocprim17ROCPRIM_400000_NS6detail17trampoline_kernelINS0_13kernel_configILj256ELj4ELj4294967295EEENS1_37radix_sort_block_sort_config_selectorImNS0_10empty_typeEEEZNS1_21radix_sort_block_sortIS4_Lb0EPmS9_PS6_SA_NS0_19identity_decomposerEEE10hipError_tT1_T2_T3_T4_jRjT5_jjP12ihipStream_tbEUlT_E_NS1_11comp_targetILNS1_3genE3ELNS1_11target_archE908ELNS1_3gpuE7ELNS1_3repE0EEENS1_44radix_sort_block_sort_config_static_selectorELNS0_4arch9wavefront6targetE1EEEvSD_.kd
    .uniform_work_group_size: 1
    .uses_dynamic_stack: false
    .vgpr_count:     0
    .vgpr_spill_count: 0
    .wavefront_size: 64
  - .agpr_count:     0
    .args:
      - .offset:         0
        .size:           48
        .value_kind:     by_value
    .group_segment_fixed_size: 0
    .kernarg_segment_align: 8
    .kernarg_segment_size: 48
    .language:       OpenCL C
    .language_version:
      - 2
      - 0
    .max_flat_workgroup_size: 256
    .name:           _ZN7rocprim17ROCPRIM_400000_NS6detail17trampoline_kernelINS0_13kernel_configILj256ELj4ELj4294967295EEENS1_37radix_sort_block_sort_config_selectorImNS0_10empty_typeEEEZNS1_21radix_sort_block_sortIS4_Lb0EPmS9_PS6_SA_NS0_19identity_decomposerEEE10hipError_tT1_T2_T3_T4_jRjT5_jjP12ihipStream_tbEUlT_E_NS1_11comp_targetILNS1_3genE2ELNS1_11target_archE906ELNS1_3gpuE6ELNS1_3repE0EEENS1_44radix_sort_block_sort_config_static_selectorELNS0_4arch9wavefront6targetE1EEEvSD_
    .private_segment_fixed_size: 0
    .sgpr_count:     4
    .sgpr_spill_count: 0
    .symbol:         _ZN7rocprim17ROCPRIM_400000_NS6detail17trampoline_kernelINS0_13kernel_configILj256ELj4ELj4294967295EEENS1_37radix_sort_block_sort_config_selectorImNS0_10empty_typeEEEZNS1_21radix_sort_block_sortIS4_Lb0EPmS9_PS6_SA_NS0_19identity_decomposerEEE10hipError_tT1_T2_T3_T4_jRjT5_jjP12ihipStream_tbEUlT_E_NS1_11comp_targetILNS1_3genE2ELNS1_11target_archE906ELNS1_3gpuE6ELNS1_3repE0EEENS1_44radix_sort_block_sort_config_static_selectorELNS0_4arch9wavefront6targetE1EEEvSD_.kd
    .uniform_work_group_size: 1
    .uses_dynamic_stack: false
    .vgpr_count:     0
    .vgpr_spill_count: 0
    .wavefront_size: 64
  - .agpr_count:     0
    .args:
      - .offset:         0
        .size:           48
        .value_kind:     by_value
    .group_segment_fixed_size: 0
    .kernarg_segment_align: 8
    .kernarg_segment_size: 48
    .language:       OpenCL C
    .language_version:
      - 2
      - 0
    .max_flat_workgroup_size: 256
    .name:           _ZN7rocprim17ROCPRIM_400000_NS6detail17trampoline_kernelINS0_13kernel_configILj256ELj4ELj4294967295EEENS1_37radix_sort_block_sort_config_selectorImNS0_10empty_typeEEEZNS1_21radix_sort_block_sortIS4_Lb0EPmS9_PS6_SA_NS0_19identity_decomposerEEE10hipError_tT1_T2_T3_T4_jRjT5_jjP12ihipStream_tbEUlT_E_NS1_11comp_targetILNS1_3genE10ELNS1_11target_archE1201ELNS1_3gpuE5ELNS1_3repE0EEENS1_44radix_sort_block_sort_config_static_selectorELNS0_4arch9wavefront6targetE1EEEvSD_
    .private_segment_fixed_size: 0
    .sgpr_count:     4
    .sgpr_spill_count: 0
    .symbol:         _ZN7rocprim17ROCPRIM_400000_NS6detail17trampoline_kernelINS0_13kernel_configILj256ELj4ELj4294967295EEENS1_37radix_sort_block_sort_config_selectorImNS0_10empty_typeEEEZNS1_21radix_sort_block_sortIS4_Lb0EPmS9_PS6_SA_NS0_19identity_decomposerEEE10hipError_tT1_T2_T3_T4_jRjT5_jjP12ihipStream_tbEUlT_E_NS1_11comp_targetILNS1_3genE10ELNS1_11target_archE1201ELNS1_3gpuE5ELNS1_3repE0EEENS1_44radix_sort_block_sort_config_static_selectorELNS0_4arch9wavefront6targetE1EEEvSD_.kd
    .uniform_work_group_size: 1
    .uses_dynamic_stack: false
    .vgpr_count:     0
    .vgpr_spill_count: 0
    .wavefront_size: 64
  - .agpr_count:     0
    .args:
      - .offset:         0
        .size:           48
        .value_kind:     by_value
    .group_segment_fixed_size: 0
    .kernarg_segment_align: 8
    .kernarg_segment_size: 48
    .language:       OpenCL C
    .language_version:
      - 2
      - 0
    .max_flat_workgroup_size: 256
    .name:           _ZN7rocprim17ROCPRIM_400000_NS6detail17trampoline_kernelINS0_13kernel_configILj256ELj4ELj4294967295EEENS1_37radix_sort_block_sort_config_selectorImNS0_10empty_typeEEEZNS1_21radix_sort_block_sortIS4_Lb0EPmS9_PS6_SA_NS0_19identity_decomposerEEE10hipError_tT1_T2_T3_T4_jRjT5_jjP12ihipStream_tbEUlT_E_NS1_11comp_targetILNS1_3genE10ELNS1_11target_archE1200ELNS1_3gpuE4ELNS1_3repE0EEENS1_44radix_sort_block_sort_config_static_selectorELNS0_4arch9wavefront6targetE1EEEvSD_
    .private_segment_fixed_size: 0
    .sgpr_count:     4
    .sgpr_spill_count: 0
    .symbol:         _ZN7rocprim17ROCPRIM_400000_NS6detail17trampoline_kernelINS0_13kernel_configILj256ELj4ELj4294967295EEENS1_37radix_sort_block_sort_config_selectorImNS0_10empty_typeEEEZNS1_21radix_sort_block_sortIS4_Lb0EPmS9_PS6_SA_NS0_19identity_decomposerEEE10hipError_tT1_T2_T3_T4_jRjT5_jjP12ihipStream_tbEUlT_E_NS1_11comp_targetILNS1_3genE10ELNS1_11target_archE1200ELNS1_3gpuE4ELNS1_3repE0EEENS1_44radix_sort_block_sort_config_static_selectorELNS0_4arch9wavefront6targetE1EEEvSD_.kd
    .uniform_work_group_size: 1
    .uses_dynamic_stack: false
    .vgpr_count:     0
    .vgpr_spill_count: 0
    .wavefront_size: 64
  - .agpr_count:     0
    .args:
      - .offset:         0
        .size:           48
        .value_kind:     by_value
    .group_segment_fixed_size: 0
    .kernarg_segment_align: 8
    .kernarg_segment_size: 48
    .language:       OpenCL C
    .language_version:
      - 2
      - 0
    .max_flat_workgroup_size: 256
    .name:           _ZN7rocprim17ROCPRIM_400000_NS6detail17trampoline_kernelINS0_13kernel_configILj256ELj4ELj4294967295EEENS1_37radix_sort_block_sort_config_selectorImNS0_10empty_typeEEEZNS1_21radix_sort_block_sortIS4_Lb0EPmS9_PS6_SA_NS0_19identity_decomposerEEE10hipError_tT1_T2_T3_T4_jRjT5_jjP12ihipStream_tbEUlT_E_NS1_11comp_targetILNS1_3genE9ELNS1_11target_archE1100ELNS1_3gpuE3ELNS1_3repE0EEENS1_44radix_sort_block_sort_config_static_selectorELNS0_4arch9wavefront6targetE1EEEvSD_
    .private_segment_fixed_size: 0
    .sgpr_count:     4
    .sgpr_spill_count: 0
    .symbol:         _ZN7rocprim17ROCPRIM_400000_NS6detail17trampoline_kernelINS0_13kernel_configILj256ELj4ELj4294967295EEENS1_37radix_sort_block_sort_config_selectorImNS0_10empty_typeEEEZNS1_21radix_sort_block_sortIS4_Lb0EPmS9_PS6_SA_NS0_19identity_decomposerEEE10hipError_tT1_T2_T3_T4_jRjT5_jjP12ihipStream_tbEUlT_E_NS1_11comp_targetILNS1_3genE9ELNS1_11target_archE1100ELNS1_3gpuE3ELNS1_3repE0EEENS1_44radix_sort_block_sort_config_static_selectorELNS0_4arch9wavefront6targetE1EEEvSD_.kd
    .uniform_work_group_size: 1
    .uses_dynamic_stack: false
    .vgpr_count:     0
    .vgpr_spill_count: 0
    .wavefront_size: 64
  - .agpr_count:     0
    .args:
      - .offset:         0
        .size:           48
        .value_kind:     by_value
    .group_segment_fixed_size: 0
    .kernarg_segment_align: 8
    .kernarg_segment_size: 48
    .language:       OpenCL C
    .language_version:
      - 2
      - 0
    .max_flat_workgroup_size: 256
    .name:           _ZN7rocprim17ROCPRIM_400000_NS6detail17trampoline_kernelINS0_13kernel_configILj256ELj4ELj4294967295EEENS1_37radix_sort_block_sort_config_selectorImNS0_10empty_typeEEEZNS1_21radix_sort_block_sortIS4_Lb0EPmS9_PS6_SA_NS0_19identity_decomposerEEE10hipError_tT1_T2_T3_T4_jRjT5_jjP12ihipStream_tbEUlT_E_NS1_11comp_targetILNS1_3genE8ELNS1_11target_archE1030ELNS1_3gpuE2ELNS1_3repE0EEENS1_44radix_sort_block_sort_config_static_selectorELNS0_4arch9wavefront6targetE1EEEvSD_
    .private_segment_fixed_size: 0
    .sgpr_count:     4
    .sgpr_spill_count: 0
    .symbol:         _ZN7rocprim17ROCPRIM_400000_NS6detail17trampoline_kernelINS0_13kernel_configILj256ELj4ELj4294967295EEENS1_37radix_sort_block_sort_config_selectorImNS0_10empty_typeEEEZNS1_21radix_sort_block_sortIS4_Lb0EPmS9_PS6_SA_NS0_19identity_decomposerEEE10hipError_tT1_T2_T3_T4_jRjT5_jjP12ihipStream_tbEUlT_E_NS1_11comp_targetILNS1_3genE8ELNS1_11target_archE1030ELNS1_3gpuE2ELNS1_3repE0EEENS1_44radix_sort_block_sort_config_static_selectorELNS0_4arch9wavefront6targetE1EEEvSD_.kd
    .uniform_work_group_size: 1
    .uses_dynamic_stack: false
    .vgpr_count:     0
    .vgpr_spill_count: 0
    .wavefront_size: 64
  - .agpr_count:     0
    .args:           []
    .group_segment_fixed_size: 0
    .kernarg_segment_align: 4
    .kernarg_segment_size: 0
    .language:       OpenCL C
    .language_version:
      - 2
      - 0
    .max_flat_workgroup_size: 1024
    .name:           _ZN7rocprim17ROCPRIM_400000_NS6detail44device_merge_sort_compile_time_verifier_archINS1_11comp_targetILNS1_3genE0ELNS1_11target_archE4294967295ELNS1_3gpuE0ELNS1_3repE0EEES8_NS1_28merge_sort_block_sort_configILj256ELj4ELNS0_20block_sort_algorithmE0EEENS0_14default_configENS1_37merge_sort_block_sort_config_selectorImNS0_10empty_typeEEENS1_38merge_sort_block_merge_config_selectorImSE_EEEEvv
    .private_segment_fixed_size: 0
    .sgpr_count:     4
    .sgpr_spill_count: 0
    .symbol:         _ZN7rocprim17ROCPRIM_400000_NS6detail44device_merge_sort_compile_time_verifier_archINS1_11comp_targetILNS1_3genE0ELNS1_11target_archE4294967295ELNS1_3gpuE0ELNS1_3repE0EEES8_NS1_28merge_sort_block_sort_configILj256ELj4ELNS0_20block_sort_algorithmE0EEENS0_14default_configENS1_37merge_sort_block_sort_config_selectorImNS0_10empty_typeEEENS1_38merge_sort_block_merge_config_selectorImSE_EEEEvv.kd
    .uniform_work_group_size: 1
    .uses_dynamic_stack: false
    .vgpr_count:     0
    .vgpr_spill_count: 0
    .wavefront_size: 64
  - .agpr_count:     0
    .args:           []
    .group_segment_fixed_size: 0
    .kernarg_segment_align: 4
    .kernarg_segment_size: 0
    .language:       OpenCL C
    .language_version:
      - 2
      - 0
    .max_flat_workgroup_size: 1024
    .name:           _ZN7rocprim17ROCPRIM_400000_NS6detail44device_merge_sort_compile_time_verifier_archINS1_11comp_targetILNS1_3genE5ELNS1_11target_archE942ELNS1_3gpuE9ELNS1_3repE0EEES8_NS1_28merge_sort_block_sort_configILj256ELj4ELNS0_20block_sort_algorithmE0EEENS0_14default_configENS1_37merge_sort_block_sort_config_selectorImNS0_10empty_typeEEENS1_38merge_sort_block_merge_config_selectorImSE_EEEEvv
    .private_segment_fixed_size: 0
    .sgpr_count:     4
    .sgpr_spill_count: 0
    .symbol:         _ZN7rocprim17ROCPRIM_400000_NS6detail44device_merge_sort_compile_time_verifier_archINS1_11comp_targetILNS1_3genE5ELNS1_11target_archE942ELNS1_3gpuE9ELNS1_3repE0EEES8_NS1_28merge_sort_block_sort_configILj256ELj4ELNS0_20block_sort_algorithmE0EEENS0_14default_configENS1_37merge_sort_block_sort_config_selectorImNS0_10empty_typeEEENS1_38merge_sort_block_merge_config_selectorImSE_EEEEvv.kd
    .uniform_work_group_size: 1
    .uses_dynamic_stack: false
    .vgpr_count:     0
    .vgpr_spill_count: 0
    .wavefront_size: 64
  - .agpr_count:     0
    .args:           []
    .group_segment_fixed_size: 0
    .kernarg_segment_align: 4
    .kernarg_segment_size: 0
    .language:       OpenCL C
    .language_version:
      - 2
      - 0
    .max_flat_workgroup_size: 1024
    .name:           _ZN7rocprim17ROCPRIM_400000_NS6detail44device_merge_sort_compile_time_verifier_archINS1_11comp_targetILNS1_3genE4ELNS1_11target_archE910ELNS1_3gpuE8ELNS1_3repE0EEES8_NS1_28merge_sort_block_sort_configILj256ELj4ELNS0_20block_sort_algorithmE0EEENS0_14default_configENS1_37merge_sort_block_sort_config_selectorImNS0_10empty_typeEEENS1_38merge_sort_block_merge_config_selectorImSE_EEEEvv
    .private_segment_fixed_size: 0
    .sgpr_count:     4
    .sgpr_spill_count: 0
    .symbol:         _ZN7rocprim17ROCPRIM_400000_NS6detail44device_merge_sort_compile_time_verifier_archINS1_11comp_targetILNS1_3genE4ELNS1_11target_archE910ELNS1_3gpuE8ELNS1_3repE0EEES8_NS1_28merge_sort_block_sort_configILj256ELj4ELNS0_20block_sort_algorithmE0EEENS0_14default_configENS1_37merge_sort_block_sort_config_selectorImNS0_10empty_typeEEENS1_38merge_sort_block_merge_config_selectorImSE_EEEEvv.kd
    .uniform_work_group_size: 1
    .uses_dynamic_stack: false
    .vgpr_count:     0
    .vgpr_spill_count: 0
    .wavefront_size: 64
  - .agpr_count:     0
    .args:           []
    .group_segment_fixed_size: 0
    .kernarg_segment_align: 4
    .kernarg_segment_size: 0
    .language:       OpenCL C
    .language_version:
      - 2
      - 0
    .max_flat_workgroup_size: 1024
    .name:           _ZN7rocprim17ROCPRIM_400000_NS6detail44device_merge_sort_compile_time_verifier_archINS1_11comp_targetILNS1_3genE3ELNS1_11target_archE908ELNS1_3gpuE7ELNS1_3repE0EEES8_NS1_28merge_sort_block_sort_configILj256ELj4ELNS0_20block_sort_algorithmE0EEENS0_14default_configENS1_37merge_sort_block_sort_config_selectorImNS0_10empty_typeEEENS1_38merge_sort_block_merge_config_selectorImSE_EEEEvv
    .private_segment_fixed_size: 0
    .sgpr_count:     4
    .sgpr_spill_count: 0
    .symbol:         _ZN7rocprim17ROCPRIM_400000_NS6detail44device_merge_sort_compile_time_verifier_archINS1_11comp_targetILNS1_3genE3ELNS1_11target_archE908ELNS1_3gpuE7ELNS1_3repE0EEES8_NS1_28merge_sort_block_sort_configILj256ELj4ELNS0_20block_sort_algorithmE0EEENS0_14default_configENS1_37merge_sort_block_sort_config_selectorImNS0_10empty_typeEEENS1_38merge_sort_block_merge_config_selectorImSE_EEEEvv.kd
    .uniform_work_group_size: 1
    .uses_dynamic_stack: false
    .vgpr_count:     0
    .vgpr_spill_count: 0
    .wavefront_size: 64
  - .agpr_count:     0
    .args:           []
    .group_segment_fixed_size: 0
    .kernarg_segment_align: 4
    .kernarg_segment_size: 0
    .language:       OpenCL C
    .language_version:
      - 2
      - 0
    .max_flat_workgroup_size: 1024
    .name:           _ZN7rocprim17ROCPRIM_400000_NS6detail44device_merge_sort_compile_time_verifier_archINS1_11comp_targetILNS1_3genE2ELNS1_11target_archE906ELNS1_3gpuE6ELNS1_3repE0EEES8_NS1_28merge_sort_block_sort_configILj256ELj4ELNS0_20block_sort_algorithmE0EEENS0_14default_configENS1_37merge_sort_block_sort_config_selectorImNS0_10empty_typeEEENS1_38merge_sort_block_merge_config_selectorImSE_EEEEvv
    .private_segment_fixed_size: 0
    .sgpr_count:     4
    .sgpr_spill_count: 0
    .symbol:         _ZN7rocprim17ROCPRIM_400000_NS6detail44device_merge_sort_compile_time_verifier_archINS1_11comp_targetILNS1_3genE2ELNS1_11target_archE906ELNS1_3gpuE6ELNS1_3repE0EEES8_NS1_28merge_sort_block_sort_configILj256ELj4ELNS0_20block_sort_algorithmE0EEENS0_14default_configENS1_37merge_sort_block_sort_config_selectorImNS0_10empty_typeEEENS1_38merge_sort_block_merge_config_selectorImSE_EEEEvv.kd
    .uniform_work_group_size: 1
    .uses_dynamic_stack: false
    .vgpr_count:     0
    .vgpr_spill_count: 0
    .wavefront_size: 64
  - .agpr_count:     0
    .args:           []
    .group_segment_fixed_size: 0
    .kernarg_segment_align: 4
    .kernarg_segment_size: 0
    .language:       OpenCL C
    .language_version:
      - 2
      - 0
    .max_flat_workgroup_size: 1024
    .name:           _ZN7rocprim17ROCPRIM_400000_NS6detail44device_merge_sort_compile_time_verifier_archINS1_11comp_targetILNS1_3genE10ELNS1_11target_archE1201ELNS1_3gpuE5ELNS1_3repE0EEES8_NS1_28merge_sort_block_sort_configILj256ELj4ELNS0_20block_sort_algorithmE0EEENS0_14default_configENS1_37merge_sort_block_sort_config_selectorImNS0_10empty_typeEEENS1_38merge_sort_block_merge_config_selectorImSE_EEEEvv
    .private_segment_fixed_size: 0
    .sgpr_count:     4
    .sgpr_spill_count: 0
    .symbol:         _ZN7rocprim17ROCPRIM_400000_NS6detail44device_merge_sort_compile_time_verifier_archINS1_11comp_targetILNS1_3genE10ELNS1_11target_archE1201ELNS1_3gpuE5ELNS1_3repE0EEES8_NS1_28merge_sort_block_sort_configILj256ELj4ELNS0_20block_sort_algorithmE0EEENS0_14default_configENS1_37merge_sort_block_sort_config_selectorImNS0_10empty_typeEEENS1_38merge_sort_block_merge_config_selectorImSE_EEEEvv.kd
    .uniform_work_group_size: 1
    .uses_dynamic_stack: false
    .vgpr_count:     0
    .vgpr_spill_count: 0
    .wavefront_size: 64
  - .agpr_count:     0
    .args:           []
    .group_segment_fixed_size: 0
    .kernarg_segment_align: 4
    .kernarg_segment_size: 0
    .language:       OpenCL C
    .language_version:
      - 2
      - 0
    .max_flat_workgroup_size: 1024
    .name:           _ZN7rocprim17ROCPRIM_400000_NS6detail44device_merge_sort_compile_time_verifier_archINS1_11comp_targetILNS1_3genE10ELNS1_11target_archE1200ELNS1_3gpuE4ELNS1_3repE0EEENS3_ILS4_10ELS5_1201ELS6_5ELS7_0EEENS1_28merge_sort_block_sort_configILj256ELj4ELNS0_20block_sort_algorithmE0EEENS0_14default_configENS1_37merge_sort_block_sort_config_selectorImNS0_10empty_typeEEENS1_38merge_sort_block_merge_config_selectorImSF_EEEEvv
    .private_segment_fixed_size: 0
    .sgpr_count:     4
    .sgpr_spill_count: 0
    .symbol:         _ZN7rocprim17ROCPRIM_400000_NS6detail44device_merge_sort_compile_time_verifier_archINS1_11comp_targetILNS1_3genE10ELNS1_11target_archE1200ELNS1_3gpuE4ELNS1_3repE0EEENS3_ILS4_10ELS5_1201ELS6_5ELS7_0EEENS1_28merge_sort_block_sort_configILj256ELj4ELNS0_20block_sort_algorithmE0EEENS0_14default_configENS1_37merge_sort_block_sort_config_selectorImNS0_10empty_typeEEENS1_38merge_sort_block_merge_config_selectorImSF_EEEEvv.kd
    .uniform_work_group_size: 1
    .uses_dynamic_stack: false
    .vgpr_count:     0
    .vgpr_spill_count: 0
    .wavefront_size: 64
  - .agpr_count:     0
    .args:           []
    .group_segment_fixed_size: 0
    .kernarg_segment_align: 4
    .kernarg_segment_size: 0
    .language:       OpenCL C
    .language_version:
      - 2
      - 0
    .max_flat_workgroup_size: 1024
    .name:           _ZN7rocprim17ROCPRIM_400000_NS6detail44device_merge_sort_compile_time_verifier_archINS1_11comp_targetILNS1_3genE9ELNS1_11target_archE1100ELNS1_3gpuE3ELNS1_3repE0EEES8_NS1_28merge_sort_block_sort_configILj256ELj4ELNS0_20block_sort_algorithmE0EEENS0_14default_configENS1_37merge_sort_block_sort_config_selectorImNS0_10empty_typeEEENS1_38merge_sort_block_merge_config_selectorImSE_EEEEvv
    .private_segment_fixed_size: 0
    .sgpr_count:     4
    .sgpr_spill_count: 0
    .symbol:         _ZN7rocprim17ROCPRIM_400000_NS6detail44device_merge_sort_compile_time_verifier_archINS1_11comp_targetILNS1_3genE9ELNS1_11target_archE1100ELNS1_3gpuE3ELNS1_3repE0EEES8_NS1_28merge_sort_block_sort_configILj256ELj4ELNS0_20block_sort_algorithmE0EEENS0_14default_configENS1_37merge_sort_block_sort_config_selectorImNS0_10empty_typeEEENS1_38merge_sort_block_merge_config_selectorImSE_EEEEvv.kd
    .uniform_work_group_size: 1
    .uses_dynamic_stack: false
    .vgpr_count:     0
    .vgpr_spill_count: 0
    .wavefront_size: 64
  - .agpr_count:     0
    .args:           []
    .group_segment_fixed_size: 0
    .kernarg_segment_align: 4
    .kernarg_segment_size: 0
    .language:       OpenCL C
    .language_version:
      - 2
      - 0
    .max_flat_workgroup_size: 1024
    .name:           _ZN7rocprim17ROCPRIM_400000_NS6detail44device_merge_sort_compile_time_verifier_archINS1_11comp_targetILNS1_3genE8ELNS1_11target_archE1030ELNS1_3gpuE2ELNS1_3repE0EEES8_NS1_28merge_sort_block_sort_configILj256ELj4ELNS0_20block_sort_algorithmE0EEENS0_14default_configENS1_37merge_sort_block_sort_config_selectorImNS0_10empty_typeEEENS1_38merge_sort_block_merge_config_selectorImSE_EEEEvv
    .private_segment_fixed_size: 0
    .sgpr_count:     4
    .sgpr_spill_count: 0
    .symbol:         _ZN7rocprim17ROCPRIM_400000_NS6detail44device_merge_sort_compile_time_verifier_archINS1_11comp_targetILNS1_3genE8ELNS1_11target_archE1030ELNS1_3gpuE2ELNS1_3repE0EEES8_NS1_28merge_sort_block_sort_configILj256ELj4ELNS0_20block_sort_algorithmE0EEENS0_14default_configENS1_37merge_sort_block_sort_config_selectorImNS0_10empty_typeEEENS1_38merge_sort_block_merge_config_selectorImSE_EEEEvv.kd
    .uniform_work_group_size: 1
    .uses_dynamic_stack: false
    .vgpr_count:     0
    .vgpr_spill_count: 0
    .wavefront_size: 64
  - .agpr_count:     0
    .args:
      - .offset:         0
        .size:           40
        .value_kind:     by_value
    .group_segment_fixed_size: 0
    .kernarg_segment_align: 8
    .kernarg_segment_size: 40
    .language:       OpenCL C
    .language_version:
      - 2
      - 0
    .max_flat_workgroup_size: 128
    .name:           _ZN7rocprim17ROCPRIM_400000_NS6detail17trampoline_kernelINS0_14default_configENS1_38merge_sort_block_merge_config_selectorImNS0_10empty_typeEEEZZNS1_27merge_sort_block_merge_implIS3_PmPS5_jNS1_19radix_merge_compareILb0ELb0EmNS0_19identity_decomposerEEEEE10hipError_tT0_T1_T2_jT3_P12ihipStream_tbPNSt15iterator_traitsISE_E10value_typeEPNSK_ISF_E10value_typeEPSG_NS1_7vsmem_tEENKUlT_SE_SF_SG_E_clIS8_S8_S9_S9_EESD_ST_SE_SF_SG_EUlST_E_NS1_11comp_targetILNS1_3genE0ELNS1_11target_archE4294967295ELNS1_3gpuE0ELNS1_3repE0EEENS1_48merge_mergepath_partition_config_static_selectorELNS0_4arch9wavefront6targetE1EEEvSF_
    .private_segment_fixed_size: 0
    .sgpr_count:     4
    .sgpr_spill_count: 0
    .symbol:         _ZN7rocprim17ROCPRIM_400000_NS6detail17trampoline_kernelINS0_14default_configENS1_38merge_sort_block_merge_config_selectorImNS0_10empty_typeEEEZZNS1_27merge_sort_block_merge_implIS3_PmPS5_jNS1_19radix_merge_compareILb0ELb0EmNS0_19identity_decomposerEEEEE10hipError_tT0_T1_T2_jT3_P12ihipStream_tbPNSt15iterator_traitsISE_E10value_typeEPNSK_ISF_E10value_typeEPSG_NS1_7vsmem_tEENKUlT_SE_SF_SG_E_clIS8_S8_S9_S9_EESD_ST_SE_SF_SG_EUlST_E_NS1_11comp_targetILNS1_3genE0ELNS1_11target_archE4294967295ELNS1_3gpuE0ELNS1_3repE0EEENS1_48merge_mergepath_partition_config_static_selectorELNS0_4arch9wavefront6targetE1EEEvSF_.kd
    .uniform_work_group_size: 1
    .uses_dynamic_stack: false
    .vgpr_count:     0
    .vgpr_spill_count: 0
    .wavefront_size: 64
  - .agpr_count:     0
    .args:
      - .offset:         0
        .size:           40
        .value_kind:     by_value
    .group_segment_fixed_size: 0
    .kernarg_segment_align: 8
    .kernarg_segment_size: 40
    .language:       OpenCL C
    .language_version:
      - 2
      - 0
    .max_flat_workgroup_size: 128
    .name:           _ZN7rocprim17ROCPRIM_400000_NS6detail17trampoline_kernelINS0_14default_configENS1_38merge_sort_block_merge_config_selectorImNS0_10empty_typeEEEZZNS1_27merge_sort_block_merge_implIS3_PmPS5_jNS1_19radix_merge_compareILb0ELb0EmNS0_19identity_decomposerEEEEE10hipError_tT0_T1_T2_jT3_P12ihipStream_tbPNSt15iterator_traitsISE_E10value_typeEPNSK_ISF_E10value_typeEPSG_NS1_7vsmem_tEENKUlT_SE_SF_SG_E_clIS8_S8_S9_S9_EESD_ST_SE_SF_SG_EUlST_E_NS1_11comp_targetILNS1_3genE10ELNS1_11target_archE1201ELNS1_3gpuE5ELNS1_3repE0EEENS1_48merge_mergepath_partition_config_static_selectorELNS0_4arch9wavefront6targetE1EEEvSF_
    .private_segment_fixed_size: 0
    .sgpr_count:     4
    .sgpr_spill_count: 0
    .symbol:         _ZN7rocprim17ROCPRIM_400000_NS6detail17trampoline_kernelINS0_14default_configENS1_38merge_sort_block_merge_config_selectorImNS0_10empty_typeEEEZZNS1_27merge_sort_block_merge_implIS3_PmPS5_jNS1_19radix_merge_compareILb0ELb0EmNS0_19identity_decomposerEEEEE10hipError_tT0_T1_T2_jT3_P12ihipStream_tbPNSt15iterator_traitsISE_E10value_typeEPNSK_ISF_E10value_typeEPSG_NS1_7vsmem_tEENKUlT_SE_SF_SG_E_clIS8_S8_S9_S9_EESD_ST_SE_SF_SG_EUlST_E_NS1_11comp_targetILNS1_3genE10ELNS1_11target_archE1201ELNS1_3gpuE5ELNS1_3repE0EEENS1_48merge_mergepath_partition_config_static_selectorELNS0_4arch9wavefront6targetE1EEEvSF_.kd
    .uniform_work_group_size: 1
    .uses_dynamic_stack: false
    .vgpr_count:     0
    .vgpr_spill_count: 0
    .wavefront_size: 64
  - .agpr_count:     0
    .args:
      - .offset:         0
        .size:           40
        .value_kind:     by_value
    .group_segment_fixed_size: 0
    .kernarg_segment_align: 8
    .kernarg_segment_size: 40
    .language:       OpenCL C
    .language_version:
      - 2
      - 0
    .max_flat_workgroup_size: 128
    .name:           _ZN7rocprim17ROCPRIM_400000_NS6detail17trampoline_kernelINS0_14default_configENS1_38merge_sort_block_merge_config_selectorImNS0_10empty_typeEEEZZNS1_27merge_sort_block_merge_implIS3_PmPS5_jNS1_19radix_merge_compareILb0ELb0EmNS0_19identity_decomposerEEEEE10hipError_tT0_T1_T2_jT3_P12ihipStream_tbPNSt15iterator_traitsISE_E10value_typeEPNSK_ISF_E10value_typeEPSG_NS1_7vsmem_tEENKUlT_SE_SF_SG_E_clIS8_S8_S9_S9_EESD_ST_SE_SF_SG_EUlST_E_NS1_11comp_targetILNS1_3genE5ELNS1_11target_archE942ELNS1_3gpuE9ELNS1_3repE0EEENS1_48merge_mergepath_partition_config_static_selectorELNS0_4arch9wavefront6targetE1EEEvSF_
    .private_segment_fixed_size: 0
    .sgpr_count:     4
    .sgpr_spill_count: 0
    .symbol:         _ZN7rocprim17ROCPRIM_400000_NS6detail17trampoline_kernelINS0_14default_configENS1_38merge_sort_block_merge_config_selectorImNS0_10empty_typeEEEZZNS1_27merge_sort_block_merge_implIS3_PmPS5_jNS1_19radix_merge_compareILb0ELb0EmNS0_19identity_decomposerEEEEE10hipError_tT0_T1_T2_jT3_P12ihipStream_tbPNSt15iterator_traitsISE_E10value_typeEPNSK_ISF_E10value_typeEPSG_NS1_7vsmem_tEENKUlT_SE_SF_SG_E_clIS8_S8_S9_S9_EESD_ST_SE_SF_SG_EUlST_E_NS1_11comp_targetILNS1_3genE5ELNS1_11target_archE942ELNS1_3gpuE9ELNS1_3repE0EEENS1_48merge_mergepath_partition_config_static_selectorELNS0_4arch9wavefront6targetE1EEEvSF_.kd
    .uniform_work_group_size: 1
    .uses_dynamic_stack: false
    .vgpr_count:     0
    .vgpr_spill_count: 0
    .wavefront_size: 64
  - .agpr_count:     0
    .args:
      - .offset:         0
        .size:           40
        .value_kind:     by_value
    .group_segment_fixed_size: 0
    .kernarg_segment_align: 8
    .kernarg_segment_size: 40
    .language:       OpenCL C
    .language_version:
      - 2
      - 0
    .max_flat_workgroup_size: 128
    .name:           _ZN7rocprim17ROCPRIM_400000_NS6detail17trampoline_kernelINS0_14default_configENS1_38merge_sort_block_merge_config_selectorImNS0_10empty_typeEEEZZNS1_27merge_sort_block_merge_implIS3_PmPS5_jNS1_19radix_merge_compareILb0ELb0EmNS0_19identity_decomposerEEEEE10hipError_tT0_T1_T2_jT3_P12ihipStream_tbPNSt15iterator_traitsISE_E10value_typeEPNSK_ISF_E10value_typeEPSG_NS1_7vsmem_tEENKUlT_SE_SF_SG_E_clIS8_S8_S9_S9_EESD_ST_SE_SF_SG_EUlST_E_NS1_11comp_targetILNS1_3genE4ELNS1_11target_archE910ELNS1_3gpuE8ELNS1_3repE0EEENS1_48merge_mergepath_partition_config_static_selectorELNS0_4arch9wavefront6targetE1EEEvSF_
    .private_segment_fixed_size: 0
    .sgpr_count:     12
    .sgpr_spill_count: 0
    .symbol:         _ZN7rocprim17ROCPRIM_400000_NS6detail17trampoline_kernelINS0_14default_configENS1_38merge_sort_block_merge_config_selectorImNS0_10empty_typeEEEZZNS1_27merge_sort_block_merge_implIS3_PmPS5_jNS1_19radix_merge_compareILb0ELb0EmNS0_19identity_decomposerEEEEE10hipError_tT0_T1_T2_jT3_P12ihipStream_tbPNSt15iterator_traitsISE_E10value_typeEPNSK_ISF_E10value_typeEPSG_NS1_7vsmem_tEENKUlT_SE_SF_SG_E_clIS8_S8_S9_S9_EESD_ST_SE_SF_SG_EUlST_E_NS1_11comp_targetILNS1_3genE4ELNS1_11target_archE910ELNS1_3gpuE8ELNS1_3repE0EEENS1_48merge_mergepath_partition_config_static_selectorELNS0_4arch9wavefront6targetE1EEEvSF_.kd
    .uniform_work_group_size: 1
    .uses_dynamic_stack: false
    .vgpr_count:     20
    .vgpr_spill_count: 0
    .wavefront_size: 64
  - .agpr_count:     0
    .args:
      - .offset:         0
        .size:           40
        .value_kind:     by_value
    .group_segment_fixed_size: 0
    .kernarg_segment_align: 8
    .kernarg_segment_size: 40
    .language:       OpenCL C
    .language_version:
      - 2
      - 0
    .max_flat_workgroup_size: 128
    .name:           _ZN7rocprim17ROCPRIM_400000_NS6detail17trampoline_kernelINS0_14default_configENS1_38merge_sort_block_merge_config_selectorImNS0_10empty_typeEEEZZNS1_27merge_sort_block_merge_implIS3_PmPS5_jNS1_19radix_merge_compareILb0ELb0EmNS0_19identity_decomposerEEEEE10hipError_tT0_T1_T2_jT3_P12ihipStream_tbPNSt15iterator_traitsISE_E10value_typeEPNSK_ISF_E10value_typeEPSG_NS1_7vsmem_tEENKUlT_SE_SF_SG_E_clIS8_S8_S9_S9_EESD_ST_SE_SF_SG_EUlST_E_NS1_11comp_targetILNS1_3genE3ELNS1_11target_archE908ELNS1_3gpuE7ELNS1_3repE0EEENS1_48merge_mergepath_partition_config_static_selectorELNS0_4arch9wavefront6targetE1EEEvSF_
    .private_segment_fixed_size: 0
    .sgpr_count:     4
    .sgpr_spill_count: 0
    .symbol:         _ZN7rocprim17ROCPRIM_400000_NS6detail17trampoline_kernelINS0_14default_configENS1_38merge_sort_block_merge_config_selectorImNS0_10empty_typeEEEZZNS1_27merge_sort_block_merge_implIS3_PmPS5_jNS1_19radix_merge_compareILb0ELb0EmNS0_19identity_decomposerEEEEE10hipError_tT0_T1_T2_jT3_P12ihipStream_tbPNSt15iterator_traitsISE_E10value_typeEPNSK_ISF_E10value_typeEPSG_NS1_7vsmem_tEENKUlT_SE_SF_SG_E_clIS8_S8_S9_S9_EESD_ST_SE_SF_SG_EUlST_E_NS1_11comp_targetILNS1_3genE3ELNS1_11target_archE908ELNS1_3gpuE7ELNS1_3repE0EEENS1_48merge_mergepath_partition_config_static_selectorELNS0_4arch9wavefront6targetE1EEEvSF_.kd
    .uniform_work_group_size: 1
    .uses_dynamic_stack: false
    .vgpr_count:     0
    .vgpr_spill_count: 0
    .wavefront_size: 64
  - .agpr_count:     0
    .args:
      - .offset:         0
        .size:           40
        .value_kind:     by_value
    .group_segment_fixed_size: 0
    .kernarg_segment_align: 8
    .kernarg_segment_size: 40
    .language:       OpenCL C
    .language_version:
      - 2
      - 0
    .max_flat_workgroup_size: 128
    .name:           _ZN7rocprim17ROCPRIM_400000_NS6detail17trampoline_kernelINS0_14default_configENS1_38merge_sort_block_merge_config_selectorImNS0_10empty_typeEEEZZNS1_27merge_sort_block_merge_implIS3_PmPS5_jNS1_19radix_merge_compareILb0ELb0EmNS0_19identity_decomposerEEEEE10hipError_tT0_T1_T2_jT3_P12ihipStream_tbPNSt15iterator_traitsISE_E10value_typeEPNSK_ISF_E10value_typeEPSG_NS1_7vsmem_tEENKUlT_SE_SF_SG_E_clIS8_S8_S9_S9_EESD_ST_SE_SF_SG_EUlST_E_NS1_11comp_targetILNS1_3genE2ELNS1_11target_archE906ELNS1_3gpuE6ELNS1_3repE0EEENS1_48merge_mergepath_partition_config_static_selectorELNS0_4arch9wavefront6targetE1EEEvSF_
    .private_segment_fixed_size: 0
    .sgpr_count:     4
    .sgpr_spill_count: 0
    .symbol:         _ZN7rocprim17ROCPRIM_400000_NS6detail17trampoline_kernelINS0_14default_configENS1_38merge_sort_block_merge_config_selectorImNS0_10empty_typeEEEZZNS1_27merge_sort_block_merge_implIS3_PmPS5_jNS1_19radix_merge_compareILb0ELb0EmNS0_19identity_decomposerEEEEE10hipError_tT0_T1_T2_jT3_P12ihipStream_tbPNSt15iterator_traitsISE_E10value_typeEPNSK_ISF_E10value_typeEPSG_NS1_7vsmem_tEENKUlT_SE_SF_SG_E_clIS8_S8_S9_S9_EESD_ST_SE_SF_SG_EUlST_E_NS1_11comp_targetILNS1_3genE2ELNS1_11target_archE906ELNS1_3gpuE6ELNS1_3repE0EEENS1_48merge_mergepath_partition_config_static_selectorELNS0_4arch9wavefront6targetE1EEEvSF_.kd
    .uniform_work_group_size: 1
    .uses_dynamic_stack: false
    .vgpr_count:     0
    .vgpr_spill_count: 0
    .wavefront_size: 64
  - .agpr_count:     0
    .args:
      - .offset:         0
        .size:           40
        .value_kind:     by_value
    .group_segment_fixed_size: 0
    .kernarg_segment_align: 8
    .kernarg_segment_size: 40
    .language:       OpenCL C
    .language_version:
      - 2
      - 0
    .max_flat_workgroup_size: 128
    .name:           _ZN7rocprim17ROCPRIM_400000_NS6detail17trampoline_kernelINS0_14default_configENS1_38merge_sort_block_merge_config_selectorImNS0_10empty_typeEEEZZNS1_27merge_sort_block_merge_implIS3_PmPS5_jNS1_19radix_merge_compareILb0ELb0EmNS0_19identity_decomposerEEEEE10hipError_tT0_T1_T2_jT3_P12ihipStream_tbPNSt15iterator_traitsISE_E10value_typeEPNSK_ISF_E10value_typeEPSG_NS1_7vsmem_tEENKUlT_SE_SF_SG_E_clIS8_S8_S9_S9_EESD_ST_SE_SF_SG_EUlST_E_NS1_11comp_targetILNS1_3genE9ELNS1_11target_archE1100ELNS1_3gpuE3ELNS1_3repE0EEENS1_48merge_mergepath_partition_config_static_selectorELNS0_4arch9wavefront6targetE1EEEvSF_
    .private_segment_fixed_size: 0
    .sgpr_count:     4
    .sgpr_spill_count: 0
    .symbol:         _ZN7rocprim17ROCPRIM_400000_NS6detail17trampoline_kernelINS0_14default_configENS1_38merge_sort_block_merge_config_selectorImNS0_10empty_typeEEEZZNS1_27merge_sort_block_merge_implIS3_PmPS5_jNS1_19radix_merge_compareILb0ELb0EmNS0_19identity_decomposerEEEEE10hipError_tT0_T1_T2_jT3_P12ihipStream_tbPNSt15iterator_traitsISE_E10value_typeEPNSK_ISF_E10value_typeEPSG_NS1_7vsmem_tEENKUlT_SE_SF_SG_E_clIS8_S8_S9_S9_EESD_ST_SE_SF_SG_EUlST_E_NS1_11comp_targetILNS1_3genE9ELNS1_11target_archE1100ELNS1_3gpuE3ELNS1_3repE0EEENS1_48merge_mergepath_partition_config_static_selectorELNS0_4arch9wavefront6targetE1EEEvSF_.kd
    .uniform_work_group_size: 1
    .uses_dynamic_stack: false
    .vgpr_count:     0
    .vgpr_spill_count: 0
    .wavefront_size: 64
  - .agpr_count:     0
    .args:
      - .offset:         0
        .size:           40
        .value_kind:     by_value
    .group_segment_fixed_size: 0
    .kernarg_segment_align: 8
    .kernarg_segment_size: 40
    .language:       OpenCL C
    .language_version:
      - 2
      - 0
    .max_flat_workgroup_size: 128
    .name:           _ZN7rocprim17ROCPRIM_400000_NS6detail17trampoline_kernelINS0_14default_configENS1_38merge_sort_block_merge_config_selectorImNS0_10empty_typeEEEZZNS1_27merge_sort_block_merge_implIS3_PmPS5_jNS1_19radix_merge_compareILb0ELb0EmNS0_19identity_decomposerEEEEE10hipError_tT0_T1_T2_jT3_P12ihipStream_tbPNSt15iterator_traitsISE_E10value_typeEPNSK_ISF_E10value_typeEPSG_NS1_7vsmem_tEENKUlT_SE_SF_SG_E_clIS8_S8_S9_S9_EESD_ST_SE_SF_SG_EUlST_E_NS1_11comp_targetILNS1_3genE8ELNS1_11target_archE1030ELNS1_3gpuE2ELNS1_3repE0EEENS1_48merge_mergepath_partition_config_static_selectorELNS0_4arch9wavefront6targetE1EEEvSF_
    .private_segment_fixed_size: 0
    .sgpr_count:     4
    .sgpr_spill_count: 0
    .symbol:         _ZN7rocprim17ROCPRIM_400000_NS6detail17trampoline_kernelINS0_14default_configENS1_38merge_sort_block_merge_config_selectorImNS0_10empty_typeEEEZZNS1_27merge_sort_block_merge_implIS3_PmPS5_jNS1_19radix_merge_compareILb0ELb0EmNS0_19identity_decomposerEEEEE10hipError_tT0_T1_T2_jT3_P12ihipStream_tbPNSt15iterator_traitsISE_E10value_typeEPNSK_ISF_E10value_typeEPSG_NS1_7vsmem_tEENKUlT_SE_SF_SG_E_clIS8_S8_S9_S9_EESD_ST_SE_SF_SG_EUlST_E_NS1_11comp_targetILNS1_3genE8ELNS1_11target_archE1030ELNS1_3gpuE2ELNS1_3repE0EEENS1_48merge_mergepath_partition_config_static_selectorELNS0_4arch9wavefront6targetE1EEEvSF_.kd
    .uniform_work_group_size: 1
    .uses_dynamic_stack: false
    .vgpr_count:     0
    .vgpr_spill_count: 0
    .wavefront_size: 64
  - .agpr_count:     0
    .args:
      - .offset:         0
        .size:           64
        .value_kind:     by_value
    .group_segment_fixed_size: 0
    .kernarg_segment_align: 8
    .kernarg_segment_size: 64
    .language:       OpenCL C
    .language_version:
      - 2
      - 0
    .max_flat_workgroup_size: 128
    .name:           _ZN7rocprim17ROCPRIM_400000_NS6detail17trampoline_kernelINS0_14default_configENS1_38merge_sort_block_merge_config_selectorImNS0_10empty_typeEEEZZNS1_27merge_sort_block_merge_implIS3_PmPS5_jNS1_19radix_merge_compareILb0ELb0EmNS0_19identity_decomposerEEEEE10hipError_tT0_T1_T2_jT3_P12ihipStream_tbPNSt15iterator_traitsISE_E10value_typeEPNSK_ISF_E10value_typeEPSG_NS1_7vsmem_tEENKUlT_SE_SF_SG_E_clIS8_S8_S9_S9_EESD_ST_SE_SF_SG_EUlST_E0_NS1_11comp_targetILNS1_3genE0ELNS1_11target_archE4294967295ELNS1_3gpuE0ELNS1_3repE0EEENS1_38merge_mergepath_config_static_selectorELNS0_4arch9wavefront6targetE1EEEvSF_
    .private_segment_fixed_size: 0
    .sgpr_count:     4
    .sgpr_spill_count: 0
    .symbol:         _ZN7rocprim17ROCPRIM_400000_NS6detail17trampoline_kernelINS0_14default_configENS1_38merge_sort_block_merge_config_selectorImNS0_10empty_typeEEEZZNS1_27merge_sort_block_merge_implIS3_PmPS5_jNS1_19radix_merge_compareILb0ELb0EmNS0_19identity_decomposerEEEEE10hipError_tT0_T1_T2_jT3_P12ihipStream_tbPNSt15iterator_traitsISE_E10value_typeEPNSK_ISF_E10value_typeEPSG_NS1_7vsmem_tEENKUlT_SE_SF_SG_E_clIS8_S8_S9_S9_EESD_ST_SE_SF_SG_EUlST_E0_NS1_11comp_targetILNS1_3genE0ELNS1_11target_archE4294967295ELNS1_3gpuE0ELNS1_3repE0EEENS1_38merge_mergepath_config_static_selectorELNS0_4arch9wavefront6targetE1EEEvSF_.kd
    .uniform_work_group_size: 1
    .uses_dynamic_stack: false
    .vgpr_count:     0
    .vgpr_spill_count: 0
    .wavefront_size: 64
  - .agpr_count:     0
    .args:
      - .offset:         0
        .size:           64
        .value_kind:     by_value
    .group_segment_fixed_size: 0
    .kernarg_segment_align: 8
    .kernarg_segment_size: 64
    .language:       OpenCL C
    .language_version:
      - 2
      - 0
    .max_flat_workgroup_size: 512
    .name:           _ZN7rocprim17ROCPRIM_400000_NS6detail17trampoline_kernelINS0_14default_configENS1_38merge_sort_block_merge_config_selectorImNS0_10empty_typeEEEZZNS1_27merge_sort_block_merge_implIS3_PmPS5_jNS1_19radix_merge_compareILb0ELb0EmNS0_19identity_decomposerEEEEE10hipError_tT0_T1_T2_jT3_P12ihipStream_tbPNSt15iterator_traitsISE_E10value_typeEPNSK_ISF_E10value_typeEPSG_NS1_7vsmem_tEENKUlT_SE_SF_SG_E_clIS8_S8_S9_S9_EESD_ST_SE_SF_SG_EUlST_E0_NS1_11comp_targetILNS1_3genE10ELNS1_11target_archE1201ELNS1_3gpuE5ELNS1_3repE0EEENS1_38merge_mergepath_config_static_selectorELNS0_4arch9wavefront6targetE1EEEvSF_
    .private_segment_fixed_size: 0
    .sgpr_count:     4
    .sgpr_spill_count: 0
    .symbol:         _ZN7rocprim17ROCPRIM_400000_NS6detail17trampoline_kernelINS0_14default_configENS1_38merge_sort_block_merge_config_selectorImNS0_10empty_typeEEEZZNS1_27merge_sort_block_merge_implIS3_PmPS5_jNS1_19radix_merge_compareILb0ELb0EmNS0_19identity_decomposerEEEEE10hipError_tT0_T1_T2_jT3_P12ihipStream_tbPNSt15iterator_traitsISE_E10value_typeEPNSK_ISF_E10value_typeEPSG_NS1_7vsmem_tEENKUlT_SE_SF_SG_E_clIS8_S8_S9_S9_EESD_ST_SE_SF_SG_EUlST_E0_NS1_11comp_targetILNS1_3genE10ELNS1_11target_archE1201ELNS1_3gpuE5ELNS1_3repE0EEENS1_38merge_mergepath_config_static_selectorELNS0_4arch9wavefront6targetE1EEEvSF_.kd
    .uniform_work_group_size: 1
    .uses_dynamic_stack: false
    .vgpr_count:     0
    .vgpr_spill_count: 0
    .wavefront_size: 64
  - .agpr_count:     0
    .args:
      - .offset:         0
        .size:           64
        .value_kind:     by_value
    .group_segment_fixed_size: 0
    .kernarg_segment_align: 8
    .kernarg_segment_size: 64
    .language:       OpenCL C
    .language_version:
      - 2
      - 0
    .max_flat_workgroup_size: 128
    .name:           _ZN7rocprim17ROCPRIM_400000_NS6detail17trampoline_kernelINS0_14default_configENS1_38merge_sort_block_merge_config_selectorImNS0_10empty_typeEEEZZNS1_27merge_sort_block_merge_implIS3_PmPS5_jNS1_19radix_merge_compareILb0ELb0EmNS0_19identity_decomposerEEEEE10hipError_tT0_T1_T2_jT3_P12ihipStream_tbPNSt15iterator_traitsISE_E10value_typeEPNSK_ISF_E10value_typeEPSG_NS1_7vsmem_tEENKUlT_SE_SF_SG_E_clIS8_S8_S9_S9_EESD_ST_SE_SF_SG_EUlST_E0_NS1_11comp_targetILNS1_3genE5ELNS1_11target_archE942ELNS1_3gpuE9ELNS1_3repE0EEENS1_38merge_mergepath_config_static_selectorELNS0_4arch9wavefront6targetE1EEEvSF_
    .private_segment_fixed_size: 0
    .sgpr_count:     4
    .sgpr_spill_count: 0
    .symbol:         _ZN7rocprim17ROCPRIM_400000_NS6detail17trampoline_kernelINS0_14default_configENS1_38merge_sort_block_merge_config_selectorImNS0_10empty_typeEEEZZNS1_27merge_sort_block_merge_implIS3_PmPS5_jNS1_19radix_merge_compareILb0ELb0EmNS0_19identity_decomposerEEEEE10hipError_tT0_T1_T2_jT3_P12ihipStream_tbPNSt15iterator_traitsISE_E10value_typeEPNSK_ISF_E10value_typeEPSG_NS1_7vsmem_tEENKUlT_SE_SF_SG_E_clIS8_S8_S9_S9_EESD_ST_SE_SF_SG_EUlST_E0_NS1_11comp_targetILNS1_3genE5ELNS1_11target_archE942ELNS1_3gpuE9ELNS1_3repE0EEENS1_38merge_mergepath_config_static_selectorELNS0_4arch9wavefront6targetE1EEEvSF_.kd
    .uniform_work_group_size: 1
    .uses_dynamic_stack: false
    .vgpr_count:     0
    .vgpr_spill_count: 0
    .wavefront_size: 64
  - .agpr_count:     0
    .args:
      - .offset:         0
        .size:           64
        .value_kind:     by_value
      - .offset:         64
        .size:           4
        .value_kind:     hidden_block_count_x
      - .offset:         68
        .size:           4
        .value_kind:     hidden_block_count_y
      - .offset:         72
        .size:           4
        .value_kind:     hidden_block_count_z
      - .offset:         76
        .size:           2
        .value_kind:     hidden_group_size_x
      - .offset:         78
        .size:           2
        .value_kind:     hidden_group_size_y
      - .offset:         80
        .size:           2
        .value_kind:     hidden_group_size_z
      - .offset:         82
        .size:           2
        .value_kind:     hidden_remainder_x
      - .offset:         84
        .size:           2
        .value_kind:     hidden_remainder_y
      - .offset:         86
        .size:           2
        .value_kind:     hidden_remainder_z
      - .offset:         104
        .size:           8
        .value_kind:     hidden_global_offset_x
      - .offset:         112
        .size:           8
        .value_kind:     hidden_global_offset_y
      - .offset:         120
        .size:           8
        .value_kind:     hidden_global_offset_z
      - .offset:         128
        .size:           2
        .value_kind:     hidden_grid_dims
    .group_segment_fixed_size: 8448
    .kernarg_segment_align: 8
    .kernarg_segment_size: 320
    .language:       OpenCL C
    .language_version:
      - 2
      - 0
    .max_flat_workgroup_size: 256
    .name:           _ZN7rocprim17ROCPRIM_400000_NS6detail17trampoline_kernelINS0_14default_configENS1_38merge_sort_block_merge_config_selectorImNS0_10empty_typeEEEZZNS1_27merge_sort_block_merge_implIS3_PmPS5_jNS1_19radix_merge_compareILb0ELb0EmNS0_19identity_decomposerEEEEE10hipError_tT0_T1_T2_jT3_P12ihipStream_tbPNSt15iterator_traitsISE_E10value_typeEPNSK_ISF_E10value_typeEPSG_NS1_7vsmem_tEENKUlT_SE_SF_SG_E_clIS8_S8_S9_S9_EESD_ST_SE_SF_SG_EUlST_E0_NS1_11comp_targetILNS1_3genE4ELNS1_11target_archE910ELNS1_3gpuE8ELNS1_3repE0EEENS1_38merge_mergepath_config_static_selectorELNS0_4arch9wavefront6targetE1EEEvSF_
    .private_segment_fixed_size: 0
    .sgpr_count:     27
    .sgpr_spill_count: 0
    .symbol:         _ZN7rocprim17ROCPRIM_400000_NS6detail17trampoline_kernelINS0_14default_configENS1_38merge_sort_block_merge_config_selectorImNS0_10empty_typeEEEZZNS1_27merge_sort_block_merge_implIS3_PmPS5_jNS1_19radix_merge_compareILb0ELb0EmNS0_19identity_decomposerEEEEE10hipError_tT0_T1_T2_jT3_P12ihipStream_tbPNSt15iterator_traitsISE_E10value_typeEPNSK_ISF_E10value_typeEPSG_NS1_7vsmem_tEENKUlT_SE_SF_SG_E_clIS8_S8_S9_S9_EESD_ST_SE_SF_SG_EUlST_E0_NS1_11comp_targetILNS1_3genE4ELNS1_11target_archE910ELNS1_3gpuE8ELNS1_3repE0EEENS1_38merge_mergepath_config_static_selectorELNS0_4arch9wavefront6targetE1EEEvSF_.kd
    .uniform_work_group_size: 1
    .uses_dynamic_stack: false
    .vgpr_count:     21
    .vgpr_spill_count: 0
    .wavefront_size: 64
  - .agpr_count:     0
    .args:
      - .offset:         0
        .size:           64
        .value_kind:     by_value
    .group_segment_fixed_size: 0
    .kernarg_segment_align: 8
    .kernarg_segment_size: 64
    .language:       OpenCL C
    .language_version:
      - 2
      - 0
    .max_flat_workgroup_size: 128
    .name:           _ZN7rocprim17ROCPRIM_400000_NS6detail17trampoline_kernelINS0_14default_configENS1_38merge_sort_block_merge_config_selectorImNS0_10empty_typeEEEZZNS1_27merge_sort_block_merge_implIS3_PmPS5_jNS1_19radix_merge_compareILb0ELb0EmNS0_19identity_decomposerEEEEE10hipError_tT0_T1_T2_jT3_P12ihipStream_tbPNSt15iterator_traitsISE_E10value_typeEPNSK_ISF_E10value_typeEPSG_NS1_7vsmem_tEENKUlT_SE_SF_SG_E_clIS8_S8_S9_S9_EESD_ST_SE_SF_SG_EUlST_E0_NS1_11comp_targetILNS1_3genE3ELNS1_11target_archE908ELNS1_3gpuE7ELNS1_3repE0EEENS1_38merge_mergepath_config_static_selectorELNS0_4arch9wavefront6targetE1EEEvSF_
    .private_segment_fixed_size: 0
    .sgpr_count:     4
    .sgpr_spill_count: 0
    .symbol:         _ZN7rocprim17ROCPRIM_400000_NS6detail17trampoline_kernelINS0_14default_configENS1_38merge_sort_block_merge_config_selectorImNS0_10empty_typeEEEZZNS1_27merge_sort_block_merge_implIS3_PmPS5_jNS1_19radix_merge_compareILb0ELb0EmNS0_19identity_decomposerEEEEE10hipError_tT0_T1_T2_jT3_P12ihipStream_tbPNSt15iterator_traitsISE_E10value_typeEPNSK_ISF_E10value_typeEPSG_NS1_7vsmem_tEENKUlT_SE_SF_SG_E_clIS8_S8_S9_S9_EESD_ST_SE_SF_SG_EUlST_E0_NS1_11comp_targetILNS1_3genE3ELNS1_11target_archE908ELNS1_3gpuE7ELNS1_3repE0EEENS1_38merge_mergepath_config_static_selectorELNS0_4arch9wavefront6targetE1EEEvSF_.kd
    .uniform_work_group_size: 1
    .uses_dynamic_stack: false
    .vgpr_count:     0
    .vgpr_spill_count: 0
    .wavefront_size: 64
  - .agpr_count:     0
    .args:
      - .offset:         0
        .size:           64
        .value_kind:     by_value
    .group_segment_fixed_size: 0
    .kernarg_segment_align: 8
    .kernarg_segment_size: 64
    .language:       OpenCL C
    .language_version:
      - 2
      - 0
    .max_flat_workgroup_size: 256
    .name:           _ZN7rocprim17ROCPRIM_400000_NS6detail17trampoline_kernelINS0_14default_configENS1_38merge_sort_block_merge_config_selectorImNS0_10empty_typeEEEZZNS1_27merge_sort_block_merge_implIS3_PmPS5_jNS1_19radix_merge_compareILb0ELb0EmNS0_19identity_decomposerEEEEE10hipError_tT0_T1_T2_jT3_P12ihipStream_tbPNSt15iterator_traitsISE_E10value_typeEPNSK_ISF_E10value_typeEPSG_NS1_7vsmem_tEENKUlT_SE_SF_SG_E_clIS8_S8_S9_S9_EESD_ST_SE_SF_SG_EUlST_E0_NS1_11comp_targetILNS1_3genE2ELNS1_11target_archE906ELNS1_3gpuE6ELNS1_3repE0EEENS1_38merge_mergepath_config_static_selectorELNS0_4arch9wavefront6targetE1EEEvSF_
    .private_segment_fixed_size: 0
    .sgpr_count:     4
    .sgpr_spill_count: 0
    .symbol:         _ZN7rocprim17ROCPRIM_400000_NS6detail17trampoline_kernelINS0_14default_configENS1_38merge_sort_block_merge_config_selectorImNS0_10empty_typeEEEZZNS1_27merge_sort_block_merge_implIS3_PmPS5_jNS1_19radix_merge_compareILb0ELb0EmNS0_19identity_decomposerEEEEE10hipError_tT0_T1_T2_jT3_P12ihipStream_tbPNSt15iterator_traitsISE_E10value_typeEPNSK_ISF_E10value_typeEPSG_NS1_7vsmem_tEENKUlT_SE_SF_SG_E_clIS8_S8_S9_S9_EESD_ST_SE_SF_SG_EUlST_E0_NS1_11comp_targetILNS1_3genE2ELNS1_11target_archE906ELNS1_3gpuE6ELNS1_3repE0EEENS1_38merge_mergepath_config_static_selectorELNS0_4arch9wavefront6targetE1EEEvSF_.kd
    .uniform_work_group_size: 1
    .uses_dynamic_stack: false
    .vgpr_count:     0
    .vgpr_spill_count: 0
    .wavefront_size: 64
  - .agpr_count:     0
    .args:
      - .offset:         0
        .size:           64
        .value_kind:     by_value
    .group_segment_fixed_size: 0
    .kernarg_segment_align: 8
    .kernarg_segment_size: 64
    .language:       OpenCL C
    .language_version:
      - 2
      - 0
    .max_flat_workgroup_size: 512
    .name:           _ZN7rocprim17ROCPRIM_400000_NS6detail17trampoline_kernelINS0_14default_configENS1_38merge_sort_block_merge_config_selectorImNS0_10empty_typeEEEZZNS1_27merge_sort_block_merge_implIS3_PmPS5_jNS1_19radix_merge_compareILb0ELb0EmNS0_19identity_decomposerEEEEE10hipError_tT0_T1_T2_jT3_P12ihipStream_tbPNSt15iterator_traitsISE_E10value_typeEPNSK_ISF_E10value_typeEPSG_NS1_7vsmem_tEENKUlT_SE_SF_SG_E_clIS8_S8_S9_S9_EESD_ST_SE_SF_SG_EUlST_E0_NS1_11comp_targetILNS1_3genE9ELNS1_11target_archE1100ELNS1_3gpuE3ELNS1_3repE0EEENS1_38merge_mergepath_config_static_selectorELNS0_4arch9wavefront6targetE1EEEvSF_
    .private_segment_fixed_size: 0
    .sgpr_count:     4
    .sgpr_spill_count: 0
    .symbol:         _ZN7rocprim17ROCPRIM_400000_NS6detail17trampoline_kernelINS0_14default_configENS1_38merge_sort_block_merge_config_selectorImNS0_10empty_typeEEEZZNS1_27merge_sort_block_merge_implIS3_PmPS5_jNS1_19radix_merge_compareILb0ELb0EmNS0_19identity_decomposerEEEEE10hipError_tT0_T1_T2_jT3_P12ihipStream_tbPNSt15iterator_traitsISE_E10value_typeEPNSK_ISF_E10value_typeEPSG_NS1_7vsmem_tEENKUlT_SE_SF_SG_E_clIS8_S8_S9_S9_EESD_ST_SE_SF_SG_EUlST_E0_NS1_11comp_targetILNS1_3genE9ELNS1_11target_archE1100ELNS1_3gpuE3ELNS1_3repE0EEENS1_38merge_mergepath_config_static_selectorELNS0_4arch9wavefront6targetE1EEEvSF_.kd
    .uniform_work_group_size: 1
    .uses_dynamic_stack: false
    .vgpr_count:     0
    .vgpr_spill_count: 0
    .wavefront_size: 64
  - .agpr_count:     0
    .args:
      - .offset:         0
        .size:           64
        .value_kind:     by_value
    .group_segment_fixed_size: 0
    .kernarg_segment_align: 8
    .kernarg_segment_size: 64
    .language:       OpenCL C
    .language_version:
      - 2
      - 0
    .max_flat_workgroup_size: 1024
    .name:           _ZN7rocprim17ROCPRIM_400000_NS6detail17trampoline_kernelINS0_14default_configENS1_38merge_sort_block_merge_config_selectorImNS0_10empty_typeEEEZZNS1_27merge_sort_block_merge_implIS3_PmPS5_jNS1_19radix_merge_compareILb0ELb0EmNS0_19identity_decomposerEEEEE10hipError_tT0_T1_T2_jT3_P12ihipStream_tbPNSt15iterator_traitsISE_E10value_typeEPNSK_ISF_E10value_typeEPSG_NS1_7vsmem_tEENKUlT_SE_SF_SG_E_clIS8_S8_S9_S9_EESD_ST_SE_SF_SG_EUlST_E0_NS1_11comp_targetILNS1_3genE8ELNS1_11target_archE1030ELNS1_3gpuE2ELNS1_3repE0EEENS1_38merge_mergepath_config_static_selectorELNS0_4arch9wavefront6targetE1EEEvSF_
    .private_segment_fixed_size: 0
    .sgpr_count:     4
    .sgpr_spill_count: 0
    .symbol:         _ZN7rocprim17ROCPRIM_400000_NS6detail17trampoline_kernelINS0_14default_configENS1_38merge_sort_block_merge_config_selectorImNS0_10empty_typeEEEZZNS1_27merge_sort_block_merge_implIS3_PmPS5_jNS1_19radix_merge_compareILb0ELb0EmNS0_19identity_decomposerEEEEE10hipError_tT0_T1_T2_jT3_P12ihipStream_tbPNSt15iterator_traitsISE_E10value_typeEPNSK_ISF_E10value_typeEPSG_NS1_7vsmem_tEENKUlT_SE_SF_SG_E_clIS8_S8_S9_S9_EESD_ST_SE_SF_SG_EUlST_E0_NS1_11comp_targetILNS1_3genE8ELNS1_11target_archE1030ELNS1_3gpuE2ELNS1_3repE0EEENS1_38merge_mergepath_config_static_selectorELNS0_4arch9wavefront6targetE1EEEvSF_.kd
    .uniform_work_group_size: 1
    .uses_dynamic_stack: false
    .vgpr_count:     0
    .vgpr_spill_count: 0
    .wavefront_size: 64
  - .agpr_count:     0
    .args:
      - .offset:         0
        .size:           48
        .value_kind:     by_value
    .group_segment_fixed_size: 0
    .kernarg_segment_align: 8
    .kernarg_segment_size: 48
    .language:       OpenCL C
    .language_version:
      - 2
      - 0
    .max_flat_workgroup_size: 256
    .name:           _ZN7rocprim17ROCPRIM_400000_NS6detail17trampoline_kernelINS0_14default_configENS1_38merge_sort_block_merge_config_selectorImNS0_10empty_typeEEEZZNS1_27merge_sort_block_merge_implIS3_PmPS5_jNS1_19radix_merge_compareILb0ELb0EmNS0_19identity_decomposerEEEEE10hipError_tT0_T1_T2_jT3_P12ihipStream_tbPNSt15iterator_traitsISE_E10value_typeEPNSK_ISF_E10value_typeEPSG_NS1_7vsmem_tEENKUlT_SE_SF_SG_E_clIS8_S8_S9_S9_EESD_ST_SE_SF_SG_EUlST_E1_NS1_11comp_targetILNS1_3genE0ELNS1_11target_archE4294967295ELNS1_3gpuE0ELNS1_3repE0EEENS1_36merge_oddeven_config_static_selectorELNS0_4arch9wavefront6targetE1EEEvSF_
    .private_segment_fixed_size: 0
    .sgpr_count:     4
    .sgpr_spill_count: 0
    .symbol:         _ZN7rocprim17ROCPRIM_400000_NS6detail17trampoline_kernelINS0_14default_configENS1_38merge_sort_block_merge_config_selectorImNS0_10empty_typeEEEZZNS1_27merge_sort_block_merge_implIS3_PmPS5_jNS1_19radix_merge_compareILb0ELb0EmNS0_19identity_decomposerEEEEE10hipError_tT0_T1_T2_jT3_P12ihipStream_tbPNSt15iterator_traitsISE_E10value_typeEPNSK_ISF_E10value_typeEPSG_NS1_7vsmem_tEENKUlT_SE_SF_SG_E_clIS8_S8_S9_S9_EESD_ST_SE_SF_SG_EUlST_E1_NS1_11comp_targetILNS1_3genE0ELNS1_11target_archE4294967295ELNS1_3gpuE0ELNS1_3repE0EEENS1_36merge_oddeven_config_static_selectorELNS0_4arch9wavefront6targetE1EEEvSF_.kd
    .uniform_work_group_size: 1
    .uses_dynamic_stack: false
    .vgpr_count:     0
    .vgpr_spill_count: 0
    .wavefront_size: 64
  - .agpr_count:     0
    .args:
      - .offset:         0
        .size:           48
        .value_kind:     by_value
    .group_segment_fixed_size: 0
    .kernarg_segment_align: 8
    .kernarg_segment_size: 48
    .language:       OpenCL C
    .language_version:
      - 2
      - 0
    .max_flat_workgroup_size: 256
    .name:           _ZN7rocprim17ROCPRIM_400000_NS6detail17trampoline_kernelINS0_14default_configENS1_38merge_sort_block_merge_config_selectorImNS0_10empty_typeEEEZZNS1_27merge_sort_block_merge_implIS3_PmPS5_jNS1_19radix_merge_compareILb0ELb0EmNS0_19identity_decomposerEEEEE10hipError_tT0_T1_T2_jT3_P12ihipStream_tbPNSt15iterator_traitsISE_E10value_typeEPNSK_ISF_E10value_typeEPSG_NS1_7vsmem_tEENKUlT_SE_SF_SG_E_clIS8_S8_S9_S9_EESD_ST_SE_SF_SG_EUlST_E1_NS1_11comp_targetILNS1_3genE10ELNS1_11target_archE1201ELNS1_3gpuE5ELNS1_3repE0EEENS1_36merge_oddeven_config_static_selectorELNS0_4arch9wavefront6targetE1EEEvSF_
    .private_segment_fixed_size: 0
    .sgpr_count:     4
    .sgpr_spill_count: 0
    .symbol:         _ZN7rocprim17ROCPRIM_400000_NS6detail17trampoline_kernelINS0_14default_configENS1_38merge_sort_block_merge_config_selectorImNS0_10empty_typeEEEZZNS1_27merge_sort_block_merge_implIS3_PmPS5_jNS1_19radix_merge_compareILb0ELb0EmNS0_19identity_decomposerEEEEE10hipError_tT0_T1_T2_jT3_P12ihipStream_tbPNSt15iterator_traitsISE_E10value_typeEPNSK_ISF_E10value_typeEPSG_NS1_7vsmem_tEENKUlT_SE_SF_SG_E_clIS8_S8_S9_S9_EESD_ST_SE_SF_SG_EUlST_E1_NS1_11comp_targetILNS1_3genE10ELNS1_11target_archE1201ELNS1_3gpuE5ELNS1_3repE0EEENS1_36merge_oddeven_config_static_selectorELNS0_4arch9wavefront6targetE1EEEvSF_.kd
    .uniform_work_group_size: 1
    .uses_dynamic_stack: false
    .vgpr_count:     0
    .vgpr_spill_count: 0
    .wavefront_size: 64
  - .agpr_count:     0
    .args:
      - .offset:         0
        .size:           48
        .value_kind:     by_value
    .group_segment_fixed_size: 0
    .kernarg_segment_align: 8
    .kernarg_segment_size: 48
    .language:       OpenCL C
    .language_version:
      - 2
      - 0
    .max_flat_workgroup_size: 256
    .name:           _ZN7rocprim17ROCPRIM_400000_NS6detail17trampoline_kernelINS0_14default_configENS1_38merge_sort_block_merge_config_selectorImNS0_10empty_typeEEEZZNS1_27merge_sort_block_merge_implIS3_PmPS5_jNS1_19radix_merge_compareILb0ELb0EmNS0_19identity_decomposerEEEEE10hipError_tT0_T1_T2_jT3_P12ihipStream_tbPNSt15iterator_traitsISE_E10value_typeEPNSK_ISF_E10value_typeEPSG_NS1_7vsmem_tEENKUlT_SE_SF_SG_E_clIS8_S8_S9_S9_EESD_ST_SE_SF_SG_EUlST_E1_NS1_11comp_targetILNS1_3genE5ELNS1_11target_archE942ELNS1_3gpuE9ELNS1_3repE0EEENS1_36merge_oddeven_config_static_selectorELNS0_4arch9wavefront6targetE1EEEvSF_
    .private_segment_fixed_size: 0
    .sgpr_count:     4
    .sgpr_spill_count: 0
    .symbol:         _ZN7rocprim17ROCPRIM_400000_NS6detail17trampoline_kernelINS0_14default_configENS1_38merge_sort_block_merge_config_selectorImNS0_10empty_typeEEEZZNS1_27merge_sort_block_merge_implIS3_PmPS5_jNS1_19radix_merge_compareILb0ELb0EmNS0_19identity_decomposerEEEEE10hipError_tT0_T1_T2_jT3_P12ihipStream_tbPNSt15iterator_traitsISE_E10value_typeEPNSK_ISF_E10value_typeEPSG_NS1_7vsmem_tEENKUlT_SE_SF_SG_E_clIS8_S8_S9_S9_EESD_ST_SE_SF_SG_EUlST_E1_NS1_11comp_targetILNS1_3genE5ELNS1_11target_archE942ELNS1_3gpuE9ELNS1_3repE0EEENS1_36merge_oddeven_config_static_selectorELNS0_4arch9wavefront6targetE1EEEvSF_.kd
    .uniform_work_group_size: 1
    .uses_dynamic_stack: false
    .vgpr_count:     0
    .vgpr_spill_count: 0
    .wavefront_size: 64
  - .agpr_count:     0
    .args:
      - .offset:         0
        .size:           48
        .value_kind:     by_value
    .group_segment_fixed_size: 0
    .kernarg_segment_align: 8
    .kernarg_segment_size: 48
    .language:       OpenCL C
    .language_version:
      - 2
      - 0
    .max_flat_workgroup_size: 256
    .name:           _ZN7rocprim17ROCPRIM_400000_NS6detail17trampoline_kernelINS0_14default_configENS1_38merge_sort_block_merge_config_selectorImNS0_10empty_typeEEEZZNS1_27merge_sort_block_merge_implIS3_PmPS5_jNS1_19radix_merge_compareILb0ELb0EmNS0_19identity_decomposerEEEEE10hipError_tT0_T1_T2_jT3_P12ihipStream_tbPNSt15iterator_traitsISE_E10value_typeEPNSK_ISF_E10value_typeEPSG_NS1_7vsmem_tEENKUlT_SE_SF_SG_E_clIS8_S8_S9_S9_EESD_ST_SE_SF_SG_EUlST_E1_NS1_11comp_targetILNS1_3genE4ELNS1_11target_archE910ELNS1_3gpuE8ELNS1_3repE0EEENS1_36merge_oddeven_config_static_selectorELNS0_4arch9wavefront6targetE1EEEvSF_
    .private_segment_fixed_size: 0
    .sgpr_count:     25
    .sgpr_spill_count: 0
    .symbol:         _ZN7rocprim17ROCPRIM_400000_NS6detail17trampoline_kernelINS0_14default_configENS1_38merge_sort_block_merge_config_selectorImNS0_10empty_typeEEEZZNS1_27merge_sort_block_merge_implIS3_PmPS5_jNS1_19radix_merge_compareILb0ELb0EmNS0_19identity_decomposerEEEEE10hipError_tT0_T1_T2_jT3_P12ihipStream_tbPNSt15iterator_traitsISE_E10value_typeEPNSK_ISF_E10value_typeEPSG_NS1_7vsmem_tEENKUlT_SE_SF_SG_E_clIS8_S8_S9_S9_EESD_ST_SE_SF_SG_EUlST_E1_NS1_11comp_targetILNS1_3genE4ELNS1_11target_archE910ELNS1_3gpuE8ELNS1_3repE0EEENS1_36merge_oddeven_config_static_selectorELNS0_4arch9wavefront6targetE1EEEvSF_.kd
    .uniform_work_group_size: 1
    .uses_dynamic_stack: false
    .vgpr_count:     12
    .vgpr_spill_count: 0
    .wavefront_size: 64
  - .agpr_count:     0
    .args:
      - .offset:         0
        .size:           48
        .value_kind:     by_value
    .group_segment_fixed_size: 0
    .kernarg_segment_align: 8
    .kernarg_segment_size: 48
    .language:       OpenCL C
    .language_version:
      - 2
      - 0
    .max_flat_workgroup_size: 256
    .name:           _ZN7rocprim17ROCPRIM_400000_NS6detail17trampoline_kernelINS0_14default_configENS1_38merge_sort_block_merge_config_selectorImNS0_10empty_typeEEEZZNS1_27merge_sort_block_merge_implIS3_PmPS5_jNS1_19radix_merge_compareILb0ELb0EmNS0_19identity_decomposerEEEEE10hipError_tT0_T1_T2_jT3_P12ihipStream_tbPNSt15iterator_traitsISE_E10value_typeEPNSK_ISF_E10value_typeEPSG_NS1_7vsmem_tEENKUlT_SE_SF_SG_E_clIS8_S8_S9_S9_EESD_ST_SE_SF_SG_EUlST_E1_NS1_11comp_targetILNS1_3genE3ELNS1_11target_archE908ELNS1_3gpuE7ELNS1_3repE0EEENS1_36merge_oddeven_config_static_selectorELNS0_4arch9wavefront6targetE1EEEvSF_
    .private_segment_fixed_size: 0
    .sgpr_count:     4
    .sgpr_spill_count: 0
    .symbol:         _ZN7rocprim17ROCPRIM_400000_NS6detail17trampoline_kernelINS0_14default_configENS1_38merge_sort_block_merge_config_selectorImNS0_10empty_typeEEEZZNS1_27merge_sort_block_merge_implIS3_PmPS5_jNS1_19radix_merge_compareILb0ELb0EmNS0_19identity_decomposerEEEEE10hipError_tT0_T1_T2_jT3_P12ihipStream_tbPNSt15iterator_traitsISE_E10value_typeEPNSK_ISF_E10value_typeEPSG_NS1_7vsmem_tEENKUlT_SE_SF_SG_E_clIS8_S8_S9_S9_EESD_ST_SE_SF_SG_EUlST_E1_NS1_11comp_targetILNS1_3genE3ELNS1_11target_archE908ELNS1_3gpuE7ELNS1_3repE0EEENS1_36merge_oddeven_config_static_selectorELNS0_4arch9wavefront6targetE1EEEvSF_.kd
    .uniform_work_group_size: 1
    .uses_dynamic_stack: false
    .vgpr_count:     0
    .vgpr_spill_count: 0
    .wavefront_size: 64
  - .agpr_count:     0
    .args:
      - .offset:         0
        .size:           48
        .value_kind:     by_value
    .group_segment_fixed_size: 0
    .kernarg_segment_align: 8
    .kernarg_segment_size: 48
    .language:       OpenCL C
    .language_version:
      - 2
      - 0
    .max_flat_workgroup_size: 256
    .name:           _ZN7rocprim17ROCPRIM_400000_NS6detail17trampoline_kernelINS0_14default_configENS1_38merge_sort_block_merge_config_selectorImNS0_10empty_typeEEEZZNS1_27merge_sort_block_merge_implIS3_PmPS5_jNS1_19radix_merge_compareILb0ELb0EmNS0_19identity_decomposerEEEEE10hipError_tT0_T1_T2_jT3_P12ihipStream_tbPNSt15iterator_traitsISE_E10value_typeEPNSK_ISF_E10value_typeEPSG_NS1_7vsmem_tEENKUlT_SE_SF_SG_E_clIS8_S8_S9_S9_EESD_ST_SE_SF_SG_EUlST_E1_NS1_11comp_targetILNS1_3genE2ELNS1_11target_archE906ELNS1_3gpuE6ELNS1_3repE0EEENS1_36merge_oddeven_config_static_selectorELNS0_4arch9wavefront6targetE1EEEvSF_
    .private_segment_fixed_size: 0
    .sgpr_count:     4
    .sgpr_spill_count: 0
    .symbol:         _ZN7rocprim17ROCPRIM_400000_NS6detail17trampoline_kernelINS0_14default_configENS1_38merge_sort_block_merge_config_selectorImNS0_10empty_typeEEEZZNS1_27merge_sort_block_merge_implIS3_PmPS5_jNS1_19radix_merge_compareILb0ELb0EmNS0_19identity_decomposerEEEEE10hipError_tT0_T1_T2_jT3_P12ihipStream_tbPNSt15iterator_traitsISE_E10value_typeEPNSK_ISF_E10value_typeEPSG_NS1_7vsmem_tEENKUlT_SE_SF_SG_E_clIS8_S8_S9_S9_EESD_ST_SE_SF_SG_EUlST_E1_NS1_11comp_targetILNS1_3genE2ELNS1_11target_archE906ELNS1_3gpuE6ELNS1_3repE0EEENS1_36merge_oddeven_config_static_selectorELNS0_4arch9wavefront6targetE1EEEvSF_.kd
    .uniform_work_group_size: 1
    .uses_dynamic_stack: false
    .vgpr_count:     0
    .vgpr_spill_count: 0
    .wavefront_size: 64
  - .agpr_count:     0
    .args:
      - .offset:         0
        .size:           48
        .value_kind:     by_value
    .group_segment_fixed_size: 0
    .kernarg_segment_align: 8
    .kernarg_segment_size: 48
    .language:       OpenCL C
    .language_version:
      - 2
      - 0
    .max_flat_workgroup_size: 256
    .name:           _ZN7rocprim17ROCPRIM_400000_NS6detail17trampoline_kernelINS0_14default_configENS1_38merge_sort_block_merge_config_selectorImNS0_10empty_typeEEEZZNS1_27merge_sort_block_merge_implIS3_PmPS5_jNS1_19radix_merge_compareILb0ELb0EmNS0_19identity_decomposerEEEEE10hipError_tT0_T1_T2_jT3_P12ihipStream_tbPNSt15iterator_traitsISE_E10value_typeEPNSK_ISF_E10value_typeEPSG_NS1_7vsmem_tEENKUlT_SE_SF_SG_E_clIS8_S8_S9_S9_EESD_ST_SE_SF_SG_EUlST_E1_NS1_11comp_targetILNS1_3genE9ELNS1_11target_archE1100ELNS1_3gpuE3ELNS1_3repE0EEENS1_36merge_oddeven_config_static_selectorELNS0_4arch9wavefront6targetE1EEEvSF_
    .private_segment_fixed_size: 0
    .sgpr_count:     4
    .sgpr_spill_count: 0
    .symbol:         _ZN7rocprim17ROCPRIM_400000_NS6detail17trampoline_kernelINS0_14default_configENS1_38merge_sort_block_merge_config_selectorImNS0_10empty_typeEEEZZNS1_27merge_sort_block_merge_implIS3_PmPS5_jNS1_19radix_merge_compareILb0ELb0EmNS0_19identity_decomposerEEEEE10hipError_tT0_T1_T2_jT3_P12ihipStream_tbPNSt15iterator_traitsISE_E10value_typeEPNSK_ISF_E10value_typeEPSG_NS1_7vsmem_tEENKUlT_SE_SF_SG_E_clIS8_S8_S9_S9_EESD_ST_SE_SF_SG_EUlST_E1_NS1_11comp_targetILNS1_3genE9ELNS1_11target_archE1100ELNS1_3gpuE3ELNS1_3repE0EEENS1_36merge_oddeven_config_static_selectorELNS0_4arch9wavefront6targetE1EEEvSF_.kd
    .uniform_work_group_size: 1
    .uses_dynamic_stack: false
    .vgpr_count:     0
    .vgpr_spill_count: 0
    .wavefront_size: 64
  - .agpr_count:     0
    .args:
      - .offset:         0
        .size:           48
        .value_kind:     by_value
    .group_segment_fixed_size: 0
    .kernarg_segment_align: 8
    .kernarg_segment_size: 48
    .language:       OpenCL C
    .language_version:
      - 2
      - 0
    .max_flat_workgroup_size: 256
    .name:           _ZN7rocprim17ROCPRIM_400000_NS6detail17trampoline_kernelINS0_14default_configENS1_38merge_sort_block_merge_config_selectorImNS0_10empty_typeEEEZZNS1_27merge_sort_block_merge_implIS3_PmPS5_jNS1_19radix_merge_compareILb0ELb0EmNS0_19identity_decomposerEEEEE10hipError_tT0_T1_T2_jT3_P12ihipStream_tbPNSt15iterator_traitsISE_E10value_typeEPNSK_ISF_E10value_typeEPSG_NS1_7vsmem_tEENKUlT_SE_SF_SG_E_clIS8_S8_S9_S9_EESD_ST_SE_SF_SG_EUlST_E1_NS1_11comp_targetILNS1_3genE8ELNS1_11target_archE1030ELNS1_3gpuE2ELNS1_3repE0EEENS1_36merge_oddeven_config_static_selectorELNS0_4arch9wavefront6targetE1EEEvSF_
    .private_segment_fixed_size: 0
    .sgpr_count:     4
    .sgpr_spill_count: 0
    .symbol:         _ZN7rocprim17ROCPRIM_400000_NS6detail17trampoline_kernelINS0_14default_configENS1_38merge_sort_block_merge_config_selectorImNS0_10empty_typeEEEZZNS1_27merge_sort_block_merge_implIS3_PmPS5_jNS1_19radix_merge_compareILb0ELb0EmNS0_19identity_decomposerEEEEE10hipError_tT0_T1_T2_jT3_P12ihipStream_tbPNSt15iterator_traitsISE_E10value_typeEPNSK_ISF_E10value_typeEPSG_NS1_7vsmem_tEENKUlT_SE_SF_SG_E_clIS8_S8_S9_S9_EESD_ST_SE_SF_SG_EUlST_E1_NS1_11comp_targetILNS1_3genE8ELNS1_11target_archE1030ELNS1_3gpuE2ELNS1_3repE0EEENS1_36merge_oddeven_config_static_selectorELNS0_4arch9wavefront6targetE1EEEvSF_.kd
    .uniform_work_group_size: 1
    .uses_dynamic_stack: false
    .vgpr_count:     0
    .vgpr_spill_count: 0
    .wavefront_size: 64
  - .agpr_count:     0
    .args:
      - .offset:         0
        .size:           40
        .value_kind:     by_value
    .group_segment_fixed_size: 0
    .kernarg_segment_align: 8
    .kernarg_segment_size: 40
    .language:       OpenCL C
    .language_version:
      - 2
      - 0
    .max_flat_workgroup_size: 128
    .name:           _ZN7rocprim17ROCPRIM_400000_NS6detail17trampoline_kernelINS0_14default_configENS1_25transform_config_selectorImLb1EEEZNS1_14transform_implILb1ES3_S5_PmS7_NS0_8identityImEEEE10hipError_tT2_T3_mT4_P12ihipStream_tbEUlT_E_NS1_11comp_targetILNS1_3genE0ELNS1_11target_archE4294967295ELNS1_3gpuE0ELNS1_3repE0EEENS1_30default_config_static_selectorELNS0_4arch9wavefront6targetE1EEEvT1_
    .private_segment_fixed_size: 0
    .sgpr_count:     4
    .sgpr_spill_count: 0
    .symbol:         _ZN7rocprim17ROCPRIM_400000_NS6detail17trampoline_kernelINS0_14default_configENS1_25transform_config_selectorImLb1EEEZNS1_14transform_implILb1ES3_S5_PmS7_NS0_8identityImEEEE10hipError_tT2_T3_mT4_P12ihipStream_tbEUlT_E_NS1_11comp_targetILNS1_3genE0ELNS1_11target_archE4294967295ELNS1_3gpuE0ELNS1_3repE0EEENS1_30default_config_static_selectorELNS0_4arch9wavefront6targetE1EEEvT1_.kd
    .uniform_work_group_size: 1
    .uses_dynamic_stack: false
    .vgpr_count:     0
    .vgpr_spill_count: 0
    .wavefront_size: 64
  - .agpr_count:     0
    .args:
      - .offset:         0
        .size:           40
        .value_kind:     by_value
    .group_segment_fixed_size: 0
    .kernarg_segment_align: 8
    .kernarg_segment_size: 40
    .language:       OpenCL C
    .language_version:
      - 2
      - 0
    .max_flat_workgroup_size: 1024
    .name:           _ZN7rocprim17ROCPRIM_400000_NS6detail17trampoline_kernelINS0_14default_configENS1_25transform_config_selectorImLb1EEEZNS1_14transform_implILb1ES3_S5_PmS7_NS0_8identityImEEEE10hipError_tT2_T3_mT4_P12ihipStream_tbEUlT_E_NS1_11comp_targetILNS1_3genE10ELNS1_11target_archE1201ELNS1_3gpuE5ELNS1_3repE0EEENS1_30default_config_static_selectorELNS0_4arch9wavefront6targetE1EEEvT1_
    .private_segment_fixed_size: 0
    .sgpr_count:     4
    .sgpr_spill_count: 0
    .symbol:         _ZN7rocprim17ROCPRIM_400000_NS6detail17trampoline_kernelINS0_14default_configENS1_25transform_config_selectorImLb1EEEZNS1_14transform_implILb1ES3_S5_PmS7_NS0_8identityImEEEE10hipError_tT2_T3_mT4_P12ihipStream_tbEUlT_E_NS1_11comp_targetILNS1_3genE10ELNS1_11target_archE1201ELNS1_3gpuE5ELNS1_3repE0EEENS1_30default_config_static_selectorELNS0_4arch9wavefront6targetE1EEEvT1_.kd
    .uniform_work_group_size: 1
    .uses_dynamic_stack: false
    .vgpr_count:     0
    .vgpr_spill_count: 0
    .wavefront_size: 64
  - .agpr_count:     0
    .args:
      - .offset:         0
        .size:           40
        .value_kind:     by_value
    .group_segment_fixed_size: 0
    .kernarg_segment_align: 8
    .kernarg_segment_size: 40
    .language:       OpenCL C
    .language_version:
      - 2
      - 0
    .max_flat_workgroup_size: 512
    .name:           _ZN7rocprim17ROCPRIM_400000_NS6detail17trampoline_kernelINS0_14default_configENS1_25transform_config_selectorImLb1EEEZNS1_14transform_implILb1ES3_S5_PmS7_NS0_8identityImEEEE10hipError_tT2_T3_mT4_P12ihipStream_tbEUlT_E_NS1_11comp_targetILNS1_3genE5ELNS1_11target_archE942ELNS1_3gpuE9ELNS1_3repE0EEENS1_30default_config_static_selectorELNS0_4arch9wavefront6targetE1EEEvT1_
    .private_segment_fixed_size: 0
    .sgpr_count:     4
    .sgpr_spill_count: 0
    .symbol:         _ZN7rocprim17ROCPRIM_400000_NS6detail17trampoline_kernelINS0_14default_configENS1_25transform_config_selectorImLb1EEEZNS1_14transform_implILb1ES3_S5_PmS7_NS0_8identityImEEEE10hipError_tT2_T3_mT4_P12ihipStream_tbEUlT_E_NS1_11comp_targetILNS1_3genE5ELNS1_11target_archE942ELNS1_3gpuE9ELNS1_3repE0EEENS1_30default_config_static_selectorELNS0_4arch9wavefront6targetE1EEEvT1_.kd
    .uniform_work_group_size: 1
    .uses_dynamic_stack: false
    .vgpr_count:     0
    .vgpr_spill_count: 0
    .wavefront_size: 64
  - .agpr_count:     0
    .args:
      - .offset:         0
        .size:           40
        .value_kind:     by_value
      - .offset:         40
        .size:           4
        .value_kind:     hidden_block_count_x
      - .offset:         44
        .size:           4
        .value_kind:     hidden_block_count_y
      - .offset:         48
        .size:           4
        .value_kind:     hidden_block_count_z
      - .offset:         52
        .size:           2
        .value_kind:     hidden_group_size_x
      - .offset:         54
        .size:           2
        .value_kind:     hidden_group_size_y
      - .offset:         56
        .size:           2
        .value_kind:     hidden_group_size_z
      - .offset:         58
        .size:           2
        .value_kind:     hidden_remainder_x
      - .offset:         60
        .size:           2
        .value_kind:     hidden_remainder_y
      - .offset:         62
        .size:           2
        .value_kind:     hidden_remainder_z
      - .offset:         80
        .size:           8
        .value_kind:     hidden_global_offset_x
      - .offset:         88
        .size:           8
        .value_kind:     hidden_global_offset_y
      - .offset:         96
        .size:           8
        .value_kind:     hidden_global_offset_z
      - .offset:         104
        .size:           2
        .value_kind:     hidden_grid_dims
    .group_segment_fixed_size: 0
    .kernarg_segment_align: 8
    .kernarg_segment_size: 296
    .language:       OpenCL C
    .language_version:
      - 2
      - 0
    .max_flat_workgroup_size: 1024
    .name:           _ZN7rocprim17ROCPRIM_400000_NS6detail17trampoline_kernelINS0_14default_configENS1_25transform_config_selectorImLb1EEEZNS1_14transform_implILb1ES3_S5_PmS7_NS0_8identityImEEEE10hipError_tT2_T3_mT4_P12ihipStream_tbEUlT_E_NS1_11comp_targetILNS1_3genE4ELNS1_11target_archE910ELNS1_3gpuE8ELNS1_3repE0EEENS1_30default_config_static_selectorELNS0_4arch9wavefront6targetE1EEEvT1_
    .private_segment_fixed_size: 0
    .sgpr_count:     20
    .sgpr_spill_count: 0
    .symbol:         _ZN7rocprim17ROCPRIM_400000_NS6detail17trampoline_kernelINS0_14default_configENS1_25transform_config_selectorImLb1EEEZNS1_14transform_implILb1ES3_S5_PmS7_NS0_8identityImEEEE10hipError_tT2_T3_mT4_P12ihipStream_tbEUlT_E_NS1_11comp_targetILNS1_3genE4ELNS1_11target_archE910ELNS1_3gpuE8ELNS1_3repE0EEENS1_30default_config_static_selectorELNS0_4arch9wavefront6targetE1EEEvT1_.kd
    .uniform_work_group_size: 1
    .uses_dynamic_stack: false
    .vgpr_count:     7
    .vgpr_spill_count: 0
    .wavefront_size: 64
  - .agpr_count:     0
    .args:
      - .offset:         0
        .size:           40
        .value_kind:     by_value
    .group_segment_fixed_size: 0
    .kernarg_segment_align: 8
    .kernarg_segment_size: 40
    .language:       OpenCL C
    .language_version:
      - 2
      - 0
    .max_flat_workgroup_size: 128
    .name:           _ZN7rocprim17ROCPRIM_400000_NS6detail17trampoline_kernelINS0_14default_configENS1_25transform_config_selectorImLb1EEEZNS1_14transform_implILb1ES3_S5_PmS7_NS0_8identityImEEEE10hipError_tT2_T3_mT4_P12ihipStream_tbEUlT_E_NS1_11comp_targetILNS1_3genE3ELNS1_11target_archE908ELNS1_3gpuE7ELNS1_3repE0EEENS1_30default_config_static_selectorELNS0_4arch9wavefront6targetE1EEEvT1_
    .private_segment_fixed_size: 0
    .sgpr_count:     4
    .sgpr_spill_count: 0
    .symbol:         _ZN7rocprim17ROCPRIM_400000_NS6detail17trampoline_kernelINS0_14default_configENS1_25transform_config_selectorImLb1EEEZNS1_14transform_implILb1ES3_S5_PmS7_NS0_8identityImEEEE10hipError_tT2_T3_mT4_P12ihipStream_tbEUlT_E_NS1_11comp_targetILNS1_3genE3ELNS1_11target_archE908ELNS1_3gpuE7ELNS1_3repE0EEENS1_30default_config_static_selectorELNS0_4arch9wavefront6targetE1EEEvT1_.kd
    .uniform_work_group_size: 1
    .uses_dynamic_stack: false
    .vgpr_count:     0
    .vgpr_spill_count: 0
    .wavefront_size: 64
  - .agpr_count:     0
    .args:
      - .offset:         0
        .size:           40
        .value_kind:     by_value
    .group_segment_fixed_size: 0
    .kernarg_segment_align: 8
    .kernarg_segment_size: 40
    .language:       OpenCL C
    .language_version:
      - 2
      - 0
    .max_flat_workgroup_size: 512
    .name:           _ZN7rocprim17ROCPRIM_400000_NS6detail17trampoline_kernelINS0_14default_configENS1_25transform_config_selectorImLb1EEEZNS1_14transform_implILb1ES3_S5_PmS7_NS0_8identityImEEEE10hipError_tT2_T3_mT4_P12ihipStream_tbEUlT_E_NS1_11comp_targetILNS1_3genE2ELNS1_11target_archE906ELNS1_3gpuE6ELNS1_3repE0EEENS1_30default_config_static_selectorELNS0_4arch9wavefront6targetE1EEEvT1_
    .private_segment_fixed_size: 0
    .sgpr_count:     4
    .sgpr_spill_count: 0
    .symbol:         _ZN7rocprim17ROCPRIM_400000_NS6detail17trampoline_kernelINS0_14default_configENS1_25transform_config_selectorImLb1EEEZNS1_14transform_implILb1ES3_S5_PmS7_NS0_8identityImEEEE10hipError_tT2_T3_mT4_P12ihipStream_tbEUlT_E_NS1_11comp_targetILNS1_3genE2ELNS1_11target_archE906ELNS1_3gpuE6ELNS1_3repE0EEENS1_30default_config_static_selectorELNS0_4arch9wavefront6targetE1EEEvT1_.kd
    .uniform_work_group_size: 1
    .uses_dynamic_stack: false
    .vgpr_count:     0
    .vgpr_spill_count: 0
    .wavefront_size: 64
  - .agpr_count:     0
    .args:
      - .offset:         0
        .size:           40
        .value_kind:     by_value
    .group_segment_fixed_size: 0
    .kernarg_segment_align: 8
    .kernarg_segment_size: 40
    .language:       OpenCL C
    .language_version:
      - 2
      - 0
    .max_flat_workgroup_size: 1024
    .name:           _ZN7rocprim17ROCPRIM_400000_NS6detail17trampoline_kernelINS0_14default_configENS1_25transform_config_selectorImLb1EEEZNS1_14transform_implILb1ES3_S5_PmS7_NS0_8identityImEEEE10hipError_tT2_T3_mT4_P12ihipStream_tbEUlT_E_NS1_11comp_targetILNS1_3genE9ELNS1_11target_archE1100ELNS1_3gpuE3ELNS1_3repE0EEENS1_30default_config_static_selectorELNS0_4arch9wavefront6targetE1EEEvT1_
    .private_segment_fixed_size: 0
    .sgpr_count:     4
    .sgpr_spill_count: 0
    .symbol:         _ZN7rocprim17ROCPRIM_400000_NS6detail17trampoline_kernelINS0_14default_configENS1_25transform_config_selectorImLb1EEEZNS1_14transform_implILb1ES3_S5_PmS7_NS0_8identityImEEEE10hipError_tT2_T3_mT4_P12ihipStream_tbEUlT_E_NS1_11comp_targetILNS1_3genE9ELNS1_11target_archE1100ELNS1_3gpuE3ELNS1_3repE0EEENS1_30default_config_static_selectorELNS0_4arch9wavefront6targetE1EEEvT1_.kd
    .uniform_work_group_size: 1
    .uses_dynamic_stack: false
    .vgpr_count:     0
    .vgpr_spill_count: 0
    .wavefront_size: 64
  - .agpr_count:     0
    .args:
      - .offset:         0
        .size:           40
        .value_kind:     by_value
    .group_segment_fixed_size: 0
    .kernarg_segment_align: 8
    .kernarg_segment_size: 40
    .language:       OpenCL C
    .language_version:
      - 2
      - 0
    .max_flat_workgroup_size: 1024
    .name:           _ZN7rocprim17ROCPRIM_400000_NS6detail17trampoline_kernelINS0_14default_configENS1_25transform_config_selectorImLb1EEEZNS1_14transform_implILb1ES3_S5_PmS7_NS0_8identityImEEEE10hipError_tT2_T3_mT4_P12ihipStream_tbEUlT_E_NS1_11comp_targetILNS1_3genE8ELNS1_11target_archE1030ELNS1_3gpuE2ELNS1_3repE0EEENS1_30default_config_static_selectorELNS0_4arch9wavefront6targetE1EEEvT1_
    .private_segment_fixed_size: 0
    .sgpr_count:     4
    .sgpr_spill_count: 0
    .symbol:         _ZN7rocprim17ROCPRIM_400000_NS6detail17trampoline_kernelINS0_14default_configENS1_25transform_config_selectorImLb1EEEZNS1_14transform_implILb1ES3_S5_PmS7_NS0_8identityImEEEE10hipError_tT2_T3_mT4_P12ihipStream_tbEUlT_E_NS1_11comp_targetILNS1_3genE8ELNS1_11target_archE1030ELNS1_3gpuE2ELNS1_3repE0EEENS1_30default_config_static_selectorELNS0_4arch9wavefront6targetE1EEEvT1_.kd
    .uniform_work_group_size: 1
    .uses_dynamic_stack: false
    .vgpr_count:     0
    .vgpr_spill_count: 0
    .wavefront_size: 64
  - .agpr_count:     0
    .args:
      - .offset:         0
        .size:           40
        .value_kind:     by_value
    .group_segment_fixed_size: 0
    .kernarg_segment_align: 8
    .kernarg_segment_size: 40
    .language:       OpenCL C
    .language_version:
      - 2
      - 0
    .max_flat_workgroup_size: 128
    .name:           _ZN7rocprim17ROCPRIM_400000_NS6detail17trampoline_kernelINS0_14default_configENS1_38merge_sort_block_merge_config_selectorImNS0_10empty_typeEEEZZNS1_27merge_sort_block_merge_implIS3_PmPS5_jNS1_19radix_merge_compareILb0ELb1EmNS0_19identity_decomposerEEEEE10hipError_tT0_T1_T2_jT3_P12ihipStream_tbPNSt15iterator_traitsISE_E10value_typeEPNSK_ISF_E10value_typeEPSG_NS1_7vsmem_tEENKUlT_SE_SF_SG_E_clIS8_S8_S9_S9_EESD_ST_SE_SF_SG_EUlST_E_NS1_11comp_targetILNS1_3genE0ELNS1_11target_archE4294967295ELNS1_3gpuE0ELNS1_3repE0EEENS1_48merge_mergepath_partition_config_static_selectorELNS0_4arch9wavefront6targetE1EEEvSF_
    .private_segment_fixed_size: 0
    .sgpr_count:     4
    .sgpr_spill_count: 0
    .symbol:         _ZN7rocprim17ROCPRIM_400000_NS6detail17trampoline_kernelINS0_14default_configENS1_38merge_sort_block_merge_config_selectorImNS0_10empty_typeEEEZZNS1_27merge_sort_block_merge_implIS3_PmPS5_jNS1_19radix_merge_compareILb0ELb1EmNS0_19identity_decomposerEEEEE10hipError_tT0_T1_T2_jT3_P12ihipStream_tbPNSt15iterator_traitsISE_E10value_typeEPNSK_ISF_E10value_typeEPSG_NS1_7vsmem_tEENKUlT_SE_SF_SG_E_clIS8_S8_S9_S9_EESD_ST_SE_SF_SG_EUlST_E_NS1_11comp_targetILNS1_3genE0ELNS1_11target_archE4294967295ELNS1_3gpuE0ELNS1_3repE0EEENS1_48merge_mergepath_partition_config_static_selectorELNS0_4arch9wavefront6targetE1EEEvSF_.kd
    .uniform_work_group_size: 1
    .uses_dynamic_stack: false
    .vgpr_count:     0
    .vgpr_spill_count: 0
    .wavefront_size: 64
  - .agpr_count:     0
    .args:
      - .offset:         0
        .size:           40
        .value_kind:     by_value
    .group_segment_fixed_size: 0
    .kernarg_segment_align: 8
    .kernarg_segment_size: 40
    .language:       OpenCL C
    .language_version:
      - 2
      - 0
    .max_flat_workgroup_size: 128
    .name:           _ZN7rocprim17ROCPRIM_400000_NS6detail17trampoline_kernelINS0_14default_configENS1_38merge_sort_block_merge_config_selectorImNS0_10empty_typeEEEZZNS1_27merge_sort_block_merge_implIS3_PmPS5_jNS1_19radix_merge_compareILb0ELb1EmNS0_19identity_decomposerEEEEE10hipError_tT0_T1_T2_jT3_P12ihipStream_tbPNSt15iterator_traitsISE_E10value_typeEPNSK_ISF_E10value_typeEPSG_NS1_7vsmem_tEENKUlT_SE_SF_SG_E_clIS8_S8_S9_S9_EESD_ST_SE_SF_SG_EUlST_E_NS1_11comp_targetILNS1_3genE10ELNS1_11target_archE1201ELNS1_3gpuE5ELNS1_3repE0EEENS1_48merge_mergepath_partition_config_static_selectorELNS0_4arch9wavefront6targetE1EEEvSF_
    .private_segment_fixed_size: 0
    .sgpr_count:     4
    .sgpr_spill_count: 0
    .symbol:         _ZN7rocprim17ROCPRIM_400000_NS6detail17trampoline_kernelINS0_14default_configENS1_38merge_sort_block_merge_config_selectorImNS0_10empty_typeEEEZZNS1_27merge_sort_block_merge_implIS3_PmPS5_jNS1_19radix_merge_compareILb0ELb1EmNS0_19identity_decomposerEEEEE10hipError_tT0_T1_T2_jT3_P12ihipStream_tbPNSt15iterator_traitsISE_E10value_typeEPNSK_ISF_E10value_typeEPSG_NS1_7vsmem_tEENKUlT_SE_SF_SG_E_clIS8_S8_S9_S9_EESD_ST_SE_SF_SG_EUlST_E_NS1_11comp_targetILNS1_3genE10ELNS1_11target_archE1201ELNS1_3gpuE5ELNS1_3repE0EEENS1_48merge_mergepath_partition_config_static_selectorELNS0_4arch9wavefront6targetE1EEEvSF_.kd
    .uniform_work_group_size: 1
    .uses_dynamic_stack: false
    .vgpr_count:     0
    .vgpr_spill_count: 0
    .wavefront_size: 64
  - .agpr_count:     0
    .args:
      - .offset:         0
        .size:           40
        .value_kind:     by_value
    .group_segment_fixed_size: 0
    .kernarg_segment_align: 8
    .kernarg_segment_size: 40
    .language:       OpenCL C
    .language_version:
      - 2
      - 0
    .max_flat_workgroup_size: 128
    .name:           _ZN7rocprim17ROCPRIM_400000_NS6detail17trampoline_kernelINS0_14default_configENS1_38merge_sort_block_merge_config_selectorImNS0_10empty_typeEEEZZNS1_27merge_sort_block_merge_implIS3_PmPS5_jNS1_19radix_merge_compareILb0ELb1EmNS0_19identity_decomposerEEEEE10hipError_tT0_T1_T2_jT3_P12ihipStream_tbPNSt15iterator_traitsISE_E10value_typeEPNSK_ISF_E10value_typeEPSG_NS1_7vsmem_tEENKUlT_SE_SF_SG_E_clIS8_S8_S9_S9_EESD_ST_SE_SF_SG_EUlST_E_NS1_11comp_targetILNS1_3genE5ELNS1_11target_archE942ELNS1_3gpuE9ELNS1_3repE0EEENS1_48merge_mergepath_partition_config_static_selectorELNS0_4arch9wavefront6targetE1EEEvSF_
    .private_segment_fixed_size: 0
    .sgpr_count:     4
    .sgpr_spill_count: 0
    .symbol:         _ZN7rocprim17ROCPRIM_400000_NS6detail17trampoline_kernelINS0_14default_configENS1_38merge_sort_block_merge_config_selectorImNS0_10empty_typeEEEZZNS1_27merge_sort_block_merge_implIS3_PmPS5_jNS1_19radix_merge_compareILb0ELb1EmNS0_19identity_decomposerEEEEE10hipError_tT0_T1_T2_jT3_P12ihipStream_tbPNSt15iterator_traitsISE_E10value_typeEPNSK_ISF_E10value_typeEPSG_NS1_7vsmem_tEENKUlT_SE_SF_SG_E_clIS8_S8_S9_S9_EESD_ST_SE_SF_SG_EUlST_E_NS1_11comp_targetILNS1_3genE5ELNS1_11target_archE942ELNS1_3gpuE9ELNS1_3repE0EEENS1_48merge_mergepath_partition_config_static_selectorELNS0_4arch9wavefront6targetE1EEEvSF_.kd
    .uniform_work_group_size: 1
    .uses_dynamic_stack: false
    .vgpr_count:     0
    .vgpr_spill_count: 0
    .wavefront_size: 64
  - .agpr_count:     0
    .args:
      - .offset:         0
        .size:           40
        .value_kind:     by_value
    .group_segment_fixed_size: 0
    .kernarg_segment_align: 8
    .kernarg_segment_size: 40
    .language:       OpenCL C
    .language_version:
      - 2
      - 0
    .max_flat_workgroup_size: 128
    .name:           _ZN7rocprim17ROCPRIM_400000_NS6detail17trampoline_kernelINS0_14default_configENS1_38merge_sort_block_merge_config_selectorImNS0_10empty_typeEEEZZNS1_27merge_sort_block_merge_implIS3_PmPS5_jNS1_19radix_merge_compareILb0ELb1EmNS0_19identity_decomposerEEEEE10hipError_tT0_T1_T2_jT3_P12ihipStream_tbPNSt15iterator_traitsISE_E10value_typeEPNSK_ISF_E10value_typeEPSG_NS1_7vsmem_tEENKUlT_SE_SF_SG_E_clIS8_S8_S9_S9_EESD_ST_SE_SF_SG_EUlST_E_NS1_11comp_targetILNS1_3genE4ELNS1_11target_archE910ELNS1_3gpuE8ELNS1_3repE0EEENS1_48merge_mergepath_partition_config_static_selectorELNS0_4arch9wavefront6targetE1EEEvSF_
    .private_segment_fixed_size: 0
    .sgpr_count:     14
    .sgpr_spill_count: 0
    .symbol:         _ZN7rocprim17ROCPRIM_400000_NS6detail17trampoline_kernelINS0_14default_configENS1_38merge_sort_block_merge_config_selectorImNS0_10empty_typeEEEZZNS1_27merge_sort_block_merge_implIS3_PmPS5_jNS1_19radix_merge_compareILb0ELb1EmNS0_19identity_decomposerEEEEE10hipError_tT0_T1_T2_jT3_P12ihipStream_tbPNSt15iterator_traitsISE_E10value_typeEPNSK_ISF_E10value_typeEPSG_NS1_7vsmem_tEENKUlT_SE_SF_SG_E_clIS8_S8_S9_S9_EESD_ST_SE_SF_SG_EUlST_E_NS1_11comp_targetILNS1_3genE4ELNS1_11target_archE910ELNS1_3gpuE8ELNS1_3repE0EEENS1_48merge_mergepath_partition_config_static_selectorELNS0_4arch9wavefront6targetE1EEEvSF_.kd
    .uniform_work_group_size: 1
    .uses_dynamic_stack: false
    .vgpr_count:     16
    .vgpr_spill_count: 0
    .wavefront_size: 64
  - .agpr_count:     0
    .args:
      - .offset:         0
        .size:           40
        .value_kind:     by_value
    .group_segment_fixed_size: 0
    .kernarg_segment_align: 8
    .kernarg_segment_size: 40
    .language:       OpenCL C
    .language_version:
      - 2
      - 0
    .max_flat_workgroup_size: 128
    .name:           _ZN7rocprim17ROCPRIM_400000_NS6detail17trampoline_kernelINS0_14default_configENS1_38merge_sort_block_merge_config_selectorImNS0_10empty_typeEEEZZNS1_27merge_sort_block_merge_implIS3_PmPS5_jNS1_19radix_merge_compareILb0ELb1EmNS0_19identity_decomposerEEEEE10hipError_tT0_T1_T2_jT3_P12ihipStream_tbPNSt15iterator_traitsISE_E10value_typeEPNSK_ISF_E10value_typeEPSG_NS1_7vsmem_tEENKUlT_SE_SF_SG_E_clIS8_S8_S9_S9_EESD_ST_SE_SF_SG_EUlST_E_NS1_11comp_targetILNS1_3genE3ELNS1_11target_archE908ELNS1_3gpuE7ELNS1_3repE0EEENS1_48merge_mergepath_partition_config_static_selectorELNS0_4arch9wavefront6targetE1EEEvSF_
    .private_segment_fixed_size: 0
    .sgpr_count:     4
    .sgpr_spill_count: 0
    .symbol:         _ZN7rocprim17ROCPRIM_400000_NS6detail17trampoline_kernelINS0_14default_configENS1_38merge_sort_block_merge_config_selectorImNS0_10empty_typeEEEZZNS1_27merge_sort_block_merge_implIS3_PmPS5_jNS1_19radix_merge_compareILb0ELb1EmNS0_19identity_decomposerEEEEE10hipError_tT0_T1_T2_jT3_P12ihipStream_tbPNSt15iterator_traitsISE_E10value_typeEPNSK_ISF_E10value_typeEPSG_NS1_7vsmem_tEENKUlT_SE_SF_SG_E_clIS8_S8_S9_S9_EESD_ST_SE_SF_SG_EUlST_E_NS1_11comp_targetILNS1_3genE3ELNS1_11target_archE908ELNS1_3gpuE7ELNS1_3repE0EEENS1_48merge_mergepath_partition_config_static_selectorELNS0_4arch9wavefront6targetE1EEEvSF_.kd
    .uniform_work_group_size: 1
    .uses_dynamic_stack: false
    .vgpr_count:     0
    .vgpr_spill_count: 0
    .wavefront_size: 64
  - .agpr_count:     0
    .args:
      - .offset:         0
        .size:           40
        .value_kind:     by_value
    .group_segment_fixed_size: 0
    .kernarg_segment_align: 8
    .kernarg_segment_size: 40
    .language:       OpenCL C
    .language_version:
      - 2
      - 0
    .max_flat_workgroup_size: 128
    .name:           _ZN7rocprim17ROCPRIM_400000_NS6detail17trampoline_kernelINS0_14default_configENS1_38merge_sort_block_merge_config_selectorImNS0_10empty_typeEEEZZNS1_27merge_sort_block_merge_implIS3_PmPS5_jNS1_19radix_merge_compareILb0ELb1EmNS0_19identity_decomposerEEEEE10hipError_tT0_T1_T2_jT3_P12ihipStream_tbPNSt15iterator_traitsISE_E10value_typeEPNSK_ISF_E10value_typeEPSG_NS1_7vsmem_tEENKUlT_SE_SF_SG_E_clIS8_S8_S9_S9_EESD_ST_SE_SF_SG_EUlST_E_NS1_11comp_targetILNS1_3genE2ELNS1_11target_archE906ELNS1_3gpuE6ELNS1_3repE0EEENS1_48merge_mergepath_partition_config_static_selectorELNS0_4arch9wavefront6targetE1EEEvSF_
    .private_segment_fixed_size: 0
    .sgpr_count:     4
    .sgpr_spill_count: 0
    .symbol:         _ZN7rocprim17ROCPRIM_400000_NS6detail17trampoline_kernelINS0_14default_configENS1_38merge_sort_block_merge_config_selectorImNS0_10empty_typeEEEZZNS1_27merge_sort_block_merge_implIS3_PmPS5_jNS1_19radix_merge_compareILb0ELb1EmNS0_19identity_decomposerEEEEE10hipError_tT0_T1_T2_jT3_P12ihipStream_tbPNSt15iterator_traitsISE_E10value_typeEPNSK_ISF_E10value_typeEPSG_NS1_7vsmem_tEENKUlT_SE_SF_SG_E_clIS8_S8_S9_S9_EESD_ST_SE_SF_SG_EUlST_E_NS1_11comp_targetILNS1_3genE2ELNS1_11target_archE906ELNS1_3gpuE6ELNS1_3repE0EEENS1_48merge_mergepath_partition_config_static_selectorELNS0_4arch9wavefront6targetE1EEEvSF_.kd
    .uniform_work_group_size: 1
    .uses_dynamic_stack: false
    .vgpr_count:     0
    .vgpr_spill_count: 0
    .wavefront_size: 64
  - .agpr_count:     0
    .args:
      - .offset:         0
        .size:           40
        .value_kind:     by_value
    .group_segment_fixed_size: 0
    .kernarg_segment_align: 8
    .kernarg_segment_size: 40
    .language:       OpenCL C
    .language_version:
      - 2
      - 0
    .max_flat_workgroup_size: 128
    .name:           _ZN7rocprim17ROCPRIM_400000_NS6detail17trampoline_kernelINS0_14default_configENS1_38merge_sort_block_merge_config_selectorImNS0_10empty_typeEEEZZNS1_27merge_sort_block_merge_implIS3_PmPS5_jNS1_19radix_merge_compareILb0ELb1EmNS0_19identity_decomposerEEEEE10hipError_tT0_T1_T2_jT3_P12ihipStream_tbPNSt15iterator_traitsISE_E10value_typeEPNSK_ISF_E10value_typeEPSG_NS1_7vsmem_tEENKUlT_SE_SF_SG_E_clIS8_S8_S9_S9_EESD_ST_SE_SF_SG_EUlST_E_NS1_11comp_targetILNS1_3genE9ELNS1_11target_archE1100ELNS1_3gpuE3ELNS1_3repE0EEENS1_48merge_mergepath_partition_config_static_selectorELNS0_4arch9wavefront6targetE1EEEvSF_
    .private_segment_fixed_size: 0
    .sgpr_count:     4
    .sgpr_spill_count: 0
    .symbol:         _ZN7rocprim17ROCPRIM_400000_NS6detail17trampoline_kernelINS0_14default_configENS1_38merge_sort_block_merge_config_selectorImNS0_10empty_typeEEEZZNS1_27merge_sort_block_merge_implIS3_PmPS5_jNS1_19radix_merge_compareILb0ELb1EmNS0_19identity_decomposerEEEEE10hipError_tT0_T1_T2_jT3_P12ihipStream_tbPNSt15iterator_traitsISE_E10value_typeEPNSK_ISF_E10value_typeEPSG_NS1_7vsmem_tEENKUlT_SE_SF_SG_E_clIS8_S8_S9_S9_EESD_ST_SE_SF_SG_EUlST_E_NS1_11comp_targetILNS1_3genE9ELNS1_11target_archE1100ELNS1_3gpuE3ELNS1_3repE0EEENS1_48merge_mergepath_partition_config_static_selectorELNS0_4arch9wavefront6targetE1EEEvSF_.kd
    .uniform_work_group_size: 1
    .uses_dynamic_stack: false
    .vgpr_count:     0
    .vgpr_spill_count: 0
    .wavefront_size: 64
  - .agpr_count:     0
    .args:
      - .offset:         0
        .size:           40
        .value_kind:     by_value
    .group_segment_fixed_size: 0
    .kernarg_segment_align: 8
    .kernarg_segment_size: 40
    .language:       OpenCL C
    .language_version:
      - 2
      - 0
    .max_flat_workgroup_size: 128
    .name:           _ZN7rocprim17ROCPRIM_400000_NS6detail17trampoline_kernelINS0_14default_configENS1_38merge_sort_block_merge_config_selectorImNS0_10empty_typeEEEZZNS1_27merge_sort_block_merge_implIS3_PmPS5_jNS1_19radix_merge_compareILb0ELb1EmNS0_19identity_decomposerEEEEE10hipError_tT0_T1_T2_jT3_P12ihipStream_tbPNSt15iterator_traitsISE_E10value_typeEPNSK_ISF_E10value_typeEPSG_NS1_7vsmem_tEENKUlT_SE_SF_SG_E_clIS8_S8_S9_S9_EESD_ST_SE_SF_SG_EUlST_E_NS1_11comp_targetILNS1_3genE8ELNS1_11target_archE1030ELNS1_3gpuE2ELNS1_3repE0EEENS1_48merge_mergepath_partition_config_static_selectorELNS0_4arch9wavefront6targetE1EEEvSF_
    .private_segment_fixed_size: 0
    .sgpr_count:     4
    .sgpr_spill_count: 0
    .symbol:         _ZN7rocprim17ROCPRIM_400000_NS6detail17trampoline_kernelINS0_14default_configENS1_38merge_sort_block_merge_config_selectorImNS0_10empty_typeEEEZZNS1_27merge_sort_block_merge_implIS3_PmPS5_jNS1_19radix_merge_compareILb0ELb1EmNS0_19identity_decomposerEEEEE10hipError_tT0_T1_T2_jT3_P12ihipStream_tbPNSt15iterator_traitsISE_E10value_typeEPNSK_ISF_E10value_typeEPSG_NS1_7vsmem_tEENKUlT_SE_SF_SG_E_clIS8_S8_S9_S9_EESD_ST_SE_SF_SG_EUlST_E_NS1_11comp_targetILNS1_3genE8ELNS1_11target_archE1030ELNS1_3gpuE2ELNS1_3repE0EEENS1_48merge_mergepath_partition_config_static_selectorELNS0_4arch9wavefront6targetE1EEEvSF_.kd
    .uniform_work_group_size: 1
    .uses_dynamic_stack: false
    .vgpr_count:     0
    .vgpr_spill_count: 0
    .wavefront_size: 64
  - .agpr_count:     0
    .args:
      - .offset:         0
        .size:           72
        .value_kind:     by_value
    .group_segment_fixed_size: 0
    .kernarg_segment_align: 8
    .kernarg_segment_size: 72
    .language:       OpenCL C
    .language_version:
      - 2
      - 0
    .max_flat_workgroup_size: 128
    .name:           _ZN7rocprim17ROCPRIM_400000_NS6detail17trampoline_kernelINS0_14default_configENS1_38merge_sort_block_merge_config_selectorImNS0_10empty_typeEEEZZNS1_27merge_sort_block_merge_implIS3_PmPS5_jNS1_19radix_merge_compareILb0ELb1EmNS0_19identity_decomposerEEEEE10hipError_tT0_T1_T2_jT3_P12ihipStream_tbPNSt15iterator_traitsISE_E10value_typeEPNSK_ISF_E10value_typeEPSG_NS1_7vsmem_tEENKUlT_SE_SF_SG_E_clIS8_S8_S9_S9_EESD_ST_SE_SF_SG_EUlST_E0_NS1_11comp_targetILNS1_3genE0ELNS1_11target_archE4294967295ELNS1_3gpuE0ELNS1_3repE0EEENS1_38merge_mergepath_config_static_selectorELNS0_4arch9wavefront6targetE1EEEvSF_
    .private_segment_fixed_size: 0
    .sgpr_count:     4
    .sgpr_spill_count: 0
    .symbol:         _ZN7rocprim17ROCPRIM_400000_NS6detail17trampoline_kernelINS0_14default_configENS1_38merge_sort_block_merge_config_selectorImNS0_10empty_typeEEEZZNS1_27merge_sort_block_merge_implIS3_PmPS5_jNS1_19radix_merge_compareILb0ELb1EmNS0_19identity_decomposerEEEEE10hipError_tT0_T1_T2_jT3_P12ihipStream_tbPNSt15iterator_traitsISE_E10value_typeEPNSK_ISF_E10value_typeEPSG_NS1_7vsmem_tEENKUlT_SE_SF_SG_E_clIS8_S8_S9_S9_EESD_ST_SE_SF_SG_EUlST_E0_NS1_11comp_targetILNS1_3genE0ELNS1_11target_archE4294967295ELNS1_3gpuE0ELNS1_3repE0EEENS1_38merge_mergepath_config_static_selectorELNS0_4arch9wavefront6targetE1EEEvSF_.kd
    .uniform_work_group_size: 1
    .uses_dynamic_stack: false
    .vgpr_count:     0
    .vgpr_spill_count: 0
    .wavefront_size: 64
  - .agpr_count:     0
    .args:
      - .offset:         0
        .size:           72
        .value_kind:     by_value
    .group_segment_fixed_size: 0
    .kernarg_segment_align: 8
    .kernarg_segment_size: 72
    .language:       OpenCL C
    .language_version:
      - 2
      - 0
    .max_flat_workgroup_size: 512
    .name:           _ZN7rocprim17ROCPRIM_400000_NS6detail17trampoline_kernelINS0_14default_configENS1_38merge_sort_block_merge_config_selectorImNS0_10empty_typeEEEZZNS1_27merge_sort_block_merge_implIS3_PmPS5_jNS1_19radix_merge_compareILb0ELb1EmNS0_19identity_decomposerEEEEE10hipError_tT0_T1_T2_jT3_P12ihipStream_tbPNSt15iterator_traitsISE_E10value_typeEPNSK_ISF_E10value_typeEPSG_NS1_7vsmem_tEENKUlT_SE_SF_SG_E_clIS8_S8_S9_S9_EESD_ST_SE_SF_SG_EUlST_E0_NS1_11comp_targetILNS1_3genE10ELNS1_11target_archE1201ELNS1_3gpuE5ELNS1_3repE0EEENS1_38merge_mergepath_config_static_selectorELNS0_4arch9wavefront6targetE1EEEvSF_
    .private_segment_fixed_size: 0
    .sgpr_count:     4
    .sgpr_spill_count: 0
    .symbol:         _ZN7rocprim17ROCPRIM_400000_NS6detail17trampoline_kernelINS0_14default_configENS1_38merge_sort_block_merge_config_selectorImNS0_10empty_typeEEEZZNS1_27merge_sort_block_merge_implIS3_PmPS5_jNS1_19radix_merge_compareILb0ELb1EmNS0_19identity_decomposerEEEEE10hipError_tT0_T1_T2_jT3_P12ihipStream_tbPNSt15iterator_traitsISE_E10value_typeEPNSK_ISF_E10value_typeEPSG_NS1_7vsmem_tEENKUlT_SE_SF_SG_E_clIS8_S8_S9_S9_EESD_ST_SE_SF_SG_EUlST_E0_NS1_11comp_targetILNS1_3genE10ELNS1_11target_archE1201ELNS1_3gpuE5ELNS1_3repE0EEENS1_38merge_mergepath_config_static_selectorELNS0_4arch9wavefront6targetE1EEEvSF_.kd
    .uniform_work_group_size: 1
    .uses_dynamic_stack: false
    .vgpr_count:     0
    .vgpr_spill_count: 0
    .wavefront_size: 64
  - .agpr_count:     0
    .args:
      - .offset:         0
        .size:           72
        .value_kind:     by_value
    .group_segment_fixed_size: 0
    .kernarg_segment_align: 8
    .kernarg_segment_size: 72
    .language:       OpenCL C
    .language_version:
      - 2
      - 0
    .max_flat_workgroup_size: 128
    .name:           _ZN7rocprim17ROCPRIM_400000_NS6detail17trampoline_kernelINS0_14default_configENS1_38merge_sort_block_merge_config_selectorImNS0_10empty_typeEEEZZNS1_27merge_sort_block_merge_implIS3_PmPS5_jNS1_19radix_merge_compareILb0ELb1EmNS0_19identity_decomposerEEEEE10hipError_tT0_T1_T2_jT3_P12ihipStream_tbPNSt15iterator_traitsISE_E10value_typeEPNSK_ISF_E10value_typeEPSG_NS1_7vsmem_tEENKUlT_SE_SF_SG_E_clIS8_S8_S9_S9_EESD_ST_SE_SF_SG_EUlST_E0_NS1_11comp_targetILNS1_3genE5ELNS1_11target_archE942ELNS1_3gpuE9ELNS1_3repE0EEENS1_38merge_mergepath_config_static_selectorELNS0_4arch9wavefront6targetE1EEEvSF_
    .private_segment_fixed_size: 0
    .sgpr_count:     4
    .sgpr_spill_count: 0
    .symbol:         _ZN7rocprim17ROCPRIM_400000_NS6detail17trampoline_kernelINS0_14default_configENS1_38merge_sort_block_merge_config_selectorImNS0_10empty_typeEEEZZNS1_27merge_sort_block_merge_implIS3_PmPS5_jNS1_19radix_merge_compareILb0ELb1EmNS0_19identity_decomposerEEEEE10hipError_tT0_T1_T2_jT3_P12ihipStream_tbPNSt15iterator_traitsISE_E10value_typeEPNSK_ISF_E10value_typeEPSG_NS1_7vsmem_tEENKUlT_SE_SF_SG_E_clIS8_S8_S9_S9_EESD_ST_SE_SF_SG_EUlST_E0_NS1_11comp_targetILNS1_3genE5ELNS1_11target_archE942ELNS1_3gpuE9ELNS1_3repE0EEENS1_38merge_mergepath_config_static_selectorELNS0_4arch9wavefront6targetE1EEEvSF_.kd
    .uniform_work_group_size: 1
    .uses_dynamic_stack: false
    .vgpr_count:     0
    .vgpr_spill_count: 0
    .wavefront_size: 64
  - .agpr_count:     0
    .args:
      - .offset:         0
        .size:           72
        .value_kind:     by_value
      - .offset:         72
        .size:           4
        .value_kind:     hidden_block_count_x
      - .offset:         76
        .size:           4
        .value_kind:     hidden_block_count_y
      - .offset:         80
        .size:           4
        .value_kind:     hidden_block_count_z
      - .offset:         84
        .size:           2
        .value_kind:     hidden_group_size_x
      - .offset:         86
        .size:           2
        .value_kind:     hidden_group_size_y
      - .offset:         88
        .size:           2
        .value_kind:     hidden_group_size_z
      - .offset:         90
        .size:           2
        .value_kind:     hidden_remainder_x
      - .offset:         92
        .size:           2
        .value_kind:     hidden_remainder_y
      - .offset:         94
        .size:           2
        .value_kind:     hidden_remainder_z
      - .offset:         112
        .size:           8
        .value_kind:     hidden_global_offset_x
      - .offset:         120
        .size:           8
        .value_kind:     hidden_global_offset_y
      - .offset:         128
        .size:           8
        .value_kind:     hidden_global_offset_z
      - .offset:         136
        .size:           2
        .value_kind:     hidden_grid_dims
    .group_segment_fixed_size: 8448
    .kernarg_segment_align: 8
    .kernarg_segment_size: 328
    .language:       OpenCL C
    .language_version:
      - 2
      - 0
    .max_flat_workgroup_size: 256
    .name:           _ZN7rocprim17ROCPRIM_400000_NS6detail17trampoline_kernelINS0_14default_configENS1_38merge_sort_block_merge_config_selectorImNS0_10empty_typeEEEZZNS1_27merge_sort_block_merge_implIS3_PmPS5_jNS1_19radix_merge_compareILb0ELb1EmNS0_19identity_decomposerEEEEE10hipError_tT0_T1_T2_jT3_P12ihipStream_tbPNSt15iterator_traitsISE_E10value_typeEPNSK_ISF_E10value_typeEPSG_NS1_7vsmem_tEENKUlT_SE_SF_SG_E_clIS8_S8_S9_S9_EESD_ST_SE_SF_SG_EUlST_E0_NS1_11comp_targetILNS1_3genE4ELNS1_11target_archE910ELNS1_3gpuE8ELNS1_3repE0EEENS1_38merge_mergepath_config_static_selectorELNS0_4arch9wavefront6targetE1EEEvSF_
    .private_segment_fixed_size: 0
    .sgpr_count:     30
    .sgpr_spill_count: 0
    .symbol:         _ZN7rocprim17ROCPRIM_400000_NS6detail17trampoline_kernelINS0_14default_configENS1_38merge_sort_block_merge_config_selectorImNS0_10empty_typeEEEZZNS1_27merge_sort_block_merge_implIS3_PmPS5_jNS1_19radix_merge_compareILb0ELb1EmNS0_19identity_decomposerEEEEE10hipError_tT0_T1_T2_jT3_P12ihipStream_tbPNSt15iterator_traitsISE_E10value_typeEPNSK_ISF_E10value_typeEPSG_NS1_7vsmem_tEENKUlT_SE_SF_SG_E_clIS8_S8_S9_S9_EESD_ST_SE_SF_SG_EUlST_E0_NS1_11comp_targetILNS1_3genE4ELNS1_11target_archE910ELNS1_3gpuE8ELNS1_3repE0EEENS1_38merge_mergepath_config_static_selectorELNS0_4arch9wavefront6targetE1EEEvSF_.kd
    .uniform_work_group_size: 1
    .uses_dynamic_stack: false
    .vgpr_count:     23
    .vgpr_spill_count: 0
    .wavefront_size: 64
  - .agpr_count:     0
    .args:
      - .offset:         0
        .size:           72
        .value_kind:     by_value
    .group_segment_fixed_size: 0
    .kernarg_segment_align: 8
    .kernarg_segment_size: 72
    .language:       OpenCL C
    .language_version:
      - 2
      - 0
    .max_flat_workgroup_size: 128
    .name:           _ZN7rocprim17ROCPRIM_400000_NS6detail17trampoline_kernelINS0_14default_configENS1_38merge_sort_block_merge_config_selectorImNS0_10empty_typeEEEZZNS1_27merge_sort_block_merge_implIS3_PmPS5_jNS1_19radix_merge_compareILb0ELb1EmNS0_19identity_decomposerEEEEE10hipError_tT0_T1_T2_jT3_P12ihipStream_tbPNSt15iterator_traitsISE_E10value_typeEPNSK_ISF_E10value_typeEPSG_NS1_7vsmem_tEENKUlT_SE_SF_SG_E_clIS8_S8_S9_S9_EESD_ST_SE_SF_SG_EUlST_E0_NS1_11comp_targetILNS1_3genE3ELNS1_11target_archE908ELNS1_3gpuE7ELNS1_3repE0EEENS1_38merge_mergepath_config_static_selectorELNS0_4arch9wavefront6targetE1EEEvSF_
    .private_segment_fixed_size: 0
    .sgpr_count:     4
    .sgpr_spill_count: 0
    .symbol:         _ZN7rocprim17ROCPRIM_400000_NS6detail17trampoline_kernelINS0_14default_configENS1_38merge_sort_block_merge_config_selectorImNS0_10empty_typeEEEZZNS1_27merge_sort_block_merge_implIS3_PmPS5_jNS1_19radix_merge_compareILb0ELb1EmNS0_19identity_decomposerEEEEE10hipError_tT0_T1_T2_jT3_P12ihipStream_tbPNSt15iterator_traitsISE_E10value_typeEPNSK_ISF_E10value_typeEPSG_NS1_7vsmem_tEENKUlT_SE_SF_SG_E_clIS8_S8_S9_S9_EESD_ST_SE_SF_SG_EUlST_E0_NS1_11comp_targetILNS1_3genE3ELNS1_11target_archE908ELNS1_3gpuE7ELNS1_3repE0EEENS1_38merge_mergepath_config_static_selectorELNS0_4arch9wavefront6targetE1EEEvSF_.kd
    .uniform_work_group_size: 1
    .uses_dynamic_stack: false
    .vgpr_count:     0
    .vgpr_spill_count: 0
    .wavefront_size: 64
  - .agpr_count:     0
    .args:
      - .offset:         0
        .size:           72
        .value_kind:     by_value
    .group_segment_fixed_size: 0
    .kernarg_segment_align: 8
    .kernarg_segment_size: 72
    .language:       OpenCL C
    .language_version:
      - 2
      - 0
    .max_flat_workgroup_size: 256
    .name:           _ZN7rocprim17ROCPRIM_400000_NS6detail17trampoline_kernelINS0_14default_configENS1_38merge_sort_block_merge_config_selectorImNS0_10empty_typeEEEZZNS1_27merge_sort_block_merge_implIS3_PmPS5_jNS1_19radix_merge_compareILb0ELb1EmNS0_19identity_decomposerEEEEE10hipError_tT0_T1_T2_jT3_P12ihipStream_tbPNSt15iterator_traitsISE_E10value_typeEPNSK_ISF_E10value_typeEPSG_NS1_7vsmem_tEENKUlT_SE_SF_SG_E_clIS8_S8_S9_S9_EESD_ST_SE_SF_SG_EUlST_E0_NS1_11comp_targetILNS1_3genE2ELNS1_11target_archE906ELNS1_3gpuE6ELNS1_3repE0EEENS1_38merge_mergepath_config_static_selectorELNS0_4arch9wavefront6targetE1EEEvSF_
    .private_segment_fixed_size: 0
    .sgpr_count:     4
    .sgpr_spill_count: 0
    .symbol:         _ZN7rocprim17ROCPRIM_400000_NS6detail17trampoline_kernelINS0_14default_configENS1_38merge_sort_block_merge_config_selectorImNS0_10empty_typeEEEZZNS1_27merge_sort_block_merge_implIS3_PmPS5_jNS1_19radix_merge_compareILb0ELb1EmNS0_19identity_decomposerEEEEE10hipError_tT0_T1_T2_jT3_P12ihipStream_tbPNSt15iterator_traitsISE_E10value_typeEPNSK_ISF_E10value_typeEPSG_NS1_7vsmem_tEENKUlT_SE_SF_SG_E_clIS8_S8_S9_S9_EESD_ST_SE_SF_SG_EUlST_E0_NS1_11comp_targetILNS1_3genE2ELNS1_11target_archE906ELNS1_3gpuE6ELNS1_3repE0EEENS1_38merge_mergepath_config_static_selectorELNS0_4arch9wavefront6targetE1EEEvSF_.kd
    .uniform_work_group_size: 1
    .uses_dynamic_stack: false
    .vgpr_count:     0
    .vgpr_spill_count: 0
    .wavefront_size: 64
  - .agpr_count:     0
    .args:
      - .offset:         0
        .size:           72
        .value_kind:     by_value
    .group_segment_fixed_size: 0
    .kernarg_segment_align: 8
    .kernarg_segment_size: 72
    .language:       OpenCL C
    .language_version:
      - 2
      - 0
    .max_flat_workgroup_size: 512
    .name:           _ZN7rocprim17ROCPRIM_400000_NS6detail17trampoline_kernelINS0_14default_configENS1_38merge_sort_block_merge_config_selectorImNS0_10empty_typeEEEZZNS1_27merge_sort_block_merge_implIS3_PmPS5_jNS1_19radix_merge_compareILb0ELb1EmNS0_19identity_decomposerEEEEE10hipError_tT0_T1_T2_jT3_P12ihipStream_tbPNSt15iterator_traitsISE_E10value_typeEPNSK_ISF_E10value_typeEPSG_NS1_7vsmem_tEENKUlT_SE_SF_SG_E_clIS8_S8_S9_S9_EESD_ST_SE_SF_SG_EUlST_E0_NS1_11comp_targetILNS1_3genE9ELNS1_11target_archE1100ELNS1_3gpuE3ELNS1_3repE0EEENS1_38merge_mergepath_config_static_selectorELNS0_4arch9wavefront6targetE1EEEvSF_
    .private_segment_fixed_size: 0
    .sgpr_count:     4
    .sgpr_spill_count: 0
    .symbol:         _ZN7rocprim17ROCPRIM_400000_NS6detail17trampoline_kernelINS0_14default_configENS1_38merge_sort_block_merge_config_selectorImNS0_10empty_typeEEEZZNS1_27merge_sort_block_merge_implIS3_PmPS5_jNS1_19radix_merge_compareILb0ELb1EmNS0_19identity_decomposerEEEEE10hipError_tT0_T1_T2_jT3_P12ihipStream_tbPNSt15iterator_traitsISE_E10value_typeEPNSK_ISF_E10value_typeEPSG_NS1_7vsmem_tEENKUlT_SE_SF_SG_E_clIS8_S8_S9_S9_EESD_ST_SE_SF_SG_EUlST_E0_NS1_11comp_targetILNS1_3genE9ELNS1_11target_archE1100ELNS1_3gpuE3ELNS1_3repE0EEENS1_38merge_mergepath_config_static_selectorELNS0_4arch9wavefront6targetE1EEEvSF_.kd
    .uniform_work_group_size: 1
    .uses_dynamic_stack: false
    .vgpr_count:     0
    .vgpr_spill_count: 0
    .wavefront_size: 64
  - .agpr_count:     0
    .args:
      - .offset:         0
        .size:           72
        .value_kind:     by_value
    .group_segment_fixed_size: 0
    .kernarg_segment_align: 8
    .kernarg_segment_size: 72
    .language:       OpenCL C
    .language_version:
      - 2
      - 0
    .max_flat_workgroup_size: 1024
    .name:           _ZN7rocprim17ROCPRIM_400000_NS6detail17trampoline_kernelINS0_14default_configENS1_38merge_sort_block_merge_config_selectorImNS0_10empty_typeEEEZZNS1_27merge_sort_block_merge_implIS3_PmPS5_jNS1_19radix_merge_compareILb0ELb1EmNS0_19identity_decomposerEEEEE10hipError_tT0_T1_T2_jT3_P12ihipStream_tbPNSt15iterator_traitsISE_E10value_typeEPNSK_ISF_E10value_typeEPSG_NS1_7vsmem_tEENKUlT_SE_SF_SG_E_clIS8_S8_S9_S9_EESD_ST_SE_SF_SG_EUlST_E0_NS1_11comp_targetILNS1_3genE8ELNS1_11target_archE1030ELNS1_3gpuE2ELNS1_3repE0EEENS1_38merge_mergepath_config_static_selectorELNS0_4arch9wavefront6targetE1EEEvSF_
    .private_segment_fixed_size: 0
    .sgpr_count:     4
    .sgpr_spill_count: 0
    .symbol:         _ZN7rocprim17ROCPRIM_400000_NS6detail17trampoline_kernelINS0_14default_configENS1_38merge_sort_block_merge_config_selectorImNS0_10empty_typeEEEZZNS1_27merge_sort_block_merge_implIS3_PmPS5_jNS1_19radix_merge_compareILb0ELb1EmNS0_19identity_decomposerEEEEE10hipError_tT0_T1_T2_jT3_P12ihipStream_tbPNSt15iterator_traitsISE_E10value_typeEPNSK_ISF_E10value_typeEPSG_NS1_7vsmem_tEENKUlT_SE_SF_SG_E_clIS8_S8_S9_S9_EESD_ST_SE_SF_SG_EUlST_E0_NS1_11comp_targetILNS1_3genE8ELNS1_11target_archE1030ELNS1_3gpuE2ELNS1_3repE0EEENS1_38merge_mergepath_config_static_selectorELNS0_4arch9wavefront6targetE1EEEvSF_.kd
    .uniform_work_group_size: 1
    .uses_dynamic_stack: false
    .vgpr_count:     0
    .vgpr_spill_count: 0
    .wavefront_size: 64
  - .agpr_count:     0
    .args:
      - .offset:         0
        .size:           48
        .value_kind:     by_value
    .group_segment_fixed_size: 0
    .kernarg_segment_align: 8
    .kernarg_segment_size: 48
    .language:       OpenCL C
    .language_version:
      - 2
      - 0
    .max_flat_workgroup_size: 256
    .name:           _ZN7rocprim17ROCPRIM_400000_NS6detail17trampoline_kernelINS0_14default_configENS1_38merge_sort_block_merge_config_selectorImNS0_10empty_typeEEEZZNS1_27merge_sort_block_merge_implIS3_PmPS5_jNS1_19radix_merge_compareILb0ELb1EmNS0_19identity_decomposerEEEEE10hipError_tT0_T1_T2_jT3_P12ihipStream_tbPNSt15iterator_traitsISE_E10value_typeEPNSK_ISF_E10value_typeEPSG_NS1_7vsmem_tEENKUlT_SE_SF_SG_E_clIS8_S8_S9_S9_EESD_ST_SE_SF_SG_EUlST_E1_NS1_11comp_targetILNS1_3genE0ELNS1_11target_archE4294967295ELNS1_3gpuE0ELNS1_3repE0EEENS1_36merge_oddeven_config_static_selectorELNS0_4arch9wavefront6targetE1EEEvSF_
    .private_segment_fixed_size: 0
    .sgpr_count:     4
    .sgpr_spill_count: 0
    .symbol:         _ZN7rocprim17ROCPRIM_400000_NS6detail17trampoline_kernelINS0_14default_configENS1_38merge_sort_block_merge_config_selectorImNS0_10empty_typeEEEZZNS1_27merge_sort_block_merge_implIS3_PmPS5_jNS1_19radix_merge_compareILb0ELb1EmNS0_19identity_decomposerEEEEE10hipError_tT0_T1_T2_jT3_P12ihipStream_tbPNSt15iterator_traitsISE_E10value_typeEPNSK_ISF_E10value_typeEPSG_NS1_7vsmem_tEENKUlT_SE_SF_SG_E_clIS8_S8_S9_S9_EESD_ST_SE_SF_SG_EUlST_E1_NS1_11comp_targetILNS1_3genE0ELNS1_11target_archE4294967295ELNS1_3gpuE0ELNS1_3repE0EEENS1_36merge_oddeven_config_static_selectorELNS0_4arch9wavefront6targetE1EEEvSF_.kd
    .uniform_work_group_size: 1
    .uses_dynamic_stack: false
    .vgpr_count:     0
    .vgpr_spill_count: 0
    .wavefront_size: 64
  - .agpr_count:     0
    .args:
      - .offset:         0
        .size:           48
        .value_kind:     by_value
    .group_segment_fixed_size: 0
    .kernarg_segment_align: 8
    .kernarg_segment_size: 48
    .language:       OpenCL C
    .language_version:
      - 2
      - 0
    .max_flat_workgroup_size: 256
    .name:           _ZN7rocprim17ROCPRIM_400000_NS6detail17trampoline_kernelINS0_14default_configENS1_38merge_sort_block_merge_config_selectorImNS0_10empty_typeEEEZZNS1_27merge_sort_block_merge_implIS3_PmPS5_jNS1_19radix_merge_compareILb0ELb1EmNS0_19identity_decomposerEEEEE10hipError_tT0_T1_T2_jT3_P12ihipStream_tbPNSt15iterator_traitsISE_E10value_typeEPNSK_ISF_E10value_typeEPSG_NS1_7vsmem_tEENKUlT_SE_SF_SG_E_clIS8_S8_S9_S9_EESD_ST_SE_SF_SG_EUlST_E1_NS1_11comp_targetILNS1_3genE10ELNS1_11target_archE1201ELNS1_3gpuE5ELNS1_3repE0EEENS1_36merge_oddeven_config_static_selectorELNS0_4arch9wavefront6targetE1EEEvSF_
    .private_segment_fixed_size: 0
    .sgpr_count:     4
    .sgpr_spill_count: 0
    .symbol:         _ZN7rocprim17ROCPRIM_400000_NS6detail17trampoline_kernelINS0_14default_configENS1_38merge_sort_block_merge_config_selectorImNS0_10empty_typeEEEZZNS1_27merge_sort_block_merge_implIS3_PmPS5_jNS1_19radix_merge_compareILb0ELb1EmNS0_19identity_decomposerEEEEE10hipError_tT0_T1_T2_jT3_P12ihipStream_tbPNSt15iterator_traitsISE_E10value_typeEPNSK_ISF_E10value_typeEPSG_NS1_7vsmem_tEENKUlT_SE_SF_SG_E_clIS8_S8_S9_S9_EESD_ST_SE_SF_SG_EUlST_E1_NS1_11comp_targetILNS1_3genE10ELNS1_11target_archE1201ELNS1_3gpuE5ELNS1_3repE0EEENS1_36merge_oddeven_config_static_selectorELNS0_4arch9wavefront6targetE1EEEvSF_.kd
    .uniform_work_group_size: 1
    .uses_dynamic_stack: false
    .vgpr_count:     0
    .vgpr_spill_count: 0
    .wavefront_size: 64
  - .agpr_count:     0
    .args:
      - .offset:         0
        .size:           48
        .value_kind:     by_value
    .group_segment_fixed_size: 0
    .kernarg_segment_align: 8
    .kernarg_segment_size: 48
    .language:       OpenCL C
    .language_version:
      - 2
      - 0
    .max_flat_workgroup_size: 256
    .name:           _ZN7rocprim17ROCPRIM_400000_NS6detail17trampoline_kernelINS0_14default_configENS1_38merge_sort_block_merge_config_selectorImNS0_10empty_typeEEEZZNS1_27merge_sort_block_merge_implIS3_PmPS5_jNS1_19radix_merge_compareILb0ELb1EmNS0_19identity_decomposerEEEEE10hipError_tT0_T1_T2_jT3_P12ihipStream_tbPNSt15iterator_traitsISE_E10value_typeEPNSK_ISF_E10value_typeEPSG_NS1_7vsmem_tEENKUlT_SE_SF_SG_E_clIS8_S8_S9_S9_EESD_ST_SE_SF_SG_EUlST_E1_NS1_11comp_targetILNS1_3genE5ELNS1_11target_archE942ELNS1_3gpuE9ELNS1_3repE0EEENS1_36merge_oddeven_config_static_selectorELNS0_4arch9wavefront6targetE1EEEvSF_
    .private_segment_fixed_size: 0
    .sgpr_count:     4
    .sgpr_spill_count: 0
    .symbol:         _ZN7rocprim17ROCPRIM_400000_NS6detail17trampoline_kernelINS0_14default_configENS1_38merge_sort_block_merge_config_selectorImNS0_10empty_typeEEEZZNS1_27merge_sort_block_merge_implIS3_PmPS5_jNS1_19radix_merge_compareILb0ELb1EmNS0_19identity_decomposerEEEEE10hipError_tT0_T1_T2_jT3_P12ihipStream_tbPNSt15iterator_traitsISE_E10value_typeEPNSK_ISF_E10value_typeEPSG_NS1_7vsmem_tEENKUlT_SE_SF_SG_E_clIS8_S8_S9_S9_EESD_ST_SE_SF_SG_EUlST_E1_NS1_11comp_targetILNS1_3genE5ELNS1_11target_archE942ELNS1_3gpuE9ELNS1_3repE0EEENS1_36merge_oddeven_config_static_selectorELNS0_4arch9wavefront6targetE1EEEvSF_.kd
    .uniform_work_group_size: 1
    .uses_dynamic_stack: false
    .vgpr_count:     0
    .vgpr_spill_count: 0
    .wavefront_size: 64
  - .agpr_count:     0
    .args:
      - .offset:         0
        .size:           48
        .value_kind:     by_value
    .group_segment_fixed_size: 0
    .kernarg_segment_align: 8
    .kernarg_segment_size: 48
    .language:       OpenCL C
    .language_version:
      - 2
      - 0
    .max_flat_workgroup_size: 256
    .name:           _ZN7rocprim17ROCPRIM_400000_NS6detail17trampoline_kernelINS0_14default_configENS1_38merge_sort_block_merge_config_selectorImNS0_10empty_typeEEEZZNS1_27merge_sort_block_merge_implIS3_PmPS5_jNS1_19radix_merge_compareILb0ELb1EmNS0_19identity_decomposerEEEEE10hipError_tT0_T1_T2_jT3_P12ihipStream_tbPNSt15iterator_traitsISE_E10value_typeEPNSK_ISF_E10value_typeEPSG_NS1_7vsmem_tEENKUlT_SE_SF_SG_E_clIS8_S8_S9_S9_EESD_ST_SE_SF_SG_EUlST_E1_NS1_11comp_targetILNS1_3genE4ELNS1_11target_archE910ELNS1_3gpuE8ELNS1_3repE0EEENS1_36merge_oddeven_config_static_selectorELNS0_4arch9wavefront6targetE1EEEvSF_
    .private_segment_fixed_size: 0
    .sgpr_count:     25
    .sgpr_spill_count: 0
    .symbol:         _ZN7rocprim17ROCPRIM_400000_NS6detail17trampoline_kernelINS0_14default_configENS1_38merge_sort_block_merge_config_selectorImNS0_10empty_typeEEEZZNS1_27merge_sort_block_merge_implIS3_PmPS5_jNS1_19radix_merge_compareILb0ELb1EmNS0_19identity_decomposerEEEEE10hipError_tT0_T1_T2_jT3_P12ihipStream_tbPNSt15iterator_traitsISE_E10value_typeEPNSK_ISF_E10value_typeEPSG_NS1_7vsmem_tEENKUlT_SE_SF_SG_E_clIS8_S8_S9_S9_EESD_ST_SE_SF_SG_EUlST_E1_NS1_11comp_targetILNS1_3genE4ELNS1_11target_archE910ELNS1_3gpuE8ELNS1_3repE0EEENS1_36merge_oddeven_config_static_selectorELNS0_4arch9wavefront6targetE1EEEvSF_.kd
    .uniform_work_group_size: 1
    .uses_dynamic_stack: false
    .vgpr_count:     14
    .vgpr_spill_count: 0
    .wavefront_size: 64
  - .agpr_count:     0
    .args:
      - .offset:         0
        .size:           48
        .value_kind:     by_value
    .group_segment_fixed_size: 0
    .kernarg_segment_align: 8
    .kernarg_segment_size: 48
    .language:       OpenCL C
    .language_version:
      - 2
      - 0
    .max_flat_workgroup_size: 256
    .name:           _ZN7rocprim17ROCPRIM_400000_NS6detail17trampoline_kernelINS0_14default_configENS1_38merge_sort_block_merge_config_selectorImNS0_10empty_typeEEEZZNS1_27merge_sort_block_merge_implIS3_PmPS5_jNS1_19radix_merge_compareILb0ELb1EmNS0_19identity_decomposerEEEEE10hipError_tT0_T1_T2_jT3_P12ihipStream_tbPNSt15iterator_traitsISE_E10value_typeEPNSK_ISF_E10value_typeEPSG_NS1_7vsmem_tEENKUlT_SE_SF_SG_E_clIS8_S8_S9_S9_EESD_ST_SE_SF_SG_EUlST_E1_NS1_11comp_targetILNS1_3genE3ELNS1_11target_archE908ELNS1_3gpuE7ELNS1_3repE0EEENS1_36merge_oddeven_config_static_selectorELNS0_4arch9wavefront6targetE1EEEvSF_
    .private_segment_fixed_size: 0
    .sgpr_count:     4
    .sgpr_spill_count: 0
    .symbol:         _ZN7rocprim17ROCPRIM_400000_NS6detail17trampoline_kernelINS0_14default_configENS1_38merge_sort_block_merge_config_selectorImNS0_10empty_typeEEEZZNS1_27merge_sort_block_merge_implIS3_PmPS5_jNS1_19radix_merge_compareILb0ELb1EmNS0_19identity_decomposerEEEEE10hipError_tT0_T1_T2_jT3_P12ihipStream_tbPNSt15iterator_traitsISE_E10value_typeEPNSK_ISF_E10value_typeEPSG_NS1_7vsmem_tEENKUlT_SE_SF_SG_E_clIS8_S8_S9_S9_EESD_ST_SE_SF_SG_EUlST_E1_NS1_11comp_targetILNS1_3genE3ELNS1_11target_archE908ELNS1_3gpuE7ELNS1_3repE0EEENS1_36merge_oddeven_config_static_selectorELNS0_4arch9wavefront6targetE1EEEvSF_.kd
    .uniform_work_group_size: 1
    .uses_dynamic_stack: false
    .vgpr_count:     0
    .vgpr_spill_count: 0
    .wavefront_size: 64
  - .agpr_count:     0
    .args:
      - .offset:         0
        .size:           48
        .value_kind:     by_value
    .group_segment_fixed_size: 0
    .kernarg_segment_align: 8
    .kernarg_segment_size: 48
    .language:       OpenCL C
    .language_version:
      - 2
      - 0
    .max_flat_workgroup_size: 256
    .name:           _ZN7rocprim17ROCPRIM_400000_NS6detail17trampoline_kernelINS0_14default_configENS1_38merge_sort_block_merge_config_selectorImNS0_10empty_typeEEEZZNS1_27merge_sort_block_merge_implIS3_PmPS5_jNS1_19radix_merge_compareILb0ELb1EmNS0_19identity_decomposerEEEEE10hipError_tT0_T1_T2_jT3_P12ihipStream_tbPNSt15iterator_traitsISE_E10value_typeEPNSK_ISF_E10value_typeEPSG_NS1_7vsmem_tEENKUlT_SE_SF_SG_E_clIS8_S8_S9_S9_EESD_ST_SE_SF_SG_EUlST_E1_NS1_11comp_targetILNS1_3genE2ELNS1_11target_archE906ELNS1_3gpuE6ELNS1_3repE0EEENS1_36merge_oddeven_config_static_selectorELNS0_4arch9wavefront6targetE1EEEvSF_
    .private_segment_fixed_size: 0
    .sgpr_count:     4
    .sgpr_spill_count: 0
    .symbol:         _ZN7rocprim17ROCPRIM_400000_NS6detail17trampoline_kernelINS0_14default_configENS1_38merge_sort_block_merge_config_selectorImNS0_10empty_typeEEEZZNS1_27merge_sort_block_merge_implIS3_PmPS5_jNS1_19radix_merge_compareILb0ELb1EmNS0_19identity_decomposerEEEEE10hipError_tT0_T1_T2_jT3_P12ihipStream_tbPNSt15iterator_traitsISE_E10value_typeEPNSK_ISF_E10value_typeEPSG_NS1_7vsmem_tEENKUlT_SE_SF_SG_E_clIS8_S8_S9_S9_EESD_ST_SE_SF_SG_EUlST_E1_NS1_11comp_targetILNS1_3genE2ELNS1_11target_archE906ELNS1_3gpuE6ELNS1_3repE0EEENS1_36merge_oddeven_config_static_selectorELNS0_4arch9wavefront6targetE1EEEvSF_.kd
    .uniform_work_group_size: 1
    .uses_dynamic_stack: false
    .vgpr_count:     0
    .vgpr_spill_count: 0
    .wavefront_size: 64
  - .agpr_count:     0
    .args:
      - .offset:         0
        .size:           48
        .value_kind:     by_value
    .group_segment_fixed_size: 0
    .kernarg_segment_align: 8
    .kernarg_segment_size: 48
    .language:       OpenCL C
    .language_version:
      - 2
      - 0
    .max_flat_workgroup_size: 256
    .name:           _ZN7rocprim17ROCPRIM_400000_NS6detail17trampoline_kernelINS0_14default_configENS1_38merge_sort_block_merge_config_selectorImNS0_10empty_typeEEEZZNS1_27merge_sort_block_merge_implIS3_PmPS5_jNS1_19radix_merge_compareILb0ELb1EmNS0_19identity_decomposerEEEEE10hipError_tT0_T1_T2_jT3_P12ihipStream_tbPNSt15iterator_traitsISE_E10value_typeEPNSK_ISF_E10value_typeEPSG_NS1_7vsmem_tEENKUlT_SE_SF_SG_E_clIS8_S8_S9_S9_EESD_ST_SE_SF_SG_EUlST_E1_NS1_11comp_targetILNS1_3genE9ELNS1_11target_archE1100ELNS1_3gpuE3ELNS1_3repE0EEENS1_36merge_oddeven_config_static_selectorELNS0_4arch9wavefront6targetE1EEEvSF_
    .private_segment_fixed_size: 0
    .sgpr_count:     4
    .sgpr_spill_count: 0
    .symbol:         _ZN7rocprim17ROCPRIM_400000_NS6detail17trampoline_kernelINS0_14default_configENS1_38merge_sort_block_merge_config_selectorImNS0_10empty_typeEEEZZNS1_27merge_sort_block_merge_implIS3_PmPS5_jNS1_19radix_merge_compareILb0ELb1EmNS0_19identity_decomposerEEEEE10hipError_tT0_T1_T2_jT3_P12ihipStream_tbPNSt15iterator_traitsISE_E10value_typeEPNSK_ISF_E10value_typeEPSG_NS1_7vsmem_tEENKUlT_SE_SF_SG_E_clIS8_S8_S9_S9_EESD_ST_SE_SF_SG_EUlST_E1_NS1_11comp_targetILNS1_3genE9ELNS1_11target_archE1100ELNS1_3gpuE3ELNS1_3repE0EEENS1_36merge_oddeven_config_static_selectorELNS0_4arch9wavefront6targetE1EEEvSF_.kd
    .uniform_work_group_size: 1
    .uses_dynamic_stack: false
    .vgpr_count:     0
    .vgpr_spill_count: 0
    .wavefront_size: 64
  - .agpr_count:     0
    .args:
      - .offset:         0
        .size:           48
        .value_kind:     by_value
    .group_segment_fixed_size: 0
    .kernarg_segment_align: 8
    .kernarg_segment_size: 48
    .language:       OpenCL C
    .language_version:
      - 2
      - 0
    .max_flat_workgroup_size: 256
    .name:           _ZN7rocprim17ROCPRIM_400000_NS6detail17trampoline_kernelINS0_14default_configENS1_38merge_sort_block_merge_config_selectorImNS0_10empty_typeEEEZZNS1_27merge_sort_block_merge_implIS3_PmPS5_jNS1_19radix_merge_compareILb0ELb1EmNS0_19identity_decomposerEEEEE10hipError_tT0_T1_T2_jT3_P12ihipStream_tbPNSt15iterator_traitsISE_E10value_typeEPNSK_ISF_E10value_typeEPSG_NS1_7vsmem_tEENKUlT_SE_SF_SG_E_clIS8_S8_S9_S9_EESD_ST_SE_SF_SG_EUlST_E1_NS1_11comp_targetILNS1_3genE8ELNS1_11target_archE1030ELNS1_3gpuE2ELNS1_3repE0EEENS1_36merge_oddeven_config_static_selectorELNS0_4arch9wavefront6targetE1EEEvSF_
    .private_segment_fixed_size: 0
    .sgpr_count:     4
    .sgpr_spill_count: 0
    .symbol:         _ZN7rocprim17ROCPRIM_400000_NS6detail17trampoline_kernelINS0_14default_configENS1_38merge_sort_block_merge_config_selectorImNS0_10empty_typeEEEZZNS1_27merge_sort_block_merge_implIS3_PmPS5_jNS1_19radix_merge_compareILb0ELb1EmNS0_19identity_decomposerEEEEE10hipError_tT0_T1_T2_jT3_P12ihipStream_tbPNSt15iterator_traitsISE_E10value_typeEPNSK_ISF_E10value_typeEPSG_NS1_7vsmem_tEENKUlT_SE_SF_SG_E_clIS8_S8_S9_S9_EESD_ST_SE_SF_SG_EUlST_E1_NS1_11comp_targetILNS1_3genE8ELNS1_11target_archE1030ELNS1_3gpuE2ELNS1_3repE0EEENS1_36merge_oddeven_config_static_selectorELNS0_4arch9wavefront6targetE1EEEvSF_.kd
    .uniform_work_group_size: 1
    .uses_dynamic_stack: false
    .vgpr_count:     0
    .vgpr_spill_count: 0
    .wavefront_size: 64
  - .agpr_count:     0
    .args:
      - .offset:         0
        .size:           48
        .value_kind:     by_value
    .group_segment_fixed_size: 0
    .kernarg_segment_align: 8
    .kernarg_segment_size: 48
    .language:       OpenCL C
    .language_version:
      - 2
      - 0
    .max_flat_workgroup_size: 512
    .name:           _ZN7rocprim17ROCPRIM_400000_NS6detail17trampoline_kernelINS0_14default_configENS1_35radix_sort_onesweep_config_selectorImNS0_10empty_typeEEEZNS1_34radix_sort_onesweep_global_offsetsIS3_Lb0EPmPS5_mNS0_19identity_decomposerEEE10hipError_tT1_T2_PT3_SE_jT4_jjP12ihipStream_tbEUlT_E_NS1_11comp_targetILNS1_3genE0ELNS1_11target_archE4294967295ELNS1_3gpuE0ELNS1_3repE0EEENS1_52radix_sort_onesweep_histogram_config_static_selectorELNS0_4arch9wavefront6targetE1EEEvSC_
    .private_segment_fixed_size: 0
    .sgpr_count:     4
    .sgpr_spill_count: 0
    .symbol:         _ZN7rocprim17ROCPRIM_400000_NS6detail17trampoline_kernelINS0_14default_configENS1_35radix_sort_onesweep_config_selectorImNS0_10empty_typeEEEZNS1_34radix_sort_onesweep_global_offsetsIS3_Lb0EPmPS5_mNS0_19identity_decomposerEEE10hipError_tT1_T2_PT3_SE_jT4_jjP12ihipStream_tbEUlT_E_NS1_11comp_targetILNS1_3genE0ELNS1_11target_archE4294967295ELNS1_3gpuE0ELNS1_3repE0EEENS1_52radix_sort_onesweep_histogram_config_static_selectorELNS0_4arch9wavefront6targetE1EEEvSC_.kd
    .uniform_work_group_size: 1
    .uses_dynamic_stack: false
    .vgpr_count:     0
    .vgpr_spill_count: 0
    .wavefront_size: 64
  - .agpr_count:     0
    .args:
      - .offset:         0
        .size:           48
        .value_kind:     by_value
    .group_segment_fixed_size: 0
    .kernarg_segment_align: 8
    .kernarg_segment_size: 48
    .language:       OpenCL C
    .language_version:
      - 2
      - 0
    .max_flat_workgroup_size: 512
    .name:           _ZN7rocprim17ROCPRIM_400000_NS6detail17trampoline_kernelINS0_14default_configENS1_35radix_sort_onesweep_config_selectorImNS0_10empty_typeEEEZNS1_34radix_sort_onesweep_global_offsetsIS3_Lb0EPmPS5_mNS0_19identity_decomposerEEE10hipError_tT1_T2_PT3_SE_jT4_jjP12ihipStream_tbEUlT_E_NS1_11comp_targetILNS1_3genE6ELNS1_11target_archE950ELNS1_3gpuE13ELNS1_3repE0EEENS1_52radix_sort_onesweep_histogram_config_static_selectorELNS0_4arch9wavefront6targetE1EEEvSC_
    .private_segment_fixed_size: 0
    .sgpr_count:     4
    .sgpr_spill_count: 0
    .symbol:         _ZN7rocprim17ROCPRIM_400000_NS6detail17trampoline_kernelINS0_14default_configENS1_35radix_sort_onesweep_config_selectorImNS0_10empty_typeEEEZNS1_34radix_sort_onesweep_global_offsetsIS3_Lb0EPmPS5_mNS0_19identity_decomposerEEE10hipError_tT1_T2_PT3_SE_jT4_jjP12ihipStream_tbEUlT_E_NS1_11comp_targetILNS1_3genE6ELNS1_11target_archE950ELNS1_3gpuE13ELNS1_3repE0EEENS1_52radix_sort_onesweep_histogram_config_static_selectorELNS0_4arch9wavefront6targetE1EEEvSC_.kd
    .uniform_work_group_size: 1
    .uses_dynamic_stack: false
    .vgpr_count:     0
    .vgpr_spill_count: 0
    .wavefront_size: 64
  - .agpr_count:     0
    .args:
      - .offset:         0
        .size:           48
        .value_kind:     by_value
    .group_segment_fixed_size: 0
    .kernarg_segment_align: 8
    .kernarg_segment_size: 48
    .language:       OpenCL C
    .language_version:
      - 2
      - 0
    .max_flat_workgroup_size: 512
    .name:           _ZN7rocprim17ROCPRIM_400000_NS6detail17trampoline_kernelINS0_14default_configENS1_35radix_sort_onesweep_config_selectorImNS0_10empty_typeEEEZNS1_34radix_sort_onesweep_global_offsetsIS3_Lb0EPmPS5_mNS0_19identity_decomposerEEE10hipError_tT1_T2_PT3_SE_jT4_jjP12ihipStream_tbEUlT_E_NS1_11comp_targetILNS1_3genE5ELNS1_11target_archE942ELNS1_3gpuE9ELNS1_3repE0EEENS1_52radix_sort_onesweep_histogram_config_static_selectorELNS0_4arch9wavefront6targetE1EEEvSC_
    .private_segment_fixed_size: 0
    .sgpr_count:     4
    .sgpr_spill_count: 0
    .symbol:         _ZN7rocprim17ROCPRIM_400000_NS6detail17trampoline_kernelINS0_14default_configENS1_35radix_sort_onesweep_config_selectorImNS0_10empty_typeEEEZNS1_34radix_sort_onesweep_global_offsetsIS3_Lb0EPmPS5_mNS0_19identity_decomposerEEE10hipError_tT1_T2_PT3_SE_jT4_jjP12ihipStream_tbEUlT_E_NS1_11comp_targetILNS1_3genE5ELNS1_11target_archE942ELNS1_3gpuE9ELNS1_3repE0EEENS1_52radix_sort_onesweep_histogram_config_static_selectorELNS0_4arch9wavefront6targetE1EEEvSC_.kd
    .uniform_work_group_size: 1
    .uses_dynamic_stack: false
    .vgpr_count:     0
    .vgpr_spill_count: 0
    .wavefront_size: 64
  - .agpr_count:     0
    .args:
      - .offset:         0
        .size:           48
        .value_kind:     by_value
    .group_segment_fixed_size: 0
    .kernarg_segment_align: 8
    .kernarg_segment_size: 48
    .language:       OpenCL C
    .language_version:
      - 2
      - 0
    .max_flat_workgroup_size: 512
    .name:           _ZN7rocprim17ROCPRIM_400000_NS6detail17trampoline_kernelINS0_14default_configENS1_35radix_sort_onesweep_config_selectorImNS0_10empty_typeEEEZNS1_34radix_sort_onesweep_global_offsetsIS3_Lb0EPmPS5_mNS0_19identity_decomposerEEE10hipError_tT1_T2_PT3_SE_jT4_jjP12ihipStream_tbEUlT_E_NS1_11comp_targetILNS1_3genE2ELNS1_11target_archE906ELNS1_3gpuE6ELNS1_3repE0EEENS1_52radix_sort_onesweep_histogram_config_static_selectorELNS0_4arch9wavefront6targetE1EEEvSC_
    .private_segment_fixed_size: 0
    .sgpr_count:     4
    .sgpr_spill_count: 0
    .symbol:         _ZN7rocprim17ROCPRIM_400000_NS6detail17trampoline_kernelINS0_14default_configENS1_35radix_sort_onesweep_config_selectorImNS0_10empty_typeEEEZNS1_34radix_sort_onesweep_global_offsetsIS3_Lb0EPmPS5_mNS0_19identity_decomposerEEE10hipError_tT1_T2_PT3_SE_jT4_jjP12ihipStream_tbEUlT_E_NS1_11comp_targetILNS1_3genE2ELNS1_11target_archE906ELNS1_3gpuE6ELNS1_3repE0EEENS1_52radix_sort_onesweep_histogram_config_static_selectorELNS0_4arch9wavefront6targetE1EEEvSC_.kd
    .uniform_work_group_size: 1
    .uses_dynamic_stack: false
    .vgpr_count:     0
    .vgpr_spill_count: 0
    .wavefront_size: 64
  - .agpr_count:     0
    .args:
      - .offset:         0
        .size:           48
        .value_kind:     by_value
    .group_segment_fixed_size: 32768
    .kernarg_segment_align: 8
    .kernarg_segment_size: 48
    .language:       OpenCL C
    .language_version:
      - 2
      - 0
    .max_flat_workgroup_size: 1024
    .name:           _ZN7rocprim17ROCPRIM_400000_NS6detail17trampoline_kernelINS0_14default_configENS1_35radix_sort_onesweep_config_selectorImNS0_10empty_typeEEEZNS1_34radix_sort_onesweep_global_offsetsIS3_Lb0EPmPS5_mNS0_19identity_decomposerEEE10hipError_tT1_T2_PT3_SE_jT4_jjP12ihipStream_tbEUlT_E_NS1_11comp_targetILNS1_3genE4ELNS1_11target_archE910ELNS1_3gpuE8ELNS1_3repE0EEENS1_52radix_sort_onesweep_histogram_config_static_selectorELNS0_4arch9wavefront6targetE1EEEvSC_
    .private_segment_fixed_size: 0
    .sgpr_count:     22
    .sgpr_spill_count: 0
    .symbol:         _ZN7rocprim17ROCPRIM_400000_NS6detail17trampoline_kernelINS0_14default_configENS1_35radix_sort_onesweep_config_selectorImNS0_10empty_typeEEEZNS1_34radix_sort_onesweep_global_offsetsIS3_Lb0EPmPS5_mNS0_19identity_decomposerEEE10hipError_tT1_T2_PT3_SE_jT4_jjP12ihipStream_tbEUlT_E_NS1_11comp_targetILNS1_3genE4ELNS1_11target_archE910ELNS1_3gpuE8ELNS1_3repE0EEENS1_52radix_sort_onesweep_histogram_config_static_selectorELNS0_4arch9wavefront6targetE1EEEvSC_.kd
    .uniform_work_group_size: 1
    .uses_dynamic_stack: false
    .vgpr_count:     29
    .vgpr_spill_count: 0
    .wavefront_size: 64
  - .agpr_count:     0
    .args:
      - .offset:         0
        .size:           48
        .value_kind:     by_value
    .group_segment_fixed_size: 0
    .kernarg_segment_align: 8
    .kernarg_segment_size: 48
    .language:       OpenCL C
    .language_version:
      - 2
      - 0
    .max_flat_workgroup_size: 512
    .name:           _ZN7rocprim17ROCPRIM_400000_NS6detail17trampoline_kernelINS0_14default_configENS1_35radix_sort_onesweep_config_selectorImNS0_10empty_typeEEEZNS1_34radix_sort_onesweep_global_offsetsIS3_Lb0EPmPS5_mNS0_19identity_decomposerEEE10hipError_tT1_T2_PT3_SE_jT4_jjP12ihipStream_tbEUlT_E_NS1_11comp_targetILNS1_3genE3ELNS1_11target_archE908ELNS1_3gpuE7ELNS1_3repE0EEENS1_52radix_sort_onesweep_histogram_config_static_selectorELNS0_4arch9wavefront6targetE1EEEvSC_
    .private_segment_fixed_size: 0
    .sgpr_count:     4
    .sgpr_spill_count: 0
    .symbol:         _ZN7rocprim17ROCPRIM_400000_NS6detail17trampoline_kernelINS0_14default_configENS1_35radix_sort_onesweep_config_selectorImNS0_10empty_typeEEEZNS1_34radix_sort_onesweep_global_offsetsIS3_Lb0EPmPS5_mNS0_19identity_decomposerEEE10hipError_tT1_T2_PT3_SE_jT4_jjP12ihipStream_tbEUlT_E_NS1_11comp_targetILNS1_3genE3ELNS1_11target_archE908ELNS1_3gpuE7ELNS1_3repE0EEENS1_52radix_sort_onesweep_histogram_config_static_selectorELNS0_4arch9wavefront6targetE1EEEvSC_.kd
    .uniform_work_group_size: 1
    .uses_dynamic_stack: false
    .vgpr_count:     0
    .vgpr_spill_count: 0
    .wavefront_size: 64
  - .agpr_count:     0
    .args:
      - .offset:         0
        .size:           48
        .value_kind:     by_value
    .group_segment_fixed_size: 0
    .kernarg_segment_align: 8
    .kernarg_segment_size: 48
    .language:       OpenCL C
    .language_version:
      - 2
      - 0
    .max_flat_workgroup_size: 512
    .name:           _ZN7rocprim17ROCPRIM_400000_NS6detail17trampoline_kernelINS0_14default_configENS1_35radix_sort_onesweep_config_selectorImNS0_10empty_typeEEEZNS1_34radix_sort_onesweep_global_offsetsIS3_Lb0EPmPS5_mNS0_19identity_decomposerEEE10hipError_tT1_T2_PT3_SE_jT4_jjP12ihipStream_tbEUlT_E_NS1_11comp_targetILNS1_3genE10ELNS1_11target_archE1201ELNS1_3gpuE5ELNS1_3repE0EEENS1_52radix_sort_onesweep_histogram_config_static_selectorELNS0_4arch9wavefront6targetE1EEEvSC_
    .private_segment_fixed_size: 0
    .sgpr_count:     4
    .sgpr_spill_count: 0
    .symbol:         _ZN7rocprim17ROCPRIM_400000_NS6detail17trampoline_kernelINS0_14default_configENS1_35radix_sort_onesweep_config_selectorImNS0_10empty_typeEEEZNS1_34radix_sort_onesweep_global_offsetsIS3_Lb0EPmPS5_mNS0_19identity_decomposerEEE10hipError_tT1_T2_PT3_SE_jT4_jjP12ihipStream_tbEUlT_E_NS1_11comp_targetILNS1_3genE10ELNS1_11target_archE1201ELNS1_3gpuE5ELNS1_3repE0EEENS1_52radix_sort_onesweep_histogram_config_static_selectorELNS0_4arch9wavefront6targetE1EEEvSC_.kd
    .uniform_work_group_size: 1
    .uses_dynamic_stack: false
    .vgpr_count:     0
    .vgpr_spill_count: 0
    .wavefront_size: 64
  - .agpr_count:     0
    .args:
      - .offset:         0
        .size:           48
        .value_kind:     by_value
    .group_segment_fixed_size: 0
    .kernarg_segment_align: 8
    .kernarg_segment_size: 48
    .language:       OpenCL C
    .language_version:
      - 2
      - 0
    .max_flat_workgroup_size: 1024
    .name:           _ZN7rocprim17ROCPRIM_400000_NS6detail17trampoline_kernelINS0_14default_configENS1_35radix_sort_onesweep_config_selectorImNS0_10empty_typeEEEZNS1_34radix_sort_onesweep_global_offsetsIS3_Lb0EPmPS5_mNS0_19identity_decomposerEEE10hipError_tT1_T2_PT3_SE_jT4_jjP12ihipStream_tbEUlT_E_NS1_11comp_targetILNS1_3genE9ELNS1_11target_archE1100ELNS1_3gpuE3ELNS1_3repE0EEENS1_52radix_sort_onesweep_histogram_config_static_selectorELNS0_4arch9wavefront6targetE1EEEvSC_
    .private_segment_fixed_size: 0
    .sgpr_count:     4
    .sgpr_spill_count: 0
    .symbol:         _ZN7rocprim17ROCPRIM_400000_NS6detail17trampoline_kernelINS0_14default_configENS1_35radix_sort_onesweep_config_selectorImNS0_10empty_typeEEEZNS1_34radix_sort_onesweep_global_offsetsIS3_Lb0EPmPS5_mNS0_19identity_decomposerEEE10hipError_tT1_T2_PT3_SE_jT4_jjP12ihipStream_tbEUlT_E_NS1_11comp_targetILNS1_3genE9ELNS1_11target_archE1100ELNS1_3gpuE3ELNS1_3repE0EEENS1_52radix_sort_onesweep_histogram_config_static_selectorELNS0_4arch9wavefront6targetE1EEEvSC_.kd
    .uniform_work_group_size: 1
    .uses_dynamic_stack: false
    .vgpr_count:     0
    .vgpr_spill_count: 0
    .wavefront_size: 64
  - .agpr_count:     0
    .args:
      - .offset:         0
        .size:           48
        .value_kind:     by_value
    .group_segment_fixed_size: 0
    .kernarg_segment_align: 8
    .kernarg_segment_size: 48
    .language:       OpenCL C
    .language_version:
      - 2
      - 0
    .max_flat_workgroup_size: 1024
    .name:           _ZN7rocprim17ROCPRIM_400000_NS6detail17trampoline_kernelINS0_14default_configENS1_35radix_sort_onesweep_config_selectorImNS0_10empty_typeEEEZNS1_34radix_sort_onesweep_global_offsetsIS3_Lb0EPmPS5_mNS0_19identity_decomposerEEE10hipError_tT1_T2_PT3_SE_jT4_jjP12ihipStream_tbEUlT_E_NS1_11comp_targetILNS1_3genE8ELNS1_11target_archE1030ELNS1_3gpuE2ELNS1_3repE0EEENS1_52radix_sort_onesweep_histogram_config_static_selectorELNS0_4arch9wavefront6targetE1EEEvSC_
    .private_segment_fixed_size: 0
    .sgpr_count:     4
    .sgpr_spill_count: 0
    .symbol:         _ZN7rocprim17ROCPRIM_400000_NS6detail17trampoline_kernelINS0_14default_configENS1_35radix_sort_onesweep_config_selectorImNS0_10empty_typeEEEZNS1_34radix_sort_onesweep_global_offsetsIS3_Lb0EPmPS5_mNS0_19identity_decomposerEEE10hipError_tT1_T2_PT3_SE_jT4_jjP12ihipStream_tbEUlT_E_NS1_11comp_targetILNS1_3genE8ELNS1_11target_archE1030ELNS1_3gpuE2ELNS1_3repE0EEENS1_52radix_sort_onesweep_histogram_config_static_selectorELNS0_4arch9wavefront6targetE1EEEvSC_.kd
    .uniform_work_group_size: 1
    .uses_dynamic_stack: false
    .vgpr_count:     0
    .vgpr_spill_count: 0
    .wavefront_size: 64
  - .agpr_count:     0
    .args:
      - .address_space:  global
        .offset:         0
        .size:           8
        .value_kind:     global_buffer
    .group_segment_fixed_size: 0
    .kernarg_segment_align: 8
    .kernarg_segment_size: 8
    .language:       OpenCL C
    .language_version:
      - 2
      - 0
    .max_flat_workgroup_size: 512
    .name:           _ZN7rocprim17ROCPRIM_400000_NS6detail17trampoline_kernelINS0_14default_configENS1_35radix_sort_onesweep_config_selectorImNS0_10empty_typeEEEZNS1_34radix_sort_onesweep_global_offsetsIS3_Lb0EPmPS5_mNS0_19identity_decomposerEEE10hipError_tT1_T2_PT3_SE_jT4_jjP12ihipStream_tbEUlT_E0_NS1_11comp_targetILNS1_3genE0ELNS1_11target_archE4294967295ELNS1_3gpuE0ELNS1_3repE0EEENS1_52radix_sort_onesweep_histogram_config_static_selectorELNS0_4arch9wavefront6targetE1EEEvSC_
    .private_segment_fixed_size: 0
    .sgpr_count:     4
    .sgpr_spill_count: 0
    .symbol:         _ZN7rocprim17ROCPRIM_400000_NS6detail17trampoline_kernelINS0_14default_configENS1_35radix_sort_onesweep_config_selectorImNS0_10empty_typeEEEZNS1_34radix_sort_onesweep_global_offsetsIS3_Lb0EPmPS5_mNS0_19identity_decomposerEEE10hipError_tT1_T2_PT3_SE_jT4_jjP12ihipStream_tbEUlT_E0_NS1_11comp_targetILNS1_3genE0ELNS1_11target_archE4294967295ELNS1_3gpuE0ELNS1_3repE0EEENS1_52radix_sort_onesweep_histogram_config_static_selectorELNS0_4arch9wavefront6targetE1EEEvSC_.kd
    .uniform_work_group_size: 1
    .uses_dynamic_stack: false
    .vgpr_count:     0
    .vgpr_spill_count: 0
    .wavefront_size: 64
  - .agpr_count:     0
    .args:
      - .address_space:  global
        .offset:         0
        .size:           8
        .value_kind:     global_buffer
    .group_segment_fixed_size: 0
    .kernarg_segment_align: 8
    .kernarg_segment_size: 8
    .language:       OpenCL C
    .language_version:
      - 2
      - 0
    .max_flat_workgroup_size: 512
    .name:           _ZN7rocprim17ROCPRIM_400000_NS6detail17trampoline_kernelINS0_14default_configENS1_35radix_sort_onesweep_config_selectorImNS0_10empty_typeEEEZNS1_34radix_sort_onesweep_global_offsetsIS3_Lb0EPmPS5_mNS0_19identity_decomposerEEE10hipError_tT1_T2_PT3_SE_jT4_jjP12ihipStream_tbEUlT_E0_NS1_11comp_targetILNS1_3genE6ELNS1_11target_archE950ELNS1_3gpuE13ELNS1_3repE0EEENS1_52radix_sort_onesweep_histogram_config_static_selectorELNS0_4arch9wavefront6targetE1EEEvSC_
    .private_segment_fixed_size: 0
    .sgpr_count:     4
    .sgpr_spill_count: 0
    .symbol:         _ZN7rocprim17ROCPRIM_400000_NS6detail17trampoline_kernelINS0_14default_configENS1_35radix_sort_onesweep_config_selectorImNS0_10empty_typeEEEZNS1_34radix_sort_onesweep_global_offsetsIS3_Lb0EPmPS5_mNS0_19identity_decomposerEEE10hipError_tT1_T2_PT3_SE_jT4_jjP12ihipStream_tbEUlT_E0_NS1_11comp_targetILNS1_3genE6ELNS1_11target_archE950ELNS1_3gpuE13ELNS1_3repE0EEENS1_52radix_sort_onesweep_histogram_config_static_selectorELNS0_4arch9wavefront6targetE1EEEvSC_.kd
    .uniform_work_group_size: 1
    .uses_dynamic_stack: false
    .vgpr_count:     0
    .vgpr_spill_count: 0
    .wavefront_size: 64
  - .agpr_count:     0
    .args:
      - .address_space:  global
        .offset:         0
        .size:           8
        .value_kind:     global_buffer
    .group_segment_fixed_size: 0
    .kernarg_segment_align: 8
    .kernarg_segment_size: 8
    .language:       OpenCL C
    .language_version:
      - 2
      - 0
    .max_flat_workgroup_size: 512
    .name:           _ZN7rocprim17ROCPRIM_400000_NS6detail17trampoline_kernelINS0_14default_configENS1_35radix_sort_onesweep_config_selectorImNS0_10empty_typeEEEZNS1_34radix_sort_onesweep_global_offsetsIS3_Lb0EPmPS5_mNS0_19identity_decomposerEEE10hipError_tT1_T2_PT3_SE_jT4_jjP12ihipStream_tbEUlT_E0_NS1_11comp_targetILNS1_3genE5ELNS1_11target_archE942ELNS1_3gpuE9ELNS1_3repE0EEENS1_52radix_sort_onesweep_histogram_config_static_selectorELNS0_4arch9wavefront6targetE1EEEvSC_
    .private_segment_fixed_size: 0
    .sgpr_count:     4
    .sgpr_spill_count: 0
    .symbol:         _ZN7rocprim17ROCPRIM_400000_NS6detail17trampoline_kernelINS0_14default_configENS1_35radix_sort_onesweep_config_selectorImNS0_10empty_typeEEEZNS1_34radix_sort_onesweep_global_offsetsIS3_Lb0EPmPS5_mNS0_19identity_decomposerEEE10hipError_tT1_T2_PT3_SE_jT4_jjP12ihipStream_tbEUlT_E0_NS1_11comp_targetILNS1_3genE5ELNS1_11target_archE942ELNS1_3gpuE9ELNS1_3repE0EEENS1_52radix_sort_onesweep_histogram_config_static_selectorELNS0_4arch9wavefront6targetE1EEEvSC_.kd
    .uniform_work_group_size: 1
    .uses_dynamic_stack: false
    .vgpr_count:     0
    .vgpr_spill_count: 0
    .wavefront_size: 64
  - .agpr_count:     0
    .args:
      - .address_space:  global
        .offset:         0
        .size:           8
        .value_kind:     global_buffer
    .group_segment_fixed_size: 0
    .kernarg_segment_align: 8
    .kernarg_segment_size: 8
    .language:       OpenCL C
    .language_version:
      - 2
      - 0
    .max_flat_workgroup_size: 512
    .name:           _ZN7rocprim17ROCPRIM_400000_NS6detail17trampoline_kernelINS0_14default_configENS1_35radix_sort_onesweep_config_selectorImNS0_10empty_typeEEEZNS1_34radix_sort_onesweep_global_offsetsIS3_Lb0EPmPS5_mNS0_19identity_decomposerEEE10hipError_tT1_T2_PT3_SE_jT4_jjP12ihipStream_tbEUlT_E0_NS1_11comp_targetILNS1_3genE2ELNS1_11target_archE906ELNS1_3gpuE6ELNS1_3repE0EEENS1_52radix_sort_onesweep_histogram_config_static_selectorELNS0_4arch9wavefront6targetE1EEEvSC_
    .private_segment_fixed_size: 0
    .sgpr_count:     4
    .sgpr_spill_count: 0
    .symbol:         _ZN7rocprim17ROCPRIM_400000_NS6detail17trampoline_kernelINS0_14default_configENS1_35radix_sort_onesweep_config_selectorImNS0_10empty_typeEEEZNS1_34radix_sort_onesweep_global_offsetsIS3_Lb0EPmPS5_mNS0_19identity_decomposerEEE10hipError_tT1_T2_PT3_SE_jT4_jjP12ihipStream_tbEUlT_E0_NS1_11comp_targetILNS1_3genE2ELNS1_11target_archE906ELNS1_3gpuE6ELNS1_3repE0EEENS1_52radix_sort_onesweep_histogram_config_static_selectorELNS0_4arch9wavefront6targetE1EEEvSC_.kd
    .uniform_work_group_size: 1
    .uses_dynamic_stack: false
    .vgpr_count:     0
    .vgpr_spill_count: 0
    .wavefront_size: 64
  - .agpr_count:     0
    .args:
      - .address_space:  global
        .offset:         0
        .size:           8
        .value_kind:     global_buffer
    .group_segment_fixed_size: 128
    .kernarg_segment_align: 8
    .kernarg_segment_size: 8
    .language:       OpenCL C
    .language_version:
      - 2
      - 0
    .max_flat_workgroup_size: 1024
    .name:           _ZN7rocprim17ROCPRIM_400000_NS6detail17trampoline_kernelINS0_14default_configENS1_35radix_sort_onesweep_config_selectorImNS0_10empty_typeEEEZNS1_34radix_sort_onesweep_global_offsetsIS3_Lb0EPmPS5_mNS0_19identity_decomposerEEE10hipError_tT1_T2_PT3_SE_jT4_jjP12ihipStream_tbEUlT_E0_NS1_11comp_targetILNS1_3genE4ELNS1_11target_archE910ELNS1_3gpuE8ELNS1_3repE0EEENS1_52radix_sort_onesweep_histogram_config_static_selectorELNS0_4arch9wavefront6targetE1EEEvSC_
    .private_segment_fixed_size: 0
    .sgpr_count:     22
    .sgpr_spill_count: 0
    .symbol:         _ZN7rocprim17ROCPRIM_400000_NS6detail17trampoline_kernelINS0_14default_configENS1_35radix_sort_onesweep_config_selectorImNS0_10empty_typeEEEZNS1_34radix_sort_onesweep_global_offsetsIS3_Lb0EPmPS5_mNS0_19identity_decomposerEEE10hipError_tT1_T2_PT3_SE_jT4_jjP12ihipStream_tbEUlT_E0_NS1_11comp_targetILNS1_3genE4ELNS1_11target_archE910ELNS1_3gpuE8ELNS1_3repE0EEENS1_52radix_sort_onesweep_histogram_config_static_selectorELNS0_4arch9wavefront6targetE1EEEvSC_.kd
    .uniform_work_group_size: 1
    .uses_dynamic_stack: false
    .vgpr_count:     13
    .vgpr_spill_count: 0
    .wavefront_size: 64
  - .agpr_count:     0
    .args:
      - .address_space:  global
        .offset:         0
        .size:           8
        .value_kind:     global_buffer
    .group_segment_fixed_size: 0
    .kernarg_segment_align: 8
    .kernarg_segment_size: 8
    .language:       OpenCL C
    .language_version:
      - 2
      - 0
    .max_flat_workgroup_size: 512
    .name:           _ZN7rocprim17ROCPRIM_400000_NS6detail17trampoline_kernelINS0_14default_configENS1_35radix_sort_onesweep_config_selectorImNS0_10empty_typeEEEZNS1_34radix_sort_onesweep_global_offsetsIS3_Lb0EPmPS5_mNS0_19identity_decomposerEEE10hipError_tT1_T2_PT3_SE_jT4_jjP12ihipStream_tbEUlT_E0_NS1_11comp_targetILNS1_3genE3ELNS1_11target_archE908ELNS1_3gpuE7ELNS1_3repE0EEENS1_52radix_sort_onesweep_histogram_config_static_selectorELNS0_4arch9wavefront6targetE1EEEvSC_
    .private_segment_fixed_size: 0
    .sgpr_count:     4
    .sgpr_spill_count: 0
    .symbol:         _ZN7rocprim17ROCPRIM_400000_NS6detail17trampoline_kernelINS0_14default_configENS1_35radix_sort_onesweep_config_selectorImNS0_10empty_typeEEEZNS1_34radix_sort_onesweep_global_offsetsIS3_Lb0EPmPS5_mNS0_19identity_decomposerEEE10hipError_tT1_T2_PT3_SE_jT4_jjP12ihipStream_tbEUlT_E0_NS1_11comp_targetILNS1_3genE3ELNS1_11target_archE908ELNS1_3gpuE7ELNS1_3repE0EEENS1_52radix_sort_onesweep_histogram_config_static_selectorELNS0_4arch9wavefront6targetE1EEEvSC_.kd
    .uniform_work_group_size: 1
    .uses_dynamic_stack: false
    .vgpr_count:     0
    .vgpr_spill_count: 0
    .wavefront_size: 64
  - .agpr_count:     0
    .args:
      - .address_space:  global
        .offset:         0
        .size:           8
        .value_kind:     global_buffer
    .group_segment_fixed_size: 0
    .kernarg_segment_align: 8
    .kernarg_segment_size: 8
    .language:       OpenCL C
    .language_version:
      - 2
      - 0
    .max_flat_workgroup_size: 512
    .name:           _ZN7rocprim17ROCPRIM_400000_NS6detail17trampoline_kernelINS0_14default_configENS1_35radix_sort_onesweep_config_selectorImNS0_10empty_typeEEEZNS1_34radix_sort_onesweep_global_offsetsIS3_Lb0EPmPS5_mNS0_19identity_decomposerEEE10hipError_tT1_T2_PT3_SE_jT4_jjP12ihipStream_tbEUlT_E0_NS1_11comp_targetILNS1_3genE10ELNS1_11target_archE1201ELNS1_3gpuE5ELNS1_3repE0EEENS1_52radix_sort_onesweep_histogram_config_static_selectorELNS0_4arch9wavefront6targetE1EEEvSC_
    .private_segment_fixed_size: 0
    .sgpr_count:     4
    .sgpr_spill_count: 0
    .symbol:         _ZN7rocprim17ROCPRIM_400000_NS6detail17trampoline_kernelINS0_14default_configENS1_35radix_sort_onesweep_config_selectorImNS0_10empty_typeEEEZNS1_34radix_sort_onesweep_global_offsetsIS3_Lb0EPmPS5_mNS0_19identity_decomposerEEE10hipError_tT1_T2_PT3_SE_jT4_jjP12ihipStream_tbEUlT_E0_NS1_11comp_targetILNS1_3genE10ELNS1_11target_archE1201ELNS1_3gpuE5ELNS1_3repE0EEENS1_52radix_sort_onesweep_histogram_config_static_selectorELNS0_4arch9wavefront6targetE1EEEvSC_.kd
    .uniform_work_group_size: 1
    .uses_dynamic_stack: false
    .vgpr_count:     0
    .vgpr_spill_count: 0
    .wavefront_size: 64
  - .agpr_count:     0
    .args:
      - .address_space:  global
        .offset:         0
        .size:           8
        .value_kind:     global_buffer
    .group_segment_fixed_size: 0
    .kernarg_segment_align: 8
    .kernarg_segment_size: 8
    .language:       OpenCL C
    .language_version:
      - 2
      - 0
    .max_flat_workgroup_size: 1024
    .name:           _ZN7rocprim17ROCPRIM_400000_NS6detail17trampoline_kernelINS0_14default_configENS1_35radix_sort_onesweep_config_selectorImNS0_10empty_typeEEEZNS1_34radix_sort_onesweep_global_offsetsIS3_Lb0EPmPS5_mNS0_19identity_decomposerEEE10hipError_tT1_T2_PT3_SE_jT4_jjP12ihipStream_tbEUlT_E0_NS1_11comp_targetILNS1_3genE9ELNS1_11target_archE1100ELNS1_3gpuE3ELNS1_3repE0EEENS1_52radix_sort_onesweep_histogram_config_static_selectorELNS0_4arch9wavefront6targetE1EEEvSC_
    .private_segment_fixed_size: 0
    .sgpr_count:     4
    .sgpr_spill_count: 0
    .symbol:         _ZN7rocprim17ROCPRIM_400000_NS6detail17trampoline_kernelINS0_14default_configENS1_35radix_sort_onesweep_config_selectorImNS0_10empty_typeEEEZNS1_34radix_sort_onesweep_global_offsetsIS3_Lb0EPmPS5_mNS0_19identity_decomposerEEE10hipError_tT1_T2_PT3_SE_jT4_jjP12ihipStream_tbEUlT_E0_NS1_11comp_targetILNS1_3genE9ELNS1_11target_archE1100ELNS1_3gpuE3ELNS1_3repE0EEENS1_52radix_sort_onesweep_histogram_config_static_selectorELNS0_4arch9wavefront6targetE1EEEvSC_.kd
    .uniform_work_group_size: 1
    .uses_dynamic_stack: false
    .vgpr_count:     0
    .vgpr_spill_count: 0
    .wavefront_size: 64
  - .agpr_count:     0
    .args:
      - .address_space:  global
        .offset:         0
        .size:           8
        .value_kind:     global_buffer
    .group_segment_fixed_size: 0
    .kernarg_segment_align: 8
    .kernarg_segment_size: 8
    .language:       OpenCL C
    .language_version:
      - 2
      - 0
    .max_flat_workgroup_size: 1024
    .name:           _ZN7rocprim17ROCPRIM_400000_NS6detail17trampoline_kernelINS0_14default_configENS1_35radix_sort_onesweep_config_selectorImNS0_10empty_typeEEEZNS1_34radix_sort_onesweep_global_offsetsIS3_Lb0EPmPS5_mNS0_19identity_decomposerEEE10hipError_tT1_T2_PT3_SE_jT4_jjP12ihipStream_tbEUlT_E0_NS1_11comp_targetILNS1_3genE8ELNS1_11target_archE1030ELNS1_3gpuE2ELNS1_3repE0EEENS1_52radix_sort_onesweep_histogram_config_static_selectorELNS0_4arch9wavefront6targetE1EEEvSC_
    .private_segment_fixed_size: 0
    .sgpr_count:     4
    .sgpr_spill_count: 0
    .symbol:         _ZN7rocprim17ROCPRIM_400000_NS6detail17trampoline_kernelINS0_14default_configENS1_35radix_sort_onesweep_config_selectorImNS0_10empty_typeEEEZNS1_34radix_sort_onesweep_global_offsetsIS3_Lb0EPmPS5_mNS0_19identity_decomposerEEE10hipError_tT1_T2_PT3_SE_jT4_jjP12ihipStream_tbEUlT_E0_NS1_11comp_targetILNS1_3genE8ELNS1_11target_archE1030ELNS1_3gpuE2ELNS1_3repE0EEENS1_52radix_sort_onesweep_histogram_config_static_selectorELNS0_4arch9wavefront6targetE1EEEvSC_.kd
    .uniform_work_group_size: 1
    .uses_dynamic_stack: false
    .vgpr_count:     0
    .vgpr_spill_count: 0
    .wavefront_size: 64
  - .agpr_count:     0
    .args:
      - .offset:         0
        .size:           88
        .value_kind:     by_value
    .group_segment_fixed_size: 0
    .kernarg_segment_align: 8
    .kernarg_segment_size: 88
    .language:       OpenCL C
    .language_version:
      - 2
      - 0
    .max_flat_workgroup_size: 512
    .name:           _ZN7rocprim17ROCPRIM_400000_NS6detail17trampoline_kernelINS0_14default_configENS1_35radix_sort_onesweep_config_selectorImNS0_10empty_typeEEEZZNS1_29radix_sort_onesweep_iterationIS3_Lb0EPmS8_PS5_S9_mNS0_19identity_decomposerENS1_16block_id_wrapperIjLb1EEEEE10hipError_tT1_PNSt15iterator_traitsISE_E10value_typeET2_T3_PNSF_ISK_E10value_typeET4_T5_PSP_SQ_PNS1_23onesweep_lookback_stateEbbT6_jjT7_P12ihipStream_tbENKUlT_T0_SE_SJ_E_clIS8_S8_S9_S9_EEDaSX_SY_SE_SJ_EUlSX_E_NS1_11comp_targetILNS1_3genE0ELNS1_11target_archE4294967295ELNS1_3gpuE0ELNS1_3repE0EEENS1_47radix_sort_onesweep_sort_config_static_selectorELNS0_4arch9wavefront6targetE1EEEvSE_
    .private_segment_fixed_size: 0
    .sgpr_count:     4
    .sgpr_spill_count: 0
    .symbol:         _ZN7rocprim17ROCPRIM_400000_NS6detail17trampoline_kernelINS0_14default_configENS1_35radix_sort_onesweep_config_selectorImNS0_10empty_typeEEEZZNS1_29radix_sort_onesweep_iterationIS3_Lb0EPmS8_PS5_S9_mNS0_19identity_decomposerENS1_16block_id_wrapperIjLb1EEEEE10hipError_tT1_PNSt15iterator_traitsISE_E10value_typeET2_T3_PNSF_ISK_E10value_typeET4_T5_PSP_SQ_PNS1_23onesweep_lookback_stateEbbT6_jjT7_P12ihipStream_tbENKUlT_T0_SE_SJ_E_clIS8_S8_S9_S9_EEDaSX_SY_SE_SJ_EUlSX_E_NS1_11comp_targetILNS1_3genE0ELNS1_11target_archE4294967295ELNS1_3gpuE0ELNS1_3repE0EEENS1_47radix_sort_onesweep_sort_config_static_selectorELNS0_4arch9wavefront6targetE1EEEvSE_.kd
    .uniform_work_group_size: 1
    .uses_dynamic_stack: false
    .vgpr_count:     0
    .vgpr_spill_count: 0
    .wavefront_size: 64
  - .agpr_count:     0
    .args:
      - .offset:         0
        .size:           88
        .value_kind:     by_value
    .group_segment_fixed_size: 0
    .kernarg_segment_align: 8
    .kernarg_segment_size: 88
    .language:       OpenCL C
    .language_version:
      - 2
      - 0
    .max_flat_workgroup_size: 512
    .name:           _ZN7rocprim17ROCPRIM_400000_NS6detail17trampoline_kernelINS0_14default_configENS1_35radix_sort_onesweep_config_selectorImNS0_10empty_typeEEEZZNS1_29radix_sort_onesweep_iterationIS3_Lb0EPmS8_PS5_S9_mNS0_19identity_decomposerENS1_16block_id_wrapperIjLb1EEEEE10hipError_tT1_PNSt15iterator_traitsISE_E10value_typeET2_T3_PNSF_ISK_E10value_typeET4_T5_PSP_SQ_PNS1_23onesweep_lookback_stateEbbT6_jjT7_P12ihipStream_tbENKUlT_T0_SE_SJ_E_clIS8_S8_S9_S9_EEDaSX_SY_SE_SJ_EUlSX_E_NS1_11comp_targetILNS1_3genE6ELNS1_11target_archE950ELNS1_3gpuE13ELNS1_3repE0EEENS1_47radix_sort_onesweep_sort_config_static_selectorELNS0_4arch9wavefront6targetE1EEEvSE_
    .private_segment_fixed_size: 0
    .sgpr_count:     4
    .sgpr_spill_count: 0
    .symbol:         _ZN7rocprim17ROCPRIM_400000_NS6detail17trampoline_kernelINS0_14default_configENS1_35radix_sort_onesweep_config_selectorImNS0_10empty_typeEEEZZNS1_29radix_sort_onesweep_iterationIS3_Lb0EPmS8_PS5_S9_mNS0_19identity_decomposerENS1_16block_id_wrapperIjLb1EEEEE10hipError_tT1_PNSt15iterator_traitsISE_E10value_typeET2_T3_PNSF_ISK_E10value_typeET4_T5_PSP_SQ_PNS1_23onesweep_lookback_stateEbbT6_jjT7_P12ihipStream_tbENKUlT_T0_SE_SJ_E_clIS8_S8_S9_S9_EEDaSX_SY_SE_SJ_EUlSX_E_NS1_11comp_targetILNS1_3genE6ELNS1_11target_archE950ELNS1_3gpuE13ELNS1_3repE0EEENS1_47radix_sort_onesweep_sort_config_static_selectorELNS0_4arch9wavefront6targetE1EEEvSE_.kd
    .uniform_work_group_size: 1
    .uses_dynamic_stack: false
    .vgpr_count:     0
    .vgpr_spill_count: 0
    .wavefront_size: 64
  - .agpr_count:     0
    .args:
      - .offset:         0
        .size:           88
        .value_kind:     by_value
    .group_segment_fixed_size: 0
    .kernarg_segment_align: 8
    .kernarg_segment_size: 88
    .language:       OpenCL C
    .language_version:
      - 2
      - 0
    .max_flat_workgroup_size: 512
    .name:           _ZN7rocprim17ROCPRIM_400000_NS6detail17trampoline_kernelINS0_14default_configENS1_35radix_sort_onesweep_config_selectorImNS0_10empty_typeEEEZZNS1_29radix_sort_onesweep_iterationIS3_Lb0EPmS8_PS5_S9_mNS0_19identity_decomposerENS1_16block_id_wrapperIjLb1EEEEE10hipError_tT1_PNSt15iterator_traitsISE_E10value_typeET2_T3_PNSF_ISK_E10value_typeET4_T5_PSP_SQ_PNS1_23onesweep_lookback_stateEbbT6_jjT7_P12ihipStream_tbENKUlT_T0_SE_SJ_E_clIS8_S8_S9_S9_EEDaSX_SY_SE_SJ_EUlSX_E_NS1_11comp_targetILNS1_3genE5ELNS1_11target_archE942ELNS1_3gpuE9ELNS1_3repE0EEENS1_47radix_sort_onesweep_sort_config_static_selectorELNS0_4arch9wavefront6targetE1EEEvSE_
    .private_segment_fixed_size: 0
    .sgpr_count:     4
    .sgpr_spill_count: 0
    .symbol:         _ZN7rocprim17ROCPRIM_400000_NS6detail17trampoline_kernelINS0_14default_configENS1_35radix_sort_onesweep_config_selectorImNS0_10empty_typeEEEZZNS1_29radix_sort_onesweep_iterationIS3_Lb0EPmS8_PS5_S9_mNS0_19identity_decomposerENS1_16block_id_wrapperIjLb1EEEEE10hipError_tT1_PNSt15iterator_traitsISE_E10value_typeET2_T3_PNSF_ISK_E10value_typeET4_T5_PSP_SQ_PNS1_23onesweep_lookback_stateEbbT6_jjT7_P12ihipStream_tbENKUlT_T0_SE_SJ_E_clIS8_S8_S9_S9_EEDaSX_SY_SE_SJ_EUlSX_E_NS1_11comp_targetILNS1_3genE5ELNS1_11target_archE942ELNS1_3gpuE9ELNS1_3repE0EEENS1_47radix_sort_onesweep_sort_config_static_selectorELNS0_4arch9wavefront6targetE1EEEvSE_.kd
    .uniform_work_group_size: 1
    .uses_dynamic_stack: false
    .vgpr_count:     0
    .vgpr_spill_count: 0
    .wavefront_size: 64
  - .agpr_count:     0
    .args:
      - .offset:         0
        .size:           88
        .value_kind:     by_value
    .group_segment_fixed_size: 0
    .kernarg_segment_align: 8
    .kernarg_segment_size: 88
    .language:       OpenCL C
    .language_version:
      - 2
      - 0
    .max_flat_workgroup_size: 512
    .name:           _ZN7rocprim17ROCPRIM_400000_NS6detail17trampoline_kernelINS0_14default_configENS1_35radix_sort_onesweep_config_selectorImNS0_10empty_typeEEEZZNS1_29radix_sort_onesweep_iterationIS3_Lb0EPmS8_PS5_S9_mNS0_19identity_decomposerENS1_16block_id_wrapperIjLb1EEEEE10hipError_tT1_PNSt15iterator_traitsISE_E10value_typeET2_T3_PNSF_ISK_E10value_typeET4_T5_PSP_SQ_PNS1_23onesweep_lookback_stateEbbT6_jjT7_P12ihipStream_tbENKUlT_T0_SE_SJ_E_clIS8_S8_S9_S9_EEDaSX_SY_SE_SJ_EUlSX_E_NS1_11comp_targetILNS1_3genE2ELNS1_11target_archE906ELNS1_3gpuE6ELNS1_3repE0EEENS1_47radix_sort_onesweep_sort_config_static_selectorELNS0_4arch9wavefront6targetE1EEEvSE_
    .private_segment_fixed_size: 0
    .sgpr_count:     4
    .sgpr_spill_count: 0
    .symbol:         _ZN7rocprim17ROCPRIM_400000_NS6detail17trampoline_kernelINS0_14default_configENS1_35radix_sort_onesweep_config_selectorImNS0_10empty_typeEEEZZNS1_29radix_sort_onesweep_iterationIS3_Lb0EPmS8_PS5_S9_mNS0_19identity_decomposerENS1_16block_id_wrapperIjLb1EEEEE10hipError_tT1_PNSt15iterator_traitsISE_E10value_typeET2_T3_PNSF_ISK_E10value_typeET4_T5_PSP_SQ_PNS1_23onesweep_lookback_stateEbbT6_jjT7_P12ihipStream_tbENKUlT_T0_SE_SJ_E_clIS8_S8_S9_S9_EEDaSX_SY_SE_SJ_EUlSX_E_NS1_11comp_targetILNS1_3genE2ELNS1_11target_archE906ELNS1_3gpuE6ELNS1_3repE0EEENS1_47radix_sort_onesweep_sort_config_static_selectorELNS0_4arch9wavefront6targetE1EEEvSE_.kd
    .uniform_work_group_size: 1
    .uses_dynamic_stack: false
    .vgpr_count:     0
    .vgpr_spill_count: 0
    .wavefront_size: 64
  - .agpr_count:     0
    .args:
      - .offset:         0
        .size:           88
        .value_kind:     by_value
      - .offset:         88
        .size:           4
        .value_kind:     hidden_block_count_x
      - .offset:         92
        .size:           4
        .value_kind:     hidden_block_count_y
      - .offset:         96
        .size:           4
        .value_kind:     hidden_block_count_z
      - .offset:         100
        .size:           2
        .value_kind:     hidden_group_size_x
      - .offset:         102
        .size:           2
        .value_kind:     hidden_group_size_y
      - .offset:         104
        .size:           2
        .value_kind:     hidden_group_size_z
      - .offset:         106
        .size:           2
        .value_kind:     hidden_remainder_x
      - .offset:         108
        .size:           2
        .value_kind:     hidden_remainder_y
      - .offset:         110
        .size:           2
        .value_kind:     hidden_remainder_z
      - .offset:         128
        .size:           8
        .value_kind:     hidden_global_offset_x
      - .offset:         136
        .size:           8
        .value_kind:     hidden_global_offset_y
      - .offset:         144
        .size:           8
        .value_kind:     hidden_global_offset_z
      - .offset:         152
        .size:           2
        .value_kind:     hidden_grid_dims
    .group_segment_fixed_size: 20552
    .kernarg_segment_align: 8
    .kernarg_segment_size: 344
    .language:       OpenCL C
    .language_version:
      - 2
      - 0
    .max_flat_workgroup_size: 1024
    .name:           _ZN7rocprim17ROCPRIM_400000_NS6detail17trampoline_kernelINS0_14default_configENS1_35radix_sort_onesweep_config_selectorImNS0_10empty_typeEEEZZNS1_29radix_sort_onesweep_iterationIS3_Lb0EPmS8_PS5_S9_mNS0_19identity_decomposerENS1_16block_id_wrapperIjLb1EEEEE10hipError_tT1_PNSt15iterator_traitsISE_E10value_typeET2_T3_PNSF_ISK_E10value_typeET4_T5_PSP_SQ_PNS1_23onesweep_lookback_stateEbbT6_jjT7_P12ihipStream_tbENKUlT_T0_SE_SJ_E_clIS8_S8_S9_S9_EEDaSX_SY_SE_SJ_EUlSX_E_NS1_11comp_targetILNS1_3genE4ELNS1_11target_archE910ELNS1_3gpuE8ELNS1_3repE0EEENS1_47radix_sort_onesweep_sort_config_static_selectorELNS0_4arch9wavefront6targetE1EEEvSE_
    .private_segment_fixed_size: 0
    .sgpr_count:     38
    .sgpr_spill_count: 0
    .symbol:         _ZN7rocprim17ROCPRIM_400000_NS6detail17trampoline_kernelINS0_14default_configENS1_35radix_sort_onesweep_config_selectorImNS0_10empty_typeEEEZZNS1_29radix_sort_onesweep_iterationIS3_Lb0EPmS8_PS5_S9_mNS0_19identity_decomposerENS1_16block_id_wrapperIjLb1EEEEE10hipError_tT1_PNSt15iterator_traitsISE_E10value_typeET2_T3_PNSF_ISK_E10value_typeET4_T5_PSP_SQ_PNS1_23onesweep_lookback_stateEbbT6_jjT7_P12ihipStream_tbENKUlT_T0_SE_SJ_E_clIS8_S8_S9_S9_EEDaSX_SY_SE_SJ_EUlSX_E_NS1_11comp_targetILNS1_3genE4ELNS1_11target_archE910ELNS1_3gpuE8ELNS1_3repE0EEENS1_47radix_sort_onesweep_sort_config_static_selectorELNS0_4arch9wavefront6targetE1EEEvSE_.kd
    .uniform_work_group_size: 1
    .uses_dynamic_stack: false
    .vgpr_count:     55
    .vgpr_spill_count: 0
    .wavefront_size: 64
  - .agpr_count:     0
    .args:
      - .offset:         0
        .size:           88
        .value_kind:     by_value
    .group_segment_fixed_size: 0
    .kernarg_segment_align: 8
    .kernarg_segment_size: 88
    .language:       OpenCL C
    .language_version:
      - 2
      - 0
    .max_flat_workgroup_size: 512
    .name:           _ZN7rocprim17ROCPRIM_400000_NS6detail17trampoline_kernelINS0_14default_configENS1_35radix_sort_onesweep_config_selectorImNS0_10empty_typeEEEZZNS1_29radix_sort_onesweep_iterationIS3_Lb0EPmS8_PS5_S9_mNS0_19identity_decomposerENS1_16block_id_wrapperIjLb1EEEEE10hipError_tT1_PNSt15iterator_traitsISE_E10value_typeET2_T3_PNSF_ISK_E10value_typeET4_T5_PSP_SQ_PNS1_23onesweep_lookback_stateEbbT6_jjT7_P12ihipStream_tbENKUlT_T0_SE_SJ_E_clIS8_S8_S9_S9_EEDaSX_SY_SE_SJ_EUlSX_E_NS1_11comp_targetILNS1_3genE3ELNS1_11target_archE908ELNS1_3gpuE7ELNS1_3repE0EEENS1_47radix_sort_onesweep_sort_config_static_selectorELNS0_4arch9wavefront6targetE1EEEvSE_
    .private_segment_fixed_size: 0
    .sgpr_count:     4
    .sgpr_spill_count: 0
    .symbol:         _ZN7rocprim17ROCPRIM_400000_NS6detail17trampoline_kernelINS0_14default_configENS1_35radix_sort_onesweep_config_selectorImNS0_10empty_typeEEEZZNS1_29radix_sort_onesweep_iterationIS3_Lb0EPmS8_PS5_S9_mNS0_19identity_decomposerENS1_16block_id_wrapperIjLb1EEEEE10hipError_tT1_PNSt15iterator_traitsISE_E10value_typeET2_T3_PNSF_ISK_E10value_typeET4_T5_PSP_SQ_PNS1_23onesweep_lookback_stateEbbT6_jjT7_P12ihipStream_tbENKUlT_T0_SE_SJ_E_clIS8_S8_S9_S9_EEDaSX_SY_SE_SJ_EUlSX_E_NS1_11comp_targetILNS1_3genE3ELNS1_11target_archE908ELNS1_3gpuE7ELNS1_3repE0EEENS1_47radix_sort_onesweep_sort_config_static_selectorELNS0_4arch9wavefront6targetE1EEEvSE_.kd
    .uniform_work_group_size: 1
    .uses_dynamic_stack: false
    .vgpr_count:     0
    .vgpr_spill_count: 0
    .wavefront_size: 64
  - .agpr_count:     0
    .args:
      - .offset:         0
        .size:           88
        .value_kind:     by_value
    .group_segment_fixed_size: 0
    .kernarg_segment_align: 8
    .kernarg_segment_size: 88
    .language:       OpenCL C
    .language_version:
      - 2
      - 0
    .max_flat_workgroup_size: 512
    .name:           _ZN7rocprim17ROCPRIM_400000_NS6detail17trampoline_kernelINS0_14default_configENS1_35radix_sort_onesweep_config_selectorImNS0_10empty_typeEEEZZNS1_29radix_sort_onesweep_iterationIS3_Lb0EPmS8_PS5_S9_mNS0_19identity_decomposerENS1_16block_id_wrapperIjLb1EEEEE10hipError_tT1_PNSt15iterator_traitsISE_E10value_typeET2_T3_PNSF_ISK_E10value_typeET4_T5_PSP_SQ_PNS1_23onesweep_lookback_stateEbbT6_jjT7_P12ihipStream_tbENKUlT_T0_SE_SJ_E_clIS8_S8_S9_S9_EEDaSX_SY_SE_SJ_EUlSX_E_NS1_11comp_targetILNS1_3genE10ELNS1_11target_archE1201ELNS1_3gpuE5ELNS1_3repE0EEENS1_47radix_sort_onesweep_sort_config_static_selectorELNS0_4arch9wavefront6targetE1EEEvSE_
    .private_segment_fixed_size: 0
    .sgpr_count:     4
    .sgpr_spill_count: 0
    .symbol:         _ZN7rocprim17ROCPRIM_400000_NS6detail17trampoline_kernelINS0_14default_configENS1_35radix_sort_onesweep_config_selectorImNS0_10empty_typeEEEZZNS1_29radix_sort_onesweep_iterationIS3_Lb0EPmS8_PS5_S9_mNS0_19identity_decomposerENS1_16block_id_wrapperIjLb1EEEEE10hipError_tT1_PNSt15iterator_traitsISE_E10value_typeET2_T3_PNSF_ISK_E10value_typeET4_T5_PSP_SQ_PNS1_23onesweep_lookback_stateEbbT6_jjT7_P12ihipStream_tbENKUlT_T0_SE_SJ_E_clIS8_S8_S9_S9_EEDaSX_SY_SE_SJ_EUlSX_E_NS1_11comp_targetILNS1_3genE10ELNS1_11target_archE1201ELNS1_3gpuE5ELNS1_3repE0EEENS1_47radix_sort_onesweep_sort_config_static_selectorELNS0_4arch9wavefront6targetE1EEEvSE_.kd
    .uniform_work_group_size: 1
    .uses_dynamic_stack: false
    .vgpr_count:     0
    .vgpr_spill_count: 0
    .wavefront_size: 64
  - .agpr_count:     0
    .args:
      - .offset:         0
        .size:           88
        .value_kind:     by_value
    .group_segment_fixed_size: 0
    .kernarg_segment_align: 8
    .kernarg_segment_size: 88
    .language:       OpenCL C
    .language_version:
      - 2
      - 0
    .max_flat_workgroup_size: 1024
    .name:           _ZN7rocprim17ROCPRIM_400000_NS6detail17trampoline_kernelINS0_14default_configENS1_35radix_sort_onesweep_config_selectorImNS0_10empty_typeEEEZZNS1_29radix_sort_onesweep_iterationIS3_Lb0EPmS8_PS5_S9_mNS0_19identity_decomposerENS1_16block_id_wrapperIjLb1EEEEE10hipError_tT1_PNSt15iterator_traitsISE_E10value_typeET2_T3_PNSF_ISK_E10value_typeET4_T5_PSP_SQ_PNS1_23onesweep_lookback_stateEbbT6_jjT7_P12ihipStream_tbENKUlT_T0_SE_SJ_E_clIS8_S8_S9_S9_EEDaSX_SY_SE_SJ_EUlSX_E_NS1_11comp_targetILNS1_3genE9ELNS1_11target_archE1100ELNS1_3gpuE3ELNS1_3repE0EEENS1_47radix_sort_onesweep_sort_config_static_selectorELNS0_4arch9wavefront6targetE1EEEvSE_
    .private_segment_fixed_size: 0
    .sgpr_count:     4
    .sgpr_spill_count: 0
    .symbol:         _ZN7rocprim17ROCPRIM_400000_NS6detail17trampoline_kernelINS0_14default_configENS1_35radix_sort_onesweep_config_selectorImNS0_10empty_typeEEEZZNS1_29radix_sort_onesweep_iterationIS3_Lb0EPmS8_PS5_S9_mNS0_19identity_decomposerENS1_16block_id_wrapperIjLb1EEEEE10hipError_tT1_PNSt15iterator_traitsISE_E10value_typeET2_T3_PNSF_ISK_E10value_typeET4_T5_PSP_SQ_PNS1_23onesweep_lookback_stateEbbT6_jjT7_P12ihipStream_tbENKUlT_T0_SE_SJ_E_clIS8_S8_S9_S9_EEDaSX_SY_SE_SJ_EUlSX_E_NS1_11comp_targetILNS1_3genE9ELNS1_11target_archE1100ELNS1_3gpuE3ELNS1_3repE0EEENS1_47radix_sort_onesweep_sort_config_static_selectorELNS0_4arch9wavefront6targetE1EEEvSE_.kd
    .uniform_work_group_size: 1
    .uses_dynamic_stack: false
    .vgpr_count:     0
    .vgpr_spill_count: 0
    .wavefront_size: 64
  - .agpr_count:     0
    .args:
      - .offset:         0
        .size:           88
        .value_kind:     by_value
    .group_segment_fixed_size: 0
    .kernarg_segment_align: 8
    .kernarg_segment_size: 88
    .language:       OpenCL C
    .language_version:
      - 2
      - 0
    .max_flat_workgroup_size: 1024
    .name:           _ZN7rocprim17ROCPRIM_400000_NS6detail17trampoline_kernelINS0_14default_configENS1_35radix_sort_onesweep_config_selectorImNS0_10empty_typeEEEZZNS1_29radix_sort_onesweep_iterationIS3_Lb0EPmS8_PS5_S9_mNS0_19identity_decomposerENS1_16block_id_wrapperIjLb1EEEEE10hipError_tT1_PNSt15iterator_traitsISE_E10value_typeET2_T3_PNSF_ISK_E10value_typeET4_T5_PSP_SQ_PNS1_23onesweep_lookback_stateEbbT6_jjT7_P12ihipStream_tbENKUlT_T0_SE_SJ_E_clIS8_S8_S9_S9_EEDaSX_SY_SE_SJ_EUlSX_E_NS1_11comp_targetILNS1_3genE8ELNS1_11target_archE1030ELNS1_3gpuE2ELNS1_3repE0EEENS1_47radix_sort_onesweep_sort_config_static_selectorELNS0_4arch9wavefront6targetE1EEEvSE_
    .private_segment_fixed_size: 0
    .sgpr_count:     4
    .sgpr_spill_count: 0
    .symbol:         _ZN7rocprim17ROCPRIM_400000_NS6detail17trampoline_kernelINS0_14default_configENS1_35radix_sort_onesweep_config_selectorImNS0_10empty_typeEEEZZNS1_29radix_sort_onesweep_iterationIS3_Lb0EPmS8_PS5_S9_mNS0_19identity_decomposerENS1_16block_id_wrapperIjLb1EEEEE10hipError_tT1_PNSt15iterator_traitsISE_E10value_typeET2_T3_PNSF_ISK_E10value_typeET4_T5_PSP_SQ_PNS1_23onesweep_lookback_stateEbbT6_jjT7_P12ihipStream_tbENKUlT_T0_SE_SJ_E_clIS8_S8_S9_S9_EEDaSX_SY_SE_SJ_EUlSX_E_NS1_11comp_targetILNS1_3genE8ELNS1_11target_archE1030ELNS1_3gpuE2ELNS1_3repE0EEENS1_47radix_sort_onesweep_sort_config_static_selectorELNS0_4arch9wavefront6targetE1EEEvSE_.kd
    .uniform_work_group_size: 1
    .uses_dynamic_stack: false
    .vgpr_count:     0
    .vgpr_spill_count: 0
    .wavefront_size: 64
  - .agpr_count:     0
    .args:
      - .offset:         0
        .size:           88
        .value_kind:     by_value
    .group_segment_fixed_size: 0
    .kernarg_segment_align: 8
    .kernarg_segment_size: 88
    .language:       OpenCL C
    .language_version:
      - 2
      - 0
    .max_flat_workgroup_size: 512
    .name:           _ZN7rocprim17ROCPRIM_400000_NS6detail17trampoline_kernelINS0_14default_configENS1_35radix_sort_onesweep_config_selectorImNS0_10empty_typeEEEZZNS1_29radix_sort_onesweep_iterationIS3_Lb0EPmS8_PS5_S9_mNS0_19identity_decomposerENS1_16block_id_wrapperIjLb0EEEEE10hipError_tT1_PNSt15iterator_traitsISE_E10value_typeET2_T3_PNSF_ISK_E10value_typeET4_T5_PSP_SQ_PNS1_23onesweep_lookback_stateEbbT6_jjT7_P12ihipStream_tbENKUlT_T0_SE_SJ_E_clIS8_S8_S9_S9_EEDaSX_SY_SE_SJ_EUlSX_E_NS1_11comp_targetILNS1_3genE0ELNS1_11target_archE4294967295ELNS1_3gpuE0ELNS1_3repE0EEENS1_47radix_sort_onesweep_sort_config_static_selectorELNS0_4arch9wavefront6targetE1EEEvSE_
    .private_segment_fixed_size: 0
    .sgpr_count:     4
    .sgpr_spill_count: 0
    .symbol:         _ZN7rocprim17ROCPRIM_400000_NS6detail17trampoline_kernelINS0_14default_configENS1_35radix_sort_onesweep_config_selectorImNS0_10empty_typeEEEZZNS1_29radix_sort_onesweep_iterationIS3_Lb0EPmS8_PS5_S9_mNS0_19identity_decomposerENS1_16block_id_wrapperIjLb0EEEEE10hipError_tT1_PNSt15iterator_traitsISE_E10value_typeET2_T3_PNSF_ISK_E10value_typeET4_T5_PSP_SQ_PNS1_23onesweep_lookback_stateEbbT6_jjT7_P12ihipStream_tbENKUlT_T0_SE_SJ_E_clIS8_S8_S9_S9_EEDaSX_SY_SE_SJ_EUlSX_E_NS1_11comp_targetILNS1_3genE0ELNS1_11target_archE4294967295ELNS1_3gpuE0ELNS1_3repE0EEENS1_47radix_sort_onesweep_sort_config_static_selectorELNS0_4arch9wavefront6targetE1EEEvSE_.kd
    .uniform_work_group_size: 1
    .uses_dynamic_stack: false
    .vgpr_count:     0
    .vgpr_spill_count: 0
    .wavefront_size: 64
  - .agpr_count:     0
    .args:
      - .offset:         0
        .size:           88
        .value_kind:     by_value
    .group_segment_fixed_size: 0
    .kernarg_segment_align: 8
    .kernarg_segment_size: 88
    .language:       OpenCL C
    .language_version:
      - 2
      - 0
    .max_flat_workgroup_size: 512
    .name:           _ZN7rocprim17ROCPRIM_400000_NS6detail17trampoline_kernelINS0_14default_configENS1_35radix_sort_onesweep_config_selectorImNS0_10empty_typeEEEZZNS1_29radix_sort_onesweep_iterationIS3_Lb0EPmS8_PS5_S9_mNS0_19identity_decomposerENS1_16block_id_wrapperIjLb0EEEEE10hipError_tT1_PNSt15iterator_traitsISE_E10value_typeET2_T3_PNSF_ISK_E10value_typeET4_T5_PSP_SQ_PNS1_23onesweep_lookback_stateEbbT6_jjT7_P12ihipStream_tbENKUlT_T0_SE_SJ_E_clIS8_S8_S9_S9_EEDaSX_SY_SE_SJ_EUlSX_E_NS1_11comp_targetILNS1_3genE6ELNS1_11target_archE950ELNS1_3gpuE13ELNS1_3repE0EEENS1_47radix_sort_onesweep_sort_config_static_selectorELNS0_4arch9wavefront6targetE1EEEvSE_
    .private_segment_fixed_size: 0
    .sgpr_count:     4
    .sgpr_spill_count: 0
    .symbol:         _ZN7rocprim17ROCPRIM_400000_NS6detail17trampoline_kernelINS0_14default_configENS1_35radix_sort_onesweep_config_selectorImNS0_10empty_typeEEEZZNS1_29radix_sort_onesweep_iterationIS3_Lb0EPmS8_PS5_S9_mNS0_19identity_decomposerENS1_16block_id_wrapperIjLb0EEEEE10hipError_tT1_PNSt15iterator_traitsISE_E10value_typeET2_T3_PNSF_ISK_E10value_typeET4_T5_PSP_SQ_PNS1_23onesweep_lookback_stateEbbT6_jjT7_P12ihipStream_tbENKUlT_T0_SE_SJ_E_clIS8_S8_S9_S9_EEDaSX_SY_SE_SJ_EUlSX_E_NS1_11comp_targetILNS1_3genE6ELNS1_11target_archE950ELNS1_3gpuE13ELNS1_3repE0EEENS1_47radix_sort_onesweep_sort_config_static_selectorELNS0_4arch9wavefront6targetE1EEEvSE_.kd
    .uniform_work_group_size: 1
    .uses_dynamic_stack: false
    .vgpr_count:     0
    .vgpr_spill_count: 0
    .wavefront_size: 64
  - .agpr_count:     0
    .args:
      - .offset:         0
        .size:           88
        .value_kind:     by_value
    .group_segment_fixed_size: 0
    .kernarg_segment_align: 8
    .kernarg_segment_size: 88
    .language:       OpenCL C
    .language_version:
      - 2
      - 0
    .max_flat_workgroup_size: 512
    .name:           _ZN7rocprim17ROCPRIM_400000_NS6detail17trampoline_kernelINS0_14default_configENS1_35radix_sort_onesweep_config_selectorImNS0_10empty_typeEEEZZNS1_29radix_sort_onesweep_iterationIS3_Lb0EPmS8_PS5_S9_mNS0_19identity_decomposerENS1_16block_id_wrapperIjLb0EEEEE10hipError_tT1_PNSt15iterator_traitsISE_E10value_typeET2_T3_PNSF_ISK_E10value_typeET4_T5_PSP_SQ_PNS1_23onesweep_lookback_stateEbbT6_jjT7_P12ihipStream_tbENKUlT_T0_SE_SJ_E_clIS8_S8_S9_S9_EEDaSX_SY_SE_SJ_EUlSX_E_NS1_11comp_targetILNS1_3genE5ELNS1_11target_archE942ELNS1_3gpuE9ELNS1_3repE0EEENS1_47radix_sort_onesweep_sort_config_static_selectorELNS0_4arch9wavefront6targetE1EEEvSE_
    .private_segment_fixed_size: 0
    .sgpr_count:     4
    .sgpr_spill_count: 0
    .symbol:         _ZN7rocprim17ROCPRIM_400000_NS6detail17trampoline_kernelINS0_14default_configENS1_35radix_sort_onesweep_config_selectorImNS0_10empty_typeEEEZZNS1_29radix_sort_onesweep_iterationIS3_Lb0EPmS8_PS5_S9_mNS0_19identity_decomposerENS1_16block_id_wrapperIjLb0EEEEE10hipError_tT1_PNSt15iterator_traitsISE_E10value_typeET2_T3_PNSF_ISK_E10value_typeET4_T5_PSP_SQ_PNS1_23onesweep_lookback_stateEbbT6_jjT7_P12ihipStream_tbENKUlT_T0_SE_SJ_E_clIS8_S8_S9_S9_EEDaSX_SY_SE_SJ_EUlSX_E_NS1_11comp_targetILNS1_3genE5ELNS1_11target_archE942ELNS1_3gpuE9ELNS1_3repE0EEENS1_47radix_sort_onesweep_sort_config_static_selectorELNS0_4arch9wavefront6targetE1EEEvSE_.kd
    .uniform_work_group_size: 1
    .uses_dynamic_stack: false
    .vgpr_count:     0
    .vgpr_spill_count: 0
    .wavefront_size: 64
  - .agpr_count:     0
    .args:
      - .offset:         0
        .size:           88
        .value_kind:     by_value
    .group_segment_fixed_size: 0
    .kernarg_segment_align: 8
    .kernarg_segment_size: 88
    .language:       OpenCL C
    .language_version:
      - 2
      - 0
    .max_flat_workgroup_size: 512
    .name:           _ZN7rocprim17ROCPRIM_400000_NS6detail17trampoline_kernelINS0_14default_configENS1_35radix_sort_onesweep_config_selectorImNS0_10empty_typeEEEZZNS1_29radix_sort_onesweep_iterationIS3_Lb0EPmS8_PS5_S9_mNS0_19identity_decomposerENS1_16block_id_wrapperIjLb0EEEEE10hipError_tT1_PNSt15iterator_traitsISE_E10value_typeET2_T3_PNSF_ISK_E10value_typeET4_T5_PSP_SQ_PNS1_23onesweep_lookback_stateEbbT6_jjT7_P12ihipStream_tbENKUlT_T0_SE_SJ_E_clIS8_S8_S9_S9_EEDaSX_SY_SE_SJ_EUlSX_E_NS1_11comp_targetILNS1_3genE2ELNS1_11target_archE906ELNS1_3gpuE6ELNS1_3repE0EEENS1_47radix_sort_onesweep_sort_config_static_selectorELNS0_4arch9wavefront6targetE1EEEvSE_
    .private_segment_fixed_size: 0
    .sgpr_count:     4
    .sgpr_spill_count: 0
    .symbol:         _ZN7rocprim17ROCPRIM_400000_NS6detail17trampoline_kernelINS0_14default_configENS1_35radix_sort_onesweep_config_selectorImNS0_10empty_typeEEEZZNS1_29radix_sort_onesweep_iterationIS3_Lb0EPmS8_PS5_S9_mNS0_19identity_decomposerENS1_16block_id_wrapperIjLb0EEEEE10hipError_tT1_PNSt15iterator_traitsISE_E10value_typeET2_T3_PNSF_ISK_E10value_typeET4_T5_PSP_SQ_PNS1_23onesweep_lookback_stateEbbT6_jjT7_P12ihipStream_tbENKUlT_T0_SE_SJ_E_clIS8_S8_S9_S9_EEDaSX_SY_SE_SJ_EUlSX_E_NS1_11comp_targetILNS1_3genE2ELNS1_11target_archE906ELNS1_3gpuE6ELNS1_3repE0EEENS1_47radix_sort_onesweep_sort_config_static_selectorELNS0_4arch9wavefront6targetE1EEEvSE_.kd
    .uniform_work_group_size: 1
    .uses_dynamic_stack: false
    .vgpr_count:     0
    .vgpr_spill_count: 0
    .wavefront_size: 64
  - .agpr_count:     0
    .args:
      - .offset:         0
        .size:           88
        .value_kind:     by_value
      - .offset:         88
        .size:           4
        .value_kind:     hidden_block_count_x
      - .offset:         92
        .size:           4
        .value_kind:     hidden_block_count_y
      - .offset:         96
        .size:           4
        .value_kind:     hidden_block_count_z
      - .offset:         100
        .size:           2
        .value_kind:     hidden_group_size_x
      - .offset:         102
        .size:           2
        .value_kind:     hidden_group_size_y
      - .offset:         104
        .size:           2
        .value_kind:     hidden_group_size_z
      - .offset:         106
        .size:           2
        .value_kind:     hidden_remainder_x
      - .offset:         108
        .size:           2
        .value_kind:     hidden_remainder_y
      - .offset:         110
        .size:           2
        .value_kind:     hidden_remainder_z
      - .offset:         128
        .size:           8
        .value_kind:     hidden_global_offset_x
      - .offset:         136
        .size:           8
        .value_kind:     hidden_global_offset_y
      - .offset:         144
        .size:           8
        .value_kind:     hidden_global_offset_z
      - .offset:         152
        .size:           2
        .value_kind:     hidden_grid_dims
    .group_segment_fixed_size: 20552
    .kernarg_segment_align: 8
    .kernarg_segment_size: 344
    .language:       OpenCL C
    .language_version:
      - 2
      - 0
    .max_flat_workgroup_size: 1024
    .name:           _ZN7rocprim17ROCPRIM_400000_NS6detail17trampoline_kernelINS0_14default_configENS1_35radix_sort_onesweep_config_selectorImNS0_10empty_typeEEEZZNS1_29radix_sort_onesweep_iterationIS3_Lb0EPmS8_PS5_S9_mNS0_19identity_decomposerENS1_16block_id_wrapperIjLb0EEEEE10hipError_tT1_PNSt15iterator_traitsISE_E10value_typeET2_T3_PNSF_ISK_E10value_typeET4_T5_PSP_SQ_PNS1_23onesweep_lookback_stateEbbT6_jjT7_P12ihipStream_tbENKUlT_T0_SE_SJ_E_clIS8_S8_S9_S9_EEDaSX_SY_SE_SJ_EUlSX_E_NS1_11comp_targetILNS1_3genE4ELNS1_11target_archE910ELNS1_3gpuE8ELNS1_3repE0EEENS1_47radix_sort_onesweep_sort_config_static_selectorELNS0_4arch9wavefront6targetE1EEEvSE_
    .private_segment_fixed_size: 0
    .sgpr_count:     34
    .sgpr_spill_count: 0
    .symbol:         _ZN7rocprim17ROCPRIM_400000_NS6detail17trampoline_kernelINS0_14default_configENS1_35radix_sort_onesweep_config_selectorImNS0_10empty_typeEEEZZNS1_29radix_sort_onesweep_iterationIS3_Lb0EPmS8_PS5_S9_mNS0_19identity_decomposerENS1_16block_id_wrapperIjLb0EEEEE10hipError_tT1_PNSt15iterator_traitsISE_E10value_typeET2_T3_PNSF_ISK_E10value_typeET4_T5_PSP_SQ_PNS1_23onesweep_lookback_stateEbbT6_jjT7_P12ihipStream_tbENKUlT_T0_SE_SJ_E_clIS8_S8_S9_S9_EEDaSX_SY_SE_SJ_EUlSX_E_NS1_11comp_targetILNS1_3genE4ELNS1_11target_archE910ELNS1_3gpuE8ELNS1_3repE0EEENS1_47radix_sort_onesweep_sort_config_static_selectorELNS0_4arch9wavefront6targetE1EEEvSE_.kd
    .uniform_work_group_size: 1
    .uses_dynamic_stack: false
    .vgpr_count:     55
    .vgpr_spill_count: 0
    .wavefront_size: 64
  - .agpr_count:     0
    .args:
      - .offset:         0
        .size:           88
        .value_kind:     by_value
    .group_segment_fixed_size: 0
    .kernarg_segment_align: 8
    .kernarg_segment_size: 88
    .language:       OpenCL C
    .language_version:
      - 2
      - 0
    .max_flat_workgroup_size: 512
    .name:           _ZN7rocprim17ROCPRIM_400000_NS6detail17trampoline_kernelINS0_14default_configENS1_35radix_sort_onesweep_config_selectorImNS0_10empty_typeEEEZZNS1_29radix_sort_onesweep_iterationIS3_Lb0EPmS8_PS5_S9_mNS0_19identity_decomposerENS1_16block_id_wrapperIjLb0EEEEE10hipError_tT1_PNSt15iterator_traitsISE_E10value_typeET2_T3_PNSF_ISK_E10value_typeET4_T5_PSP_SQ_PNS1_23onesweep_lookback_stateEbbT6_jjT7_P12ihipStream_tbENKUlT_T0_SE_SJ_E_clIS8_S8_S9_S9_EEDaSX_SY_SE_SJ_EUlSX_E_NS1_11comp_targetILNS1_3genE3ELNS1_11target_archE908ELNS1_3gpuE7ELNS1_3repE0EEENS1_47radix_sort_onesweep_sort_config_static_selectorELNS0_4arch9wavefront6targetE1EEEvSE_
    .private_segment_fixed_size: 0
    .sgpr_count:     4
    .sgpr_spill_count: 0
    .symbol:         _ZN7rocprim17ROCPRIM_400000_NS6detail17trampoline_kernelINS0_14default_configENS1_35radix_sort_onesweep_config_selectorImNS0_10empty_typeEEEZZNS1_29radix_sort_onesweep_iterationIS3_Lb0EPmS8_PS5_S9_mNS0_19identity_decomposerENS1_16block_id_wrapperIjLb0EEEEE10hipError_tT1_PNSt15iterator_traitsISE_E10value_typeET2_T3_PNSF_ISK_E10value_typeET4_T5_PSP_SQ_PNS1_23onesweep_lookback_stateEbbT6_jjT7_P12ihipStream_tbENKUlT_T0_SE_SJ_E_clIS8_S8_S9_S9_EEDaSX_SY_SE_SJ_EUlSX_E_NS1_11comp_targetILNS1_3genE3ELNS1_11target_archE908ELNS1_3gpuE7ELNS1_3repE0EEENS1_47radix_sort_onesweep_sort_config_static_selectorELNS0_4arch9wavefront6targetE1EEEvSE_.kd
    .uniform_work_group_size: 1
    .uses_dynamic_stack: false
    .vgpr_count:     0
    .vgpr_spill_count: 0
    .wavefront_size: 64
  - .agpr_count:     0
    .args:
      - .offset:         0
        .size:           88
        .value_kind:     by_value
    .group_segment_fixed_size: 0
    .kernarg_segment_align: 8
    .kernarg_segment_size: 88
    .language:       OpenCL C
    .language_version:
      - 2
      - 0
    .max_flat_workgroup_size: 512
    .name:           _ZN7rocprim17ROCPRIM_400000_NS6detail17trampoline_kernelINS0_14default_configENS1_35radix_sort_onesweep_config_selectorImNS0_10empty_typeEEEZZNS1_29radix_sort_onesweep_iterationIS3_Lb0EPmS8_PS5_S9_mNS0_19identity_decomposerENS1_16block_id_wrapperIjLb0EEEEE10hipError_tT1_PNSt15iterator_traitsISE_E10value_typeET2_T3_PNSF_ISK_E10value_typeET4_T5_PSP_SQ_PNS1_23onesweep_lookback_stateEbbT6_jjT7_P12ihipStream_tbENKUlT_T0_SE_SJ_E_clIS8_S8_S9_S9_EEDaSX_SY_SE_SJ_EUlSX_E_NS1_11comp_targetILNS1_3genE10ELNS1_11target_archE1201ELNS1_3gpuE5ELNS1_3repE0EEENS1_47radix_sort_onesweep_sort_config_static_selectorELNS0_4arch9wavefront6targetE1EEEvSE_
    .private_segment_fixed_size: 0
    .sgpr_count:     4
    .sgpr_spill_count: 0
    .symbol:         _ZN7rocprim17ROCPRIM_400000_NS6detail17trampoline_kernelINS0_14default_configENS1_35radix_sort_onesweep_config_selectorImNS0_10empty_typeEEEZZNS1_29radix_sort_onesweep_iterationIS3_Lb0EPmS8_PS5_S9_mNS0_19identity_decomposerENS1_16block_id_wrapperIjLb0EEEEE10hipError_tT1_PNSt15iterator_traitsISE_E10value_typeET2_T3_PNSF_ISK_E10value_typeET4_T5_PSP_SQ_PNS1_23onesweep_lookback_stateEbbT6_jjT7_P12ihipStream_tbENKUlT_T0_SE_SJ_E_clIS8_S8_S9_S9_EEDaSX_SY_SE_SJ_EUlSX_E_NS1_11comp_targetILNS1_3genE10ELNS1_11target_archE1201ELNS1_3gpuE5ELNS1_3repE0EEENS1_47radix_sort_onesweep_sort_config_static_selectorELNS0_4arch9wavefront6targetE1EEEvSE_.kd
    .uniform_work_group_size: 1
    .uses_dynamic_stack: false
    .vgpr_count:     0
    .vgpr_spill_count: 0
    .wavefront_size: 64
  - .agpr_count:     0
    .args:
      - .offset:         0
        .size:           88
        .value_kind:     by_value
    .group_segment_fixed_size: 0
    .kernarg_segment_align: 8
    .kernarg_segment_size: 88
    .language:       OpenCL C
    .language_version:
      - 2
      - 0
    .max_flat_workgroup_size: 1024
    .name:           _ZN7rocprim17ROCPRIM_400000_NS6detail17trampoline_kernelINS0_14default_configENS1_35radix_sort_onesweep_config_selectorImNS0_10empty_typeEEEZZNS1_29radix_sort_onesweep_iterationIS3_Lb0EPmS8_PS5_S9_mNS0_19identity_decomposerENS1_16block_id_wrapperIjLb0EEEEE10hipError_tT1_PNSt15iterator_traitsISE_E10value_typeET2_T3_PNSF_ISK_E10value_typeET4_T5_PSP_SQ_PNS1_23onesweep_lookback_stateEbbT6_jjT7_P12ihipStream_tbENKUlT_T0_SE_SJ_E_clIS8_S8_S9_S9_EEDaSX_SY_SE_SJ_EUlSX_E_NS1_11comp_targetILNS1_3genE9ELNS1_11target_archE1100ELNS1_3gpuE3ELNS1_3repE0EEENS1_47radix_sort_onesweep_sort_config_static_selectorELNS0_4arch9wavefront6targetE1EEEvSE_
    .private_segment_fixed_size: 0
    .sgpr_count:     4
    .sgpr_spill_count: 0
    .symbol:         _ZN7rocprim17ROCPRIM_400000_NS6detail17trampoline_kernelINS0_14default_configENS1_35radix_sort_onesweep_config_selectorImNS0_10empty_typeEEEZZNS1_29radix_sort_onesweep_iterationIS3_Lb0EPmS8_PS5_S9_mNS0_19identity_decomposerENS1_16block_id_wrapperIjLb0EEEEE10hipError_tT1_PNSt15iterator_traitsISE_E10value_typeET2_T3_PNSF_ISK_E10value_typeET4_T5_PSP_SQ_PNS1_23onesweep_lookback_stateEbbT6_jjT7_P12ihipStream_tbENKUlT_T0_SE_SJ_E_clIS8_S8_S9_S9_EEDaSX_SY_SE_SJ_EUlSX_E_NS1_11comp_targetILNS1_3genE9ELNS1_11target_archE1100ELNS1_3gpuE3ELNS1_3repE0EEENS1_47radix_sort_onesweep_sort_config_static_selectorELNS0_4arch9wavefront6targetE1EEEvSE_.kd
    .uniform_work_group_size: 1
    .uses_dynamic_stack: false
    .vgpr_count:     0
    .vgpr_spill_count: 0
    .wavefront_size: 64
  - .agpr_count:     0
    .args:
      - .offset:         0
        .size:           88
        .value_kind:     by_value
    .group_segment_fixed_size: 0
    .kernarg_segment_align: 8
    .kernarg_segment_size: 88
    .language:       OpenCL C
    .language_version:
      - 2
      - 0
    .max_flat_workgroup_size: 1024
    .name:           _ZN7rocprim17ROCPRIM_400000_NS6detail17trampoline_kernelINS0_14default_configENS1_35radix_sort_onesweep_config_selectorImNS0_10empty_typeEEEZZNS1_29radix_sort_onesweep_iterationIS3_Lb0EPmS8_PS5_S9_mNS0_19identity_decomposerENS1_16block_id_wrapperIjLb0EEEEE10hipError_tT1_PNSt15iterator_traitsISE_E10value_typeET2_T3_PNSF_ISK_E10value_typeET4_T5_PSP_SQ_PNS1_23onesweep_lookback_stateEbbT6_jjT7_P12ihipStream_tbENKUlT_T0_SE_SJ_E_clIS8_S8_S9_S9_EEDaSX_SY_SE_SJ_EUlSX_E_NS1_11comp_targetILNS1_3genE8ELNS1_11target_archE1030ELNS1_3gpuE2ELNS1_3repE0EEENS1_47radix_sort_onesweep_sort_config_static_selectorELNS0_4arch9wavefront6targetE1EEEvSE_
    .private_segment_fixed_size: 0
    .sgpr_count:     4
    .sgpr_spill_count: 0
    .symbol:         _ZN7rocprim17ROCPRIM_400000_NS6detail17trampoline_kernelINS0_14default_configENS1_35radix_sort_onesweep_config_selectorImNS0_10empty_typeEEEZZNS1_29radix_sort_onesweep_iterationIS3_Lb0EPmS8_PS5_S9_mNS0_19identity_decomposerENS1_16block_id_wrapperIjLb0EEEEE10hipError_tT1_PNSt15iterator_traitsISE_E10value_typeET2_T3_PNSF_ISK_E10value_typeET4_T5_PSP_SQ_PNS1_23onesweep_lookback_stateEbbT6_jjT7_P12ihipStream_tbENKUlT_T0_SE_SJ_E_clIS8_S8_S9_S9_EEDaSX_SY_SE_SJ_EUlSX_E_NS1_11comp_targetILNS1_3genE8ELNS1_11target_archE1030ELNS1_3gpuE2ELNS1_3repE0EEENS1_47radix_sort_onesweep_sort_config_static_selectorELNS0_4arch9wavefront6targetE1EEEvSE_.kd
    .uniform_work_group_size: 1
    .uses_dynamic_stack: false
    .vgpr_count:     0
    .vgpr_spill_count: 0
    .wavefront_size: 64
  - .agpr_count:     0
    .args:
      - .offset:         0
        .size:           48
        .value_kind:     by_value
    .group_segment_fixed_size: 0
    .kernarg_segment_align: 8
    .kernarg_segment_size: 48
    .language:       OpenCL C
    .language_version:
      - 2
      - 0
    .max_flat_workgroup_size: 256
    .name:           _ZN7rocprim17ROCPRIM_400000_NS6detail17trampoline_kernelINS0_13kernel_configILj256ELj4ELj4294967295EEENS1_37radix_sort_block_sort_config_selectorIxNS0_10empty_typeEEEZNS1_21radix_sort_block_sortIS4_Lb0EPxS9_PS6_SA_NS0_19identity_decomposerEEE10hipError_tT1_T2_T3_T4_jRjT5_jjP12ihipStream_tbEUlT_E_NS1_11comp_targetILNS1_3genE0ELNS1_11target_archE4294967295ELNS1_3gpuE0ELNS1_3repE0EEENS1_44radix_sort_block_sort_config_static_selectorELNS0_4arch9wavefront6targetE1EEEvSD_
    .private_segment_fixed_size: 0
    .sgpr_count:     4
    .sgpr_spill_count: 0
    .symbol:         _ZN7rocprim17ROCPRIM_400000_NS6detail17trampoline_kernelINS0_13kernel_configILj256ELj4ELj4294967295EEENS1_37radix_sort_block_sort_config_selectorIxNS0_10empty_typeEEEZNS1_21radix_sort_block_sortIS4_Lb0EPxS9_PS6_SA_NS0_19identity_decomposerEEE10hipError_tT1_T2_T3_T4_jRjT5_jjP12ihipStream_tbEUlT_E_NS1_11comp_targetILNS1_3genE0ELNS1_11target_archE4294967295ELNS1_3gpuE0ELNS1_3repE0EEENS1_44radix_sort_block_sort_config_static_selectorELNS0_4arch9wavefront6targetE1EEEvSD_.kd
    .uniform_work_group_size: 1
    .uses_dynamic_stack: false
    .vgpr_count:     0
    .vgpr_spill_count: 0
    .wavefront_size: 64
  - .agpr_count:     0
    .args:
      - .offset:         0
        .size:           48
        .value_kind:     by_value
    .group_segment_fixed_size: 0
    .kernarg_segment_align: 8
    .kernarg_segment_size: 48
    .language:       OpenCL C
    .language_version:
      - 2
      - 0
    .max_flat_workgroup_size: 256
    .name:           _ZN7rocprim17ROCPRIM_400000_NS6detail17trampoline_kernelINS0_13kernel_configILj256ELj4ELj4294967295EEENS1_37radix_sort_block_sort_config_selectorIxNS0_10empty_typeEEEZNS1_21radix_sort_block_sortIS4_Lb0EPxS9_PS6_SA_NS0_19identity_decomposerEEE10hipError_tT1_T2_T3_T4_jRjT5_jjP12ihipStream_tbEUlT_E_NS1_11comp_targetILNS1_3genE5ELNS1_11target_archE942ELNS1_3gpuE9ELNS1_3repE0EEENS1_44radix_sort_block_sort_config_static_selectorELNS0_4arch9wavefront6targetE1EEEvSD_
    .private_segment_fixed_size: 0
    .sgpr_count:     4
    .sgpr_spill_count: 0
    .symbol:         _ZN7rocprim17ROCPRIM_400000_NS6detail17trampoline_kernelINS0_13kernel_configILj256ELj4ELj4294967295EEENS1_37radix_sort_block_sort_config_selectorIxNS0_10empty_typeEEEZNS1_21radix_sort_block_sortIS4_Lb0EPxS9_PS6_SA_NS0_19identity_decomposerEEE10hipError_tT1_T2_T3_T4_jRjT5_jjP12ihipStream_tbEUlT_E_NS1_11comp_targetILNS1_3genE5ELNS1_11target_archE942ELNS1_3gpuE9ELNS1_3repE0EEENS1_44radix_sort_block_sort_config_static_selectorELNS0_4arch9wavefront6targetE1EEEvSD_.kd
    .uniform_work_group_size: 1
    .uses_dynamic_stack: false
    .vgpr_count:     0
    .vgpr_spill_count: 0
    .wavefront_size: 64
  - .agpr_count:     0
    .args:
      - .offset:         0
        .size:           48
        .value_kind:     by_value
      - .offset:         48
        .size:           4
        .value_kind:     hidden_block_count_x
      - .offset:         52
        .size:           4
        .value_kind:     hidden_block_count_y
      - .offset:         56
        .size:           4
        .value_kind:     hidden_block_count_z
      - .offset:         60
        .size:           2
        .value_kind:     hidden_group_size_x
      - .offset:         62
        .size:           2
        .value_kind:     hidden_group_size_y
      - .offset:         64
        .size:           2
        .value_kind:     hidden_group_size_z
      - .offset:         66
        .size:           2
        .value_kind:     hidden_remainder_x
      - .offset:         68
        .size:           2
        .value_kind:     hidden_remainder_y
      - .offset:         70
        .size:           2
        .value_kind:     hidden_remainder_z
      - .offset:         88
        .size:           8
        .value_kind:     hidden_global_offset_x
      - .offset:         96
        .size:           8
        .value_kind:     hidden_global_offset_y
      - .offset:         104
        .size:           8
        .value_kind:     hidden_global_offset_z
      - .offset:         112
        .size:           2
        .value_kind:     hidden_grid_dims
    .group_segment_fixed_size: 8192
    .kernarg_segment_align: 8
    .kernarg_segment_size: 304
    .language:       OpenCL C
    .language_version:
      - 2
      - 0
    .max_flat_workgroup_size: 256
    .name:           _ZN7rocprim17ROCPRIM_400000_NS6detail17trampoline_kernelINS0_13kernel_configILj256ELj4ELj4294967295EEENS1_37radix_sort_block_sort_config_selectorIxNS0_10empty_typeEEEZNS1_21radix_sort_block_sortIS4_Lb0EPxS9_PS6_SA_NS0_19identity_decomposerEEE10hipError_tT1_T2_T3_T4_jRjT5_jjP12ihipStream_tbEUlT_E_NS1_11comp_targetILNS1_3genE4ELNS1_11target_archE910ELNS1_3gpuE8ELNS1_3repE0EEENS1_44radix_sort_block_sort_config_static_selectorELNS0_4arch9wavefront6targetE1EEEvSD_
    .private_segment_fixed_size: 0
    .sgpr_count:     48
    .sgpr_spill_count: 0
    .symbol:         _ZN7rocprim17ROCPRIM_400000_NS6detail17trampoline_kernelINS0_13kernel_configILj256ELj4ELj4294967295EEENS1_37radix_sort_block_sort_config_selectorIxNS0_10empty_typeEEEZNS1_21radix_sort_block_sortIS4_Lb0EPxS9_PS6_SA_NS0_19identity_decomposerEEE10hipError_tT1_T2_T3_T4_jRjT5_jjP12ihipStream_tbEUlT_E_NS1_11comp_targetILNS1_3genE4ELNS1_11target_archE910ELNS1_3gpuE8ELNS1_3repE0EEENS1_44radix_sort_block_sort_config_static_selectorELNS0_4arch9wavefront6targetE1EEEvSD_.kd
    .uniform_work_group_size: 1
    .uses_dynamic_stack: false
    .vgpr_count:     42
    .vgpr_spill_count: 0
    .wavefront_size: 64
  - .agpr_count:     0
    .args:
      - .offset:         0
        .size:           48
        .value_kind:     by_value
    .group_segment_fixed_size: 0
    .kernarg_segment_align: 8
    .kernarg_segment_size: 48
    .language:       OpenCL C
    .language_version:
      - 2
      - 0
    .max_flat_workgroup_size: 256
    .name:           _ZN7rocprim17ROCPRIM_400000_NS6detail17trampoline_kernelINS0_13kernel_configILj256ELj4ELj4294967295EEENS1_37radix_sort_block_sort_config_selectorIxNS0_10empty_typeEEEZNS1_21radix_sort_block_sortIS4_Lb0EPxS9_PS6_SA_NS0_19identity_decomposerEEE10hipError_tT1_T2_T3_T4_jRjT5_jjP12ihipStream_tbEUlT_E_NS1_11comp_targetILNS1_3genE3ELNS1_11target_archE908ELNS1_3gpuE7ELNS1_3repE0EEENS1_44radix_sort_block_sort_config_static_selectorELNS0_4arch9wavefront6targetE1EEEvSD_
    .private_segment_fixed_size: 0
    .sgpr_count:     4
    .sgpr_spill_count: 0
    .symbol:         _ZN7rocprim17ROCPRIM_400000_NS6detail17trampoline_kernelINS0_13kernel_configILj256ELj4ELj4294967295EEENS1_37radix_sort_block_sort_config_selectorIxNS0_10empty_typeEEEZNS1_21radix_sort_block_sortIS4_Lb0EPxS9_PS6_SA_NS0_19identity_decomposerEEE10hipError_tT1_T2_T3_T4_jRjT5_jjP12ihipStream_tbEUlT_E_NS1_11comp_targetILNS1_3genE3ELNS1_11target_archE908ELNS1_3gpuE7ELNS1_3repE0EEENS1_44radix_sort_block_sort_config_static_selectorELNS0_4arch9wavefront6targetE1EEEvSD_.kd
    .uniform_work_group_size: 1
    .uses_dynamic_stack: false
    .vgpr_count:     0
    .vgpr_spill_count: 0
    .wavefront_size: 64
  - .agpr_count:     0
    .args:
      - .offset:         0
        .size:           48
        .value_kind:     by_value
    .group_segment_fixed_size: 0
    .kernarg_segment_align: 8
    .kernarg_segment_size: 48
    .language:       OpenCL C
    .language_version:
      - 2
      - 0
    .max_flat_workgroup_size: 256
    .name:           _ZN7rocprim17ROCPRIM_400000_NS6detail17trampoline_kernelINS0_13kernel_configILj256ELj4ELj4294967295EEENS1_37radix_sort_block_sort_config_selectorIxNS0_10empty_typeEEEZNS1_21radix_sort_block_sortIS4_Lb0EPxS9_PS6_SA_NS0_19identity_decomposerEEE10hipError_tT1_T2_T3_T4_jRjT5_jjP12ihipStream_tbEUlT_E_NS1_11comp_targetILNS1_3genE2ELNS1_11target_archE906ELNS1_3gpuE6ELNS1_3repE0EEENS1_44radix_sort_block_sort_config_static_selectorELNS0_4arch9wavefront6targetE1EEEvSD_
    .private_segment_fixed_size: 0
    .sgpr_count:     4
    .sgpr_spill_count: 0
    .symbol:         _ZN7rocprim17ROCPRIM_400000_NS6detail17trampoline_kernelINS0_13kernel_configILj256ELj4ELj4294967295EEENS1_37radix_sort_block_sort_config_selectorIxNS0_10empty_typeEEEZNS1_21radix_sort_block_sortIS4_Lb0EPxS9_PS6_SA_NS0_19identity_decomposerEEE10hipError_tT1_T2_T3_T4_jRjT5_jjP12ihipStream_tbEUlT_E_NS1_11comp_targetILNS1_3genE2ELNS1_11target_archE906ELNS1_3gpuE6ELNS1_3repE0EEENS1_44radix_sort_block_sort_config_static_selectorELNS0_4arch9wavefront6targetE1EEEvSD_.kd
    .uniform_work_group_size: 1
    .uses_dynamic_stack: false
    .vgpr_count:     0
    .vgpr_spill_count: 0
    .wavefront_size: 64
  - .agpr_count:     0
    .args:
      - .offset:         0
        .size:           48
        .value_kind:     by_value
    .group_segment_fixed_size: 0
    .kernarg_segment_align: 8
    .kernarg_segment_size: 48
    .language:       OpenCL C
    .language_version:
      - 2
      - 0
    .max_flat_workgroup_size: 256
    .name:           _ZN7rocprim17ROCPRIM_400000_NS6detail17trampoline_kernelINS0_13kernel_configILj256ELj4ELj4294967295EEENS1_37radix_sort_block_sort_config_selectorIxNS0_10empty_typeEEEZNS1_21radix_sort_block_sortIS4_Lb0EPxS9_PS6_SA_NS0_19identity_decomposerEEE10hipError_tT1_T2_T3_T4_jRjT5_jjP12ihipStream_tbEUlT_E_NS1_11comp_targetILNS1_3genE10ELNS1_11target_archE1201ELNS1_3gpuE5ELNS1_3repE0EEENS1_44radix_sort_block_sort_config_static_selectorELNS0_4arch9wavefront6targetE1EEEvSD_
    .private_segment_fixed_size: 0
    .sgpr_count:     4
    .sgpr_spill_count: 0
    .symbol:         _ZN7rocprim17ROCPRIM_400000_NS6detail17trampoline_kernelINS0_13kernel_configILj256ELj4ELj4294967295EEENS1_37radix_sort_block_sort_config_selectorIxNS0_10empty_typeEEEZNS1_21radix_sort_block_sortIS4_Lb0EPxS9_PS6_SA_NS0_19identity_decomposerEEE10hipError_tT1_T2_T3_T4_jRjT5_jjP12ihipStream_tbEUlT_E_NS1_11comp_targetILNS1_3genE10ELNS1_11target_archE1201ELNS1_3gpuE5ELNS1_3repE0EEENS1_44radix_sort_block_sort_config_static_selectorELNS0_4arch9wavefront6targetE1EEEvSD_.kd
    .uniform_work_group_size: 1
    .uses_dynamic_stack: false
    .vgpr_count:     0
    .vgpr_spill_count: 0
    .wavefront_size: 64
  - .agpr_count:     0
    .args:
      - .offset:         0
        .size:           48
        .value_kind:     by_value
    .group_segment_fixed_size: 0
    .kernarg_segment_align: 8
    .kernarg_segment_size: 48
    .language:       OpenCL C
    .language_version:
      - 2
      - 0
    .max_flat_workgroup_size: 256
    .name:           _ZN7rocprim17ROCPRIM_400000_NS6detail17trampoline_kernelINS0_13kernel_configILj256ELj4ELj4294967295EEENS1_37radix_sort_block_sort_config_selectorIxNS0_10empty_typeEEEZNS1_21radix_sort_block_sortIS4_Lb0EPxS9_PS6_SA_NS0_19identity_decomposerEEE10hipError_tT1_T2_T3_T4_jRjT5_jjP12ihipStream_tbEUlT_E_NS1_11comp_targetILNS1_3genE10ELNS1_11target_archE1200ELNS1_3gpuE4ELNS1_3repE0EEENS1_44radix_sort_block_sort_config_static_selectorELNS0_4arch9wavefront6targetE1EEEvSD_
    .private_segment_fixed_size: 0
    .sgpr_count:     4
    .sgpr_spill_count: 0
    .symbol:         _ZN7rocprim17ROCPRIM_400000_NS6detail17trampoline_kernelINS0_13kernel_configILj256ELj4ELj4294967295EEENS1_37radix_sort_block_sort_config_selectorIxNS0_10empty_typeEEEZNS1_21radix_sort_block_sortIS4_Lb0EPxS9_PS6_SA_NS0_19identity_decomposerEEE10hipError_tT1_T2_T3_T4_jRjT5_jjP12ihipStream_tbEUlT_E_NS1_11comp_targetILNS1_3genE10ELNS1_11target_archE1200ELNS1_3gpuE4ELNS1_3repE0EEENS1_44radix_sort_block_sort_config_static_selectorELNS0_4arch9wavefront6targetE1EEEvSD_.kd
    .uniform_work_group_size: 1
    .uses_dynamic_stack: false
    .vgpr_count:     0
    .vgpr_spill_count: 0
    .wavefront_size: 64
  - .agpr_count:     0
    .args:
      - .offset:         0
        .size:           48
        .value_kind:     by_value
    .group_segment_fixed_size: 0
    .kernarg_segment_align: 8
    .kernarg_segment_size: 48
    .language:       OpenCL C
    .language_version:
      - 2
      - 0
    .max_flat_workgroup_size: 256
    .name:           _ZN7rocprim17ROCPRIM_400000_NS6detail17trampoline_kernelINS0_13kernel_configILj256ELj4ELj4294967295EEENS1_37radix_sort_block_sort_config_selectorIxNS0_10empty_typeEEEZNS1_21radix_sort_block_sortIS4_Lb0EPxS9_PS6_SA_NS0_19identity_decomposerEEE10hipError_tT1_T2_T3_T4_jRjT5_jjP12ihipStream_tbEUlT_E_NS1_11comp_targetILNS1_3genE9ELNS1_11target_archE1100ELNS1_3gpuE3ELNS1_3repE0EEENS1_44radix_sort_block_sort_config_static_selectorELNS0_4arch9wavefront6targetE1EEEvSD_
    .private_segment_fixed_size: 0
    .sgpr_count:     4
    .sgpr_spill_count: 0
    .symbol:         _ZN7rocprim17ROCPRIM_400000_NS6detail17trampoline_kernelINS0_13kernel_configILj256ELj4ELj4294967295EEENS1_37radix_sort_block_sort_config_selectorIxNS0_10empty_typeEEEZNS1_21radix_sort_block_sortIS4_Lb0EPxS9_PS6_SA_NS0_19identity_decomposerEEE10hipError_tT1_T2_T3_T4_jRjT5_jjP12ihipStream_tbEUlT_E_NS1_11comp_targetILNS1_3genE9ELNS1_11target_archE1100ELNS1_3gpuE3ELNS1_3repE0EEENS1_44radix_sort_block_sort_config_static_selectorELNS0_4arch9wavefront6targetE1EEEvSD_.kd
    .uniform_work_group_size: 1
    .uses_dynamic_stack: false
    .vgpr_count:     0
    .vgpr_spill_count: 0
    .wavefront_size: 64
  - .agpr_count:     0
    .args:
      - .offset:         0
        .size:           48
        .value_kind:     by_value
    .group_segment_fixed_size: 0
    .kernarg_segment_align: 8
    .kernarg_segment_size: 48
    .language:       OpenCL C
    .language_version:
      - 2
      - 0
    .max_flat_workgroup_size: 256
    .name:           _ZN7rocprim17ROCPRIM_400000_NS6detail17trampoline_kernelINS0_13kernel_configILj256ELj4ELj4294967295EEENS1_37radix_sort_block_sort_config_selectorIxNS0_10empty_typeEEEZNS1_21radix_sort_block_sortIS4_Lb0EPxS9_PS6_SA_NS0_19identity_decomposerEEE10hipError_tT1_T2_T3_T4_jRjT5_jjP12ihipStream_tbEUlT_E_NS1_11comp_targetILNS1_3genE8ELNS1_11target_archE1030ELNS1_3gpuE2ELNS1_3repE0EEENS1_44radix_sort_block_sort_config_static_selectorELNS0_4arch9wavefront6targetE1EEEvSD_
    .private_segment_fixed_size: 0
    .sgpr_count:     4
    .sgpr_spill_count: 0
    .symbol:         _ZN7rocprim17ROCPRIM_400000_NS6detail17trampoline_kernelINS0_13kernel_configILj256ELj4ELj4294967295EEENS1_37radix_sort_block_sort_config_selectorIxNS0_10empty_typeEEEZNS1_21radix_sort_block_sortIS4_Lb0EPxS9_PS6_SA_NS0_19identity_decomposerEEE10hipError_tT1_T2_T3_T4_jRjT5_jjP12ihipStream_tbEUlT_E_NS1_11comp_targetILNS1_3genE8ELNS1_11target_archE1030ELNS1_3gpuE2ELNS1_3repE0EEENS1_44radix_sort_block_sort_config_static_selectorELNS0_4arch9wavefront6targetE1EEEvSD_.kd
    .uniform_work_group_size: 1
    .uses_dynamic_stack: false
    .vgpr_count:     0
    .vgpr_spill_count: 0
    .wavefront_size: 64
  - .agpr_count:     0
    .args:           []
    .group_segment_fixed_size: 0
    .kernarg_segment_align: 4
    .kernarg_segment_size: 0
    .language:       OpenCL C
    .language_version:
      - 2
      - 0
    .max_flat_workgroup_size: 1024
    .name:           _ZN7rocprim17ROCPRIM_400000_NS6detail44device_merge_sort_compile_time_verifier_archINS1_11comp_targetILNS1_3genE0ELNS1_11target_archE4294967295ELNS1_3gpuE0ELNS1_3repE0EEES8_NS1_28merge_sort_block_sort_configILj256ELj4ELNS0_20block_sort_algorithmE0EEENS0_14default_configENS1_37merge_sort_block_sort_config_selectorIxNS0_10empty_typeEEENS1_38merge_sort_block_merge_config_selectorIxSE_EEEEvv
    .private_segment_fixed_size: 0
    .sgpr_count:     4
    .sgpr_spill_count: 0
    .symbol:         _ZN7rocprim17ROCPRIM_400000_NS6detail44device_merge_sort_compile_time_verifier_archINS1_11comp_targetILNS1_3genE0ELNS1_11target_archE4294967295ELNS1_3gpuE0ELNS1_3repE0EEES8_NS1_28merge_sort_block_sort_configILj256ELj4ELNS0_20block_sort_algorithmE0EEENS0_14default_configENS1_37merge_sort_block_sort_config_selectorIxNS0_10empty_typeEEENS1_38merge_sort_block_merge_config_selectorIxSE_EEEEvv.kd
    .uniform_work_group_size: 1
    .uses_dynamic_stack: false
    .vgpr_count:     0
    .vgpr_spill_count: 0
    .wavefront_size: 64
  - .agpr_count:     0
    .args:           []
    .group_segment_fixed_size: 0
    .kernarg_segment_align: 4
    .kernarg_segment_size: 0
    .language:       OpenCL C
    .language_version:
      - 2
      - 0
    .max_flat_workgroup_size: 1024
    .name:           _ZN7rocprim17ROCPRIM_400000_NS6detail44device_merge_sort_compile_time_verifier_archINS1_11comp_targetILNS1_3genE5ELNS1_11target_archE942ELNS1_3gpuE9ELNS1_3repE0EEES8_NS1_28merge_sort_block_sort_configILj256ELj4ELNS0_20block_sort_algorithmE0EEENS0_14default_configENS1_37merge_sort_block_sort_config_selectorIxNS0_10empty_typeEEENS1_38merge_sort_block_merge_config_selectorIxSE_EEEEvv
    .private_segment_fixed_size: 0
    .sgpr_count:     4
    .sgpr_spill_count: 0
    .symbol:         _ZN7rocprim17ROCPRIM_400000_NS6detail44device_merge_sort_compile_time_verifier_archINS1_11comp_targetILNS1_3genE5ELNS1_11target_archE942ELNS1_3gpuE9ELNS1_3repE0EEES8_NS1_28merge_sort_block_sort_configILj256ELj4ELNS0_20block_sort_algorithmE0EEENS0_14default_configENS1_37merge_sort_block_sort_config_selectorIxNS0_10empty_typeEEENS1_38merge_sort_block_merge_config_selectorIxSE_EEEEvv.kd
    .uniform_work_group_size: 1
    .uses_dynamic_stack: false
    .vgpr_count:     0
    .vgpr_spill_count: 0
    .wavefront_size: 64
  - .agpr_count:     0
    .args:           []
    .group_segment_fixed_size: 0
    .kernarg_segment_align: 4
    .kernarg_segment_size: 0
    .language:       OpenCL C
    .language_version:
      - 2
      - 0
    .max_flat_workgroup_size: 1024
    .name:           _ZN7rocprim17ROCPRIM_400000_NS6detail44device_merge_sort_compile_time_verifier_archINS1_11comp_targetILNS1_3genE4ELNS1_11target_archE910ELNS1_3gpuE8ELNS1_3repE0EEES8_NS1_28merge_sort_block_sort_configILj256ELj4ELNS0_20block_sort_algorithmE0EEENS0_14default_configENS1_37merge_sort_block_sort_config_selectorIxNS0_10empty_typeEEENS1_38merge_sort_block_merge_config_selectorIxSE_EEEEvv
    .private_segment_fixed_size: 0
    .sgpr_count:     4
    .sgpr_spill_count: 0
    .symbol:         _ZN7rocprim17ROCPRIM_400000_NS6detail44device_merge_sort_compile_time_verifier_archINS1_11comp_targetILNS1_3genE4ELNS1_11target_archE910ELNS1_3gpuE8ELNS1_3repE0EEES8_NS1_28merge_sort_block_sort_configILj256ELj4ELNS0_20block_sort_algorithmE0EEENS0_14default_configENS1_37merge_sort_block_sort_config_selectorIxNS0_10empty_typeEEENS1_38merge_sort_block_merge_config_selectorIxSE_EEEEvv.kd
    .uniform_work_group_size: 1
    .uses_dynamic_stack: false
    .vgpr_count:     0
    .vgpr_spill_count: 0
    .wavefront_size: 64
  - .agpr_count:     0
    .args:           []
    .group_segment_fixed_size: 0
    .kernarg_segment_align: 4
    .kernarg_segment_size: 0
    .language:       OpenCL C
    .language_version:
      - 2
      - 0
    .max_flat_workgroup_size: 1024
    .name:           _ZN7rocprim17ROCPRIM_400000_NS6detail44device_merge_sort_compile_time_verifier_archINS1_11comp_targetILNS1_3genE3ELNS1_11target_archE908ELNS1_3gpuE7ELNS1_3repE0EEES8_NS1_28merge_sort_block_sort_configILj256ELj4ELNS0_20block_sort_algorithmE0EEENS0_14default_configENS1_37merge_sort_block_sort_config_selectorIxNS0_10empty_typeEEENS1_38merge_sort_block_merge_config_selectorIxSE_EEEEvv
    .private_segment_fixed_size: 0
    .sgpr_count:     4
    .sgpr_spill_count: 0
    .symbol:         _ZN7rocprim17ROCPRIM_400000_NS6detail44device_merge_sort_compile_time_verifier_archINS1_11comp_targetILNS1_3genE3ELNS1_11target_archE908ELNS1_3gpuE7ELNS1_3repE0EEES8_NS1_28merge_sort_block_sort_configILj256ELj4ELNS0_20block_sort_algorithmE0EEENS0_14default_configENS1_37merge_sort_block_sort_config_selectorIxNS0_10empty_typeEEENS1_38merge_sort_block_merge_config_selectorIxSE_EEEEvv.kd
    .uniform_work_group_size: 1
    .uses_dynamic_stack: false
    .vgpr_count:     0
    .vgpr_spill_count: 0
    .wavefront_size: 64
  - .agpr_count:     0
    .args:           []
    .group_segment_fixed_size: 0
    .kernarg_segment_align: 4
    .kernarg_segment_size: 0
    .language:       OpenCL C
    .language_version:
      - 2
      - 0
    .max_flat_workgroup_size: 1024
    .name:           _ZN7rocprim17ROCPRIM_400000_NS6detail44device_merge_sort_compile_time_verifier_archINS1_11comp_targetILNS1_3genE2ELNS1_11target_archE906ELNS1_3gpuE6ELNS1_3repE0EEES8_NS1_28merge_sort_block_sort_configILj256ELj4ELNS0_20block_sort_algorithmE0EEENS0_14default_configENS1_37merge_sort_block_sort_config_selectorIxNS0_10empty_typeEEENS1_38merge_sort_block_merge_config_selectorIxSE_EEEEvv
    .private_segment_fixed_size: 0
    .sgpr_count:     4
    .sgpr_spill_count: 0
    .symbol:         _ZN7rocprim17ROCPRIM_400000_NS6detail44device_merge_sort_compile_time_verifier_archINS1_11comp_targetILNS1_3genE2ELNS1_11target_archE906ELNS1_3gpuE6ELNS1_3repE0EEES8_NS1_28merge_sort_block_sort_configILj256ELj4ELNS0_20block_sort_algorithmE0EEENS0_14default_configENS1_37merge_sort_block_sort_config_selectorIxNS0_10empty_typeEEENS1_38merge_sort_block_merge_config_selectorIxSE_EEEEvv.kd
    .uniform_work_group_size: 1
    .uses_dynamic_stack: false
    .vgpr_count:     0
    .vgpr_spill_count: 0
    .wavefront_size: 64
  - .agpr_count:     0
    .args:           []
    .group_segment_fixed_size: 0
    .kernarg_segment_align: 4
    .kernarg_segment_size: 0
    .language:       OpenCL C
    .language_version:
      - 2
      - 0
    .max_flat_workgroup_size: 1024
    .name:           _ZN7rocprim17ROCPRIM_400000_NS6detail44device_merge_sort_compile_time_verifier_archINS1_11comp_targetILNS1_3genE10ELNS1_11target_archE1201ELNS1_3gpuE5ELNS1_3repE0EEES8_NS1_28merge_sort_block_sort_configILj256ELj4ELNS0_20block_sort_algorithmE0EEENS0_14default_configENS1_37merge_sort_block_sort_config_selectorIxNS0_10empty_typeEEENS1_38merge_sort_block_merge_config_selectorIxSE_EEEEvv
    .private_segment_fixed_size: 0
    .sgpr_count:     4
    .sgpr_spill_count: 0
    .symbol:         _ZN7rocprim17ROCPRIM_400000_NS6detail44device_merge_sort_compile_time_verifier_archINS1_11comp_targetILNS1_3genE10ELNS1_11target_archE1201ELNS1_3gpuE5ELNS1_3repE0EEES8_NS1_28merge_sort_block_sort_configILj256ELj4ELNS0_20block_sort_algorithmE0EEENS0_14default_configENS1_37merge_sort_block_sort_config_selectorIxNS0_10empty_typeEEENS1_38merge_sort_block_merge_config_selectorIxSE_EEEEvv.kd
    .uniform_work_group_size: 1
    .uses_dynamic_stack: false
    .vgpr_count:     0
    .vgpr_spill_count: 0
    .wavefront_size: 64
  - .agpr_count:     0
    .args:           []
    .group_segment_fixed_size: 0
    .kernarg_segment_align: 4
    .kernarg_segment_size: 0
    .language:       OpenCL C
    .language_version:
      - 2
      - 0
    .max_flat_workgroup_size: 1024
    .name:           _ZN7rocprim17ROCPRIM_400000_NS6detail44device_merge_sort_compile_time_verifier_archINS1_11comp_targetILNS1_3genE10ELNS1_11target_archE1200ELNS1_3gpuE4ELNS1_3repE0EEENS3_ILS4_10ELS5_1201ELS6_5ELS7_0EEENS1_28merge_sort_block_sort_configILj256ELj4ELNS0_20block_sort_algorithmE0EEENS0_14default_configENS1_37merge_sort_block_sort_config_selectorIxNS0_10empty_typeEEENS1_38merge_sort_block_merge_config_selectorIxSF_EEEEvv
    .private_segment_fixed_size: 0
    .sgpr_count:     4
    .sgpr_spill_count: 0
    .symbol:         _ZN7rocprim17ROCPRIM_400000_NS6detail44device_merge_sort_compile_time_verifier_archINS1_11comp_targetILNS1_3genE10ELNS1_11target_archE1200ELNS1_3gpuE4ELNS1_3repE0EEENS3_ILS4_10ELS5_1201ELS6_5ELS7_0EEENS1_28merge_sort_block_sort_configILj256ELj4ELNS0_20block_sort_algorithmE0EEENS0_14default_configENS1_37merge_sort_block_sort_config_selectorIxNS0_10empty_typeEEENS1_38merge_sort_block_merge_config_selectorIxSF_EEEEvv.kd
    .uniform_work_group_size: 1
    .uses_dynamic_stack: false
    .vgpr_count:     0
    .vgpr_spill_count: 0
    .wavefront_size: 64
  - .agpr_count:     0
    .args:           []
    .group_segment_fixed_size: 0
    .kernarg_segment_align: 4
    .kernarg_segment_size: 0
    .language:       OpenCL C
    .language_version:
      - 2
      - 0
    .max_flat_workgroup_size: 1024
    .name:           _ZN7rocprim17ROCPRIM_400000_NS6detail44device_merge_sort_compile_time_verifier_archINS1_11comp_targetILNS1_3genE9ELNS1_11target_archE1100ELNS1_3gpuE3ELNS1_3repE0EEES8_NS1_28merge_sort_block_sort_configILj256ELj4ELNS0_20block_sort_algorithmE0EEENS0_14default_configENS1_37merge_sort_block_sort_config_selectorIxNS0_10empty_typeEEENS1_38merge_sort_block_merge_config_selectorIxSE_EEEEvv
    .private_segment_fixed_size: 0
    .sgpr_count:     4
    .sgpr_spill_count: 0
    .symbol:         _ZN7rocprim17ROCPRIM_400000_NS6detail44device_merge_sort_compile_time_verifier_archINS1_11comp_targetILNS1_3genE9ELNS1_11target_archE1100ELNS1_3gpuE3ELNS1_3repE0EEES8_NS1_28merge_sort_block_sort_configILj256ELj4ELNS0_20block_sort_algorithmE0EEENS0_14default_configENS1_37merge_sort_block_sort_config_selectorIxNS0_10empty_typeEEENS1_38merge_sort_block_merge_config_selectorIxSE_EEEEvv.kd
    .uniform_work_group_size: 1
    .uses_dynamic_stack: false
    .vgpr_count:     0
    .vgpr_spill_count: 0
    .wavefront_size: 64
  - .agpr_count:     0
    .args:           []
    .group_segment_fixed_size: 0
    .kernarg_segment_align: 4
    .kernarg_segment_size: 0
    .language:       OpenCL C
    .language_version:
      - 2
      - 0
    .max_flat_workgroup_size: 1024
    .name:           _ZN7rocprim17ROCPRIM_400000_NS6detail44device_merge_sort_compile_time_verifier_archINS1_11comp_targetILNS1_3genE8ELNS1_11target_archE1030ELNS1_3gpuE2ELNS1_3repE0EEES8_NS1_28merge_sort_block_sort_configILj256ELj4ELNS0_20block_sort_algorithmE0EEENS0_14default_configENS1_37merge_sort_block_sort_config_selectorIxNS0_10empty_typeEEENS1_38merge_sort_block_merge_config_selectorIxSE_EEEEvv
    .private_segment_fixed_size: 0
    .sgpr_count:     4
    .sgpr_spill_count: 0
    .symbol:         _ZN7rocprim17ROCPRIM_400000_NS6detail44device_merge_sort_compile_time_verifier_archINS1_11comp_targetILNS1_3genE8ELNS1_11target_archE1030ELNS1_3gpuE2ELNS1_3repE0EEES8_NS1_28merge_sort_block_sort_configILj256ELj4ELNS0_20block_sort_algorithmE0EEENS0_14default_configENS1_37merge_sort_block_sort_config_selectorIxNS0_10empty_typeEEENS1_38merge_sort_block_merge_config_selectorIxSE_EEEEvv.kd
    .uniform_work_group_size: 1
    .uses_dynamic_stack: false
    .vgpr_count:     0
    .vgpr_spill_count: 0
    .wavefront_size: 64
  - .agpr_count:     0
    .args:
      - .offset:         0
        .size:           40
        .value_kind:     by_value
    .group_segment_fixed_size: 0
    .kernarg_segment_align: 8
    .kernarg_segment_size: 40
    .language:       OpenCL C
    .language_version:
      - 2
      - 0
    .max_flat_workgroup_size: 128
    .name:           _ZN7rocprim17ROCPRIM_400000_NS6detail17trampoline_kernelINS0_14default_configENS1_38merge_sort_block_merge_config_selectorIxNS0_10empty_typeEEEZZNS1_27merge_sort_block_merge_implIS3_PxPS5_jNS1_19radix_merge_compareILb0ELb0ExNS0_19identity_decomposerEEEEE10hipError_tT0_T1_T2_jT3_P12ihipStream_tbPNSt15iterator_traitsISE_E10value_typeEPNSK_ISF_E10value_typeEPSG_NS1_7vsmem_tEENKUlT_SE_SF_SG_E_clIS8_S8_S9_S9_EESD_ST_SE_SF_SG_EUlST_E_NS1_11comp_targetILNS1_3genE0ELNS1_11target_archE4294967295ELNS1_3gpuE0ELNS1_3repE0EEENS1_48merge_mergepath_partition_config_static_selectorELNS0_4arch9wavefront6targetE1EEEvSF_
    .private_segment_fixed_size: 0
    .sgpr_count:     4
    .sgpr_spill_count: 0
    .symbol:         _ZN7rocprim17ROCPRIM_400000_NS6detail17trampoline_kernelINS0_14default_configENS1_38merge_sort_block_merge_config_selectorIxNS0_10empty_typeEEEZZNS1_27merge_sort_block_merge_implIS3_PxPS5_jNS1_19radix_merge_compareILb0ELb0ExNS0_19identity_decomposerEEEEE10hipError_tT0_T1_T2_jT3_P12ihipStream_tbPNSt15iterator_traitsISE_E10value_typeEPNSK_ISF_E10value_typeEPSG_NS1_7vsmem_tEENKUlT_SE_SF_SG_E_clIS8_S8_S9_S9_EESD_ST_SE_SF_SG_EUlST_E_NS1_11comp_targetILNS1_3genE0ELNS1_11target_archE4294967295ELNS1_3gpuE0ELNS1_3repE0EEENS1_48merge_mergepath_partition_config_static_selectorELNS0_4arch9wavefront6targetE1EEEvSF_.kd
    .uniform_work_group_size: 1
    .uses_dynamic_stack: false
    .vgpr_count:     0
    .vgpr_spill_count: 0
    .wavefront_size: 64
  - .agpr_count:     0
    .args:
      - .offset:         0
        .size:           40
        .value_kind:     by_value
    .group_segment_fixed_size: 0
    .kernarg_segment_align: 8
    .kernarg_segment_size: 40
    .language:       OpenCL C
    .language_version:
      - 2
      - 0
    .max_flat_workgroup_size: 128
    .name:           _ZN7rocprim17ROCPRIM_400000_NS6detail17trampoline_kernelINS0_14default_configENS1_38merge_sort_block_merge_config_selectorIxNS0_10empty_typeEEEZZNS1_27merge_sort_block_merge_implIS3_PxPS5_jNS1_19radix_merge_compareILb0ELb0ExNS0_19identity_decomposerEEEEE10hipError_tT0_T1_T2_jT3_P12ihipStream_tbPNSt15iterator_traitsISE_E10value_typeEPNSK_ISF_E10value_typeEPSG_NS1_7vsmem_tEENKUlT_SE_SF_SG_E_clIS8_S8_S9_S9_EESD_ST_SE_SF_SG_EUlST_E_NS1_11comp_targetILNS1_3genE10ELNS1_11target_archE1201ELNS1_3gpuE5ELNS1_3repE0EEENS1_48merge_mergepath_partition_config_static_selectorELNS0_4arch9wavefront6targetE1EEEvSF_
    .private_segment_fixed_size: 0
    .sgpr_count:     4
    .sgpr_spill_count: 0
    .symbol:         _ZN7rocprim17ROCPRIM_400000_NS6detail17trampoline_kernelINS0_14default_configENS1_38merge_sort_block_merge_config_selectorIxNS0_10empty_typeEEEZZNS1_27merge_sort_block_merge_implIS3_PxPS5_jNS1_19radix_merge_compareILb0ELb0ExNS0_19identity_decomposerEEEEE10hipError_tT0_T1_T2_jT3_P12ihipStream_tbPNSt15iterator_traitsISE_E10value_typeEPNSK_ISF_E10value_typeEPSG_NS1_7vsmem_tEENKUlT_SE_SF_SG_E_clIS8_S8_S9_S9_EESD_ST_SE_SF_SG_EUlST_E_NS1_11comp_targetILNS1_3genE10ELNS1_11target_archE1201ELNS1_3gpuE5ELNS1_3repE0EEENS1_48merge_mergepath_partition_config_static_selectorELNS0_4arch9wavefront6targetE1EEEvSF_.kd
    .uniform_work_group_size: 1
    .uses_dynamic_stack: false
    .vgpr_count:     0
    .vgpr_spill_count: 0
    .wavefront_size: 64
  - .agpr_count:     0
    .args:
      - .offset:         0
        .size:           40
        .value_kind:     by_value
    .group_segment_fixed_size: 0
    .kernarg_segment_align: 8
    .kernarg_segment_size: 40
    .language:       OpenCL C
    .language_version:
      - 2
      - 0
    .max_flat_workgroup_size: 128
    .name:           _ZN7rocprim17ROCPRIM_400000_NS6detail17trampoline_kernelINS0_14default_configENS1_38merge_sort_block_merge_config_selectorIxNS0_10empty_typeEEEZZNS1_27merge_sort_block_merge_implIS3_PxPS5_jNS1_19radix_merge_compareILb0ELb0ExNS0_19identity_decomposerEEEEE10hipError_tT0_T1_T2_jT3_P12ihipStream_tbPNSt15iterator_traitsISE_E10value_typeEPNSK_ISF_E10value_typeEPSG_NS1_7vsmem_tEENKUlT_SE_SF_SG_E_clIS8_S8_S9_S9_EESD_ST_SE_SF_SG_EUlST_E_NS1_11comp_targetILNS1_3genE5ELNS1_11target_archE942ELNS1_3gpuE9ELNS1_3repE0EEENS1_48merge_mergepath_partition_config_static_selectorELNS0_4arch9wavefront6targetE1EEEvSF_
    .private_segment_fixed_size: 0
    .sgpr_count:     4
    .sgpr_spill_count: 0
    .symbol:         _ZN7rocprim17ROCPRIM_400000_NS6detail17trampoline_kernelINS0_14default_configENS1_38merge_sort_block_merge_config_selectorIxNS0_10empty_typeEEEZZNS1_27merge_sort_block_merge_implIS3_PxPS5_jNS1_19radix_merge_compareILb0ELb0ExNS0_19identity_decomposerEEEEE10hipError_tT0_T1_T2_jT3_P12ihipStream_tbPNSt15iterator_traitsISE_E10value_typeEPNSK_ISF_E10value_typeEPSG_NS1_7vsmem_tEENKUlT_SE_SF_SG_E_clIS8_S8_S9_S9_EESD_ST_SE_SF_SG_EUlST_E_NS1_11comp_targetILNS1_3genE5ELNS1_11target_archE942ELNS1_3gpuE9ELNS1_3repE0EEENS1_48merge_mergepath_partition_config_static_selectorELNS0_4arch9wavefront6targetE1EEEvSF_.kd
    .uniform_work_group_size: 1
    .uses_dynamic_stack: false
    .vgpr_count:     0
    .vgpr_spill_count: 0
    .wavefront_size: 64
  - .agpr_count:     0
    .args:
      - .offset:         0
        .size:           40
        .value_kind:     by_value
    .group_segment_fixed_size: 0
    .kernarg_segment_align: 8
    .kernarg_segment_size: 40
    .language:       OpenCL C
    .language_version:
      - 2
      - 0
    .max_flat_workgroup_size: 128
    .name:           _ZN7rocprim17ROCPRIM_400000_NS6detail17trampoline_kernelINS0_14default_configENS1_38merge_sort_block_merge_config_selectorIxNS0_10empty_typeEEEZZNS1_27merge_sort_block_merge_implIS3_PxPS5_jNS1_19radix_merge_compareILb0ELb0ExNS0_19identity_decomposerEEEEE10hipError_tT0_T1_T2_jT3_P12ihipStream_tbPNSt15iterator_traitsISE_E10value_typeEPNSK_ISF_E10value_typeEPSG_NS1_7vsmem_tEENKUlT_SE_SF_SG_E_clIS8_S8_S9_S9_EESD_ST_SE_SF_SG_EUlST_E_NS1_11comp_targetILNS1_3genE4ELNS1_11target_archE910ELNS1_3gpuE8ELNS1_3repE0EEENS1_48merge_mergepath_partition_config_static_selectorELNS0_4arch9wavefront6targetE1EEEvSF_
    .private_segment_fixed_size: 0
    .sgpr_count:     12
    .sgpr_spill_count: 0
    .symbol:         _ZN7rocprim17ROCPRIM_400000_NS6detail17trampoline_kernelINS0_14default_configENS1_38merge_sort_block_merge_config_selectorIxNS0_10empty_typeEEEZZNS1_27merge_sort_block_merge_implIS3_PxPS5_jNS1_19radix_merge_compareILb0ELb0ExNS0_19identity_decomposerEEEEE10hipError_tT0_T1_T2_jT3_P12ihipStream_tbPNSt15iterator_traitsISE_E10value_typeEPNSK_ISF_E10value_typeEPSG_NS1_7vsmem_tEENKUlT_SE_SF_SG_E_clIS8_S8_S9_S9_EESD_ST_SE_SF_SG_EUlST_E_NS1_11comp_targetILNS1_3genE4ELNS1_11target_archE910ELNS1_3gpuE8ELNS1_3repE0EEENS1_48merge_mergepath_partition_config_static_selectorELNS0_4arch9wavefront6targetE1EEEvSF_.kd
    .uniform_work_group_size: 1
    .uses_dynamic_stack: false
    .vgpr_count:     20
    .vgpr_spill_count: 0
    .wavefront_size: 64
  - .agpr_count:     0
    .args:
      - .offset:         0
        .size:           40
        .value_kind:     by_value
    .group_segment_fixed_size: 0
    .kernarg_segment_align: 8
    .kernarg_segment_size: 40
    .language:       OpenCL C
    .language_version:
      - 2
      - 0
    .max_flat_workgroup_size: 128
    .name:           _ZN7rocprim17ROCPRIM_400000_NS6detail17trampoline_kernelINS0_14default_configENS1_38merge_sort_block_merge_config_selectorIxNS0_10empty_typeEEEZZNS1_27merge_sort_block_merge_implIS3_PxPS5_jNS1_19radix_merge_compareILb0ELb0ExNS0_19identity_decomposerEEEEE10hipError_tT0_T1_T2_jT3_P12ihipStream_tbPNSt15iterator_traitsISE_E10value_typeEPNSK_ISF_E10value_typeEPSG_NS1_7vsmem_tEENKUlT_SE_SF_SG_E_clIS8_S8_S9_S9_EESD_ST_SE_SF_SG_EUlST_E_NS1_11comp_targetILNS1_3genE3ELNS1_11target_archE908ELNS1_3gpuE7ELNS1_3repE0EEENS1_48merge_mergepath_partition_config_static_selectorELNS0_4arch9wavefront6targetE1EEEvSF_
    .private_segment_fixed_size: 0
    .sgpr_count:     4
    .sgpr_spill_count: 0
    .symbol:         _ZN7rocprim17ROCPRIM_400000_NS6detail17trampoline_kernelINS0_14default_configENS1_38merge_sort_block_merge_config_selectorIxNS0_10empty_typeEEEZZNS1_27merge_sort_block_merge_implIS3_PxPS5_jNS1_19radix_merge_compareILb0ELb0ExNS0_19identity_decomposerEEEEE10hipError_tT0_T1_T2_jT3_P12ihipStream_tbPNSt15iterator_traitsISE_E10value_typeEPNSK_ISF_E10value_typeEPSG_NS1_7vsmem_tEENKUlT_SE_SF_SG_E_clIS8_S8_S9_S9_EESD_ST_SE_SF_SG_EUlST_E_NS1_11comp_targetILNS1_3genE3ELNS1_11target_archE908ELNS1_3gpuE7ELNS1_3repE0EEENS1_48merge_mergepath_partition_config_static_selectorELNS0_4arch9wavefront6targetE1EEEvSF_.kd
    .uniform_work_group_size: 1
    .uses_dynamic_stack: false
    .vgpr_count:     0
    .vgpr_spill_count: 0
    .wavefront_size: 64
  - .agpr_count:     0
    .args:
      - .offset:         0
        .size:           40
        .value_kind:     by_value
    .group_segment_fixed_size: 0
    .kernarg_segment_align: 8
    .kernarg_segment_size: 40
    .language:       OpenCL C
    .language_version:
      - 2
      - 0
    .max_flat_workgroup_size: 128
    .name:           _ZN7rocprim17ROCPRIM_400000_NS6detail17trampoline_kernelINS0_14default_configENS1_38merge_sort_block_merge_config_selectorIxNS0_10empty_typeEEEZZNS1_27merge_sort_block_merge_implIS3_PxPS5_jNS1_19radix_merge_compareILb0ELb0ExNS0_19identity_decomposerEEEEE10hipError_tT0_T1_T2_jT3_P12ihipStream_tbPNSt15iterator_traitsISE_E10value_typeEPNSK_ISF_E10value_typeEPSG_NS1_7vsmem_tEENKUlT_SE_SF_SG_E_clIS8_S8_S9_S9_EESD_ST_SE_SF_SG_EUlST_E_NS1_11comp_targetILNS1_3genE2ELNS1_11target_archE906ELNS1_3gpuE6ELNS1_3repE0EEENS1_48merge_mergepath_partition_config_static_selectorELNS0_4arch9wavefront6targetE1EEEvSF_
    .private_segment_fixed_size: 0
    .sgpr_count:     4
    .sgpr_spill_count: 0
    .symbol:         _ZN7rocprim17ROCPRIM_400000_NS6detail17trampoline_kernelINS0_14default_configENS1_38merge_sort_block_merge_config_selectorIxNS0_10empty_typeEEEZZNS1_27merge_sort_block_merge_implIS3_PxPS5_jNS1_19radix_merge_compareILb0ELb0ExNS0_19identity_decomposerEEEEE10hipError_tT0_T1_T2_jT3_P12ihipStream_tbPNSt15iterator_traitsISE_E10value_typeEPNSK_ISF_E10value_typeEPSG_NS1_7vsmem_tEENKUlT_SE_SF_SG_E_clIS8_S8_S9_S9_EESD_ST_SE_SF_SG_EUlST_E_NS1_11comp_targetILNS1_3genE2ELNS1_11target_archE906ELNS1_3gpuE6ELNS1_3repE0EEENS1_48merge_mergepath_partition_config_static_selectorELNS0_4arch9wavefront6targetE1EEEvSF_.kd
    .uniform_work_group_size: 1
    .uses_dynamic_stack: false
    .vgpr_count:     0
    .vgpr_spill_count: 0
    .wavefront_size: 64
  - .agpr_count:     0
    .args:
      - .offset:         0
        .size:           40
        .value_kind:     by_value
    .group_segment_fixed_size: 0
    .kernarg_segment_align: 8
    .kernarg_segment_size: 40
    .language:       OpenCL C
    .language_version:
      - 2
      - 0
    .max_flat_workgroup_size: 128
    .name:           _ZN7rocprim17ROCPRIM_400000_NS6detail17trampoline_kernelINS0_14default_configENS1_38merge_sort_block_merge_config_selectorIxNS0_10empty_typeEEEZZNS1_27merge_sort_block_merge_implIS3_PxPS5_jNS1_19radix_merge_compareILb0ELb0ExNS0_19identity_decomposerEEEEE10hipError_tT0_T1_T2_jT3_P12ihipStream_tbPNSt15iterator_traitsISE_E10value_typeEPNSK_ISF_E10value_typeEPSG_NS1_7vsmem_tEENKUlT_SE_SF_SG_E_clIS8_S8_S9_S9_EESD_ST_SE_SF_SG_EUlST_E_NS1_11comp_targetILNS1_3genE9ELNS1_11target_archE1100ELNS1_3gpuE3ELNS1_3repE0EEENS1_48merge_mergepath_partition_config_static_selectorELNS0_4arch9wavefront6targetE1EEEvSF_
    .private_segment_fixed_size: 0
    .sgpr_count:     4
    .sgpr_spill_count: 0
    .symbol:         _ZN7rocprim17ROCPRIM_400000_NS6detail17trampoline_kernelINS0_14default_configENS1_38merge_sort_block_merge_config_selectorIxNS0_10empty_typeEEEZZNS1_27merge_sort_block_merge_implIS3_PxPS5_jNS1_19radix_merge_compareILb0ELb0ExNS0_19identity_decomposerEEEEE10hipError_tT0_T1_T2_jT3_P12ihipStream_tbPNSt15iterator_traitsISE_E10value_typeEPNSK_ISF_E10value_typeEPSG_NS1_7vsmem_tEENKUlT_SE_SF_SG_E_clIS8_S8_S9_S9_EESD_ST_SE_SF_SG_EUlST_E_NS1_11comp_targetILNS1_3genE9ELNS1_11target_archE1100ELNS1_3gpuE3ELNS1_3repE0EEENS1_48merge_mergepath_partition_config_static_selectorELNS0_4arch9wavefront6targetE1EEEvSF_.kd
    .uniform_work_group_size: 1
    .uses_dynamic_stack: false
    .vgpr_count:     0
    .vgpr_spill_count: 0
    .wavefront_size: 64
  - .agpr_count:     0
    .args:
      - .offset:         0
        .size:           40
        .value_kind:     by_value
    .group_segment_fixed_size: 0
    .kernarg_segment_align: 8
    .kernarg_segment_size: 40
    .language:       OpenCL C
    .language_version:
      - 2
      - 0
    .max_flat_workgroup_size: 128
    .name:           _ZN7rocprim17ROCPRIM_400000_NS6detail17trampoline_kernelINS0_14default_configENS1_38merge_sort_block_merge_config_selectorIxNS0_10empty_typeEEEZZNS1_27merge_sort_block_merge_implIS3_PxPS5_jNS1_19radix_merge_compareILb0ELb0ExNS0_19identity_decomposerEEEEE10hipError_tT0_T1_T2_jT3_P12ihipStream_tbPNSt15iterator_traitsISE_E10value_typeEPNSK_ISF_E10value_typeEPSG_NS1_7vsmem_tEENKUlT_SE_SF_SG_E_clIS8_S8_S9_S9_EESD_ST_SE_SF_SG_EUlST_E_NS1_11comp_targetILNS1_3genE8ELNS1_11target_archE1030ELNS1_3gpuE2ELNS1_3repE0EEENS1_48merge_mergepath_partition_config_static_selectorELNS0_4arch9wavefront6targetE1EEEvSF_
    .private_segment_fixed_size: 0
    .sgpr_count:     4
    .sgpr_spill_count: 0
    .symbol:         _ZN7rocprim17ROCPRIM_400000_NS6detail17trampoline_kernelINS0_14default_configENS1_38merge_sort_block_merge_config_selectorIxNS0_10empty_typeEEEZZNS1_27merge_sort_block_merge_implIS3_PxPS5_jNS1_19radix_merge_compareILb0ELb0ExNS0_19identity_decomposerEEEEE10hipError_tT0_T1_T2_jT3_P12ihipStream_tbPNSt15iterator_traitsISE_E10value_typeEPNSK_ISF_E10value_typeEPSG_NS1_7vsmem_tEENKUlT_SE_SF_SG_E_clIS8_S8_S9_S9_EESD_ST_SE_SF_SG_EUlST_E_NS1_11comp_targetILNS1_3genE8ELNS1_11target_archE1030ELNS1_3gpuE2ELNS1_3repE0EEENS1_48merge_mergepath_partition_config_static_selectorELNS0_4arch9wavefront6targetE1EEEvSF_.kd
    .uniform_work_group_size: 1
    .uses_dynamic_stack: false
    .vgpr_count:     0
    .vgpr_spill_count: 0
    .wavefront_size: 64
  - .agpr_count:     0
    .args:
      - .offset:         0
        .size:           64
        .value_kind:     by_value
    .group_segment_fixed_size: 0
    .kernarg_segment_align: 8
    .kernarg_segment_size: 64
    .language:       OpenCL C
    .language_version:
      - 2
      - 0
    .max_flat_workgroup_size: 128
    .name:           _ZN7rocprim17ROCPRIM_400000_NS6detail17trampoline_kernelINS0_14default_configENS1_38merge_sort_block_merge_config_selectorIxNS0_10empty_typeEEEZZNS1_27merge_sort_block_merge_implIS3_PxPS5_jNS1_19radix_merge_compareILb0ELb0ExNS0_19identity_decomposerEEEEE10hipError_tT0_T1_T2_jT3_P12ihipStream_tbPNSt15iterator_traitsISE_E10value_typeEPNSK_ISF_E10value_typeEPSG_NS1_7vsmem_tEENKUlT_SE_SF_SG_E_clIS8_S8_S9_S9_EESD_ST_SE_SF_SG_EUlST_E0_NS1_11comp_targetILNS1_3genE0ELNS1_11target_archE4294967295ELNS1_3gpuE0ELNS1_3repE0EEENS1_38merge_mergepath_config_static_selectorELNS0_4arch9wavefront6targetE1EEEvSF_
    .private_segment_fixed_size: 0
    .sgpr_count:     4
    .sgpr_spill_count: 0
    .symbol:         _ZN7rocprim17ROCPRIM_400000_NS6detail17trampoline_kernelINS0_14default_configENS1_38merge_sort_block_merge_config_selectorIxNS0_10empty_typeEEEZZNS1_27merge_sort_block_merge_implIS3_PxPS5_jNS1_19radix_merge_compareILb0ELb0ExNS0_19identity_decomposerEEEEE10hipError_tT0_T1_T2_jT3_P12ihipStream_tbPNSt15iterator_traitsISE_E10value_typeEPNSK_ISF_E10value_typeEPSG_NS1_7vsmem_tEENKUlT_SE_SF_SG_E_clIS8_S8_S9_S9_EESD_ST_SE_SF_SG_EUlST_E0_NS1_11comp_targetILNS1_3genE0ELNS1_11target_archE4294967295ELNS1_3gpuE0ELNS1_3repE0EEENS1_38merge_mergepath_config_static_selectorELNS0_4arch9wavefront6targetE1EEEvSF_.kd
    .uniform_work_group_size: 1
    .uses_dynamic_stack: false
    .vgpr_count:     0
    .vgpr_spill_count: 0
    .wavefront_size: 64
  - .agpr_count:     0
    .args:
      - .offset:         0
        .size:           64
        .value_kind:     by_value
    .group_segment_fixed_size: 0
    .kernarg_segment_align: 8
    .kernarg_segment_size: 64
    .language:       OpenCL C
    .language_version:
      - 2
      - 0
    .max_flat_workgroup_size: 512
    .name:           _ZN7rocprim17ROCPRIM_400000_NS6detail17trampoline_kernelINS0_14default_configENS1_38merge_sort_block_merge_config_selectorIxNS0_10empty_typeEEEZZNS1_27merge_sort_block_merge_implIS3_PxPS5_jNS1_19radix_merge_compareILb0ELb0ExNS0_19identity_decomposerEEEEE10hipError_tT0_T1_T2_jT3_P12ihipStream_tbPNSt15iterator_traitsISE_E10value_typeEPNSK_ISF_E10value_typeEPSG_NS1_7vsmem_tEENKUlT_SE_SF_SG_E_clIS8_S8_S9_S9_EESD_ST_SE_SF_SG_EUlST_E0_NS1_11comp_targetILNS1_3genE10ELNS1_11target_archE1201ELNS1_3gpuE5ELNS1_3repE0EEENS1_38merge_mergepath_config_static_selectorELNS0_4arch9wavefront6targetE1EEEvSF_
    .private_segment_fixed_size: 0
    .sgpr_count:     4
    .sgpr_spill_count: 0
    .symbol:         _ZN7rocprim17ROCPRIM_400000_NS6detail17trampoline_kernelINS0_14default_configENS1_38merge_sort_block_merge_config_selectorIxNS0_10empty_typeEEEZZNS1_27merge_sort_block_merge_implIS3_PxPS5_jNS1_19radix_merge_compareILb0ELb0ExNS0_19identity_decomposerEEEEE10hipError_tT0_T1_T2_jT3_P12ihipStream_tbPNSt15iterator_traitsISE_E10value_typeEPNSK_ISF_E10value_typeEPSG_NS1_7vsmem_tEENKUlT_SE_SF_SG_E_clIS8_S8_S9_S9_EESD_ST_SE_SF_SG_EUlST_E0_NS1_11comp_targetILNS1_3genE10ELNS1_11target_archE1201ELNS1_3gpuE5ELNS1_3repE0EEENS1_38merge_mergepath_config_static_selectorELNS0_4arch9wavefront6targetE1EEEvSF_.kd
    .uniform_work_group_size: 1
    .uses_dynamic_stack: false
    .vgpr_count:     0
    .vgpr_spill_count: 0
    .wavefront_size: 64
  - .agpr_count:     0
    .args:
      - .offset:         0
        .size:           64
        .value_kind:     by_value
    .group_segment_fixed_size: 0
    .kernarg_segment_align: 8
    .kernarg_segment_size: 64
    .language:       OpenCL C
    .language_version:
      - 2
      - 0
    .max_flat_workgroup_size: 128
    .name:           _ZN7rocprim17ROCPRIM_400000_NS6detail17trampoline_kernelINS0_14default_configENS1_38merge_sort_block_merge_config_selectorIxNS0_10empty_typeEEEZZNS1_27merge_sort_block_merge_implIS3_PxPS5_jNS1_19radix_merge_compareILb0ELb0ExNS0_19identity_decomposerEEEEE10hipError_tT0_T1_T2_jT3_P12ihipStream_tbPNSt15iterator_traitsISE_E10value_typeEPNSK_ISF_E10value_typeEPSG_NS1_7vsmem_tEENKUlT_SE_SF_SG_E_clIS8_S8_S9_S9_EESD_ST_SE_SF_SG_EUlST_E0_NS1_11comp_targetILNS1_3genE5ELNS1_11target_archE942ELNS1_3gpuE9ELNS1_3repE0EEENS1_38merge_mergepath_config_static_selectorELNS0_4arch9wavefront6targetE1EEEvSF_
    .private_segment_fixed_size: 0
    .sgpr_count:     4
    .sgpr_spill_count: 0
    .symbol:         _ZN7rocprim17ROCPRIM_400000_NS6detail17trampoline_kernelINS0_14default_configENS1_38merge_sort_block_merge_config_selectorIxNS0_10empty_typeEEEZZNS1_27merge_sort_block_merge_implIS3_PxPS5_jNS1_19radix_merge_compareILb0ELb0ExNS0_19identity_decomposerEEEEE10hipError_tT0_T1_T2_jT3_P12ihipStream_tbPNSt15iterator_traitsISE_E10value_typeEPNSK_ISF_E10value_typeEPSG_NS1_7vsmem_tEENKUlT_SE_SF_SG_E_clIS8_S8_S9_S9_EESD_ST_SE_SF_SG_EUlST_E0_NS1_11comp_targetILNS1_3genE5ELNS1_11target_archE942ELNS1_3gpuE9ELNS1_3repE0EEENS1_38merge_mergepath_config_static_selectorELNS0_4arch9wavefront6targetE1EEEvSF_.kd
    .uniform_work_group_size: 1
    .uses_dynamic_stack: false
    .vgpr_count:     0
    .vgpr_spill_count: 0
    .wavefront_size: 64
  - .agpr_count:     0
    .args:
      - .offset:         0
        .size:           64
        .value_kind:     by_value
      - .offset:         64
        .size:           4
        .value_kind:     hidden_block_count_x
      - .offset:         68
        .size:           4
        .value_kind:     hidden_block_count_y
      - .offset:         72
        .size:           4
        .value_kind:     hidden_block_count_z
      - .offset:         76
        .size:           2
        .value_kind:     hidden_group_size_x
      - .offset:         78
        .size:           2
        .value_kind:     hidden_group_size_y
      - .offset:         80
        .size:           2
        .value_kind:     hidden_group_size_z
      - .offset:         82
        .size:           2
        .value_kind:     hidden_remainder_x
      - .offset:         84
        .size:           2
        .value_kind:     hidden_remainder_y
      - .offset:         86
        .size:           2
        .value_kind:     hidden_remainder_z
      - .offset:         104
        .size:           8
        .value_kind:     hidden_global_offset_x
      - .offset:         112
        .size:           8
        .value_kind:     hidden_global_offset_y
      - .offset:         120
        .size:           8
        .value_kind:     hidden_global_offset_z
      - .offset:         128
        .size:           2
        .value_kind:     hidden_grid_dims
    .group_segment_fixed_size: 8448
    .kernarg_segment_align: 8
    .kernarg_segment_size: 320
    .language:       OpenCL C
    .language_version:
      - 2
      - 0
    .max_flat_workgroup_size: 256
    .name:           _ZN7rocprim17ROCPRIM_400000_NS6detail17trampoline_kernelINS0_14default_configENS1_38merge_sort_block_merge_config_selectorIxNS0_10empty_typeEEEZZNS1_27merge_sort_block_merge_implIS3_PxPS5_jNS1_19radix_merge_compareILb0ELb0ExNS0_19identity_decomposerEEEEE10hipError_tT0_T1_T2_jT3_P12ihipStream_tbPNSt15iterator_traitsISE_E10value_typeEPNSK_ISF_E10value_typeEPSG_NS1_7vsmem_tEENKUlT_SE_SF_SG_E_clIS8_S8_S9_S9_EESD_ST_SE_SF_SG_EUlST_E0_NS1_11comp_targetILNS1_3genE4ELNS1_11target_archE910ELNS1_3gpuE8ELNS1_3repE0EEENS1_38merge_mergepath_config_static_selectorELNS0_4arch9wavefront6targetE1EEEvSF_
    .private_segment_fixed_size: 0
    .sgpr_count:     27
    .sgpr_spill_count: 0
    .symbol:         _ZN7rocprim17ROCPRIM_400000_NS6detail17trampoline_kernelINS0_14default_configENS1_38merge_sort_block_merge_config_selectorIxNS0_10empty_typeEEEZZNS1_27merge_sort_block_merge_implIS3_PxPS5_jNS1_19radix_merge_compareILb0ELb0ExNS0_19identity_decomposerEEEEE10hipError_tT0_T1_T2_jT3_P12ihipStream_tbPNSt15iterator_traitsISE_E10value_typeEPNSK_ISF_E10value_typeEPSG_NS1_7vsmem_tEENKUlT_SE_SF_SG_E_clIS8_S8_S9_S9_EESD_ST_SE_SF_SG_EUlST_E0_NS1_11comp_targetILNS1_3genE4ELNS1_11target_archE910ELNS1_3gpuE8ELNS1_3repE0EEENS1_38merge_mergepath_config_static_selectorELNS0_4arch9wavefront6targetE1EEEvSF_.kd
    .uniform_work_group_size: 1
    .uses_dynamic_stack: false
    .vgpr_count:     21
    .vgpr_spill_count: 0
    .wavefront_size: 64
  - .agpr_count:     0
    .args:
      - .offset:         0
        .size:           64
        .value_kind:     by_value
    .group_segment_fixed_size: 0
    .kernarg_segment_align: 8
    .kernarg_segment_size: 64
    .language:       OpenCL C
    .language_version:
      - 2
      - 0
    .max_flat_workgroup_size: 128
    .name:           _ZN7rocprim17ROCPRIM_400000_NS6detail17trampoline_kernelINS0_14default_configENS1_38merge_sort_block_merge_config_selectorIxNS0_10empty_typeEEEZZNS1_27merge_sort_block_merge_implIS3_PxPS5_jNS1_19radix_merge_compareILb0ELb0ExNS0_19identity_decomposerEEEEE10hipError_tT0_T1_T2_jT3_P12ihipStream_tbPNSt15iterator_traitsISE_E10value_typeEPNSK_ISF_E10value_typeEPSG_NS1_7vsmem_tEENKUlT_SE_SF_SG_E_clIS8_S8_S9_S9_EESD_ST_SE_SF_SG_EUlST_E0_NS1_11comp_targetILNS1_3genE3ELNS1_11target_archE908ELNS1_3gpuE7ELNS1_3repE0EEENS1_38merge_mergepath_config_static_selectorELNS0_4arch9wavefront6targetE1EEEvSF_
    .private_segment_fixed_size: 0
    .sgpr_count:     4
    .sgpr_spill_count: 0
    .symbol:         _ZN7rocprim17ROCPRIM_400000_NS6detail17trampoline_kernelINS0_14default_configENS1_38merge_sort_block_merge_config_selectorIxNS0_10empty_typeEEEZZNS1_27merge_sort_block_merge_implIS3_PxPS5_jNS1_19radix_merge_compareILb0ELb0ExNS0_19identity_decomposerEEEEE10hipError_tT0_T1_T2_jT3_P12ihipStream_tbPNSt15iterator_traitsISE_E10value_typeEPNSK_ISF_E10value_typeEPSG_NS1_7vsmem_tEENKUlT_SE_SF_SG_E_clIS8_S8_S9_S9_EESD_ST_SE_SF_SG_EUlST_E0_NS1_11comp_targetILNS1_3genE3ELNS1_11target_archE908ELNS1_3gpuE7ELNS1_3repE0EEENS1_38merge_mergepath_config_static_selectorELNS0_4arch9wavefront6targetE1EEEvSF_.kd
    .uniform_work_group_size: 1
    .uses_dynamic_stack: false
    .vgpr_count:     0
    .vgpr_spill_count: 0
    .wavefront_size: 64
  - .agpr_count:     0
    .args:
      - .offset:         0
        .size:           64
        .value_kind:     by_value
    .group_segment_fixed_size: 0
    .kernarg_segment_align: 8
    .kernarg_segment_size: 64
    .language:       OpenCL C
    .language_version:
      - 2
      - 0
    .max_flat_workgroup_size: 256
    .name:           _ZN7rocprim17ROCPRIM_400000_NS6detail17trampoline_kernelINS0_14default_configENS1_38merge_sort_block_merge_config_selectorIxNS0_10empty_typeEEEZZNS1_27merge_sort_block_merge_implIS3_PxPS5_jNS1_19radix_merge_compareILb0ELb0ExNS0_19identity_decomposerEEEEE10hipError_tT0_T1_T2_jT3_P12ihipStream_tbPNSt15iterator_traitsISE_E10value_typeEPNSK_ISF_E10value_typeEPSG_NS1_7vsmem_tEENKUlT_SE_SF_SG_E_clIS8_S8_S9_S9_EESD_ST_SE_SF_SG_EUlST_E0_NS1_11comp_targetILNS1_3genE2ELNS1_11target_archE906ELNS1_3gpuE6ELNS1_3repE0EEENS1_38merge_mergepath_config_static_selectorELNS0_4arch9wavefront6targetE1EEEvSF_
    .private_segment_fixed_size: 0
    .sgpr_count:     4
    .sgpr_spill_count: 0
    .symbol:         _ZN7rocprim17ROCPRIM_400000_NS6detail17trampoline_kernelINS0_14default_configENS1_38merge_sort_block_merge_config_selectorIxNS0_10empty_typeEEEZZNS1_27merge_sort_block_merge_implIS3_PxPS5_jNS1_19radix_merge_compareILb0ELb0ExNS0_19identity_decomposerEEEEE10hipError_tT0_T1_T2_jT3_P12ihipStream_tbPNSt15iterator_traitsISE_E10value_typeEPNSK_ISF_E10value_typeEPSG_NS1_7vsmem_tEENKUlT_SE_SF_SG_E_clIS8_S8_S9_S9_EESD_ST_SE_SF_SG_EUlST_E0_NS1_11comp_targetILNS1_3genE2ELNS1_11target_archE906ELNS1_3gpuE6ELNS1_3repE0EEENS1_38merge_mergepath_config_static_selectorELNS0_4arch9wavefront6targetE1EEEvSF_.kd
    .uniform_work_group_size: 1
    .uses_dynamic_stack: false
    .vgpr_count:     0
    .vgpr_spill_count: 0
    .wavefront_size: 64
  - .agpr_count:     0
    .args:
      - .offset:         0
        .size:           64
        .value_kind:     by_value
    .group_segment_fixed_size: 0
    .kernarg_segment_align: 8
    .kernarg_segment_size: 64
    .language:       OpenCL C
    .language_version:
      - 2
      - 0
    .max_flat_workgroup_size: 512
    .name:           _ZN7rocprim17ROCPRIM_400000_NS6detail17trampoline_kernelINS0_14default_configENS1_38merge_sort_block_merge_config_selectorIxNS0_10empty_typeEEEZZNS1_27merge_sort_block_merge_implIS3_PxPS5_jNS1_19radix_merge_compareILb0ELb0ExNS0_19identity_decomposerEEEEE10hipError_tT0_T1_T2_jT3_P12ihipStream_tbPNSt15iterator_traitsISE_E10value_typeEPNSK_ISF_E10value_typeEPSG_NS1_7vsmem_tEENKUlT_SE_SF_SG_E_clIS8_S8_S9_S9_EESD_ST_SE_SF_SG_EUlST_E0_NS1_11comp_targetILNS1_3genE9ELNS1_11target_archE1100ELNS1_3gpuE3ELNS1_3repE0EEENS1_38merge_mergepath_config_static_selectorELNS0_4arch9wavefront6targetE1EEEvSF_
    .private_segment_fixed_size: 0
    .sgpr_count:     4
    .sgpr_spill_count: 0
    .symbol:         _ZN7rocprim17ROCPRIM_400000_NS6detail17trampoline_kernelINS0_14default_configENS1_38merge_sort_block_merge_config_selectorIxNS0_10empty_typeEEEZZNS1_27merge_sort_block_merge_implIS3_PxPS5_jNS1_19radix_merge_compareILb0ELb0ExNS0_19identity_decomposerEEEEE10hipError_tT0_T1_T2_jT3_P12ihipStream_tbPNSt15iterator_traitsISE_E10value_typeEPNSK_ISF_E10value_typeEPSG_NS1_7vsmem_tEENKUlT_SE_SF_SG_E_clIS8_S8_S9_S9_EESD_ST_SE_SF_SG_EUlST_E0_NS1_11comp_targetILNS1_3genE9ELNS1_11target_archE1100ELNS1_3gpuE3ELNS1_3repE0EEENS1_38merge_mergepath_config_static_selectorELNS0_4arch9wavefront6targetE1EEEvSF_.kd
    .uniform_work_group_size: 1
    .uses_dynamic_stack: false
    .vgpr_count:     0
    .vgpr_spill_count: 0
    .wavefront_size: 64
  - .agpr_count:     0
    .args:
      - .offset:         0
        .size:           64
        .value_kind:     by_value
    .group_segment_fixed_size: 0
    .kernarg_segment_align: 8
    .kernarg_segment_size: 64
    .language:       OpenCL C
    .language_version:
      - 2
      - 0
    .max_flat_workgroup_size: 1024
    .name:           _ZN7rocprim17ROCPRIM_400000_NS6detail17trampoline_kernelINS0_14default_configENS1_38merge_sort_block_merge_config_selectorIxNS0_10empty_typeEEEZZNS1_27merge_sort_block_merge_implIS3_PxPS5_jNS1_19radix_merge_compareILb0ELb0ExNS0_19identity_decomposerEEEEE10hipError_tT0_T1_T2_jT3_P12ihipStream_tbPNSt15iterator_traitsISE_E10value_typeEPNSK_ISF_E10value_typeEPSG_NS1_7vsmem_tEENKUlT_SE_SF_SG_E_clIS8_S8_S9_S9_EESD_ST_SE_SF_SG_EUlST_E0_NS1_11comp_targetILNS1_3genE8ELNS1_11target_archE1030ELNS1_3gpuE2ELNS1_3repE0EEENS1_38merge_mergepath_config_static_selectorELNS0_4arch9wavefront6targetE1EEEvSF_
    .private_segment_fixed_size: 0
    .sgpr_count:     4
    .sgpr_spill_count: 0
    .symbol:         _ZN7rocprim17ROCPRIM_400000_NS6detail17trampoline_kernelINS0_14default_configENS1_38merge_sort_block_merge_config_selectorIxNS0_10empty_typeEEEZZNS1_27merge_sort_block_merge_implIS3_PxPS5_jNS1_19radix_merge_compareILb0ELb0ExNS0_19identity_decomposerEEEEE10hipError_tT0_T1_T2_jT3_P12ihipStream_tbPNSt15iterator_traitsISE_E10value_typeEPNSK_ISF_E10value_typeEPSG_NS1_7vsmem_tEENKUlT_SE_SF_SG_E_clIS8_S8_S9_S9_EESD_ST_SE_SF_SG_EUlST_E0_NS1_11comp_targetILNS1_3genE8ELNS1_11target_archE1030ELNS1_3gpuE2ELNS1_3repE0EEENS1_38merge_mergepath_config_static_selectorELNS0_4arch9wavefront6targetE1EEEvSF_.kd
    .uniform_work_group_size: 1
    .uses_dynamic_stack: false
    .vgpr_count:     0
    .vgpr_spill_count: 0
    .wavefront_size: 64
  - .agpr_count:     0
    .args:
      - .offset:         0
        .size:           48
        .value_kind:     by_value
    .group_segment_fixed_size: 0
    .kernarg_segment_align: 8
    .kernarg_segment_size: 48
    .language:       OpenCL C
    .language_version:
      - 2
      - 0
    .max_flat_workgroup_size: 256
    .name:           _ZN7rocprim17ROCPRIM_400000_NS6detail17trampoline_kernelINS0_14default_configENS1_38merge_sort_block_merge_config_selectorIxNS0_10empty_typeEEEZZNS1_27merge_sort_block_merge_implIS3_PxPS5_jNS1_19radix_merge_compareILb0ELb0ExNS0_19identity_decomposerEEEEE10hipError_tT0_T1_T2_jT3_P12ihipStream_tbPNSt15iterator_traitsISE_E10value_typeEPNSK_ISF_E10value_typeEPSG_NS1_7vsmem_tEENKUlT_SE_SF_SG_E_clIS8_S8_S9_S9_EESD_ST_SE_SF_SG_EUlST_E1_NS1_11comp_targetILNS1_3genE0ELNS1_11target_archE4294967295ELNS1_3gpuE0ELNS1_3repE0EEENS1_36merge_oddeven_config_static_selectorELNS0_4arch9wavefront6targetE1EEEvSF_
    .private_segment_fixed_size: 0
    .sgpr_count:     4
    .sgpr_spill_count: 0
    .symbol:         _ZN7rocprim17ROCPRIM_400000_NS6detail17trampoline_kernelINS0_14default_configENS1_38merge_sort_block_merge_config_selectorIxNS0_10empty_typeEEEZZNS1_27merge_sort_block_merge_implIS3_PxPS5_jNS1_19radix_merge_compareILb0ELb0ExNS0_19identity_decomposerEEEEE10hipError_tT0_T1_T2_jT3_P12ihipStream_tbPNSt15iterator_traitsISE_E10value_typeEPNSK_ISF_E10value_typeEPSG_NS1_7vsmem_tEENKUlT_SE_SF_SG_E_clIS8_S8_S9_S9_EESD_ST_SE_SF_SG_EUlST_E1_NS1_11comp_targetILNS1_3genE0ELNS1_11target_archE4294967295ELNS1_3gpuE0ELNS1_3repE0EEENS1_36merge_oddeven_config_static_selectorELNS0_4arch9wavefront6targetE1EEEvSF_.kd
    .uniform_work_group_size: 1
    .uses_dynamic_stack: false
    .vgpr_count:     0
    .vgpr_spill_count: 0
    .wavefront_size: 64
  - .agpr_count:     0
    .args:
      - .offset:         0
        .size:           48
        .value_kind:     by_value
    .group_segment_fixed_size: 0
    .kernarg_segment_align: 8
    .kernarg_segment_size: 48
    .language:       OpenCL C
    .language_version:
      - 2
      - 0
    .max_flat_workgroup_size: 256
    .name:           _ZN7rocprim17ROCPRIM_400000_NS6detail17trampoline_kernelINS0_14default_configENS1_38merge_sort_block_merge_config_selectorIxNS0_10empty_typeEEEZZNS1_27merge_sort_block_merge_implIS3_PxPS5_jNS1_19radix_merge_compareILb0ELb0ExNS0_19identity_decomposerEEEEE10hipError_tT0_T1_T2_jT3_P12ihipStream_tbPNSt15iterator_traitsISE_E10value_typeEPNSK_ISF_E10value_typeEPSG_NS1_7vsmem_tEENKUlT_SE_SF_SG_E_clIS8_S8_S9_S9_EESD_ST_SE_SF_SG_EUlST_E1_NS1_11comp_targetILNS1_3genE10ELNS1_11target_archE1201ELNS1_3gpuE5ELNS1_3repE0EEENS1_36merge_oddeven_config_static_selectorELNS0_4arch9wavefront6targetE1EEEvSF_
    .private_segment_fixed_size: 0
    .sgpr_count:     4
    .sgpr_spill_count: 0
    .symbol:         _ZN7rocprim17ROCPRIM_400000_NS6detail17trampoline_kernelINS0_14default_configENS1_38merge_sort_block_merge_config_selectorIxNS0_10empty_typeEEEZZNS1_27merge_sort_block_merge_implIS3_PxPS5_jNS1_19radix_merge_compareILb0ELb0ExNS0_19identity_decomposerEEEEE10hipError_tT0_T1_T2_jT3_P12ihipStream_tbPNSt15iterator_traitsISE_E10value_typeEPNSK_ISF_E10value_typeEPSG_NS1_7vsmem_tEENKUlT_SE_SF_SG_E_clIS8_S8_S9_S9_EESD_ST_SE_SF_SG_EUlST_E1_NS1_11comp_targetILNS1_3genE10ELNS1_11target_archE1201ELNS1_3gpuE5ELNS1_3repE0EEENS1_36merge_oddeven_config_static_selectorELNS0_4arch9wavefront6targetE1EEEvSF_.kd
    .uniform_work_group_size: 1
    .uses_dynamic_stack: false
    .vgpr_count:     0
    .vgpr_spill_count: 0
    .wavefront_size: 64
  - .agpr_count:     0
    .args:
      - .offset:         0
        .size:           48
        .value_kind:     by_value
    .group_segment_fixed_size: 0
    .kernarg_segment_align: 8
    .kernarg_segment_size: 48
    .language:       OpenCL C
    .language_version:
      - 2
      - 0
    .max_flat_workgroup_size: 256
    .name:           _ZN7rocprim17ROCPRIM_400000_NS6detail17trampoline_kernelINS0_14default_configENS1_38merge_sort_block_merge_config_selectorIxNS0_10empty_typeEEEZZNS1_27merge_sort_block_merge_implIS3_PxPS5_jNS1_19radix_merge_compareILb0ELb0ExNS0_19identity_decomposerEEEEE10hipError_tT0_T1_T2_jT3_P12ihipStream_tbPNSt15iterator_traitsISE_E10value_typeEPNSK_ISF_E10value_typeEPSG_NS1_7vsmem_tEENKUlT_SE_SF_SG_E_clIS8_S8_S9_S9_EESD_ST_SE_SF_SG_EUlST_E1_NS1_11comp_targetILNS1_3genE5ELNS1_11target_archE942ELNS1_3gpuE9ELNS1_3repE0EEENS1_36merge_oddeven_config_static_selectorELNS0_4arch9wavefront6targetE1EEEvSF_
    .private_segment_fixed_size: 0
    .sgpr_count:     4
    .sgpr_spill_count: 0
    .symbol:         _ZN7rocprim17ROCPRIM_400000_NS6detail17trampoline_kernelINS0_14default_configENS1_38merge_sort_block_merge_config_selectorIxNS0_10empty_typeEEEZZNS1_27merge_sort_block_merge_implIS3_PxPS5_jNS1_19radix_merge_compareILb0ELb0ExNS0_19identity_decomposerEEEEE10hipError_tT0_T1_T2_jT3_P12ihipStream_tbPNSt15iterator_traitsISE_E10value_typeEPNSK_ISF_E10value_typeEPSG_NS1_7vsmem_tEENKUlT_SE_SF_SG_E_clIS8_S8_S9_S9_EESD_ST_SE_SF_SG_EUlST_E1_NS1_11comp_targetILNS1_3genE5ELNS1_11target_archE942ELNS1_3gpuE9ELNS1_3repE0EEENS1_36merge_oddeven_config_static_selectorELNS0_4arch9wavefront6targetE1EEEvSF_.kd
    .uniform_work_group_size: 1
    .uses_dynamic_stack: false
    .vgpr_count:     0
    .vgpr_spill_count: 0
    .wavefront_size: 64
  - .agpr_count:     0
    .args:
      - .offset:         0
        .size:           48
        .value_kind:     by_value
    .group_segment_fixed_size: 0
    .kernarg_segment_align: 8
    .kernarg_segment_size: 48
    .language:       OpenCL C
    .language_version:
      - 2
      - 0
    .max_flat_workgroup_size: 256
    .name:           _ZN7rocprim17ROCPRIM_400000_NS6detail17trampoline_kernelINS0_14default_configENS1_38merge_sort_block_merge_config_selectorIxNS0_10empty_typeEEEZZNS1_27merge_sort_block_merge_implIS3_PxPS5_jNS1_19radix_merge_compareILb0ELb0ExNS0_19identity_decomposerEEEEE10hipError_tT0_T1_T2_jT3_P12ihipStream_tbPNSt15iterator_traitsISE_E10value_typeEPNSK_ISF_E10value_typeEPSG_NS1_7vsmem_tEENKUlT_SE_SF_SG_E_clIS8_S8_S9_S9_EESD_ST_SE_SF_SG_EUlST_E1_NS1_11comp_targetILNS1_3genE4ELNS1_11target_archE910ELNS1_3gpuE8ELNS1_3repE0EEENS1_36merge_oddeven_config_static_selectorELNS0_4arch9wavefront6targetE1EEEvSF_
    .private_segment_fixed_size: 0
    .sgpr_count:     25
    .sgpr_spill_count: 0
    .symbol:         _ZN7rocprim17ROCPRIM_400000_NS6detail17trampoline_kernelINS0_14default_configENS1_38merge_sort_block_merge_config_selectorIxNS0_10empty_typeEEEZZNS1_27merge_sort_block_merge_implIS3_PxPS5_jNS1_19radix_merge_compareILb0ELb0ExNS0_19identity_decomposerEEEEE10hipError_tT0_T1_T2_jT3_P12ihipStream_tbPNSt15iterator_traitsISE_E10value_typeEPNSK_ISF_E10value_typeEPSG_NS1_7vsmem_tEENKUlT_SE_SF_SG_E_clIS8_S8_S9_S9_EESD_ST_SE_SF_SG_EUlST_E1_NS1_11comp_targetILNS1_3genE4ELNS1_11target_archE910ELNS1_3gpuE8ELNS1_3repE0EEENS1_36merge_oddeven_config_static_selectorELNS0_4arch9wavefront6targetE1EEEvSF_.kd
    .uniform_work_group_size: 1
    .uses_dynamic_stack: false
    .vgpr_count:     12
    .vgpr_spill_count: 0
    .wavefront_size: 64
  - .agpr_count:     0
    .args:
      - .offset:         0
        .size:           48
        .value_kind:     by_value
    .group_segment_fixed_size: 0
    .kernarg_segment_align: 8
    .kernarg_segment_size: 48
    .language:       OpenCL C
    .language_version:
      - 2
      - 0
    .max_flat_workgroup_size: 256
    .name:           _ZN7rocprim17ROCPRIM_400000_NS6detail17trampoline_kernelINS0_14default_configENS1_38merge_sort_block_merge_config_selectorIxNS0_10empty_typeEEEZZNS1_27merge_sort_block_merge_implIS3_PxPS5_jNS1_19radix_merge_compareILb0ELb0ExNS0_19identity_decomposerEEEEE10hipError_tT0_T1_T2_jT3_P12ihipStream_tbPNSt15iterator_traitsISE_E10value_typeEPNSK_ISF_E10value_typeEPSG_NS1_7vsmem_tEENKUlT_SE_SF_SG_E_clIS8_S8_S9_S9_EESD_ST_SE_SF_SG_EUlST_E1_NS1_11comp_targetILNS1_3genE3ELNS1_11target_archE908ELNS1_3gpuE7ELNS1_3repE0EEENS1_36merge_oddeven_config_static_selectorELNS0_4arch9wavefront6targetE1EEEvSF_
    .private_segment_fixed_size: 0
    .sgpr_count:     4
    .sgpr_spill_count: 0
    .symbol:         _ZN7rocprim17ROCPRIM_400000_NS6detail17trampoline_kernelINS0_14default_configENS1_38merge_sort_block_merge_config_selectorIxNS0_10empty_typeEEEZZNS1_27merge_sort_block_merge_implIS3_PxPS5_jNS1_19radix_merge_compareILb0ELb0ExNS0_19identity_decomposerEEEEE10hipError_tT0_T1_T2_jT3_P12ihipStream_tbPNSt15iterator_traitsISE_E10value_typeEPNSK_ISF_E10value_typeEPSG_NS1_7vsmem_tEENKUlT_SE_SF_SG_E_clIS8_S8_S9_S9_EESD_ST_SE_SF_SG_EUlST_E1_NS1_11comp_targetILNS1_3genE3ELNS1_11target_archE908ELNS1_3gpuE7ELNS1_3repE0EEENS1_36merge_oddeven_config_static_selectorELNS0_4arch9wavefront6targetE1EEEvSF_.kd
    .uniform_work_group_size: 1
    .uses_dynamic_stack: false
    .vgpr_count:     0
    .vgpr_spill_count: 0
    .wavefront_size: 64
  - .agpr_count:     0
    .args:
      - .offset:         0
        .size:           48
        .value_kind:     by_value
    .group_segment_fixed_size: 0
    .kernarg_segment_align: 8
    .kernarg_segment_size: 48
    .language:       OpenCL C
    .language_version:
      - 2
      - 0
    .max_flat_workgroup_size: 256
    .name:           _ZN7rocprim17ROCPRIM_400000_NS6detail17trampoline_kernelINS0_14default_configENS1_38merge_sort_block_merge_config_selectorIxNS0_10empty_typeEEEZZNS1_27merge_sort_block_merge_implIS3_PxPS5_jNS1_19radix_merge_compareILb0ELb0ExNS0_19identity_decomposerEEEEE10hipError_tT0_T1_T2_jT3_P12ihipStream_tbPNSt15iterator_traitsISE_E10value_typeEPNSK_ISF_E10value_typeEPSG_NS1_7vsmem_tEENKUlT_SE_SF_SG_E_clIS8_S8_S9_S9_EESD_ST_SE_SF_SG_EUlST_E1_NS1_11comp_targetILNS1_3genE2ELNS1_11target_archE906ELNS1_3gpuE6ELNS1_3repE0EEENS1_36merge_oddeven_config_static_selectorELNS0_4arch9wavefront6targetE1EEEvSF_
    .private_segment_fixed_size: 0
    .sgpr_count:     4
    .sgpr_spill_count: 0
    .symbol:         _ZN7rocprim17ROCPRIM_400000_NS6detail17trampoline_kernelINS0_14default_configENS1_38merge_sort_block_merge_config_selectorIxNS0_10empty_typeEEEZZNS1_27merge_sort_block_merge_implIS3_PxPS5_jNS1_19radix_merge_compareILb0ELb0ExNS0_19identity_decomposerEEEEE10hipError_tT0_T1_T2_jT3_P12ihipStream_tbPNSt15iterator_traitsISE_E10value_typeEPNSK_ISF_E10value_typeEPSG_NS1_7vsmem_tEENKUlT_SE_SF_SG_E_clIS8_S8_S9_S9_EESD_ST_SE_SF_SG_EUlST_E1_NS1_11comp_targetILNS1_3genE2ELNS1_11target_archE906ELNS1_3gpuE6ELNS1_3repE0EEENS1_36merge_oddeven_config_static_selectorELNS0_4arch9wavefront6targetE1EEEvSF_.kd
    .uniform_work_group_size: 1
    .uses_dynamic_stack: false
    .vgpr_count:     0
    .vgpr_spill_count: 0
    .wavefront_size: 64
  - .agpr_count:     0
    .args:
      - .offset:         0
        .size:           48
        .value_kind:     by_value
    .group_segment_fixed_size: 0
    .kernarg_segment_align: 8
    .kernarg_segment_size: 48
    .language:       OpenCL C
    .language_version:
      - 2
      - 0
    .max_flat_workgroup_size: 256
    .name:           _ZN7rocprim17ROCPRIM_400000_NS6detail17trampoline_kernelINS0_14default_configENS1_38merge_sort_block_merge_config_selectorIxNS0_10empty_typeEEEZZNS1_27merge_sort_block_merge_implIS3_PxPS5_jNS1_19radix_merge_compareILb0ELb0ExNS0_19identity_decomposerEEEEE10hipError_tT0_T1_T2_jT3_P12ihipStream_tbPNSt15iterator_traitsISE_E10value_typeEPNSK_ISF_E10value_typeEPSG_NS1_7vsmem_tEENKUlT_SE_SF_SG_E_clIS8_S8_S9_S9_EESD_ST_SE_SF_SG_EUlST_E1_NS1_11comp_targetILNS1_3genE9ELNS1_11target_archE1100ELNS1_3gpuE3ELNS1_3repE0EEENS1_36merge_oddeven_config_static_selectorELNS0_4arch9wavefront6targetE1EEEvSF_
    .private_segment_fixed_size: 0
    .sgpr_count:     4
    .sgpr_spill_count: 0
    .symbol:         _ZN7rocprim17ROCPRIM_400000_NS6detail17trampoline_kernelINS0_14default_configENS1_38merge_sort_block_merge_config_selectorIxNS0_10empty_typeEEEZZNS1_27merge_sort_block_merge_implIS3_PxPS5_jNS1_19radix_merge_compareILb0ELb0ExNS0_19identity_decomposerEEEEE10hipError_tT0_T1_T2_jT3_P12ihipStream_tbPNSt15iterator_traitsISE_E10value_typeEPNSK_ISF_E10value_typeEPSG_NS1_7vsmem_tEENKUlT_SE_SF_SG_E_clIS8_S8_S9_S9_EESD_ST_SE_SF_SG_EUlST_E1_NS1_11comp_targetILNS1_3genE9ELNS1_11target_archE1100ELNS1_3gpuE3ELNS1_3repE0EEENS1_36merge_oddeven_config_static_selectorELNS0_4arch9wavefront6targetE1EEEvSF_.kd
    .uniform_work_group_size: 1
    .uses_dynamic_stack: false
    .vgpr_count:     0
    .vgpr_spill_count: 0
    .wavefront_size: 64
  - .agpr_count:     0
    .args:
      - .offset:         0
        .size:           48
        .value_kind:     by_value
    .group_segment_fixed_size: 0
    .kernarg_segment_align: 8
    .kernarg_segment_size: 48
    .language:       OpenCL C
    .language_version:
      - 2
      - 0
    .max_flat_workgroup_size: 256
    .name:           _ZN7rocprim17ROCPRIM_400000_NS6detail17trampoline_kernelINS0_14default_configENS1_38merge_sort_block_merge_config_selectorIxNS0_10empty_typeEEEZZNS1_27merge_sort_block_merge_implIS3_PxPS5_jNS1_19radix_merge_compareILb0ELb0ExNS0_19identity_decomposerEEEEE10hipError_tT0_T1_T2_jT3_P12ihipStream_tbPNSt15iterator_traitsISE_E10value_typeEPNSK_ISF_E10value_typeEPSG_NS1_7vsmem_tEENKUlT_SE_SF_SG_E_clIS8_S8_S9_S9_EESD_ST_SE_SF_SG_EUlST_E1_NS1_11comp_targetILNS1_3genE8ELNS1_11target_archE1030ELNS1_3gpuE2ELNS1_3repE0EEENS1_36merge_oddeven_config_static_selectorELNS0_4arch9wavefront6targetE1EEEvSF_
    .private_segment_fixed_size: 0
    .sgpr_count:     4
    .sgpr_spill_count: 0
    .symbol:         _ZN7rocprim17ROCPRIM_400000_NS6detail17trampoline_kernelINS0_14default_configENS1_38merge_sort_block_merge_config_selectorIxNS0_10empty_typeEEEZZNS1_27merge_sort_block_merge_implIS3_PxPS5_jNS1_19radix_merge_compareILb0ELb0ExNS0_19identity_decomposerEEEEE10hipError_tT0_T1_T2_jT3_P12ihipStream_tbPNSt15iterator_traitsISE_E10value_typeEPNSK_ISF_E10value_typeEPSG_NS1_7vsmem_tEENKUlT_SE_SF_SG_E_clIS8_S8_S9_S9_EESD_ST_SE_SF_SG_EUlST_E1_NS1_11comp_targetILNS1_3genE8ELNS1_11target_archE1030ELNS1_3gpuE2ELNS1_3repE0EEENS1_36merge_oddeven_config_static_selectorELNS0_4arch9wavefront6targetE1EEEvSF_.kd
    .uniform_work_group_size: 1
    .uses_dynamic_stack: false
    .vgpr_count:     0
    .vgpr_spill_count: 0
    .wavefront_size: 64
  - .agpr_count:     0
    .args:
      - .offset:         0
        .size:           40
        .value_kind:     by_value
    .group_segment_fixed_size: 0
    .kernarg_segment_align: 8
    .kernarg_segment_size: 40
    .language:       OpenCL C
    .language_version:
      - 2
      - 0
    .max_flat_workgroup_size: 128
    .name:           _ZN7rocprim17ROCPRIM_400000_NS6detail17trampoline_kernelINS0_14default_configENS1_25transform_config_selectorIxLb1EEEZNS1_14transform_implILb1ES3_S5_PxS7_NS0_8identityIxEEEE10hipError_tT2_T3_mT4_P12ihipStream_tbEUlT_E_NS1_11comp_targetILNS1_3genE0ELNS1_11target_archE4294967295ELNS1_3gpuE0ELNS1_3repE0EEENS1_30default_config_static_selectorELNS0_4arch9wavefront6targetE1EEEvT1_
    .private_segment_fixed_size: 0
    .sgpr_count:     4
    .sgpr_spill_count: 0
    .symbol:         _ZN7rocprim17ROCPRIM_400000_NS6detail17trampoline_kernelINS0_14default_configENS1_25transform_config_selectorIxLb1EEEZNS1_14transform_implILb1ES3_S5_PxS7_NS0_8identityIxEEEE10hipError_tT2_T3_mT4_P12ihipStream_tbEUlT_E_NS1_11comp_targetILNS1_3genE0ELNS1_11target_archE4294967295ELNS1_3gpuE0ELNS1_3repE0EEENS1_30default_config_static_selectorELNS0_4arch9wavefront6targetE1EEEvT1_.kd
    .uniform_work_group_size: 1
    .uses_dynamic_stack: false
    .vgpr_count:     0
    .vgpr_spill_count: 0
    .wavefront_size: 64
  - .agpr_count:     0
    .args:
      - .offset:         0
        .size:           40
        .value_kind:     by_value
    .group_segment_fixed_size: 0
    .kernarg_segment_align: 8
    .kernarg_segment_size: 40
    .language:       OpenCL C
    .language_version:
      - 2
      - 0
    .max_flat_workgroup_size: 1024
    .name:           _ZN7rocprim17ROCPRIM_400000_NS6detail17trampoline_kernelINS0_14default_configENS1_25transform_config_selectorIxLb1EEEZNS1_14transform_implILb1ES3_S5_PxS7_NS0_8identityIxEEEE10hipError_tT2_T3_mT4_P12ihipStream_tbEUlT_E_NS1_11comp_targetILNS1_3genE10ELNS1_11target_archE1201ELNS1_3gpuE5ELNS1_3repE0EEENS1_30default_config_static_selectorELNS0_4arch9wavefront6targetE1EEEvT1_
    .private_segment_fixed_size: 0
    .sgpr_count:     4
    .sgpr_spill_count: 0
    .symbol:         _ZN7rocprim17ROCPRIM_400000_NS6detail17trampoline_kernelINS0_14default_configENS1_25transform_config_selectorIxLb1EEEZNS1_14transform_implILb1ES3_S5_PxS7_NS0_8identityIxEEEE10hipError_tT2_T3_mT4_P12ihipStream_tbEUlT_E_NS1_11comp_targetILNS1_3genE10ELNS1_11target_archE1201ELNS1_3gpuE5ELNS1_3repE0EEENS1_30default_config_static_selectorELNS0_4arch9wavefront6targetE1EEEvT1_.kd
    .uniform_work_group_size: 1
    .uses_dynamic_stack: false
    .vgpr_count:     0
    .vgpr_spill_count: 0
    .wavefront_size: 64
  - .agpr_count:     0
    .args:
      - .offset:         0
        .size:           40
        .value_kind:     by_value
    .group_segment_fixed_size: 0
    .kernarg_segment_align: 8
    .kernarg_segment_size: 40
    .language:       OpenCL C
    .language_version:
      - 2
      - 0
    .max_flat_workgroup_size: 512
    .name:           _ZN7rocprim17ROCPRIM_400000_NS6detail17trampoline_kernelINS0_14default_configENS1_25transform_config_selectorIxLb1EEEZNS1_14transform_implILb1ES3_S5_PxS7_NS0_8identityIxEEEE10hipError_tT2_T3_mT4_P12ihipStream_tbEUlT_E_NS1_11comp_targetILNS1_3genE5ELNS1_11target_archE942ELNS1_3gpuE9ELNS1_3repE0EEENS1_30default_config_static_selectorELNS0_4arch9wavefront6targetE1EEEvT1_
    .private_segment_fixed_size: 0
    .sgpr_count:     4
    .sgpr_spill_count: 0
    .symbol:         _ZN7rocprim17ROCPRIM_400000_NS6detail17trampoline_kernelINS0_14default_configENS1_25transform_config_selectorIxLb1EEEZNS1_14transform_implILb1ES3_S5_PxS7_NS0_8identityIxEEEE10hipError_tT2_T3_mT4_P12ihipStream_tbEUlT_E_NS1_11comp_targetILNS1_3genE5ELNS1_11target_archE942ELNS1_3gpuE9ELNS1_3repE0EEENS1_30default_config_static_selectorELNS0_4arch9wavefront6targetE1EEEvT1_.kd
    .uniform_work_group_size: 1
    .uses_dynamic_stack: false
    .vgpr_count:     0
    .vgpr_spill_count: 0
    .wavefront_size: 64
  - .agpr_count:     0
    .args:
      - .offset:         0
        .size:           40
        .value_kind:     by_value
      - .offset:         40
        .size:           4
        .value_kind:     hidden_block_count_x
      - .offset:         44
        .size:           4
        .value_kind:     hidden_block_count_y
      - .offset:         48
        .size:           4
        .value_kind:     hidden_block_count_z
      - .offset:         52
        .size:           2
        .value_kind:     hidden_group_size_x
      - .offset:         54
        .size:           2
        .value_kind:     hidden_group_size_y
      - .offset:         56
        .size:           2
        .value_kind:     hidden_group_size_z
      - .offset:         58
        .size:           2
        .value_kind:     hidden_remainder_x
      - .offset:         60
        .size:           2
        .value_kind:     hidden_remainder_y
      - .offset:         62
        .size:           2
        .value_kind:     hidden_remainder_z
      - .offset:         80
        .size:           8
        .value_kind:     hidden_global_offset_x
      - .offset:         88
        .size:           8
        .value_kind:     hidden_global_offset_y
      - .offset:         96
        .size:           8
        .value_kind:     hidden_global_offset_z
      - .offset:         104
        .size:           2
        .value_kind:     hidden_grid_dims
    .group_segment_fixed_size: 0
    .kernarg_segment_align: 8
    .kernarg_segment_size: 296
    .language:       OpenCL C
    .language_version:
      - 2
      - 0
    .max_flat_workgroup_size: 1024
    .name:           _ZN7rocprim17ROCPRIM_400000_NS6detail17trampoline_kernelINS0_14default_configENS1_25transform_config_selectorIxLb1EEEZNS1_14transform_implILb1ES3_S5_PxS7_NS0_8identityIxEEEE10hipError_tT2_T3_mT4_P12ihipStream_tbEUlT_E_NS1_11comp_targetILNS1_3genE4ELNS1_11target_archE910ELNS1_3gpuE8ELNS1_3repE0EEENS1_30default_config_static_selectorELNS0_4arch9wavefront6targetE1EEEvT1_
    .private_segment_fixed_size: 0
    .sgpr_count:     20
    .sgpr_spill_count: 0
    .symbol:         _ZN7rocprim17ROCPRIM_400000_NS6detail17trampoline_kernelINS0_14default_configENS1_25transform_config_selectorIxLb1EEEZNS1_14transform_implILb1ES3_S5_PxS7_NS0_8identityIxEEEE10hipError_tT2_T3_mT4_P12ihipStream_tbEUlT_E_NS1_11comp_targetILNS1_3genE4ELNS1_11target_archE910ELNS1_3gpuE8ELNS1_3repE0EEENS1_30default_config_static_selectorELNS0_4arch9wavefront6targetE1EEEvT1_.kd
    .uniform_work_group_size: 1
    .uses_dynamic_stack: false
    .vgpr_count:     7
    .vgpr_spill_count: 0
    .wavefront_size: 64
  - .agpr_count:     0
    .args:
      - .offset:         0
        .size:           40
        .value_kind:     by_value
    .group_segment_fixed_size: 0
    .kernarg_segment_align: 8
    .kernarg_segment_size: 40
    .language:       OpenCL C
    .language_version:
      - 2
      - 0
    .max_flat_workgroup_size: 128
    .name:           _ZN7rocprim17ROCPRIM_400000_NS6detail17trampoline_kernelINS0_14default_configENS1_25transform_config_selectorIxLb1EEEZNS1_14transform_implILb1ES3_S5_PxS7_NS0_8identityIxEEEE10hipError_tT2_T3_mT4_P12ihipStream_tbEUlT_E_NS1_11comp_targetILNS1_3genE3ELNS1_11target_archE908ELNS1_3gpuE7ELNS1_3repE0EEENS1_30default_config_static_selectorELNS0_4arch9wavefront6targetE1EEEvT1_
    .private_segment_fixed_size: 0
    .sgpr_count:     4
    .sgpr_spill_count: 0
    .symbol:         _ZN7rocprim17ROCPRIM_400000_NS6detail17trampoline_kernelINS0_14default_configENS1_25transform_config_selectorIxLb1EEEZNS1_14transform_implILb1ES3_S5_PxS7_NS0_8identityIxEEEE10hipError_tT2_T3_mT4_P12ihipStream_tbEUlT_E_NS1_11comp_targetILNS1_3genE3ELNS1_11target_archE908ELNS1_3gpuE7ELNS1_3repE0EEENS1_30default_config_static_selectorELNS0_4arch9wavefront6targetE1EEEvT1_.kd
    .uniform_work_group_size: 1
    .uses_dynamic_stack: false
    .vgpr_count:     0
    .vgpr_spill_count: 0
    .wavefront_size: 64
  - .agpr_count:     0
    .args:
      - .offset:         0
        .size:           40
        .value_kind:     by_value
    .group_segment_fixed_size: 0
    .kernarg_segment_align: 8
    .kernarg_segment_size: 40
    .language:       OpenCL C
    .language_version:
      - 2
      - 0
    .max_flat_workgroup_size: 512
    .name:           _ZN7rocprim17ROCPRIM_400000_NS6detail17trampoline_kernelINS0_14default_configENS1_25transform_config_selectorIxLb1EEEZNS1_14transform_implILb1ES3_S5_PxS7_NS0_8identityIxEEEE10hipError_tT2_T3_mT4_P12ihipStream_tbEUlT_E_NS1_11comp_targetILNS1_3genE2ELNS1_11target_archE906ELNS1_3gpuE6ELNS1_3repE0EEENS1_30default_config_static_selectorELNS0_4arch9wavefront6targetE1EEEvT1_
    .private_segment_fixed_size: 0
    .sgpr_count:     4
    .sgpr_spill_count: 0
    .symbol:         _ZN7rocprim17ROCPRIM_400000_NS6detail17trampoline_kernelINS0_14default_configENS1_25transform_config_selectorIxLb1EEEZNS1_14transform_implILb1ES3_S5_PxS7_NS0_8identityIxEEEE10hipError_tT2_T3_mT4_P12ihipStream_tbEUlT_E_NS1_11comp_targetILNS1_3genE2ELNS1_11target_archE906ELNS1_3gpuE6ELNS1_3repE0EEENS1_30default_config_static_selectorELNS0_4arch9wavefront6targetE1EEEvT1_.kd
    .uniform_work_group_size: 1
    .uses_dynamic_stack: false
    .vgpr_count:     0
    .vgpr_spill_count: 0
    .wavefront_size: 64
  - .agpr_count:     0
    .args:
      - .offset:         0
        .size:           40
        .value_kind:     by_value
    .group_segment_fixed_size: 0
    .kernarg_segment_align: 8
    .kernarg_segment_size: 40
    .language:       OpenCL C
    .language_version:
      - 2
      - 0
    .max_flat_workgroup_size: 1024
    .name:           _ZN7rocprim17ROCPRIM_400000_NS6detail17trampoline_kernelINS0_14default_configENS1_25transform_config_selectorIxLb1EEEZNS1_14transform_implILb1ES3_S5_PxS7_NS0_8identityIxEEEE10hipError_tT2_T3_mT4_P12ihipStream_tbEUlT_E_NS1_11comp_targetILNS1_3genE9ELNS1_11target_archE1100ELNS1_3gpuE3ELNS1_3repE0EEENS1_30default_config_static_selectorELNS0_4arch9wavefront6targetE1EEEvT1_
    .private_segment_fixed_size: 0
    .sgpr_count:     4
    .sgpr_spill_count: 0
    .symbol:         _ZN7rocprim17ROCPRIM_400000_NS6detail17trampoline_kernelINS0_14default_configENS1_25transform_config_selectorIxLb1EEEZNS1_14transform_implILb1ES3_S5_PxS7_NS0_8identityIxEEEE10hipError_tT2_T3_mT4_P12ihipStream_tbEUlT_E_NS1_11comp_targetILNS1_3genE9ELNS1_11target_archE1100ELNS1_3gpuE3ELNS1_3repE0EEENS1_30default_config_static_selectorELNS0_4arch9wavefront6targetE1EEEvT1_.kd
    .uniform_work_group_size: 1
    .uses_dynamic_stack: false
    .vgpr_count:     0
    .vgpr_spill_count: 0
    .wavefront_size: 64
  - .agpr_count:     0
    .args:
      - .offset:         0
        .size:           40
        .value_kind:     by_value
    .group_segment_fixed_size: 0
    .kernarg_segment_align: 8
    .kernarg_segment_size: 40
    .language:       OpenCL C
    .language_version:
      - 2
      - 0
    .max_flat_workgroup_size: 1024
    .name:           _ZN7rocprim17ROCPRIM_400000_NS6detail17trampoline_kernelINS0_14default_configENS1_25transform_config_selectorIxLb1EEEZNS1_14transform_implILb1ES3_S5_PxS7_NS0_8identityIxEEEE10hipError_tT2_T3_mT4_P12ihipStream_tbEUlT_E_NS1_11comp_targetILNS1_3genE8ELNS1_11target_archE1030ELNS1_3gpuE2ELNS1_3repE0EEENS1_30default_config_static_selectorELNS0_4arch9wavefront6targetE1EEEvT1_
    .private_segment_fixed_size: 0
    .sgpr_count:     4
    .sgpr_spill_count: 0
    .symbol:         _ZN7rocprim17ROCPRIM_400000_NS6detail17trampoline_kernelINS0_14default_configENS1_25transform_config_selectorIxLb1EEEZNS1_14transform_implILb1ES3_S5_PxS7_NS0_8identityIxEEEE10hipError_tT2_T3_mT4_P12ihipStream_tbEUlT_E_NS1_11comp_targetILNS1_3genE8ELNS1_11target_archE1030ELNS1_3gpuE2ELNS1_3repE0EEENS1_30default_config_static_selectorELNS0_4arch9wavefront6targetE1EEEvT1_.kd
    .uniform_work_group_size: 1
    .uses_dynamic_stack: false
    .vgpr_count:     0
    .vgpr_spill_count: 0
    .wavefront_size: 64
  - .agpr_count:     0
    .args:
      - .offset:         0
        .size:           40
        .value_kind:     by_value
    .group_segment_fixed_size: 0
    .kernarg_segment_align: 8
    .kernarg_segment_size: 40
    .language:       OpenCL C
    .language_version:
      - 2
      - 0
    .max_flat_workgroup_size: 128
    .name:           _ZN7rocprim17ROCPRIM_400000_NS6detail17trampoline_kernelINS0_14default_configENS1_38merge_sort_block_merge_config_selectorIxNS0_10empty_typeEEEZZNS1_27merge_sort_block_merge_implIS3_PxPS5_jNS1_19radix_merge_compareILb0ELb1ExNS0_19identity_decomposerEEEEE10hipError_tT0_T1_T2_jT3_P12ihipStream_tbPNSt15iterator_traitsISE_E10value_typeEPNSK_ISF_E10value_typeEPSG_NS1_7vsmem_tEENKUlT_SE_SF_SG_E_clIS8_S8_S9_S9_EESD_ST_SE_SF_SG_EUlST_E_NS1_11comp_targetILNS1_3genE0ELNS1_11target_archE4294967295ELNS1_3gpuE0ELNS1_3repE0EEENS1_48merge_mergepath_partition_config_static_selectorELNS0_4arch9wavefront6targetE1EEEvSF_
    .private_segment_fixed_size: 0
    .sgpr_count:     4
    .sgpr_spill_count: 0
    .symbol:         _ZN7rocprim17ROCPRIM_400000_NS6detail17trampoline_kernelINS0_14default_configENS1_38merge_sort_block_merge_config_selectorIxNS0_10empty_typeEEEZZNS1_27merge_sort_block_merge_implIS3_PxPS5_jNS1_19radix_merge_compareILb0ELb1ExNS0_19identity_decomposerEEEEE10hipError_tT0_T1_T2_jT3_P12ihipStream_tbPNSt15iterator_traitsISE_E10value_typeEPNSK_ISF_E10value_typeEPSG_NS1_7vsmem_tEENKUlT_SE_SF_SG_E_clIS8_S8_S9_S9_EESD_ST_SE_SF_SG_EUlST_E_NS1_11comp_targetILNS1_3genE0ELNS1_11target_archE4294967295ELNS1_3gpuE0ELNS1_3repE0EEENS1_48merge_mergepath_partition_config_static_selectorELNS0_4arch9wavefront6targetE1EEEvSF_.kd
    .uniform_work_group_size: 1
    .uses_dynamic_stack: false
    .vgpr_count:     0
    .vgpr_spill_count: 0
    .wavefront_size: 64
  - .agpr_count:     0
    .args:
      - .offset:         0
        .size:           40
        .value_kind:     by_value
    .group_segment_fixed_size: 0
    .kernarg_segment_align: 8
    .kernarg_segment_size: 40
    .language:       OpenCL C
    .language_version:
      - 2
      - 0
    .max_flat_workgroup_size: 128
    .name:           _ZN7rocprim17ROCPRIM_400000_NS6detail17trampoline_kernelINS0_14default_configENS1_38merge_sort_block_merge_config_selectorIxNS0_10empty_typeEEEZZNS1_27merge_sort_block_merge_implIS3_PxPS5_jNS1_19radix_merge_compareILb0ELb1ExNS0_19identity_decomposerEEEEE10hipError_tT0_T1_T2_jT3_P12ihipStream_tbPNSt15iterator_traitsISE_E10value_typeEPNSK_ISF_E10value_typeEPSG_NS1_7vsmem_tEENKUlT_SE_SF_SG_E_clIS8_S8_S9_S9_EESD_ST_SE_SF_SG_EUlST_E_NS1_11comp_targetILNS1_3genE10ELNS1_11target_archE1201ELNS1_3gpuE5ELNS1_3repE0EEENS1_48merge_mergepath_partition_config_static_selectorELNS0_4arch9wavefront6targetE1EEEvSF_
    .private_segment_fixed_size: 0
    .sgpr_count:     4
    .sgpr_spill_count: 0
    .symbol:         _ZN7rocprim17ROCPRIM_400000_NS6detail17trampoline_kernelINS0_14default_configENS1_38merge_sort_block_merge_config_selectorIxNS0_10empty_typeEEEZZNS1_27merge_sort_block_merge_implIS3_PxPS5_jNS1_19radix_merge_compareILb0ELb1ExNS0_19identity_decomposerEEEEE10hipError_tT0_T1_T2_jT3_P12ihipStream_tbPNSt15iterator_traitsISE_E10value_typeEPNSK_ISF_E10value_typeEPSG_NS1_7vsmem_tEENKUlT_SE_SF_SG_E_clIS8_S8_S9_S9_EESD_ST_SE_SF_SG_EUlST_E_NS1_11comp_targetILNS1_3genE10ELNS1_11target_archE1201ELNS1_3gpuE5ELNS1_3repE0EEENS1_48merge_mergepath_partition_config_static_selectorELNS0_4arch9wavefront6targetE1EEEvSF_.kd
    .uniform_work_group_size: 1
    .uses_dynamic_stack: false
    .vgpr_count:     0
    .vgpr_spill_count: 0
    .wavefront_size: 64
  - .agpr_count:     0
    .args:
      - .offset:         0
        .size:           40
        .value_kind:     by_value
    .group_segment_fixed_size: 0
    .kernarg_segment_align: 8
    .kernarg_segment_size: 40
    .language:       OpenCL C
    .language_version:
      - 2
      - 0
    .max_flat_workgroup_size: 128
    .name:           _ZN7rocprim17ROCPRIM_400000_NS6detail17trampoline_kernelINS0_14default_configENS1_38merge_sort_block_merge_config_selectorIxNS0_10empty_typeEEEZZNS1_27merge_sort_block_merge_implIS3_PxPS5_jNS1_19radix_merge_compareILb0ELb1ExNS0_19identity_decomposerEEEEE10hipError_tT0_T1_T2_jT3_P12ihipStream_tbPNSt15iterator_traitsISE_E10value_typeEPNSK_ISF_E10value_typeEPSG_NS1_7vsmem_tEENKUlT_SE_SF_SG_E_clIS8_S8_S9_S9_EESD_ST_SE_SF_SG_EUlST_E_NS1_11comp_targetILNS1_3genE5ELNS1_11target_archE942ELNS1_3gpuE9ELNS1_3repE0EEENS1_48merge_mergepath_partition_config_static_selectorELNS0_4arch9wavefront6targetE1EEEvSF_
    .private_segment_fixed_size: 0
    .sgpr_count:     4
    .sgpr_spill_count: 0
    .symbol:         _ZN7rocprim17ROCPRIM_400000_NS6detail17trampoline_kernelINS0_14default_configENS1_38merge_sort_block_merge_config_selectorIxNS0_10empty_typeEEEZZNS1_27merge_sort_block_merge_implIS3_PxPS5_jNS1_19radix_merge_compareILb0ELb1ExNS0_19identity_decomposerEEEEE10hipError_tT0_T1_T2_jT3_P12ihipStream_tbPNSt15iterator_traitsISE_E10value_typeEPNSK_ISF_E10value_typeEPSG_NS1_7vsmem_tEENKUlT_SE_SF_SG_E_clIS8_S8_S9_S9_EESD_ST_SE_SF_SG_EUlST_E_NS1_11comp_targetILNS1_3genE5ELNS1_11target_archE942ELNS1_3gpuE9ELNS1_3repE0EEENS1_48merge_mergepath_partition_config_static_selectorELNS0_4arch9wavefront6targetE1EEEvSF_.kd
    .uniform_work_group_size: 1
    .uses_dynamic_stack: false
    .vgpr_count:     0
    .vgpr_spill_count: 0
    .wavefront_size: 64
  - .agpr_count:     0
    .args:
      - .offset:         0
        .size:           40
        .value_kind:     by_value
    .group_segment_fixed_size: 0
    .kernarg_segment_align: 8
    .kernarg_segment_size: 40
    .language:       OpenCL C
    .language_version:
      - 2
      - 0
    .max_flat_workgroup_size: 128
    .name:           _ZN7rocprim17ROCPRIM_400000_NS6detail17trampoline_kernelINS0_14default_configENS1_38merge_sort_block_merge_config_selectorIxNS0_10empty_typeEEEZZNS1_27merge_sort_block_merge_implIS3_PxPS5_jNS1_19radix_merge_compareILb0ELb1ExNS0_19identity_decomposerEEEEE10hipError_tT0_T1_T2_jT3_P12ihipStream_tbPNSt15iterator_traitsISE_E10value_typeEPNSK_ISF_E10value_typeEPSG_NS1_7vsmem_tEENKUlT_SE_SF_SG_E_clIS8_S8_S9_S9_EESD_ST_SE_SF_SG_EUlST_E_NS1_11comp_targetILNS1_3genE4ELNS1_11target_archE910ELNS1_3gpuE8ELNS1_3repE0EEENS1_48merge_mergepath_partition_config_static_selectorELNS0_4arch9wavefront6targetE1EEEvSF_
    .private_segment_fixed_size: 0
    .sgpr_count:     14
    .sgpr_spill_count: 0
    .symbol:         _ZN7rocprim17ROCPRIM_400000_NS6detail17trampoline_kernelINS0_14default_configENS1_38merge_sort_block_merge_config_selectorIxNS0_10empty_typeEEEZZNS1_27merge_sort_block_merge_implIS3_PxPS5_jNS1_19radix_merge_compareILb0ELb1ExNS0_19identity_decomposerEEEEE10hipError_tT0_T1_T2_jT3_P12ihipStream_tbPNSt15iterator_traitsISE_E10value_typeEPNSK_ISF_E10value_typeEPSG_NS1_7vsmem_tEENKUlT_SE_SF_SG_E_clIS8_S8_S9_S9_EESD_ST_SE_SF_SG_EUlST_E_NS1_11comp_targetILNS1_3genE4ELNS1_11target_archE910ELNS1_3gpuE8ELNS1_3repE0EEENS1_48merge_mergepath_partition_config_static_selectorELNS0_4arch9wavefront6targetE1EEEvSF_.kd
    .uniform_work_group_size: 1
    .uses_dynamic_stack: false
    .vgpr_count:     16
    .vgpr_spill_count: 0
    .wavefront_size: 64
  - .agpr_count:     0
    .args:
      - .offset:         0
        .size:           40
        .value_kind:     by_value
    .group_segment_fixed_size: 0
    .kernarg_segment_align: 8
    .kernarg_segment_size: 40
    .language:       OpenCL C
    .language_version:
      - 2
      - 0
    .max_flat_workgroup_size: 128
    .name:           _ZN7rocprim17ROCPRIM_400000_NS6detail17trampoline_kernelINS0_14default_configENS1_38merge_sort_block_merge_config_selectorIxNS0_10empty_typeEEEZZNS1_27merge_sort_block_merge_implIS3_PxPS5_jNS1_19radix_merge_compareILb0ELb1ExNS0_19identity_decomposerEEEEE10hipError_tT0_T1_T2_jT3_P12ihipStream_tbPNSt15iterator_traitsISE_E10value_typeEPNSK_ISF_E10value_typeEPSG_NS1_7vsmem_tEENKUlT_SE_SF_SG_E_clIS8_S8_S9_S9_EESD_ST_SE_SF_SG_EUlST_E_NS1_11comp_targetILNS1_3genE3ELNS1_11target_archE908ELNS1_3gpuE7ELNS1_3repE0EEENS1_48merge_mergepath_partition_config_static_selectorELNS0_4arch9wavefront6targetE1EEEvSF_
    .private_segment_fixed_size: 0
    .sgpr_count:     4
    .sgpr_spill_count: 0
    .symbol:         _ZN7rocprim17ROCPRIM_400000_NS6detail17trampoline_kernelINS0_14default_configENS1_38merge_sort_block_merge_config_selectorIxNS0_10empty_typeEEEZZNS1_27merge_sort_block_merge_implIS3_PxPS5_jNS1_19radix_merge_compareILb0ELb1ExNS0_19identity_decomposerEEEEE10hipError_tT0_T1_T2_jT3_P12ihipStream_tbPNSt15iterator_traitsISE_E10value_typeEPNSK_ISF_E10value_typeEPSG_NS1_7vsmem_tEENKUlT_SE_SF_SG_E_clIS8_S8_S9_S9_EESD_ST_SE_SF_SG_EUlST_E_NS1_11comp_targetILNS1_3genE3ELNS1_11target_archE908ELNS1_3gpuE7ELNS1_3repE0EEENS1_48merge_mergepath_partition_config_static_selectorELNS0_4arch9wavefront6targetE1EEEvSF_.kd
    .uniform_work_group_size: 1
    .uses_dynamic_stack: false
    .vgpr_count:     0
    .vgpr_spill_count: 0
    .wavefront_size: 64
  - .agpr_count:     0
    .args:
      - .offset:         0
        .size:           40
        .value_kind:     by_value
    .group_segment_fixed_size: 0
    .kernarg_segment_align: 8
    .kernarg_segment_size: 40
    .language:       OpenCL C
    .language_version:
      - 2
      - 0
    .max_flat_workgroup_size: 128
    .name:           _ZN7rocprim17ROCPRIM_400000_NS6detail17trampoline_kernelINS0_14default_configENS1_38merge_sort_block_merge_config_selectorIxNS0_10empty_typeEEEZZNS1_27merge_sort_block_merge_implIS3_PxPS5_jNS1_19radix_merge_compareILb0ELb1ExNS0_19identity_decomposerEEEEE10hipError_tT0_T1_T2_jT3_P12ihipStream_tbPNSt15iterator_traitsISE_E10value_typeEPNSK_ISF_E10value_typeEPSG_NS1_7vsmem_tEENKUlT_SE_SF_SG_E_clIS8_S8_S9_S9_EESD_ST_SE_SF_SG_EUlST_E_NS1_11comp_targetILNS1_3genE2ELNS1_11target_archE906ELNS1_3gpuE6ELNS1_3repE0EEENS1_48merge_mergepath_partition_config_static_selectorELNS0_4arch9wavefront6targetE1EEEvSF_
    .private_segment_fixed_size: 0
    .sgpr_count:     4
    .sgpr_spill_count: 0
    .symbol:         _ZN7rocprim17ROCPRIM_400000_NS6detail17trampoline_kernelINS0_14default_configENS1_38merge_sort_block_merge_config_selectorIxNS0_10empty_typeEEEZZNS1_27merge_sort_block_merge_implIS3_PxPS5_jNS1_19radix_merge_compareILb0ELb1ExNS0_19identity_decomposerEEEEE10hipError_tT0_T1_T2_jT3_P12ihipStream_tbPNSt15iterator_traitsISE_E10value_typeEPNSK_ISF_E10value_typeEPSG_NS1_7vsmem_tEENKUlT_SE_SF_SG_E_clIS8_S8_S9_S9_EESD_ST_SE_SF_SG_EUlST_E_NS1_11comp_targetILNS1_3genE2ELNS1_11target_archE906ELNS1_3gpuE6ELNS1_3repE0EEENS1_48merge_mergepath_partition_config_static_selectorELNS0_4arch9wavefront6targetE1EEEvSF_.kd
    .uniform_work_group_size: 1
    .uses_dynamic_stack: false
    .vgpr_count:     0
    .vgpr_spill_count: 0
    .wavefront_size: 64
  - .agpr_count:     0
    .args:
      - .offset:         0
        .size:           40
        .value_kind:     by_value
    .group_segment_fixed_size: 0
    .kernarg_segment_align: 8
    .kernarg_segment_size: 40
    .language:       OpenCL C
    .language_version:
      - 2
      - 0
    .max_flat_workgroup_size: 128
    .name:           _ZN7rocprim17ROCPRIM_400000_NS6detail17trampoline_kernelINS0_14default_configENS1_38merge_sort_block_merge_config_selectorIxNS0_10empty_typeEEEZZNS1_27merge_sort_block_merge_implIS3_PxPS5_jNS1_19radix_merge_compareILb0ELb1ExNS0_19identity_decomposerEEEEE10hipError_tT0_T1_T2_jT3_P12ihipStream_tbPNSt15iterator_traitsISE_E10value_typeEPNSK_ISF_E10value_typeEPSG_NS1_7vsmem_tEENKUlT_SE_SF_SG_E_clIS8_S8_S9_S9_EESD_ST_SE_SF_SG_EUlST_E_NS1_11comp_targetILNS1_3genE9ELNS1_11target_archE1100ELNS1_3gpuE3ELNS1_3repE0EEENS1_48merge_mergepath_partition_config_static_selectorELNS0_4arch9wavefront6targetE1EEEvSF_
    .private_segment_fixed_size: 0
    .sgpr_count:     4
    .sgpr_spill_count: 0
    .symbol:         _ZN7rocprim17ROCPRIM_400000_NS6detail17trampoline_kernelINS0_14default_configENS1_38merge_sort_block_merge_config_selectorIxNS0_10empty_typeEEEZZNS1_27merge_sort_block_merge_implIS3_PxPS5_jNS1_19radix_merge_compareILb0ELb1ExNS0_19identity_decomposerEEEEE10hipError_tT0_T1_T2_jT3_P12ihipStream_tbPNSt15iterator_traitsISE_E10value_typeEPNSK_ISF_E10value_typeEPSG_NS1_7vsmem_tEENKUlT_SE_SF_SG_E_clIS8_S8_S9_S9_EESD_ST_SE_SF_SG_EUlST_E_NS1_11comp_targetILNS1_3genE9ELNS1_11target_archE1100ELNS1_3gpuE3ELNS1_3repE0EEENS1_48merge_mergepath_partition_config_static_selectorELNS0_4arch9wavefront6targetE1EEEvSF_.kd
    .uniform_work_group_size: 1
    .uses_dynamic_stack: false
    .vgpr_count:     0
    .vgpr_spill_count: 0
    .wavefront_size: 64
  - .agpr_count:     0
    .args:
      - .offset:         0
        .size:           40
        .value_kind:     by_value
    .group_segment_fixed_size: 0
    .kernarg_segment_align: 8
    .kernarg_segment_size: 40
    .language:       OpenCL C
    .language_version:
      - 2
      - 0
    .max_flat_workgroup_size: 128
    .name:           _ZN7rocprim17ROCPRIM_400000_NS6detail17trampoline_kernelINS0_14default_configENS1_38merge_sort_block_merge_config_selectorIxNS0_10empty_typeEEEZZNS1_27merge_sort_block_merge_implIS3_PxPS5_jNS1_19radix_merge_compareILb0ELb1ExNS0_19identity_decomposerEEEEE10hipError_tT0_T1_T2_jT3_P12ihipStream_tbPNSt15iterator_traitsISE_E10value_typeEPNSK_ISF_E10value_typeEPSG_NS1_7vsmem_tEENKUlT_SE_SF_SG_E_clIS8_S8_S9_S9_EESD_ST_SE_SF_SG_EUlST_E_NS1_11comp_targetILNS1_3genE8ELNS1_11target_archE1030ELNS1_3gpuE2ELNS1_3repE0EEENS1_48merge_mergepath_partition_config_static_selectorELNS0_4arch9wavefront6targetE1EEEvSF_
    .private_segment_fixed_size: 0
    .sgpr_count:     4
    .sgpr_spill_count: 0
    .symbol:         _ZN7rocprim17ROCPRIM_400000_NS6detail17trampoline_kernelINS0_14default_configENS1_38merge_sort_block_merge_config_selectorIxNS0_10empty_typeEEEZZNS1_27merge_sort_block_merge_implIS3_PxPS5_jNS1_19radix_merge_compareILb0ELb1ExNS0_19identity_decomposerEEEEE10hipError_tT0_T1_T2_jT3_P12ihipStream_tbPNSt15iterator_traitsISE_E10value_typeEPNSK_ISF_E10value_typeEPSG_NS1_7vsmem_tEENKUlT_SE_SF_SG_E_clIS8_S8_S9_S9_EESD_ST_SE_SF_SG_EUlST_E_NS1_11comp_targetILNS1_3genE8ELNS1_11target_archE1030ELNS1_3gpuE2ELNS1_3repE0EEENS1_48merge_mergepath_partition_config_static_selectorELNS0_4arch9wavefront6targetE1EEEvSF_.kd
    .uniform_work_group_size: 1
    .uses_dynamic_stack: false
    .vgpr_count:     0
    .vgpr_spill_count: 0
    .wavefront_size: 64
  - .agpr_count:     0
    .args:
      - .offset:         0
        .size:           72
        .value_kind:     by_value
    .group_segment_fixed_size: 0
    .kernarg_segment_align: 8
    .kernarg_segment_size: 72
    .language:       OpenCL C
    .language_version:
      - 2
      - 0
    .max_flat_workgroup_size: 128
    .name:           _ZN7rocprim17ROCPRIM_400000_NS6detail17trampoline_kernelINS0_14default_configENS1_38merge_sort_block_merge_config_selectorIxNS0_10empty_typeEEEZZNS1_27merge_sort_block_merge_implIS3_PxPS5_jNS1_19radix_merge_compareILb0ELb1ExNS0_19identity_decomposerEEEEE10hipError_tT0_T1_T2_jT3_P12ihipStream_tbPNSt15iterator_traitsISE_E10value_typeEPNSK_ISF_E10value_typeEPSG_NS1_7vsmem_tEENKUlT_SE_SF_SG_E_clIS8_S8_S9_S9_EESD_ST_SE_SF_SG_EUlST_E0_NS1_11comp_targetILNS1_3genE0ELNS1_11target_archE4294967295ELNS1_3gpuE0ELNS1_3repE0EEENS1_38merge_mergepath_config_static_selectorELNS0_4arch9wavefront6targetE1EEEvSF_
    .private_segment_fixed_size: 0
    .sgpr_count:     4
    .sgpr_spill_count: 0
    .symbol:         _ZN7rocprim17ROCPRIM_400000_NS6detail17trampoline_kernelINS0_14default_configENS1_38merge_sort_block_merge_config_selectorIxNS0_10empty_typeEEEZZNS1_27merge_sort_block_merge_implIS3_PxPS5_jNS1_19radix_merge_compareILb0ELb1ExNS0_19identity_decomposerEEEEE10hipError_tT0_T1_T2_jT3_P12ihipStream_tbPNSt15iterator_traitsISE_E10value_typeEPNSK_ISF_E10value_typeEPSG_NS1_7vsmem_tEENKUlT_SE_SF_SG_E_clIS8_S8_S9_S9_EESD_ST_SE_SF_SG_EUlST_E0_NS1_11comp_targetILNS1_3genE0ELNS1_11target_archE4294967295ELNS1_3gpuE0ELNS1_3repE0EEENS1_38merge_mergepath_config_static_selectorELNS0_4arch9wavefront6targetE1EEEvSF_.kd
    .uniform_work_group_size: 1
    .uses_dynamic_stack: false
    .vgpr_count:     0
    .vgpr_spill_count: 0
    .wavefront_size: 64
  - .agpr_count:     0
    .args:
      - .offset:         0
        .size:           72
        .value_kind:     by_value
    .group_segment_fixed_size: 0
    .kernarg_segment_align: 8
    .kernarg_segment_size: 72
    .language:       OpenCL C
    .language_version:
      - 2
      - 0
    .max_flat_workgroup_size: 512
    .name:           _ZN7rocprim17ROCPRIM_400000_NS6detail17trampoline_kernelINS0_14default_configENS1_38merge_sort_block_merge_config_selectorIxNS0_10empty_typeEEEZZNS1_27merge_sort_block_merge_implIS3_PxPS5_jNS1_19radix_merge_compareILb0ELb1ExNS0_19identity_decomposerEEEEE10hipError_tT0_T1_T2_jT3_P12ihipStream_tbPNSt15iterator_traitsISE_E10value_typeEPNSK_ISF_E10value_typeEPSG_NS1_7vsmem_tEENKUlT_SE_SF_SG_E_clIS8_S8_S9_S9_EESD_ST_SE_SF_SG_EUlST_E0_NS1_11comp_targetILNS1_3genE10ELNS1_11target_archE1201ELNS1_3gpuE5ELNS1_3repE0EEENS1_38merge_mergepath_config_static_selectorELNS0_4arch9wavefront6targetE1EEEvSF_
    .private_segment_fixed_size: 0
    .sgpr_count:     4
    .sgpr_spill_count: 0
    .symbol:         _ZN7rocprim17ROCPRIM_400000_NS6detail17trampoline_kernelINS0_14default_configENS1_38merge_sort_block_merge_config_selectorIxNS0_10empty_typeEEEZZNS1_27merge_sort_block_merge_implIS3_PxPS5_jNS1_19radix_merge_compareILb0ELb1ExNS0_19identity_decomposerEEEEE10hipError_tT0_T1_T2_jT3_P12ihipStream_tbPNSt15iterator_traitsISE_E10value_typeEPNSK_ISF_E10value_typeEPSG_NS1_7vsmem_tEENKUlT_SE_SF_SG_E_clIS8_S8_S9_S9_EESD_ST_SE_SF_SG_EUlST_E0_NS1_11comp_targetILNS1_3genE10ELNS1_11target_archE1201ELNS1_3gpuE5ELNS1_3repE0EEENS1_38merge_mergepath_config_static_selectorELNS0_4arch9wavefront6targetE1EEEvSF_.kd
    .uniform_work_group_size: 1
    .uses_dynamic_stack: false
    .vgpr_count:     0
    .vgpr_spill_count: 0
    .wavefront_size: 64
  - .agpr_count:     0
    .args:
      - .offset:         0
        .size:           72
        .value_kind:     by_value
    .group_segment_fixed_size: 0
    .kernarg_segment_align: 8
    .kernarg_segment_size: 72
    .language:       OpenCL C
    .language_version:
      - 2
      - 0
    .max_flat_workgroup_size: 128
    .name:           _ZN7rocprim17ROCPRIM_400000_NS6detail17trampoline_kernelINS0_14default_configENS1_38merge_sort_block_merge_config_selectorIxNS0_10empty_typeEEEZZNS1_27merge_sort_block_merge_implIS3_PxPS5_jNS1_19radix_merge_compareILb0ELb1ExNS0_19identity_decomposerEEEEE10hipError_tT0_T1_T2_jT3_P12ihipStream_tbPNSt15iterator_traitsISE_E10value_typeEPNSK_ISF_E10value_typeEPSG_NS1_7vsmem_tEENKUlT_SE_SF_SG_E_clIS8_S8_S9_S9_EESD_ST_SE_SF_SG_EUlST_E0_NS1_11comp_targetILNS1_3genE5ELNS1_11target_archE942ELNS1_3gpuE9ELNS1_3repE0EEENS1_38merge_mergepath_config_static_selectorELNS0_4arch9wavefront6targetE1EEEvSF_
    .private_segment_fixed_size: 0
    .sgpr_count:     4
    .sgpr_spill_count: 0
    .symbol:         _ZN7rocprim17ROCPRIM_400000_NS6detail17trampoline_kernelINS0_14default_configENS1_38merge_sort_block_merge_config_selectorIxNS0_10empty_typeEEEZZNS1_27merge_sort_block_merge_implIS3_PxPS5_jNS1_19radix_merge_compareILb0ELb1ExNS0_19identity_decomposerEEEEE10hipError_tT0_T1_T2_jT3_P12ihipStream_tbPNSt15iterator_traitsISE_E10value_typeEPNSK_ISF_E10value_typeEPSG_NS1_7vsmem_tEENKUlT_SE_SF_SG_E_clIS8_S8_S9_S9_EESD_ST_SE_SF_SG_EUlST_E0_NS1_11comp_targetILNS1_3genE5ELNS1_11target_archE942ELNS1_3gpuE9ELNS1_3repE0EEENS1_38merge_mergepath_config_static_selectorELNS0_4arch9wavefront6targetE1EEEvSF_.kd
    .uniform_work_group_size: 1
    .uses_dynamic_stack: false
    .vgpr_count:     0
    .vgpr_spill_count: 0
    .wavefront_size: 64
  - .agpr_count:     0
    .args:
      - .offset:         0
        .size:           72
        .value_kind:     by_value
      - .offset:         72
        .size:           4
        .value_kind:     hidden_block_count_x
      - .offset:         76
        .size:           4
        .value_kind:     hidden_block_count_y
      - .offset:         80
        .size:           4
        .value_kind:     hidden_block_count_z
      - .offset:         84
        .size:           2
        .value_kind:     hidden_group_size_x
      - .offset:         86
        .size:           2
        .value_kind:     hidden_group_size_y
      - .offset:         88
        .size:           2
        .value_kind:     hidden_group_size_z
      - .offset:         90
        .size:           2
        .value_kind:     hidden_remainder_x
      - .offset:         92
        .size:           2
        .value_kind:     hidden_remainder_y
      - .offset:         94
        .size:           2
        .value_kind:     hidden_remainder_z
      - .offset:         112
        .size:           8
        .value_kind:     hidden_global_offset_x
      - .offset:         120
        .size:           8
        .value_kind:     hidden_global_offset_y
      - .offset:         128
        .size:           8
        .value_kind:     hidden_global_offset_z
      - .offset:         136
        .size:           2
        .value_kind:     hidden_grid_dims
    .group_segment_fixed_size: 8448
    .kernarg_segment_align: 8
    .kernarg_segment_size: 328
    .language:       OpenCL C
    .language_version:
      - 2
      - 0
    .max_flat_workgroup_size: 256
    .name:           _ZN7rocprim17ROCPRIM_400000_NS6detail17trampoline_kernelINS0_14default_configENS1_38merge_sort_block_merge_config_selectorIxNS0_10empty_typeEEEZZNS1_27merge_sort_block_merge_implIS3_PxPS5_jNS1_19radix_merge_compareILb0ELb1ExNS0_19identity_decomposerEEEEE10hipError_tT0_T1_T2_jT3_P12ihipStream_tbPNSt15iterator_traitsISE_E10value_typeEPNSK_ISF_E10value_typeEPSG_NS1_7vsmem_tEENKUlT_SE_SF_SG_E_clIS8_S8_S9_S9_EESD_ST_SE_SF_SG_EUlST_E0_NS1_11comp_targetILNS1_3genE4ELNS1_11target_archE910ELNS1_3gpuE8ELNS1_3repE0EEENS1_38merge_mergepath_config_static_selectorELNS0_4arch9wavefront6targetE1EEEvSF_
    .private_segment_fixed_size: 0
    .sgpr_count:     30
    .sgpr_spill_count: 0
    .symbol:         _ZN7rocprim17ROCPRIM_400000_NS6detail17trampoline_kernelINS0_14default_configENS1_38merge_sort_block_merge_config_selectorIxNS0_10empty_typeEEEZZNS1_27merge_sort_block_merge_implIS3_PxPS5_jNS1_19radix_merge_compareILb0ELb1ExNS0_19identity_decomposerEEEEE10hipError_tT0_T1_T2_jT3_P12ihipStream_tbPNSt15iterator_traitsISE_E10value_typeEPNSK_ISF_E10value_typeEPSG_NS1_7vsmem_tEENKUlT_SE_SF_SG_E_clIS8_S8_S9_S9_EESD_ST_SE_SF_SG_EUlST_E0_NS1_11comp_targetILNS1_3genE4ELNS1_11target_archE910ELNS1_3gpuE8ELNS1_3repE0EEENS1_38merge_mergepath_config_static_selectorELNS0_4arch9wavefront6targetE1EEEvSF_.kd
    .uniform_work_group_size: 1
    .uses_dynamic_stack: false
    .vgpr_count:     23
    .vgpr_spill_count: 0
    .wavefront_size: 64
  - .agpr_count:     0
    .args:
      - .offset:         0
        .size:           72
        .value_kind:     by_value
    .group_segment_fixed_size: 0
    .kernarg_segment_align: 8
    .kernarg_segment_size: 72
    .language:       OpenCL C
    .language_version:
      - 2
      - 0
    .max_flat_workgroup_size: 128
    .name:           _ZN7rocprim17ROCPRIM_400000_NS6detail17trampoline_kernelINS0_14default_configENS1_38merge_sort_block_merge_config_selectorIxNS0_10empty_typeEEEZZNS1_27merge_sort_block_merge_implIS3_PxPS5_jNS1_19radix_merge_compareILb0ELb1ExNS0_19identity_decomposerEEEEE10hipError_tT0_T1_T2_jT3_P12ihipStream_tbPNSt15iterator_traitsISE_E10value_typeEPNSK_ISF_E10value_typeEPSG_NS1_7vsmem_tEENKUlT_SE_SF_SG_E_clIS8_S8_S9_S9_EESD_ST_SE_SF_SG_EUlST_E0_NS1_11comp_targetILNS1_3genE3ELNS1_11target_archE908ELNS1_3gpuE7ELNS1_3repE0EEENS1_38merge_mergepath_config_static_selectorELNS0_4arch9wavefront6targetE1EEEvSF_
    .private_segment_fixed_size: 0
    .sgpr_count:     4
    .sgpr_spill_count: 0
    .symbol:         _ZN7rocprim17ROCPRIM_400000_NS6detail17trampoline_kernelINS0_14default_configENS1_38merge_sort_block_merge_config_selectorIxNS0_10empty_typeEEEZZNS1_27merge_sort_block_merge_implIS3_PxPS5_jNS1_19radix_merge_compareILb0ELb1ExNS0_19identity_decomposerEEEEE10hipError_tT0_T1_T2_jT3_P12ihipStream_tbPNSt15iterator_traitsISE_E10value_typeEPNSK_ISF_E10value_typeEPSG_NS1_7vsmem_tEENKUlT_SE_SF_SG_E_clIS8_S8_S9_S9_EESD_ST_SE_SF_SG_EUlST_E0_NS1_11comp_targetILNS1_3genE3ELNS1_11target_archE908ELNS1_3gpuE7ELNS1_3repE0EEENS1_38merge_mergepath_config_static_selectorELNS0_4arch9wavefront6targetE1EEEvSF_.kd
    .uniform_work_group_size: 1
    .uses_dynamic_stack: false
    .vgpr_count:     0
    .vgpr_spill_count: 0
    .wavefront_size: 64
  - .agpr_count:     0
    .args:
      - .offset:         0
        .size:           72
        .value_kind:     by_value
    .group_segment_fixed_size: 0
    .kernarg_segment_align: 8
    .kernarg_segment_size: 72
    .language:       OpenCL C
    .language_version:
      - 2
      - 0
    .max_flat_workgroup_size: 256
    .name:           _ZN7rocprim17ROCPRIM_400000_NS6detail17trampoline_kernelINS0_14default_configENS1_38merge_sort_block_merge_config_selectorIxNS0_10empty_typeEEEZZNS1_27merge_sort_block_merge_implIS3_PxPS5_jNS1_19radix_merge_compareILb0ELb1ExNS0_19identity_decomposerEEEEE10hipError_tT0_T1_T2_jT3_P12ihipStream_tbPNSt15iterator_traitsISE_E10value_typeEPNSK_ISF_E10value_typeEPSG_NS1_7vsmem_tEENKUlT_SE_SF_SG_E_clIS8_S8_S9_S9_EESD_ST_SE_SF_SG_EUlST_E0_NS1_11comp_targetILNS1_3genE2ELNS1_11target_archE906ELNS1_3gpuE6ELNS1_3repE0EEENS1_38merge_mergepath_config_static_selectorELNS0_4arch9wavefront6targetE1EEEvSF_
    .private_segment_fixed_size: 0
    .sgpr_count:     4
    .sgpr_spill_count: 0
    .symbol:         _ZN7rocprim17ROCPRIM_400000_NS6detail17trampoline_kernelINS0_14default_configENS1_38merge_sort_block_merge_config_selectorIxNS0_10empty_typeEEEZZNS1_27merge_sort_block_merge_implIS3_PxPS5_jNS1_19radix_merge_compareILb0ELb1ExNS0_19identity_decomposerEEEEE10hipError_tT0_T1_T2_jT3_P12ihipStream_tbPNSt15iterator_traitsISE_E10value_typeEPNSK_ISF_E10value_typeEPSG_NS1_7vsmem_tEENKUlT_SE_SF_SG_E_clIS8_S8_S9_S9_EESD_ST_SE_SF_SG_EUlST_E0_NS1_11comp_targetILNS1_3genE2ELNS1_11target_archE906ELNS1_3gpuE6ELNS1_3repE0EEENS1_38merge_mergepath_config_static_selectorELNS0_4arch9wavefront6targetE1EEEvSF_.kd
    .uniform_work_group_size: 1
    .uses_dynamic_stack: false
    .vgpr_count:     0
    .vgpr_spill_count: 0
    .wavefront_size: 64
  - .agpr_count:     0
    .args:
      - .offset:         0
        .size:           72
        .value_kind:     by_value
    .group_segment_fixed_size: 0
    .kernarg_segment_align: 8
    .kernarg_segment_size: 72
    .language:       OpenCL C
    .language_version:
      - 2
      - 0
    .max_flat_workgroup_size: 512
    .name:           _ZN7rocprim17ROCPRIM_400000_NS6detail17trampoline_kernelINS0_14default_configENS1_38merge_sort_block_merge_config_selectorIxNS0_10empty_typeEEEZZNS1_27merge_sort_block_merge_implIS3_PxPS5_jNS1_19radix_merge_compareILb0ELb1ExNS0_19identity_decomposerEEEEE10hipError_tT0_T1_T2_jT3_P12ihipStream_tbPNSt15iterator_traitsISE_E10value_typeEPNSK_ISF_E10value_typeEPSG_NS1_7vsmem_tEENKUlT_SE_SF_SG_E_clIS8_S8_S9_S9_EESD_ST_SE_SF_SG_EUlST_E0_NS1_11comp_targetILNS1_3genE9ELNS1_11target_archE1100ELNS1_3gpuE3ELNS1_3repE0EEENS1_38merge_mergepath_config_static_selectorELNS0_4arch9wavefront6targetE1EEEvSF_
    .private_segment_fixed_size: 0
    .sgpr_count:     4
    .sgpr_spill_count: 0
    .symbol:         _ZN7rocprim17ROCPRIM_400000_NS6detail17trampoline_kernelINS0_14default_configENS1_38merge_sort_block_merge_config_selectorIxNS0_10empty_typeEEEZZNS1_27merge_sort_block_merge_implIS3_PxPS5_jNS1_19radix_merge_compareILb0ELb1ExNS0_19identity_decomposerEEEEE10hipError_tT0_T1_T2_jT3_P12ihipStream_tbPNSt15iterator_traitsISE_E10value_typeEPNSK_ISF_E10value_typeEPSG_NS1_7vsmem_tEENKUlT_SE_SF_SG_E_clIS8_S8_S9_S9_EESD_ST_SE_SF_SG_EUlST_E0_NS1_11comp_targetILNS1_3genE9ELNS1_11target_archE1100ELNS1_3gpuE3ELNS1_3repE0EEENS1_38merge_mergepath_config_static_selectorELNS0_4arch9wavefront6targetE1EEEvSF_.kd
    .uniform_work_group_size: 1
    .uses_dynamic_stack: false
    .vgpr_count:     0
    .vgpr_spill_count: 0
    .wavefront_size: 64
  - .agpr_count:     0
    .args:
      - .offset:         0
        .size:           72
        .value_kind:     by_value
    .group_segment_fixed_size: 0
    .kernarg_segment_align: 8
    .kernarg_segment_size: 72
    .language:       OpenCL C
    .language_version:
      - 2
      - 0
    .max_flat_workgroup_size: 1024
    .name:           _ZN7rocprim17ROCPRIM_400000_NS6detail17trampoline_kernelINS0_14default_configENS1_38merge_sort_block_merge_config_selectorIxNS0_10empty_typeEEEZZNS1_27merge_sort_block_merge_implIS3_PxPS5_jNS1_19radix_merge_compareILb0ELb1ExNS0_19identity_decomposerEEEEE10hipError_tT0_T1_T2_jT3_P12ihipStream_tbPNSt15iterator_traitsISE_E10value_typeEPNSK_ISF_E10value_typeEPSG_NS1_7vsmem_tEENKUlT_SE_SF_SG_E_clIS8_S8_S9_S9_EESD_ST_SE_SF_SG_EUlST_E0_NS1_11comp_targetILNS1_3genE8ELNS1_11target_archE1030ELNS1_3gpuE2ELNS1_3repE0EEENS1_38merge_mergepath_config_static_selectorELNS0_4arch9wavefront6targetE1EEEvSF_
    .private_segment_fixed_size: 0
    .sgpr_count:     4
    .sgpr_spill_count: 0
    .symbol:         _ZN7rocprim17ROCPRIM_400000_NS6detail17trampoline_kernelINS0_14default_configENS1_38merge_sort_block_merge_config_selectorIxNS0_10empty_typeEEEZZNS1_27merge_sort_block_merge_implIS3_PxPS5_jNS1_19radix_merge_compareILb0ELb1ExNS0_19identity_decomposerEEEEE10hipError_tT0_T1_T2_jT3_P12ihipStream_tbPNSt15iterator_traitsISE_E10value_typeEPNSK_ISF_E10value_typeEPSG_NS1_7vsmem_tEENKUlT_SE_SF_SG_E_clIS8_S8_S9_S9_EESD_ST_SE_SF_SG_EUlST_E0_NS1_11comp_targetILNS1_3genE8ELNS1_11target_archE1030ELNS1_3gpuE2ELNS1_3repE0EEENS1_38merge_mergepath_config_static_selectorELNS0_4arch9wavefront6targetE1EEEvSF_.kd
    .uniform_work_group_size: 1
    .uses_dynamic_stack: false
    .vgpr_count:     0
    .vgpr_spill_count: 0
    .wavefront_size: 64
  - .agpr_count:     0
    .args:
      - .offset:         0
        .size:           48
        .value_kind:     by_value
    .group_segment_fixed_size: 0
    .kernarg_segment_align: 8
    .kernarg_segment_size: 48
    .language:       OpenCL C
    .language_version:
      - 2
      - 0
    .max_flat_workgroup_size: 256
    .name:           _ZN7rocprim17ROCPRIM_400000_NS6detail17trampoline_kernelINS0_14default_configENS1_38merge_sort_block_merge_config_selectorIxNS0_10empty_typeEEEZZNS1_27merge_sort_block_merge_implIS3_PxPS5_jNS1_19radix_merge_compareILb0ELb1ExNS0_19identity_decomposerEEEEE10hipError_tT0_T1_T2_jT3_P12ihipStream_tbPNSt15iterator_traitsISE_E10value_typeEPNSK_ISF_E10value_typeEPSG_NS1_7vsmem_tEENKUlT_SE_SF_SG_E_clIS8_S8_S9_S9_EESD_ST_SE_SF_SG_EUlST_E1_NS1_11comp_targetILNS1_3genE0ELNS1_11target_archE4294967295ELNS1_3gpuE0ELNS1_3repE0EEENS1_36merge_oddeven_config_static_selectorELNS0_4arch9wavefront6targetE1EEEvSF_
    .private_segment_fixed_size: 0
    .sgpr_count:     4
    .sgpr_spill_count: 0
    .symbol:         _ZN7rocprim17ROCPRIM_400000_NS6detail17trampoline_kernelINS0_14default_configENS1_38merge_sort_block_merge_config_selectorIxNS0_10empty_typeEEEZZNS1_27merge_sort_block_merge_implIS3_PxPS5_jNS1_19radix_merge_compareILb0ELb1ExNS0_19identity_decomposerEEEEE10hipError_tT0_T1_T2_jT3_P12ihipStream_tbPNSt15iterator_traitsISE_E10value_typeEPNSK_ISF_E10value_typeEPSG_NS1_7vsmem_tEENKUlT_SE_SF_SG_E_clIS8_S8_S9_S9_EESD_ST_SE_SF_SG_EUlST_E1_NS1_11comp_targetILNS1_3genE0ELNS1_11target_archE4294967295ELNS1_3gpuE0ELNS1_3repE0EEENS1_36merge_oddeven_config_static_selectorELNS0_4arch9wavefront6targetE1EEEvSF_.kd
    .uniform_work_group_size: 1
    .uses_dynamic_stack: false
    .vgpr_count:     0
    .vgpr_spill_count: 0
    .wavefront_size: 64
  - .agpr_count:     0
    .args:
      - .offset:         0
        .size:           48
        .value_kind:     by_value
    .group_segment_fixed_size: 0
    .kernarg_segment_align: 8
    .kernarg_segment_size: 48
    .language:       OpenCL C
    .language_version:
      - 2
      - 0
    .max_flat_workgroup_size: 256
    .name:           _ZN7rocprim17ROCPRIM_400000_NS6detail17trampoline_kernelINS0_14default_configENS1_38merge_sort_block_merge_config_selectorIxNS0_10empty_typeEEEZZNS1_27merge_sort_block_merge_implIS3_PxPS5_jNS1_19radix_merge_compareILb0ELb1ExNS0_19identity_decomposerEEEEE10hipError_tT0_T1_T2_jT3_P12ihipStream_tbPNSt15iterator_traitsISE_E10value_typeEPNSK_ISF_E10value_typeEPSG_NS1_7vsmem_tEENKUlT_SE_SF_SG_E_clIS8_S8_S9_S9_EESD_ST_SE_SF_SG_EUlST_E1_NS1_11comp_targetILNS1_3genE10ELNS1_11target_archE1201ELNS1_3gpuE5ELNS1_3repE0EEENS1_36merge_oddeven_config_static_selectorELNS0_4arch9wavefront6targetE1EEEvSF_
    .private_segment_fixed_size: 0
    .sgpr_count:     4
    .sgpr_spill_count: 0
    .symbol:         _ZN7rocprim17ROCPRIM_400000_NS6detail17trampoline_kernelINS0_14default_configENS1_38merge_sort_block_merge_config_selectorIxNS0_10empty_typeEEEZZNS1_27merge_sort_block_merge_implIS3_PxPS5_jNS1_19radix_merge_compareILb0ELb1ExNS0_19identity_decomposerEEEEE10hipError_tT0_T1_T2_jT3_P12ihipStream_tbPNSt15iterator_traitsISE_E10value_typeEPNSK_ISF_E10value_typeEPSG_NS1_7vsmem_tEENKUlT_SE_SF_SG_E_clIS8_S8_S9_S9_EESD_ST_SE_SF_SG_EUlST_E1_NS1_11comp_targetILNS1_3genE10ELNS1_11target_archE1201ELNS1_3gpuE5ELNS1_3repE0EEENS1_36merge_oddeven_config_static_selectorELNS0_4arch9wavefront6targetE1EEEvSF_.kd
    .uniform_work_group_size: 1
    .uses_dynamic_stack: false
    .vgpr_count:     0
    .vgpr_spill_count: 0
    .wavefront_size: 64
  - .agpr_count:     0
    .args:
      - .offset:         0
        .size:           48
        .value_kind:     by_value
    .group_segment_fixed_size: 0
    .kernarg_segment_align: 8
    .kernarg_segment_size: 48
    .language:       OpenCL C
    .language_version:
      - 2
      - 0
    .max_flat_workgroup_size: 256
    .name:           _ZN7rocprim17ROCPRIM_400000_NS6detail17trampoline_kernelINS0_14default_configENS1_38merge_sort_block_merge_config_selectorIxNS0_10empty_typeEEEZZNS1_27merge_sort_block_merge_implIS3_PxPS5_jNS1_19radix_merge_compareILb0ELb1ExNS0_19identity_decomposerEEEEE10hipError_tT0_T1_T2_jT3_P12ihipStream_tbPNSt15iterator_traitsISE_E10value_typeEPNSK_ISF_E10value_typeEPSG_NS1_7vsmem_tEENKUlT_SE_SF_SG_E_clIS8_S8_S9_S9_EESD_ST_SE_SF_SG_EUlST_E1_NS1_11comp_targetILNS1_3genE5ELNS1_11target_archE942ELNS1_3gpuE9ELNS1_3repE0EEENS1_36merge_oddeven_config_static_selectorELNS0_4arch9wavefront6targetE1EEEvSF_
    .private_segment_fixed_size: 0
    .sgpr_count:     4
    .sgpr_spill_count: 0
    .symbol:         _ZN7rocprim17ROCPRIM_400000_NS6detail17trampoline_kernelINS0_14default_configENS1_38merge_sort_block_merge_config_selectorIxNS0_10empty_typeEEEZZNS1_27merge_sort_block_merge_implIS3_PxPS5_jNS1_19radix_merge_compareILb0ELb1ExNS0_19identity_decomposerEEEEE10hipError_tT0_T1_T2_jT3_P12ihipStream_tbPNSt15iterator_traitsISE_E10value_typeEPNSK_ISF_E10value_typeEPSG_NS1_7vsmem_tEENKUlT_SE_SF_SG_E_clIS8_S8_S9_S9_EESD_ST_SE_SF_SG_EUlST_E1_NS1_11comp_targetILNS1_3genE5ELNS1_11target_archE942ELNS1_3gpuE9ELNS1_3repE0EEENS1_36merge_oddeven_config_static_selectorELNS0_4arch9wavefront6targetE1EEEvSF_.kd
    .uniform_work_group_size: 1
    .uses_dynamic_stack: false
    .vgpr_count:     0
    .vgpr_spill_count: 0
    .wavefront_size: 64
  - .agpr_count:     0
    .args:
      - .offset:         0
        .size:           48
        .value_kind:     by_value
    .group_segment_fixed_size: 0
    .kernarg_segment_align: 8
    .kernarg_segment_size: 48
    .language:       OpenCL C
    .language_version:
      - 2
      - 0
    .max_flat_workgroup_size: 256
    .name:           _ZN7rocprim17ROCPRIM_400000_NS6detail17trampoline_kernelINS0_14default_configENS1_38merge_sort_block_merge_config_selectorIxNS0_10empty_typeEEEZZNS1_27merge_sort_block_merge_implIS3_PxPS5_jNS1_19radix_merge_compareILb0ELb1ExNS0_19identity_decomposerEEEEE10hipError_tT0_T1_T2_jT3_P12ihipStream_tbPNSt15iterator_traitsISE_E10value_typeEPNSK_ISF_E10value_typeEPSG_NS1_7vsmem_tEENKUlT_SE_SF_SG_E_clIS8_S8_S9_S9_EESD_ST_SE_SF_SG_EUlST_E1_NS1_11comp_targetILNS1_3genE4ELNS1_11target_archE910ELNS1_3gpuE8ELNS1_3repE0EEENS1_36merge_oddeven_config_static_selectorELNS0_4arch9wavefront6targetE1EEEvSF_
    .private_segment_fixed_size: 0
    .sgpr_count:     25
    .sgpr_spill_count: 0
    .symbol:         _ZN7rocprim17ROCPRIM_400000_NS6detail17trampoline_kernelINS0_14default_configENS1_38merge_sort_block_merge_config_selectorIxNS0_10empty_typeEEEZZNS1_27merge_sort_block_merge_implIS3_PxPS5_jNS1_19radix_merge_compareILb0ELb1ExNS0_19identity_decomposerEEEEE10hipError_tT0_T1_T2_jT3_P12ihipStream_tbPNSt15iterator_traitsISE_E10value_typeEPNSK_ISF_E10value_typeEPSG_NS1_7vsmem_tEENKUlT_SE_SF_SG_E_clIS8_S8_S9_S9_EESD_ST_SE_SF_SG_EUlST_E1_NS1_11comp_targetILNS1_3genE4ELNS1_11target_archE910ELNS1_3gpuE8ELNS1_3repE0EEENS1_36merge_oddeven_config_static_selectorELNS0_4arch9wavefront6targetE1EEEvSF_.kd
    .uniform_work_group_size: 1
    .uses_dynamic_stack: false
    .vgpr_count:     14
    .vgpr_spill_count: 0
    .wavefront_size: 64
  - .agpr_count:     0
    .args:
      - .offset:         0
        .size:           48
        .value_kind:     by_value
    .group_segment_fixed_size: 0
    .kernarg_segment_align: 8
    .kernarg_segment_size: 48
    .language:       OpenCL C
    .language_version:
      - 2
      - 0
    .max_flat_workgroup_size: 256
    .name:           _ZN7rocprim17ROCPRIM_400000_NS6detail17trampoline_kernelINS0_14default_configENS1_38merge_sort_block_merge_config_selectorIxNS0_10empty_typeEEEZZNS1_27merge_sort_block_merge_implIS3_PxPS5_jNS1_19radix_merge_compareILb0ELb1ExNS0_19identity_decomposerEEEEE10hipError_tT0_T1_T2_jT3_P12ihipStream_tbPNSt15iterator_traitsISE_E10value_typeEPNSK_ISF_E10value_typeEPSG_NS1_7vsmem_tEENKUlT_SE_SF_SG_E_clIS8_S8_S9_S9_EESD_ST_SE_SF_SG_EUlST_E1_NS1_11comp_targetILNS1_3genE3ELNS1_11target_archE908ELNS1_3gpuE7ELNS1_3repE0EEENS1_36merge_oddeven_config_static_selectorELNS0_4arch9wavefront6targetE1EEEvSF_
    .private_segment_fixed_size: 0
    .sgpr_count:     4
    .sgpr_spill_count: 0
    .symbol:         _ZN7rocprim17ROCPRIM_400000_NS6detail17trampoline_kernelINS0_14default_configENS1_38merge_sort_block_merge_config_selectorIxNS0_10empty_typeEEEZZNS1_27merge_sort_block_merge_implIS3_PxPS5_jNS1_19radix_merge_compareILb0ELb1ExNS0_19identity_decomposerEEEEE10hipError_tT0_T1_T2_jT3_P12ihipStream_tbPNSt15iterator_traitsISE_E10value_typeEPNSK_ISF_E10value_typeEPSG_NS1_7vsmem_tEENKUlT_SE_SF_SG_E_clIS8_S8_S9_S9_EESD_ST_SE_SF_SG_EUlST_E1_NS1_11comp_targetILNS1_3genE3ELNS1_11target_archE908ELNS1_3gpuE7ELNS1_3repE0EEENS1_36merge_oddeven_config_static_selectorELNS0_4arch9wavefront6targetE1EEEvSF_.kd
    .uniform_work_group_size: 1
    .uses_dynamic_stack: false
    .vgpr_count:     0
    .vgpr_spill_count: 0
    .wavefront_size: 64
  - .agpr_count:     0
    .args:
      - .offset:         0
        .size:           48
        .value_kind:     by_value
    .group_segment_fixed_size: 0
    .kernarg_segment_align: 8
    .kernarg_segment_size: 48
    .language:       OpenCL C
    .language_version:
      - 2
      - 0
    .max_flat_workgroup_size: 256
    .name:           _ZN7rocprim17ROCPRIM_400000_NS6detail17trampoline_kernelINS0_14default_configENS1_38merge_sort_block_merge_config_selectorIxNS0_10empty_typeEEEZZNS1_27merge_sort_block_merge_implIS3_PxPS5_jNS1_19radix_merge_compareILb0ELb1ExNS0_19identity_decomposerEEEEE10hipError_tT0_T1_T2_jT3_P12ihipStream_tbPNSt15iterator_traitsISE_E10value_typeEPNSK_ISF_E10value_typeEPSG_NS1_7vsmem_tEENKUlT_SE_SF_SG_E_clIS8_S8_S9_S9_EESD_ST_SE_SF_SG_EUlST_E1_NS1_11comp_targetILNS1_3genE2ELNS1_11target_archE906ELNS1_3gpuE6ELNS1_3repE0EEENS1_36merge_oddeven_config_static_selectorELNS0_4arch9wavefront6targetE1EEEvSF_
    .private_segment_fixed_size: 0
    .sgpr_count:     4
    .sgpr_spill_count: 0
    .symbol:         _ZN7rocprim17ROCPRIM_400000_NS6detail17trampoline_kernelINS0_14default_configENS1_38merge_sort_block_merge_config_selectorIxNS0_10empty_typeEEEZZNS1_27merge_sort_block_merge_implIS3_PxPS5_jNS1_19radix_merge_compareILb0ELb1ExNS0_19identity_decomposerEEEEE10hipError_tT0_T1_T2_jT3_P12ihipStream_tbPNSt15iterator_traitsISE_E10value_typeEPNSK_ISF_E10value_typeEPSG_NS1_7vsmem_tEENKUlT_SE_SF_SG_E_clIS8_S8_S9_S9_EESD_ST_SE_SF_SG_EUlST_E1_NS1_11comp_targetILNS1_3genE2ELNS1_11target_archE906ELNS1_3gpuE6ELNS1_3repE0EEENS1_36merge_oddeven_config_static_selectorELNS0_4arch9wavefront6targetE1EEEvSF_.kd
    .uniform_work_group_size: 1
    .uses_dynamic_stack: false
    .vgpr_count:     0
    .vgpr_spill_count: 0
    .wavefront_size: 64
  - .agpr_count:     0
    .args:
      - .offset:         0
        .size:           48
        .value_kind:     by_value
    .group_segment_fixed_size: 0
    .kernarg_segment_align: 8
    .kernarg_segment_size: 48
    .language:       OpenCL C
    .language_version:
      - 2
      - 0
    .max_flat_workgroup_size: 256
    .name:           _ZN7rocprim17ROCPRIM_400000_NS6detail17trampoline_kernelINS0_14default_configENS1_38merge_sort_block_merge_config_selectorIxNS0_10empty_typeEEEZZNS1_27merge_sort_block_merge_implIS3_PxPS5_jNS1_19radix_merge_compareILb0ELb1ExNS0_19identity_decomposerEEEEE10hipError_tT0_T1_T2_jT3_P12ihipStream_tbPNSt15iterator_traitsISE_E10value_typeEPNSK_ISF_E10value_typeEPSG_NS1_7vsmem_tEENKUlT_SE_SF_SG_E_clIS8_S8_S9_S9_EESD_ST_SE_SF_SG_EUlST_E1_NS1_11comp_targetILNS1_3genE9ELNS1_11target_archE1100ELNS1_3gpuE3ELNS1_3repE0EEENS1_36merge_oddeven_config_static_selectorELNS0_4arch9wavefront6targetE1EEEvSF_
    .private_segment_fixed_size: 0
    .sgpr_count:     4
    .sgpr_spill_count: 0
    .symbol:         _ZN7rocprim17ROCPRIM_400000_NS6detail17trampoline_kernelINS0_14default_configENS1_38merge_sort_block_merge_config_selectorIxNS0_10empty_typeEEEZZNS1_27merge_sort_block_merge_implIS3_PxPS5_jNS1_19radix_merge_compareILb0ELb1ExNS0_19identity_decomposerEEEEE10hipError_tT0_T1_T2_jT3_P12ihipStream_tbPNSt15iterator_traitsISE_E10value_typeEPNSK_ISF_E10value_typeEPSG_NS1_7vsmem_tEENKUlT_SE_SF_SG_E_clIS8_S8_S9_S9_EESD_ST_SE_SF_SG_EUlST_E1_NS1_11comp_targetILNS1_3genE9ELNS1_11target_archE1100ELNS1_3gpuE3ELNS1_3repE0EEENS1_36merge_oddeven_config_static_selectorELNS0_4arch9wavefront6targetE1EEEvSF_.kd
    .uniform_work_group_size: 1
    .uses_dynamic_stack: false
    .vgpr_count:     0
    .vgpr_spill_count: 0
    .wavefront_size: 64
  - .agpr_count:     0
    .args:
      - .offset:         0
        .size:           48
        .value_kind:     by_value
    .group_segment_fixed_size: 0
    .kernarg_segment_align: 8
    .kernarg_segment_size: 48
    .language:       OpenCL C
    .language_version:
      - 2
      - 0
    .max_flat_workgroup_size: 256
    .name:           _ZN7rocprim17ROCPRIM_400000_NS6detail17trampoline_kernelINS0_14default_configENS1_38merge_sort_block_merge_config_selectorIxNS0_10empty_typeEEEZZNS1_27merge_sort_block_merge_implIS3_PxPS5_jNS1_19radix_merge_compareILb0ELb1ExNS0_19identity_decomposerEEEEE10hipError_tT0_T1_T2_jT3_P12ihipStream_tbPNSt15iterator_traitsISE_E10value_typeEPNSK_ISF_E10value_typeEPSG_NS1_7vsmem_tEENKUlT_SE_SF_SG_E_clIS8_S8_S9_S9_EESD_ST_SE_SF_SG_EUlST_E1_NS1_11comp_targetILNS1_3genE8ELNS1_11target_archE1030ELNS1_3gpuE2ELNS1_3repE0EEENS1_36merge_oddeven_config_static_selectorELNS0_4arch9wavefront6targetE1EEEvSF_
    .private_segment_fixed_size: 0
    .sgpr_count:     4
    .sgpr_spill_count: 0
    .symbol:         _ZN7rocprim17ROCPRIM_400000_NS6detail17trampoline_kernelINS0_14default_configENS1_38merge_sort_block_merge_config_selectorIxNS0_10empty_typeEEEZZNS1_27merge_sort_block_merge_implIS3_PxPS5_jNS1_19radix_merge_compareILb0ELb1ExNS0_19identity_decomposerEEEEE10hipError_tT0_T1_T2_jT3_P12ihipStream_tbPNSt15iterator_traitsISE_E10value_typeEPNSK_ISF_E10value_typeEPSG_NS1_7vsmem_tEENKUlT_SE_SF_SG_E_clIS8_S8_S9_S9_EESD_ST_SE_SF_SG_EUlST_E1_NS1_11comp_targetILNS1_3genE8ELNS1_11target_archE1030ELNS1_3gpuE2ELNS1_3repE0EEENS1_36merge_oddeven_config_static_selectorELNS0_4arch9wavefront6targetE1EEEvSF_.kd
    .uniform_work_group_size: 1
    .uses_dynamic_stack: false
    .vgpr_count:     0
    .vgpr_spill_count: 0
    .wavefront_size: 64
  - .agpr_count:     0
    .args:
      - .offset:         0
        .size:           48
        .value_kind:     by_value
    .group_segment_fixed_size: 0
    .kernarg_segment_align: 8
    .kernarg_segment_size: 48
    .language:       OpenCL C
    .language_version:
      - 2
      - 0
    .max_flat_workgroup_size: 512
    .name:           _ZN7rocprim17ROCPRIM_400000_NS6detail17trampoline_kernelINS0_14default_configENS1_35radix_sort_onesweep_config_selectorIxNS0_10empty_typeEEEZNS1_34radix_sort_onesweep_global_offsetsIS3_Lb0EPxPS5_mNS0_19identity_decomposerEEE10hipError_tT1_T2_PT3_SE_jT4_jjP12ihipStream_tbEUlT_E_NS1_11comp_targetILNS1_3genE0ELNS1_11target_archE4294967295ELNS1_3gpuE0ELNS1_3repE0EEENS1_52radix_sort_onesweep_histogram_config_static_selectorELNS0_4arch9wavefront6targetE1EEEvSC_
    .private_segment_fixed_size: 0
    .sgpr_count:     4
    .sgpr_spill_count: 0
    .symbol:         _ZN7rocprim17ROCPRIM_400000_NS6detail17trampoline_kernelINS0_14default_configENS1_35radix_sort_onesweep_config_selectorIxNS0_10empty_typeEEEZNS1_34radix_sort_onesweep_global_offsetsIS3_Lb0EPxPS5_mNS0_19identity_decomposerEEE10hipError_tT1_T2_PT3_SE_jT4_jjP12ihipStream_tbEUlT_E_NS1_11comp_targetILNS1_3genE0ELNS1_11target_archE4294967295ELNS1_3gpuE0ELNS1_3repE0EEENS1_52radix_sort_onesweep_histogram_config_static_selectorELNS0_4arch9wavefront6targetE1EEEvSC_.kd
    .uniform_work_group_size: 1
    .uses_dynamic_stack: false
    .vgpr_count:     0
    .vgpr_spill_count: 0
    .wavefront_size: 64
  - .agpr_count:     0
    .args:
      - .offset:         0
        .size:           48
        .value_kind:     by_value
    .group_segment_fixed_size: 0
    .kernarg_segment_align: 8
    .kernarg_segment_size: 48
    .language:       OpenCL C
    .language_version:
      - 2
      - 0
    .max_flat_workgroup_size: 512
    .name:           _ZN7rocprim17ROCPRIM_400000_NS6detail17trampoline_kernelINS0_14default_configENS1_35radix_sort_onesweep_config_selectorIxNS0_10empty_typeEEEZNS1_34radix_sort_onesweep_global_offsetsIS3_Lb0EPxPS5_mNS0_19identity_decomposerEEE10hipError_tT1_T2_PT3_SE_jT4_jjP12ihipStream_tbEUlT_E_NS1_11comp_targetILNS1_3genE6ELNS1_11target_archE950ELNS1_3gpuE13ELNS1_3repE0EEENS1_52radix_sort_onesweep_histogram_config_static_selectorELNS0_4arch9wavefront6targetE1EEEvSC_
    .private_segment_fixed_size: 0
    .sgpr_count:     4
    .sgpr_spill_count: 0
    .symbol:         _ZN7rocprim17ROCPRIM_400000_NS6detail17trampoline_kernelINS0_14default_configENS1_35radix_sort_onesweep_config_selectorIxNS0_10empty_typeEEEZNS1_34radix_sort_onesweep_global_offsetsIS3_Lb0EPxPS5_mNS0_19identity_decomposerEEE10hipError_tT1_T2_PT3_SE_jT4_jjP12ihipStream_tbEUlT_E_NS1_11comp_targetILNS1_3genE6ELNS1_11target_archE950ELNS1_3gpuE13ELNS1_3repE0EEENS1_52radix_sort_onesweep_histogram_config_static_selectorELNS0_4arch9wavefront6targetE1EEEvSC_.kd
    .uniform_work_group_size: 1
    .uses_dynamic_stack: false
    .vgpr_count:     0
    .vgpr_spill_count: 0
    .wavefront_size: 64
  - .agpr_count:     0
    .args:
      - .offset:         0
        .size:           48
        .value_kind:     by_value
    .group_segment_fixed_size: 0
    .kernarg_segment_align: 8
    .kernarg_segment_size: 48
    .language:       OpenCL C
    .language_version:
      - 2
      - 0
    .max_flat_workgroup_size: 512
    .name:           _ZN7rocprim17ROCPRIM_400000_NS6detail17trampoline_kernelINS0_14default_configENS1_35radix_sort_onesweep_config_selectorIxNS0_10empty_typeEEEZNS1_34radix_sort_onesweep_global_offsetsIS3_Lb0EPxPS5_mNS0_19identity_decomposerEEE10hipError_tT1_T2_PT3_SE_jT4_jjP12ihipStream_tbEUlT_E_NS1_11comp_targetILNS1_3genE5ELNS1_11target_archE942ELNS1_3gpuE9ELNS1_3repE0EEENS1_52radix_sort_onesweep_histogram_config_static_selectorELNS0_4arch9wavefront6targetE1EEEvSC_
    .private_segment_fixed_size: 0
    .sgpr_count:     4
    .sgpr_spill_count: 0
    .symbol:         _ZN7rocprim17ROCPRIM_400000_NS6detail17trampoline_kernelINS0_14default_configENS1_35radix_sort_onesweep_config_selectorIxNS0_10empty_typeEEEZNS1_34radix_sort_onesweep_global_offsetsIS3_Lb0EPxPS5_mNS0_19identity_decomposerEEE10hipError_tT1_T2_PT3_SE_jT4_jjP12ihipStream_tbEUlT_E_NS1_11comp_targetILNS1_3genE5ELNS1_11target_archE942ELNS1_3gpuE9ELNS1_3repE0EEENS1_52radix_sort_onesweep_histogram_config_static_selectorELNS0_4arch9wavefront6targetE1EEEvSC_.kd
    .uniform_work_group_size: 1
    .uses_dynamic_stack: false
    .vgpr_count:     0
    .vgpr_spill_count: 0
    .wavefront_size: 64
  - .agpr_count:     0
    .args:
      - .offset:         0
        .size:           48
        .value_kind:     by_value
    .group_segment_fixed_size: 0
    .kernarg_segment_align: 8
    .kernarg_segment_size: 48
    .language:       OpenCL C
    .language_version:
      - 2
      - 0
    .max_flat_workgroup_size: 512
    .name:           _ZN7rocprim17ROCPRIM_400000_NS6detail17trampoline_kernelINS0_14default_configENS1_35radix_sort_onesweep_config_selectorIxNS0_10empty_typeEEEZNS1_34radix_sort_onesweep_global_offsetsIS3_Lb0EPxPS5_mNS0_19identity_decomposerEEE10hipError_tT1_T2_PT3_SE_jT4_jjP12ihipStream_tbEUlT_E_NS1_11comp_targetILNS1_3genE2ELNS1_11target_archE906ELNS1_3gpuE6ELNS1_3repE0EEENS1_52radix_sort_onesweep_histogram_config_static_selectorELNS0_4arch9wavefront6targetE1EEEvSC_
    .private_segment_fixed_size: 0
    .sgpr_count:     4
    .sgpr_spill_count: 0
    .symbol:         _ZN7rocprim17ROCPRIM_400000_NS6detail17trampoline_kernelINS0_14default_configENS1_35radix_sort_onesweep_config_selectorIxNS0_10empty_typeEEEZNS1_34radix_sort_onesweep_global_offsetsIS3_Lb0EPxPS5_mNS0_19identity_decomposerEEE10hipError_tT1_T2_PT3_SE_jT4_jjP12ihipStream_tbEUlT_E_NS1_11comp_targetILNS1_3genE2ELNS1_11target_archE906ELNS1_3gpuE6ELNS1_3repE0EEENS1_52radix_sort_onesweep_histogram_config_static_selectorELNS0_4arch9wavefront6targetE1EEEvSC_.kd
    .uniform_work_group_size: 1
    .uses_dynamic_stack: false
    .vgpr_count:     0
    .vgpr_spill_count: 0
    .wavefront_size: 64
  - .agpr_count:     0
    .args:
      - .offset:         0
        .size:           48
        .value_kind:     by_value
    .group_segment_fixed_size: 32768
    .kernarg_segment_align: 8
    .kernarg_segment_size: 48
    .language:       OpenCL C
    .language_version:
      - 2
      - 0
    .max_flat_workgroup_size: 1024
    .name:           _ZN7rocprim17ROCPRIM_400000_NS6detail17trampoline_kernelINS0_14default_configENS1_35radix_sort_onesweep_config_selectorIxNS0_10empty_typeEEEZNS1_34radix_sort_onesweep_global_offsetsIS3_Lb0EPxPS5_mNS0_19identity_decomposerEEE10hipError_tT1_T2_PT3_SE_jT4_jjP12ihipStream_tbEUlT_E_NS1_11comp_targetILNS1_3genE4ELNS1_11target_archE910ELNS1_3gpuE8ELNS1_3repE0EEENS1_52radix_sort_onesweep_histogram_config_static_selectorELNS0_4arch9wavefront6targetE1EEEvSC_
    .private_segment_fixed_size: 0
    .sgpr_count:     22
    .sgpr_spill_count: 0
    .symbol:         _ZN7rocprim17ROCPRIM_400000_NS6detail17trampoline_kernelINS0_14default_configENS1_35radix_sort_onesweep_config_selectorIxNS0_10empty_typeEEEZNS1_34radix_sort_onesweep_global_offsetsIS3_Lb0EPxPS5_mNS0_19identity_decomposerEEE10hipError_tT1_T2_PT3_SE_jT4_jjP12ihipStream_tbEUlT_E_NS1_11comp_targetILNS1_3genE4ELNS1_11target_archE910ELNS1_3gpuE8ELNS1_3repE0EEENS1_52radix_sort_onesweep_histogram_config_static_selectorELNS0_4arch9wavefront6targetE1EEEvSC_.kd
    .uniform_work_group_size: 1
    .uses_dynamic_stack: false
    .vgpr_count:     30
    .vgpr_spill_count: 0
    .wavefront_size: 64
  - .agpr_count:     0
    .args:
      - .offset:         0
        .size:           48
        .value_kind:     by_value
    .group_segment_fixed_size: 0
    .kernarg_segment_align: 8
    .kernarg_segment_size: 48
    .language:       OpenCL C
    .language_version:
      - 2
      - 0
    .max_flat_workgroup_size: 512
    .name:           _ZN7rocprim17ROCPRIM_400000_NS6detail17trampoline_kernelINS0_14default_configENS1_35radix_sort_onesweep_config_selectorIxNS0_10empty_typeEEEZNS1_34radix_sort_onesweep_global_offsetsIS3_Lb0EPxPS5_mNS0_19identity_decomposerEEE10hipError_tT1_T2_PT3_SE_jT4_jjP12ihipStream_tbEUlT_E_NS1_11comp_targetILNS1_3genE3ELNS1_11target_archE908ELNS1_3gpuE7ELNS1_3repE0EEENS1_52radix_sort_onesweep_histogram_config_static_selectorELNS0_4arch9wavefront6targetE1EEEvSC_
    .private_segment_fixed_size: 0
    .sgpr_count:     4
    .sgpr_spill_count: 0
    .symbol:         _ZN7rocprim17ROCPRIM_400000_NS6detail17trampoline_kernelINS0_14default_configENS1_35radix_sort_onesweep_config_selectorIxNS0_10empty_typeEEEZNS1_34radix_sort_onesweep_global_offsetsIS3_Lb0EPxPS5_mNS0_19identity_decomposerEEE10hipError_tT1_T2_PT3_SE_jT4_jjP12ihipStream_tbEUlT_E_NS1_11comp_targetILNS1_3genE3ELNS1_11target_archE908ELNS1_3gpuE7ELNS1_3repE0EEENS1_52radix_sort_onesweep_histogram_config_static_selectorELNS0_4arch9wavefront6targetE1EEEvSC_.kd
    .uniform_work_group_size: 1
    .uses_dynamic_stack: false
    .vgpr_count:     0
    .vgpr_spill_count: 0
    .wavefront_size: 64
  - .agpr_count:     0
    .args:
      - .offset:         0
        .size:           48
        .value_kind:     by_value
    .group_segment_fixed_size: 0
    .kernarg_segment_align: 8
    .kernarg_segment_size: 48
    .language:       OpenCL C
    .language_version:
      - 2
      - 0
    .max_flat_workgroup_size: 512
    .name:           _ZN7rocprim17ROCPRIM_400000_NS6detail17trampoline_kernelINS0_14default_configENS1_35radix_sort_onesweep_config_selectorIxNS0_10empty_typeEEEZNS1_34radix_sort_onesweep_global_offsetsIS3_Lb0EPxPS5_mNS0_19identity_decomposerEEE10hipError_tT1_T2_PT3_SE_jT4_jjP12ihipStream_tbEUlT_E_NS1_11comp_targetILNS1_3genE10ELNS1_11target_archE1201ELNS1_3gpuE5ELNS1_3repE0EEENS1_52radix_sort_onesweep_histogram_config_static_selectorELNS0_4arch9wavefront6targetE1EEEvSC_
    .private_segment_fixed_size: 0
    .sgpr_count:     4
    .sgpr_spill_count: 0
    .symbol:         _ZN7rocprim17ROCPRIM_400000_NS6detail17trampoline_kernelINS0_14default_configENS1_35radix_sort_onesweep_config_selectorIxNS0_10empty_typeEEEZNS1_34radix_sort_onesweep_global_offsetsIS3_Lb0EPxPS5_mNS0_19identity_decomposerEEE10hipError_tT1_T2_PT3_SE_jT4_jjP12ihipStream_tbEUlT_E_NS1_11comp_targetILNS1_3genE10ELNS1_11target_archE1201ELNS1_3gpuE5ELNS1_3repE0EEENS1_52radix_sort_onesweep_histogram_config_static_selectorELNS0_4arch9wavefront6targetE1EEEvSC_.kd
    .uniform_work_group_size: 1
    .uses_dynamic_stack: false
    .vgpr_count:     0
    .vgpr_spill_count: 0
    .wavefront_size: 64
  - .agpr_count:     0
    .args:
      - .offset:         0
        .size:           48
        .value_kind:     by_value
    .group_segment_fixed_size: 0
    .kernarg_segment_align: 8
    .kernarg_segment_size: 48
    .language:       OpenCL C
    .language_version:
      - 2
      - 0
    .max_flat_workgroup_size: 1024
    .name:           _ZN7rocprim17ROCPRIM_400000_NS6detail17trampoline_kernelINS0_14default_configENS1_35radix_sort_onesweep_config_selectorIxNS0_10empty_typeEEEZNS1_34radix_sort_onesweep_global_offsetsIS3_Lb0EPxPS5_mNS0_19identity_decomposerEEE10hipError_tT1_T2_PT3_SE_jT4_jjP12ihipStream_tbEUlT_E_NS1_11comp_targetILNS1_3genE9ELNS1_11target_archE1100ELNS1_3gpuE3ELNS1_3repE0EEENS1_52radix_sort_onesweep_histogram_config_static_selectorELNS0_4arch9wavefront6targetE1EEEvSC_
    .private_segment_fixed_size: 0
    .sgpr_count:     4
    .sgpr_spill_count: 0
    .symbol:         _ZN7rocprim17ROCPRIM_400000_NS6detail17trampoline_kernelINS0_14default_configENS1_35radix_sort_onesweep_config_selectorIxNS0_10empty_typeEEEZNS1_34radix_sort_onesweep_global_offsetsIS3_Lb0EPxPS5_mNS0_19identity_decomposerEEE10hipError_tT1_T2_PT3_SE_jT4_jjP12ihipStream_tbEUlT_E_NS1_11comp_targetILNS1_3genE9ELNS1_11target_archE1100ELNS1_3gpuE3ELNS1_3repE0EEENS1_52radix_sort_onesweep_histogram_config_static_selectorELNS0_4arch9wavefront6targetE1EEEvSC_.kd
    .uniform_work_group_size: 1
    .uses_dynamic_stack: false
    .vgpr_count:     0
    .vgpr_spill_count: 0
    .wavefront_size: 64
  - .agpr_count:     0
    .args:
      - .offset:         0
        .size:           48
        .value_kind:     by_value
    .group_segment_fixed_size: 0
    .kernarg_segment_align: 8
    .kernarg_segment_size: 48
    .language:       OpenCL C
    .language_version:
      - 2
      - 0
    .max_flat_workgroup_size: 1024
    .name:           _ZN7rocprim17ROCPRIM_400000_NS6detail17trampoline_kernelINS0_14default_configENS1_35radix_sort_onesweep_config_selectorIxNS0_10empty_typeEEEZNS1_34radix_sort_onesweep_global_offsetsIS3_Lb0EPxPS5_mNS0_19identity_decomposerEEE10hipError_tT1_T2_PT3_SE_jT4_jjP12ihipStream_tbEUlT_E_NS1_11comp_targetILNS1_3genE8ELNS1_11target_archE1030ELNS1_3gpuE2ELNS1_3repE0EEENS1_52radix_sort_onesweep_histogram_config_static_selectorELNS0_4arch9wavefront6targetE1EEEvSC_
    .private_segment_fixed_size: 0
    .sgpr_count:     4
    .sgpr_spill_count: 0
    .symbol:         _ZN7rocprim17ROCPRIM_400000_NS6detail17trampoline_kernelINS0_14default_configENS1_35radix_sort_onesweep_config_selectorIxNS0_10empty_typeEEEZNS1_34radix_sort_onesweep_global_offsetsIS3_Lb0EPxPS5_mNS0_19identity_decomposerEEE10hipError_tT1_T2_PT3_SE_jT4_jjP12ihipStream_tbEUlT_E_NS1_11comp_targetILNS1_3genE8ELNS1_11target_archE1030ELNS1_3gpuE2ELNS1_3repE0EEENS1_52radix_sort_onesweep_histogram_config_static_selectorELNS0_4arch9wavefront6targetE1EEEvSC_.kd
    .uniform_work_group_size: 1
    .uses_dynamic_stack: false
    .vgpr_count:     0
    .vgpr_spill_count: 0
    .wavefront_size: 64
  - .agpr_count:     0
    .args:
      - .address_space:  global
        .offset:         0
        .size:           8
        .value_kind:     global_buffer
    .group_segment_fixed_size: 0
    .kernarg_segment_align: 8
    .kernarg_segment_size: 8
    .language:       OpenCL C
    .language_version:
      - 2
      - 0
    .max_flat_workgroup_size: 512
    .name:           _ZN7rocprim17ROCPRIM_400000_NS6detail17trampoline_kernelINS0_14default_configENS1_35radix_sort_onesweep_config_selectorIxNS0_10empty_typeEEEZNS1_34radix_sort_onesweep_global_offsetsIS3_Lb0EPxPS5_mNS0_19identity_decomposerEEE10hipError_tT1_T2_PT3_SE_jT4_jjP12ihipStream_tbEUlT_E0_NS1_11comp_targetILNS1_3genE0ELNS1_11target_archE4294967295ELNS1_3gpuE0ELNS1_3repE0EEENS1_52radix_sort_onesweep_histogram_config_static_selectorELNS0_4arch9wavefront6targetE1EEEvSC_
    .private_segment_fixed_size: 0
    .sgpr_count:     4
    .sgpr_spill_count: 0
    .symbol:         _ZN7rocprim17ROCPRIM_400000_NS6detail17trampoline_kernelINS0_14default_configENS1_35radix_sort_onesweep_config_selectorIxNS0_10empty_typeEEEZNS1_34radix_sort_onesweep_global_offsetsIS3_Lb0EPxPS5_mNS0_19identity_decomposerEEE10hipError_tT1_T2_PT3_SE_jT4_jjP12ihipStream_tbEUlT_E0_NS1_11comp_targetILNS1_3genE0ELNS1_11target_archE4294967295ELNS1_3gpuE0ELNS1_3repE0EEENS1_52radix_sort_onesweep_histogram_config_static_selectorELNS0_4arch9wavefront6targetE1EEEvSC_.kd
    .uniform_work_group_size: 1
    .uses_dynamic_stack: false
    .vgpr_count:     0
    .vgpr_spill_count: 0
    .wavefront_size: 64
  - .agpr_count:     0
    .args:
      - .address_space:  global
        .offset:         0
        .size:           8
        .value_kind:     global_buffer
    .group_segment_fixed_size: 0
    .kernarg_segment_align: 8
    .kernarg_segment_size: 8
    .language:       OpenCL C
    .language_version:
      - 2
      - 0
    .max_flat_workgroup_size: 512
    .name:           _ZN7rocprim17ROCPRIM_400000_NS6detail17trampoline_kernelINS0_14default_configENS1_35radix_sort_onesweep_config_selectorIxNS0_10empty_typeEEEZNS1_34radix_sort_onesweep_global_offsetsIS3_Lb0EPxPS5_mNS0_19identity_decomposerEEE10hipError_tT1_T2_PT3_SE_jT4_jjP12ihipStream_tbEUlT_E0_NS1_11comp_targetILNS1_3genE6ELNS1_11target_archE950ELNS1_3gpuE13ELNS1_3repE0EEENS1_52radix_sort_onesweep_histogram_config_static_selectorELNS0_4arch9wavefront6targetE1EEEvSC_
    .private_segment_fixed_size: 0
    .sgpr_count:     4
    .sgpr_spill_count: 0
    .symbol:         _ZN7rocprim17ROCPRIM_400000_NS6detail17trampoline_kernelINS0_14default_configENS1_35radix_sort_onesweep_config_selectorIxNS0_10empty_typeEEEZNS1_34radix_sort_onesweep_global_offsetsIS3_Lb0EPxPS5_mNS0_19identity_decomposerEEE10hipError_tT1_T2_PT3_SE_jT4_jjP12ihipStream_tbEUlT_E0_NS1_11comp_targetILNS1_3genE6ELNS1_11target_archE950ELNS1_3gpuE13ELNS1_3repE0EEENS1_52radix_sort_onesweep_histogram_config_static_selectorELNS0_4arch9wavefront6targetE1EEEvSC_.kd
    .uniform_work_group_size: 1
    .uses_dynamic_stack: false
    .vgpr_count:     0
    .vgpr_spill_count: 0
    .wavefront_size: 64
  - .agpr_count:     0
    .args:
      - .address_space:  global
        .offset:         0
        .size:           8
        .value_kind:     global_buffer
    .group_segment_fixed_size: 0
    .kernarg_segment_align: 8
    .kernarg_segment_size: 8
    .language:       OpenCL C
    .language_version:
      - 2
      - 0
    .max_flat_workgroup_size: 512
    .name:           _ZN7rocprim17ROCPRIM_400000_NS6detail17trampoline_kernelINS0_14default_configENS1_35radix_sort_onesweep_config_selectorIxNS0_10empty_typeEEEZNS1_34radix_sort_onesweep_global_offsetsIS3_Lb0EPxPS5_mNS0_19identity_decomposerEEE10hipError_tT1_T2_PT3_SE_jT4_jjP12ihipStream_tbEUlT_E0_NS1_11comp_targetILNS1_3genE5ELNS1_11target_archE942ELNS1_3gpuE9ELNS1_3repE0EEENS1_52radix_sort_onesweep_histogram_config_static_selectorELNS0_4arch9wavefront6targetE1EEEvSC_
    .private_segment_fixed_size: 0
    .sgpr_count:     4
    .sgpr_spill_count: 0
    .symbol:         _ZN7rocprim17ROCPRIM_400000_NS6detail17trampoline_kernelINS0_14default_configENS1_35radix_sort_onesweep_config_selectorIxNS0_10empty_typeEEEZNS1_34radix_sort_onesweep_global_offsetsIS3_Lb0EPxPS5_mNS0_19identity_decomposerEEE10hipError_tT1_T2_PT3_SE_jT4_jjP12ihipStream_tbEUlT_E0_NS1_11comp_targetILNS1_3genE5ELNS1_11target_archE942ELNS1_3gpuE9ELNS1_3repE0EEENS1_52radix_sort_onesweep_histogram_config_static_selectorELNS0_4arch9wavefront6targetE1EEEvSC_.kd
    .uniform_work_group_size: 1
    .uses_dynamic_stack: false
    .vgpr_count:     0
    .vgpr_spill_count: 0
    .wavefront_size: 64
  - .agpr_count:     0
    .args:
      - .address_space:  global
        .offset:         0
        .size:           8
        .value_kind:     global_buffer
    .group_segment_fixed_size: 0
    .kernarg_segment_align: 8
    .kernarg_segment_size: 8
    .language:       OpenCL C
    .language_version:
      - 2
      - 0
    .max_flat_workgroup_size: 512
    .name:           _ZN7rocprim17ROCPRIM_400000_NS6detail17trampoline_kernelINS0_14default_configENS1_35radix_sort_onesweep_config_selectorIxNS0_10empty_typeEEEZNS1_34radix_sort_onesweep_global_offsetsIS3_Lb0EPxPS5_mNS0_19identity_decomposerEEE10hipError_tT1_T2_PT3_SE_jT4_jjP12ihipStream_tbEUlT_E0_NS1_11comp_targetILNS1_3genE2ELNS1_11target_archE906ELNS1_3gpuE6ELNS1_3repE0EEENS1_52radix_sort_onesweep_histogram_config_static_selectorELNS0_4arch9wavefront6targetE1EEEvSC_
    .private_segment_fixed_size: 0
    .sgpr_count:     4
    .sgpr_spill_count: 0
    .symbol:         _ZN7rocprim17ROCPRIM_400000_NS6detail17trampoline_kernelINS0_14default_configENS1_35radix_sort_onesweep_config_selectorIxNS0_10empty_typeEEEZNS1_34radix_sort_onesweep_global_offsetsIS3_Lb0EPxPS5_mNS0_19identity_decomposerEEE10hipError_tT1_T2_PT3_SE_jT4_jjP12ihipStream_tbEUlT_E0_NS1_11comp_targetILNS1_3genE2ELNS1_11target_archE906ELNS1_3gpuE6ELNS1_3repE0EEENS1_52radix_sort_onesweep_histogram_config_static_selectorELNS0_4arch9wavefront6targetE1EEEvSC_.kd
    .uniform_work_group_size: 1
    .uses_dynamic_stack: false
    .vgpr_count:     0
    .vgpr_spill_count: 0
    .wavefront_size: 64
  - .agpr_count:     0
    .args:
      - .address_space:  global
        .offset:         0
        .size:           8
        .value_kind:     global_buffer
    .group_segment_fixed_size: 128
    .kernarg_segment_align: 8
    .kernarg_segment_size: 8
    .language:       OpenCL C
    .language_version:
      - 2
      - 0
    .max_flat_workgroup_size: 1024
    .name:           _ZN7rocprim17ROCPRIM_400000_NS6detail17trampoline_kernelINS0_14default_configENS1_35radix_sort_onesweep_config_selectorIxNS0_10empty_typeEEEZNS1_34radix_sort_onesweep_global_offsetsIS3_Lb0EPxPS5_mNS0_19identity_decomposerEEE10hipError_tT1_T2_PT3_SE_jT4_jjP12ihipStream_tbEUlT_E0_NS1_11comp_targetILNS1_3genE4ELNS1_11target_archE910ELNS1_3gpuE8ELNS1_3repE0EEENS1_52radix_sort_onesweep_histogram_config_static_selectorELNS0_4arch9wavefront6targetE1EEEvSC_
    .private_segment_fixed_size: 0
    .sgpr_count:     22
    .sgpr_spill_count: 0
    .symbol:         _ZN7rocprim17ROCPRIM_400000_NS6detail17trampoline_kernelINS0_14default_configENS1_35radix_sort_onesweep_config_selectorIxNS0_10empty_typeEEEZNS1_34radix_sort_onesweep_global_offsetsIS3_Lb0EPxPS5_mNS0_19identity_decomposerEEE10hipError_tT1_T2_PT3_SE_jT4_jjP12ihipStream_tbEUlT_E0_NS1_11comp_targetILNS1_3genE4ELNS1_11target_archE910ELNS1_3gpuE8ELNS1_3repE0EEENS1_52radix_sort_onesweep_histogram_config_static_selectorELNS0_4arch9wavefront6targetE1EEEvSC_.kd
    .uniform_work_group_size: 1
    .uses_dynamic_stack: false
    .vgpr_count:     13
    .vgpr_spill_count: 0
    .wavefront_size: 64
  - .agpr_count:     0
    .args:
      - .address_space:  global
        .offset:         0
        .size:           8
        .value_kind:     global_buffer
    .group_segment_fixed_size: 0
    .kernarg_segment_align: 8
    .kernarg_segment_size: 8
    .language:       OpenCL C
    .language_version:
      - 2
      - 0
    .max_flat_workgroup_size: 512
    .name:           _ZN7rocprim17ROCPRIM_400000_NS6detail17trampoline_kernelINS0_14default_configENS1_35radix_sort_onesweep_config_selectorIxNS0_10empty_typeEEEZNS1_34radix_sort_onesweep_global_offsetsIS3_Lb0EPxPS5_mNS0_19identity_decomposerEEE10hipError_tT1_T2_PT3_SE_jT4_jjP12ihipStream_tbEUlT_E0_NS1_11comp_targetILNS1_3genE3ELNS1_11target_archE908ELNS1_3gpuE7ELNS1_3repE0EEENS1_52radix_sort_onesweep_histogram_config_static_selectorELNS0_4arch9wavefront6targetE1EEEvSC_
    .private_segment_fixed_size: 0
    .sgpr_count:     4
    .sgpr_spill_count: 0
    .symbol:         _ZN7rocprim17ROCPRIM_400000_NS6detail17trampoline_kernelINS0_14default_configENS1_35radix_sort_onesweep_config_selectorIxNS0_10empty_typeEEEZNS1_34radix_sort_onesweep_global_offsetsIS3_Lb0EPxPS5_mNS0_19identity_decomposerEEE10hipError_tT1_T2_PT3_SE_jT4_jjP12ihipStream_tbEUlT_E0_NS1_11comp_targetILNS1_3genE3ELNS1_11target_archE908ELNS1_3gpuE7ELNS1_3repE0EEENS1_52radix_sort_onesweep_histogram_config_static_selectorELNS0_4arch9wavefront6targetE1EEEvSC_.kd
    .uniform_work_group_size: 1
    .uses_dynamic_stack: false
    .vgpr_count:     0
    .vgpr_spill_count: 0
    .wavefront_size: 64
  - .agpr_count:     0
    .args:
      - .address_space:  global
        .offset:         0
        .size:           8
        .value_kind:     global_buffer
    .group_segment_fixed_size: 0
    .kernarg_segment_align: 8
    .kernarg_segment_size: 8
    .language:       OpenCL C
    .language_version:
      - 2
      - 0
    .max_flat_workgroup_size: 512
    .name:           _ZN7rocprim17ROCPRIM_400000_NS6detail17trampoline_kernelINS0_14default_configENS1_35radix_sort_onesweep_config_selectorIxNS0_10empty_typeEEEZNS1_34radix_sort_onesweep_global_offsetsIS3_Lb0EPxPS5_mNS0_19identity_decomposerEEE10hipError_tT1_T2_PT3_SE_jT4_jjP12ihipStream_tbEUlT_E0_NS1_11comp_targetILNS1_3genE10ELNS1_11target_archE1201ELNS1_3gpuE5ELNS1_3repE0EEENS1_52radix_sort_onesweep_histogram_config_static_selectorELNS0_4arch9wavefront6targetE1EEEvSC_
    .private_segment_fixed_size: 0
    .sgpr_count:     4
    .sgpr_spill_count: 0
    .symbol:         _ZN7rocprim17ROCPRIM_400000_NS6detail17trampoline_kernelINS0_14default_configENS1_35radix_sort_onesweep_config_selectorIxNS0_10empty_typeEEEZNS1_34radix_sort_onesweep_global_offsetsIS3_Lb0EPxPS5_mNS0_19identity_decomposerEEE10hipError_tT1_T2_PT3_SE_jT4_jjP12ihipStream_tbEUlT_E0_NS1_11comp_targetILNS1_3genE10ELNS1_11target_archE1201ELNS1_3gpuE5ELNS1_3repE0EEENS1_52radix_sort_onesweep_histogram_config_static_selectorELNS0_4arch9wavefront6targetE1EEEvSC_.kd
    .uniform_work_group_size: 1
    .uses_dynamic_stack: false
    .vgpr_count:     0
    .vgpr_spill_count: 0
    .wavefront_size: 64
  - .agpr_count:     0
    .args:
      - .address_space:  global
        .offset:         0
        .size:           8
        .value_kind:     global_buffer
    .group_segment_fixed_size: 0
    .kernarg_segment_align: 8
    .kernarg_segment_size: 8
    .language:       OpenCL C
    .language_version:
      - 2
      - 0
    .max_flat_workgroup_size: 1024
    .name:           _ZN7rocprim17ROCPRIM_400000_NS6detail17trampoline_kernelINS0_14default_configENS1_35radix_sort_onesweep_config_selectorIxNS0_10empty_typeEEEZNS1_34radix_sort_onesweep_global_offsetsIS3_Lb0EPxPS5_mNS0_19identity_decomposerEEE10hipError_tT1_T2_PT3_SE_jT4_jjP12ihipStream_tbEUlT_E0_NS1_11comp_targetILNS1_3genE9ELNS1_11target_archE1100ELNS1_3gpuE3ELNS1_3repE0EEENS1_52radix_sort_onesweep_histogram_config_static_selectorELNS0_4arch9wavefront6targetE1EEEvSC_
    .private_segment_fixed_size: 0
    .sgpr_count:     4
    .sgpr_spill_count: 0
    .symbol:         _ZN7rocprim17ROCPRIM_400000_NS6detail17trampoline_kernelINS0_14default_configENS1_35radix_sort_onesweep_config_selectorIxNS0_10empty_typeEEEZNS1_34radix_sort_onesweep_global_offsetsIS3_Lb0EPxPS5_mNS0_19identity_decomposerEEE10hipError_tT1_T2_PT3_SE_jT4_jjP12ihipStream_tbEUlT_E0_NS1_11comp_targetILNS1_3genE9ELNS1_11target_archE1100ELNS1_3gpuE3ELNS1_3repE0EEENS1_52radix_sort_onesweep_histogram_config_static_selectorELNS0_4arch9wavefront6targetE1EEEvSC_.kd
    .uniform_work_group_size: 1
    .uses_dynamic_stack: false
    .vgpr_count:     0
    .vgpr_spill_count: 0
    .wavefront_size: 64
  - .agpr_count:     0
    .args:
      - .address_space:  global
        .offset:         0
        .size:           8
        .value_kind:     global_buffer
    .group_segment_fixed_size: 0
    .kernarg_segment_align: 8
    .kernarg_segment_size: 8
    .language:       OpenCL C
    .language_version:
      - 2
      - 0
    .max_flat_workgroup_size: 1024
    .name:           _ZN7rocprim17ROCPRIM_400000_NS6detail17trampoline_kernelINS0_14default_configENS1_35radix_sort_onesweep_config_selectorIxNS0_10empty_typeEEEZNS1_34radix_sort_onesweep_global_offsetsIS3_Lb0EPxPS5_mNS0_19identity_decomposerEEE10hipError_tT1_T2_PT3_SE_jT4_jjP12ihipStream_tbEUlT_E0_NS1_11comp_targetILNS1_3genE8ELNS1_11target_archE1030ELNS1_3gpuE2ELNS1_3repE0EEENS1_52radix_sort_onesweep_histogram_config_static_selectorELNS0_4arch9wavefront6targetE1EEEvSC_
    .private_segment_fixed_size: 0
    .sgpr_count:     4
    .sgpr_spill_count: 0
    .symbol:         _ZN7rocprim17ROCPRIM_400000_NS6detail17trampoline_kernelINS0_14default_configENS1_35radix_sort_onesweep_config_selectorIxNS0_10empty_typeEEEZNS1_34radix_sort_onesweep_global_offsetsIS3_Lb0EPxPS5_mNS0_19identity_decomposerEEE10hipError_tT1_T2_PT3_SE_jT4_jjP12ihipStream_tbEUlT_E0_NS1_11comp_targetILNS1_3genE8ELNS1_11target_archE1030ELNS1_3gpuE2ELNS1_3repE0EEENS1_52radix_sort_onesweep_histogram_config_static_selectorELNS0_4arch9wavefront6targetE1EEEvSC_.kd
    .uniform_work_group_size: 1
    .uses_dynamic_stack: false
    .vgpr_count:     0
    .vgpr_spill_count: 0
    .wavefront_size: 64
  - .agpr_count:     0
    .args:
      - .offset:         0
        .size:           88
        .value_kind:     by_value
    .group_segment_fixed_size: 0
    .kernarg_segment_align: 8
    .kernarg_segment_size: 88
    .language:       OpenCL C
    .language_version:
      - 2
      - 0
    .max_flat_workgroup_size: 512
    .name:           _ZN7rocprim17ROCPRIM_400000_NS6detail17trampoline_kernelINS0_14default_configENS1_35radix_sort_onesweep_config_selectorIxNS0_10empty_typeEEEZZNS1_29radix_sort_onesweep_iterationIS3_Lb0EPxS8_PS5_S9_mNS0_19identity_decomposerENS1_16block_id_wrapperIjLb1EEEEE10hipError_tT1_PNSt15iterator_traitsISE_E10value_typeET2_T3_PNSF_ISK_E10value_typeET4_T5_PSP_SQ_PNS1_23onesweep_lookback_stateEbbT6_jjT7_P12ihipStream_tbENKUlT_T0_SE_SJ_E_clIS8_S8_S9_S9_EEDaSX_SY_SE_SJ_EUlSX_E_NS1_11comp_targetILNS1_3genE0ELNS1_11target_archE4294967295ELNS1_3gpuE0ELNS1_3repE0EEENS1_47radix_sort_onesweep_sort_config_static_selectorELNS0_4arch9wavefront6targetE1EEEvSE_
    .private_segment_fixed_size: 0
    .sgpr_count:     4
    .sgpr_spill_count: 0
    .symbol:         _ZN7rocprim17ROCPRIM_400000_NS6detail17trampoline_kernelINS0_14default_configENS1_35radix_sort_onesweep_config_selectorIxNS0_10empty_typeEEEZZNS1_29radix_sort_onesweep_iterationIS3_Lb0EPxS8_PS5_S9_mNS0_19identity_decomposerENS1_16block_id_wrapperIjLb1EEEEE10hipError_tT1_PNSt15iterator_traitsISE_E10value_typeET2_T3_PNSF_ISK_E10value_typeET4_T5_PSP_SQ_PNS1_23onesweep_lookback_stateEbbT6_jjT7_P12ihipStream_tbENKUlT_T0_SE_SJ_E_clIS8_S8_S9_S9_EEDaSX_SY_SE_SJ_EUlSX_E_NS1_11comp_targetILNS1_3genE0ELNS1_11target_archE4294967295ELNS1_3gpuE0ELNS1_3repE0EEENS1_47radix_sort_onesweep_sort_config_static_selectorELNS0_4arch9wavefront6targetE1EEEvSE_.kd
    .uniform_work_group_size: 1
    .uses_dynamic_stack: false
    .vgpr_count:     0
    .vgpr_spill_count: 0
    .wavefront_size: 64
  - .agpr_count:     0
    .args:
      - .offset:         0
        .size:           88
        .value_kind:     by_value
    .group_segment_fixed_size: 0
    .kernarg_segment_align: 8
    .kernarg_segment_size: 88
    .language:       OpenCL C
    .language_version:
      - 2
      - 0
    .max_flat_workgroup_size: 512
    .name:           _ZN7rocprim17ROCPRIM_400000_NS6detail17trampoline_kernelINS0_14default_configENS1_35radix_sort_onesweep_config_selectorIxNS0_10empty_typeEEEZZNS1_29radix_sort_onesweep_iterationIS3_Lb0EPxS8_PS5_S9_mNS0_19identity_decomposerENS1_16block_id_wrapperIjLb1EEEEE10hipError_tT1_PNSt15iterator_traitsISE_E10value_typeET2_T3_PNSF_ISK_E10value_typeET4_T5_PSP_SQ_PNS1_23onesweep_lookback_stateEbbT6_jjT7_P12ihipStream_tbENKUlT_T0_SE_SJ_E_clIS8_S8_S9_S9_EEDaSX_SY_SE_SJ_EUlSX_E_NS1_11comp_targetILNS1_3genE6ELNS1_11target_archE950ELNS1_3gpuE13ELNS1_3repE0EEENS1_47radix_sort_onesweep_sort_config_static_selectorELNS0_4arch9wavefront6targetE1EEEvSE_
    .private_segment_fixed_size: 0
    .sgpr_count:     4
    .sgpr_spill_count: 0
    .symbol:         _ZN7rocprim17ROCPRIM_400000_NS6detail17trampoline_kernelINS0_14default_configENS1_35radix_sort_onesweep_config_selectorIxNS0_10empty_typeEEEZZNS1_29radix_sort_onesweep_iterationIS3_Lb0EPxS8_PS5_S9_mNS0_19identity_decomposerENS1_16block_id_wrapperIjLb1EEEEE10hipError_tT1_PNSt15iterator_traitsISE_E10value_typeET2_T3_PNSF_ISK_E10value_typeET4_T5_PSP_SQ_PNS1_23onesweep_lookback_stateEbbT6_jjT7_P12ihipStream_tbENKUlT_T0_SE_SJ_E_clIS8_S8_S9_S9_EEDaSX_SY_SE_SJ_EUlSX_E_NS1_11comp_targetILNS1_3genE6ELNS1_11target_archE950ELNS1_3gpuE13ELNS1_3repE0EEENS1_47radix_sort_onesweep_sort_config_static_selectorELNS0_4arch9wavefront6targetE1EEEvSE_.kd
    .uniform_work_group_size: 1
    .uses_dynamic_stack: false
    .vgpr_count:     0
    .vgpr_spill_count: 0
    .wavefront_size: 64
  - .agpr_count:     0
    .args:
      - .offset:         0
        .size:           88
        .value_kind:     by_value
    .group_segment_fixed_size: 0
    .kernarg_segment_align: 8
    .kernarg_segment_size: 88
    .language:       OpenCL C
    .language_version:
      - 2
      - 0
    .max_flat_workgroup_size: 512
    .name:           _ZN7rocprim17ROCPRIM_400000_NS6detail17trampoline_kernelINS0_14default_configENS1_35radix_sort_onesweep_config_selectorIxNS0_10empty_typeEEEZZNS1_29radix_sort_onesweep_iterationIS3_Lb0EPxS8_PS5_S9_mNS0_19identity_decomposerENS1_16block_id_wrapperIjLb1EEEEE10hipError_tT1_PNSt15iterator_traitsISE_E10value_typeET2_T3_PNSF_ISK_E10value_typeET4_T5_PSP_SQ_PNS1_23onesweep_lookback_stateEbbT6_jjT7_P12ihipStream_tbENKUlT_T0_SE_SJ_E_clIS8_S8_S9_S9_EEDaSX_SY_SE_SJ_EUlSX_E_NS1_11comp_targetILNS1_3genE5ELNS1_11target_archE942ELNS1_3gpuE9ELNS1_3repE0EEENS1_47radix_sort_onesweep_sort_config_static_selectorELNS0_4arch9wavefront6targetE1EEEvSE_
    .private_segment_fixed_size: 0
    .sgpr_count:     4
    .sgpr_spill_count: 0
    .symbol:         _ZN7rocprim17ROCPRIM_400000_NS6detail17trampoline_kernelINS0_14default_configENS1_35radix_sort_onesweep_config_selectorIxNS0_10empty_typeEEEZZNS1_29radix_sort_onesweep_iterationIS3_Lb0EPxS8_PS5_S9_mNS0_19identity_decomposerENS1_16block_id_wrapperIjLb1EEEEE10hipError_tT1_PNSt15iterator_traitsISE_E10value_typeET2_T3_PNSF_ISK_E10value_typeET4_T5_PSP_SQ_PNS1_23onesweep_lookback_stateEbbT6_jjT7_P12ihipStream_tbENKUlT_T0_SE_SJ_E_clIS8_S8_S9_S9_EEDaSX_SY_SE_SJ_EUlSX_E_NS1_11comp_targetILNS1_3genE5ELNS1_11target_archE942ELNS1_3gpuE9ELNS1_3repE0EEENS1_47radix_sort_onesweep_sort_config_static_selectorELNS0_4arch9wavefront6targetE1EEEvSE_.kd
    .uniform_work_group_size: 1
    .uses_dynamic_stack: false
    .vgpr_count:     0
    .vgpr_spill_count: 0
    .wavefront_size: 64
  - .agpr_count:     0
    .args:
      - .offset:         0
        .size:           88
        .value_kind:     by_value
    .group_segment_fixed_size: 0
    .kernarg_segment_align: 8
    .kernarg_segment_size: 88
    .language:       OpenCL C
    .language_version:
      - 2
      - 0
    .max_flat_workgroup_size: 512
    .name:           _ZN7rocprim17ROCPRIM_400000_NS6detail17trampoline_kernelINS0_14default_configENS1_35radix_sort_onesweep_config_selectorIxNS0_10empty_typeEEEZZNS1_29radix_sort_onesweep_iterationIS3_Lb0EPxS8_PS5_S9_mNS0_19identity_decomposerENS1_16block_id_wrapperIjLb1EEEEE10hipError_tT1_PNSt15iterator_traitsISE_E10value_typeET2_T3_PNSF_ISK_E10value_typeET4_T5_PSP_SQ_PNS1_23onesweep_lookback_stateEbbT6_jjT7_P12ihipStream_tbENKUlT_T0_SE_SJ_E_clIS8_S8_S9_S9_EEDaSX_SY_SE_SJ_EUlSX_E_NS1_11comp_targetILNS1_3genE2ELNS1_11target_archE906ELNS1_3gpuE6ELNS1_3repE0EEENS1_47radix_sort_onesweep_sort_config_static_selectorELNS0_4arch9wavefront6targetE1EEEvSE_
    .private_segment_fixed_size: 0
    .sgpr_count:     4
    .sgpr_spill_count: 0
    .symbol:         _ZN7rocprim17ROCPRIM_400000_NS6detail17trampoline_kernelINS0_14default_configENS1_35radix_sort_onesweep_config_selectorIxNS0_10empty_typeEEEZZNS1_29radix_sort_onesweep_iterationIS3_Lb0EPxS8_PS5_S9_mNS0_19identity_decomposerENS1_16block_id_wrapperIjLb1EEEEE10hipError_tT1_PNSt15iterator_traitsISE_E10value_typeET2_T3_PNSF_ISK_E10value_typeET4_T5_PSP_SQ_PNS1_23onesweep_lookback_stateEbbT6_jjT7_P12ihipStream_tbENKUlT_T0_SE_SJ_E_clIS8_S8_S9_S9_EEDaSX_SY_SE_SJ_EUlSX_E_NS1_11comp_targetILNS1_3genE2ELNS1_11target_archE906ELNS1_3gpuE6ELNS1_3repE0EEENS1_47radix_sort_onesweep_sort_config_static_selectorELNS0_4arch9wavefront6targetE1EEEvSE_.kd
    .uniform_work_group_size: 1
    .uses_dynamic_stack: false
    .vgpr_count:     0
    .vgpr_spill_count: 0
    .wavefront_size: 64
  - .agpr_count:     0
    .args:
      - .offset:         0
        .size:           88
        .value_kind:     by_value
      - .offset:         88
        .size:           4
        .value_kind:     hidden_block_count_x
      - .offset:         92
        .size:           4
        .value_kind:     hidden_block_count_y
      - .offset:         96
        .size:           4
        .value_kind:     hidden_block_count_z
      - .offset:         100
        .size:           2
        .value_kind:     hidden_group_size_x
      - .offset:         102
        .size:           2
        .value_kind:     hidden_group_size_y
      - .offset:         104
        .size:           2
        .value_kind:     hidden_group_size_z
      - .offset:         106
        .size:           2
        .value_kind:     hidden_remainder_x
      - .offset:         108
        .size:           2
        .value_kind:     hidden_remainder_y
      - .offset:         110
        .size:           2
        .value_kind:     hidden_remainder_z
      - .offset:         128
        .size:           8
        .value_kind:     hidden_global_offset_x
      - .offset:         136
        .size:           8
        .value_kind:     hidden_global_offset_y
      - .offset:         144
        .size:           8
        .value_kind:     hidden_global_offset_z
      - .offset:         152
        .size:           2
        .value_kind:     hidden_grid_dims
    .group_segment_fixed_size: 20552
    .kernarg_segment_align: 8
    .kernarg_segment_size: 344
    .language:       OpenCL C
    .language_version:
      - 2
      - 0
    .max_flat_workgroup_size: 1024
    .name:           _ZN7rocprim17ROCPRIM_400000_NS6detail17trampoline_kernelINS0_14default_configENS1_35radix_sort_onesweep_config_selectorIxNS0_10empty_typeEEEZZNS1_29radix_sort_onesweep_iterationIS3_Lb0EPxS8_PS5_S9_mNS0_19identity_decomposerENS1_16block_id_wrapperIjLb1EEEEE10hipError_tT1_PNSt15iterator_traitsISE_E10value_typeET2_T3_PNSF_ISK_E10value_typeET4_T5_PSP_SQ_PNS1_23onesweep_lookback_stateEbbT6_jjT7_P12ihipStream_tbENKUlT_T0_SE_SJ_E_clIS8_S8_S9_S9_EEDaSX_SY_SE_SJ_EUlSX_E_NS1_11comp_targetILNS1_3genE4ELNS1_11target_archE910ELNS1_3gpuE8ELNS1_3repE0EEENS1_47radix_sort_onesweep_sort_config_static_selectorELNS0_4arch9wavefront6targetE1EEEvSE_
    .private_segment_fixed_size: 0
    .sgpr_count:     38
    .sgpr_spill_count: 0
    .symbol:         _ZN7rocprim17ROCPRIM_400000_NS6detail17trampoline_kernelINS0_14default_configENS1_35radix_sort_onesweep_config_selectorIxNS0_10empty_typeEEEZZNS1_29radix_sort_onesweep_iterationIS3_Lb0EPxS8_PS5_S9_mNS0_19identity_decomposerENS1_16block_id_wrapperIjLb1EEEEE10hipError_tT1_PNSt15iterator_traitsISE_E10value_typeET2_T3_PNSF_ISK_E10value_typeET4_T5_PSP_SQ_PNS1_23onesweep_lookback_stateEbbT6_jjT7_P12ihipStream_tbENKUlT_T0_SE_SJ_E_clIS8_S8_S9_S9_EEDaSX_SY_SE_SJ_EUlSX_E_NS1_11comp_targetILNS1_3genE4ELNS1_11target_archE910ELNS1_3gpuE8ELNS1_3repE0EEENS1_47radix_sort_onesweep_sort_config_static_selectorELNS0_4arch9wavefront6targetE1EEEvSE_.kd
    .uniform_work_group_size: 1
    .uses_dynamic_stack: false
    .vgpr_count:     55
    .vgpr_spill_count: 0
    .wavefront_size: 64
  - .agpr_count:     0
    .args:
      - .offset:         0
        .size:           88
        .value_kind:     by_value
    .group_segment_fixed_size: 0
    .kernarg_segment_align: 8
    .kernarg_segment_size: 88
    .language:       OpenCL C
    .language_version:
      - 2
      - 0
    .max_flat_workgroup_size: 512
    .name:           _ZN7rocprim17ROCPRIM_400000_NS6detail17trampoline_kernelINS0_14default_configENS1_35radix_sort_onesweep_config_selectorIxNS0_10empty_typeEEEZZNS1_29radix_sort_onesweep_iterationIS3_Lb0EPxS8_PS5_S9_mNS0_19identity_decomposerENS1_16block_id_wrapperIjLb1EEEEE10hipError_tT1_PNSt15iterator_traitsISE_E10value_typeET2_T3_PNSF_ISK_E10value_typeET4_T5_PSP_SQ_PNS1_23onesweep_lookback_stateEbbT6_jjT7_P12ihipStream_tbENKUlT_T0_SE_SJ_E_clIS8_S8_S9_S9_EEDaSX_SY_SE_SJ_EUlSX_E_NS1_11comp_targetILNS1_3genE3ELNS1_11target_archE908ELNS1_3gpuE7ELNS1_3repE0EEENS1_47radix_sort_onesweep_sort_config_static_selectorELNS0_4arch9wavefront6targetE1EEEvSE_
    .private_segment_fixed_size: 0
    .sgpr_count:     4
    .sgpr_spill_count: 0
    .symbol:         _ZN7rocprim17ROCPRIM_400000_NS6detail17trampoline_kernelINS0_14default_configENS1_35radix_sort_onesweep_config_selectorIxNS0_10empty_typeEEEZZNS1_29radix_sort_onesweep_iterationIS3_Lb0EPxS8_PS5_S9_mNS0_19identity_decomposerENS1_16block_id_wrapperIjLb1EEEEE10hipError_tT1_PNSt15iterator_traitsISE_E10value_typeET2_T3_PNSF_ISK_E10value_typeET4_T5_PSP_SQ_PNS1_23onesweep_lookback_stateEbbT6_jjT7_P12ihipStream_tbENKUlT_T0_SE_SJ_E_clIS8_S8_S9_S9_EEDaSX_SY_SE_SJ_EUlSX_E_NS1_11comp_targetILNS1_3genE3ELNS1_11target_archE908ELNS1_3gpuE7ELNS1_3repE0EEENS1_47radix_sort_onesweep_sort_config_static_selectorELNS0_4arch9wavefront6targetE1EEEvSE_.kd
    .uniform_work_group_size: 1
    .uses_dynamic_stack: false
    .vgpr_count:     0
    .vgpr_spill_count: 0
    .wavefront_size: 64
  - .agpr_count:     0
    .args:
      - .offset:         0
        .size:           88
        .value_kind:     by_value
    .group_segment_fixed_size: 0
    .kernarg_segment_align: 8
    .kernarg_segment_size: 88
    .language:       OpenCL C
    .language_version:
      - 2
      - 0
    .max_flat_workgroup_size: 512
    .name:           _ZN7rocprim17ROCPRIM_400000_NS6detail17trampoline_kernelINS0_14default_configENS1_35radix_sort_onesweep_config_selectorIxNS0_10empty_typeEEEZZNS1_29radix_sort_onesweep_iterationIS3_Lb0EPxS8_PS5_S9_mNS0_19identity_decomposerENS1_16block_id_wrapperIjLb1EEEEE10hipError_tT1_PNSt15iterator_traitsISE_E10value_typeET2_T3_PNSF_ISK_E10value_typeET4_T5_PSP_SQ_PNS1_23onesweep_lookback_stateEbbT6_jjT7_P12ihipStream_tbENKUlT_T0_SE_SJ_E_clIS8_S8_S9_S9_EEDaSX_SY_SE_SJ_EUlSX_E_NS1_11comp_targetILNS1_3genE10ELNS1_11target_archE1201ELNS1_3gpuE5ELNS1_3repE0EEENS1_47radix_sort_onesweep_sort_config_static_selectorELNS0_4arch9wavefront6targetE1EEEvSE_
    .private_segment_fixed_size: 0
    .sgpr_count:     4
    .sgpr_spill_count: 0
    .symbol:         _ZN7rocprim17ROCPRIM_400000_NS6detail17trampoline_kernelINS0_14default_configENS1_35radix_sort_onesweep_config_selectorIxNS0_10empty_typeEEEZZNS1_29radix_sort_onesweep_iterationIS3_Lb0EPxS8_PS5_S9_mNS0_19identity_decomposerENS1_16block_id_wrapperIjLb1EEEEE10hipError_tT1_PNSt15iterator_traitsISE_E10value_typeET2_T3_PNSF_ISK_E10value_typeET4_T5_PSP_SQ_PNS1_23onesweep_lookback_stateEbbT6_jjT7_P12ihipStream_tbENKUlT_T0_SE_SJ_E_clIS8_S8_S9_S9_EEDaSX_SY_SE_SJ_EUlSX_E_NS1_11comp_targetILNS1_3genE10ELNS1_11target_archE1201ELNS1_3gpuE5ELNS1_3repE0EEENS1_47radix_sort_onesweep_sort_config_static_selectorELNS0_4arch9wavefront6targetE1EEEvSE_.kd
    .uniform_work_group_size: 1
    .uses_dynamic_stack: false
    .vgpr_count:     0
    .vgpr_spill_count: 0
    .wavefront_size: 64
  - .agpr_count:     0
    .args:
      - .offset:         0
        .size:           88
        .value_kind:     by_value
    .group_segment_fixed_size: 0
    .kernarg_segment_align: 8
    .kernarg_segment_size: 88
    .language:       OpenCL C
    .language_version:
      - 2
      - 0
    .max_flat_workgroup_size: 1024
    .name:           _ZN7rocprim17ROCPRIM_400000_NS6detail17trampoline_kernelINS0_14default_configENS1_35radix_sort_onesweep_config_selectorIxNS0_10empty_typeEEEZZNS1_29radix_sort_onesweep_iterationIS3_Lb0EPxS8_PS5_S9_mNS0_19identity_decomposerENS1_16block_id_wrapperIjLb1EEEEE10hipError_tT1_PNSt15iterator_traitsISE_E10value_typeET2_T3_PNSF_ISK_E10value_typeET4_T5_PSP_SQ_PNS1_23onesweep_lookback_stateEbbT6_jjT7_P12ihipStream_tbENKUlT_T0_SE_SJ_E_clIS8_S8_S9_S9_EEDaSX_SY_SE_SJ_EUlSX_E_NS1_11comp_targetILNS1_3genE9ELNS1_11target_archE1100ELNS1_3gpuE3ELNS1_3repE0EEENS1_47radix_sort_onesweep_sort_config_static_selectorELNS0_4arch9wavefront6targetE1EEEvSE_
    .private_segment_fixed_size: 0
    .sgpr_count:     4
    .sgpr_spill_count: 0
    .symbol:         _ZN7rocprim17ROCPRIM_400000_NS6detail17trampoline_kernelINS0_14default_configENS1_35radix_sort_onesweep_config_selectorIxNS0_10empty_typeEEEZZNS1_29radix_sort_onesweep_iterationIS3_Lb0EPxS8_PS5_S9_mNS0_19identity_decomposerENS1_16block_id_wrapperIjLb1EEEEE10hipError_tT1_PNSt15iterator_traitsISE_E10value_typeET2_T3_PNSF_ISK_E10value_typeET4_T5_PSP_SQ_PNS1_23onesweep_lookback_stateEbbT6_jjT7_P12ihipStream_tbENKUlT_T0_SE_SJ_E_clIS8_S8_S9_S9_EEDaSX_SY_SE_SJ_EUlSX_E_NS1_11comp_targetILNS1_3genE9ELNS1_11target_archE1100ELNS1_3gpuE3ELNS1_3repE0EEENS1_47radix_sort_onesweep_sort_config_static_selectorELNS0_4arch9wavefront6targetE1EEEvSE_.kd
    .uniform_work_group_size: 1
    .uses_dynamic_stack: false
    .vgpr_count:     0
    .vgpr_spill_count: 0
    .wavefront_size: 64
  - .agpr_count:     0
    .args:
      - .offset:         0
        .size:           88
        .value_kind:     by_value
    .group_segment_fixed_size: 0
    .kernarg_segment_align: 8
    .kernarg_segment_size: 88
    .language:       OpenCL C
    .language_version:
      - 2
      - 0
    .max_flat_workgroup_size: 1024
    .name:           _ZN7rocprim17ROCPRIM_400000_NS6detail17trampoline_kernelINS0_14default_configENS1_35radix_sort_onesweep_config_selectorIxNS0_10empty_typeEEEZZNS1_29radix_sort_onesweep_iterationIS3_Lb0EPxS8_PS5_S9_mNS0_19identity_decomposerENS1_16block_id_wrapperIjLb1EEEEE10hipError_tT1_PNSt15iterator_traitsISE_E10value_typeET2_T3_PNSF_ISK_E10value_typeET4_T5_PSP_SQ_PNS1_23onesweep_lookback_stateEbbT6_jjT7_P12ihipStream_tbENKUlT_T0_SE_SJ_E_clIS8_S8_S9_S9_EEDaSX_SY_SE_SJ_EUlSX_E_NS1_11comp_targetILNS1_3genE8ELNS1_11target_archE1030ELNS1_3gpuE2ELNS1_3repE0EEENS1_47radix_sort_onesweep_sort_config_static_selectorELNS0_4arch9wavefront6targetE1EEEvSE_
    .private_segment_fixed_size: 0
    .sgpr_count:     4
    .sgpr_spill_count: 0
    .symbol:         _ZN7rocprim17ROCPRIM_400000_NS6detail17trampoline_kernelINS0_14default_configENS1_35radix_sort_onesweep_config_selectorIxNS0_10empty_typeEEEZZNS1_29radix_sort_onesweep_iterationIS3_Lb0EPxS8_PS5_S9_mNS0_19identity_decomposerENS1_16block_id_wrapperIjLb1EEEEE10hipError_tT1_PNSt15iterator_traitsISE_E10value_typeET2_T3_PNSF_ISK_E10value_typeET4_T5_PSP_SQ_PNS1_23onesweep_lookback_stateEbbT6_jjT7_P12ihipStream_tbENKUlT_T0_SE_SJ_E_clIS8_S8_S9_S9_EEDaSX_SY_SE_SJ_EUlSX_E_NS1_11comp_targetILNS1_3genE8ELNS1_11target_archE1030ELNS1_3gpuE2ELNS1_3repE0EEENS1_47radix_sort_onesweep_sort_config_static_selectorELNS0_4arch9wavefront6targetE1EEEvSE_.kd
    .uniform_work_group_size: 1
    .uses_dynamic_stack: false
    .vgpr_count:     0
    .vgpr_spill_count: 0
    .wavefront_size: 64
  - .agpr_count:     0
    .args:
      - .offset:         0
        .size:           88
        .value_kind:     by_value
    .group_segment_fixed_size: 0
    .kernarg_segment_align: 8
    .kernarg_segment_size: 88
    .language:       OpenCL C
    .language_version:
      - 2
      - 0
    .max_flat_workgroup_size: 512
    .name:           _ZN7rocprim17ROCPRIM_400000_NS6detail17trampoline_kernelINS0_14default_configENS1_35radix_sort_onesweep_config_selectorIxNS0_10empty_typeEEEZZNS1_29radix_sort_onesweep_iterationIS3_Lb0EPxS8_PS5_S9_mNS0_19identity_decomposerENS1_16block_id_wrapperIjLb0EEEEE10hipError_tT1_PNSt15iterator_traitsISE_E10value_typeET2_T3_PNSF_ISK_E10value_typeET4_T5_PSP_SQ_PNS1_23onesweep_lookback_stateEbbT6_jjT7_P12ihipStream_tbENKUlT_T0_SE_SJ_E_clIS8_S8_S9_S9_EEDaSX_SY_SE_SJ_EUlSX_E_NS1_11comp_targetILNS1_3genE0ELNS1_11target_archE4294967295ELNS1_3gpuE0ELNS1_3repE0EEENS1_47radix_sort_onesweep_sort_config_static_selectorELNS0_4arch9wavefront6targetE1EEEvSE_
    .private_segment_fixed_size: 0
    .sgpr_count:     4
    .sgpr_spill_count: 0
    .symbol:         _ZN7rocprim17ROCPRIM_400000_NS6detail17trampoline_kernelINS0_14default_configENS1_35radix_sort_onesweep_config_selectorIxNS0_10empty_typeEEEZZNS1_29radix_sort_onesweep_iterationIS3_Lb0EPxS8_PS5_S9_mNS0_19identity_decomposerENS1_16block_id_wrapperIjLb0EEEEE10hipError_tT1_PNSt15iterator_traitsISE_E10value_typeET2_T3_PNSF_ISK_E10value_typeET4_T5_PSP_SQ_PNS1_23onesweep_lookback_stateEbbT6_jjT7_P12ihipStream_tbENKUlT_T0_SE_SJ_E_clIS8_S8_S9_S9_EEDaSX_SY_SE_SJ_EUlSX_E_NS1_11comp_targetILNS1_3genE0ELNS1_11target_archE4294967295ELNS1_3gpuE0ELNS1_3repE0EEENS1_47radix_sort_onesweep_sort_config_static_selectorELNS0_4arch9wavefront6targetE1EEEvSE_.kd
    .uniform_work_group_size: 1
    .uses_dynamic_stack: false
    .vgpr_count:     0
    .vgpr_spill_count: 0
    .wavefront_size: 64
  - .agpr_count:     0
    .args:
      - .offset:         0
        .size:           88
        .value_kind:     by_value
    .group_segment_fixed_size: 0
    .kernarg_segment_align: 8
    .kernarg_segment_size: 88
    .language:       OpenCL C
    .language_version:
      - 2
      - 0
    .max_flat_workgroup_size: 512
    .name:           _ZN7rocprim17ROCPRIM_400000_NS6detail17trampoline_kernelINS0_14default_configENS1_35radix_sort_onesweep_config_selectorIxNS0_10empty_typeEEEZZNS1_29radix_sort_onesweep_iterationIS3_Lb0EPxS8_PS5_S9_mNS0_19identity_decomposerENS1_16block_id_wrapperIjLb0EEEEE10hipError_tT1_PNSt15iterator_traitsISE_E10value_typeET2_T3_PNSF_ISK_E10value_typeET4_T5_PSP_SQ_PNS1_23onesweep_lookback_stateEbbT6_jjT7_P12ihipStream_tbENKUlT_T0_SE_SJ_E_clIS8_S8_S9_S9_EEDaSX_SY_SE_SJ_EUlSX_E_NS1_11comp_targetILNS1_3genE6ELNS1_11target_archE950ELNS1_3gpuE13ELNS1_3repE0EEENS1_47radix_sort_onesweep_sort_config_static_selectorELNS0_4arch9wavefront6targetE1EEEvSE_
    .private_segment_fixed_size: 0
    .sgpr_count:     4
    .sgpr_spill_count: 0
    .symbol:         _ZN7rocprim17ROCPRIM_400000_NS6detail17trampoline_kernelINS0_14default_configENS1_35radix_sort_onesweep_config_selectorIxNS0_10empty_typeEEEZZNS1_29radix_sort_onesweep_iterationIS3_Lb0EPxS8_PS5_S9_mNS0_19identity_decomposerENS1_16block_id_wrapperIjLb0EEEEE10hipError_tT1_PNSt15iterator_traitsISE_E10value_typeET2_T3_PNSF_ISK_E10value_typeET4_T5_PSP_SQ_PNS1_23onesweep_lookback_stateEbbT6_jjT7_P12ihipStream_tbENKUlT_T0_SE_SJ_E_clIS8_S8_S9_S9_EEDaSX_SY_SE_SJ_EUlSX_E_NS1_11comp_targetILNS1_3genE6ELNS1_11target_archE950ELNS1_3gpuE13ELNS1_3repE0EEENS1_47radix_sort_onesweep_sort_config_static_selectorELNS0_4arch9wavefront6targetE1EEEvSE_.kd
    .uniform_work_group_size: 1
    .uses_dynamic_stack: false
    .vgpr_count:     0
    .vgpr_spill_count: 0
    .wavefront_size: 64
  - .agpr_count:     0
    .args:
      - .offset:         0
        .size:           88
        .value_kind:     by_value
    .group_segment_fixed_size: 0
    .kernarg_segment_align: 8
    .kernarg_segment_size: 88
    .language:       OpenCL C
    .language_version:
      - 2
      - 0
    .max_flat_workgroup_size: 512
    .name:           _ZN7rocprim17ROCPRIM_400000_NS6detail17trampoline_kernelINS0_14default_configENS1_35radix_sort_onesweep_config_selectorIxNS0_10empty_typeEEEZZNS1_29radix_sort_onesweep_iterationIS3_Lb0EPxS8_PS5_S9_mNS0_19identity_decomposerENS1_16block_id_wrapperIjLb0EEEEE10hipError_tT1_PNSt15iterator_traitsISE_E10value_typeET2_T3_PNSF_ISK_E10value_typeET4_T5_PSP_SQ_PNS1_23onesweep_lookback_stateEbbT6_jjT7_P12ihipStream_tbENKUlT_T0_SE_SJ_E_clIS8_S8_S9_S9_EEDaSX_SY_SE_SJ_EUlSX_E_NS1_11comp_targetILNS1_3genE5ELNS1_11target_archE942ELNS1_3gpuE9ELNS1_3repE0EEENS1_47radix_sort_onesweep_sort_config_static_selectorELNS0_4arch9wavefront6targetE1EEEvSE_
    .private_segment_fixed_size: 0
    .sgpr_count:     4
    .sgpr_spill_count: 0
    .symbol:         _ZN7rocprim17ROCPRIM_400000_NS6detail17trampoline_kernelINS0_14default_configENS1_35radix_sort_onesweep_config_selectorIxNS0_10empty_typeEEEZZNS1_29radix_sort_onesweep_iterationIS3_Lb0EPxS8_PS5_S9_mNS0_19identity_decomposerENS1_16block_id_wrapperIjLb0EEEEE10hipError_tT1_PNSt15iterator_traitsISE_E10value_typeET2_T3_PNSF_ISK_E10value_typeET4_T5_PSP_SQ_PNS1_23onesweep_lookback_stateEbbT6_jjT7_P12ihipStream_tbENKUlT_T0_SE_SJ_E_clIS8_S8_S9_S9_EEDaSX_SY_SE_SJ_EUlSX_E_NS1_11comp_targetILNS1_3genE5ELNS1_11target_archE942ELNS1_3gpuE9ELNS1_3repE0EEENS1_47radix_sort_onesweep_sort_config_static_selectorELNS0_4arch9wavefront6targetE1EEEvSE_.kd
    .uniform_work_group_size: 1
    .uses_dynamic_stack: false
    .vgpr_count:     0
    .vgpr_spill_count: 0
    .wavefront_size: 64
  - .agpr_count:     0
    .args:
      - .offset:         0
        .size:           88
        .value_kind:     by_value
    .group_segment_fixed_size: 0
    .kernarg_segment_align: 8
    .kernarg_segment_size: 88
    .language:       OpenCL C
    .language_version:
      - 2
      - 0
    .max_flat_workgroup_size: 512
    .name:           _ZN7rocprim17ROCPRIM_400000_NS6detail17trampoline_kernelINS0_14default_configENS1_35radix_sort_onesweep_config_selectorIxNS0_10empty_typeEEEZZNS1_29radix_sort_onesweep_iterationIS3_Lb0EPxS8_PS5_S9_mNS0_19identity_decomposerENS1_16block_id_wrapperIjLb0EEEEE10hipError_tT1_PNSt15iterator_traitsISE_E10value_typeET2_T3_PNSF_ISK_E10value_typeET4_T5_PSP_SQ_PNS1_23onesweep_lookback_stateEbbT6_jjT7_P12ihipStream_tbENKUlT_T0_SE_SJ_E_clIS8_S8_S9_S9_EEDaSX_SY_SE_SJ_EUlSX_E_NS1_11comp_targetILNS1_3genE2ELNS1_11target_archE906ELNS1_3gpuE6ELNS1_3repE0EEENS1_47radix_sort_onesweep_sort_config_static_selectorELNS0_4arch9wavefront6targetE1EEEvSE_
    .private_segment_fixed_size: 0
    .sgpr_count:     4
    .sgpr_spill_count: 0
    .symbol:         _ZN7rocprim17ROCPRIM_400000_NS6detail17trampoline_kernelINS0_14default_configENS1_35radix_sort_onesweep_config_selectorIxNS0_10empty_typeEEEZZNS1_29radix_sort_onesweep_iterationIS3_Lb0EPxS8_PS5_S9_mNS0_19identity_decomposerENS1_16block_id_wrapperIjLb0EEEEE10hipError_tT1_PNSt15iterator_traitsISE_E10value_typeET2_T3_PNSF_ISK_E10value_typeET4_T5_PSP_SQ_PNS1_23onesweep_lookback_stateEbbT6_jjT7_P12ihipStream_tbENKUlT_T0_SE_SJ_E_clIS8_S8_S9_S9_EEDaSX_SY_SE_SJ_EUlSX_E_NS1_11comp_targetILNS1_3genE2ELNS1_11target_archE906ELNS1_3gpuE6ELNS1_3repE0EEENS1_47radix_sort_onesweep_sort_config_static_selectorELNS0_4arch9wavefront6targetE1EEEvSE_.kd
    .uniform_work_group_size: 1
    .uses_dynamic_stack: false
    .vgpr_count:     0
    .vgpr_spill_count: 0
    .wavefront_size: 64
  - .agpr_count:     0
    .args:
      - .offset:         0
        .size:           88
        .value_kind:     by_value
      - .offset:         88
        .size:           4
        .value_kind:     hidden_block_count_x
      - .offset:         92
        .size:           4
        .value_kind:     hidden_block_count_y
      - .offset:         96
        .size:           4
        .value_kind:     hidden_block_count_z
      - .offset:         100
        .size:           2
        .value_kind:     hidden_group_size_x
      - .offset:         102
        .size:           2
        .value_kind:     hidden_group_size_y
      - .offset:         104
        .size:           2
        .value_kind:     hidden_group_size_z
      - .offset:         106
        .size:           2
        .value_kind:     hidden_remainder_x
      - .offset:         108
        .size:           2
        .value_kind:     hidden_remainder_y
      - .offset:         110
        .size:           2
        .value_kind:     hidden_remainder_z
      - .offset:         128
        .size:           8
        .value_kind:     hidden_global_offset_x
      - .offset:         136
        .size:           8
        .value_kind:     hidden_global_offset_y
      - .offset:         144
        .size:           8
        .value_kind:     hidden_global_offset_z
      - .offset:         152
        .size:           2
        .value_kind:     hidden_grid_dims
    .group_segment_fixed_size: 20552
    .kernarg_segment_align: 8
    .kernarg_segment_size: 344
    .language:       OpenCL C
    .language_version:
      - 2
      - 0
    .max_flat_workgroup_size: 1024
    .name:           _ZN7rocprim17ROCPRIM_400000_NS6detail17trampoline_kernelINS0_14default_configENS1_35radix_sort_onesweep_config_selectorIxNS0_10empty_typeEEEZZNS1_29radix_sort_onesweep_iterationIS3_Lb0EPxS8_PS5_S9_mNS0_19identity_decomposerENS1_16block_id_wrapperIjLb0EEEEE10hipError_tT1_PNSt15iterator_traitsISE_E10value_typeET2_T3_PNSF_ISK_E10value_typeET4_T5_PSP_SQ_PNS1_23onesweep_lookback_stateEbbT6_jjT7_P12ihipStream_tbENKUlT_T0_SE_SJ_E_clIS8_S8_S9_S9_EEDaSX_SY_SE_SJ_EUlSX_E_NS1_11comp_targetILNS1_3genE4ELNS1_11target_archE910ELNS1_3gpuE8ELNS1_3repE0EEENS1_47radix_sort_onesweep_sort_config_static_selectorELNS0_4arch9wavefront6targetE1EEEvSE_
    .private_segment_fixed_size: 0
    .sgpr_count:     34
    .sgpr_spill_count: 0
    .symbol:         _ZN7rocprim17ROCPRIM_400000_NS6detail17trampoline_kernelINS0_14default_configENS1_35radix_sort_onesweep_config_selectorIxNS0_10empty_typeEEEZZNS1_29radix_sort_onesweep_iterationIS3_Lb0EPxS8_PS5_S9_mNS0_19identity_decomposerENS1_16block_id_wrapperIjLb0EEEEE10hipError_tT1_PNSt15iterator_traitsISE_E10value_typeET2_T3_PNSF_ISK_E10value_typeET4_T5_PSP_SQ_PNS1_23onesweep_lookback_stateEbbT6_jjT7_P12ihipStream_tbENKUlT_T0_SE_SJ_E_clIS8_S8_S9_S9_EEDaSX_SY_SE_SJ_EUlSX_E_NS1_11comp_targetILNS1_3genE4ELNS1_11target_archE910ELNS1_3gpuE8ELNS1_3repE0EEENS1_47radix_sort_onesweep_sort_config_static_selectorELNS0_4arch9wavefront6targetE1EEEvSE_.kd
    .uniform_work_group_size: 1
    .uses_dynamic_stack: false
    .vgpr_count:     55
    .vgpr_spill_count: 0
    .wavefront_size: 64
  - .agpr_count:     0
    .args:
      - .offset:         0
        .size:           88
        .value_kind:     by_value
    .group_segment_fixed_size: 0
    .kernarg_segment_align: 8
    .kernarg_segment_size: 88
    .language:       OpenCL C
    .language_version:
      - 2
      - 0
    .max_flat_workgroup_size: 512
    .name:           _ZN7rocprim17ROCPRIM_400000_NS6detail17trampoline_kernelINS0_14default_configENS1_35radix_sort_onesweep_config_selectorIxNS0_10empty_typeEEEZZNS1_29radix_sort_onesweep_iterationIS3_Lb0EPxS8_PS5_S9_mNS0_19identity_decomposerENS1_16block_id_wrapperIjLb0EEEEE10hipError_tT1_PNSt15iterator_traitsISE_E10value_typeET2_T3_PNSF_ISK_E10value_typeET4_T5_PSP_SQ_PNS1_23onesweep_lookback_stateEbbT6_jjT7_P12ihipStream_tbENKUlT_T0_SE_SJ_E_clIS8_S8_S9_S9_EEDaSX_SY_SE_SJ_EUlSX_E_NS1_11comp_targetILNS1_3genE3ELNS1_11target_archE908ELNS1_3gpuE7ELNS1_3repE0EEENS1_47radix_sort_onesweep_sort_config_static_selectorELNS0_4arch9wavefront6targetE1EEEvSE_
    .private_segment_fixed_size: 0
    .sgpr_count:     4
    .sgpr_spill_count: 0
    .symbol:         _ZN7rocprim17ROCPRIM_400000_NS6detail17trampoline_kernelINS0_14default_configENS1_35radix_sort_onesweep_config_selectorIxNS0_10empty_typeEEEZZNS1_29radix_sort_onesweep_iterationIS3_Lb0EPxS8_PS5_S9_mNS0_19identity_decomposerENS1_16block_id_wrapperIjLb0EEEEE10hipError_tT1_PNSt15iterator_traitsISE_E10value_typeET2_T3_PNSF_ISK_E10value_typeET4_T5_PSP_SQ_PNS1_23onesweep_lookback_stateEbbT6_jjT7_P12ihipStream_tbENKUlT_T0_SE_SJ_E_clIS8_S8_S9_S9_EEDaSX_SY_SE_SJ_EUlSX_E_NS1_11comp_targetILNS1_3genE3ELNS1_11target_archE908ELNS1_3gpuE7ELNS1_3repE0EEENS1_47radix_sort_onesweep_sort_config_static_selectorELNS0_4arch9wavefront6targetE1EEEvSE_.kd
    .uniform_work_group_size: 1
    .uses_dynamic_stack: false
    .vgpr_count:     0
    .vgpr_spill_count: 0
    .wavefront_size: 64
  - .agpr_count:     0
    .args:
      - .offset:         0
        .size:           88
        .value_kind:     by_value
    .group_segment_fixed_size: 0
    .kernarg_segment_align: 8
    .kernarg_segment_size: 88
    .language:       OpenCL C
    .language_version:
      - 2
      - 0
    .max_flat_workgroup_size: 512
    .name:           _ZN7rocprim17ROCPRIM_400000_NS6detail17trampoline_kernelINS0_14default_configENS1_35radix_sort_onesweep_config_selectorIxNS0_10empty_typeEEEZZNS1_29radix_sort_onesweep_iterationIS3_Lb0EPxS8_PS5_S9_mNS0_19identity_decomposerENS1_16block_id_wrapperIjLb0EEEEE10hipError_tT1_PNSt15iterator_traitsISE_E10value_typeET2_T3_PNSF_ISK_E10value_typeET4_T5_PSP_SQ_PNS1_23onesweep_lookback_stateEbbT6_jjT7_P12ihipStream_tbENKUlT_T0_SE_SJ_E_clIS8_S8_S9_S9_EEDaSX_SY_SE_SJ_EUlSX_E_NS1_11comp_targetILNS1_3genE10ELNS1_11target_archE1201ELNS1_3gpuE5ELNS1_3repE0EEENS1_47radix_sort_onesweep_sort_config_static_selectorELNS0_4arch9wavefront6targetE1EEEvSE_
    .private_segment_fixed_size: 0
    .sgpr_count:     4
    .sgpr_spill_count: 0
    .symbol:         _ZN7rocprim17ROCPRIM_400000_NS6detail17trampoline_kernelINS0_14default_configENS1_35radix_sort_onesweep_config_selectorIxNS0_10empty_typeEEEZZNS1_29radix_sort_onesweep_iterationIS3_Lb0EPxS8_PS5_S9_mNS0_19identity_decomposerENS1_16block_id_wrapperIjLb0EEEEE10hipError_tT1_PNSt15iterator_traitsISE_E10value_typeET2_T3_PNSF_ISK_E10value_typeET4_T5_PSP_SQ_PNS1_23onesweep_lookback_stateEbbT6_jjT7_P12ihipStream_tbENKUlT_T0_SE_SJ_E_clIS8_S8_S9_S9_EEDaSX_SY_SE_SJ_EUlSX_E_NS1_11comp_targetILNS1_3genE10ELNS1_11target_archE1201ELNS1_3gpuE5ELNS1_3repE0EEENS1_47radix_sort_onesweep_sort_config_static_selectorELNS0_4arch9wavefront6targetE1EEEvSE_.kd
    .uniform_work_group_size: 1
    .uses_dynamic_stack: false
    .vgpr_count:     0
    .vgpr_spill_count: 0
    .wavefront_size: 64
  - .agpr_count:     0
    .args:
      - .offset:         0
        .size:           88
        .value_kind:     by_value
    .group_segment_fixed_size: 0
    .kernarg_segment_align: 8
    .kernarg_segment_size: 88
    .language:       OpenCL C
    .language_version:
      - 2
      - 0
    .max_flat_workgroup_size: 1024
    .name:           _ZN7rocprim17ROCPRIM_400000_NS6detail17trampoline_kernelINS0_14default_configENS1_35radix_sort_onesweep_config_selectorIxNS0_10empty_typeEEEZZNS1_29radix_sort_onesweep_iterationIS3_Lb0EPxS8_PS5_S9_mNS0_19identity_decomposerENS1_16block_id_wrapperIjLb0EEEEE10hipError_tT1_PNSt15iterator_traitsISE_E10value_typeET2_T3_PNSF_ISK_E10value_typeET4_T5_PSP_SQ_PNS1_23onesweep_lookback_stateEbbT6_jjT7_P12ihipStream_tbENKUlT_T0_SE_SJ_E_clIS8_S8_S9_S9_EEDaSX_SY_SE_SJ_EUlSX_E_NS1_11comp_targetILNS1_3genE9ELNS1_11target_archE1100ELNS1_3gpuE3ELNS1_3repE0EEENS1_47radix_sort_onesweep_sort_config_static_selectorELNS0_4arch9wavefront6targetE1EEEvSE_
    .private_segment_fixed_size: 0
    .sgpr_count:     4
    .sgpr_spill_count: 0
    .symbol:         _ZN7rocprim17ROCPRIM_400000_NS6detail17trampoline_kernelINS0_14default_configENS1_35radix_sort_onesweep_config_selectorIxNS0_10empty_typeEEEZZNS1_29radix_sort_onesweep_iterationIS3_Lb0EPxS8_PS5_S9_mNS0_19identity_decomposerENS1_16block_id_wrapperIjLb0EEEEE10hipError_tT1_PNSt15iterator_traitsISE_E10value_typeET2_T3_PNSF_ISK_E10value_typeET4_T5_PSP_SQ_PNS1_23onesweep_lookback_stateEbbT6_jjT7_P12ihipStream_tbENKUlT_T0_SE_SJ_E_clIS8_S8_S9_S9_EEDaSX_SY_SE_SJ_EUlSX_E_NS1_11comp_targetILNS1_3genE9ELNS1_11target_archE1100ELNS1_3gpuE3ELNS1_3repE0EEENS1_47radix_sort_onesweep_sort_config_static_selectorELNS0_4arch9wavefront6targetE1EEEvSE_.kd
    .uniform_work_group_size: 1
    .uses_dynamic_stack: false
    .vgpr_count:     0
    .vgpr_spill_count: 0
    .wavefront_size: 64
  - .agpr_count:     0
    .args:
      - .offset:         0
        .size:           88
        .value_kind:     by_value
    .group_segment_fixed_size: 0
    .kernarg_segment_align: 8
    .kernarg_segment_size: 88
    .language:       OpenCL C
    .language_version:
      - 2
      - 0
    .max_flat_workgroup_size: 1024
    .name:           _ZN7rocprim17ROCPRIM_400000_NS6detail17trampoline_kernelINS0_14default_configENS1_35radix_sort_onesweep_config_selectorIxNS0_10empty_typeEEEZZNS1_29radix_sort_onesweep_iterationIS3_Lb0EPxS8_PS5_S9_mNS0_19identity_decomposerENS1_16block_id_wrapperIjLb0EEEEE10hipError_tT1_PNSt15iterator_traitsISE_E10value_typeET2_T3_PNSF_ISK_E10value_typeET4_T5_PSP_SQ_PNS1_23onesweep_lookback_stateEbbT6_jjT7_P12ihipStream_tbENKUlT_T0_SE_SJ_E_clIS8_S8_S9_S9_EEDaSX_SY_SE_SJ_EUlSX_E_NS1_11comp_targetILNS1_3genE8ELNS1_11target_archE1030ELNS1_3gpuE2ELNS1_3repE0EEENS1_47radix_sort_onesweep_sort_config_static_selectorELNS0_4arch9wavefront6targetE1EEEvSE_
    .private_segment_fixed_size: 0
    .sgpr_count:     4
    .sgpr_spill_count: 0
    .symbol:         _ZN7rocprim17ROCPRIM_400000_NS6detail17trampoline_kernelINS0_14default_configENS1_35radix_sort_onesweep_config_selectorIxNS0_10empty_typeEEEZZNS1_29radix_sort_onesweep_iterationIS3_Lb0EPxS8_PS5_S9_mNS0_19identity_decomposerENS1_16block_id_wrapperIjLb0EEEEE10hipError_tT1_PNSt15iterator_traitsISE_E10value_typeET2_T3_PNSF_ISK_E10value_typeET4_T5_PSP_SQ_PNS1_23onesweep_lookback_stateEbbT6_jjT7_P12ihipStream_tbENKUlT_T0_SE_SJ_E_clIS8_S8_S9_S9_EEDaSX_SY_SE_SJ_EUlSX_E_NS1_11comp_targetILNS1_3genE8ELNS1_11target_archE1030ELNS1_3gpuE2ELNS1_3repE0EEENS1_47radix_sort_onesweep_sort_config_static_selectorELNS0_4arch9wavefront6targetE1EEEvSE_.kd
    .uniform_work_group_size: 1
    .uses_dynamic_stack: false
    .vgpr_count:     0
    .vgpr_spill_count: 0
    .wavefront_size: 64
  - .agpr_count:     0
    .args:
      - .offset:         0
        .size:           48
        .value_kind:     by_value
    .group_segment_fixed_size: 0
    .kernarg_segment_align: 8
    .kernarg_segment_size: 48
    .language:       OpenCL C
    .language_version:
      - 2
      - 0
    .max_flat_workgroup_size: 256
    .name:           _ZN7rocprim17ROCPRIM_400000_NS6detail17trampoline_kernelINS0_13kernel_configILj256ELj4ELj4294967295EEENS1_37radix_sort_block_sort_config_selectorIyNS0_10empty_typeEEEZNS1_21radix_sort_block_sortIS4_Lb0EPyS9_PS6_SA_NS0_19identity_decomposerEEE10hipError_tT1_T2_T3_T4_jRjT5_jjP12ihipStream_tbEUlT_E_NS1_11comp_targetILNS1_3genE0ELNS1_11target_archE4294967295ELNS1_3gpuE0ELNS1_3repE0EEENS1_44radix_sort_block_sort_config_static_selectorELNS0_4arch9wavefront6targetE1EEEvSD_
    .private_segment_fixed_size: 0
    .sgpr_count:     4
    .sgpr_spill_count: 0
    .symbol:         _ZN7rocprim17ROCPRIM_400000_NS6detail17trampoline_kernelINS0_13kernel_configILj256ELj4ELj4294967295EEENS1_37radix_sort_block_sort_config_selectorIyNS0_10empty_typeEEEZNS1_21radix_sort_block_sortIS4_Lb0EPyS9_PS6_SA_NS0_19identity_decomposerEEE10hipError_tT1_T2_T3_T4_jRjT5_jjP12ihipStream_tbEUlT_E_NS1_11comp_targetILNS1_3genE0ELNS1_11target_archE4294967295ELNS1_3gpuE0ELNS1_3repE0EEENS1_44radix_sort_block_sort_config_static_selectorELNS0_4arch9wavefront6targetE1EEEvSD_.kd
    .uniform_work_group_size: 1
    .uses_dynamic_stack: false
    .vgpr_count:     0
    .vgpr_spill_count: 0
    .wavefront_size: 64
  - .agpr_count:     0
    .args:
      - .offset:         0
        .size:           48
        .value_kind:     by_value
    .group_segment_fixed_size: 0
    .kernarg_segment_align: 8
    .kernarg_segment_size: 48
    .language:       OpenCL C
    .language_version:
      - 2
      - 0
    .max_flat_workgroup_size: 256
    .name:           _ZN7rocprim17ROCPRIM_400000_NS6detail17trampoline_kernelINS0_13kernel_configILj256ELj4ELj4294967295EEENS1_37radix_sort_block_sort_config_selectorIyNS0_10empty_typeEEEZNS1_21radix_sort_block_sortIS4_Lb0EPyS9_PS6_SA_NS0_19identity_decomposerEEE10hipError_tT1_T2_T3_T4_jRjT5_jjP12ihipStream_tbEUlT_E_NS1_11comp_targetILNS1_3genE5ELNS1_11target_archE942ELNS1_3gpuE9ELNS1_3repE0EEENS1_44radix_sort_block_sort_config_static_selectorELNS0_4arch9wavefront6targetE1EEEvSD_
    .private_segment_fixed_size: 0
    .sgpr_count:     4
    .sgpr_spill_count: 0
    .symbol:         _ZN7rocprim17ROCPRIM_400000_NS6detail17trampoline_kernelINS0_13kernel_configILj256ELj4ELj4294967295EEENS1_37radix_sort_block_sort_config_selectorIyNS0_10empty_typeEEEZNS1_21radix_sort_block_sortIS4_Lb0EPyS9_PS6_SA_NS0_19identity_decomposerEEE10hipError_tT1_T2_T3_T4_jRjT5_jjP12ihipStream_tbEUlT_E_NS1_11comp_targetILNS1_3genE5ELNS1_11target_archE942ELNS1_3gpuE9ELNS1_3repE0EEENS1_44radix_sort_block_sort_config_static_selectorELNS0_4arch9wavefront6targetE1EEEvSD_.kd
    .uniform_work_group_size: 1
    .uses_dynamic_stack: false
    .vgpr_count:     0
    .vgpr_spill_count: 0
    .wavefront_size: 64
  - .agpr_count:     0
    .args:
      - .offset:         0
        .size:           48
        .value_kind:     by_value
      - .offset:         48
        .size:           4
        .value_kind:     hidden_block_count_x
      - .offset:         52
        .size:           4
        .value_kind:     hidden_block_count_y
      - .offset:         56
        .size:           4
        .value_kind:     hidden_block_count_z
      - .offset:         60
        .size:           2
        .value_kind:     hidden_group_size_x
      - .offset:         62
        .size:           2
        .value_kind:     hidden_group_size_y
      - .offset:         64
        .size:           2
        .value_kind:     hidden_group_size_z
      - .offset:         66
        .size:           2
        .value_kind:     hidden_remainder_x
      - .offset:         68
        .size:           2
        .value_kind:     hidden_remainder_y
      - .offset:         70
        .size:           2
        .value_kind:     hidden_remainder_z
      - .offset:         88
        .size:           8
        .value_kind:     hidden_global_offset_x
      - .offset:         96
        .size:           8
        .value_kind:     hidden_global_offset_y
      - .offset:         104
        .size:           8
        .value_kind:     hidden_global_offset_z
      - .offset:         112
        .size:           2
        .value_kind:     hidden_grid_dims
    .group_segment_fixed_size: 8192
    .kernarg_segment_align: 8
    .kernarg_segment_size: 304
    .language:       OpenCL C
    .language_version:
      - 2
      - 0
    .max_flat_workgroup_size: 256
    .name:           _ZN7rocprim17ROCPRIM_400000_NS6detail17trampoline_kernelINS0_13kernel_configILj256ELj4ELj4294967295EEENS1_37radix_sort_block_sort_config_selectorIyNS0_10empty_typeEEEZNS1_21radix_sort_block_sortIS4_Lb0EPyS9_PS6_SA_NS0_19identity_decomposerEEE10hipError_tT1_T2_T3_T4_jRjT5_jjP12ihipStream_tbEUlT_E_NS1_11comp_targetILNS1_3genE4ELNS1_11target_archE910ELNS1_3gpuE8ELNS1_3repE0EEENS1_44radix_sort_block_sort_config_static_selectorELNS0_4arch9wavefront6targetE1EEEvSD_
    .private_segment_fixed_size: 0
    .sgpr_count:     48
    .sgpr_spill_count: 0
    .symbol:         _ZN7rocprim17ROCPRIM_400000_NS6detail17trampoline_kernelINS0_13kernel_configILj256ELj4ELj4294967295EEENS1_37radix_sort_block_sort_config_selectorIyNS0_10empty_typeEEEZNS1_21radix_sort_block_sortIS4_Lb0EPyS9_PS6_SA_NS0_19identity_decomposerEEE10hipError_tT1_T2_T3_T4_jRjT5_jjP12ihipStream_tbEUlT_E_NS1_11comp_targetILNS1_3genE4ELNS1_11target_archE910ELNS1_3gpuE8ELNS1_3repE0EEENS1_44radix_sort_block_sort_config_static_selectorELNS0_4arch9wavefront6targetE1EEEvSD_.kd
    .uniform_work_group_size: 1
    .uses_dynamic_stack: false
    .vgpr_count:     42
    .vgpr_spill_count: 0
    .wavefront_size: 64
  - .agpr_count:     0
    .args:
      - .offset:         0
        .size:           48
        .value_kind:     by_value
    .group_segment_fixed_size: 0
    .kernarg_segment_align: 8
    .kernarg_segment_size: 48
    .language:       OpenCL C
    .language_version:
      - 2
      - 0
    .max_flat_workgroup_size: 256
    .name:           _ZN7rocprim17ROCPRIM_400000_NS6detail17trampoline_kernelINS0_13kernel_configILj256ELj4ELj4294967295EEENS1_37radix_sort_block_sort_config_selectorIyNS0_10empty_typeEEEZNS1_21radix_sort_block_sortIS4_Lb0EPyS9_PS6_SA_NS0_19identity_decomposerEEE10hipError_tT1_T2_T3_T4_jRjT5_jjP12ihipStream_tbEUlT_E_NS1_11comp_targetILNS1_3genE3ELNS1_11target_archE908ELNS1_3gpuE7ELNS1_3repE0EEENS1_44radix_sort_block_sort_config_static_selectorELNS0_4arch9wavefront6targetE1EEEvSD_
    .private_segment_fixed_size: 0
    .sgpr_count:     4
    .sgpr_spill_count: 0
    .symbol:         _ZN7rocprim17ROCPRIM_400000_NS6detail17trampoline_kernelINS0_13kernel_configILj256ELj4ELj4294967295EEENS1_37radix_sort_block_sort_config_selectorIyNS0_10empty_typeEEEZNS1_21radix_sort_block_sortIS4_Lb0EPyS9_PS6_SA_NS0_19identity_decomposerEEE10hipError_tT1_T2_T3_T4_jRjT5_jjP12ihipStream_tbEUlT_E_NS1_11comp_targetILNS1_3genE3ELNS1_11target_archE908ELNS1_3gpuE7ELNS1_3repE0EEENS1_44radix_sort_block_sort_config_static_selectorELNS0_4arch9wavefront6targetE1EEEvSD_.kd
    .uniform_work_group_size: 1
    .uses_dynamic_stack: false
    .vgpr_count:     0
    .vgpr_spill_count: 0
    .wavefront_size: 64
  - .agpr_count:     0
    .args:
      - .offset:         0
        .size:           48
        .value_kind:     by_value
    .group_segment_fixed_size: 0
    .kernarg_segment_align: 8
    .kernarg_segment_size: 48
    .language:       OpenCL C
    .language_version:
      - 2
      - 0
    .max_flat_workgroup_size: 256
    .name:           _ZN7rocprim17ROCPRIM_400000_NS6detail17trampoline_kernelINS0_13kernel_configILj256ELj4ELj4294967295EEENS1_37radix_sort_block_sort_config_selectorIyNS0_10empty_typeEEEZNS1_21radix_sort_block_sortIS4_Lb0EPyS9_PS6_SA_NS0_19identity_decomposerEEE10hipError_tT1_T2_T3_T4_jRjT5_jjP12ihipStream_tbEUlT_E_NS1_11comp_targetILNS1_3genE2ELNS1_11target_archE906ELNS1_3gpuE6ELNS1_3repE0EEENS1_44radix_sort_block_sort_config_static_selectorELNS0_4arch9wavefront6targetE1EEEvSD_
    .private_segment_fixed_size: 0
    .sgpr_count:     4
    .sgpr_spill_count: 0
    .symbol:         _ZN7rocprim17ROCPRIM_400000_NS6detail17trampoline_kernelINS0_13kernel_configILj256ELj4ELj4294967295EEENS1_37radix_sort_block_sort_config_selectorIyNS0_10empty_typeEEEZNS1_21radix_sort_block_sortIS4_Lb0EPyS9_PS6_SA_NS0_19identity_decomposerEEE10hipError_tT1_T2_T3_T4_jRjT5_jjP12ihipStream_tbEUlT_E_NS1_11comp_targetILNS1_3genE2ELNS1_11target_archE906ELNS1_3gpuE6ELNS1_3repE0EEENS1_44radix_sort_block_sort_config_static_selectorELNS0_4arch9wavefront6targetE1EEEvSD_.kd
    .uniform_work_group_size: 1
    .uses_dynamic_stack: false
    .vgpr_count:     0
    .vgpr_spill_count: 0
    .wavefront_size: 64
  - .agpr_count:     0
    .args:
      - .offset:         0
        .size:           48
        .value_kind:     by_value
    .group_segment_fixed_size: 0
    .kernarg_segment_align: 8
    .kernarg_segment_size: 48
    .language:       OpenCL C
    .language_version:
      - 2
      - 0
    .max_flat_workgroup_size: 256
    .name:           _ZN7rocprim17ROCPRIM_400000_NS6detail17trampoline_kernelINS0_13kernel_configILj256ELj4ELj4294967295EEENS1_37radix_sort_block_sort_config_selectorIyNS0_10empty_typeEEEZNS1_21radix_sort_block_sortIS4_Lb0EPyS9_PS6_SA_NS0_19identity_decomposerEEE10hipError_tT1_T2_T3_T4_jRjT5_jjP12ihipStream_tbEUlT_E_NS1_11comp_targetILNS1_3genE10ELNS1_11target_archE1201ELNS1_3gpuE5ELNS1_3repE0EEENS1_44radix_sort_block_sort_config_static_selectorELNS0_4arch9wavefront6targetE1EEEvSD_
    .private_segment_fixed_size: 0
    .sgpr_count:     4
    .sgpr_spill_count: 0
    .symbol:         _ZN7rocprim17ROCPRIM_400000_NS6detail17trampoline_kernelINS0_13kernel_configILj256ELj4ELj4294967295EEENS1_37radix_sort_block_sort_config_selectorIyNS0_10empty_typeEEEZNS1_21radix_sort_block_sortIS4_Lb0EPyS9_PS6_SA_NS0_19identity_decomposerEEE10hipError_tT1_T2_T3_T4_jRjT5_jjP12ihipStream_tbEUlT_E_NS1_11comp_targetILNS1_3genE10ELNS1_11target_archE1201ELNS1_3gpuE5ELNS1_3repE0EEENS1_44radix_sort_block_sort_config_static_selectorELNS0_4arch9wavefront6targetE1EEEvSD_.kd
    .uniform_work_group_size: 1
    .uses_dynamic_stack: false
    .vgpr_count:     0
    .vgpr_spill_count: 0
    .wavefront_size: 64
  - .agpr_count:     0
    .args:
      - .offset:         0
        .size:           48
        .value_kind:     by_value
    .group_segment_fixed_size: 0
    .kernarg_segment_align: 8
    .kernarg_segment_size: 48
    .language:       OpenCL C
    .language_version:
      - 2
      - 0
    .max_flat_workgroup_size: 256
    .name:           _ZN7rocprim17ROCPRIM_400000_NS6detail17trampoline_kernelINS0_13kernel_configILj256ELj4ELj4294967295EEENS1_37radix_sort_block_sort_config_selectorIyNS0_10empty_typeEEEZNS1_21radix_sort_block_sortIS4_Lb0EPyS9_PS6_SA_NS0_19identity_decomposerEEE10hipError_tT1_T2_T3_T4_jRjT5_jjP12ihipStream_tbEUlT_E_NS1_11comp_targetILNS1_3genE10ELNS1_11target_archE1200ELNS1_3gpuE4ELNS1_3repE0EEENS1_44radix_sort_block_sort_config_static_selectorELNS0_4arch9wavefront6targetE1EEEvSD_
    .private_segment_fixed_size: 0
    .sgpr_count:     4
    .sgpr_spill_count: 0
    .symbol:         _ZN7rocprim17ROCPRIM_400000_NS6detail17trampoline_kernelINS0_13kernel_configILj256ELj4ELj4294967295EEENS1_37radix_sort_block_sort_config_selectorIyNS0_10empty_typeEEEZNS1_21radix_sort_block_sortIS4_Lb0EPyS9_PS6_SA_NS0_19identity_decomposerEEE10hipError_tT1_T2_T3_T4_jRjT5_jjP12ihipStream_tbEUlT_E_NS1_11comp_targetILNS1_3genE10ELNS1_11target_archE1200ELNS1_3gpuE4ELNS1_3repE0EEENS1_44radix_sort_block_sort_config_static_selectorELNS0_4arch9wavefront6targetE1EEEvSD_.kd
    .uniform_work_group_size: 1
    .uses_dynamic_stack: false
    .vgpr_count:     0
    .vgpr_spill_count: 0
    .wavefront_size: 64
  - .agpr_count:     0
    .args:
      - .offset:         0
        .size:           48
        .value_kind:     by_value
    .group_segment_fixed_size: 0
    .kernarg_segment_align: 8
    .kernarg_segment_size: 48
    .language:       OpenCL C
    .language_version:
      - 2
      - 0
    .max_flat_workgroup_size: 256
    .name:           _ZN7rocprim17ROCPRIM_400000_NS6detail17trampoline_kernelINS0_13kernel_configILj256ELj4ELj4294967295EEENS1_37radix_sort_block_sort_config_selectorIyNS0_10empty_typeEEEZNS1_21radix_sort_block_sortIS4_Lb0EPyS9_PS6_SA_NS0_19identity_decomposerEEE10hipError_tT1_T2_T3_T4_jRjT5_jjP12ihipStream_tbEUlT_E_NS1_11comp_targetILNS1_3genE9ELNS1_11target_archE1100ELNS1_3gpuE3ELNS1_3repE0EEENS1_44radix_sort_block_sort_config_static_selectorELNS0_4arch9wavefront6targetE1EEEvSD_
    .private_segment_fixed_size: 0
    .sgpr_count:     4
    .sgpr_spill_count: 0
    .symbol:         _ZN7rocprim17ROCPRIM_400000_NS6detail17trampoline_kernelINS0_13kernel_configILj256ELj4ELj4294967295EEENS1_37radix_sort_block_sort_config_selectorIyNS0_10empty_typeEEEZNS1_21radix_sort_block_sortIS4_Lb0EPyS9_PS6_SA_NS0_19identity_decomposerEEE10hipError_tT1_T2_T3_T4_jRjT5_jjP12ihipStream_tbEUlT_E_NS1_11comp_targetILNS1_3genE9ELNS1_11target_archE1100ELNS1_3gpuE3ELNS1_3repE0EEENS1_44radix_sort_block_sort_config_static_selectorELNS0_4arch9wavefront6targetE1EEEvSD_.kd
    .uniform_work_group_size: 1
    .uses_dynamic_stack: false
    .vgpr_count:     0
    .vgpr_spill_count: 0
    .wavefront_size: 64
  - .agpr_count:     0
    .args:
      - .offset:         0
        .size:           48
        .value_kind:     by_value
    .group_segment_fixed_size: 0
    .kernarg_segment_align: 8
    .kernarg_segment_size: 48
    .language:       OpenCL C
    .language_version:
      - 2
      - 0
    .max_flat_workgroup_size: 256
    .name:           _ZN7rocprim17ROCPRIM_400000_NS6detail17trampoline_kernelINS0_13kernel_configILj256ELj4ELj4294967295EEENS1_37radix_sort_block_sort_config_selectorIyNS0_10empty_typeEEEZNS1_21radix_sort_block_sortIS4_Lb0EPyS9_PS6_SA_NS0_19identity_decomposerEEE10hipError_tT1_T2_T3_T4_jRjT5_jjP12ihipStream_tbEUlT_E_NS1_11comp_targetILNS1_3genE8ELNS1_11target_archE1030ELNS1_3gpuE2ELNS1_3repE0EEENS1_44radix_sort_block_sort_config_static_selectorELNS0_4arch9wavefront6targetE1EEEvSD_
    .private_segment_fixed_size: 0
    .sgpr_count:     4
    .sgpr_spill_count: 0
    .symbol:         _ZN7rocprim17ROCPRIM_400000_NS6detail17trampoline_kernelINS0_13kernel_configILj256ELj4ELj4294967295EEENS1_37radix_sort_block_sort_config_selectorIyNS0_10empty_typeEEEZNS1_21radix_sort_block_sortIS4_Lb0EPyS9_PS6_SA_NS0_19identity_decomposerEEE10hipError_tT1_T2_T3_T4_jRjT5_jjP12ihipStream_tbEUlT_E_NS1_11comp_targetILNS1_3genE8ELNS1_11target_archE1030ELNS1_3gpuE2ELNS1_3repE0EEENS1_44radix_sort_block_sort_config_static_selectorELNS0_4arch9wavefront6targetE1EEEvSD_.kd
    .uniform_work_group_size: 1
    .uses_dynamic_stack: false
    .vgpr_count:     0
    .vgpr_spill_count: 0
    .wavefront_size: 64
  - .agpr_count:     0
    .args:           []
    .group_segment_fixed_size: 0
    .kernarg_segment_align: 4
    .kernarg_segment_size: 0
    .language:       OpenCL C
    .language_version:
      - 2
      - 0
    .max_flat_workgroup_size: 1024
    .name:           _ZN7rocprim17ROCPRIM_400000_NS6detail44device_merge_sort_compile_time_verifier_archINS1_11comp_targetILNS1_3genE0ELNS1_11target_archE4294967295ELNS1_3gpuE0ELNS1_3repE0EEES8_NS1_28merge_sort_block_sort_configILj256ELj4ELNS0_20block_sort_algorithmE0EEENS0_14default_configENS1_37merge_sort_block_sort_config_selectorIyNS0_10empty_typeEEENS1_38merge_sort_block_merge_config_selectorIySE_EEEEvv
    .private_segment_fixed_size: 0
    .sgpr_count:     4
    .sgpr_spill_count: 0
    .symbol:         _ZN7rocprim17ROCPRIM_400000_NS6detail44device_merge_sort_compile_time_verifier_archINS1_11comp_targetILNS1_3genE0ELNS1_11target_archE4294967295ELNS1_3gpuE0ELNS1_3repE0EEES8_NS1_28merge_sort_block_sort_configILj256ELj4ELNS0_20block_sort_algorithmE0EEENS0_14default_configENS1_37merge_sort_block_sort_config_selectorIyNS0_10empty_typeEEENS1_38merge_sort_block_merge_config_selectorIySE_EEEEvv.kd
    .uniform_work_group_size: 1
    .uses_dynamic_stack: false
    .vgpr_count:     0
    .vgpr_spill_count: 0
    .wavefront_size: 64
  - .agpr_count:     0
    .args:           []
    .group_segment_fixed_size: 0
    .kernarg_segment_align: 4
    .kernarg_segment_size: 0
    .language:       OpenCL C
    .language_version:
      - 2
      - 0
    .max_flat_workgroup_size: 1024
    .name:           _ZN7rocprim17ROCPRIM_400000_NS6detail44device_merge_sort_compile_time_verifier_archINS1_11comp_targetILNS1_3genE5ELNS1_11target_archE942ELNS1_3gpuE9ELNS1_3repE0EEES8_NS1_28merge_sort_block_sort_configILj256ELj4ELNS0_20block_sort_algorithmE0EEENS0_14default_configENS1_37merge_sort_block_sort_config_selectorIyNS0_10empty_typeEEENS1_38merge_sort_block_merge_config_selectorIySE_EEEEvv
    .private_segment_fixed_size: 0
    .sgpr_count:     4
    .sgpr_spill_count: 0
    .symbol:         _ZN7rocprim17ROCPRIM_400000_NS6detail44device_merge_sort_compile_time_verifier_archINS1_11comp_targetILNS1_3genE5ELNS1_11target_archE942ELNS1_3gpuE9ELNS1_3repE0EEES8_NS1_28merge_sort_block_sort_configILj256ELj4ELNS0_20block_sort_algorithmE0EEENS0_14default_configENS1_37merge_sort_block_sort_config_selectorIyNS0_10empty_typeEEENS1_38merge_sort_block_merge_config_selectorIySE_EEEEvv.kd
    .uniform_work_group_size: 1
    .uses_dynamic_stack: false
    .vgpr_count:     0
    .vgpr_spill_count: 0
    .wavefront_size: 64
  - .agpr_count:     0
    .args:           []
    .group_segment_fixed_size: 0
    .kernarg_segment_align: 4
    .kernarg_segment_size: 0
    .language:       OpenCL C
    .language_version:
      - 2
      - 0
    .max_flat_workgroup_size: 1024
    .name:           _ZN7rocprim17ROCPRIM_400000_NS6detail44device_merge_sort_compile_time_verifier_archINS1_11comp_targetILNS1_3genE4ELNS1_11target_archE910ELNS1_3gpuE8ELNS1_3repE0EEES8_NS1_28merge_sort_block_sort_configILj256ELj4ELNS0_20block_sort_algorithmE0EEENS0_14default_configENS1_37merge_sort_block_sort_config_selectorIyNS0_10empty_typeEEENS1_38merge_sort_block_merge_config_selectorIySE_EEEEvv
    .private_segment_fixed_size: 0
    .sgpr_count:     4
    .sgpr_spill_count: 0
    .symbol:         _ZN7rocprim17ROCPRIM_400000_NS6detail44device_merge_sort_compile_time_verifier_archINS1_11comp_targetILNS1_3genE4ELNS1_11target_archE910ELNS1_3gpuE8ELNS1_3repE0EEES8_NS1_28merge_sort_block_sort_configILj256ELj4ELNS0_20block_sort_algorithmE0EEENS0_14default_configENS1_37merge_sort_block_sort_config_selectorIyNS0_10empty_typeEEENS1_38merge_sort_block_merge_config_selectorIySE_EEEEvv.kd
    .uniform_work_group_size: 1
    .uses_dynamic_stack: false
    .vgpr_count:     0
    .vgpr_spill_count: 0
    .wavefront_size: 64
  - .agpr_count:     0
    .args:           []
    .group_segment_fixed_size: 0
    .kernarg_segment_align: 4
    .kernarg_segment_size: 0
    .language:       OpenCL C
    .language_version:
      - 2
      - 0
    .max_flat_workgroup_size: 1024
    .name:           _ZN7rocprim17ROCPRIM_400000_NS6detail44device_merge_sort_compile_time_verifier_archINS1_11comp_targetILNS1_3genE3ELNS1_11target_archE908ELNS1_3gpuE7ELNS1_3repE0EEES8_NS1_28merge_sort_block_sort_configILj256ELj4ELNS0_20block_sort_algorithmE0EEENS0_14default_configENS1_37merge_sort_block_sort_config_selectorIyNS0_10empty_typeEEENS1_38merge_sort_block_merge_config_selectorIySE_EEEEvv
    .private_segment_fixed_size: 0
    .sgpr_count:     4
    .sgpr_spill_count: 0
    .symbol:         _ZN7rocprim17ROCPRIM_400000_NS6detail44device_merge_sort_compile_time_verifier_archINS1_11comp_targetILNS1_3genE3ELNS1_11target_archE908ELNS1_3gpuE7ELNS1_3repE0EEES8_NS1_28merge_sort_block_sort_configILj256ELj4ELNS0_20block_sort_algorithmE0EEENS0_14default_configENS1_37merge_sort_block_sort_config_selectorIyNS0_10empty_typeEEENS1_38merge_sort_block_merge_config_selectorIySE_EEEEvv.kd
    .uniform_work_group_size: 1
    .uses_dynamic_stack: false
    .vgpr_count:     0
    .vgpr_spill_count: 0
    .wavefront_size: 64
  - .agpr_count:     0
    .args:           []
    .group_segment_fixed_size: 0
    .kernarg_segment_align: 4
    .kernarg_segment_size: 0
    .language:       OpenCL C
    .language_version:
      - 2
      - 0
    .max_flat_workgroup_size: 1024
    .name:           _ZN7rocprim17ROCPRIM_400000_NS6detail44device_merge_sort_compile_time_verifier_archINS1_11comp_targetILNS1_3genE2ELNS1_11target_archE906ELNS1_3gpuE6ELNS1_3repE0EEES8_NS1_28merge_sort_block_sort_configILj256ELj4ELNS0_20block_sort_algorithmE0EEENS0_14default_configENS1_37merge_sort_block_sort_config_selectorIyNS0_10empty_typeEEENS1_38merge_sort_block_merge_config_selectorIySE_EEEEvv
    .private_segment_fixed_size: 0
    .sgpr_count:     4
    .sgpr_spill_count: 0
    .symbol:         _ZN7rocprim17ROCPRIM_400000_NS6detail44device_merge_sort_compile_time_verifier_archINS1_11comp_targetILNS1_3genE2ELNS1_11target_archE906ELNS1_3gpuE6ELNS1_3repE0EEES8_NS1_28merge_sort_block_sort_configILj256ELj4ELNS0_20block_sort_algorithmE0EEENS0_14default_configENS1_37merge_sort_block_sort_config_selectorIyNS0_10empty_typeEEENS1_38merge_sort_block_merge_config_selectorIySE_EEEEvv.kd
    .uniform_work_group_size: 1
    .uses_dynamic_stack: false
    .vgpr_count:     0
    .vgpr_spill_count: 0
    .wavefront_size: 64
  - .agpr_count:     0
    .args:           []
    .group_segment_fixed_size: 0
    .kernarg_segment_align: 4
    .kernarg_segment_size: 0
    .language:       OpenCL C
    .language_version:
      - 2
      - 0
    .max_flat_workgroup_size: 1024
    .name:           _ZN7rocprim17ROCPRIM_400000_NS6detail44device_merge_sort_compile_time_verifier_archINS1_11comp_targetILNS1_3genE10ELNS1_11target_archE1201ELNS1_3gpuE5ELNS1_3repE0EEES8_NS1_28merge_sort_block_sort_configILj256ELj4ELNS0_20block_sort_algorithmE0EEENS0_14default_configENS1_37merge_sort_block_sort_config_selectorIyNS0_10empty_typeEEENS1_38merge_sort_block_merge_config_selectorIySE_EEEEvv
    .private_segment_fixed_size: 0
    .sgpr_count:     4
    .sgpr_spill_count: 0
    .symbol:         _ZN7rocprim17ROCPRIM_400000_NS6detail44device_merge_sort_compile_time_verifier_archINS1_11comp_targetILNS1_3genE10ELNS1_11target_archE1201ELNS1_3gpuE5ELNS1_3repE0EEES8_NS1_28merge_sort_block_sort_configILj256ELj4ELNS0_20block_sort_algorithmE0EEENS0_14default_configENS1_37merge_sort_block_sort_config_selectorIyNS0_10empty_typeEEENS1_38merge_sort_block_merge_config_selectorIySE_EEEEvv.kd
    .uniform_work_group_size: 1
    .uses_dynamic_stack: false
    .vgpr_count:     0
    .vgpr_spill_count: 0
    .wavefront_size: 64
  - .agpr_count:     0
    .args:           []
    .group_segment_fixed_size: 0
    .kernarg_segment_align: 4
    .kernarg_segment_size: 0
    .language:       OpenCL C
    .language_version:
      - 2
      - 0
    .max_flat_workgroup_size: 1024
    .name:           _ZN7rocprim17ROCPRIM_400000_NS6detail44device_merge_sort_compile_time_verifier_archINS1_11comp_targetILNS1_3genE10ELNS1_11target_archE1200ELNS1_3gpuE4ELNS1_3repE0EEENS3_ILS4_10ELS5_1201ELS6_5ELS7_0EEENS1_28merge_sort_block_sort_configILj256ELj4ELNS0_20block_sort_algorithmE0EEENS0_14default_configENS1_37merge_sort_block_sort_config_selectorIyNS0_10empty_typeEEENS1_38merge_sort_block_merge_config_selectorIySF_EEEEvv
    .private_segment_fixed_size: 0
    .sgpr_count:     4
    .sgpr_spill_count: 0
    .symbol:         _ZN7rocprim17ROCPRIM_400000_NS6detail44device_merge_sort_compile_time_verifier_archINS1_11comp_targetILNS1_3genE10ELNS1_11target_archE1200ELNS1_3gpuE4ELNS1_3repE0EEENS3_ILS4_10ELS5_1201ELS6_5ELS7_0EEENS1_28merge_sort_block_sort_configILj256ELj4ELNS0_20block_sort_algorithmE0EEENS0_14default_configENS1_37merge_sort_block_sort_config_selectorIyNS0_10empty_typeEEENS1_38merge_sort_block_merge_config_selectorIySF_EEEEvv.kd
    .uniform_work_group_size: 1
    .uses_dynamic_stack: false
    .vgpr_count:     0
    .vgpr_spill_count: 0
    .wavefront_size: 64
  - .agpr_count:     0
    .args:           []
    .group_segment_fixed_size: 0
    .kernarg_segment_align: 4
    .kernarg_segment_size: 0
    .language:       OpenCL C
    .language_version:
      - 2
      - 0
    .max_flat_workgroup_size: 1024
    .name:           _ZN7rocprim17ROCPRIM_400000_NS6detail44device_merge_sort_compile_time_verifier_archINS1_11comp_targetILNS1_3genE9ELNS1_11target_archE1100ELNS1_3gpuE3ELNS1_3repE0EEES8_NS1_28merge_sort_block_sort_configILj256ELj4ELNS0_20block_sort_algorithmE0EEENS0_14default_configENS1_37merge_sort_block_sort_config_selectorIyNS0_10empty_typeEEENS1_38merge_sort_block_merge_config_selectorIySE_EEEEvv
    .private_segment_fixed_size: 0
    .sgpr_count:     4
    .sgpr_spill_count: 0
    .symbol:         _ZN7rocprim17ROCPRIM_400000_NS6detail44device_merge_sort_compile_time_verifier_archINS1_11comp_targetILNS1_3genE9ELNS1_11target_archE1100ELNS1_3gpuE3ELNS1_3repE0EEES8_NS1_28merge_sort_block_sort_configILj256ELj4ELNS0_20block_sort_algorithmE0EEENS0_14default_configENS1_37merge_sort_block_sort_config_selectorIyNS0_10empty_typeEEENS1_38merge_sort_block_merge_config_selectorIySE_EEEEvv.kd
    .uniform_work_group_size: 1
    .uses_dynamic_stack: false
    .vgpr_count:     0
    .vgpr_spill_count: 0
    .wavefront_size: 64
  - .agpr_count:     0
    .args:           []
    .group_segment_fixed_size: 0
    .kernarg_segment_align: 4
    .kernarg_segment_size: 0
    .language:       OpenCL C
    .language_version:
      - 2
      - 0
    .max_flat_workgroup_size: 1024
    .name:           _ZN7rocprim17ROCPRIM_400000_NS6detail44device_merge_sort_compile_time_verifier_archINS1_11comp_targetILNS1_3genE8ELNS1_11target_archE1030ELNS1_3gpuE2ELNS1_3repE0EEES8_NS1_28merge_sort_block_sort_configILj256ELj4ELNS0_20block_sort_algorithmE0EEENS0_14default_configENS1_37merge_sort_block_sort_config_selectorIyNS0_10empty_typeEEENS1_38merge_sort_block_merge_config_selectorIySE_EEEEvv
    .private_segment_fixed_size: 0
    .sgpr_count:     4
    .sgpr_spill_count: 0
    .symbol:         _ZN7rocprim17ROCPRIM_400000_NS6detail44device_merge_sort_compile_time_verifier_archINS1_11comp_targetILNS1_3genE8ELNS1_11target_archE1030ELNS1_3gpuE2ELNS1_3repE0EEES8_NS1_28merge_sort_block_sort_configILj256ELj4ELNS0_20block_sort_algorithmE0EEENS0_14default_configENS1_37merge_sort_block_sort_config_selectorIyNS0_10empty_typeEEENS1_38merge_sort_block_merge_config_selectorIySE_EEEEvv.kd
    .uniform_work_group_size: 1
    .uses_dynamic_stack: false
    .vgpr_count:     0
    .vgpr_spill_count: 0
    .wavefront_size: 64
  - .agpr_count:     0
    .args:
      - .offset:         0
        .size:           40
        .value_kind:     by_value
    .group_segment_fixed_size: 0
    .kernarg_segment_align: 8
    .kernarg_segment_size: 40
    .language:       OpenCL C
    .language_version:
      - 2
      - 0
    .max_flat_workgroup_size: 128
    .name:           _ZN7rocprim17ROCPRIM_400000_NS6detail17trampoline_kernelINS0_14default_configENS1_38merge_sort_block_merge_config_selectorIyNS0_10empty_typeEEEZZNS1_27merge_sort_block_merge_implIS3_PyPS5_jNS1_19radix_merge_compareILb0ELb0EyNS0_19identity_decomposerEEEEE10hipError_tT0_T1_T2_jT3_P12ihipStream_tbPNSt15iterator_traitsISE_E10value_typeEPNSK_ISF_E10value_typeEPSG_NS1_7vsmem_tEENKUlT_SE_SF_SG_E_clIS8_S8_S9_S9_EESD_ST_SE_SF_SG_EUlST_E_NS1_11comp_targetILNS1_3genE0ELNS1_11target_archE4294967295ELNS1_3gpuE0ELNS1_3repE0EEENS1_48merge_mergepath_partition_config_static_selectorELNS0_4arch9wavefront6targetE1EEEvSF_
    .private_segment_fixed_size: 0
    .sgpr_count:     4
    .sgpr_spill_count: 0
    .symbol:         _ZN7rocprim17ROCPRIM_400000_NS6detail17trampoline_kernelINS0_14default_configENS1_38merge_sort_block_merge_config_selectorIyNS0_10empty_typeEEEZZNS1_27merge_sort_block_merge_implIS3_PyPS5_jNS1_19radix_merge_compareILb0ELb0EyNS0_19identity_decomposerEEEEE10hipError_tT0_T1_T2_jT3_P12ihipStream_tbPNSt15iterator_traitsISE_E10value_typeEPNSK_ISF_E10value_typeEPSG_NS1_7vsmem_tEENKUlT_SE_SF_SG_E_clIS8_S8_S9_S9_EESD_ST_SE_SF_SG_EUlST_E_NS1_11comp_targetILNS1_3genE0ELNS1_11target_archE4294967295ELNS1_3gpuE0ELNS1_3repE0EEENS1_48merge_mergepath_partition_config_static_selectorELNS0_4arch9wavefront6targetE1EEEvSF_.kd
    .uniform_work_group_size: 1
    .uses_dynamic_stack: false
    .vgpr_count:     0
    .vgpr_spill_count: 0
    .wavefront_size: 64
  - .agpr_count:     0
    .args:
      - .offset:         0
        .size:           40
        .value_kind:     by_value
    .group_segment_fixed_size: 0
    .kernarg_segment_align: 8
    .kernarg_segment_size: 40
    .language:       OpenCL C
    .language_version:
      - 2
      - 0
    .max_flat_workgroup_size: 128
    .name:           _ZN7rocprim17ROCPRIM_400000_NS6detail17trampoline_kernelINS0_14default_configENS1_38merge_sort_block_merge_config_selectorIyNS0_10empty_typeEEEZZNS1_27merge_sort_block_merge_implIS3_PyPS5_jNS1_19radix_merge_compareILb0ELb0EyNS0_19identity_decomposerEEEEE10hipError_tT0_T1_T2_jT3_P12ihipStream_tbPNSt15iterator_traitsISE_E10value_typeEPNSK_ISF_E10value_typeEPSG_NS1_7vsmem_tEENKUlT_SE_SF_SG_E_clIS8_S8_S9_S9_EESD_ST_SE_SF_SG_EUlST_E_NS1_11comp_targetILNS1_3genE10ELNS1_11target_archE1201ELNS1_3gpuE5ELNS1_3repE0EEENS1_48merge_mergepath_partition_config_static_selectorELNS0_4arch9wavefront6targetE1EEEvSF_
    .private_segment_fixed_size: 0
    .sgpr_count:     4
    .sgpr_spill_count: 0
    .symbol:         _ZN7rocprim17ROCPRIM_400000_NS6detail17trampoline_kernelINS0_14default_configENS1_38merge_sort_block_merge_config_selectorIyNS0_10empty_typeEEEZZNS1_27merge_sort_block_merge_implIS3_PyPS5_jNS1_19radix_merge_compareILb0ELb0EyNS0_19identity_decomposerEEEEE10hipError_tT0_T1_T2_jT3_P12ihipStream_tbPNSt15iterator_traitsISE_E10value_typeEPNSK_ISF_E10value_typeEPSG_NS1_7vsmem_tEENKUlT_SE_SF_SG_E_clIS8_S8_S9_S9_EESD_ST_SE_SF_SG_EUlST_E_NS1_11comp_targetILNS1_3genE10ELNS1_11target_archE1201ELNS1_3gpuE5ELNS1_3repE0EEENS1_48merge_mergepath_partition_config_static_selectorELNS0_4arch9wavefront6targetE1EEEvSF_.kd
    .uniform_work_group_size: 1
    .uses_dynamic_stack: false
    .vgpr_count:     0
    .vgpr_spill_count: 0
    .wavefront_size: 64
  - .agpr_count:     0
    .args:
      - .offset:         0
        .size:           40
        .value_kind:     by_value
    .group_segment_fixed_size: 0
    .kernarg_segment_align: 8
    .kernarg_segment_size: 40
    .language:       OpenCL C
    .language_version:
      - 2
      - 0
    .max_flat_workgroup_size: 128
    .name:           _ZN7rocprim17ROCPRIM_400000_NS6detail17trampoline_kernelINS0_14default_configENS1_38merge_sort_block_merge_config_selectorIyNS0_10empty_typeEEEZZNS1_27merge_sort_block_merge_implIS3_PyPS5_jNS1_19radix_merge_compareILb0ELb0EyNS0_19identity_decomposerEEEEE10hipError_tT0_T1_T2_jT3_P12ihipStream_tbPNSt15iterator_traitsISE_E10value_typeEPNSK_ISF_E10value_typeEPSG_NS1_7vsmem_tEENKUlT_SE_SF_SG_E_clIS8_S8_S9_S9_EESD_ST_SE_SF_SG_EUlST_E_NS1_11comp_targetILNS1_3genE5ELNS1_11target_archE942ELNS1_3gpuE9ELNS1_3repE0EEENS1_48merge_mergepath_partition_config_static_selectorELNS0_4arch9wavefront6targetE1EEEvSF_
    .private_segment_fixed_size: 0
    .sgpr_count:     4
    .sgpr_spill_count: 0
    .symbol:         _ZN7rocprim17ROCPRIM_400000_NS6detail17trampoline_kernelINS0_14default_configENS1_38merge_sort_block_merge_config_selectorIyNS0_10empty_typeEEEZZNS1_27merge_sort_block_merge_implIS3_PyPS5_jNS1_19radix_merge_compareILb0ELb0EyNS0_19identity_decomposerEEEEE10hipError_tT0_T1_T2_jT3_P12ihipStream_tbPNSt15iterator_traitsISE_E10value_typeEPNSK_ISF_E10value_typeEPSG_NS1_7vsmem_tEENKUlT_SE_SF_SG_E_clIS8_S8_S9_S9_EESD_ST_SE_SF_SG_EUlST_E_NS1_11comp_targetILNS1_3genE5ELNS1_11target_archE942ELNS1_3gpuE9ELNS1_3repE0EEENS1_48merge_mergepath_partition_config_static_selectorELNS0_4arch9wavefront6targetE1EEEvSF_.kd
    .uniform_work_group_size: 1
    .uses_dynamic_stack: false
    .vgpr_count:     0
    .vgpr_spill_count: 0
    .wavefront_size: 64
  - .agpr_count:     0
    .args:
      - .offset:         0
        .size:           40
        .value_kind:     by_value
    .group_segment_fixed_size: 0
    .kernarg_segment_align: 8
    .kernarg_segment_size: 40
    .language:       OpenCL C
    .language_version:
      - 2
      - 0
    .max_flat_workgroup_size: 128
    .name:           _ZN7rocprim17ROCPRIM_400000_NS6detail17trampoline_kernelINS0_14default_configENS1_38merge_sort_block_merge_config_selectorIyNS0_10empty_typeEEEZZNS1_27merge_sort_block_merge_implIS3_PyPS5_jNS1_19radix_merge_compareILb0ELb0EyNS0_19identity_decomposerEEEEE10hipError_tT0_T1_T2_jT3_P12ihipStream_tbPNSt15iterator_traitsISE_E10value_typeEPNSK_ISF_E10value_typeEPSG_NS1_7vsmem_tEENKUlT_SE_SF_SG_E_clIS8_S8_S9_S9_EESD_ST_SE_SF_SG_EUlST_E_NS1_11comp_targetILNS1_3genE4ELNS1_11target_archE910ELNS1_3gpuE8ELNS1_3repE0EEENS1_48merge_mergepath_partition_config_static_selectorELNS0_4arch9wavefront6targetE1EEEvSF_
    .private_segment_fixed_size: 0
    .sgpr_count:     12
    .sgpr_spill_count: 0
    .symbol:         _ZN7rocprim17ROCPRIM_400000_NS6detail17trampoline_kernelINS0_14default_configENS1_38merge_sort_block_merge_config_selectorIyNS0_10empty_typeEEEZZNS1_27merge_sort_block_merge_implIS3_PyPS5_jNS1_19radix_merge_compareILb0ELb0EyNS0_19identity_decomposerEEEEE10hipError_tT0_T1_T2_jT3_P12ihipStream_tbPNSt15iterator_traitsISE_E10value_typeEPNSK_ISF_E10value_typeEPSG_NS1_7vsmem_tEENKUlT_SE_SF_SG_E_clIS8_S8_S9_S9_EESD_ST_SE_SF_SG_EUlST_E_NS1_11comp_targetILNS1_3genE4ELNS1_11target_archE910ELNS1_3gpuE8ELNS1_3repE0EEENS1_48merge_mergepath_partition_config_static_selectorELNS0_4arch9wavefront6targetE1EEEvSF_.kd
    .uniform_work_group_size: 1
    .uses_dynamic_stack: false
    .vgpr_count:     20
    .vgpr_spill_count: 0
    .wavefront_size: 64
  - .agpr_count:     0
    .args:
      - .offset:         0
        .size:           40
        .value_kind:     by_value
    .group_segment_fixed_size: 0
    .kernarg_segment_align: 8
    .kernarg_segment_size: 40
    .language:       OpenCL C
    .language_version:
      - 2
      - 0
    .max_flat_workgroup_size: 128
    .name:           _ZN7rocprim17ROCPRIM_400000_NS6detail17trampoline_kernelINS0_14default_configENS1_38merge_sort_block_merge_config_selectorIyNS0_10empty_typeEEEZZNS1_27merge_sort_block_merge_implIS3_PyPS5_jNS1_19radix_merge_compareILb0ELb0EyNS0_19identity_decomposerEEEEE10hipError_tT0_T1_T2_jT3_P12ihipStream_tbPNSt15iterator_traitsISE_E10value_typeEPNSK_ISF_E10value_typeEPSG_NS1_7vsmem_tEENKUlT_SE_SF_SG_E_clIS8_S8_S9_S9_EESD_ST_SE_SF_SG_EUlST_E_NS1_11comp_targetILNS1_3genE3ELNS1_11target_archE908ELNS1_3gpuE7ELNS1_3repE0EEENS1_48merge_mergepath_partition_config_static_selectorELNS0_4arch9wavefront6targetE1EEEvSF_
    .private_segment_fixed_size: 0
    .sgpr_count:     4
    .sgpr_spill_count: 0
    .symbol:         _ZN7rocprim17ROCPRIM_400000_NS6detail17trampoline_kernelINS0_14default_configENS1_38merge_sort_block_merge_config_selectorIyNS0_10empty_typeEEEZZNS1_27merge_sort_block_merge_implIS3_PyPS5_jNS1_19radix_merge_compareILb0ELb0EyNS0_19identity_decomposerEEEEE10hipError_tT0_T1_T2_jT3_P12ihipStream_tbPNSt15iterator_traitsISE_E10value_typeEPNSK_ISF_E10value_typeEPSG_NS1_7vsmem_tEENKUlT_SE_SF_SG_E_clIS8_S8_S9_S9_EESD_ST_SE_SF_SG_EUlST_E_NS1_11comp_targetILNS1_3genE3ELNS1_11target_archE908ELNS1_3gpuE7ELNS1_3repE0EEENS1_48merge_mergepath_partition_config_static_selectorELNS0_4arch9wavefront6targetE1EEEvSF_.kd
    .uniform_work_group_size: 1
    .uses_dynamic_stack: false
    .vgpr_count:     0
    .vgpr_spill_count: 0
    .wavefront_size: 64
  - .agpr_count:     0
    .args:
      - .offset:         0
        .size:           40
        .value_kind:     by_value
    .group_segment_fixed_size: 0
    .kernarg_segment_align: 8
    .kernarg_segment_size: 40
    .language:       OpenCL C
    .language_version:
      - 2
      - 0
    .max_flat_workgroup_size: 128
    .name:           _ZN7rocprim17ROCPRIM_400000_NS6detail17trampoline_kernelINS0_14default_configENS1_38merge_sort_block_merge_config_selectorIyNS0_10empty_typeEEEZZNS1_27merge_sort_block_merge_implIS3_PyPS5_jNS1_19radix_merge_compareILb0ELb0EyNS0_19identity_decomposerEEEEE10hipError_tT0_T1_T2_jT3_P12ihipStream_tbPNSt15iterator_traitsISE_E10value_typeEPNSK_ISF_E10value_typeEPSG_NS1_7vsmem_tEENKUlT_SE_SF_SG_E_clIS8_S8_S9_S9_EESD_ST_SE_SF_SG_EUlST_E_NS1_11comp_targetILNS1_3genE2ELNS1_11target_archE906ELNS1_3gpuE6ELNS1_3repE0EEENS1_48merge_mergepath_partition_config_static_selectorELNS0_4arch9wavefront6targetE1EEEvSF_
    .private_segment_fixed_size: 0
    .sgpr_count:     4
    .sgpr_spill_count: 0
    .symbol:         _ZN7rocprim17ROCPRIM_400000_NS6detail17trampoline_kernelINS0_14default_configENS1_38merge_sort_block_merge_config_selectorIyNS0_10empty_typeEEEZZNS1_27merge_sort_block_merge_implIS3_PyPS5_jNS1_19radix_merge_compareILb0ELb0EyNS0_19identity_decomposerEEEEE10hipError_tT0_T1_T2_jT3_P12ihipStream_tbPNSt15iterator_traitsISE_E10value_typeEPNSK_ISF_E10value_typeEPSG_NS1_7vsmem_tEENKUlT_SE_SF_SG_E_clIS8_S8_S9_S9_EESD_ST_SE_SF_SG_EUlST_E_NS1_11comp_targetILNS1_3genE2ELNS1_11target_archE906ELNS1_3gpuE6ELNS1_3repE0EEENS1_48merge_mergepath_partition_config_static_selectorELNS0_4arch9wavefront6targetE1EEEvSF_.kd
    .uniform_work_group_size: 1
    .uses_dynamic_stack: false
    .vgpr_count:     0
    .vgpr_spill_count: 0
    .wavefront_size: 64
  - .agpr_count:     0
    .args:
      - .offset:         0
        .size:           40
        .value_kind:     by_value
    .group_segment_fixed_size: 0
    .kernarg_segment_align: 8
    .kernarg_segment_size: 40
    .language:       OpenCL C
    .language_version:
      - 2
      - 0
    .max_flat_workgroup_size: 128
    .name:           _ZN7rocprim17ROCPRIM_400000_NS6detail17trampoline_kernelINS0_14default_configENS1_38merge_sort_block_merge_config_selectorIyNS0_10empty_typeEEEZZNS1_27merge_sort_block_merge_implIS3_PyPS5_jNS1_19radix_merge_compareILb0ELb0EyNS0_19identity_decomposerEEEEE10hipError_tT0_T1_T2_jT3_P12ihipStream_tbPNSt15iterator_traitsISE_E10value_typeEPNSK_ISF_E10value_typeEPSG_NS1_7vsmem_tEENKUlT_SE_SF_SG_E_clIS8_S8_S9_S9_EESD_ST_SE_SF_SG_EUlST_E_NS1_11comp_targetILNS1_3genE9ELNS1_11target_archE1100ELNS1_3gpuE3ELNS1_3repE0EEENS1_48merge_mergepath_partition_config_static_selectorELNS0_4arch9wavefront6targetE1EEEvSF_
    .private_segment_fixed_size: 0
    .sgpr_count:     4
    .sgpr_spill_count: 0
    .symbol:         _ZN7rocprim17ROCPRIM_400000_NS6detail17trampoline_kernelINS0_14default_configENS1_38merge_sort_block_merge_config_selectorIyNS0_10empty_typeEEEZZNS1_27merge_sort_block_merge_implIS3_PyPS5_jNS1_19radix_merge_compareILb0ELb0EyNS0_19identity_decomposerEEEEE10hipError_tT0_T1_T2_jT3_P12ihipStream_tbPNSt15iterator_traitsISE_E10value_typeEPNSK_ISF_E10value_typeEPSG_NS1_7vsmem_tEENKUlT_SE_SF_SG_E_clIS8_S8_S9_S9_EESD_ST_SE_SF_SG_EUlST_E_NS1_11comp_targetILNS1_3genE9ELNS1_11target_archE1100ELNS1_3gpuE3ELNS1_3repE0EEENS1_48merge_mergepath_partition_config_static_selectorELNS0_4arch9wavefront6targetE1EEEvSF_.kd
    .uniform_work_group_size: 1
    .uses_dynamic_stack: false
    .vgpr_count:     0
    .vgpr_spill_count: 0
    .wavefront_size: 64
  - .agpr_count:     0
    .args:
      - .offset:         0
        .size:           40
        .value_kind:     by_value
    .group_segment_fixed_size: 0
    .kernarg_segment_align: 8
    .kernarg_segment_size: 40
    .language:       OpenCL C
    .language_version:
      - 2
      - 0
    .max_flat_workgroup_size: 128
    .name:           _ZN7rocprim17ROCPRIM_400000_NS6detail17trampoline_kernelINS0_14default_configENS1_38merge_sort_block_merge_config_selectorIyNS0_10empty_typeEEEZZNS1_27merge_sort_block_merge_implIS3_PyPS5_jNS1_19radix_merge_compareILb0ELb0EyNS0_19identity_decomposerEEEEE10hipError_tT0_T1_T2_jT3_P12ihipStream_tbPNSt15iterator_traitsISE_E10value_typeEPNSK_ISF_E10value_typeEPSG_NS1_7vsmem_tEENKUlT_SE_SF_SG_E_clIS8_S8_S9_S9_EESD_ST_SE_SF_SG_EUlST_E_NS1_11comp_targetILNS1_3genE8ELNS1_11target_archE1030ELNS1_3gpuE2ELNS1_3repE0EEENS1_48merge_mergepath_partition_config_static_selectorELNS0_4arch9wavefront6targetE1EEEvSF_
    .private_segment_fixed_size: 0
    .sgpr_count:     4
    .sgpr_spill_count: 0
    .symbol:         _ZN7rocprim17ROCPRIM_400000_NS6detail17trampoline_kernelINS0_14default_configENS1_38merge_sort_block_merge_config_selectorIyNS0_10empty_typeEEEZZNS1_27merge_sort_block_merge_implIS3_PyPS5_jNS1_19radix_merge_compareILb0ELb0EyNS0_19identity_decomposerEEEEE10hipError_tT0_T1_T2_jT3_P12ihipStream_tbPNSt15iterator_traitsISE_E10value_typeEPNSK_ISF_E10value_typeEPSG_NS1_7vsmem_tEENKUlT_SE_SF_SG_E_clIS8_S8_S9_S9_EESD_ST_SE_SF_SG_EUlST_E_NS1_11comp_targetILNS1_3genE8ELNS1_11target_archE1030ELNS1_3gpuE2ELNS1_3repE0EEENS1_48merge_mergepath_partition_config_static_selectorELNS0_4arch9wavefront6targetE1EEEvSF_.kd
    .uniform_work_group_size: 1
    .uses_dynamic_stack: false
    .vgpr_count:     0
    .vgpr_spill_count: 0
    .wavefront_size: 64
  - .agpr_count:     0
    .args:
      - .offset:         0
        .size:           64
        .value_kind:     by_value
    .group_segment_fixed_size: 0
    .kernarg_segment_align: 8
    .kernarg_segment_size: 64
    .language:       OpenCL C
    .language_version:
      - 2
      - 0
    .max_flat_workgroup_size: 128
    .name:           _ZN7rocprim17ROCPRIM_400000_NS6detail17trampoline_kernelINS0_14default_configENS1_38merge_sort_block_merge_config_selectorIyNS0_10empty_typeEEEZZNS1_27merge_sort_block_merge_implIS3_PyPS5_jNS1_19radix_merge_compareILb0ELb0EyNS0_19identity_decomposerEEEEE10hipError_tT0_T1_T2_jT3_P12ihipStream_tbPNSt15iterator_traitsISE_E10value_typeEPNSK_ISF_E10value_typeEPSG_NS1_7vsmem_tEENKUlT_SE_SF_SG_E_clIS8_S8_S9_S9_EESD_ST_SE_SF_SG_EUlST_E0_NS1_11comp_targetILNS1_3genE0ELNS1_11target_archE4294967295ELNS1_3gpuE0ELNS1_3repE0EEENS1_38merge_mergepath_config_static_selectorELNS0_4arch9wavefront6targetE1EEEvSF_
    .private_segment_fixed_size: 0
    .sgpr_count:     4
    .sgpr_spill_count: 0
    .symbol:         _ZN7rocprim17ROCPRIM_400000_NS6detail17trampoline_kernelINS0_14default_configENS1_38merge_sort_block_merge_config_selectorIyNS0_10empty_typeEEEZZNS1_27merge_sort_block_merge_implIS3_PyPS5_jNS1_19radix_merge_compareILb0ELb0EyNS0_19identity_decomposerEEEEE10hipError_tT0_T1_T2_jT3_P12ihipStream_tbPNSt15iterator_traitsISE_E10value_typeEPNSK_ISF_E10value_typeEPSG_NS1_7vsmem_tEENKUlT_SE_SF_SG_E_clIS8_S8_S9_S9_EESD_ST_SE_SF_SG_EUlST_E0_NS1_11comp_targetILNS1_3genE0ELNS1_11target_archE4294967295ELNS1_3gpuE0ELNS1_3repE0EEENS1_38merge_mergepath_config_static_selectorELNS0_4arch9wavefront6targetE1EEEvSF_.kd
    .uniform_work_group_size: 1
    .uses_dynamic_stack: false
    .vgpr_count:     0
    .vgpr_spill_count: 0
    .wavefront_size: 64
  - .agpr_count:     0
    .args:
      - .offset:         0
        .size:           64
        .value_kind:     by_value
    .group_segment_fixed_size: 0
    .kernarg_segment_align: 8
    .kernarg_segment_size: 64
    .language:       OpenCL C
    .language_version:
      - 2
      - 0
    .max_flat_workgroup_size: 512
    .name:           _ZN7rocprim17ROCPRIM_400000_NS6detail17trampoline_kernelINS0_14default_configENS1_38merge_sort_block_merge_config_selectorIyNS0_10empty_typeEEEZZNS1_27merge_sort_block_merge_implIS3_PyPS5_jNS1_19radix_merge_compareILb0ELb0EyNS0_19identity_decomposerEEEEE10hipError_tT0_T1_T2_jT3_P12ihipStream_tbPNSt15iterator_traitsISE_E10value_typeEPNSK_ISF_E10value_typeEPSG_NS1_7vsmem_tEENKUlT_SE_SF_SG_E_clIS8_S8_S9_S9_EESD_ST_SE_SF_SG_EUlST_E0_NS1_11comp_targetILNS1_3genE10ELNS1_11target_archE1201ELNS1_3gpuE5ELNS1_3repE0EEENS1_38merge_mergepath_config_static_selectorELNS0_4arch9wavefront6targetE1EEEvSF_
    .private_segment_fixed_size: 0
    .sgpr_count:     4
    .sgpr_spill_count: 0
    .symbol:         _ZN7rocprim17ROCPRIM_400000_NS6detail17trampoline_kernelINS0_14default_configENS1_38merge_sort_block_merge_config_selectorIyNS0_10empty_typeEEEZZNS1_27merge_sort_block_merge_implIS3_PyPS5_jNS1_19radix_merge_compareILb0ELb0EyNS0_19identity_decomposerEEEEE10hipError_tT0_T1_T2_jT3_P12ihipStream_tbPNSt15iterator_traitsISE_E10value_typeEPNSK_ISF_E10value_typeEPSG_NS1_7vsmem_tEENKUlT_SE_SF_SG_E_clIS8_S8_S9_S9_EESD_ST_SE_SF_SG_EUlST_E0_NS1_11comp_targetILNS1_3genE10ELNS1_11target_archE1201ELNS1_3gpuE5ELNS1_3repE0EEENS1_38merge_mergepath_config_static_selectorELNS0_4arch9wavefront6targetE1EEEvSF_.kd
    .uniform_work_group_size: 1
    .uses_dynamic_stack: false
    .vgpr_count:     0
    .vgpr_spill_count: 0
    .wavefront_size: 64
  - .agpr_count:     0
    .args:
      - .offset:         0
        .size:           64
        .value_kind:     by_value
    .group_segment_fixed_size: 0
    .kernarg_segment_align: 8
    .kernarg_segment_size: 64
    .language:       OpenCL C
    .language_version:
      - 2
      - 0
    .max_flat_workgroup_size: 128
    .name:           _ZN7rocprim17ROCPRIM_400000_NS6detail17trampoline_kernelINS0_14default_configENS1_38merge_sort_block_merge_config_selectorIyNS0_10empty_typeEEEZZNS1_27merge_sort_block_merge_implIS3_PyPS5_jNS1_19radix_merge_compareILb0ELb0EyNS0_19identity_decomposerEEEEE10hipError_tT0_T1_T2_jT3_P12ihipStream_tbPNSt15iterator_traitsISE_E10value_typeEPNSK_ISF_E10value_typeEPSG_NS1_7vsmem_tEENKUlT_SE_SF_SG_E_clIS8_S8_S9_S9_EESD_ST_SE_SF_SG_EUlST_E0_NS1_11comp_targetILNS1_3genE5ELNS1_11target_archE942ELNS1_3gpuE9ELNS1_3repE0EEENS1_38merge_mergepath_config_static_selectorELNS0_4arch9wavefront6targetE1EEEvSF_
    .private_segment_fixed_size: 0
    .sgpr_count:     4
    .sgpr_spill_count: 0
    .symbol:         _ZN7rocprim17ROCPRIM_400000_NS6detail17trampoline_kernelINS0_14default_configENS1_38merge_sort_block_merge_config_selectorIyNS0_10empty_typeEEEZZNS1_27merge_sort_block_merge_implIS3_PyPS5_jNS1_19radix_merge_compareILb0ELb0EyNS0_19identity_decomposerEEEEE10hipError_tT0_T1_T2_jT3_P12ihipStream_tbPNSt15iterator_traitsISE_E10value_typeEPNSK_ISF_E10value_typeEPSG_NS1_7vsmem_tEENKUlT_SE_SF_SG_E_clIS8_S8_S9_S9_EESD_ST_SE_SF_SG_EUlST_E0_NS1_11comp_targetILNS1_3genE5ELNS1_11target_archE942ELNS1_3gpuE9ELNS1_3repE0EEENS1_38merge_mergepath_config_static_selectorELNS0_4arch9wavefront6targetE1EEEvSF_.kd
    .uniform_work_group_size: 1
    .uses_dynamic_stack: false
    .vgpr_count:     0
    .vgpr_spill_count: 0
    .wavefront_size: 64
  - .agpr_count:     0
    .args:
      - .offset:         0
        .size:           64
        .value_kind:     by_value
      - .offset:         64
        .size:           4
        .value_kind:     hidden_block_count_x
      - .offset:         68
        .size:           4
        .value_kind:     hidden_block_count_y
      - .offset:         72
        .size:           4
        .value_kind:     hidden_block_count_z
      - .offset:         76
        .size:           2
        .value_kind:     hidden_group_size_x
      - .offset:         78
        .size:           2
        .value_kind:     hidden_group_size_y
      - .offset:         80
        .size:           2
        .value_kind:     hidden_group_size_z
      - .offset:         82
        .size:           2
        .value_kind:     hidden_remainder_x
      - .offset:         84
        .size:           2
        .value_kind:     hidden_remainder_y
      - .offset:         86
        .size:           2
        .value_kind:     hidden_remainder_z
      - .offset:         104
        .size:           8
        .value_kind:     hidden_global_offset_x
      - .offset:         112
        .size:           8
        .value_kind:     hidden_global_offset_y
      - .offset:         120
        .size:           8
        .value_kind:     hidden_global_offset_z
      - .offset:         128
        .size:           2
        .value_kind:     hidden_grid_dims
    .group_segment_fixed_size: 8448
    .kernarg_segment_align: 8
    .kernarg_segment_size: 320
    .language:       OpenCL C
    .language_version:
      - 2
      - 0
    .max_flat_workgroup_size: 256
    .name:           _ZN7rocprim17ROCPRIM_400000_NS6detail17trampoline_kernelINS0_14default_configENS1_38merge_sort_block_merge_config_selectorIyNS0_10empty_typeEEEZZNS1_27merge_sort_block_merge_implIS3_PyPS5_jNS1_19radix_merge_compareILb0ELb0EyNS0_19identity_decomposerEEEEE10hipError_tT0_T1_T2_jT3_P12ihipStream_tbPNSt15iterator_traitsISE_E10value_typeEPNSK_ISF_E10value_typeEPSG_NS1_7vsmem_tEENKUlT_SE_SF_SG_E_clIS8_S8_S9_S9_EESD_ST_SE_SF_SG_EUlST_E0_NS1_11comp_targetILNS1_3genE4ELNS1_11target_archE910ELNS1_3gpuE8ELNS1_3repE0EEENS1_38merge_mergepath_config_static_selectorELNS0_4arch9wavefront6targetE1EEEvSF_
    .private_segment_fixed_size: 0
    .sgpr_count:     27
    .sgpr_spill_count: 0
    .symbol:         _ZN7rocprim17ROCPRIM_400000_NS6detail17trampoline_kernelINS0_14default_configENS1_38merge_sort_block_merge_config_selectorIyNS0_10empty_typeEEEZZNS1_27merge_sort_block_merge_implIS3_PyPS5_jNS1_19radix_merge_compareILb0ELb0EyNS0_19identity_decomposerEEEEE10hipError_tT0_T1_T2_jT3_P12ihipStream_tbPNSt15iterator_traitsISE_E10value_typeEPNSK_ISF_E10value_typeEPSG_NS1_7vsmem_tEENKUlT_SE_SF_SG_E_clIS8_S8_S9_S9_EESD_ST_SE_SF_SG_EUlST_E0_NS1_11comp_targetILNS1_3genE4ELNS1_11target_archE910ELNS1_3gpuE8ELNS1_3repE0EEENS1_38merge_mergepath_config_static_selectorELNS0_4arch9wavefront6targetE1EEEvSF_.kd
    .uniform_work_group_size: 1
    .uses_dynamic_stack: false
    .vgpr_count:     21
    .vgpr_spill_count: 0
    .wavefront_size: 64
  - .agpr_count:     0
    .args:
      - .offset:         0
        .size:           64
        .value_kind:     by_value
    .group_segment_fixed_size: 0
    .kernarg_segment_align: 8
    .kernarg_segment_size: 64
    .language:       OpenCL C
    .language_version:
      - 2
      - 0
    .max_flat_workgroup_size: 128
    .name:           _ZN7rocprim17ROCPRIM_400000_NS6detail17trampoline_kernelINS0_14default_configENS1_38merge_sort_block_merge_config_selectorIyNS0_10empty_typeEEEZZNS1_27merge_sort_block_merge_implIS3_PyPS5_jNS1_19radix_merge_compareILb0ELb0EyNS0_19identity_decomposerEEEEE10hipError_tT0_T1_T2_jT3_P12ihipStream_tbPNSt15iterator_traitsISE_E10value_typeEPNSK_ISF_E10value_typeEPSG_NS1_7vsmem_tEENKUlT_SE_SF_SG_E_clIS8_S8_S9_S9_EESD_ST_SE_SF_SG_EUlST_E0_NS1_11comp_targetILNS1_3genE3ELNS1_11target_archE908ELNS1_3gpuE7ELNS1_3repE0EEENS1_38merge_mergepath_config_static_selectorELNS0_4arch9wavefront6targetE1EEEvSF_
    .private_segment_fixed_size: 0
    .sgpr_count:     4
    .sgpr_spill_count: 0
    .symbol:         _ZN7rocprim17ROCPRIM_400000_NS6detail17trampoline_kernelINS0_14default_configENS1_38merge_sort_block_merge_config_selectorIyNS0_10empty_typeEEEZZNS1_27merge_sort_block_merge_implIS3_PyPS5_jNS1_19radix_merge_compareILb0ELb0EyNS0_19identity_decomposerEEEEE10hipError_tT0_T1_T2_jT3_P12ihipStream_tbPNSt15iterator_traitsISE_E10value_typeEPNSK_ISF_E10value_typeEPSG_NS1_7vsmem_tEENKUlT_SE_SF_SG_E_clIS8_S8_S9_S9_EESD_ST_SE_SF_SG_EUlST_E0_NS1_11comp_targetILNS1_3genE3ELNS1_11target_archE908ELNS1_3gpuE7ELNS1_3repE0EEENS1_38merge_mergepath_config_static_selectorELNS0_4arch9wavefront6targetE1EEEvSF_.kd
    .uniform_work_group_size: 1
    .uses_dynamic_stack: false
    .vgpr_count:     0
    .vgpr_spill_count: 0
    .wavefront_size: 64
  - .agpr_count:     0
    .args:
      - .offset:         0
        .size:           64
        .value_kind:     by_value
    .group_segment_fixed_size: 0
    .kernarg_segment_align: 8
    .kernarg_segment_size: 64
    .language:       OpenCL C
    .language_version:
      - 2
      - 0
    .max_flat_workgroup_size: 256
    .name:           _ZN7rocprim17ROCPRIM_400000_NS6detail17trampoline_kernelINS0_14default_configENS1_38merge_sort_block_merge_config_selectorIyNS0_10empty_typeEEEZZNS1_27merge_sort_block_merge_implIS3_PyPS5_jNS1_19radix_merge_compareILb0ELb0EyNS0_19identity_decomposerEEEEE10hipError_tT0_T1_T2_jT3_P12ihipStream_tbPNSt15iterator_traitsISE_E10value_typeEPNSK_ISF_E10value_typeEPSG_NS1_7vsmem_tEENKUlT_SE_SF_SG_E_clIS8_S8_S9_S9_EESD_ST_SE_SF_SG_EUlST_E0_NS1_11comp_targetILNS1_3genE2ELNS1_11target_archE906ELNS1_3gpuE6ELNS1_3repE0EEENS1_38merge_mergepath_config_static_selectorELNS0_4arch9wavefront6targetE1EEEvSF_
    .private_segment_fixed_size: 0
    .sgpr_count:     4
    .sgpr_spill_count: 0
    .symbol:         _ZN7rocprim17ROCPRIM_400000_NS6detail17trampoline_kernelINS0_14default_configENS1_38merge_sort_block_merge_config_selectorIyNS0_10empty_typeEEEZZNS1_27merge_sort_block_merge_implIS3_PyPS5_jNS1_19radix_merge_compareILb0ELb0EyNS0_19identity_decomposerEEEEE10hipError_tT0_T1_T2_jT3_P12ihipStream_tbPNSt15iterator_traitsISE_E10value_typeEPNSK_ISF_E10value_typeEPSG_NS1_7vsmem_tEENKUlT_SE_SF_SG_E_clIS8_S8_S9_S9_EESD_ST_SE_SF_SG_EUlST_E0_NS1_11comp_targetILNS1_3genE2ELNS1_11target_archE906ELNS1_3gpuE6ELNS1_3repE0EEENS1_38merge_mergepath_config_static_selectorELNS0_4arch9wavefront6targetE1EEEvSF_.kd
    .uniform_work_group_size: 1
    .uses_dynamic_stack: false
    .vgpr_count:     0
    .vgpr_spill_count: 0
    .wavefront_size: 64
  - .agpr_count:     0
    .args:
      - .offset:         0
        .size:           64
        .value_kind:     by_value
    .group_segment_fixed_size: 0
    .kernarg_segment_align: 8
    .kernarg_segment_size: 64
    .language:       OpenCL C
    .language_version:
      - 2
      - 0
    .max_flat_workgroup_size: 512
    .name:           _ZN7rocprim17ROCPRIM_400000_NS6detail17trampoline_kernelINS0_14default_configENS1_38merge_sort_block_merge_config_selectorIyNS0_10empty_typeEEEZZNS1_27merge_sort_block_merge_implIS3_PyPS5_jNS1_19radix_merge_compareILb0ELb0EyNS0_19identity_decomposerEEEEE10hipError_tT0_T1_T2_jT3_P12ihipStream_tbPNSt15iterator_traitsISE_E10value_typeEPNSK_ISF_E10value_typeEPSG_NS1_7vsmem_tEENKUlT_SE_SF_SG_E_clIS8_S8_S9_S9_EESD_ST_SE_SF_SG_EUlST_E0_NS1_11comp_targetILNS1_3genE9ELNS1_11target_archE1100ELNS1_3gpuE3ELNS1_3repE0EEENS1_38merge_mergepath_config_static_selectorELNS0_4arch9wavefront6targetE1EEEvSF_
    .private_segment_fixed_size: 0
    .sgpr_count:     4
    .sgpr_spill_count: 0
    .symbol:         _ZN7rocprim17ROCPRIM_400000_NS6detail17trampoline_kernelINS0_14default_configENS1_38merge_sort_block_merge_config_selectorIyNS0_10empty_typeEEEZZNS1_27merge_sort_block_merge_implIS3_PyPS5_jNS1_19radix_merge_compareILb0ELb0EyNS0_19identity_decomposerEEEEE10hipError_tT0_T1_T2_jT3_P12ihipStream_tbPNSt15iterator_traitsISE_E10value_typeEPNSK_ISF_E10value_typeEPSG_NS1_7vsmem_tEENKUlT_SE_SF_SG_E_clIS8_S8_S9_S9_EESD_ST_SE_SF_SG_EUlST_E0_NS1_11comp_targetILNS1_3genE9ELNS1_11target_archE1100ELNS1_3gpuE3ELNS1_3repE0EEENS1_38merge_mergepath_config_static_selectorELNS0_4arch9wavefront6targetE1EEEvSF_.kd
    .uniform_work_group_size: 1
    .uses_dynamic_stack: false
    .vgpr_count:     0
    .vgpr_spill_count: 0
    .wavefront_size: 64
  - .agpr_count:     0
    .args:
      - .offset:         0
        .size:           64
        .value_kind:     by_value
    .group_segment_fixed_size: 0
    .kernarg_segment_align: 8
    .kernarg_segment_size: 64
    .language:       OpenCL C
    .language_version:
      - 2
      - 0
    .max_flat_workgroup_size: 1024
    .name:           _ZN7rocprim17ROCPRIM_400000_NS6detail17trampoline_kernelINS0_14default_configENS1_38merge_sort_block_merge_config_selectorIyNS0_10empty_typeEEEZZNS1_27merge_sort_block_merge_implIS3_PyPS5_jNS1_19radix_merge_compareILb0ELb0EyNS0_19identity_decomposerEEEEE10hipError_tT0_T1_T2_jT3_P12ihipStream_tbPNSt15iterator_traitsISE_E10value_typeEPNSK_ISF_E10value_typeEPSG_NS1_7vsmem_tEENKUlT_SE_SF_SG_E_clIS8_S8_S9_S9_EESD_ST_SE_SF_SG_EUlST_E0_NS1_11comp_targetILNS1_3genE8ELNS1_11target_archE1030ELNS1_3gpuE2ELNS1_3repE0EEENS1_38merge_mergepath_config_static_selectorELNS0_4arch9wavefront6targetE1EEEvSF_
    .private_segment_fixed_size: 0
    .sgpr_count:     4
    .sgpr_spill_count: 0
    .symbol:         _ZN7rocprim17ROCPRIM_400000_NS6detail17trampoline_kernelINS0_14default_configENS1_38merge_sort_block_merge_config_selectorIyNS0_10empty_typeEEEZZNS1_27merge_sort_block_merge_implIS3_PyPS5_jNS1_19radix_merge_compareILb0ELb0EyNS0_19identity_decomposerEEEEE10hipError_tT0_T1_T2_jT3_P12ihipStream_tbPNSt15iterator_traitsISE_E10value_typeEPNSK_ISF_E10value_typeEPSG_NS1_7vsmem_tEENKUlT_SE_SF_SG_E_clIS8_S8_S9_S9_EESD_ST_SE_SF_SG_EUlST_E0_NS1_11comp_targetILNS1_3genE8ELNS1_11target_archE1030ELNS1_3gpuE2ELNS1_3repE0EEENS1_38merge_mergepath_config_static_selectorELNS0_4arch9wavefront6targetE1EEEvSF_.kd
    .uniform_work_group_size: 1
    .uses_dynamic_stack: false
    .vgpr_count:     0
    .vgpr_spill_count: 0
    .wavefront_size: 64
  - .agpr_count:     0
    .args:
      - .offset:         0
        .size:           48
        .value_kind:     by_value
    .group_segment_fixed_size: 0
    .kernarg_segment_align: 8
    .kernarg_segment_size: 48
    .language:       OpenCL C
    .language_version:
      - 2
      - 0
    .max_flat_workgroup_size: 256
    .name:           _ZN7rocprim17ROCPRIM_400000_NS6detail17trampoline_kernelINS0_14default_configENS1_38merge_sort_block_merge_config_selectorIyNS0_10empty_typeEEEZZNS1_27merge_sort_block_merge_implIS3_PyPS5_jNS1_19radix_merge_compareILb0ELb0EyNS0_19identity_decomposerEEEEE10hipError_tT0_T1_T2_jT3_P12ihipStream_tbPNSt15iterator_traitsISE_E10value_typeEPNSK_ISF_E10value_typeEPSG_NS1_7vsmem_tEENKUlT_SE_SF_SG_E_clIS8_S8_S9_S9_EESD_ST_SE_SF_SG_EUlST_E1_NS1_11comp_targetILNS1_3genE0ELNS1_11target_archE4294967295ELNS1_3gpuE0ELNS1_3repE0EEENS1_36merge_oddeven_config_static_selectorELNS0_4arch9wavefront6targetE1EEEvSF_
    .private_segment_fixed_size: 0
    .sgpr_count:     4
    .sgpr_spill_count: 0
    .symbol:         _ZN7rocprim17ROCPRIM_400000_NS6detail17trampoline_kernelINS0_14default_configENS1_38merge_sort_block_merge_config_selectorIyNS0_10empty_typeEEEZZNS1_27merge_sort_block_merge_implIS3_PyPS5_jNS1_19radix_merge_compareILb0ELb0EyNS0_19identity_decomposerEEEEE10hipError_tT0_T1_T2_jT3_P12ihipStream_tbPNSt15iterator_traitsISE_E10value_typeEPNSK_ISF_E10value_typeEPSG_NS1_7vsmem_tEENKUlT_SE_SF_SG_E_clIS8_S8_S9_S9_EESD_ST_SE_SF_SG_EUlST_E1_NS1_11comp_targetILNS1_3genE0ELNS1_11target_archE4294967295ELNS1_3gpuE0ELNS1_3repE0EEENS1_36merge_oddeven_config_static_selectorELNS0_4arch9wavefront6targetE1EEEvSF_.kd
    .uniform_work_group_size: 1
    .uses_dynamic_stack: false
    .vgpr_count:     0
    .vgpr_spill_count: 0
    .wavefront_size: 64
  - .agpr_count:     0
    .args:
      - .offset:         0
        .size:           48
        .value_kind:     by_value
    .group_segment_fixed_size: 0
    .kernarg_segment_align: 8
    .kernarg_segment_size: 48
    .language:       OpenCL C
    .language_version:
      - 2
      - 0
    .max_flat_workgroup_size: 256
    .name:           _ZN7rocprim17ROCPRIM_400000_NS6detail17trampoline_kernelINS0_14default_configENS1_38merge_sort_block_merge_config_selectorIyNS0_10empty_typeEEEZZNS1_27merge_sort_block_merge_implIS3_PyPS5_jNS1_19radix_merge_compareILb0ELb0EyNS0_19identity_decomposerEEEEE10hipError_tT0_T1_T2_jT3_P12ihipStream_tbPNSt15iterator_traitsISE_E10value_typeEPNSK_ISF_E10value_typeEPSG_NS1_7vsmem_tEENKUlT_SE_SF_SG_E_clIS8_S8_S9_S9_EESD_ST_SE_SF_SG_EUlST_E1_NS1_11comp_targetILNS1_3genE10ELNS1_11target_archE1201ELNS1_3gpuE5ELNS1_3repE0EEENS1_36merge_oddeven_config_static_selectorELNS0_4arch9wavefront6targetE1EEEvSF_
    .private_segment_fixed_size: 0
    .sgpr_count:     4
    .sgpr_spill_count: 0
    .symbol:         _ZN7rocprim17ROCPRIM_400000_NS6detail17trampoline_kernelINS0_14default_configENS1_38merge_sort_block_merge_config_selectorIyNS0_10empty_typeEEEZZNS1_27merge_sort_block_merge_implIS3_PyPS5_jNS1_19radix_merge_compareILb0ELb0EyNS0_19identity_decomposerEEEEE10hipError_tT0_T1_T2_jT3_P12ihipStream_tbPNSt15iterator_traitsISE_E10value_typeEPNSK_ISF_E10value_typeEPSG_NS1_7vsmem_tEENKUlT_SE_SF_SG_E_clIS8_S8_S9_S9_EESD_ST_SE_SF_SG_EUlST_E1_NS1_11comp_targetILNS1_3genE10ELNS1_11target_archE1201ELNS1_3gpuE5ELNS1_3repE0EEENS1_36merge_oddeven_config_static_selectorELNS0_4arch9wavefront6targetE1EEEvSF_.kd
    .uniform_work_group_size: 1
    .uses_dynamic_stack: false
    .vgpr_count:     0
    .vgpr_spill_count: 0
    .wavefront_size: 64
  - .agpr_count:     0
    .args:
      - .offset:         0
        .size:           48
        .value_kind:     by_value
    .group_segment_fixed_size: 0
    .kernarg_segment_align: 8
    .kernarg_segment_size: 48
    .language:       OpenCL C
    .language_version:
      - 2
      - 0
    .max_flat_workgroup_size: 256
    .name:           _ZN7rocprim17ROCPRIM_400000_NS6detail17trampoline_kernelINS0_14default_configENS1_38merge_sort_block_merge_config_selectorIyNS0_10empty_typeEEEZZNS1_27merge_sort_block_merge_implIS3_PyPS5_jNS1_19radix_merge_compareILb0ELb0EyNS0_19identity_decomposerEEEEE10hipError_tT0_T1_T2_jT3_P12ihipStream_tbPNSt15iterator_traitsISE_E10value_typeEPNSK_ISF_E10value_typeEPSG_NS1_7vsmem_tEENKUlT_SE_SF_SG_E_clIS8_S8_S9_S9_EESD_ST_SE_SF_SG_EUlST_E1_NS1_11comp_targetILNS1_3genE5ELNS1_11target_archE942ELNS1_3gpuE9ELNS1_3repE0EEENS1_36merge_oddeven_config_static_selectorELNS0_4arch9wavefront6targetE1EEEvSF_
    .private_segment_fixed_size: 0
    .sgpr_count:     4
    .sgpr_spill_count: 0
    .symbol:         _ZN7rocprim17ROCPRIM_400000_NS6detail17trampoline_kernelINS0_14default_configENS1_38merge_sort_block_merge_config_selectorIyNS0_10empty_typeEEEZZNS1_27merge_sort_block_merge_implIS3_PyPS5_jNS1_19radix_merge_compareILb0ELb0EyNS0_19identity_decomposerEEEEE10hipError_tT0_T1_T2_jT3_P12ihipStream_tbPNSt15iterator_traitsISE_E10value_typeEPNSK_ISF_E10value_typeEPSG_NS1_7vsmem_tEENKUlT_SE_SF_SG_E_clIS8_S8_S9_S9_EESD_ST_SE_SF_SG_EUlST_E1_NS1_11comp_targetILNS1_3genE5ELNS1_11target_archE942ELNS1_3gpuE9ELNS1_3repE0EEENS1_36merge_oddeven_config_static_selectorELNS0_4arch9wavefront6targetE1EEEvSF_.kd
    .uniform_work_group_size: 1
    .uses_dynamic_stack: false
    .vgpr_count:     0
    .vgpr_spill_count: 0
    .wavefront_size: 64
  - .agpr_count:     0
    .args:
      - .offset:         0
        .size:           48
        .value_kind:     by_value
    .group_segment_fixed_size: 0
    .kernarg_segment_align: 8
    .kernarg_segment_size: 48
    .language:       OpenCL C
    .language_version:
      - 2
      - 0
    .max_flat_workgroup_size: 256
    .name:           _ZN7rocprim17ROCPRIM_400000_NS6detail17trampoline_kernelINS0_14default_configENS1_38merge_sort_block_merge_config_selectorIyNS0_10empty_typeEEEZZNS1_27merge_sort_block_merge_implIS3_PyPS5_jNS1_19radix_merge_compareILb0ELb0EyNS0_19identity_decomposerEEEEE10hipError_tT0_T1_T2_jT3_P12ihipStream_tbPNSt15iterator_traitsISE_E10value_typeEPNSK_ISF_E10value_typeEPSG_NS1_7vsmem_tEENKUlT_SE_SF_SG_E_clIS8_S8_S9_S9_EESD_ST_SE_SF_SG_EUlST_E1_NS1_11comp_targetILNS1_3genE4ELNS1_11target_archE910ELNS1_3gpuE8ELNS1_3repE0EEENS1_36merge_oddeven_config_static_selectorELNS0_4arch9wavefront6targetE1EEEvSF_
    .private_segment_fixed_size: 0
    .sgpr_count:     25
    .sgpr_spill_count: 0
    .symbol:         _ZN7rocprim17ROCPRIM_400000_NS6detail17trampoline_kernelINS0_14default_configENS1_38merge_sort_block_merge_config_selectorIyNS0_10empty_typeEEEZZNS1_27merge_sort_block_merge_implIS3_PyPS5_jNS1_19radix_merge_compareILb0ELb0EyNS0_19identity_decomposerEEEEE10hipError_tT0_T1_T2_jT3_P12ihipStream_tbPNSt15iterator_traitsISE_E10value_typeEPNSK_ISF_E10value_typeEPSG_NS1_7vsmem_tEENKUlT_SE_SF_SG_E_clIS8_S8_S9_S9_EESD_ST_SE_SF_SG_EUlST_E1_NS1_11comp_targetILNS1_3genE4ELNS1_11target_archE910ELNS1_3gpuE8ELNS1_3repE0EEENS1_36merge_oddeven_config_static_selectorELNS0_4arch9wavefront6targetE1EEEvSF_.kd
    .uniform_work_group_size: 1
    .uses_dynamic_stack: false
    .vgpr_count:     12
    .vgpr_spill_count: 0
    .wavefront_size: 64
  - .agpr_count:     0
    .args:
      - .offset:         0
        .size:           48
        .value_kind:     by_value
    .group_segment_fixed_size: 0
    .kernarg_segment_align: 8
    .kernarg_segment_size: 48
    .language:       OpenCL C
    .language_version:
      - 2
      - 0
    .max_flat_workgroup_size: 256
    .name:           _ZN7rocprim17ROCPRIM_400000_NS6detail17trampoline_kernelINS0_14default_configENS1_38merge_sort_block_merge_config_selectorIyNS0_10empty_typeEEEZZNS1_27merge_sort_block_merge_implIS3_PyPS5_jNS1_19radix_merge_compareILb0ELb0EyNS0_19identity_decomposerEEEEE10hipError_tT0_T1_T2_jT3_P12ihipStream_tbPNSt15iterator_traitsISE_E10value_typeEPNSK_ISF_E10value_typeEPSG_NS1_7vsmem_tEENKUlT_SE_SF_SG_E_clIS8_S8_S9_S9_EESD_ST_SE_SF_SG_EUlST_E1_NS1_11comp_targetILNS1_3genE3ELNS1_11target_archE908ELNS1_3gpuE7ELNS1_3repE0EEENS1_36merge_oddeven_config_static_selectorELNS0_4arch9wavefront6targetE1EEEvSF_
    .private_segment_fixed_size: 0
    .sgpr_count:     4
    .sgpr_spill_count: 0
    .symbol:         _ZN7rocprim17ROCPRIM_400000_NS6detail17trampoline_kernelINS0_14default_configENS1_38merge_sort_block_merge_config_selectorIyNS0_10empty_typeEEEZZNS1_27merge_sort_block_merge_implIS3_PyPS5_jNS1_19radix_merge_compareILb0ELb0EyNS0_19identity_decomposerEEEEE10hipError_tT0_T1_T2_jT3_P12ihipStream_tbPNSt15iterator_traitsISE_E10value_typeEPNSK_ISF_E10value_typeEPSG_NS1_7vsmem_tEENKUlT_SE_SF_SG_E_clIS8_S8_S9_S9_EESD_ST_SE_SF_SG_EUlST_E1_NS1_11comp_targetILNS1_3genE3ELNS1_11target_archE908ELNS1_3gpuE7ELNS1_3repE0EEENS1_36merge_oddeven_config_static_selectorELNS0_4arch9wavefront6targetE1EEEvSF_.kd
    .uniform_work_group_size: 1
    .uses_dynamic_stack: false
    .vgpr_count:     0
    .vgpr_spill_count: 0
    .wavefront_size: 64
  - .agpr_count:     0
    .args:
      - .offset:         0
        .size:           48
        .value_kind:     by_value
    .group_segment_fixed_size: 0
    .kernarg_segment_align: 8
    .kernarg_segment_size: 48
    .language:       OpenCL C
    .language_version:
      - 2
      - 0
    .max_flat_workgroup_size: 256
    .name:           _ZN7rocprim17ROCPRIM_400000_NS6detail17trampoline_kernelINS0_14default_configENS1_38merge_sort_block_merge_config_selectorIyNS0_10empty_typeEEEZZNS1_27merge_sort_block_merge_implIS3_PyPS5_jNS1_19radix_merge_compareILb0ELb0EyNS0_19identity_decomposerEEEEE10hipError_tT0_T1_T2_jT3_P12ihipStream_tbPNSt15iterator_traitsISE_E10value_typeEPNSK_ISF_E10value_typeEPSG_NS1_7vsmem_tEENKUlT_SE_SF_SG_E_clIS8_S8_S9_S9_EESD_ST_SE_SF_SG_EUlST_E1_NS1_11comp_targetILNS1_3genE2ELNS1_11target_archE906ELNS1_3gpuE6ELNS1_3repE0EEENS1_36merge_oddeven_config_static_selectorELNS0_4arch9wavefront6targetE1EEEvSF_
    .private_segment_fixed_size: 0
    .sgpr_count:     4
    .sgpr_spill_count: 0
    .symbol:         _ZN7rocprim17ROCPRIM_400000_NS6detail17trampoline_kernelINS0_14default_configENS1_38merge_sort_block_merge_config_selectorIyNS0_10empty_typeEEEZZNS1_27merge_sort_block_merge_implIS3_PyPS5_jNS1_19radix_merge_compareILb0ELb0EyNS0_19identity_decomposerEEEEE10hipError_tT0_T1_T2_jT3_P12ihipStream_tbPNSt15iterator_traitsISE_E10value_typeEPNSK_ISF_E10value_typeEPSG_NS1_7vsmem_tEENKUlT_SE_SF_SG_E_clIS8_S8_S9_S9_EESD_ST_SE_SF_SG_EUlST_E1_NS1_11comp_targetILNS1_3genE2ELNS1_11target_archE906ELNS1_3gpuE6ELNS1_3repE0EEENS1_36merge_oddeven_config_static_selectorELNS0_4arch9wavefront6targetE1EEEvSF_.kd
    .uniform_work_group_size: 1
    .uses_dynamic_stack: false
    .vgpr_count:     0
    .vgpr_spill_count: 0
    .wavefront_size: 64
  - .agpr_count:     0
    .args:
      - .offset:         0
        .size:           48
        .value_kind:     by_value
    .group_segment_fixed_size: 0
    .kernarg_segment_align: 8
    .kernarg_segment_size: 48
    .language:       OpenCL C
    .language_version:
      - 2
      - 0
    .max_flat_workgroup_size: 256
    .name:           _ZN7rocprim17ROCPRIM_400000_NS6detail17trampoline_kernelINS0_14default_configENS1_38merge_sort_block_merge_config_selectorIyNS0_10empty_typeEEEZZNS1_27merge_sort_block_merge_implIS3_PyPS5_jNS1_19radix_merge_compareILb0ELb0EyNS0_19identity_decomposerEEEEE10hipError_tT0_T1_T2_jT3_P12ihipStream_tbPNSt15iterator_traitsISE_E10value_typeEPNSK_ISF_E10value_typeEPSG_NS1_7vsmem_tEENKUlT_SE_SF_SG_E_clIS8_S8_S9_S9_EESD_ST_SE_SF_SG_EUlST_E1_NS1_11comp_targetILNS1_3genE9ELNS1_11target_archE1100ELNS1_3gpuE3ELNS1_3repE0EEENS1_36merge_oddeven_config_static_selectorELNS0_4arch9wavefront6targetE1EEEvSF_
    .private_segment_fixed_size: 0
    .sgpr_count:     4
    .sgpr_spill_count: 0
    .symbol:         _ZN7rocprim17ROCPRIM_400000_NS6detail17trampoline_kernelINS0_14default_configENS1_38merge_sort_block_merge_config_selectorIyNS0_10empty_typeEEEZZNS1_27merge_sort_block_merge_implIS3_PyPS5_jNS1_19radix_merge_compareILb0ELb0EyNS0_19identity_decomposerEEEEE10hipError_tT0_T1_T2_jT3_P12ihipStream_tbPNSt15iterator_traitsISE_E10value_typeEPNSK_ISF_E10value_typeEPSG_NS1_7vsmem_tEENKUlT_SE_SF_SG_E_clIS8_S8_S9_S9_EESD_ST_SE_SF_SG_EUlST_E1_NS1_11comp_targetILNS1_3genE9ELNS1_11target_archE1100ELNS1_3gpuE3ELNS1_3repE0EEENS1_36merge_oddeven_config_static_selectorELNS0_4arch9wavefront6targetE1EEEvSF_.kd
    .uniform_work_group_size: 1
    .uses_dynamic_stack: false
    .vgpr_count:     0
    .vgpr_spill_count: 0
    .wavefront_size: 64
  - .agpr_count:     0
    .args:
      - .offset:         0
        .size:           48
        .value_kind:     by_value
    .group_segment_fixed_size: 0
    .kernarg_segment_align: 8
    .kernarg_segment_size: 48
    .language:       OpenCL C
    .language_version:
      - 2
      - 0
    .max_flat_workgroup_size: 256
    .name:           _ZN7rocprim17ROCPRIM_400000_NS6detail17trampoline_kernelINS0_14default_configENS1_38merge_sort_block_merge_config_selectorIyNS0_10empty_typeEEEZZNS1_27merge_sort_block_merge_implIS3_PyPS5_jNS1_19radix_merge_compareILb0ELb0EyNS0_19identity_decomposerEEEEE10hipError_tT0_T1_T2_jT3_P12ihipStream_tbPNSt15iterator_traitsISE_E10value_typeEPNSK_ISF_E10value_typeEPSG_NS1_7vsmem_tEENKUlT_SE_SF_SG_E_clIS8_S8_S9_S9_EESD_ST_SE_SF_SG_EUlST_E1_NS1_11comp_targetILNS1_3genE8ELNS1_11target_archE1030ELNS1_3gpuE2ELNS1_3repE0EEENS1_36merge_oddeven_config_static_selectorELNS0_4arch9wavefront6targetE1EEEvSF_
    .private_segment_fixed_size: 0
    .sgpr_count:     4
    .sgpr_spill_count: 0
    .symbol:         _ZN7rocprim17ROCPRIM_400000_NS6detail17trampoline_kernelINS0_14default_configENS1_38merge_sort_block_merge_config_selectorIyNS0_10empty_typeEEEZZNS1_27merge_sort_block_merge_implIS3_PyPS5_jNS1_19radix_merge_compareILb0ELb0EyNS0_19identity_decomposerEEEEE10hipError_tT0_T1_T2_jT3_P12ihipStream_tbPNSt15iterator_traitsISE_E10value_typeEPNSK_ISF_E10value_typeEPSG_NS1_7vsmem_tEENKUlT_SE_SF_SG_E_clIS8_S8_S9_S9_EESD_ST_SE_SF_SG_EUlST_E1_NS1_11comp_targetILNS1_3genE8ELNS1_11target_archE1030ELNS1_3gpuE2ELNS1_3repE0EEENS1_36merge_oddeven_config_static_selectorELNS0_4arch9wavefront6targetE1EEEvSF_.kd
    .uniform_work_group_size: 1
    .uses_dynamic_stack: false
    .vgpr_count:     0
    .vgpr_spill_count: 0
    .wavefront_size: 64
  - .agpr_count:     0
    .args:
      - .offset:         0
        .size:           40
        .value_kind:     by_value
    .group_segment_fixed_size: 0
    .kernarg_segment_align: 8
    .kernarg_segment_size: 40
    .language:       OpenCL C
    .language_version:
      - 2
      - 0
    .max_flat_workgroup_size: 128
    .name:           _ZN7rocprim17ROCPRIM_400000_NS6detail17trampoline_kernelINS0_14default_configENS1_25transform_config_selectorIyLb1EEEZNS1_14transform_implILb1ES3_S5_PyS7_NS0_8identityIyEEEE10hipError_tT2_T3_mT4_P12ihipStream_tbEUlT_E_NS1_11comp_targetILNS1_3genE0ELNS1_11target_archE4294967295ELNS1_3gpuE0ELNS1_3repE0EEENS1_30default_config_static_selectorELNS0_4arch9wavefront6targetE1EEEvT1_
    .private_segment_fixed_size: 0
    .sgpr_count:     4
    .sgpr_spill_count: 0
    .symbol:         _ZN7rocprim17ROCPRIM_400000_NS6detail17trampoline_kernelINS0_14default_configENS1_25transform_config_selectorIyLb1EEEZNS1_14transform_implILb1ES3_S5_PyS7_NS0_8identityIyEEEE10hipError_tT2_T3_mT4_P12ihipStream_tbEUlT_E_NS1_11comp_targetILNS1_3genE0ELNS1_11target_archE4294967295ELNS1_3gpuE0ELNS1_3repE0EEENS1_30default_config_static_selectorELNS0_4arch9wavefront6targetE1EEEvT1_.kd
    .uniform_work_group_size: 1
    .uses_dynamic_stack: false
    .vgpr_count:     0
    .vgpr_spill_count: 0
    .wavefront_size: 64
  - .agpr_count:     0
    .args:
      - .offset:         0
        .size:           40
        .value_kind:     by_value
    .group_segment_fixed_size: 0
    .kernarg_segment_align: 8
    .kernarg_segment_size: 40
    .language:       OpenCL C
    .language_version:
      - 2
      - 0
    .max_flat_workgroup_size: 1024
    .name:           _ZN7rocprim17ROCPRIM_400000_NS6detail17trampoline_kernelINS0_14default_configENS1_25transform_config_selectorIyLb1EEEZNS1_14transform_implILb1ES3_S5_PyS7_NS0_8identityIyEEEE10hipError_tT2_T3_mT4_P12ihipStream_tbEUlT_E_NS1_11comp_targetILNS1_3genE10ELNS1_11target_archE1201ELNS1_3gpuE5ELNS1_3repE0EEENS1_30default_config_static_selectorELNS0_4arch9wavefront6targetE1EEEvT1_
    .private_segment_fixed_size: 0
    .sgpr_count:     4
    .sgpr_spill_count: 0
    .symbol:         _ZN7rocprim17ROCPRIM_400000_NS6detail17trampoline_kernelINS0_14default_configENS1_25transform_config_selectorIyLb1EEEZNS1_14transform_implILb1ES3_S5_PyS7_NS0_8identityIyEEEE10hipError_tT2_T3_mT4_P12ihipStream_tbEUlT_E_NS1_11comp_targetILNS1_3genE10ELNS1_11target_archE1201ELNS1_3gpuE5ELNS1_3repE0EEENS1_30default_config_static_selectorELNS0_4arch9wavefront6targetE1EEEvT1_.kd
    .uniform_work_group_size: 1
    .uses_dynamic_stack: false
    .vgpr_count:     0
    .vgpr_spill_count: 0
    .wavefront_size: 64
  - .agpr_count:     0
    .args:
      - .offset:         0
        .size:           40
        .value_kind:     by_value
    .group_segment_fixed_size: 0
    .kernarg_segment_align: 8
    .kernarg_segment_size: 40
    .language:       OpenCL C
    .language_version:
      - 2
      - 0
    .max_flat_workgroup_size: 512
    .name:           _ZN7rocprim17ROCPRIM_400000_NS6detail17trampoline_kernelINS0_14default_configENS1_25transform_config_selectorIyLb1EEEZNS1_14transform_implILb1ES3_S5_PyS7_NS0_8identityIyEEEE10hipError_tT2_T3_mT4_P12ihipStream_tbEUlT_E_NS1_11comp_targetILNS1_3genE5ELNS1_11target_archE942ELNS1_3gpuE9ELNS1_3repE0EEENS1_30default_config_static_selectorELNS0_4arch9wavefront6targetE1EEEvT1_
    .private_segment_fixed_size: 0
    .sgpr_count:     4
    .sgpr_spill_count: 0
    .symbol:         _ZN7rocprim17ROCPRIM_400000_NS6detail17trampoline_kernelINS0_14default_configENS1_25transform_config_selectorIyLb1EEEZNS1_14transform_implILb1ES3_S5_PyS7_NS0_8identityIyEEEE10hipError_tT2_T3_mT4_P12ihipStream_tbEUlT_E_NS1_11comp_targetILNS1_3genE5ELNS1_11target_archE942ELNS1_3gpuE9ELNS1_3repE0EEENS1_30default_config_static_selectorELNS0_4arch9wavefront6targetE1EEEvT1_.kd
    .uniform_work_group_size: 1
    .uses_dynamic_stack: false
    .vgpr_count:     0
    .vgpr_spill_count: 0
    .wavefront_size: 64
  - .agpr_count:     0
    .args:
      - .offset:         0
        .size:           40
        .value_kind:     by_value
      - .offset:         40
        .size:           4
        .value_kind:     hidden_block_count_x
      - .offset:         44
        .size:           4
        .value_kind:     hidden_block_count_y
      - .offset:         48
        .size:           4
        .value_kind:     hidden_block_count_z
      - .offset:         52
        .size:           2
        .value_kind:     hidden_group_size_x
      - .offset:         54
        .size:           2
        .value_kind:     hidden_group_size_y
      - .offset:         56
        .size:           2
        .value_kind:     hidden_group_size_z
      - .offset:         58
        .size:           2
        .value_kind:     hidden_remainder_x
      - .offset:         60
        .size:           2
        .value_kind:     hidden_remainder_y
      - .offset:         62
        .size:           2
        .value_kind:     hidden_remainder_z
      - .offset:         80
        .size:           8
        .value_kind:     hidden_global_offset_x
      - .offset:         88
        .size:           8
        .value_kind:     hidden_global_offset_y
      - .offset:         96
        .size:           8
        .value_kind:     hidden_global_offset_z
      - .offset:         104
        .size:           2
        .value_kind:     hidden_grid_dims
    .group_segment_fixed_size: 0
    .kernarg_segment_align: 8
    .kernarg_segment_size: 296
    .language:       OpenCL C
    .language_version:
      - 2
      - 0
    .max_flat_workgroup_size: 1024
    .name:           _ZN7rocprim17ROCPRIM_400000_NS6detail17trampoline_kernelINS0_14default_configENS1_25transform_config_selectorIyLb1EEEZNS1_14transform_implILb1ES3_S5_PyS7_NS0_8identityIyEEEE10hipError_tT2_T3_mT4_P12ihipStream_tbEUlT_E_NS1_11comp_targetILNS1_3genE4ELNS1_11target_archE910ELNS1_3gpuE8ELNS1_3repE0EEENS1_30default_config_static_selectorELNS0_4arch9wavefront6targetE1EEEvT1_
    .private_segment_fixed_size: 0
    .sgpr_count:     20
    .sgpr_spill_count: 0
    .symbol:         _ZN7rocprim17ROCPRIM_400000_NS6detail17trampoline_kernelINS0_14default_configENS1_25transform_config_selectorIyLb1EEEZNS1_14transform_implILb1ES3_S5_PyS7_NS0_8identityIyEEEE10hipError_tT2_T3_mT4_P12ihipStream_tbEUlT_E_NS1_11comp_targetILNS1_3genE4ELNS1_11target_archE910ELNS1_3gpuE8ELNS1_3repE0EEENS1_30default_config_static_selectorELNS0_4arch9wavefront6targetE1EEEvT1_.kd
    .uniform_work_group_size: 1
    .uses_dynamic_stack: false
    .vgpr_count:     7
    .vgpr_spill_count: 0
    .wavefront_size: 64
  - .agpr_count:     0
    .args:
      - .offset:         0
        .size:           40
        .value_kind:     by_value
    .group_segment_fixed_size: 0
    .kernarg_segment_align: 8
    .kernarg_segment_size: 40
    .language:       OpenCL C
    .language_version:
      - 2
      - 0
    .max_flat_workgroup_size: 128
    .name:           _ZN7rocprim17ROCPRIM_400000_NS6detail17trampoline_kernelINS0_14default_configENS1_25transform_config_selectorIyLb1EEEZNS1_14transform_implILb1ES3_S5_PyS7_NS0_8identityIyEEEE10hipError_tT2_T3_mT4_P12ihipStream_tbEUlT_E_NS1_11comp_targetILNS1_3genE3ELNS1_11target_archE908ELNS1_3gpuE7ELNS1_3repE0EEENS1_30default_config_static_selectorELNS0_4arch9wavefront6targetE1EEEvT1_
    .private_segment_fixed_size: 0
    .sgpr_count:     4
    .sgpr_spill_count: 0
    .symbol:         _ZN7rocprim17ROCPRIM_400000_NS6detail17trampoline_kernelINS0_14default_configENS1_25transform_config_selectorIyLb1EEEZNS1_14transform_implILb1ES3_S5_PyS7_NS0_8identityIyEEEE10hipError_tT2_T3_mT4_P12ihipStream_tbEUlT_E_NS1_11comp_targetILNS1_3genE3ELNS1_11target_archE908ELNS1_3gpuE7ELNS1_3repE0EEENS1_30default_config_static_selectorELNS0_4arch9wavefront6targetE1EEEvT1_.kd
    .uniform_work_group_size: 1
    .uses_dynamic_stack: false
    .vgpr_count:     0
    .vgpr_spill_count: 0
    .wavefront_size: 64
  - .agpr_count:     0
    .args:
      - .offset:         0
        .size:           40
        .value_kind:     by_value
    .group_segment_fixed_size: 0
    .kernarg_segment_align: 8
    .kernarg_segment_size: 40
    .language:       OpenCL C
    .language_version:
      - 2
      - 0
    .max_flat_workgroup_size: 512
    .name:           _ZN7rocprim17ROCPRIM_400000_NS6detail17trampoline_kernelINS0_14default_configENS1_25transform_config_selectorIyLb1EEEZNS1_14transform_implILb1ES3_S5_PyS7_NS0_8identityIyEEEE10hipError_tT2_T3_mT4_P12ihipStream_tbEUlT_E_NS1_11comp_targetILNS1_3genE2ELNS1_11target_archE906ELNS1_3gpuE6ELNS1_3repE0EEENS1_30default_config_static_selectorELNS0_4arch9wavefront6targetE1EEEvT1_
    .private_segment_fixed_size: 0
    .sgpr_count:     4
    .sgpr_spill_count: 0
    .symbol:         _ZN7rocprim17ROCPRIM_400000_NS6detail17trampoline_kernelINS0_14default_configENS1_25transform_config_selectorIyLb1EEEZNS1_14transform_implILb1ES3_S5_PyS7_NS0_8identityIyEEEE10hipError_tT2_T3_mT4_P12ihipStream_tbEUlT_E_NS1_11comp_targetILNS1_3genE2ELNS1_11target_archE906ELNS1_3gpuE6ELNS1_3repE0EEENS1_30default_config_static_selectorELNS0_4arch9wavefront6targetE1EEEvT1_.kd
    .uniform_work_group_size: 1
    .uses_dynamic_stack: false
    .vgpr_count:     0
    .vgpr_spill_count: 0
    .wavefront_size: 64
  - .agpr_count:     0
    .args:
      - .offset:         0
        .size:           40
        .value_kind:     by_value
    .group_segment_fixed_size: 0
    .kernarg_segment_align: 8
    .kernarg_segment_size: 40
    .language:       OpenCL C
    .language_version:
      - 2
      - 0
    .max_flat_workgroup_size: 1024
    .name:           _ZN7rocprim17ROCPRIM_400000_NS6detail17trampoline_kernelINS0_14default_configENS1_25transform_config_selectorIyLb1EEEZNS1_14transform_implILb1ES3_S5_PyS7_NS0_8identityIyEEEE10hipError_tT2_T3_mT4_P12ihipStream_tbEUlT_E_NS1_11comp_targetILNS1_3genE9ELNS1_11target_archE1100ELNS1_3gpuE3ELNS1_3repE0EEENS1_30default_config_static_selectorELNS0_4arch9wavefront6targetE1EEEvT1_
    .private_segment_fixed_size: 0
    .sgpr_count:     4
    .sgpr_spill_count: 0
    .symbol:         _ZN7rocprim17ROCPRIM_400000_NS6detail17trampoline_kernelINS0_14default_configENS1_25transform_config_selectorIyLb1EEEZNS1_14transform_implILb1ES3_S5_PyS7_NS0_8identityIyEEEE10hipError_tT2_T3_mT4_P12ihipStream_tbEUlT_E_NS1_11comp_targetILNS1_3genE9ELNS1_11target_archE1100ELNS1_3gpuE3ELNS1_3repE0EEENS1_30default_config_static_selectorELNS0_4arch9wavefront6targetE1EEEvT1_.kd
    .uniform_work_group_size: 1
    .uses_dynamic_stack: false
    .vgpr_count:     0
    .vgpr_spill_count: 0
    .wavefront_size: 64
  - .agpr_count:     0
    .args:
      - .offset:         0
        .size:           40
        .value_kind:     by_value
    .group_segment_fixed_size: 0
    .kernarg_segment_align: 8
    .kernarg_segment_size: 40
    .language:       OpenCL C
    .language_version:
      - 2
      - 0
    .max_flat_workgroup_size: 1024
    .name:           _ZN7rocprim17ROCPRIM_400000_NS6detail17trampoline_kernelINS0_14default_configENS1_25transform_config_selectorIyLb1EEEZNS1_14transform_implILb1ES3_S5_PyS7_NS0_8identityIyEEEE10hipError_tT2_T3_mT4_P12ihipStream_tbEUlT_E_NS1_11comp_targetILNS1_3genE8ELNS1_11target_archE1030ELNS1_3gpuE2ELNS1_3repE0EEENS1_30default_config_static_selectorELNS0_4arch9wavefront6targetE1EEEvT1_
    .private_segment_fixed_size: 0
    .sgpr_count:     4
    .sgpr_spill_count: 0
    .symbol:         _ZN7rocprim17ROCPRIM_400000_NS6detail17trampoline_kernelINS0_14default_configENS1_25transform_config_selectorIyLb1EEEZNS1_14transform_implILb1ES3_S5_PyS7_NS0_8identityIyEEEE10hipError_tT2_T3_mT4_P12ihipStream_tbEUlT_E_NS1_11comp_targetILNS1_3genE8ELNS1_11target_archE1030ELNS1_3gpuE2ELNS1_3repE0EEENS1_30default_config_static_selectorELNS0_4arch9wavefront6targetE1EEEvT1_.kd
    .uniform_work_group_size: 1
    .uses_dynamic_stack: false
    .vgpr_count:     0
    .vgpr_spill_count: 0
    .wavefront_size: 64
  - .agpr_count:     0
    .args:
      - .offset:         0
        .size:           40
        .value_kind:     by_value
    .group_segment_fixed_size: 0
    .kernarg_segment_align: 8
    .kernarg_segment_size: 40
    .language:       OpenCL C
    .language_version:
      - 2
      - 0
    .max_flat_workgroup_size: 128
    .name:           _ZN7rocprim17ROCPRIM_400000_NS6detail17trampoline_kernelINS0_14default_configENS1_38merge_sort_block_merge_config_selectorIyNS0_10empty_typeEEEZZNS1_27merge_sort_block_merge_implIS3_PyPS5_jNS1_19radix_merge_compareILb0ELb1EyNS0_19identity_decomposerEEEEE10hipError_tT0_T1_T2_jT3_P12ihipStream_tbPNSt15iterator_traitsISE_E10value_typeEPNSK_ISF_E10value_typeEPSG_NS1_7vsmem_tEENKUlT_SE_SF_SG_E_clIS8_S8_S9_S9_EESD_ST_SE_SF_SG_EUlST_E_NS1_11comp_targetILNS1_3genE0ELNS1_11target_archE4294967295ELNS1_3gpuE0ELNS1_3repE0EEENS1_48merge_mergepath_partition_config_static_selectorELNS0_4arch9wavefront6targetE1EEEvSF_
    .private_segment_fixed_size: 0
    .sgpr_count:     4
    .sgpr_spill_count: 0
    .symbol:         _ZN7rocprim17ROCPRIM_400000_NS6detail17trampoline_kernelINS0_14default_configENS1_38merge_sort_block_merge_config_selectorIyNS0_10empty_typeEEEZZNS1_27merge_sort_block_merge_implIS3_PyPS5_jNS1_19radix_merge_compareILb0ELb1EyNS0_19identity_decomposerEEEEE10hipError_tT0_T1_T2_jT3_P12ihipStream_tbPNSt15iterator_traitsISE_E10value_typeEPNSK_ISF_E10value_typeEPSG_NS1_7vsmem_tEENKUlT_SE_SF_SG_E_clIS8_S8_S9_S9_EESD_ST_SE_SF_SG_EUlST_E_NS1_11comp_targetILNS1_3genE0ELNS1_11target_archE4294967295ELNS1_3gpuE0ELNS1_3repE0EEENS1_48merge_mergepath_partition_config_static_selectorELNS0_4arch9wavefront6targetE1EEEvSF_.kd
    .uniform_work_group_size: 1
    .uses_dynamic_stack: false
    .vgpr_count:     0
    .vgpr_spill_count: 0
    .wavefront_size: 64
  - .agpr_count:     0
    .args:
      - .offset:         0
        .size:           40
        .value_kind:     by_value
    .group_segment_fixed_size: 0
    .kernarg_segment_align: 8
    .kernarg_segment_size: 40
    .language:       OpenCL C
    .language_version:
      - 2
      - 0
    .max_flat_workgroup_size: 128
    .name:           _ZN7rocprim17ROCPRIM_400000_NS6detail17trampoline_kernelINS0_14default_configENS1_38merge_sort_block_merge_config_selectorIyNS0_10empty_typeEEEZZNS1_27merge_sort_block_merge_implIS3_PyPS5_jNS1_19radix_merge_compareILb0ELb1EyNS0_19identity_decomposerEEEEE10hipError_tT0_T1_T2_jT3_P12ihipStream_tbPNSt15iterator_traitsISE_E10value_typeEPNSK_ISF_E10value_typeEPSG_NS1_7vsmem_tEENKUlT_SE_SF_SG_E_clIS8_S8_S9_S9_EESD_ST_SE_SF_SG_EUlST_E_NS1_11comp_targetILNS1_3genE10ELNS1_11target_archE1201ELNS1_3gpuE5ELNS1_3repE0EEENS1_48merge_mergepath_partition_config_static_selectorELNS0_4arch9wavefront6targetE1EEEvSF_
    .private_segment_fixed_size: 0
    .sgpr_count:     4
    .sgpr_spill_count: 0
    .symbol:         _ZN7rocprim17ROCPRIM_400000_NS6detail17trampoline_kernelINS0_14default_configENS1_38merge_sort_block_merge_config_selectorIyNS0_10empty_typeEEEZZNS1_27merge_sort_block_merge_implIS3_PyPS5_jNS1_19radix_merge_compareILb0ELb1EyNS0_19identity_decomposerEEEEE10hipError_tT0_T1_T2_jT3_P12ihipStream_tbPNSt15iterator_traitsISE_E10value_typeEPNSK_ISF_E10value_typeEPSG_NS1_7vsmem_tEENKUlT_SE_SF_SG_E_clIS8_S8_S9_S9_EESD_ST_SE_SF_SG_EUlST_E_NS1_11comp_targetILNS1_3genE10ELNS1_11target_archE1201ELNS1_3gpuE5ELNS1_3repE0EEENS1_48merge_mergepath_partition_config_static_selectorELNS0_4arch9wavefront6targetE1EEEvSF_.kd
    .uniform_work_group_size: 1
    .uses_dynamic_stack: false
    .vgpr_count:     0
    .vgpr_spill_count: 0
    .wavefront_size: 64
  - .agpr_count:     0
    .args:
      - .offset:         0
        .size:           40
        .value_kind:     by_value
    .group_segment_fixed_size: 0
    .kernarg_segment_align: 8
    .kernarg_segment_size: 40
    .language:       OpenCL C
    .language_version:
      - 2
      - 0
    .max_flat_workgroup_size: 128
    .name:           _ZN7rocprim17ROCPRIM_400000_NS6detail17trampoline_kernelINS0_14default_configENS1_38merge_sort_block_merge_config_selectorIyNS0_10empty_typeEEEZZNS1_27merge_sort_block_merge_implIS3_PyPS5_jNS1_19radix_merge_compareILb0ELb1EyNS0_19identity_decomposerEEEEE10hipError_tT0_T1_T2_jT3_P12ihipStream_tbPNSt15iterator_traitsISE_E10value_typeEPNSK_ISF_E10value_typeEPSG_NS1_7vsmem_tEENKUlT_SE_SF_SG_E_clIS8_S8_S9_S9_EESD_ST_SE_SF_SG_EUlST_E_NS1_11comp_targetILNS1_3genE5ELNS1_11target_archE942ELNS1_3gpuE9ELNS1_3repE0EEENS1_48merge_mergepath_partition_config_static_selectorELNS0_4arch9wavefront6targetE1EEEvSF_
    .private_segment_fixed_size: 0
    .sgpr_count:     4
    .sgpr_spill_count: 0
    .symbol:         _ZN7rocprim17ROCPRIM_400000_NS6detail17trampoline_kernelINS0_14default_configENS1_38merge_sort_block_merge_config_selectorIyNS0_10empty_typeEEEZZNS1_27merge_sort_block_merge_implIS3_PyPS5_jNS1_19radix_merge_compareILb0ELb1EyNS0_19identity_decomposerEEEEE10hipError_tT0_T1_T2_jT3_P12ihipStream_tbPNSt15iterator_traitsISE_E10value_typeEPNSK_ISF_E10value_typeEPSG_NS1_7vsmem_tEENKUlT_SE_SF_SG_E_clIS8_S8_S9_S9_EESD_ST_SE_SF_SG_EUlST_E_NS1_11comp_targetILNS1_3genE5ELNS1_11target_archE942ELNS1_3gpuE9ELNS1_3repE0EEENS1_48merge_mergepath_partition_config_static_selectorELNS0_4arch9wavefront6targetE1EEEvSF_.kd
    .uniform_work_group_size: 1
    .uses_dynamic_stack: false
    .vgpr_count:     0
    .vgpr_spill_count: 0
    .wavefront_size: 64
  - .agpr_count:     0
    .args:
      - .offset:         0
        .size:           40
        .value_kind:     by_value
    .group_segment_fixed_size: 0
    .kernarg_segment_align: 8
    .kernarg_segment_size: 40
    .language:       OpenCL C
    .language_version:
      - 2
      - 0
    .max_flat_workgroup_size: 128
    .name:           _ZN7rocprim17ROCPRIM_400000_NS6detail17trampoline_kernelINS0_14default_configENS1_38merge_sort_block_merge_config_selectorIyNS0_10empty_typeEEEZZNS1_27merge_sort_block_merge_implIS3_PyPS5_jNS1_19radix_merge_compareILb0ELb1EyNS0_19identity_decomposerEEEEE10hipError_tT0_T1_T2_jT3_P12ihipStream_tbPNSt15iterator_traitsISE_E10value_typeEPNSK_ISF_E10value_typeEPSG_NS1_7vsmem_tEENKUlT_SE_SF_SG_E_clIS8_S8_S9_S9_EESD_ST_SE_SF_SG_EUlST_E_NS1_11comp_targetILNS1_3genE4ELNS1_11target_archE910ELNS1_3gpuE8ELNS1_3repE0EEENS1_48merge_mergepath_partition_config_static_selectorELNS0_4arch9wavefront6targetE1EEEvSF_
    .private_segment_fixed_size: 0
    .sgpr_count:     14
    .sgpr_spill_count: 0
    .symbol:         _ZN7rocprim17ROCPRIM_400000_NS6detail17trampoline_kernelINS0_14default_configENS1_38merge_sort_block_merge_config_selectorIyNS0_10empty_typeEEEZZNS1_27merge_sort_block_merge_implIS3_PyPS5_jNS1_19radix_merge_compareILb0ELb1EyNS0_19identity_decomposerEEEEE10hipError_tT0_T1_T2_jT3_P12ihipStream_tbPNSt15iterator_traitsISE_E10value_typeEPNSK_ISF_E10value_typeEPSG_NS1_7vsmem_tEENKUlT_SE_SF_SG_E_clIS8_S8_S9_S9_EESD_ST_SE_SF_SG_EUlST_E_NS1_11comp_targetILNS1_3genE4ELNS1_11target_archE910ELNS1_3gpuE8ELNS1_3repE0EEENS1_48merge_mergepath_partition_config_static_selectorELNS0_4arch9wavefront6targetE1EEEvSF_.kd
    .uniform_work_group_size: 1
    .uses_dynamic_stack: false
    .vgpr_count:     16
    .vgpr_spill_count: 0
    .wavefront_size: 64
  - .agpr_count:     0
    .args:
      - .offset:         0
        .size:           40
        .value_kind:     by_value
    .group_segment_fixed_size: 0
    .kernarg_segment_align: 8
    .kernarg_segment_size: 40
    .language:       OpenCL C
    .language_version:
      - 2
      - 0
    .max_flat_workgroup_size: 128
    .name:           _ZN7rocprim17ROCPRIM_400000_NS6detail17trampoline_kernelINS0_14default_configENS1_38merge_sort_block_merge_config_selectorIyNS0_10empty_typeEEEZZNS1_27merge_sort_block_merge_implIS3_PyPS5_jNS1_19radix_merge_compareILb0ELb1EyNS0_19identity_decomposerEEEEE10hipError_tT0_T1_T2_jT3_P12ihipStream_tbPNSt15iterator_traitsISE_E10value_typeEPNSK_ISF_E10value_typeEPSG_NS1_7vsmem_tEENKUlT_SE_SF_SG_E_clIS8_S8_S9_S9_EESD_ST_SE_SF_SG_EUlST_E_NS1_11comp_targetILNS1_3genE3ELNS1_11target_archE908ELNS1_3gpuE7ELNS1_3repE0EEENS1_48merge_mergepath_partition_config_static_selectorELNS0_4arch9wavefront6targetE1EEEvSF_
    .private_segment_fixed_size: 0
    .sgpr_count:     4
    .sgpr_spill_count: 0
    .symbol:         _ZN7rocprim17ROCPRIM_400000_NS6detail17trampoline_kernelINS0_14default_configENS1_38merge_sort_block_merge_config_selectorIyNS0_10empty_typeEEEZZNS1_27merge_sort_block_merge_implIS3_PyPS5_jNS1_19radix_merge_compareILb0ELb1EyNS0_19identity_decomposerEEEEE10hipError_tT0_T1_T2_jT3_P12ihipStream_tbPNSt15iterator_traitsISE_E10value_typeEPNSK_ISF_E10value_typeEPSG_NS1_7vsmem_tEENKUlT_SE_SF_SG_E_clIS8_S8_S9_S9_EESD_ST_SE_SF_SG_EUlST_E_NS1_11comp_targetILNS1_3genE3ELNS1_11target_archE908ELNS1_3gpuE7ELNS1_3repE0EEENS1_48merge_mergepath_partition_config_static_selectorELNS0_4arch9wavefront6targetE1EEEvSF_.kd
    .uniform_work_group_size: 1
    .uses_dynamic_stack: false
    .vgpr_count:     0
    .vgpr_spill_count: 0
    .wavefront_size: 64
  - .agpr_count:     0
    .args:
      - .offset:         0
        .size:           40
        .value_kind:     by_value
    .group_segment_fixed_size: 0
    .kernarg_segment_align: 8
    .kernarg_segment_size: 40
    .language:       OpenCL C
    .language_version:
      - 2
      - 0
    .max_flat_workgroup_size: 128
    .name:           _ZN7rocprim17ROCPRIM_400000_NS6detail17trampoline_kernelINS0_14default_configENS1_38merge_sort_block_merge_config_selectorIyNS0_10empty_typeEEEZZNS1_27merge_sort_block_merge_implIS3_PyPS5_jNS1_19radix_merge_compareILb0ELb1EyNS0_19identity_decomposerEEEEE10hipError_tT0_T1_T2_jT3_P12ihipStream_tbPNSt15iterator_traitsISE_E10value_typeEPNSK_ISF_E10value_typeEPSG_NS1_7vsmem_tEENKUlT_SE_SF_SG_E_clIS8_S8_S9_S9_EESD_ST_SE_SF_SG_EUlST_E_NS1_11comp_targetILNS1_3genE2ELNS1_11target_archE906ELNS1_3gpuE6ELNS1_3repE0EEENS1_48merge_mergepath_partition_config_static_selectorELNS0_4arch9wavefront6targetE1EEEvSF_
    .private_segment_fixed_size: 0
    .sgpr_count:     4
    .sgpr_spill_count: 0
    .symbol:         _ZN7rocprim17ROCPRIM_400000_NS6detail17trampoline_kernelINS0_14default_configENS1_38merge_sort_block_merge_config_selectorIyNS0_10empty_typeEEEZZNS1_27merge_sort_block_merge_implIS3_PyPS5_jNS1_19radix_merge_compareILb0ELb1EyNS0_19identity_decomposerEEEEE10hipError_tT0_T1_T2_jT3_P12ihipStream_tbPNSt15iterator_traitsISE_E10value_typeEPNSK_ISF_E10value_typeEPSG_NS1_7vsmem_tEENKUlT_SE_SF_SG_E_clIS8_S8_S9_S9_EESD_ST_SE_SF_SG_EUlST_E_NS1_11comp_targetILNS1_3genE2ELNS1_11target_archE906ELNS1_3gpuE6ELNS1_3repE0EEENS1_48merge_mergepath_partition_config_static_selectorELNS0_4arch9wavefront6targetE1EEEvSF_.kd
    .uniform_work_group_size: 1
    .uses_dynamic_stack: false
    .vgpr_count:     0
    .vgpr_spill_count: 0
    .wavefront_size: 64
  - .agpr_count:     0
    .args:
      - .offset:         0
        .size:           40
        .value_kind:     by_value
    .group_segment_fixed_size: 0
    .kernarg_segment_align: 8
    .kernarg_segment_size: 40
    .language:       OpenCL C
    .language_version:
      - 2
      - 0
    .max_flat_workgroup_size: 128
    .name:           _ZN7rocprim17ROCPRIM_400000_NS6detail17trampoline_kernelINS0_14default_configENS1_38merge_sort_block_merge_config_selectorIyNS0_10empty_typeEEEZZNS1_27merge_sort_block_merge_implIS3_PyPS5_jNS1_19radix_merge_compareILb0ELb1EyNS0_19identity_decomposerEEEEE10hipError_tT0_T1_T2_jT3_P12ihipStream_tbPNSt15iterator_traitsISE_E10value_typeEPNSK_ISF_E10value_typeEPSG_NS1_7vsmem_tEENKUlT_SE_SF_SG_E_clIS8_S8_S9_S9_EESD_ST_SE_SF_SG_EUlST_E_NS1_11comp_targetILNS1_3genE9ELNS1_11target_archE1100ELNS1_3gpuE3ELNS1_3repE0EEENS1_48merge_mergepath_partition_config_static_selectorELNS0_4arch9wavefront6targetE1EEEvSF_
    .private_segment_fixed_size: 0
    .sgpr_count:     4
    .sgpr_spill_count: 0
    .symbol:         _ZN7rocprim17ROCPRIM_400000_NS6detail17trampoline_kernelINS0_14default_configENS1_38merge_sort_block_merge_config_selectorIyNS0_10empty_typeEEEZZNS1_27merge_sort_block_merge_implIS3_PyPS5_jNS1_19radix_merge_compareILb0ELb1EyNS0_19identity_decomposerEEEEE10hipError_tT0_T1_T2_jT3_P12ihipStream_tbPNSt15iterator_traitsISE_E10value_typeEPNSK_ISF_E10value_typeEPSG_NS1_7vsmem_tEENKUlT_SE_SF_SG_E_clIS8_S8_S9_S9_EESD_ST_SE_SF_SG_EUlST_E_NS1_11comp_targetILNS1_3genE9ELNS1_11target_archE1100ELNS1_3gpuE3ELNS1_3repE0EEENS1_48merge_mergepath_partition_config_static_selectorELNS0_4arch9wavefront6targetE1EEEvSF_.kd
    .uniform_work_group_size: 1
    .uses_dynamic_stack: false
    .vgpr_count:     0
    .vgpr_spill_count: 0
    .wavefront_size: 64
  - .agpr_count:     0
    .args:
      - .offset:         0
        .size:           40
        .value_kind:     by_value
    .group_segment_fixed_size: 0
    .kernarg_segment_align: 8
    .kernarg_segment_size: 40
    .language:       OpenCL C
    .language_version:
      - 2
      - 0
    .max_flat_workgroup_size: 128
    .name:           _ZN7rocprim17ROCPRIM_400000_NS6detail17trampoline_kernelINS0_14default_configENS1_38merge_sort_block_merge_config_selectorIyNS0_10empty_typeEEEZZNS1_27merge_sort_block_merge_implIS3_PyPS5_jNS1_19radix_merge_compareILb0ELb1EyNS0_19identity_decomposerEEEEE10hipError_tT0_T1_T2_jT3_P12ihipStream_tbPNSt15iterator_traitsISE_E10value_typeEPNSK_ISF_E10value_typeEPSG_NS1_7vsmem_tEENKUlT_SE_SF_SG_E_clIS8_S8_S9_S9_EESD_ST_SE_SF_SG_EUlST_E_NS1_11comp_targetILNS1_3genE8ELNS1_11target_archE1030ELNS1_3gpuE2ELNS1_3repE0EEENS1_48merge_mergepath_partition_config_static_selectorELNS0_4arch9wavefront6targetE1EEEvSF_
    .private_segment_fixed_size: 0
    .sgpr_count:     4
    .sgpr_spill_count: 0
    .symbol:         _ZN7rocprim17ROCPRIM_400000_NS6detail17trampoline_kernelINS0_14default_configENS1_38merge_sort_block_merge_config_selectorIyNS0_10empty_typeEEEZZNS1_27merge_sort_block_merge_implIS3_PyPS5_jNS1_19radix_merge_compareILb0ELb1EyNS0_19identity_decomposerEEEEE10hipError_tT0_T1_T2_jT3_P12ihipStream_tbPNSt15iterator_traitsISE_E10value_typeEPNSK_ISF_E10value_typeEPSG_NS1_7vsmem_tEENKUlT_SE_SF_SG_E_clIS8_S8_S9_S9_EESD_ST_SE_SF_SG_EUlST_E_NS1_11comp_targetILNS1_3genE8ELNS1_11target_archE1030ELNS1_3gpuE2ELNS1_3repE0EEENS1_48merge_mergepath_partition_config_static_selectorELNS0_4arch9wavefront6targetE1EEEvSF_.kd
    .uniform_work_group_size: 1
    .uses_dynamic_stack: false
    .vgpr_count:     0
    .vgpr_spill_count: 0
    .wavefront_size: 64
  - .agpr_count:     0
    .args:
      - .offset:         0
        .size:           72
        .value_kind:     by_value
    .group_segment_fixed_size: 0
    .kernarg_segment_align: 8
    .kernarg_segment_size: 72
    .language:       OpenCL C
    .language_version:
      - 2
      - 0
    .max_flat_workgroup_size: 128
    .name:           _ZN7rocprim17ROCPRIM_400000_NS6detail17trampoline_kernelINS0_14default_configENS1_38merge_sort_block_merge_config_selectorIyNS0_10empty_typeEEEZZNS1_27merge_sort_block_merge_implIS3_PyPS5_jNS1_19radix_merge_compareILb0ELb1EyNS0_19identity_decomposerEEEEE10hipError_tT0_T1_T2_jT3_P12ihipStream_tbPNSt15iterator_traitsISE_E10value_typeEPNSK_ISF_E10value_typeEPSG_NS1_7vsmem_tEENKUlT_SE_SF_SG_E_clIS8_S8_S9_S9_EESD_ST_SE_SF_SG_EUlST_E0_NS1_11comp_targetILNS1_3genE0ELNS1_11target_archE4294967295ELNS1_3gpuE0ELNS1_3repE0EEENS1_38merge_mergepath_config_static_selectorELNS0_4arch9wavefront6targetE1EEEvSF_
    .private_segment_fixed_size: 0
    .sgpr_count:     4
    .sgpr_spill_count: 0
    .symbol:         _ZN7rocprim17ROCPRIM_400000_NS6detail17trampoline_kernelINS0_14default_configENS1_38merge_sort_block_merge_config_selectorIyNS0_10empty_typeEEEZZNS1_27merge_sort_block_merge_implIS3_PyPS5_jNS1_19radix_merge_compareILb0ELb1EyNS0_19identity_decomposerEEEEE10hipError_tT0_T1_T2_jT3_P12ihipStream_tbPNSt15iterator_traitsISE_E10value_typeEPNSK_ISF_E10value_typeEPSG_NS1_7vsmem_tEENKUlT_SE_SF_SG_E_clIS8_S8_S9_S9_EESD_ST_SE_SF_SG_EUlST_E0_NS1_11comp_targetILNS1_3genE0ELNS1_11target_archE4294967295ELNS1_3gpuE0ELNS1_3repE0EEENS1_38merge_mergepath_config_static_selectorELNS0_4arch9wavefront6targetE1EEEvSF_.kd
    .uniform_work_group_size: 1
    .uses_dynamic_stack: false
    .vgpr_count:     0
    .vgpr_spill_count: 0
    .wavefront_size: 64
  - .agpr_count:     0
    .args:
      - .offset:         0
        .size:           72
        .value_kind:     by_value
    .group_segment_fixed_size: 0
    .kernarg_segment_align: 8
    .kernarg_segment_size: 72
    .language:       OpenCL C
    .language_version:
      - 2
      - 0
    .max_flat_workgroup_size: 512
    .name:           _ZN7rocprim17ROCPRIM_400000_NS6detail17trampoline_kernelINS0_14default_configENS1_38merge_sort_block_merge_config_selectorIyNS0_10empty_typeEEEZZNS1_27merge_sort_block_merge_implIS3_PyPS5_jNS1_19radix_merge_compareILb0ELb1EyNS0_19identity_decomposerEEEEE10hipError_tT0_T1_T2_jT3_P12ihipStream_tbPNSt15iterator_traitsISE_E10value_typeEPNSK_ISF_E10value_typeEPSG_NS1_7vsmem_tEENKUlT_SE_SF_SG_E_clIS8_S8_S9_S9_EESD_ST_SE_SF_SG_EUlST_E0_NS1_11comp_targetILNS1_3genE10ELNS1_11target_archE1201ELNS1_3gpuE5ELNS1_3repE0EEENS1_38merge_mergepath_config_static_selectorELNS0_4arch9wavefront6targetE1EEEvSF_
    .private_segment_fixed_size: 0
    .sgpr_count:     4
    .sgpr_spill_count: 0
    .symbol:         _ZN7rocprim17ROCPRIM_400000_NS6detail17trampoline_kernelINS0_14default_configENS1_38merge_sort_block_merge_config_selectorIyNS0_10empty_typeEEEZZNS1_27merge_sort_block_merge_implIS3_PyPS5_jNS1_19radix_merge_compareILb0ELb1EyNS0_19identity_decomposerEEEEE10hipError_tT0_T1_T2_jT3_P12ihipStream_tbPNSt15iterator_traitsISE_E10value_typeEPNSK_ISF_E10value_typeEPSG_NS1_7vsmem_tEENKUlT_SE_SF_SG_E_clIS8_S8_S9_S9_EESD_ST_SE_SF_SG_EUlST_E0_NS1_11comp_targetILNS1_3genE10ELNS1_11target_archE1201ELNS1_3gpuE5ELNS1_3repE0EEENS1_38merge_mergepath_config_static_selectorELNS0_4arch9wavefront6targetE1EEEvSF_.kd
    .uniform_work_group_size: 1
    .uses_dynamic_stack: false
    .vgpr_count:     0
    .vgpr_spill_count: 0
    .wavefront_size: 64
  - .agpr_count:     0
    .args:
      - .offset:         0
        .size:           72
        .value_kind:     by_value
    .group_segment_fixed_size: 0
    .kernarg_segment_align: 8
    .kernarg_segment_size: 72
    .language:       OpenCL C
    .language_version:
      - 2
      - 0
    .max_flat_workgroup_size: 128
    .name:           _ZN7rocprim17ROCPRIM_400000_NS6detail17trampoline_kernelINS0_14default_configENS1_38merge_sort_block_merge_config_selectorIyNS0_10empty_typeEEEZZNS1_27merge_sort_block_merge_implIS3_PyPS5_jNS1_19radix_merge_compareILb0ELb1EyNS0_19identity_decomposerEEEEE10hipError_tT0_T1_T2_jT3_P12ihipStream_tbPNSt15iterator_traitsISE_E10value_typeEPNSK_ISF_E10value_typeEPSG_NS1_7vsmem_tEENKUlT_SE_SF_SG_E_clIS8_S8_S9_S9_EESD_ST_SE_SF_SG_EUlST_E0_NS1_11comp_targetILNS1_3genE5ELNS1_11target_archE942ELNS1_3gpuE9ELNS1_3repE0EEENS1_38merge_mergepath_config_static_selectorELNS0_4arch9wavefront6targetE1EEEvSF_
    .private_segment_fixed_size: 0
    .sgpr_count:     4
    .sgpr_spill_count: 0
    .symbol:         _ZN7rocprim17ROCPRIM_400000_NS6detail17trampoline_kernelINS0_14default_configENS1_38merge_sort_block_merge_config_selectorIyNS0_10empty_typeEEEZZNS1_27merge_sort_block_merge_implIS3_PyPS5_jNS1_19radix_merge_compareILb0ELb1EyNS0_19identity_decomposerEEEEE10hipError_tT0_T1_T2_jT3_P12ihipStream_tbPNSt15iterator_traitsISE_E10value_typeEPNSK_ISF_E10value_typeEPSG_NS1_7vsmem_tEENKUlT_SE_SF_SG_E_clIS8_S8_S9_S9_EESD_ST_SE_SF_SG_EUlST_E0_NS1_11comp_targetILNS1_3genE5ELNS1_11target_archE942ELNS1_3gpuE9ELNS1_3repE0EEENS1_38merge_mergepath_config_static_selectorELNS0_4arch9wavefront6targetE1EEEvSF_.kd
    .uniform_work_group_size: 1
    .uses_dynamic_stack: false
    .vgpr_count:     0
    .vgpr_spill_count: 0
    .wavefront_size: 64
  - .agpr_count:     0
    .args:
      - .offset:         0
        .size:           72
        .value_kind:     by_value
      - .offset:         72
        .size:           4
        .value_kind:     hidden_block_count_x
      - .offset:         76
        .size:           4
        .value_kind:     hidden_block_count_y
      - .offset:         80
        .size:           4
        .value_kind:     hidden_block_count_z
      - .offset:         84
        .size:           2
        .value_kind:     hidden_group_size_x
      - .offset:         86
        .size:           2
        .value_kind:     hidden_group_size_y
      - .offset:         88
        .size:           2
        .value_kind:     hidden_group_size_z
      - .offset:         90
        .size:           2
        .value_kind:     hidden_remainder_x
      - .offset:         92
        .size:           2
        .value_kind:     hidden_remainder_y
      - .offset:         94
        .size:           2
        .value_kind:     hidden_remainder_z
      - .offset:         112
        .size:           8
        .value_kind:     hidden_global_offset_x
      - .offset:         120
        .size:           8
        .value_kind:     hidden_global_offset_y
      - .offset:         128
        .size:           8
        .value_kind:     hidden_global_offset_z
      - .offset:         136
        .size:           2
        .value_kind:     hidden_grid_dims
    .group_segment_fixed_size: 8448
    .kernarg_segment_align: 8
    .kernarg_segment_size: 328
    .language:       OpenCL C
    .language_version:
      - 2
      - 0
    .max_flat_workgroup_size: 256
    .name:           _ZN7rocprim17ROCPRIM_400000_NS6detail17trampoline_kernelINS0_14default_configENS1_38merge_sort_block_merge_config_selectorIyNS0_10empty_typeEEEZZNS1_27merge_sort_block_merge_implIS3_PyPS5_jNS1_19radix_merge_compareILb0ELb1EyNS0_19identity_decomposerEEEEE10hipError_tT0_T1_T2_jT3_P12ihipStream_tbPNSt15iterator_traitsISE_E10value_typeEPNSK_ISF_E10value_typeEPSG_NS1_7vsmem_tEENKUlT_SE_SF_SG_E_clIS8_S8_S9_S9_EESD_ST_SE_SF_SG_EUlST_E0_NS1_11comp_targetILNS1_3genE4ELNS1_11target_archE910ELNS1_3gpuE8ELNS1_3repE0EEENS1_38merge_mergepath_config_static_selectorELNS0_4arch9wavefront6targetE1EEEvSF_
    .private_segment_fixed_size: 0
    .sgpr_count:     30
    .sgpr_spill_count: 0
    .symbol:         _ZN7rocprim17ROCPRIM_400000_NS6detail17trampoline_kernelINS0_14default_configENS1_38merge_sort_block_merge_config_selectorIyNS0_10empty_typeEEEZZNS1_27merge_sort_block_merge_implIS3_PyPS5_jNS1_19radix_merge_compareILb0ELb1EyNS0_19identity_decomposerEEEEE10hipError_tT0_T1_T2_jT3_P12ihipStream_tbPNSt15iterator_traitsISE_E10value_typeEPNSK_ISF_E10value_typeEPSG_NS1_7vsmem_tEENKUlT_SE_SF_SG_E_clIS8_S8_S9_S9_EESD_ST_SE_SF_SG_EUlST_E0_NS1_11comp_targetILNS1_3genE4ELNS1_11target_archE910ELNS1_3gpuE8ELNS1_3repE0EEENS1_38merge_mergepath_config_static_selectorELNS0_4arch9wavefront6targetE1EEEvSF_.kd
    .uniform_work_group_size: 1
    .uses_dynamic_stack: false
    .vgpr_count:     23
    .vgpr_spill_count: 0
    .wavefront_size: 64
  - .agpr_count:     0
    .args:
      - .offset:         0
        .size:           72
        .value_kind:     by_value
    .group_segment_fixed_size: 0
    .kernarg_segment_align: 8
    .kernarg_segment_size: 72
    .language:       OpenCL C
    .language_version:
      - 2
      - 0
    .max_flat_workgroup_size: 128
    .name:           _ZN7rocprim17ROCPRIM_400000_NS6detail17trampoline_kernelINS0_14default_configENS1_38merge_sort_block_merge_config_selectorIyNS0_10empty_typeEEEZZNS1_27merge_sort_block_merge_implIS3_PyPS5_jNS1_19radix_merge_compareILb0ELb1EyNS0_19identity_decomposerEEEEE10hipError_tT0_T1_T2_jT3_P12ihipStream_tbPNSt15iterator_traitsISE_E10value_typeEPNSK_ISF_E10value_typeEPSG_NS1_7vsmem_tEENKUlT_SE_SF_SG_E_clIS8_S8_S9_S9_EESD_ST_SE_SF_SG_EUlST_E0_NS1_11comp_targetILNS1_3genE3ELNS1_11target_archE908ELNS1_3gpuE7ELNS1_3repE0EEENS1_38merge_mergepath_config_static_selectorELNS0_4arch9wavefront6targetE1EEEvSF_
    .private_segment_fixed_size: 0
    .sgpr_count:     4
    .sgpr_spill_count: 0
    .symbol:         _ZN7rocprim17ROCPRIM_400000_NS6detail17trampoline_kernelINS0_14default_configENS1_38merge_sort_block_merge_config_selectorIyNS0_10empty_typeEEEZZNS1_27merge_sort_block_merge_implIS3_PyPS5_jNS1_19radix_merge_compareILb0ELb1EyNS0_19identity_decomposerEEEEE10hipError_tT0_T1_T2_jT3_P12ihipStream_tbPNSt15iterator_traitsISE_E10value_typeEPNSK_ISF_E10value_typeEPSG_NS1_7vsmem_tEENKUlT_SE_SF_SG_E_clIS8_S8_S9_S9_EESD_ST_SE_SF_SG_EUlST_E0_NS1_11comp_targetILNS1_3genE3ELNS1_11target_archE908ELNS1_3gpuE7ELNS1_3repE0EEENS1_38merge_mergepath_config_static_selectorELNS0_4arch9wavefront6targetE1EEEvSF_.kd
    .uniform_work_group_size: 1
    .uses_dynamic_stack: false
    .vgpr_count:     0
    .vgpr_spill_count: 0
    .wavefront_size: 64
  - .agpr_count:     0
    .args:
      - .offset:         0
        .size:           72
        .value_kind:     by_value
    .group_segment_fixed_size: 0
    .kernarg_segment_align: 8
    .kernarg_segment_size: 72
    .language:       OpenCL C
    .language_version:
      - 2
      - 0
    .max_flat_workgroup_size: 256
    .name:           _ZN7rocprim17ROCPRIM_400000_NS6detail17trampoline_kernelINS0_14default_configENS1_38merge_sort_block_merge_config_selectorIyNS0_10empty_typeEEEZZNS1_27merge_sort_block_merge_implIS3_PyPS5_jNS1_19radix_merge_compareILb0ELb1EyNS0_19identity_decomposerEEEEE10hipError_tT0_T1_T2_jT3_P12ihipStream_tbPNSt15iterator_traitsISE_E10value_typeEPNSK_ISF_E10value_typeEPSG_NS1_7vsmem_tEENKUlT_SE_SF_SG_E_clIS8_S8_S9_S9_EESD_ST_SE_SF_SG_EUlST_E0_NS1_11comp_targetILNS1_3genE2ELNS1_11target_archE906ELNS1_3gpuE6ELNS1_3repE0EEENS1_38merge_mergepath_config_static_selectorELNS0_4arch9wavefront6targetE1EEEvSF_
    .private_segment_fixed_size: 0
    .sgpr_count:     4
    .sgpr_spill_count: 0
    .symbol:         _ZN7rocprim17ROCPRIM_400000_NS6detail17trampoline_kernelINS0_14default_configENS1_38merge_sort_block_merge_config_selectorIyNS0_10empty_typeEEEZZNS1_27merge_sort_block_merge_implIS3_PyPS5_jNS1_19radix_merge_compareILb0ELb1EyNS0_19identity_decomposerEEEEE10hipError_tT0_T1_T2_jT3_P12ihipStream_tbPNSt15iterator_traitsISE_E10value_typeEPNSK_ISF_E10value_typeEPSG_NS1_7vsmem_tEENKUlT_SE_SF_SG_E_clIS8_S8_S9_S9_EESD_ST_SE_SF_SG_EUlST_E0_NS1_11comp_targetILNS1_3genE2ELNS1_11target_archE906ELNS1_3gpuE6ELNS1_3repE0EEENS1_38merge_mergepath_config_static_selectorELNS0_4arch9wavefront6targetE1EEEvSF_.kd
    .uniform_work_group_size: 1
    .uses_dynamic_stack: false
    .vgpr_count:     0
    .vgpr_spill_count: 0
    .wavefront_size: 64
  - .agpr_count:     0
    .args:
      - .offset:         0
        .size:           72
        .value_kind:     by_value
    .group_segment_fixed_size: 0
    .kernarg_segment_align: 8
    .kernarg_segment_size: 72
    .language:       OpenCL C
    .language_version:
      - 2
      - 0
    .max_flat_workgroup_size: 512
    .name:           _ZN7rocprim17ROCPRIM_400000_NS6detail17trampoline_kernelINS0_14default_configENS1_38merge_sort_block_merge_config_selectorIyNS0_10empty_typeEEEZZNS1_27merge_sort_block_merge_implIS3_PyPS5_jNS1_19radix_merge_compareILb0ELb1EyNS0_19identity_decomposerEEEEE10hipError_tT0_T1_T2_jT3_P12ihipStream_tbPNSt15iterator_traitsISE_E10value_typeEPNSK_ISF_E10value_typeEPSG_NS1_7vsmem_tEENKUlT_SE_SF_SG_E_clIS8_S8_S9_S9_EESD_ST_SE_SF_SG_EUlST_E0_NS1_11comp_targetILNS1_3genE9ELNS1_11target_archE1100ELNS1_3gpuE3ELNS1_3repE0EEENS1_38merge_mergepath_config_static_selectorELNS0_4arch9wavefront6targetE1EEEvSF_
    .private_segment_fixed_size: 0
    .sgpr_count:     4
    .sgpr_spill_count: 0
    .symbol:         _ZN7rocprim17ROCPRIM_400000_NS6detail17trampoline_kernelINS0_14default_configENS1_38merge_sort_block_merge_config_selectorIyNS0_10empty_typeEEEZZNS1_27merge_sort_block_merge_implIS3_PyPS5_jNS1_19radix_merge_compareILb0ELb1EyNS0_19identity_decomposerEEEEE10hipError_tT0_T1_T2_jT3_P12ihipStream_tbPNSt15iterator_traitsISE_E10value_typeEPNSK_ISF_E10value_typeEPSG_NS1_7vsmem_tEENKUlT_SE_SF_SG_E_clIS8_S8_S9_S9_EESD_ST_SE_SF_SG_EUlST_E0_NS1_11comp_targetILNS1_3genE9ELNS1_11target_archE1100ELNS1_3gpuE3ELNS1_3repE0EEENS1_38merge_mergepath_config_static_selectorELNS0_4arch9wavefront6targetE1EEEvSF_.kd
    .uniform_work_group_size: 1
    .uses_dynamic_stack: false
    .vgpr_count:     0
    .vgpr_spill_count: 0
    .wavefront_size: 64
  - .agpr_count:     0
    .args:
      - .offset:         0
        .size:           72
        .value_kind:     by_value
    .group_segment_fixed_size: 0
    .kernarg_segment_align: 8
    .kernarg_segment_size: 72
    .language:       OpenCL C
    .language_version:
      - 2
      - 0
    .max_flat_workgroup_size: 1024
    .name:           _ZN7rocprim17ROCPRIM_400000_NS6detail17trampoline_kernelINS0_14default_configENS1_38merge_sort_block_merge_config_selectorIyNS0_10empty_typeEEEZZNS1_27merge_sort_block_merge_implIS3_PyPS5_jNS1_19radix_merge_compareILb0ELb1EyNS0_19identity_decomposerEEEEE10hipError_tT0_T1_T2_jT3_P12ihipStream_tbPNSt15iterator_traitsISE_E10value_typeEPNSK_ISF_E10value_typeEPSG_NS1_7vsmem_tEENKUlT_SE_SF_SG_E_clIS8_S8_S9_S9_EESD_ST_SE_SF_SG_EUlST_E0_NS1_11comp_targetILNS1_3genE8ELNS1_11target_archE1030ELNS1_3gpuE2ELNS1_3repE0EEENS1_38merge_mergepath_config_static_selectorELNS0_4arch9wavefront6targetE1EEEvSF_
    .private_segment_fixed_size: 0
    .sgpr_count:     4
    .sgpr_spill_count: 0
    .symbol:         _ZN7rocprim17ROCPRIM_400000_NS6detail17trampoline_kernelINS0_14default_configENS1_38merge_sort_block_merge_config_selectorIyNS0_10empty_typeEEEZZNS1_27merge_sort_block_merge_implIS3_PyPS5_jNS1_19radix_merge_compareILb0ELb1EyNS0_19identity_decomposerEEEEE10hipError_tT0_T1_T2_jT3_P12ihipStream_tbPNSt15iterator_traitsISE_E10value_typeEPNSK_ISF_E10value_typeEPSG_NS1_7vsmem_tEENKUlT_SE_SF_SG_E_clIS8_S8_S9_S9_EESD_ST_SE_SF_SG_EUlST_E0_NS1_11comp_targetILNS1_3genE8ELNS1_11target_archE1030ELNS1_3gpuE2ELNS1_3repE0EEENS1_38merge_mergepath_config_static_selectorELNS0_4arch9wavefront6targetE1EEEvSF_.kd
    .uniform_work_group_size: 1
    .uses_dynamic_stack: false
    .vgpr_count:     0
    .vgpr_spill_count: 0
    .wavefront_size: 64
  - .agpr_count:     0
    .args:
      - .offset:         0
        .size:           48
        .value_kind:     by_value
    .group_segment_fixed_size: 0
    .kernarg_segment_align: 8
    .kernarg_segment_size: 48
    .language:       OpenCL C
    .language_version:
      - 2
      - 0
    .max_flat_workgroup_size: 256
    .name:           _ZN7rocprim17ROCPRIM_400000_NS6detail17trampoline_kernelINS0_14default_configENS1_38merge_sort_block_merge_config_selectorIyNS0_10empty_typeEEEZZNS1_27merge_sort_block_merge_implIS3_PyPS5_jNS1_19radix_merge_compareILb0ELb1EyNS0_19identity_decomposerEEEEE10hipError_tT0_T1_T2_jT3_P12ihipStream_tbPNSt15iterator_traitsISE_E10value_typeEPNSK_ISF_E10value_typeEPSG_NS1_7vsmem_tEENKUlT_SE_SF_SG_E_clIS8_S8_S9_S9_EESD_ST_SE_SF_SG_EUlST_E1_NS1_11comp_targetILNS1_3genE0ELNS1_11target_archE4294967295ELNS1_3gpuE0ELNS1_3repE0EEENS1_36merge_oddeven_config_static_selectorELNS0_4arch9wavefront6targetE1EEEvSF_
    .private_segment_fixed_size: 0
    .sgpr_count:     4
    .sgpr_spill_count: 0
    .symbol:         _ZN7rocprim17ROCPRIM_400000_NS6detail17trampoline_kernelINS0_14default_configENS1_38merge_sort_block_merge_config_selectorIyNS0_10empty_typeEEEZZNS1_27merge_sort_block_merge_implIS3_PyPS5_jNS1_19radix_merge_compareILb0ELb1EyNS0_19identity_decomposerEEEEE10hipError_tT0_T1_T2_jT3_P12ihipStream_tbPNSt15iterator_traitsISE_E10value_typeEPNSK_ISF_E10value_typeEPSG_NS1_7vsmem_tEENKUlT_SE_SF_SG_E_clIS8_S8_S9_S9_EESD_ST_SE_SF_SG_EUlST_E1_NS1_11comp_targetILNS1_3genE0ELNS1_11target_archE4294967295ELNS1_3gpuE0ELNS1_3repE0EEENS1_36merge_oddeven_config_static_selectorELNS0_4arch9wavefront6targetE1EEEvSF_.kd
    .uniform_work_group_size: 1
    .uses_dynamic_stack: false
    .vgpr_count:     0
    .vgpr_spill_count: 0
    .wavefront_size: 64
  - .agpr_count:     0
    .args:
      - .offset:         0
        .size:           48
        .value_kind:     by_value
    .group_segment_fixed_size: 0
    .kernarg_segment_align: 8
    .kernarg_segment_size: 48
    .language:       OpenCL C
    .language_version:
      - 2
      - 0
    .max_flat_workgroup_size: 256
    .name:           _ZN7rocprim17ROCPRIM_400000_NS6detail17trampoline_kernelINS0_14default_configENS1_38merge_sort_block_merge_config_selectorIyNS0_10empty_typeEEEZZNS1_27merge_sort_block_merge_implIS3_PyPS5_jNS1_19radix_merge_compareILb0ELb1EyNS0_19identity_decomposerEEEEE10hipError_tT0_T1_T2_jT3_P12ihipStream_tbPNSt15iterator_traitsISE_E10value_typeEPNSK_ISF_E10value_typeEPSG_NS1_7vsmem_tEENKUlT_SE_SF_SG_E_clIS8_S8_S9_S9_EESD_ST_SE_SF_SG_EUlST_E1_NS1_11comp_targetILNS1_3genE10ELNS1_11target_archE1201ELNS1_3gpuE5ELNS1_3repE0EEENS1_36merge_oddeven_config_static_selectorELNS0_4arch9wavefront6targetE1EEEvSF_
    .private_segment_fixed_size: 0
    .sgpr_count:     4
    .sgpr_spill_count: 0
    .symbol:         _ZN7rocprim17ROCPRIM_400000_NS6detail17trampoline_kernelINS0_14default_configENS1_38merge_sort_block_merge_config_selectorIyNS0_10empty_typeEEEZZNS1_27merge_sort_block_merge_implIS3_PyPS5_jNS1_19radix_merge_compareILb0ELb1EyNS0_19identity_decomposerEEEEE10hipError_tT0_T1_T2_jT3_P12ihipStream_tbPNSt15iterator_traitsISE_E10value_typeEPNSK_ISF_E10value_typeEPSG_NS1_7vsmem_tEENKUlT_SE_SF_SG_E_clIS8_S8_S9_S9_EESD_ST_SE_SF_SG_EUlST_E1_NS1_11comp_targetILNS1_3genE10ELNS1_11target_archE1201ELNS1_3gpuE5ELNS1_3repE0EEENS1_36merge_oddeven_config_static_selectorELNS0_4arch9wavefront6targetE1EEEvSF_.kd
    .uniform_work_group_size: 1
    .uses_dynamic_stack: false
    .vgpr_count:     0
    .vgpr_spill_count: 0
    .wavefront_size: 64
  - .agpr_count:     0
    .args:
      - .offset:         0
        .size:           48
        .value_kind:     by_value
    .group_segment_fixed_size: 0
    .kernarg_segment_align: 8
    .kernarg_segment_size: 48
    .language:       OpenCL C
    .language_version:
      - 2
      - 0
    .max_flat_workgroup_size: 256
    .name:           _ZN7rocprim17ROCPRIM_400000_NS6detail17trampoline_kernelINS0_14default_configENS1_38merge_sort_block_merge_config_selectorIyNS0_10empty_typeEEEZZNS1_27merge_sort_block_merge_implIS3_PyPS5_jNS1_19radix_merge_compareILb0ELb1EyNS0_19identity_decomposerEEEEE10hipError_tT0_T1_T2_jT3_P12ihipStream_tbPNSt15iterator_traitsISE_E10value_typeEPNSK_ISF_E10value_typeEPSG_NS1_7vsmem_tEENKUlT_SE_SF_SG_E_clIS8_S8_S9_S9_EESD_ST_SE_SF_SG_EUlST_E1_NS1_11comp_targetILNS1_3genE5ELNS1_11target_archE942ELNS1_3gpuE9ELNS1_3repE0EEENS1_36merge_oddeven_config_static_selectorELNS0_4arch9wavefront6targetE1EEEvSF_
    .private_segment_fixed_size: 0
    .sgpr_count:     4
    .sgpr_spill_count: 0
    .symbol:         _ZN7rocprim17ROCPRIM_400000_NS6detail17trampoline_kernelINS0_14default_configENS1_38merge_sort_block_merge_config_selectorIyNS0_10empty_typeEEEZZNS1_27merge_sort_block_merge_implIS3_PyPS5_jNS1_19radix_merge_compareILb0ELb1EyNS0_19identity_decomposerEEEEE10hipError_tT0_T1_T2_jT3_P12ihipStream_tbPNSt15iterator_traitsISE_E10value_typeEPNSK_ISF_E10value_typeEPSG_NS1_7vsmem_tEENKUlT_SE_SF_SG_E_clIS8_S8_S9_S9_EESD_ST_SE_SF_SG_EUlST_E1_NS1_11comp_targetILNS1_3genE5ELNS1_11target_archE942ELNS1_3gpuE9ELNS1_3repE0EEENS1_36merge_oddeven_config_static_selectorELNS0_4arch9wavefront6targetE1EEEvSF_.kd
    .uniform_work_group_size: 1
    .uses_dynamic_stack: false
    .vgpr_count:     0
    .vgpr_spill_count: 0
    .wavefront_size: 64
  - .agpr_count:     0
    .args:
      - .offset:         0
        .size:           48
        .value_kind:     by_value
    .group_segment_fixed_size: 0
    .kernarg_segment_align: 8
    .kernarg_segment_size: 48
    .language:       OpenCL C
    .language_version:
      - 2
      - 0
    .max_flat_workgroup_size: 256
    .name:           _ZN7rocprim17ROCPRIM_400000_NS6detail17trampoline_kernelINS0_14default_configENS1_38merge_sort_block_merge_config_selectorIyNS0_10empty_typeEEEZZNS1_27merge_sort_block_merge_implIS3_PyPS5_jNS1_19radix_merge_compareILb0ELb1EyNS0_19identity_decomposerEEEEE10hipError_tT0_T1_T2_jT3_P12ihipStream_tbPNSt15iterator_traitsISE_E10value_typeEPNSK_ISF_E10value_typeEPSG_NS1_7vsmem_tEENKUlT_SE_SF_SG_E_clIS8_S8_S9_S9_EESD_ST_SE_SF_SG_EUlST_E1_NS1_11comp_targetILNS1_3genE4ELNS1_11target_archE910ELNS1_3gpuE8ELNS1_3repE0EEENS1_36merge_oddeven_config_static_selectorELNS0_4arch9wavefront6targetE1EEEvSF_
    .private_segment_fixed_size: 0
    .sgpr_count:     25
    .sgpr_spill_count: 0
    .symbol:         _ZN7rocprim17ROCPRIM_400000_NS6detail17trampoline_kernelINS0_14default_configENS1_38merge_sort_block_merge_config_selectorIyNS0_10empty_typeEEEZZNS1_27merge_sort_block_merge_implIS3_PyPS5_jNS1_19radix_merge_compareILb0ELb1EyNS0_19identity_decomposerEEEEE10hipError_tT0_T1_T2_jT3_P12ihipStream_tbPNSt15iterator_traitsISE_E10value_typeEPNSK_ISF_E10value_typeEPSG_NS1_7vsmem_tEENKUlT_SE_SF_SG_E_clIS8_S8_S9_S9_EESD_ST_SE_SF_SG_EUlST_E1_NS1_11comp_targetILNS1_3genE4ELNS1_11target_archE910ELNS1_3gpuE8ELNS1_3repE0EEENS1_36merge_oddeven_config_static_selectorELNS0_4arch9wavefront6targetE1EEEvSF_.kd
    .uniform_work_group_size: 1
    .uses_dynamic_stack: false
    .vgpr_count:     14
    .vgpr_spill_count: 0
    .wavefront_size: 64
  - .agpr_count:     0
    .args:
      - .offset:         0
        .size:           48
        .value_kind:     by_value
    .group_segment_fixed_size: 0
    .kernarg_segment_align: 8
    .kernarg_segment_size: 48
    .language:       OpenCL C
    .language_version:
      - 2
      - 0
    .max_flat_workgroup_size: 256
    .name:           _ZN7rocprim17ROCPRIM_400000_NS6detail17trampoline_kernelINS0_14default_configENS1_38merge_sort_block_merge_config_selectorIyNS0_10empty_typeEEEZZNS1_27merge_sort_block_merge_implIS3_PyPS5_jNS1_19radix_merge_compareILb0ELb1EyNS0_19identity_decomposerEEEEE10hipError_tT0_T1_T2_jT3_P12ihipStream_tbPNSt15iterator_traitsISE_E10value_typeEPNSK_ISF_E10value_typeEPSG_NS1_7vsmem_tEENKUlT_SE_SF_SG_E_clIS8_S8_S9_S9_EESD_ST_SE_SF_SG_EUlST_E1_NS1_11comp_targetILNS1_3genE3ELNS1_11target_archE908ELNS1_3gpuE7ELNS1_3repE0EEENS1_36merge_oddeven_config_static_selectorELNS0_4arch9wavefront6targetE1EEEvSF_
    .private_segment_fixed_size: 0
    .sgpr_count:     4
    .sgpr_spill_count: 0
    .symbol:         _ZN7rocprim17ROCPRIM_400000_NS6detail17trampoline_kernelINS0_14default_configENS1_38merge_sort_block_merge_config_selectorIyNS0_10empty_typeEEEZZNS1_27merge_sort_block_merge_implIS3_PyPS5_jNS1_19radix_merge_compareILb0ELb1EyNS0_19identity_decomposerEEEEE10hipError_tT0_T1_T2_jT3_P12ihipStream_tbPNSt15iterator_traitsISE_E10value_typeEPNSK_ISF_E10value_typeEPSG_NS1_7vsmem_tEENKUlT_SE_SF_SG_E_clIS8_S8_S9_S9_EESD_ST_SE_SF_SG_EUlST_E1_NS1_11comp_targetILNS1_3genE3ELNS1_11target_archE908ELNS1_3gpuE7ELNS1_3repE0EEENS1_36merge_oddeven_config_static_selectorELNS0_4arch9wavefront6targetE1EEEvSF_.kd
    .uniform_work_group_size: 1
    .uses_dynamic_stack: false
    .vgpr_count:     0
    .vgpr_spill_count: 0
    .wavefront_size: 64
  - .agpr_count:     0
    .args:
      - .offset:         0
        .size:           48
        .value_kind:     by_value
    .group_segment_fixed_size: 0
    .kernarg_segment_align: 8
    .kernarg_segment_size: 48
    .language:       OpenCL C
    .language_version:
      - 2
      - 0
    .max_flat_workgroup_size: 256
    .name:           _ZN7rocprim17ROCPRIM_400000_NS6detail17trampoline_kernelINS0_14default_configENS1_38merge_sort_block_merge_config_selectorIyNS0_10empty_typeEEEZZNS1_27merge_sort_block_merge_implIS3_PyPS5_jNS1_19radix_merge_compareILb0ELb1EyNS0_19identity_decomposerEEEEE10hipError_tT0_T1_T2_jT3_P12ihipStream_tbPNSt15iterator_traitsISE_E10value_typeEPNSK_ISF_E10value_typeEPSG_NS1_7vsmem_tEENKUlT_SE_SF_SG_E_clIS8_S8_S9_S9_EESD_ST_SE_SF_SG_EUlST_E1_NS1_11comp_targetILNS1_3genE2ELNS1_11target_archE906ELNS1_3gpuE6ELNS1_3repE0EEENS1_36merge_oddeven_config_static_selectorELNS0_4arch9wavefront6targetE1EEEvSF_
    .private_segment_fixed_size: 0
    .sgpr_count:     4
    .sgpr_spill_count: 0
    .symbol:         _ZN7rocprim17ROCPRIM_400000_NS6detail17trampoline_kernelINS0_14default_configENS1_38merge_sort_block_merge_config_selectorIyNS0_10empty_typeEEEZZNS1_27merge_sort_block_merge_implIS3_PyPS5_jNS1_19radix_merge_compareILb0ELb1EyNS0_19identity_decomposerEEEEE10hipError_tT0_T1_T2_jT3_P12ihipStream_tbPNSt15iterator_traitsISE_E10value_typeEPNSK_ISF_E10value_typeEPSG_NS1_7vsmem_tEENKUlT_SE_SF_SG_E_clIS8_S8_S9_S9_EESD_ST_SE_SF_SG_EUlST_E1_NS1_11comp_targetILNS1_3genE2ELNS1_11target_archE906ELNS1_3gpuE6ELNS1_3repE0EEENS1_36merge_oddeven_config_static_selectorELNS0_4arch9wavefront6targetE1EEEvSF_.kd
    .uniform_work_group_size: 1
    .uses_dynamic_stack: false
    .vgpr_count:     0
    .vgpr_spill_count: 0
    .wavefront_size: 64
  - .agpr_count:     0
    .args:
      - .offset:         0
        .size:           48
        .value_kind:     by_value
    .group_segment_fixed_size: 0
    .kernarg_segment_align: 8
    .kernarg_segment_size: 48
    .language:       OpenCL C
    .language_version:
      - 2
      - 0
    .max_flat_workgroup_size: 256
    .name:           _ZN7rocprim17ROCPRIM_400000_NS6detail17trampoline_kernelINS0_14default_configENS1_38merge_sort_block_merge_config_selectorIyNS0_10empty_typeEEEZZNS1_27merge_sort_block_merge_implIS3_PyPS5_jNS1_19radix_merge_compareILb0ELb1EyNS0_19identity_decomposerEEEEE10hipError_tT0_T1_T2_jT3_P12ihipStream_tbPNSt15iterator_traitsISE_E10value_typeEPNSK_ISF_E10value_typeEPSG_NS1_7vsmem_tEENKUlT_SE_SF_SG_E_clIS8_S8_S9_S9_EESD_ST_SE_SF_SG_EUlST_E1_NS1_11comp_targetILNS1_3genE9ELNS1_11target_archE1100ELNS1_3gpuE3ELNS1_3repE0EEENS1_36merge_oddeven_config_static_selectorELNS0_4arch9wavefront6targetE1EEEvSF_
    .private_segment_fixed_size: 0
    .sgpr_count:     4
    .sgpr_spill_count: 0
    .symbol:         _ZN7rocprim17ROCPRIM_400000_NS6detail17trampoline_kernelINS0_14default_configENS1_38merge_sort_block_merge_config_selectorIyNS0_10empty_typeEEEZZNS1_27merge_sort_block_merge_implIS3_PyPS5_jNS1_19radix_merge_compareILb0ELb1EyNS0_19identity_decomposerEEEEE10hipError_tT0_T1_T2_jT3_P12ihipStream_tbPNSt15iterator_traitsISE_E10value_typeEPNSK_ISF_E10value_typeEPSG_NS1_7vsmem_tEENKUlT_SE_SF_SG_E_clIS8_S8_S9_S9_EESD_ST_SE_SF_SG_EUlST_E1_NS1_11comp_targetILNS1_3genE9ELNS1_11target_archE1100ELNS1_3gpuE3ELNS1_3repE0EEENS1_36merge_oddeven_config_static_selectorELNS0_4arch9wavefront6targetE1EEEvSF_.kd
    .uniform_work_group_size: 1
    .uses_dynamic_stack: false
    .vgpr_count:     0
    .vgpr_spill_count: 0
    .wavefront_size: 64
  - .agpr_count:     0
    .args:
      - .offset:         0
        .size:           48
        .value_kind:     by_value
    .group_segment_fixed_size: 0
    .kernarg_segment_align: 8
    .kernarg_segment_size: 48
    .language:       OpenCL C
    .language_version:
      - 2
      - 0
    .max_flat_workgroup_size: 256
    .name:           _ZN7rocprim17ROCPRIM_400000_NS6detail17trampoline_kernelINS0_14default_configENS1_38merge_sort_block_merge_config_selectorIyNS0_10empty_typeEEEZZNS1_27merge_sort_block_merge_implIS3_PyPS5_jNS1_19radix_merge_compareILb0ELb1EyNS0_19identity_decomposerEEEEE10hipError_tT0_T1_T2_jT3_P12ihipStream_tbPNSt15iterator_traitsISE_E10value_typeEPNSK_ISF_E10value_typeEPSG_NS1_7vsmem_tEENKUlT_SE_SF_SG_E_clIS8_S8_S9_S9_EESD_ST_SE_SF_SG_EUlST_E1_NS1_11comp_targetILNS1_3genE8ELNS1_11target_archE1030ELNS1_3gpuE2ELNS1_3repE0EEENS1_36merge_oddeven_config_static_selectorELNS0_4arch9wavefront6targetE1EEEvSF_
    .private_segment_fixed_size: 0
    .sgpr_count:     4
    .sgpr_spill_count: 0
    .symbol:         _ZN7rocprim17ROCPRIM_400000_NS6detail17trampoline_kernelINS0_14default_configENS1_38merge_sort_block_merge_config_selectorIyNS0_10empty_typeEEEZZNS1_27merge_sort_block_merge_implIS3_PyPS5_jNS1_19radix_merge_compareILb0ELb1EyNS0_19identity_decomposerEEEEE10hipError_tT0_T1_T2_jT3_P12ihipStream_tbPNSt15iterator_traitsISE_E10value_typeEPNSK_ISF_E10value_typeEPSG_NS1_7vsmem_tEENKUlT_SE_SF_SG_E_clIS8_S8_S9_S9_EESD_ST_SE_SF_SG_EUlST_E1_NS1_11comp_targetILNS1_3genE8ELNS1_11target_archE1030ELNS1_3gpuE2ELNS1_3repE0EEENS1_36merge_oddeven_config_static_selectorELNS0_4arch9wavefront6targetE1EEEvSF_.kd
    .uniform_work_group_size: 1
    .uses_dynamic_stack: false
    .vgpr_count:     0
    .vgpr_spill_count: 0
    .wavefront_size: 64
  - .agpr_count:     0
    .args:
      - .offset:         0
        .size:           48
        .value_kind:     by_value
    .group_segment_fixed_size: 0
    .kernarg_segment_align: 8
    .kernarg_segment_size: 48
    .language:       OpenCL C
    .language_version:
      - 2
      - 0
    .max_flat_workgroup_size: 512
    .name:           _ZN7rocprim17ROCPRIM_400000_NS6detail17trampoline_kernelINS0_14default_configENS1_35radix_sort_onesweep_config_selectorIyNS0_10empty_typeEEEZNS1_34radix_sort_onesweep_global_offsetsIS3_Lb0EPyPS5_mNS0_19identity_decomposerEEE10hipError_tT1_T2_PT3_SE_jT4_jjP12ihipStream_tbEUlT_E_NS1_11comp_targetILNS1_3genE0ELNS1_11target_archE4294967295ELNS1_3gpuE0ELNS1_3repE0EEENS1_52radix_sort_onesweep_histogram_config_static_selectorELNS0_4arch9wavefront6targetE1EEEvSC_
    .private_segment_fixed_size: 0
    .sgpr_count:     4
    .sgpr_spill_count: 0
    .symbol:         _ZN7rocprim17ROCPRIM_400000_NS6detail17trampoline_kernelINS0_14default_configENS1_35radix_sort_onesweep_config_selectorIyNS0_10empty_typeEEEZNS1_34radix_sort_onesweep_global_offsetsIS3_Lb0EPyPS5_mNS0_19identity_decomposerEEE10hipError_tT1_T2_PT3_SE_jT4_jjP12ihipStream_tbEUlT_E_NS1_11comp_targetILNS1_3genE0ELNS1_11target_archE4294967295ELNS1_3gpuE0ELNS1_3repE0EEENS1_52radix_sort_onesweep_histogram_config_static_selectorELNS0_4arch9wavefront6targetE1EEEvSC_.kd
    .uniform_work_group_size: 1
    .uses_dynamic_stack: false
    .vgpr_count:     0
    .vgpr_spill_count: 0
    .wavefront_size: 64
  - .agpr_count:     0
    .args:
      - .offset:         0
        .size:           48
        .value_kind:     by_value
    .group_segment_fixed_size: 0
    .kernarg_segment_align: 8
    .kernarg_segment_size: 48
    .language:       OpenCL C
    .language_version:
      - 2
      - 0
    .max_flat_workgroup_size: 512
    .name:           _ZN7rocprim17ROCPRIM_400000_NS6detail17trampoline_kernelINS0_14default_configENS1_35radix_sort_onesweep_config_selectorIyNS0_10empty_typeEEEZNS1_34radix_sort_onesweep_global_offsetsIS3_Lb0EPyPS5_mNS0_19identity_decomposerEEE10hipError_tT1_T2_PT3_SE_jT4_jjP12ihipStream_tbEUlT_E_NS1_11comp_targetILNS1_3genE6ELNS1_11target_archE950ELNS1_3gpuE13ELNS1_3repE0EEENS1_52radix_sort_onesweep_histogram_config_static_selectorELNS0_4arch9wavefront6targetE1EEEvSC_
    .private_segment_fixed_size: 0
    .sgpr_count:     4
    .sgpr_spill_count: 0
    .symbol:         _ZN7rocprim17ROCPRIM_400000_NS6detail17trampoline_kernelINS0_14default_configENS1_35radix_sort_onesweep_config_selectorIyNS0_10empty_typeEEEZNS1_34radix_sort_onesweep_global_offsetsIS3_Lb0EPyPS5_mNS0_19identity_decomposerEEE10hipError_tT1_T2_PT3_SE_jT4_jjP12ihipStream_tbEUlT_E_NS1_11comp_targetILNS1_3genE6ELNS1_11target_archE950ELNS1_3gpuE13ELNS1_3repE0EEENS1_52radix_sort_onesweep_histogram_config_static_selectorELNS0_4arch9wavefront6targetE1EEEvSC_.kd
    .uniform_work_group_size: 1
    .uses_dynamic_stack: false
    .vgpr_count:     0
    .vgpr_spill_count: 0
    .wavefront_size: 64
  - .agpr_count:     0
    .args:
      - .offset:         0
        .size:           48
        .value_kind:     by_value
    .group_segment_fixed_size: 0
    .kernarg_segment_align: 8
    .kernarg_segment_size: 48
    .language:       OpenCL C
    .language_version:
      - 2
      - 0
    .max_flat_workgroup_size: 512
    .name:           _ZN7rocprim17ROCPRIM_400000_NS6detail17trampoline_kernelINS0_14default_configENS1_35radix_sort_onesweep_config_selectorIyNS0_10empty_typeEEEZNS1_34radix_sort_onesweep_global_offsetsIS3_Lb0EPyPS5_mNS0_19identity_decomposerEEE10hipError_tT1_T2_PT3_SE_jT4_jjP12ihipStream_tbEUlT_E_NS1_11comp_targetILNS1_3genE5ELNS1_11target_archE942ELNS1_3gpuE9ELNS1_3repE0EEENS1_52radix_sort_onesweep_histogram_config_static_selectorELNS0_4arch9wavefront6targetE1EEEvSC_
    .private_segment_fixed_size: 0
    .sgpr_count:     4
    .sgpr_spill_count: 0
    .symbol:         _ZN7rocprim17ROCPRIM_400000_NS6detail17trampoline_kernelINS0_14default_configENS1_35radix_sort_onesweep_config_selectorIyNS0_10empty_typeEEEZNS1_34radix_sort_onesweep_global_offsetsIS3_Lb0EPyPS5_mNS0_19identity_decomposerEEE10hipError_tT1_T2_PT3_SE_jT4_jjP12ihipStream_tbEUlT_E_NS1_11comp_targetILNS1_3genE5ELNS1_11target_archE942ELNS1_3gpuE9ELNS1_3repE0EEENS1_52radix_sort_onesweep_histogram_config_static_selectorELNS0_4arch9wavefront6targetE1EEEvSC_.kd
    .uniform_work_group_size: 1
    .uses_dynamic_stack: false
    .vgpr_count:     0
    .vgpr_spill_count: 0
    .wavefront_size: 64
  - .agpr_count:     0
    .args:
      - .offset:         0
        .size:           48
        .value_kind:     by_value
    .group_segment_fixed_size: 0
    .kernarg_segment_align: 8
    .kernarg_segment_size: 48
    .language:       OpenCL C
    .language_version:
      - 2
      - 0
    .max_flat_workgroup_size: 512
    .name:           _ZN7rocprim17ROCPRIM_400000_NS6detail17trampoline_kernelINS0_14default_configENS1_35radix_sort_onesweep_config_selectorIyNS0_10empty_typeEEEZNS1_34radix_sort_onesweep_global_offsetsIS3_Lb0EPyPS5_mNS0_19identity_decomposerEEE10hipError_tT1_T2_PT3_SE_jT4_jjP12ihipStream_tbEUlT_E_NS1_11comp_targetILNS1_3genE2ELNS1_11target_archE906ELNS1_3gpuE6ELNS1_3repE0EEENS1_52radix_sort_onesweep_histogram_config_static_selectorELNS0_4arch9wavefront6targetE1EEEvSC_
    .private_segment_fixed_size: 0
    .sgpr_count:     4
    .sgpr_spill_count: 0
    .symbol:         _ZN7rocprim17ROCPRIM_400000_NS6detail17trampoline_kernelINS0_14default_configENS1_35radix_sort_onesweep_config_selectorIyNS0_10empty_typeEEEZNS1_34radix_sort_onesweep_global_offsetsIS3_Lb0EPyPS5_mNS0_19identity_decomposerEEE10hipError_tT1_T2_PT3_SE_jT4_jjP12ihipStream_tbEUlT_E_NS1_11comp_targetILNS1_3genE2ELNS1_11target_archE906ELNS1_3gpuE6ELNS1_3repE0EEENS1_52radix_sort_onesweep_histogram_config_static_selectorELNS0_4arch9wavefront6targetE1EEEvSC_.kd
    .uniform_work_group_size: 1
    .uses_dynamic_stack: false
    .vgpr_count:     0
    .vgpr_spill_count: 0
    .wavefront_size: 64
  - .agpr_count:     0
    .args:
      - .offset:         0
        .size:           48
        .value_kind:     by_value
    .group_segment_fixed_size: 32768
    .kernarg_segment_align: 8
    .kernarg_segment_size: 48
    .language:       OpenCL C
    .language_version:
      - 2
      - 0
    .max_flat_workgroup_size: 1024
    .name:           _ZN7rocprim17ROCPRIM_400000_NS6detail17trampoline_kernelINS0_14default_configENS1_35radix_sort_onesweep_config_selectorIyNS0_10empty_typeEEEZNS1_34radix_sort_onesweep_global_offsetsIS3_Lb0EPyPS5_mNS0_19identity_decomposerEEE10hipError_tT1_T2_PT3_SE_jT4_jjP12ihipStream_tbEUlT_E_NS1_11comp_targetILNS1_3genE4ELNS1_11target_archE910ELNS1_3gpuE8ELNS1_3repE0EEENS1_52radix_sort_onesweep_histogram_config_static_selectorELNS0_4arch9wavefront6targetE1EEEvSC_
    .private_segment_fixed_size: 0
    .sgpr_count:     22
    .sgpr_spill_count: 0
    .symbol:         _ZN7rocprim17ROCPRIM_400000_NS6detail17trampoline_kernelINS0_14default_configENS1_35radix_sort_onesweep_config_selectorIyNS0_10empty_typeEEEZNS1_34radix_sort_onesweep_global_offsetsIS3_Lb0EPyPS5_mNS0_19identity_decomposerEEE10hipError_tT1_T2_PT3_SE_jT4_jjP12ihipStream_tbEUlT_E_NS1_11comp_targetILNS1_3genE4ELNS1_11target_archE910ELNS1_3gpuE8ELNS1_3repE0EEENS1_52radix_sort_onesweep_histogram_config_static_selectorELNS0_4arch9wavefront6targetE1EEEvSC_.kd
    .uniform_work_group_size: 1
    .uses_dynamic_stack: false
    .vgpr_count:     29
    .vgpr_spill_count: 0
    .wavefront_size: 64
  - .agpr_count:     0
    .args:
      - .offset:         0
        .size:           48
        .value_kind:     by_value
    .group_segment_fixed_size: 0
    .kernarg_segment_align: 8
    .kernarg_segment_size: 48
    .language:       OpenCL C
    .language_version:
      - 2
      - 0
    .max_flat_workgroup_size: 512
    .name:           _ZN7rocprim17ROCPRIM_400000_NS6detail17trampoline_kernelINS0_14default_configENS1_35radix_sort_onesweep_config_selectorIyNS0_10empty_typeEEEZNS1_34radix_sort_onesweep_global_offsetsIS3_Lb0EPyPS5_mNS0_19identity_decomposerEEE10hipError_tT1_T2_PT3_SE_jT4_jjP12ihipStream_tbEUlT_E_NS1_11comp_targetILNS1_3genE3ELNS1_11target_archE908ELNS1_3gpuE7ELNS1_3repE0EEENS1_52radix_sort_onesweep_histogram_config_static_selectorELNS0_4arch9wavefront6targetE1EEEvSC_
    .private_segment_fixed_size: 0
    .sgpr_count:     4
    .sgpr_spill_count: 0
    .symbol:         _ZN7rocprim17ROCPRIM_400000_NS6detail17trampoline_kernelINS0_14default_configENS1_35radix_sort_onesweep_config_selectorIyNS0_10empty_typeEEEZNS1_34radix_sort_onesweep_global_offsetsIS3_Lb0EPyPS5_mNS0_19identity_decomposerEEE10hipError_tT1_T2_PT3_SE_jT4_jjP12ihipStream_tbEUlT_E_NS1_11comp_targetILNS1_3genE3ELNS1_11target_archE908ELNS1_3gpuE7ELNS1_3repE0EEENS1_52radix_sort_onesweep_histogram_config_static_selectorELNS0_4arch9wavefront6targetE1EEEvSC_.kd
    .uniform_work_group_size: 1
    .uses_dynamic_stack: false
    .vgpr_count:     0
    .vgpr_spill_count: 0
    .wavefront_size: 64
  - .agpr_count:     0
    .args:
      - .offset:         0
        .size:           48
        .value_kind:     by_value
    .group_segment_fixed_size: 0
    .kernarg_segment_align: 8
    .kernarg_segment_size: 48
    .language:       OpenCL C
    .language_version:
      - 2
      - 0
    .max_flat_workgroup_size: 512
    .name:           _ZN7rocprim17ROCPRIM_400000_NS6detail17trampoline_kernelINS0_14default_configENS1_35radix_sort_onesweep_config_selectorIyNS0_10empty_typeEEEZNS1_34radix_sort_onesweep_global_offsetsIS3_Lb0EPyPS5_mNS0_19identity_decomposerEEE10hipError_tT1_T2_PT3_SE_jT4_jjP12ihipStream_tbEUlT_E_NS1_11comp_targetILNS1_3genE10ELNS1_11target_archE1201ELNS1_3gpuE5ELNS1_3repE0EEENS1_52radix_sort_onesweep_histogram_config_static_selectorELNS0_4arch9wavefront6targetE1EEEvSC_
    .private_segment_fixed_size: 0
    .sgpr_count:     4
    .sgpr_spill_count: 0
    .symbol:         _ZN7rocprim17ROCPRIM_400000_NS6detail17trampoline_kernelINS0_14default_configENS1_35radix_sort_onesweep_config_selectorIyNS0_10empty_typeEEEZNS1_34radix_sort_onesweep_global_offsetsIS3_Lb0EPyPS5_mNS0_19identity_decomposerEEE10hipError_tT1_T2_PT3_SE_jT4_jjP12ihipStream_tbEUlT_E_NS1_11comp_targetILNS1_3genE10ELNS1_11target_archE1201ELNS1_3gpuE5ELNS1_3repE0EEENS1_52radix_sort_onesweep_histogram_config_static_selectorELNS0_4arch9wavefront6targetE1EEEvSC_.kd
    .uniform_work_group_size: 1
    .uses_dynamic_stack: false
    .vgpr_count:     0
    .vgpr_spill_count: 0
    .wavefront_size: 64
  - .agpr_count:     0
    .args:
      - .offset:         0
        .size:           48
        .value_kind:     by_value
    .group_segment_fixed_size: 0
    .kernarg_segment_align: 8
    .kernarg_segment_size: 48
    .language:       OpenCL C
    .language_version:
      - 2
      - 0
    .max_flat_workgroup_size: 1024
    .name:           _ZN7rocprim17ROCPRIM_400000_NS6detail17trampoline_kernelINS0_14default_configENS1_35radix_sort_onesweep_config_selectorIyNS0_10empty_typeEEEZNS1_34radix_sort_onesweep_global_offsetsIS3_Lb0EPyPS5_mNS0_19identity_decomposerEEE10hipError_tT1_T2_PT3_SE_jT4_jjP12ihipStream_tbEUlT_E_NS1_11comp_targetILNS1_3genE9ELNS1_11target_archE1100ELNS1_3gpuE3ELNS1_3repE0EEENS1_52radix_sort_onesweep_histogram_config_static_selectorELNS0_4arch9wavefront6targetE1EEEvSC_
    .private_segment_fixed_size: 0
    .sgpr_count:     4
    .sgpr_spill_count: 0
    .symbol:         _ZN7rocprim17ROCPRIM_400000_NS6detail17trampoline_kernelINS0_14default_configENS1_35radix_sort_onesweep_config_selectorIyNS0_10empty_typeEEEZNS1_34radix_sort_onesweep_global_offsetsIS3_Lb0EPyPS5_mNS0_19identity_decomposerEEE10hipError_tT1_T2_PT3_SE_jT4_jjP12ihipStream_tbEUlT_E_NS1_11comp_targetILNS1_3genE9ELNS1_11target_archE1100ELNS1_3gpuE3ELNS1_3repE0EEENS1_52radix_sort_onesweep_histogram_config_static_selectorELNS0_4arch9wavefront6targetE1EEEvSC_.kd
    .uniform_work_group_size: 1
    .uses_dynamic_stack: false
    .vgpr_count:     0
    .vgpr_spill_count: 0
    .wavefront_size: 64
  - .agpr_count:     0
    .args:
      - .offset:         0
        .size:           48
        .value_kind:     by_value
    .group_segment_fixed_size: 0
    .kernarg_segment_align: 8
    .kernarg_segment_size: 48
    .language:       OpenCL C
    .language_version:
      - 2
      - 0
    .max_flat_workgroup_size: 1024
    .name:           _ZN7rocprim17ROCPRIM_400000_NS6detail17trampoline_kernelINS0_14default_configENS1_35radix_sort_onesweep_config_selectorIyNS0_10empty_typeEEEZNS1_34radix_sort_onesweep_global_offsetsIS3_Lb0EPyPS5_mNS0_19identity_decomposerEEE10hipError_tT1_T2_PT3_SE_jT4_jjP12ihipStream_tbEUlT_E_NS1_11comp_targetILNS1_3genE8ELNS1_11target_archE1030ELNS1_3gpuE2ELNS1_3repE0EEENS1_52radix_sort_onesweep_histogram_config_static_selectorELNS0_4arch9wavefront6targetE1EEEvSC_
    .private_segment_fixed_size: 0
    .sgpr_count:     4
    .sgpr_spill_count: 0
    .symbol:         _ZN7rocprim17ROCPRIM_400000_NS6detail17trampoline_kernelINS0_14default_configENS1_35radix_sort_onesweep_config_selectorIyNS0_10empty_typeEEEZNS1_34radix_sort_onesweep_global_offsetsIS3_Lb0EPyPS5_mNS0_19identity_decomposerEEE10hipError_tT1_T2_PT3_SE_jT4_jjP12ihipStream_tbEUlT_E_NS1_11comp_targetILNS1_3genE8ELNS1_11target_archE1030ELNS1_3gpuE2ELNS1_3repE0EEENS1_52radix_sort_onesweep_histogram_config_static_selectorELNS0_4arch9wavefront6targetE1EEEvSC_.kd
    .uniform_work_group_size: 1
    .uses_dynamic_stack: false
    .vgpr_count:     0
    .vgpr_spill_count: 0
    .wavefront_size: 64
  - .agpr_count:     0
    .args:
      - .address_space:  global
        .offset:         0
        .size:           8
        .value_kind:     global_buffer
    .group_segment_fixed_size: 0
    .kernarg_segment_align: 8
    .kernarg_segment_size: 8
    .language:       OpenCL C
    .language_version:
      - 2
      - 0
    .max_flat_workgroup_size: 512
    .name:           _ZN7rocprim17ROCPRIM_400000_NS6detail17trampoline_kernelINS0_14default_configENS1_35radix_sort_onesweep_config_selectorIyNS0_10empty_typeEEEZNS1_34radix_sort_onesweep_global_offsetsIS3_Lb0EPyPS5_mNS0_19identity_decomposerEEE10hipError_tT1_T2_PT3_SE_jT4_jjP12ihipStream_tbEUlT_E0_NS1_11comp_targetILNS1_3genE0ELNS1_11target_archE4294967295ELNS1_3gpuE0ELNS1_3repE0EEENS1_52radix_sort_onesweep_histogram_config_static_selectorELNS0_4arch9wavefront6targetE1EEEvSC_
    .private_segment_fixed_size: 0
    .sgpr_count:     4
    .sgpr_spill_count: 0
    .symbol:         _ZN7rocprim17ROCPRIM_400000_NS6detail17trampoline_kernelINS0_14default_configENS1_35radix_sort_onesweep_config_selectorIyNS0_10empty_typeEEEZNS1_34radix_sort_onesweep_global_offsetsIS3_Lb0EPyPS5_mNS0_19identity_decomposerEEE10hipError_tT1_T2_PT3_SE_jT4_jjP12ihipStream_tbEUlT_E0_NS1_11comp_targetILNS1_3genE0ELNS1_11target_archE4294967295ELNS1_3gpuE0ELNS1_3repE0EEENS1_52radix_sort_onesweep_histogram_config_static_selectorELNS0_4arch9wavefront6targetE1EEEvSC_.kd
    .uniform_work_group_size: 1
    .uses_dynamic_stack: false
    .vgpr_count:     0
    .vgpr_spill_count: 0
    .wavefront_size: 64
  - .agpr_count:     0
    .args:
      - .address_space:  global
        .offset:         0
        .size:           8
        .value_kind:     global_buffer
    .group_segment_fixed_size: 0
    .kernarg_segment_align: 8
    .kernarg_segment_size: 8
    .language:       OpenCL C
    .language_version:
      - 2
      - 0
    .max_flat_workgroup_size: 512
    .name:           _ZN7rocprim17ROCPRIM_400000_NS6detail17trampoline_kernelINS0_14default_configENS1_35radix_sort_onesweep_config_selectorIyNS0_10empty_typeEEEZNS1_34radix_sort_onesweep_global_offsetsIS3_Lb0EPyPS5_mNS0_19identity_decomposerEEE10hipError_tT1_T2_PT3_SE_jT4_jjP12ihipStream_tbEUlT_E0_NS1_11comp_targetILNS1_3genE6ELNS1_11target_archE950ELNS1_3gpuE13ELNS1_3repE0EEENS1_52radix_sort_onesweep_histogram_config_static_selectorELNS0_4arch9wavefront6targetE1EEEvSC_
    .private_segment_fixed_size: 0
    .sgpr_count:     4
    .sgpr_spill_count: 0
    .symbol:         _ZN7rocprim17ROCPRIM_400000_NS6detail17trampoline_kernelINS0_14default_configENS1_35radix_sort_onesweep_config_selectorIyNS0_10empty_typeEEEZNS1_34radix_sort_onesweep_global_offsetsIS3_Lb0EPyPS5_mNS0_19identity_decomposerEEE10hipError_tT1_T2_PT3_SE_jT4_jjP12ihipStream_tbEUlT_E0_NS1_11comp_targetILNS1_3genE6ELNS1_11target_archE950ELNS1_3gpuE13ELNS1_3repE0EEENS1_52radix_sort_onesweep_histogram_config_static_selectorELNS0_4arch9wavefront6targetE1EEEvSC_.kd
    .uniform_work_group_size: 1
    .uses_dynamic_stack: false
    .vgpr_count:     0
    .vgpr_spill_count: 0
    .wavefront_size: 64
  - .agpr_count:     0
    .args:
      - .address_space:  global
        .offset:         0
        .size:           8
        .value_kind:     global_buffer
    .group_segment_fixed_size: 0
    .kernarg_segment_align: 8
    .kernarg_segment_size: 8
    .language:       OpenCL C
    .language_version:
      - 2
      - 0
    .max_flat_workgroup_size: 512
    .name:           _ZN7rocprim17ROCPRIM_400000_NS6detail17trampoline_kernelINS0_14default_configENS1_35radix_sort_onesweep_config_selectorIyNS0_10empty_typeEEEZNS1_34radix_sort_onesweep_global_offsetsIS3_Lb0EPyPS5_mNS0_19identity_decomposerEEE10hipError_tT1_T2_PT3_SE_jT4_jjP12ihipStream_tbEUlT_E0_NS1_11comp_targetILNS1_3genE5ELNS1_11target_archE942ELNS1_3gpuE9ELNS1_3repE0EEENS1_52radix_sort_onesweep_histogram_config_static_selectorELNS0_4arch9wavefront6targetE1EEEvSC_
    .private_segment_fixed_size: 0
    .sgpr_count:     4
    .sgpr_spill_count: 0
    .symbol:         _ZN7rocprim17ROCPRIM_400000_NS6detail17trampoline_kernelINS0_14default_configENS1_35radix_sort_onesweep_config_selectorIyNS0_10empty_typeEEEZNS1_34radix_sort_onesweep_global_offsetsIS3_Lb0EPyPS5_mNS0_19identity_decomposerEEE10hipError_tT1_T2_PT3_SE_jT4_jjP12ihipStream_tbEUlT_E0_NS1_11comp_targetILNS1_3genE5ELNS1_11target_archE942ELNS1_3gpuE9ELNS1_3repE0EEENS1_52radix_sort_onesweep_histogram_config_static_selectorELNS0_4arch9wavefront6targetE1EEEvSC_.kd
    .uniform_work_group_size: 1
    .uses_dynamic_stack: false
    .vgpr_count:     0
    .vgpr_spill_count: 0
    .wavefront_size: 64
  - .agpr_count:     0
    .args:
      - .address_space:  global
        .offset:         0
        .size:           8
        .value_kind:     global_buffer
    .group_segment_fixed_size: 0
    .kernarg_segment_align: 8
    .kernarg_segment_size: 8
    .language:       OpenCL C
    .language_version:
      - 2
      - 0
    .max_flat_workgroup_size: 512
    .name:           _ZN7rocprim17ROCPRIM_400000_NS6detail17trampoline_kernelINS0_14default_configENS1_35radix_sort_onesweep_config_selectorIyNS0_10empty_typeEEEZNS1_34radix_sort_onesweep_global_offsetsIS3_Lb0EPyPS5_mNS0_19identity_decomposerEEE10hipError_tT1_T2_PT3_SE_jT4_jjP12ihipStream_tbEUlT_E0_NS1_11comp_targetILNS1_3genE2ELNS1_11target_archE906ELNS1_3gpuE6ELNS1_3repE0EEENS1_52radix_sort_onesweep_histogram_config_static_selectorELNS0_4arch9wavefront6targetE1EEEvSC_
    .private_segment_fixed_size: 0
    .sgpr_count:     4
    .sgpr_spill_count: 0
    .symbol:         _ZN7rocprim17ROCPRIM_400000_NS6detail17trampoline_kernelINS0_14default_configENS1_35radix_sort_onesweep_config_selectorIyNS0_10empty_typeEEEZNS1_34radix_sort_onesweep_global_offsetsIS3_Lb0EPyPS5_mNS0_19identity_decomposerEEE10hipError_tT1_T2_PT3_SE_jT4_jjP12ihipStream_tbEUlT_E0_NS1_11comp_targetILNS1_3genE2ELNS1_11target_archE906ELNS1_3gpuE6ELNS1_3repE0EEENS1_52radix_sort_onesweep_histogram_config_static_selectorELNS0_4arch9wavefront6targetE1EEEvSC_.kd
    .uniform_work_group_size: 1
    .uses_dynamic_stack: false
    .vgpr_count:     0
    .vgpr_spill_count: 0
    .wavefront_size: 64
  - .agpr_count:     0
    .args:
      - .address_space:  global
        .offset:         0
        .size:           8
        .value_kind:     global_buffer
    .group_segment_fixed_size: 128
    .kernarg_segment_align: 8
    .kernarg_segment_size: 8
    .language:       OpenCL C
    .language_version:
      - 2
      - 0
    .max_flat_workgroup_size: 1024
    .name:           _ZN7rocprim17ROCPRIM_400000_NS6detail17trampoline_kernelINS0_14default_configENS1_35radix_sort_onesweep_config_selectorIyNS0_10empty_typeEEEZNS1_34radix_sort_onesweep_global_offsetsIS3_Lb0EPyPS5_mNS0_19identity_decomposerEEE10hipError_tT1_T2_PT3_SE_jT4_jjP12ihipStream_tbEUlT_E0_NS1_11comp_targetILNS1_3genE4ELNS1_11target_archE910ELNS1_3gpuE8ELNS1_3repE0EEENS1_52radix_sort_onesweep_histogram_config_static_selectorELNS0_4arch9wavefront6targetE1EEEvSC_
    .private_segment_fixed_size: 0
    .sgpr_count:     22
    .sgpr_spill_count: 0
    .symbol:         _ZN7rocprim17ROCPRIM_400000_NS6detail17trampoline_kernelINS0_14default_configENS1_35radix_sort_onesweep_config_selectorIyNS0_10empty_typeEEEZNS1_34radix_sort_onesweep_global_offsetsIS3_Lb0EPyPS5_mNS0_19identity_decomposerEEE10hipError_tT1_T2_PT3_SE_jT4_jjP12ihipStream_tbEUlT_E0_NS1_11comp_targetILNS1_3genE4ELNS1_11target_archE910ELNS1_3gpuE8ELNS1_3repE0EEENS1_52radix_sort_onesweep_histogram_config_static_selectorELNS0_4arch9wavefront6targetE1EEEvSC_.kd
    .uniform_work_group_size: 1
    .uses_dynamic_stack: false
    .vgpr_count:     13
    .vgpr_spill_count: 0
    .wavefront_size: 64
  - .agpr_count:     0
    .args:
      - .address_space:  global
        .offset:         0
        .size:           8
        .value_kind:     global_buffer
    .group_segment_fixed_size: 0
    .kernarg_segment_align: 8
    .kernarg_segment_size: 8
    .language:       OpenCL C
    .language_version:
      - 2
      - 0
    .max_flat_workgroup_size: 512
    .name:           _ZN7rocprim17ROCPRIM_400000_NS6detail17trampoline_kernelINS0_14default_configENS1_35radix_sort_onesweep_config_selectorIyNS0_10empty_typeEEEZNS1_34radix_sort_onesweep_global_offsetsIS3_Lb0EPyPS5_mNS0_19identity_decomposerEEE10hipError_tT1_T2_PT3_SE_jT4_jjP12ihipStream_tbEUlT_E0_NS1_11comp_targetILNS1_3genE3ELNS1_11target_archE908ELNS1_3gpuE7ELNS1_3repE0EEENS1_52radix_sort_onesweep_histogram_config_static_selectorELNS0_4arch9wavefront6targetE1EEEvSC_
    .private_segment_fixed_size: 0
    .sgpr_count:     4
    .sgpr_spill_count: 0
    .symbol:         _ZN7rocprim17ROCPRIM_400000_NS6detail17trampoline_kernelINS0_14default_configENS1_35radix_sort_onesweep_config_selectorIyNS0_10empty_typeEEEZNS1_34radix_sort_onesweep_global_offsetsIS3_Lb0EPyPS5_mNS0_19identity_decomposerEEE10hipError_tT1_T2_PT3_SE_jT4_jjP12ihipStream_tbEUlT_E0_NS1_11comp_targetILNS1_3genE3ELNS1_11target_archE908ELNS1_3gpuE7ELNS1_3repE0EEENS1_52radix_sort_onesweep_histogram_config_static_selectorELNS0_4arch9wavefront6targetE1EEEvSC_.kd
    .uniform_work_group_size: 1
    .uses_dynamic_stack: false
    .vgpr_count:     0
    .vgpr_spill_count: 0
    .wavefront_size: 64
  - .agpr_count:     0
    .args:
      - .address_space:  global
        .offset:         0
        .size:           8
        .value_kind:     global_buffer
    .group_segment_fixed_size: 0
    .kernarg_segment_align: 8
    .kernarg_segment_size: 8
    .language:       OpenCL C
    .language_version:
      - 2
      - 0
    .max_flat_workgroup_size: 512
    .name:           _ZN7rocprim17ROCPRIM_400000_NS6detail17trampoline_kernelINS0_14default_configENS1_35radix_sort_onesweep_config_selectorIyNS0_10empty_typeEEEZNS1_34radix_sort_onesweep_global_offsetsIS3_Lb0EPyPS5_mNS0_19identity_decomposerEEE10hipError_tT1_T2_PT3_SE_jT4_jjP12ihipStream_tbEUlT_E0_NS1_11comp_targetILNS1_3genE10ELNS1_11target_archE1201ELNS1_3gpuE5ELNS1_3repE0EEENS1_52radix_sort_onesweep_histogram_config_static_selectorELNS0_4arch9wavefront6targetE1EEEvSC_
    .private_segment_fixed_size: 0
    .sgpr_count:     4
    .sgpr_spill_count: 0
    .symbol:         _ZN7rocprim17ROCPRIM_400000_NS6detail17trampoline_kernelINS0_14default_configENS1_35radix_sort_onesweep_config_selectorIyNS0_10empty_typeEEEZNS1_34radix_sort_onesweep_global_offsetsIS3_Lb0EPyPS5_mNS0_19identity_decomposerEEE10hipError_tT1_T2_PT3_SE_jT4_jjP12ihipStream_tbEUlT_E0_NS1_11comp_targetILNS1_3genE10ELNS1_11target_archE1201ELNS1_3gpuE5ELNS1_3repE0EEENS1_52radix_sort_onesweep_histogram_config_static_selectorELNS0_4arch9wavefront6targetE1EEEvSC_.kd
    .uniform_work_group_size: 1
    .uses_dynamic_stack: false
    .vgpr_count:     0
    .vgpr_spill_count: 0
    .wavefront_size: 64
  - .agpr_count:     0
    .args:
      - .address_space:  global
        .offset:         0
        .size:           8
        .value_kind:     global_buffer
    .group_segment_fixed_size: 0
    .kernarg_segment_align: 8
    .kernarg_segment_size: 8
    .language:       OpenCL C
    .language_version:
      - 2
      - 0
    .max_flat_workgroup_size: 1024
    .name:           _ZN7rocprim17ROCPRIM_400000_NS6detail17trampoline_kernelINS0_14default_configENS1_35radix_sort_onesweep_config_selectorIyNS0_10empty_typeEEEZNS1_34radix_sort_onesweep_global_offsetsIS3_Lb0EPyPS5_mNS0_19identity_decomposerEEE10hipError_tT1_T2_PT3_SE_jT4_jjP12ihipStream_tbEUlT_E0_NS1_11comp_targetILNS1_3genE9ELNS1_11target_archE1100ELNS1_3gpuE3ELNS1_3repE0EEENS1_52radix_sort_onesweep_histogram_config_static_selectorELNS0_4arch9wavefront6targetE1EEEvSC_
    .private_segment_fixed_size: 0
    .sgpr_count:     4
    .sgpr_spill_count: 0
    .symbol:         _ZN7rocprim17ROCPRIM_400000_NS6detail17trampoline_kernelINS0_14default_configENS1_35radix_sort_onesweep_config_selectorIyNS0_10empty_typeEEEZNS1_34radix_sort_onesweep_global_offsetsIS3_Lb0EPyPS5_mNS0_19identity_decomposerEEE10hipError_tT1_T2_PT3_SE_jT4_jjP12ihipStream_tbEUlT_E0_NS1_11comp_targetILNS1_3genE9ELNS1_11target_archE1100ELNS1_3gpuE3ELNS1_3repE0EEENS1_52radix_sort_onesweep_histogram_config_static_selectorELNS0_4arch9wavefront6targetE1EEEvSC_.kd
    .uniform_work_group_size: 1
    .uses_dynamic_stack: false
    .vgpr_count:     0
    .vgpr_spill_count: 0
    .wavefront_size: 64
  - .agpr_count:     0
    .args:
      - .address_space:  global
        .offset:         0
        .size:           8
        .value_kind:     global_buffer
    .group_segment_fixed_size: 0
    .kernarg_segment_align: 8
    .kernarg_segment_size: 8
    .language:       OpenCL C
    .language_version:
      - 2
      - 0
    .max_flat_workgroup_size: 1024
    .name:           _ZN7rocprim17ROCPRIM_400000_NS6detail17trampoline_kernelINS0_14default_configENS1_35radix_sort_onesweep_config_selectorIyNS0_10empty_typeEEEZNS1_34radix_sort_onesweep_global_offsetsIS3_Lb0EPyPS5_mNS0_19identity_decomposerEEE10hipError_tT1_T2_PT3_SE_jT4_jjP12ihipStream_tbEUlT_E0_NS1_11comp_targetILNS1_3genE8ELNS1_11target_archE1030ELNS1_3gpuE2ELNS1_3repE0EEENS1_52radix_sort_onesweep_histogram_config_static_selectorELNS0_4arch9wavefront6targetE1EEEvSC_
    .private_segment_fixed_size: 0
    .sgpr_count:     4
    .sgpr_spill_count: 0
    .symbol:         _ZN7rocprim17ROCPRIM_400000_NS6detail17trampoline_kernelINS0_14default_configENS1_35radix_sort_onesweep_config_selectorIyNS0_10empty_typeEEEZNS1_34radix_sort_onesweep_global_offsetsIS3_Lb0EPyPS5_mNS0_19identity_decomposerEEE10hipError_tT1_T2_PT3_SE_jT4_jjP12ihipStream_tbEUlT_E0_NS1_11comp_targetILNS1_3genE8ELNS1_11target_archE1030ELNS1_3gpuE2ELNS1_3repE0EEENS1_52radix_sort_onesweep_histogram_config_static_selectorELNS0_4arch9wavefront6targetE1EEEvSC_.kd
    .uniform_work_group_size: 1
    .uses_dynamic_stack: false
    .vgpr_count:     0
    .vgpr_spill_count: 0
    .wavefront_size: 64
  - .agpr_count:     0
    .args:
      - .offset:         0
        .size:           88
        .value_kind:     by_value
    .group_segment_fixed_size: 0
    .kernarg_segment_align: 8
    .kernarg_segment_size: 88
    .language:       OpenCL C
    .language_version:
      - 2
      - 0
    .max_flat_workgroup_size: 512
    .name:           _ZN7rocprim17ROCPRIM_400000_NS6detail17trampoline_kernelINS0_14default_configENS1_35radix_sort_onesweep_config_selectorIyNS0_10empty_typeEEEZZNS1_29radix_sort_onesweep_iterationIS3_Lb0EPyS8_PS5_S9_mNS0_19identity_decomposerENS1_16block_id_wrapperIjLb1EEEEE10hipError_tT1_PNSt15iterator_traitsISE_E10value_typeET2_T3_PNSF_ISK_E10value_typeET4_T5_PSP_SQ_PNS1_23onesweep_lookback_stateEbbT6_jjT7_P12ihipStream_tbENKUlT_T0_SE_SJ_E_clIS8_S8_S9_S9_EEDaSX_SY_SE_SJ_EUlSX_E_NS1_11comp_targetILNS1_3genE0ELNS1_11target_archE4294967295ELNS1_3gpuE0ELNS1_3repE0EEENS1_47radix_sort_onesweep_sort_config_static_selectorELNS0_4arch9wavefront6targetE1EEEvSE_
    .private_segment_fixed_size: 0
    .sgpr_count:     4
    .sgpr_spill_count: 0
    .symbol:         _ZN7rocprim17ROCPRIM_400000_NS6detail17trampoline_kernelINS0_14default_configENS1_35radix_sort_onesweep_config_selectorIyNS0_10empty_typeEEEZZNS1_29radix_sort_onesweep_iterationIS3_Lb0EPyS8_PS5_S9_mNS0_19identity_decomposerENS1_16block_id_wrapperIjLb1EEEEE10hipError_tT1_PNSt15iterator_traitsISE_E10value_typeET2_T3_PNSF_ISK_E10value_typeET4_T5_PSP_SQ_PNS1_23onesweep_lookback_stateEbbT6_jjT7_P12ihipStream_tbENKUlT_T0_SE_SJ_E_clIS8_S8_S9_S9_EEDaSX_SY_SE_SJ_EUlSX_E_NS1_11comp_targetILNS1_3genE0ELNS1_11target_archE4294967295ELNS1_3gpuE0ELNS1_3repE0EEENS1_47radix_sort_onesweep_sort_config_static_selectorELNS0_4arch9wavefront6targetE1EEEvSE_.kd
    .uniform_work_group_size: 1
    .uses_dynamic_stack: false
    .vgpr_count:     0
    .vgpr_spill_count: 0
    .wavefront_size: 64
  - .agpr_count:     0
    .args:
      - .offset:         0
        .size:           88
        .value_kind:     by_value
    .group_segment_fixed_size: 0
    .kernarg_segment_align: 8
    .kernarg_segment_size: 88
    .language:       OpenCL C
    .language_version:
      - 2
      - 0
    .max_flat_workgroup_size: 512
    .name:           _ZN7rocprim17ROCPRIM_400000_NS6detail17trampoline_kernelINS0_14default_configENS1_35radix_sort_onesweep_config_selectorIyNS0_10empty_typeEEEZZNS1_29radix_sort_onesweep_iterationIS3_Lb0EPyS8_PS5_S9_mNS0_19identity_decomposerENS1_16block_id_wrapperIjLb1EEEEE10hipError_tT1_PNSt15iterator_traitsISE_E10value_typeET2_T3_PNSF_ISK_E10value_typeET4_T5_PSP_SQ_PNS1_23onesweep_lookback_stateEbbT6_jjT7_P12ihipStream_tbENKUlT_T0_SE_SJ_E_clIS8_S8_S9_S9_EEDaSX_SY_SE_SJ_EUlSX_E_NS1_11comp_targetILNS1_3genE6ELNS1_11target_archE950ELNS1_3gpuE13ELNS1_3repE0EEENS1_47radix_sort_onesweep_sort_config_static_selectorELNS0_4arch9wavefront6targetE1EEEvSE_
    .private_segment_fixed_size: 0
    .sgpr_count:     4
    .sgpr_spill_count: 0
    .symbol:         _ZN7rocprim17ROCPRIM_400000_NS6detail17trampoline_kernelINS0_14default_configENS1_35radix_sort_onesweep_config_selectorIyNS0_10empty_typeEEEZZNS1_29radix_sort_onesweep_iterationIS3_Lb0EPyS8_PS5_S9_mNS0_19identity_decomposerENS1_16block_id_wrapperIjLb1EEEEE10hipError_tT1_PNSt15iterator_traitsISE_E10value_typeET2_T3_PNSF_ISK_E10value_typeET4_T5_PSP_SQ_PNS1_23onesweep_lookback_stateEbbT6_jjT7_P12ihipStream_tbENKUlT_T0_SE_SJ_E_clIS8_S8_S9_S9_EEDaSX_SY_SE_SJ_EUlSX_E_NS1_11comp_targetILNS1_3genE6ELNS1_11target_archE950ELNS1_3gpuE13ELNS1_3repE0EEENS1_47radix_sort_onesweep_sort_config_static_selectorELNS0_4arch9wavefront6targetE1EEEvSE_.kd
    .uniform_work_group_size: 1
    .uses_dynamic_stack: false
    .vgpr_count:     0
    .vgpr_spill_count: 0
    .wavefront_size: 64
  - .agpr_count:     0
    .args:
      - .offset:         0
        .size:           88
        .value_kind:     by_value
    .group_segment_fixed_size: 0
    .kernarg_segment_align: 8
    .kernarg_segment_size: 88
    .language:       OpenCL C
    .language_version:
      - 2
      - 0
    .max_flat_workgroup_size: 512
    .name:           _ZN7rocprim17ROCPRIM_400000_NS6detail17trampoline_kernelINS0_14default_configENS1_35radix_sort_onesweep_config_selectorIyNS0_10empty_typeEEEZZNS1_29radix_sort_onesweep_iterationIS3_Lb0EPyS8_PS5_S9_mNS0_19identity_decomposerENS1_16block_id_wrapperIjLb1EEEEE10hipError_tT1_PNSt15iterator_traitsISE_E10value_typeET2_T3_PNSF_ISK_E10value_typeET4_T5_PSP_SQ_PNS1_23onesweep_lookback_stateEbbT6_jjT7_P12ihipStream_tbENKUlT_T0_SE_SJ_E_clIS8_S8_S9_S9_EEDaSX_SY_SE_SJ_EUlSX_E_NS1_11comp_targetILNS1_3genE5ELNS1_11target_archE942ELNS1_3gpuE9ELNS1_3repE0EEENS1_47radix_sort_onesweep_sort_config_static_selectorELNS0_4arch9wavefront6targetE1EEEvSE_
    .private_segment_fixed_size: 0
    .sgpr_count:     4
    .sgpr_spill_count: 0
    .symbol:         _ZN7rocprim17ROCPRIM_400000_NS6detail17trampoline_kernelINS0_14default_configENS1_35radix_sort_onesweep_config_selectorIyNS0_10empty_typeEEEZZNS1_29radix_sort_onesweep_iterationIS3_Lb0EPyS8_PS5_S9_mNS0_19identity_decomposerENS1_16block_id_wrapperIjLb1EEEEE10hipError_tT1_PNSt15iterator_traitsISE_E10value_typeET2_T3_PNSF_ISK_E10value_typeET4_T5_PSP_SQ_PNS1_23onesweep_lookback_stateEbbT6_jjT7_P12ihipStream_tbENKUlT_T0_SE_SJ_E_clIS8_S8_S9_S9_EEDaSX_SY_SE_SJ_EUlSX_E_NS1_11comp_targetILNS1_3genE5ELNS1_11target_archE942ELNS1_3gpuE9ELNS1_3repE0EEENS1_47radix_sort_onesweep_sort_config_static_selectorELNS0_4arch9wavefront6targetE1EEEvSE_.kd
    .uniform_work_group_size: 1
    .uses_dynamic_stack: false
    .vgpr_count:     0
    .vgpr_spill_count: 0
    .wavefront_size: 64
  - .agpr_count:     0
    .args:
      - .offset:         0
        .size:           88
        .value_kind:     by_value
    .group_segment_fixed_size: 0
    .kernarg_segment_align: 8
    .kernarg_segment_size: 88
    .language:       OpenCL C
    .language_version:
      - 2
      - 0
    .max_flat_workgroup_size: 512
    .name:           _ZN7rocprim17ROCPRIM_400000_NS6detail17trampoline_kernelINS0_14default_configENS1_35radix_sort_onesweep_config_selectorIyNS0_10empty_typeEEEZZNS1_29radix_sort_onesweep_iterationIS3_Lb0EPyS8_PS5_S9_mNS0_19identity_decomposerENS1_16block_id_wrapperIjLb1EEEEE10hipError_tT1_PNSt15iterator_traitsISE_E10value_typeET2_T3_PNSF_ISK_E10value_typeET4_T5_PSP_SQ_PNS1_23onesweep_lookback_stateEbbT6_jjT7_P12ihipStream_tbENKUlT_T0_SE_SJ_E_clIS8_S8_S9_S9_EEDaSX_SY_SE_SJ_EUlSX_E_NS1_11comp_targetILNS1_3genE2ELNS1_11target_archE906ELNS1_3gpuE6ELNS1_3repE0EEENS1_47radix_sort_onesweep_sort_config_static_selectorELNS0_4arch9wavefront6targetE1EEEvSE_
    .private_segment_fixed_size: 0
    .sgpr_count:     4
    .sgpr_spill_count: 0
    .symbol:         _ZN7rocprim17ROCPRIM_400000_NS6detail17trampoline_kernelINS0_14default_configENS1_35radix_sort_onesweep_config_selectorIyNS0_10empty_typeEEEZZNS1_29radix_sort_onesweep_iterationIS3_Lb0EPyS8_PS5_S9_mNS0_19identity_decomposerENS1_16block_id_wrapperIjLb1EEEEE10hipError_tT1_PNSt15iterator_traitsISE_E10value_typeET2_T3_PNSF_ISK_E10value_typeET4_T5_PSP_SQ_PNS1_23onesweep_lookback_stateEbbT6_jjT7_P12ihipStream_tbENKUlT_T0_SE_SJ_E_clIS8_S8_S9_S9_EEDaSX_SY_SE_SJ_EUlSX_E_NS1_11comp_targetILNS1_3genE2ELNS1_11target_archE906ELNS1_3gpuE6ELNS1_3repE0EEENS1_47radix_sort_onesweep_sort_config_static_selectorELNS0_4arch9wavefront6targetE1EEEvSE_.kd
    .uniform_work_group_size: 1
    .uses_dynamic_stack: false
    .vgpr_count:     0
    .vgpr_spill_count: 0
    .wavefront_size: 64
  - .agpr_count:     0
    .args:
      - .offset:         0
        .size:           88
        .value_kind:     by_value
      - .offset:         88
        .size:           4
        .value_kind:     hidden_block_count_x
      - .offset:         92
        .size:           4
        .value_kind:     hidden_block_count_y
      - .offset:         96
        .size:           4
        .value_kind:     hidden_block_count_z
      - .offset:         100
        .size:           2
        .value_kind:     hidden_group_size_x
      - .offset:         102
        .size:           2
        .value_kind:     hidden_group_size_y
      - .offset:         104
        .size:           2
        .value_kind:     hidden_group_size_z
      - .offset:         106
        .size:           2
        .value_kind:     hidden_remainder_x
      - .offset:         108
        .size:           2
        .value_kind:     hidden_remainder_y
      - .offset:         110
        .size:           2
        .value_kind:     hidden_remainder_z
      - .offset:         128
        .size:           8
        .value_kind:     hidden_global_offset_x
      - .offset:         136
        .size:           8
        .value_kind:     hidden_global_offset_y
      - .offset:         144
        .size:           8
        .value_kind:     hidden_global_offset_z
      - .offset:         152
        .size:           2
        .value_kind:     hidden_grid_dims
    .group_segment_fixed_size: 20552
    .kernarg_segment_align: 8
    .kernarg_segment_size: 344
    .language:       OpenCL C
    .language_version:
      - 2
      - 0
    .max_flat_workgroup_size: 1024
    .name:           _ZN7rocprim17ROCPRIM_400000_NS6detail17trampoline_kernelINS0_14default_configENS1_35radix_sort_onesweep_config_selectorIyNS0_10empty_typeEEEZZNS1_29radix_sort_onesweep_iterationIS3_Lb0EPyS8_PS5_S9_mNS0_19identity_decomposerENS1_16block_id_wrapperIjLb1EEEEE10hipError_tT1_PNSt15iterator_traitsISE_E10value_typeET2_T3_PNSF_ISK_E10value_typeET4_T5_PSP_SQ_PNS1_23onesweep_lookback_stateEbbT6_jjT7_P12ihipStream_tbENKUlT_T0_SE_SJ_E_clIS8_S8_S9_S9_EEDaSX_SY_SE_SJ_EUlSX_E_NS1_11comp_targetILNS1_3genE4ELNS1_11target_archE910ELNS1_3gpuE8ELNS1_3repE0EEENS1_47radix_sort_onesweep_sort_config_static_selectorELNS0_4arch9wavefront6targetE1EEEvSE_
    .private_segment_fixed_size: 0
    .sgpr_count:     38
    .sgpr_spill_count: 0
    .symbol:         _ZN7rocprim17ROCPRIM_400000_NS6detail17trampoline_kernelINS0_14default_configENS1_35radix_sort_onesweep_config_selectorIyNS0_10empty_typeEEEZZNS1_29radix_sort_onesweep_iterationIS3_Lb0EPyS8_PS5_S9_mNS0_19identity_decomposerENS1_16block_id_wrapperIjLb1EEEEE10hipError_tT1_PNSt15iterator_traitsISE_E10value_typeET2_T3_PNSF_ISK_E10value_typeET4_T5_PSP_SQ_PNS1_23onesweep_lookback_stateEbbT6_jjT7_P12ihipStream_tbENKUlT_T0_SE_SJ_E_clIS8_S8_S9_S9_EEDaSX_SY_SE_SJ_EUlSX_E_NS1_11comp_targetILNS1_3genE4ELNS1_11target_archE910ELNS1_3gpuE8ELNS1_3repE0EEENS1_47radix_sort_onesweep_sort_config_static_selectorELNS0_4arch9wavefront6targetE1EEEvSE_.kd
    .uniform_work_group_size: 1
    .uses_dynamic_stack: false
    .vgpr_count:     55
    .vgpr_spill_count: 0
    .wavefront_size: 64
  - .agpr_count:     0
    .args:
      - .offset:         0
        .size:           88
        .value_kind:     by_value
    .group_segment_fixed_size: 0
    .kernarg_segment_align: 8
    .kernarg_segment_size: 88
    .language:       OpenCL C
    .language_version:
      - 2
      - 0
    .max_flat_workgroup_size: 512
    .name:           _ZN7rocprim17ROCPRIM_400000_NS6detail17trampoline_kernelINS0_14default_configENS1_35radix_sort_onesweep_config_selectorIyNS0_10empty_typeEEEZZNS1_29radix_sort_onesweep_iterationIS3_Lb0EPyS8_PS5_S9_mNS0_19identity_decomposerENS1_16block_id_wrapperIjLb1EEEEE10hipError_tT1_PNSt15iterator_traitsISE_E10value_typeET2_T3_PNSF_ISK_E10value_typeET4_T5_PSP_SQ_PNS1_23onesweep_lookback_stateEbbT6_jjT7_P12ihipStream_tbENKUlT_T0_SE_SJ_E_clIS8_S8_S9_S9_EEDaSX_SY_SE_SJ_EUlSX_E_NS1_11comp_targetILNS1_3genE3ELNS1_11target_archE908ELNS1_3gpuE7ELNS1_3repE0EEENS1_47radix_sort_onesweep_sort_config_static_selectorELNS0_4arch9wavefront6targetE1EEEvSE_
    .private_segment_fixed_size: 0
    .sgpr_count:     4
    .sgpr_spill_count: 0
    .symbol:         _ZN7rocprim17ROCPRIM_400000_NS6detail17trampoline_kernelINS0_14default_configENS1_35radix_sort_onesweep_config_selectorIyNS0_10empty_typeEEEZZNS1_29radix_sort_onesweep_iterationIS3_Lb0EPyS8_PS5_S9_mNS0_19identity_decomposerENS1_16block_id_wrapperIjLb1EEEEE10hipError_tT1_PNSt15iterator_traitsISE_E10value_typeET2_T3_PNSF_ISK_E10value_typeET4_T5_PSP_SQ_PNS1_23onesweep_lookback_stateEbbT6_jjT7_P12ihipStream_tbENKUlT_T0_SE_SJ_E_clIS8_S8_S9_S9_EEDaSX_SY_SE_SJ_EUlSX_E_NS1_11comp_targetILNS1_3genE3ELNS1_11target_archE908ELNS1_3gpuE7ELNS1_3repE0EEENS1_47radix_sort_onesweep_sort_config_static_selectorELNS0_4arch9wavefront6targetE1EEEvSE_.kd
    .uniform_work_group_size: 1
    .uses_dynamic_stack: false
    .vgpr_count:     0
    .vgpr_spill_count: 0
    .wavefront_size: 64
  - .agpr_count:     0
    .args:
      - .offset:         0
        .size:           88
        .value_kind:     by_value
    .group_segment_fixed_size: 0
    .kernarg_segment_align: 8
    .kernarg_segment_size: 88
    .language:       OpenCL C
    .language_version:
      - 2
      - 0
    .max_flat_workgroup_size: 512
    .name:           _ZN7rocprim17ROCPRIM_400000_NS6detail17trampoline_kernelINS0_14default_configENS1_35radix_sort_onesweep_config_selectorIyNS0_10empty_typeEEEZZNS1_29radix_sort_onesweep_iterationIS3_Lb0EPyS8_PS5_S9_mNS0_19identity_decomposerENS1_16block_id_wrapperIjLb1EEEEE10hipError_tT1_PNSt15iterator_traitsISE_E10value_typeET2_T3_PNSF_ISK_E10value_typeET4_T5_PSP_SQ_PNS1_23onesweep_lookback_stateEbbT6_jjT7_P12ihipStream_tbENKUlT_T0_SE_SJ_E_clIS8_S8_S9_S9_EEDaSX_SY_SE_SJ_EUlSX_E_NS1_11comp_targetILNS1_3genE10ELNS1_11target_archE1201ELNS1_3gpuE5ELNS1_3repE0EEENS1_47radix_sort_onesweep_sort_config_static_selectorELNS0_4arch9wavefront6targetE1EEEvSE_
    .private_segment_fixed_size: 0
    .sgpr_count:     4
    .sgpr_spill_count: 0
    .symbol:         _ZN7rocprim17ROCPRIM_400000_NS6detail17trampoline_kernelINS0_14default_configENS1_35radix_sort_onesweep_config_selectorIyNS0_10empty_typeEEEZZNS1_29radix_sort_onesweep_iterationIS3_Lb0EPyS8_PS5_S9_mNS0_19identity_decomposerENS1_16block_id_wrapperIjLb1EEEEE10hipError_tT1_PNSt15iterator_traitsISE_E10value_typeET2_T3_PNSF_ISK_E10value_typeET4_T5_PSP_SQ_PNS1_23onesweep_lookback_stateEbbT6_jjT7_P12ihipStream_tbENKUlT_T0_SE_SJ_E_clIS8_S8_S9_S9_EEDaSX_SY_SE_SJ_EUlSX_E_NS1_11comp_targetILNS1_3genE10ELNS1_11target_archE1201ELNS1_3gpuE5ELNS1_3repE0EEENS1_47radix_sort_onesweep_sort_config_static_selectorELNS0_4arch9wavefront6targetE1EEEvSE_.kd
    .uniform_work_group_size: 1
    .uses_dynamic_stack: false
    .vgpr_count:     0
    .vgpr_spill_count: 0
    .wavefront_size: 64
  - .agpr_count:     0
    .args:
      - .offset:         0
        .size:           88
        .value_kind:     by_value
    .group_segment_fixed_size: 0
    .kernarg_segment_align: 8
    .kernarg_segment_size: 88
    .language:       OpenCL C
    .language_version:
      - 2
      - 0
    .max_flat_workgroup_size: 1024
    .name:           _ZN7rocprim17ROCPRIM_400000_NS6detail17trampoline_kernelINS0_14default_configENS1_35radix_sort_onesweep_config_selectorIyNS0_10empty_typeEEEZZNS1_29radix_sort_onesweep_iterationIS3_Lb0EPyS8_PS5_S9_mNS0_19identity_decomposerENS1_16block_id_wrapperIjLb1EEEEE10hipError_tT1_PNSt15iterator_traitsISE_E10value_typeET2_T3_PNSF_ISK_E10value_typeET4_T5_PSP_SQ_PNS1_23onesweep_lookback_stateEbbT6_jjT7_P12ihipStream_tbENKUlT_T0_SE_SJ_E_clIS8_S8_S9_S9_EEDaSX_SY_SE_SJ_EUlSX_E_NS1_11comp_targetILNS1_3genE9ELNS1_11target_archE1100ELNS1_3gpuE3ELNS1_3repE0EEENS1_47radix_sort_onesweep_sort_config_static_selectorELNS0_4arch9wavefront6targetE1EEEvSE_
    .private_segment_fixed_size: 0
    .sgpr_count:     4
    .sgpr_spill_count: 0
    .symbol:         _ZN7rocprim17ROCPRIM_400000_NS6detail17trampoline_kernelINS0_14default_configENS1_35radix_sort_onesweep_config_selectorIyNS0_10empty_typeEEEZZNS1_29radix_sort_onesweep_iterationIS3_Lb0EPyS8_PS5_S9_mNS0_19identity_decomposerENS1_16block_id_wrapperIjLb1EEEEE10hipError_tT1_PNSt15iterator_traitsISE_E10value_typeET2_T3_PNSF_ISK_E10value_typeET4_T5_PSP_SQ_PNS1_23onesweep_lookback_stateEbbT6_jjT7_P12ihipStream_tbENKUlT_T0_SE_SJ_E_clIS8_S8_S9_S9_EEDaSX_SY_SE_SJ_EUlSX_E_NS1_11comp_targetILNS1_3genE9ELNS1_11target_archE1100ELNS1_3gpuE3ELNS1_3repE0EEENS1_47radix_sort_onesweep_sort_config_static_selectorELNS0_4arch9wavefront6targetE1EEEvSE_.kd
    .uniform_work_group_size: 1
    .uses_dynamic_stack: false
    .vgpr_count:     0
    .vgpr_spill_count: 0
    .wavefront_size: 64
  - .agpr_count:     0
    .args:
      - .offset:         0
        .size:           88
        .value_kind:     by_value
    .group_segment_fixed_size: 0
    .kernarg_segment_align: 8
    .kernarg_segment_size: 88
    .language:       OpenCL C
    .language_version:
      - 2
      - 0
    .max_flat_workgroup_size: 1024
    .name:           _ZN7rocprim17ROCPRIM_400000_NS6detail17trampoline_kernelINS0_14default_configENS1_35radix_sort_onesweep_config_selectorIyNS0_10empty_typeEEEZZNS1_29radix_sort_onesweep_iterationIS3_Lb0EPyS8_PS5_S9_mNS0_19identity_decomposerENS1_16block_id_wrapperIjLb1EEEEE10hipError_tT1_PNSt15iterator_traitsISE_E10value_typeET2_T3_PNSF_ISK_E10value_typeET4_T5_PSP_SQ_PNS1_23onesweep_lookback_stateEbbT6_jjT7_P12ihipStream_tbENKUlT_T0_SE_SJ_E_clIS8_S8_S9_S9_EEDaSX_SY_SE_SJ_EUlSX_E_NS1_11comp_targetILNS1_3genE8ELNS1_11target_archE1030ELNS1_3gpuE2ELNS1_3repE0EEENS1_47radix_sort_onesweep_sort_config_static_selectorELNS0_4arch9wavefront6targetE1EEEvSE_
    .private_segment_fixed_size: 0
    .sgpr_count:     4
    .sgpr_spill_count: 0
    .symbol:         _ZN7rocprim17ROCPRIM_400000_NS6detail17trampoline_kernelINS0_14default_configENS1_35radix_sort_onesweep_config_selectorIyNS0_10empty_typeEEEZZNS1_29radix_sort_onesweep_iterationIS3_Lb0EPyS8_PS5_S9_mNS0_19identity_decomposerENS1_16block_id_wrapperIjLb1EEEEE10hipError_tT1_PNSt15iterator_traitsISE_E10value_typeET2_T3_PNSF_ISK_E10value_typeET4_T5_PSP_SQ_PNS1_23onesweep_lookback_stateEbbT6_jjT7_P12ihipStream_tbENKUlT_T0_SE_SJ_E_clIS8_S8_S9_S9_EEDaSX_SY_SE_SJ_EUlSX_E_NS1_11comp_targetILNS1_3genE8ELNS1_11target_archE1030ELNS1_3gpuE2ELNS1_3repE0EEENS1_47radix_sort_onesweep_sort_config_static_selectorELNS0_4arch9wavefront6targetE1EEEvSE_.kd
    .uniform_work_group_size: 1
    .uses_dynamic_stack: false
    .vgpr_count:     0
    .vgpr_spill_count: 0
    .wavefront_size: 64
  - .agpr_count:     0
    .args:
      - .offset:         0
        .size:           88
        .value_kind:     by_value
    .group_segment_fixed_size: 0
    .kernarg_segment_align: 8
    .kernarg_segment_size: 88
    .language:       OpenCL C
    .language_version:
      - 2
      - 0
    .max_flat_workgroup_size: 512
    .name:           _ZN7rocprim17ROCPRIM_400000_NS6detail17trampoline_kernelINS0_14default_configENS1_35radix_sort_onesweep_config_selectorIyNS0_10empty_typeEEEZZNS1_29radix_sort_onesweep_iterationIS3_Lb0EPyS8_PS5_S9_mNS0_19identity_decomposerENS1_16block_id_wrapperIjLb0EEEEE10hipError_tT1_PNSt15iterator_traitsISE_E10value_typeET2_T3_PNSF_ISK_E10value_typeET4_T5_PSP_SQ_PNS1_23onesweep_lookback_stateEbbT6_jjT7_P12ihipStream_tbENKUlT_T0_SE_SJ_E_clIS8_S8_S9_S9_EEDaSX_SY_SE_SJ_EUlSX_E_NS1_11comp_targetILNS1_3genE0ELNS1_11target_archE4294967295ELNS1_3gpuE0ELNS1_3repE0EEENS1_47radix_sort_onesweep_sort_config_static_selectorELNS0_4arch9wavefront6targetE1EEEvSE_
    .private_segment_fixed_size: 0
    .sgpr_count:     4
    .sgpr_spill_count: 0
    .symbol:         _ZN7rocprim17ROCPRIM_400000_NS6detail17trampoline_kernelINS0_14default_configENS1_35radix_sort_onesweep_config_selectorIyNS0_10empty_typeEEEZZNS1_29radix_sort_onesweep_iterationIS3_Lb0EPyS8_PS5_S9_mNS0_19identity_decomposerENS1_16block_id_wrapperIjLb0EEEEE10hipError_tT1_PNSt15iterator_traitsISE_E10value_typeET2_T3_PNSF_ISK_E10value_typeET4_T5_PSP_SQ_PNS1_23onesweep_lookback_stateEbbT6_jjT7_P12ihipStream_tbENKUlT_T0_SE_SJ_E_clIS8_S8_S9_S9_EEDaSX_SY_SE_SJ_EUlSX_E_NS1_11comp_targetILNS1_3genE0ELNS1_11target_archE4294967295ELNS1_3gpuE0ELNS1_3repE0EEENS1_47radix_sort_onesweep_sort_config_static_selectorELNS0_4arch9wavefront6targetE1EEEvSE_.kd
    .uniform_work_group_size: 1
    .uses_dynamic_stack: false
    .vgpr_count:     0
    .vgpr_spill_count: 0
    .wavefront_size: 64
  - .agpr_count:     0
    .args:
      - .offset:         0
        .size:           88
        .value_kind:     by_value
    .group_segment_fixed_size: 0
    .kernarg_segment_align: 8
    .kernarg_segment_size: 88
    .language:       OpenCL C
    .language_version:
      - 2
      - 0
    .max_flat_workgroup_size: 512
    .name:           _ZN7rocprim17ROCPRIM_400000_NS6detail17trampoline_kernelINS0_14default_configENS1_35radix_sort_onesweep_config_selectorIyNS0_10empty_typeEEEZZNS1_29radix_sort_onesweep_iterationIS3_Lb0EPyS8_PS5_S9_mNS0_19identity_decomposerENS1_16block_id_wrapperIjLb0EEEEE10hipError_tT1_PNSt15iterator_traitsISE_E10value_typeET2_T3_PNSF_ISK_E10value_typeET4_T5_PSP_SQ_PNS1_23onesweep_lookback_stateEbbT6_jjT7_P12ihipStream_tbENKUlT_T0_SE_SJ_E_clIS8_S8_S9_S9_EEDaSX_SY_SE_SJ_EUlSX_E_NS1_11comp_targetILNS1_3genE6ELNS1_11target_archE950ELNS1_3gpuE13ELNS1_3repE0EEENS1_47radix_sort_onesweep_sort_config_static_selectorELNS0_4arch9wavefront6targetE1EEEvSE_
    .private_segment_fixed_size: 0
    .sgpr_count:     4
    .sgpr_spill_count: 0
    .symbol:         _ZN7rocprim17ROCPRIM_400000_NS6detail17trampoline_kernelINS0_14default_configENS1_35radix_sort_onesweep_config_selectorIyNS0_10empty_typeEEEZZNS1_29radix_sort_onesweep_iterationIS3_Lb0EPyS8_PS5_S9_mNS0_19identity_decomposerENS1_16block_id_wrapperIjLb0EEEEE10hipError_tT1_PNSt15iterator_traitsISE_E10value_typeET2_T3_PNSF_ISK_E10value_typeET4_T5_PSP_SQ_PNS1_23onesweep_lookback_stateEbbT6_jjT7_P12ihipStream_tbENKUlT_T0_SE_SJ_E_clIS8_S8_S9_S9_EEDaSX_SY_SE_SJ_EUlSX_E_NS1_11comp_targetILNS1_3genE6ELNS1_11target_archE950ELNS1_3gpuE13ELNS1_3repE0EEENS1_47radix_sort_onesweep_sort_config_static_selectorELNS0_4arch9wavefront6targetE1EEEvSE_.kd
    .uniform_work_group_size: 1
    .uses_dynamic_stack: false
    .vgpr_count:     0
    .vgpr_spill_count: 0
    .wavefront_size: 64
  - .agpr_count:     0
    .args:
      - .offset:         0
        .size:           88
        .value_kind:     by_value
    .group_segment_fixed_size: 0
    .kernarg_segment_align: 8
    .kernarg_segment_size: 88
    .language:       OpenCL C
    .language_version:
      - 2
      - 0
    .max_flat_workgroup_size: 512
    .name:           _ZN7rocprim17ROCPRIM_400000_NS6detail17trampoline_kernelINS0_14default_configENS1_35radix_sort_onesweep_config_selectorIyNS0_10empty_typeEEEZZNS1_29radix_sort_onesweep_iterationIS3_Lb0EPyS8_PS5_S9_mNS0_19identity_decomposerENS1_16block_id_wrapperIjLb0EEEEE10hipError_tT1_PNSt15iterator_traitsISE_E10value_typeET2_T3_PNSF_ISK_E10value_typeET4_T5_PSP_SQ_PNS1_23onesweep_lookback_stateEbbT6_jjT7_P12ihipStream_tbENKUlT_T0_SE_SJ_E_clIS8_S8_S9_S9_EEDaSX_SY_SE_SJ_EUlSX_E_NS1_11comp_targetILNS1_3genE5ELNS1_11target_archE942ELNS1_3gpuE9ELNS1_3repE0EEENS1_47radix_sort_onesweep_sort_config_static_selectorELNS0_4arch9wavefront6targetE1EEEvSE_
    .private_segment_fixed_size: 0
    .sgpr_count:     4
    .sgpr_spill_count: 0
    .symbol:         _ZN7rocprim17ROCPRIM_400000_NS6detail17trampoline_kernelINS0_14default_configENS1_35radix_sort_onesweep_config_selectorIyNS0_10empty_typeEEEZZNS1_29radix_sort_onesweep_iterationIS3_Lb0EPyS8_PS5_S9_mNS0_19identity_decomposerENS1_16block_id_wrapperIjLb0EEEEE10hipError_tT1_PNSt15iterator_traitsISE_E10value_typeET2_T3_PNSF_ISK_E10value_typeET4_T5_PSP_SQ_PNS1_23onesweep_lookback_stateEbbT6_jjT7_P12ihipStream_tbENKUlT_T0_SE_SJ_E_clIS8_S8_S9_S9_EEDaSX_SY_SE_SJ_EUlSX_E_NS1_11comp_targetILNS1_3genE5ELNS1_11target_archE942ELNS1_3gpuE9ELNS1_3repE0EEENS1_47radix_sort_onesweep_sort_config_static_selectorELNS0_4arch9wavefront6targetE1EEEvSE_.kd
    .uniform_work_group_size: 1
    .uses_dynamic_stack: false
    .vgpr_count:     0
    .vgpr_spill_count: 0
    .wavefront_size: 64
  - .agpr_count:     0
    .args:
      - .offset:         0
        .size:           88
        .value_kind:     by_value
    .group_segment_fixed_size: 0
    .kernarg_segment_align: 8
    .kernarg_segment_size: 88
    .language:       OpenCL C
    .language_version:
      - 2
      - 0
    .max_flat_workgroup_size: 512
    .name:           _ZN7rocprim17ROCPRIM_400000_NS6detail17trampoline_kernelINS0_14default_configENS1_35radix_sort_onesweep_config_selectorIyNS0_10empty_typeEEEZZNS1_29radix_sort_onesweep_iterationIS3_Lb0EPyS8_PS5_S9_mNS0_19identity_decomposerENS1_16block_id_wrapperIjLb0EEEEE10hipError_tT1_PNSt15iterator_traitsISE_E10value_typeET2_T3_PNSF_ISK_E10value_typeET4_T5_PSP_SQ_PNS1_23onesweep_lookback_stateEbbT6_jjT7_P12ihipStream_tbENKUlT_T0_SE_SJ_E_clIS8_S8_S9_S9_EEDaSX_SY_SE_SJ_EUlSX_E_NS1_11comp_targetILNS1_3genE2ELNS1_11target_archE906ELNS1_3gpuE6ELNS1_3repE0EEENS1_47radix_sort_onesweep_sort_config_static_selectorELNS0_4arch9wavefront6targetE1EEEvSE_
    .private_segment_fixed_size: 0
    .sgpr_count:     4
    .sgpr_spill_count: 0
    .symbol:         _ZN7rocprim17ROCPRIM_400000_NS6detail17trampoline_kernelINS0_14default_configENS1_35radix_sort_onesweep_config_selectorIyNS0_10empty_typeEEEZZNS1_29radix_sort_onesweep_iterationIS3_Lb0EPyS8_PS5_S9_mNS0_19identity_decomposerENS1_16block_id_wrapperIjLb0EEEEE10hipError_tT1_PNSt15iterator_traitsISE_E10value_typeET2_T3_PNSF_ISK_E10value_typeET4_T5_PSP_SQ_PNS1_23onesweep_lookback_stateEbbT6_jjT7_P12ihipStream_tbENKUlT_T0_SE_SJ_E_clIS8_S8_S9_S9_EEDaSX_SY_SE_SJ_EUlSX_E_NS1_11comp_targetILNS1_3genE2ELNS1_11target_archE906ELNS1_3gpuE6ELNS1_3repE0EEENS1_47radix_sort_onesweep_sort_config_static_selectorELNS0_4arch9wavefront6targetE1EEEvSE_.kd
    .uniform_work_group_size: 1
    .uses_dynamic_stack: false
    .vgpr_count:     0
    .vgpr_spill_count: 0
    .wavefront_size: 64
  - .agpr_count:     0
    .args:
      - .offset:         0
        .size:           88
        .value_kind:     by_value
      - .offset:         88
        .size:           4
        .value_kind:     hidden_block_count_x
      - .offset:         92
        .size:           4
        .value_kind:     hidden_block_count_y
      - .offset:         96
        .size:           4
        .value_kind:     hidden_block_count_z
      - .offset:         100
        .size:           2
        .value_kind:     hidden_group_size_x
      - .offset:         102
        .size:           2
        .value_kind:     hidden_group_size_y
      - .offset:         104
        .size:           2
        .value_kind:     hidden_group_size_z
      - .offset:         106
        .size:           2
        .value_kind:     hidden_remainder_x
      - .offset:         108
        .size:           2
        .value_kind:     hidden_remainder_y
      - .offset:         110
        .size:           2
        .value_kind:     hidden_remainder_z
      - .offset:         128
        .size:           8
        .value_kind:     hidden_global_offset_x
      - .offset:         136
        .size:           8
        .value_kind:     hidden_global_offset_y
      - .offset:         144
        .size:           8
        .value_kind:     hidden_global_offset_z
      - .offset:         152
        .size:           2
        .value_kind:     hidden_grid_dims
    .group_segment_fixed_size: 20552
    .kernarg_segment_align: 8
    .kernarg_segment_size: 344
    .language:       OpenCL C
    .language_version:
      - 2
      - 0
    .max_flat_workgroup_size: 1024
    .name:           _ZN7rocprim17ROCPRIM_400000_NS6detail17trampoline_kernelINS0_14default_configENS1_35radix_sort_onesweep_config_selectorIyNS0_10empty_typeEEEZZNS1_29radix_sort_onesweep_iterationIS3_Lb0EPyS8_PS5_S9_mNS0_19identity_decomposerENS1_16block_id_wrapperIjLb0EEEEE10hipError_tT1_PNSt15iterator_traitsISE_E10value_typeET2_T3_PNSF_ISK_E10value_typeET4_T5_PSP_SQ_PNS1_23onesweep_lookback_stateEbbT6_jjT7_P12ihipStream_tbENKUlT_T0_SE_SJ_E_clIS8_S8_S9_S9_EEDaSX_SY_SE_SJ_EUlSX_E_NS1_11comp_targetILNS1_3genE4ELNS1_11target_archE910ELNS1_3gpuE8ELNS1_3repE0EEENS1_47radix_sort_onesweep_sort_config_static_selectorELNS0_4arch9wavefront6targetE1EEEvSE_
    .private_segment_fixed_size: 0
    .sgpr_count:     34
    .sgpr_spill_count: 0
    .symbol:         _ZN7rocprim17ROCPRIM_400000_NS6detail17trampoline_kernelINS0_14default_configENS1_35radix_sort_onesweep_config_selectorIyNS0_10empty_typeEEEZZNS1_29radix_sort_onesweep_iterationIS3_Lb0EPyS8_PS5_S9_mNS0_19identity_decomposerENS1_16block_id_wrapperIjLb0EEEEE10hipError_tT1_PNSt15iterator_traitsISE_E10value_typeET2_T3_PNSF_ISK_E10value_typeET4_T5_PSP_SQ_PNS1_23onesweep_lookback_stateEbbT6_jjT7_P12ihipStream_tbENKUlT_T0_SE_SJ_E_clIS8_S8_S9_S9_EEDaSX_SY_SE_SJ_EUlSX_E_NS1_11comp_targetILNS1_3genE4ELNS1_11target_archE910ELNS1_3gpuE8ELNS1_3repE0EEENS1_47radix_sort_onesweep_sort_config_static_selectorELNS0_4arch9wavefront6targetE1EEEvSE_.kd
    .uniform_work_group_size: 1
    .uses_dynamic_stack: false
    .vgpr_count:     55
    .vgpr_spill_count: 0
    .wavefront_size: 64
  - .agpr_count:     0
    .args:
      - .offset:         0
        .size:           88
        .value_kind:     by_value
    .group_segment_fixed_size: 0
    .kernarg_segment_align: 8
    .kernarg_segment_size: 88
    .language:       OpenCL C
    .language_version:
      - 2
      - 0
    .max_flat_workgroup_size: 512
    .name:           _ZN7rocprim17ROCPRIM_400000_NS6detail17trampoline_kernelINS0_14default_configENS1_35radix_sort_onesweep_config_selectorIyNS0_10empty_typeEEEZZNS1_29radix_sort_onesweep_iterationIS3_Lb0EPyS8_PS5_S9_mNS0_19identity_decomposerENS1_16block_id_wrapperIjLb0EEEEE10hipError_tT1_PNSt15iterator_traitsISE_E10value_typeET2_T3_PNSF_ISK_E10value_typeET4_T5_PSP_SQ_PNS1_23onesweep_lookback_stateEbbT6_jjT7_P12ihipStream_tbENKUlT_T0_SE_SJ_E_clIS8_S8_S9_S9_EEDaSX_SY_SE_SJ_EUlSX_E_NS1_11comp_targetILNS1_3genE3ELNS1_11target_archE908ELNS1_3gpuE7ELNS1_3repE0EEENS1_47radix_sort_onesweep_sort_config_static_selectorELNS0_4arch9wavefront6targetE1EEEvSE_
    .private_segment_fixed_size: 0
    .sgpr_count:     4
    .sgpr_spill_count: 0
    .symbol:         _ZN7rocprim17ROCPRIM_400000_NS6detail17trampoline_kernelINS0_14default_configENS1_35radix_sort_onesweep_config_selectorIyNS0_10empty_typeEEEZZNS1_29radix_sort_onesweep_iterationIS3_Lb0EPyS8_PS5_S9_mNS0_19identity_decomposerENS1_16block_id_wrapperIjLb0EEEEE10hipError_tT1_PNSt15iterator_traitsISE_E10value_typeET2_T3_PNSF_ISK_E10value_typeET4_T5_PSP_SQ_PNS1_23onesweep_lookback_stateEbbT6_jjT7_P12ihipStream_tbENKUlT_T0_SE_SJ_E_clIS8_S8_S9_S9_EEDaSX_SY_SE_SJ_EUlSX_E_NS1_11comp_targetILNS1_3genE3ELNS1_11target_archE908ELNS1_3gpuE7ELNS1_3repE0EEENS1_47radix_sort_onesweep_sort_config_static_selectorELNS0_4arch9wavefront6targetE1EEEvSE_.kd
    .uniform_work_group_size: 1
    .uses_dynamic_stack: false
    .vgpr_count:     0
    .vgpr_spill_count: 0
    .wavefront_size: 64
  - .agpr_count:     0
    .args:
      - .offset:         0
        .size:           88
        .value_kind:     by_value
    .group_segment_fixed_size: 0
    .kernarg_segment_align: 8
    .kernarg_segment_size: 88
    .language:       OpenCL C
    .language_version:
      - 2
      - 0
    .max_flat_workgroup_size: 512
    .name:           _ZN7rocprim17ROCPRIM_400000_NS6detail17trampoline_kernelINS0_14default_configENS1_35radix_sort_onesweep_config_selectorIyNS0_10empty_typeEEEZZNS1_29radix_sort_onesweep_iterationIS3_Lb0EPyS8_PS5_S9_mNS0_19identity_decomposerENS1_16block_id_wrapperIjLb0EEEEE10hipError_tT1_PNSt15iterator_traitsISE_E10value_typeET2_T3_PNSF_ISK_E10value_typeET4_T5_PSP_SQ_PNS1_23onesweep_lookback_stateEbbT6_jjT7_P12ihipStream_tbENKUlT_T0_SE_SJ_E_clIS8_S8_S9_S9_EEDaSX_SY_SE_SJ_EUlSX_E_NS1_11comp_targetILNS1_3genE10ELNS1_11target_archE1201ELNS1_3gpuE5ELNS1_3repE0EEENS1_47radix_sort_onesweep_sort_config_static_selectorELNS0_4arch9wavefront6targetE1EEEvSE_
    .private_segment_fixed_size: 0
    .sgpr_count:     4
    .sgpr_spill_count: 0
    .symbol:         _ZN7rocprim17ROCPRIM_400000_NS6detail17trampoline_kernelINS0_14default_configENS1_35radix_sort_onesweep_config_selectorIyNS0_10empty_typeEEEZZNS1_29radix_sort_onesweep_iterationIS3_Lb0EPyS8_PS5_S9_mNS0_19identity_decomposerENS1_16block_id_wrapperIjLb0EEEEE10hipError_tT1_PNSt15iterator_traitsISE_E10value_typeET2_T3_PNSF_ISK_E10value_typeET4_T5_PSP_SQ_PNS1_23onesweep_lookback_stateEbbT6_jjT7_P12ihipStream_tbENKUlT_T0_SE_SJ_E_clIS8_S8_S9_S9_EEDaSX_SY_SE_SJ_EUlSX_E_NS1_11comp_targetILNS1_3genE10ELNS1_11target_archE1201ELNS1_3gpuE5ELNS1_3repE0EEENS1_47radix_sort_onesweep_sort_config_static_selectorELNS0_4arch9wavefront6targetE1EEEvSE_.kd
    .uniform_work_group_size: 1
    .uses_dynamic_stack: false
    .vgpr_count:     0
    .vgpr_spill_count: 0
    .wavefront_size: 64
  - .agpr_count:     0
    .args:
      - .offset:         0
        .size:           88
        .value_kind:     by_value
    .group_segment_fixed_size: 0
    .kernarg_segment_align: 8
    .kernarg_segment_size: 88
    .language:       OpenCL C
    .language_version:
      - 2
      - 0
    .max_flat_workgroup_size: 1024
    .name:           _ZN7rocprim17ROCPRIM_400000_NS6detail17trampoline_kernelINS0_14default_configENS1_35radix_sort_onesweep_config_selectorIyNS0_10empty_typeEEEZZNS1_29radix_sort_onesweep_iterationIS3_Lb0EPyS8_PS5_S9_mNS0_19identity_decomposerENS1_16block_id_wrapperIjLb0EEEEE10hipError_tT1_PNSt15iterator_traitsISE_E10value_typeET2_T3_PNSF_ISK_E10value_typeET4_T5_PSP_SQ_PNS1_23onesweep_lookback_stateEbbT6_jjT7_P12ihipStream_tbENKUlT_T0_SE_SJ_E_clIS8_S8_S9_S9_EEDaSX_SY_SE_SJ_EUlSX_E_NS1_11comp_targetILNS1_3genE9ELNS1_11target_archE1100ELNS1_3gpuE3ELNS1_3repE0EEENS1_47radix_sort_onesweep_sort_config_static_selectorELNS0_4arch9wavefront6targetE1EEEvSE_
    .private_segment_fixed_size: 0
    .sgpr_count:     4
    .sgpr_spill_count: 0
    .symbol:         _ZN7rocprim17ROCPRIM_400000_NS6detail17trampoline_kernelINS0_14default_configENS1_35radix_sort_onesweep_config_selectorIyNS0_10empty_typeEEEZZNS1_29radix_sort_onesweep_iterationIS3_Lb0EPyS8_PS5_S9_mNS0_19identity_decomposerENS1_16block_id_wrapperIjLb0EEEEE10hipError_tT1_PNSt15iterator_traitsISE_E10value_typeET2_T3_PNSF_ISK_E10value_typeET4_T5_PSP_SQ_PNS1_23onesweep_lookback_stateEbbT6_jjT7_P12ihipStream_tbENKUlT_T0_SE_SJ_E_clIS8_S8_S9_S9_EEDaSX_SY_SE_SJ_EUlSX_E_NS1_11comp_targetILNS1_3genE9ELNS1_11target_archE1100ELNS1_3gpuE3ELNS1_3repE0EEENS1_47radix_sort_onesweep_sort_config_static_selectorELNS0_4arch9wavefront6targetE1EEEvSE_.kd
    .uniform_work_group_size: 1
    .uses_dynamic_stack: false
    .vgpr_count:     0
    .vgpr_spill_count: 0
    .wavefront_size: 64
  - .agpr_count:     0
    .args:
      - .offset:         0
        .size:           88
        .value_kind:     by_value
    .group_segment_fixed_size: 0
    .kernarg_segment_align: 8
    .kernarg_segment_size: 88
    .language:       OpenCL C
    .language_version:
      - 2
      - 0
    .max_flat_workgroup_size: 1024
    .name:           _ZN7rocprim17ROCPRIM_400000_NS6detail17trampoline_kernelINS0_14default_configENS1_35radix_sort_onesweep_config_selectorIyNS0_10empty_typeEEEZZNS1_29radix_sort_onesweep_iterationIS3_Lb0EPyS8_PS5_S9_mNS0_19identity_decomposerENS1_16block_id_wrapperIjLb0EEEEE10hipError_tT1_PNSt15iterator_traitsISE_E10value_typeET2_T3_PNSF_ISK_E10value_typeET4_T5_PSP_SQ_PNS1_23onesweep_lookback_stateEbbT6_jjT7_P12ihipStream_tbENKUlT_T0_SE_SJ_E_clIS8_S8_S9_S9_EEDaSX_SY_SE_SJ_EUlSX_E_NS1_11comp_targetILNS1_3genE8ELNS1_11target_archE1030ELNS1_3gpuE2ELNS1_3repE0EEENS1_47radix_sort_onesweep_sort_config_static_selectorELNS0_4arch9wavefront6targetE1EEEvSE_
    .private_segment_fixed_size: 0
    .sgpr_count:     4
    .sgpr_spill_count: 0
    .symbol:         _ZN7rocprim17ROCPRIM_400000_NS6detail17trampoline_kernelINS0_14default_configENS1_35radix_sort_onesweep_config_selectorIyNS0_10empty_typeEEEZZNS1_29radix_sort_onesweep_iterationIS3_Lb0EPyS8_PS5_S9_mNS0_19identity_decomposerENS1_16block_id_wrapperIjLb0EEEEE10hipError_tT1_PNSt15iterator_traitsISE_E10value_typeET2_T3_PNSF_ISK_E10value_typeET4_T5_PSP_SQ_PNS1_23onesweep_lookback_stateEbbT6_jjT7_P12ihipStream_tbENKUlT_T0_SE_SJ_E_clIS8_S8_S9_S9_EEDaSX_SY_SE_SJ_EUlSX_E_NS1_11comp_targetILNS1_3genE8ELNS1_11target_archE1030ELNS1_3gpuE2ELNS1_3repE0EEENS1_47radix_sort_onesweep_sort_config_static_selectorELNS0_4arch9wavefront6targetE1EEEvSE_.kd
    .uniform_work_group_size: 1
    .uses_dynamic_stack: false
    .vgpr_count:     0
    .vgpr_spill_count: 0
    .wavefront_size: 64
  - .agpr_count:     0
    .args:
      - .offset:         0
        .size:           48
        .value_kind:     by_value
    .group_segment_fixed_size: 0
    .kernarg_segment_align: 8
    .kernarg_segment_size: 48
    .language:       OpenCL C
    .language_version:
      - 2
      - 0
    .max_flat_workgroup_size: 256
    .name:           _ZN7rocprim17ROCPRIM_400000_NS6detail17trampoline_kernelINS0_13kernel_configILj256ELj4ELj4294967295EEENS1_37radix_sort_block_sort_config_selectorIfNS0_10empty_typeEEEZNS1_21radix_sort_block_sortIS4_Lb0EPfS9_PS6_SA_NS0_19identity_decomposerEEE10hipError_tT1_T2_T3_T4_jRjT5_jjP12ihipStream_tbEUlT_E_NS1_11comp_targetILNS1_3genE0ELNS1_11target_archE4294967295ELNS1_3gpuE0ELNS1_3repE0EEENS1_44radix_sort_block_sort_config_static_selectorELNS0_4arch9wavefront6targetE1EEEvSD_
    .private_segment_fixed_size: 0
    .sgpr_count:     4
    .sgpr_spill_count: 0
    .symbol:         _ZN7rocprim17ROCPRIM_400000_NS6detail17trampoline_kernelINS0_13kernel_configILj256ELj4ELj4294967295EEENS1_37radix_sort_block_sort_config_selectorIfNS0_10empty_typeEEEZNS1_21radix_sort_block_sortIS4_Lb0EPfS9_PS6_SA_NS0_19identity_decomposerEEE10hipError_tT1_T2_T3_T4_jRjT5_jjP12ihipStream_tbEUlT_E_NS1_11comp_targetILNS1_3genE0ELNS1_11target_archE4294967295ELNS1_3gpuE0ELNS1_3repE0EEENS1_44radix_sort_block_sort_config_static_selectorELNS0_4arch9wavefront6targetE1EEEvSD_.kd
    .uniform_work_group_size: 1
    .uses_dynamic_stack: false
    .vgpr_count:     0
    .vgpr_spill_count: 0
    .wavefront_size: 64
  - .agpr_count:     0
    .args:
      - .offset:         0
        .size:           48
        .value_kind:     by_value
    .group_segment_fixed_size: 0
    .kernarg_segment_align: 8
    .kernarg_segment_size: 48
    .language:       OpenCL C
    .language_version:
      - 2
      - 0
    .max_flat_workgroup_size: 256
    .name:           _ZN7rocprim17ROCPRIM_400000_NS6detail17trampoline_kernelINS0_13kernel_configILj256ELj4ELj4294967295EEENS1_37radix_sort_block_sort_config_selectorIfNS0_10empty_typeEEEZNS1_21radix_sort_block_sortIS4_Lb0EPfS9_PS6_SA_NS0_19identity_decomposerEEE10hipError_tT1_T2_T3_T4_jRjT5_jjP12ihipStream_tbEUlT_E_NS1_11comp_targetILNS1_3genE5ELNS1_11target_archE942ELNS1_3gpuE9ELNS1_3repE0EEENS1_44radix_sort_block_sort_config_static_selectorELNS0_4arch9wavefront6targetE1EEEvSD_
    .private_segment_fixed_size: 0
    .sgpr_count:     4
    .sgpr_spill_count: 0
    .symbol:         _ZN7rocprim17ROCPRIM_400000_NS6detail17trampoline_kernelINS0_13kernel_configILj256ELj4ELj4294967295EEENS1_37radix_sort_block_sort_config_selectorIfNS0_10empty_typeEEEZNS1_21radix_sort_block_sortIS4_Lb0EPfS9_PS6_SA_NS0_19identity_decomposerEEE10hipError_tT1_T2_T3_T4_jRjT5_jjP12ihipStream_tbEUlT_E_NS1_11comp_targetILNS1_3genE5ELNS1_11target_archE942ELNS1_3gpuE9ELNS1_3repE0EEENS1_44radix_sort_block_sort_config_static_selectorELNS0_4arch9wavefront6targetE1EEEvSD_.kd
    .uniform_work_group_size: 1
    .uses_dynamic_stack: false
    .vgpr_count:     0
    .vgpr_spill_count: 0
    .wavefront_size: 64
  - .agpr_count:     0
    .args:
      - .offset:         0
        .size:           48
        .value_kind:     by_value
      - .offset:         48
        .size:           4
        .value_kind:     hidden_block_count_x
      - .offset:         52
        .size:           4
        .value_kind:     hidden_block_count_y
      - .offset:         56
        .size:           4
        .value_kind:     hidden_block_count_z
      - .offset:         60
        .size:           2
        .value_kind:     hidden_group_size_x
      - .offset:         62
        .size:           2
        .value_kind:     hidden_group_size_y
      - .offset:         64
        .size:           2
        .value_kind:     hidden_group_size_z
      - .offset:         66
        .size:           2
        .value_kind:     hidden_remainder_x
      - .offset:         68
        .size:           2
        .value_kind:     hidden_remainder_y
      - .offset:         70
        .size:           2
        .value_kind:     hidden_remainder_z
      - .offset:         88
        .size:           8
        .value_kind:     hidden_global_offset_x
      - .offset:         96
        .size:           8
        .value_kind:     hidden_global_offset_y
      - .offset:         104
        .size:           8
        .value_kind:     hidden_global_offset_z
      - .offset:         112
        .size:           2
        .value_kind:     hidden_grid_dims
    .group_segment_fixed_size: 4112
    .kernarg_segment_align: 8
    .kernarg_segment_size: 304
    .language:       OpenCL C
    .language_version:
      - 2
      - 0
    .max_flat_workgroup_size: 256
    .name:           _ZN7rocprim17ROCPRIM_400000_NS6detail17trampoline_kernelINS0_13kernel_configILj256ELj4ELj4294967295EEENS1_37radix_sort_block_sort_config_selectorIfNS0_10empty_typeEEEZNS1_21radix_sort_block_sortIS4_Lb0EPfS9_PS6_SA_NS0_19identity_decomposerEEE10hipError_tT1_T2_T3_T4_jRjT5_jjP12ihipStream_tbEUlT_E_NS1_11comp_targetILNS1_3genE4ELNS1_11target_archE910ELNS1_3gpuE8ELNS1_3repE0EEENS1_44radix_sort_block_sort_config_static_selectorELNS0_4arch9wavefront6targetE1EEEvSD_
    .private_segment_fixed_size: 0
    .sgpr_count:     48
    .sgpr_spill_count: 0
    .symbol:         _ZN7rocprim17ROCPRIM_400000_NS6detail17trampoline_kernelINS0_13kernel_configILj256ELj4ELj4294967295EEENS1_37radix_sort_block_sort_config_selectorIfNS0_10empty_typeEEEZNS1_21radix_sort_block_sortIS4_Lb0EPfS9_PS6_SA_NS0_19identity_decomposerEEE10hipError_tT1_T2_T3_T4_jRjT5_jjP12ihipStream_tbEUlT_E_NS1_11comp_targetILNS1_3genE4ELNS1_11target_archE910ELNS1_3gpuE8ELNS1_3repE0EEENS1_44radix_sort_block_sort_config_static_selectorELNS0_4arch9wavefront6targetE1EEEvSD_.kd
    .uniform_work_group_size: 1
    .uses_dynamic_stack: false
    .vgpr_count:     40
    .vgpr_spill_count: 0
    .wavefront_size: 64
  - .agpr_count:     0
    .args:
      - .offset:         0
        .size:           48
        .value_kind:     by_value
    .group_segment_fixed_size: 0
    .kernarg_segment_align: 8
    .kernarg_segment_size: 48
    .language:       OpenCL C
    .language_version:
      - 2
      - 0
    .max_flat_workgroup_size: 256
    .name:           _ZN7rocprim17ROCPRIM_400000_NS6detail17trampoline_kernelINS0_13kernel_configILj256ELj4ELj4294967295EEENS1_37radix_sort_block_sort_config_selectorIfNS0_10empty_typeEEEZNS1_21radix_sort_block_sortIS4_Lb0EPfS9_PS6_SA_NS0_19identity_decomposerEEE10hipError_tT1_T2_T3_T4_jRjT5_jjP12ihipStream_tbEUlT_E_NS1_11comp_targetILNS1_3genE3ELNS1_11target_archE908ELNS1_3gpuE7ELNS1_3repE0EEENS1_44radix_sort_block_sort_config_static_selectorELNS0_4arch9wavefront6targetE1EEEvSD_
    .private_segment_fixed_size: 0
    .sgpr_count:     4
    .sgpr_spill_count: 0
    .symbol:         _ZN7rocprim17ROCPRIM_400000_NS6detail17trampoline_kernelINS0_13kernel_configILj256ELj4ELj4294967295EEENS1_37radix_sort_block_sort_config_selectorIfNS0_10empty_typeEEEZNS1_21radix_sort_block_sortIS4_Lb0EPfS9_PS6_SA_NS0_19identity_decomposerEEE10hipError_tT1_T2_T3_T4_jRjT5_jjP12ihipStream_tbEUlT_E_NS1_11comp_targetILNS1_3genE3ELNS1_11target_archE908ELNS1_3gpuE7ELNS1_3repE0EEENS1_44radix_sort_block_sort_config_static_selectorELNS0_4arch9wavefront6targetE1EEEvSD_.kd
    .uniform_work_group_size: 1
    .uses_dynamic_stack: false
    .vgpr_count:     0
    .vgpr_spill_count: 0
    .wavefront_size: 64
  - .agpr_count:     0
    .args:
      - .offset:         0
        .size:           48
        .value_kind:     by_value
    .group_segment_fixed_size: 0
    .kernarg_segment_align: 8
    .kernarg_segment_size: 48
    .language:       OpenCL C
    .language_version:
      - 2
      - 0
    .max_flat_workgroup_size: 256
    .name:           _ZN7rocprim17ROCPRIM_400000_NS6detail17trampoline_kernelINS0_13kernel_configILj256ELj4ELj4294967295EEENS1_37radix_sort_block_sort_config_selectorIfNS0_10empty_typeEEEZNS1_21radix_sort_block_sortIS4_Lb0EPfS9_PS6_SA_NS0_19identity_decomposerEEE10hipError_tT1_T2_T3_T4_jRjT5_jjP12ihipStream_tbEUlT_E_NS1_11comp_targetILNS1_3genE2ELNS1_11target_archE906ELNS1_3gpuE6ELNS1_3repE0EEENS1_44radix_sort_block_sort_config_static_selectorELNS0_4arch9wavefront6targetE1EEEvSD_
    .private_segment_fixed_size: 0
    .sgpr_count:     4
    .sgpr_spill_count: 0
    .symbol:         _ZN7rocprim17ROCPRIM_400000_NS6detail17trampoline_kernelINS0_13kernel_configILj256ELj4ELj4294967295EEENS1_37radix_sort_block_sort_config_selectorIfNS0_10empty_typeEEEZNS1_21radix_sort_block_sortIS4_Lb0EPfS9_PS6_SA_NS0_19identity_decomposerEEE10hipError_tT1_T2_T3_T4_jRjT5_jjP12ihipStream_tbEUlT_E_NS1_11comp_targetILNS1_3genE2ELNS1_11target_archE906ELNS1_3gpuE6ELNS1_3repE0EEENS1_44radix_sort_block_sort_config_static_selectorELNS0_4arch9wavefront6targetE1EEEvSD_.kd
    .uniform_work_group_size: 1
    .uses_dynamic_stack: false
    .vgpr_count:     0
    .vgpr_spill_count: 0
    .wavefront_size: 64
  - .agpr_count:     0
    .args:
      - .offset:         0
        .size:           48
        .value_kind:     by_value
    .group_segment_fixed_size: 0
    .kernarg_segment_align: 8
    .kernarg_segment_size: 48
    .language:       OpenCL C
    .language_version:
      - 2
      - 0
    .max_flat_workgroup_size: 256
    .name:           _ZN7rocprim17ROCPRIM_400000_NS6detail17trampoline_kernelINS0_13kernel_configILj256ELj4ELj4294967295EEENS1_37radix_sort_block_sort_config_selectorIfNS0_10empty_typeEEEZNS1_21radix_sort_block_sortIS4_Lb0EPfS9_PS6_SA_NS0_19identity_decomposerEEE10hipError_tT1_T2_T3_T4_jRjT5_jjP12ihipStream_tbEUlT_E_NS1_11comp_targetILNS1_3genE10ELNS1_11target_archE1201ELNS1_3gpuE5ELNS1_3repE0EEENS1_44radix_sort_block_sort_config_static_selectorELNS0_4arch9wavefront6targetE1EEEvSD_
    .private_segment_fixed_size: 0
    .sgpr_count:     4
    .sgpr_spill_count: 0
    .symbol:         _ZN7rocprim17ROCPRIM_400000_NS6detail17trampoline_kernelINS0_13kernel_configILj256ELj4ELj4294967295EEENS1_37radix_sort_block_sort_config_selectorIfNS0_10empty_typeEEEZNS1_21radix_sort_block_sortIS4_Lb0EPfS9_PS6_SA_NS0_19identity_decomposerEEE10hipError_tT1_T2_T3_T4_jRjT5_jjP12ihipStream_tbEUlT_E_NS1_11comp_targetILNS1_3genE10ELNS1_11target_archE1201ELNS1_3gpuE5ELNS1_3repE0EEENS1_44radix_sort_block_sort_config_static_selectorELNS0_4arch9wavefront6targetE1EEEvSD_.kd
    .uniform_work_group_size: 1
    .uses_dynamic_stack: false
    .vgpr_count:     0
    .vgpr_spill_count: 0
    .wavefront_size: 64
  - .agpr_count:     0
    .args:
      - .offset:         0
        .size:           48
        .value_kind:     by_value
    .group_segment_fixed_size: 0
    .kernarg_segment_align: 8
    .kernarg_segment_size: 48
    .language:       OpenCL C
    .language_version:
      - 2
      - 0
    .max_flat_workgroup_size: 256
    .name:           _ZN7rocprim17ROCPRIM_400000_NS6detail17trampoline_kernelINS0_13kernel_configILj256ELj4ELj4294967295EEENS1_37radix_sort_block_sort_config_selectorIfNS0_10empty_typeEEEZNS1_21radix_sort_block_sortIS4_Lb0EPfS9_PS6_SA_NS0_19identity_decomposerEEE10hipError_tT1_T2_T3_T4_jRjT5_jjP12ihipStream_tbEUlT_E_NS1_11comp_targetILNS1_3genE10ELNS1_11target_archE1200ELNS1_3gpuE4ELNS1_3repE0EEENS1_44radix_sort_block_sort_config_static_selectorELNS0_4arch9wavefront6targetE1EEEvSD_
    .private_segment_fixed_size: 0
    .sgpr_count:     4
    .sgpr_spill_count: 0
    .symbol:         _ZN7rocprim17ROCPRIM_400000_NS6detail17trampoline_kernelINS0_13kernel_configILj256ELj4ELj4294967295EEENS1_37radix_sort_block_sort_config_selectorIfNS0_10empty_typeEEEZNS1_21radix_sort_block_sortIS4_Lb0EPfS9_PS6_SA_NS0_19identity_decomposerEEE10hipError_tT1_T2_T3_T4_jRjT5_jjP12ihipStream_tbEUlT_E_NS1_11comp_targetILNS1_3genE10ELNS1_11target_archE1200ELNS1_3gpuE4ELNS1_3repE0EEENS1_44radix_sort_block_sort_config_static_selectorELNS0_4arch9wavefront6targetE1EEEvSD_.kd
    .uniform_work_group_size: 1
    .uses_dynamic_stack: false
    .vgpr_count:     0
    .vgpr_spill_count: 0
    .wavefront_size: 64
  - .agpr_count:     0
    .args:
      - .offset:         0
        .size:           48
        .value_kind:     by_value
    .group_segment_fixed_size: 0
    .kernarg_segment_align: 8
    .kernarg_segment_size: 48
    .language:       OpenCL C
    .language_version:
      - 2
      - 0
    .max_flat_workgroup_size: 256
    .name:           _ZN7rocprim17ROCPRIM_400000_NS6detail17trampoline_kernelINS0_13kernel_configILj256ELj4ELj4294967295EEENS1_37radix_sort_block_sort_config_selectorIfNS0_10empty_typeEEEZNS1_21radix_sort_block_sortIS4_Lb0EPfS9_PS6_SA_NS0_19identity_decomposerEEE10hipError_tT1_T2_T3_T4_jRjT5_jjP12ihipStream_tbEUlT_E_NS1_11comp_targetILNS1_3genE9ELNS1_11target_archE1100ELNS1_3gpuE3ELNS1_3repE0EEENS1_44radix_sort_block_sort_config_static_selectorELNS0_4arch9wavefront6targetE1EEEvSD_
    .private_segment_fixed_size: 0
    .sgpr_count:     4
    .sgpr_spill_count: 0
    .symbol:         _ZN7rocprim17ROCPRIM_400000_NS6detail17trampoline_kernelINS0_13kernel_configILj256ELj4ELj4294967295EEENS1_37radix_sort_block_sort_config_selectorIfNS0_10empty_typeEEEZNS1_21radix_sort_block_sortIS4_Lb0EPfS9_PS6_SA_NS0_19identity_decomposerEEE10hipError_tT1_T2_T3_T4_jRjT5_jjP12ihipStream_tbEUlT_E_NS1_11comp_targetILNS1_3genE9ELNS1_11target_archE1100ELNS1_3gpuE3ELNS1_3repE0EEENS1_44radix_sort_block_sort_config_static_selectorELNS0_4arch9wavefront6targetE1EEEvSD_.kd
    .uniform_work_group_size: 1
    .uses_dynamic_stack: false
    .vgpr_count:     0
    .vgpr_spill_count: 0
    .wavefront_size: 64
  - .agpr_count:     0
    .args:
      - .offset:         0
        .size:           48
        .value_kind:     by_value
    .group_segment_fixed_size: 0
    .kernarg_segment_align: 8
    .kernarg_segment_size: 48
    .language:       OpenCL C
    .language_version:
      - 2
      - 0
    .max_flat_workgroup_size: 256
    .name:           _ZN7rocprim17ROCPRIM_400000_NS6detail17trampoline_kernelINS0_13kernel_configILj256ELj4ELj4294967295EEENS1_37radix_sort_block_sort_config_selectorIfNS0_10empty_typeEEEZNS1_21radix_sort_block_sortIS4_Lb0EPfS9_PS6_SA_NS0_19identity_decomposerEEE10hipError_tT1_T2_T3_T4_jRjT5_jjP12ihipStream_tbEUlT_E_NS1_11comp_targetILNS1_3genE8ELNS1_11target_archE1030ELNS1_3gpuE2ELNS1_3repE0EEENS1_44radix_sort_block_sort_config_static_selectorELNS0_4arch9wavefront6targetE1EEEvSD_
    .private_segment_fixed_size: 0
    .sgpr_count:     4
    .sgpr_spill_count: 0
    .symbol:         _ZN7rocprim17ROCPRIM_400000_NS6detail17trampoline_kernelINS0_13kernel_configILj256ELj4ELj4294967295EEENS1_37radix_sort_block_sort_config_selectorIfNS0_10empty_typeEEEZNS1_21radix_sort_block_sortIS4_Lb0EPfS9_PS6_SA_NS0_19identity_decomposerEEE10hipError_tT1_T2_T3_T4_jRjT5_jjP12ihipStream_tbEUlT_E_NS1_11comp_targetILNS1_3genE8ELNS1_11target_archE1030ELNS1_3gpuE2ELNS1_3repE0EEENS1_44radix_sort_block_sort_config_static_selectorELNS0_4arch9wavefront6targetE1EEEvSD_.kd
    .uniform_work_group_size: 1
    .uses_dynamic_stack: false
    .vgpr_count:     0
    .vgpr_spill_count: 0
    .wavefront_size: 64
  - .agpr_count:     0
    .args:           []
    .group_segment_fixed_size: 0
    .kernarg_segment_align: 4
    .kernarg_segment_size: 0
    .language:       OpenCL C
    .language_version:
      - 2
      - 0
    .max_flat_workgroup_size: 1024
    .name:           _ZN7rocprim17ROCPRIM_400000_NS6detail44device_merge_sort_compile_time_verifier_archINS1_11comp_targetILNS1_3genE0ELNS1_11target_archE4294967295ELNS1_3gpuE0ELNS1_3repE0EEES8_NS1_28merge_sort_block_sort_configILj256ELj4ELNS0_20block_sort_algorithmE0EEENS0_14default_configENS1_37merge_sort_block_sort_config_selectorIfNS0_10empty_typeEEENS1_38merge_sort_block_merge_config_selectorIfSE_EEEEvv
    .private_segment_fixed_size: 0
    .sgpr_count:     4
    .sgpr_spill_count: 0
    .symbol:         _ZN7rocprim17ROCPRIM_400000_NS6detail44device_merge_sort_compile_time_verifier_archINS1_11comp_targetILNS1_3genE0ELNS1_11target_archE4294967295ELNS1_3gpuE0ELNS1_3repE0EEES8_NS1_28merge_sort_block_sort_configILj256ELj4ELNS0_20block_sort_algorithmE0EEENS0_14default_configENS1_37merge_sort_block_sort_config_selectorIfNS0_10empty_typeEEENS1_38merge_sort_block_merge_config_selectorIfSE_EEEEvv.kd
    .uniform_work_group_size: 1
    .uses_dynamic_stack: false
    .vgpr_count:     0
    .vgpr_spill_count: 0
    .wavefront_size: 64
  - .agpr_count:     0
    .args:           []
    .group_segment_fixed_size: 0
    .kernarg_segment_align: 4
    .kernarg_segment_size: 0
    .language:       OpenCL C
    .language_version:
      - 2
      - 0
    .max_flat_workgroup_size: 1024
    .name:           _ZN7rocprim17ROCPRIM_400000_NS6detail44device_merge_sort_compile_time_verifier_archINS1_11comp_targetILNS1_3genE5ELNS1_11target_archE942ELNS1_3gpuE9ELNS1_3repE0EEES8_NS1_28merge_sort_block_sort_configILj256ELj4ELNS0_20block_sort_algorithmE0EEENS0_14default_configENS1_37merge_sort_block_sort_config_selectorIfNS0_10empty_typeEEENS1_38merge_sort_block_merge_config_selectorIfSE_EEEEvv
    .private_segment_fixed_size: 0
    .sgpr_count:     4
    .sgpr_spill_count: 0
    .symbol:         _ZN7rocprim17ROCPRIM_400000_NS6detail44device_merge_sort_compile_time_verifier_archINS1_11comp_targetILNS1_3genE5ELNS1_11target_archE942ELNS1_3gpuE9ELNS1_3repE0EEES8_NS1_28merge_sort_block_sort_configILj256ELj4ELNS0_20block_sort_algorithmE0EEENS0_14default_configENS1_37merge_sort_block_sort_config_selectorIfNS0_10empty_typeEEENS1_38merge_sort_block_merge_config_selectorIfSE_EEEEvv.kd
    .uniform_work_group_size: 1
    .uses_dynamic_stack: false
    .vgpr_count:     0
    .vgpr_spill_count: 0
    .wavefront_size: 64
  - .agpr_count:     0
    .args:           []
    .group_segment_fixed_size: 0
    .kernarg_segment_align: 4
    .kernarg_segment_size: 0
    .language:       OpenCL C
    .language_version:
      - 2
      - 0
    .max_flat_workgroup_size: 1024
    .name:           _ZN7rocprim17ROCPRIM_400000_NS6detail44device_merge_sort_compile_time_verifier_archINS1_11comp_targetILNS1_3genE4ELNS1_11target_archE910ELNS1_3gpuE8ELNS1_3repE0EEES8_NS1_28merge_sort_block_sort_configILj256ELj4ELNS0_20block_sort_algorithmE0EEENS0_14default_configENS1_37merge_sort_block_sort_config_selectorIfNS0_10empty_typeEEENS1_38merge_sort_block_merge_config_selectorIfSE_EEEEvv
    .private_segment_fixed_size: 0
    .sgpr_count:     4
    .sgpr_spill_count: 0
    .symbol:         _ZN7rocprim17ROCPRIM_400000_NS6detail44device_merge_sort_compile_time_verifier_archINS1_11comp_targetILNS1_3genE4ELNS1_11target_archE910ELNS1_3gpuE8ELNS1_3repE0EEES8_NS1_28merge_sort_block_sort_configILj256ELj4ELNS0_20block_sort_algorithmE0EEENS0_14default_configENS1_37merge_sort_block_sort_config_selectorIfNS0_10empty_typeEEENS1_38merge_sort_block_merge_config_selectorIfSE_EEEEvv.kd
    .uniform_work_group_size: 1
    .uses_dynamic_stack: false
    .vgpr_count:     0
    .vgpr_spill_count: 0
    .wavefront_size: 64
  - .agpr_count:     0
    .args:           []
    .group_segment_fixed_size: 0
    .kernarg_segment_align: 4
    .kernarg_segment_size: 0
    .language:       OpenCL C
    .language_version:
      - 2
      - 0
    .max_flat_workgroup_size: 1024
    .name:           _ZN7rocprim17ROCPRIM_400000_NS6detail44device_merge_sort_compile_time_verifier_archINS1_11comp_targetILNS1_3genE3ELNS1_11target_archE908ELNS1_3gpuE7ELNS1_3repE0EEES8_NS1_28merge_sort_block_sort_configILj256ELj4ELNS0_20block_sort_algorithmE0EEENS0_14default_configENS1_37merge_sort_block_sort_config_selectorIfNS0_10empty_typeEEENS1_38merge_sort_block_merge_config_selectorIfSE_EEEEvv
    .private_segment_fixed_size: 0
    .sgpr_count:     4
    .sgpr_spill_count: 0
    .symbol:         _ZN7rocprim17ROCPRIM_400000_NS6detail44device_merge_sort_compile_time_verifier_archINS1_11comp_targetILNS1_3genE3ELNS1_11target_archE908ELNS1_3gpuE7ELNS1_3repE0EEES8_NS1_28merge_sort_block_sort_configILj256ELj4ELNS0_20block_sort_algorithmE0EEENS0_14default_configENS1_37merge_sort_block_sort_config_selectorIfNS0_10empty_typeEEENS1_38merge_sort_block_merge_config_selectorIfSE_EEEEvv.kd
    .uniform_work_group_size: 1
    .uses_dynamic_stack: false
    .vgpr_count:     0
    .vgpr_spill_count: 0
    .wavefront_size: 64
  - .agpr_count:     0
    .args:           []
    .group_segment_fixed_size: 0
    .kernarg_segment_align: 4
    .kernarg_segment_size: 0
    .language:       OpenCL C
    .language_version:
      - 2
      - 0
    .max_flat_workgroup_size: 1024
    .name:           _ZN7rocprim17ROCPRIM_400000_NS6detail44device_merge_sort_compile_time_verifier_archINS1_11comp_targetILNS1_3genE2ELNS1_11target_archE906ELNS1_3gpuE6ELNS1_3repE0EEES8_NS1_28merge_sort_block_sort_configILj256ELj4ELNS0_20block_sort_algorithmE0EEENS0_14default_configENS1_37merge_sort_block_sort_config_selectorIfNS0_10empty_typeEEENS1_38merge_sort_block_merge_config_selectorIfSE_EEEEvv
    .private_segment_fixed_size: 0
    .sgpr_count:     4
    .sgpr_spill_count: 0
    .symbol:         _ZN7rocprim17ROCPRIM_400000_NS6detail44device_merge_sort_compile_time_verifier_archINS1_11comp_targetILNS1_3genE2ELNS1_11target_archE906ELNS1_3gpuE6ELNS1_3repE0EEES8_NS1_28merge_sort_block_sort_configILj256ELj4ELNS0_20block_sort_algorithmE0EEENS0_14default_configENS1_37merge_sort_block_sort_config_selectorIfNS0_10empty_typeEEENS1_38merge_sort_block_merge_config_selectorIfSE_EEEEvv.kd
    .uniform_work_group_size: 1
    .uses_dynamic_stack: false
    .vgpr_count:     0
    .vgpr_spill_count: 0
    .wavefront_size: 64
  - .agpr_count:     0
    .args:           []
    .group_segment_fixed_size: 0
    .kernarg_segment_align: 4
    .kernarg_segment_size: 0
    .language:       OpenCL C
    .language_version:
      - 2
      - 0
    .max_flat_workgroup_size: 1024
    .name:           _ZN7rocprim17ROCPRIM_400000_NS6detail44device_merge_sort_compile_time_verifier_archINS1_11comp_targetILNS1_3genE10ELNS1_11target_archE1201ELNS1_3gpuE5ELNS1_3repE0EEES8_NS1_28merge_sort_block_sort_configILj256ELj4ELNS0_20block_sort_algorithmE0EEENS0_14default_configENS1_37merge_sort_block_sort_config_selectorIfNS0_10empty_typeEEENS1_38merge_sort_block_merge_config_selectorIfSE_EEEEvv
    .private_segment_fixed_size: 0
    .sgpr_count:     4
    .sgpr_spill_count: 0
    .symbol:         _ZN7rocprim17ROCPRIM_400000_NS6detail44device_merge_sort_compile_time_verifier_archINS1_11comp_targetILNS1_3genE10ELNS1_11target_archE1201ELNS1_3gpuE5ELNS1_3repE0EEES8_NS1_28merge_sort_block_sort_configILj256ELj4ELNS0_20block_sort_algorithmE0EEENS0_14default_configENS1_37merge_sort_block_sort_config_selectorIfNS0_10empty_typeEEENS1_38merge_sort_block_merge_config_selectorIfSE_EEEEvv.kd
    .uniform_work_group_size: 1
    .uses_dynamic_stack: false
    .vgpr_count:     0
    .vgpr_spill_count: 0
    .wavefront_size: 64
  - .agpr_count:     0
    .args:           []
    .group_segment_fixed_size: 0
    .kernarg_segment_align: 4
    .kernarg_segment_size: 0
    .language:       OpenCL C
    .language_version:
      - 2
      - 0
    .max_flat_workgroup_size: 1024
    .name:           _ZN7rocprim17ROCPRIM_400000_NS6detail44device_merge_sort_compile_time_verifier_archINS1_11comp_targetILNS1_3genE10ELNS1_11target_archE1200ELNS1_3gpuE4ELNS1_3repE0EEENS3_ILS4_10ELS5_1201ELS6_5ELS7_0EEENS1_28merge_sort_block_sort_configILj256ELj4ELNS0_20block_sort_algorithmE0EEENS0_14default_configENS1_37merge_sort_block_sort_config_selectorIfNS0_10empty_typeEEENS1_38merge_sort_block_merge_config_selectorIfSF_EEEEvv
    .private_segment_fixed_size: 0
    .sgpr_count:     4
    .sgpr_spill_count: 0
    .symbol:         _ZN7rocprim17ROCPRIM_400000_NS6detail44device_merge_sort_compile_time_verifier_archINS1_11comp_targetILNS1_3genE10ELNS1_11target_archE1200ELNS1_3gpuE4ELNS1_3repE0EEENS3_ILS4_10ELS5_1201ELS6_5ELS7_0EEENS1_28merge_sort_block_sort_configILj256ELj4ELNS0_20block_sort_algorithmE0EEENS0_14default_configENS1_37merge_sort_block_sort_config_selectorIfNS0_10empty_typeEEENS1_38merge_sort_block_merge_config_selectorIfSF_EEEEvv.kd
    .uniform_work_group_size: 1
    .uses_dynamic_stack: false
    .vgpr_count:     0
    .vgpr_spill_count: 0
    .wavefront_size: 64
  - .agpr_count:     0
    .args:           []
    .group_segment_fixed_size: 0
    .kernarg_segment_align: 4
    .kernarg_segment_size: 0
    .language:       OpenCL C
    .language_version:
      - 2
      - 0
    .max_flat_workgroup_size: 1024
    .name:           _ZN7rocprim17ROCPRIM_400000_NS6detail44device_merge_sort_compile_time_verifier_archINS1_11comp_targetILNS1_3genE9ELNS1_11target_archE1100ELNS1_3gpuE3ELNS1_3repE0EEES8_NS1_28merge_sort_block_sort_configILj256ELj4ELNS0_20block_sort_algorithmE0EEENS0_14default_configENS1_37merge_sort_block_sort_config_selectorIfNS0_10empty_typeEEENS1_38merge_sort_block_merge_config_selectorIfSE_EEEEvv
    .private_segment_fixed_size: 0
    .sgpr_count:     4
    .sgpr_spill_count: 0
    .symbol:         _ZN7rocprim17ROCPRIM_400000_NS6detail44device_merge_sort_compile_time_verifier_archINS1_11comp_targetILNS1_3genE9ELNS1_11target_archE1100ELNS1_3gpuE3ELNS1_3repE0EEES8_NS1_28merge_sort_block_sort_configILj256ELj4ELNS0_20block_sort_algorithmE0EEENS0_14default_configENS1_37merge_sort_block_sort_config_selectorIfNS0_10empty_typeEEENS1_38merge_sort_block_merge_config_selectorIfSE_EEEEvv.kd
    .uniform_work_group_size: 1
    .uses_dynamic_stack: false
    .vgpr_count:     0
    .vgpr_spill_count: 0
    .wavefront_size: 64
  - .agpr_count:     0
    .args:           []
    .group_segment_fixed_size: 0
    .kernarg_segment_align: 4
    .kernarg_segment_size: 0
    .language:       OpenCL C
    .language_version:
      - 2
      - 0
    .max_flat_workgroup_size: 1024
    .name:           _ZN7rocprim17ROCPRIM_400000_NS6detail44device_merge_sort_compile_time_verifier_archINS1_11comp_targetILNS1_3genE8ELNS1_11target_archE1030ELNS1_3gpuE2ELNS1_3repE0EEES8_NS1_28merge_sort_block_sort_configILj256ELj4ELNS0_20block_sort_algorithmE0EEENS0_14default_configENS1_37merge_sort_block_sort_config_selectorIfNS0_10empty_typeEEENS1_38merge_sort_block_merge_config_selectorIfSE_EEEEvv
    .private_segment_fixed_size: 0
    .sgpr_count:     4
    .sgpr_spill_count: 0
    .symbol:         _ZN7rocprim17ROCPRIM_400000_NS6detail44device_merge_sort_compile_time_verifier_archINS1_11comp_targetILNS1_3genE8ELNS1_11target_archE1030ELNS1_3gpuE2ELNS1_3repE0EEES8_NS1_28merge_sort_block_sort_configILj256ELj4ELNS0_20block_sort_algorithmE0EEENS0_14default_configENS1_37merge_sort_block_sort_config_selectorIfNS0_10empty_typeEEENS1_38merge_sort_block_merge_config_selectorIfSE_EEEEvv.kd
    .uniform_work_group_size: 1
    .uses_dynamic_stack: false
    .vgpr_count:     0
    .vgpr_spill_count: 0
    .wavefront_size: 64
  - .agpr_count:     0
    .args:
      - .offset:         0
        .size:           40
        .value_kind:     by_value
    .group_segment_fixed_size: 0
    .kernarg_segment_align: 8
    .kernarg_segment_size: 40
    .language:       OpenCL C
    .language_version:
      - 2
      - 0
    .max_flat_workgroup_size: 128
    .name:           _ZN7rocprim17ROCPRIM_400000_NS6detail17trampoline_kernelINS0_14default_configENS1_38merge_sort_block_merge_config_selectorIfNS0_10empty_typeEEEZZNS1_27merge_sort_block_merge_implIS3_PfPS5_jNS1_19radix_merge_compareILb0ELb0EfNS0_19identity_decomposerEEEEE10hipError_tT0_T1_T2_jT3_P12ihipStream_tbPNSt15iterator_traitsISE_E10value_typeEPNSK_ISF_E10value_typeEPSG_NS1_7vsmem_tEENKUlT_SE_SF_SG_E_clIS8_S8_S9_S9_EESD_ST_SE_SF_SG_EUlST_E_NS1_11comp_targetILNS1_3genE0ELNS1_11target_archE4294967295ELNS1_3gpuE0ELNS1_3repE0EEENS1_48merge_mergepath_partition_config_static_selectorELNS0_4arch9wavefront6targetE1EEEvSF_
    .private_segment_fixed_size: 0
    .sgpr_count:     4
    .sgpr_spill_count: 0
    .symbol:         _ZN7rocprim17ROCPRIM_400000_NS6detail17trampoline_kernelINS0_14default_configENS1_38merge_sort_block_merge_config_selectorIfNS0_10empty_typeEEEZZNS1_27merge_sort_block_merge_implIS3_PfPS5_jNS1_19radix_merge_compareILb0ELb0EfNS0_19identity_decomposerEEEEE10hipError_tT0_T1_T2_jT3_P12ihipStream_tbPNSt15iterator_traitsISE_E10value_typeEPNSK_ISF_E10value_typeEPSG_NS1_7vsmem_tEENKUlT_SE_SF_SG_E_clIS8_S8_S9_S9_EESD_ST_SE_SF_SG_EUlST_E_NS1_11comp_targetILNS1_3genE0ELNS1_11target_archE4294967295ELNS1_3gpuE0ELNS1_3repE0EEENS1_48merge_mergepath_partition_config_static_selectorELNS0_4arch9wavefront6targetE1EEEvSF_.kd
    .uniform_work_group_size: 1
    .uses_dynamic_stack: false
    .vgpr_count:     0
    .vgpr_spill_count: 0
    .wavefront_size: 64
  - .agpr_count:     0
    .args:
      - .offset:         0
        .size:           40
        .value_kind:     by_value
    .group_segment_fixed_size: 0
    .kernarg_segment_align: 8
    .kernarg_segment_size: 40
    .language:       OpenCL C
    .language_version:
      - 2
      - 0
    .max_flat_workgroup_size: 128
    .name:           _ZN7rocprim17ROCPRIM_400000_NS6detail17trampoline_kernelINS0_14default_configENS1_38merge_sort_block_merge_config_selectorIfNS0_10empty_typeEEEZZNS1_27merge_sort_block_merge_implIS3_PfPS5_jNS1_19radix_merge_compareILb0ELb0EfNS0_19identity_decomposerEEEEE10hipError_tT0_T1_T2_jT3_P12ihipStream_tbPNSt15iterator_traitsISE_E10value_typeEPNSK_ISF_E10value_typeEPSG_NS1_7vsmem_tEENKUlT_SE_SF_SG_E_clIS8_S8_S9_S9_EESD_ST_SE_SF_SG_EUlST_E_NS1_11comp_targetILNS1_3genE10ELNS1_11target_archE1201ELNS1_3gpuE5ELNS1_3repE0EEENS1_48merge_mergepath_partition_config_static_selectorELNS0_4arch9wavefront6targetE1EEEvSF_
    .private_segment_fixed_size: 0
    .sgpr_count:     4
    .sgpr_spill_count: 0
    .symbol:         _ZN7rocprim17ROCPRIM_400000_NS6detail17trampoline_kernelINS0_14default_configENS1_38merge_sort_block_merge_config_selectorIfNS0_10empty_typeEEEZZNS1_27merge_sort_block_merge_implIS3_PfPS5_jNS1_19radix_merge_compareILb0ELb0EfNS0_19identity_decomposerEEEEE10hipError_tT0_T1_T2_jT3_P12ihipStream_tbPNSt15iterator_traitsISE_E10value_typeEPNSK_ISF_E10value_typeEPSG_NS1_7vsmem_tEENKUlT_SE_SF_SG_E_clIS8_S8_S9_S9_EESD_ST_SE_SF_SG_EUlST_E_NS1_11comp_targetILNS1_3genE10ELNS1_11target_archE1201ELNS1_3gpuE5ELNS1_3repE0EEENS1_48merge_mergepath_partition_config_static_selectorELNS0_4arch9wavefront6targetE1EEEvSF_.kd
    .uniform_work_group_size: 1
    .uses_dynamic_stack: false
    .vgpr_count:     0
    .vgpr_spill_count: 0
    .wavefront_size: 64
  - .agpr_count:     0
    .args:
      - .offset:         0
        .size:           40
        .value_kind:     by_value
    .group_segment_fixed_size: 0
    .kernarg_segment_align: 8
    .kernarg_segment_size: 40
    .language:       OpenCL C
    .language_version:
      - 2
      - 0
    .max_flat_workgroup_size: 128
    .name:           _ZN7rocprim17ROCPRIM_400000_NS6detail17trampoline_kernelINS0_14default_configENS1_38merge_sort_block_merge_config_selectorIfNS0_10empty_typeEEEZZNS1_27merge_sort_block_merge_implIS3_PfPS5_jNS1_19radix_merge_compareILb0ELb0EfNS0_19identity_decomposerEEEEE10hipError_tT0_T1_T2_jT3_P12ihipStream_tbPNSt15iterator_traitsISE_E10value_typeEPNSK_ISF_E10value_typeEPSG_NS1_7vsmem_tEENKUlT_SE_SF_SG_E_clIS8_S8_S9_S9_EESD_ST_SE_SF_SG_EUlST_E_NS1_11comp_targetILNS1_3genE5ELNS1_11target_archE942ELNS1_3gpuE9ELNS1_3repE0EEENS1_48merge_mergepath_partition_config_static_selectorELNS0_4arch9wavefront6targetE1EEEvSF_
    .private_segment_fixed_size: 0
    .sgpr_count:     4
    .sgpr_spill_count: 0
    .symbol:         _ZN7rocprim17ROCPRIM_400000_NS6detail17trampoline_kernelINS0_14default_configENS1_38merge_sort_block_merge_config_selectorIfNS0_10empty_typeEEEZZNS1_27merge_sort_block_merge_implIS3_PfPS5_jNS1_19radix_merge_compareILb0ELb0EfNS0_19identity_decomposerEEEEE10hipError_tT0_T1_T2_jT3_P12ihipStream_tbPNSt15iterator_traitsISE_E10value_typeEPNSK_ISF_E10value_typeEPSG_NS1_7vsmem_tEENKUlT_SE_SF_SG_E_clIS8_S8_S9_S9_EESD_ST_SE_SF_SG_EUlST_E_NS1_11comp_targetILNS1_3genE5ELNS1_11target_archE942ELNS1_3gpuE9ELNS1_3repE0EEENS1_48merge_mergepath_partition_config_static_selectorELNS0_4arch9wavefront6targetE1EEEvSF_.kd
    .uniform_work_group_size: 1
    .uses_dynamic_stack: false
    .vgpr_count:     0
    .vgpr_spill_count: 0
    .wavefront_size: 64
  - .agpr_count:     0
    .args:
      - .offset:         0
        .size:           40
        .value_kind:     by_value
    .group_segment_fixed_size: 0
    .kernarg_segment_align: 8
    .kernarg_segment_size: 40
    .language:       OpenCL C
    .language_version:
      - 2
      - 0
    .max_flat_workgroup_size: 128
    .name:           _ZN7rocprim17ROCPRIM_400000_NS6detail17trampoline_kernelINS0_14default_configENS1_38merge_sort_block_merge_config_selectorIfNS0_10empty_typeEEEZZNS1_27merge_sort_block_merge_implIS3_PfPS5_jNS1_19radix_merge_compareILb0ELb0EfNS0_19identity_decomposerEEEEE10hipError_tT0_T1_T2_jT3_P12ihipStream_tbPNSt15iterator_traitsISE_E10value_typeEPNSK_ISF_E10value_typeEPSG_NS1_7vsmem_tEENKUlT_SE_SF_SG_E_clIS8_S8_S9_S9_EESD_ST_SE_SF_SG_EUlST_E_NS1_11comp_targetILNS1_3genE4ELNS1_11target_archE910ELNS1_3gpuE8ELNS1_3repE0EEENS1_48merge_mergepath_partition_config_static_selectorELNS0_4arch9wavefront6targetE1EEEvSF_
    .private_segment_fixed_size: 0
    .sgpr_count:     12
    .sgpr_spill_count: 0
    .symbol:         _ZN7rocprim17ROCPRIM_400000_NS6detail17trampoline_kernelINS0_14default_configENS1_38merge_sort_block_merge_config_selectorIfNS0_10empty_typeEEEZZNS1_27merge_sort_block_merge_implIS3_PfPS5_jNS1_19radix_merge_compareILb0ELb0EfNS0_19identity_decomposerEEEEE10hipError_tT0_T1_T2_jT3_P12ihipStream_tbPNSt15iterator_traitsISE_E10value_typeEPNSK_ISF_E10value_typeEPSG_NS1_7vsmem_tEENKUlT_SE_SF_SG_E_clIS8_S8_S9_S9_EESD_ST_SE_SF_SG_EUlST_E_NS1_11comp_targetILNS1_3genE4ELNS1_11target_archE910ELNS1_3gpuE8ELNS1_3repE0EEENS1_48merge_mergepath_partition_config_static_selectorELNS0_4arch9wavefront6targetE1EEEvSF_.kd
    .uniform_work_group_size: 1
    .uses_dynamic_stack: false
    .vgpr_count:     18
    .vgpr_spill_count: 0
    .wavefront_size: 64
  - .agpr_count:     0
    .args:
      - .offset:         0
        .size:           40
        .value_kind:     by_value
    .group_segment_fixed_size: 0
    .kernarg_segment_align: 8
    .kernarg_segment_size: 40
    .language:       OpenCL C
    .language_version:
      - 2
      - 0
    .max_flat_workgroup_size: 128
    .name:           _ZN7rocprim17ROCPRIM_400000_NS6detail17trampoline_kernelINS0_14default_configENS1_38merge_sort_block_merge_config_selectorIfNS0_10empty_typeEEEZZNS1_27merge_sort_block_merge_implIS3_PfPS5_jNS1_19radix_merge_compareILb0ELb0EfNS0_19identity_decomposerEEEEE10hipError_tT0_T1_T2_jT3_P12ihipStream_tbPNSt15iterator_traitsISE_E10value_typeEPNSK_ISF_E10value_typeEPSG_NS1_7vsmem_tEENKUlT_SE_SF_SG_E_clIS8_S8_S9_S9_EESD_ST_SE_SF_SG_EUlST_E_NS1_11comp_targetILNS1_3genE3ELNS1_11target_archE908ELNS1_3gpuE7ELNS1_3repE0EEENS1_48merge_mergepath_partition_config_static_selectorELNS0_4arch9wavefront6targetE1EEEvSF_
    .private_segment_fixed_size: 0
    .sgpr_count:     4
    .sgpr_spill_count: 0
    .symbol:         _ZN7rocprim17ROCPRIM_400000_NS6detail17trampoline_kernelINS0_14default_configENS1_38merge_sort_block_merge_config_selectorIfNS0_10empty_typeEEEZZNS1_27merge_sort_block_merge_implIS3_PfPS5_jNS1_19radix_merge_compareILb0ELb0EfNS0_19identity_decomposerEEEEE10hipError_tT0_T1_T2_jT3_P12ihipStream_tbPNSt15iterator_traitsISE_E10value_typeEPNSK_ISF_E10value_typeEPSG_NS1_7vsmem_tEENKUlT_SE_SF_SG_E_clIS8_S8_S9_S9_EESD_ST_SE_SF_SG_EUlST_E_NS1_11comp_targetILNS1_3genE3ELNS1_11target_archE908ELNS1_3gpuE7ELNS1_3repE0EEENS1_48merge_mergepath_partition_config_static_selectorELNS0_4arch9wavefront6targetE1EEEvSF_.kd
    .uniform_work_group_size: 1
    .uses_dynamic_stack: false
    .vgpr_count:     0
    .vgpr_spill_count: 0
    .wavefront_size: 64
  - .agpr_count:     0
    .args:
      - .offset:         0
        .size:           40
        .value_kind:     by_value
    .group_segment_fixed_size: 0
    .kernarg_segment_align: 8
    .kernarg_segment_size: 40
    .language:       OpenCL C
    .language_version:
      - 2
      - 0
    .max_flat_workgroup_size: 128
    .name:           _ZN7rocprim17ROCPRIM_400000_NS6detail17trampoline_kernelINS0_14default_configENS1_38merge_sort_block_merge_config_selectorIfNS0_10empty_typeEEEZZNS1_27merge_sort_block_merge_implIS3_PfPS5_jNS1_19radix_merge_compareILb0ELb0EfNS0_19identity_decomposerEEEEE10hipError_tT0_T1_T2_jT3_P12ihipStream_tbPNSt15iterator_traitsISE_E10value_typeEPNSK_ISF_E10value_typeEPSG_NS1_7vsmem_tEENKUlT_SE_SF_SG_E_clIS8_S8_S9_S9_EESD_ST_SE_SF_SG_EUlST_E_NS1_11comp_targetILNS1_3genE2ELNS1_11target_archE906ELNS1_3gpuE6ELNS1_3repE0EEENS1_48merge_mergepath_partition_config_static_selectorELNS0_4arch9wavefront6targetE1EEEvSF_
    .private_segment_fixed_size: 0
    .sgpr_count:     4
    .sgpr_spill_count: 0
    .symbol:         _ZN7rocprim17ROCPRIM_400000_NS6detail17trampoline_kernelINS0_14default_configENS1_38merge_sort_block_merge_config_selectorIfNS0_10empty_typeEEEZZNS1_27merge_sort_block_merge_implIS3_PfPS5_jNS1_19radix_merge_compareILb0ELb0EfNS0_19identity_decomposerEEEEE10hipError_tT0_T1_T2_jT3_P12ihipStream_tbPNSt15iterator_traitsISE_E10value_typeEPNSK_ISF_E10value_typeEPSG_NS1_7vsmem_tEENKUlT_SE_SF_SG_E_clIS8_S8_S9_S9_EESD_ST_SE_SF_SG_EUlST_E_NS1_11comp_targetILNS1_3genE2ELNS1_11target_archE906ELNS1_3gpuE6ELNS1_3repE0EEENS1_48merge_mergepath_partition_config_static_selectorELNS0_4arch9wavefront6targetE1EEEvSF_.kd
    .uniform_work_group_size: 1
    .uses_dynamic_stack: false
    .vgpr_count:     0
    .vgpr_spill_count: 0
    .wavefront_size: 64
  - .agpr_count:     0
    .args:
      - .offset:         0
        .size:           40
        .value_kind:     by_value
    .group_segment_fixed_size: 0
    .kernarg_segment_align: 8
    .kernarg_segment_size: 40
    .language:       OpenCL C
    .language_version:
      - 2
      - 0
    .max_flat_workgroup_size: 128
    .name:           _ZN7rocprim17ROCPRIM_400000_NS6detail17trampoline_kernelINS0_14default_configENS1_38merge_sort_block_merge_config_selectorIfNS0_10empty_typeEEEZZNS1_27merge_sort_block_merge_implIS3_PfPS5_jNS1_19radix_merge_compareILb0ELb0EfNS0_19identity_decomposerEEEEE10hipError_tT0_T1_T2_jT3_P12ihipStream_tbPNSt15iterator_traitsISE_E10value_typeEPNSK_ISF_E10value_typeEPSG_NS1_7vsmem_tEENKUlT_SE_SF_SG_E_clIS8_S8_S9_S9_EESD_ST_SE_SF_SG_EUlST_E_NS1_11comp_targetILNS1_3genE9ELNS1_11target_archE1100ELNS1_3gpuE3ELNS1_3repE0EEENS1_48merge_mergepath_partition_config_static_selectorELNS0_4arch9wavefront6targetE1EEEvSF_
    .private_segment_fixed_size: 0
    .sgpr_count:     4
    .sgpr_spill_count: 0
    .symbol:         _ZN7rocprim17ROCPRIM_400000_NS6detail17trampoline_kernelINS0_14default_configENS1_38merge_sort_block_merge_config_selectorIfNS0_10empty_typeEEEZZNS1_27merge_sort_block_merge_implIS3_PfPS5_jNS1_19radix_merge_compareILb0ELb0EfNS0_19identity_decomposerEEEEE10hipError_tT0_T1_T2_jT3_P12ihipStream_tbPNSt15iterator_traitsISE_E10value_typeEPNSK_ISF_E10value_typeEPSG_NS1_7vsmem_tEENKUlT_SE_SF_SG_E_clIS8_S8_S9_S9_EESD_ST_SE_SF_SG_EUlST_E_NS1_11comp_targetILNS1_3genE9ELNS1_11target_archE1100ELNS1_3gpuE3ELNS1_3repE0EEENS1_48merge_mergepath_partition_config_static_selectorELNS0_4arch9wavefront6targetE1EEEvSF_.kd
    .uniform_work_group_size: 1
    .uses_dynamic_stack: false
    .vgpr_count:     0
    .vgpr_spill_count: 0
    .wavefront_size: 64
  - .agpr_count:     0
    .args:
      - .offset:         0
        .size:           40
        .value_kind:     by_value
    .group_segment_fixed_size: 0
    .kernarg_segment_align: 8
    .kernarg_segment_size: 40
    .language:       OpenCL C
    .language_version:
      - 2
      - 0
    .max_flat_workgroup_size: 128
    .name:           _ZN7rocprim17ROCPRIM_400000_NS6detail17trampoline_kernelINS0_14default_configENS1_38merge_sort_block_merge_config_selectorIfNS0_10empty_typeEEEZZNS1_27merge_sort_block_merge_implIS3_PfPS5_jNS1_19radix_merge_compareILb0ELb0EfNS0_19identity_decomposerEEEEE10hipError_tT0_T1_T2_jT3_P12ihipStream_tbPNSt15iterator_traitsISE_E10value_typeEPNSK_ISF_E10value_typeEPSG_NS1_7vsmem_tEENKUlT_SE_SF_SG_E_clIS8_S8_S9_S9_EESD_ST_SE_SF_SG_EUlST_E_NS1_11comp_targetILNS1_3genE8ELNS1_11target_archE1030ELNS1_3gpuE2ELNS1_3repE0EEENS1_48merge_mergepath_partition_config_static_selectorELNS0_4arch9wavefront6targetE1EEEvSF_
    .private_segment_fixed_size: 0
    .sgpr_count:     4
    .sgpr_spill_count: 0
    .symbol:         _ZN7rocprim17ROCPRIM_400000_NS6detail17trampoline_kernelINS0_14default_configENS1_38merge_sort_block_merge_config_selectorIfNS0_10empty_typeEEEZZNS1_27merge_sort_block_merge_implIS3_PfPS5_jNS1_19radix_merge_compareILb0ELb0EfNS0_19identity_decomposerEEEEE10hipError_tT0_T1_T2_jT3_P12ihipStream_tbPNSt15iterator_traitsISE_E10value_typeEPNSK_ISF_E10value_typeEPSG_NS1_7vsmem_tEENKUlT_SE_SF_SG_E_clIS8_S8_S9_S9_EESD_ST_SE_SF_SG_EUlST_E_NS1_11comp_targetILNS1_3genE8ELNS1_11target_archE1030ELNS1_3gpuE2ELNS1_3repE0EEENS1_48merge_mergepath_partition_config_static_selectorELNS0_4arch9wavefront6targetE1EEEvSF_.kd
    .uniform_work_group_size: 1
    .uses_dynamic_stack: false
    .vgpr_count:     0
    .vgpr_spill_count: 0
    .wavefront_size: 64
  - .agpr_count:     0
    .args:
      - .offset:         0
        .size:           64
        .value_kind:     by_value
    .group_segment_fixed_size: 0
    .kernarg_segment_align: 8
    .kernarg_segment_size: 64
    .language:       OpenCL C
    .language_version:
      - 2
      - 0
    .max_flat_workgroup_size: 128
    .name:           _ZN7rocprim17ROCPRIM_400000_NS6detail17trampoline_kernelINS0_14default_configENS1_38merge_sort_block_merge_config_selectorIfNS0_10empty_typeEEEZZNS1_27merge_sort_block_merge_implIS3_PfPS5_jNS1_19radix_merge_compareILb0ELb0EfNS0_19identity_decomposerEEEEE10hipError_tT0_T1_T2_jT3_P12ihipStream_tbPNSt15iterator_traitsISE_E10value_typeEPNSK_ISF_E10value_typeEPSG_NS1_7vsmem_tEENKUlT_SE_SF_SG_E_clIS8_S8_S9_S9_EESD_ST_SE_SF_SG_EUlST_E0_NS1_11comp_targetILNS1_3genE0ELNS1_11target_archE4294967295ELNS1_3gpuE0ELNS1_3repE0EEENS1_38merge_mergepath_config_static_selectorELNS0_4arch9wavefront6targetE1EEEvSF_
    .private_segment_fixed_size: 0
    .sgpr_count:     4
    .sgpr_spill_count: 0
    .symbol:         _ZN7rocprim17ROCPRIM_400000_NS6detail17trampoline_kernelINS0_14default_configENS1_38merge_sort_block_merge_config_selectorIfNS0_10empty_typeEEEZZNS1_27merge_sort_block_merge_implIS3_PfPS5_jNS1_19radix_merge_compareILb0ELb0EfNS0_19identity_decomposerEEEEE10hipError_tT0_T1_T2_jT3_P12ihipStream_tbPNSt15iterator_traitsISE_E10value_typeEPNSK_ISF_E10value_typeEPSG_NS1_7vsmem_tEENKUlT_SE_SF_SG_E_clIS8_S8_S9_S9_EESD_ST_SE_SF_SG_EUlST_E0_NS1_11comp_targetILNS1_3genE0ELNS1_11target_archE4294967295ELNS1_3gpuE0ELNS1_3repE0EEENS1_38merge_mergepath_config_static_selectorELNS0_4arch9wavefront6targetE1EEEvSF_.kd
    .uniform_work_group_size: 1
    .uses_dynamic_stack: false
    .vgpr_count:     0
    .vgpr_spill_count: 0
    .wavefront_size: 64
  - .agpr_count:     0
    .args:
      - .offset:         0
        .size:           64
        .value_kind:     by_value
    .group_segment_fixed_size: 0
    .kernarg_segment_align: 8
    .kernarg_segment_size: 64
    .language:       OpenCL C
    .language_version:
      - 2
      - 0
    .max_flat_workgroup_size: 256
    .name:           _ZN7rocprim17ROCPRIM_400000_NS6detail17trampoline_kernelINS0_14default_configENS1_38merge_sort_block_merge_config_selectorIfNS0_10empty_typeEEEZZNS1_27merge_sort_block_merge_implIS3_PfPS5_jNS1_19radix_merge_compareILb0ELb0EfNS0_19identity_decomposerEEEEE10hipError_tT0_T1_T2_jT3_P12ihipStream_tbPNSt15iterator_traitsISE_E10value_typeEPNSK_ISF_E10value_typeEPSG_NS1_7vsmem_tEENKUlT_SE_SF_SG_E_clIS8_S8_S9_S9_EESD_ST_SE_SF_SG_EUlST_E0_NS1_11comp_targetILNS1_3genE10ELNS1_11target_archE1201ELNS1_3gpuE5ELNS1_3repE0EEENS1_38merge_mergepath_config_static_selectorELNS0_4arch9wavefront6targetE1EEEvSF_
    .private_segment_fixed_size: 0
    .sgpr_count:     4
    .sgpr_spill_count: 0
    .symbol:         _ZN7rocprim17ROCPRIM_400000_NS6detail17trampoline_kernelINS0_14default_configENS1_38merge_sort_block_merge_config_selectorIfNS0_10empty_typeEEEZZNS1_27merge_sort_block_merge_implIS3_PfPS5_jNS1_19radix_merge_compareILb0ELb0EfNS0_19identity_decomposerEEEEE10hipError_tT0_T1_T2_jT3_P12ihipStream_tbPNSt15iterator_traitsISE_E10value_typeEPNSK_ISF_E10value_typeEPSG_NS1_7vsmem_tEENKUlT_SE_SF_SG_E_clIS8_S8_S9_S9_EESD_ST_SE_SF_SG_EUlST_E0_NS1_11comp_targetILNS1_3genE10ELNS1_11target_archE1201ELNS1_3gpuE5ELNS1_3repE0EEENS1_38merge_mergepath_config_static_selectorELNS0_4arch9wavefront6targetE1EEEvSF_.kd
    .uniform_work_group_size: 1
    .uses_dynamic_stack: false
    .vgpr_count:     0
    .vgpr_spill_count: 0
    .wavefront_size: 64
  - .agpr_count:     0
    .args:
      - .offset:         0
        .size:           64
        .value_kind:     by_value
    .group_segment_fixed_size: 0
    .kernarg_segment_align: 8
    .kernarg_segment_size: 64
    .language:       OpenCL C
    .language_version:
      - 2
      - 0
    .max_flat_workgroup_size: 128
    .name:           _ZN7rocprim17ROCPRIM_400000_NS6detail17trampoline_kernelINS0_14default_configENS1_38merge_sort_block_merge_config_selectorIfNS0_10empty_typeEEEZZNS1_27merge_sort_block_merge_implIS3_PfPS5_jNS1_19radix_merge_compareILb0ELb0EfNS0_19identity_decomposerEEEEE10hipError_tT0_T1_T2_jT3_P12ihipStream_tbPNSt15iterator_traitsISE_E10value_typeEPNSK_ISF_E10value_typeEPSG_NS1_7vsmem_tEENKUlT_SE_SF_SG_E_clIS8_S8_S9_S9_EESD_ST_SE_SF_SG_EUlST_E0_NS1_11comp_targetILNS1_3genE5ELNS1_11target_archE942ELNS1_3gpuE9ELNS1_3repE0EEENS1_38merge_mergepath_config_static_selectorELNS0_4arch9wavefront6targetE1EEEvSF_
    .private_segment_fixed_size: 0
    .sgpr_count:     4
    .sgpr_spill_count: 0
    .symbol:         _ZN7rocprim17ROCPRIM_400000_NS6detail17trampoline_kernelINS0_14default_configENS1_38merge_sort_block_merge_config_selectorIfNS0_10empty_typeEEEZZNS1_27merge_sort_block_merge_implIS3_PfPS5_jNS1_19radix_merge_compareILb0ELb0EfNS0_19identity_decomposerEEEEE10hipError_tT0_T1_T2_jT3_P12ihipStream_tbPNSt15iterator_traitsISE_E10value_typeEPNSK_ISF_E10value_typeEPSG_NS1_7vsmem_tEENKUlT_SE_SF_SG_E_clIS8_S8_S9_S9_EESD_ST_SE_SF_SG_EUlST_E0_NS1_11comp_targetILNS1_3genE5ELNS1_11target_archE942ELNS1_3gpuE9ELNS1_3repE0EEENS1_38merge_mergepath_config_static_selectorELNS0_4arch9wavefront6targetE1EEEvSF_.kd
    .uniform_work_group_size: 1
    .uses_dynamic_stack: false
    .vgpr_count:     0
    .vgpr_spill_count: 0
    .wavefront_size: 64
  - .agpr_count:     0
    .args:
      - .offset:         0
        .size:           64
        .value_kind:     by_value
      - .offset:         64
        .size:           4
        .value_kind:     hidden_block_count_x
      - .offset:         68
        .size:           4
        .value_kind:     hidden_block_count_y
      - .offset:         72
        .size:           4
        .value_kind:     hidden_block_count_z
      - .offset:         76
        .size:           2
        .value_kind:     hidden_group_size_x
      - .offset:         78
        .size:           2
        .value_kind:     hidden_group_size_y
      - .offset:         80
        .size:           2
        .value_kind:     hidden_group_size_z
      - .offset:         82
        .size:           2
        .value_kind:     hidden_remainder_x
      - .offset:         84
        .size:           2
        .value_kind:     hidden_remainder_y
      - .offset:         86
        .size:           2
        .value_kind:     hidden_remainder_z
      - .offset:         104
        .size:           8
        .value_kind:     hidden_global_offset_x
      - .offset:         112
        .size:           8
        .value_kind:     hidden_global_offset_y
      - .offset:         120
        .size:           8
        .value_kind:     hidden_global_offset_z
      - .offset:         128
        .size:           2
        .value_kind:     hidden_grid_dims
    .group_segment_fixed_size: 4224
    .kernarg_segment_align: 8
    .kernarg_segment_size: 320
    .language:       OpenCL C
    .language_version:
      - 2
      - 0
    .max_flat_workgroup_size: 128
    .name:           _ZN7rocprim17ROCPRIM_400000_NS6detail17trampoline_kernelINS0_14default_configENS1_38merge_sort_block_merge_config_selectorIfNS0_10empty_typeEEEZZNS1_27merge_sort_block_merge_implIS3_PfPS5_jNS1_19radix_merge_compareILb0ELb0EfNS0_19identity_decomposerEEEEE10hipError_tT0_T1_T2_jT3_P12ihipStream_tbPNSt15iterator_traitsISE_E10value_typeEPNSK_ISF_E10value_typeEPSG_NS1_7vsmem_tEENKUlT_SE_SF_SG_E_clIS8_S8_S9_S9_EESD_ST_SE_SF_SG_EUlST_E0_NS1_11comp_targetILNS1_3genE4ELNS1_11target_archE910ELNS1_3gpuE8ELNS1_3repE0EEENS1_38merge_mergepath_config_static_selectorELNS0_4arch9wavefront6targetE1EEEvSF_
    .private_segment_fixed_size: 0
    .sgpr_count:     32
    .sgpr_spill_count: 0
    .symbol:         _ZN7rocprim17ROCPRIM_400000_NS6detail17trampoline_kernelINS0_14default_configENS1_38merge_sort_block_merge_config_selectorIfNS0_10empty_typeEEEZZNS1_27merge_sort_block_merge_implIS3_PfPS5_jNS1_19radix_merge_compareILb0ELb0EfNS0_19identity_decomposerEEEEE10hipError_tT0_T1_T2_jT3_P12ihipStream_tbPNSt15iterator_traitsISE_E10value_typeEPNSK_ISF_E10value_typeEPSG_NS1_7vsmem_tEENKUlT_SE_SF_SG_E_clIS8_S8_S9_S9_EESD_ST_SE_SF_SG_EUlST_E0_NS1_11comp_targetILNS1_3genE4ELNS1_11target_archE910ELNS1_3gpuE8ELNS1_3repE0EEENS1_38merge_mergepath_config_static_selectorELNS0_4arch9wavefront6targetE1EEEvSF_.kd
    .uniform_work_group_size: 1
    .uses_dynamic_stack: false
    .vgpr_count:     26
    .vgpr_spill_count: 0
    .wavefront_size: 64
  - .agpr_count:     0
    .args:
      - .offset:         0
        .size:           64
        .value_kind:     by_value
    .group_segment_fixed_size: 0
    .kernarg_segment_align: 8
    .kernarg_segment_size: 64
    .language:       OpenCL C
    .language_version:
      - 2
      - 0
    .max_flat_workgroup_size: 128
    .name:           _ZN7rocprim17ROCPRIM_400000_NS6detail17trampoline_kernelINS0_14default_configENS1_38merge_sort_block_merge_config_selectorIfNS0_10empty_typeEEEZZNS1_27merge_sort_block_merge_implIS3_PfPS5_jNS1_19radix_merge_compareILb0ELb0EfNS0_19identity_decomposerEEEEE10hipError_tT0_T1_T2_jT3_P12ihipStream_tbPNSt15iterator_traitsISE_E10value_typeEPNSK_ISF_E10value_typeEPSG_NS1_7vsmem_tEENKUlT_SE_SF_SG_E_clIS8_S8_S9_S9_EESD_ST_SE_SF_SG_EUlST_E0_NS1_11comp_targetILNS1_3genE3ELNS1_11target_archE908ELNS1_3gpuE7ELNS1_3repE0EEENS1_38merge_mergepath_config_static_selectorELNS0_4arch9wavefront6targetE1EEEvSF_
    .private_segment_fixed_size: 0
    .sgpr_count:     4
    .sgpr_spill_count: 0
    .symbol:         _ZN7rocprim17ROCPRIM_400000_NS6detail17trampoline_kernelINS0_14default_configENS1_38merge_sort_block_merge_config_selectorIfNS0_10empty_typeEEEZZNS1_27merge_sort_block_merge_implIS3_PfPS5_jNS1_19radix_merge_compareILb0ELb0EfNS0_19identity_decomposerEEEEE10hipError_tT0_T1_T2_jT3_P12ihipStream_tbPNSt15iterator_traitsISE_E10value_typeEPNSK_ISF_E10value_typeEPSG_NS1_7vsmem_tEENKUlT_SE_SF_SG_E_clIS8_S8_S9_S9_EESD_ST_SE_SF_SG_EUlST_E0_NS1_11comp_targetILNS1_3genE3ELNS1_11target_archE908ELNS1_3gpuE7ELNS1_3repE0EEENS1_38merge_mergepath_config_static_selectorELNS0_4arch9wavefront6targetE1EEEvSF_.kd
    .uniform_work_group_size: 1
    .uses_dynamic_stack: false
    .vgpr_count:     0
    .vgpr_spill_count: 0
    .wavefront_size: 64
  - .agpr_count:     0
    .args:
      - .offset:         0
        .size:           64
        .value_kind:     by_value
    .group_segment_fixed_size: 0
    .kernarg_segment_align: 8
    .kernarg_segment_size: 64
    .language:       OpenCL C
    .language_version:
      - 2
      - 0
    .max_flat_workgroup_size: 128
    .name:           _ZN7rocprim17ROCPRIM_400000_NS6detail17trampoline_kernelINS0_14default_configENS1_38merge_sort_block_merge_config_selectorIfNS0_10empty_typeEEEZZNS1_27merge_sort_block_merge_implIS3_PfPS5_jNS1_19radix_merge_compareILb0ELb0EfNS0_19identity_decomposerEEEEE10hipError_tT0_T1_T2_jT3_P12ihipStream_tbPNSt15iterator_traitsISE_E10value_typeEPNSK_ISF_E10value_typeEPSG_NS1_7vsmem_tEENKUlT_SE_SF_SG_E_clIS8_S8_S9_S9_EESD_ST_SE_SF_SG_EUlST_E0_NS1_11comp_targetILNS1_3genE2ELNS1_11target_archE906ELNS1_3gpuE6ELNS1_3repE0EEENS1_38merge_mergepath_config_static_selectorELNS0_4arch9wavefront6targetE1EEEvSF_
    .private_segment_fixed_size: 0
    .sgpr_count:     4
    .sgpr_spill_count: 0
    .symbol:         _ZN7rocprim17ROCPRIM_400000_NS6detail17trampoline_kernelINS0_14default_configENS1_38merge_sort_block_merge_config_selectorIfNS0_10empty_typeEEEZZNS1_27merge_sort_block_merge_implIS3_PfPS5_jNS1_19radix_merge_compareILb0ELb0EfNS0_19identity_decomposerEEEEE10hipError_tT0_T1_T2_jT3_P12ihipStream_tbPNSt15iterator_traitsISE_E10value_typeEPNSK_ISF_E10value_typeEPSG_NS1_7vsmem_tEENKUlT_SE_SF_SG_E_clIS8_S8_S9_S9_EESD_ST_SE_SF_SG_EUlST_E0_NS1_11comp_targetILNS1_3genE2ELNS1_11target_archE906ELNS1_3gpuE6ELNS1_3repE0EEENS1_38merge_mergepath_config_static_selectorELNS0_4arch9wavefront6targetE1EEEvSF_.kd
    .uniform_work_group_size: 1
    .uses_dynamic_stack: false
    .vgpr_count:     0
    .vgpr_spill_count: 0
    .wavefront_size: 64
  - .agpr_count:     0
    .args:
      - .offset:         0
        .size:           64
        .value_kind:     by_value
    .group_segment_fixed_size: 0
    .kernarg_segment_align: 8
    .kernarg_segment_size: 64
    .language:       OpenCL C
    .language_version:
      - 2
      - 0
    .max_flat_workgroup_size: 256
    .name:           _ZN7rocprim17ROCPRIM_400000_NS6detail17trampoline_kernelINS0_14default_configENS1_38merge_sort_block_merge_config_selectorIfNS0_10empty_typeEEEZZNS1_27merge_sort_block_merge_implIS3_PfPS5_jNS1_19radix_merge_compareILb0ELb0EfNS0_19identity_decomposerEEEEE10hipError_tT0_T1_T2_jT3_P12ihipStream_tbPNSt15iterator_traitsISE_E10value_typeEPNSK_ISF_E10value_typeEPSG_NS1_7vsmem_tEENKUlT_SE_SF_SG_E_clIS8_S8_S9_S9_EESD_ST_SE_SF_SG_EUlST_E0_NS1_11comp_targetILNS1_3genE9ELNS1_11target_archE1100ELNS1_3gpuE3ELNS1_3repE0EEENS1_38merge_mergepath_config_static_selectorELNS0_4arch9wavefront6targetE1EEEvSF_
    .private_segment_fixed_size: 0
    .sgpr_count:     4
    .sgpr_spill_count: 0
    .symbol:         _ZN7rocprim17ROCPRIM_400000_NS6detail17trampoline_kernelINS0_14default_configENS1_38merge_sort_block_merge_config_selectorIfNS0_10empty_typeEEEZZNS1_27merge_sort_block_merge_implIS3_PfPS5_jNS1_19radix_merge_compareILb0ELb0EfNS0_19identity_decomposerEEEEE10hipError_tT0_T1_T2_jT3_P12ihipStream_tbPNSt15iterator_traitsISE_E10value_typeEPNSK_ISF_E10value_typeEPSG_NS1_7vsmem_tEENKUlT_SE_SF_SG_E_clIS8_S8_S9_S9_EESD_ST_SE_SF_SG_EUlST_E0_NS1_11comp_targetILNS1_3genE9ELNS1_11target_archE1100ELNS1_3gpuE3ELNS1_3repE0EEENS1_38merge_mergepath_config_static_selectorELNS0_4arch9wavefront6targetE1EEEvSF_.kd
    .uniform_work_group_size: 1
    .uses_dynamic_stack: false
    .vgpr_count:     0
    .vgpr_spill_count: 0
    .wavefront_size: 64
  - .agpr_count:     0
    .args:
      - .offset:         0
        .size:           64
        .value_kind:     by_value
    .group_segment_fixed_size: 0
    .kernarg_segment_align: 8
    .kernarg_segment_size: 64
    .language:       OpenCL C
    .language_version:
      - 2
      - 0
    .max_flat_workgroup_size: 512
    .name:           _ZN7rocprim17ROCPRIM_400000_NS6detail17trampoline_kernelINS0_14default_configENS1_38merge_sort_block_merge_config_selectorIfNS0_10empty_typeEEEZZNS1_27merge_sort_block_merge_implIS3_PfPS5_jNS1_19radix_merge_compareILb0ELb0EfNS0_19identity_decomposerEEEEE10hipError_tT0_T1_T2_jT3_P12ihipStream_tbPNSt15iterator_traitsISE_E10value_typeEPNSK_ISF_E10value_typeEPSG_NS1_7vsmem_tEENKUlT_SE_SF_SG_E_clIS8_S8_S9_S9_EESD_ST_SE_SF_SG_EUlST_E0_NS1_11comp_targetILNS1_3genE8ELNS1_11target_archE1030ELNS1_3gpuE2ELNS1_3repE0EEENS1_38merge_mergepath_config_static_selectorELNS0_4arch9wavefront6targetE1EEEvSF_
    .private_segment_fixed_size: 0
    .sgpr_count:     4
    .sgpr_spill_count: 0
    .symbol:         _ZN7rocprim17ROCPRIM_400000_NS6detail17trampoline_kernelINS0_14default_configENS1_38merge_sort_block_merge_config_selectorIfNS0_10empty_typeEEEZZNS1_27merge_sort_block_merge_implIS3_PfPS5_jNS1_19radix_merge_compareILb0ELb0EfNS0_19identity_decomposerEEEEE10hipError_tT0_T1_T2_jT3_P12ihipStream_tbPNSt15iterator_traitsISE_E10value_typeEPNSK_ISF_E10value_typeEPSG_NS1_7vsmem_tEENKUlT_SE_SF_SG_E_clIS8_S8_S9_S9_EESD_ST_SE_SF_SG_EUlST_E0_NS1_11comp_targetILNS1_3genE8ELNS1_11target_archE1030ELNS1_3gpuE2ELNS1_3repE0EEENS1_38merge_mergepath_config_static_selectorELNS0_4arch9wavefront6targetE1EEEvSF_.kd
    .uniform_work_group_size: 1
    .uses_dynamic_stack: false
    .vgpr_count:     0
    .vgpr_spill_count: 0
    .wavefront_size: 64
  - .agpr_count:     0
    .args:
      - .offset:         0
        .size:           48
        .value_kind:     by_value
    .group_segment_fixed_size: 0
    .kernarg_segment_align: 8
    .kernarg_segment_size: 48
    .language:       OpenCL C
    .language_version:
      - 2
      - 0
    .max_flat_workgroup_size: 256
    .name:           _ZN7rocprim17ROCPRIM_400000_NS6detail17trampoline_kernelINS0_14default_configENS1_38merge_sort_block_merge_config_selectorIfNS0_10empty_typeEEEZZNS1_27merge_sort_block_merge_implIS3_PfPS5_jNS1_19radix_merge_compareILb0ELb0EfNS0_19identity_decomposerEEEEE10hipError_tT0_T1_T2_jT3_P12ihipStream_tbPNSt15iterator_traitsISE_E10value_typeEPNSK_ISF_E10value_typeEPSG_NS1_7vsmem_tEENKUlT_SE_SF_SG_E_clIS8_S8_S9_S9_EESD_ST_SE_SF_SG_EUlST_E1_NS1_11comp_targetILNS1_3genE0ELNS1_11target_archE4294967295ELNS1_3gpuE0ELNS1_3repE0EEENS1_36merge_oddeven_config_static_selectorELNS0_4arch9wavefront6targetE1EEEvSF_
    .private_segment_fixed_size: 0
    .sgpr_count:     4
    .sgpr_spill_count: 0
    .symbol:         _ZN7rocprim17ROCPRIM_400000_NS6detail17trampoline_kernelINS0_14default_configENS1_38merge_sort_block_merge_config_selectorIfNS0_10empty_typeEEEZZNS1_27merge_sort_block_merge_implIS3_PfPS5_jNS1_19radix_merge_compareILb0ELb0EfNS0_19identity_decomposerEEEEE10hipError_tT0_T1_T2_jT3_P12ihipStream_tbPNSt15iterator_traitsISE_E10value_typeEPNSK_ISF_E10value_typeEPSG_NS1_7vsmem_tEENKUlT_SE_SF_SG_E_clIS8_S8_S9_S9_EESD_ST_SE_SF_SG_EUlST_E1_NS1_11comp_targetILNS1_3genE0ELNS1_11target_archE4294967295ELNS1_3gpuE0ELNS1_3repE0EEENS1_36merge_oddeven_config_static_selectorELNS0_4arch9wavefront6targetE1EEEvSF_.kd
    .uniform_work_group_size: 1
    .uses_dynamic_stack: false
    .vgpr_count:     0
    .vgpr_spill_count: 0
    .wavefront_size: 64
  - .agpr_count:     0
    .args:
      - .offset:         0
        .size:           48
        .value_kind:     by_value
    .group_segment_fixed_size: 0
    .kernarg_segment_align: 8
    .kernarg_segment_size: 48
    .language:       OpenCL C
    .language_version:
      - 2
      - 0
    .max_flat_workgroup_size: 256
    .name:           _ZN7rocprim17ROCPRIM_400000_NS6detail17trampoline_kernelINS0_14default_configENS1_38merge_sort_block_merge_config_selectorIfNS0_10empty_typeEEEZZNS1_27merge_sort_block_merge_implIS3_PfPS5_jNS1_19radix_merge_compareILb0ELb0EfNS0_19identity_decomposerEEEEE10hipError_tT0_T1_T2_jT3_P12ihipStream_tbPNSt15iterator_traitsISE_E10value_typeEPNSK_ISF_E10value_typeEPSG_NS1_7vsmem_tEENKUlT_SE_SF_SG_E_clIS8_S8_S9_S9_EESD_ST_SE_SF_SG_EUlST_E1_NS1_11comp_targetILNS1_3genE10ELNS1_11target_archE1201ELNS1_3gpuE5ELNS1_3repE0EEENS1_36merge_oddeven_config_static_selectorELNS0_4arch9wavefront6targetE1EEEvSF_
    .private_segment_fixed_size: 0
    .sgpr_count:     4
    .sgpr_spill_count: 0
    .symbol:         _ZN7rocprim17ROCPRIM_400000_NS6detail17trampoline_kernelINS0_14default_configENS1_38merge_sort_block_merge_config_selectorIfNS0_10empty_typeEEEZZNS1_27merge_sort_block_merge_implIS3_PfPS5_jNS1_19radix_merge_compareILb0ELb0EfNS0_19identity_decomposerEEEEE10hipError_tT0_T1_T2_jT3_P12ihipStream_tbPNSt15iterator_traitsISE_E10value_typeEPNSK_ISF_E10value_typeEPSG_NS1_7vsmem_tEENKUlT_SE_SF_SG_E_clIS8_S8_S9_S9_EESD_ST_SE_SF_SG_EUlST_E1_NS1_11comp_targetILNS1_3genE10ELNS1_11target_archE1201ELNS1_3gpuE5ELNS1_3repE0EEENS1_36merge_oddeven_config_static_selectorELNS0_4arch9wavefront6targetE1EEEvSF_.kd
    .uniform_work_group_size: 1
    .uses_dynamic_stack: false
    .vgpr_count:     0
    .vgpr_spill_count: 0
    .wavefront_size: 64
  - .agpr_count:     0
    .args:
      - .offset:         0
        .size:           48
        .value_kind:     by_value
    .group_segment_fixed_size: 0
    .kernarg_segment_align: 8
    .kernarg_segment_size: 48
    .language:       OpenCL C
    .language_version:
      - 2
      - 0
    .max_flat_workgroup_size: 256
    .name:           _ZN7rocprim17ROCPRIM_400000_NS6detail17trampoline_kernelINS0_14default_configENS1_38merge_sort_block_merge_config_selectorIfNS0_10empty_typeEEEZZNS1_27merge_sort_block_merge_implIS3_PfPS5_jNS1_19radix_merge_compareILb0ELb0EfNS0_19identity_decomposerEEEEE10hipError_tT0_T1_T2_jT3_P12ihipStream_tbPNSt15iterator_traitsISE_E10value_typeEPNSK_ISF_E10value_typeEPSG_NS1_7vsmem_tEENKUlT_SE_SF_SG_E_clIS8_S8_S9_S9_EESD_ST_SE_SF_SG_EUlST_E1_NS1_11comp_targetILNS1_3genE5ELNS1_11target_archE942ELNS1_3gpuE9ELNS1_3repE0EEENS1_36merge_oddeven_config_static_selectorELNS0_4arch9wavefront6targetE1EEEvSF_
    .private_segment_fixed_size: 0
    .sgpr_count:     4
    .sgpr_spill_count: 0
    .symbol:         _ZN7rocprim17ROCPRIM_400000_NS6detail17trampoline_kernelINS0_14default_configENS1_38merge_sort_block_merge_config_selectorIfNS0_10empty_typeEEEZZNS1_27merge_sort_block_merge_implIS3_PfPS5_jNS1_19radix_merge_compareILb0ELb0EfNS0_19identity_decomposerEEEEE10hipError_tT0_T1_T2_jT3_P12ihipStream_tbPNSt15iterator_traitsISE_E10value_typeEPNSK_ISF_E10value_typeEPSG_NS1_7vsmem_tEENKUlT_SE_SF_SG_E_clIS8_S8_S9_S9_EESD_ST_SE_SF_SG_EUlST_E1_NS1_11comp_targetILNS1_3genE5ELNS1_11target_archE942ELNS1_3gpuE9ELNS1_3repE0EEENS1_36merge_oddeven_config_static_selectorELNS0_4arch9wavefront6targetE1EEEvSF_.kd
    .uniform_work_group_size: 1
    .uses_dynamic_stack: false
    .vgpr_count:     0
    .vgpr_spill_count: 0
    .wavefront_size: 64
  - .agpr_count:     0
    .args:
      - .offset:         0
        .size:           48
        .value_kind:     by_value
    .group_segment_fixed_size: 0
    .kernarg_segment_align: 8
    .kernarg_segment_size: 48
    .language:       OpenCL C
    .language_version:
      - 2
      - 0
    .max_flat_workgroup_size: 256
    .name:           _ZN7rocprim17ROCPRIM_400000_NS6detail17trampoline_kernelINS0_14default_configENS1_38merge_sort_block_merge_config_selectorIfNS0_10empty_typeEEEZZNS1_27merge_sort_block_merge_implIS3_PfPS5_jNS1_19radix_merge_compareILb0ELb0EfNS0_19identity_decomposerEEEEE10hipError_tT0_T1_T2_jT3_P12ihipStream_tbPNSt15iterator_traitsISE_E10value_typeEPNSK_ISF_E10value_typeEPSG_NS1_7vsmem_tEENKUlT_SE_SF_SG_E_clIS8_S8_S9_S9_EESD_ST_SE_SF_SG_EUlST_E1_NS1_11comp_targetILNS1_3genE4ELNS1_11target_archE910ELNS1_3gpuE8ELNS1_3repE0EEENS1_36merge_oddeven_config_static_selectorELNS0_4arch9wavefront6targetE1EEEvSF_
    .private_segment_fixed_size: 0
    .sgpr_count:     25
    .sgpr_spill_count: 0
    .symbol:         _ZN7rocprim17ROCPRIM_400000_NS6detail17trampoline_kernelINS0_14default_configENS1_38merge_sort_block_merge_config_selectorIfNS0_10empty_typeEEEZZNS1_27merge_sort_block_merge_implIS3_PfPS5_jNS1_19radix_merge_compareILb0ELb0EfNS0_19identity_decomposerEEEEE10hipError_tT0_T1_T2_jT3_P12ihipStream_tbPNSt15iterator_traitsISE_E10value_typeEPNSK_ISF_E10value_typeEPSG_NS1_7vsmem_tEENKUlT_SE_SF_SG_E_clIS8_S8_S9_S9_EESD_ST_SE_SF_SG_EUlST_E1_NS1_11comp_targetILNS1_3genE4ELNS1_11target_archE910ELNS1_3gpuE8ELNS1_3repE0EEENS1_36merge_oddeven_config_static_selectorELNS0_4arch9wavefront6targetE1EEEvSF_.kd
    .uniform_work_group_size: 1
    .uses_dynamic_stack: false
    .vgpr_count:     11
    .vgpr_spill_count: 0
    .wavefront_size: 64
  - .agpr_count:     0
    .args:
      - .offset:         0
        .size:           48
        .value_kind:     by_value
    .group_segment_fixed_size: 0
    .kernarg_segment_align: 8
    .kernarg_segment_size: 48
    .language:       OpenCL C
    .language_version:
      - 2
      - 0
    .max_flat_workgroup_size: 256
    .name:           _ZN7rocprim17ROCPRIM_400000_NS6detail17trampoline_kernelINS0_14default_configENS1_38merge_sort_block_merge_config_selectorIfNS0_10empty_typeEEEZZNS1_27merge_sort_block_merge_implIS3_PfPS5_jNS1_19radix_merge_compareILb0ELb0EfNS0_19identity_decomposerEEEEE10hipError_tT0_T1_T2_jT3_P12ihipStream_tbPNSt15iterator_traitsISE_E10value_typeEPNSK_ISF_E10value_typeEPSG_NS1_7vsmem_tEENKUlT_SE_SF_SG_E_clIS8_S8_S9_S9_EESD_ST_SE_SF_SG_EUlST_E1_NS1_11comp_targetILNS1_3genE3ELNS1_11target_archE908ELNS1_3gpuE7ELNS1_3repE0EEENS1_36merge_oddeven_config_static_selectorELNS0_4arch9wavefront6targetE1EEEvSF_
    .private_segment_fixed_size: 0
    .sgpr_count:     4
    .sgpr_spill_count: 0
    .symbol:         _ZN7rocprim17ROCPRIM_400000_NS6detail17trampoline_kernelINS0_14default_configENS1_38merge_sort_block_merge_config_selectorIfNS0_10empty_typeEEEZZNS1_27merge_sort_block_merge_implIS3_PfPS5_jNS1_19radix_merge_compareILb0ELb0EfNS0_19identity_decomposerEEEEE10hipError_tT0_T1_T2_jT3_P12ihipStream_tbPNSt15iterator_traitsISE_E10value_typeEPNSK_ISF_E10value_typeEPSG_NS1_7vsmem_tEENKUlT_SE_SF_SG_E_clIS8_S8_S9_S9_EESD_ST_SE_SF_SG_EUlST_E1_NS1_11comp_targetILNS1_3genE3ELNS1_11target_archE908ELNS1_3gpuE7ELNS1_3repE0EEENS1_36merge_oddeven_config_static_selectorELNS0_4arch9wavefront6targetE1EEEvSF_.kd
    .uniform_work_group_size: 1
    .uses_dynamic_stack: false
    .vgpr_count:     0
    .vgpr_spill_count: 0
    .wavefront_size: 64
  - .agpr_count:     0
    .args:
      - .offset:         0
        .size:           48
        .value_kind:     by_value
    .group_segment_fixed_size: 0
    .kernarg_segment_align: 8
    .kernarg_segment_size: 48
    .language:       OpenCL C
    .language_version:
      - 2
      - 0
    .max_flat_workgroup_size: 256
    .name:           _ZN7rocprim17ROCPRIM_400000_NS6detail17trampoline_kernelINS0_14default_configENS1_38merge_sort_block_merge_config_selectorIfNS0_10empty_typeEEEZZNS1_27merge_sort_block_merge_implIS3_PfPS5_jNS1_19radix_merge_compareILb0ELb0EfNS0_19identity_decomposerEEEEE10hipError_tT0_T1_T2_jT3_P12ihipStream_tbPNSt15iterator_traitsISE_E10value_typeEPNSK_ISF_E10value_typeEPSG_NS1_7vsmem_tEENKUlT_SE_SF_SG_E_clIS8_S8_S9_S9_EESD_ST_SE_SF_SG_EUlST_E1_NS1_11comp_targetILNS1_3genE2ELNS1_11target_archE906ELNS1_3gpuE6ELNS1_3repE0EEENS1_36merge_oddeven_config_static_selectorELNS0_4arch9wavefront6targetE1EEEvSF_
    .private_segment_fixed_size: 0
    .sgpr_count:     4
    .sgpr_spill_count: 0
    .symbol:         _ZN7rocprim17ROCPRIM_400000_NS6detail17trampoline_kernelINS0_14default_configENS1_38merge_sort_block_merge_config_selectorIfNS0_10empty_typeEEEZZNS1_27merge_sort_block_merge_implIS3_PfPS5_jNS1_19radix_merge_compareILb0ELb0EfNS0_19identity_decomposerEEEEE10hipError_tT0_T1_T2_jT3_P12ihipStream_tbPNSt15iterator_traitsISE_E10value_typeEPNSK_ISF_E10value_typeEPSG_NS1_7vsmem_tEENKUlT_SE_SF_SG_E_clIS8_S8_S9_S9_EESD_ST_SE_SF_SG_EUlST_E1_NS1_11comp_targetILNS1_3genE2ELNS1_11target_archE906ELNS1_3gpuE6ELNS1_3repE0EEENS1_36merge_oddeven_config_static_selectorELNS0_4arch9wavefront6targetE1EEEvSF_.kd
    .uniform_work_group_size: 1
    .uses_dynamic_stack: false
    .vgpr_count:     0
    .vgpr_spill_count: 0
    .wavefront_size: 64
  - .agpr_count:     0
    .args:
      - .offset:         0
        .size:           48
        .value_kind:     by_value
    .group_segment_fixed_size: 0
    .kernarg_segment_align: 8
    .kernarg_segment_size: 48
    .language:       OpenCL C
    .language_version:
      - 2
      - 0
    .max_flat_workgroup_size: 256
    .name:           _ZN7rocprim17ROCPRIM_400000_NS6detail17trampoline_kernelINS0_14default_configENS1_38merge_sort_block_merge_config_selectorIfNS0_10empty_typeEEEZZNS1_27merge_sort_block_merge_implIS3_PfPS5_jNS1_19radix_merge_compareILb0ELb0EfNS0_19identity_decomposerEEEEE10hipError_tT0_T1_T2_jT3_P12ihipStream_tbPNSt15iterator_traitsISE_E10value_typeEPNSK_ISF_E10value_typeEPSG_NS1_7vsmem_tEENKUlT_SE_SF_SG_E_clIS8_S8_S9_S9_EESD_ST_SE_SF_SG_EUlST_E1_NS1_11comp_targetILNS1_3genE9ELNS1_11target_archE1100ELNS1_3gpuE3ELNS1_3repE0EEENS1_36merge_oddeven_config_static_selectorELNS0_4arch9wavefront6targetE1EEEvSF_
    .private_segment_fixed_size: 0
    .sgpr_count:     4
    .sgpr_spill_count: 0
    .symbol:         _ZN7rocprim17ROCPRIM_400000_NS6detail17trampoline_kernelINS0_14default_configENS1_38merge_sort_block_merge_config_selectorIfNS0_10empty_typeEEEZZNS1_27merge_sort_block_merge_implIS3_PfPS5_jNS1_19radix_merge_compareILb0ELb0EfNS0_19identity_decomposerEEEEE10hipError_tT0_T1_T2_jT3_P12ihipStream_tbPNSt15iterator_traitsISE_E10value_typeEPNSK_ISF_E10value_typeEPSG_NS1_7vsmem_tEENKUlT_SE_SF_SG_E_clIS8_S8_S9_S9_EESD_ST_SE_SF_SG_EUlST_E1_NS1_11comp_targetILNS1_3genE9ELNS1_11target_archE1100ELNS1_3gpuE3ELNS1_3repE0EEENS1_36merge_oddeven_config_static_selectorELNS0_4arch9wavefront6targetE1EEEvSF_.kd
    .uniform_work_group_size: 1
    .uses_dynamic_stack: false
    .vgpr_count:     0
    .vgpr_spill_count: 0
    .wavefront_size: 64
  - .agpr_count:     0
    .args:
      - .offset:         0
        .size:           48
        .value_kind:     by_value
    .group_segment_fixed_size: 0
    .kernarg_segment_align: 8
    .kernarg_segment_size: 48
    .language:       OpenCL C
    .language_version:
      - 2
      - 0
    .max_flat_workgroup_size: 256
    .name:           _ZN7rocprim17ROCPRIM_400000_NS6detail17trampoline_kernelINS0_14default_configENS1_38merge_sort_block_merge_config_selectorIfNS0_10empty_typeEEEZZNS1_27merge_sort_block_merge_implIS3_PfPS5_jNS1_19radix_merge_compareILb0ELb0EfNS0_19identity_decomposerEEEEE10hipError_tT0_T1_T2_jT3_P12ihipStream_tbPNSt15iterator_traitsISE_E10value_typeEPNSK_ISF_E10value_typeEPSG_NS1_7vsmem_tEENKUlT_SE_SF_SG_E_clIS8_S8_S9_S9_EESD_ST_SE_SF_SG_EUlST_E1_NS1_11comp_targetILNS1_3genE8ELNS1_11target_archE1030ELNS1_3gpuE2ELNS1_3repE0EEENS1_36merge_oddeven_config_static_selectorELNS0_4arch9wavefront6targetE1EEEvSF_
    .private_segment_fixed_size: 0
    .sgpr_count:     4
    .sgpr_spill_count: 0
    .symbol:         _ZN7rocprim17ROCPRIM_400000_NS6detail17trampoline_kernelINS0_14default_configENS1_38merge_sort_block_merge_config_selectorIfNS0_10empty_typeEEEZZNS1_27merge_sort_block_merge_implIS3_PfPS5_jNS1_19radix_merge_compareILb0ELb0EfNS0_19identity_decomposerEEEEE10hipError_tT0_T1_T2_jT3_P12ihipStream_tbPNSt15iterator_traitsISE_E10value_typeEPNSK_ISF_E10value_typeEPSG_NS1_7vsmem_tEENKUlT_SE_SF_SG_E_clIS8_S8_S9_S9_EESD_ST_SE_SF_SG_EUlST_E1_NS1_11comp_targetILNS1_3genE8ELNS1_11target_archE1030ELNS1_3gpuE2ELNS1_3repE0EEENS1_36merge_oddeven_config_static_selectorELNS0_4arch9wavefront6targetE1EEEvSF_.kd
    .uniform_work_group_size: 1
    .uses_dynamic_stack: false
    .vgpr_count:     0
    .vgpr_spill_count: 0
    .wavefront_size: 64
  - .agpr_count:     0
    .args:
      - .offset:         0
        .size:           40
        .value_kind:     by_value
    .group_segment_fixed_size: 0
    .kernarg_segment_align: 8
    .kernarg_segment_size: 40
    .language:       OpenCL C
    .language_version:
      - 2
      - 0
    .max_flat_workgroup_size: 128
    .name:           _ZN7rocprim17ROCPRIM_400000_NS6detail17trampoline_kernelINS0_14default_configENS1_25transform_config_selectorIfLb1EEEZNS1_14transform_implILb1ES3_S5_PfS7_NS0_8identityIfEEEE10hipError_tT2_T3_mT4_P12ihipStream_tbEUlT_E_NS1_11comp_targetILNS1_3genE0ELNS1_11target_archE4294967295ELNS1_3gpuE0ELNS1_3repE0EEENS1_30default_config_static_selectorELNS0_4arch9wavefront6targetE1EEEvT1_
    .private_segment_fixed_size: 0
    .sgpr_count:     4
    .sgpr_spill_count: 0
    .symbol:         _ZN7rocprim17ROCPRIM_400000_NS6detail17trampoline_kernelINS0_14default_configENS1_25transform_config_selectorIfLb1EEEZNS1_14transform_implILb1ES3_S5_PfS7_NS0_8identityIfEEEE10hipError_tT2_T3_mT4_P12ihipStream_tbEUlT_E_NS1_11comp_targetILNS1_3genE0ELNS1_11target_archE4294967295ELNS1_3gpuE0ELNS1_3repE0EEENS1_30default_config_static_selectorELNS0_4arch9wavefront6targetE1EEEvT1_.kd
    .uniform_work_group_size: 1
    .uses_dynamic_stack: false
    .vgpr_count:     0
    .vgpr_spill_count: 0
    .wavefront_size: 64
  - .agpr_count:     0
    .args:
      - .offset:         0
        .size:           40
        .value_kind:     by_value
    .group_segment_fixed_size: 0
    .kernarg_segment_align: 8
    .kernarg_segment_size: 40
    .language:       OpenCL C
    .language_version:
      - 2
      - 0
    .max_flat_workgroup_size: 1024
    .name:           _ZN7rocprim17ROCPRIM_400000_NS6detail17trampoline_kernelINS0_14default_configENS1_25transform_config_selectorIfLb1EEEZNS1_14transform_implILb1ES3_S5_PfS7_NS0_8identityIfEEEE10hipError_tT2_T3_mT4_P12ihipStream_tbEUlT_E_NS1_11comp_targetILNS1_3genE10ELNS1_11target_archE1201ELNS1_3gpuE5ELNS1_3repE0EEENS1_30default_config_static_selectorELNS0_4arch9wavefront6targetE1EEEvT1_
    .private_segment_fixed_size: 0
    .sgpr_count:     4
    .sgpr_spill_count: 0
    .symbol:         _ZN7rocprim17ROCPRIM_400000_NS6detail17trampoline_kernelINS0_14default_configENS1_25transform_config_selectorIfLb1EEEZNS1_14transform_implILb1ES3_S5_PfS7_NS0_8identityIfEEEE10hipError_tT2_T3_mT4_P12ihipStream_tbEUlT_E_NS1_11comp_targetILNS1_3genE10ELNS1_11target_archE1201ELNS1_3gpuE5ELNS1_3repE0EEENS1_30default_config_static_selectorELNS0_4arch9wavefront6targetE1EEEvT1_.kd
    .uniform_work_group_size: 1
    .uses_dynamic_stack: false
    .vgpr_count:     0
    .vgpr_spill_count: 0
    .wavefront_size: 64
  - .agpr_count:     0
    .args:
      - .offset:         0
        .size:           40
        .value_kind:     by_value
    .group_segment_fixed_size: 0
    .kernarg_segment_align: 8
    .kernarg_segment_size: 40
    .language:       OpenCL C
    .language_version:
      - 2
      - 0
    .max_flat_workgroup_size: 256
    .name:           _ZN7rocprim17ROCPRIM_400000_NS6detail17trampoline_kernelINS0_14default_configENS1_25transform_config_selectorIfLb1EEEZNS1_14transform_implILb1ES3_S5_PfS7_NS0_8identityIfEEEE10hipError_tT2_T3_mT4_P12ihipStream_tbEUlT_E_NS1_11comp_targetILNS1_3genE5ELNS1_11target_archE942ELNS1_3gpuE9ELNS1_3repE0EEENS1_30default_config_static_selectorELNS0_4arch9wavefront6targetE1EEEvT1_
    .private_segment_fixed_size: 0
    .sgpr_count:     4
    .sgpr_spill_count: 0
    .symbol:         _ZN7rocprim17ROCPRIM_400000_NS6detail17trampoline_kernelINS0_14default_configENS1_25transform_config_selectorIfLb1EEEZNS1_14transform_implILb1ES3_S5_PfS7_NS0_8identityIfEEEE10hipError_tT2_T3_mT4_P12ihipStream_tbEUlT_E_NS1_11comp_targetILNS1_3genE5ELNS1_11target_archE942ELNS1_3gpuE9ELNS1_3repE0EEENS1_30default_config_static_selectorELNS0_4arch9wavefront6targetE1EEEvT1_.kd
    .uniform_work_group_size: 1
    .uses_dynamic_stack: false
    .vgpr_count:     0
    .vgpr_spill_count: 0
    .wavefront_size: 64
  - .agpr_count:     0
    .args:
      - .offset:         0
        .size:           40
        .value_kind:     by_value
      - .offset:         40
        .size:           4
        .value_kind:     hidden_block_count_x
      - .offset:         44
        .size:           4
        .value_kind:     hidden_block_count_y
      - .offset:         48
        .size:           4
        .value_kind:     hidden_block_count_z
      - .offset:         52
        .size:           2
        .value_kind:     hidden_group_size_x
      - .offset:         54
        .size:           2
        .value_kind:     hidden_group_size_y
      - .offset:         56
        .size:           2
        .value_kind:     hidden_group_size_z
      - .offset:         58
        .size:           2
        .value_kind:     hidden_remainder_x
      - .offset:         60
        .size:           2
        .value_kind:     hidden_remainder_y
      - .offset:         62
        .size:           2
        .value_kind:     hidden_remainder_z
      - .offset:         80
        .size:           8
        .value_kind:     hidden_global_offset_x
      - .offset:         88
        .size:           8
        .value_kind:     hidden_global_offset_y
      - .offset:         96
        .size:           8
        .value_kind:     hidden_global_offset_z
      - .offset:         104
        .size:           2
        .value_kind:     hidden_grid_dims
    .group_segment_fixed_size: 0
    .kernarg_segment_align: 8
    .kernarg_segment_size: 296
    .language:       OpenCL C
    .language_version:
      - 2
      - 0
    .max_flat_workgroup_size: 1024
    .name:           _ZN7rocprim17ROCPRIM_400000_NS6detail17trampoline_kernelINS0_14default_configENS1_25transform_config_selectorIfLb1EEEZNS1_14transform_implILb1ES3_S5_PfS7_NS0_8identityIfEEEE10hipError_tT2_T3_mT4_P12ihipStream_tbEUlT_E_NS1_11comp_targetILNS1_3genE4ELNS1_11target_archE910ELNS1_3gpuE8ELNS1_3repE0EEENS1_30default_config_static_selectorELNS0_4arch9wavefront6targetE1EEEvT1_
    .private_segment_fixed_size: 0
    .sgpr_count:     20
    .sgpr_spill_count: 0
    .symbol:         _ZN7rocprim17ROCPRIM_400000_NS6detail17trampoline_kernelINS0_14default_configENS1_25transform_config_selectorIfLb1EEEZNS1_14transform_implILb1ES3_S5_PfS7_NS0_8identityIfEEEE10hipError_tT2_T3_mT4_P12ihipStream_tbEUlT_E_NS1_11comp_targetILNS1_3genE4ELNS1_11target_archE910ELNS1_3gpuE8ELNS1_3repE0EEENS1_30default_config_static_selectorELNS0_4arch9wavefront6targetE1EEEvT1_.kd
    .uniform_work_group_size: 1
    .uses_dynamic_stack: false
    .vgpr_count:     8
    .vgpr_spill_count: 0
    .wavefront_size: 64
  - .agpr_count:     0
    .args:
      - .offset:         0
        .size:           40
        .value_kind:     by_value
    .group_segment_fixed_size: 0
    .kernarg_segment_align: 8
    .kernarg_segment_size: 40
    .language:       OpenCL C
    .language_version:
      - 2
      - 0
    .max_flat_workgroup_size: 128
    .name:           _ZN7rocprim17ROCPRIM_400000_NS6detail17trampoline_kernelINS0_14default_configENS1_25transform_config_selectorIfLb1EEEZNS1_14transform_implILb1ES3_S5_PfS7_NS0_8identityIfEEEE10hipError_tT2_T3_mT4_P12ihipStream_tbEUlT_E_NS1_11comp_targetILNS1_3genE3ELNS1_11target_archE908ELNS1_3gpuE7ELNS1_3repE0EEENS1_30default_config_static_selectorELNS0_4arch9wavefront6targetE1EEEvT1_
    .private_segment_fixed_size: 0
    .sgpr_count:     4
    .sgpr_spill_count: 0
    .symbol:         _ZN7rocprim17ROCPRIM_400000_NS6detail17trampoline_kernelINS0_14default_configENS1_25transform_config_selectorIfLb1EEEZNS1_14transform_implILb1ES3_S5_PfS7_NS0_8identityIfEEEE10hipError_tT2_T3_mT4_P12ihipStream_tbEUlT_E_NS1_11comp_targetILNS1_3genE3ELNS1_11target_archE908ELNS1_3gpuE7ELNS1_3repE0EEENS1_30default_config_static_selectorELNS0_4arch9wavefront6targetE1EEEvT1_.kd
    .uniform_work_group_size: 1
    .uses_dynamic_stack: false
    .vgpr_count:     0
    .vgpr_spill_count: 0
    .wavefront_size: 64
  - .agpr_count:     0
    .args:
      - .offset:         0
        .size:           40
        .value_kind:     by_value
    .group_segment_fixed_size: 0
    .kernarg_segment_align: 8
    .kernarg_segment_size: 40
    .language:       OpenCL C
    .language_version:
      - 2
      - 0
    .max_flat_workgroup_size: 1024
    .name:           _ZN7rocprim17ROCPRIM_400000_NS6detail17trampoline_kernelINS0_14default_configENS1_25transform_config_selectorIfLb1EEEZNS1_14transform_implILb1ES3_S5_PfS7_NS0_8identityIfEEEE10hipError_tT2_T3_mT4_P12ihipStream_tbEUlT_E_NS1_11comp_targetILNS1_3genE2ELNS1_11target_archE906ELNS1_3gpuE6ELNS1_3repE0EEENS1_30default_config_static_selectorELNS0_4arch9wavefront6targetE1EEEvT1_
    .private_segment_fixed_size: 0
    .sgpr_count:     4
    .sgpr_spill_count: 0
    .symbol:         _ZN7rocprim17ROCPRIM_400000_NS6detail17trampoline_kernelINS0_14default_configENS1_25transform_config_selectorIfLb1EEEZNS1_14transform_implILb1ES3_S5_PfS7_NS0_8identityIfEEEE10hipError_tT2_T3_mT4_P12ihipStream_tbEUlT_E_NS1_11comp_targetILNS1_3genE2ELNS1_11target_archE906ELNS1_3gpuE6ELNS1_3repE0EEENS1_30default_config_static_selectorELNS0_4arch9wavefront6targetE1EEEvT1_.kd
    .uniform_work_group_size: 1
    .uses_dynamic_stack: false
    .vgpr_count:     0
    .vgpr_spill_count: 0
    .wavefront_size: 64
  - .agpr_count:     0
    .args:
      - .offset:         0
        .size:           40
        .value_kind:     by_value
    .group_segment_fixed_size: 0
    .kernarg_segment_align: 8
    .kernarg_segment_size: 40
    .language:       OpenCL C
    .language_version:
      - 2
      - 0
    .max_flat_workgroup_size: 1024
    .name:           _ZN7rocprim17ROCPRIM_400000_NS6detail17trampoline_kernelINS0_14default_configENS1_25transform_config_selectorIfLb1EEEZNS1_14transform_implILb1ES3_S5_PfS7_NS0_8identityIfEEEE10hipError_tT2_T3_mT4_P12ihipStream_tbEUlT_E_NS1_11comp_targetILNS1_3genE9ELNS1_11target_archE1100ELNS1_3gpuE3ELNS1_3repE0EEENS1_30default_config_static_selectorELNS0_4arch9wavefront6targetE1EEEvT1_
    .private_segment_fixed_size: 0
    .sgpr_count:     4
    .sgpr_spill_count: 0
    .symbol:         _ZN7rocprim17ROCPRIM_400000_NS6detail17trampoline_kernelINS0_14default_configENS1_25transform_config_selectorIfLb1EEEZNS1_14transform_implILb1ES3_S5_PfS7_NS0_8identityIfEEEE10hipError_tT2_T3_mT4_P12ihipStream_tbEUlT_E_NS1_11comp_targetILNS1_3genE9ELNS1_11target_archE1100ELNS1_3gpuE3ELNS1_3repE0EEENS1_30default_config_static_selectorELNS0_4arch9wavefront6targetE1EEEvT1_.kd
    .uniform_work_group_size: 1
    .uses_dynamic_stack: false
    .vgpr_count:     0
    .vgpr_spill_count: 0
    .wavefront_size: 64
  - .agpr_count:     0
    .args:
      - .offset:         0
        .size:           40
        .value_kind:     by_value
    .group_segment_fixed_size: 0
    .kernarg_segment_align: 8
    .kernarg_segment_size: 40
    .language:       OpenCL C
    .language_version:
      - 2
      - 0
    .max_flat_workgroup_size: 1024
    .name:           _ZN7rocprim17ROCPRIM_400000_NS6detail17trampoline_kernelINS0_14default_configENS1_25transform_config_selectorIfLb1EEEZNS1_14transform_implILb1ES3_S5_PfS7_NS0_8identityIfEEEE10hipError_tT2_T3_mT4_P12ihipStream_tbEUlT_E_NS1_11comp_targetILNS1_3genE8ELNS1_11target_archE1030ELNS1_3gpuE2ELNS1_3repE0EEENS1_30default_config_static_selectorELNS0_4arch9wavefront6targetE1EEEvT1_
    .private_segment_fixed_size: 0
    .sgpr_count:     4
    .sgpr_spill_count: 0
    .symbol:         _ZN7rocprim17ROCPRIM_400000_NS6detail17trampoline_kernelINS0_14default_configENS1_25transform_config_selectorIfLb1EEEZNS1_14transform_implILb1ES3_S5_PfS7_NS0_8identityIfEEEE10hipError_tT2_T3_mT4_P12ihipStream_tbEUlT_E_NS1_11comp_targetILNS1_3genE8ELNS1_11target_archE1030ELNS1_3gpuE2ELNS1_3repE0EEENS1_30default_config_static_selectorELNS0_4arch9wavefront6targetE1EEEvT1_.kd
    .uniform_work_group_size: 1
    .uses_dynamic_stack: false
    .vgpr_count:     0
    .vgpr_spill_count: 0
    .wavefront_size: 64
  - .agpr_count:     0
    .args:
      - .offset:         0
        .size:           48
        .value_kind:     by_value
    .group_segment_fixed_size: 0
    .kernarg_segment_align: 8
    .kernarg_segment_size: 48
    .language:       OpenCL C
    .language_version:
      - 2
      - 0
    .max_flat_workgroup_size: 512
    .name:           _ZN7rocprim17ROCPRIM_400000_NS6detail17trampoline_kernelINS0_14default_configENS1_35radix_sort_onesweep_config_selectorIfNS0_10empty_typeEEEZNS1_34radix_sort_onesweep_global_offsetsIS3_Lb0EPfPS5_mNS0_19identity_decomposerEEE10hipError_tT1_T2_PT3_SE_jT4_jjP12ihipStream_tbEUlT_E_NS1_11comp_targetILNS1_3genE0ELNS1_11target_archE4294967295ELNS1_3gpuE0ELNS1_3repE0EEENS1_52radix_sort_onesweep_histogram_config_static_selectorELNS0_4arch9wavefront6targetE1EEEvSC_
    .private_segment_fixed_size: 0
    .sgpr_count:     4
    .sgpr_spill_count: 0
    .symbol:         _ZN7rocprim17ROCPRIM_400000_NS6detail17trampoline_kernelINS0_14default_configENS1_35radix_sort_onesweep_config_selectorIfNS0_10empty_typeEEEZNS1_34radix_sort_onesweep_global_offsetsIS3_Lb0EPfPS5_mNS0_19identity_decomposerEEE10hipError_tT1_T2_PT3_SE_jT4_jjP12ihipStream_tbEUlT_E_NS1_11comp_targetILNS1_3genE0ELNS1_11target_archE4294967295ELNS1_3gpuE0ELNS1_3repE0EEENS1_52radix_sort_onesweep_histogram_config_static_selectorELNS0_4arch9wavefront6targetE1EEEvSC_.kd
    .uniform_work_group_size: 1
    .uses_dynamic_stack: false
    .vgpr_count:     0
    .vgpr_spill_count: 0
    .wavefront_size: 64
  - .agpr_count:     0
    .args:
      - .offset:         0
        .size:           48
        .value_kind:     by_value
    .group_segment_fixed_size: 0
    .kernarg_segment_align: 8
    .kernarg_segment_size: 48
    .language:       OpenCL C
    .language_version:
      - 2
      - 0
    .max_flat_workgroup_size: 1024
    .name:           _ZN7rocprim17ROCPRIM_400000_NS6detail17trampoline_kernelINS0_14default_configENS1_35radix_sort_onesweep_config_selectorIfNS0_10empty_typeEEEZNS1_34radix_sort_onesweep_global_offsetsIS3_Lb0EPfPS5_mNS0_19identity_decomposerEEE10hipError_tT1_T2_PT3_SE_jT4_jjP12ihipStream_tbEUlT_E_NS1_11comp_targetILNS1_3genE6ELNS1_11target_archE950ELNS1_3gpuE13ELNS1_3repE0EEENS1_52radix_sort_onesweep_histogram_config_static_selectorELNS0_4arch9wavefront6targetE1EEEvSC_
    .private_segment_fixed_size: 0
    .sgpr_count:     4
    .sgpr_spill_count: 0
    .symbol:         _ZN7rocprim17ROCPRIM_400000_NS6detail17trampoline_kernelINS0_14default_configENS1_35radix_sort_onesweep_config_selectorIfNS0_10empty_typeEEEZNS1_34radix_sort_onesweep_global_offsetsIS3_Lb0EPfPS5_mNS0_19identity_decomposerEEE10hipError_tT1_T2_PT3_SE_jT4_jjP12ihipStream_tbEUlT_E_NS1_11comp_targetILNS1_3genE6ELNS1_11target_archE950ELNS1_3gpuE13ELNS1_3repE0EEENS1_52radix_sort_onesweep_histogram_config_static_selectorELNS0_4arch9wavefront6targetE1EEEvSC_.kd
    .uniform_work_group_size: 1
    .uses_dynamic_stack: false
    .vgpr_count:     0
    .vgpr_spill_count: 0
    .wavefront_size: 64
  - .agpr_count:     0
    .args:
      - .offset:         0
        .size:           48
        .value_kind:     by_value
    .group_segment_fixed_size: 0
    .kernarg_segment_align: 8
    .kernarg_segment_size: 48
    .language:       OpenCL C
    .language_version:
      - 2
      - 0
    .max_flat_workgroup_size: 1024
    .name:           _ZN7rocprim17ROCPRIM_400000_NS6detail17trampoline_kernelINS0_14default_configENS1_35radix_sort_onesweep_config_selectorIfNS0_10empty_typeEEEZNS1_34radix_sort_onesweep_global_offsetsIS3_Lb0EPfPS5_mNS0_19identity_decomposerEEE10hipError_tT1_T2_PT3_SE_jT4_jjP12ihipStream_tbEUlT_E_NS1_11comp_targetILNS1_3genE5ELNS1_11target_archE942ELNS1_3gpuE9ELNS1_3repE0EEENS1_52radix_sort_onesweep_histogram_config_static_selectorELNS0_4arch9wavefront6targetE1EEEvSC_
    .private_segment_fixed_size: 0
    .sgpr_count:     4
    .sgpr_spill_count: 0
    .symbol:         _ZN7rocprim17ROCPRIM_400000_NS6detail17trampoline_kernelINS0_14default_configENS1_35radix_sort_onesweep_config_selectorIfNS0_10empty_typeEEEZNS1_34radix_sort_onesweep_global_offsetsIS3_Lb0EPfPS5_mNS0_19identity_decomposerEEE10hipError_tT1_T2_PT3_SE_jT4_jjP12ihipStream_tbEUlT_E_NS1_11comp_targetILNS1_3genE5ELNS1_11target_archE942ELNS1_3gpuE9ELNS1_3repE0EEENS1_52radix_sort_onesweep_histogram_config_static_selectorELNS0_4arch9wavefront6targetE1EEEvSC_.kd
    .uniform_work_group_size: 1
    .uses_dynamic_stack: false
    .vgpr_count:     0
    .vgpr_spill_count: 0
    .wavefront_size: 64
  - .agpr_count:     0
    .args:
      - .offset:         0
        .size:           48
        .value_kind:     by_value
    .group_segment_fixed_size: 0
    .kernarg_segment_align: 8
    .kernarg_segment_size: 48
    .language:       OpenCL C
    .language_version:
      - 2
      - 0
    .max_flat_workgroup_size: 512
    .name:           _ZN7rocprim17ROCPRIM_400000_NS6detail17trampoline_kernelINS0_14default_configENS1_35radix_sort_onesweep_config_selectorIfNS0_10empty_typeEEEZNS1_34radix_sort_onesweep_global_offsetsIS3_Lb0EPfPS5_mNS0_19identity_decomposerEEE10hipError_tT1_T2_PT3_SE_jT4_jjP12ihipStream_tbEUlT_E_NS1_11comp_targetILNS1_3genE2ELNS1_11target_archE906ELNS1_3gpuE6ELNS1_3repE0EEENS1_52radix_sort_onesweep_histogram_config_static_selectorELNS0_4arch9wavefront6targetE1EEEvSC_
    .private_segment_fixed_size: 0
    .sgpr_count:     4
    .sgpr_spill_count: 0
    .symbol:         _ZN7rocprim17ROCPRIM_400000_NS6detail17trampoline_kernelINS0_14default_configENS1_35radix_sort_onesweep_config_selectorIfNS0_10empty_typeEEEZNS1_34radix_sort_onesweep_global_offsetsIS3_Lb0EPfPS5_mNS0_19identity_decomposerEEE10hipError_tT1_T2_PT3_SE_jT4_jjP12ihipStream_tbEUlT_E_NS1_11comp_targetILNS1_3genE2ELNS1_11target_archE906ELNS1_3gpuE6ELNS1_3repE0EEENS1_52radix_sort_onesweep_histogram_config_static_selectorELNS0_4arch9wavefront6targetE1EEEvSC_.kd
    .uniform_work_group_size: 1
    .uses_dynamic_stack: false
    .vgpr_count:     0
    .vgpr_spill_count: 0
    .wavefront_size: 64
  - .agpr_count:     0
    .args:
      - .offset:         0
        .size:           48
        .value_kind:     by_value
    .group_segment_fixed_size: 16384
    .kernarg_segment_align: 8
    .kernarg_segment_size: 48
    .language:       OpenCL C
    .language_version:
      - 2
      - 0
    .max_flat_workgroup_size: 1024
    .name:           _ZN7rocprim17ROCPRIM_400000_NS6detail17trampoline_kernelINS0_14default_configENS1_35radix_sort_onesweep_config_selectorIfNS0_10empty_typeEEEZNS1_34radix_sort_onesweep_global_offsetsIS3_Lb0EPfPS5_mNS0_19identity_decomposerEEE10hipError_tT1_T2_PT3_SE_jT4_jjP12ihipStream_tbEUlT_E_NS1_11comp_targetILNS1_3genE4ELNS1_11target_archE910ELNS1_3gpuE8ELNS1_3repE0EEENS1_52radix_sort_onesweep_histogram_config_static_selectorELNS0_4arch9wavefront6targetE1EEEvSC_
    .private_segment_fixed_size: 0
    .sgpr_count:     22
    .sgpr_spill_count: 0
    .symbol:         _ZN7rocprim17ROCPRIM_400000_NS6detail17trampoline_kernelINS0_14default_configENS1_35radix_sort_onesweep_config_selectorIfNS0_10empty_typeEEEZNS1_34radix_sort_onesweep_global_offsetsIS3_Lb0EPfPS5_mNS0_19identity_decomposerEEE10hipError_tT1_T2_PT3_SE_jT4_jjP12ihipStream_tbEUlT_E_NS1_11comp_targetILNS1_3genE4ELNS1_11target_archE910ELNS1_3gpuE8ELNS1_3repE0EEENS1_52radix_sort_onesweep_histogram_config_static_selectorELNS0_4arch9wavefront6targetE1EEEvSC_.kd
    .uniform_work_group_size: 1
    .uses_dynamic_stack: false
    .vgpr_count:     27
    .vgpr_spill_count: 0
    .wavefront_size: 64
  - .agpr_count:     0
    .args:
      - .offset:         0
        .size:           48
        .value_kind:     by_value
    .group_segment_fixed_size: 0
    .kernarg_segment_align: 8
    .kernarg_segment_size: 48
    .language:       OpenCL C
    .language_version:
      - 2
      - 0
    .max_flat_workgroup_size: 512
    .name:           _ZN7rocprim17ROCPRIM_400000_NS6detail17trampoline_kernelINS0_14default_configENS1_35radix_sort_onesweep_config_selectorIfNS0_10empty_typeEEEZNS1_34radix_sort_onesweep_global_offsetsIS3_Lb0EPfPS5_mNS0_19identity_decomposerEEE10hipError_tT1_T2_PT3_SE_jT4_jjP12ihipStream_tbEUlT_E_NS1_11comp_targetILNS1_3genE3ELNS1_11target_archE908ELNS1_3gpuE7ELNS1_3repE0EEENS1_52radix_sort_onesweep_histogram_config_static_selectorELNS0_4arch9wavefront6targetE1EEEvSC_
    .private_segment_fixed_size: 0
    .sgpr_count:     4
    .sgpr_spill_count: 0
    .symbol:         _ZN7rocprim17ROCPRIM_400000_NS6detail17trampoline_kernelINS0_14default_configENS1_35radix_sort_onesweep_config_selectorIfNS0_10empty_typeEEEZNS1_34radix_sort_onesweep_global_offsetsIS3_Lb0EPfPS5_mNS0_19identity_decomposerEEE10hipError_tT1_T2_PT3_SE_jT4_jjP12ihipStream_tbEUlT_E_NS1_11comp_targetILNS1_3genE3ELNS1_11target_archE908ELNS1_3gpuE7ELNS1_3repE0EEENS1_52radix_sort_onesweep_histogram_config_static_selectorELNS0_4arch9wavefront6targetE1EEEvSC_.kd
    .uniform_work_group_size: 1
    .uses_dynamic_stack: false
    .vgpr_count:     0
    .vgpr_spill_count: 0
    .wavefront_size: 64
  - .agpr_count:     0
    .args:
      - .offset:         0
        .size:           48
        .value_kind:     by_value
    .group_segment_fixed_size: 0
    .kernarg_segment_align: 8
    .kernarg_segment_size: 48
    .language:       OpenCL C
    .language_version:
      - 2
      - 0
    .max_flat_workgroup_size: 512
    .name:           _ZN7rocprim17ROCPRIM_400000_NS6detail17trampoline_kernelINS0_14default_configENS1_35radix_sort_onesweep_config_selectorIfNS0_10empty_typeEEEZNS1_34radix_sort_onesweep_global_offsetsIS3_Lb0EPfPS5_mNS0_19identity_decomposerEEE10hipError_tT1_T2_PT3_SE_jT4_jjP12ihipStream_tbEUlT_E_NS1_11comp_targetILNS1_3genE10ELNS1_11target_archE1201ELNS1_3gpuE5ELNS1_3repE0EEENS1_52radix_sort_onesweep_histogram_config_static_selectorELNS0_4arch9wavefront6targetE1EEEvSC_
    .private_segment_fixed_size: 0
    .sgpr_count:     4
    .sgpr_spill_count: 0
    .symbol:         _ZN7rocprim17ROCPRIM_400000_NS6detail17trampoline_kernelINS0_14default_configENS1_35radix_sort_onesweep_config_selectorIfNS0_10empty_typeEEEZNS1_34radix_sort_onesweep_global_offsetsIS3_Lb0EPfPS5_mNS0_19identity_decomposerEEE10hipError_tT1_T2_PT3_SE_jT4_jjP12ihipStream_tbEUlT_E_NS1_11comp_targetILNS1_3genE10ELNS1_11target_archE1201ELNS1_3gpuE5ELNS1_3repE0EEENS1_52radix_sort_onesweep_histogram_config_static_selectorELNS0_4arch9wavefront6targetE1EEEvSC_.kd
    .uniform_work_group_size: 1
    .uses_dynamic_stack: false
    .vgpr_count:     0
    .vgpr_spill_count: 0
    .wavefront_size: 64
  - .agpr_count:     0
    .args:
      - .offset:         0
        .size:           48
        .value_kind:     by_value
    .group_segment_fixed_size: 0
    .kernarg_segment_align: 8
    .kernarg_segment_size: 48
    .language:       OpenCL C
    .language_version:
      - 2
      - 0
    .max_flat_workgroup_size: 1024
    .name:           _ZN7rocprim17ROCPRIM_400000_NS6detail17trampoline_kernelINS0_14default_configENS1_35radix_sort_onesweep_config_selectorIfNS0_10empty_typeEEEZNS1_34radix_sort_onesweep_global_offsetsIS3_Lb0EPfPS5_mNS0_19identity_decomposerEEE10hipError_tT1_T2_PT3_SE_jT4_jjP12ihipStream_tbEUlT_E_NS1_11comp_targetILNS1_3genE9ELNS1_11target_archE1100ELNS1_3gpuE3ELNS1_3repE0EEENS1_52radix_sort_onesweep_histogram_config_static_selectorELNS0_4arch9wavefront6targetE1EEEvSC_
    .private_segment_fixed_size: 0
    .sgpr_count:     4
    .sgpr_spill_count: 0
    .symbol:         _ZN7rocprim17ROCPRIM_400000_NS6detail17trampoline_kernelINS0_14default_configENS1_35radix_sort_onesweep_config_selectorIfNS0_10empty_typeEEEZNS1_34radix_sort_onesweep_global_offsetsIS3_Lb0EPfPS5_mNS0_19identity_decomposerEEE10hipError_tT1_T2_PT3_SE_jT4_jjP12ihipStream_tbEUlT_E_NS1_11comp_targetILNS1_3genE9ELNS1_11target_archE1100ELNS1_3gpuE3ELNS1_3repE0EEENS1_52radix_sort_onesweep_histogram_config_static_selectorELNS0_4arch9wavefront6targetE1EEEvSC_.kd
    .uniform_work_group_size: 1
    .uses_dynamic_stack: false
    .vgpr_count:     0
    .vgpr_spill_count: 0
    .wavefront_size: 64
  - .agpr_count:     0
    .args:
      - .offset:         0
        .size:           48
        .value_kind:     by_value
    .group_segment_fixed_size: 0
    .kernarg_segment_align: 8
    .kernarg_segment_size: 48
    .language:       OpenCL C
    .language_version:
      - 2
      - 0
    .max_flat_workgroup_size: 1024
    .name:           _ZN7rocprim17ROCPRIM_400000_NS6detail17trampoline_kernelINS0_14default_configENS1_35radix_sort_onesweep_config_selectorIfNS0_10empty_typeEEEZNS1_34radix_sort_onesweep_global_offsetsIS3_Lb0EPfPS5_mNS0_19identity_decomposerEEE10hipError_tT1_T2_PT3_SE_jT4_jjP12ihipStream_tbEUlT_E_NS1_11comp_targetILNS1_3genE8ELNS1_11target_archE1030ELNS1_3gpuE2ELNS1_3repE0EEENS1_52radix_sort_onesweep_histogram_config_static_selectorELNS0_4arch9wavefront6targetE1EEEvSC_
    .private_segment_fixed_size: 0
    .sgpr_count:     4
    .sgpr_spill_count: 0
    .symbol:         _ZN7rocprim17ROCPRIM_400000_NS6detail17trampoline_kernelINS0_14default_configENS1_35radix_sort_onesweep_config_selectorIfNS0_10empty_typeEEEZNS1_34radix_sort_onesweep_global_offsetsIS3_Lb0EPfPS5_mNS0_19identity_decomposerEEE10hipError_tT1_T2_PT3_SE_jT4_jjP12ihipStream_tbEUlT_E_NS1_11comp_targetILNS1_3genE8ELNS1_11target_archE1030ELNS1_3gpuE2ELNS1_3repE0EEENS1_52radix_sort_onesweep_histogram_config_static_selectorELNS0_4arch9wavefront6targetE1EEEvSC_.kd
    .uniform_work_group_size: 1
    .uses_dynamic_stack: false
    .vgpr_count:     0
    .vgpr_spill_count: 0
    .wavefront_size: 64
  - .agpr_count:     0
    .args:
      - .address_space:  global
        .offset:         0
        .size:           8
        .value_kind:     global_buffer
    .group_segment_fixed_size: 0
    .kernarg_segment_align: 8
    .kernarg_segment_size: 8
    .language:       OpenCL C
    .language_version:
      - 2
      - 0
    .max_flat_workgroup_size: 512
    .name:           _ZN7rocprim17ROCPRIM_400000_NS6detail17trampoline_kernelINS0_14default_configENS1_35radix_sort_onesweep_config_selectorIfNS0_10empty_typeEEEZNS1_34radix_sort_onesweep_global_offsetsIS3_Lb0EPfPS5_mNS0_19identity_decomposerEEE10hipError_tT1_T2_PT3_SE_jT4_jjP12ihipStream_tbEUlT_E0_NS1_11comp_targetILNS1_3genE0ELNS1_11target_archE4294967295ELNS1_3gpuE0ELNS1_3repE0EEENS1_52radix_sort_onesweep_histogram_config_static_selectorELNS0_4arch9wavefront6targetE1EEEvSC_
    .private_segment_fixed_size: 0
    .sgpr_count:     4
    .sgpr_spill_count: 0
    .symbol:         _ZN7rocprim17ROCPRIM_400000_NS6detail17trampoline_kernelINS0_14default_configENS1_35radix_sort_onesweep_config_selectorIfNS0_10empty_typeEEEZNS1_34radix_sort_onesweep_global_offsetsIS3_Lb0EPfPS5_mNS0_19identity_decomposerEEE10hipError_tT1_T2_PT3_SE_jT4_jjP12ihipStream_tbEUlT_E0_NS1_11comp_targetILNS1_3genE0ELNS1_11target_archE4294967295ELNS1_3gpuE0ELNS1_3repE0EEENS1_52radix_sort_onesweep_histogram_config_static_selectorELNS0_4arch9wavefront6targetE1EEEvSC_.kd
    .uniform_work_group_size: 1
    .uses_dynamic_stack: false
    .vgpr_count:     0
    .vgpr_spill_count: 0
    .wavefront_size: 64
  - .agpr_count:     0
    .args:
      - .address_space:  global
        .offset:         0
        .size:           8
        .value_kind:     global_buffer
    .group_segment_fixed_size: 0
    .kernarg_segment_align: 8
    .kernarg_segment_size: 8
    .language:       OpenCL C
    .language_version:
      - 2
      - 0
    .max_flat_workgroup_size: 1024
    .name:           _ZN7rocprim17ROCPRIM_400000_NS6detail17trampoline_kernelINS0_14default_configENS1_35radix_sort_onesweep_config_selectorIfNS0_10empty_typeEEEZNS1_34radix_sort_onesweep_global_offsetsIS3_Lb0EPfPS5_mNS0_19identity_decomposerEEE10hipError_tT1_T2_PT3_SE_jT4_jjP12ihipStream_tbEUlT_E0_NS1_11comp_targetILNS1_3genE6ELNS1_11target_archE950ELNS1_3gpuE13ELNS1_3repE0EEENS1_52radix_sort_onesweep_histogram_config_static_selectorELNS0_4arch9wavefront6targetE1EEEvSC_
    .private_segment_fixed_size: 0
    .sgpr_count:     4
    .sgpr_spill_count: 0
    .symbol:         _ZN7rocprim17ROCPRIM_400000_NS6detail17trampoline_kernelINS0_14default_configENS1_35radix_sort_onesweep_config_selectorIfNS0_10empty_typeEEEZNS1_34radix_sort_onesweep_global_offsetsIS3_Lb0EPfPS5_mNS0_19identity_decomposerEEE10hipError_tT1_T2_PT3_SE_jT4_jjP12ihipStream_tbEUlT_E0_NS1_11comp_targetILNS1_3genE6ELNS1_11target_archE950ELNS1_3gpuE13ELNS1_3repE0EEENS1_52radix_sort_onesweep_histogram_config_static_selectorELNS0_4arch9wavefront6targetE1EEEvSC_.kd
    .uniform_work_group_size: 1
    .uses_dynamic_stack: false
    .vgpr_count:     0
    .vgpr_spill_count: 0
    .wavefront_size: 64
  - .agpr_count:     0
    .args:
      - .address_space:  global
        .offset:         0
        .size:           8
        .value_kind:     global_buffer
    .group_segment_fixed_size: 0
    .kernarg_segment_align: 8
    .kernarg_segment_size: 8
    .language:       OpenCL C
    .language_version:
      - 2
      - 0
    .max_flat_workgroup_size: 1024
    .name:           _ZN7rocprim17ROCPRIM_400000_NS6detail17trampoline_kernelINS0_14default_configENS1_35radix_sort_onesweep_config_selectorIfNS0_10empty_typeEEEZNS1_34radix_sort_onesweep_global_offsetsIS3_Lb0EPfPS5_mNS0_19identity_decomposerEEE10hipError_tT1_T2_PT3_SE_jT4_jjP12ihipStream_tbEUlT_E0_NS1_11comp_targetILNS1_3genE5ELNS1_11target_archE942ELNS1_3gpuE9ELNS1_3repE0EEENS1_52radix_sort_onesweep_histogram_config_static_selectorELNS0_4arch9wavefront6targetE1EEEvSC_
    .private_segment_fixed_size: 0
    .sgpr_count:     4
    .sgpr_spill_count: 0
    .symbol:         _ZN7rocprim17ROCPRIM_400000_NS6detail17trampoline_kernelINS0_14default_configENS1_35radix_sort_onesweep_config_selectorIfNS0_10empty_typeEEEZNS1_34radix_sort_onesweep_global_offsetsIS3_Lb0EPfPS5_mNS0_19identity_decomposerEEE10hipError_tT1_T2_PT3_SE_jT4_jjP12ihipStream_tbEUlT_E0_NS1_11comp_targetILNS1_3genE5ELNS1_11target_archE942ELNS1_3gpuE9ELNS1_3repE0EEENS1_52radix_sort_onesweep_histogram_config_static_selectorELNS0_4arch9wavefront6targetE1EEEvSC_.kd
    .uniform_work_group_size: 1
    .uses_dynamic_stack: false
    .vgpr_count:     0
    .vgpr_spill_count: 0
    .wavefront_size: 64
  - .agpr_count:     0
    .args:
      - .address_space:  global
        .offset:         0
        .size:           8
        .value_kind:     global_buffer
    .group_segment_fixed_size: 0
    .kernarg_segment_align: 8
    .kernarg_segment_size: 8
    .language:       OpenCL C
    .language_version:
      - 2
      - 0
    .max_flat_workgroup_size: 512
    .name:           _ZN7rocprim17ROCPRIM_400000_NS6detail17trampoline_kernelINS0_14default_configENS1_35radix_sort_onesweep_config_selectorIfNS0_10empty_typeEEEZNS1_34radix_sort_onesweep_global_offsetsIS3_Lb0EPfPS5_mNS0_19identity_decomposerEEE10hipError_tT1_T2_PT3_SE_jT4_jjP12ihipStream_tbEUlT_E0_NS1_11comp_targetILNS1_3genE2ELNS1_11target_archE906ELNS1_3gpuE6ELNS1_3repE0EEENS1_52radix_sort_onesweep_histogram_config_static_selectorELNS0_4arch9wavefront6targetE1EEEvSC_
    .private_segment_fixed_size: 0
    .sgpr_count:     4
    .sgpr_spill_count: 0
    .symbol:         _ZN7rocprim17ROCPRIM_400000_NS6detail17trampoline_kernelINS0_14default_configENS1_35radix_sort_onesweep_config_selectorIfNS0_10empty_typeEEEZNS1_34radix_sort_onesweep_global_offsetsIS3_Lb0EPfPS5_mNS0_19identity_decomposerEEE10hipError_tT1_T2_PT3_SE_jT4_jjP12ihipStream_tbEUlT_E0_NS1_11comp_targetILNS1_3genE2ELNS1_11target_archE906ELNS1_3gpuE6ELNS1_3repE0EEENS1_52radix_sort_onesweep_histogram_config_static_selectorELNS0_4arch9wavefront6targetE1EEEvSC_.kd
    .uniform_work_group_size: 1
    .uses_dynamic_stack: false
    .vgpr_count:     0
    .vgpr_spill_count: 0
    .wavefront_size: 64
  - .agpr_count:     0
    .args:
      - .address_space:  global
        .offset:         0
        .size:           8
        .value_kind:     global_buffer
    .group_segment_fixed_size: 128
    .kernarg_segment_align: 8
    .kernarg_segment_size: 8
    .language:       OpenCL C
    .language_version:
      - 2
      - 0
    .max_flat_workgroup_size: 1024
    .name:           _ZN7rocprim17ROCPRIM_400000_NS6detail17trampoline_kernelINS0_14default_configENS1_35radix_sort_onesweep_config_selectorIfNS0_10empty_typeEEEZNS1_34radix_sort_onesweep_global_offsetsIS3_Lb0EPfPS5_mNS0_19identity_decomposerEEE10hipError_tT1_T2_PT3_SE_jT4_jjP12ihipStream_tbEUlT_E0_NS1_11comp_targetILNS1_3genE4ELNS1_11target_archE910ELNS1_3gpuE8ELNS1_3repE0EEENS1_52radix_sort_onesweep_histogram_config_static_selectorELNS0_4arch9wavefront6targetE1EEEvSC_
    .private_segment_fixed_size: 0
    .sgpr_count:     22
    .sgpr_spill_count: 0
    .symbol:         _ZN7rocprim17ROCPRIM_400000_NS6detail17trampoline_kernelINS0_14default_configENS1_35radix_sort_onesweep_config_selectorIfNS0_10empty_typeEEEZNS1_34radix_sort_onesweep_global_offsetsIS3_Lb0EPfPS5_mNS0_19identity_decomposerEEE10hipError_tT1_T2_PT3_SE_jT4_jjP12ihipStream_tbEUlT_E0_NS1_11comp_targetILNS1_3genE4ELNS1_11target_archE910ELNS1_3gpuE8ELNS1_3repE0EEENS1_52radix_sort_onesweep_histogram_config_static_selectorELNS0_4arch9wavefront6targetE1EEEvSC_.kd
    .uniform_work_group_size: 1
    .uses_dynamic_stack: false
    .vgpr_count:     13
    .vgpr_spill_count: 0
    .wavefront_size: 64
  - .agpr_count:     0
    .args:
      - .address_space:  global
        .offset:         0
        .size:           8
        .value_kind:     global_buffer
    .group_segment_fixed_size: 0
    .kernarg_segment_align: 8
    .kernarg_segment_size: 8
    .language:       OpenCL C
    .language_version:
      - 2
      - 0
    .max_flat_workgroup_size: 512
    .name:           _ZN7rocprim17ROCPRIM_400000_NS6detail17trampoline_kernelINS0_14default_configENS1_35radix_sort_onesweep_config_selectorIfNS0_10empty_typeEEEZNS1_34radix_sort_onesweep_global_offsetsIS3_Lb0EPfPS5_mNS0_19identity_decomposerEEE10hipError_tT1_T2_PT3_SE_jT4_jjP12ihipStream_tbEUlT_E0_NS1_11comp_targetILNS1_3genE3ELNS1_11target_archE908ELNS1_3gpuE7ELNS1_3repE0EEENS1_52radix_sort_onesweep_histogram_config_static_selectorELNS0_4arch9wavefront6targetE1EEEvSC_
    .private_segment_fixed_size: 0
    .sgpr_count:     4
    .sgpr_spill_count: 0
    .symbol:         _ZN7rocprim17ROCPRIM_400000_NS6detail17trampoline_kernelINS0_14default_configENS1_35radix_sort_onesweep_config_selectorIfNS0_10empty_typeEEEZNS1_34radix_sort_onesweep_global_offsetsIS3_Lb0EPfPS5_mNS0_19identity_decomposerEEE10hipError_tT1_T2_PT3_SE_jT4_jjP12ihipStream_tbEUlT_E0_NS1_11comp_targetILNS1_3genE3ELNS1_11target_archE908ELNS1_3gpuE7ELNS1_3repE0EEENS1_52radix_sort_onesweep_histogram_config_static_selectorELNS0_4arch9wavefront6targetE1EEEvSC_.kd
    .uniform_work_group_size: 1
    .uses_dynamic_stack: false
    .vgpr_count:     0
    .vgpr_spill_count: 0
    .wavefront_size: 64
  - .agpr_count:     0
    .args:
      - .address_space:  global
        .offset:         0
        .size:           8
        .value_kind:     global_buffer
    .group_segment_fixed_size: 0
    .kernarg_segment_align: 8
    .kernarg_segment_size: 8
    .language:       OpenCL C
    .language_version:
      - 2
      - 0
    .max_flat_workgroup_size: 512
    .name:           _ZN7rocprim17ROCPRIM_400000_NS6detail17trampoline_kernelINS0_14default_configENS1_35radix_sort_onesweep_config_selectorIfNS0_10empty_typeEEEZNS1_34radix_sort_onesweep_global_offsetsIS3_Lb0EPfPS5_mNS0_19identity_decomposerEEE10hipError_tT1_T2_PT3_SE_jT4_jjP12ihipStream_tbEUlT_E0_NS1_11comp_targetILNS1_3genE10ELNS1_11target_archE1201ELNS1_3gpuE5ELNS1_3repE0EEENS1_52radix_sort_onesweep_histogram_config_static_selectorELNS0_4arch9wavefront6targetE1EEEvSC_
    .private_segment_fixed_size: 0
    .sgpr_count:     4
    .sgpr_spill_count: 0
    .symbol:         _ZN7rocprim17ROCPRIM_400000_NS6detail17trampoline_kernelINS0_14default_configENS1_35radix_sort_onesweep_config_selectorIfNS0_10empty_typeEEEZNS1_34radix_sort_onesweep_global_offsetsIS3_Lb0EPfPS5_mNS0_19identity_decomposerEEE10hipError_tT1_T2_PT3_SE_jT4_jjP12ihipStream_tbEUlT_E0_NS1_11comp_targetILNS1_3genE10ELNS1_11target_archE1201ELNS1_3gpuE5ELNS1_3repE0EEENS1_52radix_sort_onesweep_histogram_config_static_selectorELNS0_4arch9wavefront6targetE1EEEvSC_.kd
    .uniform_work_group_size: 1
    .uses_dynamic_stack: false
    .vgpr_count:     0
    .vgpr_spill_count: 0
    .wavefront_size: 64
  - .agpr_count:     0
    .args:
      - .address_space:  global
        .offset:         0
        .size:           8
        .value_kind:     global_buffer
    .group_segment_fixed_size: 0
    .kernarg_segment_align: 8
    .kernarg_segment_size: 8
    .language:       OpenCL C
    .language_version:
      - 2
      - 0
    .max_flat_workgroup_size: 1024
    .name:           _ZN7rocprim17ROCPRIM_400000_NS6detail17trampoline_kernelINS0_14default_configENS1_35radix_sort_onesweep_config_selectorIfNS0_10empty_typeEEEZNS1_34radix_sort_onesweep_global_offsetsIS3_Lb0EPfPS5_mNS0_19identity_decomposerEEE10hipError_tT1_T2_PT3_SE_jT4_jjP12ihipStream_tbEUlT_E0_NS1_11comp_targetILNS1_3genE9ELNS1_11target_archE1100ELNS1_3gpuE3ELNS1_3repE0EEENS1_52radix_sort_onesweep_histogram_config_static_selectorELNS0_4arch9wavefront6targetE1EEEvSC_
    .private_segment_fixed_size: 0
    .sgpr_count:     4
    .sgpr_spill_count: 0
    .symbol:         _ZN7rocprim17ROCPRIM_400000_NS6detail17trampoline_kernelINS0_14default_configENS1_35radix_sort_onesweep_config_selectorIfNS0_10empty_typeEEEZNS1_34radix_sort_onesweep_global_offsetsIS3_Lb0EPfPS5_mNS0_19identity_decomposerEEE10hipError_tT1_T2_PT3_SE_jT4_jjP12ihipStream_tbEUlT_E0_NS1_11comp_targetILNS1_3genE9ELNS1_11target_archE1100ELNS1_3gpuE3ELNS1_3repE0EEENS1_52radix_sort_onesweep_histogram_config_static_selectorELNS0_4arch9wavefront6targetE1EEEvSC_.kd
    .uniform_work_group_size: 1
    .uses_dynamic_stack: false
    .vgpr_count:     0
    .vgpr_spill_count: 0
    .wavefront_size: 64
  - .agpr_count:     0
    .args:
      - .address_space:  global
        .offset:         0
        .size:           8
        .value_kind:     global_buffer
    .group_segment_fixed_size: 0
    .kernarg_segment_align: 8
    .kernarg_segment_size: 8
    .language:       OpenCL C
    .language_version:
      - 2
      - 0
    .max_flat_workgroup_size: 1024
    .name:           _ZN7rocprim17ROCPRIM_400000_NS6detail17trampoline_kernelINS0_14default_configENS1_35radix_sort_onesweep_config_selectorIfNS0_10empty_typeEEEZNS1_34radix_sort_onesweep_global_offsetsIS3_Lb0EPfPS5_mNS0_19identity_decomposerEEE10hipError_tT1_T2_PT3_SE_jT4_jjP12ihipStream_tbEUlT_E0_NS1_11comp_targetILNS1_3genE8ELNS1_11target_archE1030ELNS1_3gpuE2ELNS1_3repE0EEENS1_52radix_sort_onesweep_histogram_config_static_selectorELNS0_4arch9wavefront6targetE1EEEvSC_
    .private_segment_fixed_size: 0
    .sgpr_count:     4
    .sgpr_spill_count: 0
    .symbol:         _ZN7rocprim17ROCPRIM_400000_NS6detail17trampoline_kernelINS0_14default_configENS1_35radix_sort_onesweep_config_selectorIfNS0_10empty_typeEEEZNS1_34radix_sort_onesweep_global_offsetsIS3_Lb0EPfPS5_mNS0_19identity_decomposerEEE10hipError_tT1_T2_PT3_SE_jT4_jjP12ihipStream_tbEUlT_E0_NS1_11comp_targetILNS1_3genE8ELNS1_11target_archE1030ELNS1_3gpuE2ELNS1_3repE0EEENS1_52radix_sort_onesweep_histogram_config_static_selectorELNS0_4arch9wavefront6targetE1EEEvSC_.kd
    .uniform_work_group_size: 1
    .uses_dynamic_stack: false
    .vgpr_count:     0
    .vgpr_spill_count: 0
    .wavefront_size: 64
  - .agpr_count:     0
    .args:
      - .offset:         0
        .size:           88
        .value_kind:     by_value
    .group_segment_fixed_size: 0
    .kernarg_segment_align: 8
    .kernarg_segment_size: 88
    .language:       OpenCL C
    .language_version:
      - 2
      - 0
    .max_flat_workgroup_size: 512
    .name:           _ZN7rocprim17ROCPRIM_400000_NS6detail17trampoline_kernelINS0_14default_configENS1_35radix_sort_onesweep_config_selectorIfNS0_10empty_typeEEEZZNS1_29radix_sort_onesweep_iterationIS3_Lb0EPfS8_PS5_S9_mNS0_19identity_decomposerENS1_16block_id_wrapperIjLb1EEEEE10hipError_tT1_PNSt15iterator_traitsISE_E10value_typeET2_T3_PNSF_ISK_E10value_typeET4_T5_PSP_SQ_PNS1_23onesweep_lookback_stateEbbT6_jjT7_P12ihipStream_tbENKUlT_T0_SE_SJ_E_clIS8_S8_S9_S9_EEDaSX_SY_SE_SJ_EUlSX_E_NS1_11comp_targetILNS1_3genE0ELNS1_11target_archE4294967295ELNS1_3gpuE0ELNS1_3repE0EEENS1_47radix_sort_onesweep_sort_config_static_selectorELNS0_4arch9wavefront6targetE1EEEvSE_
    .private_segment_fixed_size: 0
    .sgpr_count:     4
    .sgpr_spill_count: 0
    .symbol:         _ZN7rocprim17ROCPRIM_400000_NS6detail17trampoline_kernelINS0_14default_configENS1_35radix_sort_onesweep_config_selectorIfNS0_10empty_typeEEEZZNS1_29radix_sort_onesweep_iterationIS3_Lb0EPfS8_PS5_S9_mNS0_19identity_decomposerENS1_16block_id_wrapperIjLb1EEEEE10hipError_tT1_PNSt15iterator_traitsISE_E10value_typeET2_T3_PNSF_ISK_E10value_typeET4_T5_PSP_SQ_PNS1_23onesweep_lookback_stateEbbT6_jjT7_P12ihipStream_tbENKUlT_T0_SE_SJ_E_clIS8_S8_S9_S9_EEDaSX_SY_SE_SJ_EUlSX_E_NS1_11comp_targetILNS1_3genE0ELNS1_11target_archE4294967295ELNS1_3gpuE0ELNS1_3repE0EEENS1_47radix_sort_onesweep_sort_config_static_selectorELNS0_4arch9wavefront6targetE1EEEvSE_.kd
    .uniform_work_group_size: 1
    .uses_dynamic_stack: false
    .vgpr_count:     0
    .vgpr_spill_count: 0
    .wavefront_size: 64
  - .agpr_count:     0
    .args:
      - .offset:         0
        .size:           88
        .value_kind:     by_value
    .group_segment_fixed_size: 0
    .kernarg_segment_align: 8
    .kernarg_segment_size: 88
    .language:       OpenCL C
    .language_version:
      - 2
      - 0
    .max_flat_workgroup_size: 1024
    .name:           _ZN7rocprim17ROCPRIM_400000_NS6detail17trampoline_kernelINS0_14default_configENS1_35radix_sort_onesweep_config_selectorIfNS0_10empty_typeEEEZZNS1_29radix_sort_onesweep_iterationIS3_Lb0EPfS8_PS5_S9_mNS0_19identity_decomposerENS1_16block_id_wrapperIjLb1EEEEE10hipError_tT1_PNSt15iterator_traitsISE_E10value_typeET2_T3_PNSF_ISK_E10value_typeET4_T5_PSP_SQ_PNS1_23onesweep_lookback_stateEbbT6_jjT7_P12ihipStream_tbENKUlT_T0_SE_SJ_E_clIS8_S8_S9_S9_EEDaSX_SY_SE_SJ_EUlSX_E_NS1_11comp_targetILNS1_3genE6ELNS1_11target_archE950ELNS1_3gpuE13ELNS1_3repE0EEENS1_47radix_sort_onesweep_sort_config_static_selectorELNS0_4arch9wavefront6targetE1EEEvSE_
    .private_segment_fixed_size: 0
    .sgpr_count:     4
    .sgpr_spill_count: 0
    .symbol:         _ZN7rocprim17ROCPRIM_400000_NS6detail17trampoline_kernelINS0_14default_configENS1_35radix_sort_onesweep_config_selectorIfNS0_10empty_typeEEEZZNS1_29radix_sort_onesweep_iterationIS3_Lb0EPfS8_PS5_S9_mNS0_19identity_decomposerENS1_16block_id_wrapperIjLb1EEEEE10hipError_tT1_PNSt15iterator_traitsISE_E10value_typeET2_T3_PNSF_ISK_E10value_typeET4_T5_PSP_SQ_PNS1_23onesweep_lookback_stateEbbT6_jjT7_P12ihipStream_tbENKUlT_T0_SE_SJ_E_clIS8_S8_S9_S9_EEDaSX_SY_SE_SJ_EUlSX_E_NS1_11comp_targetILNS1_3genE6ELNS1_11target_archE950ELNS1_3gpuE13ELNS1_3repE0EEENS1_47radix_sort_onesweep_sort_config_static_selectorELNS0_4arch9wavefront6targetE1EEEvSE_.kd
    .uniform_work_group_size: 1
    .uses_dynamic_stack: false
    .vgpr_count:     0
    .vgpr_spill_count: 0
    .wavefront_size: 64
  - .agpr_count:     0
    .args:
      - .offset:         0
        .size:           88
        .value_kind:     by_value
    .group_segment_fixed_size: 0
    .kernarg_segment_align: 8
    .kernarg_segment_size: 88
    .language:       OpenCL C
    .language_version:
      - 2
      - 0
    .max_flat_workgroup_size: 1024
    .name:           _ZN7rocprim17ROCPRIM_400000_NS6detail17trampoline_kernelINS0_14default_configENS1_35radix_sort_onesweep_config_selectorIfNS0_10empty_typeEEEZZNS1_29radix_sort_onesweep_iterationIS3_Lb0EPfS8_PS5_S9_mNS0_19identity_decomposerENS1_16block_id_wrapperIjLb1EEEEE10hipError_tT1_PNSt15iterator_traitsISE_E10value_typeET2_T3_PNSF_ISK_E10value_typeET4_T5_PSP_SQ_PNS1_23onesweep_lookback_stateEbbT6_jjT7_P12ihipStream_tbENKUlT_T0_SE_SJ_E_clIS8_S8_S9_S9_EEDaSX_SY_SE_SJ_EUlSX_E_NS1_11comp_targetILNS1_3genE5ELNS1_11target_archE942ELNS1_3gpuE9ELNS1_3repE0EEENS1_47radix_sort_onesweep_sort_config_static_selectorELNS0_4arch9wavefront6targetE1EEEvSE_
    .private_segment_fixed_size: 0
    .sgpr_count:     4
    .sgpr_spill_count: 0
    .symbol:         _ZN7rocprim17ROCPRIM_400000_NS6detail17trampoline_kernelINS0_14default_configENS1_35radix_sort_onesweep_config_selectorIfNS0_10empty_typeEEEZZNS1_29radix_sort_onesweep_iterationIS3_Lb0EPfS8_PS5_S9_mNS0_19identity_decomposerENS1_16block_id_wrapperIjLb1EEEEE10hipError_tT1_PNSt15iterator_traitsISE_E10value_typeET2_T3_PNSF_ISK_E10value_typeET4_T5_PSP_SQ_PNS1_23onesweep_lookback_stateEbbT6_jjT7_P12ihipStream_tbENKUlT_T0_SE_SJ_E_clIS8_S8_S9_S9_EEDaSX_SY_SE_SJ_EUlSX_E_NS1_11comp_targetILNS1_3genE5ELNS1_11target_archE942ELNS1_3gpuE9ELNS1_3repE0EEENS1_47radix_sort_onesweep_sort_config_static_selectorELNS0_4arch9wavefront6targetE1EEEvSE_.kd
    .uniform_work_group_size: 1
    .uses_dynamic_stack: false
    .vgpr_count:     0
    .vgpr_spill_count: 0
    .wavefront_size: 64
  - .agpr_count:     0
    .args:
      - .offset:         0
        .size:           88
        .value_kind:     by_value
    .group_segment_fixed_size: 0
    .kernarg_segment_align: 8
    .kernarg_segment_size: 88
    .language:       OpenCL C
    .language_version:
      - 2
      - 0
    .max_flat_workgroup_size: 512
    .name:           _ZN7rocprim17ROCPRIM_400000_NS6detail17trampoline_kernelINS0_14default_configENS1_35radix_sort_onesweep_config_selectorIfNS0_10empty_typeEEEZZNS1_29radix_sort_onesweep_iterationIS3_Lb0EPfS8_PS5_S9_mNS0_19identity_decomposerENS1_16block_id_wrapperIjLb1EEEEE10hipError_tT1_PNSt15iterator_traitsISE_E10value_typeET2_T3_PNSF_ISK_E10value_typeET4_T5_PSP_SQ_PNS1_23onesweep_lookback_stateEbbT6_jjT7_P12ihipStream_tbENKUlT_T0_SE_SJ_E_clIS8_S8_S9_S9_EEDaSX_SY_SE_SJ_EUlSX_E_NS1_11comp_targetILNS1_3genE2ELNS1_11target_archE906ELNS1_3gpuE6ELNS1_3repE0EEENS1_47radix_sort_onesweep_sort_config_static_selectorELNS0_4arch9wavefront6targetE1EEEvSE_
    .private_segment_fixed_size: 0
    .sgpr_count:     4
    .sgpr_spill_count: 0
    .symbol:         _ZN7rocprim17ROCPRIM_400000_NS6detail17trampoline_kernelINS0_14default_configENS1_35radix_sort_onesweep_config_selectorIfNS0_10empty_typeEEEZZNS1_29radix_sort_onesweep_iterationIS3_Lb0EPfS8_PS5_S9_mNS0_19identity_decomposerENS1_16block_id_wrapperIjLb1EEEEE10hipError_tT1_PNSt15iterator_traitsISE_E10value_typeET2_T3_PNSF_ISK_E10value_typeET4_T5_PSP_SQ_PNS1_23onesweep_lookback_stateEbbT6_jjT7_P12ihipStream_tbENKUlT_T0_SE_SJ_E_clIS8_S8_S9_S9_EEDaSX_SY_SE_SJ_EUlSX_E_NS1_11comp_targetILNS1_3genE2ELNS1_11target_archE906ELNS1_3gpuE6ELNS1_3repE0EEENS1_47radix_sort_onesweep_sort_config_static_selectorELNS0_4arch9wavefront6targetE1EEEvSE_.kd
    .uniform_work_group_size: 1
    .uses_dynamic_stack: false
    .vgpr_count:     0
    .vgpr_spill_count: 0
    .wavefront_size: 64
  - .agpr_count:     0
    .args:
      - .offset:         0
        .size:           88
        .value_kind:     by_value
      - .offset:         88
        .size:           4
        .value_kind:     hidden_block_count_x
      - .offset:         92
        .size:           4
        .value_kind:     hidden_block_count_y
      - .offset:         96
        .size:           4
        .value_kind:     hidden_block_count_z
      - .offset:         100
        .size:           2
        .value_kind:     hidden_group_size_x
      - .offset:         102
        .size:           2
        .value_kind:     hidden_group_size_y
      - .offset:         104
        .size:           2
        .value_kind:     hidden_group_size_z
      - .offset:         106
        .size:           2
        .value_kind:     hidden_remainder_x
      - .offset:         108
        .size:           2
        .value_kind:     hidden_remainder_y
      - .offset:         110
        .size:           2
        .value_kind:     hidden_remainder_z
      - .offset:         128
        .size:           8
        .value_kind:     hidden_global_offset_x
      - .offset:         136
        .size:           8
        .value_kind:     hidden_global_offset_y
      - .offset:         144
        .size:           8
        .value_kind:     hidden_global_offset_z
      - .offset:         152
        .size:           2
        .value_kind:     hidden_grid_dims
    .group_segment_fixed_size: 20552
    .kernarg_segment_align: 8
    .kernarg_segment_size: 344
    .language:       OpenCL C
    .language_version:
      - 2
      - 0
    .max_flat_workgroup_size: 1024
    .name:           _ZN7rocprim17ROCPRIM_400000_NS6detail17trampoline_kernelINS0_14default_configENS1_35radix_sort_onesweep_config_selectorIfNS0_10empty_typeEEEZZNS1_29radix_sort_onesweep_iterationIS3_Lb0EPfS8_PS5_S9_mNS0_19identity_decomposerENS1_16block_id_wrapperIjLb1EEEEE10hipError_tT1_PNSt15iterator_traitsISE_E10value_typeET2_T3_PNSF_ISK_E10value_typeET4_T5_PSP_SQ_PNS1_23onesweep_lookback_stateEbbT6_jjT7_P12ihipStream_tbENKUlT_T0_SE_SJ_E_clIS8_S8_S9_S9_EEDaSX_SY_SE_SJ_EUlSX_E_NS1_11comp_targetILNS1_3genE4ELNS1_11target_archE910ELNS1_3gpuE8ELNS1_3repE0EEENS1_47radix_sort_onesweep_sort_config_static_selectorELNS0_4arch9wavefront6targetE1EEEvSE_
    .private_segment_fixed_size: 0
    .sgpr_count:     39
    .sgpr_spill_count: 0
    .symbol:         _ZN7rocprim17ROCPRIM_400000_NS6detail17trampoline_kernelINS0_14default_configENS1_35radix_sort_onesweep_config_selectorIfNS0_10empty_typeEEEZZNS1_29radix_sort_onesweep_iterationIS3_Lb0EPfS8_PS5_S9_mNS0_19identity_decomposerENS1_16block_id_wrapperIjLb1EEEEE10hipError_tT1_PNSt15iterator_traitsISE_E10value_typeET2_T3_PNSF_ISK_E10value_typeET4_T5_PSP_SQ_PNS1_23onesweep_lookback_stateEbbT6_jjT7_P12ihipStream_tbENKUlT_T0_SE_SJ_E_clIS8_S8_S9_S9_EEDaSX_SY_SE_SJ_EUlSX_E_NS1_11comp_targetILNS1_3genE4ELNS1_11target_archE910ELNS1_3gpuE8ELNS1_3repE0EEENS1_47radix_sort_onesweep_sort_config_static_selectorELNS0_4arch9wavefront6targetE1EEEvSE_.kd
    .uniform_work_group_size: 1
    .uses_dynamic_stack: false
    .vgpr_count:     62
    .vgpr_spill_count: 0
    .wavefront_size: 64
  - .agpr_count:     0
    .args:
      - .offset:         0
        .size:           88
        .value_kind:     by_value
    .group_segment_fixed_size: 0
    .kernarg_segment_align: 8
    .kernarg_segment_size: 88
    .language:       OpenCL C
    .language_version:
      - 2
      - 0
    .max_flat_workgroup_size: 512
    .name:           _ZN7rocprim17ROCPRIM_400000_NS6detail17trampoline_kernelINS0_14default_configENS1_35radix_sort_onesweep_config_selectorIfNS0_10empty_typeEEEZZNS1_29radix_sort_onesweep_iterationIS3_Lb0EPfS8_PS5_S9_mNS0_19identity_decomposerENS1_16block_id_wrapperIjLb1EEEEE10hipError_tT1_PNSt15iterator_traitsISE_E10value_typeET2_T3_PNSF_ISK_E10value_typeET4_T5_PSP_SQ_PNS1_23onesweep_lookback_stateEbbT6_jjT7_P12ihipStream_tbENKUlT_T0_SE_SJ_E_clIS8_S8_S9_S9_EEDaSX_SY_SE_SJ_EUlSX_E_NS1_11comp_targetILNS1_3genE3ELNS1_11target_archE908ELNS1_3gpuE7ELNS1_3repE0EEENS1_47radix_sort_onesweep_sort_config_static_selectorELNS0_4arch9wavefront6targetE1EEEvSE_
    .private_segment_fixed_size: 0
    .sgpr_count:     4
    .sgpr_spill_count: 0
    .symbol:         _ZN7rocprim17ROCPRIM_400000_NS6detail17trampoline_kernelINS0_14default_configENS1_35radix_sort_onesweep_config_selectorIfNS0_10empty_typeEEEZZNS1_29radix_sort_onesweep_iterationIS3_Lb0EPfS8_PS5_S9_mNS0_19identity_decomposerENS1_16block_id_wrapperIjLb1EEEEE10hipError_tT1_PNSt15iterator_traitsISE_E10value_typeET2_T3_PNSF_ISK_E10value_typeET4_T5_PSP_SQ_PNS1_23onesweep_lookback_stateEbbT6_jjT7_P12ihipStream_tbENKUlT_T0_SE_SJ_E_clIS8_S8_S9_S9_EEDaSX_SY_SE_SJ_EUlSX_E_NS1_11comp_targetILNS1_3genE3ELNS1_11target_archE908ELNS1_3gpuE7ELNS1_3repE0EEENS1_47radix_sort_onesweep_sort_config_static_selectorELNS0_4arch9wavefront6targetE1EEEvSE_.kd
    .uniform_work_group_size: 1
    .uses_dynamic_stack: false
    .vgpr_count:     0
    .vgpr_spill_count: 0
    .wavefront_size: 64
  - .agpr_count:     0
    .args:
      - .offset:         0
        .size:           88
        .value_kind:     by_value
    .group_segment_fixed_size: 0
    .kernarg_segment_align: 8
    .kernarg_segment_size: 88
    .language:       OpenCL C
    .language_version:
      - 2
      - 0
    .max_flat_workgroup_size: 512
    .name:           _ZN7rocprim17ROCPRIM_400000_NS6detail17trampoline_kernelINS0_14default_configENS1_35radix_sort_onesweep_config_selectorIfNS0_10empty_typeEEEZZNS1_29radix_sort_onesweep_iterationIS3_Lb0EPfS8_PS5_S9_mNS0_19identity_decomposerENS1_16block_id_wrapperIjLb1EEEEE10hipError_tT1_PNSt15iterator_traitsISE_E10value_typeET2_T3_PNSF_ISK_E10value_typeET4_T5_PSP_SQ_PNS1_23onesweep_lookback_stateEbbT6_jjT7_P12ihipStream_tbENKUlT_T0_SE_SJ_E_clIS8_S8_S9_S9_EEDaSX_SY_SE_SJ_EUlSX_E_NS1_11comp_targetILNS1_3genE10ELNS1_11target_archE1201ELNS1_3gpuE5ELNS1_3repE0EEENS1_47radix_sort_onesweep_sort_config_static_selectorELNS0_4arch9wavefront6targetE1EEEvSE_
    .private_segment_fixed_size: 0
    .sgpr_count:     4
    .sgpr_spill_count: 0
    .symbol:         _ZN7rocprim17ROCPRIM_400000_NS6detail17trampoline_kernelINS0_14default_configENS1_35radix_sort_onesweep_config_selectorIfNS0_10empty_typeEEEZZNS1_29radix_sort_onesweep_iterationIS3_Lb0EPfS8_PS5_S9_mNS0_19identity_decomposerENS1_16block_id_wrapperIjLb1EEEEE10hipError_tT1_PNSt15iterator_traitsISE_E10value_typeET2_T3_PNSF_ISK_E10value_typeET4_T5_PSP_SQ_PNS1_23onesweep_lookback_stateEbbT6_jjT7_P12ihipStream_tbENKUlT_T0_SE_SJ_E_clIS8_S8_S9_S9_EEDaSX_SY_SE_SJ_EUlSX_E_NS1_11comp_targetILNS1_3genE10ELNS1_11target_archE1201ELNS1_3gpuE5ELNS1_3repE0EEENS1_47radix_sort_onesweep_sort_config_static_selectorELNS0_4arch9wavefront6targetE1EEEvSE_.kd
    .uniform_work_group_size: 1
    .uses_dynamic_stack: false
    .vgpr_count:     0
    .vgpr_spill_count: 0
    .wavefront_size: 64
  - .agpr_count:     0
    .args:
      - .offset:         0
        .size:           88
        .value_kind:     by_value
    .group_segment_fixed_size: 0
    .kernarg_segment_align: 8
    .kernarg_segment_size: 88
    .language:       OpenCL C
    .language_version:
      - 2
      - 0
    .max_flat_workgroup_size: 1024
    .name:           _ZN7rocprim17ROCPRIM_400000_NS6detail17trampoline_kernelINS0_14default_configENS1_35radix_sort_onesweep_config_selectorIfNS0_10empty_typeEEEZZNS1_29radix_sort_onesweep_iterationIS3_Lb0EPfS8_PS5_S9_mNS0_19identity_decomposerENS1_16block_id_wrapperIjLb1EEEEE10hipError_tT1_PNSt15iterator_traitsISE_E10value_typeET2_T3_PNSF_ISK_E10value_typeET4_T5_PSP_SQ_PNS1_23onesweep_lookback_stateEbbT6_jjT7_P12ihipStream_tbENKUlT_T0_SE_SJ_E_clIS8_S8_S9_S9_EEDaSX_SY_SE_SJ_EUlSX_E_NS1_11comp_targetILNS1_3genE9ELNS1_11target_archE1100ELNS1_3gpuE3ELNS1_3repE0EEENS1_47radix_sort_onesweep_sort_config_static_selectorELNS0_4arch9wavefront6targetE1EEEvSE_
    .private_segment_fixed_size: 0
    .sgpr_count:     4
    .sgpr_spill_count: 0
    .symbol:         _ZN7rocprim17ROCPRIM_400000_NS6detail17trampoline_kernelINS0_14default_configENS1_35radix_sort_onesweep_config_selectorIfNS0_10empty_typeEEEZZNS1_29radix_sort_onesweep_iterationIS3_Lb0EPfS8_PS5_S9_mNS0_19identity_decomposerENS1_16block_id_wrapperIjLb1EEEEE10hipError_tT1_PNSt15iterator_traitsISE_E10value_typeET2_T3_PNSF_ISK_E10value_typeET4_T5_PSP_SQ_PNS1_23onesweep_lookback_stateEbbT6_jjT7_P12ihipStream_tbENKUlT_T0_SE_SJ_E_clIS8_S8_S9_S9_EEDaSX_SY_SE_SJ_EUlSX_E_NS1_11comp_targetILNS1_3genE9ELNS1_11target_archE1100ELNS1_3gpuE3ELNS1_3repE0EEENS1_47radix_sort_onesweep_sort_config_static_selectorELNS0_4arch9wavefront6targetE1EEEvSE_.kd
    .uniform_work_group_size: 1
    .uses_dynamic_stack: false
    .vgpr_count:     0
    .vgpr_spill_count: 0
    .wavefront_size: 64
  - .agpr_count:     0
    .args:
      - .offset:         0
        .size:           88
        .value_kind:     by_value
    .group_segment_fixed_size: 0
    .kernarg_segment_align: 8
    .kernarg_segment_size: 88
    .language:       OpenCL C
    .language_version:
      - 2
      - 0
    .max_flat_workgroup_size: 1024
    .name:           _ZN7rocprim17ROCPRIM_400000_NS6detail17trampoline_kernelINS0_14default_configENS1_35radix_sort_onesweep_config_selectorIfNS0_10empty_typeEEEZZNS1_29radix_sort_onesweep_iterationIS3_Lb0EPfS8_PS5_S9_mNS0_19identity_decomposerENS1_16block_id_wrapperIjLb1EEEEE10hipError_tT1_PNSt15iterator_traitsISE_E10value_typeET2_T3_PNSF_ISK_E10value_typeET4_T5_PSP_SQ_PNS1_23onesweep_lookback_stateEbbT6_jjT7_P12ihipStream_tbENKUlT_T0_SE_SJ_E_clIS8_S8_S9_S9_EEDaSX_SY_SE_SJ_EUlSX_E_NS1_11comp_targetILNS1_3genE8ELNS1_11target_archE1030ELNS1_3gpuE2ELNS1_3repE0EEENS1_47radix_sort_onesweep_sort_config_static_selectorELNS0_4arch9wavefront6targetE1EEEvSE_
    .private_segment_fixed_size: 0
    .sgpr_count:     4
    .sgpr_spill_count: 0
    .symbol:         _ZN7rocprim17ROCPRIM_400000_NS6detail17trampoline_kernelINS0_14default_configENS1_35radix_sort_onesweep_config_selectorIfNS0_10empty_typeEEEZZNS1_29radix_sort_onesweep_iterationIS3_Lb0EPfS8_PS5_S9_mNS0_19identity_decomposerENS1_16block_id_wrapperIjLb1EEEEE10hipError_tT1_PNSt15iterator_traitsISE_E10value_typeET2_T3_PNSF_ISK_E10value_typeET4_T5_PSP_SQ_PNS1_23onesweep_lookback_stateEbbT6_jjT7_P12ihipStream_tbENKUlT_T0_SE_SJ_E_clIS8_S8_S9_S9_EEDaSX_SY_SE_SJ_EUlSX_E_NS1_11comp_targetILNS1_3genE8ELNS1_11target_archE1030ELNS1_3gpuE2ELNS1_3repE0EEENS1_47radix_sort_onesweep_sort_config_static_selectorELNS0_4arch9wavefront6targetE1EEEvSE_.kd
    .uniform_work_group_size: 1
    .uses_dynamic_stack: false
    .vgpr_count:     0
    .vgpr_spill_count: 0
    .wavefront_size: 64
  - .agpr_count:     0
    .args:
      - .offset:         0
        .size:           88
        .value_kind:     by_value
    .group_segment_fixed_size: 0
    .kernarg_segment_align: 8
    .kernarg_segment_size: 88
    .language:       OpenCL C
    .language_version:
      - 2
      - 0
    .max_flat_workgroup_size: 512
    .name:           _ZN7rocprim17ROCPRIM_400000_NS6detail17trampoline_kernelINS0_14default_configENS1_35radix_sort_onesweep_config_selectorIfNS0_10empty_typeEEEZZNS1_29radix_sort_onesweep_iterationIS3_Lb0EPfS8_PS5_S9_mNS0_19identity_decomposerENS1_16block_id_wrapperIjLb0EEEEE10hipError_tT1_PNSt15iterator_traitsISE_E10value_typeET2_T3_PNSF_ISK_E10value_typeET4_T5_PSP_SQ_PNS1_23onesweep_lookback_stateEbbT6_jjT7_P12ihipStream_tbENKUlT_T0_SE_SJ_E_clIS8_S8_S9_S9_EEDaSX_SY_SE_SJ_EUlSX_E_NS1_11comp_targetILNS1_3genE0ELNS1_11target_archE4294967295ELNS1_3gpuE0ELNS1_3repE0EEENS1_47radix_sort_onesweep_sort_config_static_selectorELNS0_4arch9wavefront6targetE1EEEvSE_
    .private_segment_fixed_size: 0
    .sgpr_count:     4
    .sgpr_spill_count: 0
    .symbol:         _ZN7rocprim17ROCPRIM_400000_NS6detail17trampoline_kernelINS0_14default_configENS1_35radix_sort_onesweep_config_selectorIfNS0_10empty_typeEEEZZNS1_29radix_sort_onesweep_iterationIS3_Lb0EPfS8_PS5_S9_mNS0_19identity_decomposerENS1_16block_id_wrapperIjLb0EEEEE10hipError_tT1_PNSt15iterator_traitsISE_E10value_typeET2_T3_PNSF_ISK_E10value_typeET4_T5_PSP_SQ_PNS1_23onesweep_lookback_stateEbbT6_jjT7_P12ihipStream_tbENKUlT_T0_SE_SJ_E_clIS8_S8_S9_S9_EEDaSX_SY_SE_SJ_EUlSX_E_NS1_11comp_targetILNS1_3genE0ELNS1_11target_archE4294967295ELNS1_3gpuE0ELNS1_3repE0EEENS1_47radix_sort_onesweep_sort_config_static_selectorELNS0_4arch9wavefront6targetE1EEEvSE_.kd
    .uniform_work_group_size: 1
    .uses_dynamic_stack: false
    .vgpr_count:     0
    .vgpr_spill_count: 0
    .wavefront_size: 64
  - .agpr_count:     0
    .args:
      - .offset:         0
        .size:           88
        .value_kind:     by_value
    .group_segment_fixed_size: 0
    .kernarg_segment_align: 8
    .kernarg_segment_size: 88
    .language:       OpenCL C
    .language_version:
      - 2
      - 0
    .max_flat_workgroup_size: 1024
    .name:           _ZN7rocprim17ROCPRIM_400000_NS6detail17trampoline_kernelINS0_14default_configENS1_35radix_sort_onesweep_config_selectorIfNS0_10empty_typeEEEZZNS1_29radix_sort_onesweep_iterationIS3_Lb0EPfS8_PS5_S9_mNS0_19identity_decomposerENS1_16block_id_wrapperIjLb0EEEEE10hipError_tT1_PNSt15iterator_traitsISE_E10value_typeET2_T3_PNSF_ISK_E10value_typeET4_T5_PSP_SQ_PNS1_23onesweep_lookback_stateEbbT6_jjT7_P12ihipStream_tbENKUlT_T0_SE_SJ_E_clIS8_S8_S9_S9_EEDaSX_SY_SE_SJ_EUlSX_E_NS1_11comp_targetILNS1_3genE6ELNS1_11target_archE950ELNS1_3gpuE13ELNS1_3repE0EEENS1_47radix_sort_onesweep_sort_config_static_selectorELNS0_4arch9wavefront6targetE1EEEvSE_
    .private_segment_fixed_size: 0
    .sgpr_count:     4
    .sgpr_spill_count: 0
    .symbol:         _ZN7rocprim17ROCPRIM_400000_NS6detail17trampoline_kernelINS0_14default_configENS1_35radix_sort_onesweep_config_selectorIfNS0_10empty_typeEEEZZNS1_29radix_sort_onesweep_iterationIS3_Lb0EPfS8_PS5_S9_mNS0_19identity_decomposerENS1_16block_id_wrapperIjLb0EEEEE10hipError_tT1_PNSt15iterator_traitsISE_E10value_typeET2_T3_PNSF_ISK_E10value_typeET4_T5_PSP_SQ_PNS1_23onesweep_lookback_stateEbbT6_jjT7_P12ihipStream_tbENKUlT_T0_SE_SJ_E_clIS8_S8_S9_S9_EEDaSX_SY_SE_SJ_EUlSX_E_NS1_11comp_targetILNS1_3genE6ELNS1_11target_archE950ELNS1_3gpuE13ELNS1_3repE0EEENS1_47radix_sort_onesweep_sort_config_static_selectorELNS0_4arch9wavefront6targetE1EEEvSE_.kd
    .uniform_work_group_size: 1
    .uses_dynamic_stack: false
    .vgpr_count:     0
    .vgpr_spill_count: 0
    .wavefront_size: 64
  - .agpr_count:     0
    .args:
      - .offset:         0
        .size:           88
        .value_kind:     by_value
    .group_segment_fixed_size: 0
    .kernarg_segment_align: 8
    .kernarg_segment_size: 88
    .language:       OpenCL C
    .language_version:
      - 2
      - 0
    .max_flat_workgroup_size: 1024
    .name:           _ZN7rocprim17ROCPRIM_400000_NS6detail17trampoline_kernelINS0_14default_configENS1_35radix_sort_onesweep_config_selectorIfNS0_10empty_typeEEEZZNS1_29radix_sort_onesweep_iterationIS3_Lb0EPfS8_PS5_S9_mNS0_19identity_decomposerENS1_16block_id_wrapperIjLb0EEEEE10hipError_tT1_PNSt15iterator_traitsISE_E10value_typeET2_T3_PNSF_ISK_E10value_typeET4_T5_PSP_SQ_PNS1_23onesweep_lookback_stateEbbT6_jjT7_P12ihipStream_tbENKUlT_T0_SE_SJ_E_clIS8_S8_S9_S9_EEDaSX_SY_SE_SJ_EUlSX_E_NS1_11comp_targetILNS1_3genE5ELNS1_11target_archE942ELNS1_3gpuE9ELNS1_3repE0EEENS1_47radix_sort_onesweep_sort_config_static_selectorELNS0_4arch9wavefront6targetE1EEEvSE_
    .private_segment_fixed_size: 0
    .sgpr_count:     4
    .sgpr_spill_count: 0
    .symbol:         _ZN7rocprim17ROCPRIM_400000_NS6detail17trampoline_kernelINS0_14default_configENS1_35radix_sort_onesweep_config_selectorIfNS0_10empty_typeEEEZZNS1_29radix_sort_onesweep_iterationIS3_Lb0EPfS8_PS5_S9_mNS0_19identity_decomposerENS1_16block_id_wrapperIjLb0EEEEE10hipError_tT1_PNSt15iterator_traitsISE_E10value_typeET2_T3_PNSF_ISK_E10value_typeET4_T5_PSP_SQ_PNS1_23onesweep_lookback_stateEbbT6_jjT7_P12ihipStream_tbENKUlT_T0_SE_SJ_E_clIS8_S8_S9_S9_EEDaSX_SY_SE_SJ_EUlSX_E_NS1_11comp_targetILNS1_3genE5ELNS1_11target_archE942ELNS1_3gpuE9ELNS1_3repE0EEENS1_47radix_sort_onesweep_sort_config_static_selectorELNS0_4arch9wavefront6targetE1EEEvSE_.kd
    .uniform_work_group_size: 1
    .uses_dynamic_stack: false
    .vgpr_count:     0
    .vgpr_spill_count: 0
    .wavefront_size: 64
  - .agpr_count:     0
    .args:
      - .offset:         0
        .size:           88
        .value_kind:     by_value
    .group_segment_fixed_size: 0
    .kernarg_segment_align: 8
    .kernarg_segment_size: 88
    .language:       OpenCL C
    .language_version:
      - 2
      - 0
    .max_flat_workgroup_size: 512
    .name:           _ZN7rocprim17ROCPRIM_400000_NS6detail17trampoline_kernelINS0_14default_configENS1_35radix_sort_onesweep_config_selectorIfNS0_10empty_typeEEEZZNS1_29radix_sort_onesweep_iterationIS3_Lb0EPfS8_PS5_S9_mNS0_19identity_decomposerENS1_16block_id_wrapperIjLb0EEEEE10hipError_tT1_PNSt15iterator_traitsISE_E10value_typeET2_T3_PNSF_ISK_E10value_typeET4_T5_PSP_SQ_PNS1_23onesweep_lookback_stateEbbT6_jjT7_P12ihipStream_tbENKUlT_T0_SE_SJ_E_clIS8_S8_S9_S9_EEDaSX_SY_SE_SJ_EUlSX_E_NS1_11comp_targetILNS1_3genE2ELNS1_11target_archE906ELNS1_3gpuE6ELNS1_3repE0EEENS1_47radix_sort_onesweep_sort_config_static_selectorELNS0_4arch9wavefront6targetE1EEEvSE_
    .private_segment_fixed_size: 0
    .sgpr_count:     4
    .sgpr_spill_count: 0
    .symbol:         _ZN7rocprim17ROCPRIM_400000_NS6detail17trampoline_kernelINS0_14default_configENS1_35radix_sort_onesweep_config_selectorIfNS0_10empty_typeEEEZZNS1_29radix_sort_onesweep_iterationIS3_Lb0EPfS8_PS5_S9_mNS0_19identity_decomposerENS1_16block_id_wrapperIjLb0EEEEE10hipError_tT1_PNSt15iterator_traitsISE_E10value_typeET2_T3_PNSF_ISK_E10value_typeET4_T5_PSP_SQ_PNS1_23onesweep_lookback_stateEbbT6_jjT7_P12ihipStream_tbENKUlT_T0_SE_SJ_E_clIS8_S8_S9_S9_EEDaSX_SY_SE_SJ_EUlSX_E_NS1_11comp_targetILNS1_3genE2ELNS1_11target_archE906ELNS1_3gpuE6ELNS1_3repE0EEENS1_47radix_sort_onesweep_sort_config_static_selectorELNS0_4arch9wavefront6targetE1EEEvSE_.kd
    .uniform_work_group_size: 1
    .uses_dynamic_stack: false
    .vgpr_count:     0
    .vgpr_spill_count: 0
    .wavefront_size: 64
  - .agpr_count:     0
    .args:
      - .offset:         0
        .size:           88
        .value_kind:     by_value
      - .offset:         88
        .size:           4
        .value_kind:     hidden_block_count_x
      - .offset:         92
        .size:           4
        .value_kind:     hidden_block_count_y
      - .offset:         96
        .size:           4
        .value_kind:     hidden_block_count_z
      - .offset:         100
        .size:           2
        .value_kind:     hidden_group_size_x
      - .offset:         102
        .size:           2
        .value_kind:     hidden_group_size_y
      - .offset:         104
        .size:           2
        .value_kind:     hidden_group_size_z
      - .offset:         106
        .size:           2
        .value_kind:     hidden_remainder_x
      - .offset:         108
        .size:           2
        .value_kind:     hidden_remainder_y
      - .offset:         110
        .size:           2
        .value_kind:     hidden_remainder_z
      - .offset:         128
        .size:           8
        .value_kind:     hidden_global_offset_x
      - .offset:         136
        .size:           8
        .value_kind:     hidden_global_offset_y
      - .offset:         144
        .size:           8
        .value_kind:     hidden_global_offset_z
      - .offset:         152
        .size:           2
        .value_kind:     hidden_grid_dims
    .group_segment_fixed_size: 20552
    .kernarg_segment_align: 8
    .kernarg_segment_size: 344
    .language:       OpenCL C
    .language_version:
      - 2
      - 0
    .max_flat_workgroup_size: 1024
    .name:           _ZN7rocprim17ROCPRIM_400000_NS6detail17trampoline_kernelINS0_14default_configENS1_35radix_sort_onesweep_config_selectorIfNS0_10empty_typeEEEZZNS1_29radix_sort_onesweep_iterationIS3_Lb0EPfS8_PS5_S9_mNS0_19identity_decomposerENS1_16block_id_wrapperIjLb0EEEEE10hipError_tT1_PNSt15iterator_traitsISE_E10value_typeET2_T3_PNSF_ISK_E10value_typeET4_T5_PSP_SQ_PNS1_23onesweep_lookback_stateEbbT6_jjT7_P12ihipStream_tbENKUlT_T0_SE_SJ_E_clIS8_S8_S9_S9_EEDaSX_SY_SE_SJ_EUlSX_E_NS1_11comp_targetILNS1_3genE4ELNS1_11target_archE910ELNS1_3gpuE8ELNS1_3repE0EEENS1_47radix_sort_onesweep_sort_config_static_selectorELNS0_4arch9wavefront6targetE1EEEvSE_
    .private_segment_fixed_size: 0
    .sgpr_count:     35
    .sgpr_spill_count: 0
    .symbol:         _ZN7rocprim17ROCPRIM_400000_NS6detail17trampoline_kernelINS0_14default_configENS1_35radix_sort_onesweep_config_selectorIfNS0_10empty_typeEEEZZNS1_29radix_sort_onesweep_iterationIS3_Lb0EPfS8_PS5_S9_mNS0_19identity_decomposerENS1_16block_id_wrapperIjLb0EEEEE10hipError_tT1_PNSt15iterator_traitsISE_E10value_typeET2_T3_PNSF_ISK_E10value_typeET4_T5_PSP_SQ_PNS1_23onesweep_lookback_stateEbbT6_jjT7_P12ihipStream_tbENKUlT_T0_SE_SJ_E_clIS8_S8_S9_S9_EEDaSX_SY_SE_SJ_EUlSX_E_NS1_11comp_targetILNS1_3genE4ELNS1_11target_archE910ELNS1_3gpuE8ELNS1_3repE0EEENS1_47radix_sort_onesweep_sort_config_static_selectorELNS0_4arch9wavefront6targetE1EEEvSE_.kd
    .uniform_work_group_size: 1
    .uses_dynamic_stack: false
    .vgpr_count:     63
    .vgpr_spill_count: 0
    .wavefront_size: 64
  - .agpr_count:     0
    .args:
      - .offset:         0
        .size:           88
        .value_kind:     by_value
    .group_segment_fixed_size: 0
    .kernarg_segment_align: 8
    .kernarg_segment_size: 88
    .language:       OpenCL C
    .language_version:
      - 2
      - 0
    .max_flat_workgroup_size: 512
    .name:           _ZN7rocprim17ROCPRIM_400000_NS6detail17trampoline_kernelINS0_14default_configENS1_35radix_sort_onesweep_config_selectorIfNS0_10empty_typeEEEZZNS1_29radix_sort_onesweep_iterationIS3_Lb0EPfS8_PS5_S9_mNS0_19identity_decomposerENS1_16block_id_wrapperIjLb0EEEEE10hipError_tT1_PNSt15iterator_traitsISE_E10value_typeET2_T3_PNSF_ISK_E10value_typeET4_T5_PSP_SQ_PNS1_23onesweep_lookback_stateEbbT6_jjT7_P12ihipStream_tbENKUlT_T0_SE_SJ_E_clIS8_S8_S9_S9_EEDaSX_SY_SE_SJ_EUlSX_E_NS1_11comp_targetILNS1_3genE3ELNS1_11target_archE908ELNS1_3gpuE7ELNS1_3repE0EEENS1_47radix_sort_onesweep_sort_config_static_selectorELNS0_4arch9wavefront6targetE1EEEvSE_
    .private_segment_fixed_size: 0
    .sgpr_count:     4
    .sgpr_spill_count: 0
    .symbol:         _ZN7rocprim17ROCPRIM_400000_NS6detail17trampoline_kernelINS0_14default_configENS1_35radix_sort_onesweep_config_selectorIfNS0_10empty_typeEEEZZNS1_29radix_sort_onesweep_iterationIS3_Lb0EPfS8_PS5_S9_mNS0_19identity_decomposerENS1_16block_id_wrapperIjLb0EEEEE10hipError_tT1_PNSt15iterator_traitsISE_E10value_typeET2_T3_PNSF_ISK_E10value_typeET4_T5_PSP_SQ_PNS1_23onesweep_lookback_stateEbbT6_jjT7_P12ihipStream_tbENKUlT_T0_SE_SJ_E_clIS8_S8_S9_S9_EEDaSX_SY_SE_SJ_EUlSX_E_NS1_11comp_targetILNS1_3genE3ELNS1_11target_archE908ELNS1_3gpuE7ELNS1_3repE0EEENS1_47radix_sort_onesweep_sort_config_static_selectorELNS0_4arch9wavefront6targetE1EEEvSE_.kd
    .uniform_work_group_size: 1
    .uses_dynamic_stack: false
    .vgpr_count:     0
    .vgpr_spill_count: 0
    .wavefront_size: 64
  - .agpr_count:     0
    .args:
      - .offset:         0
        .size:           88
        .value_kind:     by_value
    .group_segment_fixed_size: 0
    .kernarg_segment_align: 8
    .kernarg_segment_size: 88
    .language:       OpenCL C
    .language_version:
      - 2
      - 0
    .max_flat_workgroup_size: 512
    .name:           _ZN7rocprim17ROCPRIM_400000_NS6detail17trampoline_kernelINS0_14default_configENS1_35radix_sort_onesweep_config_selectorIfNS0_10empty_typeEEEZZNS1_29radix_sort_onesweep_iterationIS3_Lb0EPfS8_PS5_S9_mNS0_19identity_decomposerENS1_16block_id_wrapperIjLb0EEEEE10hipError_tT1_PNSt15iterator_traitsISE_E10value_typeET2_T3_PNSF_ISK_E10value_typeET4_T5_PSP_SQ_PNS1_23onesweep_lookback_stateEbbT6_jjT7_P12ihipStream_tbENKUlT_T0_SE_SJ_E_clIS8_S8_S9_S9_EEDaSX_SY_SE_SJ_EUlSX_E_NS1_11comp_targetILNS1_3genE10ELNS1_11target_archE1201ELNS1_3gpuE5ELNS1_3repE0EEENS1_47radix_sort_onesweep_sort_config_static_selectorELNS0_4arch9wavefront6targetE1EEEvSE_
    .private_segment_fixed_size: 0
    .sgpr_count:     4
    .sgpr_spill_count: 0
    .symbol:         _ZN7rocprim17ROCPRIM_400000_NS6detail17trampoline_kernelINS0_14default_configENS1_35radix_sort_onesweep_config_selectorIfNS0_10empty_typeEEEZZNS1_29radix_sort_onesweep_iterationIS3_Lb0EPfS8_PS5_S9_mNS0_19identity_decomposerENS1_16block_id_wrapperIjLb0EEEEE10hipError_tT1_PNSt15iterator_traitsISE_E10value_typeET2_T3_PNSF_ISK_E10value_typeET4_T5_PSP_SQ_PNS1_23onesweep_lookback_stateEbbT6_jjT7_P12ihipStream_tbENKUlT_T0_SE_SJ_E_clIS8_S8_S9_S9_EEDaSX_SY_SE_SJ_EUlSX_E_NS1_11comp_targetILNS1_3genE10ELNS1_11target_archE1201ELNS1_3gpuE5ELNS1_3repE0EEENS1_47radix_sort_onesweep_sort_config_static_selectorELNS0_4arch9wavefront6targetE1EEEvSE_.kd
    .uniform_work_group_size: 1
    .uses_dynamic_stack: false
    .vgpr_count:     0
    .vgpr_spill_count: 0
    .wavefront_size: 64
  - .agpr_count:     0
    .args:
      - .offset:         0
        .size:           88
        .value_kind:     by_value
    .group_segment_fixed_size: 0
    .kernarg_segment_align: 8
    .kernarg_segment_size: 88
    .language:       OpenCL C
    .language_version:
      - 2
      - 0
    .max_flat_workgroup_size: 1024
    .name:           _ZN7rocprim17ROCPRIM_400000_NS6detail17trampoline_kernelINS0_14default_configENS1_35radix_sort_onesweep_config_selectorIfNS0_10empty_typeEEEZZNS1_29radix_sort_onesweep_iterationIS3_Lb0EPfS8_PS5_S9_mNS0_19identity_decomposerENS1_16block_id_wrapperIjLb0EEEEE10hipError_tT1_PNSt15iterator_traitsISE_E10value_typeET2_T3_PNSF_ISK_E10value_typeET4_T5_PSP_SQ_PNS1_23onesweep_lookback_stateEbbT6_jjT7_P12ihipStream_tbENKUlT_T0_SE_SJ_E_clIS8_S8_S9_S9_EEDaSX_SY_SE_SJ_EUlSX_E_NS1_11comp_targetILNS1_3genE9ELNS1_11target_archE1100ELNS1_3gpuE3ELNS1_3repE0EEENS1_47radix_sort_onesweep_sort_config_static_selectorELNS0_4arch9wavefront6targetE1EEEvSE_
    .private_segment_fixed_size: 0
    .sgpr_count:     4
    .sgpr_spill_count: 0
    .symbol:         _ZN7rocprim17ROCPRIM_400000_NS6detail17trampoline_kernelINS0_14default_configENS1_35radix_sort_onesweep_config_selectorIfNS0_10empty_typeEEEZZNS1_29radix_sort_onesweep_iterationIS3_Lb0EPfS8_PS5_S9_mNS0_19identity_decomposerENS1_16block_id_wrapperIjLb0EEEEE10hipError_tT1_PNSt15iterator_traitsISE_E10value_typeET2_T3_PNSF_ISK_E10value_typeET4_T5_PSP_SQ_PNS1_23onesweep_lookback_stateEbbT6_jjT7_P12ihipStream_tbENKUlT_T0_SE_SJ_E_clIS8_S8_S9_S9_EEDaSX_SY_SE_SJ_EUlSX_E_NS1_11comp_targetILNS1_3genE9ELNS1_11target_archE1100ELNS1_3gpuE3ELNS1_3repE0EEENS1_47radix_sort_onesweep_sort_config_static_selectorELNS0_4arch9wavefront6targetE1EEEvSE_.kd
    .uniform_work_group_size: 1
    .uses_dynamic_stack: false
    .vgpr_count:     0
    .vgpr_spill_count: 0
    .wavefront_size: 64
  - .agpr_count:     0
    .args:
      - .offset:         0
        .size:           88
        .value_kind:     by_value
    .group_segment_fixed_size: 0
    .kernarg_segment_align: 8
    .kernarg_segment_size: 88
    .language:       OpenCL C
    .language_version:
      - 2
      - 0
    .max_flat_workgroup_size: 1024
    .name:           _ZN7rocprim17ROCPRIM_400000_NS6detail17trampoline_kernelINS0_14default_configENS1_35radix_sort_onesweep_config_selectorIfNS0_10empty_typeEEEZZNS1_29radix_sort_onesweep_iterationIS3_Lb0EPfS8_PS5_S9_mNS0_19identity_decomposerENS1_16block_id_wrapperIjLb0EEEEE10hipError_tT1_PNSt15iterator_traitsISE_E10value_typeET2_T3_PNSF_ISK_E10value_typeET4_T5_PSP_SQ_PNS1_23onesweep_lookback_stateEbbT6_jjT7_P12ihipStream_tbENKUlT_T0_SE_SJ_E_clIS8_S8_S9_S9_EEDaSX_SY_SE_SJ_EUlSX_E_NS1_11comp_targetILNS1_3genE8ELNS1_11target_archE1030ELNS1_3gpuE2ELNS1_3repE0EEENS1_47radix_sort_onesweep_sort_config_static_selectorELNS0_4arch9wavefront6targetE1EEEvSE_
    .private_segment_fixed_size: 0
    .sgpr_count:     4
    .sgpr_spill_count: 0
    .symbol:         _ZN7rocprim17ROCPRIM_400000_NS6detail17trampoline_kernelINS0_14default_configENS1_35radix_sort_onesweep_config_selectorIfNS0_10empty_typeEEEZZNS1_29radix_sort_onesweep_iterationIS3_Lb0EPfS8_PS5_S9_mNS0_19identity_decomposerENS1_16block_id_wrapperIjLb0EEEEE10hipError_tT1_PNSt15iterator_traitsISE_E10value_typeET2_T3_PNSF_ISK_E10value_typeET4_T5_PSP_SQ_PNS1_23onesweep_lookback_stateEbbT6_jjT7_P12ihipStream_tbENKUlT_T0_SE_SJ_E_clIS8_S8_S9_S9_EEDaSX_SY_SE_SJ_EUlSX_E_NS1_11comp_targetILNS1_3genE8ELNS1_11target_archE1030ELNS1_3gpuE2ELNS1_3repE0EEENS1_47radix_sort_onesweep_sort_config_static_selectorELNS0_4arch9wavefront6targetE1EEEvSE_.kd
    .uniform_work_group_size: 1
    .uses_dynamic_stack: false
    .vgpr_count:     0
    .vgpr_spill_count: 0
    .wavefront_size: 64
  - .agpr_count:     0
    .args:
      - .offset:         0
        .size:           48
        .value_kind:     by_value
    .group_segment_fixed_size: 0
    .kernarg_segment_align: 8
    .kernarg_segment_size: 48
    .language:       OpenCL C
    .language_version:
      - 2
      - 0
    .max_flat_workgroup_size: 256
    .name:           _ZN7rocprim17ROCPRIM_400000_NS6detail17trampoline_kernelINS0_13kernel_configILj256ELj4ELj4294967295EEENS1_37radix_sort_block_sort_config_selectorIdNS0_10empty_typeEEEZNS1_21radix_sort_block_sortIS4_Lb0EPdS9_PS6_SA_NS0_19identity_decomposerEEE10hipError_tT1_T2_T3_T4_jRjT5_jjP12ihipStream_tbEUlT_E_NS1_11comp_targetILNS1_3genE0ELNS1_11target_archE4294967295ELNS1_3gpuE0ELNS1_3repE0EEENS1_44radix_sort_block_sort_config_static_selectorELNS0_4arch9wavefront6targetE1EEEvSD_
    .private_segment_fixed_size: 0
    .sgpr_count:     4
    .sgpr_spill_count: 0
    .symbol:         _ZN7rocprim17ROCPRIM_400000_NS6detail17trampoline_kernelINS0_13kernel_configILj256ELj4ELj4294967295EEENS1_37radix_sort_block_sort_config_selectorIdNS0_10empty_typeEEEZNS1_21radix_sort_block_sortIS4_Lb0EPdS9_PS6_SA_NS0_19identity_decomposerEEE10hipError_tT1_T2_T3_T4_jRjT5_jjP12ihipStream_tbEUlT_E_NS1_11comp_targetILNS1_3genE0ELNS1_11target_archE4294967295ELNS1_3gpuE0ELNS1_3repE0EEENS1_44radix_sort_block_sort_config_static_selectorELNS0_4arch9wavefront6targetE1EEEvSD_.kd
    .uniform_work_group_size: 1
    .uses_dynamic_stack: false
    .vgpr_count:     0
    .vgpr_spill_count: 0
    .wavefront_size: 64
  - .agpr_count:     0
    .args:
      - .offset:         0
        .size:           48
        .value_kind:     by_value
    .group_segment_fixed_size: 0
    .kernarg_segment_align: 8
    .kernarg_segment_size: 48
    .language:       OpenCL C
    .language_version:
      - 2
      - 0
    .max_flat_workgroup_size: 256
    .name:           _ZN7rocprim17ROCPRIM_400000_NS6detail17trampoline_kernelINS0_13kernel_configILj256ELj4ELj4294967295EEENS1_37radix_sort_block_sort_config_selectorIdNS0_10empty_typeEEEZNS1_21radix_sort_block_sortIS4_Lb0EPdS9_PS6_SA_NS0_19identity_decomposerEEE10hipError_tT1_T2_T3_T4_jRjT5_jjP12ihipStream_tbEUlT_E_NS1_11comp_targetILNS1_3genE5ELNS1_11target_archE942ELNS1_3gpuE9ELNS1_3repE0EEENS1_44radix_sort_block_sort_config_static_selectorELNS0_4arch9wavefront6targetE1EEEvSD_
    .private_segment_fixed_size: 0
    .sgpr_count:     4
    .sgpr_spill_count: 0
    .symbol:         _ZN7rocprim17ROCPRIM_400000_NS6detail17trampoline_kernelINS0_13kernel_configILj256ELj4ELj4294967295EEENS1_37radix_sort_block_sort_config_selectorIdNS0_10empty_typeEEEZNS1_21radix_sort_block_sortIS4_Lb0EPdS9_PS6_SA_NS0_19identity_decomposerEEE10hipError_tT1_T2_T3_T4_jRjT5_jjP12ihipStream_tbEUlT_E_NS1_11comp_targetILNS1_3genE5ELNS1_11target_archE942ELNS1_3gpuE9ELNS1_3repE0EEENS1_44radix_sort_block_sort_config_static_selectorELNS0_4arch9wavefront6targetE1EEEvSD_.kd
    .uniform_work_group_size: 1
    .uses_dynamic_stack: false
    .vgpr_count:     0
    .vgpr_spill_count: 0
    .wavefront_size: 64
  - .agpr_count:     0
    .args:
      - .offset:         0
        .size:           48
        .value_kind:     by_value
      - .offset:         48
        .size:           4
        .value_kind:     hidden_block_count_x
      - .offset:         52
        .size:           4
        .value_kind:     hidden_block_count_y
      - .offset:         56
        .size:           4
        .value_kind:     hidden_block_count_z
      - .offset:         60
        .size:           2
        .value_kind:     hidden_group_size_x
      - .offset:         62
        .size:           2
        .value_kind:     hidden_group_size_y
      - .offset:         64
        .size:           2
        .value_kind:     hidden_group_size_z
      - .offset:         66
        .size:           2
        .value_kind:     hidden_remainder_x
      - .offset:         68
        .size:           2
        .value_kind:     hidden_remainder_y
      - .offset:         70
        .size:           2
        .value_kind:     hidden_remainder_z
      - .offset:         88
        .size:           8
        .value_kind:     hidden_global_offset_x
      - .offset:         96
        .size:           8
        .value_kind:     hidden_global_offset_y
      - .offset:         104
        .size:           8
        .value_kind:     hidden_global_offset_z
      - .offset:         112
        .size:           2
        .value_kind:     hidden_grid_dims
    .group_segment_fixed_size: 8192
    .kernarg_segment_align: 8
    .kernarg_segment_size: 304
    .language:       OpenCL C
    .language_version:
      - 2
      - 0
    .max_flat_workgroup_size: 256
    .name:           _ZN7rocprim17ROCPRIM_400000_NS6detail17trampoline_kernelINS0_13kernel_configILj256ELj4ELj4294967295EEENS1_37radix_sort_block_sort_config_selectorIdNS0_10empty_typeEEEZNS1_21radix_sort_block_sortIS4_Lb0EPdS9_PS6_SA_NS0_19identity_decomposerEEE10hipError_tT1_T2_T3_T4_jRjT5_jjP12ihipStream_tbEUlT_E_NS1_11comp_targetILNS1_3genE4ELNS1_11target_archE910ELNS1_3gpuE8ELNS1_3repE0EEENS1_44radix_sort_block_sort_config_static_selectorELNS0_4arch9wavefront6targetE1EEEvSD_
    .private_segment_fixed_size: 0
    .sgpr_count:     50
    .sgpr_spill_count: 0
    .symbol:         _ZN7rocprim17ROCPRIM_400000_NS6detail17trampoline_kernelINS0_13kernel_configILj256ELj4ELj4294967295EEENS1_37radix_sort_block_sort_config_selectorIdNS0_10empty_typeEEEZNS1_21radix_sort_block_sortIS4_Lb0EPdS9_PS6_SA_NS0_19identity_decomposerEEE10hipError_tT1_T2_T3_T4_jRjT5_jjP12ihipStream_tbEUlT_E_NS1_11comp_targetILNS1_3genE4ELNS1_11target_archE910ELNS1_3gpuE8ELNS1_3repE0EEENS1_44radix_sort_block_sort_config_static_selectorELNS0_4arch9wavefront6targetE1EEEvSD_.kd
    .uniform_work_group_size: 1
    .uses_dynamic_stack: false
    .vgpr_count:     42
    .vgpr_spill_count: 0
    .wavefront_size: 64
  - .agpr_count:     0
    .args:
      - .offset:         0
        .size:           48
        .value_kind:     by_value
    .group_segment_fixed_size: 0
    .kernarg_segment_align: 8
    .kernarg_segment_size: 48
    .language:       OpenCL C
    .language_version:
      - 2
      - 0
    .max_flat_workgroup_size: 256
    .name:           _ZN7rocprim17ROCPRIM_400000_NS6detail17trampoline_kernelINS0_13kernel_configILj256ELj4ELj4294967295EEENS1_37radix_sort_block_sort_config_selectorIdNS0_10empty_typeEEEZNS1_21radix_sort_block_sortIS4_Lb0EPdS9_PS6_SA_NS0_19identity_decomposerEEE10hipError_tT1_T2_T3_T4_jRjT5_jjP12ihipStream_tbEUlT_E_NS1_11comp_targetILNS1_3genE3ELNS1_11target_archE908ELNS1_3gpuE7ELNS1_3repE0EEENS1_44radix_sort_block_sort_config_static_selectorELNS0_4arch9wavefront6targetE1EEEvSD_
    .private_segment_fixed_size: 0
    .sgpr_count:     4
    .sgpr_spill_count: 0
    .symbol:         _ZN7rocprim17ROCPRIM_400000_NS6detail17trampoline_kernelINS0_13kernel_configILj256ELj4ELj4294967295EEENS1_37radix_sort_block_sort_config_selectorIdNS0_10empty_typeEEEZNS1_21radix_sort_block_sortIS4_Lb0EPdS9_PS6_SA_NS0_19identity_decomposerEEE10hipError_tT1_T2_T3_T4_jRjT5_jjP12ihipStream_tbEUlT_E_NS1_11comp_targetILNS1_3genE3ELNS1_11target_archE908ELNS1_3gpuE7ELNS1_3repE0EEENS1_44radix_sort_block_sort_config_static_selectorELNS0_4arch9wavefront6targetE1EEEvSD_.kd
    .uniform_work_group_size: 1
    .uses_dynamic_stack: false
    .vgpr_count:     0
    .vgpr_spill_count: 0
    .wavefront_size: 64
  - .agpr_count:     0
    .args:
      - .offset:         0
        .size:           48
        .value_kind:     by_value
    .group_segment_fixed_size: 0
    .kernarg_segment_align: 8
    .kernarg_segment_size: 48
    .language:       OpenCL C
    .language_version:
      - 2
      - 0
    .max_flat_workgroup_size: 256
    .name:           _ZN7rocprim17ROCPRIM_400000_NS6detail17trampoline_kernelINS0_13kernel_configILj256ELj4ELj4294967295EEENS1_37radix_sort_block_sort_config_selectorIdNS0_10empty_typeEEEZNS1_21radix_sort_block_sortIS4_Lb0EPdS9_PS6_SA_NS0_19identity_decomposerEEE10hipError_tT1_T2_T3_T4_jRjT5_jjP12ihipStream_tbEUlT_E_NS1_11comp_targetILNS1_3genE2ELNS1_11target_archE906ELNS1_3gpuE6ELNS1_3repE0EEENS1_44radix_sort_block_sort_config_static_selectorELNS0_4arch9wavefront6targetE1EEEvSD_
    .private_segment_fixed_size: 0
    .sgpr_count:     4
    .sgpr_spill_count: 0
    .symbol:         _ZN7rocprim17ROCPRIM_400000_NS6detail17trampoline_kernelINS0_13kernel_configILj256ELj4ELj4294967295EEENS1_37radix_sort_block_sort_config_selectorIdNS0_10empty_typeEEEZNS1_21radix_sort_block_sortIS4_Lb0EPdS9_PS6_SA_NS0_19identity_decomposerEEE10hipError_tT1_T2_T3_T4_jRjT5_jjP12ihipStream_tbEUlT_E_NS1_11comp_targetILNS1_3genE2ELNS1_11target_archE906ELNS1_3gpuE6ELNS1_3repE0EEENS1_44radix_sort_block_sort_config_static_selectorELNS0_4arch9wavefront6targetE1EEEvSD_.kd
    .uniform_work_group_size: 1
    .uses_dynamic_stack: false
    .vgpr_count:     0
    .vgpr_spill_count: 0
    .wavefront_size: 64
  - .agpr_count:     0
    .args:
      - .offset:         0
        .size:           48
        .value_kind:     by_value
    .group_segment_fixed_size: 0
    .kernarg_segment_align: 8
    .kernarg_segment_size: 48
    .language:       OpenCL C
    .language_version:
      - 2
      - 0
    .max_flat_workgroup_size: 256
    .name:           _ZN7rocprim17ROCPRIM_400000_NS6detail17trampoline_kernelINS0_13kernel_configILj256ELj4ELj4294967295EEENS1_37radix_sort_block_sort_config_selectorIdNS0_10empty_typeEEEZNS1_21radix_sort_block_sortIS4_Lb0EPdS9_PS6_SA_NS0_19identity_decomposerEEE10hipError_tT1_T2_T3_T4_jRjT5_jjP12ihipStream_tbEUlT_E_NS1_11comp_targetILNS1_3genE10ELNS1_11target_archE1201ELNS1_3gpuE5ELNS1_3repE0EEENS1_44radix_sort_block_sort_config_static_selectorELNS0_4arch9wavefront6targetE1EEEvSD_
    .private_segment_fixed_size: 0
    .sgpr_count:     4
    .sgpr_spill_count: 0
    .symbol:         _ZN7rocprim17ROCPRIM_400000_NS6detail17trampoline_kernelINS0_13kernel_configILj256ELj4ELj4294967295EEENS1_37radix_sort_block_sort_config_selectorIdNS0_10empty_typeEEEZNS1_21radix_sort_block_sortIS4_Lb0EPdS9_PS6_SA_NS0_19identity_decomposerEEE10hipError_tT1_T2_T3_T4_jRjT5_jjP12ihipStream_tbEUlT_E_NS1_11comp_targetILNS1_3genE10ELNS1_11target_archE1201ELNS1_3gpuE5ELNS1_3repE0EEENS1_44radix_sort_block_sort_config_static_selectorELNS0_4arch9wavefront6targetE1EEEvSD_.kd
    .uniform_work_group_size: 1
    .uses_dynamic_stack: false
    .vgpr_count:     0
    .vgpr_spill_count: 0
    .wavefront_size: 64
  - .agpr_count:     0
    .args:
      - .offset:         0
        .size:           48
        .value_kind:     by_value
    .group_segment_fixed_size: 0
    .kernarg_segment_align: 8
    .kernarg_segment_size: 48
    .language:       OpenCL C
    .language_version:
      - 2
      - 0
    .max_flat_workgroup_size: 256
    .name:           _ZN7rocprim17ROCPRIM_400000_NS6detail17trampoline_kernelINS0_13kernel_configILj256ELj4ELj4294967295EEENS1_37radix_sort_block_sort_config_selectorIdNS0_10empty_typeEEEZNS1_21radix_sort_block_sortIS4_Lb0EPdS9_PS6_SA_NS0_19identity_decomposerEEE10hipError_tT1_T2_T3_T4_jRjT5_jjP12ihipStream_tbEUlT_E_NS1_11comp_targetILNS1_3genE10ELNS1_11target_archE1200ELNS1_3gpuE4ELNS1_3repE0EEENS1_44radix_sort_block_sort_config_static_selectorELNS0_4arch9wavefront6targetE1EEEvSD_
    .private_segment_fixed_size: 0
    .sgpr_count:     4
    .sgpr_spill_count: 0
    .symbol:         _ZN7rocprim17ROCPRIM_400000_NS6detail17trampoline_kernelINS0_13kernel_configILj256ELj4ELj4294967295EEENS1_37radix_sort_block_sort_config_selectorIdNS0_10empty_typeEEEZNS1_21radix_sort_block_sortIS4_Lb0EPdS9_PS6_SA_NS0_19identity_decomposerEEE10hipError_tT1_T2_T3_T4_jRjT5_jjP12ihipStream_tbEUlT_E_NS1_11comp_targetILNS1_3genE10ELNS1_11target_archE1200ELNS1_3gpuE4ELNS1_3repE0EEENS1_44radix_sort_block_sort_config_static_selectorELNS0_4arch9wavefront6targetE1EEEvSD_.kd
    .uniform_work_group_size: 1
    .uses_dynamic_stack: false
    .vgpr_count:     0
    .vgpr_spill_count: 0
    .wavefront_size: 64
  - .agpr_count:     0
    .args:
      - .offset:         0
        .size:           48
        .value_kind:     by_value
    .group_segment_fixed_size: 0
    .kernarg_segment_align: 8
    .kernarg_segment_size: 48
    .language:       OpenCL C
    .language_version:
      - 2
      - 0
    .max_flat_workgroup_size: 256
    .name:           _ZN7rocprim17ROCPRIM_400000_NS6detail17trampoline_kernelINS0_13kernel_configILj256ELj4ELj4294967295EEENS1_37radix_sort_block_sort_config_selectorIdNS0_10empty_typeEEEZNS1_21radix_sort_block_sortIS4_Lb0EPdS9_PS6_SA_NS0_19identity_decomposerEEE10hipError_tT1_T2_T3_T4_jRjT5_jjP12ihipStream_tbEUlT_E_NS1_11comp_targetILNS1_3genE9ELNS1_11target_archE1100ELNS1_3gpuE3ELNS1_3repE0EEENS1_44radix_sort_block_sort_config_static_selectorELNS0_4arch9wavefront6targetE1EEEvSD_
    .private_segment_fixed_size: 0
    .sgpr_count:     4
    .sgpr_spill_count: 0
    .symbol:         _ZN7rocprim17ROCPRIM_400000_NS6detail17trampoline_kernelINS0_13kernel_configILj256ELj4ELj4294967295EEENS1_37radix_sort_block_sort_config_selectorIdNS0_10empty_typeEEEZNS1_21radix_sort_block_sortIS4_Lb0EPdS9_PS6_SA_NS0_19identity_decomposerEEE10hipError_tT1_T2_T3_T4_jRjT5_jjP12ihipStream_tbEUlT_E_NS1_11comp_targetILNS1_3genE9ELNS1_11target_archE1100ELNS1_3gpuE3ELNS1_3repE0EEENS1_44radix_sort_block_sort_config_static_selectorELNS0_4arch9wavefront6targetE1EEEvSD_.kd
    .uniform_work_group_size: 1
    .uses_dynamic_stack: false
    .vgpr_count:     0
    .vgpr_spill_count: 0
    .wavefront_size: 64
  - .agpr_count:     0
    .args:
      - .offset:         0
        .size:           48
        .value_kind:     by_value
    .group_segment_fixed_size: 0
    .kernarg_segment_align: 8
    .kernarg_segment_size: 48
    .language:       OpenCL C
    .language_version:
      - 2
      - 0
    .max_flat_workgroup_size: 256
    .name:           _ZN7rocprim17ROCPRIM_400000_NS6detail17trampoline_kernelINS0_13kernel_configILj256ELj4ELj4294967295EEENS1_37radix_sort_block_sort_config_selectorIdNS0_10empty_typeEEEZNS1_21radix_sort_block_sortIS4_Lb0EPdS9_PS6_SA_NS0_19identity_decomposerEEE10hipError_tT1_T2_T3_T4_jRjT5_jjP12ihipStream_tbEUlT_E_NS1_11comp_targetILNS1_3genE8ELNS1_11target_archE1030ELNS1_3gpuE2ELNS1_3repE0EEENS1_44radix_sort_block_sort_config_static_selectorELNS0_4arch9wavefront6targetE1EEEvSD_
    .private_segment_fixed_size: 0
    .sgpr_count:     4
    .sgpr_spill_count: 0
    .symbol:         _ZN7rocprim17ROCPRIM_400000_NS6detail17trampoline_kernelINS0_13kernel_configILj256ELj4ELj4294967295EEENS1_37radix_sort_block_sort_config_selectorIdNS0_10empty_typeEEEZNS1_21radix_sort_block_sortIS4_Lb0EPdS9_PS6_SA_NS0_19identity_decomposerEEE10hipError_tT1_T2_T3_T4_jRjT5_jjP12ihipStream_tbEUlT_E_NS1_11comp_targetILNS1_3genE8ELNS1_11target_archE1030ELNS1_3gpuE2ELNS1_3repE0EEENS1_44radix_sort_block_sort_config_static_selectorELNS0_4arch9wavefront6targetE1EEEvSD_.kd
    .uniform_work_group_size: 1
    .uses_dynamic_stack: false
    .vgpr_count:     0
    .vgpr_spill_count: 0
    .wavefront_size: 64
  - .agpr_count:     0
    .args:           []
    .group_segment_fixed_size: 0
    .kernarg_segment_align: 4
    .kernarg_segment_size: 0
    .language:       OpenCL C
    .language_version:
      - 2
      - 0
    .max_flat_workgroup_size: 1024
    .name:           _ZN7rocprim17ROCPRIM_400000_NS6detail44device_merge_sort_compile_time_verifier_archINS1_11comp_targetILNS1_3genE0ELNS1_11target_archE4294967295ELNS1_3gpuE0ELNS1_3repE0EEES8_NS1_28merge_sort_block_sort_configILj256ELj4ELNS0_20block_sort_algorithmE0EEENS0_14default_configENS1_37merge_sort_block_sort_config_selectorIdNS0_10empty_typeEEENS1_38merge_sort_block_merge_config_selectorIdSE_EEEEvv
    .private_segment_fixed_size: 0
    .sgpr_count:     4
    .sgpr_spill_count: 0
    .symbol:         _ZN7rocprim17ROCPRIM_400000_NS6detail44device_merge_sort_compile_time_verifier_archINS1_11comp_targetILNS1_3genE0ELNS1_11target_archE4294967295ELNS1_3gpuE0ELNS1_3repE0EEES8_NS1_28merge_sort_block_sort_configILj256ELj4ELNS0_20block_sort_algorithmE0EEENS0_14default_configENS1_37merge_sort_block_sort_config_selectorIdNS0_10empty_typeEEENS1_38merge_sort_block_merge_config_selectorIdSE_EEEEvv.kd
    .uniform_work_group_size: 1
    .uses_dynamic_stack: false
    .vgpr_count:     0
    .vgpr_spill_count: 0
    .wavefront_size: 64
  - .agpr_count:     0
    .args:           []
    .group_segment_fixed_size: 0
    .kernarg_segment_align: 4
    .kernarg_segment_size: 0
    .language:       OpenCL C
    .language_version:
      - 2
      - 0
    .max_flat_workgroup_size: 1024
    .name:           _ZN7rocprim17ROCPRIM_400000_NS6detail44device_merge_sort_compile_time_verifier_archINS1_11comp_targetILNS1_3genE5ELNS1_11target_archE942ELNS1_3gpuE9ELNS1_3repE0EEES8_NS1_28merge_sort_block_sort_configILj256ELj4ELNS0_20block_sort_algorithmE0EEENS0_14default_configENS1_37merge_sort_block_sort_config_selectorIdNS0_10empty_typeEEENS1_38merge_sort_block_merge_config_selectorIdSE_EEEEvv
    .private_segment_fixed_size: 0
    .sgpr_count:     4
    .sgpr_spill_count: 0
    .symbol:         _ZN7rocprim17ROCPRIM_400000_NS6detail44device_merge_sort_compile_time_verifier_archINS1_11comp_targetILNS1_3genE5ELNS1_11target_archE942ELNS1_3gpuE9ELNS1_3repE0EEES8_NS1_28merge_sort_block_sort_configILj256ELj4ELNS0_20block_sort_algorithmE0EEENS0_14default_configENS1_37merge_sort_block_sort_config_selectorIdNS0_10empty_typeEEENS1_38merge_sort_block_merge_config_selectorIdSE_EEEEvv.kd
    .uniform_work_group_size: 1
    .uses_dynamic_stack: false
    .vgpr_count:     0
    .vgpr_spill_count: 0
    .wavefront_size: 64
  - .agpr_count:     0
    .args:           []
    .group_segment_fixed_size: 0
    .kernarg_segment_align: 4
    .kernarg_segment_size: 0
    .language:       OpenCL C
    .language_version:
      - 2
      - 0
    .max_flat_workgroup_size: 1024
    .name:           _ZN7rocprim17ROCPRIM_400000_NS6detail44device_merge_sort_compile_time_verifier_archINS1_11comp_targetILNS1_3genE4ELNS1_11target_archE910ELNS1_3gpuE8ELNS1_3repE0EEES8_NS1_28merge_sort_block_sort_configILj256ELj4ELNS0_20block_sort_algorithmE0EEENS0_14default_configENS1_37merge_sort_block_sort_config_selectorIdNS0_10empty_typeEEENS1_38merge_sort_block_merge_config_selectorIdSE_EEEEvv
    .private_segment_fixed_size: 0
    .sgpr_count:     4
    .sgpr_spill_count: 0
    .symbol:         _ZN7rocprim17ROCPRIM_400000_NS6detail44device_merge_sort_compile_time_verifier_archINS1_11comp_targetILNS1_3genE4ELNS1_11target_archE910ELNS1_3gpuE8ELNS1_3repE0EEES8_NS1_28merge_sort_block_sort_configILj256ELj4ELNS0_20block_sort_algorithmE0EEENS0_14default_configENS1_37merge_sort_block_sort_config_selectorIdNS0_10empty_typeEEENS1_38merge_sort_block_merge_config_selectorIdSE_EEEEvv.kd
    .uniform_work_group_size: 1
    .uses_dynamic_stack: false
    .vgpr_count:     0
    .vgpr_spill_count: 0
    .wavefront_size: 64
  - .agpr_count:     0
    .args:           []
    .group_segment_fixed_size: 0
    .kernarg_segment_align: 4
    .kernarg_segment_size: 0
    .language:       OpenCL C
    .language_version:
      - 2
      - 0
    .max_flat_workgroup_size: 1024
    .name:           _ZN7rocprim17ROCPRIM_400000_NS6detail44device_merge_sort_compile_time_verifier_archINS1_11comp_targetILNS1_3genE3ELNS1_11target_archE908ELNS1_3gpuE7ELNS1_3repE0EEES8_NS1_28merge_sort_block_sort_configILj256ELj4ELNS0_20block_sort_algorithmE0EEENS0_14default_configENS1_37merge_sort_block_sort_config_selectorIdNS0_10empty_typeEEENS1_38merge_sort_block_merge_config_selectorIdSE_EEEEvv
    .private_segment_fixed_size: 0
    .sgpr_count:     4
    .sgpr_spill_count: 0
    .symbol:         _ZN7rocprim17ROCPRIM_400000_NS6detail44device_merge_sort_compile_time_verifier_archINS1_11comp_targetILNS1_3genE3ELNS1_11target_archE908ELNS1_3gpuE7ELNS1_3repE0EEES8_NS1_28merge_sort_block_sort_configILj256ELj4ELNS0_20block_sort_algorithmE0EEENS0_14default_configENS1_37merge_sort_block_sort_config_selectorIdNS0_10empty_typeEEENS1_38merge_sort_block_merge_config_selectorIdSE_EEEEvv.kd
    .uniform_work_group_size: 1
    .uses_dynamic_stack: false
    .vgpr_count:     0
    .vgpr_spill_count: 0
    .wavefront_size: 64
  - .agpr_count:     0
    .args:           []
    .group_segment_fixed_size: 0
    .kernarg_segment_align: 4
    .kernarg_segment_size: 0
    .language:       OpenCL C
    .language_version:
      - 2
      - 0
    .max_flat_workgroup_size: 1024
    .name:           _ZN7rocprim17ROCPRIM_400000_NS6detail44device_merge_sort_compile_time_verifier_archINS1_11comp_targetILNS1_3genE2ELNS1_11target_archE906ELNS1_3gpuE6ELNS1_3repE0EEES8_NS1_28merge_sort_block_sort_configILj256ELj4ELNS0_20block_sort_algorithmE0EEENS0_14default_configENS1_37merge_sort_block_sort_config_selectorIdNS0_10empty_typeEEENS1_38merge_sort_block_merge_config_selectorIdSE_EEEEvv
    .private_segment_fixed_size: 0
    .sgpr_count:     4
    .sgpr_spill_count: 0
    .symbol:         _ZN7rocprim17ROCPRIM_400000_NS6detail44device_merge_sort_compile_time_verifier_archINS1_11comp_targetILNS1_3genE2ELNS1_11target_archE906ELNS1_3gpuE6ELNS1_3repE0EEES8_NS1_28merge_sort_block_sort_configILj256ELj4ELNS0_20block_sort_algorithmE0EEENS0_14default_configENS1_37merge_sort_block_sort_config_selectorIdNS0_10empty_typeEEENS1_38merge_sort_block_merge_config_selectorIdSE_EEEEvv.kd
    .uniform_work_group_size: 1
    .uses_dynamic_stack: false
    .vgpr_count:     0
    .vgpr_spill_count: 0
    .wavefront_size: 64
  - .agpr_count:     0
    .args:           []
    .group_segment_fixed_size: 0
    .kernarg_segment_align: 4
    .kernarg_segment_size: 0
    .language:       OpenCL C
    .language_version:
      - 2
      - 0
    .max_flat_workgroup_size: 1024
    .name:           _ZN7rocprim17ROCPRIM_400000_NS6detail44device_merge_sort_compile_time_verifier_archINS1_11comp_targetILNS1_3genE10ELNS1_11target_archE1201ELNS1_3gpuE5ELNS1_3repE0EEES8_NS1_28merge_sort_block_sort_configILj256ELj4ELNS0_20block_sort_algorithmE0EEENS0_14default_configENS1_37merge_sort_block_sort_config_selectorIdNS0_10empty_typeEEENS1_38merge_sort_block_merge_config_selectorIdSE_EEEEvv
    .private_segment_fixed_size: 0
    .sgpr_count:     4
    .sgpr_spill_count: 0
    .symbol:         _ZN7rocprim17ROCPRIM_400000_NS6detail44device_merge_sort_compile_time_verifier_archINS1_11comp_targetILNS1_3genE10ELNS1_11target_archE1201ELNS1_3gpuE5ELNS1_3repE0EEES8_NS1_28merge_sort_block_sort_configILj256ELj4ELNS0_20block_sort_algorithmE0EEENS0_14default_configENS1_37merge_sort_block_sort_config_selectorIdNS0_10empty_typeEEENS1_38merge_sort_block_merge_config_selectorIdSE_EEEEvv.kd
    .uniform_work_group_size: 1
    .uses_dynamic_stack: false
    .vgpr_count:     0
    .vgpr_spill_count: 0
    .wavefront_size: 64
  - .agpr_count:     0
    .args:           []
    .group_segment_fixed_size: 0
    .kernarg_segment_align: 4
    .kernarg_segment_size: 0
    .language:       OpenCL C
    .language_version:
      - 2
      - 0
    .max_flat_workgroup_size: 1024
    .name:           _ZN7rocprim17ROCPRIM_400000_NS6detail44device_merge_sort_compile_time_verifier_archINS1_11comp_targetILNS1_3genE10ELNS1_11target_archE1200ELNS1_3gpuE4ELNS1_3repE0EEENS3_ILS4_10ELS5_1201ELS6_5ELS7_0EEENS1_28merge_sort_block_sort_configILj256ELj4ELNS0_20block_sort_algorithmE0EEENS0_14default_configENS1_37merge_sort_block_sort_config_selectorIdNS0_10empty_typeEEENS1_38merge_sort_block_merge_config_selectorIdSF_EEEEvv
    .private_segment_fixed_size: 0
    .sgpr_count:     4
    .sgpr_spill_count: 0
    .symbol:         _ZN7rocprim17ROCPRIM_400000_NS6detail44device_merge_sort_compile_time_verifier_archINS1_11comp_targetILNS1_3genE10ELNS1_11target_archE1200ELNS1_3gpuE4ELNS1_3repE0EEENS3_ILS4_10ELS5_1201ELS6_5ELS7_0EEENS1_28merge_sort_block_sort_configILj256ELj4ELNS0_20block_sort_algorithmE0EEENS0_14default_configENS1_37merge_sort_block_sort_config_selectorIdNS0_10empty_typeEEENS1_38merge_sort_block_merge_config_selectorIdSF_EEEEvv.kd
    .uniform_work_group_size: 1
    .uses_dynamic_stack: false
    .vgpr_count:     0
    .vgpr_spill_count: 0
    .wavefront_size: 64
  - .agpr_count:     0
    .args:           []
    .group_segment_fixed_size: 0
    .kernarg_segment_align: 4
    .kernarg_segment_size: 0
    .language:       OpenCL C
    .language_version:
      - 2
      - 0
    .max_flat_workgroup_size: 1024
    .name:           _ZN7rocprim17ROCPRIM_400000_NS6detail44device_merge_sort_compile_time_verifier_archINS1_11comp_targetILNS1_3genE9ELNS1_11target_archE1100ELNS1_3gpuE3ELNS1_3repE0EEES8_NS1_28merge_sort_block_sort_configILj256ELj4ELNS0_20block_sort_algorithmE0EEENS0_14default_configENS1_37merge_sort_block_sort_config_selectorIdNS0_10empty_typeEEENS1_38merge_sort_block_merge_config_selectorIdSE_EEEEvv
    .private_segment_fixed_size: 0
    .sgpr_count:     4
    .sgpr_spill_count: 0
    .symbol:         _ZN7rocprim17ROCPRIM_400000_NS6detail44device_merge_sort_compile_time_verifier_archINS1_11comp_targetILNS1_3genE9ELNS1_11target_archE1100ELNS1_3gpuE3ELNS1_3repE0EEES8_NS1_28merge_sort_block_sort_configILj256ELj4ELNS0_20block_sort_algorithmE0EEENS0_14default_configENS1_37merge_sort_block_sort_config_selectorIdNS0_10empty_typeEEENS1_38merge_sort_block_merge_config_selectorIdSE_EEEEvv.kd
    .uniform_work_group_size: 1
    .uses_dynamic_stack: false
    .vgpr_count:     0
    .vgpr_spill_count: 0
    .wavefront_size: 64
  - .agpr_count:     0
    .args:           []
    .group_segment_fixed_size: 0
    .kernarg_segment_align: 4
    .kernarg_segment_size: 0
    .language:       OpenCL C
    .language_version:
      - 2
      - 0
    .max_flat_workgroup_size: 1024
    .name:           _ZN7rocprim17ROCPRIM_400000_NS6detail44device_merge_sort_compile_time_verifier_archINS1_11comp_targetILNS1_3genE8ELNS1_11target_archE1030ELNS1_3gpuE2ELNS1_3repE0EEES8_NS1_28merge_sort_block_sort_configILj256ELj4ELNS0_20block_sort_algorithmE0EEENS0_14default_configENS1_37merge_sort_block_sort_config_selectorIdNS0_10empty_typeEEENS1_38merge_sort_block_merge_config_selectorIdSE_EEEEvv
    .private_segment_fixed_size: 0
    .sgpr_count:     4
    .sgpr_spill_count: 0
    .symbol:         _ZN7rocprim17ROCPRIM_400000_NS6detail44device_merge_sort_compile_time_verifier_archINS1_11comp_targetILNS1_3genE8ELNS1_11target_archE1030ELNS1_3gpuE2ELNS1_3repE0EEES8_NS1_28merge_sort_block_sort_configILj256ELj4ELNS0_20block_sort_algorithmE0EEENS0_14default_configENS1_37merge_sort_block_sort_config_selectorIdNS0_10empty_typeEEENS1_38merge_sort_block_merge_config_selectorIdSE_EEEEvv.kd
    .uniform_work_group_size: 1
    .uses_dynamic_stack: false
    .vgpr_count:     0
    .vgpr_spill_count: 0
    .wavefront_size: 64
  - .agpr_count:     0
    .args:
      - .offset:         0
        .size:           40
        .value_kind:     by_value
    .group_segment_fixed_size: 0
    .kernarg_segment_align: 8
    .kernarg_segment_size: 40
    .language:       OpenCL C
    .language_version:
      - 2
      - 0
    .max_flat_workgroup_size: 128
    .name:           _ZN7rocprim17ROCPRIM_400000_NS6detail17trampoline_kernelINS0_14default_configENS1_38merge_sort_block_merge_config_selectorIdNS0_10empty_typeEEEZZNS1_27merge_sort_block_merge_implIS3_PdPS5_jNS1_19radix_merge_compareILb0ELb0EdNS0_19identity_decomposerEEEEE10hipError_tT0_T1_T2_jT3_P12ihipStream_tbPNSt15iterator_traitsISE_E10value_typeEPNSK_ISF_E10value_typeEPSG_NS1_7vsmem_tEENKUlT_SE_SF_SG_E_clIS8_S8_S9_S9_EESD_ST_SE_SF_SG_EUlST_E_NS1_11comp_targetILNS1_3genE0ELNS1_11target_archE4294967295ELNS1_3gpuE0ELNS1_3repE0EEENS1_48merge_mergepath_partition_config_static_selectorELNS0_4arch9wavefront6targetE1EEEvSF_
    .private_segment_fixed_size: 0
    .sgpr_count:     4
    .sgpr_spill_count: 0
    .symbol:         _ZN7rocprim17ROCPRIM_400000_NS6detail17trampoline_kernelINS0_14default_configENS1_38merge_sort_block_merge_config_selectorIdNS0_10empty_typeEEEZZNS1_27merge_sort_block_merge_implIS3_PdPS5_jNS1_19radix_merge_compareILb0ELb0EdNS0_19identity_decomposerEEEEE10hipError_tT0_T1_T2_jT3_P12ihipStream_tbPNSt15iterator_traitsISE_E10value_typeEPNSK_ISF_E10value_typeEPSG_NS1_7vsmem_tEENKUlT_SE_SF_SG_E_clIS8_S8_S9_S9_EESD_ST_SE_SF_SG_EUlST_E_NS1_11comp_targetILNS1_3genE0ELNS1_11target_archE4294967295ELNS1_3gpuE0ELNS1_3repE0EEENS1_48merge_mergepath_partition_config_static_selectorELNS0_4arch9wavefront6targetE1EEEvSF_.kd
    .uniform_work_group_size: 1
    .uses_dynamic_stack: false
    .vgpr_count:     0
    .vgpr_spill_count: 0
    .wavefront_size: 64
  - .agpr_count:     0
    .args:
      - .offset:         0
        .size:           40
        .value_kind:     by_value
    .group_segment_fixed_size: 0
    .kernarg_segment_align: 8
    .kernarg_segment_size: 40
    .language:       OpenCL C
    .language_version:
      - 2
      - 0
    .max_flat_workgroup_size: 128
    .name:           _ZN7rocprim17ROCPRIM_400000_NS6detail17trampoline_kernelINS0_14default_configENS1_38merge_sort_block_merge_config_selectorIdNS0_10empty_typeEEEZZNS1_27merge_sort_block_merge_implIS3_PdPS5_jNS1_19radix_merge_compareILb0ELb0EdNS0_19identity_decomposerEEEEE10hipError_tT0_T1_T2_jT3_P12ihipStream_tbPNSt15iterator_traitsISE_E10value_typeEPNSK_ISF_E10value_typeEPSG_NS1_7vsmem_tEENKUlT_SE_SF_SG_E_clIS8_S8_S9_S9_EESD_ST_SE_SF_SG_EUlST_E_NS1_11comp_targetILNS1_3genE10ELNS1_11target_archE1201ELNS1_3gpuE5ELNS1_3repE0EEENS1_48merge_mergepath_partition_config_static_selectorELNS0_4arch9wavefront6targetE1EEEvSF_
    .private_segment_fixed_size: 0
    .sgpr_count:     4
    .sgpr_spill_count: 0
    .symbol:         _ZN7rocprim17ROCPRIM_400000_NS6detail17trampoline_kernelINS0_14default_configENS1_38merge_sort_block_merge_config_selectorIdNS0_10empty_typeEEEZZNS1_27merge_sort_block_merge_implIS3_PdPS5_jNS1_19radix_merge_compareILb0ELb0EdNS0_19identity_decomposerEEEEE10hipError_tT0_T1_T2_jT3_P12ihipStream_tbPNSt15iterator_traitsISE_E10value_typeEPNSK_ISF_E10value_typeEPSG_NS1_7vsmem_tEENKUlT_SE_SF_SG_E_clIS8_S8_S9_S9_EESD_ST_SE_SF_SG_EUlST_E_NS1_11comp_targetILNS1_3genE10ELNS1_11target_archE1201ELNS1_3gpuE5ELNS1_3repE0EEENS1_48merge_mergepath_partition_config_static_selectorELNS0_4arch9wavefront6targetE1EEEvSF_.kd
    .uniform_work_group_size: 1
    .uses_dynamic_stack: false
    .vgpr_count:     0
    .vgpr_spill_count: 0
    .wavefront_size: 64
  - .agpr_count:     0
    .args:
      - .offset:         0
        .size:           40
        .value_kind:     by_value
    .group_segment_fixed_size: 0
    .kernarg_segment_align: 8
    .kernarg_segment_size: 40
    .language:       OpenCL C
    .language_version:
      - 2
      - 0
    .max_flat_workgroup_size: 128
    .name:           _ZN7rocprim17ROCPRIM_400000_NS6detail17trampoline_kernelINS0_14default_configENS1_38merge_sort_block_merge_config_selectorIdNS0_10empty_typeEEEZZNS1_27merge_sort_block_merge_implIS3_PdPS5_jNS1_19radix_merge_compareILb0ELb0EdNS0_19identity_decomposerEEEEE10hipError_tT0_T1_T2_jT3_P12ihipStream_tbPNSt15iterator_traitsISE_E10value_typeEPNSK_ISF_E10value_typeEPSG_NS1_7vsmem_tEENKUlT_SE_SF_SG_E_clIS8_S8_S9_S9_EESD_ST_SE_SF_SG_EUlST_E_NS1_11comp_targetILNS1_3genE5ELNS1_11target_archE942ELNS1_3gpuE9ELNS1_3repE0EEENS1_48merge_mergepath_partition_config_static_selectorELNS0_4arch9wavefront6targetE1EEEvSF_
    .private_segment_fixed_size: 0
    .sgpr_count:     4
    .sgpr_spill_count: 0
    .symbol:         _ZN7rocprim17ROCPRIM_400000_NS6detail17trampoline_kernelINS0_14default_configENS1_38merge_sort_block_merge_config_selectorIdNS0_10empty_typeEEEZZNS1_27merge_sort_block_merge_implIS3_PdPS5_jNS1_19radix_merge_compareILb0ELb0EdNS0_19identity_decomposerEEEEE10hipError_tT0_T1_T2_jT3_P12ihipStream_tbPNSt15iterator_traitsISE_E10value_typeEPNSK_ISF_E10value_typeEPSG_NS1_7vsmem_tEENKUlT_SE_SF_SG_E_clIS8_S8_S9_S9_EESD_ST_SE_SF_SG_EUlST_E_NS1_11comp_targetILNS1_3genE5ELNS1_11target_archE942ELNS1_3gpuE9ELNS1_3repE0EEENS1_48merge_mergepath_partition_config_static_selectorELNS0_4arch9wavefront6targetE1EEEvSF_.kd
    .uniform_work_group_size: 1
    .uses_dynamic_stack: false
    .vgpr_count:     0
    .vgpr_spill_count: 0
    .wavefront_size: 64
  - .agpr_count:     0
    .args:
      - .offset:         0
        .size:           40
        .value_kind:     by_value
    .group_segment_fixed_size: 0
    .kernarg_segment_align: 8
    .kernarg_segment_size: 40
    .language:       OpenCL C
    .language_version:
      - 2
      - 0
    .max_flat_workgroup_size: 128
    .name:           _ZN7rocprim17ROCPRIM_400000_NS6detail17trampoline_kernelINS0_14default_configENS1_38merge_sort_block_merge_config_selectorIdNS0_10empty_typeEEEZZNS1_27merge_sort_block_merge_implIS3_PdPS5_jNS1_19radix_merge_compareILb0ELb0EdNS0_19identity_decomposerEEEEE10hipError_tT0_T1_T2_jT3_P12ihipStream_tbPNSt15iterator_traitsISE_E10value_typeEPNSK_ISF_E10value_typeEPSG_NS1_7vsmem_tEENKUlT_SE_SF_SG_E_clIS8_S8_S9_S9_EESD_ST_SE_SF_SG_EUlST_E_NS1_11comp_targetILNS1_3genE4ELNS1_11target_archE910ELNS1_3gpuE8ELNS1_3repE0EEENS1_48merge_mergepath_partition_config_static_selectorELNS0_4arch9wavefront6targetE1EEEvSF_
    .private_segment_fixed_size: 0
    .sgpr_count:     12
    .sgpr_spill_count: 0
    .symbol:         _ZN7rocprim17ROCPRIM_400000_NS6detail17trampoline_kernelINS0_14default_configENS1_38merge_sort_block_merge_config_selectorIdNS0_10empty_typeEEEZZNS1_27merge_sort_block_merge_implIS3_PdPS5_jNS1_19radix_merge_compareILb0ELb0EdNS0_19identity_decomposerEEEEE10hipError_tT0_T1_T2_jT3_P12ihipStream_tbPNSt15iterator_traitsISE_E10value_typeEPNSK_ISF_E10value_typeEPSG_NS1_7vsmem_tEENKUlT_SE_SF_SG_E_clIS8_S8_S9_S9_EESD_ST_SE_SF_SG_EUlST_E_NS1_11comp_targetILNS1_3genE4ELNS1_11target_archE910ELNS1_3gpuE8ELNS1_3repE0EEENS1_48merge_mergepath_partition_config_static_selectorELNS0_4arch9wavefront6targetE1EEEvSF_.kd
    .uniform_work_group_size: 1
    .uses_dynamic_stack: false
    .vgpr_count:     20
    .vgpr_spill_count: 0
    .wavefront_size: 64
  - .agpr_count:     0
    .args:
      - .offset:         0
        .size:           40
        .value_kind:     by_value
    .group_segment_fixed_size: 0
    .kernarg_segment_align: 8
    .kernarg_segment_size: 40
    .language:       OpenCL C
    .language_version:
      - 2
      - 0
    .max_flat_workgroup_size: 128
    .name:           _ZN7rocprim17ROCPRIM_400000_NS6detail17trampoline_kernelINS0_14default_configENS1_38merge_sort_block_merge_config_selectorIdNS0_10empty_typeEEEZZNS1_27merge_sort_block_merge_implIS3_PdPS5_jNS1_19radix_merge_compareILb0ELb0EdNS0_19identity_decomposerEEEEE10hipError_tT0_T1_T2_jT3_P12ihipStream_tbPNSt15iterator_traitsISE_E10value_typeEPNSK_ISF_E10value_typeEPSG_NS1_7vsmem_tEENKUlT_SE_SF_SG_E_clIS8_S8_S9_S9_EESD_ST_SE_SF_SG_EUlST_E_NS1_11comp_targetILNS1_3genE3ELNS1_11target_archE908ELNS1_3gpuE7ELNS1_3repE0EEENS1_48merge_mergepath_partition_config_static_selectorELNS0_4arch9wavefront6targetE1EEEvSF_
    .private_segment_fixed_size: 0
    .sgpr_count:     4
    .sgpr_spill_count: 0
    .symbol:         _ZN7rocprim17ROCPRIM_400000_NS6detail17trampoline_kernelINS0_14default_configENS1_38merge_sort_block_merge_config_selectorIdNS0_10empty_typeEEEZZNS1_27merge_sort_block_merge_implIS3_PdPS5_jNS1_19radix_merge_compareILb0ELb0EdNS0_19identity_decomposerEEEEE10hipError_tT0_T1_T2_jT3_P12ihipStream_tbPNSt15iterator_traitsISE_E10value_typeEPNSK_ISF_E10value_typeEPSG_NS1_7vsmem_tEENKUlT_SE_SF_SG_E_clIS8_S8_S9_S9_EESD_ST_SE_SF_SG_EUlST_E_NS1_11comp_targetILNS1_3genE3ELNS1_11target_archE908ELNS1_3gpuE7ELNS1_3repE0EEENS1_48merge_mergepath_partition_config_static_selectorELNS0_4arch9wavefront6targetE1EEEvSF_.kd
    .uniform_work_group_size: 1
    .uses_dynamic_stack: false
    .vgpr_count:     0
    .vgpr_spill_count: 0
    .wavefront_size: 64
  - .agpr_count:     0
    .args:
      - .offset:         0
        .size:           40
        .value_kind:     by_value
    .group_segment_fixed_size: 0
    .kernarg_segment_align: 8
    .kernarg_segment_size: 40
    .language:       OpenCL C
    .language_version:
      - 2
      - 0
    .max_flat_workgroup_size: 128
    .name:           _ZN7rocprim17ROCPRIM_400000_NS6detail17trampoline_kernelINS0_14default_configENS1_38merge_sort_block_merge_config_selectorIdNS0_10empty_typeEEEZZNS1_27merge_sort_block_merge_implIS3_PdPS5_jNS1_19radix_merge_compareILb0ELb0EdNS0_19identity_decomposerEEEEE10hipError_tT0_T1_T2_jT3_P12ihipStream_tbPNSt15iterator_traitsISE_E10value_typeEPNSK_ISF_E10value_typeEPSG_NS1_7vsmem_tEENKUlT_SE_SF_SG_E_clIS8_S8_S9_S9_EESD_ST_SE_SF_SG_EUlST_E_NS1_11comp_targetILNS1_3genE2ELNS1_11target_archE906ELNS1_3gpuE6ELNS1_3repE0EEENS1_48merge_mergepath_partition_config_static_selectorELNS0_4arch9wavefront6targetE1EEEvSF_
    .private_segment_fixed_size: 0
    .sgpr_count:     4
    .sgpr_spill_count: 0
    .symbol:         _ZN7rocprim17ROCPRIM_400000_NS6detail17trampoline_kernelINS0_14default_configENS1_38merge_sort_block_merge_config_selectorIdNS0_10empty_typeEEEZZNS1_27merge_sort_block_merge_implIS3_PdPS5_jNS1_19radix_merge_compareILb0ELb0EdNS0_19identity_decomposerEEEEE10hipError_tT0_T1_T2_jT3_P12ihipStream_tbPNSt15iterator_traitsISE_E10value_typeEPNSK_ISF_E10value_typeEPSG_NS1_7vsmem_tEENKUlT_SE_SF_SG_E_clIS8_S8_S9_S9_EESD_ST_SE_SF_SG_EUlST_E_NS1_11comp_targetILNS1_3genE2ELNS1_11target_archE906ELNS1_3gpuE6ELNS1_3repE0EEENS1_48merge_mergepath_partition_config_static_selectorELNS0_4arch9wavefront6targetE1EEEvSF_.kd
    .uniform_work_group_size: 1
    .uses_dynamic_stack: false
    .vgpr_count:     0
    .vgpr_spill_count: 0
    .wavefront_size: 64
  - .agpr_count:     0
    .args:
      - .offset:         0
        .size:           40
        .value_kind:     by_value
    .group_segment_fixed_size: 0
    .kernarg_segment_align: 8
    .kernarg_segment_size: 40
    .language:       OpenCL C
    .language_version:
      - 2
      - 0
    .max_flat_workgroup_size: 128
    .name:           _ZN7rocprim17ROCPRIM_400000_NS6detail17trampoline_kernelINS0_14default_configENS1_38merge_sort_block_merge_config_selectorIdNS0_10empty_typeEEEZZNS1_27merge_sort_block_merge_implIS3_PdPS5_jNS1_19radix_merge_compareILb0ELb0EdNS0_19identity_decomposerEEEEE10hipError_tT0_T1_T2_jT3_P12ihipStream_tbPNSt15iterator_traitsISE_E10value_typeEPNSK_ISF_E10value_typeEPSG_NS1_7vsmem_tEENKUlT_SE_SF_SG_E_clIS8_S8_S9_S9_EESD_ST_SE_SF_SG_EUlST_E_NS1_11comp_targetILNS1_3genE9ELNS1_11target_archE1100ELNS1_3gpuE3ELNS1_3repE0EEENS1_48merge_mergepath_partition_config_static_selectorELNS0_4arch9wavefront6targetE1EEEvSF_
    .private_segment_fixed_size: 0
    .sgpr_count:     4
    .sgpr_spill_count: 0
    .symbol:         _ZN7rocprim17ROCPRIM_400000_NS6detail17trampoline_kernelINS0_14default_configENS1_38merge_sort_block_merge_config_selectorIdNS0_10empty_typeEEEZZNS1_27merge_sort_block_merge_implIS3_PdPS5_jNS1_19radix_merge_compareILb0ELb0EdNS0_19identity_decomposerEEEEE10hipError_tT0_T1_T2_jT3_P12ihipStream_tbPNSt15iterator_traitsISE_E10value_typeEPNSK_ISF_E10value_typeEPSG_NS1_7vsmem_tEENKUlT_SE_SF_SG_E_clIS8_S8_S9_S9_EESD_ST_SE_SF_SG_EUlST_E_NS1_11comp_targetILNS1_3genE9ELNS1_11target_archE1100ELNS1_3gpuE3ELNS1_3repE0EEENS1_48merge_mergepath_partition_config_static_selectorELNS0_4arch9wavefront6targetE1EEEvSF_.kd
    .uniform_work_group_size: 1
    .uses_dynamic_stack: false
    .vgpr_count:     0
    .vgpr_spill_count: 0
    .wavefront_size: 64
  - .agpr_count:     0
    .args:
      - .offset:         0
        .size:           40
        .value_kind:     by_value
    .group_segment_fixed_size: 0
    .kernarg_segment_align: 8
    .kernarg_segment_size: 40
    .language:       OpenCL C
    .language_version:
      - 2
      - 0
    .max_flat_workgroup_size: 128
    .name:           _ZN7rocprim17ROCPRIM_400000_NS6detail17trampoline_kernelINS0_14default_configENS1_38merge_sort_block_merge_config_selectorIdNS0_10empty_typeEEEZZNS1_27merge_sort_block_merge_implIS3_PdPS5_jNS1_19radix_merge_compareILb0ELb0EdNS0_19identity_decomposerEEEEE10hipError_tT0_T1_T2_jT3_P12ihipStream_tbPNSt15iterator_traitsISE_E10value_typeEPNSK_ISF_E10value_typeEPSG_NS1_7vsmem_tEENKUlT_SE_SF_SG_E_clIS8_S8_S9_S9_EESD_ST_SE_SF_SG_EUlST_E_NS1_11comp_targetILNS1_3genE8ELNS1_11target_archE1030ELNS1_3gpuE2ELNS1_3repE0EEENS1_48merge_mergepath_partition_config_static_selectorELNS0_4arch9wavefront6targetE1EEEvSF_
    .private_segment_fixed_size: 0
    .sgpr_count:     4
    .sgpr_spill_count: 0
    .symbol:         _ZN7rocprim17ROCPRIM_400000_NS6detail17trampoline_kernelINS0_14default_configENS1_38merge_sort_block_merge_config_selectorIdNS0_10empty_typeEEEZZNS1_27merge_sort_block_merge_implIS3_PdPS5_jNS1_19radix_merge_compareILb0ELb0EdNS0_19identity_decomposerEEEEE10hipError_tT0_T1_T2_jT3_P12ihipStream_tbPNSt15iterator_traitsISE_E10value_typeEPNSK_ISF_E10value_typeEPSG_NS1_7vsmem_tEENKUlT_SE_SF_SG_E_clIS8_S8_S9_S9_EESD_ST_SE_SF_SG_EUlST_E_NS1_11comp_targetILNS1_3genE8ELNS1_11target_archE1030ELNS1_3gpuE2ELNS1_3repE0EEENS1_48merge_mergepath_partition_config_static_selectorELNS0_4arch9wavefront6targetE1EEEvSF_.kd
    .uniform_work_group_size: 1
    .uses_dynamic_stack: false
    .vgpr_count:     0
    .vgpr_spill_count: 0
    .wavefront_size: 64
  - .agpr_count:     0
    .args:
      - .offset:         0
        .size:           64
        .value_kind:     by_value
    .group_segment_fixed_size: 0
    .kernarg_segment_align: 8
    .kernarg_segment_size: 64
    .language:       OpenCL C
    .language_version:
      - 2
      - 0
    .max_flat_workgroup_size: 256
    .name:           _ZN7rocprim17ROCPRIM_400000_NS6detail17trampoline_kernelINS0_14default_configENS1_38merge_sort_block_merge_config_selectorIdNS0_10empty_typeEEEZZNS1_27merge_sort_block_merge_implIS3_PdPS5_jNS1_19radix_merge_compareILb0ELb0EdNS0_19identity_decomposerEEEEE10hipError_tT0_T1_T2_jT3_P12ihipStream_tbPNSt15iterator_traitsISE_E10value_typeEPNSK_ISF_E10value_typeEPSG_NS1_7vsmem_tEENKUlT_SE_SF_SG_E_clIS8_S8_S9_S9_EESD_ST_SE_SF_SG_EUlST_E0_NS1_11comp_targetILNS1_3genE0ELNS1_11target_archE4294967295ELNS1_3gpuE0ELNS1_3repE0EEENS1_38merge_mergepath_config_static_selectorELNS0_4arch9wavefront6targetE1EEEvSF_
    .private_segment_fixed_size: 0
    .sgpr_count:     4
    .sgpr_spill_count: 0
    .symbol:         _ZN7rocprim17ROCPRIM_400000_NS6detail17trampoline_kernelINS0_14default_configENS1_38merge_sort_block_merge_config_selectorIdNS0_10empty_typeEEEZZNS1_27merge_sort_block_merge_implIS3_PdPS5_jNS1_19radix_merge_compareILb0ELb0EdNS0_19identity_decomposerEEEEE10hipError_tT0_T1_T2_jT3_P12ihipStream_tbPNSt15iterator_traitsISE_E10value_typeEPNSK_ISF_E10value_typeEPSG_NS1_7vsmem_tEENKUlT_SE_SF_SG_E_clIS8_S8_S9_S9_EESD_ST_SE_SF_SG_EUlST_E0_NS1_11comp_targetILNS1_3genE0ELNS1_11target_archE4294967295ELNS1_3gpuE0ELNS1_3repE0EEENS1_38merge_mergepath_config_static_selectorELNS0_4arch9wavefront6targetE1EEEvSF_.kd
    .uniform_work_group_size: 1
    .uses_dynamic_stack: false
    .vgpr_count:     0
    .vgpr_spill_count: 0
    .wavefront_size: 64
  - .agpr_count:     0
    .args:
      - .offset:         0
        .size:           64
        .value_kind:     by_value
    .group_segment_fixed_size: 0
    .kernarg_segment_align: 8
    .kernarg_segment_size: 64
    .language:       OpenCL C
    .language_version:
      - 2
      - 0
    .max_flat_workgroup_size: 512
    .name:           _ZN7rocprim17ROCPRIM_400000_NS6detail17trampoline_kernelINS0_14default_configENS1_38merge_sort_block_merge_config_selectorIdNS0_10empty_typeEEEZZNS1_27merge_sort_block_merge_implIS3_PdPS5_jNS1_19radix_merge_compareILb0ELb0EdNS0_19identity_decomposerEEEEE10hipError_tT0_T1_T2_jT3_P12ihipStream_tbPNSt15iterator_traitsISE_E10value_typeEPNSK_ISF_E10value_typeEPSG_NS1_7vsmem_tEENKUlT_SE_SF_SG_E_clIS8_S8_S9_S9_EESD_ST_SE_SF_SG_EUlST_E0_NS1_11comp_targetILNS1_3genE10ELNS1_11target_archE1201ELNS1_3gpuE5ELNS1_3repE0EEENS1_38merge_mergepath_config_static_selectorELNS0_4arch9wavefront6targetE1EEEvSF_
    .private_segment_fixed_size: 0
    .sgpr_count:     4
    .sgpr_spill_count: 0
    .symbol:         _ZN7rocprim17ROCPRIM_400000_NS6detail17trampoline_kernelINS0_14default_configENS1_38merge_sort_block_merge_config_selectorIdNS0_10empty_typeEEEZZNS1_27merge_sort_block_merge_implIS3_PdPS5_jNS1_19radix_merge_compareILb0ELb0EdNS0_19identity_decomposerEEEEE10hipError_tT0_T1_T2_jT3_P12ihipStream_tbPNSt15iterator_traitsISE_E10value_typeEPNSK_ISF_E10value_typeEPSG_NS1_7vsmem_tEENKUlT_SE_SF_SG_E_clIS8_S8_S9_S9_EESD_ST_SE_SF_SG_EUlST_E0_NS1_11comp_targetILNS1_3genE10ELNS1_11target_archE1201ELNS1_3gpuE5ELNS1_3repE0EEENS1_38merge_mergepath_config_static_selectorELNS0_4arch9wavefront6targetE1EEEvSF_.kd
    .uniform_work_group_size: 1
    .uses_dynamic_stack: false
    .vgpr_count:     0
    .vgpr_spill_count: 0
    .wavefront_size: 64
  - .agpr_count:     0
    .args:
      - .offset:         0
        .size:           64
        .value_kind:     by_value
    .group_segment_fixed_size: 0
    .kernarg_segment_align: 8
    .kernarg_segment_size: 64
    .language:       OpenCL C
    .language_version:
      - 2
      - 0
    .max_flat_workgroup_size: 256
    .name:           _ZN7rocprim17ROCPRIM_400000_NS6detail17trampoline_kernelINS0_14default_configENS1_38merge_sort_block_merge_config_selectorIdNS0_10empty_typeEEEZZNS1_27merge_sort_block_merge_implIS3_PdPS5_jNS1_19radix_merge_compareILb0ELb0EdNS0_19identity_decomposerEEEEE10hipError_tT0_T1_T2_jT3_P12ihipStream_tbPNSt15iterator_traitsISE_E10value_typeEPNSK_ISF_E10value_typeEPSG_NS1_7vsmem_tEENKUlT_SE_SF_SG_E_clIS8_S8_S9_S9_EESD_ST_SE_SF_SG_EUlST_E0_NS1_11comp_targetILNS1_3genE5ELNS1_11target_archE942ELNS1_3gpuE9ELNS1_3repE0EEENS1_38merge_mergepath_config_static_selectorELNS0_4arch9wavefront6targetE1EEEvSF_
    .private_segment_fixed_size: 0
    .sgpr_count:     4
    .sgpr_spill_count: 0
    .symbol:         _ZN7rocprim17ROCPRIM_400000_NS6detail17trampoline_kernelINS0_14default_configENS1_38merge_sort_block_merge_config_selectorIdNS0_10empty_typeEEEZZNS1_27merge_sort_block_merge_implIS3_PdPS5_jNS1_19radix_merge_compareILb0ELb0EdNS0_19identity_decomposerEEEEE10hipError_tT0_T1_T2_jT3_P12ihipStream_tbPNSt15iterator_traitsISE_E10value_typeEPNSK_ISF_E10value_typeEPSG_NS1_7vsmem_tEENKUlT_SE_SF_SG_E_clIS8_S8_S9_S9_EESD_ST_SE_SF_SG_EUlST_E0_NS1_11comp_targetILNS1_3genE5ELNS1_11target_archE942ELNS1_3gpuE9ELNS1_3repE0EEENS1_38merge_mergepath_config_static_selectorELNS0_4arch9wavefront6targetE1EEEvSF_.kd
    .uniform_work_group_size: 1
    .uses_dynamic_stack: false
    .vgpr_count:     0
    .vgpr_spill_count: 0
    .wavefront_size: 64
  - .agpr_count:     0
    .args:
      - .offset:         0
        .size:           64
        .value_kind:     by_value
      - .offset:         64
        .size:           4
        .value_kind:     hidden_block_count_x
      - .offset:         68
        .size:           4
        .value_kind:     hidden_block_count_y
      - .offset:         72
        .size:           4
        .value_kind:     hidden_block_count_z
      - .offset:         76
        .size:           2
        .value_kind:     hidden_group_size_x
      - .offset:         78
        .size:           2
        .value_kind:     hidden_group_size_y
      - .offset:         80
        .size:           2
        .value_kind:     hidden_group_size_z
      - .offset:         82
        .size:           2
        .value_kind:     hidden_remainder_x
      - .offset:         84
        .size:           2
        .value_kind:     hidden_remainder_y
      - .offset:         86
        .size:           2
        .value_kind:     hidden_remainder_z
      - .offset:         104
        .size:           8
        .value_kind:     hidden_global_offset_x
      - .offset:         112
        .size:           8
        .value_kind:     hidden_global_offset_y
      - .offset:         120
        .size:           8
        .value_kind:     hidden_global_offset_z
      - .offset:         128
        .size:           2
        .value_kind:     hidden_grid_dims
    .group_segment_fixed_size: 8448
    .kernarg_segment_align: 8
    .kernarg_segment_size: 320
    .language:       OpenCL C
    .language_version:
      - 2
      - 0
    .max_flat_workgroup_size: 256
    .name:           _ZN7rocprim17ROCPRIM_400000_NS6detail17trampoline_kernelINS0_14default_configENS1_38merge_sort_block_merge_config_selectorIdNS0_10empty_typeEEEZZNS1_27merge_sort_block_merge_implIS3_PdPS5_jNS1_19radix_merge_compareILb0ELb0EdNS0_19identity_decomposerEEEEE10hipError_tT0_T1_T2_jT3_P12ihipStream_tbPNSt15iterator_traitsISE_E10value_typeEPNSK_ISF_E10value_typeEPSG_NS1_7vsmem_tEENKUlT_SE_SF_SG_E_clIS8_S8_S9_S9_EESD_ST_SE_SF_SG_EUlST_E0_NS1_11comp_targetILNS1_3genE4ELNS1_11target_archE910ELNS1_3gpuE8ELNS1_3repE0EEENS1_38merge_mergepath_config_static_selectorELNS0_4arch9wavefront6targetE1EEEvSF_
    .private_segment_fixed_size: 0
    .sgpr_count:     28
    .sgpr_spill_count: 0
    .symbol:         _ZN7rocprim17ROCPRIM_400000_NS6detail17trampoline_kernelINS0_14default_configENS1_38merge_sort_block_merge_config_selectorIdNS0_10empty_typeEEEZZNS1_27merge_sort_block_merge_implIS3_PdPS5_jNS1_19radix_merge_compareILb0ELb0EdNS0_19identity_decomposerEEEEE10hipError_tT0_T1_T2_jT3_P12ihipStream_tbPNSt15iterator_traitsISE_E10value_typeEPNSK_ISF_E10value_typeEPSG_NS1_7vsmem_tEENKUlT_SE_SF_SG_E_clIS8_S8_S9_S9_EESD_ST_SE_SF_SG_EUlST_E0_NS1_11comp_targetILNS1_3genE4ELNS1_11target_archE910ELNS1_3gpuE8ELNS1_3repE0EEENS1_38merge_mergepath_config_static_selectorELNS0_4arch9wavefront6targetE1EEEvSF_.kd
    .uniform_work_group_size: 1
    .uses_dynamic_stack: false
    .vgpr_count:     23
    .vgpr_spill_count: 0
    .wavefront_size: 64
  - .agpr_count:     0
    .args:
      - .offset:         0
        .size:           64
        .value_kind:     by_value
    .group_segment_fixed_size: 0
    .kernarg_segment_align: 8
    .kernarg_segment_size: 64
    .language:       OpenCL C
    .language_version:
      - 2
      - 0
    .max_flat_workgroup_size: 256
    .name:           _ZN7rocprim17ROCPRIM_400000_NS6detail17trampoline_kernelINS0_14default_configENS1_38merge_sort_block_merge_config_selectorIdNS0_10empty_typeEEEZZNS1_27merge_sort_block_merge_implIS3_PdPS5_jNS1_19radix_merge_compareILb0ELb0EdNS0_19identity_decomposerEEEEE10hipError_tT0_T1_T2_jT3_P12ihipStream_tbPNSt15iterator_traitsISE_E10value_typeEPNSK_ISF_E10value_typeEPSG_NS1_7vsmem_tEENKUlT_SE_SF_SG_E_clIS8_S8_S9_S9_EESD_ST_SE_SF_SG_EUlST_E0_NS1_11comp_targetILNS1_3genE3ELNS1_11target_archE908ELNS1_3gpuE7ELNS1_3repE0EEENS1_38merge_mergepath_config_static_selectorELNS0_4arch9wavefront6targetE1EEEvSF_
    .private_segment_fixed_size: 0
    .sgpr_count:     4
    .sgpr_spill_count: 0
    .symbol:         _ZN7rocprim17ROCPRIM_400000_NS6detail17trampoline_kernelINS0_14default_configENS1_38merge_sort_block_merge_config_selectorIdNS0_10empty_typeEEEZZNS1_27merge_sort_block_merge_implIS3_PdPS5_jNS1_19radix_merge_compareILb0ELb0EdNS0_19identity_decomposerEEEEE10hipError_tT0_T1_T2_jT3_P12ihipStream_tbPNSt15iterator_traitsISE_E10value_typeEPNSK_ISF_E10value_typeEPSG_NS1_7vsmem_tEENKUlT_SE_SF_SG_E_clIS8_S8_S9_S9_EESD_ST_SE_SF_SG_EUlST_E0_NS1_11comp_targetILNS1_3genE3ELNS1_11target_archE908ELNS1_3gpuE7ELNS1_3repE0EEENS1_38merge_mergepath_config_static_selectorELNS0_4arch9wavefront6targetE1EEEvSF_.kd
    .uniform_work_group_size: 1
    .uses_dynamic_stack: false
    .vgpr_count:     0
    .vgpr_spill_count: 0
    .wavefront_size: 64
  - .agpr_count:     0
    .args:
      - .offset:         0
        .size:           64
        .value_kind:     by_value
    .group_segment_fixed_size: 0
    .kernarg_segment_align: 8
    .kernarg_segment_size: 64
    .language:       OpenCL C
    .language_version:
      - 2
      - 0
    .max_flat_workgroup_size: 256
    .name:           _ZN7rocprim17ROCPRIM_400000_NS6detail17trampoline_kernelINS0_14default_configENS1_38merge_sort_block_merge_config_selectorIdNS0_10empty_typeEEEZZNS1_27merge_sort_block_merge_implIS3_PdPS5_jNS1_19radix_merge_compareILb0ELb0EdNS0_19identity_decomposerEEEEE10hipError_tT0_T1_T2_jT3_P12ihipStream_tbPNSt15iterator_traitsISE_E10value_typeEPNSK_ISF_E10value_typeEPSG_NS1_7vsmem_tEENKUlT_SE_SF_SG_E_clIS8_S8_S9_S9_EESD_ST_SE_SF_SG_EUlST_E0_NS1_11comp_targetILNS1_3genE2ELNS1_11target_archE906ELNS1_3gpuE6ELNS1_3repE0EEENS1_38merge_mergepath_config_static_selectorELNS0_4arch9wavefront6targetE1EEEvSF_
    .private_segment_fixed_size: 0
    .sgpr_count:     4
    .sgpr_spill_count: 0
    .symbol:         _ZN7rocprim17ROCPRIM_400000_NS6detail17trampoline_kernelINS0_14default_configENS1_38merge_sort_block_merge_config_selectorIdNS0_10empty_typeEEEZZNS1_27merge_sort_block_merge_implIS3_PdPS5_jNS1_19radix_merge_compareILb0ELb0EdNS0_19identity_decomposerEEEEE10hipError_tT0_T1_T2_jT3_P12ihipStream_tbPNSt15iterator_traitsISE_E10value_typeEPNSK_ISF_E10value_typeEPSG_NS1_7vsmem_tEENKUlT_SE_SF_SG_E_clIS8_S8_S9_S9_EESD_ST_SE_SF_SG_EUlST_E0_NS1_11comp_targetILNS1_3genE2ELNS1_11target_archE906ELNS1_3gpuE6ELNS1_3repE0EEENS1_38merge_mergepath_config_static_selectorELNS0_4arch9wavefront6targetE1EEEvSF_.kd
    .uniform_work_group_size: 1
    .uses_dynamic_stack: false
    .vgpr_count:     0
    .vgpr_spill_count: 0
    .wavefront_size: 64
  - .agpr_count:     0
    .args:
      - .offset:         0
        .size:           64
        .value_kind:     by_value
    .group_segment_fixed_size: 0
    .kernarg_segment_align: 8
    .kernarg_segment_size: 64
    .language:       OpenCL C
    .language_version:
      - 2
      - 0
    .max_flat_workgroup_size: 512
    .name:           _ZN7rocprim17ROCPRIM_400000_NS6detail17trampoline_kernelINS0_14default_configENS1_38merge_sort_block_merge_config_selectorIdNS0_10empty_typeEEEZZNS1_27merge_sort_block_merge_implIS3_PdPS5_jNS1_19radix_merge_compareILb0ELb0EdNS0_19identity_decomposerEEEEE10hipError_tT0_T1_T2_jT3_P12ihipStream_tbPNSt15iterator_traitsISE_E10value_typeEPNSK_ISF_E10value_typeEPSG_NS1_7vsmem_tEENKUlT_SE_SF_SG_E_clIS8_S8_S9_S9_EESD_ST_SE_SF_SG_EUlST_E0_NS1_11comp_targetILNS1_3genE9ELNS1_11target_archE1100ELNS1_3gpuE3ELNS1_3repE0EEENS1_38merge_mergepath_config_static_selectorELNS0_4arch9wavefront6targetE1EEEvSF_
    .private_segment_fixed_size: 0
    .sgpr_count:     4
    .sgpr_spill_count: 0
    .symbol:         _ZN7rocprim17ROCPRIM_400000_NS6detail17trampoline_kernelINS0_14default_configENS1_38merge_sort_block_merge_config_selectorIdNS0_10empty_typeEEEZZNS1_27merge_sort_block_merge_implIS3_PdPS5_jNS1_19radix_merge_compareILb0ELb0EdNS0_19identity_decomposerEEEEE10hipError_tT0_T1_T2_jT3_P12ihipStream_tbPNSt15iterator_traitsISE_E10value_typeEPNSK_ISF_E10value_typeEPSG_NS1_7vsmem_tEENKUlT_SE_SF_SG_E_clIS8_S8_S9_S9_EESD_ST_SE_SF_SG_EUlST_E0_NS1_11comp_targetILNS1_3genE9ELNS1_11target_archE1100ELNS1_3gpuE3ELNS1_3repE0EEENS1_38merge_mergepath_config_static_selectorELNS0_4arch9wavefront6targetE1EEEvSF_.kd
    .uniform_work_group_size: 1
    .uses_dynamic_stack: false
    .vgpr_count:     0
    .vgpr_spill_count: 0
    .wavefront_size: 64
  - .agpr_count:     0
    .args:
      - .offset:         0
        .size:           64
        .value_kind:     by_value
    .group_segment_fixed_size: 0
    .kernarg_segment_align: 8
    .kernarg_segment_size: 64
    .language:       OpenCL C
    .language_version:
      - 2
      - 0
    .max_flat_workgroup_size: 1024
    .name:           _ZN7rocprim17ROCPRIM_400000_NS6detail17trampoline_kernelINS0_14default_configENS1_38merge_sort_block_merge_config_selectorIdNS0_10empty_typeEEEZZNS1_27merge_sort_block_merge_implIS3_PdPS5_jNS1_19radix_merge_compareILb0ELb0EdNS0_19identity_decomposerEEEEE10hipError_tT0_T1_T2_jT3_P12ihipStream_tbPNSt15iterator_traitsISE_E10value_typeEPNSK_ISF_E10value_typeEPSG_NS1_7vsmem_tEENKUlT_SE_SF_SG_E_clIS8_S8_S9_S9_EESD_ST_SE_SF_SG_EUlST_E0_NS1_11comp_targetILNS1_3genE8ELNS1_11target_archE1030ELNS1_3gpuE2ELNS1_3repE0EEENS1_38merge_mergepath_config_static_selectorELNS0_4arch9wavefront6targetE1EEEvSF_
    .private_segment_fixed_size: 0
    .sgpr_count:     4
    .sgpr_spill_count: 0
    .symbol:         _ZN7rocprim17ROCPRIM_400000_NS6detail17trampoline_kernelINS0_14default_configENS1_38merge_sort_block_merge_config_selectorIdNS0_10empty_typeEEEZZNS1_27merge_sort_block_merge_implIS3_PdPS5_jNS1_19radix_merge_compareILb0ELb0EdNS0_19identity_decomposerEEEEE10hipError_tT0_T1_T2_jT3_P12ihipStream_tbPNSt15iterator_traitsISE_E10value_typeEPNSK_ISF_E10value_typeEPSG_NS1_7vsmem_tEENKUlT_SE_SF_SG_E_clIS8_S8_S9_S9_EESD_ST_SE_SF_SG_EUlST_E0_NS1_11comp_targetILNS1_3genE8ELNS1_11target_archE1030ELNS1_3gpuE2ELNS1_3repE0EEENS1_38merge_mergepath_config_static_selectorELNS0_4arch9wavefront6targetE1EEEvSF_.kd
    .uniform_work_group_size: 1
    .uses_dynamic_stack: false
    .vgpr_count:     0
    .vgpr_spill_count: 0
    .wavefront_size: 64
  - .agpr_count:     0
    .args:
      - .offset:         0
        .size:           48
        .value_kind:     by_value
    .group_segment_fixed_size: 0
    .kernarg_segment_align: 8
    .kernarg_segment_size: 48
    .language:       OpenCL C
    .language_version:
      - 2
      - 0
    .max_flat_workgroup_size: 256
    .name:           _ZN7rocprim17ROCPRIM_400000_NS6detail17trampoline_kernelINS0_14default_configENS1_38merge_sort_block_merge_config_selectorIdNS0_10empty_typeEEEZZNS1_27merge_sort_block_merge_implIS3_PdPS5_jNS1_19radix_merge_compareILb0ELb0EdNS0_19identity_decomposerEEEEE10hipError_tT0_T1_T2_jT3_P12ihipStream_tbPNSt15iterator_traitsISE_E10value_typeEPNSK_ISF_E10value_typeEPSG_NS1_7vsmem_tEENKUlT_SE_SF_SG_E_clIS8_S8_S9_S9_EESD_ST_SE_SF_SG_EUlST_E1_NS1_11comp_targetILNS1_3genE0ELNS1_11target_archE4294967295ELNS1_3gpuE0ELNS1_3repE0EEENS1_36merge_oddeven_config_static_selectorELNS0_4arch9wavefront6targetE1EEEvSF_
    .private_segment_fixed_size: 0
    .sgpr_count:     4
    .sgpr_spill_count: 0
    .symbol:         _ZN7rocprim17ROCPRIM_400000_NS6detail17trampoline_kernelINS0_14default_configENS1_38merge_sort_block_merge_config_selectorIdNS0_10empty_typeEEEZZNS1_27merge_sort_block_merge_implIS3_PdPS5_jNS1_19radix_merge_compareILb0ELb0EdNS0_19identity_decomposerEEEEE10hipError_tT0_T1_T2_jT3_P12ihipStream_tbPNSt15iterator_traitsISE_E10value_typeEPNSK_ISF_E10value_typeEPSG_NS1_7vsmem_tEENKUlT_SE_SF_SG_E_clIS8_S8_S9_S9_EESD_ST_SE_SF_SG_EUlST_E1_NS1_11comp_targetILNS1_3genE0ELNS1_11target_archE4294967295ELNS1_3gpuE0ELNS1_3repE0EEENS1_36merge_oddeven_config_static_selectorELNS0_4arch9wavefront6targetE1EEEvSF_.kd
    .uniform_work_group_size: 1
    .uses_dynamic_stack: false
    .vgpr_count:     0
    .vgpr_spill_count: 0
    .wavefront_size: 64
  - .agpr_count:     0
    .args:
      - .offset:         0
        .size:           48
        .value_kind:     by_value
    .group_segment_fixed_size: 0
    .kernarg_segment_align: 8
    .kernarg_segment_size: 48
    .language:       OpenCL C
    .language_version:
      - 2
      - 0
    .max_flat_workgroup_size: 256
    .name:           _ZN7rocprim17ROCPRIM_400000_NS6detail17trampoline_kernelINS0_14default_configENS1_38merge_sort_block_merge_config_selectorIdNS0_10empty_typeEEEZZNS1_27merge_sort_block_merge_implIS3_PdPS5_jNS1_19radix_merge_compareILb0ELb0EdNS0_19identity_decomposerEEEEE10hipError_tT0_T1_T2_jT3_P12ihipStream_tbPNSt15iterator_traitsISE_E10value_typeEPNSK_ISF_E10value_typeEPSG_NS1_7vsmem_tEENKUlT_SE_SF_SG_E_clIS8_S8_S9_S9_EESD_ST_SE_SF_SG_EUlST_E1_NS1_11comp_targetILNS1_3genE10ELNS1_11target_archE1201ELNS1_3gpuE5ELNS1_3repE0EEENS1_36merge_oddeven_config_static_selectorELNS0_4arch9wavefront6targetE1EEEvSF_
    .private_segment_fixed_size: 0
    .sgpr_count:     4
    .sgpr_spill_count: 0
    .symbol:         _ZN7rocprim17ROCPRIM_400000_NS6detail17trampoline_kernelINS0_14default_configENS1_38merge_sort_block_merge_config_selectorIdNS0_10empty_typeEEEZZNS1_27merge_sort_block_merge_implIS3_PdPS5_jNS1_19radix_merge_compareILb0ELb0EdNS0_19identity_decomposerEEEEE10hipError_tT0_T1_T2_jT3_P12ihipStream_tbPNSt15iterator_traitsISE_E10value_typeEPNSK_ISF_E10value_typeEPSG_NS1_7vsmem_tEENKUlT_SE_SF_SG_E_clIS8_S8_S9_S9_EESD_ST_SE_SF_SG_EUlST_E1_NS1_11comp_targetILNS1_3genE10ELNS1_11target_archE1201ELNS1_3gpuE5ELNS1_3repE0EEENS1_36merge_oddeven_config_static_selectorELNS0_4arch9wavefront6targetE1EEEvSF_.kd
    .uniform_work_group_size: 1
    .uses_dynamic_stack: false
    .vgpr_count:     0
    .vgpr_spill_count: 0
    .wavefront_size: 64
  - .agpr_count:     0
    .args:
      - .offset:         0
        .size:           48
        .value_kind:     by_value
    .group_segment_fixed_size: 0
    .kernarg_segment_align: 8
    .kernarg_segment_size: 48
    .language:       OpenCL C
    .language_version:
      - 2
      - 0
    .max_flat_workgroup_size: 256
    .name:           _ZN7rocprim17ROCPRIM_400000_NS6detail17trampoline_kernelINS0_14default_configENS1_38merge_sort_block_merge_config_selectorIdNS0_10empty_typeEEEZZNS1_27merge_sort_block_merge_implIS3_PdPS5_jNS1_19radix_merge_compareILb0ELb0EdNS0_19identity_decomposerEEEEE10hipError_tT0_T1_T2_jT3_P12ihipStream_tbPNSt15iterator_traitsISE_E10value_typeEPNSK_ISF_E10value_typeEPSG_NS1_7vsmem_tEENKUlT_SE_SF_SG_E_clIS8_S8_S9_S9_EESD_ST_SE_SF_SG_EUlST_E1_NS1_11comp_targetILNS1_3genE5ELNS1_11target_archE942ELNS1_3gpuE9ELNS1_3repE0EEENS1_36merge_oddeven_config_static_selectorELNS0_4arch9wavefront6targetE1EEEvSF_
    .private_segment_fixed_size: 0
    .sgpr_count:     4
    .sgpr_spill_count: 0
    .symbol:         _ZN7rocprim17ROCPRIM_400000_NS6detail17trampoline_kernelINS0_14default_configENS1_38merge_sort_block_merge_config_selectorIdNS0_10empty_typeEEEZZNS1_27merge_sort_block_merge_implIS3_PdPS5_jNS1_19radix_merge_compareILb0ELb0EdNS0_19identity_decomposerEEEEE10hipError_tT0_T1_T2_jT3_P12ihipStream_tbPNSt15iterator_traitsISE_E10value_typeEPNSK_ISF_E10value_typeEPSG_NS1_7vsmem_tEENKUlT_SE_SF_SG_E_clIS8_S8_S9_S9_EESD_ST_SE_SF_SG_EUlST_E1_NS1_11comp_targetILNS1_3genE5ELNS1_11target_archE942ELNS1_3gpuE9ELNS1_3repE0EEENS1_36merge_oddeven_config_static_selectorELNS0_4arch9wavefront6targetE1EEEvSF_.kd
    .uniform_work_group_size: 1
    .uses_dynamic_stack: false
    .vgpr_count:     0
    .vgpr_spill_count: 0
    .wavefront_size: 64
  - .agpr_count:     0
    .args:
      - .offset:         0
        .size:           48
        .value_kind:     by_value
    .group_segment_fixed_size: 0
    .kernarg_segment_align: 8
    .kernarg_segment_size: 48
    .language:       OpenCL C
    .language_version:
      - 2
      - 0
    .max_flat_workgroup_size: 256
    .name:           _ZN7rocprim17ROCPRIM_400000_NS6detail17trampoline_kernelINS0_14default_configENS1_38merge_sort_block_merge_config_selectorIdNS0_10empty_typeEEEZZNS1_27merge_sort_block_merge_implIS3_PdPS5_jNS1_19radix_merge_compareILb0ELb0EdNS0_19identity_decomposerEEEEE10hipError_tT0_T1_T2_jT3_P12ihipStream_tbPNSt15iterator_traitsISE_E10value_typeEPNSK_ISF_E10value_typeEPSG_NS1_7vsmem_tEENKUlT_SE_SF_SG_E_clIS8_S8_S9_S9_EESD_ST_SE_SF_SG_EUlST_E1_NS1_11comp_targetILNS1_3genE4ELNS1_11target_archE910ELNS1_3gpuE8ELNS1_3repE0EEENS1_36merge_oddeven_config_static_selectorELNS0_4arch9wavefront6targetE1EEEvSF_
    .private_segment_fixed_size: 0
    .sgpr_count:     25
    .sgpr_spill_count: 0
    .symbol:         _ZN7rocprim17ROCPRIM_400000_NS6detail17trampoline_kernelINS0_14default_configENS1_38merge_sort_block_merge_config_selectorIdNS0_10empty_typeEEEZZNS1_27merge_sort_block_merge_implIS3_PdPS5_jNS1_19radix_merge_compareILb0ELb0EdNS0_19identity_decomposerEEEEE10hipError_tT0_T1_T2_jT3_P12ihipStream_tbPNSt15iterator_traitsISE_E10value_typeEPNSK_ISF_E10value_typeEPSG_NS1_7vsmem_tEENKUlT_SE_SF_SG_E_clIS8_S8_S9_S9_EESD_ST_SE_SF_SG_EUlST_E1_NS1_11comp_targetILNS1_3genE4ELNS1_11target_archE910ELNS1_3gpuE8ELNS1_3repE0EEENS1_36merge_oddeven_config_static_selectorELNS0_4arch9wavefront6targetE1EEEvSF_.kd
    .uniform_work_group_size: 1
    .uses_dynamic_stack: false
    .vgpr_count:     15
    .vgpr_spill_count: 0
    .wavefront_size: 64
  - .agpr_count:     0
    .args:
      - .offset:         0
        .size:           48
        .value_kind:     by_value
    .group_segment_fixed_size: 0
    .kernarg_segment_align: 8
    .kernarg_segment_size: 48
    .language:       OpenCL C
    .language_version:
      - 2
      - 0
    .max_flat_workgroup_size: 256
    .name:           _ZN7rocprim17ROCPRIM_400000_NS6detail17trampoline_kernelINS0_14default_configENS1_38merge_sort_block_merge_config_selectorIdNS0_10empty_typeEEEZZNS1_27merge_sort_block_merge_implIS3_PdPS5_jNS1_19radix_merge_compareILb0ELb0EdNS0_19identity_decomposerEEEEE10hipError_tT0_T1_T2_jT3_P12ihipStream_tbPNSt15iterator_traitsISE_E10value_typeEPNSK_ISF_E10value_typeEPSG_NS1_7vsmem_tEENKUlT_SE_SF_SG_E_clIS8_S8_S9_S9_EESD_ST_SE_SF_SG_EUlST_E1_NS1_11comp_targetILNS1_3genE3ELNS1_11target_archE908ELNS1_3gpuE7ELNS1_3repE0EEENS1_36merge_oddeven_config_static_selectorELNS0_4arch9wavefront6targetE1EEEvSF_
    .private_segment_fixed_size: 0
    .sgpr_count:     4
    .sgpr_spill_count: 0
    .symbol:         _ZN7rocprim17ROCPRIM_400000_NS6detail17trampoline_kernelINS0_14default_configENS1_38merge_sort_block_merge_config_selectorIdNS0_10empty_typeEEEZZNS1_27merge_sort_block_merge_implIS3_PdPS5_jNS1_19radix_merge_compareILb0ELb0EdNS0_19identity_decomposerEEEEE10hipError_tT0_T1_T2_jT3_P12ihipStream_tbPNSt15iterator_traitsISE_E10value_typeEPNSK_ISF_E10value_typeEPSG_NS1_7vsmem_tEENKUlT_SE_SF_SG_E_clIS8_S8_S9_S9_EESD_ST_SE_SF_SG_EUlST_E1_NS1_11comp_targetILNS1_3genE3ELNS1_11target_archE908ELNS1_3gpuE7ELNS1_3repE0EEENS1_36merge_oddeven_config_static_selectorELNS0_4arch9wavefront6targetE1EEEvSF_.kd
    .uniform_work_group_size: 1
    .uses_dynamic_stack: false
    .vgpr_count:     0
    .vgpr_spill_count: 0
    .wavefront_size: 64
  - .agpr_count:     0
    .args:
      - .offset:         0
        .size:           48
        .value_kind:     by_value
    .group_segment_fixed_size: 0
    .kernarg_segment_align: 8
    .kernarg_segment_size: 48
    .language:       OpenCL C
    .language_version:
      - 2
      - 0
    .max_flat_workgroup_size: 256
    .name:           _ZN7rocprim17ROCPRIM_400000_NS6detail17trampoline_kernelINS0_14default_configENS1_38merge_sort_block_merge_config_selectorIdNS0_10empty_typeEEEZZNS1_27merge_sort_block_merge_implIS3_PdPS5_jNS1_19radix_merge_compareILb0ELb0EdNS0_19identity_decomposerEEEEE10hipError_tT0_T1_T2_jT3_P12ihipStream_tbPNSt15iterator_traitsISE_E10value_typeEPNSK_ISF_E10value_typeEPSG_NS1_7vsmem_tEENKUlT_SE_SF_SG_E_clIS8_S8_S9_S9_EESD_ST_SE_SF_SG_EUlST_E1_NS1_11comp_targetILNS1_3genE2ELNS1_11target_archE906ELNS1_3gpuE6ELNS1_3repE0EEENS1_36merge_oddeven_config_static_selectorELNS0_4arch9wavefront6targetE1EEEvSF_
    .private_segment_fixed_size: 0
    .sgpr_count:     4
    .sgpr_spill_count: 0
    .symbol:         _ZN7rocprim17ROCPRIM_400000_NS6detail17trampoline_kernelINS0_14default_configENS1_38merge_sort_block_merge_config_selectorIdNS0_10empty_typeEEEZZNS1_27merge_sort_block_merge_implIS3_PdPS5_jNS1_19radix_merge_compareILb0ELb0EdNS0_19identity_decomposerEEEEE10hipError_tT0_T1_T2_jT3_P12ihipStream_tbPNSt15iterator_traitsISE_E10value_typeEPNSK_ISF_E10value_typeEPSG_NS1_7vsmem_tEENKUlT_SE_SF_SG_E_clIS8_S8_S9_S9_EESD_ST_SE_SF_SG_EUlST_E1_NS1_11comp_targetILNS1_3genE2ELNS1_11target_archE906ELNS1_3gpuE6ELNS1_3repE0EEENS1_36merge_oddeven_config_static_selectorELNS0_4arch9wavefront6targetE1EEEvSF_.kd
    .uniform_work_group_size: 1
    .uses_dynamic_stack: false
    .vgpr_count:     0
    .vgpr_spill_count: 0
    .wavefront_size: 64
  - .agpr_count:     0
    .args:
      - .offset:         0
        .size:           48
        .value_kind:     by_value
    .group_segment_fixed_size: 0
    .kernarg_segment_align: 8
    .kernarg_segment_size: 48
    .language:       OpenCL C
    .language_version:
      - 2
      - 0
    .max_flat_workgroup_size: 256
    .name:           _ZN7rocprim17ROCPRIM_400000_NS6detail17trampoline_kernelINS0_14default_configENS1_38merge_sort_block_merge_config_selectorIdNS0_10empty_typeEEEZZNS1_27merge_sort_block_merge_implIS3_PdPS5_jNS1_19radix_merge_compareILb0ELb0EdNS0_19identity_decomposerEEEEE10hipError_tT0_T1_T2_jT3_P12ihipStream_tbPNSt15iterator_traitsISE_E10value_typeEPNSK_ISF_E10value_typeEPSG_NS1_7vsmem_tEENKUlT_SE_SF_SG_E_clIS8_S8_S9_S9_EESD_ST_SE_SF_SG_EUlST_E1_NS1_11comp_targetILNS1_3genE9ELNS1_11target_archE1100ELNS1_3gpuE3ELNS1_3repE0EEENS1_36merge_oddeven_config_static_selectorELNS0_4arch9wavefront6targetE1EEEvSF_
    .private_segment_fixed_size: 0
    .sgpr_count:     4
    .sgpr_spill_count: 0
    .symbol:         _ZN7rocprim17ROCPRIM_400000_NS6detail17trampoline_kernelINS0_14default_configENS1_38merge_sort_block_merge_config_selectorIdNS0_10empty_typeEEEZZNS1_27merge_sort_block_merge_implIS3_PdPS5_jNS1_19radix_merge_compareILb0ELb0EdNS0_19identity_decomposerEEEEE10hipError_tT0_T1_T2_jT3_P12ihipStream_tbPNSt15iterator_traitsISE_E10value_typeEPNSK_ISF_E10value_typeEPSG_NS1_7vsmem_tEENKUlT_SE_SF_SG_E_clIS8_S8_S9_S9_EESD_ST_SE_SF_SG_EUlST_E1_NS1_11comp_targetILNS1_3genE9ELNS1_11target_archE1100ELNS1_3gpuE3ELNS1_3repE0EEENS1_36merge_oddeven_config_static_selectorELNS0_4arch9wavefront6targetE1EEEvSF_.kd
    .uniform_work_group_size: 1
    .uses_dynamic_stack: false
    .vgpr_count:     0
    .vgpr_spill_count: 0
    .wavefront_size: 64
  - .agpr_count:     0
    .args:
      - .offset:         0
        .size:           48
        .value_kind:     by_value
    .group_segment_fixed_size: 0
    .kernarg_segment_align: 8
    .kernarg_segment_size: 48
    .language:       OpenCL C
    .language_version:
      - 2
      - 0
    .max_flat_workgroup_size: 256
    .name:           _ZN7rocprim17ROCPRIM_400000_NS6detail17trampoline_kernelINS0_14default_configENS1_38merge_sort_block_merge_config_selectorIdNS0_10empty_typeEEEZZNS1_27merge_sort_block_merge_implIS3_PdPS5_jNS1_19radix_merge_compareILb0ELb0EdNS0_19identity_decomposerEEEEE10hipError_tT0_T1_T2_jT3_P12ihipStream_tbPNSt15iterator_traitsISE_E10value_typeEPNSK_ISF_E10value_typeEPSG_NS1_7vsmem_tEENKUlT_SE_SF_SG_E_clIS8_S8_S9_S9_EESD_ST_SE_SF_SG_EUlST_E1_NS1_11comp_targetILNS1_3genE8ELNS1_11target_archE1030ELNS1_3gpuE2ELNS1_3repE0EEENS1_36merge_oddeven_config_static_selectorELNS0_4arch9wavefront6targetE1EEEvSF_
    .private_segment_fixed_size: 0
    .sgpr_count:     4
    .sgpr_spill_count: 0
    .symbol:         _ZN7rocprim17ROCPRIM_400000_NS6detail17trampoline_kernelINS0_14default_configENS1_38merge_sort_block_merge_config_selectorIdNS0_10empty_typeEEEZZNS1_27merge_sort_block_merge_implIS3_PdPS5_jNS1_19radix_merge_compareILb0ELb0EdNS0_19identity_decomposerEEEEE10hipError_tT0_T1_T2_jT3_P12ihipStream_tbPNSt15iterator_traitsISE_E10value_typeEPNSK_ISF_E10value_typeEPSG_NS1_7vsmem_tEENKUlT_SE_SF_SG_E_clIS8_S8_S9_S9_EESD_ST_SE_SF_SG_EUlST_E1_NS1_11comp_targetILNS1_3genE8ELNS1_11target_archE1030ELNS1_3gpuE2ELNS1_3repE0EEENS1_36merge_oddeven_config_static_selectorELNS0_4arch9wavefront6targetE1EEEvSF_.kd
    .uniform_work_group_size: 1
    .uses_dynamic_stack: false
    .vgpr_count:     0
    .vgpr_spill_count: 0
    .wavefront_size: 64
  - .agpr_count:     0
    .args:
      - .offset:         0
        .size:           40
        .value_kind:     by_value
    .group_segment_fixed_size: 0
    .kernarg_segment_align: 8
    .kernarg_segment_size: 40
    .language:       OpenCL C
    .language_version:
      - 2
      - 0
    .max_flat_workgroup_size: 128
    .name:           _ZN7rocprim17ROCPRIM_400000_NS6detail17trampoline_kernelINS0_14default_configENS1_25transform_config_selectorIdLb1EEEZNS1_14transform_implILb1ES3_S5_PdS7_NS0_8identityIdEEEE10hipError_tT2_T3_mT4_P12ihipStream_tbEUlT_E_NS1_11comp_targetILNS1_3genE0ELNS1_11target_archE4294967295ELNS1_3gpuE0ELNS1_3repE0EEENS1_30default_config_static_selectorELNS0_4arch9wavefront6targetE1EEEvT1_
    .private_segment_fixed_size: 0
    .sgpr_count:     4
    .sgpr_spill_count: 0
    .symbol:         _ZN7rocprim17ROCPRIM_400000_NS6detail17trampoline_kernelINS0_14default_configENS1_25transform_config_selectorIdLb1EEEZNS1_14transform_implILb1ES3_S5_PdS7_NS0_8identityIdEEEE10hipError_tT2_T3_mT4_P12ihipStream_tbEUlT_E_NS1_11comp_targetILNS1_3genE0ELNS1_11target_archE4294967295ELNS1_3gpuE0ELNS1_3repE0EEENS1_30default_config_static_selectorELNS0_4arch9wavefront6targetE1EEEvT1_.kd
    .uniform_work_group_size: 1
    .uses_dynamic_stack: false
    .vgpr_count:     0
    .vgpr_spill_count: 0
    .wavefront_size: 64
  - .agpr_count:     0
    .args:
      - .offset:         0
        .size:           40
        .value_kind:     by_value
    .group_segment_fixed_size: 0
    .kernarg_segment_align: 8
    .kernarg_segment_size: 40
    .language:       OpenCL C
    .language_version:
      - 2
      - 0
    .max_flat_workgroup_size: 1024
    .name:           _ZN7rocprim17ROCPRIM_400000_NS6detail17trampoline_kernelINS0_14default_configENS1_25transform_config_selectorIdLb1EEEZNS1_14transform_implILb1ES3_S5_PdS7_NS0_8identityIdEEEE10hipError_tT2_T3_mT4_P12ihipStream_tbEUlT_E_NS1_11comp_targetILNS1_3genE10ELNS1_11target_archE1201ELNS1_3gpuE5ELNS1_3repE0EEENS1_30default_config_static_selectorELNS0_4arch9wavefront6targetE1EEEvT1_
    .private_segment_fixed_size: 0
    .sgpr_count:     4
    .sgpr_spill_count: 0
    .symbol:         _ZN7rocprim17ROCPRIM_400000_NS6detail17trampoline_kernelINS0_14default_configENS1_25transform_config_selectorIdLb1EEEZNS1_14transform_implILb1ES3_S5_PdS7_NS0_8identityIdEEEE10hipError_tT2_T3_mT4_P12ihipStream_tbEUlT_E_NS1_11comp_targetILNS1_3genE10ELNS1_11target_archE1201ELNS1_3gpuE5ELNS1_3repE0EEENS1_30default_config_static_selectorELNS0_4arch9wavefront6targetE1EEEvT1_.kd
    .uniform_work_group_size: 1
    .uses_dynamic_stack: false
    .vgpr_count:     0
    .vgpr_spill_count: 0
    .wavefront_size: 64
  - .agpr_count:     0
    .args:
      - .offset:         0
        .size:           40
        .value_kind:     by_value
    .group_segment_fixed_size: 0
    .kernarg_segment_align: 8
    .kernarg_segment_size: 40
    .language:       OpenCL C
    .language_version:
      - 2
      - 0
    .max_flat_workgroup_size: 1024
    .name:           _ZN7rocprim17ROCPRIM_400000_NS6detail17trampoline_kernelINS0_14default_configENS1_25transform_config_selectorIdLb1EEEZNS1_14transform_implILb1ES3_S5_PdS7_NS0_8identityIdEEEE10hipError_tT2_T3_mT4_P12ihipStream_tbEUlT_E_NS1_11comp_targetILNS1_3genE5ELNS1_11target_archE942ELNS1_3gpuE9ELNS1_3repE0EEENS1_30default_config_static_selectorELNS0_4arch9wavefront6targetE1EEEvT1_
    .private_segment_fixed_size: 0
    .sgpr_count:     4
    .sgpr_spill_count: 0
    .symbol:         _ZN7rocprim17ROCPRIM_400000_NS6detail17trampoline_kernelINS0_14default_configENS1_25transform_config_selectorIdLb1EEEZNS1_14transform_implILb1ES3_S5_PdS7_NS0_8identityIdEEEE10hipError_tT2_T3_mT4_P12ihipStream_tbEUlT_E_NS1_11comp_targetILNS1_3genE5ELNS1_11target_archE942ELNS1_3gpuE9ELNS1_3repE0EEENS1_30default_config_static_selectorELNS0_4arch9wavefront6targetE1EEEvT1_.kd
    .uniform_work_group_size: 1
    .uses_dynamic_stack: false
    .vgpr_count:     0
    .vgpr_spill_count: 0
    .wavefront_size: 64
  - .agpr_count:     0
    .args:
      - .offset:         0
        .size:           40
        .value_kind:     by_value
      - .offset:         40
        .size:           4
        .value_kind:     hidden_block_count_x
      - .offset:         44
        .size:           4
        .value_kind:     hidden_block_count_y
      - .offset:         48
        .size:           4
        .value_kind:     hidden_block_count_z
      - .offset:         52
        .size:           2
        .value_kind:     hidden_group_size_x
      - .offset:         54
        .size:           2
        .value_kind:     hidden_group_size_y
      - .offset:         56
        .size:           2
        .value_kind:     hidden_group_size_z
      - .offset:         58
        .size:           2
        .value_kind:     hidden_remainder_x
      - .offset:         60
        .size:           2
        .value_kind:     hidden_remainder_y
      - .offset:         62
        .size:           2
        .value_kind:     hidden_remainder_z
      - .offset:         80
        .size:           8
        .value_kind:     hidden_global_offset_x
      - .offset:         88
        .size:           8
        .value_kind:     hidden_global_offset_y
      - .offset:         96
        .size:           8
        .value_kind:     hidden_global_offset_z
      - .offset:         104
        .size:           2
        .value_kind:     hidden_grid_dims
    .group_segment_fixed_size: 0
    .kernarg_segment_align: 8
    .kernarg_segment_size: 296
    .language:       OpenCL C
    .language_version:
      - 2
      - 0
    .max_flat_workgroup_size: 1024
    .name:           _ZN7rocprim17ROCPRIM_400000_NS6detail17trampoline_kernelINS0_14default_configENS1_25transform_config_selectorIdLb1EEEZNS1_14transform_implILb1ES3_S5_PdS7_NS0_8identityIdEEEE10hipError_tT2_T3_mT4_P12ihipStream_tbEUlT_E_NS1_11comp_targetILNS1_3genE4ELNS1_11target_archE910ELNS1_3gpuE8ELNS1_3repE0EEENS1_30default_config_static_selectorELNS0_4arch9wavefront6targetE1EEEvT1_
    .private_segment_fixed_size: 0
    .sgpr_count:     20
    .sgpr_spill_count: 0
    .symbol:         _ZN7rocprim17ROCPRIM_400000_NS6detail17trampoline_kernelINS0_14default_configENS1_25transform_config_selectorIdLb1EEEZNS1_14transform_implILb1ES3_S5_PdS7_NS0_8identityIdEEEE10hipError_tT2_T3_mT4_P12ihipStream_tbEUlT_E_NS1_11comp_targetILNS1_3genE4ELNS1_11target_archE910ELNS1_3gpuE8ELNS1_3repE0EEENS1_30default_config_static_selectorELNS0_4arch9wavefront6targetE1EEEvT1_.kd
    .uniform_work_group_size: 1
    .uses_dynamic_stack: false
    .vgpr_count:     7
    .vgpr_spill_count: 0
    .wavefront_size: 64
  - .agpr_count:     0
    .args:
      - .offset:         0
        .size:           40
        .value_kind:     by_value
    .group_segment_fixed_size: 0
    .kernarg_segment_align: 8
    .kernarg_segment_size: 40
    .language:       OpenCL C
    .language_version:
      - 2
      - 0
    .max_flat_workgroup_size: 128
    .name:           _ZN7rocprim17ROCPRIM_400000_NS6detail17trampoline_kernelINS0_14default_configENS1_25transform_config_selectorIdLb1EEEZNS1_14transform_implILb1ES3_S5_PdS7_NS0_8identityIdEEEE10hipError_tT2_T3_mT4_P12ihipStream_tbEUlT_E_NS1_11comp_targetILNS1_3genE3ELNS1_11target_archE908ELNS1_3gpuE7ELNS1_3repE0EEENS1_30default_config_static_selectorELNS0_4arch9wavefront6targetE1EEEvT1_
    .private_segment_fixed_size: 0
    .sgpr_count:     4
    .sgpr_spill_count: 0
    .symbol:         _ZN7rocprim17ROCPRIM_400000_NS6detail17trampoline_kernelINS0_14default_configENS1_25transform_config_selectorIdLb1EEEZNS1_14transform_implILb1ES3_S5_PdS7_NS0_8identityIdEEEE10hipError_tT2_T3_mT4_P12ihipStream_tbEUlT_E_NS1_11comp_targetILNS1_3genE3ELNS1_11target_archE908ELNS1_3gpuE7ELNS1_3repE0EEENS1_30default_config_static_selectorELNS0_4arch9wavefront6targetE1EEEvT1_.kd
    .uniform_work_group_size: 1
    .uses_dynamic_stack: false
    .vgpr_count:     0
    .vgpr_spill_count: 0
    .wavefront_size: 64
  - .agpr_count:     0
    .args:
      - .offset:         0
        .size:           40
        .value_kind:     by_value
    .group_segment_fixed_size: 0
    .kernarg_segment_align: 8
    .kernarg_segment_size: 40
    .language:       OpenCL C
    .language_version:
      - 2
      - 0
    .max_flat_workgroup_size: 1024
    .name:           _ZN7rocprim17ROCPRIM_400000_NS6detail17trampoline_kernelINS0_14default_configENS1_25transform_config_selectorIdLb1EEEZNS1_14transform_implILb1ES3_S5_PdS7_NS0_8identityIdEEEE10hipError_tT2_T3_mT4_P12ihipStream_tbEUlT_E_NS1_11comp_targetILNS1_3genE2ELNS1_11target_archE906ELNS1_3gpuE6ELNS1_3repE0EEENS1_30default_config_static_selectorELNS0_4arch9wavefront6targetE1EEEvT1_
    .private_segment_fixed_size: 0
    .sgpr_count:     4
    .sgpr_spill_count: 0
    .symbol:         _ZN7rocprim17ROCPRIM_400000_NS6detail17trampoline_kernelINS0_14default_configENS1_25transform_config_selectorIdLb1EEEZNS1_14transform_implILb1ES3_S5_PdS7_NS0_8identityIdEEEE10hipError_tT2_T3_mT4_P12ihipStream_tbEUlT_E_NS1_11comp_targetILNS1_3genE2ELNS1_11target_archE906ELNS1_3gpuE6ELNS1_3repE0EEENS1_30default_config_static_selectorELNS0_4arch9wavefront6targetE1EEEvT1_.kd
    .uniform_work_group_size: 1
    .uses_dynamic_stack: false
    .vgpr_count:     0
    .vgpr_spill_count: 0
    .wavefront_size: 64
  - .agpr_count:     0
    .args:
      - .offset:         0
        .size:           40
        .value_kind:     by_value
    .group_segment_fixed_size: 0
    .kernarg_segment_align: 8
    .kernarg_segment_size: 40
    .language:       OpenCL C
    .language_version:
      - 2
      - 0
    .max_flat_workgroup_size: 1024
    .name:           _ZN7rocprim17ROCPRIM_400000_NS6detail17trampoline_kernelINS0_14default_configENS1_25transform_config_selectorIdLb1EEEZNS1_14transform_implILb1ES3_S5_PdS7_NS0_8identityIdEEEE10hipError_tT2_T3_mT4_P12ihipStream_tbEUlT_E_NS1_11comp_targetILNS1_3genE9ELNS1_11target_archE1100ELNS1_3gpuE3ELNS1_3repE0EEENS1_30default_config_static_selectorELNS0_4arch9wavefront6targetE1EEEvT1_
    .private_segment_fixed_size: 0
    .sgpr_count:     4
    .sgpr_spill_count: 0
    .symbol:         _ZN7rocprim17ROCPRIM_400000_NS6detail17trampoline_kernelINS0_14default_configENS1_25transform_config_selectorIdLb1EEEZNS1_14transform_implILb1ES3_S5_PdS7_NS0_8identityIdEEEE10hipError_tT2_T3_mT4_P12ihipStream_tbEUlT_E_NS1_11comp_targetILNS1_3genE9ELNS1_11target_archE1100ELNS1_3gpuE3ELNS1_3repE0EEENS1_30default_config_static_selectorELNS0_4arch9wavefront6targetE1EEEvT1_.kd
    .uniform_work_group_size: 1
    .uses_dynamic_stack: false
    .vgpr_count:     0
    .vgpr_spill_count: 0
    .wavefront_size: 64
  - .agpr_count:     0
    .args:
      - .offset:         0
        .size:           40
        .value_kind:     by_value
    .group_segment_fixed_size: 0
    .kernarg_segment_align: 8
    .kernarg_segment_size: 40
    .language:       OpenCL C
    .language_version:
      - 2
      - 0
    .max_flat_workgroup_size: 1024
    .name:           _ZN7rocprim17ROCPRIM_400000_NS6detail17trampoline_kernelINS0_14default_configENS1_25transform_config_selectorIdLb1EEEZNS1_14transform_implILb1ES3_S5_PdS7_NS0_8identityIdEEEE10hipError_tT2_T3_mT4_P12ihipStream_tbEUlT_E_NS1_11comp_targetILNS1_3genE8ELNS1_11target_archE1030ELNS1_3gpuE2ELNS1_3repE0EEENS1_30default_config_static_selectorELNS0_4arch9wavefront6targetE1EEEvT1_
    .private_segment_fixed_size: 0
    .sgpr_count:     4
    .sgpr_spill_count: 0
    .symbol:         _ZN7rocprim17ROCPRIM_400000_NS6detail17trampoline_kernelINS0_14default_configENS1_25transform_config_selectorIdLb1EEEZNS1_14transform_implILb1ES3_S5_PdS7_NS0_8identityIdEEEE10hipError_tT2_T3_mT4_P12ihipStream_tbEUlT_E_NS1_11comp_targetILNS1_3genE8ELNS1_11target_archE1030ELNS1_3gpuE2ELNS1_3repE0EEENS1_30default_config_static_selectorELNS0_4arch9wavefront6targetE1EEEvT1_.kd
    .uniform_work_group_size: 1
    .uses_dynamic_stack: false
    .vgpr_count:     0
    .vgpr_spill_count: 0
    .wavefront_size: 64
  - .agpr_count:     0
    .args:
      - .offset:         0
        .size:           48
        .value_kind:     by_value
    .group_segment_fixed_size: 0
    .kernarg_segment_align: 8
    .kernarg_segment_size: 48
    .language:       OpenCL C
    .language_version:
      - 2
      - 0
    .max_flat_workgroup_size: 512
    .name:           _ZN7rocprim17ROCPRIM_400000_NS6detail17trampoline_kernelINS0_14default_configENS1_35radix_sort_onesweep_config_selectorIdNS0_10empty_typeEEEZNS1_34radix_sort_onesweep_global_offsetsIS3_Lb0EPdPS5_mNS0_19identity_decomposerEEE10hipError_tT1_T2_PT3_SE_jT4_jjP12ihipStream_tbEUlT_E_NS1_11comp_targetILNS1_3genE0ELNS1_11target_archE4294967295ELNS1_3gpuE0ELNS1_3repE0EEENS1_52radix_sort_onesweep_histogram_config_static_selectorELNS0_4arch9wavefront6targetE1EEEvSC_
    .private_segment_fixed_size: 0
    .sgpr_count:     4
    .sgpr_spill_count: 0
    .symbol:         _ZN7rocprim17ROCPRIM_400000_NS6detail17trampoline_kernelINS0_14default_configENS1_35radix_sort_onesweep_config_selectorIdNS0_10empty_typeEEEZNS1_34radix_sort_onesweep_global_offsetsIS3_Lb0EPdPS5_mNS0_19identity_decomposerEEE10hipError_tT1_T2_PT3_SE_jT4_jjP12ihipStream_tbEUlT_E_NS1_11comp_targetILNS1_3genE0ELNS1_11target_archE4294967295ELNS1_3gpuE0ELNS1_3repE0EEENS1_52radix_sort_onesweep_histogram_config_static_selectorELNS0_4arch9wavefront6targetE1EEEvSC_.kd
    .uniform_work_group_size: 1
    .uses_dynamic_stack: false
    .vgpr_count:     0
    .vgpr_spill_count: 0
    .wavefront_size: 64
  - .agpr_count:     0
    .args:
      - .offset:         0
        .size:           48
        .value_kind:     by_value
    .group_segment_fixed_size: 0
    .kernarg_segment_align: 8
    .kernarg_segment_size: 48
    .language:       OpenCL C
    .language_version:
      - 2
      - 0
    .max_flat_workgroup_size: 512
    .name:           _ZN7rocprim17ROCPRIM_400000_NS6detail17trampoline_kernelINS0_14default_configENS1_35radix_sort_onesweep_config_selectorIdNS0_10empty_typeEEEZNS1_34radix_sort_onesweep_global_offsetsIS3_Lb0EPdPS5_mNS0_19identity_decomposerEEE10hipError_tT1_T2_PT3_SE_jT4_jjP12ihipStream_tbEUlT_E_NS1_11comp_targetILNS1_3genE6ELNS1_11target_archE950ELNS1_3gpuE13ELNS1_3repE0EEENS1_52radix_sort_onesweep_histogram_config_static_selectorELNS0_4arch9wavefront6targetE1EEEvSC_
    .private_segment_fixed_size: 0
    .sgpr_count:     4
    .sgpr_spill_count: 0
    .symbol:         _ZN7rocprim17ROCPRIM_400000_NS6detail17trampoline_kernelINS0_14default_configENS1_35radix_sort_onesweep_config_selectorIdNS0_10empty_typeEEEZNS1_34radix_sort_onesweep_global_offsetsIS3_Lb0EPdPS5_mNS0_19identity_decomposerEEE10hipError_tT1_T2_PT3_SE_jT4_jjP12ihipStream_tbEUlT_E_NS1_11comp_targetILNS1_3genE6ELNS1_11target_archE950ELNS1_3gpuE13ELNS1_3repE0EEENS1_52radix_sort_onesweep_histogram_config_static_selectorELNS0_4arch9wavefront6targetE1EEEvSC_.kd
    .uniform_work_group_size: 1
    .uses_dynamic_stack: false
    .vgpr_count:     0
    .vgpr_spill_count: 0
    .wavefront_size: 64
  - .agpr_count:     0
    .args:
      - .offset:         0
        .size:           48
        .value_kind:     by_value
    .group_segment_fixed_size: 0
    .kernarg_segment_align: 8
    .kernarg_segment_size: 48
    .language:       OpenCL C
    .language_version:
      - 2
      - 0
    .max_flat_workgroup_size: 512
    .name:           _ZN7rocprim17ROCPRIM_400000_NS6detail17trampoline_kernelINS0_14default_configENS1_35radix_sort_onesweep_config_selectorIdNS0_10empty_typeEEEZNS1_34radix_sort_onesweep_global_offsetsIS3_Lb0EPdPS5_mNS0_19identity_decomposerEEE10hipError_tT1_T2_PT3_SE_jT4_jjP12ihipStream_tbEUlT_E_NS1_11comp_targetILNS1_3genE5ELNS1_11target_archE942ELNS1_3gpuE9ELNS1_3repE0EEENS1_52radix_sort_onesweep_histogram_config_static_selectorELNS0_4arch9wavefront6targetE1EEEvSC_
    .private_segment_fixed_size: 0
    .sgpr_count:     4
    .sgpr_spill_count: 0
    .symbol:         _ZN7rocprim17ROCPRIM_400000_NS6detail17trampoline_kernelINS0_14default_configENS1_35radix_sort_onesweep_config_selectorIdNS0_10empty_typeEEEZNS1_34radix_sort_onesweep_global_offsetsIS3_Lb0EPdPS5_mNS0_19identity_decomposerEEE10hipError_tT1_T2_PT3_SE_jT4_jjP12ihipStream_tbEUlT_E_NS1_11comp_targetILNS1_3genE5ELNS1_11target_archE942ELNS1_3gpuE9ELNS1_3repE0EEENS1_52radix_sort_onesweep_histogram_config_static_selectorELNS0_4arch9wavefront6targetE1EEEvSC_.kd
    .uniform_work_group_size: 1
    .uses_dynamic_stack: false
    .vgpr_count:     0
    .vgpr_spill_count: 0
    .wavefront_size: 64
  - .agpr_count:     0
    .args:
      - .offset:         0
        .size:           48
        .value_kind:     by_value
    .group_segment_fixed_size: 0
    .kernarg_segment_align: 8
    .kernarg_segment_size: 48
    .language:       OpenCL C
    .language_version:
      - 2
      - 0
    .max_flat_workgroup_size: 512
    .name:           _ZN7rocprim17ROCPRIM_400000_NS6detail17trampoline_kernelINS0_14default_configENS1_35radix_sort_onesweep_config_selectorIdNS0_10empty_typeEEEZNS1_34radix_sort_onesweep_global_offsetsIS3_Lb0EPdPS5_mNS0_19identity_decomposerEEE10hipError_tT1_T2_PT3_SE_jT4_jjP12ihipStream_tbEUlT_E_NS1_11comp_targetILNS1_3genE2ELNS1_11target_archE906ELNS1_3gpuE6ELNS1_3repE0EEENS1_52radix_sort_onesweep_histogram_config_static_selectorELNS0_4arch9wavefront6targetE1EEEvSC_
    .private_segment_fixed_size: 0
    .sgpr_count:     4
    .sgpr_spill_count: 0
    .symbol:         _ZN7rocprim17ROCPRIM_400000_NS6detail17trampoline_kernelINS0_14default_configENS1_35radix_sort_onesweep_config_selectorIdNS0_10empty_typeEEEZNS1_34radix_sort_onesweep_global_offsetsIS3_Lb0EPdPS5_mNS0_19identity_decomposerEEE10hipError_tT1_T2_PT3_SE_jT4_jjP12ihipStream_tbEUlT_E_NS1_11comp_targetILNS1_3genE2ELNS1_11target_archE906ELNS1_3gpuE6ELNS1_3repE0EEENS1_52radix_sort_onesweep_histogram_config_static_selectorELNS0_4arch9wavefront6targetE1EEEvSC_.kd
    .uniform_work_group_size: 1
    .uses_dynamic_stack: false
    .vgpr_count:     0
    .vgpr_spill_count: 0
    .wavefront_size: 64
  - .agpr_count:     0
    .args:
      - .offset:         0
        .size:           48
        .value_kind:     by_value
    .group_segment_fixed_size: 32768
    .kernarg_segment_align: 8
    .kernarg_segment_size: 48
    .language:       OpenCL C
    .language_version:
      - 2
      - 0
    .max_flat_workgroup_size: 1024
    .name:           _ZN7rocprim17ROCPRIM_400000_NS6detail17trampoline_kernelINS0_14default_configENS1_35radix_sort_onesweep_config_selectorIdNS0_10empty_typeEEEZNS1_34radix_sort_onesweep_global_offsetsIS3_Lb0EPdPS5_mNS0_19identity_decomposerEEE10hipError_tT1_T2_PT3_SE_jT4_jjP12ihipStream_tbEUlT_E_NS1_11comp_targetILNS1_3genE4ELNS1_11target_archE910ELNS1_3gpuE8ELNS1_3repE0EEENS1_52radix_sort_onesweep_histogram_config_static_selectorELNS0_4arch9wavefront6targetE1EEEvSC_
    .private_segment_fixed_size: 0
    .sgpr_count:     22
    .sgpr_spill_count: 0
    .symbol:         _ZN7rocprim17ROCPRIM_400000_NS6detail17trampoline_kernelINS0_14default_configENS1_35radix_sort_onesweep_config_selectorIdNS0_10empty_typeEEEZNS1_34radix_sort_onesweep_global_offsetsIS3_Lb0EPdPS5_mNS0_19identity_decomposerEEE10hipError_tT1_T2_PT3_SE_jT4_jjP12ihipStream_tbEUlT_E_NS1_11comp_targetILNS1_3genE4ELNS1_11target_archE910ELNS1_3gpuE8ELNS1_3repE0EEENS1_52radix_sort_onesweep_histogram_config_static_selectorELNS0_4arch9wavefront6targetE1EEEvSC_.kd
    .uniform_work_group_size: 1
    .uses_dynamic_stack: false
    .vgpr_count:     25
    .vgpr_spill_count: 0
    .wavefront_size: 64
  - .agpr_count:     0
    .args:
      - .offset:         0
        .size:           48
        .value_kind:     by_value
    .group_segment_fixed_size: 0
    .kernarg_segment_align: 8
    .kernarg_segment_size: 48
    .language:       OpenCL C
    .language_version:
      - 2
      - 0
    .max_flat_workgroup_size: 512
    .name:           _ZN7rocprim17ROCPRIM_400000_NS6detail17trampoline_kernelINS0_14default_configENS1_35radix_sort_onesweep_config_selectorIdNS0_10empty_typeEEEZNS1_34radix_sort_onesweep_global_offsetsIS3_Lb0EPdPS5_mNS0_19identity_decomposerEEE10hipError_tT1_T2_PT3_SE_jT4_jjP12ihipStream_tbEUlT_E_NS1_11comp_targetILNS1_3genE3ELNS1_11target_archE908ELNS1_3gpuE7ELNS1_3repE0EEENS1_52radix_sort_onesweep_histogram_config_static_selectorELNS0_4arch9wavefront6targetE1EEEvSC_
    .private_segment_fixed_size: 0
    .sgpr_count:     4
    .sgpr_spill_count: 0
    .symbol:         _ZN7rocprim17ROCPRIM_400000_NS6detail17trampoline_kernelINS0_14default_configENS1_35radix_sort_onesweep_config_selectorIdNS0_10empty_typeEEEZNS1_34radix_sort_onesweep_global_offsetsIS3_Lb0EPdPS5_mNS0_19identity_decomposerEEE10hipError_tT1_T2_PT3_SE_jT4_jjP12ihipStream_tbEUlT_E_NS1_11comp_targetILNS1_3genE3ELNS1_11target_archE908ELNS1_3gpuE7ELNS1_3repE0EEENS1_52radix_sort_onesweep_histogram_config_static_selectorELNS0_4arch9wavefront6targetE1EEEvSC_.kd
    .uniform_work_group_size: 1
    .uses_dynamic_stack: false
    .vgpr_count:     0
    .vgpr_spill_count: 0
    .wavefront_size: 64
  - .agpr_count:     0
    .args:
      - .offset:         0
        .size:           48
        .value_kind:     by_value
    .group_segment_fixed_size: 0
    .kernarg_segment_align: 8
    .kernarg_segment_size: 48
    .language:       OpenCL C
    .language_version:
      - 2
      - 0
    .max_flat_workgroup_size: 512
    .name:           _ZN7rocprim17ROCPRIM_400000_NS6detail17trampoline_kernelINS0_14default_configENS1_35radix_sort_onesweep_config_selectorIdNS0_10empty_typeEEEZNS1_34radix_sort_onesweep_global_offsetsIS3_Lb0EPdPS5_mNS0_19identity_decomposerEEE10hipError_tT1_T2_PT3_SE_jT4_jjP12ihipStream_tbEUlT_E_NS1_11comp_targetILNS1_3genE10ELNS1_11target_archE1201ELNS1_3gpuE5ELNS1_3repE0EEENS1_52radix_sort_onesweep_histogram_config_static_selectorELNS0_4arch9wavefront6targetE1EEEvSC_
    .private_segment_fixed_size: 0
    .sgpr_count:     4
    .sgpr_spill_count: 0
    .symbol:         _ZN7rocprim17ROCPRIM_400000_NS6detail17trampoline_kernelINS0_14default_configENS1_35radix_sort_onesweep_config_selectorIdNS0_10empty_typeEEEZNS1_34radix_sort_onesweep_global_offsetsIS3_Lb0EPdPS5_mNS0_19identity_decomposerEEE10hipError_tT1_T2_PT3_SE_jT4_jjP12ihipStream_tbEUlT_E_NS1_11comp_targetILNS1_3genE10ELNS1_11target_archE1201ELNS1_3gpuE5ELNS1_3repE0EEENS1_52radix_sort_onesweep_histogram_config_static_selectorELNS0_4arch9wavefront6targetE1EEEvSC_.kd
    .uniform_work_group_size: 1
    .uses_dynamic_stack: false
    .vgpr_count:     0
    .vgpr_spill_count: 0
    .wavefront_size: 64
  - .agpr_count:     0
    .args:
      - .offset:         0
        .size:           48
        .value_kind:     by_value
    .group_segment_fixed_size: 0
    .kernarg_segment_align: 8
    .kernarg_segment_size: 48
    .language:       OpenCL C
    .language_version:
      - 2
      - 0
    .max_flat_workgroup_size: 1024
    .name:           _ZN7rocprim17ROCPRIM_400000_NS6detail17trampoline_kernelINS0_14default_configENS1_35radix_sort_onesweep_config_selectorIdNS0_10empty_typeEEEZNS1_34radix_sort_onesweep_global_offsetsIS3_Lb0EPdPS5_mNS0_19identity_decomposerEEE10hipError_tT1_T2_PT3_SE_jT4_jjP12ihipStream_tbEUlT_E_NS1_11comp_targetILNS1_3genE9ELNS1_11target_archE1100ELNS1_3gpuE3ELNS1_3repE0EEENS1_52radix_sort_onesweep_histogram_config_static_selectorELNS0_4arch9wavefront6targetE1EEEvSC_
    .private_segment_fixed_size: 0
    .sgpr_count:     4
    .sgpr_spill_count: 0
    .symbol:         _ZN7rocprim17ROCPRIM_400000_NS6detail17trampoline_kernelINS0_14default_configENS1_35radix_sort_onesweep_config_selectorIdNS0_10empty_typeEEEZNS1_34radix_sort_onesweep_global_offsetsIS3_Lb0EPdPS5_mNS0_19identity_decomposerEEE10hipError_tT1_T2_PT3_SE_jT4_jjP12ihipStream_tbEUlT_E_NS1_11comp_targetILNS1_3genE9ELNS1_11target_archE1100ELNS1_3gpuE3ELNS1_3repE0EEENS1_52radix_sort_onesweep_histogram_config_static_selectorELNS0_4arch9wavefront6targetE1EEEvSC_.kd
    .uniform_work_group_size: 1
    .uses_dynamic_stack: false
    .vgpr_count:     0
    .vgpr_spill_count: 0
    .wavefront_size: 64
  - .agpr_count:     0
    .args:
      - .offset:         0
        .size:           48
        .value_kind:     by_value
    .group_segment_fixed_size: 0
    .kernarg_segment_align: 8
    .kernarg_segment_size: 48
    .language:       OpenCL C
    .language_version:
      - 2
      - 0
    .max_flat_workgroup_size: 1024
    .name:           _ZN7rocprim17ROCPRIM_400000_NS6detail17trampoline_kernelINS0_14default_configENS1_35radix_sort_onesweep_config_selectorIdNS0_10empty_typeEEEZNS1_34radix_sort_onesweep_global_offsetsIS3_Lb0EPdPS5_mNS0_19identity_decomposerEEE10hipError_tT1_T2_PT3_SE_jT4_jjP12ihipStream_tbEUlT_E_NS1_11comp_targetILNS1_3genE8ELNS1_11target_archE1030ELNS1_3gpuE2ELNS1_3repE0EEENS1_52radix_sort_onesweep_histogram_config_static_selectorELNS0_4arch9wavefront6targetE1EEEvSC_
    .private_segment_fixed_size: 0
    .sgpr_count:     4
    .sgpr_spill_count: 0
    .symbol:         _ZN7rocprim17ROCPRIM_400000_NS6detail17trampoline_kernelINS0_14default_configENS1_35radix_sort_onesweep_config_selectorIdNS0_10empty_typeEEEZNS1_34radix_sort_onesweep_global_offsetsIS3_Lb0EPdPS5_mNS0_19identity_decomposerEEE10hipError_tT1_T2_PT3_SE_jT4_jjP12ihipStream_tbEUlT_E_NS1_11comp_targetILNS1_3genE8ELNS1_11target_archE1030ELNS1_3gpuE2ELNS1_3repE0EEENS1_52radix_sort_onesweep_histogram_config_static_selectorELNS0_4arch9wavefront6targetE1EEEvSC_.kd
    .uniform_work_group_size: 1
    .uses_dynamic_stack: false
    .vgpr_count:     0
    .vgpr_spill_count: 0
    .wavefront_size: 64
  - .agpr_count:     0
    .args:
      - .address_space:  global
        .offset:         0
        .size:           8
        .value_kind:     global_buffer
    .group_segment_fixed_size: 0
    .kernarg_segment_align: 8
    .kernarg_segment_size: 8
    .language:       OpenCL C
    .language_version:
      - 2
      - 0
    .max_flat_workgroup_size: 512
    .name:           _ZN7rocprim17ROCPRIM_400000_NS6detail17trampoline_kernelINS0_14default_configENS1_35radix_sort_onesweep_config_selectorIdNS0_10empty_typeEEEZNS1_34radix_sort_onesweep_global_offsetsIS3_Lb0EPdPS5_mNS0_19identity_decomposerEEE10hipError_tT1_T2_PT3_SE_jT4_jjP12ihipStream_tbEUlT_E0_NS1_11comp_targetILNS1_3genE0ELNS1_11target_archE4294967295ELNS1_3gpuE0ELNS1_3repE0EEENS1_52radix_sort_onesweep_histogram_config_static_selectorELNS0_4arch9wavefront6targetE1EEEvSC_
    .private_segment_fixed_size: 0
    .sgpr_count:     4
    .sgpr_spill_count: 0
    .symbol:         _ZN7rocprim17ROCPRIM_400000_NS6detail17trampoline_kernelINS0_14default_configENS1_35radix_sort_onesweep_config_selectorIdNS0_10empty_typeEEEZNS1_34radix_sort_onesweep_global_offsetsIS3_Lb0EPdPS5_mNS0_19identity_decomposerEEE10hipError_tT1_T2_PT3_SE_jT4_jjP12ihipStream_tbEUlT_E0_NS1_11comp_targetILNS1_3genE0ELNS1_11target_archE4294967295ELNS1_3gpuE0ELNS1_3repE0EEENS1_52radix_sort_onesweep_histogram_config_static_selectorELNS0_4arch9wavefront6targetE1EEEvSC_.kd
    .uniform_work_group_size: 1
    .uses_dynamic_stack: false
    .vgpr_count:     0
    .vgpr_spill_count: 0
    .wavefront_size: 64
  - .agpr_count:     0
    .args:
      - .address_space:  global
        .offset:         0
        .size:           8
        .value_kind:     global_buffer
    .group_segment_fixed_size: 0
    .kernarg_segment_align: 8
    .kernarg_segment_size: 8
    .language:       OpenCL C
    .language_version:
      - 2
      - 0
    .max_flat_workgroup_size: 512
    .name:           _ZN7rocprim17ROCPRIM_400000_NS6detail17trampoline_kernelINS0_14default_configENS1_35radix_sort_onesweep_config_selectorIdNS0_10empty_typeEEEZNS1_34radix_sort_onesweep_global_offsetsIS3_Lb0EPdPS5_mNS0_19identity_decomposerEEE10hipError_tT1_T2_PT3_SE_jT4_jjP12ihipStream_tbEUlT_E0_NS1_11comp_targetILNS1_3genE6ELNS1_11target_archE950ELNS1_3gpuE13ELNS1_3repE0EEENS1_52radix_sort_onesweep_histogram_config_static_selectorELNS0_4arch9wavefront6targetE1EEEvSC_
    .private_segment_fixed_size: 0
    .sgpr_count:     4
    .sgpr_spill_count: 0
    .symbol:         _ZN7rocprim17ROCPRIM_400000_NS6detail17trampoline_kernelINS0_14default_configENS1_35radix_sort_onesweep_config_selectorIdNS0_10empty_typeEEEZNS1_34radix_sort_onesweep_global_offsetsIS3_Lb0EPdPS5_mNS0_19identity_decomposerEEE10hipError_tT1_T2_PT3_SE_jT4_jjP12ihipStream_tbEUlT_E0_NS1_11comp_targetILNS1_3genE6ELNS1_11target_archE950ELNS1_3gpuE13ELNS1_3repE0EEENS1_52radix_sort_onesweep_histogram_config_static_selectorELNS0_4arch9wavefront6targetE1EEEvSC_.kd
    .uniform_work_group_size: 1
    .uses_dynamic_stack: false
    .vgpr_count:     0
    .vgpr_spill_count: 0
    .wavefront_size: 64
  - .agpr_count:     0
    .args:
      - .address_space:  global
        .offset:         0
        .size:           8
        .value_kind:     global_buffer
    .group_segment_fixed_size: 0
    .kernarg_segment_align: 8
    .kernarg_segment_size: 8
    .language:       OpenCL C
    .language_version:
      - 2
      - 0
    .max_flat_workgroup_size: 512
    .name:           _ZN7rocprim17ROCPRIM_400000_NS6detail17trampoline_kernelINS0_14default_configENS1_35radix_sort_onesweep_config_selectorIdNS0_10empty_typeEEEZNS1_34radix_sort_onesweep_global_offsetsIS3_Lb0EPdPS5_mNS0_19identity_decomposerEEE10hipError_tT1_T2_PT3_SE_jT4_jjP12ihipStream_tbEUlT_E0_NS1_11comp_targetILNS1_3genE5ELNS1_11target_archE942ELNS1_3gpuE9ELNS1_3repE0EEENS1_52radix_sort_onesweep_histogram_config_static_selectorELNS0_4arch9wavefront6targetE1EEEvSC_
    .private_segment_fixed_size: 0
    .sgpr_count:     4
    .sgpr_spill_count: 0
    .symbol:         _ZN7rocprim17ROCPRIM_400000_NS6detail17trampoline_kernelINS0_14default_configENS1_35radix_sort_onesweep_config_selectorIdNS0_10empty_typeEEEZNS1_34radix_sort_onesweep_global_offsetsIS3_Lb0EPdPS5_mNS0_19identity_decomposerEEE10hipError_tT1_T2_PT3_SE_jT4_jjP12ihipStream_tbEUlT_E0_NS1_11comp_targetILNS1_3genE5ELNS1_11target_archE942ELNS1_3gpuE9ELNS1_3repE0EEENS1_52radix_sort_onesweep_histogram_config_static_selectorELNS0_4arch9wavefront6targetE1EEEvSC_.kd
    .uniform_work_group_size: 1
    .uses_dynamic_stack: false
    .vgpr_count:     0
    .vgpr_spill_count: 0
    .wavefront_size: 64
  - .agpr_count:     0
    .args:
      - .address_space:  global
        .offset:         0
        .size:           8
        .value_kind:     global_buffer
    .group_segment_fixed_size: 0
    .kernarg_segment_align: 8
    .kernarg_segment_size: 8
    .language:       OpenCL C
    .language_version:
      - 2
      - 0
    .max_flat_workgroup_size: 512
    .name:           _ZN7rocprim17ROCPRIM_400000_NS6detail17trampoline_kernelINS0_14default_configENS1_35radix_sort_onesweep_config_selectorIdNS0_10empty_typeEEEZNS1_34radix_sort_onesweep_global_offsetsIS3_Lb0EPdPS5_mNS0_19identity_decomposerEEE10hipError_tT1_T2_PT3_SE_jT4_jjP12ihipStream_tbEUlT_E0_NS1_11comp_targetILNS1_3genE2ELNS1_11target_archE906ELNS1_3gpuE6ELNS1_3repE0EEENS1_52radix_sort_onesweep_histogram_config_static_selectorELNS0_4arch9wavefront6targetE1EEEvSC_
    .private_segment_fixed_size: 0
    .sgpr_count:     4
    .sgpr_spill_count: 0
    .symbol:         _ZN7rocprim17ROCPRIM_400000_NS6detail17trampoline_kernelINS0_14default_configENS1_35radix_sort_onesweep_config_selectorIdNS0_10empty_typeEEEZNS1_34radix_sort_onesweep_global_offsetsIS3_Lb0EPdPS5_mNS0_19identity_decomposerEEE10hipError_tT1_T2_PT3_SE_jT4_jjP12ihipStream_tbEUlT_E0_NS1_11comp_targetILNS1_3genE2ELNS1_11target_archE906ELNS1_3gpuE6ELNS1_3repE0EEENS1_52radix_sort_onesweep_histogram_config_static_selectorELNS0_4arch9wavefront6targetE1EEEvSC_.kd
    .uniform_work_group_size: 1
    .uses_dynamic_stack: false
    .vgpr_count:     0
    .vgpr_spill_count: 0
    .wavefront_size: 64
  - .agpr_count:     0
    .args:
      - .address_space:  global
        .offset:         0
        .size:           8
        .value_kind:     global_buffer
    .group_segment_fixed_size: 128
    .kernarg_segment_align: 8
    .kernarg_segment_size: 8
    .language:       OpenCL C
    .language_version:
      - 2
      - 0
    .max_flat_workgroup_size: 1024
    .name:           _ZN7rocprim17ROCPRIM_400000_NS6detail17trampoline_kernelINS0_14default_configENS1_35radix_sort_onesweep_config_selectorIdNS0_10empty_typeEEEZNS1_34radix_sort_onesweep_global_offsetsIS3_Lb0EPdPS5_mNS0_19identity_decomposerEEE10hipError_tT1_T2_PT3_SE_jT4_jjP12ihipStream_tbEUlT_E0_NS1_11comp_targetILNS1_3genE4ELNS1_11target_archE910ELNS1_3gpuE8ELNS1_3repE0EEENS1_52radix_sort_onesweep_histogram_config_static_selectorELNS0_4arch9wavefront6targetE1EEEvSC_
    .private_segment_fixed_size: 0
    .sgpr_count:     22
    .sgpr_spill_count: 0
    .symbol:         _ZN7rocprim17ROCPRIM_400000_NS6detail17trampoline_kernelINS0_14default_configENS1_35radix_sort_onesweep_config_selectorIdNS0_10empty_typeEEEZNS1_34radix_sort_onesweep_global_offsetsIS3_Lb0EPdPS5_mNS0_19identity_decomposerEEE10hipError_tT1_T2_PT3_SE_jT4_jjP12ihipStream_tbEUlT_E0_NS1_11comp_targetILNS1_3genE4ELNS1_11target_archE910ELNS1_3gpuE8ELNS1_3repE0EEENS1_52radix_sort_onesweep_histogram_config_static_selectorELNS0_4arch9wavefront6targetE1EEEvSC_.kd
    .uniform_work_group_size: 1
    .uses_dynamic_stack: false
    .vgpr_count:     13
    .vgpr_spill_count: 0
    .wavefront_size: 64
  - .agpr_count:     0
    .args:
      - .address_space:  global
        .offset:         0
        .size:           8
        .value_kind:     global_buffer
    .group_segment_fixed_size: 0
    .kernarg_segment_align: 8
    .kernarg_segment_size: 8
    .language:       OpenCL C
    .language_version:
      - 2
      - 0
    .max_flat_workgroup_size: 512
    .name:           _ZN7rocprim17ROCPRIM_400000_NS6detail17trampoline_kernelINS0_14default_configENS1_35radix_sort_onesweep_config_selectorIdNS0_10empty_typeEEEZNS1_34radix_sort_onesweep_global_offsetsIS3_Lb0EPdPS5_mNS0_19identity_decomposerEEE10hipError_tT1_T2_PT3_SE_jT4_jjP12ihipStream_tbEUlT_E0_NS1_11comp_targetILNS1_3genE3ELNS1_11target_archE908ELNS1_3gpuE7ELNS1_3repE0EEENS1_52radix_sort_onesweep_histogram_config_static_selectorELNS0_4arch9wavefront6targetE1EEEvSC_
    .private_segment_fixed_size: 0
    .sgpr_count:     4
    .sgpr_spill_count: 0
    .symbol:         _ZN7rocprim17ROCPRIM_400000_NS6detail17trampoline_kernelINS0_14default_configENS1_35radix_sort_onesweep_config_selectorIdNS0_10empty_typeEEEZNS1_34radix_sort_onesweep_global_offsetsIS3_Lb0EPdPS5_mNS0_19identity_decomposerEEE10hipError_tT1_T2_PT3_SE_jT4_jjP12ihipStream_tbEUlT_E0_NS1_11comp_targetILNS1_3genE3ELNS1_11target_archE908ELNS1_3gpuE7ELNS1_3repE0EEENS1_52radix_sort_onesweep_histogram_config_static_selectorELNS0_4arch9wavefront6targetE1EEEvSC_.kd
    .uniform_work_group_size: 1
    .uses_dynamic_stack: false
    .vgpr_count:     0
    .vgpr_spill_count: 0
    .wavefront_size: 64
  - .agpr_count:     0
    .args:
      - .address_space:  global
        .offset:         0
        .size:           8
        .value_kind:     global_buffer
    .group_segment_fixed_size: 0
    .kernarg_segment_align: 8
    .kernarg_segment_size: 8
    .language:       OpenCL C
    .language_version:
      - 2
      - 0
    .max_flat_workgroup_size: 512
    .name:           _ZN7rocprim17ROCPRIM_400000_NS6detail17trampoline_kernelINS0_14default_configENS1_35radix_sort_onesweep_config_selectorIdNS0_10empty_typeEEEZNS1_34radix_sort_onesweep_global_offsetsIS3_Lb0EPdPS5_mNS0_19identity_decomposerEEE10hipError_tT1_T2_PT3_SE_jT4_jjP12ihipStream_tbEUlT_E0_NS1_11comp_targetILNS1_3genE10ELNS1_11target_archE1201ELNS1_3gpuE5ELNS1_3repE0EEENS1_52radix_sort_onesweep_histogram_config_static_selectorELNS0_4arch9wavefront6targetE1EEEvSC_
    .private_segment_fixed_size: 0
    .sgpr_count:     4
    .sgpr_spill_count: 0
    .symbol:         _ZN7rocprim17ROCPRIM_400000_NS6detail17trampoline_kernelINS0_14default_configENS1_35radix_sort_onesweep_config_selectorIdNS0_10empty_typeEEEZNS1_34radix_sort_onesweep_global_offsetsIS3_Lb0EPdPS5_mNS0_19identity_decomposerEEE10hipError_tT1_T2_PT3_SE_jT4_jjP12ihipStream_tbEUlT_E0_NS1_11comp_targetILNS1_3genE10ELNS1_11target_archE1201ELNS1_3gpuE5ELNS1_3repE0EEENS1_52radix_sort_onesweep_histogram_config_static_selectorELNS0_4arch9wavefront6targetE1EEEvSC_.kd
    .uniform_work_group_size: 1
    .uses_dynamic_stack: false
    .vgpr_count:     0
    .vgpr_spill_count: 0
    .wavefront_size: 64
  - .agpr_count:     0
    .args:
      - .address_space:  global
        .offset:         0
        .size:           8
        .value_kind:     global_buffer
    .group_segment_fixed_size: 0
    .kernarg_segment_align: 8
    .kernarg_segment_size: 8
    .language:       OpenCL C
    .language_version:
      - 2
      - 0
    .max_flat_workgroup_size: 1024
    .name:           _ZN7rocprim17ROCPRIM_400000_NS6detail17trampoline_kernelINS0_14default_configENS1_35radix_sort_onesweep_config_selectorIdNS0_10empty_typeEEEZNS1_34radix_sort_onesweep_global_offsetsIS3_Lb0EPdPS5_mNS0_19identity_decomposerEEE10hipError_tT1_T2_PT3_SE_jT4_jjP12ihipStream_tbEUlT_E0_NS1_11comp_targetILNS1_3genE9ELNS1_11target_archE1100ELNS1_3gpuE3ELNS1_3repE0EEENS1_52radix_sort_onesweep_histogram_config_static_selectorELNS0_4arch9wavefront6targetE1EEEvSC_
    .private_segment_fixed_size: 0
    .sgpr_count:     4
    .sgpr_spill_count: 0
    .symbol:         _ZN7rocprim17ROCPRIM_400000_NS6detail17trampoline_kernelINS0_14default_configENS1_35radix_sort_onesweep_config_selectorIdNS0_10empty_typeEEEZNS1_34radix_sort_onesweep_global_offsetsIS3_Lb0EPdPS5_mNS0_19identity_decomposerEEE10hipError_tT1_T2_PT3_SE_jT4_jjP12ihipStream_tbEUlT_E0_NS1_11comp_targetILNS1_3genE9ELNS1_11target_archE1100ELNS1_3gpuE3ELNS1_3repE0EEENS1_52radix_sort_onesweep_histogram_config_static_selectorELNS0_4arch9wavefront6targetE1EEEvSC_.kd
    .uniform_work_group_size: 1
    .uses_dynamic_stack: false
    .vgpr_count:     0
    .vgpr_spill_count: 0
    .wavefront_size: 64
  - .agpr_count:     0
    .args:
      - .address_space:  global
        .offset:         0
        .size:           8
        .value_kind:     global_buffer
    .group_segment_fixed_size: 0
    .kernarg_segment_align: 8
    .kernarg_segment_size: 8
    .language:       OpenCL C
    .language_version:
      - 2
      - 0
    .max_flat_workgroup_size: 1024
    .name:           _ZN7rocprim17ROCPRIM_400000_NS6detail17trampoline_kernelINS0_14default_configENS1_35radix_sort_onesweep_config_selectorIdNS0_10empty_typeEEEZNS1_34radix_sort_onesweep_global_offsetsIS3_Lb0EPdPS5_mNS0_19identity_decomposerEEE10hipError_tT1_T2_PT3_SE_jT4_jjP12ihipStream_tbEUlT_E0_NS1_11comp_targetILNS1_3genE8ELNS1_11target_archE1030ELNS1_3gpuE2ELNS1_3repE0EEENS1_52radix_sort_onesweep_histogram_config_static_selectorELNS0_4arch9wavefront6targetE1EEEvSC_
    .private_segment_fixed_size: 0
    .sgpr_count:     4
    .sgpr_spill_count: 0
    .symbol:         _ZN7rocprim17ROCPRIM_400000_NS6detail17trampoline_kernelINS0_14default_configENS1_35radix_sort_onesweep_config_selectorIdNS0_10empty_typeEEEZNS1_34radix_sort_onesweep_global_offsetsIS3_Lb0EPdPS5_mNS0_19identity_decomposerEEE10hipError_tT1_T2_PT3_SE_jT4_jjP12ihipStream_tbEUlT_E0_NS1_11comp_targetILNS1_3genE8ELNS1_11target_archE1030ELNS1_3gpuE2ELNS1_3repE0EEENS1_52radix_sort_onesweep_histogram_config_static_selectorELNS0_4arch9wavefront6targetE1EEEvSC_.kd
    .uniform_work_group_size: 1
    .uses_dynamic_stack: false
    .vgpr_count:     0
    .vgpr_spill_count: 0
    .wavefront_size: 64
  - .agpr_count:     0
    .args:
      - .offset:         0
        .size:           88
        .value_kind:     by_value
    .group_segment_fixed_size: 0
    .kernarg_segment_align: 8
    .kernarg_segment_size: 88
    .language:       OpenCL C
    .language_version:
      - 2
      - 0
    .max_flat_workgroup_size: 512
    .name:           _ZN7rocprim17ROCPRIM_400000_NS6detail17trampoline_kernelINS0_14default_configENS1_35radix_sort_onesweep_config_selectorIdNS0_10empty_typeEEEZZNS1_29radix_sort_onesweep_iterationIS3_Lb0EPdS8_PS5_S9_mNS0_19identity_decomposerENS1_16block_id_wrapperIjLb1EEEEE10hipError_tT1_PNSt15iterator_traitsISE_E10value_typeET2_T3_PNSF_ISK_E10value_typeET4_T5_PSP_SQ_PNS1_23onesweep_lookback_stateEbbT6_jjT7_P12ihipStream_tbENKUlT_T0_SE_SJ_E_clIS8_S8_S9_S9_EEDaSX_SY_SE_SJ_EUlSX_E_NS1_11comp_targetILNS1_3genE0ELNS1_11target_archE4294967295ELNS1_3gpuE0ELNS1_3repE0EEENS1_47radix_sort_onesweep_sort_config_static_selectorELNS0_4arch9wavefront6targetE1EEEvSE_
    .private_segment_fixed_size: 0
    .sgpr_count:     4
    .sgpr_spill_count: 0
    .symbol:         _ZN7rocprim17ROCPRIM_400000_NS6detail17trampoline_kernelINS0_14default_configENS1_35radix_sort_onesweep_config_selectorIdNS0_10empty_typeEEEZZNS1_29radix_sort_onesweep_iterationIS3_Lb0EPdS8_PS5_S9_mNS0_19identity_decomposerENS1_16block_id_wrapperIjLb1EEEEE10hipError_tT1_PNSt15iterator_traitsISE_E10value_typeET2_T3_PNSF_ISK_E10value_typeET4_T5_PSP_SQ_PNS1_23onesweep_lookback_stateEbbT6_jjT7_P12ihipStream_tbENKUlT_T0_SE_SJ_E_clIS8_S8_S9_S9_EEDaSX_SY_SE_SJ_EUlSX_E_NS1_11comp_targetILNS1_3genE0ELNS1_11target_archE4294967295ELNS1_3gpuE0ELNS1_3repE0EEENS1_47radix_sort_onesweep_sort_config_static_selectorELNS0_4arch9wavefront6targetE1EEEvSE_.kd
    .uniform_work_group_size: 1
    .uses_dynamic_stack: false
    .vgpr_count:     0
    .vgpr_spill_count: 0
    .wavefront_size: 64
  - .agpr_count:     0
    .args:
      - .offset:         0
        .size:           88
        .value_kind:     by_value
    .group_segment_fixed_size: 0
    .kernarg_segment_align: 8
    .kernarg_segment_size: 88
    .language:       OpenCL C
    .language_version:
      - 2
      - 0
    .max_flat_workgroup_size: 512
    .name:           _ZN7rocprim17ROCPRIM_400000_NS6detail17trampoline_kernelINS0_14default_configENS1_35radix_sort_onesweep_config_selectorIdNS0_10empty_typeEEEZZNS1_29radix_sort_onesweep_iterationIS3_Lb0EPdS8_PS5_S9_mNS0_19identity_decomposerENS1_16block_id_wrapperIjLb1EEEEE10hipError_tT1_PNSt15iterator_traitsISE_E10value_typeET2_T3_PNSF_ISK_E10value_typeET4_T5_PSP_SQ_PNS1_23onesweep_lookback_stateEbbT6_jjT7_P12ihipStream_tbENKUlT_T0_SE_SJ_E_clIS8_S8_S9_S9_EEDaSX_SY_SE_SJ_EUlSX_E_NS1_11comp_targetILNS1_3genE6ELNS1_11target_archE950ELNS1_3gpuE13ELNS1_3repE0EEENS1_47radix_sort_onesweep_sort_config_static_selectorELNS0_4arch9wavefront6targetE1EEEvSE_
    .private_segment_fixed_size: 0
    .sgpr_count:     4
    .sgpr_spill_count: 0
    .symbol:         _ZN7rocprim17ROCPRIM_400000_NS6detail17trampoline_kernelINS0_14default_configENS1_35radix_sort_onesweep_config_selectorIdNS0_10empty_typeEEEZZNS1_29radix_sort_onesweep_iterationIS3_Lb0EPdS8_PS5_S9_mNS0_19identity_decomposerENS1_16block_id_wrapperIjLb1EEEEE10hipError_tT1_PNSt15iterator_traitsISE_E10value_typeET2_T3_PNSF_ISK_E10value_typeET4_T5_PSP_SQ_PNS1_23onesweep_lookback_stateEbbT6_jjT7_P12ihipStream_tbENKUlT_T0_SE_SJ_E_clIS8_S8_S9_S9_EEDaSX_SY_SE_SJ_EUlSX_E_NS1_11comp_targetILNS1_3genE6ELNS1_11target_archE950ELNS1_3gpuE13ELNS1_3repE0EEENS1_47radix_sort_onesweep_sort_config_static_selectorELNS0_4arch9wavefront6targetE1EEEvSE_.kd
    .uniform_work_group_size: 1
    .uses_dynamic_stack: false
    .vgpr_count:     0
    .vgpr_spill_count: 0
    .wavefront_size: 64
  - .agpr_count:     0
    .args:
      - .offset:         0
        .size:           88
        .value_kind:     by_value
    .group_segment_fixed_size: 0
    .kernarg_segment_align: 8
    .kernarg_segment_size: 88
    .language:       OpenCL C
    .language_version:
      - 2
      - 0
    .max_flat_workgroup_size: 512
    .name:           _ZN7rocprim17ROCPRIM_400000_NS6detail17trampoline_kernelINS0_14default_configENS1_35radix_sort_onesweep_config_selectorIdNS0_10empty_typeEEEZZNS1_29radix_sort_onesweep_iterationIS3_Lb0EPdS8_PS5_S9_mNS0_19identity_decomposerENS1_16block_id_wrapperIjLb1EEEEE10hipError_tT1_PNSt15iterator_traitsISE_E10value_typeET2_T3_PNSF_ISK_E10value_typeET4_T5_PSP_SQ_PNS1_23onesweep_lookback_stateEbbT6_jjT7_P12ihipStream_tbENKUlT_T0_SE_SJ_E_clIS8_S8_S9_S9_EEDaSX_SY_SE_SJ_EUlSX_E_NS1_11comp_targetILNS1_3genE5ELNS1_11target_archE942ELNS1_3gpuE9ELNS1_3repE0EEENS1_47radix_sort_onesweep_sort_config_static_selectorELNS0_4arch9wavefront6targetE1EEEvSE_
    .private_segment_fixed_size: 0
    .sgpr_count:     4
    .sgpr_spill_count: 0
    .symbol:         _ZN7rocprim17ROCPRIM_400000_NS6detail17trampoline_kernelINS0_14default_configENS1_35radix_sort_onesweep_config_selectorIdNS0_10empty_typeEEEZZNS1_29radix_sort_onesweep_iterationIS3_Lb0EPdS8_PS5_S9_mNS0_19identity_decomposerENS1_16block_id_wrapperIjLb1EEEEE10hipError_tT1_PNSt15iterator_traitsISE_E10value_typeET2_T3_PNSF_ISK_E10value_typeET4_T5_PSP_SQ_PNS1_23onesweep_lookback_stateEbbT6_jjT7_P12ihipStream_tbENKUlT_T0_SE_SJ_E_clIS8_S8_S9_S9_EEDaSX_SY_SE_SJ_EUlSX_E_NS1_11comp_targetILNS1_3genE5ELNS1_11target_archE942ELNS1_3gpuE9ELNS1_3repE0EEENS1_47radix_sort_onesweep_sort_config_static_selectorELNS0_4arch9wavefront6targetE1EEEvSE_.kd
    .uniform_work_group_size: 1
    .uses_dynamic_stack: false
    .vgpr_count:     0
    .vgpr_spill_count: 0
    .wavefront_size: 64
  - .agpr_count:     0
    .args:
      - .offset:         0
        .size:           88
        .value_kind:     by_value
    .group_segment_fixed_size: 0
    .kernarg_segment_align: 8
    .kernarg_segment_size: 88
    .language:       OpenCL C
    .language_version:
      - 2
      - 0
    .max_flat_workgroup_size: 512
    .name:           _ZN7rocprim17ROCPRIM_400000_NS6detail17trampoline_kernelINS0_14default_configENS1_35radix_sort_onesweep_config_selectorIdNS0_10empty_typeEEEZZNS1_29radix_sort_onesweep_iterationIS3_Lb0EPdS8_PS5_S9_mNS0_19identity_decomposerENS1_16block_id_wrapperIjLb1EEEEE10hipError_tT1_PNSt15iterator_traitsISE_E10value_typeET2_T3_PNSF_ISK_E10value_typeET4_T5_PSP_SQ_PNS1_23onesweep_lookback_stateEbbT6_jjT7_P12ihipStream_tbENKUlT_T0_SE_SJ_E_clIS8_S8_S9_S9_EEDaSX_SY_SE_SJ_EUlSX_E_NS1_11comp_targetILNS1_3genE2ELNS1_11target_archE906ELNS1_3gpuE6ELNS1_3repE0EEENS1_47radix_sort_onesweep_sort_config_static_selectorELNS0_4arch9wavefront6targetE1EEEvSE_
    .private_segment_fixed_size: 0
    .sgpr_count:     4
    .sgpr_spill_count: 0
    .symbol:         _ZN7rocprim17ROCPRIM_400000_NS6detail17trampoline_kernelINS0_14default_configENS1_35radix_sort_onesweep_config_selectorIdNS0_10empty_typeEEEZZNS1_29radix_sort_onesweep_iterationIS3_Lb0EPdS8_PS5_S9_mNS0_19identity_decomposerENS1_16block_id_wrapperIjLb1EEEEE10hipError_tT1_PNSt15iterator_traitsISE_E10value_typeET2_T3_PNSF_ISK_E10value_typeET4_T5_PSP_SQ_PNS1_23onesweep_lookback_stateEbbT6_jjT7_P12ihipStream_tbENKUlT_T0_SE_SJ_E_clIS8_S8_S9_S9_EEDaSX_SY_SE_SJ_EUlSX_E_NS1_11comp_targetILNS1_3genE2ELNS1_11target_archE906ELNS1_3gpuE6ELNS1_3repE0EEENS1_47radix_sort_onesweep_sort_config_static_selectorELNS0_4arch9wavefront6targetE1EEEvSE_.kd
    .uniform_work_group_size: 1
    .uses_dynamic_stack: false
    .vgpr_count:     0
    .vgpr_spill_count: 0
    .wavefront_size: 64
  - .agpr_count:     0
    .args:
      - .offset:         0
        .size:           88
        .value_kind:     by_value
      - .offset:         88
        .size:           4
        .value_kind:     hidden_block_count_x
      - .offset:         92
        .size:           4
        .value_kind:     hidden_block_count_y
      - .offset:         96
        .size:           4
        .value_kind:     hidden_block_count_z
      - .offset:         100
        .size:           2
        .value_kind:     hidden_group_size_x
      - .offset:         102
        .size:           2
        .value_kind:     hidden_group_size_y
      - .offset:         104
        .size:           2
        .value_kind:     hidden_group_size_z
      - .offset:         106
        .size:           2
        .value_kind:     hidden_remainder_x
      - .offset:         108
        .size:           2
        .value_kind:     hidden_remainder_y
      - .offset:         110
        .size:           2
        .value_kind:     hidden_remainder_z
      - .offset:         128
        .size:           8
        .value_kind:     hidden_global_offset_x
      - .offset:         136
        .size:           8
        .value_kind:     hidden_global_offset_y
      - .offset:         144
        .size:           8
        .value_kind:     hidden_global_offset_z
      - .offset:         152
        .size:           2
        .value_kind:     hidden_grid_dims
    .group_segment_fixed_size: 20552
    .kernarg_segment_align: 8
    .kernarg_segment_size: 344
    .language:       OpenCL C
    .language_version:
      - 2
      - 0
    .max_flat_workgroup_size: 1024
    .name:           _ZN7rocprim17ROCPRIM_400000_NS6detail17trampoline_kernelINS0_14default_configENS1_35radix_sort_onesweep_config_selectorIdNS0_10empty_typeEEEZZNS1_29radix_sort_onesweep_iterationIS3_Lb0EPdS8_PS5_S9_mNS0_19identity_decomposerENS1_16block_id_wrapperIjLb1EEEEE10hipError_tT1_PNSt15iterator_traitsISE_E10value_typeET2_T3_PNSF_ISK_E10value_typeET4_T5_PSP_SQ_PNS1_23onesweep_lookback_stateEbbT6_jjT7_P12ihipStream_tbENKUlT_T0_SE_SJ_E_clIS8_S8_S9_S9_EEDaSX_SY_SE_SJ_EUlSX_E_NS1_11comp_targetILNS1_3genE4ELNS1_11target_archE910ELNS1_3gpuE8ELNS1_3repE0EEENS1_47radix_sort_onesweep_sort_config_static_selectorELNS0_4arch9wavefront6targetE1EEEvSE_
    .private_segment_fixed_size: 0
    .sgpr_count:     39
    .sgpr_spill_count: 0
    .symbol:         _ZN7rocprim17ROCPRIM_400000_NS6detail17trampoline_kernelINS0_14default_configENS1_35radix_sort_onesweep_config_selectorIdNS0_10empty_typeEEEZZNS1_29radix_sort_onesweep_iterationIS3_Lb0EPdS8_PS5_S9_mNS0_19identity_decomposerENS1_16block_id_wrapperIjLb1EEEEE10hipError_tT1_PNSt15iterator_traitsISE_E10value_typeET2_T3_PNSF_ISK_E10value_typeET4_T5_PSP_SQ_PNS1_23onesweep_lookback_stateEbbT6_jjT7_P12ihipStream_tbENKUlT_T0_SE_SJ_E_clIS8_S8_S9_S9_EEDaSX_SY_SE_SJ_EUlSX_E_NS1_11comp_targetILNS1_3genE4ELNS1_11target_archE910ELNS1_3gpuE8ELNS1_3repE0EEENS1_47radix_sort_onesweep_sort_config_static_selectorELNS0_4arch9wavefront6targetE1EEEvSE_.kd
    .uniform_work_group_size: 1
    .uses_dynamic_stack: false
    .vgpr_count:     44
    .vgpr_spill_count: 0
    .wavefront_size: 64
  - .agpr_count:     0
    .args:
      - .offset:         0
        .size:           88
        .value_kind:     by_value
    .group_segment_fixed_size: 0
    .kernarg_segment_align: 8
    .kernarg_segment_size: 88
    .language:       OpenCL C
    .language_version:
      - 2
      - 0
    .max_flat_workgroup_size: 512
    .name:           _ZN7rocprim17ROCPRIM_400000_NS6detail17trampoline_kernelINS0_14default_configENS1_35radix_sort_onesweep_config_selectorIdNS0_10empty_typeEEEZZNS1_29radix_sort_onesweep_iterationIS3_Lb0EPdS8_PS5_S9_mNS0_19identity_decomposerENS1_16block_id_wrapperIjLb1EEEEE10hipError_tT1_PNSt15iterator_traitsISE_E10value_typeET2_T3_PNSF_ISK_E10value_typeET4_T5_PSP_SQ_PNS1_23onesweep_lookback_stateEbbT6_jjT7_P12ihipStream_tbENKUlT_T0_SE_SJ_E_clIS8_S8_S9_S9_EEDaSX_SY_SE_SJ_EUlSX_E_NS1_11comp_targetILNS1_3genE3ELNS1_11target_archE908ELNS1_3gpuE7ELNS1_3repE0EEENS1_47radix_sort_onesweep_sort_config_static_selectorELNS0_4arch9wavefront6targetE1EEEvSE_
    .private_segment_fixed_size: 0
    .sgpr_count:     4
    .sgpr_spill_count: 0
    .symbol:         _ZN7rocprim17ROCPRIM_400000_NS6detail17trampoline_kernelINS0_14default_configENS1_35radix_sort_onesweep_config_selectorIdNS0_10empty_typeEEEZZNS1_29radix_sort_onesweep_iterationIS3_Lb0EPdS8_PS5_S9_mNS0_19identity_decomposerENS1_16block_id_wrapperIjLb1EEEEE10hipError_tT1_PNSt15iterator_traitsISE_E10value_typeET2_T3_PNSF_ISK_E10value_typeET4_T5_PSP_SQ_PNS1_23onesweep_lookback_stateEbbT6_jjT7_P12ihipStream_tbENKUlT_T0_SE_SJ_E_clIS8_S8_S9_S9_EEDaSX_SY_SE_SJ_EUlSX_E_NS1_11comp_targetILNS1_3genE3ELNS1_11target_archE908ELNS1_3gpuE7ELNS1_3repE0EEENS1_47radix_sort_onesweep_sort_config_static_selectorELNS0_4arch9wavefront6targetE1EEEvSE_.kd
    .uniform_work_group_size: 1
    .uses_dynamic_stack: false
    .vgpr_count:     0
    .vgpr_spill_count: 0
    .wavefront_size: 64
  - .agpr_count:     0
    .args:
      - .offset:         0
        .size:           88
        .value_kind:     by_value
    .group_segment_fixed_size: 0
    .kernarg_segment_align: 8
    .kernarg_segment_size: 88
    .language:       OpenCL C
    .language_version:
      - 2
      - 0
    .max_flat_workgroup_size: 512
    .name:           _ZN7rocprim17ROCPRIM_400000_NS6detail17trampoline_kernelINS0_14default_configENS1_35radix_sort_onesweep_config_selectorIdNS0_10empty_typeEEEZZNS1_29radix_sort_onesweep_iterationIS3_Lb0EPdS8_PS5_S9_mNS0_19identity_decomposerENS1_16block_id_wrapperIjLb1EEEEE10hipError_tT1_PNSt15iterator_traitsISE_E10value_typeET2_T3_PNSF_ISK_E10value_typeET4_T5_PSP_SQ_PNS1_23onesweep_lookback_stateEbbT6_jjT7_P12ihipStream_tbENKUlT_T0_SE_SJ_E_clIS8_S8_S9_S9_EEDaSX_SY_SE_SJ_EUlSX_E_NS1_11comp_targetILNS1_3genE10ELNS1_11target_archE1201ELNS1_3gpuE5ELNS1_3repE0EEENS1_47radix_sort_onesweep_sort_config_static_selectorELNS0_4arch9wavefront6targetE1EEEvSE_
    .private_segment_fixed_size: 0
    .sgpr_count:     4
    .sgpr_spill_count: 0
    .symbol:         _ZN7rocprim17ROCPRIM_400000_NS6detail17trampoline_kernelINS0_14default_configENS1_35radix_sort_onesweep_config_selectorIdNS0_10empty_typeEEEZZNS1_29radix_sort_onesweep_iterationIS3_Lb0EPdS8_PS5_S9_mNS0_19identity_decomposerENS1_16block_id_wrapperIjLb1EEEEE10hipError_tT1_PNSt15iterator_traitsISE_E10value_typeET2_T3_PNSF_ISK_E10value_typeET4_T5_PSP_SQ_PNS1_23onesweep_lookback_stateEbbT6_jjT7_P12ihipStream_tbENKUlT_T0_SE_SJ_E_clIS8_S8_S9_S9_EEDaSX_SY_SE_SJ_EUlSX_E_NS1_11comp_targetILNS1_3genE10ELNS1_11target_archE1201ELNS1_3gpuE5ELNS1_3repE0EEENS1_47radix_sort_onesweep_sort_config_static_selectorELNS0_4arch9wavefront6targetE1EEEvSE_.kd
    .uniform_work_group_size: 1
    .uses_dynamic_stack: false
    .vgpr_count:     0
    .vgpr_spill_count: 0
    .wavefront_size: 64
  - .agpr_count:     0
    .args:
      - .offset:         0
        .size:           88
        .value_kind:     by_value
    .group_segment_fixed_size: 0
    .kernarg_segment_align: 8
    .kernarg_segment_size: 88
    .language:       OpenCL C
    .language_version:
      - 2
      - 0
    .max_flat_workgroup_size: 1024
    .name:           _ZN7rocprim17ROCPRIM_400000_NS6detail17trampoline_kernelINS0_14default_configENS1_35radix_sort_onesweep_config_selectorIdNS0_10empty_typeEEEZZNS1_29radix_sort_onesweep_iterationIS3_Lb0EPdS8_PS5_S9_mNS0_19identity_decomposerENS1_16block_id_wrapperIjLb1EEEEE10hipError_tT1_PNSt15iterator_traitsISE_E10value_typeET2_T3_PNSF_ISK_E10value_typeET4_T5_PSP_SQ_PNS1_23onesweep_lookback_stateEbbT6_jjT7_P12ihipStream_tbENKUlT_T0_SE_SJ_E_clIS8_S8_S9_S9_EEDaSX_SY_SE_SJ_EUlSX_E_NS1_11comp_targetILNS1_3genE9ELNS1_11target_archE1100ELNS1_3gpuE3ELNS1_3repE0EEENS1_47radix_sort_onesweep_sort_config_static_selectorELNS0_4arch9wavefront6targetE1EEEvSE_
    .private_segment_fixed_size: 0
    .sgpr_count:     4
    .sgpr_spill_count: 0
    .symbol:         _ZN7rocprim17ROCPRIM_400000_NS6detail17trampoline_kernelINS0_14default_configENS1_35radix_sort_onesweep_config_selectorIdNS0_10empty_typeEEEZZNS1_29radix_sort_onesweep_iterationIS3_Lb0EPdS8_PS5_S9_mNS0_19identity_decomposerENS1_16block_id_wrapperIjLb1EEEEE10hipError_tT1_PNSt15iterator_traitsISE_E10value_typeET2_T3_PNSF_ISK_E10value_typeET4_T5_PSP_SQ_PNS1_23onesweep_lookback_stateEbbT6_jjT7_P12ihipStream_tbENKUlT_T0_SE_SJ_E_clIS8_S8_S9_S9_EEDaSX_SY_SE_SJ_EUlSX_E_NS1_11comp_targetILNS1_3genE9ELNS1_11target_archE1100ELNS1_3gpuE3ELNS1_3repE0EEENS1_47radix_sort_onesweep_sort_config_static_selectorELNS0_4arch9wavefront6targetE1EEEvSE_.kd
    .uniform_work_group_size: 1
    .uses_dynamic_stack: false
    .vgpr_count:     0
    .vgpr_spill_count: 0
    .wavefront_size: 64
  - .agpr_count:     0
    .args:
      - .offset:         0
        .size:           88
        .value_kind:     by_value
    .group_segment_fixed_size: 0
    .kernarg_segment_align: 8
    .kernarg_segment_size: 88
    .language:       OpenCL C
    .language_version:
      - 2
      - 0
    .max_flat_workgroup_size: 1024
    .name:           _ZN7rocprim17ROCPRIM_400000_NS6detail17trampoline_kernelINS0_14default_configENS1_35radix_sort_onesweep_config_selectorIdNS0_10empty_typeEEEZZNS1_29radix_sort_onesweep_iterationIS3_Lb0EPdS8_PS5_S9_mNS0_19identity_decomposerENS1_16block_id_wrapperIjLb1EEEEE10hipError_tT1_PNSt15iterator_traitsISE_E10value_typeET2_T3_PNSF_ISK_E10value_typeET4_T5_PSP_SQ_PNS1_23onesweep_lookback_stateEbbT6_jjT7_P12ihipStream_tbENKUlT_T0_SE_SJ_E_clIS8_S8_S9_S9_EEDaSX_SY_SE_SJ_EUlSX_E_NS1_11comp_targetILNS1_3genE8ELNS1_11target_archE1030ELNS1_3gpuE2ELNS1_3repE0EEENS1_47radix_sort_onesweep_sort_config_static_selectorELNS0_4arch9wavefront6targetE1EEEvSE_
    .private_segment_fixed_size: 0
    .sgpr_count:     4
    .sgpr_spill_count: 0
    .symbol:         _ZN7rocprim17ROCPRIM_400000_NS6detail17trampoline_kernelINS0_14default_configENS1_35radix_sort_onesweep_config_selectorIdNS0_10empty_typeEEEZZNS1_29radix_sort_onesweep_iterationIS3_Lb0EPdS8_PS5_S9_mNS0_19identity_decomposerENS1_16block_id_wrapperIjLb1EEEEE10hipError_tT1_PNSt15iterator_traitsISE_E10value_typeET2_T3_PNSF_ISK_E10value_typeET4_T5_PSP_SQ_PNS1_23onesweep_lookback_stateEbbT6_jjT7_P12ihipStream_tbENKUlT_T0_SE_SJ_E_clIS8_S8_S9_S9_EEDaSX_SY_SE_SJ_EUlSX_E_NS1_11comp_targetILNS1_3genE8ELNS1_11target_archE1030ELNS1_3gpuE2ELNS1_3repE0EEENS1_47radix_sort_onesweep_sort_config_static_selectorELNS0_4arch9wavefront6targetE1EEEvSE_.kd
    .uniform_work_group_size: 1
    .uses_dynamic_stack: false
    .vgpr_count:     0
    .vgpr_spill_count: 0
    .wavefront_size: 64
  - .agpr_count:     0
    .args:
      - .offset:         0
        .size:           88
        .value_kind:     by_value
    .group_segment_fixed_size: 0
    .kernarg_segment_align: 8
    .kernarg_segment_size: 88
    .language:       OpenCL C
    .language_version:
      - 2
      - 0
    .max_flat_workgroup_size: 512
    .name:           _ZN7rocprim17ROCPRIM_400000_NS6detail17trampoline_kernelINS0_14default_configENS1_35radix_sort_onesweep_config_selectorIdNS0_10empty_typeEEEZZNS1_29radix_sort_onesweep_iterationIS3_Lb0EPdS8_PS5_S9_mNS0_19identity_decomposerENS1_16block_id_wrapperIjLb0EEEEE10hipError_tT1_PNSt15iterator_traitsISE_E10value_typeET2_T3_PNSF_ISK_E10value_typeET4_T5_PSP_SQ_PNS1_23onesweep_lookback_stateEbbT6_jjT7_P12ihipStream_tbENKUlT_T0_SE_SJ_E_clIS8_S8_S9_S9_EEDaSX_SY_SE_SJ_EUlSX_E_NS1_11comp_targetILNS1_3genE0ELNS1_11target_archE4294967295ELNS1_3gpuE0ELNS1_3repE0EEENS1_47radix_sort_onesweep_sort_config_static_selectorELNS0_4arch9wavefront6targetE1EEEvSE_
    .private_segment_fixed_size: 0
    .sgpr_count:     4
    .sgpr_spill_count: 0
    .symbol:         _ZN7rocprim17ROCPRIM_400000_NS6detail17trampoline_kernelINS0_14default_configENS1_35radix_sort_onesweep_config_selectorIdNS0_10empty_typeEEEZZNS1_29radix_sort_onesweep_iterationIS3_Lb0EPdS8_PS5_S9_mNS0_19identity_decomposerENS1_16block_id_wrapperIjLb0EEEEE10hipError_tT1_PNSt15iterator_traitsISE_E10value_typeET2_T3_PNSF_ISK_E10value_typeET4_T5_PSP_SQ_PNS1_23onesweep_lookback_stateEbbT6_jjT7_P12ihipStream_tbENKUlT_T0_SE_SJ_E_clIS8_S8_S9_S9_EEDaSX_SY_SE_SJ_EUlSX_E_NS1_11comp_targetILNS1_3genE0ELNS1_11target_archE4294967295ELNS1_3gpuE0ELNS1_3repE0EEENS1_47radix_sort_onesweep_sort_config_static_selectorELNS0_4arch9wavefront6targetE1EEEvSE_.kd
    .uniform_work_group_size: 1
    .uses_dynamic_stack: false
    .vgpr_count:     0
    .vgpr_spill_count: 0
    .wavefront_size: 64
  - .agpr_count:     0
    .args:
      - .offset:         0
        .size:           88
        .value_kind:     by_value
    .group_segment_fixed_size: 0
    .kernarg_segment_align: 8
    .kernarg_segment_size: 88
    .language:       OpenCL C
    .language_version:
      - 2
      - 0
    .max_flat_workgroup_size: 512
    .name:           _ZN7rocprim17ROCPRIM_400000_NS6detail17trampoline_kernelINS0_14default_configENS1_35radix_sort_onesweep_config_selectorIdNS0_10empty_typeEEEZZNS1_29radix_sort_onesweep_iterationIS3_Lb0EPdS8_PS5_S9_mNS0_19identity_decomposerENS1_16block_id_wrapperIjLb0EEEEE10hipError_tT1_PNSt15iterator_traitsISE_E10value_typeET2_T3_PNSF_ISK_E10value_typeET4_T5_PSP_SQ_PNS1_23onesweep_lookback_stateEbbT6_jjT7_P12ihipStream_tbENKUlT_T0_SE_SJ_E_clIS8_S8_S9_S9_EEDaSX_SY_SE_SJ_EUlSX_E_NS1_11comp_targetILNS1_3genE6ELNS1_11target_archE950ELNS1_3gpuE13ELNS1_3repE0EEENS1_47radix_sort_onesweep_sort_config_static_selectorELNS0_4arch9wavefront6targetE1EEEvSE_
    .private_segment_fixed_size: 0
    .sgpr_count:     4
    .sgpr_spill_count: 0
    .symbol:         _ZN7rocprim17ROCPRIM_400000_NS6detail17trampoline_kernelINS0_14default_configENS1_35radix_sort_onesweep_config_selectorIdNS0_10empty_typeEEEZZNS1_29radix_sort_onesweep_iterationIS3_Lb0EPdS8_PS5_S9_mNS0_19identity_decomposerENS1_16block_id_wrapperIjLb0EEEEE10hipError_tT1_PNSt15iterator_traitsISE_E10value_typeET2_T3_PNSF_ISK_E10value_typeET4_T5_PSP_SQ_PNS1_23onesweep_lookback_stateEbbT6_jjT7_P12ihipStream_tbENKUlT_T0_SE_SJ_E_clIS8_S8_S9_S9_EEDaSX_SY_SE_SJ_EUlSX_E_NS1_11comp_targetILNS1_3genE6ELNS1_11target_archE950ELNS1_3gpuE13ELNS1_3repE0EEENS1_47radix_sort_onesweep_sort_config_static_selectorELNS0_4arch9wavefront6targetE1EEEvSE_.kd
    .uniform_work_group_size: 1
    .uses_dynamic_stack: false
    .vgpr_count:     0
    .vgpr_spill_count: 0
    .wavefront_size: 64
  - .agpr_count:     0
    .args:
      - .offset:         0
        .size:           88
        .value_kind:     by_value
    .group_segment_fixed_size: 0
    .kernarg_segment_align: 8
    .kernarg_segment_size: 88
    .language:       OpenCL C
    .language_version:
      - 2
      - 0
    .max_flat_workgroup_size: 512
    .name:           _ZN7rocprim17ROCPRIM_400000_NS6detail17trampoline_kernelINS0_14default_configENS1_35radix_sort_onesweep_config_selectorIdNS0_10empty_typeEEEZZNS1_29radix_sort_onesweep_iterationIS3_Lb0EPdS8_PS5_S9_mNS0_19identity_decomposerENS1_16block_id_wrapperIjLb0EEEEE10hipError_tT1_PNSt15iterator_traitsISE_E10value_typeET2_T3_PNSF_ISK_E10value_typeET4_T5_PSP_SQ_PNS1_23onesweep_lookback_stateEbbT6_jjT7_P12ihipStream_tbENKUlT_T0_SE_SJ_E_clIS8_S8_S9_S9_EEDaSX_SY_SE_SJ_EUlSX_E_NS1_11comp_targetILNS1_3genE5ELNS1_11target_archE942ELNS1_3gpuE9ELNS1_3repE0EEENS1_47radix_sort_onesweep_sort_config_static_selectorELNS0_4arch9wavefront6targetE1EEEvSE_
    .private_segment_fixed_size: 0
    .sgpr_count:     4
    .sgpr_spill_count: 0
    .symbol:         _ZN7rocprim17ROCPRIM_400000_NS6detail17trampoline_kernelINS0_14default_configENS1_35radix_sort_onesweep_config_selectorIdNS0_10empty_typeEEEZZNS1_29radix_sort_onesweep_iterationIS3_Lb0EPdS8_PS5_S9_mNS0_19identity_decomposerENS1_16block_id_wrapperIjLb0EEEEE10hipError_tT1_PNSt15iterator_traitsISE_E10value_typeET2_T3_PNSF_ISK_E10value_typeET4_T5_PSP_SQ_PNS1_23onesweep_lookback_stateEbbT6_jjT7_P12ihipStream_tbENKUlT_T0_SE_SJ_E_clIS8_S8_S9_S9_EEDaSX_SY_SE_SJ_EUlSX_E_NS1_11comp_targetILNS1_3genE5ELNS1_11target_archE942ELNS1_3gpuE9ELNS1_3repE0EEENS1_47radix_sort_onesweep_sort_config_static_selectorELNS0_4arch9wavefront6targetE1EEEvSE_.kd
    .uniform_work_group_size: 1
    .uses_dynamic_stack: false
    .vgpr_count:     0
    .vgpr_spill_count: 0
    .wavefront_size: 64
  - .agpr_count:     0
    .args:
      - .offset:         0
        .size:           88
        .value_kind:     by_value
    .group_segment_fixed_size: 0
    .kernarg_segment_align: 8
    .kernarg_segment_size: 88
    .language:       OpenCL C
    .language_version:
      - 2
      - 0
    .max_flat_workgroup_size: 512
    .name:           _ZN7rocprim17ROCPRIM_400000_NS6detail17trampoline_kernelINS0_14default_configENS1_35radix_sort_onesweep_config_selectorIdNS0_10empty_typeEEEZZNS1_29radix_sort_onesweep_iterationIS3_Lb0EPdS8_PS5_S9_mNS0_19identity_decomposerENS1_16block_id_wrapperIjLb0EEEEE10hipError_tT1_PNSt15iterator_traitsISE_E10value_typeET2_T3_PNSF_ISK_E10value_typeET4_T5_PSP_SQ_PNS1_23onesweep_lookback_stateEbbT6_jjT7_P12ihipStream_tbENKUlT_T0_SE_SJ_E_clIS8_S8_S9_S9_EEDaSX_SY_SE_SJ_EUlSX_E_NS1_11comp_targetILNS1_3genE2ELNS1_11target_archE906ELNS1_3gpuE6ELNS1_3repE0EEENS1_47radix_sort_onesweep_sort_config_static_selectorELNS0_4arch9wavefront6targetE1EEEvSE_
    .private_segment_fixed_size: 0
    .sgpr_count:     4
    .sgpr_spill_count: 0
    .symbol:         _ZN7rocprim17ROCPRIM_400000_NS6detail17trampoline_kernelINS0_14default_configENS1_35radix_sort_onesweep_config_selectorIdNS0_10empty_typeEEEZZNS1_29radix_sort_onesweep_iterationIS3_Lb0EPdS8_PS5_S9_mNS0_19identity_decomposerENS1_16block_id_wrapperIjLb0EEEEE10hipError_tT1_PNSt15iterator_traitsISE_E10value_typeET2_T3_PNSF_ISK_E10value_typeET4_T5_PSP_SQ_PNS1_23onesweep_lookback_stateEbbT6_jjT7_P12ihipStream_tbENKUlT_T0_SE_SJ_E_clIS8_S8_S9_S9_EEDaSX_SY_SE_SJ_EUlSX_E_NS1_11comp_targetILNS1_3genE2ELNS1_11target_archE906ELNS1_3gpuE6ELNS1_3repE0EEENS1_47radix_sort_onesweep_sort_config_static_selectorELNS0_4arch9wavefront6targetE1EEEvSE_.kd
    .uniform_work_group_size: 1
    .uses_dynamic_stack: false
    .vgpr_count:     0
    .vgpr_spill_count: 0
    .wavefront_size: 64
  - .agpr_count:     0
    .args:
      - .offset:         0
        .size:           88
        .value_kind:     by_value
      - .offset:         88
        .size:           4
        .value_kind:     hidden_block_count_x
      - .offset:         92
        .size:           4
        .value_kind:     hidden_block_count_y
      - .offset:         96
        .size:           4
        .value_kind:     hidden_block_count_z
      - .offset:         100
        .size:           2
        .value_kind:     hidden_group_size_x
      - .offset:         102
        .size:           2
        .value_kind:     hidden_group_size_y
      - .offset:         104
        .size:           2
        .value_kind:     hidden_group_size_z
      - .offset:         106
        .size:           2
        .value_kind:     hidden_remainder_x
      - .offset:         108
        .size:           2
        .value_kind:     hidden_remainder_y
      - .offset:         110
        .size:           2
        .value_kind:     hidden_remainder_z
      - .offset:         128
        .size:           8
        .value_kind:     hidden_global_offset_x
      - .offset:         136
        .size:           8
        .value_kind:     hidden_global_offset_y
      - .offset:         144
        .size:           8
        .value_kind:     hidden_global_offset_z
      - .offset:         152
        .size:           2
        .value_kind:     hidden_grid_dims
    .group_segment_fixed_size: 20552
    .kernarg_segment_align: 8
    .kernarg_segment_size: 344
    .language:       OpenCL C
    .language_version:
      - 2
      - 0
    .max_flat_workgroup_size: 1024
    .name:           _ZN7rocprim17ROCPRIM_400000_NS6detail17trampoline_kernelINS0_14default_configENS1_35radix_sort_onesweep_config_selectorIdNS0_10empty_typeEEEZZNS1_29radix_sort_onesweep_iterationIS3_Lb0EPdS8_PS5_S9_mNS0_19identity_decomposerENS1_16block_id_wrapperIjLb0EEEEE10hipError_tT1_PNSt15iterator_traitsISE_E10value_typeET2_T3_PNSF_ISK_E10value_typeET4_T5_PSP_SQ_PNS1_23onesweep_lookback_stateEbbT6_jjT7_P12ihipStream_tbENKUlT_T0_SE_SJ_E_clIS8_S8_S9_S9_EEDaSX_SY_SE_SJ_EUlSX_E_NS1_11comp_targetILNS1_3genE4ELNS1_11target_archE910ELNS1_3gpuE8ELNS1_3repE0EEENS1_47radix_sort_onesweep_sort_config_static_selectorELNS0_4arch9wavefront6targetE1EEEvSE_
    .private_segment_fixed_size: 0
    .sgpr_count:     35
    .sgpr_spill_count: 0
    .symbol:         _ZN7rocprim17ROCPRIM_400000_NS6detail17trampoline_kernelINS0_14default_configENS1_35radix_sort_onesweep_config_selectorIdNS0_10empty_typeEEEZZNS1_29radix_sort_onesweep_iterationIS3_Lb0EPdS8_PS5_S9_mNS0_19identity_decomposerENS1_16block_id_wrapperIjLb0EEEEE10hipError_tT1_PNSt15iterator_traitsISE_E10value_typeET2_T3_PNSF_ISK_E10value_typeET4_T5_PSP_SQ_PNS1_23onesweep_lookback_stateEbbT6_jjT7_P12ihipStream_tbENKUlT_T0_SE_SJ_E_clIS8_S8_S9_S9_EEDaSX_SY_SE_SJ_EUlSX_E_NS1_11comp_targetILNS1_3genE4ELNS1_11target_archE910ELNS1_3gpuE8ELNS1_3repE0EEENS1_47radix_sort_onesweep_sort_config_static_selectorELNS0_4arch9wavefront6targetE1EEEvSE_.kd
    .uniform_work_group_size: 1
    .uses_dynamic_stack: false
    .vgpr_count:     44
    .vgpr_spill_count: 0
    .wavefront_size: 64
  - .agpr_count:     0
    .args:
      - .offset:         0
        .size:           88
        .value_kind:     by_value
    .group_segment_fixed_size: 0
    .kernarg_segment_align: 8
    .kernarg_segment_size: 88
    .language:       OpenCL C
    .language_version:
      - 2
      - 0
    .max_flat_workgroup_size: 512
    .name:           _ZN7rocprim17ROCPRIM_400000_NS6detail17trampoline_kernelINS0_14default_configENS1_35radix_sort_onesweep_config_selectorIdNS0_10empty_typeEEEZZNS1_29radix_sort_onesweep_iterationIS3_Lb0EPdS8_PS5_S9_mNS0_19identity_decomposerENS1_16block_id_wrapperIjLb0EEEEE10hipError_tT1_PNSt15iterator_traitsISE_E10value_typeET2_T3_PNSF_ISK_E10value_typeET4_T5_PSP_SQ_PNS1_23onesweep_lookback_stateEbbT6_jjT7_P12ihipStream_tbENKUlT_T0_SE_SJ_E_clIS8_S8_S9_S9_EEDaSX_SY_SE_SJ_EUlSX_E_NS1_11comp_targetILNS1_3genE3ELNS1_11target_archE908ELNS1_3gpuE7ELNS1_3repE0EEENS1_47radix_sort_onesweep_sort_config_static_selectorELNS0_4arch9wavefront6targetE1EEEvSE_
    .private_segment_fixed_size: 0
    .sgpr_count:     4
    .sgpr_spill_count: 0
    .symbol:         _ZN7rocprim17ROCPRIM_400000_NS6detail17trampoline_kernelINS0_14default_configENS1_35radix_sort_onesweep_config_selectorIdNS0_10empty_typeEEEZZNS1_29radix_sort_onesweep_iterationIS3_Lb0EPdS8_PS5_S9_mNS0_19identity_decomposerENS1_16block_id_wrapperIjLb0EEEEE10hipError_tT1_PNSt15iterator_traitsISE_E10value_typeET2_T3_PNSF_ISK_E10value_typeET4_T5_PSP_SQ_PNS1_23onesweep_lookback_stateEbbT6_jjT7_P12ihipStream_tbENKUlT_T0_SE_SJ_E_clIS8_S8_S9_S9_EEDaSX_SY_SE_SJ_EUlSX_E_NS1_11comp_targetILNS1_3genE3ELNS1_11target_archE908ELNS1_3gpuE7ELNS1_3repE0EEENS1_47radix_sort_onesweep_sort_config_static_selectorELNS0_4arch9wavefront6targetE1EEEvSE_.kd
    .uniform_work_group_size: 1
    .uses_dynamic_stack: false
    .vgpr_count:     0
    .vgpr_spill_count: 0
    .wavefront_size: 64
  - .agpr_count:     0
    .args:
      - .offset:         0
        .size:           88
        .value_kind:     by_value
    .group_segment_fixed_size: 0
    .kernarg_segment_align: 8
    .kernarg_segment_size: 88
    .language:       OpenCL C
    .language_version:
      - 2
      - 0
    .max_flat_workgroup_size: 512
    .name:           _ZN7rocprim17ROCPRIM_400000_NS6detail17trampoline_kernelINS0_14default_configENS1_35radix_sort_onesweep_config_selectorIdNS0_10empty_typeEEEZZNS1_29radix_sort_onesweep_iterationIS3_Lb0EPdS8_PS5_S9_mNS0_19identity_decomposerENS1_16block_id_wrapperIjLb0EEEEE10hipError_tT1_PNSt15iterator_traitsISE_E10value_typeET2_T3_PNSF_ISK_E10value_typeET4_T5_PSP_SQ_PNS1_23onesweep_lookback_stateEbbT6_jjT7_P12ihipStream_tbENKUlT_T0_SE_SJ_E_clIS8_S8_S9_S9_EEDaSX_SY_SE_SJ_EUlSX_E_NS1_11comp_targetILNS1_3genE10ELNS1_11target_archE1201ELNS1_3gpuE5ELNS1_3repE0EEENS1_47radix_sort_onesweep_sort_config_static_selectorELNS0_4arch9wavefront6targetE1EEEvSE_
    .private_segment_fixed_size: 0
    .sgpr_count:     4
    .sgpr_spill_count: 0
    .symbol:         _ZN7rocprim17ROCPRIM_400000_NS6detail17trampoline_kernelINS0_14default_configENS1_35radix_sort_onesweep_config_selectorIdNS0_10empty_typeEEEZZNS1_29radix_sort_onesweep_iterationIS3_Lb0EPdS8_PS5_S9_mNS0_19identity_decomposerENS1_16block_id_wrapperIjLb0EEEEE10hipError_tT1_PNSt15iterator_traitsISE_E10value_typeET2_T3_PNSF_ISK_E10value_typeET4_T5_PSP_SQ_PNS1_23onesweep_lookback_stateEbbT6_jjT7_P12ihipStream_tbENKUlT_T0_SE_SJ_E_clIS8_S8_S9_S9_EEDaSX_SY_SE_SJ_EUlSX_E_NS1_11comp_targetILNS1_3genE10ELNS1_11target_archE1201ELNS1_3gpuE5ELNS1_3repE0EEENS1_47radix_sort_onesweep_sort_config_static_selectorELNS0_4arch9wavefront6targetE1EEEvSE_.kd
    .uniform_work_group_size: 1
    .uses_dynamic_stack: false
    .vgpr_count:     0
    .vgpr_spill_count: 0
    .wavefront_size: 64
  - .agpr_count:     0
    .args:
      - .offset:         0
        .size:           88
        .value_kind:     by_value
    .group_segment_fixed_size: 0
    .kernarg_segment_align: 8
    .kernarg_segment_size: 88
    .language:       OpenCL C
    .language_version:
      - 2
      - 0
    .max_flat_workgroup_size: 1024
    .name:           _ZN7rocprim17ROCPRIM_400000_NS6detail17trampoline_kernelINS0_14default_configENS1_35radix_sort_onesweep_config_selectorIdNS0_10empty_typeEEEZZNS1_29radix_sort_onesweep_iterationIS3_Lb0EPdS8_PS5_S9_mNS0_19identity_decomposerENS1_16block_id_wrapperIjLb0EEEEE10hipError_tT1_PNSt15iterator_traitsISE_E10value_typeET2_T3_PNSF_ISK_E10value_typeET4_T5_PSP_SQ_PNS1_23onesweep_lookback_stateEbbT6_jjT7_P12ihipStream_tbENKUlT_T0_SE_SJ_E_clIS8_S8_S9_S9_EEDaSX_SY_SE_SJ_EUlSX_E_NS1_11comp_targetILNS1_3genE9ELNS1_11target_archE1100ELNS1_3gpuE3ELNS1_3repE0EEENS1_47radix_sort_onesweep_sort_config_static_selectorELNS0_4arch9wavefront6targetE1EEEvSE_
    .private_segment_fixed_size: 0
    .sgpr_count:     4
    .sgpr_spill_count: 0
    .symbol:         _ZN7rocprim17ROCPRIM_400000_NS6detail17trampoline_kernelINS0_14default_configENS1_35radix_sort_onesweep_config_selectorIdNS0_10empty_typeEEEZZNS1_29radix_sort_onesweep_iterationIS3_Lb0EPdS8_PS5_S9_mNS0_19identity_decomposerENS1_16block_id_wrapperIjLb0EEEEE10hipError_tT1_PNSt15iterator_traitsISE_E10value_typeET2_T3_PNSF_ISK_E10value_typeET4_T5_PSP_SQ_PNS1_23onesweep_lookback_stateEbbT6_jjT7_P12ihipStream_tbENKUlT_T0_SE_SJ_E_clIS8_S8_S9_S9_EEDaSX_SY_SE_SJ_EUlSX_E_NS1_11comp_targetILNS1_3genE9ELNS1_11target_archE1100ELNS1_3gpuE3ELNS1_3repE0EEENS1_47radix_sort_onesweep_sort_config_static_selectorELNS0_4arch9wavefront6targetE1EEEvSE_.kd
    .uniform_work_group_size: 1
    .uses_dynamic_stack: false
    .vgpr_count:     0
    .vgpr_spill_count: 0
    .wavefront_size: 64
  - .agpr_count:     0
    .args:
      - .offset:         0
        .size:           88
        .value_kind:     by_value
    .group_segment_fixed_size: 0
    .kernarg_segment_align: 8
    .kernarg_segment_size: 88
    .language:       OpenCL C
    .language_version:
      - 2
      - 0
    .max_flat_workgroup_size: 1024
    .name:           _ZN7rocprim17ROCPRIM_400000_NS6detail17trampoline_kernelINS0_14default_configENS1_35radix_sort_onesweep_config_selectorIdNS0_10empty_typeEEEZZNS1_29radix_sort_onesweep_iterationIS3_Lb0EPdS8_PS5_S9_mNS0_19identity_decomposerENS1_16block_id_wrapperIjLb0EEEEE10hipError_tT1_PNSt15iterator_traitsISE_E10value_typeET2_T3_PNSF_ISK_E10value_typeET4_T5_PSP_SQ_PNS1_23onesweep_lookback_stateEbbT6_jjT7_P12ihipStream_tbENKUlT_T0_SE_SJ_E_clIS8_S8_S9_S9_EEDaSX_SY_SE_SJ_EUlSX_E_NS1_11comp_targetILNS1_3genE8ELNS1_11target_archE1030ELNS1_3gpuE2ELNS1_3repE0EEENS1_47radix_sort_onesweep_sort_config_static_selectorELNS0_4arch9wavefront6targetE1EEEvSE_
    .private_segment_fixed_size: 0
    .sgpr_count:     4
    .sgpr_spill_count: 0
    .symbol:         _ZN7rocprim17ROCPRIM_400000_NS6detail17trampoline_kernelINS0_14default_configENS1_35radix_sort_onesweep_config_selectorIdNS0_10empty_typeEEEZZNS1_29radix_sort_onesweep_iterationIS3_Lb0EPdS8_PS5_S9_mNS0_19identity_decomposerENS1_16block_id_wrapperIjLb0EEEEE10hipError_tT1_PNSt15iterator_traitsISE_E10value_typeET2_T3_PNSF_ISK_E10value_typeET4_T5_PSP_SQ_PNS1_23onesweep_lookback_stateEbbT6_jjT7_P12ihipStream_tbENKUlT_T0_SE_SJ_E_clIS8_S8_S9_S9_EEDaSX_SY_SE_SJ_EUlSX_E_NS1_11comp_targetILNS1_3genE8ELNS1_11target_archE1030ELNS1_3gpuE2ELNS1_3repE0EEENS1_47radix_sort_onesweep_sort_config_static_selectorELNS0_4arch9wavefront6targetE1EEEvSE_.kd
    .uniform_work_group_size: 1
    .uses_dynamic_stack: false
    .vgpr_count:     0
    .vgpr_spill_count: 0
    .wavefront_size: 64
  - .agpr_count:     0
    .args:
      - .offset:         0
        .size:           16
        .value_kind:     by_value
      - .offset:         16
        .size:           8
        .value_kind:     by_value
      - .offset:         24
        .size:           8
        .value_kind:     by_value
    .group_segment_fixed_size: 0
    .kernarg_segment_align: 8
    .kernarg_segment_size: 32
    .language:       OpenCL C
    .language_version:
      - 2
      - 0
    .max_flat_workgroup_size: 256
    .name:           _ZN6thrust23THRUST_200600_302600_NS11hip_rocprim14__parallel_for6kernelILj256ENS1_10for_each_fINS0_7pointerI14custom_numericNS1_3tagENS0_11use_defaultES8_EENS0_6detail16wrapped_functionINSA_23allocator_traits_detail24construct1_via_allocatorINSA_18no_throw_allocatorINSA_19temporary_allocatorIS6_S7_EEEEEEvEEEEmLj1EEEvT0_T1_SM_
    .private_segment_fixed_size: 0
    .sgpr_count:     12
    .sgpr_spill_count: 0
    .symbol:         _ZN6thrust23THRUST_200600_302600_NS11hip_rocprim14__parallel_for6kernelILj256ENS1_10for_each_fINS0_7pointerI14custom_numericNS1_3tagENS0_11use_defaultES8_EENS0_6detail16wrapped_functionINSA_23allocator_traits_detail24construct1_via_allocatorINSA_18no_throw_allocatorINSA_19temporary_allocatorIS6_S7_EEEEEEvEEEEmLj1EEEvT0_T1_SM_.kd
    .uniform_work_group_size: 1
    .uses_dynamic_stack: false
    .vgpr_count:     6
    .vgpr_spill_count: 0
    .wavefront_size: 64
  - .agpr_count:     0
    .args:
      - .offset:         0
        .size:           16
        .value_kind:     by_value
      - .offset:         16
        .size:           8
        .value_kind:     by_value
      - .offset:         24
        .size:           8
        .value_kind:     by_value
    .group_segment_fixed_size: 0
    .kernarg_segment_align: 8
    .kernarg_segment_size: 32
    .language:       OpenCL C
    .language_version:
      - 2
      - 0
    .max_flat_workgroup_size: 256
    .name:           _ZN6thrust23THRUST_200600_302600_NS11hip_rocprim14__parallel_for6kernelILj256ENS1_10for_each_fINS0_7pointerI14custom_numericNS1_3tagENS0_11use_defaultES8_EENS0_6detail16wrapped_functionINSA_23allocator_traits_detail5gozerEvEEEElLj1EEEvT0_T1_SH_
    .private_segment_fixed_size: 0
    .sgpr_count:     4
    .sgpr_spill_count: 0
    .symbol:         _ZN6thrust23THRUST_200600_302600_NS11hip_rocprim14__parallel_for6kernelILj256ENS1_10for_each_fINS0_7pointerI14custom_numericNS1_3tagENS0_11use_defaultES8_EENS0_6detail16wrapped_functionINSA_23allocator_traits_detail5gozerEvEEEElLj1EEEvT0_T1_SH_.kd
    .uniform_work_group_size: 1
    .uses_dynamic_stack: false
    .vgpr_count:     0
    .vgpr_spill_count: 0
    .wavefront_size: 64
  - .agpr_count:     0
    .args:
      - .offset:         0
        .size:           24
        .value_kind:     by_value
      - .offset:         24
        .size:           8
        .value_kind:     by_value
      - .offset:         32
        .size:           8
        .value_kind:     by_value
    .group_segment_fixed_size: 0
    .kernarg_segment_align: 8
    .kernarg_segment_size: 40
    .language:       OpenCL C
    .language_version:
      - 2
      - 0
    .max_flat_workgroup_size: 256
    .name:           _ZN6thrust23THRUST_200600_302600_NS11hip_rocprim14__parallel_for6kernelILj256ENS1_11__transform17unary_transform_fINS0_7pointerI14custom_numericNS1_3tagENS0_11use_defaultES9_EENS0_10device_ptrIS7_EENS4_14no_stencil_tagENS0_8identityIS7_EENS4_21always_true_predicateEEElLj1EEEvT0_T1_SJ_
    .private_segment_fixed_size: 0
    .sgpr_count:     16
    .sgpr_spill_count: 0
    .symbol:         _ZN6thrust23THRUST_200600_302600_NS11hip_rocprim14__parallel_for6kernelILj256ENS1_11__transform17unary_transform_fINS0_7pointerI14custom_numericNS1_3tagENS0_11use_defaultES9_EENS0_10device_ptrIS7_EENS4_14no_stencil_tagENS0_8identityIS7_EENS4_21always_true_predicateEEElLj1EEEvT0_T1_SJ_.kd
    .uniform_work_group_size: 1
    .uses_dynamic_stack: false
    .vgpr_count:     7
    .vgpr_spill_count: 0
    .wavefront_size: 64
  - .agpr_count:     0
    .args:
      - .offset:         0
        .size:           16
        .value_kind:     by_value
      - .offset:         16
        .size:           8
        .value_kind:     by_value
      - .offset:         24
        .size:           8
        .value_kind:     by_value
    .group_segment_fixed_size: 0
    .kernarg_segment_align: 8
    .kernarg_segment_size: 32
    .language:       OpenCL C
    .language_version:
      - 2
      - 0
    .max_flat_workgroup_size: 256
    .name:           _ZN6thrust23THRUST_200600_302600_NS11hip_rocprim14__parallel_for6kernelILj256ENS1_20__uninitialized_copy7functorINS0_7pointerI14custom_numericNS1_3tagENS0_11use_defaultES9_EESA_EEmLj1EEEvT0_T1_SD_
    .private_segment_fixed_size: 0
    .sgpr_count:     20
    .sgpr_spill_count: 0
    .symbol:         _ZN6thrust23THRUST_200600_302600_NS11hip_rocprim14__parallel_for6kernelILj256ENS1_20__uninitialized_copy7functorINS0_7pointerI14custom_numericNS1_3tagENS0_11use_defaultES9_EESA_EEmLj1EEEvT0_T1_SD_.kd
    .uniform_work_group_size: 1
    .uses_dynamic_stack: false
    .vgpr_count:     7
    .vgpr_spill_count: 0
    .wavefront_size: 64
  - .agpr_count:     0
    .args:
      - .offset:         0
        .size:           16
        .value_kind:     by_value
      - .offset:         16
        .size:           8
        .value_kind:     by_value
      - .offset:         24
        .size:           8
        .value_kind:     by_value
    .group_segment_fixed_size: 0
    .kernarg_segment_align: 8
    .kernarg_segment_size: 32
    .language:       OpenCL C
    .language_version:
      - 2
      - 0
    .max_flat_workgroup_size: 256
    .name:           _ZN6thrust23THRUST_200600_302600_NS11hip_rocprim14__parallel_for6kernelILj256ENS1_10for_each_fINS0_10device_ptrI14custom_numericEENS0_6detail16wrapped_functionINS8_23allocator_traits_detail5gozerEvEEEElLj1EEEvT0_T1_SF_
    .private_segment_fixed_size: 0
    .sgpr_count:     4
    .sgpr_spill_count: 0
    .symbol:         _ZN6thrust23THRUST_200600_302600_NS11hip_rocprim14__parallel_for6kernelILj256ENS1_10for_each_fINS0_10device_ptrI14custom_numericEENS0_6detail16wrapped_functionINS8_23allocator_traits_detail5gozerEvEEEElLj1EEEvT0_T1_SF_.kd
    .uniform_work_group_size: 1
    .uses_dynamic_stack: false
    .vgpr_count:     0
    .vgpr_spill_count: 0
    .wavefront_size: 64
  - .agpr_count:     0
    .args:
      - .offset:         0
        .size:           16
        .value_kind:     by_value
      - .offset:         16
        .size:           8
        .value_kind:     by_value
      - .offset:         24
        .size:           8
        .value_kind:     by_value
    .group_segment_fixed_size: 0
    .kernarg_segment_align: 8
    .kernarg_segment_size: 32
    .language:       OpenCL C
    .language_version:
      - 2
      - 0
    .max_flat_workgroup_size: 256
    .name:           _ZN6thrust23THRUST_200600_302600_NS11hip_rocprim14__parallel_for6kernelILj256ENS1_20__uninitialized_copy7functorINS0_6detail15normal_iteratorINS0_10device_ptrIK14custom_numericEEEENS0_7pointerIS9_NS1_3tagENS0_11use_defaultESF_EEEEmLj1EEEvT0_T1_SJ_
    .private_segment_fixed_size: 0
    .sgpr_count:     20
    .sgpr_spill_count: 0
    .symbol:         _ZN6thrust23THRUST_200600_302600_NS11hip_rocprim14__parallel_for6kernelILj256ENS1_20__uninitialized_copy7functorINS0_6detail15normal_iteratorINS0_10device_ptrIK14custom_numericEEEENS0_7pointerIS9_NS1_3tagENS0_11use_defaultESF_EEEEmLj1EEEvT0_T1_SJ_.kd
    .uniform_work_group_size: 1
    .uses_dynamic_stack: false
    .vgpr_count:     7
    .vgpr_spill_count: 0
    .wavefront_size: 64
  - .agpr_count:     0
    .args:           []
    .group_segment_fixed_size: 0
    .kernarg_segment_align: 4
    .kernarg_segment_size: 0
    .language:       OpenCL C
    .language_version:
      - 2
      - 0
    .max_flat_workgroup_size: 1024
    .name:           _ZN7rocprim17ROCPRIM_400000_NS6detail44device_merge_sort_compile_time_verifier_archINS1_11comp_targetILNS1_3genE0ELNS1_11target_archE4294967295ELNS1_3gpuE0ELNS1_3repE0EEES8_NS0_14default_configES9_NS1_37merge_sort_block_sort_config_selectorI14custom_numericNS0_10empty_typeEEENS1_38merge_sort_block_merge_config_selectorISB_SC_EEEEvv
    .private_segment_fixed_size: 0
    .sgpr_count:     4
    .sgpr_spill_count: 0
    .symbol:         _ZN7rocprim17ROCPRIM_400000_NS6detail44device_merge_sort_compile_time_verifier_archINS1_11comp_targetILNS1_3genE0ELNS1_11target_archE4294967295ELNS1_3gpuE0ELNS1_3repE0EEES8_NS0_14default_configES9_NS1_37merge_sort_block_sort_config_selectorI14custom_numericNS0_10empty_typeEEENS1_38merge_sort_block_merge_config_selectorISB_SC_EEEEvv.kd
    .uniform_work_group_size: 1
    .uses_dynamic_stack: false
    .vgpr_count:     0
    .vgpr_spill_count: 0
    .wavefront_size: 64
  - .agpr_count:     0
    .args:           []
    .group_segment_fixed_size: 0
    .kernarg_segment_align: 4
    .kernarg_segment_size: 0
    .language:       OpenCL C
    .language_version:
      - 2
      - 0
    .max_flat_workgroup_size: 1024
    .name:           _ZN7rocprim17ROCPRIM_400000_NS6detail44device_merge_sort_compile_time_verifier_archINS1_11comp_targetILNS1_3genE5ELNS1_11target_archE942ELNS1_3gpuE9ELNS1_3repE0EEES8_NS0_14default_configES9_NS1_37merge_sort_block_sort_config_selectorI14custom_numericNS0_10empty_typeEEENS1_38merge_sort_block_merge_config_selectorISB_SC_EEEEvv
    .private_segment_fixed_size: 0
    .sgpr_count:     4
    .sgpr_spill_count: 0
    .symbol:         _ZN7rocprim17ROCPRIM_400000_NS6detail44device_merge_sort_compile_time_verifier_archINS1_11comp_targetILNS1_3genE5ELNS1_11target_archE942ELNS1_3gpuE9ELNS1_3repE0EEES8_NS0_14default_configES9_NS1_37merge_sort_block_sort_config_selectorI14custom_numericNS0_10empty_typeEEENS1_38merge_sort_block_merge_config_selectorISB_SC_EEEEvv.kd
    .uniform_work_group_size: 1
    .uses_dynamic_stack: false
    .vgpr_count:     0
    .vgpr_spill_count: 0
    .wavefront_size: 64
  - .agpr_count:     0
    .args:           []
    .group_segment_fixed_size: 0
    .kernarg_segment_align: 4
    .kernarg_segment_size: 0
    .language:       OpenCL C
    .language_version:
      - 2
      - 0
    .max_flat_workgroup_size: 1024
    .name:           _ZN7rocprim17ROCPRIM_400000_NS6detail44device_merge_sort_compile_time_verifier_archINS1_11comp_targetILNS1_3genE4ELNS1_11target_archE910ELNS1_3gpuE8ELNS1_3repE0EEES8_NS0_14default_configES9_NS1_37merge_sort_block_sort_config_selectorI14custom_numericNS0_10empty_typeEEENS1_38merge_sort_block_merge_config_selectorISB_SC_EEEEvv
    .private_segment_fixed_size: 0
    .sgpr_count:     4
    .sgpr_spill_count: 0
    .symbol:         _ZN7rocprim17ROCPRIM_400000_NS6detail44device_merge_sort_compile_time_verifier_archINS1_11comp_targetILNS1_3genE4ELNS1_11target_archE910ELNS1_3gpuE8ELNS1_3repE0EEES8_NS0_14default_configES9_NS1_37merge_sort_block_sort_config_selectorI14custom_numericNS0_10empty_typeEEENS1_38merge_sort_block_merge_config_selectorISB_SC_EEEEvv.kd
    .uniform_work_group_size: 1
    .uses_dynamic_stack: false
    .vgpr_count:     0
    .vgpr_spill_count: 0
    .wavefront_size: 64
  - .agpr_count:     0
    .args:           []
    .group_segment_fixed_size: 0
    .kernarg_segment_align: 4
    .kernarg_segment_size: 0
    .language:       OpenCL C
    .language_version:
      - 2
      - 0
    .max_flat_workgroup_size: 1024
    .name:           _ZN7rocprim17ROCPRIM_400000_NS6detail44device_merge_sort_compile_time_verifier_archINS1_11comp_targetILNS1_3genE3ELNS1_11target_archE908ELNS1_3gpuE7ELNS1_3repE0EEES8_NS0_14default_configES9_NS1_37merge_sort_block_sort_config_selectorI14custom_numericNS0_10empty_typeEEENS1_38merge_sort_block_merge_config_selectorISB_SC_EEEEvv
    .private_segment_fixed_size: 0
    .sgpr_count:     4
    .sgpr_spill_count: 0
    .symbol:         _ZN7rocprim17ROCPRIM_400000_NS6detail44device_merge_sort_compile_time_verifier_archINS1_11comp_targetILNS1_3genE3ELNS1_11target_archE908ELNS1_3gpuE7ELNS1_3repE0EEES8_NS0_14default_configES9_NS1_37merge_sort_block_sort_config_selectorI14custom_numericNS0_10empty_typeEEENS1_38merge_sort_block_merge_config_selectorISB_SC_EEEEvv.kd
    .uniform_work_group_size: 1
    .uses_dynamic_stack: false
    .vgpr_count:     0
    .vgpr_spill_count: 0
    .wavefront_size: 64
  - .agpr_count:     0
    .args:           []
    .group_segment_fixed_size: 0
    .kernarg_segment_align: 4
    .kernarg_segment_size: 0
    .language:       OpenCL C
    .language_version:
      - 2
      - 0
    .max_flat_workgroup_size: 1024
    .name:           _ZN7rocprim17ROCPRIM_400000_NS6detail44device_merge_sort_compile_time_verifier_archINS1_11comp_targetILNS1_3genE2ELNS1_11target_archE906ELNS1_3gpuE6ELNS1_3repE0EEES8_NS0_14default_configES9_NS1_37merge_sort_block_sort_config_selectorI14custom_numericNS0_10empty_typeEEENS1_38merge_sort_block_merge_config_selectorISB_SC_EEEEvv
    .private_segment_fixed_size: 0
    .sgpr_count:     4
    .sgpr_spill_count: 0
    .symbol:         _ZN7rocprim17ROCPRIM_400000_NS6detail44device_merge_sort_compile_time_verifier_archINS1_11comp_targetILNS1_3genE2ELNS1_11target_archE906ELNS1_3gpuE6ELNS1_3repE0EEES8_NS0_14default_configES9_NS1_37merge_sort_block_sort_config_selectorI14custom_numericNS0_10empty_typeEEENS1_38merge_sort_block_merge_config_selectorISB_SC_EEEEvv.kd
    .uniform_work_group_size: 1
    .uses_dynamic_stack: false
    .vgpr_count:     0
    .vgpr_spill_count: 0
    .wavefront_size: 64
  - .agpr_count:     0
    .args:           []
    .group_segment_fixed_size: 0
    .kernarg_segment_align: 4
    .kernarg_segment_size: 0
    .language:       OpenCL C
    .language_version:
      - 2
      - 0
    .max_flat_workgroup_size: 1024
    .name:           _ZN7rocprim17ROCPRIM_400000_NS6detail44device_merge_sort_compile_time_verifier_archINS1_11comp_targetILNS1_3genE10ELNS1_11target_archE1201ELNS1_3gpuE5ELNS1_3repE0EEES8_NS0_14default_configES9_NS1_37merge_sort_block_sort_config_selectorI14custom_numericNS0_10empty_typeEEENS1_38merge_sort_block_merge_config_selectorISB_SC_EEEEvv
    .private_segment_fixed_size: 0
    .sgpr_count:     4
    .sgpr_spill_count: 0
    .symbol:         _ZN7rocprim17ROCPRIM_400000_NS6detail44device_merge_sort_compile_time_verifier_archINS1_11comp_targetILNS1_3genE10ELNS1_11target_archE1201ELNS1_3gpuE5ELNS1_3repE0EEES8_NS0_14default_configES9_NS1_37merge_sort_block_sort_config_selectorI14custom_numericNS0_10empty_typeEEENS1_38merge_sort_block_merge_config_selectorISB_SC_EEEEvv.kd
    .uniform_work_group_size: 1
    .uses_dynamic_stack: false
    .vgpr_count:     0
    .vgpr_spill_count: 0
    .wavefront_size: 64
  - .agpr_count:     0
    .args:           []
    .group_segment_fixed_size: 0
    .kernarg_segment_align: 4
    .kernarg_segment_size: 0
    .language:       OpenCL C
    .language_version:
      - 2
      - 0
    .max_flat_workgroup_size: 1024
    .name:           _ZN7rocprim17ROCPRIM_400000_NS6detail44device_merge_sort_compile_time_verifier_archINS1_11comp_targetILNS1_3genE10ELNS1_11target_archE1200ELNS1_3gpuE4ELNS1_3repE0EEENS3_ILS4_10ELS5_1201ELS6_5ELS7_0EEENS0_14default_configESA_NS1_37merge_sort_block_sort_config_selectorI14custom_numericNS0_10empty_typeEEENS1_38merge_sort_block_merge_config_selectorISC_SD_EEEEvv
    .private_segment_fixed_size: 0
    .sgpr_count:     4
    .sgpr_spill_count: 0
    .symbol:         _ZN7rocprim17ROCPRIM_400000_NS6detail44device_merge_sort_compile_time_verifier_archINS1_11comp_targetILNS1_3genE10ELNS1_11target_archE1200ELNS1_3gpuE4ELNS1_3repE0EEENS3_ILS4_10ELS5_1201ELS6_5ELS7_0EEENS0_14default_configESA_NS1_37merge_sort_block_sort_config_selectorI14custom_numericNS0_10empty_typeEEENS1_38merge_sort_block_merge_config_selectorISC_SD_EEEEvv.kd
    .uniform_work_group_size: 1
    .uses_dynamic_stack: false
    .vgpr_count:     0
    .vgpr_spill_count: 0
    .wavefront_size: 64
  - .agpr_count:     0
    .args:           []
    .group_segment_fixed_size: 0
    .kernarg_segment_align: 4
    .kernarg_segment_size: 0
    .language:       OpenCL C
    .language_version:
      - 2
      - 0
    .max_flat_workgroup_size: 1024
    .name:           _ZN7rocprim17ROCPRIM_400000_NS6detail44device_merge_sort_compile_time_verifier_archINS1_11comp_targetILNS1_3genE9ELNS1_11target_archE1100ELNS1_3gpuE3ELNS1_3repE0EEES8_NS0_14default_configES9_NS1_37merge_sort_block_sort_config_selectorI14custom_numericNS0_10empty_typeEEENS1_38merge_sort_block_merge_config_selectorISB_SC_EEEEvv
    .private_segment_fixed_size: 0
    .sgpr_count:     4
    .sgpr_spill_count: 0
    .symbol:         _ZN7rocprim17ROCPRIM_400000_NS6detail44device_merge_sort_compile_time_verifier_archINS1_11comp_targetILNS1_3genE9ELNS1_11target_archE1100ELNS1_3gpuE3ELNS1_3repE0EEES8_NS0_14default_configES9_NS1_37merge_sort_block_sort_config_selectorI14custom_numericNS0_10empty_typeEEENS1_38merge_sort_block_merge_config_selectorISB_SC_EEEEvv.kd
    .uniform_work_group_size: 1
    .uses_dynamic_stack: false
    .vgpr_count:     0
    .vgpr_spill_count: 0
    .wavefront_size: 64
  - .agpr_count:     0
    .args:           []
    .group_segment_fixed_size: 0
    .kernarg_segment_align: 4
    .kernarg_segment_size: 0
    .language:       OpenCL C
    .language_version:
      - 2
      - 0
    .max_flat_workgroup_size: 1024
    .name:           _ZN7rocprim17ROCPRIM_400000_NS6detail44device_merge_sort_compile_time_verifier_archINS1_11comp_targetILNS1_3genE8ELNS1_11target_archE1030ELNS1_3gpuE2ELNS1_3repE0EEES8_NS0_14default_configES9_NS1_37merge_sort_block_sort_config_selectorI14custom_numericNS0_10empty_typeEEENS1_38merge_sort_block_merge_config_selectorISB_SC_EEEEvv
    .private_segment_fixed_size: 0
    .sgpr_count:     4
    .sgpr_spill_count: 0
    .symbol:         _ZN7rocprim17ROCPRIM_400000_NS6detail44device_merge_sort_compile_time_verifier_archINS1_11comp_targetILNS1_3genE8ELNS1_11target_archE1030ELNS1_3gpuE2ELNS1_3repE0EEES8_NS0_14default_configES9_NS1_37merge_sort_block_sort_config_selectorI14custom_numericNS0_10empty_typeEEENS1_38merge_sort_block_merge_config_selectorISB_SC_EEEEvv.kd
    .uniform_work_group_size: 1
    .uses_dynamic_stack: false
    .vgpr_count:     0
    .vgpr_spill_count: 0
    .wavefront_size: 64
  - .agpr_count:     0
    .args:
      - .offset:         0
        .size:           64
        .value_kind:     by_value
    .group_segment_fixed_size: 0
    .kernarg_segment_align: 8
    .kernarg_segment_size: 64
    .language:       OpenCL C
    .language_version:
      - 2
      - 0
    .max_flat_workgroup_size: 256
    .name:           _ZN7rocprim17ROCPRIM_400000_NS6detail17trampoline_kernelINS0_14default_configENS1_37merge_sort_block_sort_config_selectorI14custom_numericNS0_10empty_typeEEEZNS1_21merge_sort_block_sortIS3_N6thrust23THRUST_200600_302600_NS6detail15normal_iteratorINSA_10device_ptrIS5_EEEESF_PS6_SG_NSA_4lessIS5_EEEE10hipError_tT0_T1_T2_T3_mRjT4_P12ihipStream_tbNS1_7vsmem_tEEUlT_E_NS1_11comp_targetILNS1_3genE0ELNS1_11target_archE4294967295ELNS1_3gpuE0ELNS1_3repE0EEENS1_30default_config_static_selectorELNS0_4arch9wavefront6targetE1EEEvSL_
    .private_segment_fixed_size: 0
    .sgpr_count:     4
    .sgpr_spill_count: 0
    .symbol:         _ZN7rocprim17ROCPRIM_400000_NS6detail17trampoline_kernelINS0_14default_configENS1_37merge_sort_block_sort_config_selectorI14custom_numericNS0_10empty_typeEEEZNS1_21merge_sort_block_sortIS3_N6thrust23THRUST_200600_302600_NS6detail15normal_iteratorINSA_10device_ptrIS5_EEEESF_PS6_SG_NSA_4lessIS5_EEEE10hipError_tT0_T1_T2_T3_mRjT4_P12ihipStream_tbNS1_7vsmem_tEEUlT_E_NS1_11comp_targetILNS1_3genE0ELNS1_11target_archE4294967295ELNS1_3gpuE0ELNS1_3repE0EEENS1_30default_config_static_selectorELNS0_4arch9wavefront6targetE1EEEvSL_.kd
    .uniform_work_group_size: 1
    .uses_dynamic_stack: false
    .vgpr_count:     0
    .vgpr_spill_count: 0
    .wavefront_size: 64
  - .agpr_count:     0
    .args:
      - .offset:         0
        .size:           64
        .value_kind:     by_value
    .group_segment_fixed_size: 0
    .kernarg_segment_align: 8
    .kernarg_segment_size: 64
    .language:       OpenCL C
    .language_version:
      - 2
      - 0
    .max_flat_workgroup_size: 256
    .name:           _ZN7rocprim17ROCPRIM_400000_NS6detail17trampoline_kernelINS0_14default_configENS1_37merge_sort_block_sort_config_selectorI14custom_numericNS0_10empty_typeEEEZNS1_21merge_sort_block_sortIS3_N6thrust23THRUST_200600_302600_NS6detail15normal_iteratorINSA_10device_ptrIS5_EEEESF_PS6_SG_NSA_4lessIS5_EEEE10hipError_tT0_T1_T2_T3_mRjT4_P12ihipStream_tbNS1_7vsmem_tEEUlT_E_NS1_11comp_targetILNS1_3genE5ELNS1_11target_archE942ELNS1_3gpuE9ELNS1_3repE0EEENS1_30default_config_static_selectorELNS0_4arch9wavefront6targetE1EEEvSL_
    .private_segment_fixed_size: 0
    .sgpr_count:     4
    .sgpr_spill_count: 0
    .symbol:         _ZN7rocprim17ROCPRIM_400000_NS6detail17trampoline_kernelINS0_14default_configENS1_37merge_sort_block_sort_config_selectorI14custom_numericNS0_10empty_typeEEEZNS1_21merge_sort_block_sortIS3_N6thrust23THRUST_200600_302600_NS6detail15normal_iteratorINSA_10device_ptrIS5_EEEESF_PS6_SG_NSA_4lessIS5_EEEE10hipError_tT0_T1_T2_T3_mRjT4_P12ihipStream_tbNS1_7vsmem_tEEUlT_E_NS1_11comp_targetILNS1_3genE5ELNS1_11target_archE942ELNS1_3gpuE9ELNS1_3repE0EEENS1_30default_config_static_selectorELNS0_4arch9wavefront6targetE1EEEvSL_.kd
    .uniform_work_group_size: 1
    .uses_dynamic_stack: false
    .vgpr_count:     0
    .vgpr_spill_count: 0
    .wavefront_size: 64
  - .agpr_count:     0
    .args:
      - .offset:         0
        .size:           64
        .value_kind:     by_value
      - .offset:         64
        .size:           4
        .value_kind:     hidden_block_count_x
      - .offset:         68
        .size:           4
        .value_kind:     hidden_block_count_y
      - .offset:         72
        .size:           4
        .value_kind:     hidden_block_count_z
      - .offset:         76
        .size:           2
        .value_kind:     hidden_group_size_x
      - .offset:         78
        .size:           2
        .value_kind:     hidden_group_size_y
      - .offset:         80
        .size:           2
        .value_kind:     hidden_group_size_z
      - .offset:         82
        .size:           2
        .value_kind:     hidden_remainder_x
      - .offset:         84
        .size:           2
        .value_kind:     hidden_remainder_y
      - .offset:         86
        .size:           2
        .value_kind:     hidden_remainder_z
      - .offset:         104
        .size:           8
        .value_kind:     hidden_global_offset_x
      - .offset:         112
        .size:           8
        .value_kind:     hidden_global_offset_y
      - .offset:         120
        .size:           8
        .value_kind:     hidden_global_offset_z
      - .offset:         128
        .size:           2
        .value_kind:     hidden_grid_dims
    .group_segment_fixed_size: 21120
    .kernarg_segment_align: 8
    .kernarg_segment_size: 320
    .language:       OpenCL C
    .language_version:
      - 2
      - 0
    .max_flat_workgroup_size: 256
    .name:           _ZN7rocprim17ROCPRIM_400000_NS6detail17trampoline_kernelINS0_14default_configENS1_37merge_sort_block_sort_config_selectorI14custom_numericNS0_10empty_typeEEEZNS1_21merge_sort_block_sortIS3_N6thrust23THRUST_200600_302600_NS6detail15normal_iteratorINSA_10device_ptrIS5_EEEESF_PS6_SG_NSA_4lessIS5_EEEE10hipError_tT0_T1_T2_T3_mRjT4_P12ihipStream_tbNS1_7vsmem_tEEUlT_E_NS1_11comp_targetILNS1_3genE4ELNS1_11target_archE910ELNS1_3gpuE8ELNS1_3repE0EEENS1_30default_config_static_selectorELNS0_4arch9wavefront6targetE1EEEvSL_
    .private_segment_fixed_size: 0
    .sgpr_count:     28
    .sgpr_spill_count: 0
    .symbol:         _ZN7rocprim17ROCPRIM_400000_NS6detail17trampoline_kernelINS0_14default_configENS1_37merge_sort_block_sort_config_selectorI14custom_numericNS0_10empty_typeEEEZNS1_21merge_sort_block_sortIS3_N6thrust23THRUST_200600_302600_NS6detail15normal_iteratorINSA_10device_ptrIS5_EEEESF_PS6_SG_NSA_4lessIS5_EEEE10hipError_tT0_T1_T2_T3_mRjT4_P12ihipStream_tbNS1_7vsmem_tEEUlT_E_NS1_11comp_targetILNS1_3genE4ELNS1_11target_archE910ELNS1_3gpuE8ELNS1_3repE0EEENS1_30default_config_static_selectorELNS0_4arch9wavefront6targetE1EEEvSL_.kd
    .uniform_work_group_size: 1
    .uses_dynamic_stack: false
    .vgpr_count:     40
    .vgpr_spill_count: 0
    .wavefront_size: 64
  - .agpr_count:     0
    .args:
      - .offset:         0
        .size:           16
        .value_kind:     by_value
      - .offset:         16
        .size:           8
        .value_kind:     by_value
      - .offset:         24
        .size:           8
        .value_kind:     by_value
    .group_segment_fixed_size: 0
    .kernarg_segment_align: 8
    .kernarg_segment_size: 32
    .language:       OpenCL C
    .language_version:
      - 2
      - 0
    .max_flat_workgroup_size: 256
    .name:           _ZN6thrust23THRUST_200600_302600_NS11hip_rocprim14__parallel_for6kernelILj256ENS1_20__uninitialized_copy7functorINS0_10device_ptrI14custom_numericEENS0_7pointerIS7_NS1_3tagENS0_11use_defaultESB_EEEEmLj1EEEvT0_T1_SF_
    .private_segment_fixed_size: 0
    .sgpr_count:     20
    .sgpr_spill_count: 0
    .symbol:         _ZN6thrust23THRUST_200600_302600_NS11hip_rocprim14__parallel_for6kernelILj256ENS1_20__uninitialized_copy7functorINS0_10device_ptrI14custom_numericEENS0_7pointerIS7_NS1_3tagENS0_11use_defaultESB_EEEEmLj1EEEvT0_T1_SF_.kd
    .uniform_work_group_size: 1
    .uses_dynamic_stack: false
    .vgpr_count:     7
    .vgpr_spill_count: 0
    .wavefront_size: 64
  - .agpr_count:     0
    .args:
      - .offset:         0
        .size:           64
        .value_kind:     by_value
    .group_segment_fixed_size: 0
    .kernarg_segment_align: 8
    .kernarg_segment_size: 64
    .language:       OpenCL C
    .language_version:
      - 2
      - 0
    .max_flat_workgroup_size: 256
    .name:           _ZN7rocprim17ROCPRIM_400000_NS6detail17trampoline_kernelINS0_14default_configENS1_37merge_sort_block_sort_config_selectorI14custom_numericNS0_10empty_typeEEEZNS1_21merge_sort_block_sortIS3_N6thrust23THRUST_200600_302600_NS6detail15normal_iteratorINSA_10device_ptrIS5_EEEESF_PS6_SG_NSA_4lessIS5_EEEE10hipError_tT0_T1_T2_T3_mRjT4_P12ihipStream_tbNS1_7vsmem_tEEUlT_E_NS1_11comp_targetILNS1_3genE3ELNS1_11target_archE908ELNS1_3gpuE7ELNS1_3repE0EEENS1_30default_config_static_selectorELNS0_4arch9wavefront6targetE1EEEvSL_
    .private_segment_fixed_size: 0
    .sgpr_count:     4
    .sgpr_spill_count: 0
    .symbol:         _ZN7rocprim17ROCPRIM_400000_NS6detail17trampoline_kernelINS0_14default_configENS1_37merge_sort_block_sort_config_selectorI14custom_numericNS0_10empty_typeEEEZNS1_21merge_sort_block_sortIS3_N6thrust23THRUST_200600_302600_NS6detail15normal_iteratorINSA_10device_ptrIS5_EEEESF_PS6_SG_NSA_4lessIS5_EEEE10hipError_tT0_T1_T2_T3_mRjT4_P12ihipStream_tbNS1_7vsmem_tEEUlT_E_NS1_11comp_targetILNS1_3genE3ELNS1_11target_archE908ELNS1_3gpuE7ELNS1_3repE0EEENS1_30default_config_static_selectorELNS0_4arch9wavefront6targetE1EEEvSL_.kd
    .uniform_work_group_size: 1
    .uses_dynamic_stack: false
    .vgpr_count:     0
    .vgpr_spill_count: 0
    .wavefront_size: 64
  - .agpr_count:     0
    .args:
      - .offset:         0
        .size:           64
        .value_kind:     by_value
    .group_segment_fixed_size: 0
    .kernarg_segment_align: 8
    .kernarg_segment_size: 64
    .language:       OpenCL C
    .language_version:
      - 2
      - 0
    .max_flat_workgroup_size: 256
    .name:           _ZN7rocprim17ROCPRIM_400000_NS6detail17trampoline_kernelINS0_14default_configENS1_37merge_sort_block_sort_config_selectorI14custom_numericNS0_10empty_typeEEEZNS1_21merge_sort_block_sortIS3_N6thrust23THRUST_200600_302600_NS6detail15normal_iteratorINSA_10device_ptrIS5_EEEESF_PS6_SG_NSA_4lessIS5_EEEE10hipError_tT0_T1_T2_T3_mRjT4_P12ihipStream_tbNS1_7vsmem_tEEUlT_E_NS1_11comp_targetILNS1_3genE2ELNS1_11target_archE906ELNS1_3gpuE6ELNS1_3repE0EEENS1_30default_config_static_selectorELNS0_4arch9wavefront6targetE1EEEvSL_
    .private_segment_fixed_size: 0
    .sgpr_count:     4
    .sgpr_spill_count: 0
    .symbol:         _ZN7rocprim17ROCPRIM_400000_NS6detail17trampoline_kernelINS0_14default_configENS1_37merge_sort_block_sort_config_selectorI14custom_numericNS0_10empty_typeEEEZNS1_21merge_sort_block_sortIS3_N6thrust23THRUST_200600_302600_NS6detail15normal_iteratorINSA_10device_ptrIS5_EEEESF_PS6_SG_NSA_4lessIS5_EEEE10hipError_tT0_T1_T2_T3_mRjT4_P12ihipStream_tbNS1_7vsmem_tEEUlT_E_NS1_11comp_targetILNS1_3genE2ELNS1_11target_archE906ELNS1_3gpuE6ELNS1_3repE0EEENS1_30default_config_static_selectorELNS0_4arch9wavefront6targetE1EEEvSL_.kd
    .uniform_work_group_size: 1
    .uses_dynamic_stack: false
    .vgpr_count:     0
    .vgpr_spill_count: 0
    .wavefront_size: 64
  - .agpr_count:     0
    .args:
      - .offset:         0
        .size:           64
        .value_kind:     by_value
    .group_segment_fixed_size: 0
    .kernarg_segment_align: 8
    .kernarg_segment_size: 64
    .language:       OpenCL C
    .language_version:
      - 2
      - 0
    .max_flat_workgroup_size: 256
    .name:           _ZN7rocprim17ROCPRIM_400000_NS6detail17trampoline_kernelINS0_14default_configENS1_37merge_sort_block_sort_config_selectorI14custom_numericNS0_10empty_typeEEEZNS1_21merge_sort_block_sortIS3_N6thrust23THRUST_200600_302600_NS6detail15normal_iteratorINSA_10device_ptrIS5_EEEESF_PS6_SG_NSA_4lessIS5_EEEE10hipError_tT0_T1_T2_T3_mRjT4_P12ihipStream_tbNS1_7vsmem_tEEUlT_E_NS1_11comp_targetILNS1_3genE10ELNS1_11target_archE1201ELNS1_3gpuE5ELNS1_3repE0EEENS1_30default_config_static_selectorELNS0_4arch9wavefront6targetE1EEEvSL_
    .private_segment_fixed_size: 0
    .sgpr_count:     4
    .sgpr_spill_count: 0
    .symbol:         _ZN7rocprim17ROCPRIM_400000_NS6detail17trampoline_kernelINS0_14default_configENS1_37merge_sort_block_sort_config_selectorI14custom_numericNS0_10empty_typeEEEZNS1_21merge_sort_block_sortIS3_N6thrust23THRUST_200600_302600_NS6detail15normal_iteratorINSA_10device_ptrIS5_EEEESF_PS6_SG_NSA_4lessIS5_EEEE10hipError_tT0_T1_T2_T3_mRjT4_P12ihipStream_tbNS1_7vsmem_tEEUlT_E_NS1_11comp_targetILNS1_3genE10ELNS1_11target_archE1201ELNS1_3gpuE5ELNS1_3repE0EEENS1_30default_config_static_selectorELNS0_4arch9wavefront6targetE1EEEvSL_.kd
    .uniform_work_group_size: 1
    .uses_dynamic_stack: false
    .vgpr_count:     0
    .vgpr_spill_count: 0
    .wavefront_size: 64
  - .agpr_count:     0
    .args:
      - .offset:         0
        .size:           64
        .value_kind:     by_value
    .group_segment_fixed_size: 0
    .kernarg_segment_align: 8
    .kernarg_segment_size: 64
    .language:       OpenCL C
    .language_version:
      - 2
      - 0
    .max_flat_workgroup_size: 256
    .name:           _ZN7rocprim17ROCPRIM_400000_NS6detail17trampoline_kernelINS0_14default_configENS1_37merge_sort_block_sort_config_selectorI14custom_numericNS0_10empty_typeEEEZNS1_21merge_sort_block_sortIS3_N6thrust23THRUST_200600_302600_NS6detail15normal_iteratorINSA_10device_ptrIS5_EEEESF_PS6_SG_NSA_4lessIS5_EEEE10hipError_tT0_T1_T2_T3_mRjT4_P12ihipStream_tbNS1_7vsmem_tEEUlT_E_NS1_11comp_targetILNS1_3genE10ELNS1_11target_archE1200ELNS1_3gpuE4ELNS1_3repE0EEENS1_30default_config_static_selectorELNS0_4arch9wavefront6targetE1EEEvSL_
    .private_segment_fixed_size: 0
    .sgpr_count:     4
    .sgpr_spill_count: 0
    .symbol:         _ZN7rocprim17ROCPRIM_400000_NS6detail17trampoline_kernelINS0_14default_configENS1_37merge_sort_block_sort_config_selectorI14custom_numericNS0_10empty_typeEEEZNS1_21merge_sort_block_sortIS3_N6thrust23THRUST_200600_302600_NS6detail15normal_iteratorINSA_10device_ptrIS5_EEEESF_PS6_SG_NSA_4lessIS5_EEEE10hipError_tT0_T1_T2_T3_mRjT4_P12ihipStream_tbNS1_7vsmem_tEEUlT_E_NS1_11comp_targetILNS1_3genE10ELNS1_11target_archE1200ELNS1_3gpuE4ELNS1_3repE0EEENS1_30default_config_static_selectorELNS0_4arch9wavefront6targetE1EEEvSL_.kd
    .uniform_work_group_size: 1
    .uses_dynamic_stack: false
    .vgpr_count:     0
    .vgpr_spill_count: 0
    .wavefront_size: 64
  - .agpr_count:     0
    .args:
      - .offset:         0
        .size:           64
        .value_kind:     by_value
    .group_segment_fixed_size: 0
    .kernarg_segment_align: 8
    .kernarg_segment_size: 64
    .language:       OpenCL C
    .language_version:
      - 2
      - 0
    .max_flat_workgroup_size: 256
    .name:           _ZN7rocprim17ROCPRIM_400000_NS6detail17trampoline_kernelINS0_14default_configENS1_37merge_sort_block_sort_config_selectorI14custom_numericNS0_10empty_typeEEEZNS1_21merge_sort_block_sortIS3_N6thrust23THRUST_200600_302600_NS6detail15normal_iteratorINSA_10device_ptrIS5_EEEESF_PS6_SG_NSA_4lessIS5_EEEE10hipError_tT0_T1_T2_T3_mRjT4_P12ihipStream_tbNS1_7vsmem_tEEUlT_E_NS1_11comp_targetILNS1_3genE9ELNS1_11target_archE1100ELNS1_3gpuE3ELNS1_3repE0EEENS1_30default_config_static_selectorELNS0_4arch9wavefront6targetE1EEEvSL_
    .private_segment_fixed_size: 0
    .sgpr_count:     4
    .sgpr_spill_count: 0
    .symbol:         _ZN7rocprim17ROCPRIM_400000_NS6detail17trampoline_kernelINS0_14default_configENS1_37merge_sort_block_sort_config_selectorI14custom_numericNS0_10empty_typeEEEZNS1_21merge_sort_block_sortIS3_N6thrust23THRUST_200600_302600_NS6detail15normal_iteratorINSA_10device_ptrIS5_EEEESF_PS6_SG_NSA_4lessIS5_EEEE10hipError_tT0_T1_T2_T3_mRjT4_P12ihipStream_tbNS1_7vsmem_tEEUlT_E_NS1_11comp_targetILNS1_3genE9ELNS1_11target_archE1100ELNS1_3gpuE3ELNS1_3repE0EEENS1_30default_config_static_selectorELNS0_4arch9wavefront6targetE1EEEvSL_.kd
    .uniform_work_group_size: 1
    .uses_dynamic_stack: false
    .vgpr_count:     0
    .vgpr_spill_count: 0
    .wavefront_size: 64
  - .agpr_count:     0
    .args:
      - .offset:         0
        .size:           64
        .value_kind:     by_value
    .group_segment_fixed_size: 0
    .kernarg_segment_align: 8
    .kernarg_segment_size: 64
    .language:       OpenCL C
    .language_version:
      - 2
      - 0
    .max_flat_workgroup_size: 256
    .name:           _ZN7rocprim17ROCPRIM_400000_NS6detail17trampoline_kernelINS0_14default_configENS1_37merge_sort_block_sort_config_selectorI14custom_numericNS0_10empty_typeEEEZNS1_21merge_sort_block_sortIS3_N6thrust23THRUST_200600_302600_NS6detail15normal_iteratorINSA_10device_ptrIS5_EEEESF_PS6_SG_NSA_4lessIS5_EEEE10hipError_tT0_T1_T2_T3_mRjT4_P12ihipStream_tbNS1_7vsmem_tEEUlT_E_NS1_11comp_targetILNS1_3genE8ELNS1_11target_archE1030ELNS1_3gpuE2ELNS1_3repE0EEENS1_30default_config_static_selectorELNS0_4arch9wavefront6targetE1EEEvSL_
    .private_segment_fixed_size: 0
    .sgpr_count:     4
    .sgpr_spill_count: 0
    .symbol:         _ZN7rocprim17ROCPRIM_400000_NS6detail17trampoline_kernelINS0_14default_configENS1_37merge_sort_block_sort_config_selectorI14custom_numericNS0_10empty_typeEEEZNS1_21merge_sort_block_sortIS3_N6thrust23THRUST_200600_302600_NS6detail15normal_iteratorINSA_10device_ptrIS5_EEEESF_PS6_SG_NSA_4lessIS5_EEEE10hipError_tT0_T1_T2_T3_mRjT4_P12ihipStream_tbNS1_7vsmem_tEEUlT_E_NS1_11comp_targetILNS1_3genE8ELNS1_11target_archE1030ELNS1_3gpuE2ELNS1_3repE0EEENS1_30default_config_static_selectorELNS0_4arch9wavefront6targetE1EEEvSL_.kd
    .uniform_work_group_size: 1
    .uses_dynamic_stack: false
    .vgpr_count:     0
    .vgpr_spill_count: 0
    .wavefront_size: 64
  - .agpr_count:     0
    .args:
      - .offset:         0
        .size:           48
        .value_kind:     by_value
    .group_segment_fixed_size: 0
    .kernarg_segment_align: 8
    .kernarg_segment_size: 48
    .language:       OpenCL C
    .language_version:
      - 2
      - 0
    .max_flat_workgroup_size: 128
    .name:           _ZN7rocprim17ROCPRIM_400000_NS6detail17trampoline_kernelINS0_14default_configENS1_38merge_sort_block_merge_config_selectorI14custom_numericNS0_10empty_typeEEEZZNS1_27merge_sort_block_merge_implIS3_N6thrust23THRUST_200600_302600_NS6detail15normal_iteratorINSA_10device_ptrIS5_EEEEPS6_mNSA_4lessIS5_EEEE10hipError_tT0_T1_T2_jT3_P12ihipStream_tbPNSt15iterator_traitsISK_E10value_typeEPNSQ_ISL_E10value_typeEPSM_NS1_7vsmem_tEENKUlT_SK_SL_SM_E_clIPS5_SF_SG_SG_EESJ_SZ_SK_SL_SM_EUlSZ_E_NS1_11comp_targetILNS1_3genE0ELNS1_11target_archE4294967295ELNS1_3gpuE0ELNS1_3repE0EEENS1_48merge_mergepath_partition_config_static_selectorELNS0_4arch9wavefront6targetE1EEEvSL_
    .private_segment_fixed_size: 0
    .sgpr_count:     4
    .sgpr_spill_count: 0
    .symbol:         _ZN7rocprim17ROCPRIM_400000_NS6detail17trampoline_kernelINS0_14default_configENS1_38merge_sort_block_merge_config_selectorI14custom_numericNS0_10empty_typeEEEZZNS1_27merge_sort_block_merge_implIS3_N6thrust23THRUST_200600_302600_NS6detail15normal_iteratorINSA_10device_ptrIS5_EEEEPS6_mNSA_4lessIS5_EEEE10hipError_tT0_T1_T2_jT3_P12ihipStream_tbPNSt15iterator_traitsISK_E10value_typeEPNSQ_ISL_E10value_typeEPSM_NS1_7vsmem_tEENKUlT_SK_SL_SM_E_clIPS5_SF_SG_SG_EESJ_SZ_SK_SL_SM_EUlSZ_E_NS1_11comp_targetILNS1_3genE0ELNS1_11target_archE4294967295ELNS1_3gpuE0ELNS1_3repE0EEENS1_48merge_mergepath_partition_config_static_selectorELNS0_4arch9wavefront6targetE1EEEvSL_.kd
    .uniform_work_group_size: 1
    .uses_dynamic_stack: false
    .vgpr_count:     0
    .vgpr_spill_count: 0
    .wavefront_size: 64
  - .agpr_count:     0
    .args:
      - .offset:         0
        .size:           48
        .value_kind:     by_value
    .group_segment_fixed_size: 0
    .kernarg_segment_align: 8
    .kernarg_segment_size: 48
    .language:       OpenCL C
    .language_version:
      - 2
      - 0
    .max_flat_workgroup_size: 128
    .name:           _ZN7rocprim17ROCPRIM_400000_NS6detail17trampoline_kernelINS0_14default_configENS1_38merge_sort_block_merge_config_selectorI14custom_numericNS0_10empty_typeEEEZZNS1_27merge_sort_block_merge_implIS3_N6thrust23THRUST_200600_302600_NS6detail15normal_iteratorINSA_10device_ptrIS5_EEEEPS6_mNSA_4lessIS5_EEEE10hipError_tT0_T1_T2_jT3_P12ihipStream_tbPNSt15iterator_traitsISK_E10value_typeEPNSQ_ISL_E10value_typeEPSM_NS1_7vsmem_tEENKUlT_SK_SL_SM_E_clIPS5_SF_SG_SG_EESJ_SZ_SK_SL_SM_EUlSZ_E_NS1_11comp_targetILNS1_3genE10ELNS1_11target_archE1201ELNS1_3gpuE5ELNS1_3repE0EEENS1_48merge_mergepath_partition_config_static_selectorELNS0_4arch9wavefront6targetE1EEEvSL_
    .private_segment_fixed_size: 0
    .sgpr_count:     4
    .sgpr_spill_count: 0
    .symbol:         _ZN7rocprim17ROCPRIM_400000_NS6detail17trampoline_kernelINS0_14default_configENS1_38merge_sort_block_merge_config_selectorI14custom_numericNS0_10empty_typeEEEZZNS1_27merge_sort_block_merge_implIS3_N6thrust23THRUST_200600_302600_NS6detail15normal_iteratorINSA_10device_ptrIS5_EEEEPS6_mNSA_4lessIS5_EEEE10hipError_tT0_T1_T2_jT3_P12ihipStream_tbPNSt15iterator_traitsISK_E10value_typeEPNSQ_ISL_E10value_typeEPSM_NS1_7vsmem_tEENKUlT_SK_SL_SM_E_clIPS5_SF_SG_SG_EESJ_SZ_SK_SL_SM_EUlSZ_E_NS1_11comp_targetILNS1_3genE10ELNS1_11target_archE1201ELNS1_3gpuE5ELNS1_3repE0EEENS1_48merge_mergepath_partition_config_static_selectorELNS0_4arch9wavefront6targetE1EEEvSL_.kd
    .uniform_work_group_size: 1
    .uses_dynamic_stack: false
    .vgpr_count:     0
    .vgpr_spill_count: 0
    .wavefront_size: 64
  - .agpr_count:     0
    .args:
      - .offset:         0
        .size:           48
        .value_kind:     by_value
    .group_segment_fixed_size: 0
    .kernarg_segment_align: 8
    .kernarg_segment_size: 48
    .language:       OpenCL C
    .language_version:
      - 2
      - 0
    .max_flat_workgroup_size: 128
    .name:           _ZN7rocprim17ROCPRIM_400000_NS6detail17trampoline_kernelINS0_14default_configENS1_38merge_sort_block_merge_config_selectorI14custom_numericNS0_10empty_typeEEEZZNS1_27merge_sort_block_merge_implIS3_N6thrust23THRUST_200600_302600_NS6detail15normal_iteratorINSA_10device_ptrIS5_EEEEPS6_mNSA_4lessIS5_EEEE10hipError_tT0_T1_T2_jT3_P12ihipStream_tbPNSt15iterator_traitsISK_E10value_typeEPNSQ_ISL_E10value_typeEPSM_NS1_7vsmem_tEENKUlT_SK_SL_SM_E_clIPS5_SF_SG_SG_EESJ_SZ_SK_SL_SM_EUlSZ_E_NS1_11comp_targetILNS1_3genE5ELNS1_11target_archE942ELNS1_3gpuE9ELNS1_3repE0EEENS1_48merge_mergepath_partition_config_static_selectorELNS0_4arch9wavefront6targetE1EEEvSL_
    .private_segment_fixed_size: 0
    .sgpr_count:     4
    .sgpr_spill_count: 0
    .symbol:         _ZN7rocprim17ROCPRIM_400000_NS6detail17trampoline_kernelINS0_14default_configENS1_38merge_sort_block_merge_config_selectorI14custom_numericNS0_10empty_typeEEEZZNS1_27merge_sort_block_merge_implIS3_N6thrust23THRUST_200600_302600_NS6detail15normal_iteratorINSA_10device_ptrIS5_EEEEPS6_mNSA_4lessIS5_EEEE10hipError_tT0_T1_T2_jT3_P12ihipStream_tbPNSt15iterator_traitsISK_E10value_typeEPNSQ_ISL_E10value_typeEPSM_NS1_7vsmem_tEENKUlT_SK_SL_SM_E_clIPS5_SF_SG_SG_EESJ_SZ_SK_SL_SM_EUlSZ_E_NS1_11comp_targetILNS1_3genE5ELNS1_11target_archE942ELNS1_3gpuE9ELNS1_3repE0EEENS1_48merge_mergepath_partition_config_static_selectorELNS0_4arch9wavefront6targetE1EEEvSL_.kd
    .uniform_work_group_size: 1
    .uses_dynamic_stack: false
    .vgpr_count:     0
    .vgpr_spill_count: 0
    .wavefront_size: 64
  - .agpr_count:     0
    .args:
      - .offset:         0
        .size:           48
        .value_kind:     by_value
    .group_segment_fixed_size: 0
    .kernarg_segment_align: 8
    .kernarg_segment_size: 48
    .language:       OpenCL C
    .language_version:
      - 2
      - 0
    .max_flat_workgroup_size: 128
    .name:           _ZN7rocprim17ROCPRIM_400000_NS6detail17trampoline_kernelINS0_14default_configENS1_38merge_sort_block_merge_config_selectorI14custom_numericNS0_10empty_typeEEEZZNS1_27merge_sort_block_merge_implIS3_N6thrust23THRUST_200600_302600_NS6detail15normal_iteratorINSA_10device_ptrIS5_EEEEPS6_mNSA_4lessIS5_EEEE10hipError_tT0_T1_T2_jT3_P12ihipStream_tbPNSt15iterator_traitsISK_E10value_typeEPNSQ_ISL_E10value_typeEPSM_NS1_7vsmem_tEENKUlT_SK_SL_SM_E_clIPS5_SF_SG_SG_EESJ_SZ_SK_SL_SM_EUlSZ_E_NS1_11comp_targetILNS1_3genE4ELNS1_11target_archE910ELNS1_3gpuE8ELNS1_3repE0EEENS1_48merge_mergepath_partition_config_static_selectorELNS0_4arch9wavefront6targetE1EEEvSL_
    .private_segment_fixed_size: 0
    .sgpr_count:     12
    .sgpr_spill_count: 0
    .symbol:         _ZN7rocprim17ROCPRIM_400000_NS6detail17trampoline_kernelINS0_14default_configENS1_38merge_sort_block_merge_config_selectorI14custom_numericNS0_10empty_typeEEEZZNS1_27merge_sort_block_merge_implIS3_N6thrust23THRUST_200600_302600_NS6detail15normal_iteratorINSA_10device_ptrIS5_EEEEPS6_mNSA_4lessIS5_EEEE10hipError_tT0_T1_T2_jT3_P12ihipStream_tbPNSt15iterator_traitsISK_E10value_typeEPNSQ_ISL_E10value_typeEPSM_NS1_7vsmem_tEENKUlT_SK_SL_SM_E_clIPS5_SF_SG_SG_EESJ_SZ_SK_SL_SM_EUlSZ_E_NS1_11comp_targetILNS1_3genE4ELNS1_11target_archE910ELNS1_3gpuE8ELNS1_3repE0EEENS1_48merge_mergepath_partition_config_static_selectorELNS0_4arch9wavefront6targetE1EEEvSL_.kd
    .uniform_work_group_size: 1
    .uses_dynamic_stack: false
    .vgpr_count:     22
    .vgpr_spill_count: 0
    .wavefront_size: 64
  - .agpr_count:     0
    .args:
      - .offset:         0
        .size:           48
        .value_kind:     by_value
    .group_segment_fixed_size: 0
    .kernarg_segment_align: 8
    .kernarg_segment_size: 48
    .language:       OpenCL C
    .language_version:
      - 2
      - 0
    .max_flat_workgroup_size: 128
    .name:           _ZN7rocprim17ROCPRIM_400000_NS6detail17trampoline_kernelINS0_14default_configENS1_38merge_sort_block_merge_config_selectorI14custom_numericNS0_10empty_typeEEEZZNS1_27merge_sort_block_merge_implIS3_N6thrust23THRUST_200600_302600_NS6detail15normal_iteratorINSA_10device_ptrIS5_EEEEPS6_mNSA_4lessIS5_EEEE10hipError_tT0_T1_T2_jT3_P12ihipStream_tbPNSt15iterator_traitsISK_E10value_typeEPNSQ_ISL_E10value_typeEPSM_NS1_7vsmem_tEENKUlT_SK_SL_SM_E_clIPS5_SF_SG_SG_EESJ_SZ_SK_SL_SM_EUlSZ_E_NS1_11comp_targetILNS1_3genE3ELNS1_11target_archE908ELNS1_3gpuE7ELNS1_3repE0EEENS1_48merge_mergepath_partition_config_static_selectorELNS0_4arch9wavefront6targetE1EEEvSL_
    .private_segment_fixed_size: 0
    .sgpr_count:     4
    .sgpr_spill_count: 0
    .symbol:         _ZN7rocprim17ROCPRIM_400000_NS6detail17trampoline_kernelINS0_14default_configENS1_38merge_sort_block_merge_config_selectorI14custom_numericNS0_10empty_typeEEEZZNS1_27merge_sort_block_merge_implIS3_N6thrust23THRUST_200600_302600_NS6detail15normal_iteratorINSA_10device_ptrIS5_EEEEPS6_mNSA_4lessIS5_EEEE10hipError_tT0_T1_T2_jT3_P12ihipStream_tbPNSt15iterator_traitsISK_E10value_typeEPNSQ_ISL_E10value_typeEPSM_NS1_7vsmem_tEENKUlT_SK_SL_SM_E_clIPS5_SF_SG_SG_EESJ_SZ_SK_SL_SM_EUlSZ_E_NS1_11comp_targetILNS1_3genE3ELNS1_11target_archE908ELNS1_3gpuE7ELNS1_3repE0EEENS1_48merge_mergepath_partition_config_static_selectorELNS0_4arch9wavefront6targetE1EEEvSL_.kd
    .uniform_work_group_size: 1
    .uses_dynamic_stack: false
    .vgpr_count:     0
    .vgpr_spill_count: 0
    .wavefront_size: 64
  - .agpr_count:     0
    .args:
      - .offset:         0
        .size:           48
        .value_kind:     by_value
    .group_segment_fixed_size: 0
    .kernarg_segment_align: 8
    .kernarg_segment_size: 48
    .language:       OpenCL C
    .language_version:
      - 2
      - 0
    .max_flat_workgroup_size: 128
    .name:           _ZN7rocprim17ROCPRIM_400000_NS6detail17trampoline_kernelINS0_14default_configENS1_38merge_sort_block_merge_config_selectorI14custom_numericNS0_10empty_typeEEEZZNS1_27merge_sort_block_merge_implIS3_N6thrust23THRUST_200600_302600_NS6detail15normal_iteratorINSA_10device_ptrIS5_EEEEPS6_mNSA_4lessIS5_EEEE10hipError_tT0_T1_T2_jT3_P12ihipStream_tbPNSt15iterator_traitsISK_E10value_typeEPNSQ_ISL_E10value_typeEPSM_NS1_7vsmem_tEENKUlT_SK_SL_SM_E_clIPS5_SF_SG_SG_EESJ_SZ_SK_SL_SM_EUlSZ_E_NS1_11comp_targetILNS1_3genE2ELNS1_11target_archE906ELNS1_3gpuE6ELNS1_3repE0EEENS1_48merge_mergepath_partition_config_static_selectorELNS0_4arch9wavefront6targetE1EEEvSL_
    .private_segment_fixed_size: 0
    .sgpr_count:     4
    .sgpr_spill_count: 0
    .symbol:         _ZN7rocprim17ROCPRIM_400000_NS6detail17trampoline_kernelINS0_14default_configENS1_38merge_sort_block_merge_config_selectorI14custom_numericNS0_10empty_typeEEEZZNS1_27merge_sort_block_merge_implIS3_N6thrust23THRUST_200600_302600_NS6detail15normal_iteratorINSA_10device_ptrIS5_EEEEPS6_mNSA_4lessIS5_EEEE10hipError_tT0_T1_T2_jT3_P12ihipStream_tbPNSt15iterator_traitsISK_E10value_typeEPNSQ_ISL_E10value_typeEPSM_NS1_7vsmem_tEENKUlT_SK_SL_SM_E_clIPS5_SF_SG_SG_EESJ_SZ_SK_SL_SM_EUlSZ_E_NS1_11comp_targetILNS1_3genE2ELNS1_11target_archE906ELNS1_3gpuE6ELNS1_3repE0EEENS1_48merge_mergepath_partition_config_static_selectorELNS0_4arch9wavefront6targetE1EEEvSL_.kd
    .uniform_work_group_size: 1
    .uses_dynamic_stack: false
    .vgpr_count:     0
    .vgpr_spill_count: 0
    .wavefront_size: 64
  - .agpr_count:     0
    .args:
      - .offset:         0
        .size:           48
        .value_kind:     by_value
    .group_segment_fixed_size: 0
    .kernarg_segment_align: 8
    .kernarg_segment_size: 48
    .language:       OpenCL C
    .language_version:
      - 2
      - 0
    .max_flat_workgroup_size: 128
    .name:           _ZN7rocprim17ROCPRIM_400000_NS6detail17trampoline_kernelINS0_14default_configENS1_38merge_sort_block_merge_config_selectorI14custom_numericNS0_10empty_typeEEEZZNS1_27merge_sort_block_merge_implIS3_N6thrust23THRUST_200600_302600_NS6detail15normal_iteratorINSA_10device_ptrIS5_EEEEPS6_mNSA_4lessIS5_EEEE10hipError_tT0_T1_T2_jT3_P12ihipStream_tbPNSt15iterator_traitsISK_E10value_typeEPNSQ_ISL_E10value_typeEPSM_NS1_7vsmem_tEENKUlT_SK_SL_SM_E_clIPS5_SF_SG_SG_EESJ_SZ_SK_SL_SM_EUlSZ_E_NS1_11comp_targetILNS1_3genE9ELNS1_11target_archE1100ELNS1_3gpuE3ELNS1_3repE0EEENS1_48merge_mergepath_partition_config_static_selectorELNS0_4arch9wavefront6targetE1EEEvSL_
    .private_segment_fixed_size: 0
    .sgpr_count:     4
    .sgpr_spill_count: 0
    .symbol:         _ZN7rocprim17ROCPRIM_400000_NS6detail17trampoline_kernelINS0_14default_configENS1_38merge_sort_block_merge_config_selectorI14custom_numericNS0_10empty_typeEEEZZNS1_27merge_sort_block_merge_implIS3_N6thrust23THRUST_200600_302600_NS6detail15normal_iteratorINSA_10device_ptrIS5_EEEEPS6_mNSA_4lessIS5_EEEE10hipError_tT0_T1_T2_jT3_P12ihipStream_tbPNSt15iterator_traitsISK_E10value_typeEPNSQ_ISL_E10value_typeEPSM_NS1_7vsmem_tEENKUlT_SK_SL_SM_E_clIPS5_SF_SG_SG_EESJ_SZ_SK_SL_SM_EUlSZ_E_NS1_11comp_targetILNS1_3genE9ELNS1_11target_archE1100ELNS1_3gpuE3ELNS1_3repE0EEENS1_48merge_mergepath_partition_config_static_selectorELNS0_4arch9wavefront6targetE1EEEvSL_.kd
    .uniform_work_group_size: 1
    .uses_dynamic_stack: false
    .vgpr_count:     0
    .vgpr_spill_count: 0
    .wavefront_size: 64
  - .agpr_count:     0
    .args:
      - .offset:         0
        .size:           48
        .value_kind:     by_value
    .group_segment_fixed_size: 0
    .kernarg_segment_align: 8
    .kernarg_segment_size: 48
    .language:       OpenCL C
    .language_version:
      - 2
      - 0
    .max_flat_workgroup_size: 128
    .name:           _ZN7rocprim17ROCPRIM_400000_NS6detail17trampoline_kernelINS0_14default_configENS1_38merge_sort_block_merge_config_selectorI14custom_numericNS0_10empty_typeEEEZZNS1_27merge_sort_block_merge_implIS3_N6thrust23THRUST_200600_302600_NS6detail15normal_iteratorINSA_10device_ptrIS5_EEEEPS6_mNSA_4lessIS5_EEEE10hipError_tT0_T1_T2_jT3_P12ihipStream_tbPNSt15iterator_traitsISK_E10value_typeEPNSQ_ISL_E10value_typeEPSM_NS1_7vsmem_tEENKUlT_SK_SL_SM_E_clIPS5_SF_SG_SG_EESJ_SZ_SK_SL_SM_EUlSZ_E_NS1_11comp_targetILNS1_3genE8ELNS1_11target_archE1030ELNS1_3gpuE2ELNS1_3repE0EEENS1_48merge_mergepath_partition_config_static_selectorELNS0_4arch9wavefront6targetE1EEEvSL_
    .private_segment_fixed_size: 0
    .sgpr_count:     4
    .sgpr_spill_count: 0
    .symbol:         _ZN7rocprim17ROCPRIM_400000_NS6detail17trampoline_kernelINS0_14default_configENS1_38merge_sort_block_merge_config_selectorI14custom_numericNS0_10empty_typeEEEZZNS1_27merge_sort_block_merge_implIS3_N6thrust23THRUST_200600_302600_NS6detail15normal_iteratorINSA_10device_ptrIS5_EEEEPS6_mNSA_4lessIS5_EEEE10hipError_tT0_T1_T2_jT3_P12ihipStream_tbPNSt15iterator_traitsISK_E10value_typeEPNSQ_ISL_E10value_typeEPSM_NS1_7vsmem_tEENKUlT_SK_SL_SM_E_clIPS5_SF_SG_SG_EESJ_SZ_SK_SL_SM_EUlSZ_E_NS1_11comp_targetILNS1_3genE8ELNS1_11target_archE1030ELNS1_3gpuE2ELNS1_3repE0EEENS1_48merge_mergepath_partition_config_static_selectorELNS0_4arch9wavefront6targetE1EEEvSL_.kd
    .uniform_work_group_size: 1
    .uses_dynamic_stack: false
    .vgpr_count:     0
    .vgpr_spill_count: 0
    .wavefront_size: 64
  - .agpr_count:     0
    .args:
      - .offset:         0
        .size:           72
        .value_kind:     by_value
    .group_segment_fixed_size: 0
    .kernarg_segment_align: 8
    .kernarg_segment_size: 72
    .language:       OpenCL C
    .language_version:
      - 2
      - 0
    .max_flat_workgroup_size: 128
    .name:           _ZN7rocprim17ROCPRIM_400000_NS6detail17trampoline_kernelINS0_14default_configENS1_38merge_sort_block_merge_config_selectorI14custom_numericNS0_10empty_typeEEEZZNS1_27merge_sort_block_merge_implIS3_N6thrust23THRUST_200600_302600_NS6detail15normal_iteratorINSA_10device_ptrIS5_EEEEPS6_mNSA_4lessIS5_EEEE10hipError_tT0_T1_T2_jT3_P12ihipStream_tbPNSt15iterator_traitsISK_E10value_typeEPNSQ_ISL_E10value_typeEPSM_NS1_7vsmem_tEENKUlT_SK_SL_SM_E_clIPS5_SF_SG_SG_EESJ_SZ_SK_SL_SM_EUlSZ_E0_NS1_11comp_targetILNS1_3genE0ELNS1_11target_archE4294967295ELNS1_3gpuE0ELNS1_3repE0EEENS1_38merge_mergepath_config_static_selectorELNS0_4arch9wavefront6targetE1EEEvSL_
    .private_segment_fixed_size: 0
    .sgpr_count:     4
    .sgpr_spill_count: 0
    .symbol:         _ZN7rocprim17ROCPRIM_400000_NS6detail17trampoline_kernelINS0_14default_configENS1_38merge_sort_block_merge_config_selectorI14custom_numericNS0_10empty_typeEEEZZNS1_27merge_sort_block_merge_implIS3_N6thrust23THRUST_200600_302600_NS6detail15normal_iteratorINSA_10device_ptrIS5_EEEEPS6_mNSA_4lessIS5_EEEE10hipError_tT0_T1_T2_jT3_P12ihipStream_tbPNSt15iterator_traitsISK_E10value_typeEPNSQ_ISL_E10value_typeEPSM_NS1_7vsmem_tEENKUlT_SK_SL_SM_E_clIPS5_SF_SG_SG_EESJ_SZ_SK_SL_SM_EUlSZ_E0_NS1_11comp_targetILNS1_3genE0ELNS1_11target_archE4294967295ELNS1_3gpuE0ELNS1_3repE0EEENS1_38merge_mergepath_config_static_selectorELNS0_4arch9wavefront6targetE1EEEvSL_.kd
    .uniform_work_group_size: 1
    .uses_dynamic_stack: false
    .vgpr_count:     0
    .vgpr_spill_count: 0
    .wavefront_size: 64
  - .agpr_count:     0
    .args:
      - .offset:         0
        .size:           72
        .value_kind:     by_value
    .group_segment_fixed_size: 0
    .kernarg_segment_align: 8
    .kernarg_segment_size: 72
    .language:       OpenCL C
    .language_version:
      - 2
      - 0
    .max_flat_workgroup_size: 128
    .name:           _ZN7rocprim17ROCPRIM_400000_NS6detail17trampoline_kernelINS0_14default_configENS1_38merge_sort_block_merge_config_selectorI14custom_numericNS0_10empty_typeEEEZZNS1_27merge_sort_block_merge_implIS3_N6thrust23THRUST_200600_302600_NS6detail15normal_iteratorINSA_10device_ptrIS5_EEEEPS6_mNSA_4lessIS5_EEEE10hipError_tT0_T1_T2_jT3_P12ihipStream_tbPNSt15iterator_traitsISK_E10value_typeEPNSQ_ISL_E10value_typeEPSM_NS1_7vsmem_tEENKUlT_SK_SL_SM_E_clIPS5_SF_SG_SG_EESJ_SZ_SK_SL_SM_EUlSZ_E0_NS1_11comp_targetILNS1_3genE10ELNS1_11target_archE1201ELNS1_3gpuE5ELNS1_3repE0EEENS1_38merge_mergepath_config_static_selectorELNS0_4arch9wavefront6targetE1EEEvSL_
    .private_segment_fixed_size: 0
    .sgpr_count:     4
    .sgpr_spill_count: 0
    .symbol:         _ZN7rocprim17ROCPRIM_400000_NS6detail17trampoline_kernelINS0_14default_configENS1_38merge_sort_block_merge_config_selectorI14custom_numericNS0_10empty_typeEEEZZNS1_27merge_sort_block_merge_implIS3_N6thrust23THRUST_200600_302600_NS6detail15normal_iteratorINSA_10device_ptrIS5_EEEEPS6_mNSA_4lessIS5_EEEE10hipError_tT0_T1_T2_jT3_P12ihipStream_tbPNSt15iterator_traitsISK_E10value_typeEPNSQ_ISL_E10value_typeEPSM_NS1_7vsmem_tEENKUlT_SK_SL_SM_E_clIPS5_SF_SG_SG_EESJ_SZ_SK_SL_SM_EUlSZ_E0_NS1_11comp_targetILNS1_3genE10ELNS1_11target_archE1201ELNS1_3gpuE5ELNS1_3repE0EEENS1_38merge_mergepath_config_static_selectorELNS0_4arch9wavefront6targetE1EEEvSL_.kd
    .uniform_work_group_size: 1
    .uses_dynamic_stack: false
    .vgpr_count:     0
    .vgpr_spill_count: 0
    .wavefront_size: 64
  - .agpr_count:     0
    .args:
      - .offset:         0
        .size:           72
        .value_kind:     by_value
    .group_segment_fixed_size: 0
    .kernarg_segment_align: 8
    .kernarg_segment_size: 72
    .language:       OpenCL C
    .language_version:
      - 2
      - 0
    .max_flat_workgroup_size: 128
    .name:           _ZN7rocprim17ROCPRIM_400000_NS6detail17trampoline_kernelINS0_14default_configENS1_38merge_sort_block_merge_config_selectorI14custom_numericNS0_10empty_typeEEEZZNS1_27merge_sort_block_merge_implIS3_N6thrust23THRUST_200600_302600_NS6detail15normal_iteratorINSA_10device_ptrIS5_EEEEPS6_mNSA_4lessIS5_EEEE10hipError_tT0_T1_T2_jT3_P12ihipStream_tbPNSt15iterator_traitsISK_E10value_typeEPNSQ_ISL_E10value_typeEPSM_NS1_7vsmem_tEENKUlT_SK_SL_SM_E_clIPS5_SF_SG_SG_EESJ_SZ_SK_SL_SM_EUlSZ_E0_NS1_11comp_targetILNS1_3genE5ELNS1_11target_archE942ELNS1_3gpuE9ELNS1_3repE0EEENS1_38merge_mergepath_config_static_selectorELNS0_4arch9wavefront6targetE1EEEvSL_
    .private_segment_fixed_size: 0
    .sgpr_count:     4
    .sgpr_spill_count: 0
    .symbol:         _ZN7rocprim17ROCPRIM_400000_NS6detail17trampoline_kernelINS0_14default_configENS1_38merge_sort_block_merge_config_selectorI14custom_numericNS0_10empty_typeEEEZZNS1_27merge_sort_block_merge_implIS3_N6thrust23THRUST_200600_302600_NS6detail15normal_iteratorINSA_10device_ptrIS5_EEEEPS6_mNSA_4lessIS5_EEEE10hipError_tT0_T1_T2_jT3_P12ihipStream_tbPNSt15iterator_traitsISK_E10value_typeEPNSQ_ISL_E10value_typeEPSM_NS1_7vsmem_tEENKUlT_SK_SL_SM_E_clIPS5_SF_SG_SG_EESJ_SZ_SK_SL_SM_EUlSZ_E0_NS1_11comp_targetILNS1_3genE5ELNS1_11target_archE942ELNS1_3gpuE9ELNS1_3repE0EEENS1_38merge_mergepath_config_static_selectorELNS0_4arch9wavefront6targetE1EEEvSL_.kd
    .uniform_work_group_size: 1
    .uses_dynamic_stack: false
    .vgpr_count:     0
    .vgpr_spill_count: 0
    .wavefront_size: 64
  - .agpr_count:     0
    .args:
      - .offset:         0
        .size:           72
        .value_kind:     by_value
      - .offset:         72
        .size:           4
        .value_kind:     hidden_block_count_x
      - .offset:         76
        .size:           4
        .value_kind:     hidden_block_count_y
      - .offset:         80
        .size:           4
        .value_kind:     hidden_block_count_z
      - .offset:         84
        .size:           2
        .value_kind:     hidden_group_size_x
      - .offset:         86
        .size:           2
        .value_kind:     hidden_group_size_y
      - .offset:         88
        .size:           2
        .value_kind:     hidden_group_size_z
      - .offset:         90
        .size:           2
        .value_kind:     hidden_remainder_x
      - .offset:         92
        .size:           2
        .value_kind:     hidden_remainder_y
      - .offset:         94
        .size:           2
        .value_kind:     hidden_remainder_z
      - .offset:         112
        .size:           8
        .value_kind:     hidden_global_offset_x
      - .offset:         120
        .size:           8
        .value_kind:     hidden_global_offset_y
      - .offset:         128
        .size:           8
        .value_kind:     hidden_global_offset_z
      - .offset:         136
        .size:           2
        .value_kind:     hidden_grid_dims
    .group_segment_fixed_size: 10560
    .kernarg_segment_align: 8
    .kernarg_segment_size: 328
    .language:       OpenCL C
    .language_version:
      - 2
      - 0
    .max_flat_workgroup_size: 128
    .name:           _ZN7rocprim17ROCPRIM_400000_NS6detail17trampoline_kernelINS0_14default_configENS1_38merge_sort_block_merge_config_selectorI14custom_numericNS0_10empty_typeEEEZZNS1_27merge_sort_block_merge_implIS3_N6thrust23THRUST_200600_302600_NS6detail15normal_iteratorINSA_10device_ptrIS5_EEEEPS6_mNSA_4lessIS5_EEEE10hipError_tT0_T1_T2_jT3_P12ihipStream_tbPNSt15iterator_traitsISK_E10value_typeEPNSQ_ISL_E10value_typeEPSM_NS1_7vsmem_tEENKUlT_SK_SL_SM_E_clIPS5_SF_SG_SG_EESJ_SZ_SK_SL_SM_EUlSZ_E0_NS1_11comp_targetILNS1_3genE4ELNS1_11target_archE910ELNS1_3gpuE8ELNS1_3repE0EEENS1_38merge_mergepath_config_static_selectorELNS0_4arch9wavefront6targetE1EEEvSL_
    .private_segment_fixed_size: 0
    .sgpr_count:     35
    .sgpr_spill_count: 0
    .symbol:         _ZN7rocprim17ROCPRIM_400000_NS6detail17trampoline_kernelINS0_14default_configENS1_38merge_sort_block_merge_config_selectorI14custom_numericNS0_10empty_typeEEEZZNS1_27merge_sort_block_merge_implIS3_N6thrust23THRUST_200600_302600_NS6detail15normal_iteratorINSA_10device_ptrIS5_EEEEPS6_mNSA_4lessIS5_EEEE10hipError_tT0_T1_T2_jT3_P12ihipStream_tbPNSt15iterator_traitsISK_E10value_typeEPNSQ_ISL_E10value_typeEPSM_NS1_7vsmem_tEENKUlT_SK_SL_SM_E_clIPS5_SF_SG_SG_EESJ_SZ_SK_SL_SM_EUlSZ_E0_NS1_11comp_targetILNS1_3genE4ELNS1_11target_archE910ELNS1_3gpuE8ELNS1_3repE0EEENS1_38merge_mergepath_config_static_selectorELNS0_4arch9wavefront6targetE1EEEvSL_.kd
    .uniform_work_group_size: 1
    .uses_dynamic_stack: false
    .vgpr_count:     24
    .vgpr_spill_count: 0
    .wavefront_size: 64
  - .agpr_count:     0
    .args:
      - .offset:         0
        .size:           72
        .value_kind:     by_value
    .group_segment_fixed_size: 0
    .kernarg_segment_align: 8
    .kernarg_segment_size: 72
    .language:       OpenCL C
    .language_version:
      - 2
      - 0
    .max_flat_workgroup_size: 128
    .name:           _ZN7rocprim17ROCPRIM_400000_NS6detail17trampoline_kernelINS0_14default_configENS1_38merge_sort_block_merge_config_selectorI14custom_numericNS0_10empty_typeEEEZZNS1_27merge_sort_block_merge_implIS3_N6thrust23THRUST_200600_302600_NS6detail15normal_iteratorINSA_10device_ptrIS5_EEEEPS6_mNSA_4lessIS5_EEEE10hipError_tT0_T1_T2_jT3_P12ihipStream_tbPNSt15iterator_traitsISK_E10value_typeEPNSQ_ISL_E10value_typeEPSM_NS1_7vsmem_tEENKUlT_SK_SL_SM_E_clIPS5_SF_SG_SG_EESJ_SZ_SK_SL_SM_EUlSZ_E0_NS1_11comp_targetILNS1_3genE3ELNS1_11target_archE908ELNS1_3gpuE7ELNS1_3repE0EEENS1_38merge_mergepath_config_static_selectorELNS0_4arch9wavefront6targetE1EEEvSL_
    .private_segment_fixed_size: 0
    .sgpr_count:     4
    .sgpr_spill_count: 0
    .symbol:         _ZN7rocprim17ROCPRIM_400000_NS6detail17trampoline_kernelINS0_14default_configENS1_38merge_sort_block_merge_config_selectorI14custom_numericNS0_10empty_typeEEEZZNS1_27merge_sort_block_merge_implIS3_N6thrust23THRUST_200600_302600_NS6detail15normal_iteratorINSA_10device_ptrIS5_EEEEPS6_mNSA_4lessIS5_EEEE10hipError_tT0_T1_T2_jT3_P12ihipStream_tbPNSt15iterator_traitsISK_E10value_typeEPNSQ_ISL_E10value_typeEPSM_NS1_7vsmem_tEENKUlT_SK_SL_SM_E_clIPS5_SF_SG_SG_EESJ_SZ_SK_SL_SM_EUlSZ_E0_NS1_11comp_targetILNS1_3genE3ELNS1_11target_archE908ELNS1_3gpuE7ELNS1_3repE0EEENS1_38merge_mergepath_config_static_selectorELNS0_4arch9wavefront6targetE1EEEvSL_.kd
    .uniform_work_group_size: 1
    .uses_dynamic_stack: false
    .vgpr_count:     0
    .vgpr_spill_count: 0
    .wavefront_size: 64
  - .agpr_count:     0
    .args:
      - .offset:         0
        .size:           72
        .value_kind:     by_value
    .group_segment_fixed_size: 0
    .kernarg_segment_align: 8
    .kernarg_segment_size: 72
    .language:       OpenCL C
    .language_version:
      - 2
      - 0
    .max_flat_workgroup_size: 128
    .name:           _ZN7rocprim17ROCPRIM_400000_NS6detail17trampoline_kernelINS0_14default_configENS1_38merge_sort_block_merge_config_selectorI14custom_numericNS0_10empty_typeEEEZZNS1_27merge_sort_block_merge_implIS3_N6thrust23THRUST_200600_302600_NS6detail15normal_iteratorINSA_10device_ptrIS5_EEEEPS6_mNSA_4lessIS5_EEEE10hipError_tT0_T1_T2_jT3_P12ihipStream_tbPNSt15iterator_traitsISK_E10value_typeEPNSQ_ISL_E10value_typeEPSM_NS1_7vsmem_tEENKUlT_SK_SL_SM_E_clIPS5_SF_SG_SG_EESJ_SZ_SK_SL_SM_EUlSZ_E0_NS1_11comp_targetILNS1_3genE2ELNS1_11target_archE906ELNS1_3gpuE6ELNS1_3repE0EEENS1_38merge_mergepath_config_static_selectorELNS0_4arch9wavefront6targetE1EEEvSL_
    .private_segment_fixed_size: 0
    .sgpr_count:     4
    .sgpr_spill_count: 0
    .symbol:         _ZN7rocprim17ROCPRIM_400000_NS6detail17trampoline_kernelINS0_14default_configENS1_38merge_sort_block_merge_config_selectorI14custom_numericNS0_10empty_typeEEEZZNS1_27merge_sort_block_merge_implIS3_N6thrust23THRUST_200600_302600_NS6detail15normal_iteratorINSA_10device_ptrIS5_EEEEPS6_mNSA_4lessIS5_EEEE10hipError_tT0_T1_T2_jT3_P12ihipStream_tbPNSt15iterator_traitsISK_E10value_typeEPNSQ_ISL_E10value_typeEPSM_NS1_7vsmem_tEENKUlT_SK_SL_SM_E_clIPS5_SF_SG_SG_EESJ_SZ_SK_SL_SM_EUlSZ_E0_NS1_11comp_targetILNS1_3genE2ELNS1_11target_archE906ELNS1_3gpuE6ELNS1_3repE0EEENS1_38merge_mergepath_config_static_selectorELNS0_4arch9wavefront6targetE1EEEvSL_.kd
    .uniform_work_group_size: 1
    .uses_dynamic_stack: false
    .vgpr_count:     0
    .vgpr_spill_count: 0
    .wavefront_size: 64
  - .agpr_count:     0
    .args:
      - .offset:         0
        .size:           72
        .value_kind:     by_value
    .group_segment_fixed_size: 0
    .kernarg_segment_align: 8
    .kernarg_segment_size: 72
    .language:       OpenCL C
    .language_version:
      - 2
      - 0
    .max_flat_workgroup_size: 128
    .name:           _ZN7rocprim17ROCPRIM_400000_NS6detail17trampoline_kernelINS0_14default_configENS1_38merge_sort_block_merge_config_selectorI14custom_numericNS0_10empty_typeEEEZZNS1_27merge_sort_block_merge_implIS3_N6thrust23THRUST_200600_302600_NS6detail15normal_iteratorINSA_10device_ptrIS5_EEEEPS6_mNSA_4lessIS5_EEEE10hipError_tT0_T1_T2_jT3_P12ihipStream_tbPNSt15iterator_traitsISK_E10value_typeEPNSQ_ISL_E10value_typeEPSM_NS1_7vsmem_tEENKUlT_SK_SL_SM_E_clIPS5_SF_SG_SG_EESJ_SZ_SK_SL_SM_EUlSZ_E0_NS1_11comp_targetILNS1_3genE9ELNS1_11target_archE1100ELNS1_3gpuE3ELNS1_3repE0EEENS1_38merge_mergepath_config_static_selectorELNS0_4arch9wavefront6targetE1EEEvSL_
    .private_segment_fixed_size: 0
    .sgpr_count:     4
    .sgpr_spill_count: 0
    .symbol:         _ZN7rocprim17ROCPRIM_400000_NS6detail17trampoline_kernelINS0_14default_configENS1_38merge_sort_block_merge_config_selectorI14custom_numericNS0_10empty_typeEEEZZNS1_27merge_sort_block_merge_implIS3_N6thrust23THRUST_200600_302600_NS6detail15normal_iteratorINSA_10device_ptrIS5_EEEEPS6_mNSA_4lessIS5_EEEE10hipError_tT0_T1_T2_jT3_P12ihipStream_tbPNSt15iterator_traitsISK_E10value_typeEPNSQ_ISL_E10value_typeEPSM_NS1_7vsmem_tEENKUlT_SK_SL_SM_E_clIPS5_SF_SG_SG_EESJ_SZ_SK_SL_SM_EUlSZ_E0_NS1_11comp_targetILNS1_3genE9ELNS1_11target_archE1100ELNS1_3gpuE3ELNS1_3repE0EEENS1_38merge_mergepath_config_static_selectorELNS0_4arch9wavefront6targetE1EEEvSL_.kd
    .uniform_work_group_size: 1
    .uses_dynamic_stack: false
    .vgpr_count:     0
    .vgpr_spill_count: 0
    .wavefront_size: 64
  - .agpr_count:     0
    .args:
      - .offset:         0
        .size:           72
        .value_kind:     by_value
    .group_segment_fixed_size: 0
    .kernarg_segment_align: 8
    .kernarg_segment_size: 72
    .language:       OpenCL C
    .language_version:
      - 2
      - 0
    .max_flat_workgroup_size: 128
    .name:           _ZN7rocprim17ROCPRIM_400000_NS6detail17trampoline_kernelINS0_14default_configENS1_38merge_sort_block_merge_config_selectorI14custom_numericNS0_10empty_typeEEEZZNS1_27merge_sort_block_merge_implIS3_N6thrust23THRUST_200600_302600_NS6detail15normal_iteratorINSA_10device_ptrIS5_EEEEPS6_mNSA_4lessIS5_EEEE10hipError_tT0_T1_T2_jT3_P12ihipStream_tbPNSt15iterator_traitsISK_E10value_typeEPNSQ_ISL_E10value_typeEPSM_NS1_7vsmem_tEENKUlT_SK_SL_SM_E_clIPS5_SF_SG_SG_EESJ_SZ_SK_SL_SM_EUlSZ_E0_NS1_11comp_targetILNS1_3genE8ELNS1_11target_archE1030ELNS1_3gpuE2ELNS1_3repE0EEENS1_38merge_mergepath_config_static_selectorELNS0_4arch9wavefront6targetE1EEEvSL_
    .private_segment_fixed_size: 0
    .sgpr_count:     4
    .sgpr_spill_count: 0
    .symbol:         _ZN7rocprim17ROCPRIM_400000_NS6detail17trampoline_kernelINS0_14default_configENS1_38merge_sort_block_merge_config_selectorI14custom_numericNS0_10empty_typeEEEZZNS1_27merge_sort_block_merge_implIS3_N6thrust23THRUST_200600_302600_NS6detail15normal_iteratorINSA_10device_ptrIS5_EEEEPS6_mNSA_4lessIS5_EEEE10hipError_tT0_T1_T2_jT3_P12ihipStream_tbPNSt15iterator_traitsISK_E10value_typeEPNSQ_ISL_E10value_typeEPSM_NS1_7vsmem_tEENKUlT_SK_SL_SM_E_clIPS5_SF_SG_SG_EESJ_SZ_SK_SL_SM_EUlSZ_E0_NS1_11comp_targetILNS1_3genE8ELNS1_11target_archE1030ELNS1_3gpuE2ELNS1_3repE0EEENS1_38merge_mergepath_config_static_selectorELNS0_4arch9wavefront6targetE1EEEvSL_.kd
    .uniform_work_group_size: 1
    .uses_dynamic_stack: false
    .vgpr_count:     0
    .vgpr_spill_count: 0
    .wavefront_size: 64
  - .agpr_count:     0
    .args:
      - .offset:         0
        .size:           56
        .value_kind:     by_value
    .group_segment_fixed_size: 0
    .kernarg_segment_align: 8
    .kernarg_segment_size: 56
    .language:       OpenCL C
    .language_version:
      - 2
      - 0
    .max_flat_workgroup_size: 128
    .name:           _ZN7rocprim17ROCPRIM_400000_NS6detail17trampoline_kernelINS0_14default_configENS1_38merge_sort_block_merge_config_selectorI14custom_numericNS0_10empty_typeEEEZZNS1_27merge_sort_block_merge_implIS3_N6thrust23THRUST_200600_302600_NS6detail15normal_iteratorINSA_10device_ptrIS5_EEEEPS6_mNSA_4lessIS5_EEEE10hipError_tT0_T1_T2_jT3_P12ihipStream_tbPNSt15iterator_traitsISK_E10value_typeEPNSQ_ISL_E10value_typeEPSM_NS1_7vsmem_tEENKUlT_SK_SL_SM_E_clIPS5_SF_SG_SG_EESJ_SZ_SK_SL_SM_EUlSZ_E1_NS1_11comp_targetILNS1_3genE0ELNS1_11target_archE4294967295ELNS1_3gpuE0ELNS1_3repE0EEENS1_36merge_oddeven_config_static_selectorELNS0_4arch9wavefront6targetE1EEEvSL_
    .private_segment_fixed_size: 0
    .sgpr_count:     4
    .sgpr_spill_count: 0
    .symbol:         _ZN7rocprim17ROCPRIM_400000_NS6detail17trampoline_kernelINS0_14default_configENS1_38merge_sort_block_merge_config_selectorI14custom_numericNS0_10empty_typeEEEZZNS1_27merge_sort_block_merge_implIS3_N6thrust23THRUST_200600_302600_NS6detail15normal_iteratorINSA_10device_ptrIS5_EEEEPS6_mNSA_4lessIS5_EEEE10hipError_tT0_T1_T2_jT3_P12ihipStream_tbPNSt15iterator_traitsISK_E10value_typeEPNSQ_ISL_E10value_typeEPSM_NS1_7vsmem_tEENKUlT_SK_SL_SM_E_clIPS5_SF_SG_SG_EESJ_SZ_SK_SL_SM_EUlSZ_E1_NS1_11comp_targetILNS1_3genE0ELNS1_11target_archE4294967295ELNS1_3gpuE0ELNS1_3repE0EEENS1_36merge_oddeven_config_static_selectorELNS0_4arch9wavefront6targetE1EEEvSL_.kd
    .uniform_work_group_size: 1
    .uses_dynamic_stack: false
    .vgpr_count:     0
    .vgpr_spill_count: 0
    .wavefront_size: 64
  - .agpr_count:     0
    .args:
      - .offset:         0
        .size:           56
        .value_kind:     by_value
    .group_segment_fixed_size: 0
    .kernarg_segment_align: 8
    .kernarg_segment_size: 56
    .language:       OpenCL C
    .language_version:
      - 2
      - 0
    .max_flat_workgroup_size: 128
    .name:           _ZN7rocprim17ROCPRIM_400000_NS6detail17trampoline_kernelINS0_14default_configENS1_38merge_sort_block_merge_config_selectorI14custom_numericNS0_10empty_typeEEEZZNS1_27merge_sort_block_merge_implIS3_N6thrust23THRUST_200600_302600_NS6detail15normal_iteratorINSA_10device_ptrIS5_EEEEPS6_mNSA_4lessIS5_EEEE10hipError_tT0_T1_T2_jT3_P12ihipStream_tbPNSt15iterator_traitsISK_E10value_typeEPNSQ_ISL_E10value_typeEPSM_NS1_7vsmem_tEENKUlT_SK_SL_SM_E_clIPS5_SF_SG_SG_EESJ_SZ_SK_SL_SM_EUlSZ_E1_NS1_11comp_targetILNS1_3genE10ELNS1_11target_archE1201ELNS1_3gpuE5ELNS1_3repE0EEENS1_36merge_oddeven_config_static_selectorELNS0_4arch9wavefront6targetE1EEEvSL_
    .private_segment_fixed_size: 0
    .sgpr_count:     4
    .sgpr_spill_count: 0
    .symbol:         _ZN7rocprim17ROCPRIM_400000_NS6detail17trampoline_kernelINS0_14default_configENS1_38merge_sort_block_merge_config_selectorI14custom_numericNS0_10empty_typeEEEZZNS1_27merge_sort_block_merge_implIS3_N6thrust23THRUST_200600_302600_NS6detail15normal_iteratorINSA_10device_ptrIS5_EEEEPS6_mNSA_4lessIS5_EEEE10hipError_tT0_T1_T2_jT3_P12ihipStream_tbPNSt15iterator_traitsISK_E10value_typeEPNSQ_ISL_E10value_typeEPSM_NS1_7vsmem_tEENKUlT_SK_SL_SM_E_clIPS5_SF_SG_SG_EESJ_SZ_SK_SL_SM_EUlSZ_E1_NS1_11comp_targetILNS1_3genE10ELNS1_11target_archE1201ELNS1_3gpuE5ELNS1_3repE0EEENS1_36merge_oddeven_config_static_selectorELNS0_4arch9wavefront6targetE1EEEvSL_.kd
    .uniform_work_group_size: 1
    .uses_dynamic_stack: false
    .vgpr_count:     0
    .vgpr_spill_count: 0
    .wavefront_size: 64
  - .agpr_count:     0
    .args:
      - .offset:         0
        .size:           56
        .value_kind:     by_value
    .group_segment_fixed_size: 0
    .kernarg_segment_align: 8
    .kernarg_segment_size: 56
    .language:       OpenCL C
    .language_version:
      - 2
      - 0
    .max_flat_workgroup_size: 128
    .name:           _ZN7rocprim17ROCPRIM_400000_NS6detail17trampoline_kernelINS0_14default_configENS1_38merge_sort_block_merge_config_selectorI14custom_numericNS0_10empty_typeEEEZZNS1_27merge_sort_block_merge_implIS3_N6thrust23THRUST_200600_302600_NS6detail15normal_iteratorINSA_10device_ptrIS5_EEEEPS6_mNSA_4lessIS5_EEEE10hipError_tT0_T1_T2_jT3_P12ihipStream_tbPNSt15iterator_traitsISK_E10value_typeEPNSQ_ISL_E10value_typeEPSM_NS1_7vsmem_tEENKUlT_SK_SL_SM_E_clIPS5_SF_SG_SG_EESJ_SZ_SK_SL_SM_EUlSZ_E1_NS1_11comp_targetILNS1_3genE5ELNS1_11target_archE942ELNS1_3gpuE9ELNS1_3repE0EEENS1_36merge_oddeven_config_static_selectorELNS0_4arch9wavefront6targetE1EEEvSL_
    .private_segment_fixed_size: 0
    .sgpr_count:     4
    .sgpr_spill_count: 0
    .symbol:         _ZN7rocprim17ROCPRIM_400000_NS6detail17trampoline_kernelINS0_14default_configENS1_38merge_sort_block_merge_config_selectorI14custom_numericNS0_10empty_typeEEEZZNS1_27merge_sort_block_merge_implIS3_N6thrust23THRUST_200600_302600_NS6detail15normal_iteratorINSA_10device_ptrIS5_EEEEPS6_mNSA_4lessIS5_EEEE10hipError_tT0_T1_T2_jT3_P12ihipStream_tbPNSt15iterator_traitsISK_E10value_typeEPNSQ_ISL_E10value_typeEPSM_NS1_7vsmem_tEENKUlT_SK_SL_SM_E_clIPS5_SF_SG_SG_EESJ_SZ_SK_SL_SM_EUlSZ_E1_NS1_11comp_targetILNS1_3genE5ELNS1_11target_archE942ELNS1_3gpuE9ELNS1_3repE0EEENS1_36merge_oddeven_config_static_selectorELNS0_4arch9wavefront6targetE1EEEvSL_.kd
    .uniform_work_group_size: 1
    .uses_dynamic_stack: false
    .vgpr_count:     0
    .vgpr_spill_count: 0
    .wavefront_size: 64
  - .agpr_count:     0
    .args:
      - .offset:         0
        .size:           56
        .value_kind:     by_value
    .group_segment_fixed_size: 0
    .kernarg_segment_align: 8
    .kernarg_segment_size: 56
    .language:       OpenCL C
    .language_version:
      - 2
      - 0
    .max_flat_workgroup_size: 128
    .name:           _ZN7rocprim17ROCPRIM_400000_NS6detail17trampoline_kernelINS0_14default_configENS1_38merge_sort_block_merge_config_selectorI14custom_numericNS0_10empty_typeEEEZZNS1_27merge_sort_block_merge_implIS3_N6thrust23THRUST_200600_302600_NS6detail15normal_iteratorINSA_10device_ptrIS5_EEEEPS6_mNSA_4lessIS5_EEEE10hipError_tT0_T1_T2_jT3_P12ihipStream_tbPNSt15iterator_traitsISK_E10value_typeEPNSQ_ISL_E10value_typeEPSM_NS1_7vsmem_tEENKUlT_SK_SL_SM_E_clIPS5_SF_SG_SG_EESJ_SZ_SK_SL_SM_EUlSZ_E1_NS1_11comp_targetILNS1_3genE4ELNS1_11target_archE910ELNS1_3gpuE8ELNS1_3repE0EEENS1_36merge_oddeven_config_static_selectorELNS0_4arch9wavefront6targetE1EEEvSL_
    .private_segment_fixed_size: 0
    .sgpr_count:     24
    .sgpr_spill_count: 0
    .symbol:         _ZN7rocprim17ROCPRIM_400000_NS6detail17trampoline_kernelINS0_14default_configENS1_38merge_sort_block_merge_config_selectorI14custom_numericNS0_10empty_typeEEEZZNS1_27merge_sort_block_merge_implIS3_N6thrust23THRUST_200600_302600_NS6detail15normal_iteratorINSA_10device_ptrIS5_EEEEPS6_mNSA_4lessIS5_EEEE10hipError_tT0_T1_T2_jT3_P12ihipStream_tbPNSt15iterator_traitsISK_E10value_typeEPNSQ_ISL_E10value_typeEPSM_NS1_7vsmem_tEENKUlT_SK_SL_SM_E_clIPS5_SF_SG_SG_EESJ_SZ_SK_SL_SM_EUlSZ_E1_NS1_11comp_targetILNS1_3genE4ELNS1_11target_archE910ELNS1_3gpuE8ELNS1_3repE0EEENS1_36merge_oddeven_config_static_selectorELNS0_4arch9wavefront6targetE1EEEvSL_.kd
    .uniform_work_group_size: 1
    .uses_dynamic_stack: false
    .vgpr_count:     8
    .vgpr_spill_count: 0
    .wavefront_size: 64
  - .agpr_count:     0
    .args:
      - .offset:         0
        .size:           56
        .value_kind:     by_value
    .group_segment_fixed_size: 0
    .kernarg_segment_align: 8
    .kernarg_segment_size: 56
    .language:       OpenCL C
    .language_version:
      - 2
      - 0
    .max_flat_workgroup_size: 128
    .name:           _ZN7rocprim17ROCPRIM_400000_NS6detail17trampoline_kernelINS0_14default_configENS1_38merge_sort_block_merge_config_selectorI14custom_numericNS0_10empty_typeEEEZZNS1_27merge_sort_block_merge_implIS3_N6thrust23THRUST_200600_302600_NS6detail15normal_iteratorINSA_10device_ptrIS5_EEEEPS6_mNSA_4lessIS5_EEEE10hipError_tT0_T1_T2_jT3_P12ihipStream_tbPNSt15iterator_traitsISK_E10value_typeEPNSQ_ISL_E10value_typeEPSM_NS1_7vsmem_tEENKUlT_SK_SL_SM_E_clIPS5_SF_SG_SG_EESJ_SZ_SK_SL_SM_EUlSZ_E1_NS1_11comp_targetILNS1_3genE3ELNS1_11target_archE908ELNS1_3gpuE7ELNS1_3repE0EEENS1_36merge_oddeven_config_static_selectorELNS0_4arch9wavefront6targetE1EEEvSL_
    .private_segment_fixed_size: 0
    .sgpr_count:     4
    .sgpr_spill_count: 0
    .symbol:         _ZN7rocprim17ROCPRIM_400000_NS6detail17trampoline_kernelINS0_14default_configENS1_38merge_sort_block_merge_config_selectorI14custom_numericNS0_10empty_typeEEEZZNS1_27merge_sort_block_merge_implIS3_N6thrust23THRUST_200600_302600_NS6detail15normal_iteratorINSA_10device_ptrIS5_EEEEPS6_mNSA_4lessIS5_EEEE10hipError_tT0_T1_T2_jT3_P12ihipStream_tbPNSt15iterator_traitsISK_E10value_typeEPNSQ_ISL_E10value_typeEPSM_NS1_7vsmem_tEENKUlT_SK_SL_SM_E_clIPS5_SF_SG_SG_EESJ_SZ_SK_SL_SM_EUlSZ_E1_NS1_11comp_targetILNS1_3genE3ELNS1_11target_archE908ELNS1_3gpuE7ELNS1_3repE0EEENS1_36merge_oddeven_config_static_selectorELNS0_4arch9wavefront6targetE1EEEvSL_.kd
    .uniform_work_group_size: 1
    .uses_dynamic_stack: false
    .vgpr_count:     0
    .vgpr_spill_count: 0
    .wavefront_size: 64
  - .agpr_count:     0
    .args:
      - .offset:         0
        .size:           56
        .value_kind:     by_value
    .group_segment_fixed_size: 0
    .kernarg_segment_align: 8
    .kernarg_segment_size: 56
    .language:       OpenCL C
    .language_version:
      - 2
      - 0
    .max_flat_workgroup_size: 128
    .name:           _ZN7rocprim17ROCPRIM_400000_NS6detail17trampoline_kernelINS0_14default_configENS1_38merge_sort_block_merge_config_selectorI14custom_numericNS0_10empty_typeEEEZZNS1_27merge_sort_block_merge_implIS3_N6thrust23THRUST_200600_302600_NS6detail15normal_iteratorINSA_10device_ptrIS5_EEEEPS6_mNSA_4lessIS5_EEEE10hipError_tT0_T1_T2_jT3_P12ihipStream_tbPNSt15iterator_traitsISK_E10value_typeEPNSQ_ISL_E10value_typeEPSM_NS1_7vsmem_tEENKUlT_SK_SL_SM_E_clIPS5_SF_SG_SG_EESJ_SZ_SK_SL_SM_EUlSZ_E1_NS1_11comp_targetILNS1_3genE2ELNS1_11target_archE906ELNS1_3gpuE6ELNS1_3repE0EEENS1_36merge_oddeven_config_static_selectorELNS0_4arch9wavefront6targetE1EEEvSL_
    .private_segment_fixed_size: 0
    .sgpr_count:     4
    .sgpr_spill_count: 0
    .symbol:         _ZN7rocprim17ROCPRIM_400000_NS6detail17trampoline_kernelINS0_14default_configENS1_38merge_sort_block_merge_config_selectorI14custom_numericNS0_10empty_typeEEEZZNS1_27merge_sort_block_merge_implIS3_N6thrust23THRUST_200600_302600_NS6detail15normal_iteratorINSA_10device_ptrIS5_EEEEPS6_mNSA_4lessIS5_EEEE10hipError_tT0_T1_T2_jT3_P12ihipStream_tbPNSt15iterator_traitsISK_E10value_typeEPNSQ_ISL_E10value_typeEPSM_NS1_7vsmem_tEENKUlT_SK_SL_SM_E_clIPS5_SF_SG_SG_EESJ_SZ_SK_SL_SM_EUlSZ_E1_NS1_11comp_targetILNS1_3genE2ELNS1_11target_archE906ELNS1_3gpuE6ELNS1_3repE0EEENS1_36merge_oddeven_config_static_selectorELNS0_4arch9wavefront6targetE1EEEvSL_.kd
    .uniform_work_group_size: 1
    .uses_dynamic_stack: false
    .vgpr_count:     0
    .vgpr_spill_count: 0
    .wavefront_size: 64
  - .agpr_count:     0
    .args:
      - .offset:         0
        .size:           56
        .value_kind:     by_value
    .group_segment_fixed_size: 0
    .kernarg_segment_align: 8
    .kernarg_segment_size: 56
    .language:       OpenCL C
    .language_version:
      - 2
      - 0
    .max_flat_workgroup_size: 128
    .name:           _ZN7rocprim17ROCPRIM_400000_NS6detail17trampoline_kernelINS0_14default_configENS1_38merge_sort_block_merge_config_selectorI14custom_numericNS0_10empty_typeEEEZZNS1_27merge_sort_block_merge_implIS3_N6thrust23THRUST_200600_302600_NS6detail15normal_iteratorINSA_10device_ptrIS5_EEEEPS6_mNSA_4lessIS5_EEEE10hipError_tT0_T1_T2_jT3_P12ihipStream_tbPNSt15iterator_traitsISK_E10value_typeEPNSQ_ISL_E10value_typeEPSM_NS1_7vsmem_tEENKUlT_SK_SL_SM_E_clIPS5_SF_SG_SG_EESJ_SZ_SK_SL_SM_EUlSZ_E1_NS1_11comp_targetILNS1_3genE9ELNS1_11target_archE1100ELNS1_3gpuE3ELNS1_3repE0EEENS1_36merge_oddeven_config_static_selectorELNS0_4arch9wavefront6targetE1EEEvSL_
    .private_segment_fixed_size: 0
    .sgpr_count:     4
    .sgpr_spill_count: 0
    .symbol:         _ZN7rocprim17ROCPRIM_400000_NS6detail17trampoline_kernelINS0_14default_configENS1_38merge_sort_block_merge_config_selectorI14custom_numericNS0_10empty_typeEEEZZNS1_27merge_sort_block_merge_implIS3_N6thrust23THRUST_200600_302600_NS6detail15normal_iteratorINSA_10device_ptrIS5_EEEEPS6_mNSA_4lessIS5_EEEE10hipError_tT0_T1_T2_jT3_P12ihipStream_tbPNSt15iterator_traitsISK_E10value_typeEPNSQ_ISL_E10value_typeEPSM_NS1_7vsmem_tEENKUlT_SK_SL_SM_E_clIPS5_SF_SG_SG_EESJ_SZ_SK_SL_SM_EUlSZ_E1_NS1_11comp_targetILNS1_3genE9ELNS1_11target_archE1100ELNS1_3gpuE3ELNS1_3repE0EEENS1_36merge_oddeven_config_static_selectorELNS0_4arch9wavefront6targetE1EEEvSL_.kd
    .uniform_work_group_size: 1
    .uses_dynamic_stack: false
    .vgpr_count:     0
    .vgpr_spill_count: 0
    .wavefront_size: 64
  - .agpr_count:     0
    .args:
      - .offset:         0
        .size:           56
        .value_kind:     by_value
    .group_segment_fixed_size: 0
    .kernarg_segment_align: 8
    .kernarg_segment_size: 56
    .language:       OpenCL C
    .language_version:
      - 2
      - 0
    .max_flat_workgroup_size: 128
    .name:           _ZN7rocprim17ROCPRIM_400000_NS6detail17trampoline_kernelINS0_14default_configENS1_38merge_sort_block_merge_config_selectorI14custom_numericNS0_10empty_typeEEEZZNS1_27merge_sort_block_merge_implIS3_N6thrust23THRUST_200600_302600_NS6detail15normal_iteratorINSA_10device_ptrIS5_EEEEPS6_mNSA_4lessIS5_EEEE10hipError_tT0_T1_T2_jT3_P12ihipStream_tbPNSt15iterator_traitsISK_E10value_typeEPNSQ_ISL_E10value_typeEPSM_NS1_7vsmem_tEENKUlT_SK_SL_SM_E_clIPS5_SF_SG_SG_EESJ_SZ_SK_SL_SM_EUlSZ_E1_NS1_11comp_targetILNS1_3genE8ELNS1_11target_archE1030ELNS1_3gpuE2ELNS1_3repE0EEENS1_36merge_oddeven_config_static_selectorELNS0_4arch9wavefront6targetE1EEEvSL_
    .private_segment_fixed_size: 0
    .sgpr_count:     4
    .sgpr_spill_count: 0
    .symbol:         _ZN7rocprim17ROCPRIM_400000_NS6detail17trampoline_kernelINS0_14default_configENS1_38merge_sort_block_merge_config_selectorI14custom_numericNS0_10empty_typeEEEZZNS1_27merge_sort_block_merge_implIS3_N6thrust23THRUST_200600_302600_NS6detail15normal_iteratorINSA_10device_ptrIS5_EEEEPS6_mNSA_4lessIS5_EEEE10hipError_tT0_T1_T2_jT3_P12ihipStream_tbPNSt15iterator_traitsISK_E10value_typeEPNSQ_ISL_E10value_typeEPSM_NS1_7vsmem_tEENKUlT_SK_SL_SM_E_clIPS5_SF_SG_SG_EESJ_SZ_SK_SL_SM_EUlSZ_E1_NS1_11comp_targetILNS1_3genE8ELNS1_11target_archE1030ELNS1_3gpuE2ELNS1_3repE0EEENS1_36merge_oddeven_config_static_selectorELNS0_4arch9wavefront6targetE1EEEvSL_.kd
    .uniform_work_group_size: 1
    .uses_dynamic_stack: false
    .vgpr_count:     0
    .vgpr_spill_count: 0
    .wavefront_size: 64
  - .agpr_count:     0
    .args:
      - .offset:         0
        .size:           48
        .value_kind:     by_value
    .group_segment_fixed_size: 0
    .kernarg_segment_align: 8
    .kernarg_segment_size: 48
    .language:       OpenCL C
    .language_version:
      - 2
      - 0
    .max_flat_workgroup_size: 128
    .name:           _ZN7rocprim17ROCPRIM_400000_NS6detail17trampoline_kernelINS0_14default_configENS1_38merge_sort_block_merge_config_selectorI14custom_numericNS0_10empty_typeEEEZZNS1_27merge_sort_block_merge_implIS3_N6thrust23THRUST_200600_302600_NS6detail15normal_iteratorINSA_10device_ptrIS5_EEEEPS6_mNSA_4lessIS5_EEEE10hipError_tT0_T1_T2_jT3_P12ihipStream_tbPNSt15iterator_traitsISK_E10value_typeEPNSQ_ISL_E10value_typeEPSM_NS1_7vsmem_tEENKUlT_SK_SL_SM_E_clISF_PS5_SG_SG_EESJ_SZ_SK_SL_SM_EUlSZ_E_NS1_11comp_targetILNS1_3genE0ELNS1_11target_archE4294967295ELNS1_3gpuE0ELNS1_3repE0EEENS1_48merge_mergepath_partition_config_static_selectorELNS0_4arch9wavefront6targetE1EEEvSL_
    .private_segment_fixed_size: 0
    .sgpr_count:     4
    .sgpr_spill_count: 0
    .symbol:         _ZN7rocprim17ROCPRIM_400000_NS6detail17trampoline_kernelINS0_14default_configENS1_38merge_sort_block_merge_config_selectorI14custom_numericNS0_10empty_typeEEEZZNS1_27merge_sort_block_merge_implIS3_N6thrust23THRUST_200600_302600_NS6detail15normal_iteratorINSA_10device_ptrIS5_EEEEPS6_mNSA_4lessIS5_EEEE10hipError_tT0_T1_T2_jT3_P12ihipStream_tbPNSt15iterator_traitsISK_E10value_typeEPNSQ_ISL_E10value_typeEPSM_NS1_7vsmem_tEENKUlT_SK_SL_SM_E_clISF_PS5_SG_SG_EESJ_SZ_SK_SL_SM_EUlSZ_E_NS1_11comp_targetILNS1_3genE0ELNS1_11target_archE4294967295ELNS1_3gpuE0ELNS1_3repE0EEENS1_48merge_mergepath_partition_config_static_selectorELNS0_4arch9wavefront6targetE1EEEvSL_.kd
    .uniform_work_group_size: 1
    .uses_dynamic_stack: false
    .vgpr_count:     0
    .vgpr_spill_count: 0
    .wavefront_size: 64
  - .agpr_count:     0
    .args:
      - .offset:         0
        .size:           48
        .value_kind:     by_value
    .group_segment_fixed_size: 0
    .kernarg_segment_align: 8
    .kernarg_segment_size: 48
    .language:       OpenCL C
    .language_version:
      - 2
      - 0
    .max_flat_workgroup_size: 128
    .name:           _ZN7rocprim17ROCPRIM_400000_NS6detail17trampoline_kernelINS0_14default_configENS1_38merge_sort_block_merge_config_selectorI14custom_numericNS0_10empty_typeEEEZZNS1_27merge_sort_block_merge_implIS3_N6thrust23THRUST_200600_302600_NS6detail15normal_iteratorINSA_10device_ptrIS5_EEEEPS6_mNSA_4lessIS5_EEEE10hipError_tT0_T1_T2_jT3_P12ihipStream_tbPNSt15iterator_traitsISK_E10value_typeEPNSQ_ISL_E10value_typeEPSM_NS1_7vsmem_tEENKUlT_SK_SL_SM_E_clISF_PS5_SG_SG_EESJ_SZ_SK_SL_SM_EUlSZ_E_NS1_11comp_targetILNS1_3genE10ELNS1_11target_archE1201ELNS1_3gpuE5ELNS1_3repE0EEENS1_48merge_mergepath_partition_config_static_selectorELNS0_4arch9wavefront6targetE1EEEvSL_
    .private_segment_fixed_size: 0
    .sgpr_count:     4
    .sgpr_spill_count: 0
    .symbol:         _ZN7rocprim17ROCPRIM_400000_NS6detail17trampoline_kernelINS0_14default_configENS1_38merge_sort_block_merge_config_selectorI14custom_numericNS0_10empty_typeEEEZZNS1_27merge_sort_block_merge_implIS3_N6thrust23THRUST_200600_302600_NS6detail15normal_iteratorINSA_10device_ptrIS5_EEEEPS6_mNSA_4lessIS5_EEEE10hipError_tT0_T1_T2_jT3_P12ihipStream_tbPNSt15iterator_traitsISK_E10value_typeEPNSQ_ISL_E10value_typeEPSM_NS1_7vsmem_tEENKUlT_SK_SL_SM_E_clISF_PS5_SG_SG_EESJ_SZ_SK_SL_SM_EUlSZ_E_NS1_11comp_targetILNS1_3genE10ELNS1_11target_archE1201ELNS1_3gpuE5ELNS1_3repE0EEENS1_48merge_mergepath_partition_config_static_selectorELNS0_4arch9wavefront6targetE1EEEvSL_.kd
    .uniform_work_group_size: 1
    .uses_dynamic_stack: false
    .vgpr_count:     0
    .vgpr_spill_count: 0
    .wavefront_size: 64
  - .agpr_count:     0
    .args:
      - .offset:         0
        .size:           48
        .value_kind:     by_value
    .group_segment_fixed_size: 0
    .kernarg_segment_align: 8
    .kernarg_segment_size: 48
    .language:       OpenCL C
    .language_version:
      - 2
      - 0
    .max_flat_workgroup_size: 128
    .name:           _ZN7rocprim17ROCPRIM_400000_NS6detail17trampoline_kernelINS0_14default_configENS1_38merge_sort_block_merge_config_selectorI14custom_numericNS0_10empty_typeEEEZZNS1_27merge_sort_block_merge_implIS3_N6thrust23THRUST_200600_302600_NS6detail15normal_iteratorINSA_10device_ptrIS5_EEEEPS6_mNSA_4lessIS5_EEEE10hipError_tT0_T1_T2_jT3_P12ihipStream_tbPNSt15iterator_traitsISK_E10value_typeEPNSQ_ISL_E10value_typeEPSM_NS1_7vsmem_tEENKUlT_SK_SL_SM_E_clISF_PS5_SG_SG_EESJ_SZ_SK_SL_SM_EUlSZ_E_NS1_11comp_targetILNS1_3genE5ELNS1_11target_archE942ELNS1_3gpuE9ELNS1_3repE0EEENS1_48merge_mergepath_partition_config_static_selectorELNS0_4arch9wavefront6targetE1EEEvSL_
    .private_segment_fixed_size: 0
    .sgpr_count:     4
    .sgpr_spill_count: 0
    .symbol:         _ZN7rocprim17ROCPRIM_400000_NS6detail17trampoline_kernelINS0_14default_configENS1_38merge_sort_block_merge_config_selectorI14custom_numericNS0_10empty_typeEEEZZNS1_27merge_sort_block_merge_implIS3_N6thrust23THRUST_200600_302600_NS6detail15normal_iteratorINSA_10device_ptrIS5_EEEEPS6_mNSA_4lessIS5_EEEE10hipError_tT0_T1_T2_jT3_P12ihipStream_tbPNSt15iterator_traitsISK_E10value_typeEPNSQ_ISL_E10value_typeEPSM_NS1_7vsmem_tEENKUlT_SK_SL_SM_E_clISF_PS5_SG_SG_EESJ_SZ_SK_SL_SM_EUlSZ_E_NS1_11comp_targetILNS1_3genE5ELNS1_11target_archE942ELNS1_3gpuE9ELNS1_3repE0EEENS1_48merge_mergepath_partition_config_static_selectorELNS0_4arch9wavefront6targetE1EEEvSL_.kd
    .uniform_work_group_size: 1
    .uses_dynamic_stack: false
    .vgpr_count:     0
    .vgpr_spill_count: 0
    .wavefront_size: 64
  - .agpr_count:     0
    .args:
      - .offset:         0
        .size:           48
        .value_kind:     by_value
    .group_segment_fixed_size: 0
    .kernarg_segment_align: 8
    .kernarg_segment_size: 48
    .language:       OpenCL C
    .language_version:
      - 2
      - 0
    .max_flat_workgroup_size: 128
    .name:           _ZN7rocprim17ROCPRIM_400000_NS6detail17trampoline_kernelINS0_14default_configENS1_38merge_sort_block_merge_config_selectorI14custom_numericNS0_10empty_typeEEEZZNS1_27merge_sort_block_merge_implIS3_N6thrust23THRUST_200600_302600_NS6detail15normal_iteratorINSA_10device_ptrIS5_EEEEPS6_mNSA_4lessIS5_EEEE10hipError_tT0_T1_T2_jT3_P12ihipStream_tbPNSt15iterator_traitsISK_E10value_typeEPNSQ_ISL_E10value_typeEPSM_NS1_7vsmem_tEENKUlT_SK_SL_SM_E_clISF_PS5_SG_SG_EESJ_SZ_SK_SL_SM_EUlSZ_E_NS1_11comp_targetILNS1_3genE4ELNS1_11target_archE910ELNS1_3gpuE8ELNS1_3repE0EEENS1_48merge_mergepath_partition_config_static_selectorELNS0_4arch9wavefront6targetE1EEEvSL_
    .private_segment_fixed_size: 0
    .sgpr_count:     12
    .sgpr_spill_count: 0
    .symbol:         _ZN7rocprim17ROCPRIM_400000_NS6detail17trampoline_kernelINS0_14default_configENS1_38merge_sort_block_merge_config_selectorI14custom_numericNS0_10empty_typeEEEZZNS1_27merge_sort_block_merge_implIS3_N6thrust23THRUST_200600_302600_NS6detail15normal_iteratorINSA_10device_ptrIS5_EEEEPS6_mNSA_4lessIS5_EEEE10hipError_tT0_T1_T2_jT3_P12ihipStream_tbPNSt15iterator_traitsISK_E10value_typeEPNSQ_ISL_E10value_typeEPSM_NS1_7vsmem_tEENKUlT_SK_SL_SM_E_clISF_PS5_SG_SG_EESJ_SZ_SK_SL_SM_EUlSZ_E_NS1_11comp_targetILNS1_3genE4ELNS1_11target_archE910ELNS1_3gpuE8ELNS1_3repE0EEENS1_48merge_mergepath_partition_config_static_selectorELNS0_4arch9wavefront6targetE1EEEvSL_.kd
    .uniform_work_group_size: 1
    .uses_dynamic_stack: false
    .vgpr_count:     22
    .vgpr_spill_count: 0
    .wavefront_size: 64
  - .agpr_count:     0
    .args:
      - .offset:         0
        .size:           48
        .value_kind:     by_value
    .group_segment_fixed_size: 0
    .kernarg_segment_align: 8
    .kernarg_segment_size: 48
    .language:       OpenCL C
    .language_version:
      - 2
      - 0
    .max_flat_workgroup_size: 128
    .name:           _ZN7rocprim17ROCPRIM_400000_NS6detail17trampoline_kernelINS0_14default_configENS1_38merge_sort_block_merge_config_selectorI14custom_numericNS0_10empty_typeEEEZZNS1_27merge_sort_block_merge_implIS3_N6thrust23THRUST_200600_302600_NS6detail15normal_iteratorINSA_10device_ptrIS5_EEEEPS6_mNSA_4lessIS5_EEEE10hipError_tT0_T1_T2_jT3_P12ihipStream_tbPNSt15iterator_traitsISK_E10value_typeEPNSQ_ISL_E10value_typeEPSM_NS1_7vsmem_tEENKUlT_SK_SL_SM_E_clISF_PS5_SG_SG_EESJ_SZ_SK_SL_SM_EUlSZ_E_NS1_11comp_targetILNS1_3genE3ELNS1_11target_archE908ELNS1_3gpuE7ELNS1_3repE0EEENS1_48merge_mergepath_partition_config_static_selectorELNS0_4arch9wavefront6targetE1EEEvSL_
    .private_segment_fixed_size: 0
    .sgpr_count:     4
    .sgpr_spill_count: 0
    .symbol:         _ZN7rocprim17ROCPRIM_400000_NS6detail17trampoline_kernelINS0_14default_configENS1_38merge_sort_block_merge_config_selectorI14custom_numericNS0_10empty_typeEEEZZNS1_27merge_sort_block_merge_implIS3_N6thrust23THRUST_200600_302600_NS6detail15normal_iteratorINSA_10device_ptrIS5_EEEEPS6_mNSA_4lessIS5_EEEE10hipError_tT0_T1_T2_jT3_P12ihipStream_tbPNSt15iterator_traitsISK_E10value_typeEPNSQ_ISL_E10value_typeEPSM_NS1_7vsmem_tEENKUlT_SK_SL_SM_E_clISF_PS5_SG_SG_EESJ_SZ_SK_SL_SM_EUlSZ_E_NS1_11comp_targetILNS1_3genE3ELNS1_11target_archE908ELNS1_3gpuE7ELNS1_3repE0EEENS1_48merge_mergepath_partition_config_static_selectorELNS0_4arch9wavefront6targetE1EEEvSL_.kd
    .uniform_work_group_size: 1
    .uses_dynamic_stack: false
    .vgpr_count:     0
    .vgpr_spill_count: 0
    .wavefront_size: 64
  - .agpr_count:     0
    .args:
      - .offset:         0
        .size:           48
        .value_kind:     by_value
    .group_segment_fixed_size: 0
    .kernarg_segment_align: 8
    .kernarg_segment_size: 48
    .language:       OpenCL C
    .language_version:
      - 2
      - 0
    .max_flat_workgroup_size: 128
    .name:           _ZN7rocprim17ROCPRIM_400000_NS6detail17trampoline_kernelINS0_14default_configENS1_38merge_sort_block_merge_config_selectorI14custom_numericNS0_10empty_typeEEEZZNS1_27merge_sort_block_merge_implIS3_N6thrust23THRUST_200600_302600_NS6detail15normal_iteratorINSA_10device_ptrIS5_EEEEPS6_mNSA_4lessIS5_EEEE10hipError_tT0_T1_T2_jT3_P12ihipStream_tbPNSt15iterator_traitsISK_E10value_typeEPNSQ_ISL_E10value_typeEPSM_NS1_7vsmem_tEENKUlT_SK_SL_SM_E_clISF_PS5_SG_SG_EESJ_SZ_SK_SL_SM_EUlSZ_E_NS1_11comp_targetILNS1_3genE2ELNS1_11target_archE906ELNS1_3gpuE6ELNS1_3repE0EEENS1_48merge_mergepath_partition_config_static_selectorELNS0_4arch9wavefront6targetE1EEEvSL_
    .private_segment_fixed_size: 0
    .sgpr_count:     4
    .sgpr_spill_count: 0
    .symbol:         _ZN7rocprim17ROCPRIM_400000_NS6detail17trampoline_kernelINS0_14default_configENS1_38merge_sort_block_merge_config_selectorI14custom_numericNS0_10empty_typeEEEZZNS1_27merge_sort_block_merge_implIS3_N6thrust23THRUST_200600_302600_NS6detail15normal_iteratorINSA_10device_ptrIS5_EEEEPS6_mNSA_4lessIS5_EEEE10hipError_tT0_T1_T2_jT3_P12ihipStream_tbPNSt15iterator_traitsISK_E10value_typeEPNSQ_ISL_E10value_typeEPSM_NS1_7vsmem_tEENKUlT_SK_SL_SM_E_clISF_PS5_SG_SG_EESJ_SZ_SK_SL_SM_EUlSZ_E_NS1_11comp_targetILNS1_3genE2ELNS1_11target_archE906ELNS1_3gpuE6ELNS1_3repE0EEENS1_48merge_mergepath_partition_config_static_selectorELNS0_4arch9wavefront6targetE1EEEvSL_.kd
    .uniform_work_group_size: 1
    .uses_dynamic_stack: false
    .vgpr_count:     0
    .vgpr_spill_count: 0
    .wavefront_size: 64
  - .agpr_count:     0
    .args:
      - .offset:         0
        .size:           48
        .value_kind:     by_value
    .group_segment_fixed_size: 0
    .kernarg_segment_align: 8
    .kernarg_segment_size: 48
    .language:       OpenCL C
    .language_version:
      - 2
      - 0
    .max_flat_workgroup_size: 128
    .name:           _ZN7rocprim17ROCPRIM_400000_NS6detail17trampoline_kernelINS0_14default_configENS1_38merge_sort_block_merge_config_selectorI14custom_numericNS0_10empty_typeEEEZZNS1_27merge_sort_block_merge_implIS3_N6thrust23THRUST_200600_302600_NS6detail15normal_iteratorINSA_10device_ptrIS5_EEEEPS6_mNSA_4lessIS5_EEEE10hipError_tT0_T1_T2_jT3_P12ihipStream_tbPNSt15iterator_traitsISK_E10value_typeEPNSQ_ISL_E10value_typeEPSM_NS1_7vsmem_tEENKUlT_SK_SL_SM_E_clISF_PS5_SG_SG_EESJ_SZ_SK_SL_SM_EUlSZ_E_NS1_11comp_targetILNS1_3genE9ELNS1_11target_archE1100ELNS1_3gpuE3ELNS1_3repE0EEENS1_48merge_mergepath_partition_config_static_selectorELNS0_4arch9wavefront6targetE1EEEvSL_
    .private_segment_fixed_size: 0
    .sgpr_count:     4
    .sgpr_spill_count: 0
    .symbol:         _ZN7rocprim17ROCPRIM_400000_NS6detail17trampoline_kernelINS0_14default_configENS1_38merge_sort_block_merge_config_selectorI14custom_numericNS0_10empty_typeEEEZZNS1_27merge_sort_block_merge_implIS3_N6thrust23THRUST_200600_302600_NS6detail15normal_iteratorINSA_10device_ptrIS5_EEEEPS6_mNSA_4lessIS5_EEEE10hipError_tT0_T1_T2_jT3_P12ihipStream_tbPNSt15iterator_traitsISK_E10value_typeEPNSQ_ISL_E10value_typeEPSM_NS1_7vsmem_tEENKUlT_SK_SL_SM_E_clISF_PS5_SG_SG_EESJ_SZ_SK_SL_SM_EUlSZ_E_NS1_11comp_targetILNS1_3genE9ELNS1_11target_archE1100ELNS1_3gpuE3ELNS1_3repE0EEENS1_48merge_mergepath_partition_config_static_selectorELNS0_4arch9wavefront6targetE1EEEvSL_.kd
    .uniform_work_group_size: 1
    .uses_dynamic_stack: false
    .vgpr_count:     0
    .vgpr_spill_count: 0
    .wavefront_size: 64
  - .agpr_count:     0
    .args:
      - .offset:         0
        .size:           48
        .value_kind:     by_value
    .group_segment_fixed_size: 0
    .kernarg_segment_align: 8
    .kernarg_segment_size: 48
    .language:       OpenCL C
    .language_version:
      - 2
      - 0
    .max_flat_workgroup_size: 128
    .name:           _ZN7rocprim17ROCPRIM_400000_NS6detail17trampoline_kernelINS0_14default_configENS1_38merge_sort_block_merge_config_selectorI14custom_numericNS0_10empty_typeEEEZZNS1_27merge_sort_block_merge_implIS3_N6thrust23THRUST_200600_302600_NS6detail15normal_iteratorINSA_10device_ptrIS5_EEEEPS6_mNSA_4lessIS5_EEEE10hipError_tT0_T1_T2_jT3_P12ihipStream_tbPNSt15iterator_traitsISK_E10value_typeEPNSQ_ISL_E10value_typeEPSM_NS1_7vsmem_tEENKUlT_SK_SL_SM_E_clISF_PS5_SG_SG_EESJ_SZ_SK_SL_SM_EUlSZ_E_NS1_11comp_targetILNS1_3genE8ELNS1_11target_archE1030ELNS1_3gpuE2ELNS1_3repE0EEENS1_48merge_mergepath_partition_config_static_selectorELNS0_4arch9wavefront6targetE1EEEvSL_
    .private_segment_fixed_size: 0
    .sgpr_count:     4
    .sgpr_spill_count: 0
    .symbol:         _ZN7rocprim17ROCPRIM_400000_NS6detail17trampoline_kernelINS0_14default_configENS1_38merge_sort_block_merge_config_selectorI14custom_numericNS0_10empty_typeEEEZZNS1_27merge_sort_block_merge_implIS3_N6thrust23THRUST_200600_302600_NS6detail15normal_iteratorINSA_10device_ptrIS5_EEEEPS6_mNSA_4lessIS5_EEEE10hipError_tT0_T1_T2_jT3_P12ihipStream_tbPNSt15iterator_traitsISK_E10value_typeEPNSQ_ISL_E10value_typeEPSM_NS1_7vsmem_tEENKUlT_SK_SL_SM_E_clISF_PS5_SG_SG_EESJ_SZ_SK_SL_SM_EUlSZ_E_NS1_11comp_targetILNS1_3genE8ELNS1_11target_archE1030ELNS1_3gpuE2ELNS1_3repE0EEENS1_48merge_mergepath_partition_config_static_selectorELNS0_4arch9wavefront6targetE1EEEvSL_.kd
    .uniform_work_group_size: 1
    .uses_dynamic_stack: false
    .vgpr_count:     0
    .vgpr_spill_count: 0
    .wavefront_size: 64
  - .agpr_count:     0
    .args:
      - .offset:         0
        .size:           72
        .value_kind:     by_value
    .group_segment_fixed_size: 0
    .kernarg_segment_align: 8
    .kernarg_segment_size: 72
    .language:       OpenCL C
    .language_version:
      - 2
      - 0
    .max_flat_workgroup_size: 128
    .name:           _ZN7rocprim17ROCPRIM_400000_NS6detail17trampoline_kernelINS0_14default_configENS1_38merge_sort_block_merge_config_selectorI14custom_numericNS0_10empty_typeEEEZZNS1_27merge_sort_block_merge_implIS3_N6thrust23THRUST_200600_302600_NS6detail15normal_iteratorINSA_10device_ptrIS5_EEEEPS6_mNSA_4lessIS5_EEEE10hipError_tT0_T1_T2_jT3_P12ihipStream_tbPNSt15iterator_traitsISK_E10value_typeEPNSQ_ISL_E10value_typeEPSM_NS1_7vsmem_tEENKUlT_SK_SL_SM_E_clISF_PS5_SG_SG_EESJ_SZ_SK_SL_SM_EUlSZ_E0_NS1_11comp_targetILNS1_3genE0ELNS1_11target_archE4294967295ELNS1_3gpuE0ELNS1_3repE0EEENS1_38merge_mergepath_config_static_selectorELNS0_4arch9wavefront6targetE1EEEvSL_
    .private_segment_fixed_size: 0
    .sgpr_count:     4
    .sgpr_spill_count: 0
    .symbol:         _ZN7rocprim17ROCPRIM_400000_NS6detail17trampoline_kernelINS0_14default_configENS1_38merge_sort_block_merge_config_selectorI14custom_numericNS0_10empty_typeEEEZZNS1_27merge_sort_block_merge_implIS3_N6thrust23THRUST_200600_302600_NS6detail15normal_iteratorINSA_10device_ptrIS5_EEEEPS6_mNSA_4lessIS5_EEEE10hipError_tT0_T1_T2_jT3_P12ihipStream_tbPNSt15iterator_traitsISK_E10value_typeEPNSQ_ISL_E10value_typeEPSM_NS1_7vsmem_tEENKUlT_SK_SL_SM_E_clISF_PS5_SG_SG_EESJ_SZ_SK_SL_SM_EUlSZ_E0_NS1_11comp_targetILNS1_3genE0ELNS1_11target_archE4294967295ELNS1_3gpuE0ELNS1_3repE0EEENS1_38merge_mergepath_config_static_selectorELNS0_4arch9wavefront6targetE1EEEvSL_.kd
    .uniform_work_group_size: 1
    .uses_dynamic_stack: false
    .vgpr_count:     0
    .vgpr_spill_count: 0
    .wavefront_size: 64
  - .agpr_count:     0
    .args:
      - .offset:         0
        .size:           72
        .value_kind:     by_value
    .group_segment_fixed_size: 0
    .kernarg_segment_align: 8
    .kernarg_segment_size: 72
    .language:       OpenCL C
    .language_version:
      - 2
      - 0
    .max_flat_workgroup_size: 128
    .name:           _ZN7rocprim17ROCPRIM_400000_NS6detail17trampoline_kernelINS0_14default_configENS1_38merge_sort_block_merge_config_selectorI14custom_numericNS0_10empty_typeEEEZZNS1_27merge_sort_block_merge_implIS3_N6thrust23THRUST_200600_302600_NS6detail15normal_iteratorINSA_10device_ptrIS5_EEEEPS6_mNSA_4lessIS5_EEEE10hipError_tT0_T1_T2_jT3_P12ihipStream_tbPNSt15iterator_traitsISK_E10value_typeEPNSQ_ISL_E10value_typeEPSM_NS1_7vsmem_tEENKUlT_SK_SL_SM_E_clISF_PS5_SG_SG_EESJ_SZ_SK_SL_SM_EUlSZ_E0_NS1_11comp_targetILNS1_3genE10ELNS1_11target_archE1201ELNS1_3gpuE5ELNS1_3repE0EEENS1_38merge_mergepath_config_static_selectorELNS0_4arch9wavefront6targetE1EEEvSL_
    .private_segment_fixed_size: 0
    .sgpr_count:     4
    .sgpr_spill_count: 0
    .symbol:         _ZN7rocprim17ROCPRIM_400000_NS6detail17trampoline_kernelINS0_14default_configENS1_38merge_sort_block_merge_config_selectorI14custom_numericNS0_10empty_typeEEEZZNS1_27merge_sort_block_merge_implIS3_N6thrust23THRUST_200600_302600_NS6detail15normal_iteratorINSA_10device_ptrIS5_EEEEPS6_mNSA_4lessIS5_EEEE10hipError_tT0_T1_T2_jT3_P12ihipStream_tbPNSt15iterator_traitsISK_E10value_typeEPNSQ_ISL_E10value_typeEPSM_NS1_7vsmem_tEENKUlT_SK_SL_SM_E_clISF_PS5_SG_SG_EESJ_SZ_SK_SL_SM_EUlSZ_E0_NS1_11comp_targetILNS1_3genE10ELNS1_11target_archE1201ELNS1_3gpuE5ELNS1_3repE0EEENS1_38merge_mergepath_config_static_selectorELNS0_4arch9wavefront6targetE1EEEvSL_.kd
    .uniform_work_group_size: 1
    .uses_dynamic_stack: false
    .vgpr_count:     0
    .vgpr_spill_count: 0
    .wavefront_size: 64
  - .agpr_count:     0
    .args:
      - .offset:         0
        .size:           72
        .value_kind:     by_value
    .group_segment_fixed_size: 0
    .kernarg_segment_align: 8
    .kernarg_segment_size: 72
    .language:       OpenCL C
    .language_version:
      - 2
      - 0
    .max_flat_workgroup_size: 128
    .name:           _ZN7rocprim17ROCPRIM_400000_NS6detail17trampoline_kernelINS0_14default_configENS1_38merge_sort_block_merge_config_selectorI14custom_numericNS0_10empty_typeEEEZZNS1_27merge_sort_block_merge_implIS3_N6thrust23THRUST_200600_302600_NS6detail15normal_iteratorINSA_10device_ptrIS5_EEEEPS6_mNSA_4lessIS5_EEEE10hipError_tT0_T1_T2_jT3_P12ihipStream_tbPNSt15iterator_traitsISK_E10value_typeEPNSQ_ISL_E10value_typeEPSM_NS1_7vsmem_tEENKUlT_SK_SL_SM_E_clISF_PS5_SG_SG_EESJ_SZ_SK_SL_SM_EUlSZ_E0_NS1_11comp_targetILNS1_3genE5ELNS1_11target_archE942ELNS1_3gpuE9ELNS1_3repE0EEENS1_38merge_mergepath_config_static_selectorELNS0_4arch9wavefront6targetE1EEEvSL_
    .private_segment_fixed_size: 0
    .sgpr_count:     4
    .sgpr_spill_count: 0
    .symbol:         _ZN7rocprim17ROCPRIM_400000_NS6detail17trampoline_kernelINS0_14default_configENS1_38merge_sort_block_merge_config_selectorI14custom_numericNS0_10empty_typeEEEZZNS1_27merge_sort_block_merge_implIS3_N6thrust23THRUST_200600_302600_NS6detail15normal_iteratorINSA_10device_ptrIS5_EEEEPS6_mNSA_4lessIS5_EEEE10hipError_tT0_T1_T2_jT3_P12ihipStream_tbPNSt15iterator_traitsISK_E10value_typeEPNSQ_ISL_E10value_typeEPSM_NS1_7vsmem_tEENKUlT_SK_SL_SM_E_clISF_PS5_SG_SG_EESJ_SZ_SK_SL_SM_EUlSZ_E0_NS1_11comp_targetILNS1_3genE5ELNS1_11target_archE942ELNS1_3gpuE9ELNS1_3repE0EEENS1_38merge_mergepath_config_static_selectorELNS0_4arch9wavefront6targetE1EEEvSL_.kd
    .uniform_work_group_size: 1
    .uses_dynamic_stack: false
    .vgpr_count:     0
    .vgpr_spill_count: 0
    .wavefront_size: 64
  - .agpr_count:     0
    .args:
      - .offset:         0
        .size:           72
        .value_kind:     by_value
      - .offset:         72
        .size:           4
        .value_kind:     hidden_block_count_x
      - .offset:         76
        .size:           4
        .value_kind:     hidden_block_count_y
      - .offset:         80
        .size:           4
        .value_kind:     hidden_block_count_z
      - .offset:         84
        .size:           2
        .value_kind:     hidden_group_size_x
      - .offset:         86
        .size:           2
        .value_kind:     hidden_group_size_y
      - .offset:         88
        .size:           2
        .value_kind:     hidden_group_size_z
      - .offset:         90
        .size:           2
        .value_kind:     hidden_remainder_x
      - .offset:         92
        .size:           2
        .value_kind:     hidden_remainder_y
      - .offset:         94
        .size:           2
        .value_kind:     hidden_remainder_z
      - .offset:         112
        .size:           8
        .value_kind:     hidden_global_offset_x
      - .offset:         120
        .size:           8
        .value_kind:     hidden_global_offset_y
      - .offset:         128
        .size:           8
        .value_kind:     hidden_global_offset_z
      - .offset:         136
        .size:           2
        .value_kind:     hidden_grid_dims
    .group_segment_fixed_size: 10560
    .kernarg_segment_align: 8
    .kernarg_segment_size: 328
    .language:       OpenCL C
    .language_version:
      - 2
      - 0
    .max_flat_workgroup_size: 128
    .name:           _ZN7rocprim17ROCPRIM_400000_NS6detail17trampoline_kernelINS0_14default_configENS1_38merge_sort_block_merge_config_selectorI14custom_numericNS0_10empty_typeEEEZZNS1_27merge_sort_block_merge_implIS3_N6thrust23THRUST_200600_302600_NS6detail15normal_iteratorINSA_10device_ptrIS5_EEEEPS6_mNSA_4lessIS5_EEEE10hipError_tT0_T1_T2_jT3_P12ihipStream_tbPNSt15iterator_traitsISK_E10value_typeEPNSQ_ISL_E10value_typeEPSM_NS1_7vsmem_tEENKUlT_SK_SL_SM_E_clISF_PS5_SG_SG_EESJ_SZ_SK_SL_SM_EUlSZ_E0_NS1_11comp_targetILNS1_3genE4ELNS1_11target_archE910ELNS1_3gpuE8ELNS1_3repE0EEENS1_38merge_mergepath_config_static_selectorELNS0_4arch9wavefront6targetE1EEEvSL_
    .private_segment_fixed_size: 0
    .sgpr_count:     35
    .sgpr_spill_count: 0
    .symbol:         _ZN7rocprim17ROCPRIM_400000_NS6detail17trampoline_kernelINS0_14default_configENS1_38merge_sort_block_merge_config_selectorI14custom_numericNS0_10empty_typeEEEZZNS1_27merge_sort_block_merge_implIS3_N6thrust23THRUST_200600_302600_NS6detail15normal_iteratorINSA_10device_ptrIS5_EEEEPS6_mNSA_4lessIS5_EEEE10hipError_tT0_T1_T2_jT3_P12ihipStream_tbPNSt15iterator_traitsISK_E10value_typeEPNSQ_ISL_E10value_typeEPSM_NS1_7vsmem_tEENKUlT_SK_SL_SM_E_clISF_PS5_SG_SG_EESJ_SZ_SK_SL_SM_EUlSZ_E0_NS1_11comp_targetILNS1_3genE4ELNS1_11target_archE910ELNS1_3gpuE8ELNS1_3repE0EEENS1_38merge_mergepath_config_static_selectorELNS0_4arch9wavefront6targetE1EEEvSL_.kd
    .uniform_work_group_size: 1
    .uses_dynamic_stack: false
    .vgpr_count:     24
    .vgpr_spill_count: 0
    .wavefront_size: 64
  - .agpr_count:     0
    .args:
      - .offset:         0
        .size:           72
        .value_kind:     by_value
    .group_segment_fixed_size: 0
    .kernarg_segment_align: 8
    .kernarg_segment_size: 72
    .language:       OpenCL C
    .language_version:
      - 2
      - 0
    .max_flat_workgroup_size: 128
    .name:           _ZN7rocprim17ROCPRIM_400000_NS6detail17trampoline_kernelINS0_14default_configENS1_38merge_sort_block_merge_config_selectorI14custom_numericNS0_10empty_typeEEEZZNS1_27merge_sort_block_merge_implIS3_N6thrust23THRUST_200600_302600_NS6detail15normal_iteratorINSA_10device_ptrIS5_EEEEPS6_mNSA_4lessIS5_EEEE10hipError_tT0_T1_T2_jT3_P12ihipStream_tbPNSt15iterator_traitsISK_E10value_typeEPNSQ_ISL_E10value_typeEPSM_NS1_7vsmem_tEENKUlT_SK_SL_SM_E_clISF_PS5_SG_SG_EESJ_SZ_SK_SL_SM_EUlSZ_E0_NS1_11comp_targetILNS1_3genE3ELNS1_11target_archE908ELNS1_3gpuE7ELNS1_3repE0EEENS1_38merge_mergepath_config_static_selectorELNS0_4arch9wavefront6targetE1EEEvSL_
    .private_segment_fixed_size: 0
    .sgpr_count:     4
    .sgpr_spill_count: 0
    .symbol:         _ZN7rocprim17ROCPRIM_400000_NS6detail17trampoline_kernelINS0_14default_configENS1_38merge_sort_block_merge_config_selectorI14custom_numericNS0_10empty_typeEEEZZNS1_27merge_sort_block_merge_implIS3_N6thrust23THRUST_200600_302600_NS6detail15normal_iteratorINSA_10device_ptrIS5_EEEEPS6_mNSA_4lessIS5_EEEE10hipError_tT0_T1_T2_jT3_P12ihipStream_tbPNSt15iterator_traitsISK_E10value_typeEPNSQ_ISL_E10value_typeEPSM_NS1_7vsmem_tEENKUlT_SK_SL_SM_E_clISF_PS5_SG_SG_EESJ_SZ_SK_SL_SM_EUlSZ_E0_NS1_11comp_targetILNS1_3genE3ELNS1_11target_archE908ELNS1_3gpuE7ELNS1_3repE0EEENS1_38merge_mergepath_config_static_selectorELNS0_4arch9wavefront6targetE1EEEvSL_.kd
    .uniform_work_group_size: 1
    .uses_dynamic_stack: false
    .vgpr_count:     0
    .vgpr_spill_count: 0
    .wavefront_size: 64
  - .agpr_count:     0
    .args:
      - .offset:         0
        .size:           72
        .value_kind:     by_value
    .group_segment_fixed_size: 0
    .kernarg_segment_align: 8
    .kernarg_segment_size: 72
    .language:       OpenCL C
    .language_version:
      - 2
      - 0
    .max_flat_workgroup_size: 128
    .name:           _ZN7rocprim17ROCPRIM_400000_NS6detail17trampoline_kernelINS0_14default_configENS1_38merge_sort_block_merge_config_selectorI14custom_numericNS0_10empty_typeEEEZZNS1_27merge_sort_block_merge_implIS3_N6thrust23THRUST_200600_302600_NS6detail15normal_iteratorINSA_10device_ptrIS5_EEEEPS6_mNSA_4lessIS5_EEEE10hipError_tT0_T1_T2_jT3_P12ihipStream_tbPNSt15iterator_traitsISK_E10value_typeEPNSQ_ISL_E10value_typeEPSM_NS1_7vsmem_tEENKUlT_SK_SL_SM_E_clISF_PS5_SG_SG_EESJ_SZ_SK_SL_SM_EUlSZ_E0_NS1_11comp_targetILNS1_3genE2ELNS1_11target_archE906ELNS1_3gpuE6ELNS1_3repE0EEENS1_38merge_mergepath_config_static_selectorELNS0_4arch9wavefront6targetE1EEEvSL_
    .private_segment_fixed_size: 0
    .sgpr_count:     4
    .sgpr_spill_count: 0
    .symbol:         _ZN7rocprim17ROCPRIM_400000_NS6detail17trampoline_kernelINS0_14default_configENS1_38merge_sort_block_merge_config_selectorI14custom_numericNS0_10empty_typeEEEZZNS1_27merge_sort_block_merge_implIS3_N6thrust23THRUST_200600_302600_NS6detail15normal_iteratorINSA_10device_ptrIS5_EEEEPS6_mNSA_4lessIS5_EEEE10hipError_tT0_T1_T2_jT3_P12ihipStream_tbPNSt15iterator_traitsISK_E10value_typeEPNSQ_ISL_E10value_typeEPSM_NS1_7vsmem_tEENKUlT_SK_SL_SM_E_clISF_PS5_SG_SG_EESJ_SZ_SK_SL_SM_EUlSZ_E0_NS1_11comp_targetILNS1_3genE2ELNS1_11target_archE906ELNS1_3gpuE6ELNS1_3repE0EEENS1_38merge_mergepath_config_static_selectorELNS0_4arch9wavefront6targetE1EEEvSL_.kd
    .uniform_work_group_size: 1
    .uses_dynamic_stack: false
    .vgpr_count:     0
    .vgpr_spill_count: 0
    .wavefront_size: 64
  - .agpr_count:     0
    .args:
      - .offset:         0
        .size:           72
        .value_kind:     by_value
    .group_segment_fixed_size: 0
    .kernarg_segment_align: 8
    .kernarg_segment_size: 72
    .language:       OpenCL C
    .language_version:
      - 2
      - 0
    .max_flat_workgroup_size: 128
    .name:           _ZN7rocprim17ROCPRIM_400000_NS6detail17trampoline_kernelINS0_14default_configENS1_38merge_sort_block_merge_config_selectorI14custom_numericNS0_10empty_typeEEEZZNS1_27merge_sort_block_merge_implIS3_N6thrust23THRUST_200600_302600_NS6detail15normal_iteratorINSA_10device_ptrIS5_EEEEPS6_mNSA_4lessIS5_EEEE10hipError_tT0_T1_T2_jT3_P12ihipStream_tbPNSt15iterator_traitsISK_E10value_typeEPNSQ_ISL_E10value_typeEPSM_NS1_7vsmem_tEENKUlT_SK_SL_SM_E_clISF_PS5_SG_SG_EESJ_SZ_SK_SL_SM_EUlSZ_E0_NS1_11comp_targetILNS1_3genE9ELNS1_11target_archE1100ELNS1_3gpuE3ELNS1_3repE0EEENS1_38merge_mergepath_config_static_selectorELNS0_4arch9wavefront6targetE1EEEvSL_
    .private_segment_fixed_size: 0
    .sgpr_count:     4
    .sgpr_spill_count: 0
    .symbol:         _ZN7rocprim17ROCPRIM_400000_NS6detail17trampoline_kernelINS0_14default_configENS1_38merge_sort_block_merge_config_selectorI14custom_numericNS0_10empty_typeEEEZZNS1_27merge_sort_block_merge_implIS3_N6thrust23THRUST_200600_302600_NS6detail15normal_iteratorINSA_10device_ptrIS5_EEEEPS6_mNSA_4lessIS5_EEEE10hipError_tT0_T1_T2_jT3_P12ihipStream_tbPNSt15iterator_traitsISK_E10value_typeEPNSQ_ISL_E10value_typeEPSM_NS1_7vsmem_tEENKUlT_SK_SL_SM_E_clISF_PS5_SG_SG_EESJ_SZ_SK_SL_SM_EUlSZ_E0_NS1_11comp_targetILNS1_3genE9ELNS1_11target_archE1100ELNS1_3gpuE3ELNS1_3repE0EEENS1_38merge_mergepath_config_static_selectorELNS0_4arch9wavefront6targetE1EEEvSL_.kd
    .uniform_work_group_size: 1
    .uses_dynamic_stack: false
    .vgpr_count:     0
    .vgpr_spill_count: 0
    .wavefront_size: 64
  - .agpr_count:     0
    .args:
      - .offset:         0
        .size:           72
        .value_kind:     by_value
    .group_segment_fixed_size: 0
    .kernarg_segment_align: 8
    .kernarg_segment_size: 72
    .language:       OpenCL C
    .language_version:
      - 2
      - 0
    .max_flat_workgroup_size: 128
    .name:           _ZN7rocprim17ROCPRIM_400000_NS6detail17trampoline_kernelINS0_14default_configENS1_38merge_sort_block_merge_config_selectorI14custom_numericNS0_10empty_typeEEEZZNS1_27merge_sort_block_merge_implIS3_N6thrust23THRUST_200600_302600_NS6detail15normal_iteratorINSA_10device_ptrIS5_EEEEPS6_mNSA_4lessIS5_EEEE10hipError_tT0_T1_T2_jT3_P12ihipStream_tbPNSt15iterator_traitsISK_E10value_typeEPNSQ_ISL_E10value_typeEPSM_NS1_7vsmem_tEENKUlT_SK_SL_SM_E_clISF_PS5_SG_SG_EESJ_SZ_SK_SL_SM_EUlSZ_E0_NS1_11comp_targetILNS1_3genE8ELNS1_11target_archE1030ELNS1_3gpuE2ELNS1_3repE0EEENS1_38merge_mergepath_config_static_selectorELNS0_4arch9wavefront6targetE1EEEvSL_
    .private_segment_fixed_size: 0
    .sgpr_count:     4
    .sgpr_spill_count: 0
    .symbol:         _ZN7rocprim17ROCPRIM_400000_NS6detail17trampoline_kernelINS0_14default_configENS1_38merge_sort_block_merge_config_selectorI14custom_numericNS0_10empty_typeEEEZZNS1_27merge_sort_block_merge_implIS3_N6thrust23THRUST_200600_302600_NS6detail15normal_iteratorINSA_10device_ptrIS5_EEEEPS6_mNSA_4lessIS5_EEEE10hipError_tT0_T1_T2_jT3_P12ihipStream_tbPNSt15iterator_traitsISK_E10value_typeEPNSQ_ISL_E10value_typeEPSM_NS1_7vsmem_tEENKUlT_SK_SL_SM_E_clISF_PS5_SG_SG_EESJ_SZ_SK_SL_SM_EUlSZ_E0_NS1_11comp_targetILNS1_3genE8ELNS1_11target_archE1030ELNS1_3gpuE2ELNS1_3repE0EEENS1_38merge_mergepath_config_static_selectorELNS0_4arch9wavefront6targetE1EEEvSL_.kd
    .uniform_work_group_size: 1
    .uses_dynamic_stack: false
    .vgpr_count:     0
    .vgpr_spill_count: 0
    .wavefront_size: 64
  - .agpr_count:     0
    .args:
      - .offset:         0
        .size:           56
        .value_kind:     by_value
    .group_segment_fixed_size: 0
    .kernarg_segment_align: 8
    .kernarg_segment_size: 56
    .language:       OpenCL C
    .language_version:
      - 2
      - 0
    .max_flat_workgroup_size: 128
    .name:           _ZN7rocprim17ROCPRIM_400000_NS6detail17trampoline_kernelINS0_14default_configENS1_38merge_sort_block_merge_config_selectorI14custom_numericNS0_10empty_typeEEEZZNS1_27merge_sort_block_merge_implIS3_N6thrust23THRUST_200600_302600_NS6detail15normal_iteratorINSA_10device_ptrIS5_EEEEPS6_mNSA_4lessIS5_EEEE10hipError_tT0_T1_T2_jT3_P12ihipStream_tbPNSt15iterator_traitsISK_E10value_typeEPNSQ_ISL_E10value_typeEPSM_NS1_7vsmem_tEENKUlT_SK_SL_SM_E_clISF_PS5_SG_SG_EESJ_SZ_SK_SL_SM_EUlSZ_E1_NS1_11comp_targetILNS1_3genE0ELNS1_11target_archE4294967295ELNS1_3gpuE0ELNS1_3repE0EEENS1_36merge_oddeven_config_static_selectorELNS0_4arch9wavefront6targetE1EEEvSL_
    .private_segment_fixed_size: 0
    .sgpr_count:     4
    .sgpr_spill_count: 0
    .symbol:         _ZN7rocprim17ROCPRIM_400000_NS6detail17trampoline_kernelINS0_14default_configENS1_38merge_sort_block_merge_config_selectorI14custom_numericNS0_10empty_typeEEEZZNS1_27merge_sort_block_merge_implIS3_N6thrust23THRUST_200600_302600_NS6detail15normal_iteratorINSA_10device_ptrIS5_EEEEPS6_mNSA_4lessIS5_EEEE10hipError_tT0_T1_T2_jT3_P12ihipStream_tbPNSt15iterator_traitsISK_E10value_typeEPNSQ_ISL_E10value_typeEPSM_NS1_7vsmem_tEENKUlT_SK_SL_SM_E_clISF_PS5_SG_SG_EESJ_SZ_SK_SL_SM_EUlSZ_E1_NS1_11comp_targetILNS1_3genE0ELNS1_11target_archE4294967295ELNS1_3gpuE0ELNS1_3repE0EEENS1_36merge_oddeven_config_static_selectorELNS0_4arch9wavefront6targetE1EEEvSL_.kd
    .uniform_work_group_size: 1
    .uses_dynamic_stack: false
    .vgpr_count:     0
    .vgpr_spill_count: 0
    .wavefront_size: 64
  - .agpr_count:     0
    .args:
      - .offset:         0
        .size:           56
        .value_kind:     by_value
    .group_segment_fixed_size: 0
    .kernarg_segment_align: 8
    .kernarg_segment_size: 56
    .language:       OpenCL C
    .language_version:
      - 2
      - 0
    .max_flat_workgroup_size: 128
    .name:           _ZN7rocprim17ROCPRIM_400000_NS6detail17trampoline_kernelINS0_14default_configENS1_38merge_sort_block_merge_config_selectorI14custom_numericNS0_10empty_typeEEEZZNS1_27merge_sort_block_merge_implIS3_N6thrust23THRUST_200600_302600_NS6detail15normal_iteratorINSA_10device_ptrIS5_EEEEPS6_mNSA_4lessIS5_EEEE10hipError_tT0_T1_T2_jT3_P12ihipStream_tbPNSt15iterator_traitsISK_E10value_typeEPNSQ_ISL_E10value_typeEPSM_NS1_7vsmem_tEENKUlT_SK_SL_SM_E_clISF_PS5_SG_SG_EESJ_SZ_SK_SL_SM_EUlSZ_E1_NS1_11comp_targetILNS1_3genE10ELNS1_11target_archE1201ELNS1_3gpuE5ELNS1_3repE0EEENS1_36merge_oddeven_config_static_selectorELNS0_4arch9wavefront6targetE1EEEvSL_
    .private_segment_fixed_size: 0
    .sgpr_count:     4
    .sgpr_spill_count: 0
    .symbol:         _ZN7rocprim17ROCPRIM_400000_NS6detail17trampoline_kernelINS0_14default_configENS1_38merge_sort_block_merge_config_selectorI14custom_numericNS0_10empty_typeEEEZZNS1_27merge_sort_block_merge_implIS3_N6thrust23THRUST_200600_302600_NS6detail15normal_iteratorINSA_10device_ptrIS5_EEEEPS6_mNSA_4lessIS5_EEEE10hipError_tT0_T1_T2_jT3_P12ihipStream_tbPNSt15iterator_traitsISK_E10value_typeEPNSQ_ISL_E10value_typeEPSM_NS1_7vsmem_tEENKUlT_SK_SL_SM_E_clISF_PS5_SG_SG_EESJ_SZ_SK_SL_SM_EUlSZ_E1_NS1_11comp_targetILNS1_3genE10ELNS1_11target_archE1201ELNS1_3gpuE5ELNS1_3repE0EEENS1_36merge_oddeven_config_static_selectorELNS0_4arch9wavefront6targetE1EEEvSL_.kd
    .uniform_work_group_size: 1
    .uses_dynamic_stack: false
    .vgpr_count:     0
    .vgpr_spill_count: 0
    .wavefront_size: 64
  - .agpr_count:     0
    .args:
      - .offset:         0
        .size:           56
        .value_kind:     by_value
    .group_segment_fixed_size: 0
    .kernarg_segment_align: 8
    .kernarg_segment_size: 56
    .language:       OpenCL C
    .language_version:
      - 2
      - 0
    .max_flat_workgroup_size: 128
    .name:           _ZN7rocprim17ROCPRIM_400000_NS6detail17trampoline_kernelINS0_14default_configENS1_38merge_sort_block_merge_config_selectorI14custom_numericNS0_10empty_typeEEEZZNS1_27merge_sort_block_merge_implIS3_N6thrust23THRUST_200600_302600_NS6detail15normal_iteratorINSA_10device_ptrIS5_EEEEPS6_mNSA_4lessIS5_EEEE10hipError_tT0_T1_T2_jT3_P12ihipStream_tbPNSt15iterator_traitsISK_E10value_typeEPNSQ_ISL_E10value_typeEPSM_NS1_7vsmem_tEENKUlT_SK_SL_SM_E_clISF_PS5_SG_SG_EESJ_SZ_SK_SL_SM_EUlSZ_E1_NS1_11comp_targetILNS1_3genE5ELNS1_11target_archE942ELNS1_3gpuE9ELNS1_3repE0EEENS1_36merge_oddeven_config_static_selectorELNS0_4arch9wavefront6targetE1EEEvSL_
    .private_segment_fixed_size: 0
    .sgpr_count:     4
    .sgpr_spill_count: 0
    .symbol:         _ZN7rocprim17ROCPRIM_400000_NS6detail17trampoline_kernelINS0_14default_configENS1_38merge_sort_block_merge_config_selectorI14custom_numericNS0_10empty_typeEEEZZNS1_27merge_sort_block_merge_implIS3_N6thrust23THRUST_200600_302600_NS6detail15normal_iteratorINSA_10device_ptrIS5_EEEEPS6_mNSA_4lessIS5_EEEE10hipError_tT0_T1_T2_jT3_P12ihipStream_tbPNSt15iterator_traitsISK_E10value_typeEPNSQ_ISL_E10value_typeEPSM_NS1_7vsmem_tEENKUlT_SK_SL_SM_E_clISF_PS5_SG_SG_EESJ_SZ_SK_SL_SM_EUlSZ_E1_NS1_11comp_targetILNS1_3genE5ELNS1_11target_archE942ELNS1_3gpuE9ELNS1_3repE0EEENS1_36merge_oddeven_config_static_selectorELNS0_4arch9wavefront6targetE1EEEvSL_.kd
    .uniform_work_group_size: 1
    .uses_dynamic_stack: false
    .vgpr_count:     0
    .vgpr_spill_count: 0
    .wavefront_size: 64
  - .agpr_count:     0
    .args:
      - .offset:         0
        .size:           56
        .value_kind:     by_value
    .group_segment_fixed_size: 0
    .kernarg_segment_align: 8
    .kernarg_segment_size: 56
    .language:       OpenCL C
    .language_version:
      - 2
      - 0
    .max_flat_workgroup_size: 128
    .name:           _ZN7rocprim17ROCPRIM_400000_NS6detail17trampoline_kernelINS0_14default_configENS1_38merge_sort_block_merge_config_selectorI14custom_numericNS0_10empty_typeEEEZZNS1_27merge_sort_block_merge_implIS3_N6thrust23THRUST_200600_302600_NS6detail15normal_iteratorINSA_10device_ptrIS5_EEEEPS6_mNSA_4lessIS5_EEEE10hipError_tT0_T1_T2_jT3_P12ihipStream_tbPNSt15iterator_traitsISK_E10value_typeEPNSQ_ISL_E10value_typeEPSM_NS1_7vsmem_tEENKUlT_SK_SL_SM_E_clISF_PS5_SG_SG_EESJ_SZ_SK_SL_SM_EUlSZ_E1_NS1_11comp_targetILNS1_3genE4ELNS1_11target_archE910ELNS1_3gpuE8ELNS1_3repE0EEENS1_36merge_oddeven_config_static_selectorELNS0_4arch9wavefront6targetE1EEEvSL_
    .private_segment_fixed_size: 0
    .sgpr_count:     24
    .sgpr_spill_count: 0
    .symbol:         _ZN7rocprim17ROCPRIM_400000_NS6detail17trampoline_kernelINS0_14default_configENS1_38merge_sort_block_merge_config_selectorI14custom_numericNS0_10empty_typeEEEZZNS1_27merge_sort_block_merge_implIS3_N6thrust23THRUST_200600_302600_NS6detail15normal_iteratorINSA_10device_ptrIS5_EEEEPS6_mNSA_4lessIS5_EEEE10hipError_tT0_T1_T2_jT3_P12ihipStream_tbPNSt15iterator_traitsISK_E10value_typeEPNSQ_ISL_E10value_typeEPSM_NS1_7vsmem_tEENKUlT_SK_SL_SM_E_clISF_PS5_SG_SG_EESJ_SZ_SK_SL_SM_EUlSZ_E1_NS1_11comp_targetILNS1_3genE4ELNS1_11target_archE910ELNS1_3gpuE8ELNS1_3repE0EEENS1_36merge_oddeven_config_static_selectorELNS0_4arch9wavefront6targetE1EEEvSL_.kd
    .uniform_work_group_size: 1
    .uses_dynamic_stack: false
    .vgpr_count:     8
    .vgpr_spill_count: 0
    .wavefront_size: 64
  - .agpr_count:     0
    .args:
      - .offset:         0
        .size:           56
        .value_kind:     by_value
    .group_segment_fixed_size: 0
    .kernarg_segment_align: 8
    .kernarg_segment_size: 56
    .language:       OpenCL C
    .language_version:
      - 2
      - 0
    .max_flat_workgroup_size: 128
    .name:           _ZN7rocprim17ROCPRIM_400000_NS6detail17trampoline_kernelINS0_14default_configENS1_38merge_sort_block_merge_config_selectorI14custom_numericNS0_10empty_typeEEEZZNS1_27merge_sort_block_merge_implIS3_N6thrust23THRUST_200600_302600_NS6detail15normal_iteratorINSA_10device_ptrIS5_EEEEPS6_mNSA_4lessIS5_EEEE10hipError_tT0_T1_T2_jT3_P12ihipStream_tbPNSt15iterator_traitsISK_E10value_typeEPNSQ_ISL_E10value_typeEPSM_NS1_7vsmem_tEENKUlT_SK_SL_SM_E_clISF_PS5_SG_SG_EESJ_SZ_SK_SL_SM_EUlSZ_E1_NS1_11comp_targetILNS1_3genE3ELNS1_11target_archE908ELNS1_3gpuE7ELNS1_3repE0EEENS1_36merge_oddeven_config_static_selectorELNS0_4arch9wavefront6targetE1EEEvSL_
    .private_segment_fixed_size: 0
    .sgpr_count:     4
    .sgpr_spill_count: 0
    .symbol:         _ZN7rocprim17ROCPRIM_400000_NS6detail17trampoline_kernelINS0_14default_configENS1_38merge_sort_block_merge_config_selectorI14custom_numericNS0_10empty_typeEEEZZNS1_27merge_sort_block_merge_implIS3_N6thrust23THRUST_200600_302600_NS6detail15normal_iteratorINSA_10device_ptrIS5_EEEEPS6_mNSA_4lessIS5_EEEE10hipError_tT0_T1_T2_jT3_P12ihipStream_tbPNSt15iterator_traitsISK_E10value_typeEPNSQ_ISL_E10value_typeEPSM_NS1_7vsmem_tEENKUlT_SK_SL_SM_E_clISF_PS5_SG_SG_EESJ_SZ_SK_SL_SM_EUlSZ_E1_NS1_11comp_targetILNS1_3genE3ELNS1_11target_archE908ELNS1_3gpuE7ELNS1_3repE0EEENS1_36merge_oddeven_config_static_selectorELNS0_4arch9wavefront6targetE1EEEvSL_.kd
    .uniform_work_group_size: 1
    .uses_dynamic_stack: false
    .vgpr_count:     0
    .vgpr_spill_count: 0
    .wavefront_size: 64
  - .agpr_count:     0
    .args:
      - .offset:         0
        .size:           56
        .value_kind:     by_value
    .group_segment_fixed_size: 0
    .kernarg_segment_align: 8
    .kernarg_segment_size: 56
    .language:       OpenCL C
    .language_version:
      - 2
      - 0
    .max_flat_workgroup_size: 128
    .name:           _ZN7rocprim17ROCPRIM_400000_NS6detail17trampoline_kernelINS0_14default_configENS1_38merge_sort_block_merge_config_selectorI14custom_numericNS0_10empty_typeEEEZZNS1_27merge_sort_block_merge_implIS3_N6thrust23THRUST_200600_302600_NS6detail15normal_iteratorINSA_10device_ptrIS5_EEEEPS6_mNSA_4lessIS5_EEEE10hipError_tT0_T1_T2_jT3_P12ihipStream_tbPNSt15iterator_traitsISK_E10value_typeEPNSQ_ISL_E10value_typeEPSM_NS1_7vsmem_tEENKUlT_SK_SL_SM_E_clISF_PS5_SG_SG_EESJ_SZ_SK_SL_SM_EUlSZ_E1_NS1_11comp_targetILNS1_3genE2ELNS1_11target_archE906ELNS1_3gpuE6ELNS1_3repE0EEENS1_36merge_oddeven_config_static_selectorELNS0_4arch9wavefront6targetE1EEEvSL_
    .private_segment_fixed_size: 0
    .sgpr_count:     4
    .sgpr_spill_count: 0
    .symbol:         _ZN7rocprim17ROCPRIM_400000_NS6detail17trampoline_kernelINS0_14default_configENS1_38merge_sort_block_merge_config_selectorI14custom_numericNS0_10empty_typeEEEZZNS1_27merge_sort_block_merge_implIS3_N6thrust23THRUST_200600_302600_NS6detail15normal_iteratorINSA_10device_ptrIS5_EEEEPS6_mNSA_4lessIS5_EEEE10hipError_tT0_T1_T2_jT3_P12ihipStream_tbPNSt15iterator_traitsISK_E10value_typeEPNSQ_ISL_E10value_typeEPSM_NS1_7vsmem_tEENKUlT_SK_SL_SM_E_clISF_PS5_SG_SG_EESJ_SZ_SK_SL_SM_EUlSZ_E1_NS1_11comp_targetILNS1_3genE2ELNS1_11target_archE906ELNS1_3gpuE6ELNS1_3repE0EEENS1_36merge_oddeven_config_static_selectorELNS0_4arch9wavefront6targetE1EEEvSL_.kd
    .uniform_work_group_size: 1
    .uses_dynamic_stack: false
    .vgpr_count:     0
    .vgpr_spill_count: 0
    .wavefront_size: 64
  - .agpr_count:     0
    .args:
      - .offset:         0
        .size:           56
        .value_kind:     by_value
    .group_segment_fixed_size: 0
    .kernarg_segment_align: 8
    .kernarg_segment_size: 56
    .language:       OpenCL C
    .language_version:
      - 2
      - 0
    .max_flat_workgroup_size: 128
    .name:           _ZN7rocprim17ROCPRIM_400000_NS6detail17trampoline_kernelINS0_14default_configENS1_38merge_sort_block_merge_config_selectorI14custom_numericNS0_10empty_typeEEEZZNS1_27merge_sort_block_merge_implIS3_N6thrust23THRUST_200600_302600_NS6detail15normal_iteratorINSA_10device_ptrIS5_EEEEPS6_mNSA_4lessIS5_EEEE10hipError_tT0_T1_T2_jT3_P12ihipStream_tbPNSt15iterator_traitsISK_E10value_typeEPNSQ_ISL_E10value_typeEPSM_NS1_7vsmem_tEENKUlT_SK_SL_SM_E_clISF_PS5_SG_SG_EESJ_SZ_SK_SL_SM_EUlSZ_E1_NS1_11comp_targetILNS1_3genE9ELNS1_11target_archE1100ELNS1_3gpuE3ELNS1_3repE0EEENS1_36merge_oddeven_config_static_selectorELNS0_4arch9wavefront6targetE1EEEvSL_
    .private_segment_fixed_size: 0
    .sgpr_count:     4
    .sgpr_spill_count: 0
    .symbol:         _ZN7rocprim17ROCPRIM_400000_NS6detail17trampoline_kernelINS0_14default_configENS1_38merge_sort_block_merge_config_selectorI14custom_numericNS0_10empty_typeEEEZZNS1_27merge_sort_block_merge_implIS3_N6thrust23THRUST_200600_302600_NS6detail15normal_iteratorINSA_10device_ptrIS5_EEEEPS6_mNSA_4lessIS5_EEEE10hipError_tT0_T1_T2_jT3_P12ihipStream_tbPNSt15iterator_traitsISK_E10value_typeEPNSQ_ISL_E10value_typeEPSM_NS1_7vsmem_tEENKUlT_SK_SL_SM_E_clISF_PS5_SG_SG_EESJ_SZ_SK_SL_SM_EUlSZ_E1_NS1_11comp_targetILNS1_3genE9ELNS1_11target_archE1100ELNS1_3gpuE3ELNS1_3repE0EEENS1_36merge_oddeven_config_static_selectorELNS0_4arch9wavefront6targetE1EEEvSL_.kd
    .uniform_work_group_size: 1
    .uses_dynamic_stack: false
    .vgpr_count:     0
    .vgpr_spill_count: 0
    .wavefront_size: 64
  - .agpr_count:     0
    .args:
      - .offset:         0
        .size:           56
        .value_kind:     by_value
    .group_segment_fixed_size: 0
    .kernarg_segment_align: 8
    .kernarg_segment_size: 56
    .language:       OpenCL C
    .language_version:
      - 2
      - 0
    .max_flat_workgroup_size: 128
    .name:           _ZN7rocprim17ROCPRIM_400000_NS6detail17trampoline_kernelINS0_14default_configENS1_38merge_sort_block_merge_config_selectorI14custom_numericNS0_10empty_typeEEEZZNS1_27merge_sort_block_merge_implIS3_N6thrust23THRUST_200600_302600_NS6detail15normal_iteratorINSA_10device_ptrIS5_EEEEPS6_mNSA_4lessIS5_EEEE10hipError_tT0_T1_T2_jT3_P12ihipStream_tbPNSt15iterator_traitsISK_E10value_typeEPNSQ_ISL_E10value_typeEPSM_NS1_7vsmem_tEENKUlT_SK_SL_SM_E_clISF_PS5_SG_SG_EESJ_SZ_SK_SL_SM_EUlSZ_E1_NS1_11comp_targetILNS1_3genE8ELNS1_11target_archE1030ELNS1_3gpuE2ELNS1_3repE0EEENS1_36merge_oddeven_config_static_selectorELNS0_4arch9wavefront6targetE1EEEvSL_
    .private_segment_fixed_size: 0
    .sgpr_count:     4
    .sgpr_spill_count: 0
    .symbol:         _ZN7rocprim17ROCPRIM_400000_NS6detail17trampoline_kernelINS0_14default_configENS1_38merge_sort_block_merge_config_selectorI14custom_numericNS0_10empty_typeEEEZZNS1_27merge_sort_block_merge_implIS3_N6thrust23THRUST_200600_302600_NS6detail15normal_iteratorINSA_10device_ptrIS5_EEEEPS6_mNSA_4lessIS5_EEEE10hipError_tT0_T1_T2_jT3_P12ihipStream_tbPNSt15iterator_traitsISK_E10value_typeEPNSQ_ISL_E10value_typeEPSM_NS1_7vsmem_tEENKUlT_SK_SL_SM_E_clISF_PS5_SG_SG_EESJ_SZ_SK_SL_SM_EUlSZ_E1_NS1_11comp_targetILNS1_3genE8ELNS1_11target_archE1030ELNS1_3gpuE2ELNS1_3repE0EEENS1_36merge_oddeven_config_static_selectorELNS0_4arch9wavefront6targetE1EEEvSL_.kd
    .uniform_work_group_size: 1
    .uses_dynamic_stack: false
    .vgpr_count:     0
    .vgpr_spill_count: 0
    .wavefront_size: 64
  - .agpr_count:     0
    .args:
      - .offset:         0
        .size:           40
        .value_kind:     by_value
    .group_segment_fixed_size: 0
    .kernarg_segment_align: 8
    .kernarg_segment_size: 40
    .language:       OpenCL C
    .language_version:
      - 2
      - 0
    .max_flat_workgroup_size: 256
    .name:           _ZN7rocprim17ROCPRIM_400000_NS6detail17trampoline_kernelINS0_14default_configENS1_25transform_config_selectorI14custom_numericLb0EEEZNS1_14transform_implILb0ES3_S6_PS5_N6thrust23THRUST_200600_302600_NS6detail15normal_iteratorINSA_10device_ptrIS5_EEEENS0_8identityIS5_EEEE10hipError_tT2_T3_mT4_P12ihipStream_tbEUlT_E_NS1_11comp_targetILNS1_3genE0ELNS1_11target_archE4294967295ELNS1_3gpuE0ELNS1_3repE0EEENS1_30default_config_static_selectorELNS0_4arch9wavefront6targetE1EEEvT1_
    .private_segment_fixed_size: 0
    .sgpr_count:     4
    .sgpr_spill_count: 0
    .symbol:         _ZN7rocprim17ROCPRIM_400000_NS6detail17trampoline_kernelINS0_14default_configENS1_25transform_config_selectorI14custom_numericLb0EEEZNS1_14transform_implILb0ES3_S6_PS5_N6thrust23THRUST_200600_302600_NS6detail15normal_iteratorINSA_10device_ptrIS5_EEEENS0_8identityIS5_EEEE10hipError_tT2_T3_mT4_P12ihipStream_tbEUlT_E_NS1_11comp_targetILNS1_3genE0ELNS1_11target_archE4294967295ELNS1_3gpuE0ELNS1_3repE0EEENS1_30default_config_static_selectorELNS0_4arch9wavefront6targetE1EEEvT1_.kd
    .uniform_work_group_size: 1
    .uses_dynamic_stack: false
    .vgpr_count:     0
    .vgpr_spill_count: 0
    .wavefront_size: 64
  - .agpr_count:     0
    .args:
      - .offset:         0
        .size:           40
        .value_kind:     by_value
    .group_segment_fixed_size: 0
    .kernarg_segment_align: 8
    .kernarg_segment_size: 40
    .language:       OpenCL C
    .language_version:
      - 2
      - 0
    .max_flat_workgroup_size: 256
    .name:           _ZN7rocprim17ROCPRIM_400000_NS6detail17trampoline_kernelINS0_14default_configENS1_25transform_config_selectorI14custom_numericLb0EEEZNS1_14transform_implILb0ES3_S6_PS5_N6thrust23THRUST_200600_302600_NS6detail15normal_iteratorINSA_10device_ptrIS5_EEEENS0_8identityIS5_EEEE10hipError_tT2_T3_mT4_P12ihipStream_tbEUlT_E_NS1_11comp_targetILNS1_3genE5ELNS1_11target_archE942ELNS1_3gpuE9ELNS1_3repE0EEENS1_30default_config_static_selectorELNS0_4arch9wavefront6targetE1EEEvT1_
    .private_segment_fixed_size: 0
    .sgpr_count:     4
    .sgpr_spill_count: 0
    .symbol:         _ZN7rocprim17ROCPRIM_400000_NS6detail17trampoline_kernelINS0_14default_configENS1_25transform_config_selectorI14custom_numericLb0EEEZNS1_14transform_implILb0ES3_S6_PS5_N6thrust23THRUST_200600_302600_NS6detail15normal_iteratorINSA_10device_ptrIS5_EEEENS0_8identityIS5_EEEE10hipError_tT2_T3_mT4_P12ihipStream_tbEUlT_E_NS1_11comp_targetILNS1_3genE5ELNS1_11target_archE942ELNS1_3gpuE9ELNS1_3repE0EEENS1_30default_config_static_selectorELNS0_4arch9wavefront6targetE1EEEvT1_.kd
    .uniform_work_group_size: 1
    .uses_dynamic_stack: false
    .vgpr_count:     0
    .vgpr_spill_count: 0
    .wavefront_size: 64
  - .agpr_count:     0
    .args:
      - .offset:         0
        .size:           40
        .value_kind:     by_value
      - .offset:         40
        .size:           4
        .value_kind:     hidden_block_count_x
      - .offset:         44
        .size:           4
        .value_kind:     hidden_block_count_y
      - .offset:         48
        .size:           4
        .value_kind:     hidden_block_count_z
      - .offset:         52
        .size:           2
        .value_kind:     hidden_group_size_x
      - .offset:         54
        .size:           2
        .value_kind:     hidden_group_size_y
      - .offset:         56
        .size:           2
        .value_kind:     hidden_group_size_z
      - .offset:         58
        .size:           2
        .value_kind:     hidden_remainder_x
      - .offset:         60
        .size:           2
        .value_kind:     hidden_remainder_y
      - .offset:         62
        .size:           2
        .value_kind:     hidden_remainder_z
      - .offset:         80
        .size:           8
        .value_kind:     hidden_global_offset_x
      - .offset:         88
        .size:           8
        .value_kind:     hidden_global_offset_y
      - .offset:         96
        .size:           8
        .value_kind:     hidden_global_offset_z
      - .offset:         104
        .size:           2
        .value_kind:     hidden_grid_dims
    .group_segment_fixed_size: 0
    .kernarg_segment_align: 8
    .kernarg_segment_size: 296
    .language:       OpenCL C
    .language_version:
      - 2
      - 0
    .max_flat_workgroup_size: 256
    .name:           _ZN7rocprim17ROCPRIM_400000_NS6detail17trampoline_kernelINS0_14default_configENS1_25transform_config_selectorI14custom_numericLb0EEEZNS1_14transform_implILb0ES3_S6_PS5_N6thrust23THRUST_200600_302600_NS6detail15normal_iteratorINSA_10device_ptrIS5_EEEENS0_8identityIS5_EEEE10hipError_tT2_T3_mT4_P12ihipStream_tbEUlT_E_NS1_11comp_targetILNS1_3genE4ELNS1_11target_archE910ELNS1_3gpuE8ELNS1_3repE0EEENS1_30default_config_static_selectorELNS0_4arch9wavefront6targetE1EEEvT1_
    .private_segment_fixed_size: 0
    .sgpr_count:     20
    .sgpr_spill_count: 0
    .symbol:         _ZN7rocprim17ROCPRIM_400000_NS6detail17trampoline_kernelINS0_14default_configENS1_25transform_config_selectorI14custom_numericLb0EEEZNS1_14transform_implILb0ES3_S6_PS5_N6thrust23THRUST_200600_302600_NS6detail15normal_iteratorINSA_10device_ptrIS5_EEEENS0_8identityIS5_EEEE10hipError_tT2_T3_mT4_P12ihipStream_tbEUlT_E_NS1_11comp_targetILNS1_3genE4ELNS1_11target_archE910ELNS1_3gpuE8ELNS1_3repE0EEENS1_30default_config_static_selectorELNS0_4arch9wavefront6targetE1EEEvT1_.kd
    .uniform_work_group_size: 1
    .uses_dynamic_stack: false
    .vgpr_count:     16
    .vgpr_spill_count: 0
    .wavefront_size: 64
  - .agpr_count:     0
    .args:
      - .offset:         0
        .size:           40
        .value_kind:     by_value
    .group_segment_fixed_size: 0
    .kernarg_segment_align: 8
    .kernarg_segment_size: 40
    .language:       OpenCL C
    .language_version:
      - 2
      - 0
    .max_flat_workgroup_size: 256
    .name:           _ZN7rocprim17ROCPRIM_400000_NS6detail17trampoline_kernelINS0_14default_configENS1_25transform_config_selectorI14custom_numericLb0EEEZNS1_14transform_implILb0ES3_S6_PS5_N6thrust23THRUST_200600_302600_NS6detail15normal_iteratorINSA_10device_ptrIS5_EEEENS0_8identityIS5_EEEE10hipError_tT2_T3_mT4_P12ihipStream_tbEUlT_E_NS1_11comp_targetILNS1_3genE3ELNS1_11target_archE908ELNS1_3gpuE7ELNS1_3repE0EEENS1_30default_config_static_selectorELNS0_4arch9wavefront6targetE1EEEvT1_
    .private_segment_fixed_size: 0
    .sgpr_count:     4
    .sgpr_spill_count: 0
    .symbol:         _ZN7rocprim17ROCPRIM_400000_NS6detail17trampoline_kernelINS0_14default_configENS1_25transform_config_selectorI14custom_numericLb0EEEZNS1_14transform_implILb0ES3_S6_PS5_N6thrust23THRUST_200600_302600_NS6detail15normal_iteratorINSA_10device_ptrIS5_EEEENS0_8identityIS5_EEEE10hipError_tT2_T3_mT4_P12ihipStream_tbEUlT_E_NS1_11comp_targetILNS1_3genE3ELNS1_11target_archE908ELNS1_3gpuE7ELNS1_3repE0EEENS1_30default_config_static_selectorELNS0_4arch9wavefront6targetE1EEEvT1_.kd
    .uniform_work_group_size: 1
    .uses_dynamic_stack: false
    .vgpr_count:     0
    .vgpr_spill_count: 0
    .wavefront_size: 64
  - .agpr_count:     0
    .args:
      - .offset:         0
        .size:           40
        .value_kind:     by_value
    .group_segment_fixed_size: 0
    .kernarg_segment_align: 8
    .kernarg_segment_size: 40
    .language:       OpenCL C
    .language_version:
      - 2
      - 0
    .max_flat_workgroup_size: 256
    .name:           _ZN7rocprim17ROCPRIM_400000_NS6detail17trampoline_kernelINS0_14default_configENS1_25transform_config_selectorI14custom_numericLb0EEEZNS1_14transform_implILb0ES3_S6_PS5_N6thrust23THRUST_200600_302600_NS6detail15normal_iteratorINSA_10device_ptrIS5_EEEENS0_8identityIS5_EEEE10hipError_tT2_T3_mT4_P12ihipStream_tbEUlT_E_NS1_11comp_targetILNS1_3genE2ELNS1_11target_archE906ELNS1_3gpuE6ELNS1_3repE0EEENS1_30default_config_static_selectorELNS0_4arch9wavefront6targetE1EEEvT1_
    .private_segment_fixed_size: 0
    .sgpr_count:     4
    .sgpr_spill_count: 0
    .symbol:         _ZN7rocprim17ROCPRIM_400000_NS6detail17trampoline_kernelINS0_14default_configENS1_25transform_config_selectorI14custom_numericLb0EEEZNS1_14transform_implILb0ES3_S6_PS5_N6thrust23THRUST_200600_302600_NS6detail15normal_iteratorINSA_10device_ptrIS5_EEEENS0_8identityIS5_EEEE10hipError_tT2_T3_mT4_P12ihipStream_tbEUlT_E_NS1_11comp_targetILNS1_3genE2ELNS1_11target_archE906ELNS1_3gpuE6ELNS1_3repE0EEENS1_30default_config_static_selectorELNS0_4arch9wavefront6targetE1EEEvT1_.kd
    .uniform_work_group_size: 1
    .uses_dynamic_stack: false
    .vgpr_count:     0
    .vgpr_spill_count: 0
    .wavefront_size: 64
  - .agpr_count:     0
    .args:
      - .offset:         0
        .size:           40
        .value_kind:     by_value
    .group_segment_fixed_size: 0
    .kernarg_segment_align: 8
    .kernarg_segment_size: 40
    .language:       OpenCL C
    .language_version:
      - 2
      - 0
    .max_flat_workgroup_size: 256
    .name:           _ZN7rocprim17ROCPRIM_400000_NS6detail17trampoline_kernelINS0_14default_configENS1_25transform_config_selectorI14custom_numericLb0EEEZNS1_14transform_implILb0ES3_S6_PS5_N6thrust23THRUST_200600_302600_NS6detail15normal_iteratorINSA_10device_ptrIS5_EEEENS0_8identityIS5_EEEE10hipError_tT2_T3_mT4_P12ihipStream_tbEUlT_E_NS1_11comp_targetILNS1_3genE10ELNS1_11target_archE1201ELNS1_3gpuE5ELNS1_3repE0EEENS1_30default_config_static_selectorELNS0_4arch9wavefront6targetE1EEEvT1_
    .private_segment_fixed_size: 0
    .sgpr_count:     4
    .sgpr_spill_count: 0
    .symbol:         _ZN7rocprim17ROCPRIM_400000_NS6detail17trampoline_kernelINS0_14default_configENS1_25transform_config_selectorI14custom_numericLb0EEEZNS1_14transform_implILb0ES3_S6_PS5_N6thrust23THRUST_200600_302600_NS6detail15normal_iteratorINSA_10device_ptrIS5_EEEENS0_8identityIS5_EEEE10hipError_tT2_T3_mT4_P12ihipStream_tbEUlT_E_NS1_11comp_targetILNS1_3genE10ELNS1_11target_archE1201ELNS1_3gpuE5ELNS1_3repE0EEENS1_30default_config_static_selectorELNS0_4arch9wavefront6targetE1EEEvT1_.kd
    .uniform_work_group_size: 1
    .uses_dynamic_stack: false
    .vgpr_count:     0
    .vgpr_spill_count: 0
    .wavefront_size: 64
  - .agpr_count:     0
    .args:
      - .offset:         0
        .size:           40
        .value_kind:     by_value
    .group_segment_fixed_size: 0
    .kernarg_segment_align: 8
    .kernarg_segment_size: 40
    .language:       OpenCL C
    .language_version:
      - 2
      - 0
    .max_flat_workgroup_size: 256
    .name:           _ZN7rocprim17ROCPRIM_400000_NS6detail17trampoline_kernelINS0_14default_configENS1_25transform_config_selectorI14custom_numericLb0EEEZNS1_14transform_implILb0ES3_S6_PS5_N6thrust23THRUST_200600_302600_NS6detail15normal_iteratorINSA_10device_ptrIS5_EEEENS0_8identityIS5_EEEE10hipError_tT2_T3_mT4_P12ihipStream_tbEUlT_E_NS1_11comp_targetILNS1_3genE10ELNS1_11target_archE1200ELNS1_3gpuE4ELNS1_3repE0EEENS1_30default_config_static_selectorELNS0_4arch9wavefront6targetE1EEEvT1_
    .private_segment_fixed_size: 0
    .sgpr_count:     4
    .sgpr_spill_count: 0
    .symbol:         _ZN7rocprim17ROCPRIM_400000_NS6detail17trampoline_kernelINS0_14default_configENS1_25transform_config_selectorI14custom_numericLb0EEEZNS1_14transform_implILb0ES3_S6_PS5_N6thrust23THRUST_200600_302600_NS6detail15normal_iteratorINSA_10device_ptrIS5_EEEENS0_8identityIS5_EEEE10hipError_tT2_T3_mT4_P12ihipStream_tbEUlT_E_NS1_11comp_targetILNS1_3genE10ELNS1_11target_archE1200ELNS1_3gpuE4ELNS1_3repE0EEENS1_30default_config_static_selectorELNS0_4arch9wavefront6targetE1EEEvT1_.kd
    .uniform_work_group_size: 1
    .uses_dynamic_stack: false
    .vgpr_count:     0
    .vgpr_spill_count: 0
    .wavefront_size: 64
  - .agpr_count:     0
    .args:
      - .offset:         0
        .size:           40
        .value_kind:     by_value
    .group_segment_fixed_size: 0
    .kernarg_segment_align: 8
    .kernarg_segment_size: 40
    .language:       OpenCL C
    .language_version:
      - 2
      - 0
    .max_flat_workgroup_size: 256
    .name:           _ZN7rocprim17ROCPRIM_400000_NS6detail17trampoline_kernelINS0_14default_configENS1_25transform_config_selectorI14custom_numericLb0EEEZNS1_14transform_implILb0ES3_S6_PS5_N6thrust23THRUST_200600_302600_NS6detail15normal_iteratorINSA_10device_ptrIS5_EEEENS0_8identityIS5_EEEE10hipError_tT2_T3_mT4_P12ihipStream_tbEUlT_E_NS1_11comp_targetILNS1_3genE9ELNS1_11target_archE1100ELNS1_3gpuE3ELNS1_3repE0EEENS1_30default_config_static_selectorELNS0_4arch9wavefront6targetE1EEEvT1_
    .private_segment_fixed_size: 0
    .sgpr_count:     4
    .sgpr_spill_count: 0
    .symbol:         _ZN7rocprim17ROCPRIM_400000_NS6detail17trampoline_kernelINS0_14default_configENS1_25transform_config_selectorI14custom_numericLb0EEEZNS1_14transform_implILb0ES3_S6_PS5_N6thrust23THRUST_200600_302600_NS6detail15normal_iteratorINSA_10device_ptrIS5_EEEENS0_8identityIS5_EEEE10hipError_tT2_T3_mT4_P12ihipStream_tbEUlT_E_NS1_11comp_targetILNS1_3genE9ELNS1_11target_archE1100ELNS1_3gpuE3ELNS1_3repE0EEENS1_30default_config_static_selectorELNS0_4arch9wavefront6targetE1EEEvT1_.kd
    .uniform_work_group_size: 1
    .uses_dynamic_stack: false
    .vgpr_count:     0
    .vgpr_spill_count: 0
    .wavefront_size: 64
  - .agpr_count:     0
    .args:
      - .offset:         0
        .size:           40
        .value_kind:     by_value
    .group_segment_fixed_size: 0
    .kernarg_segment_align: 8
    .kernarg_segment_size: 40
    .language:       OpenCL C
    .language_version:
      - 2
      - 0
    .max_flat_workgroup_size: 256
    .name:           _ZN7rocprim17ROCPRIM_400000_NS6detail17trampoline_kernelINS0_14default_configENS1_25transform_config_selectorI14custom_numericLb0EEEZNS1_14transform_implILb0ES3_S6_PS5_N6thrust23THRUST_200600_302600_NS6detail15normal_iteratorINSA_10device_ptrIS5_EEEENS0_8identityIS5_EEEE10hipError_tT2_T3_mT4_P12ihipStream_tbEUlT_E_NS1_11comp_targetILNS1_3genE8ELNS1_11target_archE1030ELNS1_3gpuE2ELNS1_3repE0EEENS1_30default_config_static_selectorELNS0_4arch9wavefront6targetE1EEEvT1_
    .private_segment_fixed_size: 0
    .sgpr_count:     4
    .sgpr_spill_count: 0
    .symbol:         _ZN7rocprim17ROCPRIM_400000_NS6detail17trampoline_kernelINS0_14default_configENS1_25transform_config_selectorI14custom_numericLb0EEEZNS1_14transform_implILb0ES3_S6_PS5_N6thrust23THRUST_200600_302600_NS6detail15normal_iteratorINSA_10device_ptrIS5_EEEENS0_8identityIS5_EEEE10hipError_tT2_T3_mT4_P12ihipStream_tbEUlT_E_NS1_11comp_targetILNS1_3genE8ELNS1_11target_archE1030ELNS1_3gpuE2ELNS1_3repE0EEENS1_30default_config_static_selectorELNS0_4arch9wavefront6targetE1EEEvT1_.kd
    .uniform_work_group_size: 1
    .uses_dynamic_stack: false
    .vgpr_count:     0
    .vgpr_spill_count: 0
    .wavefront_size: 64
  - .agpr_count:     0
    .args:
      - .offset:         0
        .size:           48
        .value_kind:     by_value
    .group_segment_fixed_size: 0
    .kernarg_segment_align: 8
    .kernarg_segment_size: 48
    .language:       OpenCL C
    .language_version:
      - 2
      - 0
    .max_flat_workgroup_size: 256
    .name:           _ZN7rocprim17ROCPRIM_400000_NS6detail17trampoline_kernelINS0_13kernel_configILj256ELj4ELj4294967295EEENS1_37radix_sort_block_sort_config_selectorIcNS0_10empty_typeEEEZNS1_21radix_sort_block_sortIS4_Lb1EPcS9_PS6_SA_NS0_19identity_decomposerEEE10hipError_tT1_T2_T3_T4_jRjT5_jjP12ihipStream_tbEUlT_E_NS1_11comp_targetILNS1_3genE0ELNS1_11target_archE4294967295ELNS1_3gpuE0ELNS1_3repE0EEENS1_44radix_sort_block_sort_config_static_selectorELNS0_4arch9wavefront6targetE1EEEvSD_
    .private_segment_fixed_size: 0
    .sgpr_count:     4
    .sgpr_spill_count: 0
    .symbol:         _ZN7rocprim17ROCPRIM_400000_NS6detail17trampoline_kernelINS0_13kernel_configILj256ELj4ELj4294967295EEENS1_37radix_sort_block_sort_config_selectorIcNS0_10empty_typeEEEZNS1_21radix_sort_block_sortIS4_Lb1EPcS9_PS6_SA_NS0_19identity_decomposerEEE10hipError_tT1_T2_T3_T4_jRjT5_jjP12ihipStream_tbEUlT_E_NS1_11comp_targetILNS1_3genE0ELNS1_11target_archE4294967295ELNS1_3gpuE0ELNS1_3repE0EEENS1_44radix_sort_block_sort_config_static_selectorELNS0_4arch9wavefront6targetE1EEEvSD_.kd
    .uniform_work_group_size: 1
    .uses_dynamic_stack: false
    .vgpr_count:     0
    .vgpr_spill_count: 0
    .wavefront_size: 64
  - .agpr_count:     0
    .args:
      - .offset:         0
        .size:           48
        .value_kind:     by_value
    .group_segment_fixed_size: 0
    .kernarg_segment_align: 8
    .kernarg_segment_size: 48
    .language:       OpenCL C
    .language_version:
      - 2
      - 0
    .max_flat_workgroup_size: 256
    .name:           _ZN7rocprim17ROCPRIM_400000_NS6detail17trampoline_kernelINS0_13kernel_configILj256ELj4ELj4294967295EEENS1_37radix_sort_block_sort_config_selectorIcNS0_10empty_typeEEEZNS1_21radix_sort_block_sortIS4_Lb1EPcS9_PS6_SA_NS0_19identity_decomposerEEE10hipError_tT1_T2_T3_T4_jRjT5_jjP12ihipStream_tbEUlT_E_NS1_11comp_targetILNS1_3genE5ELNS1_11target_archE942ELNS1_3gpuE9ELNS1_3repE0EEENS1_44radix_sort_block_sort_config_static_selectorELNS0_4arch9wavefront6targetE1EEEvSD_
    .private_segment_fixed_size: 0
    .sgpr_count:     4
    .sgpr_spill_count: 0
    .symbol:         _ZN7rocprim17ROCPRIM_400000_NS6detail17trampoline_kernelINS0_13kernel_configILj256ELj4ELj4294967295EEENS1_37radix_sort_block_sort_config_selectorIcNS0_10empty_typeEEEZNS1_21radix_sort_block_sortIS4_Lb1EPcS9_PS6_SA_NS0_19identity_decomposerEEE10hipError_tT1_T2_T3_T4_jRjT5_jjP12ihipStream_tbEUlT_E_NS1_11comp_targetILNS1_3genE5ELNS1_11target_archE942ELNS1_3gpuE9ELNS1_3repE0EEENS1_44radix_sort_block_sort_config_static_selectorELNS0_4arch9wavefront6targetE1EEEvSD_.kd
    .uniform_work_group_size: 1
    .uses_dynamic_stack: false
    .vgpr_count:     0
    .vgpr_spill_count: 0
    .wavefront_size: 64
  - .agpr_count:     0
    .args:
      - .offset:         0
        .size:           48
        .value_kind:     by_value
      - .offset:         48
        .size:           4
        .value_kind:     hidden_block_count_x
      - .offset:         52
        .size:           4
        .value_kind:     hidden_block_count_y
      - .offset:         56
        .size:           4
        .value_kind:     hidden_block_count_z
      - .offset:         60
        .size:           2
        .value_kind:     hidden_group_size_x
      - .offset:         62
        .size:           2
        .value_kind:     hidden_group_size_y
      - .offset:         64
        .size:           2
        .value_kind:     hidden_group_size_z
      - .offset:         66
        .size:           2
        .value_kind:     hidden_remainder_x
      - .offset:         68
        .size:           2
        .value_kind:     hidden_remainder_y
      - .offset:         70
        .size:           2
        .value_kind:     hidden_remainder_z
      - .offset:         88
        .size:           8
        .value_kind:     hidden_global_offset_x
      - .offset:         96
        .size:           8
        .value_kind:     hidden_global_offset_y
      - .offset:         104
        .size:           8
        .value_kind:     hidden_global_offset_z
      - .offset:         112
        .size:           2
        .value_kind:     hidden_grid_dims
    .group_segment_fixed_size: 4112
    .kernarg_segment_align: 8
    .kernarg_segment_size: 304
    .language:       OpenCL C
    .language_version:
      - 2
      - 0
    .max_flat_workgroup_size: 256
    .name:           _ZN7rocprim17ROCPRIM_400000_NS6detail17trampoline_kernelINS0_13kernel_configILj256ELj4ELj4294967295EEENS1_37radix_sort_block_sort_config_selectorIcNS0_10empty_typeEEEZNS1_21radix_sort_block_sortIS4_Lb1EPcS9_PS6_SA_NS0_19identity_decomposerEEE10hipError_tT1_T2_T3_T4_jRjT5_jjP12ihipStream_tbEUlT_E_NS1_11comp_targetILNS1_3genE4ELNS1_11target_archE910ELNS1_3gpuE8ELNS1_3repE0EEENS1_44radix_sort_block_sort_config_static_selectorELNS0_4arch9wavefront6targetE1EEEvSD_
    .private_segment_fixed_size: 0
    .sgpr_count:     46
    .sgpr_spill_count: 0
    .symbol:         _ZN7rocprim17ROCPRIM_400000_NS6detail17trampoline_kernelINS0_13kernel_configILj256ELj4ELj4294967295EEENS1_37radix_sort_block_sort_config_selectorIcNS0_10empty_typeEEEZNS1_21radix_sort_block_sortIS4_Lb1EPcS9_PS6_SA_NS0_19identity_decomposerEEE10hipError_tT1_T2_T3_T4_jRjT5_jjP12ihipStream_tbEUlT_E_NS1_11comp_targetILNS1_3genE4ELNS1_11target_archE910ELNS1_3gpuE8ELNS1_3repE0EEENS1_44radix_sort_block_sort_config_static_selectorELNS0_4arch9wavefront6targetE1EEEvSD_.kd
    .uniform_work_group_size: 1
    .uses_dynamic_stack: false
    .vgpr_count:     38
    .vgpr_spill_count: 0
    .wavefront_size: 64
  - .agpr_count:     0
    .args:
      - .offset:         0
        .size:           48
        .value_kind:     by_value
    .group_segment_fixed_size: 0
    .kernarg_segment_align: 8
    .kernarg_segment_size: 48
    .language:       OpenCL C
    .language_version:
      - 2
      - 0
    .max_flat_workgroup_size: 256
    .name:           _ZN7rocprim17ROCPRIM_400000_NS6detail17trampoline_kernelINS0_13kernel_configILj256ELj4ELj4294967295EEENS1_37radix_sort_block_sort_config_selectorIcNS0_10empty_typeEEEZNS1_21radix_sort_block_sortIS4_Lb1EPcS9_PS6_SA_NS0_19identity_decomposerEEE10hipError_tT1_T2_T3_T4_jRjT5_jjP12ihipStream_tbEUlT_E_NS1_11comp_targetILNS1_3genE3ELNS1_11target_archE908ELNS1_3gpuE7ELNS1_3repE0EEENS1_44radix_sort_block_sort_config_static_selectorELNS0_4arch9wavefront6targetE1EEEvSD_
    .private_segment_fixed_size: 0
    .sgpr_count:     4
    .sgpr_spill_count: 0
    .symbol:         _ZN7rocprim17ROCPRIM_400000_NS6detail17trampoline_kernelINS0_13kernel_configILj256ELj4ELj4294967295EEENS1_37radix_sort_block_sort_config_selectorIcNS0_10empty_typeEEEZNS1_21radix_sort_block_sortIS4_Lb1EPcS9_PS6_SA_NS0_19identity_decomposerEEE10hipError_tT1_T2_T3_T4_jRjT5_jjP12ihipStream_tbEUlT_E_NS1_11comp_targetILNS1_3genE3ELNS1_11target_archE908ELNS1_3gpuE7ELNS1_3repE0EEENS1_44radix_sort_block_sort_config_static_selectorELNS0_4arch9wavefront6targetE1EEEvSD_.kd
    .uniform_work_group_size: 1
    .uses_dynamic_stack: false
    .vgpr_count:     0
    .vgpr_spill_count: 0
    .wavefront_size: 64
  - .agpr_count:     0
    .args:
      - .offset:         0
        .size:           48
        .value_kind:     by_value
    .group_segment_fixed_size: 0
    .kernarg_segment_align: 8
    .kernarg_segment_size: 48
    .language:       OpenCL C
    .language_version:
      - 2
      - 0
    .max_flat_workgroup_size: 256
    .name:           _ZN7rocprim17ROCPRIM_400000_NS6detail17trampoline_kernelINS0_13kernel_configILj256ELj4ELj4294967295EEENS1_37radix_sort_block_sort_config_selectorIcNS0_10empty_typeEEEZNS1_21radix_sort_block_sortIS4_Lb1EPcS9_PS6_SA_NS0_19identity_decomposerEEE10hipError_tT1_T2_T3_T4_jRjT5_jjP12ihipStream_tbEUlT_E_NS1_11comp_targetILNS1_3genE2ELNS1_11target_archE906ELNS1_3gpuE6ELNS1_3repE0EEENS1_44radix_sort_block_sort_config_static_selectorELNS0_4arch9wavefront6targetE1EEEvSD_
    .private_segment_fixed_size: 0
    .sgpr_count:     4
    .sgpr_spill_count: 0
    .symbol:         _ZN7rocprim17ROCPRIM_400000_NS6detail17trampoline_kernelINS0_13kernel_configILj256ELj4ELj4294967295EEENS1_37radix_sort_block_sort_config_selectorIcNS0_10empty_typeEEEZNS1_21radix_sort_block_sortIS4_Lb1EPcS9_PS6_SA_NS0_19identity_decomposerEEE10hipError_tT1_T2_T3_T4_jRjT5_jjP12ihipStream_tbEUlT_E_NS1_11comp_targetILNS1_3genE2ELNS1_11target_archE906ELNS1_3gpuE6ELNS1_3repE0EEENS1_44radix_sort_block_sort_config_static_selectorELNS0_4arch9wavefront6targetE1EEEvSD_.kd
    .uniform_work_group_size: 1
    .uses_dynamic_stack: false
    .vgpr_count:     0
    .vgpr_spill_count: 0
    .wavefront_size: 64
  - .agpr_count:     0
    .args:
      - .offset:         0
        .size:           48
        .value_kind:     by_value
    .group_segment_fixed_size: 0
    .kernarg_segment_align: 8
    .kernarg_segment_size: 48
    .language:       OpenCL C
    .language_version:
      - 2
      - 0
    .max_flat_workgroup_size: 256
    .name:           _ZN7rocprim17ROCPRIM_400000_NS6detail17trampoline_kernelINS0_13kernel_configILj256ELj4ELj4294967295EEENS1_37radix_sort_block_sort_config_selectorIcNS0_10empty_typeEEEZNS1_21radix_sort_block_sortIS4_Lb1EPcS9_PS6_SA_NS0_19identity_decomposerEEE10hipError_tT1_T2_T3_T4_jRjT5_jjP12ihipStream_tbEUlT_E_NS1_11comp_targetILNS1_3genE10ELNS1_11target_archE1201ELNS1_3gpuE5ELNS1_3repE0EEENS1_44radix_sort_block_sort_config_static_selectorELNS0_4arch9wavefront6targetE1EEEvSD_
    .private_segment_fixed_size: 0
    .sgpr_count:     4
    .sgpr_spill_count: 0
    .symbol:         _ZN7rocprim17ROCPRIM_400000_NS6detail17trampoline_kernelINS0_13kernel_configILj256ELj4ELj4294967295EEENS1_37radix_sort_block_sort_config_selectorIcNS0_10empty_typeEEEZNS1_21radix_sort_block_sortIS4_Lb1EPcS9_PS6_SA_NS0_19identity_decomposerEEE10hipError_tT1_T2_T3_T4_jRjT5_jjP12ihipStream_tbEUlT_E_NS1_11comp_targetILNS1_3genE10ELNS1_11target_archE1201ELNS1_3gpuE5ELNS1_3repE0EEENS1_44radix_sort_block_sort_config_static_selectorELNS0_4arch9wavefront6targetE1EEEvSD_.kd
    .uniform_work_group_size: 1
    .uses_dynamic_stack: false
    .vgpr_count:     0
    .vgpr_spill_count: 0
    .wavefront_size: 64
  - .agpr_count:     0
    .args:
      - .offset:         0
        .size:           48
        .value_kind:     by_value
    .group_segment_fixed_size: 0
    .kernarg_segment_align: 8
    .kernarg_segment_size: 48
    .language:       OpenCL C
    .language_version:
      - 2
      - 0
    .max_flat_workgroup_size: 256
    .name:           _ZN7rocprim17ROCPRIM_400000_NS6detail17trampoline_kernelINS0_13kernel_configILj256ELj4ELj4294967295EEENS1_37radix_sort_block_sort_config_selectorIcNS0_10empty_typeEEEZNS1_21radix_sort_block_sortIS4_Lb1EPcS9_PS6_SA_NS0_19identity_decomposerEEE10hipError_tT1_T2_T3_T4_jRjT5_jjP12ihipStream_tbEUlT_E_NS1_11comp_targetILNS1_3genE10ELNS1_11target_archE1200ELNS1_3gpuE4ELNS1_3repE0EEENS1_44radix_sort_block_sort_config_static_selectorELNS0_4arch9wavefront6targetE1EEEvSD_
    .private_segment_fixed_size: 0
    .sgpr_count:     4
    .sgpr_spill_count: 0
    .symbol:         _ZN7rocprim17ROCPRIM_400000_NS6detail17trampoline_kernelINS0_13kernel_configILj256ELj4ELj4294967295EEENS1_37radix_sort_block_sort_config_selectorIcNS0_10empty_typeEEEZNS1_21radix_sort_block_sortIS4_Lb1EPcS9_PS6_SA_NS0_19identity_decomposerEEE10hipError_tT1_T2_T3_T4_jRjT5_jjP12ihipStream_tbEUlT_E_NS1_11comp_targetILNS1_3genE10ELNS1_11target_archE1200ELNS1_3gpuE4ELNS1_3repE0EEENS1_44radix_sort_block_sort_config_static_selectorELNS0_4arch9wavefront6targetE1EEEvSD_.kd
    .uniform_work_group_size: 1
    .uses_dynamic_stack: false
    .vgpr_count:     0
    .vgpr_spill_count: 0
    .wavefront_size: 64
  - .agpr_count:     0
    .args:
      - .offset:         0
        .size:           48
        .value_kind:     by_value
    .group_segment_fixed_size: 0
    .kernarg_segment_align: 8
    .kernarg_segment_size: 48
    .language:       OpenCL C
    .language_version:
      - 2
      - 0
    .max_flat_workgroup_size: 256
    .name:           _ZN7rocprim17ROCPRIM_400000_NS6detail17trampoline_kernelINS0_13kernel_configILj256ELj4ELj4294967295EEENS1_37radix_sort_block_sort_config_selectorIcNS0_10empty_typeEEEZNS1_21radix_sort_block_sortIS4_Lb1EPcS9_PS6_SA_NS0_19identity_decomposerEEE10hipError_tT1_T2_T3_T4_jRjT5_jjP12ihipStream_tbEUlT_E_NS1_11comp_targetILNS1_3genE9ELNS1_11target_archE1100ELNS1_3gpuE3ELNS1_3repE0EEENS1_44radix_sort_block_sort_config_static_selectorELNS0_4arch9wavefront6targetE1EEEvSD_
    .private_segment_fixed_size: 0
    .sgpr_count:     4
    .sgpr_spill_count: 0
    .symbol:         _ZN7rocprim17ROCPRIM_400000_NS6detail17trampoline_kernelINS0_13kernel_configILj256ELj4ELj4294967295EEENS1_37radix_sort_block_sort_config_selectorIcNS0_10empty_typeEEEZNS1_21radix_sort_block_sortIS4_Lb1EPcS9_PS6_SA_NS0_19identity_decomposerEEE10hipError_tT1_T2_T3_T4_jRjT5_jjP12ihipStream_tbEUlT_E_NS1_11comp_targetILNS1_3genE9ELNS1_11target_archE1100ELNS1_3gpuE3ELNS1_3repE0EEENS1_44radix_sort_block_sort_config_static_selectorELNS0_4arch9wavefront6targetE1EEEvSD_.kd
    .uniform_work_group_size: 1
    .uses_dynamic_stack: false
    .vgpr_count:     0
    .vgpr_spill_count: 0
    .wavefront_size: 64
  - .agpr_count:     0
    .args:
      - .offset:         0
        .size:           48
        .value_kind:     by_value
    .group_segment_fixed_size: 0
    .kernarg_segment_align: 8
    .kernarg_segment_size: 48
    .language:       OpenCL C
    .language_version:
      - 2
      - 0
    .max_flat_workgroup_size: 256
    .name:           _ZN7rocprim17ROCPRIM_400000_NS6detail17trampoline_kernelINS0_13kernel_configILj256ELj4ELj4294967295EEENS1_37radix_sort_block_sort_config_selectorIcNS0_10empty_typeEEEZNS1_21radix_sort_block_sortIS4_Lb1EPcS9_PS6_SA_NS0_19identity_decomposerEEE10hipError_tT1_T2_T3_T4_jRjT5_jjP12ihipStream_tbEUlT_E_NS1_11comp_targetILNS1_3genE8ELNS1_11target_archE1030ELNS1_3gpuE2ELNS1_3repE0EEENS1_44radix_sort_block_sort_config_static_selectorELNS0_4arch9wavefront6targetE1EEEvSD_
    .private_segment_fixed_size: 0
    .sgpr_count:     4
    .sgpr_spill_count: 0
    .symbol:         _ZN7rocprim17ROCPRIM_400000_NS6detail17trampoline_kernelINS0_13kernel_configILj256ELj4ELj4294967295EEENS1_37radix_sort_block_sort_config_selectorIcNS0_10empty_typeEEEZNS1_21radix_sort_block_sortIS4_Lb1EPcS9_PS6_SA_NS0_19identity_decomposerEEE10hipError_tT1_T2_T3_T4_jRjT5_jjP12ihipStream_tbEUlT_E_NS1_11comp_targetILNS1_3genE8ELNS1_11target_archE1030ELNS1_3gpuE2ELNS1_3repE0EEENS1_44radix_sort_block_sort_config_static_selectorELNS0_4arch9wavefront6targetE1EEEvSD_.kd
    .uniform_work_group_size: 1
    .uses_dynamic_stack: false
    .vgpr_count:     0
    .vgpr_spill_count: 0
    .wavefront_size: 64
  - .agpr_count:     0
    .args:
      - .offset:         0
        .size:           40
        .value_kind:     by_value
    .group_segment_fixed_size: 0
    .kernarg_segment_align: 8
    .kernarg_segment_size: 40
    .language:       OpenCL C
    .language_version:
      - 2
      - 0
    .max_flat_workgroup_size: 128
    .name:           _ZN7rocprim17ROCPRIM_400000_NS6detail17trampoline_kernelINS0_14default_configENS1_38merge_sort_block_merge_config_selectorIcNS0_10empty_typeEEEZZNS1_27merge_sort_block_merge_implIS3_PcPS5_jNS1_19radix_merge_compareILb1ELb0EcNS0_19identity_decomposerEEEEE10hipError_tT0_T1_T2_jT3_P12ihipStream_tbPNSt15iterator_traitsISE_E10value_typeEPNSK_ISF_E10value_typeEPSG_NS1_7vsmem_tEENKUlT_SE_SF_SG_E_clIS8_S8_S9_S9_EESD_ST_SE_SF_SG_EUlST_E_NS1_11comp_targetILNS1_3genE0ELNS1_11target_archE4294967295ELNS1_3gpuE0ELNS1_3repE0EEENS1_48merge_mergepath_partition_config_static_selectorELNS0_4arch9wavefront6targetE1EEEvSF_
    .private_segment_fixed_size: 0
    .sgpr_count:     4
    .sgpr_spill_count: 0
    .symbol:         _ZN7rocprim17ROCPRIM_400000_NS6detail17trampoline_kernelINS0_14default_configENS1_38merge_sort_block_merge_config_selectorIcNS0_10empty_typeEEEZZNS1_27merge_sort_block_merge_implIS3_PcPS5_jNS1_19radix_merge_compareILb1ELb0EcNS0_19identity_decomposerEEEEE10hipError_tT0_T1_T2_jT3_P12ihipStream_tbPNSt15iterator_traitsISE_E10value_typeEPNSK_ISF_E10value_typeEPSG_NS1_7vsmem_tEENKUlT_SE_SF_SG_E_clIS8_S8_S9_S9_EESD_ST_SE_SF_SG_EUlST_E_NS1_11comp_targetILNS1_3genE0ELNS1_11target_archE4294967295ELNS1_3gpuE0ELNS1_3repE0EEENS1_48merge_mergepath_partition_config_static_selectorELNS0_4arch9wavefront6targetE1EEEvSF_.kd
    .uniform_work_group_size: 1
    .uses_dynamic_stack: false
    .vgpr_count:     0
    .vgpr_spill_count: 0
    .wavefront_size: 64
  - .agpr_count:     0
    .args:
      - .offset:         0
        .size:           40
        .value_kind:     by_value
    .group_segment_fixed_size: 0
    .kernarg_segment_align: 8
    .kernarg_segment_size: 40
    .language:       OpenCL C
    .language_version:
      - 2
      - 0
    .max_flat_workgroup_size: 128
    .name:           _ZN7rocprim17ROCPRIM_400000_NS6detail17trampoline_kernelINS0_14default_configENS1_38merge_sort_block_merge_config_selectorIcNS0_10empty_typeEEEZZNS1_27merge_sort_block_merge_implIS3_PcPS5_jNS1_19radix_merge_compareILb1ELb0EcNS0_19identity_decomposerEEEEE10hipError_tT0_T1_T2_jT3_P12ihipStream_tbPNSt15iterator_traitsISE_E10value_typeEPNSK_ISF_E10value_typeEPSG_NS1_7vsmem_tEENKUlT_SE_SF_SG_E_clIS8_S8_S9_S9_EESD_ST_SE_SF_SG_EUlST_E_NS1_11comp_targetILNS1_3genE10ELNS1_11target_archE1201ELNS1_3gpuE5ELNS1_3repE0EEENS1_48merge_mergepath_partition_config_static_selectorELNS0_4arch9wavefront6targetE1EEEvSF_
    .private_segment_fixed_size: 0
    .sgpr_count:     4
    .sgpr_spill_count: 0
    .symbol:         _ZN7rocprim17ROCPRIM_400000_NS6detail17trampoline_kernelINS0_14default_configENS1_38merge_sort_block_merge_config_selectorIcNS0_10empty_typeEEEZZNS1_27merge_sort_block_merge_implIS3_PcPS5_jNS1_19radix_merge_compareILb1ELb0EcNS0_19identity_decomposerEEEEE10hipError_tT0_T1_T2_jT3_P12ihipStream_tbPNSt15iterator_traitsISE_E10value_typeEPNSK_ISF_E10value_typeEPSG_NS1_7vsmem_tEENKUlT_SE_SF_SG_E_clIS8_S8_S9_S9_EESD_ST_SE_SF_SG_EUlST_E_NS1_11comp_targetILNS1_3genE10ELNS1_11target_archE1201ELNS1_3gpuE5ELNS1_3repE0EEENS1_48merge_mergepath_partition_config_static_selectorELNS0_4arch9wavefront6targetE1EEEvSF_.kd
    .uniform_work_group_size: 1
    .uses_dynamic_stack: false
    .vgpr_count:     0
    .vgpr_spill_count: 0
    .wavefront_size: 64
  - .agpr_count:     0
    .args:
      - .offset:         0
        .size:           40
        .value_kind:     by_value
    .group_segment_fixed_size: 0
    .kernarg_segment_align: 8
    .kernarg_segment_size: 40
    .language:       OpenCL C
    .language_version:
      - 2
      - 0
    .max_flat_workgroup_size: 128
    .name:           _ZN7rocprim17ROCPRIM_400000_NS6detail17trampoline_kernelINS0_14default_configENS1_38merge_sort_block_merge_config_selectorIcNS0_10empty_typeEEEZZNS1_27merge_sort_block_merge_implIS3_PcPS5_jNS1_19radix_merge_compareILb1ELb0EcNS0_19identity_decomposerEEEEE10hipError_tT0_T1_T2_jT3_P12ihipStream_tbPNSt15iterator_traitsISE_E10value_typeEPNSK_ISF_E10value_typeEPSG_NS1_7vsmem_tEENKUlT_SE_SF_SG_E_clIS8_S8_S9_S9_EESD_ST_SE_SF_SG_EUlST_E_NS1_11comp_targetILNS1_3genE5ELNS1_11target_archE942ELNS1_3gpuE9ELNS1_3repE0EEENS1_48merge_mergepath_partition_config_static_selectorELNS0_4arch9wavefront6targetE1EEEvSF_
    .private_segment_fixed_size: 0
    .sgpr_count:     4
    .sgpr_spill_count: 0
    .symbol:         _ZN7rocprim17ROCPRIM_400000_NS6detail17trampoline_kernelINS0_14default_configENS1_38merge_sort_block_merge_config_selectorIcNS0_10empty_typeEEEZZNS1_27merge_sort_block_merge_implIS3_PcPS5_jNS1_19radix_merge_compareILb1ELb0EcNS0_19identity_decomposerEEEEE10hipError_tT0_T1_T2_jT3_P12ihipStream_tbPNSt15iterator_traitsISE_E10value_typeEPNSK_ISF_E10value_typeEPSG_NS1_7vsmem_tEENKUlT_SE_SF_SG_E_clIS8_S8_S9_S9_EESD_ST_SE_SF_SG_EUlST_E_NS1_11comp_targetILNS1_3genE5ELNS1_11target_archE942ELNS1_3gpuE9ELNS1_3repE0EEENS1_48merge_mergepath_partition_config_static_selectorELNS0_4arch9wavefront6targetE1EEEvSF_.kd
    .uniform_work_group_size: 1
    .uses_dynamic_stack: false
    .vgpr_count:     0
    .vgpr_spill_count: 0
    .wavefront_size: 64
  - .agpr_count:     0
    .args:
      - .offset:         0
        .size:           40
        .value_kind:     by_value
    .group_segment_fixed_size: 0
    .kernarg_segment_align: 8
    .kernarg_segment_size: 40
    .language:       OpenCL C
    .language_version:
      - 2
      - 0
    .max_flat_workgroup_size: 128
    .name:           _ZN7rocprim17ROCPRIM_400000_NS6detail17trampoline_kernelINS0_14default_configENS1_38merge_sort_block_merge_config_selectorIcNS0_10empty_typeEEEZZNS1_27merge_sort_block_merge_implIS3_PcPS5_jNS1_19radix_merge_compareILb1ELb0EcNS0_19identity_decomposerEEEEE10hipError_tT0_T1_T2_jT3_P12ihipStream_tbPNSt15iterator_traitsISE_E10value_typeEPNSK_ISF_E10value_typeEPSG_NS1_7vsmem_tEENKUlT_SE_SF_SG_E_clIS8_S8_S9_S9_EESD_ST_SE_SF_SG_EUlST_E_NS1_11comp_targetILNS1_3genE4ELNS1_11target_archE910ELNS1_3gpuE8ELNS1_3repE0EEENS1_48merge_mergepath_partition_config_static_selectorELNS0_4arch9wavefront6targetE1EEEvSF_
    .private_segment_fixed_size: 0
    .sgpr_count:     12
    .sgpr_spill_count: 0
    .symbol:         _ZN7rocprim17ROCPRIM_400000_NS6detail17trampoline_kernelINS0_14default_configENS1_38merge_sort_block_merge_config_selectorIcNS0_10empty_typeEEEZZNS1_27merge_sort_block_merge_implIS3_PcPS5_jNS1_19radix_merge_compareILb1ELb0EcNS0_19identity_decomposerEEEEE10hipError_tT0_T1_T2_jT3_P12ihipStream_tbPNSt15iterator_traitsISE_E10value_typeEPNSK_ISF_E10value_typeEPSG_NS1_7vsmem_tEENKUlT_SE_SF_SG_E_clIS8_S8_S9_S9_EESD_ST_SE_SF_SG_EUlST_E_NS1_11comp_targetILNS1_3genE4ELNS1_11target_archE910ELNS1_3gpuE8ELNS1_3repE0EEENS1_48merge_mergepath_partition_config_static_selectorELNS0_4arch9wavefront6targetE1EEEvSF_.kd
    .uniform_work_group_size: 1
    .uses_dynamic_stack: false
    .vgpr_count:     16
    .vgpr_spill_count: 0
    .wavefront_size: 64
  - .agpr_count:     0
    .args:
      - .offset:         0
        .size:           40
        .value_kind:     by_value
    .group_segment_fixed_size: 0
    .kernarg_segment_align: 8
    .kernarg_segment_size: 40
    .language:       OpenCL C
    .language_version:
      - 2
      - 0
    .max_flat_workgroup_size: 128
    .name:           _ZN7rocprim17ROCPRIM_400000_NS6detail17trampoline_kernelINS0_14default_configENS1_38merge_sort_block_merge_config_selectorIcNS0_10empty_typeEEEZZNS1_27merge_sort_block_merge_implIS3_PcPS5_jNS1_19radix_merge_compareILb1ELb0EcNS0_19identity_decomposerEEEEE10hipError_tT0_T1_T2_jT3_P12ihipStream_tbPNSt15iterator_traitsISE_E10value_typeEPNSK_ISF_E10value_typeEPSG_NS1_7vsmem_tEENKUlT_SE_SF_SG_E_clIS8_S8_S9_S9_EESD_ST_SE_SF_SG_EUlST_E_NS1_11comp_targetILNS1_3genE3ELNS1_11target_archE908ELNS1_3gpuE7ELNS1_3repE0EEENS1_48merge_mergepath_partition_config_static_selectorELNS0_4arch9wavefront6targetE1EEEvSF_
    .private_segment_fixed_size: 0
    .sgpr_count:     4
    .sgpr_spill_count: 0
    .symbol:         _ZN7rocprim17ROCPRIM_400000_NS6detail17trampoline_kernelINS0_14default_configENS1_38merge_sort_block_merge_config_selectorIcNS0_10empty_typeEEEZZNS1_27merge_sort_block_merge_implIS3_PcPS5_jNS1_19radix_merge_compareILb1ELb0EcNS0_19identity_decomposerEEEEE10hipError_tT0_T1_T2_jT3_P12ihipStream_tbPNSt15iterator_traitsISE_E10value_typeEPNSK_ISF_E10value_typeEPSG_NS1_7vsmem_tEENKUlT_SE_SF_SG_E_clIS8_S8_S9_S9_EESD_ST_SE_SF_SG_EUlST_E_NS1_11comp_targetILNS1_3genE3ELNS1_11target_archE908ELNS1_3gpuE7ELNS1_3repE0EEENS1_48merge_mergepath_partition_config_static_selectorELNS0_4arch9wavefront6targetE1EEEvSF_.kd
    .uniform_work_group_size: 1
    .uses_dynamic_stack: false
    .vgpr_count:     0
    .vgpr_spill_count: 0
    .wavefront_size: 64
  - .agpr_count:     0
    .args:
      - .offset:         0
        .size:           40
        .value_kind:     by_value
    .group_segment_fixed_size: 0
    .kernarg_segment_align: 8
    .kernarg_segment_size: 40
    .language:       OpenCL C
    .language_version:
      - 2
      - 0
    .max_flat_workgroup_size: 128
    .name:           _ZN7rocprim17ROCPRIM_400000_NS6detail17trampoline_kernelINS0_14default_configENS1_38merge_sort_block_merge_config_selectorIcNS0_10empty_typeEEEZZNS1_27merge_sort_block_merge_implIS3_PcPS5_jNS1_19radix_merge_compareILb1ELb0EcNS0_19identity_decomposerEEEEE10hipError_tT0_T1_T2_jT3_P12ihipStream_tbPNSt15iterator_traitsISE_E10value_typeEPNSK_ISF_E10value_typeEPSG_NS1_7vsmem_tEENKUlT_SE_SF_SG_E_clIS8_S8_S9_S9_EESD_ST_SE_SF_SG_EUlST_E_NS1_11comp_targetILNS1_3genE2ELNS1_11target_archE906ELNS1_3gpuE6ELNS1_3repE0EEENS1_48merge_mergepath_partition_config_static_selectorELNS0_4arch9wavefront6targetE1EEEvSF_
    .private_segment_fixed_size: 0
    .sgpr_count:     4
    .sgpr_spill_count: 0
    .symbol:         _ZN7rocprim17ROCPRIM_400000_NS6detail17trampoline_kernelINS0_14default_configENS1_38merge_sort_block_merge_config_selectorIcNS0_10empty_typeEEEZZNS1_27merge_sort_block_merge_implIS3_PcPS5_jNS1_19radix_merge_compareILb1ELb0EcNS0_19identity_decomposerEEEEE10hipError_tT0_T1_T2_jT3_P12ihipStream_tbPNSt15iterator_traitsISE_E10value_typeEPNSK_ISF_E10value_typeEPSG_NS1_7vsmem_tEENKUlT_SE_SF_SG_E_clIS8_S8_S9_S9_EESD_ST_SE_SF_SG_EUlST_E_NS1_11comp_targetILNS1_3genE2ELNS1_11target_archE906ELNS1_3gpuE6ELNS1_3repE0EEENS1_48merge_mergepath_partition_config_static_selectorELNS0_4arch9wavefront6targetE1EEEvSF_.kd
    .uniform_work_group_size: 1
    .uses_dynamic_stack: false
    .vgpr_count:     0
    .vgpr_spill_count: 0
    .wavefront_size: 64
  - .agpr_count:     0
    .args:
      - .offset:         0
        .size:           40
        .value_kind:     by_value
    .group_segment_fixed_size: 0
    .kernarg_segment_align: 8
    .kernarg_segment_size: 40
    .language:       OpenCL C
    .language_version:
      - 2
      - 0
    .max_flat_workgroup_size: 128
    .name:           _ZN7rocprim17ROCPRIM_400000_NS6detail17trampoline_kernelINS0_14default_configENS1_38merge_sort_block_merge_config_selectorIcNS0_10empty_typeEEEZZNS1_27merge_sort_block_merge_implIS3_PcPS5_jNS1_19radix_merge_compareILb1ELb0EcNS0_19identity_decomposerEEEEE10hipError_tT0_T1_T2_jT3_P12ihipStream_tbPNSt15iterator_traitsISE_E10value_typeEPNSK_ISF_E10value_typeEPSG_NS1_7vsmem_tEENKUlT_SE_SF_SG_E_clIS8_S8_S9_S9_EESD_ST_SE_SF_SG_EUlST_E_NS1_11comp_targetILNS1_3genE9ELNS1_11target_archE1100ELNS1_3gpuE3ELNS1_3repE0EEENS1_48merge_mergepath_partition_config_static_selectorELNS0_4arch9wavefront6targetE1EEEvSF_
    .private_segment_fixed_size: 0
    .sgpr_count:     4
    .sgpr_spill_count: 0
    .symbol:         _ZN7rocprim17ROCPRIM_400000_NS6detail17trampoline_kernelINS0_14default_configENS1_38merge_sort_block_merge_config_selectorIcNS0_10empty_typeEEEZZNS1_27merge_sort_block_merge_implIS3_PcPS5_jNS1_19radix_merge_compareILb1ELb0EcNS0_19identity_decomposerEEEEE10hipError_tT0_T1_T2_jT3_P12ihipStream_tbPNSt15iterator_traitsISE_E10value_typeEPNSK_ISF_E10value_typeEPSG_NS1_7vsmem_tEENKUlT_SE_SF_SG_E_clIS8_S8_S9_S9_EESD_ST_SE_SF_SG_EUlST_E_NS1_11comp_targetILNS1_3genE9ELNS1_11target_archE1100ELNS1_3gpuE3ELNS1_3repE0EEENS1_48merge_mergepath_partition_config_static_selectorELNS0_4arch9wavefront6targetE1EEEvSF_.kd
    .uniform_work_group_size: 1
    .uses_dynamic_stack: false
    .vgpr_count:     0
    .vgpr_spill_count: 0
    .wavefront_size: 64
  - .agpr_count:     0
    .args:
      - .offset:         0
        .size:           40
        .value_kind:     by_value
    .group_segment_fixed_size: 0
    .kernarg_segment_align: 8
    .kernarg_segment_size: 40
    .language:       OpenCL C
    .language_version:
      - 2
      - 0
    .max_flat_workgroup_size: 128
    .name:           _ZN7rocprim17ROCPRIM_400000_NS6detail17trampoline_kernelINS0_14default_configENS1_38merge_sort_block_merge_config_selectorIcNS0_10empty_typeEEEZZNS1_27merge_sort_block_merge_implIS3_PcPS5_jNS1_19radix_merge_compareILb1ELb0EcNS0_19identity_decomposerEEEEE10hipError_tT0_T1_T2_jT3_P12ihipStream_tbPNSt15iterator_traitsISE_E10value_typeEPNSK_ISF_E10value_typeEPSG_NS1_7vsmem_tEENKUlT_SE_SF_SG_E_clIS8_S8_S9_S9_EESD_ST_SE_SF_SG_EUlST_E_NS1_11comp_targetILNS1_3genE8ELNS1_11target_archE1030ELNS1_3gpuE2ELNS1_3repE0EEENS1_48merge_mergepath_partition_config_static_selectorELNS0_4arch9wavefront6targetE1EEEvSF_
    .private_segment_fixed_size: 0
    .sgpr_count:     4
    .sgpr_spill_count: 0
    .symbol:         _ZN7rocprim17ROCPRIM_400000_NS6detail17trampoline_kernelINS0_14default_configENS1_38merge_sort_block_merge_config_selectorIcNS0_10empty_typeEEEZZNS1_27merge_sort_block_merge_implIS3_PcPS5_jNS1_19radix_merge_compareILb1ELb0EcNS0_19identity_decomposerEEEEE10hipError_tT0_T1_T2_jT3_P12ihipStream_tbPNSt15iterator_traitsISE_E10value_typeEPNSK_ISF_E10value_typeEPSG_NS1_7vsmem_tEENKUlT_SE_SF_SG_E_clIS8_S8_S9_S9_EESD_ST_SE_SF_SG_EUlST_E_NS1_11comp_targetILNS1_3genE8ELNS1_11target_archE1030ELNS1_3gpuE2ELNS1_3repE0EEENS1_48merge_mergepath_partition_config_static_selectorELNS0_4arch9wavefront6targetE1EEEvSF_.kd
    .uniform_work_group_size: 1
    .uses_dynamic_stack: false
    .vgpr_count:     0
    .vgpr_spill_count: 0
    .wavefront_size: 64
  - .agpr_count:     0
    .args:
      - .offset:         0
        .size:           64
        .value_kind:     by_value
    .group_segment_fixed_size: 0
    .kernarg_segment_align: 8
    .kernarg_segment_size: 64
    .language:       OpenCL C
    .language_version:
      - 2
      - 0
    .max_flat_workgroup_size: 128
    .name:           _ZN7rocprim17ROCPRIM_400000_NS6detail17trampoline_kernelINS0_14default_configENS1_38merge_sort_block_merge_config_selectorIcNS0_10empty_typeEEEZZNS1_27merge_sort_block_merge_implIS3_PcPS5_jNS1_19radix_merge_compareILb1ELb0EcNS0_19identity_decomposerEEEEE10hipError_tT0_T1_T2_jT3_P12ihipStream_tbPNSt15iterator_traitsISE_E10value_typeEPNSK_ISF_E10value_typeEPSG_NS1_7vsmem_tEENKUlT_SE_SF_SG_E_clIS8_S8_S9_S9_EESD_ST_SE_SF_SG_EUlST_E0_NS1_11comp_targetILNS1_3genE0ELNS1_11target_archE4294967295ELNS1_3gpuE0ELNS1_3repE0EEENS1_38merge_mergepath_config_static_selectorELNS0_4arch9wavefront6targetE1EEEvSF_
    .private_segment_fixed_size: 0
    .sgpr_count:     4
    .sgpr_spill_count: 0
    .symbol:         _ZN7rocprim17ROCPRIM_400000_NS6detail17trampoline_kernelINS0_14default_configENS1_38merge_sort_block_merge_config_selectorIcNS0_10empty_typeEEEZZNS1_27merge_sort_block_merge_implIS3_PcPS5_jNS1_19radix_merge_compareILb1ELb0EcNS0_19identity_decomposerEEEEE10hipError_tT0_T1_T2_jT3_P12ihipStream_tbPNSt15iterator_traitsISE_E10value_typeEPNSK_ISF_E10value_typeEPSG_NS1_7vsmem_tEENKUlT_SE_SF_SG_E_clIS8_S8_S9_S9_EESD_ST_SE_SF_SG_EUlST_E0_NS1_11comp_targetILNS1_3genE0ELNS1_11target_archE4294967295ELNS1_3gpuE0ELNS1_3repE0EEENS1_38merge_mergepath_config_static_selectorELNS0_4arch9wavefront6targetE1EEEvSF_.kd
    .uniform_work_group_size: 1
    .uses_dynamic_stack: false
    .vgpr_count:     0
    .vgpr_spill_count: 0
    .wavefront_size: 64
  - .agpr_count:     0
    .args:
      - .offset:         0
        .size:           64
        .value_kind:     by_value
    .group_segment_fixed_size: 0
    .kernarg_segment_align: 8
    .kernarg_segment_size: 64
    .language:       OpenCL C
    .language_version:
      - 2
      - 0
    .max_flat_workgroup_size: 128
    .name:           _ZN7rocprim17ROCPRIM_400000_NS6detail17trampoline_kernelINS0_14default_configENS1_38merge_sort_block_merge_config_selectorIcNS0_10empty_typeEEEZZNS1_27merge_sort_block_merge_implIS3_PcPS5_jNS1_19radix_merge_compareILb1ELb0EcNS0_19identity_decomposerEEEEE10hipError_tT0_T1_T2_jT3_P12ihipStream_tbPNSt15iterator_traitsISE_E10value_typeEPNSK_ISF_E10value_typeEPSG_NS1_7vsmem_tEENKUlT_SE_SF_SG_E_clIS8_S8_S9_S9_EESD_ST_SE_SF_SG_EUlST_E0_NS1_11comp_targetILNS1_3genE10ELNS1_11target_archE1201ELNS1_3gpuE5ELNS1_3repE0EEENS1_38merge_mergepath_config_static_selectorELNS0_4arch9wavefront6targetE1EEEvSF_
    .private_segment_fixed_size: 0
    .sgpr_count:     4
    .sgpr_spill_count: 0
    .symbol:         _ZN7rocprim17ROCPRIM_400000_NS6detail17trampoline_kernelINS0_14default_configENS1_38merge_sort_block_merge_config_selectorIcNS0_10empty_typeEEEZZNS1_27merge_sort_block_merge_implIS3_PcPS5_jNS1_19radix_merge_compareILb1ELb0EcNS0_19identity_decomposerEEEEE10hipError_tT0_T1_T2_jT3_P12ihipStream_tbPNSt15iterator_traitsISE_E10value_typeEPNSK_ISF_E10value_typeEPSG_NS1_7vsmem_tEENKUlT_SE_SF_SG_E_clIS8_S8_S9_S9_EESD_ST_SE_SF_SG_EUlST_E0_NS1_11comp_targetILNS1_3genE10ELNS1_11target_archE1201ELNS1_3gpuE5ELNS1_3repE0EEENS1_38merge_mergepath_config_static_selectorELNS0_4arch9wavefront6targetE1EEEvSF_.kd
    .uniform_work_group_size: 1
    .uses_dynamic_stack: false
    .vgpr_count:     0
    .vgpr_spill_count: 0
    .wavefront_size: 64
  - .agpr_count:     0
    .args:
      - .offset:         0
        .size:           64
        .value_kind:     by_value
    .group_segment_fixed_size: 0
    .kernarg_segment_align: 8
    .kernarg_segment_size: 64
    .language:       OpenCL C
    .language_version:
      - 2
      - 0
    .max_flat_workgroup_size: 128
    .name:           _ZN7rocprim17ROCPRIM_400000_NS6detail17trampoline_kernelINS0_14default_configENS1_38merge_sort_block_merge_config_selectorIcNS0_10empty_typeEEEZZNS1_27merge_sort_block_merge_implIS3_PcPS5_jNS1_19radix_merge_compareILb1ELb0EcNS0_19identity_decomposerEEEEE10hipError_tT0_T1_T2_jT3_P12ihipStream_tbPNSt15iterator_traitsISE_E10value_typeEPNSK_ISF_E10value_typeEPSG_NS1_7vsmem_tEENKUlT_SE_SF_SG_E_clIS8_S8_S9_S9_EESD_ST_SE_SF_SG_EUlST_E0_NS1_11comp_targetILNS1_3genE5ELNS1_11target_archE942ELNS1_3gpuE9ELNS1_3repE0EEENS1_38merge_mergepath_config_static_selectorELNS0_4arch9wavefront6targetE1EEEvSF_
    .private_segment_fixed_size: 0
    .sgpr_count:     4
    .sgpr_spill_count: 0
    .symbol:         _ZN7rocprim17ROCPRIM_400000_NS6detail17trampoline_kernelINS0_14default_configENS1_38merge_sort_block_merge_config_selectorIcNS0_10empty_typeEEEZZNS1_27merge_sort_block_merge_implIS3_PcPS5_jNS1_19radix_merge_compareILb1ELb0EcNS0_19identity_decomposerEEEEE10hipError_tT0_T1_T2_jT3_P12ihipStream_tbPNSt15iterator_traitsISE_E10value_typeEPNSK_ISF_E10value_typeEPSG_NS1_7vsmem_tEENKUlT_SE_SF_SG_E_clIS8_S8_S9_S9_EESD_ST_SE_SF_SG_EUlST_E0_NS1_11comp_targetILNS1_3genE5ELNS1_11target_archE942ELNS1_3gpuE9ELNS1_3repE0EEENS1_38merge_mergepath_config_static_selectorELNS0_4arch9wavefront6targetE1EEEvSF_.kd
    .uniform_work_group_size: 1
    .uses_dynamic_stack: false
    .vgpr_count:     0
    .vgpr_spill_count: 0
    .wavefront_size: 64
  - .agpr_count:     0
    .args:
      - .offset:         0
        .size:           64
        .value_kind:     by_value
      - .offset:         64
        .size:           4
        .value_kind:     hidden_block_count_x
      - .offset:         68
        .size:           4
        .value_kind:     hidden_block_count_y
      - .offset:         72
        .size:           4
        .value_kind:     hidden_block_count_z
      - .offset:         76
        .size:           2
        .value_kind:     hidden_group_size_x
      - .offset:         78
        .size:           2
        .value_kind:     hidden_group_size_y
      - .offset:         80
        .size:           2
        .value_kind:     hidden_group_size_z
      - .offset:         82
        .size:           2
        .value_kind:     hidden_remainder_x
      - .offset:         84
        .size:           2
        .value_kind:     hidden_remainder_y
      - .offset:         86
        .size:           2
        .value_kind:     hidden_remainder_z
      - .offset:         104
        .size:           8
        .value_kind:     hidden_global_offset_x
      - .offset:         112
        .size:           8
        .value_kind:     hidden_global_offset_y
      - .offset:         120
        .size:           8
        .value_kind:     hidden_global_offset_z
      - .offset:         128
        .size:           2
        .value_kind:     hidden_grid_dims
    .group_segment_fixed_size: 1056
    .kernarg_segment_align: 8
    .kernarg_segment_size: 320
    .language:       OpenCL C
    .language_version:
      - 2
      - 0
    .max_flat_workgroup_size: 128
    .name:           _ZN7rocprim17ROCPRIM_400000_NS6detail17trampoline_kernelINS0_14default_configENS1_38merge_sort_block_merge_config_selectorIcNS0_10empty_typeEEEZZNS1_27merge_sort_block_merge_implIS3_PcPS5_jNS1_19radix_merge_compareILb1ELb0EcNS0_19identity_decomposerEEEEE10hipError_tT0_T1_T2_jT3_P12ihipStream_tbPNSt15iterator_traitsISE_E10value_typeEPNSK_ISF_E10value_typeEPSG_NS1_7vsmem_tEENKUlT_SE_SF_SG_E_clIS8_S8_S9_S9_EESD_ST_SE_SF_SG_EUlST_E0_NS1_11comp_targetILNS1_3genE4ELNS1_11target_archE910ELNS1_3gpuE8ELNS1_3repE0EEENS1_38merge_mergepath_config_static_selectorELNS0_4arch9wavefront6targetE1EEEvSF_
    .private_segment_fixed_size: 0
    .sgpr_count:     28
    .sgpr_spill_count: 0
    .symbol:         _ZN7rocprim17ROCPRIM_400000_NS6detail17trampoline_kernelINS0_14default_configENS1_38merge_sort_block_merge_config_selectorIcNS0_10empty_typeEEEZZNS1_27merge_sort_block_merge_implIS3_PcPS5_jNS1_19radix_merge_compareILb1ELb0EcNS0_19identity_decomposerEEEEE10hipError_tT0_T1_T2_jT3_P12ihipStream_tbPNSt15iterator_traitsISE_E10value_typeEPNSK_ISF_E10value_typeEPSG_NS1_7vsmem_tEENKUlT_SE_SF_SG_E_clIS8_S8_S9_S9_EESD_ST_SE_SF_SG_EUlST_E0_NS1_11comp_targetILNS1_3genE4ELNS1_11target_archE910ELNS1_3gpuE8ELNS1_3repE0EEENS1_38merge_mergepath_config_static_selectorELNS0_4arch9wavefront6targetE1EEEvSF_.kd
    .uniform_work_group_size: 1
    .uses_dynamic_stack: false
    .vgpr_count:     28
    .vgpr_spill_count: 0
    .wavefront_size: 64
  - .agpr_count:     0
    .args:
      - .offset:         0
        .size:           64
        .value_kind:     by_value
    .group_segment_fixed_size: 0
    .kernarg_segment_align: 8
    .kernarg_segment_size: 64
    .language:       OpenCL C
    .language_version:
      - 2
      - 0
    .max_flat_workgroup_size: 128
    .name:           _ZN7rocprim17ROCPRIM_400000_NS6detail17trampoline_kernelINS0_14default_configENS1_38merge_sort_block_merge_config_selectorIcNS0_10empty_typeEEEZZNS1_27merge_sort_block_merge_implIS3_PcPS5_jNS1_19radix_merge_compareILb1ELb0EcNS0_19identity_decomposerEEEEE10hipError_tT0_T1_T2_jT3_P12ihipStream_tbPNSt15iterator_traitsISE_E10value_typeEPNSK_ISF_E10value_typeEPSG_NS1_7vsmem_tEENKUlT_SE_SF_SG_E_clIS8_S8_S9_S9_EESD_ST_SE_SF_SG_EUlST_E0_NS1_11comp_targetILNS1_3genE3ELNS1_11target_archE908ELNS1_3gpuE7ELNS1_3repE0EEENS1_38merge_mergepath_config_static_selectorELNS0_4arch9wavefront6targetE1EEEvSF_
    .private_segment_fixed_size: 0
    .sgpr_count:     4
    .sgpr_spill_count: 0
    .symbol:         _ZN7rocprim17ROCPRIM_400000_NS6detail17trampoline_kernelINS0_14default_configENS1_38merge_sort_block_merge_config_selectorIcNS0_10empty_typeEEEZZNS1_27merge_sort_block_merge_implIS3_PcPS5_jNS1_19radix_merge_compareILb1ELb0EcNS0_19identity_decomposerEEEEE10hipError_tT0_T1_T2_jT3_P12ihipStream_tbPNSt15iterator_traitsISE_E10value_typeEPNSK_ISF_E10value_typeEPSG_NS1_7vsmem_tEENKUlT_SE_SF_SG_E_clIS8_S8_S9_S9_EESD_ST_SE_SF_SG_EUlST_E0_NS1_11comp_targetILNS1_3genE3ELNS1_11target_archE908ELNS1_3gpuE7ELNS1_3repE0EEENS1_38merge_mergepath_config_static_selectorELNS0_4arch9wavefront6targetE1EEEvSF_.kd
    .uniform_work_group_size: 1
    .uses_dynamic_stack: false
    .vgpr_count:     0
    .vgpr_spill_count: 0
    .wavefront_size: 64
  - .agpr_count:     0
    .args:
      - .offset:         0
        .size:           64
        .value_kind:     by_value
    .group_segment_fixed_size: 0
    .kernarg_segment_align: 8
    .kernarg_segment_size: 64
    .language:       OpenCL C
    .language_version:
      - 2
      - 0
    .max_flat_workgroup_size: 128
    .name:           _ZN7rocprim17ROCPRIM_400000_NS6detail17trampoline_kernelINS0_14default_configENS1_38merge_sort_block_merge_config_selectorIcNS0_10empty_typeEEEZZNS1_27merge_sort_block_merge_implIS3_PcPS5_jNS1_19radix_merge_compareILb1ELb0EcNS0_19identity_decomposerEEEEE10hipError_tT0_T1_T2_jT3_P12ihipStream_tbPNSt15iterator_traitsISE_E10value_typeEPNSK_ISF_E10value_typeEPSG_NS1_7vsmem_tEENKUlT_SE_SF_SG_E_clIS8_S8_S9_S9_EESD_ST_SE_SF_SG_EUlST_E0_NS1_11comp_targetILNS1_3genE2ELNS1_11target_archE906ELNS1_3gpuE6ELNS1_3repE0EEENS1_38merge_mergepath_config_static_selectorELNS0_4arch9wavefront6targetE1EEEvSF_
    .private_segment_fixed_size: 0
    .sgpr_count:     4
    .sgpr_spill_count: 0
    .symbol:         _ZN7rocprim17ROCPRIM_400000_NS6detail17trampoline_kernelINS0_14default_configENS1_38merge_sort_block_merge_config_selectorIcNS0_10empty_typeEEEZZNS1_27merge_sort_block_merge_implIS3_PcPS5_jNS1_19radix_merge_compareILb1ELb0EcNS0_19identity_decomposerEEEEE10hipError_tT0_T1_T2_jT3_P12ihipStream_tbPNSt15iterator_traitsISE_E10value_typeEPNSK_ISF_E10value_typeEPSG_NS1_7vsmem_tEENKUlT_SE_SF_SG_E_clIS8_S8_S9_S9_EESD_ST_SE_SF_SG_EUlST_E0_NS1_11comp_targetILNS1_3genE2ELNS1_11target_archE906ELNS1_3gpuE6ELNS1_3repE0EEENS1_38merge_mergepath_config_static_selectorELNS0_4arch9wavefront6targetE1EEEvSF_.kd
    .uniform_work_group_size: 1
    .uses_dynamic_stack: false
    .vgpr_count:     0
    .vgpr_spill_count: 0
    .wavefront_size: 64
  - .agpr_count:     0
    .args:
      - .offset:         0
        .size:           64
        .value_kind:     by_value
    .group_segment_fixed_size: 0
    .kernarg_segment_align: 8
    .kernarg_segment_size: 64
    .language:       OpenCL C
    .language_version:
      - 2
      - 0
    .max_flat_workgroup_size: 128
    .name:           _ZN7rocprim17ROCPRIM_400000_NS6detail17trampoline_kernelINS0_14default_configENS1_38merge_sort_block_merge_config_selectorIcNS0_10empty_typeEEEZZNS1_27merge_sort_block_merge_implIS3_PcPS5_jNS1_19radix_merge_compareILb1ELb0EcNS0_19identity_decomposerEEEEE10hipError_tT0_T1_T2_jT3_P12ihipStream_tbPNSt15iterator_traitsISE_E10value_typeEPNSK_ISF_E10value_typeEPSG_NS1_7vsmem_tEENKUlT_SE_SF_SG_E_clIS8_S8_S9_S9_EESD_ST_SE_SF_SG_EUlST_E0_NS1_11comp_targetILNS1_3genE9ELNS1_11target_archE1100ELNS1_3gpuE3ELNS1_3repE0EEENS1_38merge_mergepath_config_static_selectorELNS0_4arch9wavefront6targetE1EEEvSF_
    .private_segment_fixed_size: 0
    .sgpr_count:     4
    .sgpr_spill_count: 0
    .symbol:         _ZN7rocprim17ROCPRIM_400000_NS6detail17trampoline_kernelINS0_14default_configENS1_38merge_sort_block_merge_config_selectorIcNS0_10empty_typeEEEZZNS1_27merge_sort_block_merge_implIS3_PcPS5_jNS1_19radix_merge_compareILb1ELb0EcNS0_19identity_decomposerEEEEE10hipError_tT0_T1_T2_jT3_P12ihipStream_tbPNSt15iterator_traitsISE_E10value_typeEPNSK_ISF_E10value_typeEPSG_NS1_7vsmem_tEENKUlT_SE_SF_SG_E_clIS8_S8_S9_S9_EESD_ST_SE_SF_SG_EUlST_E0_NS1_11comp_targetILNS1_3genE9ELNS1_11target_archE1100ELNS1_3gpuE3ELNS1_3repE0EEENS1_38merge_mergepath_config_static_selectorELNS0_4arch9wavefront6targetE1EEEvSF_.kd
    .uniform_work_group_size: 1
    .uses_dynamic_stack: false
    .vgpr_count:     0
    .vgpr_spill_count: 0
    .wavefront_size: 64
  - .agpr_count:     0
    .args:
      - .offset:         0
        .size:           64
        .value_kind:     by_value
    .group_segment_fixed_size: 0
    .kernarg_segment_align: 8
    .kernarg_segment_size: 64
    .language:       OpenCL C
    .language_version:
      - 2
      - 0
    .max_flat_workgroup_size: 128
    .name:           _ZN7rocprim17ROCPRIM_400000_NS6detail17trampoline_kernelINS0_14default_configENS1_38merge_sort_block_merge_config_selectorIcNS0_10empty_typeEEEZZNS1_27merge_sort_block_merge_implIS3_PcPS5_jNS1_19radix_merge_compareILb1ELb0EcNS0_19identity_decomposerEEEEE10hipError_tT0_T1_T2_jT3_P12ihipStream_tbPNSt15iterator_traitsISE_E10value_typeEPNSK_ISF_E10value_typeEPSG_NS1_7vsmem_tEENKUlT_SE_SF_SG_E_clIS8_S8_S9_S9_EESD_ST_SE_SF_SG_EUlST_E0_NS1_11comp_targetILNS1_3genE8ELNS1_11target_archE1030ELNS1_3gpuE2ELNS1_3repE0EEENS1_38merge_mergepath_config_static_selectorELNS0_4arch9wavefront6targetE1EEEvSF_
    .private_segment_fixed_size: 0
    .sgpr_count:     4
    .sgpr_spill_count: 0
    .symbol:         _ZN7rocprim17ROCPRIM_400000_NS6detail17trampoline_kernelINS0_14default_configENS1_38merge_sort_block_merge_config_selectorIcNS0_10empty_typeEEEZZNS1_27merge_sort_block_merge_implIS3_PcPS5_jNS1_19radix_merge_compareILb1ELb0EcNS0_19identity_decomposerEEEEE10hipError_tT0_T1_T2_jT3_P12ihipStream_tbPNSt15iterator_traitsISE_E10value_typeEPNSK_ISF_E10value_typeEPSG_NS1_7vsmem_tEENKUlT_SE_SF_SG_E_clIS8_S8_S9_S9_EESD_ST_SE_SF_SG_EUlST_E0_NS1_11comp_targetILNS1_3genE8ELNS1_11target_archE1030ELNS1_3gpuE2ELNS1_3repE0EEENS1_38merge_mergepath_config_static_selectorELNS0_4arch9wavefront6targetE1EEEvSF_.kd
    .uniform_work_group_size: 1
    .uses_dynamic_stack: false
    .vgpr_count:     0
    .vgpr_spill_count: 0
    .wavefront_size: 64
  - .agpr_count:     0
    .args:
      - .offset:         0
        .size:           48
        .value_kind:     by_value
    .group_segment_fixed_size: 0
    .kernarg_segment_align: 8
    .kernarg_segment_size: 48
    .language:       OpenCL C
    .language_version:
      - 2
      - 0
    .max_flat_workgroup_size: 256
    .name:           _ZN7rocprim17ROCPRIM_400000_NS6detail17trampoline_kernelINS0_14default_configENS1_38merge_sort_block_merge_config_selectorIcNS0_10empty_typeEEEZZNS1_27merge_sort_block_merge_implIS3_PcPS5_jNS1_19radix_merge_compareILb1ELb0EcNS0_19identity_decomposerEEEEE10hipError_tT0_T1_T2_jT3_P12ihipStream_tbPNSt15iterator_traitsISE_E10value_typeEPNSK_ISF_E10value_typeEPSG_NS1_7vsmem_tEENKUlT_SE_SF_SG_E_clIS8_S8_S9_S9_EESD_ST_SE_SF_SG_EUlST_E1_NS1_11comp_targetILNS1_3genE0ELNS1_11target_archE4294967295ELNS1_3gpuE0ELNS1_3repE0EEENS1_36merge_oddeven_config_static_selectorELNS0_4arch9wavefront6targetE1EEEvSF_
    .private_segment_fixed_size: 0
    .sgpr_count:     4
    .sgpr_spill_count: 0
    .symbol:         _ZN7rocprim17ROCPRIM_400000_NS6detail17trampoline_kernelINS0_14default_configENS1_38merge_sort_block_merge_config_selectorIcNS0_10empty_typeEEEZZNS1_27merge_sort_block_merge_implIS3_PcPS5_jNS1_19radix_merge_compareILb1ELb0EcNS0_19identity_decomposerEEEEE10hipError_tT0_T1_T2_jT3_P12ihipStream_tbPNSt15iterator_traitsISE_E10value_typeEPNSK_ISF_E10value_typeEPSG_NS1_7vsmem_tEENKUlT_SE_SF_SG_E_clIS8_S8_S9_S9_EESD_ST_SE_SF_SG_EUlST_E1_NS1_11comp_targetILNS1_3genE0ELNS1_11target_archE4294967295ELNS1_3gpuE0ELNS1_3repE0EEENS1_36merge_oddeven_config_static_selectorELNS0_4arch9wavefront6targetE1EEEvSF_.kd
    .uniform_work_group_size: 1
    .uses_dynamic_stack: false
    .vgpr_count:     0
    .vgpr_spill_count: 0
    .wavefront_size: 64
  - .agpr_count:     0
    .args:
      - .offset:         0
        .size:           48
        .value_kind:     by_value
    .group_segment_fixed_size: 0
    .kernarg_segment_align: 8
    .kernarg_segment_size: 48
    .language:       OpenCL C
    .language_version:
      - 2
      - 0
    .max_flat_workgroup_size: 256
    .name:           _ZN7rocprim17ROCPRIM_400000_NS6detail17trampoline_kernelINS0_14default_configENS1_38merge_sort_block_merge_config_selectorIcNS0_10empty_typeEEEZZNS1_27merge_sort_block_merge_implIS3_PcPS5_jNS1_19radix_merge_compareILb1ELb0EcNS0_19identity_decomposerEEEEE10hipError_tT0_T1_T2_jT3_P12ihipStream_tbPNSt15iterator_traitsISE_E10value_typeEPNSK_ISF_E10value_typeEPSG_NS1_7vsmem_tEENKUlT_SE_SF_SG_E_clIS8_S8_S9_S9_EESD_ST_SE_SF_SG_EUlST_E1_NS1_11comp_targetILNS1_3genE10ELNS1_11target_archE1201ELNS1_3gpuE5ELNS1_3repE0EEENS1_36merge_oddeven_config_static_selectorELNS0_4arch9wavefront6targetE1EEEvSF_
    .private_segment_fixed_size: 0
    .sgpr_count:     4
    .sgpr_spill_count: 0
    .symbol:         _ZN7rocprim17ROCPRIM_400000_NS6detail17trampoline_kernelINS0_14default_configENS1_38merge_sort_block_merge_config_selectorIcNS0_10empty_typeEEEZZNS1_27merge_sort_block_merge_implIS3_PcPS5_jNS1_19radix_merge_compareILb1ELb0EcNS0_19identity_decomposerEEEEE10hipError_tT0_T1_T2_jT3_P12ihipStream_tbPNSt15iterator_traitsISE_E10value_typeEPNSK_ISF_E10value_typeEPSG_NS1_7vsmem_tEENKUlT_SE_SF_SG_E_clIS8_S8_S9_S9_EESD_ST_SE_SF_SG_EUlST_E1_NS1_11comp_targetILNS1_3genE10ELNS1_11target_archE1201ELNS1_3gpuE5ELNS1_3repE0EEENS1_36merge_oddeven_config_static_selectorELNS0_4arch9wavefront6targetE1EEEvSF_.kd
    .uniform_work_group_size: 1
    .uses_dynamic_stack: false
    .vgpr_count:     0
    .vgpr_spill_count: 0
    .wavefront_size: 64
  - .agpr_count:     0
    .args:
      - .offset:         0
        .size:           48
        .value_kind:     by_value
    .group_segment_fixed_size: 0
    .kernarg_segment_align: 8
    .kernarg_segment_size: 48
    .language:       OpenCL C
    .language_version:
      - 2
      - 0
    .max_flat_workgroup_size: 256
    .name:           _ZN7rocprim17ROCPRIM_400000_NS6detail17trampoline_kernelINS0_14default_configENS1_38merge_sort_block_merge_config_selectorIcNS0_10empty_typeEEEZZNS1_27merge_sort_block_merge_implIS3_PcPS5_jNS1_19radix_merge_compareILb1ELb0EcNS0_19identity_decomposerEEEEE10hipError_tT0_T1_T2_jT3_P12ihipStream_tbPNSt15iterator_traitsISE_E10value_typeEPNSK_ISF_E10value_typeEPSG_NS1_7vsmem_tEENKUlT_SE_SF_SG_E_clIS8_S8_S9_S9_EESD_ST_SE_SF_SG_EUlST_E1_NS1_11comp_targetILNS1_3genE5ELNS1_11target_archE942ELNS1_3gpuE9ELNS1_3repE0EEENS1_36merge_oddeven_config_static_selectorELNS0_4arch9wavefront6targetE1EEEvSF_
    .private_segment_fixed_size: 0
    .sgpr_count:     4
    .sgpr_spill_count: 0
    .symbol:         _ZN7rocprim17ROCPRIM_400000_NS6detail17trampoline_kernelINS0_14default_configENS1_38merge_sort_block_merge_config_selectorIcNS0_10empty_typeEEEZZNS1_27merge_sort_block_merge_implIS3_PcPS5_jNS1_19radix_merge_compareILb1ELb0EcNS0_19identity_decomposerEEEEE10hipError_tT0_T1_T2_jT3_P12ihipStream_tbPNSt15iterator_traitsISE_E10value_typeEPNSK_ISF_E10value_typeEPSG_NS1_7vsmem_tEENKUlT_SE_SF_SG_E_clIS8_S8_S9_S9_EESD_ST_SE_SF_SG_EUlST_E1_NS1_11comp_targetILNS1_3genE5ELNS1_11target_archE942ELNS1_3gpuE9ELNS1_3repE0EEENS1_36merge_oddeven_config_static_selectorELNS0_4arch9wavefront6targetE1EEEvSF_.kd
    .uniform_work_group_size: 1
    .uses_dynamic_stack: false
    .vgpr_count:     0
    .vgpr_spill_count: 0
    .wavefront_size: 64
  - .agpr_count:     0
    .args:
      - .offset:         0
        .size:           48
        .value_kind:     by_value
    .group_segment_fixed_size: 0
    .kernarg_segment_align: 8
    .kernarg_segment_size: 48
    .language:       OpenCL C
    .language_version:
      - 2
      - 0
    .max_flat_workgroup_size: 256
    .name:           _ZN7rocprim17ROCPRIM_400000_NS6detail17trampoline_kernelINS0_14default_configENS1_38merge_sort_block_merge_config_selectorIcNS0_10empty_typeEEEZZNS1_27merge_sort_block_merge_implIS3_PcPS5_jNS1_19radix_merge_compareILb1ELb0EcNS0_19identity_decomposerEEEEE10hipError_tT0_T1_T2_jT3_P12ihipStream_tbPNSt15iterator_traitsISE_E10value_typeEPNSK_ISF_E10value_typeEPSG_NS1_7vsmem_tEENKUlT_SE_SF_SG_E_clIS8_S8_S9_S9_EESD_ST_SE_SF_SG_EUlST_E1_NS1_11comp_targetILNS1_3genE4ELNS1_11target_archE910ELNS1_3gpuE8ELNS1_3repE0EEENS1_36merge_oddeven_config_static_selectorELNS0_4arch9wavefront6targetE1EEEvSF_
    .private_segment_fixed_size: 0
    .sgpr_count:     24
    .sgpr_spill_count: 0
    .symbol:         _ZN7rocprim17ROCPRIM_400000_NS6detail17trampoline_kernelINS0_14default_configENS1_38merge_sort_block_merge_config_selectorIcNS0_10empty_typeEEEZZNS1_27merge_sort_block_merge_implIS3_PcPS5_jNS1_19radix_merge_compareILb1ELb0EcNS0_19identity_decomposerEEEEE10hipError_tT0_T1_T2_jT3_P12ihipStream_tbPNSt15iterator_traitsISE_E10value_typeEPNSK_ISF_E10value_typeEPSG_NS1_7vsmem_tEENKUlT_SE_SF_SG_E_clIS8_S8_S9_S9_EESD_ST_SE_SF_SG_EUlST_E1_NS1_11comp_targetILNS1_3genE4ELNS1_11target_archE910ELNS1_3gpuE8ELNS1_3repE0EEENS1_36merge_oddeven_config_static_selectorELNS0_4arch9wavefront6targetE1EEEvSF_.kd
    .uniform_work_group_size: 1
    .uses_dynamic_stack: false
    .vgpr_count:     8
    .vgpr_spill_count: 0
    .wavefront_size: 64
  - .agpr_count:     0
    .args:
      - .offset:         0
        .size:           48
        .value_kind:     by_value
    .group_segment_fixed_size: 0
    .kernarg_segment_align: 8
    .kernarg_segment_size: 48
    .language:       OpenCL C
    .language_version:
      - 2
      - 0
    .max_flat_workgroup_size: 256
    .name:           _ZN7rocprim17ROCPRIM_400000_NS6detail17trampoline_kernelINS0_14default_configENS1_38merge_sort_block_merge_config_selectorIcNS0_10empty_typeEEEZZNS1_27merge_sort_block_merge_implIS3_PcPS5_jNS1_19radix_merge_compareILb1ELb0EcNS0_19identity_decomposerEEEEE10hipError_tT0_T1_T2_jT3_P12ihipStream_tbPNSt15iterator_traitsISE_E10value_typeEPNSK_ISF_E10value_typeEPSG_NS1_7vsmem_tEENKUlT_SE_SF_SG_E_clIS8_S8_S9_S9_EESD_ST_SE_SF_SG_EUlST_E1_NS1_11comp_targetILNS1_3genE3ELNS1_11target_archE908ELNS1_3gpuE7ELNS1_3repE0EEENS1_36merge_oddeven_config_static_selectorELNS0_4arch9wavefront6targetE1EEEvSF_
    .private_segment_fixed_size: 0
    .sgpr_count:     4
    .sgpr_spill_count: 0
    .symbol:         _ZN7rocprim17ROCPRIM_400000_NS6detail17trampoline_kernelINS0_14default_configENS1_38merge_sort_block_merge_config_selectorIcNS0_10empty_typeEEEZZNS1_27merge_sort_block_merge_implIS3_PcPS5_jNS1_19radix_merge_compareILb1ELb0EcNS0_19identity_decomposerEEEEE10hipError_tT0_T1_T2_jT3_P12ihipStream_tbPNSt15iterator_traitsISE_E10value_typeEPNSK_ISF_E10value_typeEPSG_NS1_7vsmem_tEENKUlT_SE_SF_SG_E_clIS8_S8_S9_S9_EESD_ST_SE_SF_SG_EUlST_E1_NS1_11comp_targetILNS1_3genE3ELNS1_11target_archE908ELNS1_3gpuE7ELNS1_3repE0EEENS1_36merge_oddeven_config_static_selectorELNS0_4arch9wavefront6targetE1EEEvSF_.kd
    .uniform_work_group_size: 1
    .uses_dynamic_stack: false
    .vgpr_count:     0
    .vgpr_spill_count: 0
    .wavefront_size: 64
  - .agpr_count:     0
    .args:
      - .offset:         0
        .size:           48
        .value_kind:     by_value
    .group_segment_fixed_size: 0
    .kernarg_segment_align: 8
    .kernarg_segment_size: 48
    .language:       OpenCL C
    .language_version:
      - 2
      - 0
    .max_flat_workgroup_size: 256
    .name:           _ZN7rocprim17ROCPRIM_400000_NS6detail17trampoline_kernelINS0_14default_configENS1_38merge_sort_block_merge_config_selectorIcNS0_10empty_typeEEEZZNS1_27merge_sort_block_merge_implIS3_PcPS5_jNS1_19radix_merge_compareILb1ELb0EcNS0_19identity_decomposerEEEEE10hipError_tT0_T1_T2_jT3_P12ihipStream_tbPNSt15iterator_traitsISE_E10value_typeEPNSK_ISF_E10value_typeEPSG_NS1_7vsmem_tEENKUlT_SE_SF_SG_E_clIS8_S8_S9_S9_EESD_ST_SE_SF_SG_EUlST_E1_NS1_11comp_targetILNS1_3genE2ELNS1_11target_archE906ELNS1_3gpuE6ELNS1_3repE0EEENS1_36merge_oddeven_config_static_selectorELNS0_4arch9wavefront6targetE1EEEvSF_
    .private_segment_fixed_size: 0
    .sgpr_count:     4
    .sgpr_spill_count: 0
    .symbol:         _ZN7rocprim17ROCPRIM_400000_NS6detail17trampoline_kernelINS0_14default_configENS1_38merge_sort_block_merge_config_selectorIcNS0_10empty_typeEEEZZNS1_27merge_sort_block_merge_implIS3_PcPS5_jNS1_19radix_merge_compareILb1ELb0EcNS0_19identity_decomposerEEEEE10hipError_tT0_T1_T2_jT3_P12ihipStream_tbPNSt15iterator_traitsISE_E10value_typeEPNSK_ISF_E10value_typeEPSG_NS1_7vsmem_tEENKUlT_SE_SF_SG_E_clIS8_S8_S9_S9_EESD_ST_SE_SF_SG_EUlST_E1_NS1_11comp_targetILNS1_3genE2ELNS1_11target_archE906ELNS1_3gpuE6ELNS1_3repE0EEENS1_36merge_oddeven_config_static_selectorELNS0_4arch9wavefront6targetE1EEEvSF_.kd
    .uniform_work_group_size: 1
    .uses_dynamic_stack: false
    .vgpr_count:     0
    .vgpr_spill_count: 0
    .wavefront_size: 64
  - .agpr_count:     0
    .args:
      - .offset:         0
        .size:           48
        .value_kind:     by_value
    .group_segment_fixed_size: 0
    .kernarg_segment_align: 8
    .kernarg_segment_size: 48
    .language:       OpenCL C
    .language_version:
      - 2
      - 0
    .max_flat_workgroup_size: 256
    .name:           _ZN7rocprim17ROCPRIM_400000_NS6detail17trampoline_kernelINS0_14default_configENS1_38merge_sort_block_merge_config_selectorIcNS0_10empty_typeEEEZZNS1_27merge_sort_block_merge_implIS3_PcPS5_jNS1_19radix_merge_compareILb1ELb0EcNS0_19identity_decomposerEEEEE10hipError_tT0_T1_T2_jT3_P12ihipStream_tbPNSt15iterator_traitsISE_E10value_typeEPNSK_ISF_E10value_typeEPSG_NS1_7vsmem_tEENKUlT_SE_SF_SG_E_clIS8_S8_S9_S9_EESD_ST_SE_SF_SG_EUlST_E1_NS1_11comp_targetILNS1_3genE9ELNS1_11target_archE1100ELNS1_3gpuE3ELNS1_3repE0EEENS1_36merge_oddeven_config_static_selectorELNS0_4arch9wavefront6targetE1EEEvSF_
    .private_segment_fixed_size: 0
    .sgpr_count:     4
    .sgpr_spill_count: 0
    .symbol:         _ZN7rocprim17ROCPRIM_400000_NS6detail17trampoline_kernelINS0_14default_configENS1_38merge_sort_block_merge_config_selectorIcNS0_10empty_typeEEEZZNS1_27merge_sort_block_merge_implIS3_PcPS5_jNS1_19radix_merge_compareILb1ELb0EcNS0_19identity_decomposerEEEEE10hipError_tT0_T1_T2_jT3_P12ihipStream_tbPNSt15iterator_traitsISE_E10value_typeEPNSK_ISF_E10value_typeEPSG_NS1_7vsmem_tEENKUlT_SE_SF_SG_E_clIS8_S8_S9_S9_EESD_ST_SE_SF_SG_EUlST_E1_NS1_11comp_targetILNS1_3genE9ELNS1_11target_archE1100ELNS1_3gpuE3ELNS1_3repE0EEENS1_36merge_oddeven_config_static_selectorELNS0_4arch9wavefront6targetE1EEEvSF_.kd
    .uniform_work_group_size: 1
    .uses_dynamic_stack: false
    .vgpr_count:     0
    .vgpr_spill_count: 0
    .wavefront_size: 64
  - .agpr_count:     0
    .args:
      - .offset:         0
        .size:           48
        .value_kind:     by_value
    .group_segment_fixed_size: 0
    .kernarg_segment_align: 8
    .kernarg_segment_size: 48
    .language:       OpenCL C
    .language_version:
      - 2
      - 0
    .max_flat_workgroup_size: 256
    .name:           _ZN7rocprim17ROCPRIM_400000_NS6detail17trampoline_kernelINS0_14default_configENS1_38merge_sort_block_merge_config_selectorIcNS0_10empty_typeEEEZZNS1_27merge_sort_block_merge_implIS3_PcPS5_jNS1_19radix_merge_compareILb1ELb0EcNS0_19identity_decomposerEEEEE10hipError_tT0_T1_T2_jT3_P12ihipStream_tbPNSt15iterator_traitsISE_E10value_typeEPNSK_ISF_E10value_typeEPSG_NS1_7vsmem_tEENKUlT_SE_SF_SG_E_clIS8_S8_S9_S9_EESD_ST_SE_SF_SG_EUlST_E1_NS1_11comp_targetILNS1_3genE8ELNS1_11target_archE1030ELNS1_3gpuE2ELNS1_3repE0EEENS1_36merge_oddeven_config_static_selectorELNS0_4arch9wavefront6targetE1EEEvSF_
    .private_segment_fixed_size: 0
    .sgpr_count:     4
    .sgpr_spill_count: 0
    .symbol:         _ZN7rocprim17ROCPRIM_400000_NS6detail17trampoline_kernelINS0_14default_configENS1_38merge_sort_block_merge_config_selectorIcNS0_10empty_typeEEEZZNS1_27merge_sort_block_merge_implIS3_PcPS5_jNS1_19radix_merge_compareILb1ELb0EcNS0_19identity_decomposerEEEEE10hipError_tT0_T1_T2_jT3_P12ihipStream_tbPNSt15iterator_traitsISE_E10value_typeEPNSK_ISF_E10value_typeEPSG_NS1_7vsmem_tEENKUlT_SE_SF_SG_E_clIS8_S8_S9_S9_EESD_ST_SE_SF_SG_EUlST_E1_NS1_11comp_targetILNS1_3genE8ELNS1_11target_archE1030ELNS1_3gpuE2ELNS1_3repE0EEENS1_36merge_oddeven_config_static_selectorELNS0_4arch9wavefront6targetE1EEEvSF_.kd
    .uniform_work_group_size: 1
    .uses_dynamic_stack: false
    .vgpr_count:     0
    .vgpr_spill_count: 0
    .wavefront_size: 64
  - .agpr_count:     0
    .args:
      - .offset:         0
        .size:           40
        .value_kind:     by_value
    .group_segment_fixed_size: 0
    .kernarg_segment_align: 8
    .kernarg_segment_size: 40
    .language:       OpenCL C
    .language_version:
      - 2
      - 0
    .max_flat_workgroup_size: 128
    .name:           _ZN7rocprim17ROCPRIM_400000_NS6detail17trampoline_kernelINS0_14default_configENS1_38merge_sort_block_merge_config_selectorIcNS0_10empty_typeEEEZZNS1_27merge_sort_block_merge_implIS3_PcPS5_jNS1_19radix_merge_compareILb1ELb1EcNS0_19identity_decomposerEEEEE10hipError_tT0_T1_T2_jT3_P12ihipStream_tbPNSt15iterator_traitsISE_E10value_typeEPNSK_ISF_E10value_typeEPSG_NS1_7vsmem_tEENKUlT_SE_SF_SG_E_clIS8_S8_S9_S9_EESD_ST_SE_SF_SG_EUlST_E_NS1_11comp_targetILNS1_3genE0ELNS1_11target_archE4294967295ELNS1_3gpuE0ELNS1_3repE0EEENS1_48merge_mergepath_partition_config_static_selectorELNS0_4arch9wavefront6targetE1EEEvSF_
    .private_segment_fixed_size: 0
    .sgpr_count:     4
    .sgpr_spill_count: 0
    .symbol:         _ZN7rocprim17ROCPRIM_400000_NS6detail17trampoline_kernelINS0_14default_configENS1_38merge_sort_block_merge_config_selectorIcNS0_10empty_typeEEEZZNS1_27merge_sort_block_merge_implIS3_PcPS5_jNS1_19radix_merge_compareILb1ELb1EcNS0_19identity_decomposerEEEEE10hipError_tT0_T1_T2_jT3_P12ihipStream_tbPNSt15iterator_traitsISE_E10value_typeEPNSK_ISF_E10value_typeEPSG_NS1_7vsmem_tEENKUlT_SE_SF_SG_E_clIS8_S8_S9_S9_EESD_ST_SE_SF_SG_EUlST_E_NS1_11comp_targetILNS1_3genE0ELNS1_11target_archE4294967295ELNS1_3gpuE0ELNS1_3repE0EEENS1_48merge_mergepath_partition_config_static_selectorELNS0_4arch9wavefront6targetE1EEEvSF_.kd
    .uniform_work_group_size: 1
    .uses_dynamic_stack: false
    .vgpr_count:     0
    .vgpr_spill_count: 0
    .wavefront_size: 64
  - .agpr_count:     0
    .args:
      - .offset:         0
        .size:           40
        .value_kind:     by_value
    .group_segment_fixed_size: 0
    .kernarg_segment_align: 8
    .kernarg_segment_size: 40
    .language:       OpenCL C
    .language_version:
      - 2
      - 0
    .max_flat_workgroup_size: 128
    .name:           _ZN7rocprim17ROCPRIM_400000_NS6detail17trampoline_kernelINS0_14default_configENS1_38merge_sort_block_merge_config_selectorIcNS0_10empty_typeEEEZZNS1_27merge_sort_block_merge_implIS3_PcPS5_jNS1_19radix_merge_compareILb1ELb1EcNS0_19identity_decomposerEEEEE10hipError_tT0_T1_T2_jT3_P12ihipStream_tbPNSt15iterator_traitsISE_E10value_typeEPNSK_ISF_E10value_typeEPSG_NS1_7vsmem_tEENKUlT_SE_SF_SG_E_clIS8_S8_S9_S9_EESD_ST_SE_SF_SG_EUlST_E_NS1_11comp_targetILNS1_3genE10ELNS1_11target_archE1201ELNS1_3gpuE5ELNS1_3repE0EEENS1_48merge_mergepath_partition_config_static_selectorELNS0_4arch9wavefront6targetE1EEEvSF_
    .private_segment_fixed_size: 0
    .sgpr_count:     4
    .sgpr_spill_count: 0
    .symbol:         _ZN7rocprim17ROCPRIM_400000_NS6detail17trampoline_kernelINS0_14default_configENS1_38merge_sort_block_merge_config_selectorIcNS0_10empty_typeEEEZZNS1_27merge_sort_block_merge_implIS3_PcPS5_jNS1_19radix_merge_compareILb1ELb1EcNS0_19identity_decomposerEEEEE10hipError_tT0_T1_T2_jT3_P12ihipStream_tbPNSt15iterator_traitsISE_E10value_typeEPNSK_ISF_E10value_typeEPSG_NS1_7vsmem_tEENKUlT_SE_SF_SG_E_clIS8_S8_S9_S9_EESD_ST_SE_SF_SG_EUlST_E_NS1_11comp_targetILNS1_3genE10ELNS1_11target_archE1201ELNS1_3gpuE5ELNS1_3repE0EEENS1_48merge_mergepath_partition_config_static_selectorELNS0_4arch9wavefront6targetE1EEEvSF_.kd
    .uniform_work_group_size: 1
    .uses_dynamic_stack: false
    .vgpr_count:     0
    .vgpr_spill_count: 0
    .wavefront_size: 64
  - .agpr_count:     0
    .args:
      - .offset:         0
        .size:           40
        .value_kind:     by_value
    .group_segment_fixed_size: 0
    .kernarg_segment_align: 8
    .kernarg_segment_size: 40
    .language:       OpenCL C
    .language_version:
      - 2
      - 0
    .max_flat_workgroup_size: 128
    .name:           _ZN7rocprim17ROCPRIM_400000_NS6detail17trampoline_kernelINS0_14default_configENS1_38merge_sort_block_merge_config_selectorIcNS0_10empty_typeEEEZZNS1_27merge_sort_block_merge_implIS3_PcPS5_jNS1_19radix_merge_compareILb1ELb1EcNS0_19identity_decomposerEEEEE10hipError_tT0_T1_T2_jT3_P12ihipStream_tbPNSt15iterator_traitsISE_E10value_typeEPNSK_ISF_E10value_typeEPSG_NS1_7vsmem_tEENKUlT_SE_SF_SG_E_clIS8_S8_S9_S9_EESD_ST_SE_SF_SG_EUlST_E_NS1_11comp_targetILNS1_3genE5ELNS1_11target_archE942ELNS1_3gpuE9ELNS1_3repE0EEENS1_48merge_mergepath_partition_config_static_selectorELNS0_4arch9wavefront6targetE1EEEvSF_
    .private_segment_fixed_size: 0
    .sgpr_count:     4
    .sgpr_spill_count: 0
    .symbol:         _ZN7rocprim17ROCPRIM_400000_NS6detail17trampoline_kernelINS0_14default_configENS1_38merge_sort_block_merge_config_selectorIcNS0_10empty_typeEEEZZNS1_27merge_sort_block_merge_implIS3_PcPS5_jNS1_19radix_merge_compareILb1ELb1EcNS0_19identity_decomposerEEEEE10hipError_tT0_T1_T2_jT3_P12ihipStream_tbPNSt15iterator_traitsISE_E10value_typeEPNSK_ISF_E10value_typeEPSG_NS1_7vsmem_tEENKUlT_SE_SF_SG_E_clIS8_S8_S9_S9_EESD_ST_SE_SF_SG_EUlST_E_NS1_11comp_targetILNS1_3genE5ELNS1_11target_archE942ELNS1_3gpuE9ELNS1_3repE0EEENS1_48merge_mergepath_partition_config_static_selectorELNS0_4arch9wavefront6targetE1EEEvSF_.kd
    .uniform_work_group_size: 1
    .uses_dynamic_stack: false
    .vgpr_count:     0
    .vgpr_spill_count: 0
    .wavefront_size: 64
  - .agpr_count:     0
    .args:
      - .offset:         0
        .size:           40
        .value_kind:     by_value
    .group_segment_fixed_size: 0
    .kernarg_segment_align: 8
    .kernarg_segment_size: 40
    .language:       OpenCL C
    .language_version:
      - 2
      - 0
    .max_flat_workgroup_size: 128
    .name:           _ZN7rocprim17ROCPRIM_400000_NS6detail17trampoline_kernelINS0_14default_configENS1_38merge_sort_block_merge_config_selectorIcNS0_10empty_typeEEEZZNS1_27merge_sort_block_merge_implIS3_PcPS5_jNS1_19radix_merge_compareILb1ELb1EcNS0_19identity_decomposerEEEEE10hipError_tT0_T1_T2_jT3_P12ihipStream_tbPNSt15iterator_traitsISE_E10value_typeEPNSK_ISF_E10value_typeEPSG_NS1_7vsmem_tEENKUlT_SE_SF_SG_E_clIS8_S8_S9_S9_EESD_ST_SE_SF_SG_EUlST_E_NS1_11comp_targetILNS1_3genE4ELNS1_11target_archE910ELNS1_3gpuE8ELNS1_3repE0EEENS1_48merge_mergepath_partition_config_static_selectorELNS0_4arch9wavefront6targetE1EEEvSF_
    .private_segment_fixed_size: 0
    .sgpr_count:     14
    .sgpr_spill_count: 0
    .symbol:         _ZN7rocprim17ROCPRIM_400000_NS6detail17trampoline_kernelINS0_14default_configENS1_38merge_sort_block_merge_config_selectorIcNS0_10empty_typeEEEZZNS1_27merge_sort_block_merge_implIS3_PcPS5_jNS1_19radix_merge_compareILb1ELb1EcNS0_19identity_decomposerEEEEE10hipError_tT0_T1_T2_jT3_P12ihipStream_tbPNSt15iterator_traitsISE_E10value_typeEPNSK_ISF_E10value_typeEPSG_NS1_7vsmem_tEENKUlT_SE_SF_SG_E_clIS8_S8_S9_S9_EESD_ST_SE_SF_SG_EUlST_E_NS1_11comp_targetILNS1_3genE4ELNS1_11target_archE910ELNS1_3gpuE8ELNS1_3repE0EEENS1_48merge_mergepath_partition_config_static_selectorELNS0_4arch9wavefront6targetE1EEEvSF_.kd
    .uniform_work_group_size: 1
    .uses_dynamic_stack: false
    .vgpr_count:     16
    .vgpr_spill_count: 0
    .wavefront_size: 64
  - .agpr_count:     0
    .args:
      - .offset:         0
        .size:           40
        .value_kind:     by_value
    .group_segment_fixed_size: 0
    .kernarg_segment_align: 8
    .kernarg_segment_size: 40
    .language:       OpenCL C
    .language_version:
      - 2
      - 0
    .max_flat_workgroup_size: 128
    .name:           _ZN7rocprim17ROCPRIM_400000_NS6detail17trampoline_kernelINS0_14default_configENS1_38merge_sort_block_merge_config_selectorIcNS0_10empty_typeEEEZZNS1_27merge_sort_block_merge_implIS3_PcPS5_jNS1_19radix_merge_compareILb1ELb1EcNS0_19identity_decomposerEEEEE10hipError_tT0_T1_T2_jT3_P12ihipStream_tbPNSt15iterator_traitsISE_E10value_typeEPNSK_ISF_E10value_typeEPSG_NS1_7vsmem_tEENKUlT_SE_SF_SG_E_clIS8_S8_S9_S9_EESD_ST_SE_SF_SG_EUlST_E_NS1_11comp_targetILNS1_3genE3ELNS1_11target_archE908ELNS1_3gpuE7ELNS1_3repE0EEENS1_48merge_mergepath_partition_config_static_selectorELNS0_4arch9wavefront6targetE1EEEvSF_
    .private_segment_fixed_size: 0
    .sgpr_count:     4
    .sgpr_spill_count: 0
    .symbol:         _ZN7rocprim17ROCPRIM_400000_NS6detail17trampoline_kernelINS0_14default_configENS1_38merge_sort_block_merge_config_selectorIcNS0_10empty_typeEEEZZNS1_27merge_sort_block_merge_implIS3_PcPS5_jNS1_19radix_merge_compareILb1ELb1EcNS0_19identity_decomposerEEEEE10hipError_tT0_T1_T2_jT3_P12ihipStream_tbPNSt15iterator_traitsISE_E10value_typeEPNSK_ISF_E10value_typeEPSG_NS1_7vsmem_tEENKUlT_SE_SF_SG_E_clIS8_S8_S9_S9_EESD_ST_SE_SF_SG_EUlST_E_NS1_11comp_targetILNS1_3genE3ELNS1_11target_archE908ELNS1_3gpuE7ELNS1_3repE0EEENS1_48merge_mergepath_partition_config_static_selectorELNS0_4arch9wavefront6targetE1EEEvSF_.kd
    .uniform_work_group_size: 1
    .uses_dynamic_stack: false
    .vgpr_count:     0
    .vgpr_spill_count: 0
    .wavefront_size: 64
  - .agpr_count:     0
    .args:
      - .offset:         0
        .size:           40
        .value_kind:     by_value
    .group_segment_fixed_size: 0
    .kernarg_segment_align: 8
    .kernarg_segment_size: 40
    .language:       OpenCL C
    .language_version:
      - 2
      - 0
    .max_flat_workgroup_size: 128
    .name:           _ZN7rocprim17ROCPRIM_400000_NS6detail17trampoline_kernelINS0_14default_configENS1_38merge_sort_block_merge_config_selectorIcNS0_10empty_typeEEEZZNS1_27merge_sort_block_merge_implIS3_PcPS5_jNS1_19radix_merge_compareILb1ELb1EcNS0_19identity_decomposerEEEEE10hipError_tT0_T1_T2_jT3_P12ihipStream_tbPNSt15iterator_traitsISE_E10value_typeEPNSK_ISF_E10value_typeEPSG_NS1_7vsmem_tEENKUlT_SE_SF_SG_E_clIS8_S8_S9_S9_EESD_ST_SE_SF_SG_EUlST_E_NS1_11comp_targetILNS1_3genE2ELNS1_11target_archE906ELNS1_3gpuE6ELNS1_3repE0EEENS1_48merge_mergepath_partition_config_static_selectorELNS0_4arch9wavefront6targetE1EEEvSF_
    .private_segment_fixed_size: 0
    .sgpr_count:     4
    .sgpr_spill_count: 0
    .symbol:         _ZN7rocprim17ROCPRIM_400000_NS6detail17trampoline_kernelINS0_14default_configENS1_38merge_sort_block_merge_config_selectorIcNS0_10empty_typeEEEZZNS1_27merge_sort_block_merge_implIS3_PcPS5_jNS1_19radix_merge_compareILb1ELb1EcNS0_19identity_decomposerEEEEE10hipError_tT0_T1_T2_jT3_P12ihipStream_tbPNSt15iterator_traitsISE_E10value_typeEPNSK_ISF_E10value_typeEPSG_NS1_7vsmem_tEENKUlT_SE_SF_SG_E_clIS8_S8_S9_S9_EESD_ST_SE_SF_SG_EUlST_E_NS1_11comp_targetILNS1_3genE2ELNS1_11target_archE906ELNS1_3gpuE6ELNS1_3repE0EEENS1_48merge_mergepath_partition_config_static_selectorELNS0_4arch9wavefront6targetE1EEEvSF_.kd
    .uniform_work_group_size: 1
    .uses_dynamic_stack: false
    .vgpr_count:     0
    .vgpr_spill_count: 0
    .wavefront_size: 64
  - .agpr_count:     0
    .args:
      - .offset:         0
        .size:           40
        .value_kind:     by_value
    .group_segment_fixed_size: 0
    .kernarg_segment_align: 8
    .kernarg_segment_size: 40
    .language:       OpenCL C
    .language_version:
      - 2
      - 0
    .max_flat_workgroup_size: 128
    .name:           _ZN7rocprim17ROCPRIM_400000_NS6detail17trampoline_kernelINS0_14default_configENS1_38merge_sort_block_merge_config_selectorIcNS0_10empty_typeEEEZZNS1_27merge_sort_block_merge_implIS3_PcPS5_jNS1_19radix_merge_compareILb1ELb1EcNS0_19identity_decomposerEEEEE10hipError_tT0_T1_T2_jT3_P12ihipStream_tbPNSt15iterator_traitsISE_E10value_typeEPNSK_ISF_E10value_typeEPSG_NS1_7vsmem_tEENKUlT_SE_SF_SG_E_clIS8_S8_S9_S9_EESD_ST_SE_SF_SG_EUlST_E_NS1_11comp_targetILNS1_3genE9ELNS1_11target_archE1100ELNS1_3gpuE3ELNS1_3repE0EEENS1_48merge_mergepath_partition_config_static_selectorELNS0_4arch9wavefront6targetE1EEEvSF_
    .private_segment_fixed_size: 0
    .sgpr_count:     4
    .sgpr_spill_count: 0
    .symbol:         _ZN7rocprim17ROCPRIM_400000_NS6detail17trampoline_kernelINS0_14default_configENS1_38merge_sort_block_merge_config_selectorIcNS0_10empty_typeEEEZZNS1_27merge_sort_block_merge_implIS3_PcPS5_jNS1_19radix_merge_compareILb1ELb1EcNS0_19identity_decomposerEEEEE10hipError_tT0_T1_T2_jT3_P12ihipStream_tbPNSt15iterator_traitsISE_E10value_typeEPNSK_ISF_E10value_typeEPSG_NS1_7vsmem_tEENKUlT_SE_SF_SG_E_clIS8_S8_S9_S9_EESD_ST_SE_SF_SG_EUlST_E_NS1_11comp_targetILNS1_3genE9ELNS1_11target_archE1100ELNS1_3gpuE3ELNS1_3repE0EEENS1_48merge_mergepath_partition_config_static_selectorELNS0_4arch9wavefront6targetE1EEEvSF_.kd
    .uniform_work_group_size: 1
    .uses_dynamic_stack: false
    .vgpr_count:     0
    .vgpr_spill_count: 0
    .wavefront_size: 64
  - .agpr_count:     0
    .args:
      - .offset:         0
        .size:           40
        .value_kind:     by_value
    .group_segment_fixed_size: 0
    .kernarg_segment_align: 8
    .kernarg_segment_size: 40
    .language:       OpenCL C
    .language_version:
      - 2
      - 0
    .max_flat_workgroup_size: 128
    .name:           _ZN7rocprim17ROCPRIM_400000_NS6detail17trampoline_kernelINS0_14default_configENS1_38merge_sort_block_merge_config_selectorIcNS0_10empty_typeEEEZZNS1_27merge_sort_block_merge_implIS3_PcPS5_jNS1_19radix_merge_compareILb1ELb1EcNS0_19identity_decomposerEEEEE10hipError_tT0_T1_T2_jT3_P12ihipStream_tbPNSt15iterator_traitsISE_E10value_typeEPNSK_ISF_E10value_typeEPSG_NS1_7vsmem_tEENKUlT_SE_SF_SG_E_clIS8_S8_S9_S9_EESD_ST_SE_SF_SG_EUlST_E_NS1_11comp_targetILNS1_3genE8ELNS1_11target_archE1030ELNS1_3gpuE2ELNS1_3repE0EEENS1_48merge_mergepath_partition_config_static_selectorELNS0_4arch9wavefront6targetE1EEEvSF_
    .private_segment_fixed_size: 0
    .sgpr_count:     4
    .sgpr_spill_count: 0
    .symbol:         _ZN7rocprim17ROCPRIM_400000_NS6detail17trampoline_kernelINS0_14default_configENS1_38merge_sort_block_merge_config_selectorIcNS0_10empty_typeEEEZZNS1_27merge_sort_block_merge_implIS3_PcPS5_jNS1_19radix_merge_compareILb1ELb1EcNS0_19identity_decomposerEEEEE10hipError_tT0_T1_T2_jT3_P12ihipStream_tbPNSt15iterator_traitsISE_E10value_typeEPNSK_ISF_E10value_typeEPSG_NS1_7vsmem_tEENKUlT_SE_SF_SG_E_clIS8_S8_S9_S9_EESD_ST_SE_SF_SG_EUlST_E_NS1_11comp_targetILNS1_3genE8ELNS1_11target_archE1030ELNS1_3gpuE2ELNS1_3repE0EEENS1_48merge_mergepath_partition_config_static_selectorELNS0_4arch9wavefront6targetE1EEEvSF_.kd
    .uniform_work_group_size: 1
    .uses_dynamic_stack: false
    .vgpr_count:     0
    .vgpr_spill_count: 0
    .wavefront_size: 64
  - .agpr_count:     0
    .args:
      - .offset:         0
        .size:           64
        .value_kind:     by_value
    .group_segment_fixed_size: 0
    .kernarg_segment_align: 8
    .kernarg_segment_size: 64
    .language:       OpenCL C
    .language_version:
      - 2
      - 0
    .max_flat_workgroup_size: 128
    .name:           _ZN7rocprim17ROCPRIM_400000_NS6detail17trampoline_kernelINS0_14default_configENS1_38merge_sort_block_merge_config_selectorIcNS0_10empty_typeEEEZZNS1_27merge_sort_block_merge_implIS3_PcPS5_jNS1_19radix_merge_compareILb1ELb1EcNS0_19identity_decomposerEEEEE10hipError_tT0_T1_T2_jT3_P12ihipStream_tbPNSt15iterator_traitsISE_E10value_typeEPNSK_ISF_E10value_typeEPSG_NS1_7vsmem_tEENKUlT_SE_SF_SG_E_clIS8_S8_S9_S9_EESD_ST_SE_SF_SG_EUlST_E0_NS1_11comp_targetILNS1_3genE0ELNS1_11target_archE4294967295ELNS1_3gpuE0ELNS1_3repE0EEENS1_38merge_mergepath_config_static_selectorELNS0_4arch9wavefront6targetE1EEEvSF_
    .private_segment_fixed_size: 0
    .sgpr_count:     4
    .sgpr_spill_count: 0
    .symbol:         _ZN7rocprim17ROCPRIM_400000_NS6detail17trampoline_kernelINS0_14default_configENS1_38merge_sort_block_merge_config_selectorIcNS0_10empty_typeEEEZZNS1_27merge_sort_block_merge_implIS3_PcPS5_jNS1_19radix_merge_compareILb1ELb1EcNS0_19identity_decomposerEEEEE10hipError_tT0_T1_T2_jT3_P12ihipStream_tbPNSt15iterator_traitsISE_E10value_typeEPNSK_ISF_E10value_typeEPSG_NS1_7vsmem_tEENKUlT_SE_SF_SG_E_clIS8_S8_S9_S9_EESD_ST_SE_SF_SG_EUlST_E0_NS1_11comp_targetILNS1_3genE0ELNS1_11target_archE4294967295ELNS1_3gpuE0ELNS1_3repE0EEENS1_38merge_mergepath_config_static_selectorELNS0_4arch9wavefront6targetE1EEEvSF_.kd
    .uniform_work_group_size: 1
    .uses_dynamic_stack: false
    .vgpr_count:     0
    .vgpr_spill_count: 0
    .wavefront_size: 64
  - .agpr_count:     0
    .args:
      - .offset:         0
        .size:           64
        .value_kind:     by_value
    .group_segment_fixed_size: 0
    .kernarg_segment_align: 8
    .kernarg_segment_size: 64
    .language:       OpenCL C
    .language_version:
      - 2
      - 0
    .max_flat_workgroup_size: 128
    .name:           _ZN7rocprim17ROCPRIM_400000_NS6detail17trampoline_kernelINS0_14default_configENS1_38merge_sort_block_merge_config_selectorIcNS0_10empty_typeEEEZZNS1_27merge_sort_block_merge_implIS3_PcPS5_jNS1_19radix_merge_compareILb1ELb1EcNS0_19identity_decomposerEEEEE10hipError_tT0_T1_T2_jT3_P12ihipStream_tbPNSt15iterator_traitsISE_E10value_typeEPNSK_ISF_E10value_typeEPSG_NS1_7vsmem_tEENKUlT_SE_SF_SG_E_clIS8_S8_S9_S9_EESD_ST_SE_SF_SG_EUlST_E0_NS1_11comp_targetILNS1_3genE10ELNS1_11target_archE1201ELNS1_3gpuE5ELNS1_3repE0EEENS1_38merge_mergepath_config_static_selectorELNS0_4arch9wavefront6targetE1EEEvSF_
    .private_segment_fixed_size: 0
    .sgpr_count:     4
    .sgpr_spill_count: 0
    .symbol:         _ZN7rocprim17ROCPRIM_400000_NS6detail17trampoline_kernelINS0_14default_configENS1_38merge_sort_block_merge_config_selectorIcNS0_10empty_typeEEEZZNS1_27merge_sort_block_merge_implIS3_PcPS5_jNS1_19radix_merge_compareILb1ELb1EcNS0_19identity_decomposerEEEEE10hipError_tT0_T1_T2_jT3_P12ihipStream_tbPNSt15iterator_traitsISE_E10value_typeEPNSK_ISF_E10value_typeEPSG_NS1_7vsmem_tEENKUlT_SE_SF_SG_E_clIS8_S8_S9_S9_EESD_ST_SE_SF_SG_EUlST_E0_NS1_11comp_targetILNS1_3genE10ELNS1_11target_archE1201ELNS1_3gpuE5ELNS1_3repE0EEENS1_38merge_mergepath_config_static_selectorELNS0_4arch9wavefront6targetE1EEEvSF_.kd
    .uniform_work_group_size: 1
    .uses_dynamic_stack: false
    .vgpr_count:     0
    .vgpr_spill_count: 0
    .wavefront_size: 64
  - .agpr_count:     0
    .args:
      - .offset:         0
        .size:           64
        .value_kind:     by_value
    .group_segment_fixed_size: 0
    .kernarg_segment_align: 8
    .kernarg_segment_size: 64
    .language:       OpenCL C
    .language_version:
      - 2
      - 0
    .max_flat_workgroup_size: 128
    .name:           _ZN7rocprim17ROCPRIM_400000_NS6detail17trampoline_kernelINS0_14default_configENS1_38merge_sort_block_merge_config_selectorIcNS0_10empty_typeEEEZZNS1_27merge_sort_block_merge_implIS3_PcPS5_jNS1_19radix_merge_compareILb1ELb1EcNS0_19identity_decomposerEEEEE10hipError_tT0_T1_T2_jT3_P12ihipStream_tbPNSt15iterator_traitsISE_E10value_typeEPNSK_ISF_E10value_typeEPSG_NS1_7vsmem_tEENKUlT_SE_SF_SG_E_clIS8_S8_S9_S9_EESD_ST_SE_SF_SG_EUlST_E0_NS1_11comp_targetILNS1_3genE5ELNS1_11target_archE942ELNS1_3gpuE9ELNS1_3repE0EEENS1_38merge_mergepath_config_static_selectorELNS0_4arch9wavefront6targetE1EEEvSF_
    .private_segment_fixed_size: 0
    .sgpr_count:     4
    .sgpr_spill_count: 0
    .symbol:         _ZN7rocprim17ROCPRIM_400000_NS6detail17trampoline_kernelINS0_14default_configENS1_38merge_sort_block_merge_config_selectorIcNS0_10empty_typeEEEZZNS1_27merge_sort_block_merge_implIS3_PcPS5_jNS1_19radix_merge_compareILb1ELb1EcNS0_19identity_decomposerEEEEE10hipError_tT0_T1_T2_jT3_P12ihipStream_tbPNSt15iterator_traitsISE_E10value_typeEPNSK_ISF_E10value_typeEPSG_NS1_7vsmem_tEENKUlT_SE_SF_SG_E_clIS8_S8_S9_S9_EESD_ST_SE_SF_SG_EUlST_E0_NS1_11comp_targetILNS1_3genE5ELNS1_11target_archE942ELNS1_3gpuE9ELNS1_3repE0EEENS1_38merge_mergepath_config_static_selectorELNS0_4arch9wavefront6targetE1EEEvSF_.kd
    .uniform_work_group_size: 1
    .uses_dynamic_stack: false
    .vgpr_count:     0
    .vgpr_spill_count: 0
    .wavefront_size: 64
  - .agpr_count:     0
    .args:
      - .offset:         0
        .size:           64
        .value_kind:     by_value
      - .offset:         64
        .size:           4
        .value_kind:     hidden_block_count_x
      - .offset:         68
        .size:           4
        .value_kind:     hidden_block_count_y
      - .offset:         72
        .size:           4
        .value_kind:     hidden_block_count_z
      - .offset:         76
        .size:           2
        .value_kind:     hidden_group_size_x
      - .offset:         78
        .size:           2
        .value_kind:     hidden_group_size_y
      - .offset:         80
        .size:           2
        .value_kind:     hidden_group_size_z
      - .offset:         82
        .size:           2
        .value_kind:     hidden_remainder_x
      - .offset:         84
        .size:           2
        .value_kind:     hidden_remainder_y
      - .offset:         86
        .size:           2
        .value_kind:     hidden_remainder_z
      - .offset:         104
        .size:           8
        .value_kind:     hidden_global_offset_x
      - .offset:         112
        .size:           8
        .value_kind:     hidden_global_offset_y
      - .offset:         120
        .size:           8
        .value_kind:     hidden_global_offset_z
      - .offset:         128
        .size:           2
        .value_kind:     hidden_grid_dims
    .group_segment_fixed_size: 1056
    .kernarg_segment_align: 8
    .kernarg_segment_size: 320
    .language:       OpenCL C
    .language_version:
      - 2
      - 0
    .max_flat_workgroup_size: 128
    .name:           _ZN7rocprim17ROCPRIM_400000_NS6detail17trampoline_kernelINS0_14default_configENS1_38merge_sort_block_merge_config_selectorIcNS0_10empty_typeEEEZZNS1_27merge_sort_block_merge_implIS3_PcPS5_jNS1_19radix_merge_compareILb1ELb1EcNS0_19identity_decomposerEEEEE10hipError_tT0_T1_T2_jT3_P12ihipStream_tbPNSt15iterator_traitsISE_E10value_typeEPNSK_ISF_E10value_typeEPSG_NS1_7vsmem_tEENKUlT_SE_SF_SG_E_clIS8_S8_S9_S9_EESD_ST_SE_SF_SG_EUlST_E0_NS1_11comp_targetILNS1_3genE4ELNS1_11target_archE910ELNS1_3gpuE8ELNS1_3repE0EEENS1_38merge_mergepath_config_static_selectorELNS0_4arch9wavefront6targetE1EEEvSF_
    .private_segment_fixed_size: 0
    .sgpr_count:     30
    .sgpr_spill_count: 0
    .symbol:         _ZN7rocprim17ROCPRIM_400000_NS6detail17trampoline_kernelINS0_14default_configENS1_38merge_sort_block_merge_config_selectorIcNS0_10empty_typeEEEZZNS1_27merge_sort_block_merge_implIS3_PcPS5_jNS1_19radix_merge_compareILb1ELb1EcNS0_19identity_decomposerEEEEE10hipError_tT0_T1_T2_jT3_P12ihipStream_tbPNSt15iterator_traitsISE_E10value_typeEPNSK_ISF_E10value_typeEPSG_NS1_7vsmem_tEENKUlT_SE_SF_SG_E_clIS8_S8_S9_S9_EESD_ST_SE_SF_SG_EUlST_E0_NS1_11comp_targetILNS1_3genE4ELNS1_11target_archE910ELNS1_3gpuE8ELNS1_3repE0EEENS1_38merge_mergepath_config_static_selectorELNS0_4arch9wavefront6targetE1EEEvSF_.kd
    .uniform_work_group_size: 1
    .uses_dynamic_stack: false
    .vgpr_count:     28
    .vgpr_spill_count: 0
    .wavefront_size: 64
  - .agpr_count:     0
    .args:
      - .offset:         0
        .size:           64
        .value_kind:     by_value
    .group_segment_fixed_size: 0
    .kernarg_segment_align: 8
    .kernarg_segment_size: 64
    .language:       OpenCL C
    .language_version:
      - 2
      - 0
    .max_flat_workgroup_size: 128
    .name:           _ZN7rocprim17ROCPRIM_400000_NS6detail17trampoline_kernelINS0_14default_configENS1_38merge_sort_block_merge_config_selectorIcNS0_10empty_typeEEEZZNS1_27merge_sort_block_merge_implIS3_PcPS5_jNS1_19radix_merge_compareILb1ELb1EcNS0_19identity_decomposerEEEEE10hipError_tT0_T1_T2_jT3_P12ihipStream_tbPNSt15iterator_traitsISE_E10value_typeEPNSK_ISF_E10value_typeEPSG_NS1_7vsmem_tEENKUlT_SE_SF_SG_E_clIS8_S8_S9_S9_EESD_ST_SE_SF_SG_EUlST_E0_NS1_11comp_targetILNS1_3genE3ELNS1_11target_archE908ELNS1_3gpuE7ELNS1_3repE0EEENS1_38merge_mergepath_config_static_selectorELNS0_4arch9wavefront6targetE1EEEvSF_
    .private_segment_fixed_size: 0
    .sgpr_count:     4
    .sgpr_spill_count: 0
    .symbol:         _ZN7rocprim17ROCPRIM_400000_NS6detail17trampoline_kernelINS0_14default_configENS1_38merge_sort_block_merge_config_selectorIcNS0_10empty_typeEEEZZNS1_27merge_sort_block_merge_implIS3_PcPS5_jNS1_19radix_merge_compareILb1ELb1EcNS0_19identity_decomposerEEEEE10hipError_tT0_T1_T2_jT3_P12ihipStream_tbPNSt15iterator_traitsISE_E10value_typeEPNSK_ISF_E10value_typeEPSG_NS1_7vsmem_tEENKUlT_SE_SF_SG_E_clIS8_S8_S9_S9_EESD_ST_SE_SF_SG_EUlST_E0_NS1_11comp_targetILNS1_3genE3ELNS1_11target_archE908ELNS1_3gpuE7ELNS1_3repE0EEENS1_38merge_mergepath_config_static_selectorELNS0_4arch9wavefront6targetE1EEEvSF_.kd
    .uniform_work_group_size: 1
    .uses_dynamic_stack: false
    .vgpr_count:     0
    .vgpr_spill_count: 0
    .wavefront_size: 64
  - .agpr_count:     0
    .args:
      - .offset:         0
        .size:           64
        .value_kind:     by_value
    .group_segment_fixed_size: 0
    .kernarg_segment_align: 8
    .kernarg_segment_size: 64
    .language:       OpenCL C
    .language_version:
      - 2
      - 0
    .max_flat_workgroup_size: 128
    .name:           _ZN7rocprim17ROCPRIM_400000_NS6detail17trampoline_kernelINS0_14default_configENS1_38merge_sort_block_merge_config_selectorIcNS0_10empty_typeEEEZZNS1_27merge_sort_block_merge_implIS3_PcPS5_jNS1_19radix_merge_compareILb1ELb1EcNS0_19identity_decomposerEEEEE10hipError_tT0_T1_T2_jT3_P12ihipStream_tbPNSt15iterator_traitsISE_E10value_typeEPNSK_ISF_E10value_typeEPSG_NS1_7vsmem_tEENKUlT_SE_SF_SG_E_clIS8_S8_S9_S9_EESD_ST_SE_SF_SG_EUlST_E0_NS1_11comp_targetILNS1_3genE2ELNS1_11target_archE906ELNS1_3gpuE6ELNS1_3repE0EEENS1_38merge_mergepath_config_static_selectorELNS0_4arch9wavefront6targetE1EEEvSF_
    .private_segment_fixed_size: 0
    .sgpr_count:     4
    .sgpr_spill_count: 0
    .symbol:         _ZN7rocprim17ROCPRIM_400000_NS6detail17trampoline_kernelINS0_14default_configENS1_38merge_sort_block_merge_config_selectorIcNS0_10empty_typeEEEZZNS1_27merge_sort_block_merge_implIS3_PcPS5_jNS1_19radix_merge_compareILb1ELb1EcNS0_19identity_decomposerEEEEE10hipError_tT0_T1_T2_jT3_P12ihipStream_tbPNSt15iterator_traitsISE_E10value_typeEPNSK_ISF_E10value_typeEPSG_NS1_7vsmem_tEENKUlT_SE_SF_SG_E_clIS8_S8_S9_S9_EESD_ST_SE_SF_SG_EUlST_E0_NS1_11comp_targetILNS1_3genE2ELNS1_11target_archE906ELNS1_3gpuE6ELNS1_3repE0EEENS1_38merge_mergepath_config_static_selectorELNS0_4arch9wavefront6targetE1EEEvSF_.kd
    .uniform_work_group_size: 1
    .uses_dynamic_stack: false
    .vgpr_count:     0
    .vgpr_spill_count: 0
    .wavefront_size: 64
  - .agpr_count:     0
    .args:
      - .offset:         0
        .size:           64
        .value_kind:     by_value
    .group_segment_fixed_size: 0
    .kernarg_segment_align: 8
    .kernarg_segment_size: 64
    .language:       OpenCL C
    .language_version:
      - 2
      - 0
    .max_flat_workgroup_size: 128
    .name:           _ZN7rocprim17ROCPRIM_400000_NS6detail17trampoline_kernelINS0_14default_configENS1_38merge_sort_block_merge_config_selectorIcNS0_10empty_typeEEEZZNS1_27merge_sort_block_merge_implIS3_PcPS5_jNS1_19radix_merge_compareILb1ELb1EcNS0_19identity_decomposerEEEEE10hipError_tT0_T1_T2_jT3_P12ihipStream_tbPNSt15iterator_traitsISE_E10value_typeEPNSK_ISF_E10value_typeEPSG_NS1_7vsmem_tEENKUlT_SE_SF_SG_E_clIS8_S8_S9_S9_EESD_ST_SE_SF_SG_EUlST_E0_NS1_11comp_targetILNS1_3genE9ELNS1_11target_archE1100ELNS1_3gpuE3ELNS1_3repE0EEENS1_38merge_mergepath_config_static_selectorELNS0_4arch9wavefront6targetE1EEEvSF_
    .private_segment_fixed_size: 0
    .sgpr_count:     4
    .sgpr_spill_count: 0
    .symbol:         _ZN7rocprim17ROCPRIM_400000_NS6detail17trampoline_kernelINS0_14default_configENS1_38merge_sort_block_merge_config_selectorIcNS0_10empty_typeEEEZZNS1_27merge_sort_block_merge_implIS3_PcPS5_jNS1_19radix_merge_compareILb1ELb1EcNS0_19identity_decomposerEEEEE10hipError_tT0_T1_T2_jT3_P12ihipStream_tbPNSt15iterator_traitsISE_E10value_typeEPNSK_ISF_E10value_typeEPSG_NS1_7vsmem_tEENKUlT_SE_SF_SG_E_clIS8_S8_S9_S9_EESD_ST_SE_SF_SG_EUlST_E0_NS1_11comp_targetILNS1_3genE9ELNS1_11target_archE1100ELNS1_3gpuE3ELNS1_3repE0EEENS1_38merge_mergepath_config_static_selectorELNS0_4arch9wavefront6targetE1EEEvSF_.kd
    .uniform_work_group_size: 1
    .uses_dynamic_stack: false
    .vgpr_count:     0
    .vgpr_spill_count: 0
    .wavefront_size: 64
  - .agpr_count:     0
    .args:
      - .offset:         0
        .size:           64
        .value_kind:     by_value
    .group_segment_fixed_size: 0
    .kernarg_segment_align: 8
    .kernarg_segment_size: 64
    .language:       OpenCL C
    .language_version:
      - 2
      - 0
    .max_flat_workgroup_size: 128
    .name:           _ZN7rocprim17ROCPRIM_400000_NS6detail17trampoline_kernelINS0_14default_configENS1_38merge_sort_block_merge_config_selectorIcNS0_10empty_typeEEEZZNS1_27merge_sort_block_merge_implIS3_PcPS5_jNS1_19radix_merge_compareILb1ELb1EcNS0_19identity_decomposerEEEEE10hipError_tT0_T1_T2_jT3_P12ihipStream_tbPNSt15iterator_traitsISE_E10value_typeEPNSK_ISF_E10value_typeEPSG_NS1_7vsmem_tEENKUlT_SE_SF_SG_E_clIS8_S8_S9_S9_EESD_ST_SE_SF_SG_EUlST_E0_NS1_11comp_targetILNS1_3genE8ELNS1_11target_archE1030ELNS1_3gpuE2ELNS1_3repE0EEENS1_38merge_mergepath_config_static_selectorELNS0_4arch9wavefront6targetE1EEEvSF_
    .private_segment_fixed_size: 0
    .sgpr_count:     4
    .sgpr_spill_count: 0
    .symbol:         _ZN7rocprim17ROCPRIM_400000_NS6detail17trampoline_kernelINS0_14default_configENS1_38merge_sort_block_merge_config_selectorIcNS0_10empty_typeEEEZZNS1_27merge_sort_block_merge_implIS3_PcPS5_jNS1_19radix_merge_compareILb1ELb1EcNS0_19identity_decomposerEEEEE10hipError_tT0_T1_T2_jT3_P12ihipStream_tbPNSt15iterator_traitsISE_E10value_typeEPNSK_ISF_E10value_typeEPSG_NS1_7vsmem_tEENKUlT_SE_SF_SG_E_clIS8_S8_S9_S9_EESD_ST_SE_SF_SG_EUlST_E0_NS1_11comp_targetILNS1_3genE8ELNS1_11target_archE1030ELNS1_3gpuE2ELNS1_3repE0EEENS1_38merge_mergepath_config_static_selectorELNS0_4arch9wavefront6targetE1EEEvSF_.kd
    .uniform_work_group_size: 1
    .uses_dynamic_stack: false
    .vgpr_count:     0
    .vgpr_spill_count: 0
    .wavefront_size: 64
  - .agpr_count:     0
    .args:
      - .offset:         0
        .size:           48
        .value_kind:     by_value
    .group_segment_fixed_size: 0
    .kernarg_segment_align: 8
    .kernarg_segment_size: 48
    .language:       OpenCL C
    .language_version:
      - 2
      - 0
    .max_flat_workgroup_size: 256
    .name:           _ZN7rocprim17ROCPRIM_400000_NS6detail17trampoline_kernelINS0_14default_configENS1_38merge_sort_block_merge_config_selectorIcNS0_10empty_typeEEEZZNS1_27merge_sort_block_merge_implIS3_PcPS5_jNS1_19radix_merge_compareILb1ELb1EcNS0_19identity_decomposerEEEEE10hipError_tT0_T1_T2_jT3_P12ihipStream_tbPNSt15iterator_traitsISE_E10value_typeEPNSK_ISF_E10value_typeEPSG_NS1_7vsmem_tEENKUlT_SE_SF_SG_E_clIS8_S8_S9_S9_EESD_ST_SE_SF_SG_EUlST_E1_NS1_11comp_targetILNS1_3genE0ELNS1_11target_archE4294967295ELNS1_3gpuE0ELNS1_3repE0EEENS1_36merge_oddeven_config_static_selectorELNS0_4arch9wavefront6targetE1EEEvSF_
    .private_segment_fixed_size: 0
    .sgpr_count:     4
    .sgpr_spill_count: 0
    .symbol:         _ZN7rocprim17ROCPRIM_400000_NS6detail17trampoline_kernelINS0_14default_configENS1_38merge_sort_block_merge_config_selectorIcNS0_10empty_typeEEEZZNS1_27merge_sort_block_merge_implIS3_PcPS5_jNS1_19radix_merge_compareILb1ELb1EcNS0_19identity_decomposerEEEEE10hipError_tT0_T1_T2_jT3_P12ihipStream_tbPNSt15iterator_traitsISE_E10value_typeEPNSK_ISF_E10value_typeEPSG_NS1_7vsmem_tEENKUlT_SE_SF_SG_E_clIS8_S8_S9_S9_EESD_ST_SE_SF_SG_EUlST_E1_NS1_11comp_targetILNS1_3genE0ELNS1_11target_archE4294967295ELNS1_3gpuE0ELNS1_3repE0EEENS1_36merge_oddeven_config_static_selectorELNS0_4arch9wavefront6targetE1EEEvSF_.kd
    .uniform_work_group_size: 1
    .uses_dynamic_stack: false
    .vgpr_count:     0
    .vgpr_spill_count: 0
    .wavefront_size: 64
  - .agpr_count:     0
    .args:
      - .offset:         0
        .size:           48
        .value_kind:     by_value
    .group_segment_fixed_size: 0
    .kernarg_segment_align: 8
    .kernarg_segment_size: 48
    .language:       OpenCL C
    .language_version:
      - 2
      - 0
    .max_flat_workgroup_size: 256
    .name:           _ZN7rocprim17ROCPRIM_400000_NS6detail17trampoline_kernelINS0_14default_configENS1_38merge_sort_block_merge_config_selectorIcNS0_10empty_typeEEEZZNS1_27merge_sort_block_merge_implIS3_PcPS5_jNS1_19radix_merge_compareILb1ELb1EcNS0_19identity_decomposerEEEEE10hipError_tT0_T1_T2_jT3_P12ihipStream_tbPNSt15iterator_traitsISE_E10value_typeEPNSK_ISF_E10value_typeEPSG_NS1_7vsmem_tEENKUlT_SE_SF_SG_E_clIS8_S8_S9_S9_EESD_ST_SE_SF_SG_EUlST_E1_NS1_11comp_targetILNS1_3genE10ELNS1_11target_archE1201ELNS1_3gpuE5ELNS1_3repE0EEENS1_36merge_oddeven_config_static_selectorELNS0_4arch9wavefront6targetE1EEEvSF_
    .private_segment_fixed_size: 0
    .sgpr_count:     4
    .sgpr_spill_count: 0
    .symbol:         _ZN7rocprim17ROCPRIM_400000_NS6detail17trampoline_kernelINS0_14default_configENS1_38merge_sort_block_merge_config_selectorIcNS0_10empty_typeEEEZZNS1_27merge_sort_block_merge_implIS3_PcPS5_jNS1_19radix_merge_compareILb1ELb1EcNS0_19identity_decomposerEEEEE10hipError_tT0_T1_T2_jT3_P12ihipStream_tbPNSt15iterator_traitsISE_E10value_typeEPNSK_ISF_E10value_typeEPSG_NS1_7vsmem_tEENKUlT_SE_SF_SG_E_clIS8_S8_S9_S9_EESD_ST_SE_SF_SG_EUlST_E1_NS1_11comp_targetILNS1_3genE10ELNS1_11target_archE1201ELNS1_3gpuE5ELNS1_3repE0EEENS1_36merge_oddeven_config_static_selectorELNS0_4arch9wavefront6targetE1EEEvSF_.kd
    .uniform_work_group_size: 1
    .uses_dynamic_stack: false
    .vgpr_count:     0
    .vgpr_spill_count: 0
    .wavefront_size: 64
  - .agpr_count:     0
    .args:
      - .offset:         0
        .size:           48
        .value_kind:     by_value
    .group_segment_fixed_size: 0
    .kernarg_segment_align: 8
    .kernarg_segment_size: 48
    .language:       OpenCL C
    .language_version:
      - 2
      - 0
    .max_flat_workgroup_size: 256
    .name:           _ZN7rocprim17ROCPRIM_400000_NS6detail17trampoline_kernelINS0_14default_configENS1_38merge_sort_block_merge_config_selectorIcNS0_10empty_typeEEEZZNS1_27merge_sort_block_merge_implIS3_PcPS5_jNS1_19radix_merge_compareILb1ELb1EcNS0_19identity_decomposerEEEEE10hipError_tT0_T1_T2_jT3_P12ihipStream_tbPNSt15iterator_traitsISE_E10value_typeEPNSK_ISF_E10value_typeEPSG_NS1_7vsmem_tEENKUlT_SE_SF_SG_E_clIS8_S8_S9_S9_EESD_ST_SE_SF_SG_EUlST_E1_NS1_11comp_targetILNS1_3genE5ELNS1_11target_archE942ELNS1_3gpuE9ELNS1_3repE0EEENS1_36merge_oddeven_config_static_selectorELNS0_4arch9wavefront6targetE1EEEvSF_
    .private_segment_fixed_size: 0
    .sgpr_count:     4
    .sgpr_spill_count: 0
    .symbol:         _ZN7rocprim17ROCPRIM_400000_NS6detail17trampoline_kernelINS0_14default_configENS1_38merge_sort_block_merge_config_selectorIcNS0_10empty_typeEEEZZNS1_27merge_sort_block_merge_implIS3_PcPS5_jNS1_19radix_merge_compareILb1ELb1EcNS0_19identity_decomposerEEEEE10hipError_tT0_T1_T2_jT3_P12ihipStream_tbPNSt15iterator_traitsISE_E10value_typeEPNSK_ISF_E10value_typeEPSG_NS1_7vsmem_tEENKUlT_SE_SF_SG_E_clIS8_S8_S9_S9_EESD_ST_SE_SF_SG_EUlST_E1_NS1_11comp_targetILNS1_3genE5ELNS1_11target_archE942ELNS1_3gpuE9ELNS1_3repE0EEENS1_36merge_oddeven_config_static_selectorELNS0_4arch9wavefront6targetE1EEEvSF_.kd
    .uniform_work_group_size: 1
    .uses_dynamic_stack: false
    .vgpr_count:     0
    .vgpr_spill_count: 0
    .wavefront_size: 64
  - .agpr_count:     0
    .args:
      - .offset:         0
        .size:           48
        .value_kind:     by_value
    .group_segment_fixed_size: 0
    .kernarg_segment_align: 8
    .kernarg_segment_size: 48
    .language:       OpenCL C
    .language_version:
      - 2
      - 0
    .max_flat_workgroup_size: 256
    .name:           _ZN7rocprim17ROCPRIM_400000_NS6detail17trampoline_kernelINS0_14default_configENS1_38merge_sort_block_merge_config_selectorIcNS0_10empty_typeEEEZZNS1_27merge_sort_block_merge_implIS3_PcPS5_jNS1_19radix_merge_compareILb1ELb1EcNS0_19identity_decomposerEEEEE10hipError_tT0_T1_T2_jT3_P12ihipStream_tbPNSt15iterator_traitsISE_E10value_typeEPNSK_ISF_E10value_typeEPSG_NS1_7vsmem_tEENKUlT_SE_SF_SG_E_clIS8_S8_S9_S9_EESD_ST_SE_SF_SG_EUlST_E1_NS1_11comp_targetILNS1_3genE4ELNS1_11target_archE910ELNS1_3gpuE8ELNS1_3repE0EEENS1_36merge_oddeven_config_static_selectorELNS0_4arch9wavefront6targetE1EEEvSF_
    .private_segment_fixed_size: 0
    .sgpr_count:     26
    .sgpr_spill_count: 0
    .symbol:         _ZN7rocprim17ROCPRIM_400000_NS6detail17trampoline_kernelINS0_14default_configENS1_38merge_sort_block_merge_config_selectorIcNS0_10empty_typeEEEZZNS1_27merge_sort_block_merge_implIS3_PcPS5_jNS1_19radix_merge_compareILb1ELb1EcNS0_19identity_decomposerEEEEE10hipError_tT0_T1_T2_jT3_P12ihipStream_tbPNSt15iterator_traitsISE_E10value_typeEPNSK_ISF_E10value_typeEPSG_NS1_7vsmem_tEENKUlT_SE_SF_SG_E_clIS8_S8_S9_S9_EESD_ST_SE_SF_SG_EUlST_E1_NS1_11comp_targetILNS1_3genE4ELNS1_11target_archE910ELNS1_3gpuE8ELNS1_3repE0EEENS1_36merge_oddeven_config_static_selectorELNS0_4arch9wavefront6targetE1EEEvSF_.kd
    .uniform_work_group_size: 1
    .uses_dynamic_stack: false
    .vgpr_count:     9
    .vgpr_spill_count: 0
    .wavefront_size: 64
  - .agpr_count:     0
    .args:
      - .offset:         0
        .size:           48
        .value_kind:     by_value
    .group_segment_fixed_size: 0
    .kernarg_segment_align: 8
    .kernarg_segment_size: 48
    .language:       OpenCL C
    .language_version:
      - 2
      - 0
    .max_flat_workgroup_size: 256
    .name:           _ZN7rocprim17ROCPRIM_400000_NS6detail17trampoline_kernelINS0_14default_configENS1_38merge_sort_block_merge_config_selectorIcNS0_10empty_typeEEEZZNS1_27merge_sort_block_merge_implIS3_PcPS5_jNS1_19radix_merge_compareILb1ELb1EcNS0_19identity_decomposerEEEEE10hipError_tT0_T1_T2_jT3_P12ihipStream_tbPNSt15iterator_traitsISE_E10value_typeEPNSK_ISF_E10value_typeEPSG_NS1_7vsmem_tEENKUlT_SE_SF_SG_E_clIS8_S8_S9_S9_EESD_ST_SE_SF_SG_EUlST_E1_NS1_11comp_targetILNS1_3genE3ELNS1_11target_archE908ELNS1_3gpuE7ELNS1_3repE0EEENS1_36merge_oddeven_config_static_selectorELNS0_4arch9wavefront6targetE1EEEvSF_
    .private_segment_fixed_size: 0
    .sgpr_count:     4
    .sgpr_spill_count: 0
    .symbol:         _ZN7rocprim17ROCPRIM_400000_NS6detail17trampoline_kernelINS0_14default_configENS1_38merge_sort_block_merge_config_selectorIcNS0_10empty_typeEEEZZNS1_27merge_sort_block_merge_implIS3_PcPS5_jNS1_19radix_merge_compareILb1ELb1EcNS0_19identity_decomposerEEEEE10hipError_tT0_T1_T2_jT3_P12ihipStream_tbPNSt15iterator_traitsISE_E10value_typeEPNSK_ISF_E10value_typeEPSG_NS1_7vsmem_tEENKUlT_SE_SF_SG_E_clIS8_S8_S9_S9_EESD_ST_SE_SF_SG_EUlST_E1_NS1_11comp_targetILNS1_3genE3ELNS1_11target_archE908ELNS1_3gpuE7ELNS1_3repE0EEENS1_36merge_oddeven_config_static_selectorELNS0_4arch9wavefront6targetE1EEEvSF_.kd
    .uniform_work_group_size: 1
    .uses_dynamic_stack: false
    .vgpr_count:     0
    .vgpr_spill_count: 0
    .wavefront_size: 64
  - .agpr_count:     0
    .args:
      - .offset:         0
        .size:           48
        .value_kind:     by_value
    .group_segment_fixed_size: 0
    .kernarg_segment_align: 8
    .kernarg_segment_size: 48
    .language:       OpenCL C
    .language_version:
      - 2
      - 0
    .max_flat_workgroup_size: 256
    .name:           _ZN7rocprim17ROCPRIM_400000_NS6detail17trampoline_kernelINS0_14default_configENS1_38merge_sort_block_merge_config_selectorIcNS0_10empty_typeEEEZZNS1_27merge_sort_block_merge_implIS3_PcPS5_jNS1_19radix_merge_compareILb1ELb1EcNS0_19identity_decomposerEEEEE10hipError_tT0_T1_T2_jT3_P12ihipStream_tbPNSt15iterator_traitsISE_E10value_typeEPNSK_ISF_E10value_typeEPSG_NS1_7vsmem_tEENKUlT_SE_SF_SG_E_clIS8_S8_S9_S9_EESD_ST_SE_SF_SG_EUlST_E1_NS1_11comp_targetILNS1_3genE2ELNS1_11target_archE906ELNS1_3gpuE6ELNS1_3repE0EEENS1_36merge_oddeven_config_static_selectorELNS0_4arch9wavefront6targetE1EEEvSF_
    .private_segment_fixed_size: 0
    .sgpr_count:     4
    .sgpr_spill_count: 0
    .symbol:         _ZN7rocprim17ROCPRIM_400000_NS6detail17trampoline_kernelINS0_14default_configENS1_38merge_sort_block_merge_config_selectorIcNS0_10empty_typeEEEZZNS1_27merge_sort_block_merge_implIS3_PcPS5_jNS1_19radix_merge_compareILb1ELb1EcNS0_19identity_decomposerEEEEE10hipError_tT0_T1_T2_jT3_P12ihipStream_tbPNSt15iterator_traitsISE_E10value_typeEPNSK_ISF_E10value_typeEPSG_NS1_7vsmem_tEENKUlT_SE_SF_SG_E_clIS8_S8_S9_S9_EESD_ST_SE_SF_SG_EUlST_E1_NS1_11comp_targetILNS1_3genE2ELNS1_11target_archE906ELNS1_3gpuE6ELNS1_3repE0EEENS1_36merge_oddeven_config_static_selectorELNS0_4arch9wavefront6targetE1EEEvSF_.kd
    .uniform_work_group_size: 1
    .uses_dynamic_stack: false
    .vgpr_count:     0
    .vgpr_spill_count: 0
    .wavefront_size: 64
  - .agpr_count:     0
    .args:
      - .offset:         0
        .size:           48
        .value_kind:     by_value
    .group_segment_fixed_size: 0
    .kernarg_segment_align: 8
    .kernarg_segment_size: 48
    .language:       OpenCL C
    .language_version:
      - 2
      - 0
    .max_flat_workgroup_size: 256
    .name:           _ZN7rocprim17ROCPRIM_400000_NS6detail17trampoline_kernelINS0_14default_configENS1_38merge_sort_block_merge_config_selectorIcNS0_10empty_typeEEEZZNS1_27merge_sort_block_merge_implIS3_PcPS5_jNS1_19radix_merge_compareILb1ELb1EcNS0_19identity_decomposerEEEEE10hipError_tT0_T1_T2_jT3_P12ihipStream_tbPNSt15iterator_traitsISE_E10value_typeEPNSK_ISF_E10value_typeEPSG_NS1_7vsmem_tEENKUlT_SE_SF_SG_E_clIS8_S8_S9_S9_EESD_ST_SE_SF_SG_EUlST_E1_NS1_11comp_targetILNS1_3genE9ELNS1_11target_archE1100ELNS1_3gpuE3ELNS1_3repE0EEENS1_36merge_oddeven_config_static_selectorELNS0_4arch9wavefront6targetE1EEEvSF_
    .private_segment_fixed_size: 0
    .sgpr_count:     4
    .sgpr_spill_count: 0
    .symbol:         _ZN7rocprim17ROCPRIM_400000_NS6detail17trampoline_kernelINS0_14default_configENS1_38merge_sort_block_merge_config_selectorIcNS0_10empty_typeEEEZZNS1_27merge_sort_block_merge_implIS3_PcPS5_jNS1_19radix_merge_compareILb1ELb1EcNS0_19identity_decomposerEEEEE10hipError_tT0_T1_T2_jT3_P12ihipStream_tbPNSt15iterator_traitsISE_E10value_typeEPNSK_ISF_E10value_typeEPSG_NS1_7vsmem_tEENKUlT_SE_SF_SG_E_clIS8_S8_S9_S9_EESD_ST_SE_SF_SG_EUlST_E1_NS1_11comp_targetILNS1_3genE9ELNS1_11target_archE1100ELNS1_3gpuE3ELNS1_3repE0EEENS1_36merge_oddeven_config_static_selectorELNS0_4arch9wavefront6targetE1EEEvSF_.kd
    .uniform_work_group_size: 1
    .uses_dynamic_stack: false
    .vgpr_count:     0
    .vgpr_spill_count: 0
    .wavefront_size: 64
  - .agpr_count:     0
    .args:
      - .offset:         0
        .size:           48
        .value_kind:     by_value
    .group_segment_fixed_size: 0
    .kernarg_segment_align: 8
    .kernarg_segment_size: 48
    .language:       OpenCL C
    .language_version:
      - 2
      - 0
    .max_flat_workgroup_size: 256
    .name:           _ZN7rocprim17ROCPRIM_400000_NS6detail17trampoline_kernelINS0_14default_configENS1_38merge_sort_block_merge_config_selectorIcNS0_10empty_typeEEEZZNS1_27merge_sort_block_merge_implIS3_PcPS5_jNS1_19radix_merge_compareILb1ELb1EcNS0_19identity_decomposerEEEEE10hipError_tT0_T1_T2_jT3_P12ihipStream_tbPNSt15iterator_traitsISE_E10value_typeEPNSK_ISF_E10value_typeEPSG_NS1_7vsmem_tEENKUlT_SE_SF_SG_E_clIS8_S8_S9_S9_EESD_ST_SE_SF_SG_EUlST_E1_NS1_11comp_targetILNS1_3genE8ELNS1_11target_archE1030ELNS1_3gpuE2ELNS1_3repE0EEENS1_36merge_oddeven_config_static_selectorELNS0_4arch9wavefront6targetE1EEEvSF_
    .private_segment_fixed_size: 0
    .sgpr_count:     4
    .sgpr_spill_count: 0
    .symbol:         _ZN7rocprim17ROCPRIM_400000_NS6detail17trampoline_kernelINS0_14default_configENS1_38merge_sort_block_merge_config_selectorIcNS0_10empty_typeEEEZZNS1_27merge_sort_block_merge_implIS3_PcPS5_jNS1_19radix_merge_compareILb1ELb1EcNS0_19identity_decomposerEEEEE10hipError_tT0_T1_T2_jT3_P12ihipStream_tbPNSt15iterator_traitsISE_E10value_typeEPNSK_ISF_E10value_typeEPSG_NS1_7vsmem_tEENKUlT_SE_SF_SG_E_clIS8_S8_S9_S9_EESD_ST_SE_SF_SG_EUlST_E1_NS1_11comp_targetILNS1_3genE8ELNS1_11target_archE1030ELNS1_3gpuE2ELNS1_3repE0EEENS1_36merge_oddeven_config_static_selectorELNS0_4arch9wavefront6targetE1EEEvSF_.kd
    .uniform_work_group_size: 1
    .uses_dynamic_stack: false
    .vgpr_count:     0
    .vgpr_spill_count: 0
    .wavefront_size: 64
  - .agpr_count:     0
    .args:
      - .offset:         0
        .size:           48
        .value_kind:     by_value
    .group_segment_fixed_size: 0
    .kernarg_segment_align: 8
    .kernarg_segment_size: 48
    .language:       OpenCL C
    .language_version:
      - 2
      - 0
    .max_flat_workgroup_size: 1024
    .name:           _ZN7rocprim17ROCPRIM_400000_NS6detail17trampoline_kernelINS0_14default_configENS1_35radix_sort_onesweep_config_selectorIcNS0_10empty_typeEEEZNS1_34radix_sort_onesweep_global_offsetsIS3_Lb1EPcPS5_mNS0_19identity_decomposerEEE10hipError_tT1_T2_PT3_SE_jT4_jjP12ihipStream_tbEUlT_E_NS1_11comp_targetILNS1_3genE0ELNS1_11target_archE4294967295ELNS1_3gpuE0ELNS1_3repE0EEENS1_52radix_sort_onesweep_histogram_config_static_selectorELNS0_4arch9wavefront6targetE1EEEvSC_
    .private_segment_fixed_size: 0
    .sgpr_count:     4
    .sgpr_spill_count: 0
    .symbol:         _ZN7rocprim17ROCPRIM_400000_NS6detail17trampoline_kernelINS0_14default_configENS1_35radix_sort_onesweep_config_selectorIcNS0_10empty_typeEEEZNS1_34radix_sort_onesweep_global_offsetsIS3_Lb1EPcPS5_mNS0_19identity_decomposerEEE10hipError_tT1_T2_PT3_SE_jT4_jjP12ihipStream_tbEUlT_E_NS1_11comp_targetILNS1_3genE0ELNS1_11target_archE4294967295ELNS1_3gpuE0ELNS1_3repE0EEENS1_52radix_sort_onesweep_histogram_config_static_selectorELNS0_4arch9wavefront6targetE1EEEvSC_.kd
    .uniform_work_group_size: 1
    .uses_dynamic_stack: false
    .vgpr_count:     0
    .vgpr_spill_count: 0
    .wavefront_size: 64
  - .agpr_count:     0
    .args:
      - .offset:         0
        .size:           48
        .value_kind:     by_value
    .group_segment_fixed_size: 0
    .kernarg_segment_align: 8
    .kernarg_segment_size: 48
    .language:       OpenCL C
    .language_version:
      - 2
      - 0
    .max_flat_workgroup_size: 1024
    .name:           _ZN7rocprim17ROCPRIM_400000_NS6detail17trampoline_kernelINS0_14default_configENS1_35radix_sort_onesweep_config_selectorIcNS0_10empty_typeEEEZNS1_34radix_sort_onesweep_global_offsetsIS3_Lb1EPcPS5_mNS0_19identity_decomposerEEE10hipError_tT1_T2_PT3_SE_jT4_jjP12ihipStream_tbEUlT_E_NS1_11comp_targetILNS1_3genE6ELNS1_11target_archE950ELNS1_3gpuE13ELNS1_3repE0EEENS1_52radix_sort_onesweep_histogram_config_static_selectorELNS0_4arch9wavefront6targetE1EEEvSC_
    .private_segment_fixed_size: 0
    .sgpr_count:     4
    .sgpr_spill_count: 0
    .symbol:         _ZN7rocprim17ROCPRIM_400000_NS6detail17trampoline_kernelINS0_14default_configENS1_35radix_sort_onesweep_config_selectorIcNS0_10empty_typeEEEZNS1_34radix_sort_onesweep_global_offsetsIS3_Lb1EPcPS5_mNS0_19identity_decomposerEEE10hipError_tT1_T2_PT3_SE_jT4_jjP12ihipStream_tbEUlT_E_NS1_11comp_targetILNS1_3genE6ELNS1_11target_archE950ELNS1_3gpuE13ELNS1_3repE0EEENS1_52radix_sort_onesweep_histogram_config_static_selectorELNS0_4arch9wavefront6targetE1EEEvSC_.kd
    .uniform_work_group_size: 1
    .uses_dynamic_stack: false
    .vgpr_count:     0
    .vgpr_spill_count: 0
    .wavefront_size: 64
  - .agpr_count:     0
    .args:
      - .offset:         0
        .size:           48
        .value_kind:     by_value
    .group_segment_fixed_size: 0
    .kernarg_segment_align: 8
    .kernarg_segment_size: 48
    .language:       OpenCL C
    .language_version:
      - 2
      - 0
    .max_flat_workgroup_size: 1024
    .name:           _ZN7rocprim17ROCPRIM_400000_NS6detail17trampoline_kernelINS0_14default_configENS1_35radix_sort_onesweep_config_selectorIcNS0_10empty_typeEEEZNS1_34radix_sort_onesweep_global_offsetsIS3_Lb1EPcPS5_mNS0_19identity_decomposerEEE10hipError_tT1_T2_PT3_SE_jT4_jjP12ihipStream_tbEUlT_E_NS1_11comp_targetILNS1_3genE5ELNS1_11target_archE942ELNS1_3gpuE9ELNS1_3repE0EEENS1_52radix_sort_onesweep_histogram_config_static_selectorELNS0_4arch9wavefront6targetE1EEEvSC_
    .private_segment_fixed_size: 0
    .sgpr_count:     4
    .sgpr_spill_count: 0
    .symbol:         _ZN7rocprim17ROCPRIM_400000_NS6detail17trampoline_kernelINS0_14default_configENS1_35radix_sort_onesweep_config_selectorIcNS0_10empty_typeEEEZNS1_34radix_sort_onesweep_global_offsetsIS3_Lb1EPcPS5_mNS0_19identity_decomposerEEE10hipError_tT1_T2_PT3_SE_jT4_jjP12ihipStream_tbEUlT_E_NS1_11comp_targetILNS1_3genE5ELNS1_11target_archE942ELNS1_3gpuE9ELNS1_3repE0EEENS1_52radix_sort_onesweep_histogram_config_static_selectorELNS0_4arch9wavefront6targetE1EEEvSC_.kd
    .uniform_work_group_size: 1
    .uses_dynamic_stack: false
    .vgpr_count:     0
    .vgpr_spill_count: 0
    .wavefront_size: 64
  - .agpr_count:     0
    .args:
      - .offset:         0
        .size:           48
        .value_kind:     by_value
    .group_segment_fixed_size: 0
    .kernarg_segment_align: 8
    .kernarg_segment_size: 48
    .language:       OpenCL C
    .language_version:
      - 2
      - 0
    .max_flat_workgroup_size: 512
    .name:           _ZN7rocprim17ROCPRIM_400000_NS6detail17trampoline_kernelINS0_14default_configENS1_35radix_sort_onesweep_config_selectorIcNS0_10empty_typeEEEZNS1_34radix_sort_onesweep_global_offsetsIS3_Lb1EPcPS5_mNS0_19identity_decomposerEEE10hipError_tT1_T2_PT3_SE_jT4_jjP12ihipStream_tbEUlT_E_NS1_11comp_targetILNS1_3genE2ELNS1_11target_archE906ELNS1_3gpuE6ELNS1_3repE0EEENS1_52radix_sort_onesweep_histogram_config_static_selectorELNS0_4arch9wavefront6targetE1EEEvSC_
    .private_segment_fixed_size: 0
    .sgpr_count:     4
    .sgpr_spill_count: 0
    .symbol:         _ZN7rocprim17ROCPRIM_400000_NS6detail17trampoline_kernelINS0_14default_configENS1_35radix_sort_onesweep_config_selectorIcNS0_10empty_typeEEEZNS1_34radix_sort_onesweep_global_offsetsIS3_Lb1EPcPS5_mNS0_19identity_decomposerEEE10hipError_tT1_T2_PT3_SE_jT4_jjP12ihipStream_tbEUlT_E_NS1_11comp_targetILNS1_3genE2ELNS1_11target_archE906ELNS1_3gpuE6ELNS1_3repE0EEENS1_52radix_sort_onesweep_histogram_config_static_selectorELNS0_4arch9wavefront6targetE1EEEvSC_.kd
    .uniform_work_group_size: 1
    .uses_dynamic_stack: false
    .vgpr_count:     0
    .vgpr_spill_count: 0
    .wavefront_size: 64
  - .agpr_count:     0
    .args:
      - .offset:         0
        .size:           48
        .value_kind:     by_value
    .group_segment_fixed_size: 512
    .kernarg_segment_align: 8
    .kernarg_segment_size: 48
    .language:       OpenCL C
    .language_version:
      - 2
      - 0
    .max_flat_workgroup_size: 512
    .name:           _ZN7rocprim17ROCPRIM_400000_NS6detail17trampoline_kernelINS0_14default_configENS1_35radix_sort_onesweep_config_selectorIcNS0_10empty_typeEEEZNS1_34radix_sort_onesweep_global_offsetsIS3_Lb1EPcPS5_mNS0_19identity_decomposerEEE10hipError_tT1_T2_PT3_SE_jT4_jjP12ihipStream_tbEUlT_E_NS1_11comp_targetILNS1_3genE4ELNS1_11target_archE910ELNS1_3gpuE8ELNS1_3repE0EEENS1_52radix_sort_onesweep_histogram_config_static_selectorELNS0_4arch9wavefront6targetE1EEEvSC_
    .private_segment_fixed_size: 0
    .sgpr_count:     22
    .sgpr_spill_count: 0
    .symbol:         _ZN7rocprim17ROCPRIM_400000_NS6detail17trampoline_kernelINS0_14default_configENS1_35radix_sort_onesweep_config_selectorIcNS0_10empty_typeEEEZNS1_34radix_sort_onesweep_global_offsetsIS3_Lb1EPcPS5_mNS0_19identity_decomposerEEE10hipError_tT1_T2_PT3_SE_jT4_jjP12ihipStream_tbEUlT_E_NS1_11comp_targetILNS1_3genE4ELNS1_11target_archE910ELNS1_3gpuE8ELNS1_3repE0EEENS1_52radix_sort_onesweep_histogram_config_static_selectorELNS0_4arch9wavefront6targetE1EEEvSC_.kd
    .uniform_work_group_size: 1
    .uses_dynamic_stack: false
    .vgpr_count:     47
    .vgpr_spill_count: 0
    .wavefront_size: 64
  - .agpr_count:     0
    .args:
      - .offset:         0
        .size:           48
        .value_kind:     by_value
    .group_segment_fixed_size: 0
    .kernarg_segment_align: 8
    .kernarg_segment_size: 48
    .language:       OpenCL C
    .language_version:
      - 2
      - 0
    .max_flat_workgroup_size: 1024
    .name:           _ZN7rocprim17ROCPRIM_400000_NS6detail17trampoline_kernelINS0_14default_configENS1_35radix_sort_onesweep_config_selectorIcNS0_10empty_typeEEEZNS1_34radix_sort_onesweep_global_offsetsIS3_Lb1EPcPS5_mNS0_19identity_decomposerEEE10hipError_tT1_T2_PT3_SE_jT4_jjP12ihipStream_tbEUlT_E_NS1_11comp_targetILNS1_3genE3ELNS1_11target_archE908ELNS1_3gpuE7ELNS1_3repE0EEENS1_52radix_sort_onesweep_histogram_config_static_selectorELNS0_4arch9wavefront6targetE1EEEvSC_
    .private_segment_fixed_size: 0
    .sgpr_count:     4
    .sgpr_spill_count: 0
    .symbol:         _ZN7rocprim17ROCPRIM_400000_NS6detail17trampoline_kernelINS0_14default_configENS1_35radix_sort_onesweep_config_selectorIcNS0_10empty_typeEEEZNS1_34radix_sort_onesweep_global_offsetsIS3_Lb1EPcPS5_mNS0_19identity_decomposerEEE10hipError_tT1_T2_PT3_SE_jT4_jjP12ihipStream_tbEUlT_E_NS1_11comp_targetILNS1_3genE3ELNS1_11target_archE908ELNS1_3gpuE7ELNS1_3repE0EEENS1_52radix_sort_onesweep_histogram_config_static_selectorELNS0_4arch9wavefront6targetE1EEEvSC_.kd
    .uniform_work_group_size: 1
    .uses_dynamic_stack: false
    .vgpr_count:     0
    .vgpr_spill_count: 0
    .wavefront_size: 64
  - .agpr_count:     0
    .args:
      - .offset:         0
        .size:           48
        .value_kind:     by_value
    .group_segment_fixed_size: 0
    .kernarg_segment_align: 8
    .kernarg_segment_size: 48
    .language:       OpenCL C
    .language_version:
      - 2
      - 0
    .max_flat_workgroup_size: 256
    .name:           _ZN7rocprim17ROCPRIM_400000_NS6detail17trampoline_kernelINS0_14default_configENS1_35radix_sort_onesweep_config_selectorIcNS0_10empty_typeEEEZNS1_34radix_sort_onesweep_global_offsetsIS3_Lb1EPcPS5_mNS0_19identity_decomposerEEE10hipError_tT1_T2_PT3_SE_jT4_jjP12ihipStream_tbEUlT_E_NS1_11comp_targetILNS1_3genE10ELNS1_11target_archE1201ELNS1_3gpuE5ELNS1_3repE0EEENS1_52radix_sort_onesweep_histogram_config_static_selectorELNS0_4arch9wavefront6targetE1EEEvSC_
    .private_segment_fixed_size: 0
    .sgpr_count:     4
    .sgpr_spill_count: 0
    .symbol:         _ZN7rocprim17ROCPRIM_400000_NS6detail17trampoline_kernelINS0_14default_configENS1_35radix_sort_onesweep_config_selectorIcNS0_10empty_typeEEEZNS1_34radix_sort_onesweep_global_offsetsIS3_Lb1EPcPS5_mNS0_19identity_decomposerEEE10hipError_tT1_T2_PT3_SE_jT4_jjP12ihipStream_tbEUlT_E_NS1_11comp_targetILNS1_3genE10ELNS1_11target_archE1201ELNS1_3gpuE5ELNS1_3repE0EEENS1_52radix_sort_onesweep_histogram_config_static_selectorELNS0_4arch9wavefront6targetE1EEEvSC_.kd
    .uniform_work_group_size: 1
    .uses_dynamic_stack: false
    .vgpr_count:     0
    .vgpr_spill_count: 0
    .wavefront_size: 64
  - .agpr_count:     0
    .args:
      - .offset:         0
        .size:           48
        .value_kind:     by_value
    .group_segment_fixed_size: 0
    .kernarg_segment_align: 8
    .kernarg_segment_size: 48
    .language:       OpenCL C
    .language_version:
      - 2
      - 0
    .max_flat_workgroup_size: 256
    .name:           _ZN7rocprim17ROCPRIM_400000_NS6detail17trampoline_kernelINS0_14default_configENS1_35radix_sort_onesweep_config_selectorIcNS0_10empty_typeEEEZNS1_34radix_sort_onesweep_global_offsetsIS3_Lb1EPcPS5_mNS0_19identity_decomposerEEE10hipError_tT1_T2_PT3_SE_jT4_jjP12ihipStream_tbEUlT_E_NS1_11comp_targetILNS1_3genE9ELNS1_11target_archE1100ELNS1_3gpuE3ELNS1_3repE0EEENS1_52radix_sort_onesweep_histogram_config_static_selectorELNS0_4arch9wavefront6targetE1EEEvSC_
    .private_segment_fixed_size: 0
    .sgpr_count:     4
    .sgpr_spill_count: 0
    .symbol:         _ZN7rocprim17ROCPRIM_400000_NS6detail17trampoline_kernelINS0_14default_configENS1_35radix_sort_onesweep_config_selectorIcNS0_10empty_typeEEEZNS1_34radix_sort_onesweep_global_offsetsIS3_Lb1EPcPS5_mNS0_19identity_decomposerEEE10hipError_tT1_T2_PT3_SE_jT4_jjP12ihipStream_tbEUlT_E_NS1_11comp_targetILNS1_3genE9ELNS1_11target_archE1100ELNS1_3gpuE3ELNS1_3repE0EEENS1_52radix_sort_onesweep_histogram_config_static_selectorELNS0_4arch9wavefront6targetE1EEEvSC_.kd
    .uniform_work_group_size: 1
    .uses_dynamic_stack: false
    .vgpr_count:     0
    .vgpr_spill_count: 0
    .wavefront_size: 64
  - .agpr_count:     0
    .args:
      - .offset:         0
        .size:           48
        .value_kind:     by_value
    .group_segment_fixed_size: 0
    .kernarg_segment_align: 8
    .kernarg_segment_size: 48
    .language:       OpenCL C
    .language_version:
      - 2
      - 0
    .max_flat_workgroup_size: 256
    .name:           _ZN7rocprim17ROCPRIM_400000_NS6detail17trampoline_kernelINS0_14default_configENS1_35radix_sort_onesweep_config_selectorIcNS0_10empty_typeEEEZNS1_34radix_sort_onesweep_global_offsetsIS3_Lb1EPcPS5_mNS0_19identity_decomposerEEE10hipError_tT1_T2_PT3_SE_jT4_jjP12ihipStream_tbEUlT_E_NS1_11comp_targetILNS1_3genE8ELNS1_11target_archE1030ELNS1_3gpuE2ELNS1_3repE0EEENS1_52radix_sort_onesweep_histogram_config_static_selectorELNS0_4arch9wavefront6targetE1EEEvSC_
    .private_segment_fixed_size: 0
    .sgpr_count:     4
    .sgpr_spill_count: 0
    .symbol:         _ZN7rocprim17ROCPRIM_400000_NS6detail17trampoline_kernelINS0_14default_configENS1_35radix_sort_onesweep_config_selectorIcNS0_10empty_typeEEEZNS1_34radix_sort_onesweep_global_offsetsIS3_Lb1EPcPS5_mNS0_19identity_decomposerEEE10hipError_tT1_T2_PT3_SE_jT4_jjP12ihipStream_tbEUlT_E_NS1_11comp_targetILNS1_3genE8ELNS1_11target_archE1030ELNS1_3gpuE2ELNS1_3repE0EEENS1_52radix_sort_onesweep_histogram_config_static_selectorELNS0_4arch9wavefront6targetE1EEEvSC_.kd
    .uniform_work_group_size: 1
    .uses_dynamic_stack: false
    .vgpr_count:     0
    .vgpr_spill_count: 0
    .wavefront_size: 64
  - .agpr_count:     0
    .args:
      - .address_space:  global
        .offset:         0
        .size:           8
        .value_kind:     global_buffer
    .group_segment_fixed_size: 0
    .kernarg_segment_align: 8
    .kernarg_segment_size: 8
    .language:       OpenCL C
    .language_version:
      - 2
      - 0
    .max_flat_workgroup_size: 1024
    .name:           _ZN7rocprim17ROCPRIM_400000_NS6detail17trampoline_kernelINS0_14default_configENS1_35radix_sort_onesweep_config_selectorIcNS0_10empty_typeEEEZNS1_34radix_sort_onesweep_global_offsetsIS3_Lb1EPcPS5_mNS0_19identity_decomposerEEE10hipError_tT1_T2_PT3_SE_jT4_jjP12ihipStream_tbEUlT_E0_NS1_11comp_targetILNS1_3genE0ELNS1_11target_archE4294967295ELNS1_3gpuE0ELNS1_3repE0EEENS1_52radix_sort_onesweep_histogram_config_static_selectorELNS0_4arch9wavefront6targetE1EEEvSC_
    .private_segment_fixed_size: 0
    .sgpr_count:     4
    .sgpr_spill_count: 0
    .symbol:         _ZN7rocprim17ROCPRIM_400000_NS6detail17trampoline_kernelINS0_14default_configENS1_35radix_sort_onesweep_config_selectorIcNS0_10empty_typeEEEZNS1_34radix_sort_onesweep_global_offsetsIS3_Lb1EPcPS5_mNS0_19identity_decomposerEEE10hipError_tT1_T2_PT3_SE_jT4_jjP12ihipStream_tbEUlT_E0_NS1_11comp_targetILNS1_3genE0ELNS1_11target_archE4294967295ELNS1_3gpuE0ELNS1_3repE0EEENS1_52radix_sort_onesweep_histogram_config_static_selectorELNS0_4arch9wavefront6targetE1EEEvSC_.kd
    .uniform_work_group_size: 1
    .uses_dynamic_stack: false
    .vgpr_count:     0
    .vgpr_spill_count: 0
    .wavefront_size: 64
  - .agpr_count:     0
    .args:
      - .address_space:  global
        .offset:         0
        .size:           8
        .value_kind:     global_buffer
    .group_segment_fixed_size: 0
    .kernarg_segment_align: 8
    .kernarg_segment_size: 8
    .language:       OpenCL C
    .language_version:
      - 2
      - 0
    .max_flat_workgroup_size: 1024
    .name:           _ZN7rocprim17ROCPRIM_400000_NS6detail17trampoline_kernelINS0_14default_configENS1_35radix_sort_onesweep_config_selectorIcNS0_10empty_typeEEEZNS1_34radix_sort_onesweep_global_offsetsIS3_Lb1EPcPS5_mNS0_19identity_decomposerEEE10hipError_tT1_T2_PT3_SE_jT4_jjP12ihipStream_tbEUlT_E0_NS1_11comp_targetILNS1_3genE6ELNS1_11target_archE950ELNS1_3gpuE13ELNS1_3repE0EEENS1_52radix_sort_onesweep_histogram_config_static_selectorELNS0_4arch9wavefront6targetE1EEEvSC_
    .private_segment_fixed_size: 0
    .sgpr_count:     4
    .sgpr_spill_count: 0
    .symbol:         _ZN7rocprim17ROCPRIM_400000_NS6detail17trampoline_kernelINS0_14default_configENS1_35radix_sort_onesweep_config_selectorIcNS0_10empty_typeEEEZNS1_34radix_sort_onesweep_global_offsetsIS3_Lb1EPcPS5_mNS0_19identity_decomposerEEE10hipError_tT1_T2_PT3_SE_jT4_jjP12ihipStream_tbEUlT_E0_NS1_11comp_targetILNS1_3genE6ELNS1_11target_archE950ELNS1_3gpuE13ELNS1_3repE0EEENS1_52radix_sort_onesweep_histogram_config_static_selectorELNS0_4arch9wavefront6targetE1EEEvSC_.kd
    .uniform_work_group_size: 1
    .uses_dynamic_stack: false
    .vgpr_count:     0
    .vgpr_spill_count: 0
    .wavefront_size: 64
  - .agpr_count:     0
    .args:
      - .address_space:  global
        .offset:         0
        .size:           8
        .value_kind:     global_buffer
    .group_segment_fixed_size: 0
    .kernarg_segment_align: 8
    .kernarg_segment_size: 8
    .language:       OpenCL C
    .language_version:
      - 2
      - 0
    .max_flat_workgroup_size: 1024
    .name:           _ZN7rocprim17ROCPRIM_400000_NS6detail17trampoline_kernelINS0_14default_configENS1_35radix_sort_onesweep_config_selectorIcNS0_10empty_typeEEEZNS1_34radix_sort_onesweep_global_offsetsIS3_Lb1EPcPS5_mNS0_19identity_decomposerEEE10hipError_tT1_T2_PT3_SE_jT4_jjP12ihipStream_tbEUlT_E0_NS1_11comp_targetILNS1_3genE5ELNS1_11target_archE942ELNS1_3gpuE9ELNS1_3repE0EEENS1_52radix_sort_onesweep_histogram_config_static_selectorELNS0_4arch9wavefront6targetE1EEEvSC_
    .private_segment_fixed_size: 0
    .sgpr_count:     4
    .sgpr_spill_count: 0
    .symbol:         _ZN7rocprim17ROCPRIM_400000_NS6detail17trampoline_kernelINS0_14default_configENS1_35radix_sort_onesweep_config_selectorIcNS0_10empty_typeEEEZNS1_34radix_sort_onesweep_global_offsetsIS3_Lb1EPcPS5_mNS0_19identity_decomposerEEE10hipError_tT1_T2_PT3_SE_jT4_jjP12ihipStream_tbEUlT_E0_NS1_11comp_targetILNS1_3genE5ELNS1_11target_archE942ELNS1_3gpuE9ELNS1_3repE0EEENS1_52radix_sort_onesweep_histogram_config_static_selectorELNS0_4arch9wavefront6targetE1EEEvSC_.kd
    .uniform_work_group_size: 1
    .uses_dynamic_stack: false
    .vgpr_count:     0
    .vgpr_spill_count: 0
    .wavefront_size: 64
  - .agpr_count:     0
    .args:
      - .address_space:  global
        .offset:         0
        .size:           8
        .value_kind:     global_buffer
    .group_segment_fixed_size: 0
    .kernarg_segment_align: 8
    .kernarg_segment_size: 8
    .language:       OpenCL C
    .language_version:
      - 2
      - 0
    .max_flat_workgroup_size: 512
    .name:           _ZN7rocprim17ROCPRIM_400000_NS6detail17trampoline_kernelINS0_14default_configENS1_35radix_sort_onesweep_config_selectorIcNS0_10empty_typeEEEZNS1_34radix_sort_onesweep_global_offsetsIS3_Lb1EPcPS5_mNS0_19identity_decomposerEEE10hipError_tT1_T2_PT3_SE_jT4_jjP12ihipStream_tbEUlT_E0_NS1_11comp_targetILNS1_3genE2ELNS1_11target_archE906ELNS1_3gpuE6ELNS1_3repE0EEENS1_52radix_sort_onesweep_histogram_config_static_selectorELNS0_4arch9wavefront6targetE1EEEvSC_
    .private_segment_fixed_size: 0
    .sgpr_count:     4
    .sgpr_spill_count: 0
    .symbol:         _ZN7rocprim17ROCPRIM_400000_NS6detail17trampoline_kernelINS0_14default_configENS1_35radix_sort_onesweep_config_selectorIcNS0_10empty_typeEEEZNS1_34radix_sort_onesweep_global_offsetsIS3_Lb1EPcPS5_mNS0_19identity_decomposerEEE10hipError_tT1_T2_PT3_SE_jT4_jjP12ihipStream_tbEUlT_E0_NS1_11comp_targetILNS1_3genE2ELNS1_11target_archE906ELNS1_3gpuE6ELNS1_3repE0EEENS1_52radix_sort_onesweep_histogram_config_static_selectorELNS0_4arch9wavefront6targetE1EEEvSC_.kd
    .uniform_work_group_size: 1
    .uses_dynamic_stack: false
    .vgpr_count:     0
    .vgpr_spill_count: 0
    .wavefront_size: 64
  - .agpr_count:     0
    .args:
      - .address_space:  global
        .offset:         0
        .size:           8
        .value_kind:     global_buffer
    .group_segment_fixed_size: 64
    .kernarg_segment_align: 8
    .kernarg_segment_size: 8
    .language:       OpenCL C
    .language_version:
      - 2
      - 0
    .max_flat_workgroup_size: 512
    .name:           _ZN7rocprim17ROCPRIM_400000_NS6detail17trampoline_kernelINS0_14default_configENS1_35radix_sort_onesweep_config_selectorIcNS0_10empty_typeEEEZNS1_34radix_sort_onesweep_global_offsetsIS3_Lb1EPcPS5_mNS0_19identity_decomposerEEE10hipError_tT1_T2_PT3_SE_jT4_jjP12ihipStream_tbEUlT_E0_NS1_11comp_targetILNS1_3genE4ELNS1_11target_archE910ELNS1_3gpuE8ELNS1_3repE0EEENS1_52radix_sort_onesweep_histogram_config_static_selectorELNS0_4arch9wavefront6targetE1EEEvSC_
    .private_segment_fixed_size: 0
    .sgpr_count:     16
    .sgpr_spill_count: 0
    .symbol:         _ZN7rocprim17ROCPRIM_400000_NS6detail17trampoline_kernelINS0_14default_configENS1_35radix_sort_onesweep_config_selectorIcNS0_10empty_typeEEEZNS1_34radix_sort_onesweep_global_offsetsIS3_Lb1EPcPS5_mNS0_19identity_decomposerEEE10hipError_tT1_T2_PT3_SE_jT4_jjP12ihipStream_tbEUlT_E0_NS1_11comp_targetILNS1_3genE4ELNS1_11target_archE910ELNS1_3gpuE8ELNS1_3repE0EEENS1_52radix_sort_onesweep_histogram_config_static_selectorELNS0_4arch9wavefront6targetE1EEEvSC_.kd
    .uniform_work_group_size: 1
    .uses_dynamic_stack: false
    .vgpr_count:     16
    .vgpr_spill_count: 0
    .wavefront_size: 64
  - .agpr_count:     0
    .args:
      - .address_space:  global
        .offset:         0
        .size:           8
        .value_kind:     global_buffer
    .group_segment_fixed_size: 0
    .kernarg_segment_align: 8
    .kernarg_segment_size: 8
    .language:       OpenCL C
    .language_version:
      - 2
      - 0
    .max_flat_workgroup_size: 1024
    .name:           _ZN7rocprim17ROCPRIM_400000_NS6detail17trampoline_kernelINS0_14default_configENS1_35radix_sort_onesweep_config_selectorIcNS0_10empty_typeEEEZNS1_34radix_sort_onesweep_global_offsetsIS3_Lb1EPcPS5_mNS0_19identity_decomposerEEE10hipError_tT1_T2_PT3_SE_jT4_jjP12ihipStream_tbEUlT_E0_NS1_11comp_targetILNS1_3genE3ELNS1_11target_archE908ELNS1_3gpuE7ELNS1_3repE0EEENS1_52radix_sort_onesweep_histogram_config_static_selectorELNS0_4arch9wavefront6targetE1EEEvSC_
    .private_segment_fixed_size: 0
    .sgpr_count:     4
    .sgpr_spill_count: 0
    .symbol:         _ZN7rocprim17ROCPRIM_400000_NS6detail17trampoline_kernelINS0_14default_configENS1_35radix_sort_onesweep_config_selectorIcNS0_10empty_typeEEEZNS1_34radix_sort_onesweep_global_offsetsIS3_Lb1EPcPS5_mNS0_19identity_decomposerEEE10hipError_tT1_T2_PT3_SE_jT4_jjP12ihipStream_tbEUlT_E0_NS1_11comp_targetILNS1_3genE3ELNS1_11target_archE908ELNS1_3gpuE7ELNS1_3repE0EEENS1_52radix_sort_onesweep_histogram_config_static_selectorELNS0_4arch9wavefront6targetE1EEEvSC_.kd
    .uniform_work_group_size: 1
    .uses_dynamic_stack: false
    .vgpr_count:     0
    .vgpr_spill_count: 0
    .wavefront_size: 64
  - .agpr_count:     0
    .args:
      - .address_space:  global
        .offset:         0
        .size:           8
        .value_kind:     global_buffer
    .group_segment_fixed_size: 0
    .kernarg_segment_align: 8
    .kernarg_segment_size: 8
    .language:       OpenCL C
    .language_version:
      - 2
      - 0
    .max_flat_workgroup_size: 256
    .name:           _ZN7rocprim17ROCPRIM_400000_NS6detail17trampoline_kernelINS0_14default_configENS1_35radix_sort_onesweep_config_selectorIcNS0_10empty_typeEEEZNS1_34radix_sort_onesweep_global_offsetsIS3_Lb1EPcPS5_mNS0_19identity_decomposerEEE10hipError_tT1_T2_PT3_SE_jT4_jjP12ihipStream_tbEUlT_E0_NS1_11comp_targetILNS1_3genE10ELNS1_11target_archE1201ELNS1_3gpuE5ELNS1_3repE0EEENS1_52radix_sort_onesweep_histogram_config_static_selectorELNS0_4arch9wavefront6targetE1EEEvSC_
    .private_segment_fixed_size: 0
    .sgpr_count:     4
    .sgpr_spill_count: 0
    .symbol:         _ZN7rocprim17ROCPRIM_400000_NS6detail17trampoline_kernelINS0_14default_configENS1_35radix_sort_onesweep_config_selectorIcNS0_10empty_typeEEEZNS1_34radix_sort_onesweep_global_offsetsIS3_Lb1EPcPS5_mNS0_19identity_decomposerEEE10hipError_tT1_T2_PT3_SE_jT4_jjP12ihipStream_tbEUlT_E0_NS1_11comp_targetILNS1_3genE10ELNS1_11target_archE1201ELNS1_3gpuE5ELNS1_3repE0EEENS1_52radix_sort_onesweep_histogram_config_static_selectorELNS0_4arch9wavefront6targetE1EEEvSC_.kd
    .uniform_work_group_size: 1
    .uses_dynamic_stack: false
    .vgpr_count:     0
    .vgpr_spill_count: 0
    .wavefront_size: 64
  - .agpr_count:     0
    .args:
      - .address_space:  global
        .offset:         0
        .size:           8
        .value_kind:     global_buffer
    .group_segment_fixed_size: 0
    .kernarg_segment_align: 8
    .kernarg_segment_size: 8
    .language:       OpenCL C
    .language_version:
      - 2
      - 0
    .max_flat_workgroup_size: 256
    .name:           _ZN7rocprim17ROCPRIM_400000_NS6detail17trampoline_kernelINS0_14default_configENS1_35radix_sort_onesweep_config_selectorIcNS0_10empty_typeEEEZNS1_34radix_sort_onesweep_global_offsetsIS3_Lb1EPcPS5_mNS0_19identity_decomposerEEE10hipError_tT1_T2_PT3_SE_jT4_jjP12ihipStream_tbEUlT_E0_NS1_11comp_targetILNS1_3genE9ELNS1_11target_archE1100ELNS1_3gpuE3ELNS1_3repE0EEENS1_52radix_sort_onesweep_histogram_config_static_selectorELNS0_4arch9wavefront6targetE1EEEvSC_
    .private_segment_fixed_size: 0
    .sgpr_count:     4
    .sgpr_spill_count: 0
    .symbol:         _ZN7rocprim17ROCPRIM_400000_NS6detail17trampoline_kernelINS0_14default_configENS1_35radix_sort_onesweep_config_selectorIcNS0_10empty_typeEEEZNS1_34radix_sort_onesweep_global_offsetsIS3_Lb1EPcPS5_mNS0_19identity_decomposerEEE10hipError_tT1_T2_PT3_SE_jT4_jjP12ihipStream_tbEUlT_E0_NS1_11comp_targetILNS1_3genE9ELNS1_11target_archE1100ELNS1_3gpuE3ELNS1_3repE0EEENS1_52radix_sort_onesweep_histogram_config_static_selectorELNS0_4arch9wavefront6targetE1EEEvSC_.kd
    .uniform_work_group_size: 1
    .uses_dynamic_stack: false
    .vgpr_count:     0
    .vgpr_spill_count: 0
    .wavefront_size: 64
  - .agpr_count:     0
    .args:
      - .address_space:  global
        .offset:         0
        .size:           8
        .value_kind:     global_buffer
    .group_segment_fixed_size: 0
    .kernarg_segment_align: 8
    .kernarg_segment_size: 8
    .language:       OpenCL C
    .language_version:
      - 2
      - 0
    .max_flat_workgroup_size: 256
    .name:           _ZN7rocprim17ROCPRIM_400000_NS6detail17trampoline_kernelINS0_14default_configENS1_35radix_sort_onesweep_config_selectorIcNS0_10empty_typeEEEZNS1_34radix_sort_onesweep_global_offsetsIS3_Lb1EPcPS5_mNS0_19identity_decomposerEEE10hipError_tT1_T2_PT3_SE_jT4_jjP12ihipStream_tbEUlT_E0_NS1_11comp_targetILNS1_3genE8ELNS1_11target_archE1030ELNS1_3gpuE2ELNS1_3repE0EEENS1_52radix_sort_onesweep_histogram_config_static_selectorELNS0_4arch9wavefront6targetE1EEEvSC_
    .private_segment_fixed_size: 0
    .sgpr_count:     4
    .sgpr_spill_count: 0
    .symbol:         _ZN7rocprim17ROCPRIM_400000_NS6detail17trampoline_kernelINS0_14default_configENS1_35radix_sort_onesweep_config_selectorIcNS0_10empty_typeEEEZNS1_34radix_sort_onesweep_global_offsetsIS3_Lb1EPcPS5_mNS0_19identity_decomposerEEE10hipError_tT1_T2_PT3_SE_jT4_jjP12ihipStream_tbEUlT_E0_NS1_11comp_targetILNS1_3genE8ELNS1_11target_archE1030ELNS1_3gpuE2ELNS1_3repE0EEENS1_52radix_sort_onesweep_histogram_config_static_selectorELNS0_4arch9wavefront6targetE1EEEvSC_.kd
    .uniform_work_group_size: 1
    .uses_dynamic_stack: false
    .vgpr_count:     0
    .vgpr_spill_count: 0
    .wavefront_size: 64
  - .agpr_count:     0
    .args:
      - .offset:         0
        .size:           88
        .value_kind:     by_value
    .group_segment_fixed_size: 0
    .kernarg_segment_align: 8
    .kernarg_segment_size: 88
    .language:       OpenCL C
    .language_version:
      - 2
      - 0
    .max_flat_workgroup_size: 1024
    .name:           _ZN7rocprim17ROCPRIM_400000_NS6detail17trampoline_kernelINS0_14default_configENS1_35radix_sort_onesweep_config_selectorIcNS0_10empty_typeEEEZZNS1_29radix_sort_onesweep_iterationIS3_Lb1EPcS8_PS5_S9_mNS0_19identity_decomposerENS1_16block_id_wrapperIjLb1EEEEE10hipError_tT1_PNSt15iterator_traitsISE_E10value_typeET2_T3_PNSF_ISK_E10value_typeET4_T5_PSP_SQ_PNS1_23onesweep_lookback_stateEbbT6_jjT7_P12ihipStream_tbENKUlT_T0_SE_SJ_E_clIS8_S8_S9_S9_EEDaSX_SY_SE_SJ_EUlSX_E_NS1_11comp_targetILNS1_3genE0ELNS1_11target_archE4294967295ELNS1_3gpuE0ELNS1_3repE0EEENS1_47radix_sort_onesweep_sort_config_static_selectorELNS0_4arch9wavefront6targetE1EEEvSE_
    .private_segment_fixed_size: 0
    .sgpr_count:     4
    .sgpr_spill_count: 0
    .symbol:         _ZN7rocprim17ROCPRIM_400000_NS6detail17trampoline_kernelINS0_14default_configENS1_35radix_sort_onesweep_config_selectorIcNS0_10empty_typeEEEZZNS1_29radix_sort_onesweep_iterationIS3_Lb1EPcS8_PS5_S9_mNS0_19identity_decomposerENS1_16block_id_wrapperIjLb1EEEEE10hipError_tT1_PNSt15iterator_traitsISE_E10value_typeET2_T3_PNSF_ISK_E10value_typeET4_T5_PSP_SQ_PNS1_23onesweep_lookback_stateEbbT6_jjT7_P12ihipStream_tbENKUlT_T0_SE_SJ_E_clIS8_S8_S9_S9_EEDaSX_SY_SE_SJ_EUlSX_E_NS1_11comp_targetILNS1_3genE0ELNS1_11target_archE4294967295ELNS1_3gpuE0ELNS1_3repE0EEENS1_47radix_sort_onesweep_sort_config_static_selectorELNS0_4arch9wavefront6targetE1EEEvSE_.kd
    .uniform_work_group_size: 1
    .uses_dynamic_stack: false
    .vgpr_count:     0
    .vgpr_spill_count: 0
    .wavefront_size: 64
  - .agpr_count:     0
    .args:
      - .offset:         0
        .size:           88
        .value_kind:     by_value
    .group_segment_fixed_size: 0
    .kernarg_segment_align: 8
    .kernarg_segment_size: 88
    .language:       OpenCL C
    .language_version:
      - 2
      - 0
    .max_flat_workgroup_size: 1024
    .name:           _ZN7rocprim17ROCPRIM_400000_NS6detail17trampoline_kernelINS0_14default_configENS1_35radix_sort_onesweep_config_selectorIcNS0_10empty_typeEEEZZNS1_29radix_sort_onesweep_iterationIS3_Lb1EPcS8_PS5_S9_mNS0_19identity_decomposerENS1_16block_id_wrapperIjLb1EEEEE10hipError_tT1_PNSt15iterator_traitsISE_E10value_typeET2_T3_PNSF_ISK_E10value_typeET4_T5_PSP_SQ_PNS1_23onesweep_lookback_stateEbbT6_jjT7_P12ihipStream_tbENKUlT_T0_SE_SJ_E_clIS8_S8_S9_S9_EEDaSX_SY_SE_SJ_EUlSX_E_NS1_11comp_targetILNS1_3genE6ELNS1_11target_archE950ELNS1_3gpuE13ELNS1_3repE0EEENS1_47radix_sort_onesweep_sort_config_static_selectorELNS0_4arch9wavefront6targetE1EEEvSE_
    .private_segment_fixed_size: 0
    .sgpr_count:     4
    .sgpr_spill_count: 0
    .symbol:         _ZN7rocprim17ROCPRIM_400000_NS6detail17trampoline_kernelINS0_14default_configENS1_35radix_sort_onesweep_config_selectorIcNS0_10empty_typeEEEZZNS1_29radix_sort_onesweep_iterationIS3_Lb1EPcS8_PS5_S9_mNS0_19identity_decomposerENS1_16block_id_wrapperIjLb1EEEEE10hipError_tT1_PNSt15iterator_traitsISE_E10value_typeET2_T3_PNSF_ISK_E10value_typeET4_T5_PSP_SQ_PNS1_23onesweep_lookback_stateEbbT6_jjT7_P12ihipStream_tbENKUlT_T0_SE_SJ_E_clIS8_S8_S9_S9_EEDaSX_SY_SE_SJ_EUlSX_E_NS1_11comp_targetILNS1_3genE6ELNS1_11target_archE950ELNS1_3gpuE13ELNS1_3repE0EEENS1_47radix_sort_onesweep_sort_config_static_selectorELNS0_4arch9wavefront6targetE1EEEvSE_.kd
    .uniform_work_group_size: 1
    .uses_dynamic_stack: false
    .vgpr_count:     0
    .vgpr_spill_count: 0
    .wavefront_size: 64
  - .agpr_count:     0
    .args:
      - .offset:         0
        .size:           88
        .value_kind:     by_value
    .group_segment_fixed_size: 0
    .kernarg_segment_align: 8
    .kernarg_segment_size: 88
    .language:       OpenCL C
    .language_version:
      - 2
      - 0
    .max_flat_workgroup_size: 1024
    .name:           _ZN7rocprim17ROCPRIM_400000_NS6detail17trampoline_kernelINS0_14default_configENS1_35radix_sort_onesweep_config_selectorIcNS0_10empty_typeEEEZZNS1_29radix_sort_onesweep_iterationIS3_Lb1EPcS8_PS5_S9_mNS0_19identity_decomposerENS1_16block_id_wrapperIjLb1EEEEE10hipError_tT1_PNSt15iterator_traitsISE_E10value_typeET2_T3_PNSF_ISK_E10value_typeET4_T5_PSP_SQ_PNS1_23onesweep_lookback_stateEbbT6_jjT7_P12ihipStream_tbENKUlT_T0_SE_SJ_E_clIS8_S8_S9_S9_EEDaSX_SY_SE_SJ_EUlSX_E_NS1_11comp_targetILNS1_3genE5ELNS1_11target_archE942ELNS1_3gpuE9ELNS1_3repE0EEENS1_47radix_sort_onesweep_sort_config_static_selectorELNS0_4arch9wavefront6targetE1EEEvSE_
    .private_segment_fixed_size: 0
    .sgpr_count:     4
    .sgpr_spill_count: 0
    .symbol:         _ZN7rocprim17ROCPRIM_400000_NS6detail17trampoline_kernelINS0_14default_configENS1_35radix_sort_onesweep_config_selectorIcNS0_10empty_typeEEEZZNS1_29radix_sort_onesweep_iterationIS3_Lb1EPcS8_PS5_S9_mNS0_19identity_decomposerENS1_16block_id_wrapperIjLb1EEEEE10hipError_tT1_PNSt15iterator_traitsISE_E10value_typeET2_T3_PNSF_ISK_E10value_typeET4_T5_PSP_SQ_PNS1_23onesweep_lookback_stateEbbT6_jjT7_P12ihipStream_tbENKUlT_T0_SE_SJ_E_clIS8_S8_S9_S9_EEDaSX_SY_SE_SJ_EUlSX_E_NS1_11comp_targetILNS1_3genE5ELNS1_11target_archE942ELNS1_3gpuE9ELNS1_3repE0EEENS1_47radix_sort_onesweep_sort_config_static_selectorELNS0_4arch9wavefront6targetE1EEEvSE_.kd
    .uniform_work_group_size: 1
    .uses_dynamic_stack: false
    .vgpr_count:     0
    .vgpr_spill_count: 0
    .wavefront_size: 64
  - .agpr_count:     0
    .args:
      - .offset:         0
        .size:           88
        .value_kind:     by_value
    .group_segment_fixed_size: 0
    .kernarg_segment_align: 8
    .kernarg_segment_size: 88
    .language:       OpenCL C
    .language_version:
      - 2
      - 0
    .max_flat_workgroup_size: 512
    .name:           _ZN7rocprim17ROCPRIM_400000_NS6detail17trampoline_kernelINS0_14default_configENS1_35radix_sort_onesweep_config_selectorIcNS0_10empty_typeEEEZZNS1_29radix_sort_onesweep_iterationIS3_Lb1EPcS8_PS5_S9_mNS0_19identity_decomposerENS1_16block_id_wrapperIjLb1EEEEE10hipError_tT1_PNSt15iterator_traitsISE_E10value_typeET2_T3_PNSF_ISK_E10value_typeET4_T5_PSP_SQ_PNS1_23onesweep_lookback_stateEbbT6_jjT7_P12ihipStream_tbENKUlT_T0_SE_SJ_E_clIS8_S8_S9_S9_EEDaSX_SY_SE_SJ_EUlSX_E_NS1_11comp_targetILNS1_3genE2ELNS1_11target_archE906ELNS1_3gpuE6ELNS1_3repE0EEENS1_47radix_sort_onesweep_sort_config_static_selectorELNS0_4arch9wavefront6targetE1EEEvSE_
    .private_segment_fixed_size: 0
    .sgpr_count:     4
    .sgpr_spill_count: 0
    .symbol:         _ZN7rocprim17ROCPRIM_400000_NS6detail17trampoline_kernelINS0_14default_configENS1_35radix_sort_onesweep_config_selectorIcNS0_10empty_typeEEEZZNS1_29radix_sort_onesweep_iterationIS3_Lb1EPcS8_PS5_S9_mNS0_19identity_decomposerENS1_16block_id_wrapperIjLb1EEEEE10hipError_tT1_PNSt15iterator_traitsISE_E10value_typeET2_T3_PNSF_ISK_E10value_typeET4_T5_PSP_SQ_PNS1_23onesweep_lookback_stateEbbT6_jjT7_P12ihipStream_tbENKUlT_T0_SE_SJ_E_clIS8_S8_S9_S9_EEDaSX_SY_SE_SJ_EUlSX_E_NS1_11comp_targetILNS1_3genE2ELNS1_11target_archE906ELNS1_3gpuE6ELNS1_3repE0EEENS1_47radix_sort_onesweep_sort_config_static_selectorELNS0_4arch9wavefront6targetE1EEEvSE_.kd
    .uniform_work_group_size: 1
    .uses_dynamic_stack: false
    .vgpr_count:     0
    .vgpr_spill_count: 0
    .wavefront_size: 64
  - .agpr_count:     0
    .args:
      - .offset:         0
        .size:           88
        .value_kind:     by_value
      - .offset:         88
        .size:           4
        .value_kind:     hidden_block_count_x
      - .offset:         92
        .size:           4
        .value_kind:     hidden_block_count_y
      - .offset:         96
        .size:           4
        .value_kind:     hidden_block_count_z
      - .offset:         100
        .size:           2
        .value_kind:     hidden_group_size_x
      - .offset:         102
        .size:           2
        .value_kind:     hidden_group_size_y
      - .offset:         104
        .size:           2
        .value_kind:     hidden_group_size_z
      - .offset:         106
        .size:           2
        .value_kind:     hidden_remainder_x
      - .offset:         108
        .size:           2
        .value_kind:     hidden_remainder_y
      - .offset:         110
        .size:           2
        .value_kind:     hidden_remainder_z
      - .offset:         128
        .size:           8
        .value_kind:     hidden_global_offset_x
      - .offset:         136
        .size:           8
        .value_kind:     hidden_global_offset_y
      - .offset:         144
        .size:           8
        .value_kind:     hidden_global_offset_z
      - .offset:         152
        .size:           2
        .value_kind:     hidden_grid_dims
    .group_segment_fixed_size: 16424
    .kernarg_segment_align: 8
    .kernarg_segment_size: 344
    .language:       OpenCL C
    .language_version:
      - 2
      - 0
    .max_flat_workgroup_size: 512
    .name:           _ZN7rocprim17ROCPRIM_400000_NS6detail17trampoline_kernelINS0_14default_configENS1_35radix_sort_onesweep_config_selectorIcNS0_10empty_typeEEEZZNS1_29radix_sort_onesweep_iterationIS3_Lb1EPcS8_PS5_S9_mNS0_19identity_decomposerENS1_16block_id_wrapperIjLb1EEEEE10hipError_tT1_PNSt15iterator_traitsISE_E10value_typeET2_T3_PNSF_ISK_E10value_typeET4_T5_PSP_SQ_PNS1_23onesweep_lookback_stateEbbT6_jjT7_P12ihipStream_tbENKUlT_T0_SE_SJ_E_clIS8_S8_S9_S9_EEDaSX_SY_SE_SJ_EUlSX_E_NS1_11comp_targetILNS1_3genE4ELNS1_11target_archE910ELNS1_3gpuE8ELNS1_3repE0EEENS1_47radix_sort_onesweep_sort_config_static_selectorELNS0_4arch9wavefront6targetE1EEEvSE_
    .private_segment_fixed_size: 0
    .sgpr_count:     34
    .sgpr_spill_count: 0
    .symbol:         _ZN7rocprim17ROCPRIM_400000_NS6detail17trampoline_kernelINS0_14default_configENS1_35radix_sort_onesweep_config_selectorIcNS0_10empty_typeEEEZZNS1_29radix_sort_onesweep_iterationIS3_Lb1EPcS8_PS5_S9_mNS0_19identity_decomposerENS1_16block_id_wrapperIjLb1EEEEE10hipError_tT1_PNSt15iterator_traitsISE_E10value_typeET2_T3_PNSF_ISK_E10value_typeET4_T5_PSP_SQ_PNS1_23onesweep_lookback_stateEbbT6_jjT7_P12ihipStream_tbENKUlT_T0_SE_SJ_E_clIS8_S8_S9_S9_EEDaSX_SY_SE_SJ_EUlSX_E_NS1_11comp_targetILNS1_3genE4ELNS1_11target_archE910ELNS1_3gpuE8ELNS1_3repE0EEENS1_47radix_sort_onesweep_sort_config_static_selectorELNS0_4arch9wavefront6targetE1EEEvSE_.kd
    .uniform_work_group_size: 1
    .uses_dynamic_stack: false
    .vgpr_count:     79
    .vgpr_spill_count: 0
    .wavefront_size: 64
  - .agpr_count:     0
    .args:
      - .offset:         0
        .size:           88
        .value_kind:     by_value
    .group_segment_fixed_size: 0
    .kernarg_segment_align: 8
    .kernarg_segment_size: 88
    .language:       OpenCL C
    .language_version:
      - 2
      - 0
    .max_flat_workgroup_size: 1024
    .name:           _ZN7rocprim17ROCPRIM_400000_NS6detail17trampoline_kernelINS0_14default_configENS1_35radix_sort_onesweep_config_selectorIcNS0_10empty_typeEEEZZNS1_29radix_sort_onesweep_iterationIS3_Lb1EPcS8_PS5_S9_mNS0_19identity_decomposerENS1_16block_id_wrapperIjLb1EEEEE10hipError_tT1_PNSt15iterator_traitsISE_E10value_typeET2_T3_PNSF_ISK_E10value_typeET4_T5_PSP_SQ_PNS1_23onesweep_lookback_stateEbbT6_jjT7_P12ihipStream_tbENKUlT_T0_SE_SJ_E_clIS8_S8_S9_S9_EEDaSX_SY_SE_SJ_EUlSX_E_NS1_11comp_targetILNS1_3genE3ELNS1_11target_archE908ELNS1_3gpuE7ELNS1_3repE0EEENS1_47radix_sort_onesweep_sort_config_static_selectorELNS0_4arch9wavefront6targetE1EEEvSE_
    .private_segment_fixed_size: 0
    .sgpr_count:     4
    .sgpr_spill_count: 0
    .symbol:         _ZN7rocprim17ROCPRIM_400000_NS6detail17trampoline_kernelINS0_14default_configENS1_35radix_sort_onesweep_config_selectorIcNS0_10empty_typeEEEZZNS1_29radix_sort_onesweep_iterationIS3_Lb1EPcS8_PS5_S9_mNS0_19identity_decomposerENS1_16block_id_wrapperIjLb1EEEEE10hipError_tT1_PNSt15iterator_traitsISE_E10value_typeET2_T3_PNSF_ISK_E10value_typeET4_T5_PSP_SQ_PNS1_23onesweep_lookback_stateEbbT6_jjT7_P12ihipStream_tbENKUlT_T0_SE_SJ_E_clIS8_S8_S9_S9_EEDaSX_SY_SE_SJ_EUlSX_E_NS1_11comp_targetILNS1_3genE3ELNS1_11target_archE908ELNS1_3gpuE7ELNS1_3repE0EEENS1_47radix_sort_onesweep_sort_config_static_selectorELNS0_4arch9wavefront6targetE1EEEvSE_.kd
    .uniform_work_group_size: 1
    .uses_dynamic_stack: false
    .vgpr_count:     0
    .vgpr_spill_count: 0
    .wavefront_size: 64
  - .agpr_count:     0
    .args:
      - .offset:         0
        .size:           88
        .value_kind:     by_value
    .group_segment_fixed_size: 0
    .kernarg_segment_align: 8
    .kernarg_segment_size: 88
    .language:       OpenCL C
    .language_version:
      - 2
      - 0
    .max_flat_workgroup_size: 256
    .name:           _ZN7rocprim17ROCPRIM_400000_NS6detail17trampoline_kernelINS0_14default_configENS1_35radix_sort_onesweep_config_selectorIcNS0_10empty_typeEEEZZNS1_29radix_sort_onesweep_iterationIS3_Lb1EPcS8_PS5_S9_mNS0_19identity_decomposerENS1_16block_id_wrapperIjLb1EEEEE10hipError_tT1_PNSt15iterator_traitsISE_E10value_typeET2_T3_PNSF_ISK_E10value_typeET4_T5_PSP_SQ_PNS1_23onesweep_lookback_stateEbbT6_jjT7_P12ihipStream_tbENKUlT_T0_SE_SJ_E_clIS8_S8_S9_S9_EEDaSX_SY_SE_SJ_EUlSX_E_NS1_11comp_targetILNS1_3genE10ELNS1_11target_archE1201ELNS1_3gpuE5ELNS1_3repE0EEENS1_47radix_sort_onesweep_sort_config_static_selectorELNS0_4arch9wavefront6targetE1EEEvSE_
    .private_segment_fixed_size: 0
    .sgpr_count:     4
    .sgpr_spill_count: 0
    .symbol:         _ZN7rocprim17ROCPRIM_400000_NS6detail17trampoline_kernelINS0_14default_configENS1_35radix_sort_onesweep_config_selectorIcNS0_10empty_typeEEEZZNS1_29radix_sort_onesweep_iterationIS3_Lb1EPcS8_PS5_S9_mNS0_19identity_decomposerENS1_16block_id_wrapperIjLb1EEEEE10hipError_tT1_PNSt15iterator_traitsISE_E10value_typeET2_T3_PNSF_ISK_E10value_typeET4_T5_PSP_SQ_PNS1_23onesweep_lookback_stateEbbT6_jjT7_P12ihipStream_tbENKUlT_T0_SE_SJ_E_clIS8_S8_S9_S9_EEDaSX_SY_SE_SJ_EUlSX_E_NS1_11comp_targetILNS1_3genE10ELNS1_11target_archE1201ELNS1_3gpuE5ELNS1_3repE0EEENS1_47radix_sort_onesweep_sort_config_static_selectorELNS0_4arch9wavefront6targetE1EEEvSE_.kd
    .uniform_work_group_size: 1
    .uses_dynamic_stack: false
    .vgpr_count:     0
    .vgpr_spill_count: 0
    .wavefront_size: 64
  - .agpr_count:     0
    .args:
      - .offset:         0
        .size:           88
        .value_kind:     by_value
    .group_segment_fixed_size: 0
    .kernarg_segment_align: 8
    .kernarg_segment_size: 88
    .language:       OpenCL C
    .language_version:
      - 2
      - 0
    .max_flat_workgroup_size: 256
    .name:           _ZN7rocprim17ROCPRIM_400000_NS6detail17trampoline_kernelINS0_14default_configENS1_35radix_sort_onesweep_config_selectorIcNS0_10empty_typeEEEZZNS1_29radix_sort_onesweep_iterationIS3_Lb1EPcS8_PS5_S9_mNS0_19identity_decomposerENS1_16block_id_wrapperIjLb1EEEEE10hipError_tT1_PNSt15iterator_traitsISE_E10value_typeET2_T3_PNSF_ISK_E10value_typeET4_T5_PSP_SQ_PNS1_23onesweep_lookback_stateEbbT6_jjT7_P12ihipStream_tbENKUlT_T0_SE_SJ_E_clIS8_S8_S9_S9_EEDaSX_SY_SE_SJ_EUlSX_E_NS1_11comp_targetILNS1_3genE9ELNS1_11target_archE1100ELNS1_3gpuE3ELNS1_3repE0EEENS1_47radix_sort_onesweep_sort_config_static_selectorELNS0_4arch9wavefront6targetE1EEEvSE_
    .private_segment_fixed_size: 0
    .sgpr_count:     4
    .sgpr_spill_count: 0
    .symbol:         _ZN7rocprim17ROCPRIM_400000_NS6detail17trampoline_kernelINS0_14default_configENS1_35radix_sort_onesweep_config_selectorIcNS0_10empty_typeEEEZZNS1_29radix_sort_onesweep_iterationIS3_Lb1EPcS8_PS5_S9_mNS0_19identity_decomposerENS1_16block_id_wrapperIjLb1EEEEE10hipError_tT1_PNSt15iterator_traitsISE_E10value_typeET2_T3_PNSF_ISK_E10value_typeET4_T5_PSP_SQ_PNS1_23onesweep_lookback_stateEbbT6_jjT7_P12ihipStream_tbENKUlT_T0_SE_SJ_E_clIS8_S8_S9_S9_EEDaSX_SY_SE_SJ_EUlSX_E_NS1_11comp_targetILNS1_3genE9ELNS1_11target_archE1100ELNS1_3gpuE3ELNS1_3repE0EEENS1_47radix_sort_onesweep_sort_config_static_selectorELNS0_4arch9wavefront6targetE1EEEvSE_.kd
    .uniform_work_group_size: 1
    .uses_dynamic_stack: false
    .vgpr_count:     0
    .vgpr_spill_count: 0
    .wavefront_size: 64
  - .agpr_count:     0
    .args:
      - .offset:         0
        .size:           88
        .value_kind:     by_value
    .group_segment_fixed_size: 0
    .kernarg_segment_align: 8
    .kernarg_segment_size: 88
    .language:       OpenCL C
    .language_version:
      - 2
      - 0
    .max_flat_workgroup_size: 256
    .name:           _ZN7rocprim17ROCPRIM_400000_NS6detail17trampoline_kernelINS0_14default_configENS1_35radix_sort_onesweep_config_selectorIcNS0_10empty_typeEEEZZNS1_29radix_sort_onesweep_iterationIS3_Lb1EPcS8_PS5_S9_mNS0_19identity_decomposerENS1_16block_id_wrapperIjLb1EEEEE10hipError_tT1_PNSt15iterator_traitsISE_E10value_typeET2_T3_PNSF_ISK_E10value_typeET4_T5_PSP_SQ_PNS1_23onesweep_lookback_stateEbbT6_jjT7_P12ihipStream_tbENKUlT_T0_SE_SJ_E_clIS8_S8_S9_S9_EEDaSX_SY_SE_SJ_EUlSX_E_NS1_11comp_targetILNS1_3genE8ELNS1_11target_archE1030ELNS1_3gpuE2ELNS1_3repE0EEENS1_47radix_sort_onesweep_sort_config_static_selectorELNS0_4arch9wavefront6targetE1EEEvSE_
    .private_segment_fixed_size: 0
    .sgpr_count:     4
    .sgpr_spill_count: 0
    .symbol:         _ZN7rocprim17ROCPRIM_400000_NS6detail17trampoline_kernelINS0_14default_configENS1_35radix_sort_onesweep_config_selectorIcNS0_10empty_typeEEEZZNS1_29radix_sort_onesweep_iterationIS3_Lb1EPcS8_PS5_S9_mNS0_19identity_decomposerENS1_16block_id_wrapperIjLb1EEEEE10hipError_tT1_PNSt15iterator_traitsISE_E10value_typeET2_T3_PNSF_ISK_E10value_typeET4_T5_PSP_SQ_PNS1_23onesweep_lookback_stateEbbT6_jjT7_P12ihipStream_tbENKUlT_T0_SE_SJ_E_clIS8_S8_S9_S9_EEDaSX_SY_SE_SJ_EUlSX_E_NS1_11comp_targetILNS1_3genE8ELNS1_11target_archE1030ELNS1_3gpuE2ELNS1_3repE0EEENS1_47radix_sort_onesweep_sort_config_static_selectorELNS0_4arch9wavefront6targetE1EEEvSE_.kd
    .uniform_work_group_size: 1
    .uses_dynamic_stack: false
    .vgpr_count:     0
    .vgpr_spill_count: 0
    .wavefront_size: 64
  - .agpr_count:     0
    .args:
      - .offset:         0
        .size:           88
        .value_kind:     by_value
    .group_segment_fixed_size: 0
    .kernarg_segment_align: 8
    .kernarg_segment_size: 88
    .language:       OpenCL C
    .language_version:
      - 2
      - 0
    .max_flat_workgroup_size: 1024
    .name:           _ZN7rocprim17ROCPRIM_400000_NS6detail17trampoline_kernelINS0_14default_configENS1_35radix_sort_onesweep_config_selectorIcNS0_10empty_typeEEEZZNS1_29radix_sort_onesweep_iterationIS3_Lb1EPcS8_PS5_S9_mNS0_19identity_decomposerENS1_16block_id_wrapperIjLb0EEEEE10hipError_tT1_PNSt15iterator_traitsISE_E10value_typeET2_T3_PNSF_ISK_E10value_typeET4_T5_PSP_SQ_PNS1_23onesweep_lookback_stateEbbT6_jjT7_P12ihipStream_tbENKUlT_T0_SE_SJ_E_clIS8_S8_S9_S9_EEDaSX_SY_SE_SJ_EUlSX_E_NS1_11comp_targetILNS1_3genE0ELNS1_11target_archE4294967295ELNS1_3gpuE0ELNS1_3repE0EEENS1_47radix_sort_onesweep_sort_config_static_selectorELNS0_4arch9wavefront6targetE1EEEvSE_
    .private_segment_fixed_size: 0
    .sgpr_count:     4
    .sgpr_spill_count: 0
    .symbol:         _ZN7rocprim17ROCPRIM_400000_NS6detail17trampoline_kernelINS0_14default_configENS1_35radix_sort_onesweep_config_selectorIcNS0_10empty_typeEEEZZNS1_29radix_sort_onesweep_iterationIS3_Lb1EPcS8_PS5_S9_mNS0_19identity_decomposerENS1_16block_id_wrapperIjLb0EEEEE10hipError_tT1_PNSt15iterator_traitsISE_E10value_typeET2_T3_PNSF_ISK_E10value_typeET4_T5_PSP_SQ_PNS1_23onesweep_lookback_stateEbbT6_jjT7_P12ihipStream_tbENKUlT_T0_SE_SJ_E_clIS8_S8_S9_S9_EEDaSX_SY_SE_SJ_EUlSX_E_NS1_11comp_targetILNS1_3genE0ELNS1_11target_archE4294967295ELNS1_3gpuE0ELNS1_3repE0EEENS1_47radix_sort_onesweep_sort_config_static_selectorELNS0_4arch9wavefront6targetE1EEEvSE_.kd
    .uniform_work_group_size: 1
    .uses_dynamic_stack: false
    .vgpr_count:     0
    .vgpr_spill_count: 0
    .wavefront_size: 64
  - .agpr_count:     0
    .args:
      - .offset:         0
        .size:           88
        .value_kind:     by_value
    .group_segment_fixed_size: 0
    .kernarg_segment_align: 8
    .kernarg_segment_size: 88
    .language:       OpenCL C
    .language_version:
      - 2
      - 0
    .max_flat_workgroup_size: 1024
    .name:           _ZN7rocprim17ROCPRIM_400000_NS6detail17trampoline_kernelINS0_14default_configENS1_35radix_sort_onesweep_config_selectorIcNS0_10empty_typeEEEZZNS1_29radix_sort_onesweep_iterationIS3_Lb1EPcS8_PS5_S9_mNS0_19identity_decomposerENS1_16block_id_wrapperIjLb0EEEEE10hipError_tT1_PNSt15iterator_traitsISE_E10value_typeET2_T3_PNSF_ISK_E10value_typeET4_T5_PSP_SQ_PNS1_23onesweep_lookback_stateEbbT6_jjT7_P12ihipStream_tbENKUlT_T0_SE_SJ_E_clIS8_S8_S9_S9_EEDaSX_SY_SE_SJ_EUlSX_E_NS1_11comp_targetILNS1_3genE6ELNS1_11target_archE950ELNS1_3gpuE13ELNS1_3repE0EEENS1_47radix_sort_onesweep_sort_config_static_selectorELNS0_4arch9wavefront6targetE1EEEvSE_
    .private_segment_fixed_size: 0
    .sgpr_count:     4
    .sgpr_spill_count: 0
    .symbol:         _ZN7rocprim17ROCPRIM_400000_NS6detail17trampoline_kernelINS0_14default_configENS1_35radix_sort_onesweep_config_selectorIcNS0_10empty_typeEEEZZNS1_29radix_sort_onesweep_iterationIS3_Lb1EPcS8_PS5_S9_mNS0_19identity_decomposerENS1_16block_id_wrapperIjLb0EEEEE10hipError_tT1_PNSt15iterator_traitsISE_E10value_typeET2_T3_PNSF_ISK_E10value_typeET4_T5_PSP_SQ_PNS1_23onesweep_lookback_stateEbbT6_jjT7_P12ihipStream_tbENKUlT_T0_SE_SJ_E_clIS8_S8_S9_S9_EEDaSX_SY_SE_SJ_EUlSX_E_NS1_11comp_targetILNS1_3genE6ELNS1_11target_archE950ELNS1_3gpuE13ELNS1_3repE0EEENS1_47radix_sort_onesweep_sort_config_static_selectorELNS0_4arch9wavefront6targetE1EEEvSE_.kd
    .uniform_work_group_size: 1
    .uses_dynamic_stack: false
    .vgpr_count:     0
    .vgpr_spill_count: 0
    .wavefront_size: 64
  - .agpr_count:     0
    .args:
      - .offset:         0
        .size:           88
        .value_kind:     by_value
    .group_segment_fixed_size: 0
    .kernarg_segment_align: 8
    .kernarg_segment_size: 88
    .language:       OpenCL C
    .language_version:
      - 2
      - 0
    .max_flat_workgroup_size: 1024
    .name:           _ZN7rocprim17ROCPRIM_400000_NS6detail17trampoline_kernelINS0_14default_configENS1_35radix_sort_onesweep_config_selectorIcNS0_10empty_typeEEEZZNS1_29radix_sort_onesweep_iterationIS3_Lb1EPcS8_PS5_S9_mNS0_19identity_decomposerENS1_16block_id_wrapperIjLb0EEEEE10hipError_tT1_PNSt15iterator_traitsISE_E10value_typeET2_T3_PNSF_ISK_E10value_typeET4_T5_PSP_SQ_PNS1_23onesweep_lookback_stateEbbT6_jjT7_P12ihipStream_tbENKUlT_T0_SE_SJ_E_clIS8_S8_S9_S9_EEDaSX_SY_SE_SJ_EUlSX_E_NS1_11comp_targetILNS1_3genE5ELNS1_11target_archE942ELNS1_3gpuE9ELNS1_3repE0EEENS1_47radix_sort_onesweep_sort_config_static_selectorELNS0_4arch9wavefront6targetE1EEEvSE_
    .private_segment_fixed_size: 0
    .sgpr_count:     4
    .sgpr_spill_count: 0
    .symbol:         _ZN7rocprim17ROCPRIM_400000_NS6detail17trampoline_kernelINS0_14default_configENS1_35radix_sort_onesweep_config_selectorIcNS0_10empty_typeEEEZZNS1_29radix_sort_onesweep_iterationIS3_Lb1EPcS8_PS5_S9_mNS0_19identity_decomposerENS1_16block_id_wrapperIjLb0EEEEE10hipError_tT1_PNSt15iterator_traitsISE_E10value_typeET2_T3_PNSF_ISK_E10value_typeET4_T5_PSP_SQ_PNS1_23onesweep_lookback_stateEbbT6_jjT7_P12ihipStream_tbENKUlT_T0_SE_SJ_E_clIS8_S8_S9_S9_EEDaSX_SY_SE_SJ_EUlSX_E_NS1_11comp_targetILNS1_3genE5ELNS1_11target_archE942ELNS1_3gpuE9ELNS1_3repE0EEENS1_47radix_sort_onesweep_sort_config_static_selectorELNS0_4arch9wavefront6targetE1EEEvSE_.kd
    .uniform_work_group_size: 1
    .uses_dynamic_stack: false
    .vgpr_count:     0
    .vgpr_spill_count: 0
    .wavefront_size: 64
  - .agpr_count:     0
    .args:
      - .offset:         0
        .size:           88
        .value_kind:     by_value
    .group_segment_fixed_size: 0
    .kernarg_segment_align: 8
    .kernarg_segment_size: 88
    .language:       OpenCL C
    .language_version:
      - 2
      - 0
    .max_flat_workgroup_size: 512
    .name:           _ZN7rocprim17ROCPRIM_400000_NS6detail17trampoline_kernelINS0_14default_configENS1_35radix_sort_onesweep_config_selectorIcNS0_10empty_typeEEEZZNS1_29radix_sort_onesweep_iterationIS3_Lb1EPcS8_PS5_S9_mNS0_19identity_decomposerENS1_16block_id_wrapperIjLb0EEEEE10hipError_tT1_PNSt15iterator_traitsISE_E10value_typeET2_T3_PNSF_ISK_E10value_typeET4_T5_PSP_SQ_PNS1_23onesweep_lookback_stateEbbT6_jjT7_P12ihipStream_tbENKUlT_T0_SE_SJ_E_clIS8_S8_S9_S9_EEDaSX_SY_SE_SJ_EUlSX_E_NS1_11comp_targetILNS1_3genE2ELNS1_11target_archE906ELNS1_3gpuE6ELNS1_3repE0EEENS1_47radix_sort_onesweep_sort_config_static_selectorELNS0_4arch9wavefront6targetE1EEEvSE_
    .private_segment_fixed_size: 0
    .sgpr_count:     4
    .sgpr_spill_count: 0
    .symbol:         _ZN7rocprim17ROCPRIM_400000_NS6detail17trampoline_kernelINS0_14default_configENS1_35radix_sort_onesweep_config_selectorIcNS0_10empty_typeEEEZZNS1_29radix_sort_onesweep_iterationIS3_Lb1EPcS8_PS5_S9_mNS0_19identity_decomposerENS1_16block_id_wrapperIjLb0EEEEE10hipError_tT1_PNSt15iterator_traitsISE_E10value_typeET2_T3_PNSF_ISK_E10value_typeET4_T5_PSP_SQ_PNS1_23onesweep_lookback_stateEbbT6_jjT7_P12ihipStream_tbENKUlT_T0_SE_SJ_E_clIS8_S8_S9_S9_EEDaSX_SY_SE_SJ_EUlSX_E_NS1_11comp_targetILNS1_3genE2ELNS1_11target_archE906ELNS1_3gpuE6ELNS1_3repE0EEENS1_47radix_sort_onesweep_sort_config_static_selectorELNS0_4arch9wavefront6targetE1EEEvSE_.kd
    .uniform_work_group_size: 1
    .uses_dynamic_stack: false
    .vgpr_count:     0
    .vgpr_spill_count: 0
    .wavefront_size: 64
  - .agpr_count:     0
    .args:
      - .offset:         0
        .size:           88
        .value_kind:     by_value
      - .offset:         88
        .size:           4
        .value_kind:     hidden_block_count_x
      - .offset:         92
        .size:           4
        .value_kind:     hidden_block_count_y
      - .offset:         96
        .size:           4
        .value_kind:     hidden_block_count_z
      - .offset:         100
        .size:           2
        .value_kind:     hidden_group_size_x
      - .offset:         102
        .size:           2
        .value_kind:     hidden_group_size_y
      - .offset:         104
        .size:           2
        .value_kind:     hidden_group_size_z
      - .offset:         106
        .size:           2
        .value_kind:     hidden_remainder_x
      - .offset:         108
        .size:           2
        .value_kind:     hidden_remainder_y
      - .offset:         110
        .size:           2
        .value_kind:     hidden_remainder_z
      - .offset:         128
        .size:           8
        .value_kind:     hidden_global_offset_x
      - .offset:         136
        .size:           8
        .value_kind:     hidden_global_offset_y
      - .offset:         144
        .size:           8
        .value_kind:     hidden_global_offset_z
      - .offset:         152
        .size:           2
        .value_kind:     hidden_grid_dims
    .group_segment_fixed_size: 16424
    .kernarg_segment_align: 8
    .kernarg_segment_size: 344
    .language:       OpenCL C
    .language_version:
      - 2
      - 0
    .max_flat_workgroup_size: 512
    .name:           _ZN7rocprim17ROCPRIM_400000_NS6detail17trampoline_kernelINS0_14default_configENS1_35radix_sort_onesweep_config_selectorIcNS0_10empty_typeEEEZZNS1_29radix_sort_onesweep_iterationIS3_Lb1EPcS8_PS5_S9_mNS0_19identity_decomposerENS1_16block_id_wrapperIjLb0EEEEE10hipError_tT1_PNSt15iterator_traitsISE_E10value_typeET2_T3_PNSF_ISK_E10value_typeET4_T5_PSP_SQ_PNS1_23onesweep_lookback_stateEbbT6_jjT7_P12ihipStream_tbENKUlT_T0_SE_SJ_E_clIS8_S8_S9_S9_EEDaSX_SY_SE_SJ_EUlSX_E_NS1_11comp_targetILNS1_3genE4ELNS1_11target_archE910ELNS1_3gpuE8ELNS1_3repE0EEENS1_47radix_sort_onesweep_sort_config_static_selectorELNS0_4arch9wavefront6targetE1EEEvSE_
    .private_segment_fixed_size: 0
    .sgpr_count:     34
    .sgpr_spill_count: 0
    .symbol:         _ZN7rocprim17ROCPRIM_400000_NS6detail17trampoline_kernelINS0_14default_configENS1_35radix_sort_onesweep_config_selectorIcNS0_10empty_typeEEEZZNS1_29radix_sort_onesweep_iterationIS3_Lb1EPcS8_PS5_S9_mNS0_19identity_decomposerENS1_16block_id_wrapperIjLb0EEEEE10hipError_tT1_PNSt15iterator_traitsISE_E10value_typeET2_T3_PNSF_ISK_E10value_typeET4_T5_PSP_SQ_PNS1_23onesweep_lookback_stateEbbT6_jjT7_P12ihipStream_tbENKUlT_T0_SE_SJ_E_clIS8_S8_S9_S9_EEDaSX_SY_SE_SJ_EUlSX_E_NS1_11comp_targetILNS1_3genE4ELNS1_11target_archE910ELNS1_3gpuE8ELNS1_3repE0EEENS1_47radix_sort_onesweep_sort_config_static_selectorELNS0_4arch9wavefront6targetE1EEEvSE_.kd
    .uniform_work_group_size: 1
    .uses_dynamic_stack: false
    .vgpr_count:     79
    .vgpr_spill_count: 0
    .wavefront_size: 64
  - .agpr_count:     0
    .args:
      - .offset:         0
        .size:           88
        .value_kind:     by_value
    .group_segment_fixed_size: 0
    .kernarg_segment_align: 8
    .kernarg_segment_size: 88
    .language:       OpenCL C
    .language_version:
      - 2
      - 0
    .max_flat_workgroup_size: 1024
    .name:           _ZN7rocprim17ROCPRIM_400000_NS6detail17trampoline_kernelINS0_14default_configENS1_35radix_sort_onesweep_config_selectorIcNS0_10empty_typeEEEZZNS1_29radix_sort_onesweep_iterationIS3_Lb1EPcS8_PS5_S9_mNS0_19identity_decomposerENS1_16block_id_wrapperIjLb0EEEEE10hipError_tT1_PNSt15iterator_traitsISE_E10value_typeET2_T3_PNSF_ISK_E10value_typeET4_T5_PSP_SQ_PNS1_23onesweep_lookback_stateEbbT6_jjT7_P12ihipStream_tbENKUlT_T0_SE_SJ_E_clIS8_S8_S9_S9_EEDaSX_SY_SE_SJ_EUlSX_E_NS1_11comp_targetILNS1_3genE3ELNS1_11target_archE908ELNS1_3gpuE7ELNS1_3repE0EEENS1_47radix_sort_onesweep_sort_config_static_selectorELNS0_4arch9wavefront6targetE1EEEvSE_
    .private_segment_fixed_size: 0
    .sgpr_count:     4
    .sgpr_spill_count: 0
    .symbol:         _ZN7rocprim17ROCPRIM_400000_NS6detail17trampoline_kernelINS0_14default_configENS1_35radix_sort_onesweep_config_selectorIcNS0_10empty_typeEEEZZNS1_29radix_sort_onesweep_iterationIS3_Lb1EPcS8_PS5_S9_mNS0_19identity_decomposerENS1_16block_id_wrapperIjLb0EEEEE10hipError_tT1_PNSt15iterator_traitsISE_E10value_typeET2_T3_PNSF_ISK_E10value_typeET4_T5_PSP_SQ_PNS1_23onesweep_lookback_stateEbbT6_jjT7_P12ihipStream_tbENKUlT_T0_SE_SJ_E_clIS8_S8_S9_S9_EEDaSX_SY_SE_SJ_EUlSX_E_NS1_11comp_targetILNS1_3genE3ELNS1_11target_archE908ELNS1_3gpuE7ELNS1_3repE0EEENS1_47radix_sort_onesweep_sort_config_static_selectorELNS0_4arch9wavefront6targetE1EEEvSE_.kd
    .uniform_work_group_size: 1
    .uses_dynamic_stack: false
    .vgpr_count:     0
    .vgpr_spill_count: 0
    .wavefront_size: 64
  - .agpr_count:     0
    .args:
      - .offset:         0
        .size:           88
        .value_kind:     by_value
    .group_segment_fixed_size: 0
    .kernarg_segment_align: 8
    .kernarg_segment_size: 88
    .language:       OpenCL C
    .language_version:
      - 2
      - 0
    .max_flat_workgroup_size: 256
    .name:           _ZN7rocprim17ROCPRIM_400000_NS6detail17trampoline_kernelINS0_14default_configENS1_35radix_sort_onesweep_config_selectorIcNS0_10empty_typeEEEZZNS1_29radix_sort_onesweep_iterationIS3_Lb1EPcS8_PS5_S9_mNS0_19identity_decomposerENS1_16block_id_wrapperIjLb0EEEEE10hipError_tT1_PNSt15iterator_traitsISE_E10value_typeET2_T3_PNSF_ISK_E10value_typeET4_T5_PSP_SQ_PNS1_23onesweep_lookback_stateEbbT6_jjT7_P12ihipStream_tbENKUlT_T0_SE_SJ_E_clIS8_S8_S9_S9_EEDaSX_SY_SE_SJ_EUlSX_E_NS1_11comp_targetILNS1_3genE10ELNS1_11target_archE1201ELNS1_3gpuE5ELNS1_3repE0EEENS1_47radix_sort_onesweep_sort_config_static_selectorELNS0_4arch9wavefront6targetE1EEEvSE_
    .private_segment_fixed_size: 0
    .sgpr_count:     4
    .sgpr_spill_count: 0
    .symbol:         _ZN7rocprim17ROCPRIM_400000_NS6detail17trampoline_kernelINS0_14default_configENS1_35radix_sort_onesweep_config_selectorIcNS0_10empty_typeEEEZZNS1_29radix_sort_onesweep_iterationIS3_Lb1EPcS8_PS5_S9_mNS0_19identity_decomposerENS1_16block_id_wrapperIjLb0EEEEE10hipError_tT1_PNSt15iterator_traitsISE_E10value_typeET2_T3_PNSF_ISK_E10value_typeET4_T5_PSP_SQ_PNS1_23onesweep_lookback_stateEbbT6_jjT7_P12ihipStream_tbENKUlT_T0_SE_SJ_E_clIS8_S8_S9_S9_EEDaSX_SY_SE_SJ_EUlSX_E_NS1_11comp_targetILNS1_3genE10ELNS1_11target_archE1201ELNS1_3gpuE5ELNS1_3repE0EEENS1_47radix_sort_onesweep_sort_config_static_selectorELNS0_4arch9wavefront6targetE1EEEvSE_.kd
    .uniform_work_group_size: 1
    .uses_dynamic_stack: false
    .vgpr_count:     0
    .vgpr_spill_count: 0
    .wavefront_size: 64
  - .agpr_count:     0
    .args:
      - .offset:         0
        .size:           88
        .value_kind:     by_value
    .group_segment_fixed_size: 0
    .kernarg_segment_align: 8
    .kernarg_segment_size: 88
    .language:       OpenCL C
    .language_version:
      - 2
      - 0
    .max_flat_workgroup_size: 256
    .name:           _ZN7rocprim17ROCPRIM_400000_NS6detail17trampoline_kernelINS0_14default_configENS1_35radix_sort_onesweep_config_selectorIcNS0_10empty_typeEEEZZNS1_29radix_sort_onesweep_iterationIS3_Lb1EPcS8_PS5_S9_mNS0_19identity_decomposerENS1_16block_id_wrapperIjLb0EEEEE10hipError_tT1_PNSt15iterator_traitsISE_E10value_typeET2_T3_PNSF_ISK_E10value_typeET4_T5_PSP_SQ_PNS1_23onesweep_lookback_stateEbbT6_jjT7_P12ihipStream_tbENKUlT_T0_SE_SJ_E_clIS8_S8_S9_S9_EEDaSX_SY_SE_SJ_EUlSX_E_NS1_11comp_targetILNS1_3genE9ELNS1_11target_archE1100ELNS1_3gpuE3ELNS1_3repE0EEENS1_47radix_sort_onesweep_sort_config_static_selectorELNS0_4arch9wavefront6targetE1EEEvSE_
    .private_segment_fixed_size: 0
    .sgpr_count:     4
    .sgpr_spill_count: 0
    .symbol:         _ZN7rocprim17ROCPRIM_400000_NS6detail17trampoline_kernelINS0_14default_configENS1_35radix_sort_onesweep_config_selectorIcNS0_10empty_typeEEEZZNS1_29radix_sort_onesweep_iterationIS3_Lb1EPcS8_PS5_S9_mNS0_19identity_decomposerENS1_16block_id_wrapperIjLb0EEEEE10hipError_tT1_PNSt15iterator_traitsISE_E10value_typeET2_T3_PNSF_ISK_E10value_typeET4_T5_PSP_SQ_PNS1_23onesweep_lookback_stateEbbT6_jjT7_P12ihipStream_tbENKUlT_T0_SE_SJ_E_clIS8_S8_S9_S9_EEDaSX_SY_SE_SJ_EUlSX_E_NS1_11comp_targetILNS1_3genE9ELNS1_11target_archE1100ELNS1_3gpuE3ELNS1_3repE0EEENS1_47radix_sort_onesweep_sort_config_static_selectorELNS0_4arch9wavefront6targetE1EEEvSE_.kd
    .uniform_work_group_size: 1
    .uses_dynamic_stack: false
    .vgpr_count:     0
    .vgpr_spill_count: 0
    .wavefront_size: 64
  - .agpr_count:     0
    .args:
      - .offset:         0
        .size:           88
        .value_kind:     by_value
    .group_segment_fixed_size: 0
    .kernarg_segment_align: 8
    .kernarg_segment_size: 88
    .language:       OpenCL C
    .language_version:
      - 2
      - 0
    .max_flat_workgroup_size: 256
    .name:           _ZN7rocprim17ROCPRIM_400000_NS6detail17trampoline_kernelINS0_14default_configENS1_35radix_sort_onesweep_config_selectorIcNS0_10empty_typeEEEZZNS1_29radix_sort_onesweep_iterationIS3_Lb1EPcS8_PS5_S9_mNS0_19identity_decomposerENS1_16block_id_wrapperIjLb0EEEEE10hipError_tT1_PNSt15iterator_traitsISE_E10value_typeET2_T3_PNSF_ISK_E10value_typeET4_T5_PSP_SQ_PNS1_23onesweep_lookback_stateEbbT6_jjT7_P12ihipStream_tbENKUlT_T0_SE_SJ_E_clIS8_S8_S9_S9_EEDaSX_SY_SE_SJ_EUlSX_E_NS1_11comp_targetILNS1_3genE8ELNS1_11target_archE1030ELNS1_3gpuE2ELNS1_3repE0EEENS1_47radix_sort_onesweep_sort_config_static_selectorELNS0_4arch9wavefront6targetE1EEEvSE_
    .private_segment_fixed_size: 0
    .sgpr_count:     4
    .sgpr_spill_count: 0
    .symbol:         _ZN7rocprim17ROCPRIM_400000_NS6detail17trampoline_kernelINS0_14default_configENS1_35radix_sort_onesweep_config_selectorIcNS0_10empty_typeEEEZZNS1_29radix_sort_onesweep_iterationIS3_Lb1EPcS8_PS5_S9_mNS0_19identity_decomposerENS1_16block_id_wrapperIjLb0EEEEE10hipError_tT1_PNSt15iterator_traitsISE_E10value_typeET2_T3_PNSF_ISK_E10value_typeET4_T5_PSP_SQ_PNS1_23onesweep_lookback_stateEbbT6_jjT7_P12ihipStream_tbENKUlT_T0_SE_SJ_E_clIS8_S8_S9_S9_EEDaSX_SY_SE_SJ_EUlSX_E_NS1_11comp_targetILNS1_3genE8ELNS1_11target_archE1030ELNS1_3gpuE2ELNS1_3repE0EEENS1_47radix_sort_onesweep_sort_config_static_selectorELNS0_4arch9wavefront6targetE1EEEvSE_.kd
    .uniform_work_group_size: 1
    .uses_dynamic_stack: false
    .vgpr_count:     0
    .vgpr_spill_count: 0
    .wavefront_size: 64
  - .agpr_count:     0
    .args:
      - .offset:         0
        .size:           48
        .value_kind:     by_value
    .group_segment_fixed_size: 0
    .kernarg_segment_align: 8
    .kernarg_segment_size: 48
    .language:       OpenCL C
    .language_version:
      - 2
      - 0
    .max_flat_workgroup_size: 256
    .name:           _ZN7rocprim17ROCPRIM_400000_NS6detail17trampoline_kernelINS0_13kernel_configILj256ELj4ELj4294967295EEENS1_37radix_sort_block_sort_config_selectorIaNS0_10empty_typeEEEZNS1_21radix_sort_block_sortIS4_Lb1EPaS9_PS6_SA_NS0_19identity_decomposerEEE10hipError_tT1_T2_T3_T4_jRjT5_jjP12ihipStream_tbEUlT_E_NS1_11comp_targetILNS1_3genE0ELNS1_11target_archE4294967295ELNS1_3gpuE0ELNS1_3repE0EEENS1_44radix_sort_block_sort_config_static_selectorELNS0_4arch9wavefront6targetE1EEEvSD_
    .private_segment_fixed_size: 0
    .sgpr_count:     4
    .sgpr_spill_count: 0
    .symbol:         _ZN7rocprim17ROCPRIM_400000_NS6detail17trampoline_kernelINS0_13kernel_configILj256ELj4ELj4294967295EEENS1_37radix_sort_block_sort_config_selectorIaNS0_10empty_typeEEEZNS1_21radix_sort_block_sortIS4_Lb1EPaS9_PS6_SA_NS0_19identity_decomposerEEE10hipError_tT1_T2_T3_T4_jRjT5_jjP12ihipStream_tbEUlT_E_NS1_11comp_targetILNS1_3genE0ELNS1_11target_archE4294967295ELNS1_3gpuE0ELNS1_3repE0EEENS1_44radix_sort_block_sort_config_static_selectorELNS0_4arch9wavefront6targetE1EEEvSD_.kd
    .uniform_work_group_size: 1
    .uses_dynamic_stack: false
    .vgpr_count:     0
    .vgpr_spill_count: 0
    .wavefront_size: 64
  - .agpr_count:     0
    .args:
      - .offset:         0
        .size:           48
        .value_kind:     by_value
    .group_segment_fixed_size: 0
    .kernarg_segment_align: 8
    .kernarg_segment_size: 48
    .language:       OpenCL C
    .language_version:
      - 2
      - 0
    .max_flat_workgroup_size: 256
    .name:           _ZN7rocprim17ROCPRIM_400000_NS6detail17trampoline_kernelINS0_13kernel_configILj256ELj4ELj4294967295EEENS1_37radix_sort_block_sort_config_selectorIaNS0_10empty_typeEEEZNS1_21radix_sort_block_sortIS4_Lb1EPaS9_PS6_SA_NS0_19identity_decomposerEEE10hipError_tT1_T2_T3_T4_jRjT5_jjP12ihipStream_tbEUlT_E_NS1_11comp_targetILNS1_3genE5ELNS1_11target_archE942ELNS1_3gpuE9ELNS1_3repE0EEENS1_44radix_sort_block_sort_config_static_selectorELNS0_4arch9wavefront6targetE1EEEvSD_
    .private_segment_fixed_size: 0
    .sgpr_count:     4
    .sgpr_spill_count: 0
    .symbol:         _ZN7rocprim17ROCPRIM_400000_NS6detail17trampoline_kernelINS0_13kernel_configILj256ELj4ELj4294967295EEENS1_37radix_sort_block_sort_config_selectorIaNS0_10empty_typeEEEZNS1_21radix_sort_block_sortIS4_Lb1EPaS9_PS6_SA_NS0_19identity_decomposerEEE10hipError_tT1_T2_T3_T4_jRjT5_jjP12ihipStream_tbEUlT_E_NS1_11comp_targetILNS1_3genE5ELNS1_11target_archE942ELNS1_3gpuE9ELNS1_3repE0EEENS1_44radix_sort_block_sort_config_static_selectorELNS0_4arch9wavefront6targetE1EEEvSD_.kd
    .uniform_work_group_size: 1
    .uses_dynamic_stack: false
    .vgpr_count:     0
    .vgpr_spill_count: 0
    .wavefront_size: 64
  - .agpr_count:     0
    .args:
      - .offset:         0
        .size:           48
        .value_kind:     by_value
      - .offset:         48
        .size:           4
        .value_kind:     hidden_block_count_x
      - .offset:         52
        .size:           4
        .value_kind:     hidden_block_count_y
      - .offset:         56
        .size:           4
        .value_kind:     hidden_block_count_z
      - .offset:         60
        .size:           2
        .value_kind:     hidden_group_size_x
      - .offset:         62
        .size:           2
        .value_kind:     hidden_group_size_y
      - .offset:         64
        .size:           2
        .value_kind:     hidden_group_size_z
      - .offset:         66
        .size:           2
        .value_kind:     hidden_remainder_x
      - .offset:         68
        .size:           2
        .value_kind:     hidden_remainder_y
      - .offset:         70
        .size:           2
        .value_kind:     hidden_remainder_z
      - .offset:         88
        .size:           8
        .value_kind:     hidden_global_offset_x
      - .offset:         96
        .size:           8
        .value_kind:     hidden_global_offset_y
      - .offset:         104
        .size:           8
        .value_kind:     hidden_global_offset_z
      - .offset:         112
        .size:           2
        .value_kind:     hidden_grid_dims
    .group_segment_fixed_size: 4112
    .kernarg_segment_align: 8
    .kernarg_segment_size: 304
    .language:       OpenCL C
    .language_version:
      - 2
      - 0
    .max_flat_workgroup_size: 256
    .name:           _ZN7rocprim17ROCPRIM_400000_NS6detail17trampoline_kernelINS0_13kernel_configILj256ELj4ELj4294967295EEENS1_37radix_sort_block_sort_config_selectorIaNS0_10empty_typeEEEZNS1_21radix_sort_block_sortIS4_Lb1EPaS9_PS6_SA_NS0_19identity_decomposerEEE10hipError_tT1_T2_T3_T4_jRjT5_jjP12ihipStream_tbEUlT_E_NS1_11comp_targetILNS1_3genE4ELNS1_11target_archE910ELNS1_3gpuE8ELNS1_3repE0EEENS1_44radix_sort_block_sort_config_static_selectorELNS0_4arch9wavefront6targetE1EEEvSD_
    .private_segment_fixed_size: 0
    .sgpr_count:     46
    .sgpr_spill_count: 0
    .symbol:         _ZN7rocprim17ROCPRIM_400000_NS6detail17trampoline_kernelINS0_13kernel_configILj256ELj4ELj4294967295EEENS1_37radix_sort_block_sort_config_selectorIaNS0_10empty_typeEEEZNS1_21radix_sort_block_sortIS4_Lb1EPaS9_PS6_SA_NS0_19identity_decomposerEEE10hipError_tT1_T2_T3_T4_jRjT5_jjP12ihipStream_tbEUlT_E_NS1_11comp_targetILNS1_3genE4ELNS1_11target_archE910ELNS1_3gpuE8ELNS1_3repE0EEENS1_44radix_sort_block_sort_config_static_selectorELNS0_4arch9wavefront6targetE1EEEvSD_.kd
    .uniform_work_group_size: 1
    .uses_dynamic_stack: false
    .vgpr_count:     38
    .vgpr_spill_count: 0
    .wavefront_size: 64
  - .agpr_count:     0
    .args:
      - .offset:         0
        .size:           48
        .value_kind:     by_value
    .group_segment_fixed_size: 0
    .kernarg_segment_align: 8
    .kernarg_segment_size: 48
    .language:       OpenCL C
    .language_version:
      - 2
      - 0
    .max_flat_workgroup_size: 256
    .name:           _ZN7rocprim17ROCPRIM_400000_NS6detail17trampoline_kernelINS0_13kernel_configILj256ELj4ELj4294967295EEENS1_37radix_sort_block_sort_config_selectorIaNS0_10empty_typeEEEZNS1_21radix_sort_block_sortIS4_Lb1EPaS9_PS6_SA_NS0_19identity_decomposerEEE10hipError_tT1_T2_T3_T4_jRjT5_jjP12ihipStream_tbEUlT_E_NS1_11comp_targetILNS1_3genE3ELNS1_11target_archE908ELNS1_3gpuE7ELNS1_3repE0EEENS1_44radix_sort_block_sort_config_static_selectorELNS0_4arch9wavefront6targetE1EEEvSD_
    .private_segment_fixed_size: 0
    .sgpr_count:     4
    .sgpr_spill_count: 0
    .symbol:         _ZN7rocprim17ROCPRIM_400000_NS6detail17trampoline_kernelINS0_13kernel_configILj256ELj4ELj4294967295EEENS1_37radix_sort_block_sort_config_selectorIaNS0_10empty_typeEEEZNS1_21radix_sort_block_sortIS4_Lb1EPaS9_PS6_SA_NS0_19identity_decomposerEEE10hipError_tT1_T2_T3_T4_jRjT5_jjP12ihipStream_tbEUlT_E_NS1_11comp_targetILNS1_3genE3ELNS1_11target_archE908ELNS1_3gpuE7ELNS1_3repE0EEENS1_44radix_sort_block_sort_config_static_selectorELNS0_4arch9wavefront6targetE1EEEvSD_.kd
    .uniform_work_group_size: 1
    .uses_dynamic_stack: false
    .vgpr_count:     0
    .vgpr_spill_count: 0
    .wavefront_size: 64
  - .agpr_count:     0
    .args:
      - .offset:         0
        .size:           48
        .value_kind:     by_value
    .group_segment_fixed_size: 0
    .kernarg_segment_align: 8
    .kernarg_segment_size: 48
    .language:       OpenCL C
    .language_version:
      - 2
      - 0
    .max_flat_workgroup_size: 256
    .name:           _ZN7rocprim17ROCPRIM_400000_NS6detail17trampoline_kernelINS0_13kernel_configILj256ELj4ELj4294967295EEENS1_37radix_sort_block_sort_config_selectorIaNS0_10empty_typeEEEZNS1_21radix_sort_block_sortIS4_Lb1EPaS9_PS6_SA_NS0_19identity_decomposerEEE10hipError_tT1_T2_T3_T4_jRjT5_jjP12ihipStream_tbEUlT_E_NS1_11comp_targetILNS1_3genE2ELNS1_11target_archE906ELNS1_3gpuE6ELNS1_3repE0EEENS1_44radix_sort_block_sort_config_static_selectorELNS0_4arch9wavefront6targetE1EEEvSD_
    .private_segment_fixed_size: 0
    .sgpr_count:     4
    .sgpr_spill_count: 0
    .symbol:         _ZN7rocprim17ROCPRIM_400000_NS6detail17trampoline_kernelINS0_13kernel_configILj256ELj4ELj4294967295EEENS1_37radix_sort_block_sort_config_selectorIaNS0_10empty_typeEEEZNS1_21radix_sort_block_sortIS4_Lb1EPaS9_PS6_SA_NS0_19identity_decomposerEEE10hipError_tT1_T2_T3_T4_jRjT5_jjP12ihipStream_tbEUlT_E_NS1_11comp_targetILNS1_3genE2ELNS1_11target_archE906ELNS1_3gpuE6ELNS1_3repE0EEENS1_44radix_sort_block_sort_config_static_selectorELNS0_4arch9wavefront6targetE1EEEvSD_.kd
    .uniform_work_group_size: 1
    .uses_dynamic_stack: false
    .vgpr_count:     0
    .vgpr_spill_count: 0
    .wavefront_size: 64
  - .agpr_count:     0
    .args:
      - .offset:         0
        .size:           48
        .value_kind:     by_value
    .group_segment_fixed_size: 0
    .kernarg_segment_align: 8
    .kernarg_segment_size: 48
    .language:       OpenCL C
    .language_version:
      - 2
      - 0
    .max_flat_workgroup_size: 256
    .name:           _ZN7rocprim17ROCPRIM_400000_NS6detail17trampoline_kernelINS0_13kernel_configILj256ELj4ELj4294967295EEENS1_37radix_sort_block_sort_config_selectorIaNS0_10empty_typeEEEZNS1_21radix_sort_block_sortIS4_Lb1EPaS9_PS6_SA_NS0_19identity_decomposerEEE10hipError_tT1_T2_T3_T4_jRjT5_jjP12ihipStream_tbEUlT_E_NS1_11comp_targetILNS1_3genE10ELNS1_11target_archE1201ELNS1_3gpuE5ELNS1_3repE0EEENS1_44radix_sort_block_sort_config_static_selectorELNS0_4arch9wavefront6targetE1EEEvSD_
    .private_segment_fixed_size: 0
    .sgpr_count:     4
    .sgpr_spill_count: 0
    .symbol:         _ZN7rocprim17ROCPRIM_400000_NS6detail17trampoline_kernelINS0_13kernel_configILj256ELj4ELj4294967295EEENS1_37radix_sort_block_sort_config_selectorIaNS0_10empty_typeEEEZNS1_21radix_sort_block_sortIS4_Lb1EPaS9_PS6_SA_NS0_19identity_decomposerEEE10hipError_tT1_T2_T3_T4_jRjT5_jjP12ihipStream_tbEUlT_E_NS1_11comp_targetILNS1_3genE10ELNS1_11target_archE1201ELNS1_3gpuE5ELNS1_3repE0EEENS1_44radix_sort_block_sort_config_static_selectorELNS0_4arch9wavefront6targetE1EEEvSD_.kd
    .uniform_work_group_size: 1
    .uses_dynamic_stack: false
    .vgpr_count:     0
    .vgpr_spill_count: 0
    .wavefront_size: 64
  - .agpr_count:     0
    .args:
      - .offset:         0
        .size:           48
        .value_kind:     by_value
    .group_segment_fixed_size: 0
    .kernarg_segment_align: 8
    .kernarg_segment_size: 48
    .language:       OpenCL C
    .language_version:
      - 2
      - 0
    .max_flat_workgroup_size: 256
    .name:           _ZN7rocprim17ROCPRIM_400000_NS6detail17trampoline_kernelINS0_13kernel_configILj256ELj4ELj4294967295EEENS1_37radix_sort_block_sort_config_selectorIaNS0_10empty_typeEEEZNS1_21radix_sort_block_sortIS4_Lb1EPaS9_PS6_SA_NS0_19identity_decomposerEEE10hipError_tT1_T2_T3_T4_jRjT5_jjP12ihipStream_tbEUlT_E_NS1_11comp_targetILNS1_3genE10ELNS1_11target_archE1200ELNS1_3gpuE4ELNS1_3repE0EEENS1_44radix_sort_block_sort_config_static_selectorELNS0_4arch9wavefront6targetE1EEEvSD_
    .private_segment_fixed_size: 0
    .sgpr_count:     4
    .sgpr_spill_count: 0
    .symbol:         _ZN7rocprim17ROCPRIM_400000_NS6detail17trampoline_kernelINS0_13kernel_configILj256ELj4ELj4294967295EEENS1_37radix_sort_block_sort_config_selectorIaNS0_10empty_typeEEEZNS1_21radix_sort_block_sortIS4_Lb1EPaS9_PS6_SA_NS0_19identity_decomposerEEE10hipError_tT1_T2_T3_T4_jRjT5_jjP12ihipStream_tbEUlT_E_NS1_11comp_targetILNS1_3genE10ELNS1_11target_archE1200ELNS1_3gpuE4ELNS1_3repE0EEENS1_44radix_sort_block_sort_config_static_selectorELNS0_4arch9wavefront6targetE1EEEvSD_.kd
    .uniform_work_group_size: 1
    .uses_dynamic_stack: false
    .vgpr_count:     0
    .vgpr_spill_count: 0
    .wavefront_size: 64
  - .agpr_count:     0
    .args:
      - .offset:         0
        .size:           48
        .value_kind:     by_value
    .group_segment_fixed_size: 0
    .kernarg_segment_align: 8
    .kernarg_segment_size: 48
    .language:       OpenCL C
    .language_version:
      - 2
      - 0
    .max_flat_workgroup_size: 256
    .name:           _ZN7rocprim17ROCPRIM_400000_NS6detail17trampoline_kernelINS0_13kernel_configILj256ELj4ELj4294967295EEENS1_37radix_sort_block_sort_config_selectorIaNS0_10empty_typeEEEZNS1_21radix_sort_block_sortIS4_Lb1EPaS9_PS6_SA_NS0_19identity_decomposerEEE10hipError_tT1_T2_T3_T4_jRjT5_jjP12ihipStream_tbEUlT_E_NS1_11comp_targetILNS1_3genE9ELNS1_11target_archE1100ELNS1_3gpuE3ELNS1_3repE0EEENS1_44radix_sort_block_sort_config_static_selectorELNS0_4arch9wavefront6targetE1EEEvSD_
    .private_segment_fixed_size: 0
    .sgpr_count:     4
    .sgpr_spill_count: 0
    .symbol:         _ZN7rocprim17ROCPRIM_400000_NS6detail17trampoline_kernelINS0_13kernel_configILj256ELj4ELj4294967295EEENS1_37radix_sort_block_sort_config_selectorIaNS0_10empty_typeEEEZNS1_21radix_sort_block_sortIS4_Lb1EPaS9_PS6_SA_NS0_19identity_decomposerEEE10hipError_tT1_T2_T3_T4_jRjT5_jjP12ihipStream_tbEUlT_E_NS1_11comp_targetILNS1_3genE9ELNS1_11target_archE1100ELNS1_3gpuE3ELNS1_3repE0EEENS1_44radix_sort_block_sort_config_static_selectorELNS0_4arch9wavefront6targetE1EEEvSD_.kd
    .uniform_work_group_size: 1
    .uses_dynamic_stack: false
    .vgpr_count:     0
    .vgpr_spill_count: 0
    .wavefront_size: 64
  - .agpr_count:     0
    .args:
      - .offset:         0
        .size:           48
        .value_kind:     by_value
    .group_segment_fixed_size: 0
    .kernarg_segment_align: 8
    .kernarg_segment_size: 48
    .language:       OpenCL C
    .language_version:
      - 2
      - 0
    .max_flat_workgroup_size: 256
    .name:           _ZN7rocprim17ROCPRIM_400000_NS6detail17trampoline_kernelINS0_13kernel_configILj256ELj4ELj4294967295EEENS1_37radix_sort_block_sort_config_selectorIaNS0_10empty_typeEEEZNS1_21radix_sort_block_sortIS4_Lb1EPaS9_PS6_SA_NS0_19identity_decomposerEEE10hipError_tT1_T2_T3_T4_jRjT5_jjP12ihipStream_tbEUlT_E_NS1_11comp_targetILNS1_3genE8ELNS1_11target_archE1030ELNS1_3gpuE2ELNS1_3repE0EEENS1_44radix_sort_block_sort_config_static_selectorELNS0_4arch9wavefront6targetE1EEEvSD_
    .private_segment_fixed_size: 0
    .sgpr_count:     4
    .sgpr_spill_count: 0
    .symbol:         _ZN7rocprim17ROCPRIM_400000_NS6detail17trampoline_kernelINS0_13kernel_configILj256ELj4ELj4294967295EEENS1_37radix_sort_block_sort_config_selectorIaNS0_10empty_typeEEEZNS1_21radix_sort_block_sortIS4_Lb1EPaS9_PS6_SA_NS0_19identity_decomposerEEE10hipError_tT1_T2_T3_T4_jRjT5_jjP12ihipStream_tbEUlT_E_NS1_11comp_targetILNS1_3genE8ELNS1_11target_archE1030ELNS1_3gpuE2ELNS1_3repE0EEENS1_44radix_sort_block_sort_config_static_selectorELNS0_4arch9wavefront6targetE1EEEvSD_.kd
    .uniform_work_group_size: 1
    .uses_dynamic_stack: false
    .vgpr_count:     0
    .vgpr_spill_count: 0
    .wavefront_size: 64
  - .agpr_count:     0
    .args:
      - .offset:         0
        .size:           40
        .value_kind:     by_value
    .group_segment_fixed_size: 0
    .kernarg_segment_align: 8
    .kernarg_segment_size: 40
    .language:       OpenCL C
    .language_version:
      - 2
      - 0
    .max_flat_workgroup_size: 128
    .name:           _ZN7rocprim17ROCPRIM_400000_NS6detail17trampoline_kernelINS0_14default_configENS1_38merge_sort_block_merge_config_selectorIaNS0_10empty_typeEEEZZNS1_27merge_sort_block_merge_implIS3_PaPS5_jNS1_19radix_merge_compareILb1ELb0EaNS0_19identity_decomposerEEEEE10hipError_tT0_T1_T2_jT3_P12ihipStream_tbPNSt15iterator_traitsISE_E10value_typeEPNSK_ISF_E10value_typeEPSG_NS1_7vsmem_tEENKUlT_SE_SF_SG_E_clIS8_S8_S9_S9_EESD_ST_SE_SF_SG_EUlST_E_NS1_11comp_targetILNS1_3genE0ELNS1_11target_archE4294967295ELNS1_3gpuE0ELNS1_3repE0EEENS1_48merge_mergepath_partition_config_static_selectorELNS0_4arch9wavefront6targetE1EEEvSF_
    .private_segment_fixed_size: 0
    .sgpr_count:     4
    .sgpr_spill_count: 0
    .symbol:         _ZN7rocprim17ROCPRIM_400000_NS6detail17trampoline_kernelINS0_14default_configENS1_38merge_sort_block_merge_config_selectorIaNS0_10empty_typeEEEZZNS1_27merge_sort_block_merge_implIS3_PaPS5_jNS1_19radix_merge_compareILb1ELb0EaNS0_19identity_decomposerEEEEE10hipError_tT0_T1_T2_jT3_P12ihipStream_tbPNSt15iterator_traitsISE_E10value_typeEPNSK_ISF_E10value_typeEPSG_NS1_7vsmem_tEENKUlT_SE_SF_SG_E_clIS8_S8_S9_S9_EESD_ST_SE_SF_SG_EUlST_E_NS1_11comp_targetILNS1_3genE0ELNS1_11target_archE4294967295ELNS1_3gpuE0ELNS1_3repE0EEENS1_48merge_mergepath_partition_config_static_selectorELNS0_4arch9wavefront6targetE1EEEvSF_.kd
    .uniform_work_group_size: 1
    .uses_dynamic_stack: false
    .vgpr_count:     0
    .vgpr_spill_count: 0
    .wavefront_size: 64
  - .agpr_count:     0
    .args:
      - .offset:         0
        .size:           40
        .value_kind:     by_value
    .group_segment_fixed_size: 0
    .kernarg_segment_align: 8
    .kernarg_segment_size: 40
    .language:       OpenCL C
    .language_version:
      - 2
      - 0
    .max_flat_workgroup_size: 128
    .name:           _ZN7rocprim17ROCPRIM_400000_NS6detail17trampoline_kernelINS0_14default_configENS1_38merge_sort_block_merge_config_selectorIaNS0_10empty_typeEEEZZNS1_27merge_sort_block_merge_implIS3_PaPS5_jNS1_19radix_merge_compareILb1ELb0EaNS0_19identity_decomposerEEEEE10hipError_tT0_T1_T2_jT3_P12ihipStream_tbPNSt15iterator_traitsISE_E10value_typeEPNSK_ISF_E10value_typeEPSG_NS1_7vsmem_tEENKUlT_SE_SF_SG_E_clIS8_S8_S9_S9_EESD_ST_SE_SF_SG_EUlST_E_NS1_11comp_targetILNS1_3genE10ELNS1_11target_archE1201ELNS1_3gpuE5ELNS1_3repE0EEENS1_48merge_mergepath_partition_config_static_selectorELNS0_4arch9wavefront6targetE1EEEvSF_
    .private_segment_fixed_size: 0
    .sgpr_count:     4
    .sgpr_spill_count: 0
    .symbol:         _ZN7rocprim17ROCPRIM_400000_NS6detail17trampoline_kernelINS0_14default_configENS1_38merge_sort_block_merge_config_selectorIaNS0_10empty_typeEEEZZNS1_27merge_sort_block_merge_implIS3_PaPS5_jNS1_19radix_merge_compareILb1ELb0EaNS0_19identity_decomposerEEEEE10hipError_tT0_T1_T2_jT3_P12ihipStream_tbPNSt15iterator_traitsISE_E10value_typeEPNSK_ISF_E10value_typeEPSG_NS1_7vsmem_tEENKUlT_SE_SF_SG_E_clIS8_S8_S9_S9_EESD_ST_SE_SF_SG_EUlST_E_NS1_11comp_targetILNS1_3genE10ELNS1_11target_archE1201ELNS1_3gpuE5ELNS1_3repE0EEENS1_48merge_mergepath_partition_config_static_selectorELNS0_4arch9wavefront6targetE1EEEvSF_.kd
    .uniform_work_group_size: 1
    .uses_dynamic_stack: false
    .vgpr_count:     0
    .vgpr_spill_count: 0
    .wavefront_size: 64
  - .agpr_count:     0
    .args:
      - .offset:         0
        .size:           40
        .value_kind:     by_value
    .group_segment_fixed_size: 0
    .kernarg_segment_align: 8
    .kernarg_segment_size: 40
    .language:       OpenCL C
    .language_version:
      - 2
      - 0
    .max_flat_workgroup_size: 128
    .name:           _ZN7rocprim17ROCPRIM_400000_NS6detail17trampoline_kernelINS0_14default_configENS1_38merge_sort_block_merge_config_selectorIaNS0_10empty_typeEEEZZNS1_27merge_sort_block_merge_implIS3_PaPS5_jNS1_19radix_merge_compareILb1ELb0EaNS0_19identity_decomposerEEEEE10hipError_tT0_T1_T2_jT3_P12ihipStream_tbPNSt15iterator_traitsISE_E10value_typeEPNSK_ISF_E10value_typeEPSG_NS1_7vsmem_tEENKUlT_SE_SF_SG_E_clIS8_S8_S9_S9_EESD_ST_SE_SF_SG_EUlST_E_NS1_11comp_targetILNS1_3genE5ELNS1_11target_archE942ELNS1_3gpuE9ELNS1_3repE0EEENS1_48merge_mergepath_partition_config_static_selectorELNS0_4arch9wavefront6targetE1EEEvSF_
    .private_segment_fixed_size: 0
    .sgpr_count:     4
    .sgpr_spill_count: 0
    .symbol:         _ZN7rocprim17ROCPRIM_400000_NS6detail17trampoline_kernelINS0_14default_configENS1_38merge_sort_block_merge_config_selectorIaNS0_10empty_typeEEEZZNS1_27merge_sort_block_merge_implIS3_PaPS5_jNS1_19radix_merge_compareILb1ELb0EaNS0_19identity_decomposerEEEEE10hipError_tT0_T1_T2_jT3_P12ihipStream_tbPNSt15iterator_traitsISE_E10value_typeEPNSK_ISF_E10value_typeEPSG_NS1_7vsmem_tEENKUlT_SE_SF_SG_E_clIS8_S8_S9_S9_EESD_ST_SE_SF_SG_EUlST_E_NS1_11comp_targetILNS1_3genE5ELNS1_11target_archE942ELNS1_3gpuE9ELNS1_3repE0EEENS1_48merge_mergepath_partition_config_static_selectorELNS0_4arch9wavefront6targetE1EEEvSF_.kd
    .uniform_work_group_size: 1
    .uses_dynamic_stack: false
    .vgpr_count:     0
    .vgpr_spill_count: 0
    .wavefront_size: 64
  - .agpr_count:     0
    .args:
      - .offset:         0
        .size:           40
        .value_kind:     by_value
    .group_segment_fixed_size: 0
    .kernarg_segment_align: 8
    .kernarg_segment_size: 40
    .language:       OpenCL C
    .language_version:
      - 2
      - 0
    .max_flat_workgroup_size: 128
    .name:           _ZN7rocprim17ROCPRIM_400000_NS6detail17trampoline_kernelINS0_14default_configENS1_38merge_sort_block_merge_config_selectorIaNS0_10empty_typeEEEZZNS1_27merge_sort_block_merge_implIS3_PaPS5_jNS1_19radix_merge_compareILb1ELb0EaNS0_19identity_decomposerEEEEE10hipError_tT0_T1_T2_jT3_P12ihipStream_tbPNSt15iterator_traitsISE_E10value_typeEPNSK_ISF_E10value_typeEPSG_NS1_7vsmem_tEENKUlT_SE_SF_SG_E_clIS8_S8_S9_S9_EESD_ST_SE_SF_SG_EUlST_E_NS1_11comp_targetILNS1_3genE4ELNS1_11target_archE910ELNS1_3gpuE8ELNS1_3repE0EEENS1_48merge_mergepath_partition_config_static_selectorELNS0_4arch9wavefront6targetE1EEEvSF_
    .private_segment_fixed_size: 0
    .sgpr_count:     12
    .sgpr_spill_count: 0
    .symbol:         _ZN7rocprim17ROCPRIM_400000_NS6detail17trampoline_kernelINS0_14default_configENS1_38merge_sort_block_merge_config_selectorIaNS0_10empty_typeEEEZZNS1_27merge_sort_block_merge_implIS3_PaPS5_jNS1_19radix_merge_compareILb1ELb0EaNS0_19identity_decomposerEEEEE10hipError_tT0_T1_T2_jT3_P12ihipStream_tbPNSt15iterator_traitsISE_E10value_typeEPNSK_ISF_E10value_typeEPSG_NS1_7vsmem_tEENKUlT_SE_SF_SG_E_clIS8_S8_S9_S9_EESD_ST_SE_SF_SG_EUlST_E_NS1_11comp_targetILNS1_3genE4ELNS1_11target_archE910ELNS1_3gpuE8ELNS1_3repE0EEENS1_48merge_mergepath_partition_config_static_selectorELNS0_4arch9wavefront6targetE1EEEvSF_.kd
    .uniform_work_group_size: 1
    .uses_dynamic_stack: false
    .vgpr_count:     16
    .vgpr_spill_count: 0
    .wavefront_size: 64
  - .agpr_count:     0
    .args:
      - .offset:         0
        .size:           40
        .value_kind:     by_value
    .group_segment_fixed_size: 0
    .kernarg_segment_align: 8
    .kernarg_segment_size: 40
    .language:       OpenCL C
    .language_version:
      - 2
      - 0
    .max_flat_workgroup_size: 128
    .name:           _ZN7rocprim17ROCPRIM_400000_NS6detail17trampoline_kernelINS0_14default_configENS1_38merge_sort_block_merge_config_selectorIaNS0_10empty_typeEEEZZNS1_27merge_sort_block_merge_implIS3_PaPS5_jNS1_19radix_merge_compareILb1ELb0EaNS0_19identity_decomposerEEEEE10hipError_tT0_T1_T2_jT3_P12ihipStream_tbPNSt15iterator_traitsISE_E10value_typeEPNSK_ISF_E10value_typeEPSG_NS1_7vsmem_tEENKUlT_SE_SF_SG_E_clIS8_S8_S9_S9_EESD_ST_SE_SF_SG_EUlST_E_NS1_11comp_targetILNS1_3genE3ELNS1_11target_archE908ELNS1_3gpuE7ELNS1_3repE0EEENS1_48merge_mergepath_partition_config_static_selectorELNS0_4arch9wavefront6targetE1EEEvSF_
    .private_segment_fixed_size: 0
    .sgpr_count:     4
    .sgpr_spill_count: 0
    .symbol:         _ZN7rocprim17ROCPRIM_400000_NS6detail17trampoline_kernelINS0_14default_configENS1_38merge_sort_block_merge_config_selectorIaNS0_10empty_typeEEEZZNS1_27merge_sort_block_merge_implIS3_PaPS5_jNS1_19radix_merge_compareILb1ELb0EaNS0_19identity_decomposerEEEEE10hipError_tT0_T1_T2_jT3_P12ihipStream_tbPNSt15iterator_traitsISE_E10value_typeEPNSK_ISF_E10value_typeEPSG_NS1_7vsmem_tEENKUlT_SE_SF_SG_E_clIS8_S8_S9_S9_EESD_ST_SE_SF_SG_EUlST_E_NS1_11comp_targetILNS1_3genE3ELNS1_11target_archE908ELNS1_3gpuE7ELNS1_3repE0EEENS1_48merge_mergepath_partition_config_static_selectorELNS0_4arch9wavefront6targetE1EEEvSF_.kd
    .uniform_work_group_size: 1
    .uses_dynamic_stack: false
    .vgpr_count:     0
    .vgpr_spill_count: 0
    .wavefront_size: 64
  - .agpr_count:     0
    .args:
      - .offset:         0
        .size:           40
        .value_kind:     by_value
    .group_segment_fixed_size: 0
    .kernarg_segment_align: 8
    .kernarg_segment_size: 40
    .language:       OpenCL C
    .language_version:
      - 2
      - 0
    .max_flat_workgroup_size: 128
    .name:           _ZN7rocprim17ROCPRIM_400000_NS6detail17trampoline_kernelINS0_14default_configENS1_38merge_sort_block_merge_config_selectorIaNS0_10empty_typeEEEZZNS1_27merge_sort_block_merge_implIS3_PaPS5_jNS1_19radix_merge_compareILb1ELb0EaNS0_19identity_decomposerEEEEE10hipError_tT0_T1_T2_jT3_P12ihipStream_tbPNSt15iterator_traitsISE_E10value_typeEPNSK_ISF_E10value_typeEPSG_NS1_7vsmem_tEENKUlT_SE_SF_SG_E_clIS8_S8_S9_S9_EESD_ST_SE_SF_SG_EUlST_E_NS1_11comp_targetILNS1_3genE2ELNS1_11target_archE906ELNS1_3gpuE6ELNS1_3repE0EEENS1_48merge_mergepath_partition_config_static_selectorELNS0_4arch9wavefront6targetE1EEEvSF_
    .private_segment_fixed_size: 0
    .sgpr_count:     4
    .sgpr_spill_count: 0
    .symbol:         _ZN7rocprim17ROCPRIM_400000_NS6detail17trampoline_kernelINS0_14default_configENS1_38merge_sort_block_merge_config_selectorIaNS0_10empty_typeEEEZZNS1_27merge_sort_block_merge_implIS3_PaPS5_jNS1_19radix_merge_compareILb1ELb0EaNS0_19identity_decomposerEEEEE10hipError_tT0_T1_T2_jT3_P12ihipStream_tbPNSt15iterator_traitsISE_E10value_typeEPNSK_ISF_E10value_typeEPSG_NS1_7vsmem_tEENKUlT_SE_SF_SG_E_clIS8_S8_S9_S9_EESD_ST_SE_SF_SG_EUlST_E_NS1_11comp_targetILNS1_3genE2ELNS1_11target_archE906ELNS1_3gpuE6ELNS1_3repE0EEENS1_48merge_mergepath_partition_config_static_selectorELNS0_4arch9wavefront6targetE1EEEvSF_.kd
    .uniform_work_group_size: 1
    .uses_dynamic_stack: false
    .vgpr_count:     0
    .vgpr_spill_count: 0
    .wavefront_size: 64
  - .agpr_count:     0
    .args:
      - .offset:         0
        .size:           40
        .value_kind:     by_value
    .group_segment_fixed_size: 0
    .kernarg_segment_align: 8
    .kernarg_segment_size: 40
    .language:       OpenCL C
    .language_version:
      - 2
      - 0
    .max_flat_workgroup_size: 128
    .name:           _ZN7rocprim17ROCPRIM_400000_NS6detail17trampoline_kernelINS0_14default_configENS1_38merge_sort_block_merge_config_selectorIaNS0_10empty_typeEEEZZNS1_27merge_sort_block_merge_implIS3_PaPS5_jNS1_19radix_merge_compareILb1ELb0EaNS0_19identity_decomposerEEEEE10hipError_tT0_T1_T2_jT3_P12ihipStream_tbPNSt15iterator_traitsISE_E10value_typeEPNSK_ISF_E10value_typeEPSG_NS1_7vsmem_tEENKUlT_SE_SF_SG_E_clIS8_S8_S9_S9_EESD_ST_SE_SF_SG_EUlST_E_NS1_11comp_targetILNS1_3genE9ELNS1_11target_archE1100ELNS1_3gpuE3ELNS1_3repE0EEENS1_48merge_mergepath_partition_config_static_selectorELNS0_4arch9wavefront6targetE1EEEvSF_
    .private_segment_fixed_size: 0
    .sgpr_count:     4
    .sgpr_spill_count: 0
    .symbol:         _ZN7rocprim17ROCPRIM_400000_NS6detail17trampoline_kernelINS0_14default_configENS1_38merge_sort_block_merge_config_selectorIaNS0_10empty_typeEEEZZNS1_27merge_sort_block_merge_implIS3_PaPS5_jNS1_19radix_merge_compareILb1ELb0EaNS0_19identity_decomposerEEEEE10hipError_tT0_T1_T2_jT3_P12ihipStream_tbPNSt15iterator_traitsISE_E10value_typeEPNSK_ISF_E10value_typeEPSG_NS1_7vsmem_tEENKUlT_SE_SF_SG_E_clIS8_S8_S9_S9_EESD_ST_SE_SF_SG_EUlST_E_NS1_11comp_targetILNS1_3genE9ELNS1_11target_archE1100ELNS1_3gpuE3ELNS1_3repE0EEENS1_48merge_mergepath_partition_config_static_selectorELNS0_4arch9wavefront6targetE1EEEvSF_.kd
    .uniform_work_group_size: 1
    .uses_dynamic_stack: false
    .vgpr_count:     0
    .vgpr_spill_count: 0
    .wavefront_size: 64
  - .agpr_count:     0
    .args:
      - .offset:         0
        .size:           40
        .value_kind:     by_value
    .group_segment_fixed_size: 0
    .kernarg_segment_align: 8
    .kernarg_segment_size: 40
    .language:       OpenCL C
    .language_version:
      - 2
      - 0
    .max_flat_workgroup_size: 128
    .name:           _ZN7rocprim17ROCPRIM_400000_NS6detail17trampoline_kernelINS0_14default_configENS1_38merge_sort_block_merge_config_selectorIaNS0_10empty_typeEEEZZNS1_27merge_sort_block_merge_implIS3_PaPS5_jNS1_19radix_merge_compareILb1ELb0EaNS0_19identity_decomposerEEEEE10hipError_tT0_T1_T2_jT3_P12ihipStream_tbPNSt15iterator_traitsISE_E10value_typeEPNSK_ISF_E10value_typeEPSG_NS1_7vsmem_tEENKUlT_SE_SF_SG_E_clIS8_S8_S9_S9_EESD_ST_SE_SF_SG_EUlST_E_NS1_11comp_targetILNS1_3genE8ELNS1_11target_archE1030ELNS1_3gpuE2ELNS1_3repE0EEENS1_48merge_mergepath_partition_config_static_selectorELNS0_4arch9wavefront6targetE1EEEvSF_
    .private_segment_fixed_size: 0
    .sgpr_count:     4
    .sgpr_spill_count: 0
    .symbol:         _ZN7rocprim17ROCPRIM_400000_NS6detail17trampoline_kernelINS0_14default_configENS1_38merge_sort_block_merge_config_selectorIaNS0_10empty_typeEEEZZNS1_27merge_sort_block_merge_implIS3_PaPS5_jNS1_19radix_merge_compareILb1ELb0EaNS0_19identity_decomposerEEEEE10hipError_tT0_T1_T2_jT3_P12ihipStream_tbPNSt15iterator_traitsISE_E10value_typeEPNSK_ISF_E10value_typeEPSG_NS1_7vsmem_tEENKUlT_SE_SF_SG_E_clIS8_S8_S9_S9_EESD_ST_SE_SF_SG_EUlST_E_NS1_11comp_targetILNS1_3genE8ELNS1_11target_archE1030ELNS1_3gpuE2ELNS1_3repE0EEENS1_48merge_mergepath_partition_config_static_selectorELNS0_4arch9wavefront6targetE1EEEvSF_.kd
    .uniform_work_group_size: 1
    .uses_dynamic_stack: false
    .vgpr_count:     0
    .vgpr_spill_count: 0
    .wavefront_size: 64
  - .agpr_count:     0
    .args:
      - .offset:         0
        .size:           64
        .value_kind:     by_value
    .group_segment_fixed_size: 0
    .kernarg_segment_align: 8
    .kernarg_segment_size: 64
    .language:       OpenCL C
    .language_version:
      - 2
      - 0
    .max_flat_workgroup_size: 128
    .name:           _ZN7rocprim17ROCPRIM_400000_NS6detail17trampoline_kernelINS0_14default_configENS1_38merge_sort_block_merge_config_selectorIaNS0_10empty_typeEEEZZNS1_27merge_sort_block_merge_implIS3_PaPS5_jNS1_19radix_merge_compareILb1ELb0EaNS0_19identity_decomposerEEEEE10hipError_tT0_T1_T2_jT3_P12ihipStream_tbPNSt15iterator_traitsISE_E10value_typeEPNSK_ISF_E10value_typeEPSG_NS1_7vsmem_tEENKUlT_SE_SF_SG_E_clIS8_S8_S9_S9_EESD_ST_SE_SF_SG_EUlST_E0_NS1_11comp_targetILNS1_3genE0ELNS1_11target_archE4294967295ELNS1_3gpuE0ELNS1_3repE0EEENS1_38merge_mergepath_config_static_selectorELNS0_4arch9wavefront6targetE1EEEvSF_
    .private_segment_fixed_size: 0
    .sgpr_count:     4
    .sgpr_spill_count: 0
    .symbol:         _ZN7rocprim17ROCPRIM_400000_NS6detail17trampoline_kernelINS0_14default_configENS1_38merge_sort_block_merge_config_selectorIaNS0_10empty_typeEEEZZNS1_27merge_sort_block_merge_implIS3_PaPS5_jNS1_19radix_merge_compareILb1ELb0EaNS0_19identity_decomposerEEEEE10hipError_tT0_T1_T2_jT3_P12ihipStream_tbPNSt15iterator_traitsISE_E10value_typeEPNSK_ISF_E10value_typeEPSG_NS1_7vsmem_tEENKUlT_SE_SF_SG_E_clIS8_S8_S9_S9_EESD_ST_SE_SF_SG_EUlST_E0_NS1_11comp_targetILNS1_3genE0ELNS1_11target_archE4294967295ELNS1_3gpuE0ELNS1_3repE0EEENS1_38merge_mergepath_config_static_selectorELNS0_4arch9wavefront6targetE1EEEvSF_.kd
    .uniform_work_group_size: 1
    .uses_dynamic_stack: false
    .vgpr_count:     0
    .vgpr_spill_count: 0
    .wavefront_size: 64
  - .agpr_count:     0
    .args:
      - .offset:         0
        .size:           64
        .value_kind:     by_value
    .group_segment_fixed_size: 0
    .kernarg_segment_align: 8
    .kernarg_segment_size: 64
    .language:       OpenCL C
    .language_version:
      - 2
      - 0
    .max_flat_workgroup_size: 128
    .name:           _ZN7rocprim17ROCPRIM_400000_NS6detail17trampoline_kernelINS0_14default_configENS1_38merge_sort_block_merge_config_selectorIaNS0_10empty_typeEEEZZNS1_27merge_sort_block_merge_implIS3_PaPS5_jNS1_19radix_merge_compareILb1ELb0EaNS0_19identity_decomposerEEEEE10hipError_tT0_T1_T2_jT3_P12ihipStream_tbPNSt15iterator_traitsISE_E10value_typeEPNSK_ISF_E10value_typeEPSG_NS1_7vsmem_tEENKUlT_SE_SF_SG_E_clIS8_S8_S9_S9_EESD_ST_SE_SF_SG_EUlST_E0_NS1_11comp_targetILNS1_3genE10ELNS1_11target_archE1201ELNS1_3gpuE5ELNS1_3repE0EEENS1_38merge_mergepath_config_static_selectorELNS0_4arch9wavefront6targetE1EEEvSF_
    .private_segment_fixed_size: 0
    .sgpr_count:     4
    .sgpr_spill_count: 0
    .symbol:         _ZN7rocprim17ROCPRIM_400000_NS6detail17trampoline_kernelINS0_14default_configENS1_38merge_sort_block_merge_config_selectorIaNS0_10empty_typeEEEZZNS1_27merge_sort_block_merge_implIS3_PaPS5_jNS1_19radix_merge_compareILb1ELb0EaNS0_19identity_decomposerEEEEE10hipError_tT0_T1_T2_jT3_P12ihipStream_tbPNSt15iterator_traitsISE_E10value_typeEPNSK_ISF_E10value_typeEPSG_NS1_7vsmem_tEENKUlT_SE_SF_SG_E_clIS8_S8_S9_S9_EESD_ST_SE_SF_SG_EUlST_E0_NS1_11comp_targetILNS1_3genE10ELNS1_11target_archE1201ELNS1_3gpuE5ELNS1_3repE0EEENS1_38merge_mergepath_config_static_selectorELNS0_4arch9wavefront6targetE1EEEvSF_.kd
    .uniform_work_group_size: 1
    .uses_dynamic_stack: false
    .vgpr_count:     0
    .vgpr_spill_count: 0
    .wavefront_size: 64
  - .agpr_count:     0
    .args:
      - .offset:         0
        .size:           64
        .value_kind:     by_value
    .group_segment_fixed_size: 0
    .kernarg_segment_align: 8
    .kernarg_segment_size: 64
    .language:       OpenCL C
    .language_version:
      - 2
      - 0
    .max_flat_workgroup_size: 128
    .name:           _ZN7rocprim17ROCPRIM_400000_NS6detail17trampoline_kernelINS0_14default_configENS1_38merge_sort_block_merge_config_selectorIaNS0_10empty_typeEEEZZNS1_27merge_sort_block_merge_implIS3_PaPS5_jNS1_19radix_merge_compareILb1ELb0EaNS0_19identity_decomposerEEEEE10hipError_tT0_T1_T2_jT3_P12ihipStream_tbPNSt15iterator_traitsISE_E10value_typeEPNSK_ISF_E10value_typeEPSG_NS1_7vsmem_tEENKUlT_SE_SF_SG_E_clIS8_S8_S9_S9_EESD_ST_SE_SF_SG_EUlST_E0_NS1_11comp_targetILNS1_3genE5ELNS1_11target_archE942ELNS1_3gpuE9ELNS1_3repE0EEENS1_38merge_mergepath_config_static_selectorELNS0_4arch9wavefront6targetE1EEEvSF_
    .private_segment_fixed_size: 0
    .sgpr_count:     4
    .sgpr_spill_count: 0
    .symbol:         _ZN7rocprim17ROCPRIM_400000_NS6detail17trampoline_kernelINS0_14default_configENS1_38merge_sort_block_merge_config_selectorIaNS0_10empty_typeEEEZZNS1_27merge_sort_block_merge_implIS3_PaPS5_jNS1_19radix_merge_compareILb1ELb0EaNS0_19identity_decomposerEEEEE10hipError_tT0_T1_T2_jT3_P12ihipStream_tbPNSt15iterator_traitsISE_E10value_typeEPNSK_ISF_E10value_typeEPSG_NS1_7vsmem_tEENKUlT_SE_SF_SG_E_clIS8_S8_S9_S9_EESD_ST_SE_SF_SG_EUlST_E0_NS1_11comp_targetILNS1_3genE5ELNS1_11target_archE942ELNS1_3gpuE9ELNS1_3repE0EEENS1_38merge_mergepath_config_static_selectorELNS0_4arch9wavefront6targetE1EEEvSF_.kd
    .uniform_work_group_size: 1
    .uses_dynamic_stack: false
    .vgpr_count:     0
    .vgpr_spill_count: 0
    .wavefront_size: 64
  - .agpr_count:     0
    .args:
      - .offset:         0
        .size:           64
        .value_kind:     by_value
      - .offset:         64
        .size:           4
        .value_kind:     hidden_block_count_x
      - .offset:         68
        .size:           4
        .value_kind:     hidden_block_count_y
      - .offset:         72
        .size:           4
        .value_kind:     hidden_block_count_z
      - .offset:         76
        .size:           2
        .value_kind:     hidden_group_size_x
      - .offset:         78
        .size:           2
        .value_kind:     hidden_group_size_y
      - .offset:         80
        .size:           2
        .value_kind:     hidden_group_size_z
      - .offset:         82
        .size:           2
        .value_kind:     hidden_remainder_x
      - .offset:         84
        .size:           2
        .value_kind:     hidden_remainder_y
      - .offset:         86
        .size:           2
        .value_kind:     hidden_remainder_z
      - .offset:         104
        .size:           8
        .value_kind:     hidden_global_offset_x
      - .offset:         112
        .size:           8
        .value_kind:     hidden_global_offset_y
      - .offset:         120
        .size:           8
        .value_kind:     hidden_global_offset_z
      - .offset:         128
        .size:           2
        .value_kind:     hidden_grid_dims
    .group_segment_fixed_size: 1056
    .kernarg_segment_align: 8
    .kernarg_segment_size: 320
    .language:       OpenCL C
    .language_version:
      - 2
      - 0
    .max_flat_workgroup_size: 128
    .name:           _ZN7rocprim17ROCPRIM_400000_NS6detail17trampoline_kernelINS0_14default_configENS1_38merge_sort_block_merge_config_selectorIaNS0_10empty_typeEEEZZNS1_27merge_sort_block_merge_implIS3_PaPS5_jNS1_19radix_merge_compareILb1ELb0EaNS0_19identity_decomposerEEEEE10hipError_tT0_T1_T2_jT3_P12ihipStream_tbPNSt15iterator_traitsISE_E10value_typeEPNSK_ISF_E10value_typeEPSG_NS1_7vsmem_tEENKUlT_SE_SF_SG_E_clIS8_S8_S9_S9_EESD_ST_SE_SF_SG_EUlST_E0_NS1_11comp_targetILNS1_3genE4ELNS1_11target_archE910ELNS1_3gpuE8ELNS1_3repE0EEENS1_38merge_mergepath_config_static_selectorELNS0_4arch9wavefront6targetE1EEEvSF_
    .private_segment_fixed_size: 0
    .sgpr_count:     28
    .sgpr_spill_count: 0
    .symbol:         _ZN7rocprim17ROCPRIM_400000_NS6detail17trampoline_kernelINS0_14default_configENS1_38merge_sort_block_merge_config_selectorIaNS0_10empty_typeEEEZZNS1_27merge_sort_block_merge_implIS3_PaPS5_jNS1_19radix_merge_compareILb1ELb0EaNS0_19identity_decomposerEEEEE10hipError_tT0_T1_T2_jT3_P12ihipStream_tbPNSt15iterator_traitsISE_E10value_typeEPNSK_ISF_E10value_typeEPSG_NS1_7vsmem_tEENKUlT_SE_SF_SG_E_clIS8_S8_S9_S9_EESD_ST_SE_SF_SG_EUlST_E0_NS1_11comp_targetILNS1_3genE4ELNS1_11target_archE910ELNS1_3gpuE8ELNS1_3repE0EEENS1_38merge_mergepath_config_static_selectorELNS0_4arch9wavefront6targetE1EEEvSF_.kd
    .uniform_work_group_size: 1
    .uses_dynamic_stack: false
    .vgpr_count:     28
    .vgpr_spill_count: 0
    .wavefront_size: 64
  - .agpr_count:     0
    .args:
      - .offset:         0
        .size:           64
        .value_kind:     by_value
    .group_segment_fixed_size: 0
    .kernarg_segment_align: 8
    .kernarg_segment_size: 64
    .language:       OpenCL C
    .language_version:
      - 2
      - 0
    .max_flat_workgroup_size: 128
    .name:           _ZN7rocprim17ROCPRIM_400000_NS6detail17trampoline_kernelINS0_14default_configENS1_38merge_sort_block_merge_config_selectorIaNS0_10empty_typeEEEZZNS1_27merge_sort_block_merge_implIS3_PaPS5_jNS1_19radix_merge_compareILb1ELb0EaNS0_19identity_decomposerEEEEE10hipError_tT0_T1_T2_jT3_P12ihipStream_tbPNSt15iterator_traitsISE_E10value_typeEPNSK_ISF_E10value_typeEPSG_NS1_7vsmem_tEENKUlT_SE_SF_SG_E_clIS8_S8_S9_S9_EESD_ST_SE_SF_SG_EUlST_E0_NS1_11comp_targetILNS1_3genE3ELNS1_11target_archE908ELNS1_3gpuE7ELNS1_3repE0EEENS1_38merge_mergepath_config_static_selectorELNS0_4arch9wavefront6targetE1EEEvSF_
    .private_segment_fixed_size: 0
    .sgpr_count:     4
    .sgpr_spill_count: 0
    .symbol:         _ZN7rocprim17ROCPRIM_400000_NS6detail17trampoline_kernelINS0_14default_configENS1_38merge_sort_block_merge_config_selectorIaNS0_10empty_typeEEEZZNS1_27merge_sort_block_merge_implIS3_PaPS5_jNS1_19radix_merge_compareILb1ELb0EaNS0_19identity_decomposerEEEEE10hipError_tT0_T1_T2_jT3_P12ihipStream_tbPNSt15iterator_traitsISE_E10value_typeEPNSK_ISF_E10value_typeEPSG_NS1_7vsmem_tEENKUlT_SE_SF_SG_E_clIS8_S8_S9_S9_EESD_ST_SE_SF_SG_EUlST_E0_NS1_11comp_targetILNS1_3genE3ELNS1_11target_archE908ELNS1_3gpuE7ELNS1_3repE0EEENS1_38merge_mergepath_config_static_selectorELNS0_4arch9wavefront6targetE1EEEvSF_.kd
    .uniform_work_group_size: 1
    .uses_dynamic_stack: false
    .vgpr_count:     0
    .vgpr_spill_count: 0
    .wavefront_size: 64
  - .agpr_count:     0
    .args:
      - .offset:         0
        .size:           64
        .value_kind:     by_value
    .group_segment_fixed_size: 0
    .kernarg_segment_align: 8
    .kernarg_segment_size: 64
    .language:       OpenCL C
    .language_version:
      - 2
      - 0
    .max_flat_workgroup_size: 128
    .name:           _ZN7rocprim17ROCPRIM_400000_NS6detail17trampoline_kernelINS0_14default_configENS1_38merge_sort_block_merge_config_selectorIaNS0_10empty_typeEEEZZNS1_27merge_sort_block_merge_implIS3_PaPS5_jNS1_19radix_merge_compareILb1ELb0EaNS0_19identity_decomposerEEEEE10hipError_tT0_T1_T2_jT3_P12ihipStream_tbPNSt15iterator_traitsISE_E10value_typeEPNSK_ISF_E10value_typeEPSG_NS1_7vsmem_tEENKUlT_SE_SF_SG_E_clIS8_S8_S9_S9_EESD_ST_SE_SF_SG_EUlST_E0_NS1_11comp_targetILNS1_3genE2ELNS1_11target_archE906ELNS1_3gpuE6ELNS1_3repE0EEENS1_38merge_mergepath_config_static_selectorELNS0_4arch9wavefront6targetE1EEEvSF_
    .private_segment_fixed_size: 0
    .sgpr_count:     4
    .sgpr_spill_count: 0
    .symbol:         _ZN7rocprim17ROCPRIM_400000_NS6detail17trampoline_kernelINS0_14default_configENS1_38merge_sort_block_merge_config_selectorIaNS0_10empty_typeEEEZZNS1_27merge_sort_block_merge_implIS3_PaPS5_jNS1_19radix_merge_compareILb1ELb0EaNS0_19identity_decomposerEEEEE10hipError_tT0_T1_T2_jT3_P12ihipStream_tbPNSt15iterator_traitsISE_E10value_typeEPNSK_ISF_E10value_typeEPSG_NS1_7vsmem_tEENKUlT_SE_SF_SG_E_clIS8_S8_S9_S9_EESD_ST_SE_SF_SG_EUlST_E0_NS1_11comp_targetILNS1_3genE2ELNS1_11target_archE906ELNS1_3gpuE6ELNS1_3repE0EEENS1_38merge_mergepath_config_static_selectorELNS0_4arch9wavefront6targetE1EEEvSF_.kd
    .uniform_work_group_size: 1
    .uses_dynamic_stack: false
    .vgpr_count:     0
    .vgpr_spill_count: 0
    .wavefront_size: 64
  - .agpr_count:     0
    .args:
      - .offset:         0
        .size:           64
        .value_kind:     by_value
    .group_segment_fixed_size: 0
    .kernarg_segment_align: 8
    .kernarg_segment_size: 64
    .language:       OpenCL C
    .language_version:
      - 2
      - 0
    .max_flat_workgroup_size: 128
    .name:           _ZN7rocprim17ROCPRIM_400000_NS6detail17trampoline_kernelINS0_14default_configENS1_38merge_sort_block_merge_config_selectorIaNS0_10empty_typeEEEZZNS1_27merge_sort_block_merge_implIS3_PaPS5_jNS1_19radix_merge_compareILb1ELb0EaNS0_19identity_decomposerEEEEE10hipError_tT0_T1_T2_jT3_P12ihipStream_tbPNSt15iterator_traitsISE_E10value_typeEPNSK_ISF_E10value_typeEPSG_NS1_7vsmem_tEENKUlT_SE_SF_SG_E_clIS8_S8_S9_S9_EESD_ST_SE_SF_SG_EUlST_E0_NS1_11comp_targetILNS1_3genE9ELNS1_11target_archE1100ELNS1_3gpuE3ELNS1_3repE0EEENS1_38merge_mergepath_config_static_selectorELNS0_4arch9wavefront6targetE1EEEvSF_
    .private_segment_fixed_size: 0
    .sgpr_count:     4
    .sgpr_spill_count: 0
    .symbol:         _ZN7rocprim17ROCPRIM_400000_NS6detail17trampoline_kernelINS0_14default_configENS1_38merge_sort_block_merge_config_selectorIaNS0_10empty_typeEEEZZNS1_27merge_sort_block_merge_implIS3_PaPS5_jNS1_19radix_merge_compareILb1ELb0EaNS0_19identity_decomposerEEEEE10hipError_tT0_T1_T2_jT3_P12ihipStream_tbPNSt15iterator_traitsISE_E10value_typeEPNSK_ISF_E10value_typeEPSG_NS1_7vsmem_tEENKUlT_SE_SF_SG_E_clIS8_S8_S9_S9_EESD_ST_SE_SF_SG_EUlST_E0_NS1_11comp_targetILNS1_3genE9ELNS1_11target_archE1100ELNS1_3gpuE3ELNS1_3repE0EEENS1_38merge_mergepath_config_static_selectorELNS0_4arch9wavefront6targetE1EEEvSF_.kd
    .uniform_work_group_size: 1
    .uses_dynamic_stack: false
    .vgpr_count:     0
    .vgpr_spill_count: 0
    .wavefront_size: 64
  - .agpr_count:     0
    .args:
      - .offset:         0
        .size:           64
        .value_kind:     by_value
    .group_segment_fixed_size: 0
    .kernarg_segment_align: 8
    .kernarg_segment_size: 64
    .language:       OpenCL C
    .language_version:
      - 2
      - 0
    .max_flat_workgroup_size: 128
    .name:           _ZN7rocprim17ROCPRIM_400000_NS6detail17trampoline_kernelINS0_14default_configENS1_38merge_sort_block_merge_config_selectorIaNS0_10empty_typeEEEZZNS1_27merge_sort_block_merge_implIS3_PaPS5_jNS1_19radix_merge_compareILb1ELb0EaNS0_19identity_decomposerEEEEE10hipError_tT0_T1_T2_jT3_P12ihipStream_tbPNSt15iterator_traitsISE_E10value_typeEPNSK_ISF_E10value_typeEPSG_NS1_7vsmem_tEENKUlT_SE_SF_SG_E_clIS8_S8_S9_S9_EESD_ST_SE_SF_SG_EUlST_E0_NS1_11comp_targetILNS1_3genE8ELNS1_11target_archE1030ELNS1_3gpuE2ELNS1_3repE0EEENS1_38merge_mergepath_config_static_selectorELNS0_4arch9wavefront6targetE1EEEvSF_
    .private_segment_fixed_size: 0
    .sgpr_count:     4
    .sgpr_spill_count: 0
    .symbol:         _ZN7rocprim17ROCPRIM_400000_NS6detail17trampoline_kernelINS0_14default_configENS1_38merge_sort_block_merge_config_selectorIaNS0_10empty_typeEEEZZNS1_27merge_sort_block_merge_implIS3_PaPS5_jNS1_19radix_merge_compareILb1ELb0EaNS0_19identity_decomposerEEEEE10hipError_tT0_T1_T2_jT3_P12ihipStream_tbPNSt15iterator_traitsISE_E10value_typeEPNSK_ISF_E10value_typeEPSG_NS1_7vsmem_tEENKUlT_SE_SF_SG_E_clIS8_S8_S9_S9_EESD_ST_SE_SF_SG_EUlST_E0_NS1_11comp_targetILNS1_3genE8ELNS1_11target_archE1030ELNS1_3gpuE2ELNS1_3repE0EEENS1_38merge_mergepath_config_static_selectorELNS0_4arch9wavefront6targetE1EEEvSF_.kd
    .uniform_work_group_size: 1
    .uses_dynamic_stack: false
    .vgpr_count:     0
    .vgpr_spill_count: 0
    .wavefront_size: 64
  - .agpr_count:     0
    .args:
      - .offset:         0
        .size:           48
        .value_kind:     by_value
    .group_segment_fixed_size: 0
    .kernarg_segment_align: 8
    .kernarg_segment_size: 48
    .language:       OpenCL C
    .language_version:
      - 2
      - 0
    .max_flat_workgroup_size: 256
    .name:           _ZN7rocprim17ROCPRIM_400000_NS6detail17trampoline_kernelINS0_14default_configENS1_38merge_sort_block_merge_config_selectorIaNS0_10empty_typeEEEZZNS1_27merge_sort_block_merge_implIS3_PaPS5_jNS1_19radix_merge_compareILb1ELb0EaNS0_19identity_decomposerEEEEE10hipError_tT0_T1_T2_jT3_P12ihipStream_tbPNSt15iterator_traitsISE_E10value_typeEPNSK_ISF_E10value_typeEPSG_NS1_7vsmem_tEENKUlT_SE_SF_SG_E_clIS8_S8_S9_S9_EESD_ST_SE_SF_SG_EUlST_E1_NS1_11comp_targetILNS1_3genE0ELNS1_11target_archE4294967295ELNS1_3gpuE0ELNS1_3repE0EEENS1_36merge_oddeven_config_static_selectorELNS0_4arch9wavefront6targetE1EEEvSF_
    .private_segment_fixed_size: 0
    .sgpr_count:     4
    .sgpr_spill_count: 0
    .symbol:         _ZN7rocprim17ROCPRIM_400000_NS6detail17trampoline_kernelINS0_14default_configENS1_38merge_sort_block_merge_config_selectorIaNS0_10empty_typeEEEZZNS1_27merge_sort_block_merge_implIS3_PaPS5_jNS1_19radix_merge_compareILb1ELb0EaNS0_19identity_decomposerEEEEE10hipError_tT0_T1_T2_jT3_P12ihipStream_tbPNSt15iterator_traitsISE_E10value_typeEPNSK_ISF_E10value_typeEPSG_NS1_7vsmem_tEENKUlT_SE_SF_SG_E_clIS8_S8_S9_S9_EESD_ST_SE_SF_SG_EUlST_E1_NS1_11comp_targetILNS1_3genE0ELNS1_11target_archE4294967295ELNS1_3gpuE0ELNS1_3repE0EEENS1_36merge_oddeven_config_static_selectorELNS0_4arch9wavefront6targetE1EEEvSF_.kd
    .uniform_work_group_size: 1
    .uses_dynamic_stack: false
    .vgpr_count:     0
    .vgpr_spill_count: 0
    .wavefront_size: 64
  - .agpr_count:     0
    .args:
      - .offset:         0
        .size:           48
        .value_kind:     by_value
    .group_segment_fixed_size: 0
    .kernarg_segment_align: 8
    .kernarg_segment_size: 48
    .language:       OpenCL C
    .language_version:
      - 2
      - 0
    .max_flat_workgroup_size: 256
    .name:           _ZN7rocprim17ROCPRIM_400000_NS6detail17trampoline_kernelINS0_14default_configENS1_38merge_sort_block_merge_config_selectorIaNS0_10empty_typeEEEZZNS1_27merge_sort_block_merge_implIS3_PaPS5_jNS1_19radix_merge_compareILb1ELb0EaNS0_19identity_decomposerEEEEE10hipError_tT0_T1_T2_jT3_P12ihipStream_tbPNSt15iterator_traitsISE_E10value_typeEPNSK_ISF_E10value_typeEPSG_NS1_7vsmem_tEENKUlT_SE_SF_SG_E_clIS8_S8_S9_S9_EESD_ST_SE_SF_SG_EUlST_E1_NS1_11comp_targetILNS1_3genE10ELNS1_11target_archE1201ELNS1_3gpuE5ELNS1_3repE0EEENS1_36merge_oddeven_config_static_selectorELNS0_4arch9wavefront6targetE1EEEvSF_
    .private_segment_fixed_size: 0
    .sgpr_count:     4
    .sgpr_spill_count: 0
    .symbol:         _ZN7rocprim17ROCPRIM_400000_NS6detail17trampoline_kernelINS0_14default_configENS1_38merge_sort_block_merge_config_selectorIaNS0_10empty_typeEEEZZNS1_27merge_sort_block_merge_implIS3_PaPS5_jNS1_19radix_merge_compareILb1ELb0EaNS0_19identity_decomposerEEEEE10hipError_tT0_T1_T2_jT3_P12ihipStream_tbPNSt15iterator_traitsISE_E10value_typeEPNSK_ISF_E10value_typeEPSG_NS1_7vsmem_tEENKUlT_SE_SF_SG_E_clIS8_S8_S9_S9_EESD_ST_SE_SF_SG_EUlST_E1_NS1_11comp_targetILNS1_3genE10ELNS1_11target_archE1201ELNS1_3gpuE5ELNS1_3repE0EEENS1_36merge_oddeven_config_static_selectorELNS0_4arch9wavefront6targetE1EEEvSF_.kd
    .uniform_work_group_size: 1
    .uses_dynamic_stack: false
    .vgpr_count:     0
    .vgpr_spill_count: 0
    .wavefront_size: 64
  - .agpr_count:     0
    .args:
      - .offset:         0
        .size:           48
        .value_kind:     by_value
    .group_segment_fixed_size: 0
    .kernarg_segment_align: 8
    .kernarg_segment_size: 48
    .language:       OpenCL C
    .language_version:
      - 2
      - 0
    .max_flat_workgroup_size: 256
    .name:           _ZN7rocprim17ROCPRIM_400000_NS6detail17trampoline_kernelINS0_14default_configENS1_38merge_sort_block_merge_config_selectorIaNS0_10empty_typeEEEZZNS1_27merge_sort_block_merge_implIS3_PaPS5_jNS1_19radix_merge_compareILb1ELb0EaNS0_19identity_decomposerEEEEE10hipError_tT0_T1_T2_jT3_P12ihipStream_tbPNSt15iterator_traitsISE_E10value_typeEPNSK_ISF_E10value_typeEPSG_NS1_7vsmem_tEENKUlT_SE_SF_SG_E_clIS8_S8_S9_S9_EESD_ST_SE_SF_SG_EUlST_E1_NS1_11comp_targetILNS1_3genE5ELNS1_11target_archE942ELNS1_3gpuE9ELNS1_3repE0EEENS1_36merge_oddeven_config_static_selectorELNS0_4arch9wavefront6targetE1EEEvSF_
    .private_segment_fixed_size: 0
    .sgpr_count:     4
    .sgpr_spill_count: 0
    .symbol:         _ZN7rocprim17ROCPRIM_400000_NS6detail17trampoline_kernelINS0_14default_configENS1_38merge_sort_block_merge_config_selectorIaNS0_10empty_typeEEEZZNS1_27merge_sort_block_merge_implIS3_PaPS5_jNS1_19radix_merge_compareILb1ELb0EaNS0_19identity_decomposerEEEEE10hipError_tT0_T1_T2_jT3_P12ihipStream_tbPNSt15iterator_traitsISE_E10value_typeEPNSK_ISF_E10value_typeEPSG_NS1_7vsmem_tEENKUlT_SE_SF_SG_E_clIS8_S8_S9_S9_EESD_ST_SE_SF_SG_EUlST_E1_NS1_11comp_targetILNS1_3genE5ELNS1_11target_archE942ELNS1_3gpuE9ELNS1_3repE0EEENS1_36merge_oddeven_config_static_selectorELNS0_4arch9wavefront6targetE1EEEvSF_.kd
    .uniform_work_group_size: 1
    .uses_dynamic_stack: false
    .vgpr_count:     0
    .vgpr_spill_count: 0
    .wavefront_size: 64
  - .agpr_count:     0
    .args:
      - .offset:         0
        .size:           48
        .value_kind:     by_value
    .group_segment_fixed_size: 0
    .kernarg_segment_align: 8
    .kernarg_segment_size: 48
    .language:       OpenCL C
    .language_version:
      - 2
      - 0
    .max_flat_workgroup_size: 256
    .name:           _ZN7rocprim17ROCPRIM_400000_NS6detail17trampoline_kernelINS0_14default_configENS1_38merge_sort_block_merge_config_selectorIaNS0_10empty_typeEEEZZNS1_27merge_sort_block_merge_implIS3_PaPS5_jNS1_19radix_merge_compareILb1ELb0EaNS0_19identity_decomposerEEEEE10hipError_tT0_T1_T2_jT3_P12ihipStream_tbPNSt15iterator_traitsISE_E10value_typeEPNSK_ISF_E10value_typeEPSG_NS1_7vsmem_tEENKUlT_SE_SF_SG_E_clIS8_S8_S9_S9_EESD_ST_SE_SF_SG_EUlST_E1_NS1_11comp_targetILNS1_3genE4ELNS1_11target_archE910ELNS1_3gpuE8ELNS1_3repE0EEENS1_36merge_oddeven_config_static_selectorELNS0_4arch9wavefront6targetE1EEEvSF_
    .private_segment_fixed_size: 0
    .sgpr_count:     24
    .sgpr_spill_count: 0
    .symbol:         _ZN7rocprim17ROCPRIM_400000_NS6detail17trampoline_kernelINS0_14default_configENS1_38merge_sort_block_merge_config_selectorIaNS0_10empty_typeEEEZZNS1_27merge_sort_block_merge_implIS3_PaPS5_jNS1_19radix_merge_compareILb1ELb0EaNS0_19identity_decomposerEEEEE10hipError_tT0_T1_T2_jT3_P12ihipStream_tbPNSt15iterator_traitsISE_E10value_typeEPNSK_ISF_E10value_typeEPSG_NS1_7vsmem_tEENKUlT_SE_SF_SG_E_clIS8_S8_S9_S9_EESD_ST_SE_SF_SG_EUlST_E1_NS1_11comp_targetILNS1_3genE4ELNS1_11target_archE910ELNS1_3gpuE8ELNS1_3repE0EEENS1_36merge_oddeven_config_static_selectorELNS0_4arch9wavefront6targetE1EEEvSF_.kd
    .uniform_work_group_size: 1
    .uses_dynamic_stack: false
    .vgpr_count:     8
    .vgpr_spill_count: 0
    .wavefront_size: 64
  - .agpr_count:     0
    .args:
      - .offset:         0
        .size:           48
        .value_kind:     by_value
    .group_segment_fixed_size: 0
    .kernarg_segment_align: 8
    .kernarg_segment_size: 48
    .language:       OpenCL C
    .language_version:
      - 2
      - 0
    .max_flat_workgroup_size: 256
    .name:           _ZN7rocprim17ROCPRIM_400000_NS6detail17trampoline_kernelINS0_14default_configENS1_38merge_sort_block_merge_config_selectorIaNS0_10empty_typeEEEZZNS1_27merge_sort_block_merge_implIS3_PaPS5_jNS1_19radix_merge_compareILb1ELb0EaNS0_19identity_decomposerEEEEE10hipError_tT0_T1_T2_jT3_P12ihipStream_tbPNSt15iterator_traitsISE_E10value_typeEPNSK_ISF_E10value_typeEPSG_NS1_7vsmem_tEENKUlT_SE_SF_SG_E_clIS8_S8_S9_S9_EESD_ST_SE_SF_SG_EUlST_E1_NS1_11comp_targetILNS1_3genE3ELNS1_11target_archE908ELNS1_3gpuE7ELNS1_3repE0EEENS1_36merge_oddeven_config_static_selectorELNS0_4arch9wavefront6targetE1EEEvSF_
    .private_segment_fixed_size: 0
    .sgpr_count:     4
    .sgpr_spill_count: 0
    .symbol:         _ZN7rocprim17ROCPRIM_400000_NS6detail17trampoline_kernelINS0_14default_configENS1_38merge_sort_block_merge_config_selectorIaNS0_10empty_typeEEEZZNS1_27merge_sort_block_merge_implIS3_PaPS5_jNS1_19radix_merge_compareILb1ELb0EaNS0_19identity_decomposerEEEEE10hipError_tT0_T1_T2_jT3_P12ihipStream_tbPNSt15iterator_traitsISE_E10value_typeEPNSK_ISF_E10value_typeEPSG_NS1_7vsmem_tEENKUlT_SE_SF_SG_E_clIS8_S8_S9_S9_EESD_ST_SE_SF_SG_EUlST_E1_NS1_11comp_targetILNS1_3genE3ELNS1_11target_archE908ELNS1_3gpuE7ELNS1_3repE0EEENS1_36merge_oddeven_config_static_selectorELNS0_4arch9wavefront6targetE1EEEvSF_.kd
    .uniform_work_group_size: 1
    .uses_dynamic_stack: false
    .vgpr_count:     0
    .vgpr_spill_count: 0
    .wavefront_size: 64
  - .agpr_count:     0
    .args:
      - .offset:         0
        .size:           48
        .value_kind:     by_value
    .group_segment_fixed_size: 0
    .kernarg_segment_align: 8
    .kernarg_segment_size: 48
    .language:       OpenCL C
    .language_version:
      - 2
      - 0
    .max_flat_workgroup_size: 256
    .name:           _ZN7rocprim17ROCPRIM_400000_NS6detail17trampoline_kernelINS0_14default_configENS1_38merge_sort_block_merge_config_selectorIaNS0_10empty_typeEEEZZNS1_27merge_sort_block_merge_implIS3_PaPS5_jNS1_19radix_merge_compareILb1ELb0EaNS0_19identity_decomposerEEEEE10hipError_tT0_T1_T2_jT3_P12ihipStream_tbPNSt15iterator_traitsISE_E10value_typeEPNSK_ISF_E10value_typeEPSG_NS1_7vsmem_tEENKUlT_SE_SF_SG_E_clIS8_S8_S9_S9_EESD_ST_SE_SF_SG_EUlST_E1_NS1_11comp_targetILNS1_3genE2ELNS1_11target_archE906ELNS1_3gpuE6ELNS1_3repE0EEENS1_36merge_oddeven_config_static_selectorELNS0_4arch9wavefront6targetE1EEEvSF_
    .private_segment_fixed_size: 0
    .sgpr_count:     4
    .sgpr_spill_count: 0
    .symbol:         _ZN7rocprim17ROCPRIM_400000_NS6detail17trampoline_kernelINS0_14default_configENS1_38merge_sort_block_merge_config_selectorIaNS0_10empty_typeEEEZZNS1_27merge_sort_block_merge_implIS3_PaPS5_jNS1_19radix_merge_compareILb1ELb0EaNS0_19identity_decomposerEEEEE10hipError_tT0_T1_T2_jT3_P12ihipStream_tbPNSt15iterator_traitsISE_E10value_typeEPNSK_ISF_E10value_typeEPSG_NS1_7vsmem_tEENKUlT_SE_SF_SG_E_clIS8_S8_S9_S9_EESD_ST_SE_SF_SG_EUlST_E1_NS1_11comp_targetILNS1_3genE2ELNS1_11target_archE906ELNS1_3gpuE6ELNS1_3repE0EEENS1_36merge_oddeven_config_static_selectorELNS0_4arch9wavefront6targetE1EEEvSF_.kd
    .uniform_work_group_size: 1
    .uses_dynamic_stack: false
    .vgpr_count:     0
    .vgpr_spill_count: 0
    .wavefront_size: 64
  - .agpr_count:     0
    .args:
      - .offset:         0
        .size:           48
        .value_kind:     by_value
    .group_segment_fixed_size: 0
    .kernarg_segment_align: 8
    .kernarg_segment_size: 48
    .language:       OpenCL C
    .language_version:
      - 2
      - 0
    .max_flat_workgroup_size: 256
    .name:           _ZN7rocprim17ROCPRIM_400000_NS6detail17trampoline_kernelINS0_14default_configENS1_38merge_sort_block_merge_config_selectorIaNS0_10empty_typeEEEZZNS1_27merge_sort_block_merge_implIS3_PaPS5_jNS1_19radix_merge_compareILb1ELb0EaNS0_19identity_decomposerEEEEE10hipError_tT0_T1_T2_jT3_P12ihipStream_tbPNSt15iterator_traitsISE_E10value_typeEPNSK_ISF_E10value_typeEPSG_NS1_7vsmem_tEENKUlT_SE_SF_SG_E_clIS8_S8_S9_S9_EESD_ST_SE_SF_SG_EUlST_E1_NS1_11comp_targetILNS1_3genE9ELNS1_11target_archE1100ELNS1_3gpuE3ELNS1_3repE0EEENS1_36merge_oddeven_config_static_selectorELNS0_4arch9wavefront6targetE1EEEvSF_
    .private_segment_fixed_size: 0
    .sgpr_count:     4
    .sgpr_spill_count: 0
    .symbol:         _ZN7rocprim17ROCPRIM_400000_NS6detail17trampoline_kernelINS0_14default_configENS1_38merge_sort_block_merge_config_selectorIaNS0_10empty_typeEEEZZNS1_27merge_sort_block_merge_implIS3_PaPS5_jNS1_19radix_merge_compareILb1ELb0EaNS0_19identity_decomposerEEEEE10hipError_tT0_T1_T2_jT3_P12ihipStream_tbPNSt15iterator_traitsISE_E10value_typeEPNSK_ISF_E10value_typeEPSG_NS1_7vsmem_tEENKUlT_SE_SF_SG_E_clIS8_S8_S9_S9_EESD_ST_SE_SF_SG_EUlST_E1_NS1_11comp_targetILNS1_3genE9ELNS1_11target_archE1100ELNS1_3gpuE3ELNS1_3repE0EEENS1_36merge_oddeven_config_static_selectorELNS0_4arch9wavefront6targetE1EEEvSF_.kd
    .uniform_work_group_size: 1
    .uses_dynamic_stack: false
    .vgpr_count:     0
    .vgpr_spill_count: 0
    .wavefront_size: 64
  - .agpr_count:     0
    .args:
      - .offset:         0
        .size:           48
        .value_kind:     by_value
    .group_segment_fixed_size: 0
    .kernarg_segment_align: 8
    .kernarg_segment_size: 48
    .language:       OpenCL C
    .language_version:
      - 2
      - 0
    .max_flat_workgroup_size: 256
    .name:           _ZN7rocprim17ROCPRIM_400000_NS6detail17trampoline_kernelINS0_14default_configENS1_38merge_sort_block_merge_config_selectorIaNS0_10empty_typeEEEZZNS1_27merge_sort_block_merge_implIS3_PaPS5_jNS1_19radix_merge_compareILb1ELb0EaNS0_19identity_decomposerEEEEE10hipError_tT0_T1_T2_jT3_P12ihipStream_tbPNSt15iterator_traitsISE_E10value_typeEPNSK_ISF_E10value_typeEPSG_NS1_7vsmem_tEENKUlT_SE_SF_SG_E_clIS8_S8_S9_S9_EESD_ST_SE_SF_SG_EUlST_E1_NS1_11comp_targetILNS1_3genE8ELNS1_11target_archE1030ELNS1_3gpuE2ELNS1_3repE0EEENS1_36merge_oddeven_config_static_selectorELNS0_4arch9wavefront6targetE1EEEvSF_
    .private_segment_fixed_size: 0
    .sgpr_count:     4
    .sgpr_spill_count: 0
    .symbol:         _ZN7rocprim17ROCPRIM_400000_NS6detail17trampoline_kernelINS0_14default_configENS1_38merge_sort_block_merge_config_selectorIaNS0_10empty_typeEEEZZNS1_27merge_sort_block_merge_implIS3_PaPS5_jNS1_19radix_merge_compareILb1ELb0EaNS0_19identity_decomposerEEEEE10hipError_tT0_T1_T2_jT3_P12ihipStream_tbPNSt15iterator_traitsISE_E10value_typeEPNSK_ISF_E10value_typeEPSG_NS1_7vsmem_tEENKUlT_SE_SF_SG_E_clIS8_S8_S9_S9_EESD_ST_SE_SF_SG_EUlST_E1_NS1_11comp_targetILNS1_3genE8ELNS1_11target_archE1030ELNS1_3gpuE2ELNS1_3repE0EEENS1_36merge_oddeven_config_static_selectorELNS0_4arch9wavefront6targetE1EEEvSF_.kd
    .uniform_work_group_size: 1
    .uses_dynamic_stack: false
    .vgpr_count:     0
    .vgpr_spill_count: 0
    .wavefront_size: 64
  - .agpr_count:     0
    .args:
      - .offset:         0
        .size:           40
        .value_kind:     by_value
    .group_segment_fixed_size: 0
    .kernarg_segment_align: 8
    .kernarg_segment_size: 40
    .language:       OpenCL C
    .language_version:
      - 2
      - 0
    .max_flat_workgroup_size: 128
    .name:           _ZN7rocprim17ROCPRIM_400000_NS6detail17trampoline_kernelINS0_14default_configENS1_38merge_sort_block_merge_config_selectorIaNS0_10empty_typeEEEZZNS1_27merge_sort_block_merge_implIS3_PaPS5_jNS1_19radix_merge_compareILb1ELb1EaNS0_19identity_decomposerEEEEE10hipError_tT0_T1_T2_jT3_P12ihipStream_tbPNSt15iterator_traitsISE_E10value_typeEPNSK_ISF_E10value_typeEPSG_NS1_7vsmem_tEENKUlT_SE_SF_SG_E_clIS8_S8_S9_S9_EESD_ST_SE_SF_SG_EUlST_E_NS1_11comp_targetILNS1_3genE0ELNS1_11target_archE4294967295ELNS1_3gpuE0ELNS1_3repE0EEENS1_48merge_mergepath_partition_config_static_selectorELNS0_4arch9wavefront6targetE1EEEvSF_
    .private_segment_fixed_size: 0
    .sgpr_count:     4
    .sgpr_spill_count: 0
    .symbol:         _ZN7rocprim17ROCPRIM_400000_NS6detail17trampoline_kernelINS0_14default_configENS1_38merge_sort_block_merge_config_selectorIaNS0_10empty_typeEEEZZNS1_27merge_sort_block_merge_implIS3_PaPS5_jNS1_19radix_merge_compareILb1ELb1EaNS0_19identity_decomposerEEEEE10hipError_tT0_T1_T2_jT3_P12ihipStream_tbPNSt15iterator_traitsISE_E10value_typeEPNSK_ISF_E10value_typeEPSG_NS1_7vsmem_tEENKUlT_SE_SF_SG_E_clIS8_S8_S9_S9_EESD_ST_SE_SF_SG_EUlST_E_NS1_11comp_targetILNS1_3genE0ELNS1_11target_archE4294967295ELNS1_3gpuE0ELNS1_3repE0EEENS1_48merge_mergepath_partition_config_static_selectorELNS0_4arch9wavefront6targetE1EEEvSF_.kd
    .uniform_work_group_size: 1
    .uses_dynamic_stack: false
    .vgpr_count:     0
    .vgpr_spill_count: 0
    .wavefront_size: 64
  - .agpr_count:     0
    .args:
      - .offset:         0
        .size:           40
        .value_kind:     by_value
    .group_segment_fixed_size: 0
    .kernarg_segment_align: 8
    .kernarg_segment_size: 40
    .language:       OpenCL C
    .language_version:
      - 2
      - 0
    .max_flat_workgroup_size: 128
    .name:           _ZN7rocprim17ROCPRIM_400000_NS6detail17trampoline_kernelINS0_14default_configENS1_38merge_sort_block_merge_config_selectorIaNS0_10empty_typeEEEZZNS1_27merge_sort_block_merge_implIS3_PaPS5_jNS1_19radix_merge_compareILb1ELb1EaNS0_19identity_decomposerEEEEE10hipError_tT0_T1_T2_jT3_P12ihipStream_tbPNSt15iterator_traitsISE_E10value_typeEPNSK_ISF_E10value_typeEPSG_NS1_7vsmem_tEENKUlT_SE_SF_SG_E_clIS8_S8_S9_S9_EESD_ST_SE_SF_SG_EUlST_E_NS1_11comp_targetILNS1_3genE10ELNS1_11target_archE1201ELNS1_3gpuE5ELNS1_3repE0EEENS1_48merge_mergepath_partition_config_static_selectorELNS0_4arch9wavefront6targetE1EEEvSF_
    .private_segment_fixed_size: 0
    .sgpr_count:     4
    .sgpr_spill_count: 0
    .symbol:         _ZN7rocprim17ROCPRIM_400000_NS6detail17trampoline_kernelINS0_14default_configENS1_38merge_sort_block_merge_config_selectorIaNS0_10empty_typeEEEZZNS1_27merge_sort_block_merge_implIS3_PaPS5_jNS1_19radix_merge_compareILb1ELb1EaNS0_19identity_decomposerEEEEE10hipError_tT0_T1_T2_jT3_P12ihipStream_tbPNSt15iterator_traitsISE_E10value_typeEPNSK_ISF_E10value_typeEPSG_NS1_7vsmem_tEENKUlT_SE_SF_SG_E_clIS8_S8_S9_S9_EESD_ST_SE_SF_SG_EUlST_E_NS1_11comp_targetILNS1_3genE10ELNS1_11target_archE1201ELNS1_3gpuE5ELNS1_3repE0EEENS1_48merge_mergepath_partition_config_static_selectorELNS0_4arch9wavefront6targetE1EEEvSF_.kd
    .uniform_work_group_size: 1
    .uses_dynamic_stack: false
    .vgpr_count:     0
    .vgpr_spill_count: 0
    .wavefront_size: 64
  - .agpr_count:     0
    .args:
      - .offset:         0
        .size:           40
        .value_kind:     by_value
    .group_segment_fixed_size: 0
    .kernarg_segment_align: 8
    .kernarg_segment_size: 40
    .language:       OpenCL C
    .language_version:
      - 2
      - 0
    .max_flat_workgroup_size: 128
    .name:           _ZN7rocprim17ROCPRIM_400000_NS6detail17trampoline_kernelINS0_14default_configENS1_38merge_sort_block_merge_config_selectorIaNS0_10empty_typeEEEZZNS1_27merge_sort_block_merge_implIS3_PaPS5_jNS1_19radix_merge_compareILb1ELb1EaNS0_19identity_decomposerEEEEE10hipError_tT0_T1_T2_jT3_P12ihipStream_tbPNSt15iterator_traitsISE_E10value_typeEPNSK_ISF_E10value_typeEPSG_NS1_7vsmem_tEENKUlT_SE_SF_SG_E_clIS8_S8_S9_S9_EESD_ST_SE_SF_SG_EUlST_E_NS1_11comp_targetILNS1_3genE5ELNS1_11target_archE942ELNS1_3gpuE9ELNS1_3repE0EEENS1_48merge_mergepath_partition_config_static_selectorELNS0_4arch9wavefront6targetE1EEEvSF_
    .private_segment_fixed_size: 0
    .sgpr_count:     4
    .sgpr_spill_count: 0
    .symbol:         _ZN7rocprim17ROCPRIM_400000_NS6detail17trampoline_kernelINS0_14default_configENS1_38merge_sort_block_merge_config_selectorIaNS0_10empty_typeEEEZZNS1_27merge_sort_block_merge_implIS3_PaPS5_jNS1_19radix_merge_compareILb1ELb1EaNS0_19identity_decomposerEEEEE10hipError_tT0_T1_T2_jT3_P12ihipStream_tbPNSt15iterator_traitsISE_E10value_typeEPNSK_ISF_E10value_typeEPSG_NS1_7vsmem_tEENKUlT_SE_SF_SG_E_clIS8_S8_S9_S9_EESD_ST_SE_SF_SG_EUlST_E_NS1_11comp_targetILNS1_3genE5ELNS1_11target_archE942ELNS1_3gpuE9ELNS1_3repE0EEENS1_48merge_mergepath_partition_config_static_selectorELNS0_4arch9wavefront6targetE1EEEvSF_.kd
    .uniform_work_group_size: 1
    .uses_dynamic_stack: false
    .vgpr_count:     0
    .vgpr_spill_count: 0
    .wavefront_size: 64
  - .agpr_count:     0
    .args:
      - .offset:         0
        .size:           40
        .value_kind:     by_value
    .group_segment_fixed_size: 0
    .kernarg_segment_align: 8
    .kernarg_segment_size: 40
    .language:       OpenCL C
    .language_version:
      - 2
      - 0
    .max_flat_workgroup_size: 128
    .name:           _ZN7rocprim17ROCPRIM_400000_NS6detail17trampoline_kernelINS0_14default_configENS1_38merge_sort_block_merge_config_selectorIaNS0_10empty_typeEEEZZNS1_27merge_sort_block_merge_implIS3_PaPS5_jNS1_19radix_merge_compareILb1ELb1EaNS0_19identity_decomposerEEEEE10hipError_tT0_T1_T2_jT3_P12ihipStream_tbPNSt15iterator_traitsISE_E10value_typeEPNSK_ISF_E10value_typeEPSG_NS1_7vsmem_tEENKUlT_SE_SF_SG_E_clIS8_S8_S9_S9_EESD_ST_SE_SF_SG_EUlST_E_NS1_11comp_targetILNS1_3genE4ELNS1_11target_archE910ELNS1_3gpuE8ELNS1_3repE0EEENS1_48merge_mergepath_partition_config_static_selectorELNS0_4arch9wavefront6targetE1EEEvSF_
    .private_segment_fixed_size: 0
    .sgpr_count:     14
    .sgpr_spill_count: 0
    .symbol:         _ZN7rocprim17ROCPRIM_400000_NS6detail17trampoline_kernelINS0_14default_configENS1_38merge_sort_block_merge_config_selectorIaNS0_10empty_typeEEEZZNS1_27merge_sort_block_merge_implIS3_PaPS5_jNS1_19radix_merge_compareILb1ELb1EaNS0_19identity_decomposerEEEEE10hipError_tT0_T1_T2_jT3_P12ihipStream_tbPNSt15iterator_traitsISE_E10value_typeEPNSK_ISF_E10value_typeEPSG_NS1_7vsmem_tEENKUlT_SE_SF_SG_E_clIS8_S8_S9_S9_EESD_ST_SE_SF_SG_EUlST_E_NS1_11comp_targetILNS1_3genE4ELNS1_11target_archE910ELNS1_3gpuE8ELNS1_3repE0EEENS1_48merge_mergepath_partition_config_static_selectorELNS0_4arch9wavefront6targetE1EEEvSF_.kd
    .uniform_work_group_size: 1
    .uses_dynamic_stack: false
    .vgpr_count:     16
    .vgpr_spill_count: 0
    .wavefront_size: 64
  - .agpr_count:     0
    .args:
      - .offset:         0
        .size:           40
        .value_kind:     by_value
    .group_segment_fixed_size: 0
    .kernarg_segment_align: 8
    .kernarg_segment_size: 40
    .language:       OpenCL C
    .language_version:
      - 2
      - 0
    .max_flat_workgroup_size: 128
    .name:           _ZN7rocprim17ROCPRIM_400000_NS6detail17trampoline_kernelINS0_14default_configENS1_38merge_sort_block_merge_config_selectorIaNS0_10empty_typeEEEZZNS1_27merge_sort_block_merge_implIS3_PaPS5_jNS1_19radix_merge_compareILb1ELb1EaNS0_19identity_decomposerEEEEE10hipError_tT0_T1_T2_jT3_P12ihipStream_tbPNSt15iterator_traitsISE_E10value_typeEPNSK_ISF_E10value_typeEPSG_NS1_7vsmem_tEENKUlT_SE_SF_SG_E_clIS8_S8_S9_S9_EESD_ST_SE_SF_SG_EUlST_E_NS1_11comp_targetILNS1_3genE3ELNS1_11target_archE908ELNS1_3gpuE7ELNS1_3repE0EEENS1_48merge_mergepath_partition_config_static_selectorELNS0_4arch9wavefront6targetE1EEEvSF_
    .private_segment_fixed_size: 0
    .sgpr_count:     4
    .sgpr_spill_count: 0
    .symbol:         _ZN7rocprim17ROCPRIM_400000_NS6detail17trampoline_kernelINS0_14default_configENS1_38merge_sort_block_merge_config_selectorIaNS0_10empty_typeEEEZZNS1_27merge_sort_block_merge_implIS3_PaPS5_jNS1_19radix_merge_compareILb1ELb1EaNS0_19identity_decomposerEEEEE10hipError_tT0_T1_T2_jT3_P12ihipStream_tbPNSt15iterator_traitsISE_E10value_typeEPNSK_ISF_E10value_typeEPSG_NS1_7vsmem_tEENKUlT_SE_SF_SG_E_clIS8_S8_S9_S9_EESD_ST_SE_SF_SG_EUlST_E_NS1_11comp_targetILNS1_3genE3ELNS1_11target_archE908ELNS1_3gpuE7ELNS1_3repE0EEENS1_48merge_mergepath_partition_config_static_selectorELNS0_4arch9wavefront6targetE1EEEvSF_.kd
    .uniform_work_group_size: 1
    .uses_dynamic_stack: false
    .vgpr_count:     0
    .vgpr_spill_count: 0
    .wavefront_size: 64
  - .agpr_count:     0
    .args:
      - .offset:         0
        .size:           40
        .value_kind:     by_value
    .group_segment_fixed_size: 0
    .kernarg_segment_align: 8
    .kernarg_segment_size: 40
    .language:       OpenCL C
    .language_version:
      - 2
      - 0
    .max_flat_workgroup_size: 128
    .name:           _ZN7rocprim17ROCPRIM_400000_NS6detail17trampoline_kernelINS0_14default_configENS1_38merge_sort_block_merge_config_selectorIaNS0_10empty_typeEEEZZNS1_27merge_sort_block_merge_implIS3_PaPS5_jNS1_19radix_merge_compareILb1ELb1EaNS0_19identity_decomposerEEEEE10hipError_tT0_T1_T2_jT3_P12ihipStream_tbPNSt15iterator_traitsISE_E10value_typeEPNSK_ISF_E10value_typeEPSG_NS1_7vsmem_tEENKUlT_SE_SF_SG_E_clIS8_S8_S9_S9_EESD_ST_SE_SF_SG_EUlST_E_NS1_11comp_targetILNS1_3genE2ELNS1_11target_archE906ELNS1_3gpuE6ELNS1_3repE0EEENS1_48merge_mergepath_partition_config_static_selectorELNS0_4arch9wavefront6targetE1EEEvSF_
    .private_segment_fixed_size: 0
    .sgpr_count:     4
    .sgpr_spill_count: 0
    .symbol:         _ZN7rocprim17ROCPRIM_400000_NS6detail17trampoline_kernelINS0_14default_configENS1_38merge_sort_block_merge_config_selectorIaNS0_10empty_typeEEEZZNS1_27merge_sort_block_merge_implIS3_PaPS5_jNS1_19radix_merge_compareILb1ELb1EaNS0_19identity_decomposerEEEEE10hipError_tT0_T1_T2_jT3_P12ihipStream_tbPNSt15iterator_traitsISE_E10value_typeEPNSK_ISF_E10value_typeEPSG_NS1_7vsmem_tEENKUlT_SE_SF_SG_E_clIS8_S8_S9_S9_EESD_ST_SE_SF_SG_EUlST_E_NS1_11comp_targetILNS1_3genE2ELNS1_11target_archE906ELNS1_3gpuE6ELNS1_3repE0EEENS1_48merge_mergepath_partition_config_static_selectorELNS0_4arch9wavefront6targetE1EEEvSF_.kd
    .uniform_work_group_size: 1
    .uses_dynamic_stack: false
    .vgpr_count:     0
    .vgpr_spill_count: 0
    .wavefront_size: 64
  - .agpr_count:     0
    .args:
      - .offset:         0
        .size:           40
        .value_kind:     by_value
    .group_segment_fixed_size: 0
    .kernarg_segment_align: 8
    .kernarg_segment_size: 40
    .language:       OpenCL C
    .language_version:
      - 2
      - 0
    .max_flat_workgroup_size: 128
    .name:           _ZN7rocprim17ROCPRIM_400000_NS6detail17trampoline_kernelINS0_14default_configENS1_38merge_sort_block_merge_config_selectorIaNS0_10empty_typeEEEZZNS1_27merge_sort_block_merge_implIS3_PaPS5_jNS1_19radix_merge_compareILb1ELb1EaNS0_19identity_decomposerEEEEE10hipError_tT0_T1_T2_jT3_P12ihipStream_tbPNSt15iterator_traitsISE_E10value_typeEPNSK_ISF_E10value_typeEPSG_NS1_7vsmem_tEENKUlT_SE_SF_SG_E_clIS8_S8_S9_S9_EESD_ST_SE_SF_SG_EUlST_E_NS1_11comp_targetILNS1_3genE9ELNS1_11target_archE1100ELNS1_3gpuE3ELNS1_3repE0EEENS1_48merge_mergepath_partition_config_static_selectorELNS0_4arch9wavefront6targetE1EEEvSF_
    .private_segment_fixed_size: 0
    .sgpr_count:     4
    .sgpr_spill_count: 0
    .symbol:         _ZN7rocprim17ROCPRIM_400000_NS6detail17trampoline_kernelINS0_14default_configENS1_38merge_sort_block_merge_config_selectorIaNS0_10empty_typeEEEZZNS1_27merge_sort_block_merge_implIS3_PaPS5_jNS1_19radix_merge_compareILb1ELb1EaNS0_19identity_decomposerEEEEE10hipError_tT0_T1_T2_jT3_P12ihipStream_tbPNSt15iterator_traitsISE_E10value_typeEPNSK_ISF_E10value_typeEPSG_NS1_7vsmem_tEENKUlT_SE_SF_SG_E_clIS8_S8_S9_S9_EESD_ST_SE_SF_SG_EUlST_E_NS1_11comp_targetILNS1_3genE9ELNS1_11target_archE1100ELNS1_3gpuE3ELNS1_3repE0EEENS1_48merge_mergepath_partition_config_static_selectorELNS0_4arch9wavefront6targetE1EEEvSF_.kd
    .uniform_work_group_size: 1
    .uses_dynamic_stack: false
    .vgpr_count:     0
    .vgpr_spill_count: 0
    .wavefront_size: 64
  - .agpr_count:     0
    .args:
      - .offset:         0
        .size:           40
        .value_kind:     by_value
    .group_segment_fixed_size: 0
    .kernarg_segment_align: 8
    .kernarg_segment_size: 40
    .language:       OpenCL C
    .language_version:
      - 2
      - 0
    .max_flat_workgroup_size: 128
    .name:           _ZN7rocprim17ROCPRIM_400000_NS6detail17trampoline_kernelINS0_14default_configENS1_38merge_sort_block_merge_config_selectorIaNS0_10empty_typeEEEZZNS1_27merge_sort_block_merge_implIS3_PaPS5_jNS1_19radix_merge_compareILb1ELb1EaNS0_19identity_decomposerEEEEE10hipError_tT0_T1_T2_jT3_P12ihipStream_tbPNSt15iterator_traitsISE_E10value_typeEPNSK_ISF_E10value_typeEPSG_NS1_7vsmem_tEENKUlT_SE_SF_SG_E_clIS8_S8_S9_S9_EESD_ST_SE_SF_SG_EUlST_E_NS1_11comp_targetILNS1_3genE8ELNS1_11target_archE1030ELNS1_3gpuE2ELNS1_3repE0EEENS1_48merge_mergepath_partition_config_static_selectorELNS0_4arch9wavefront6targetE1EEEvSF_
    .private_segment_fixed_size: 0
    .sgpr_count:     4
    .sgpr_spill_count: 0
    .symbol:         _ZN7rocprim17ROCPRIM_400000_NS6detail17trampoline_kernelINS0_14default_configENS1_38merge_sort_block_merge_config_selectorIaNS0_10empty_typeEEEZZNS1_27merge_sort_block_merge_implIS3_PaPS5_jNS1_19radix_merge_compareILb1ELb1EaNS0_19identity_decomposerEEEEE10hipError_tT0_T1_T2_jT3_P12ihipStream_tbPNSt15iterator_traitsISE_E10value_typeEPNSK_ISF_E10value_typeEPSG_NS1_7vsmem_tEENKUlT_SE_SF_SG_E_clIS8_S8_S9_S9_EESD_ST_SE_SF_SG_EUlST_E_NS1_11comp_targetILNS1_3genE8ELNS1_11target_archE1030ELNS1_3gpuE2ELNS1_3repE0EEENS1_48merge_mergepath_partition_config_static_selectorELNS0_4arch9wavefront6targetE1EEEvSF_.kd
    .uniform_work_group_size: 1
    .uses_dynamic_stack: false
    .vgpr_count:     0
    .vgpr_spill_count: 0
    .wavefront_size: 64
  - .agpr_count:     0
    .args:
      - .offset:         0
        .size:           64
        .value_kind:     by_value
    .group_segment_fixed_size: 0
    .kernarg_segment_align: 8
    .kernarg_segment_size: 64
    .language:       OpenCL C
    .language_version:
      - 2
      - 0
    .max_flat_workgroup_size: 128
    .name:           _ZN7rocprim17ROCPRIM_400000_NS6detail17trampoline_kernelINS0_14default_configENS1_38merge_sort_block_merge_config_selectorIaNS0_10empty_typeEEEZZNS1_27merge_sort_block_merge_implIS3_PaPS5_jNS1_19radix_merge_compareILb1ELb1EaNS0_19identity_decomposerEEEEE10hipError_tT0_T1_T2_jT3_P12ihipStream_tbPNSt15iterator_traitsISE_E10value_typeEPNSK_ISF_E10value_typeEPSG_NS1_7vsmem_tEENKUlT_SE_SF_SG_E_clIS8_S8_S9_S9_EESD_ST_SE_SF_SG_EUlST_E0_NS1_11comp_targetILNS1_3genE0ELNS1_11target_archE4294967295ELNS1_3gpuE0ELNS1_3repE0EEENS1_38merge_mergepath_config_static_selectorELNS0_4arch9wavefront6targetE1EEEvSF_
    .private_segment_fixed_size: 0
    .sgpr_count:     4
    .sgpr_spill_count: 0
    .symbol:         _ZN7rocprim17ROCPRIM_400000_NS6detail17trampoline_kernelINS0_14default_configENS1_38merge_sort_block_merge_config_selectorIaNS0_10empty_typeEEEZZNS1_27merge_sort_block_merge_implIS3_PaPS5_jNS1_19radix_merge_compareILb1ELb1EaNS0_19identity_decomposerEEEEE10hipError_tT0_T1_T2_jT3_P12ihipStream_tbPNSt15iterator_traitsISE_E10value_typeEPNSK_ISF_E10value_typeEPSG_NS1_7vsmem_tEENKUlT_SE_SF_SG_E_clIS8_S8_S9_S9_EESD_ST_SE_SF_SG_EUlST_E0_NS1_11comp_targetILNS1_3genE0ELNS1_11target_archE4294967295ELNS1_3gpuE0ELNS1_3repE0EEENS1_38merge_mergepath_config_static_selectorELNS0_4arch9wavefront6targetE1EEEvSF_.kd
    .uniform_work_group_size: 1
    .uses_dynamic_stack: false
    .vgpr_count:     0
    .vgpr_spill_count: 0
    .wavefront_size: 64
  - .agpr_count:     0
    .args:
      - .offset:         0
        .size:           64
        .value_kind:     by_value
    .group_segment_fixed_size: 0
    .kernarg_segment_align: 8
    .kernarg_segment_size: 64
    .language:       OpenCL C
    .language_version:
      - 2
      - 0
    .max_flat_workgroup_size: 128
    .name:           _ZN7rocprim17ROCPRIM_400000_NS6detail17trampoline_kernelINS0_14default_configENS1_38merge_sort_block_merge_config_selectorIaNS0_10empty_typeEEEZZNS1_27merge_sort_block_merge_implIS3_PaPS5_jNS1_19radix_merge_compareILb1ELb1EaNS0_19identity_decomposerEEEEE10hipError_tT0_T1_T2_jT3_P12ihipStream_tbPNSt15iterator_traitsISE_E10value_typeEPNSK_ISF_E10value_typeEPSG_NS1_7vsmem_tEENKUlT_SE_SF_SG_E_clIS8_S8_S9_S9_EESD_ST_SE_SF_SG_EUlST_E0_NS1_11comp_targetILNS1_3genE10ELNS1_11target_archE1201ELNS1_3gpuE5ELNS1_3repE0EEENS1_38merge_mergepath_config_static_selectorELNS0_4arch9wavefront6targetE1EEEvSF_
    .private_segment_fixed_size: 0
    .sgpr_count:     4
    .sgpr_spill_count: 0
    .symbol:         _ZN7rocprim17ROCPRIM_400000_NS6detail17trampoline_kernelINS0_14default_configENS1_38merge_sort_block_merge_config_selectorIaNS0_10empty_typeEEEZZNS1_27merge_sort_block_merge_implIS3_PaPS5_jNS1_19radix_merge_compareILb1ELb1EaNS0_19identity_decomposerEEEEE10hipError_tT0_T1_T2_jT3_P12ihipStream_tbPNSt15iterator_traitsISE_E10value_typeEPNSK_ISF_E10value_typeEPSG_NS1_7vsmem_tEENKUlT_SE_SF_SG_E_clIS8_S8_S9_S9_EESD_ST_SE_SF_SG_EUlST_E0_NS1_11comp_targetILNS1_3genE10ELNS1_11target_archE1201ELNS1_3gpuE5ELNS1_3repE0EEENS1_38merge_mergepath_config_static_selectorELNS0_4arch9wavefront6targetE1EEEvSF_.kd
    .uniform_work_group_size: 1
    .uses_dynamic_stack: false
    .vgpr_count:     0
    .vgpr_spill_count: 0
    .wavefront_size: 64
  - .agpr_count:     0
    .args:
      - .offset:         0
        .size:           64
        .value_kind:     by_value
    .group_segment_fixed_size: 0
    .kernarg_segment_align: 8
    .kernarg_segment_size: 64
    .language:       OpenCL C
    .language_version:
      - 2
      - 0
    .max_flat_workgroup_size: 128
    .name:           _ZN7rocprim17ROCPRIM_400000_NS6detail17trampoline_kernelINS0_14default_configENS1_38merge_sort_block_merge_config_selectorIaNS0_10empty_typeEEEZZNS1_27merge_sort_block_merge_implIS3_PaPS5_jNS1_19radix_merge_compareILb1ELb1EaNS0_19identity_decomposerEEEEE10hipError_tT0_T1_T2_jT3_P12ihipStream_tbPNSt15iterator_traitsISE_E10value_typeEPNSK_ISF_E10value_typeEPSG_NS1_7vsmem_tEENKUlT_SE_SF_SG_E_clIS8_S8_S9_S9_EESD_ST_SE_SF_SG_EUlST_E0_NS1_11comp_targetILNS1_3genE5ELNS1_11target_archE942ELNS1_3gpuE9ELNS1_3repE0EEENS1_38merge_mergepath_config_static_selectorELNS0_4arch9wavefront6targetE1EEEvSF_
    .private_segment_fixed_size: 0
    .sgpr_count:     4
    .sgpr_spill_count: 0
    .symbol:         _ZN7rocprim17ROCPRIM_400000_NS6detail17trampoline_kernelINS0_14default_configENS1_38merge_sort_block_merge_config_selectorIaNS0_10empty_typeEEEZZNS1_27merge_sort_block_merge_implIS3_PaPS5_jNS1_19radix_merge_compareILb1ELb1EaNS0_19identity_decomposerEEEEE10hipError_tT0_T1_T2_jT3_P12ihipStream_tbPNSt15iterator_traitsISE_E10value_typeEPNSK_ISF_E10value_typeEPSG_NS1_7vsmem_tEENKUlT_SE_SF_SG_E_clIS8_S8_S9_S9_EESD_ST_SE_SF_SG_EUlST_E0_NS1_11comp_targetILNS1_3genE5ELNS1_11target_archE942ELNS1_3gpuE9ELNS1_3repE0EEENS1_38merge_mergepath_config_static_selectorELNS0_4arch9wavefront6targetE1EEEvSF_.kd
    .uniform_work_group_size: 1
    .uses_dynamic_stack: false
    .vgpr_count:     0
    .vgpr_spill_count: 0
    .wavefront_size: 64
  - .agpr_count:     0
    .args:
      - .offset:         0
        .size:           64
        .value_kind:     by_value
      - .offset:         64
        .size:           4
        .value_kind:     hidden_block_count_x
      - .offset:         68
        .size:           4
        .value_kind:     hidden_block_count_y
      - .offset:         72
        .size:           4
        .value_kind:     hidden_block_count_z
      - .offset:         76
        .size:           2
        .value_kind:     hidden_group_size_x
      - .offset:         78
        .size:           2
        .value_kind:     hidden_group_size_y
      - .offset:         80
        .size:           2
        .value_kind:     hidden_group_size_z
      - .offset:         82
        .size:           2
        .value_kind:     hidden_remainder_x
      - .offset:         84
        .size:           2
        .value_kind:     hidden_remainder_y
      - .offset:         86
        .size:           2
        .value_kind:     hidden_remainder_z
      - .offset:         104
        .size:           8
        .value_kind:     hidden_global_offset_x
      - .offset:         112
        .size:           8
        .value_kind:     hidden_global_offset_y
      - .offset:         120
        .size:           8
        .value_kind:     hidden_global_offset_z
      - .offset:         128
        .size:           2
        .value_kind:     hidden_grid_dims
    .group_segment_fixed_size: 1056
    .kernarg_segment_align: 8
    .kernarg_segment_size: 320
    .language:       OpenCL C
    .language_version:
      - 2
      - 0
    .max_flat_workgroup_size: 128
    .name:           _ZN7rocprim17ROCPRIM_400000_NS6detail17trampoline_kernelINS0_14default_configENS1_38merge_sort_block_merge_config_selectorIaNS0_10empty_typeEEEZZNS1_27merge_sort_block_merge_implIS3_PaPS5_jNS1_19radix_merge_compareILb1ELb1EaNS0_19identity_decomposerEEEEE10hipError_tT0_T1_T2_jT3_P12ihipStream_tbPNSt15iterator_traitsISE_E10value_typeEPNSK_ISF_E10value_typeEPSG_NS1_7vsmem_tEENKUlT_SE_SF_SG_E_clIS8_S8_S9_S9_EESD_ST_SE_SF_SG_EUlST_E0_NS1_11comp_targetILNS1_3genE4ELNS1_11target_archE910ELNS1_3gpuE8ELNS1_3repE0EEENS1_38merge_mergepath_config_static_selectorELNS0_4arch9wavefront6targetE1EEEvSF_
    .private_segment_fixed_size: 0
    .sgpr_count:     30
    .sgpr_spill_count: 0
    .symbol:         _ZN7rocprim17ROCPRIM_400000_NS6detail17trampoline_kernelINS0_14default_configENS1_38merge_sort_block_merge_config_selectorIaNS0_10empty_typeEEEZZNS1_27merge_sort_block_merge_implIS3_PaPS5_jNS1_19radix_merge_compareILb1ELb1EaNS0_19identity_decomposerEEEEE10hipError_tT0_T1_T2_jT3_P12ihipStream_tbPNSt15iterator_traitsISE_E10value_typeEPNSK_ISF_E10value_typeEPSG_NS1_7vsmem_tEENKUlT_SE_SF_SG_E_clIS8_S8_S9_S9_EESD_ST_SE_SF_SG_EUlST_E0_NS1_11comp_targetILNS1_3genE4ELNS1_11target_archE910ELNS1_3gpuE8ELNS1_3repE0EEENS1_38merge_mergepath_config_static_selectorELNS0_4arch9wavefront6targetE1EEEvSF_.kd
    .uniform_work_group_size: 1
    .uses_dynamic_stack: false
    .vgpr_count:     28
    .vgpr_spill_count: 0
    .wavefront_size: 64
  - .agpr_count:     0
    .args:
      - .offset:         0
        .size:           64
        .value_kind:     by_value
    .group_segment_fixed_size: 0
    .kernarg_segment_align: 8
    .kernarg_segment_size: 64
    .language:       OpenCL C
    .language_version:
      - 2
      - 0
    .max_flat_workgroup_size: 128
    .name:           _ZN7rocprim17ROCPRIM_400000_NS6detail17trampoline_kernelINS0_14default_configENS1_38merge_sort_block_merge_config_selectorIaNS0_10empty_typeEEEZZNS1_27merge_sort_block_merge_implIS3_PaPS5_jNS1_19radix_merge_compareILb1ELb1EaNS0_19identity_decomposerEEEEE10hipError_tT0_T1_T2_jT3_P12ihipStream_tbPNSt15iterator_traitsISE_E10value_typeEPNSK_ISF_E10value_typeEPSG_NS1_7vsmem_tEENKUlT_SE_SF_SG_E_clIS8_S8_S9_S9_EESD_ST_SE_SF_SG_EUlST_E0_NS1_11comp_targetILNS1_3genE3ELNS1_11target_archE908ELNS1_3gpuE7ELNS1_3repE0EEENS1_38merge_mergepath_config_static_selectorELNS0_4arch9wavefront6targetE1EEEvSF_
    .private_segment_fixed_size: 0
    .sgpr_count:     4
    .sgpr_spill_count: 0
    .symbol:         _ZN7rocprim17ROCPRIM_400000_NS6detail17trampoline_kernelINS0_14default_configENS1_38merge_sort_block_merge_config_selectorIaNS0_10empty_typeEEEZZNS1_27merge_sort_block_merge_implIS3_PaPS5_jNS1_19radix_merge_compareILb1ELb1EaNS0_19identity_decomposerEEEEE10hipError_tT0_T1_T2_jT3_P12ihipStream_tbPNSt15iterator_traitsISE_E10value_typeEPNSK_ISF_E10value_typeEPSG_NS1_7vsmem_tEENKUlT_SE_SF_SG_E_clIS8_S8_S9_S9_EESD_ST_SE_SF_SG_EUlST_E0_NS1_11comp_targetILNS1_3genE3ELNS1_11target_archE908ELNS1_3gpuE7ELNS1_3repE0EEENS1_38merge_mergepath_config_static_selectorELNS0_4arch9wavefront6targetE1EEEvSF_.kd
    .uniform_work_group_size: 1
    .uses_dynamic_stack: false
    .vgpr_count:     0
    .vgpr_spill_count: 0
    .wavefront_size: 64
  - .agpr_count:     0
    .args:
      - .offset:         0
        .size:           64
        .value_kind:     by_value
    .group_segment_fixed_size: 0
    .kernarg_segment_align: 8
    .kernarg_segment_size: 64
    .language:       OpenCL C
    .language_version:
      - 2
      - 0
    .max_flat_workgroup_size: 128
    .name:           _ZN7rocprim17ROCPRIM_400000_NS6detail17trampoline_kernelINS0_14default_configENS1_38merge_sort_block_merge_config_selectorIaNS0_10empty_typeEEEZZNS1_27merge_sort_block_merge_implIS3_PaPS5_jNS1_19radix_merge_compareILb1ELb1EaNS0_19identity_decomposerEEEEE10hipError_tT0_T1_T2_jT3_P12ihipStream_tbPNSt15iterator_traitsISE_E10value_typeEPNSK_ISF_E10value_typeEPSG_NS1_7vsmem_tEENKUlT_SE_SF_SG_E_clIS8_S8_S9_S9_EESD_ST_SE_SF_SG_EUlST_E0_NS1_11comp_targetILNS1_3genE2ELNS1_11target_archE906ELNS1_3gpuE6ELNS1_3repE0EEENS1_38merge_mergepath_config_static_selectorELNS0_4arch9wavefront6targetE1EEEvSF_
    .private_segment_fixed_size: 0
    .sgpr_count:     4
    .sgpr_spill_count: 0
    .symbol:         _ZN7rocprim17ROCPRIM_400000_NS6detail17trampoline_kernelINS0_14default_configENS1_38merge_sort_block_merge_config_selectorIaNS0_10empty_typeEEEZZNS1_27merge_sort_block_merge_implIS3_PaPS5_jNS1_19radix_merge_compareILb1ELb1EaNS0_19identity_decomposerEEEEE10hipError_tT0_T1_T2_jT3_P12ihipStream_tbPNSt15iterator_traitsISE_E10value_typeEPNSK_ISF_E10value_typeEPSG_NS1_7vsmem_tEENKUlT_SE_SF_SG_E_clIS8_S8_S9_S9_EESD_ST_SE_SF_SG_EUlST_E0_NS1_11comp_targetILNS1_3genE2ELNS1_11target_archE906ELNS1_3gpuE6ELNS1_3repE0EEENS1_38merge_mergepath_config_static_selectorELNS0_4arch9wavefront6targetE1EEEvSF_.kd
    .uniform_work_group_size: 1
    .uses_dynamic_stack: false
    .vgpr_count:     0
    .vgpr_spill_count: 0
    .wavefront_size: 64
  - .agpr_count:     0
    .args:
      - .offset:         0
        .size:           64
        .value_kind:     by_value
    .group_segment_fixed_size: 0
    .kernarg_segment_align: 8
    .kernarg_segment_size: 64
    .language:       OpenCL C
    .language_version:
      - 2
      - 0
    .max_flat_workgroup_size: 128
    .name:           _ZN7rocprim17ROCPRIM_400000_NS6detail17trampoline_kernelINS0_14default_configENS1_38merge_sort_block_merge_config_selectorIaNS0_10empty_typeEEEZZNS1_27merge_sort_block_merge_implIS3_PaPS5_jNS1_19radix_merge_compareILb1ELb1EaNS0_19identity_decomposerEEEEE10hipError_tT0_T1_T2_jT3_P12ihipStream_tbPNSt15iterator_traitsISE_E10value_typeEPNSK_ISF_E10value_typeEPSG_NS1_7vsmem_tEENKUlT_SE_SF_SG_E_clIS8_S8_S9_S9_EESD_ST_SE_SF_SG_EUlST_E0_NS1_11comp_targetILNS1_3genE9ELNS1_11target_archE1100ELNS1_3gpuE3ELNS1_3repE0EEENS1_38merge_mergepath_config_static_selectorELNS0_4arch9wavefront6targetE1EEEvSF_
    .private_segment_fixed_size: 0
    .sgpr_count:     4
    .sgpr_spill_count: 0
    .symbol:         _ZN7rocprim17ROCPRIM_400000_NS6detail17trampoline_kernelINS0_14default_configENS1_38merge_sort_block_merge_config_selectorIaNS0_10empty_typeEEEZZNS1_27merge_sort_block_merge_implIS3_PaPS5_jNS1_19radix_merge_compareILb1ELb1EaNS0_19identity_decomposerEEEEE10hipError_tT0_T1_T2_jT3_P12ihipStream_tbPNSt15iterator_traitsISE_E10value_typeEPNSK_ISF_E10value_typeEPSG_NS1_7vsmem_tEENKUlT_SE_SF_SG_E_clIS8_S8_S9_S9_EESD_ST_SE_SF_SG_EUlST_E0_NS1_11comp_targetILNS1_3genE9ELNS1_11target_archE1100ELNS1_3gpuE3ELNS1_3repE0EEENS1_38merge_mergepath_config_static_selectorELNS0_4arch9wavefront6targetE1EEEvSF_.kd
    .uniform_work_group_size: 1
    .uses_dynamic_stack: false
    .vgpr_count:     0
    .vgpr_spill_count: 0
    .wavefront_size: 64
  - .agpr_count:     0
    .args:
      - .offset:         0
        .size:           64
        .value_kind:     by_value
    .group_segment_fixed_size: 0
    .kernarg_segment_align: 8
    .kernarg_segment_size: 64
    .language:       OpenCL C
    .language_version:
      - 2
      - 0
    .max_flat_workgroup_size: 128
    .name:           _ZN7rocprim17ROCPRIM_400000_NS6detail17trampoline_kernelINS0_14default_configENS1_38merge_sort_block_merge_config_selectorIaNS0_10empty_typeEEEZZNS1_27merge_sort_block_merge_implIS3_PaPS5_jNS1_19radix_merge_compareILb1ELb1EaNS0_19identity_decomposerEEEEE10hipError_tT0_T1_T2_jT3_P12ihipStream_tbPNSt15iterator_traitsISE_E10value_typeEPNSK_ISF_E10value_typeEPSG_NS1_7vsmem_tEENKUlT_SE_SF_SG_E_clIS8_S8_S9_S9_EESD_ST_SE_SF_SG_EUlST_E0_NS1_11comp_targetILNS1_3genE8ELNS1_11target_archE1030ELNS1_3gpuE2ELNS1_3repE0EEENS1_38merge_mergepath_config_static_selectorELNS0_4arch9wavefront6targetE1EEEvSF_
    .private_segment_fixed_size: 0
    .sgpr_count:     4
    .sgpr_spill_count: 0
    .symbol:         _ZN7rocprim17ROCPRIM_400000_NS6detail17trampoline_kernelINS0_14default_configENS1_38merge_sort_block_merge_config_selectorIaNS0_10empty_typeEEEZZNS1_27merge_sort_block_merge_implIS3_PaPS5_jNS1_19radix_merge_compareILb1ELb1EaNS0_19identity_decomposerEEEEE10hipError_tT0_T1_T2_jT3_P12ihipStream_tbPNSt15iterator_traitsISE_E10value_typeEPNSK_ISF_E10value_typeEPSG_NS1_7vsmem_tEENKUlT_SE_SF_SG_E_clIS8_S8_S9_S9_EESD_ST_SE_SF_SG_EUlST_E0_NS1_11comp_targetILNS1_3genE8ELNS1_11target_archE1030ELNS1_3gpuE2ELNS1_3repE0EEENS1_38merge_mergepath_config_static_selectorELNS0_4arch9wavefront6targetE1EEEvSF_.kd
    .uniform_work_group_size: 1
    .uses_dynamic_stack: false
    .vgpr_count:     0
    .vgpr_spill_count: 0
    .wavefront_size: 64
  - .agpr_count:     0
    .args:
      - .offset:         0
        .size:           48
        .value_kind:     by_value
    .group_segment_fixed_size: 0
    .kernarg_segment_align: 8
    .kernarg_segment_size: 48
    .language:       OpenCL C
    .language_version:
      - 2
      - 0
    .max_flat_workgroup_size: 256
    .name:           _ZN7rocprim17ROCPRIM_400000_NS6detail17trampoline_kernelINS0_14default_configENS1_38merge_sort_block_merge_config_selectorIaNS0_10empty_typeEEEZZNS1_27merge_sort_block_merge_implIS3_PaPS5_jNS1_19radix_merge_compareILb1ELb1EaNS0_19identity_decomposerEEEEE10hipError_tT0_T1_T2_jT3_P12ihipStream_tbPNSt15iterator_traitsISE_E10value_typeEPNSK_ISF_E10value_typeEPSG_NS1_7vsmem_tEENKUlT_SE_SF_SG_E_clIS8_S8_S9_S9_EESD_ST_SE_SF_SG_EUlST_E1_NS1_11comp_targetILNS1_3genE0ELNS1_11target_archE4294967295ELNS1_3gpuE0ELNS1_3repE0EEENS1_36merge_oddeven_config_static_selectorELNS0_4arch9wavefront6targetE1EEEvSF_
    .private_segment_fixed_size: 0
    .sgpr_count:     4
    .sgpr_spill_count: 0
    .symbol:         _ZN7rocprim17ROCPRIM_400000_NS6detail17trampoline_kernelINS0_14default_configENS1_38merge_sort_block_merge_config_selectorIaNS0_10empty_typeEEEZZNS1_27merge_sort_block_merge_implIS3_PaPS5_jNS1_19radix_merge_compareILb1ELb1EaNS0_19identity_decomposerEEEEE10hipError_tT0_T1_T2_jT3_P12ihipStream_tbPNSt15iterator_traitsISE_E10value_typeEPNSK_ISF_E10value_typeEPSG_NS1_7vsmem_tEENKUlT_SE_SF_SG_E_clIS8_S8_S9_S9_EESD_ST_SE_SF_SG_EUlST_E1_NS1_11comp_targetILNS1_3genE0ELNS1_11target_archE4294967295ELNS1_3gpuE0ELNS1_3repE0EEENS1_36merge_oddeven_config_static_selectorELNS0_4arch9wavefront6targetE1EEEvSF_.kd
    .uniform_work_group_size: 1
    .uses_dynamic_stack: false
    .vgpr_count:     0
    .vgpr_spill_count: 0
    .wavefront_size: 64
  - .agpr_count:     0
    .args:
      - .offset:         0
        .size:           48
        .value_kind:     by_value
    .group_segment_fixed_size: 0
    .kernarg_segment_align: 8
    .kernarg_segment_size: 48
    .language:       OpenCL C
    .language_version:
      - 2
      - 0
    .max_flat_workgroup_size: 256
    .name:           _ZN7rocprim17ROCPRIM_400000_NS6detail17trampoline_kernelINS0_14default_configENS1_38merge_sort_block_merge_config_selectorIaNS0_10empty_typeEEEZZNS1_27merge_sort_block_merge_implIS3_PaPS5_jNS1_19radix_merge_compareILb1ELb1EaNS0_19identity_decomposerEEEEE10hipError_tT0_T1_T2_jT3_P12ihipStream_tbPNSt15iterator_traitsISE_E10value_typeEPNSK_ISF_E10value_typeEPSG_NS1_7vsmem_tEENKUlT_SE_SF_SG_E_clIS8_S8_S9_S9_EESD_ST_SE_SF_SG_EUlST_E1_NS1_11comp_targetILNS1_3genE10ELNS1_11target_archE1201ELNS1_3gpuE5ELNS1_3repE0EEENS1_36merge_oddeven_config_static_selectorELNS0_4arch9wavefront6targetE1EEEvSF_
    .private_segment_fixed_size: 0
    .sgpr_count:     4
    .sgpr_spill_count: 0
    .symbol:         _ZN7rocprim17ROCPRIM_400000_NS6detail17trampoline_kernelINS0_14default_configENS1_38merge_sort_block_merge_config_selectorIaNS0_10empty_typeEEEZZNS1_27merge_sort_block_merge_implIS3_PaPS5_jNS1_19radix_merge_compareILb1ELb1EaNS0_19identity_decomposerEEEEE10hipError_tT0_T1_T2_jT3_P12ihipStream_tbPNSt15iterator_traitsISE_E10value_typeEPNSK_ISF_E10value_typeEPSG_NS1_7vsmem_tEENKUlT_SE_SF_SG_E_clIS8_S8_S9_S9_EESD_ST_SE_SF_SG_EUlST_E1_NS1_11comp_targetILNS1_3genE10ELNS1_11target_archE1201ELNS1_3gpuE5ELNS1_3repE0EEENS1_36merge_oddeven_config_static_selectorELNS0_4arch9wavefront6targetE1EEEvSF_.kd
    .uniform_work_group_size: 1
    .uses_dynamic_stack: false
    .vgpr_count:     0
    .vgpr_spill_count: 0
    .wavefront_size: 64
  - .agpr_count:     0
    .args:
      - .offset:         0
        .size:           48
        .value_kind:     by_value
    .group_segment_fixed_size: 0
    .kernarg_segment_align: 8
    .kernarg_segment_size: 48
    .language:       OpenCL C
    .language_version:
      - 2
      - 0
    .max_flat_workgroup_size: 256
    .name:           _ZN7rocprim17ROCPRIM_400000_NS6detail17trampoline_kernelINS0_14default_configENS1_38merge_sort_block_merge_config_selectorIaNS0_10empty_typeEEEZZNS1_27merge_sort_block_merge_implIS3_PaPS5_jNS1_19radix_merge_compareILb1ELb1EaNS0_19identity_decomposerEEEEE10hipError_tT0_T1_T2_jT3_P12ihipStream_tbPNSt15iterator_traitsISE_E10value_typeEPNSK_ISF_E10value_typeEPSG_NS1_7vsmem_tEENKUlT_SE_SF_SG_E_clIS8_S8_S9_S9_EESD_ST_SE_SF_SG_EUlST_E1_NS1_11comp_targetILNS1_3genE5ELNS1_11target_archE942ELNS1_3gpuE9ELNS1_3repE0EEENS1_36merge_oddeven_config_static_selectorELNS0_4arch9wavefront6targetE1EEEvSF_
    .private_segment_fixed_size: 0
    .sgpr_count:     4
    .sgpr_spill_count: 0
    .symbol:         _ZN7rocprim17ROCPRIM_400000_NS6detail17trampoline_kernelINS0_14default_configENS1_38merge_sort_block_merge_config_selectorIaNS0_10empty_typeEEEZZNS1_27merge_sort_block_merge_implIS3_PaPS5_jNS1_19radix_merge_compareILb1ELb1EaNS0_19identity_decomposerEEEEE10hipError_tT0_T1_T2_jT3_P12ihipStream_tbPNSt15iterator_traitsISE_E10value_typeEPNSK_ISF_E10value_typeEPSG_NS1_7vsmem_tEENKUlT_SE_SF_SG_E_clIS8_S8_S9_S9_EESD_ST_SE_SF_SG_EUlST_E1_NS1_11comp_targetILNS1_3genE5ELNS1_11target_archE942ELNS1_3gpuE9ELNS1_3repE0EEENS1_36merge_oddeven_config_static_selectorELNS0_4arch9wavefront6targetE1EEEvSF_.kd
    .uniform_work_group_size: 1
    .uses_dynamic_stack: false
    .vgpr_count:     0
    .vgpr_spill_count: 0
    .wavefront_size: 64
  - .agpr_count:     0
    .args:
      - .offset:         0
        .size:           48
        .value_kind:     by_value
    .group_segment_fixed_size: 0
    .kernarg_segment_align: 8
    .kernarg_segment_size: 48
    .language:       OpenCL C
    .language_version:
      - 2
      - 0
    .max_flat_workgroup_size: 256
    .name:           _ZN7rocprim17ROCPRIM_400000_NS6detail17trampoline_kernelINS0_14default_configENS1_38merge_sort_block_merge_config_selectorIaNS0_10empty_typeEEEZZNS1_27merge_sort_block_merge_implIS3_PaPS5_jNS1_19radix_merge_compareILb1ELb1EaNS0_19identity_decomposerEEEEE10hipError_tT0_T1_T2_jT3_P12ihipStream_tbPNSt15iterator_traitsISE_E10value_typeEPNSK_ISF_E10value_typeEPSG_NS1_7vsmem_tEENKUlT_SE_SF_SG_E_clIS8_S8_S9_S9_EESD_ST_SE_SF_SG_EUlST_E1_NS1_11comp_targetILNS1_3genE4ELNS1_11target_archE910ELNS1_3gpuE8ELNS1_3repE0EEENS1_36merge_oddeven_config_static_selectorELNS0_4arch9wavefront6targetE1EEEvSF_
    .private_segment_fixed_size: 0
    .sgpr_count:     26
    .sgpr_spill_count: 0
    .symbol:         _ZN7rocprim17ROCPRIM_400000_NS6detail17trampoline_kernelINS0_14default_configENS1_38merge_sort_block_merge_config_selectorIaNS0_10empty_typeEEEZZNS1_27merge_sort_block_merge_implIS3_PaPS5_jNS1_19radix_merge_compareILb1ELb1EaNS0_19identity_decomposerEEEEE10hipError_tT0_T1_T2_jT3_P12ihipStream_tbPNSt15iterator_traitsISE_E10value_typeEPNSK_ISF_E10value_typeEPSG_NS1_7vsmem_tEENKUlT_SE_SF_SG_E_clIS8_S8_S9_S9_EESD_ST_SE_SF_SG_EUlST_E1_NS1_11comp_targetILNS1_3genE4ELNS1_11target_archE910ELNS1_3gpuE8ELNS1_3repE0EEENS1_36merge_oddeven_config_static_selectorELNS0_4arch9wavefront6targetE1EEEvSF_.kd
    .uniform_work_group_size: 1
    .uses_dynamic_stack: false
    .vgpr_count:     9
    .vgpr_spill_count: 0
    .wavefront_size: 64
  - .agpr_count:     0
    .args:
      - .offset:         0
        .size:           48
        .value_kind:     by_value
    .group_segment_fixed_size: 0
    .kernarg_segment_align: 8
    .kernarg_segment_size: 48
    .language:       OpenCL C
    .language_version:
      - 2
      - 0
    .max_flat_workgroup_size: 256
    .name:           _ZN7rocprim17ROCPRIM_400000_NS6detail17trampoline_kernelINS0_14default_configENS1_38merge_sort_block_merge_config_selectorIaNS0_10empty_typeEEEZZNS1_27merge_sort_block_merge_implIS3_PaPS5_jNS1_19radix_merge_compareILb1ELb1EaNS0_19identity_decomposerEEEEE10hipError_tT0_T1_T2_jT3_P12ihipStream_tbPNSt15iterator_traitsISE_E10value_typeEPNSK_ISF_E10value_typeEPSG_NS1_7vsmem_tEENKUlT_SE_SF_SG_E_clIS8_S8_S9_S9_EESD_ST_SE_SF_SG_EUlST_E1_NS1_11comp_targetILNS1_3genE3ELNS1_11target_archE908ELNS1_3gpuE7ELNS1_3repE0EEENS1_36merge_oddeven_config_static_selectorELNS0_4arch9wavefront6targetE1EEEvSF_
    .private_segment_fixed_size: 0
    .sgpr_count:     4
    .sgpr_spill_count: 0
    .symbol:         _ZN7rocprim17ROCPRIM_400000_NS6detail17trampoline_kernelINS0_14default_configENS1_38merge_sort_block_merge_config_selectorIaNS0_10empty_typeEEEZZNS1_27merge_sort_block_merge_implIS3_PaPS5_jNS1_19radix_merge_compareILb1ELb1EaNS0_19identity_decomposerEEEEE10hipError_tT0_T1_T2_jT3_P12ihipStream_tbPNSt15iterator_traitsISE_E10value_typeEPNSK_ISF_E10value_typeEPSG_NS1_7vsmem_tEENKUlT_SE_SF_SG_E_clIS8_S8_S9_S9_EESD_ST_SE_SF_SG_EUlST_E1_NS1_11comp_targetILNS1_3genE3ELNS1_11target_archE908ELNS1_3gpuE7ELNS1_3repE0EEENS1_36merge_oddeven_config_static_selectorELNS0_4arch9wavefront6targetE1EEEvSF_.kd
    .uniform_work_group_size: 1
    .uses_dynamic_stack: false
    .vgpr_count:     0
    .vgpr_spill_count: 0
    .wavefront_size: 64
  - .agpr_count:     0
    .args:
      - .offset:         0
        .size:           48
        .value_kind:     by_value
    .group_segment_fixed_size: 0
    .kernarg_segment_align: 8
    .kernarg_segment_size: 48
    .language:       OpenCL C
    .language_version:
      - 2
      - 0
    .max_flat_workgroup_size: 256
    .name:           _ZN7rocprim17ROCPRIM_400000_NS6detail17trampoline_kernelINS0_14default_configENS1_38merge_sort_block_merge_config_selectorIaNS0_10empty_typeEEEZZNS1_27merge_sort_block_merge_implIS3_PaPS5_jNS1_19radix_merge_compareILb1ELb1EaNS0_19identity_decomposerEEEEE10hipError_tT0_T1_T2_jT3_P12ihipStream_tbPNSt15iterator_traitsISE_E10value_typeEPNSK_ISF_E10value_typeEPSG_NS1_7vsmem_tEENKUlT_SE_SF_SG_E_clIS8_S8_S9_S9_EESD_ST_SE_SF_SG_EUlST_E1_NS1_11comp_targetILNS1_3genE2ELNS1_11target_archE906ELNS1_3gpuE6ELNS1_3repE0EEENS1_36merge_oddeven_config_static_selectorELNS0_4arch9wavefront6targetE1EEEvSF_
    .private_segment_fixed_size: 0
    .sgpr_count:     4
    .sgpr_spill_count: 0
    .symbol:         _ZN7rocprim17ROCPRIM_400000_NS6detail17trampoline_kernelINS0_14default_configENS1_38merge_sort_block_merge_config_selectorIaNS0_10empty_typeEEEZZNS1_27merge_sort_block_merge_implIS3_PaPS5_jNS1_19radix_merge_compareILb1ELb1EaNS0_19identity_decomposerEEEEE10hipError_tT0_T1_T2_jT3_P12ihipStream_tbPNSt15iterator_traitsISE_E10value_typeEPNSK_ISF_E10value_typeEPSG_NS1_7vsmem_tEENKUlT_SE_SF_SG_E_clIS8_S8_S9_S9_EESD_ST_SE_SF_SG_EUlST_E1_NS1_11comp_targetILNS1_3genE2ELNS1_11target_archE906ELNS1_3gpuE6ELNS1_3repE0EEENS1_36merge_oddeven_config_static_selectorELNS0_4arch9wavefront6targetE1EEEvSF_.kd
    .uniform_work_group_size: 1
    .uses_dynamic_stack: false
    .vgpr_count:     0
    .vgpr_spill_count: 0
    .wavefront_size: 64
  - .agpr_count:     0
    .args:
      - .offset:         0
        .size:           48
        .value_kind:     by_value
    .group_segment_fixed_size: 0
    .kernarg_segment_align: 8
    .kernarg_segment_size: 48
    .language:       OpenCL C
    .language_version:
      - 2
      - 0
    .max_flat_workgroup_size: 256
    .name:           _ZN7rocprim17ROCPRIM_400000_NS6detail17trampoline_kernelINS0_14default_configENS1_38merge_sort_block_merge_config_selectorIaNS0_10empty_typeEEEZZNS1_27merge_sort_block_merge_implIS3_PaPS5_jNS1_19radix_merge_compareILb1ELb1EaNS0_19identity_decomposerEEEEE10hipError_tT0_T1_T2_jT3_P12ihipStream_tbPNSt15iterator_traitsISE_E10value_typeEPNSK_ISF_E10value_typeEPSG_NS1_7vsmem_tEENKUlT_SE_SF_SG_E_clIS8_S8_S9_S9_EESD_ST_SE_SF_SG_EUlST_E1_NS1_11comp_targetILNS1_3genE9ELNS1_11target_archE1100ELNS1_3gpuE3ELNS1_3repE0EEENS1_36merge_oddeven_config_static_selectorELNS0_4arch9wavefront6targetE1EEEvSF_
    .private_segment_fixed_size: 0
    .sgpr_count:     4
    .sgpr_spill_count: 0
    .symbol:         _ZN7rocprim17ROCPRIM_400000_NS6detail17trampoline_kernelINS0_14default_configENS1_38merge_sort_block_merge_config_selectorIaNS0_10empty_typeEEEZZNS1_27merge_sort_block_merge_implIS3_PaPS5_jNS1_19radix_merge_compareILb1ELb1EaNS0_19identity_decomposerEEEEE10hipError_tT0_T1_T2_jT3_P12ihipStream_tbPNSt15iterator_traitsISE_E10value_typeEPNSK_ISF_E10value_typeEPSG_NS1_7vsmem_tEENKUlT_SE_SF_SG_E_clIS8_S8_S9_S9_EESD_ST_SE_SF_SG_EUlST_E1_NS1_11comp_targetILNS1_3genE9ELNS1_11target_archE1100ELNS1_3gpuE3ELNS1_3repE0EEENS1_36merge_oddeven_config_static_selectorELNS0_4arch9wavefront6targetE1EEEvSF_.kd
    .uniform_work_group_size: 1
    .uses_dynamic_stack: false
    .vgpr_count:     0
    .vgpr_spill_count: 0
    .wavefront_size: 64
  - .agpr_count:     0
    .args:
      - .offset:         0
        .size:           48
        .value_kind:     by_value
    .group_segment_fixed_size: 0
    .kernarg_segment_align: 8
    .kernarg_segment_size: 48
    .language:       OpenCL C
    .language_version:
      - 2
      - 0
    .max_flat_workgroup_size: 256
    .name:           _ZN7rocprim17ROCPRIM_400000_NS6detail17trampoline_kernelINS0_14default_configENS1_38merge_sort_block_merge_config_selectorIaNS0_10empty_typeEEEZZNS1_27merge_sort_block_merge_implIS3_PaPS5_jNS1_19radix_merge_compareILb1ELb1EaNS0_19identity_decomposerEEEEE10hipError_tT0_T1_T2_jT3_P12ihipStream_tbPNSt15iterator_traitsISE_E10value_typeEPNSK_ISF_E10value_typeEPSG_NS1_7vsmem_tEENKUlT_SE_SF_SG_E_clIS8_S8_S9_S9_EESD_ST_SE_SF_SG_EUlST_E1_NS1_11comp_targetILNS1_3genE8ELNS1_11target_archE1030ELNS1_3gpuE2ELNS1_3repE0EEENS1_36merge_oddeven_config_static_selectorELNS0_4arch9wavefront6targetE1EEEvSF_
    .private_segment_fixed_size: 0
    .sgpr_count:     4
    .sgpr_spill_count: 0
    .symbol:         _ZN7rocprim17ROCPRIM_400000_NS6detail17trampoline_kernelINS0_14default_configENS1_38merge_sort_block_merge_config_selectorIaNS0_10empty_typeEEEZZNS1_27merge_sort_block_merge_implIS3_PaPS5_jNS1_19radix_merge_compareILb1ELb1EaNS0_19identity_decomposerEEEEE10hipError_tT0_T1_T2_jT3_P12ihipStream_tbPNSt15iterator_traitsISE_E10value_typeEPNSK_ISF_E10value_typeEPSG_NS1_7vsmem_tEENKUlT_SE_SF_SG_E_clIS8_S8_S9_S9_EESD_ST_SE_SF_SG_EUlST_E1_NS1_11comp_targetILNS1_3genE8ELNS1_11target_archE1030ELNS1_3gpuE2ELNS1_3repE0EEENS1_36merge_oddeven_config_static_selectorELNS0_4arch9wavefront6targetE1EEEvSF_.kd
    .uniform_work_group_size: 1
    .uses_dynamic_stack: false
    .vgpr_count:     0
    .vgpr_spill_count: 0
    .wavefront_size: 64
  - .agpr_count:     0
    .args:
      - .offset:         0
        .size:           48
        .value_kind:     by_value
    .group_segment_fixed_size: 0
    .kernarg_segment_align: 8
    .kernarg_segment_size: 48
    .language:       OpenCL C
    .language_version:
      - 2
      - 0
    .max_flat_workgroup_size: 1024
    .name:           _ZN7rocprim17ROCPRIM_400000_NS6detail17trampoline_kernelINS0_14default_configENS1_35radix_sort_onesweep_config_selectorIaNS0_10empty_typeEEEZNS1_34radix_sort_onesweep_global_offsetsIS3_Lb1EPaPS5_mNS0_19identity_decomposerEEE10hipError_tT1_T2_PT3_SE_jT4_jjP12ihipStream_tbEUlT_E_NS1_11comp_targetILNS1_3genE0ELNS1_11target_archE4294967295ELNS1_3gpuE0ELNS1_3repE0EEENS1_52radix_sort_onesweep_histogram_config_static_selectorELNS0_4arch9wavefront6targetE1EEEvSC_
    .private_segment_fixed_size: 0
    .sgpr_count:     4
    .sgpr_spill_count: 0
    .symbol:         _ZN7rocprim17ROCPRIM_400000_NS6detail17trampoline_kernelINS0_14default_configENS1_35radix_sort_onesweep_config_selectorIaNS0_10empty_typeEEEZNS1_34radix_sort_onesweep_global_offsetsIS3_Lb1EPaPS5_mNS0_19identity_decomposerEEE10hipError_tT1_T2_PT3_SE_jT4_jjP12ihipStream_tbEUlT_E_NS1_11comp_targetILNS1_3genE0ELNS1_11target_archE4294967295ELNS1_3gpuE0ELNS1_3repE0EEENS1_52radix_sort_onesweep_histogram_config_static_selectorELNS0_4arch9wavefront6targetE1EEEvSC_.kd
    .uniform_work_group_size: 1
    .uses_dynamic_stack: false
    .vgpr_count:     0
    .vgpr_spill_count: 0
    .wavefront_size: 64
  - .agpr_count:     0
    .args:
      - .offset:         0
        .size:           48
        .value_kind:     by_value
    .group_segment_fixed_size: 0
    .kernarg_segment_align: 8
    .kernarg_segment_size: 48
    .language:       OpenCL C
    .language_version:
      - 2
      - 0
    .max_flat_workgroup_size: 1024
    .name:           _ZN7rocprim17ROCPRIM_400000_NS6detail17trampoline_kernelINS0_14default_configENS1_35radix_sort_onesweep_config_selectorIaNS0_10empty_typeEEEZNS1_34radix_sort_onesweep_global_offsetsIS3_Lb1EPaPS5_mNS0_19identity_decomposerEEE10hipError_tT1_T2_PT3_SE_jT4_jjP12ihipStream_tbEUlT_E_NS1_11comp_targetILNS1_3genE6ELNS1_11target_archE950ELNS1_3gpuE13ELNS1_3repE0EEENS1_52radix_sort_onesweep_histogram_config_static_selectorELNS0_4arch9wavefront6targetE1EEEvSC_
    .private_segment_fixed_size: 0
    .sgpr_count:     4
    .sgpr_spill_count: 0
    .symbol:         _ZN7rocprim17ROCPRIM_400000_NS6detail17trampoline_kernelINS0_14default_configENS1_35radix_sort_onesweep_config_selectorIaNS0_10empty_typeEEEZNS1_34radix_sort_onesweep_global_offsetsIS3_Lb1EPaPS5_mNS0_19identity_decomposerEEE10hipError_tT1_T2_PT3_SE_jT4_jjP12ihipStream_tbEUlT_E_NS1_11comp_targetILNS1_3genE6ELNS1_11target_archE950ELNS1_3gpuE13ELNS1_3repE0EEENS1_52radix_sort_onesweep_histogram_config_static_selectorELNS0_4arch9wavefront6targetE1EEEvSC_.kd
    .uniform_work_group_size: 1
    .uses_dynamic_stack: false
    .vgpr_count:     0
    .vgpr_spill_count: 0
    .wavefront_size: 64
  - .agpr_count:     0
    .args:
      - .offset:         0
        .size:           48
        .value_kind:     by_value
    .group_segment_fixed_size: 0
    .kernarg_segment_align: 8
    .kernarg_segment_size: 48
    .language:       OpenCL C
    .language_version:
      - 2
      - 0
    .max_flat_workgroup_size: 1024
    .name:           _ZN7rocprim17ROCPRIM_400000_NS6detail17trampoline_kernelINS0_14default_configENS1_35radix_sort_onesweep_config_selectorIaNS0_10empty_typeEEEZNS1_34radix_sort_onesweep_global_offsetsIS3_Lb1EPaPS5_mNS0_19identity_decomposerEEE10hipError_tT1_T2_PT3_SE_jT4_jjP12ihipStream_tbEUlT_E_NS1_11comp_targetILNS1_3genE5ELNS1_11target_archE942ELNS1_3gpuE9ELNS1_3repE0EEENS1_52radix_sort_onesweep_histogram_config_static_selectorELNS0_4arch9wavefront6targetE1EEEvSC_
    .private_segment_fixed_size: 0
    .sgpr_count:     4
    .sgpr_spill_count: 0
    .symbol:         _ZN7rocprim17ROCPRIM_400000_NS6detail17trampoline_kernelINS0_14default_configENS1_35radix_sort_onesweep_config_selectorIaNS0_10empty_typeEEEZNS1_34radix_sort_onesweep_global_offsetsIS3_Lb1EPaPS5_mNS0_19identity_decomposerEEE10hipError_tT1_T2_PT3_SE_jT4_jjP12ihipStream_tbEUlT_E_NS1_11comp_targetILNS1_3genE5ELNS1_11target_archE942ELNS1_3gpuE9ELNS1_3repE0EEENS1_52radix_sort_onesweep_histogram_config_static_selectorELNS0_4arch9wavefront6targetE1EEEvSC_.kd
    .uniform_work_group_size: 1
    .uses_dynamic_stack: false
    .vgpr_count:     0
    .vgpr_spill_count: 0
    .wavefront_size: 64
  - .agpr_count:     0
    .args:
      - .offset:         0
        .size:           48
        .value_kind:     by_value
    .group_segment_fixed_size: 0
    .kernarg_segment_align: 8
    .kernarg_segment_size: 48
    .language:       OpenCL C
    .language_version:
      - 2
      - 0
    .max_flat_workgroup_size: 512
    .name:           _ZN7rocprim17ROCPRIM_400000_NS6detail17trampoline_kernelINS0_14default_configENS1_35radix_sort_onesweep_config_selectorIaNS0_10empty_typeEEEZNS1_34radix_sort_onesweep_global_offsetsIS3_Lb1EPaPS5_mNS0_19identity_decomposerEEE10hipError_tT1_T2_PT3_SE_jT4_jjP12ihipStream_tbEUlT_E_NS1_11comp_targetILNS1_3genE2ELNS1_11target_archE906ELNS1_3gpuE6ELNS1_3repE0EEENS1_52radix_sort_onesweep_histogram_config_static_selectorELNS0_4arch9wavefront6targetE1EEEvSC_
    .private_segment_fixed_size: 0
    .sgpr_count:     4
    .sgpr_spill_count: 0
    .symbol:         _ZN7rocprim17ROCPRIM_400000_NS6detail17trampoline_kernelINS0_14default_configENS1_35radix_sort_onesweep_config_selectorIaNS0_10empty_typeEEEZNS1_34radix_sort_onesweep_global_offsetsIS3_Lb1EPaPS5_mNS0_19identity_decomposerEEE10hipError_tT1_T2_PT3_SE_jT4_jjP12ihipStream_tbEUlT_E_NS1_11comp_targetILNS1_3genE2ELNS1_11target_archE906ELNS1_3gpuE6ELNS1_3repE0EEENS1_52radix_sort_onesweep_histogram_config_static_selectorELNS0_4arch9wavefront6targetE1EEEvSC_.kd
    .uniform_work_group_size: 1
    .uses_dynamic_stack: false
    .vgpr_count:     0
    .vgpr_spill_count: 0
    .wavefront_size: 64
  - .agpr_count:     0
    .args:
      - .offset:         0
        .size:           48
        .value_kind:     by_value
    .group_segment_fixed_size: 512
    .kernarg_segment_align: 8
    .kernarg_segment_size: 48
    .language:       OpenCL C
    .language_version:
      - 2
      - 0
    .max_flat_workgroup_size: 512
    .name:           _ZN7rocprim17ROCPRIM_400000_NS6detail17trampoline_kernelINS0_14default_configENS1_35radix_sort_onesweep_config_selectorIaNS0_10empty_typeEEEZNS1_34radix_sort_onesweep_global_offsetsIS3_Lb1EPaPS5_mNS0_19identity_decomposerEEE10hipError_tT1_T2_PT3_SE_jT4_jjP12ihipStream_tbEUlT_E_NS1_11comp_targetILNS1_3genE4ELNS1_11target_archE910ELNS1_3gpuE8ELNS1_3repE0EEENS1_52radix_sort_onesweep_histogram_config_static_selectorELNS0_4arch9wavefront6targetE1EEEvSC_
    .private_segment_fixed_size: 0
    .sgpr_count:     22
    .sgpr_spill_count: 0
    .symbol:         _ZN7rocprim17ROCPRIM_400000_NS6detail17trampoline_kernelINS0_14default_configENS1_35radix_sort_onesweep_config_selectorIaNS0_10empty_typeEEEZNS1_34radix_sort_onesweep_global_offsetsIS3_Lb1EPaPS5_mNS0_19identity_decomposerEEE10hipError_tT1_T2_PT3_SE_jT4_jjP12ihipStream_tbEUlT_E_NS1_11comp_targetILNS1_3genE4ELNS1_11target_archE910ELNS1_3gpuE8ELNS1_3repE0EEENS1_52radix_sort_onesweep_histogram_config_static_selectorELNS0_4arch9wavefront6targetE1EEEvSC_.kd
    .uniform_work_group_size: 1
    .uses_dynamic_stack: false
    .vgpr_count:     47
    .vgpr_spill_count: 0
    .wavefront_size: 64
  - .agpr_count:     0
    .args:
      - .offset:         0
        .size:           48
        .value_kind:     by_value
    .group_segment_fixed_size: 0
    .kernarg_segment_align: 8
    .kernarg_segment_size: 48
    .language:       OpenCL C
    .language_version:
      - 2
      - 0
    .max_flat_workgroup_size: 1024
    .name:           _ZN7rocprim17ROCPRIM_400000_NS6detail17trampoline_kernelINS0_14default_configENS1_35radix_sort_onesweep_config_selectorIaNS0_10empty_typeEEEZNS1_34radix_sort_onesweep_global_offsetsIS3_Lb1EPaPS5_mNS0_19identity_decomposerEEE10hipError_tT1_T2_PT3_SE_jT4_jjP12ihipStream_tbEUlT_E_NS1_11comp_targetILNS1_3genE3ELNS1_11target_archE908ELNS1_3gpuE7ELNS1_3repE0EEENS1_52radix_sort_onesweep_histogram_config_static_selectorELNS0_4arch9wavefront6targetE1EEEvSC_
    .private_segment_fixed_size: 0
    .sgpr_count:     4
    .sgpr_spill_count: 0
    .symbol:         _ZN7rocprim17ROCPRIM_400000_NS6detail17trampoline_kernelINS0_14default_configENS1_35radix_sort_onesweep_config_selectorIaNS0_10empty_typeEEEZNS1_34radix_sort_onesweep_global_offsetsIS3_Lb1EPaPS5_mNS0_19identity_decomposerEEE10hipError_tT1_T2_PT3_SE_jT4_jjP12ihipStream_tbEUlT_E_NS1_11comp_targetILNS1_3genE3ELNS1_11target_archE908ELNS1_3gpuE7ELNS1_3repE0EEENS1_52radix_sort_onesweep_histogram_config_static_selectorELNS0_4arch9wavefront6targetE1EEEvSC_.kd
    .uniform_work_group_size: 1
    .uses_dynamic_stack: false
    .vgpr_count:     0
    .vgpr_spill_count: 0
    .wavefront_size: 64
  - .agpr_count:     0
    .args:
      - .offset:         0
        .size:           48
        .value_kind:     by_value
    .group_segment_fixed_size: 0
    .kernarg_segment_align: 8
    .kernarg_segment_size: 48
    .language:       OpenCL C
    .language_version:
      - 2
      - 0
    .max_flat_workgroup_size: 256
    .name:           _ZN7rocprim17ROCPRIM_400000_NS6detail17trampoline_kernelINS0_14default_configENS1_35radix_sort_onesweep_config_selectorIaNS0_10empty_typeEEEZNS1_34radix_sort_onesweep_global_offsetsIS3_Lb1EPaPS5_mNS0_19identity_decomposerEEE10hipError_tT1_T2_PT3_SE_jT4_jjP12ihipStream_tbEUlT_E_NS1_11comp_targetILNS1_3genE10ELNS1_11target_archE1201ELNS1_3gpuE5ELNS1_3repE0EEENS1_52radix_sort_onesweep_histogram_config_static_selectorELNS0_4arch9wavefront6targetE1EEEvSC_
    .private_segment_fixed_size: 0
    .sgpr_count:     4
    .sgpr_spill_count: 0
    .symbol:         _ZN7rocprim17ROCPRIM_400000_NS6detail17trampoline_kernelINS0_14default_configENS1_35radix_sort_onesweep_config_selectorIaNS0_10empty_typeEEEZNS1_34radix_sort_onesweep_global_offsetsIS3_Lb1EPaPS5_mNS0_19identity_decomposerEEE10hipError_tT1_T2_PT3_SE_jT4_jjP12ihipStream_tbEUlT_E_NS1_11comp_targetILNS1_3genE10ELNS1_11target_archE1201ELNS1_3gpuE5ELNS1_3repE0EEENS1_52radix_sort_onesweep_histogram_config_static_selectorELNS0_4arch9wavefront6targetE1EEEvSC_.kd
    .uniform_work_group_size: 1
    .uses_dynamic_stack: false
    .vgpr_count:     0
    .vgpr_spill_count: 0
    .wavefront_size: 64
  - .agpr_count:     0
    .args:
      - .offset:         0
        .size:           48
        .value_kind:     by_value
    .group_segment_fixed_size: 0
    .kernarg_segment_align: 8
    .kernarg_segment_size: 48
    .language:       OpenCL C
    .language_version:
      - 2
      - 0
    .max_flat_workgroup_size: 256
    .name:           _ZN7rocprim17ROCPRIM_400000_NS6detail17trampoline_kernelINS0_14default_configENS1_35radix_sort_onesweep_config_selectorIaNS0_10empty_typeEEEZNS1_34radix_sort_onesweep_global_offsetsIS3_Lb1EPaPS5_mNS0_19identity_decomposerEEE10hipError_tT1_T2_PT3_SE_jT4_jjP12ihipStream_tbEUlT_E_NS1_11comp_targetILNS1_3genE9ELNS1_11target_archE1100ELNS1_3gpuE3ELNS1_3repE0EEENS1_52radix_sort_onesweep_histogram_config_static_selectorELNS0_4arch9wavefront6targetE1EEEvSC_
    .private_segment_fixed_size: 0
    .sgpr_count:     4
    .sgpr_spill_count: 0
    .symbol:         _ZN7rocprim17ROCPRIM_400000_NS6detail17trampoline_kernelINS0_14default_configENS1_35radix_sort_onesweep_config_selectorIaNS0_10empty_typeEEEZNS1_34radix_sort_onesweep_global_offsetsIS3_Lb1EPaPS5_mNS0_19identity_decomposerEEE10hipError_tT1_T2_PT3_SE_jT4_jjP12ihipStream_tbEUlT_E_NS1_11comp_targetILNS1_3genE9ELNS1_11target_archE1100ELNS1_3gpuE3ELNS1_3repE0EEENS1_52radix_sort_onesweep_histogram_config_static_selectorELNS0_4arch9wavefront6targetE1EEEvSC_.kd
    .uniform_work_group_size: 1
    .uses_dynamic_stack: false
    .vgpr_count:     0
    .vgpr_spill_count: 0
    .wavefront_size: 64
  - .agpr_count:     0
    .args:
      - .offset:         0
        .size:           48
        .value_kind:     by_value
    .group_segment_fixed_size: 0
    .kernarg_segment_align: 8
    .kernarg_segment_size: 48
    .language:       OpenCL C
    .language_version:
      - 2
      - 0
    .max_flat_workgroup_size: 256
    .name:           _ZN7rocprim17ROCPRIM_400000_NS6detail17trampoline_kernelINS0_14default_configENS1_35radix_sort_onesweep_config_selectorIaNS0_10empty_typeEEEZNS1_34radix_sort_onesweep_global_offsetsIS3_Lb1EPaPS5_mNS0_19identity_decomposerEEE10hipError_tT1_T2_PT3_SE_jT4_jjP12ihipStream_tbEUlT_E_NS1_11comp_targetILNS1_3genE8ELNS1_11target_archE1030ELNS1_3gpuE2ELNS1_3repE0EEENS1_52radix_sort_onesweep_histogram_config_static_selectorELNS0_4arch9wavefront6targetE1EEEvSC_
    .private_segment_fixed_size: 0
    .sgpr_count:     4
    .sgpr_spill_count: 0
    .symbol:         _ZN7rocprim17ROCPRIM_400000_NS6detail17trampoline_kernelINS0_14default_configENS1_35radix_sort_onesweep_config_selectorIaNS0_10empty_typeEEEZNS1_34radix_sort_onesweep_global_offsetsIS3_Lb1EPaPS5_mNS0_19identity_decomposerEEE10hipError_tT1_T2_PT3_SE_jT4_jjP12ihipStream_tbEUlT_E_NS1_11comp_targetILNS1_3genE8ELNS1_11target_archE1030ELNS1_3gpuE2ELNS1_3repE0EEENS1_52radix_sort_onesweep_histogram_config_static_selectorELNS0_4arch9wavefront6targetE1EEEvSC_.kd
    .uniform_work_group_size: 1
    .uses_dynamic_stack: false
    .vgpr_count:     0
    .vgpr_spill_count: 0
    .wavefront_size: 64
  - .agpr_count:     0
    .args:
      - .address_space:  global
        .offset:         0
        .size:           8
        .value_kind:     global_buffer
    .group_segment_fixed_size: 0
    .kernarg_segment_align: 8
    .kernarg_segment_size: 8
    .language:       OpenCL C
    .language_version:
      - 2
      - 0
    .max_flat_workgroup_size: 1024
    .name:           _ZN7rocprim17ROCPRIM_400000_NS6detail17trampoline_kernelINS0_14default_configENS1_35radix_sort_onesweep_config_selectorIaNS0_10empty_typeEEEZNS1_34radix_sort_onesweep_global_offsetsIS3_Lb1EPaPS5_mNS0_19identity_decomposerEEE10hipError_tT1_T2_PT3_SE_jT4_jjP12ihipStream_tbEUlT_E0_NS1_11comp_targetILNS1_3genE0ELNS1_11target_archE4294967295ELNS1_3gpuE0ELNS1_3repE0EEENS1_52radix_sort_onesweep_histogram_config_static_selectorELNS0_4arch9wavefront6targetE1EEEvSC_
    .private_segment_fixed_size: 0
    .sgpr_count:     4
    .sgpr_spill_count: 0
    .symbol:         _ZN7rocprim17ROCPRIM_400000_NS6detail17trampoline_kernelINS0_14default_configENS1_35radix_sort_onesweep_config_selectorIaNS0_10empty_typeEEEZNS1_34radix_sort_onesweep_global_offsetsIS3_Lb1EPaPS5_mNS0_19identity_decomposerEEE10hipError_tT1_T2_PT3_SE_jT4_jjP12ihipStream_tbEUlT_E0_NS1_11comp_targetILNS1_3genE0ELNS1_11target_archE4294967295ELNS1_3gpuE0ELNS1_3repE0EEENS1_52radix_sort_onesweep_histogram_config_static_selectorELNS0_4arch9wavefront6targetE1EEEvSC_.kd
    .uniform_work_group_size: 1
    .uses_dynamic_stack: false
    .vgpr_count:     0
    .vgpr_spill_count: 0
    .wavefront_size: 64
  - .agpr_count:     0
    .args:
      - .address_space:  global
        .offset:         0
        .size:           8
        .value_kind:     global_buffer
    .group_segment_fixed_size: 0
    .kernarg_segment_align: 8
    .kernarg_segment_size: 8
    .language:       OpenCL C
    .language_version:
      - 2
      - 0
    .max_flat_workgroup_size: 1024
    .name:           _ZN7rocprim17ROCPRIM_400000_NS6detail17trampoline_kernelINS0_14default_configENS1_35radix_sort_onesweep_config_selectorIaNS0_10empty_typeEEEZNS1_34radix_sort_onesweep_global_offsetsIS3_Lb1EPaPS5_mNS0_19identity_decomposerEEE10hipError_tT1_T2_PT3_SE_jT4_jjP12ihipStream_tbEUlT_E0_NS1_11comp_targetILNS1_3genE6ELNS1_11target_archE950ELNS1_3gpuE13ELNS1_3repE0EEENS1_52radix_sort_onesweep_histogram_config_static_selectorELNS0_4arch9wavefront6targetE1EEEvSC_
    .private_segment_fixed_size: 0
    .sgpr_count:     4
    .sgpr_spill_count: 0
    .symbol:         _ZN7rocprim17ROCPRIM_400000_NS6detail17trampoline_kernelINS0_14default_configENS1_35radix_sort_onesweep_config_selectorIaNS0_10empty_typeEEEZNS1_34radix_sort_onesweep_global_offsetsIS3_Lb1EPaPS5_mNS0_19identity_decomposerEEE10hipError_tT1_T2_PT3_SE_jT4_jjP12ihipStream_tbEUlT_E0_NS1_11comp_targetILNS1_3genE6ELNS1_11target_archE950ELNS1_3gpuE13ELNS1_3repE0EEENS1_52radix_sort_onesweep_histogram_config_static_selectorELNS0_4arch9wavefront6targetE1EEEvSC_.kd
    .uniform_work_group_size: 1
    .uses_dynamic_stack: false
    .vgpr_count:     0
    .vgpr_spill_count: 0
    .wavefront_size: 64
  - .agpr_count:     0
    .args:
      - .address_space:  global
        .offset:         0
        .size:           8
        .value_kind:     global_buffer
    .group_segment_fixed_size: 0
    .kernarg_segment_align: 8
    .kernarg_segment_size: 8
    .language:       OpenCL C
    .language_version:
      - 2
      - 0
    .max_flat_workgroup_size: 1024
    .name:           _ZN7rocprim17ROCPRIM_400000_NS6detail17trampoline_kernelINS0_14default_configENS1_35radix_sort_onesweep_config_selectorIaNS0_10empty_typeEEEZNS1_34radix_sort_onesweep_global_offsetsIS3_Lb1EPaPS5_mNS0_19identity_decomposerEEE10hipError_tT1_T2_PT3_SE_jT4_jjP12ihipStream_tbEUlT_E0_NS1_11comp_targetILNS1_3genE5ELNS1_11target_archE942ELNS1_3gpuE9ELNS1_3repE0EEENS1_52radix_sort_onesweep_histogram_config_static_selectorELNS0_4arch9wavefront6targetE1EEEvSC_
    .private_segment_fixed_size: 0
    .sgpr_count:     4
    .sgpr_spill_count: 0
    .symbol:         _ZN7rocprim17ROCPRIM_400000_NS6detail17trampoline_kernelINS0_14default_configENS1_35radix_sort_onesweep_config_selectorIaNS0_10empty_typeEEEZNS1_34radix_sort_onesweep_global_offsetsIS3_Lb1EPaPS5_mNS0_19identity_decomposerEEE10hipError_tT1_T2_PT3_SE_jT4_jjP12ihipStream_tbEUlT_E0_NS1_11comp_targetILNS1_3genE5ELNS1_11target_archE942ELNS1_3gpuE9ELNS1_3repE0EEENS1_52radix_sort_onesweep_histogram_config_static_selectorELNS0_4arch9wavefront6targetE1EEEvSC_.kd
    .uniform_work_group_size: 1
    .uses_dynamic_stack: false
    .vgpr_count:     0
    .vgpr_spill_count: 0
    .wavefront_size: 64
  - .agpr_count:     0
    .args:
      - .address_space:  global
        .offset:         0
        .size:           8
        .value_kind:     global_buffer
    .group_segment_fixed_size: 0
    .kernarg_segment_align: 8
    .kernarg_segment_size: 8
    .language:       OpenCL C
    .language_version:
      - 2
      - 0
    .max_flat_workgroup_size: 512
    .name:           _ZN7rocprim17ROCPRIM_400000_NS6detail17trampoline_kernelINS0_14default_configENS1_35radix_sort_onesweep_config_selectorIaNS0_10empty_typeEEEZNS1_34radix_sort_onesweep_global_offsetsIS3_Lb1EPaPS5_mNS0_19identity_decomposerEEE10hipError_tT1_T2_PT3_SE_jT4_jjP12ihipStream_tbEUlT_E0_NS1_11comp_targetILNS1_3genE2ELNS1_11target_archE906ELNS1_3gpuE6ELNS1_3repE0EEENS1_52radix_sort_onesweep_histogram_config_static_selectorELNS0_4arch9wavefront6targetE1EEEvSC_
    .private_segment_fixed_size: 0
    .sgpr_count:     4
    .sgpr_spill_count: 0
    .symbol:         _ZN7rocprim17ROCPRIM_400000_NS6detail17trampoline_kernelINS0_14default_configENS1_35radix_sort_onesweep_config_selectorIaNS0_10empty_typeEEEZNS1_34radix_sort_onesweep_global_offsetsIS3_Lb1EPaPS5_mNS0_19identity_decomposerEEE10hipError_tT1_T2_PT3_SE_jT4_jjP12ihipStream_tbEUlT_E0_NS1_11comp_targetILNS1_3genE2ELNS1_11target_archE906ELNS1_3gpuE6ELNS1_3repE0EEENS1_52radix_sort_onesweep_histogram_config_static_selectorELNS0_4arch9wavefront6targetE1EEEvSC_.kd
    .uniform_work_group_size: 1
    .uses_dynamic_stack: false
    .vgpr_count:     0
    .vgpr_spill_count: 0
    .wavefront_size: 64
  - .agpr_count:     0
    .args:
      - .address_space:  global
        .offset:         0
        .size:           8
        .value_kind:     global_buffer
    .group_segment_fixed_size: 64
    .kernarg_segment_align: 8
    .kernarg_segment_size: 8
    .language:       OpenCL C
    .language_version:
      - 2
      - 0
    .max_flat_workgroup_size: 512
    .name:           _ZN7rocprim17ROCPRIM_400000_NS6detail17trampoline_kernelINS0_14default_configENS1_35radix_sort_onesweep_config_selectorIaNS0_10empty_typeEEEZNS1_34radix_sort_onesweep_global_offsetsIS3_Lb1EPaPS5_mNS0_19identity_decomposerEEE10hipError_tT1_T2_PT3_SE_jT4_jjP12ihipStream_tbEUlT_E0_NS1_11comp_targetILNS1_3genE4ELNS1_11target_archE910ELNS1_3gpuE8ELNS1_3repE0EEENS1_52radix_sort_onesweep_histogram_config_static_selectorELNS0_4arch9wavefront6targetE1EEEvSC_
    .private_segment_fixed_size: 0
    .sgpr_count:     16
    .sgpr_spill_count: 0
    .symbol:         _ZN7rocprim17ROCPRIM_400000_NS6detail17trampoline_kernelINS0_14default_configENS1_35radix_sort_onesweep_config_selectorIaNS0_10empty_typeEEEZNS1_34radix_sort_onesweep_global_offsetsIS3_Lb1EPaPS5_mNS0_19identity_decomposerEEE10hipError_tT1_T2_PT3_SE_jT4_jjP12ihipStream_tbEUlT_E0_NS1_11comp_targetILNS1_3genE4ELNS1_11target_archE910ELNS1_3gpuE8ELNS1_3repE0EEENS1_52radix_sort_onesweep_histogram_config_static_selectorELNS0_4arch9wavefront6targetE1EEEvSC_.kd
    .uniform_work_group_size: 1
    .uses_dynamic_stack: false
    .vgpr_count:     16
    .vgpr_spill_count: 0
    .wavefront_size: 64
  - .agpr_count:     0
    .args:
      - .address_space:  global
        .offset:         0
        .size:           8
        .value_kind:     global_buffer
    .group_segment_fixed_size: 0
    .kernarg_segment_align: 8
    .kernarg_segment_size: 8
    .language:       OpenCL C
    .language_version:
      - 2
      - 0
    .max_flat_workgroup_size: 1024
    .name:           _ZN7rocprim17ROCPRIM_400000_NS6detail17trampoline_kernelINS0_14default_configENS1_35radix_sort_onesweep_config_selectorIaNS0_10empty_typeEEEZNS1_34radix_sort_onesweep_global_offsetsIS3_Lb1EPaPS5_mNS0_19identity_decomposerEEE10hipError_tT1_T2_PT3_SE_jT4_jjP12ihipStream_tbEUlT_E0_NS1_11comp_targetILNS1_3genE3ELNS1_11target_archE908ELNS1_3gpuE7ELNS1_3repE0EEENS1_52radix_sort_onesweep_histogram_config_static_selectorELNS0_4arch9wavefront6targetE1EEEvSC_
    .private_segment_fixed_size: 0
    .sgpr_count:     4
    .sgpr_spill_count: 0
    .symbol:         _ZN7rocprim17ROCPRIM_400000_NS6detail17trampoline_kernelINS0_14default_configENS1_35radix_sort_onesweep_config_selectorIaNS0_10empty_typeEEEZNS1_34radix_sort_onesweep_global_offsetsIS3_Lb1EPaPS5_mNS0_19identity_decomposerEEE10hipError_tT1_T2_PT3_SE_jT4_jjP12ihipStream_tbEUlT_E0_NS1_11comp_targetILNS1_3genE3ELNS1_11target_archE908ELNS1_3gpuE7ELNS1_3repE0EEENS1_52radix_sort_onesweep_histogram_config_static_selectorELNS0_4arch9wavefront6targetE1EEEvSC_.kd
    .uniform_work_group_size: 1
    .uses_dynamic_stack: false
    .vgpr_count:     0
    .vgpr_spill_count: 0
    .wavefront_size: 64
  - .agpr_count:     0
    .args:
      - .address_space:  global
        .offset:         0
        .size:           8
        .value_kind:     global_buffer
    .group_segment_fixed_size: 0
    .kernarg_segment_align: 8
    .kernarg_segment_size: 8
    .language:       OpenCL C
    .language_version:
      - 2
      - 0
    .max_flat_workgroup_size: 256
    .name:           _ZN7rocprim17ROCPRIM_400000_NS6detail17trampoline_kernelINS0_14default_configENS1_35radix_sort_onesweep_config_selectorIaNS0_10empty_typeEEEZNS1_34radix_sort_onesweep_global_offsetsIS3_Lb1EPaPS5_mNS0_19identity_decomposerEEE10hipError_tT1_T2_PT3_SE_jT4_jjP12ihipStream_tbEUlT_E0_NS1_11comp_targetILNS1_3genE10ELNS1_11target_archE1201ELNS1_3gpuE5ELNS1_3repE0EEENS1_52radix_sort_onesweep_histogram_config_static_selectorELNS0_4arch9wavefront6targetE1EEEvSC_
    .private_segment_fixed_size: 0
    .sgpr_count:     4
    .sgpr_spill_count: 0
    .symbol:         _ZN7rocprim17ROCPRIM_400000_NS6detail17trampoline_kernelINS0_14default_configENS1_35radix_sort_onesweep_config_selectorIaNS0_10empty_typeEEEZNS1_34radix_sort_onesweep_global_offsetsIS3_Lb1EPaPS5_mNS0_19identity_decomposerEEE10hipError_tT1_T2_PT3_SE_jT4_jjP12ihipStream_tbEUlT_E0_NS1_11comp_targetILNS1_3genE10ELNS1_11target_archE1201ELNS1_3gpuE5ELNS1_3repE0EEENS1_52radix_sort_onesweep_histogram_config_static_selectorELNS0_4arch9wavefront6targetE1EEEvSC_.kd
    .uniform_work_group_size: 1
    .uses_dynamic_stack: false
    .vgpr_count:     0
    .vgpr_spill_count: 0
    .wavefront_size: 64
  - .agpr_count:     0
    .args:
      - .address_space:  global
        .offset:         0
        .size:           8
        .value_kind:     global_buffer
    .group_segment_fixed_size: 0
    .kernarg_segment_align: 8
    .kernarg_segment_size: 8
    .language:       OpenCL C
    .language_version:
      - 2
      - 0
    .max_flat_workgroup_size: 256
    .name:           _ZN7rocprim17ROCPRIM_400000_NS6detail17trampoline_kernelINS0_14default_configENS1_35radix_sort_onesweep_config_selectorIaNS0_10empty_typeEEEZNS1_34radix_sort_onesweep_global_offsetsIS3_Lb1EPaPS5_mNS0_19identity_decomposerEEE10hipError_tT1_T2_PT3_SE_jT4_jjP12ihipStream_tbEUlT_E0_NS1_11comp_targetILNS1_3genE9ELNS1_11target_archE1100ELNS1_3gpuE3ELNS1_3repE0EEENS1_52radix_sort_onesweep_histogram_config_static_selectorELNS0_4arch9wavefront6targetE1EEEvSC_
    .private_segment_fixed_size: 0
    .sgpr_count:     4
    .sgpr_spill_count: 0
    .symbol:         _ZN7rocprim17ROCPRIM_400000_NS6detail17trampoline_kernelINS0_14default_configENS1_35radix_sort_onesweep_config_selectorIaNS0_10empty_typeEEEZNS1_34radix_sort_onesweep_global_offsetsIS3_Lb1EPaPS5_mNS0_19identity_decomposerEEE10hipError_tT1_T2_PT3_SE_jT4_jjP12ihipStream_tbEUlT_E0_NS1_11comp_targetILNS1_3genE9ELNS1_11target_archE1100ELNS1_3gpuE3ELNS1_3repE0EEENS1_52radix_sort_onesweep_histogram_config_static_selectorELNS0_4arch9wavefront6targetE1EEEvSC_.kd
    .uniform_work_group_size: 1
    .uses_dynamic_stack: false
    .vgpr_count:     0
    .vgpr_spill_count: 0
    .wavefront_size: 64
  - .agpr_count:     0
    .args:
      - .address_space:  global
        .offset:         0
        .size:           8
        .value_kind:     global_buffer
    .group_segment_fixed_size: 0
    .kernarg_segment_align: 8
    .kernarg_segment_size: 8
    .language:       OpenCL C
    .language_version:
      - 2
      - 0
    .max_flat_workgroup_size: 256
    .name:           _ZN7rocprim17ROCPRIM_400000_NS6detail17trampoline_kernelINS0_14default_configENS1_35radix_sort_onesweep_config_selectorIaNS0_10empty_typeEEEZNS1_34radix_sort_onesweep_global_offsetsIS3_Lb1EPaPS5_mNS0_19identity_decomposerEEE10hipError_tT1_T2_PT3_SE_jT4_jjP12ihipStream_tbEUlT_E0_NS1_11comp_targetILNS1_3genE8ELNS1_11target_archE1030ELNS1_3gpuE2ELNS1_3repE0EEENS1_52radix_sort_onesweep_histogram_config_static_selectorELNS0_4arch9wavefront6targetE1EEEvSC_
    .private_segment_fixed_size: 0
    .sgpr_count:     4
    .sgpr_spill_count: 0
    .symbol:         _ZN7rocprim17ROCPRIM_400000_NS6detail17trampoline_kernelINS0_14default_configENS1_35radix_sort_onesweep_config_selectorIaNS0_10empty_typeEEEZNS1_34radix_sort_onesweep_global_offsetsIS3_Lb1EPaPS5_mNS0_19identity_decomposerEEE10hipError_tT1_T2_PT3_SE_jT4_jjP12ihipStream_tbEUlT_E0_NS1_11comp_targetILNS1_3genE8ELNS1_11target_archE1030ELNS1_3gpuE2ELNS1_3repE0EEENS1_52radix_sort_onesweep_histogram_config_static_selectorELNS0_4arch9wavefront6targetE1EEEvSC_.kd
    .uniform_work_group_size: 1
    .uses_dynamic_stack: false
    .vgpr_count:     0
    .vgpr_spill_count: 0
    .wavefront_size: 64
  - .agpr_count:     0
    .args:
      - .offset:         0
        .size:           88
        .value_kind:     by_value
    .group_segment_fixed_size: 0
    .kernarg_segment_align: 8
    .kernarg_segment_size: 88
    .language:       OpenCL C
    .language_version:
      - 2
      - 0
    .max_flat_workgroup_size: 1024
    .name:           _ZN7rocprim17ROCPRIM_400000_NS6detail17trampoline_kernelINS0_14default_configENS1_35radix_sort_onesweep_config_selectorIaNS0_10empty_typeEEEZZNS1_29radix_sort_onesweep_iterationIS3_Lb1EPaS8_PS5_S9_mNS0_19identity_decomposerENS1_16block_id_wrapperIjLb1EEEEE10hipError_tT1_PNSt15iterator_traitsISE_E10value_typeET2_T3_PNSF_ISK_E10value_typeET4_T5_PSP_SQ_PNS1_23onesweep_lookback_stateEbbT6_jjT7_P12ihipStream_tbENKUlT_T0_SE_SJ_E_clIS8_S8_S9_S9_EEDaSX_SY_SE_SJ_EUlSX_E_NS1_11comp_targetILNS1_3genE0ELNS1_11target_archE4294967295ELNS1_3gpuE0ELNS1_3repE0EEENS1_47radix_sort_onesweep_sort_config_static_selectorELNS0_4arch9wavefront6targetE1EEEvSE_
    .private_segment_fixed_size: 0
    .sgpr_count:     4
    .sgpr_spill_count: 0
    .symbol:         _ZN7rocprim17ROCPRIM_400000_NS6detail17trampoline_kernelINS0_14default_configENS1_35radix_sort_onesweep_config_selectorIaNS0_10empty_typeEEEZZNS1_29radix_sort_onesweep_iterationIS3_Lb1EPaS8_PS5_S9_mNS0_19identity_decomposerENS1_16block_id_wrapperIjLb1EEEEE10hipError_tT1_PNSt15iterator_traitsISE_E10value_typeET2_T3_PNSF_ISK_E10value_typeET4_T5_PSP_SQ_PNS1_23onesweep_lookback_stateEbbT6_jjT7_P12ihipStream_tbENKUlT_T0_SE_SJ_E_clIS8_S8_S9_S9_EEDaSX_SY_SE_SJ_EUlSX_E_NS1_11comp_targetILNS1_3genE0ELNS1_11target_archE4294967295ELNS1_3gpuE0ELNS1_3repE0EEENS1_47radix_sort_onesweep_sort_config_static_selectorELNS0_4arch9wavefront6targetE1EEEvSE_.kd
    .uniform_work_group_size: 1
    .uses_dynamic_stack: false
    .vgpr_count:     0
    .vgpr_spill_count: 0
    .wavefront_size: 64
  - .agpr_count:     0
    .args:
      - .offset:         0
        .size:           88
        .value_kind:     by_value
    .group_segment_fixed_size: 0
    .kernarg_segment_align: 8
    .kernarg_segment_size: 88
    .language:       OpenCL C
    .language_version:
      - 2
      - 0
    .max_flat_workgroup_size: 1024
    .name:           _ZN7rocprim17ROCPRIM_400000_NS6detail17trampoline_kernelINS0_14default_configENS1_35radix_sort_onesweep_config_selectorIaNS0_10empty_typeEEEZZNS1_29radix_sort_onesweep_iterationIS3_Lb1EPaS8_PS5_S9_mNS0_19identity_decomposerENS1_16block_id_wrapperIjLb1EEEEE10hipError_tT1_PNSt15iterator_traitsISE_E10value_typeET2_T3_PNSF_ISK_E10value_typeET4_T5_PSP_SQ_PNS1_23onesweep_lookback_stateEbbT6_jjT7_P12ihipStream_tbENKUlT_T0_SE_SJ_E_clIS8_S8_S9_S9_EEDaSX_SY_SE_SJ_EUlSX_E_NS1_11comp_targetILNS1_3genE6ELNS1_11target_archE950ELNS1_3gpuE13ELNS1_3repE0EEENS1_47radix_sort_onesweep_sort_config_static_selectorELNS0_4arch9wavefront6targetE1EEEvSE_
    .private_segment_fixed_size: 0
    .sgpr_count:     4
    .sgpr_spill_count: 0
    .symbol:         _ZN7rocprim17ROCPRIM_400000_NS6detail17trampoline_kernelINS0_14default_configENS1_35radix_sort_onesweep_config_selectorIaNS0_10empty_typeEEEZZNS1_29radix_sort_onesweep_iterationIS3_Lb1EPaS8_PS5_S9_mNS0_19identity_decomposerENS1_16block_id_wrapperIjLb1EEEEE10hipError_tT1_PNSt15iterator_traitsISE_E10value_typeET2_T3_PNSF_ISK_E10value_typeET4_T5_PSP_SQ_PNS1_23onesweep_lookback_stateEbbT6_jjT7_P12ihipStream_tbENKUlT_T0_SE_SJ_E_clIS8_S8_S9_S9_EEDaSX_SY_SE_SJ_EUlSX_E_NS1_11comp_targetILNS1_3genE6ELNS1_11target_archE950ELNS1_3gpuE13ELNS1_3repE0EEENS1_47radix_sort_onesweep_sort_config_static_selectorELNS0_4arch9wavefront6targetE1EEEvSE_.kd
    .uniform_work_group_size: 1
    .uses_dynamic_stack: false
    .vgpr_count:     0
    .vgpr_spill_count: 0
    .wavefront_size: 64
  - .agpr_count:     0
    .args:
      - .offset:         0
        .size:           88
        .value_kind:     by_value
    .group_segment_fixed_size: 0
    .kernarg_segment_align: 8
    .kernarg_segment_size: 88
    .language:       OpenCL C
    .language_version:
      - 2
      - 0
    .max_flat_workgroup_size: 1024
    .name:           _ZN7rocprim17ROCPRIM_400000_NS6detail17trampoline_kernelINS0_14default_configENS1_35radix_sort_onesweep_config_selectorIaNS0_10empty_typeEEEZZNS1_29radix_sort_onesweep_iterationIS3_Lb1EPaS8_PS5_S9_mNS0_19identity_decomposerENS1_16block_id_wrapperIjLb1EEEEE10hipError_tT1_PNSt15iterator_traitsISE_E10value_typeET2_T3_PNSF_ISK_E10value_typeET4_T5_PSP_SQ_PNS1_23onesweep_lookback_stateEbbT6_jjT7_P12ihipStream_tbENKUlT_T0_SE_SJ_E_clIS8_S8_S9_S9_EEDaSX_SY_SE_SJ_EUlSX_E_NS1_11comp_targetILNS1_3genE5ELNS1_11target_archE942ELNS1_3gpuE9ELNS1_3repE0EEENS1_47radix_sort_onesweep_sort_config_static_selectorELNS0_4arch9wavefront6targetE1EEEvSE_
    .private_segment_fixed_size: 0
    .sgpr_count:     4
    .sgpr_spill_count: 0
    .symbol:         _ZN7rocprim17ROCPRIM_400000_NS6detail17trampoline_kernelINS0_14default_configENS1_35radix_sort_onesweep_config_selectorIaNS0_10empty_typeEEEZZNS1_29radix_sort_onesweep_iterationIS3_Lb1EPaS8_PS5_S9_mNS0_19identity_decomposerENS1_16block_id_wrapperIjLb1EEEEE10hipError_tT1_PNSt15iterator_traitsISE_E10value_typeET2_T3_PNSF_ISK_E10value_typeET4_T5_PSP_SQ_PNS1_23onesweep_lookback_stateEbbT6_jjT7_P12ihipStream_tbENKUlT_T0_SE_SJ_E_clIS8_S8_S9_S9_EEDaSX_SY_SE_SJ_EUlSX_E_NS1_11comp_targetILNS1_3genE5ELNS1_11target_archE942ELNS1_3gpuE9ELNS1_3repE0EEENS1_47radix_sort_onesweep_sort_config_static_selectorELNS0_4arch9wavefront6targetE1EEEvSE_.kd
    .uniform_work_group_size: 1
    .uses_dynamic_stack: false
    .vgpr_count:     0
    .vgpr_spill_count: 0
    .wavefront_size: 64
  - .agpr_count:     0
    .args:
      - .offset:         0
        .size:           88
        .value_kind:     by_value
    .group_segment_fixed_size: 0
    .kernarg_segment_align: 8
    .kernarg_segment_size: 88
    .language:       OpenCL C
    .language_version:
      - 2
      - 0
    .max_flat_workgroup_size: 512
    .name:           _ZN7rocprim17ROCPRIM_400000_NS6detail17trampoline_kernelINS0_14default_configENS1_35radix_sort_onesweep_config_selectorIaNS0_10empty_typeEEEZZNS1_29radix_sort_onesweep_iterationIS3_Lb1EPaS8_PS5_S9_mNS0_19identity_decomposerENS1_16block_id_wrapperIjLb1EEEEE10hipError_tT1_PNSt15iterator_traitsISE_E10value_typeET2_T3_PNSF_ISK_E10value_typeET4_T5_PSP_SQ_PNS1_23onesweep_lookback_stateEbbT6_jjT7_P12ihipStream_tbENKUlT_T0_SE_SJ_E_clIS8_S8_S9_S9_EEDaSX_SY_SE_SJ_EUlSX_E_NS1_11comp_targetILNS1_3genE2ELNS1_11target_archE906ELNS1_3gpuE6ELNS1_3repE0EEENS1_47radix_sort_onesweep_sort_config_static_selectorELNS0_4arch9wavefront6targetE1EEEvSE_
    .private_segment_fixed_size: 0
    .sgpr_count:     4
    .sgpr_spill_count: 0
    .symbol:         _ZN7rocprim17ROCPRIM_400000_NS6detail17trampoline_kernelINS0_14default_configENS1_35radix_sort_onesweep_config_selectorIaNS0_10empty_typeEEEZZNS1_29radix_sort_onesweep_iterationIS3_Lb1EPaS8_PS5_S9_mNS0_19identity_decomposerENS1_16block_id_wrapperIjLb1EEEEE10hipError_tT1_PNSt15iterator_traitsISE_E10value_typeET2_T3_PNSF_ISK_E10value_typeET4_T5_PSP_SQ_PNS1_23onesweep_lookback_stateEbbT6_jjT7_P12ihipStream_tbENKUlT_T0_SE_SJ_E_clIS8_S8_S9_S9_EEDaSX_SY_SE_SJ_EUlSX_E_NS1_11comp_targetILNS1_3genE2ELNS1_11target_archE906ELNS1_3gpuE6ELNS1_3repE0EEENS1_47radix_sort_onesweep_sort_config_static_selectorELNS0_4arch9wavefront6targetE1EEEvSE_.kd
    .uniform_work_group_size: 1
    .uses_dynamic_stack: false
    .vgpr_count:     0
    .vgpr_spill_count: 0
    .wavefront_size: 64
  - .agpr_count:     0
    .args:
      - .offset:         0
        .size:           88
        .value_kind:     by_value
      - .offset:         88
        .size:           4
        .value_kind:     hidden_block_count_x
      - .offset:         92
        .size:           4
        .value_kind:     hidden_block_count_y
      - .offset:         96
        .size:           4
        .value_kind:     hidden_block_count_z
      - .offset:         100
        .size:           2
        .value_kind:     hidden_group_size_x
      - .offset:         102
        .size:           2
        .value_kind:     hidden_group_size_y
      - .offset:         104
        .size:           2
        .value_kind:     hidden_group_size_z
      - .offset:         106
        .size:           2
        .value_kind:     hidden_remainder_x
      - .offset:         108
        .size:           2
        .value_kind:     hidden_remainder_y
      - .offset:         110
        .size:           2
        .value_kind:     hidden_remainder_z
      - .offset:         128
        .size:           8
        .value_kind:     hidden_global_offset_x
      - .offset:         136
        .size:           8
        .value_kind:     hidden_global_offset_y
      - .offset:         144
        .size:           8
        .value_kind:     hidden_global_offset_z
      - .offset:         152
        .size:           2
        .value_kind:     hidden_grid_dims
    .group_segment_fixed_size: 16424
    .kernarg_segment_align: 8
    .kernarg_segment_size: 344
    .language:       OpenCL C
    .language_version:
      - 2
      - 0
    .max_flat_workgroup_size: 512
    .name:           _ZN7rocprim17ROCPRIM_400000_NS6detail17trampoline_kernelINS0_14default_configENS1_35radix_sort_onesweep_config_selectorIaNS0_10empty_typeEEEZZNS1_29radix_sort_onesweep_iterationIS3_Lb1EPaS8_PS5_S9_mNS0_19identity_decomposerENS1_16block_id_wrapperIjLb1EEEEE10hipError_tT1_PNSt15iterator_traitsISE_E10value_typeET2_T3_PNSF_ISK_E10value_typeET4_T5_PSP_SQ_PNS1_23onesweep_lookback_stateEbbT6_jjT7_P12ihipStream_tbENKUlT_T0_SE_SJ_E_clIS8_S8_S9_S9_EEDaSX_SY_SE_SJ_EUlSX_E_NS1_11comp_targetILNS1_3genE4ELNS1_11target_archE910ELNS1_3gpuE8ELNS1_3repE0EEENS1_47radix_sort_onesweep_sort_config_static_selectorELNS0_4arch9wavefront6targetE1EEEvSE_
    .private_segment_fixed_size: 0
    .sgpr_count:     34
    .sgpr_spill_count: 0
    .symbol:         _ZN7rocprim17ROCPRIM_400000_NS6detail17trampoline_kernelINS0_14default_configENS1_35radix_sort_onesweep_config_selectorIaNS0_10empty_typeEEEZZNS1_29radix_sort_onesweep_iterationIS3_Lb1EPaS8_PS5_S9_mNS0_19identity_decomposerENS1_16block_id_wrapperIjLb1EEEEE10hipError_tT1_PNSt15iterator_traitsISE_E10value_typeET2_T3_PNSF_ISK_E10value_typeET4_T5_PSP_SQ_PNS1_23onesweep_lookback_stateEbbT6_jjT7_P12ihipStream_tbENKUlT_T0_SE_SJ_E_clIS8_S8_S9_S9_EEDaSX_SY_SE_SJ_EUlSX_E_NS1_11comp_targetILNS1_3genE4ELNS1_11target_archE910ELNS1_3gpuE8ELNS1_3repE0EEENS1_47radix_sort_onesweep_sort_config_static_selectorELNS0_4arch9wavefront6targetE1EEEvSE_.kd
    .uniform_work_group_size: 1
    .uses_dynamic_stack: false
    .vgpr_count:     79
    .vgpr_spill_count: 0
    .wavefront_size: 64
  - .agpr_count:     0
    .args:
      - .offset:         0
        .size:           88
        .value_kind:     by_value
    .group_segment_fixed_size: 0
    .kernarg_segment_align: 8
    .kernarg_segment_size: 88
    .language:       OpenCL C
    .language_version:
      - 2
      - 0
    .max_flat_workgroup_size: 1024
    .name:           _ZN7rocprim17ROCPRIM_400000_NS6detail17trampoline_kernelINS0_14default_configENS1_35radix_sort_onesweep_config_selectorIaNS0_10empty_typeEEEZZNS1_29radix_sort_onesweep_iterationIS3_Lb1EPaS8_PS5_S9_mNS0_19identity_decomposerENS1_16block_id_wrapperIjLb1EEEEE10hipError_tT1_PNSt15iterator_traitsISE_E10value_typeET2_T3_PNSF_ISK_E10value_typeET4_T5_PSP_SQ_PNS1_23onesweep_lookback_stateEbbT6_jjT7_P12ihipStream_tbENKUlT_T0_SE_SJ_E_clIS8_S8_S9_S9_EEDaSX_SY_SE_SJ_EUlSX_E_NS1_11comp_targetILNS1_3genE3ELNS1_11target_archE908ELNS1_3gpuE7ELNS1_3repE0EEENS1_47radix_sort_onesweep_sort_config_static_selectorELNS0_4arch9wavefront6targetE1EEEvSE_
    .private_segment_fixed_size: 0
    .sgpr_count:     4
    .sgpr_spill_count: 0
    .symbol:         _ZN7rocprim17ROCPRIM_400000_NS6detail17trampoline_kernelINS0_14default_configENS1_35radix_sort_onesweep_config_selectorIaNS0_10empty_typeEEEZZNS1_29radix_sort_onesweep_iterationIS3_Lb1EPaS8_PS5_S9_mNS0_19identity_decomposerENS1_16block_id_wrapperIjLb1EEEEE10hipError_tT1_PNSt15iterator_traitsISE_E10value_typeET2_T3_PNSF_ISK_E10value_typeET4_T5_PSP_SQ_PNS1_23onesweep_lookback_stateEbbT6_jjT7_P12ihipStream_tbENKUlT_T0_SE_SJ_E_clIS8_S8_S9_S9_EEDaSX_SY_SE_SJ_EUlSX_E_NS1_11comp_targetILNS1_3genE3ELNS1_11target_archE908ELNS1_3gpuE7ELNS1_3repE0EEENS1_47radix_sort_onesweep_sort_config_static_selectorELNS0_4arch9wavefront6targetE1EEEvSE_.kd
    .uniform_work_group_size: 1
    .uses_dynamic_stack: false
    .vgpr_count:     0
    .vgpr_spill_count: 0
    .wavefront_size: 64
  - .agpr_count:     0
    .args:
      - .offset:         0
        .size:           88
        .value_kind:     by_value
    .group_segment_fixed_size: 0
    .kernarg_segment_align: 8
    .kernarg_segment_size: 88
    .language:       OpenCL C
    .language_version:
      - 2
      - 0
    .max_flat_workgroup_size: 256
    .name:           _ZN7rocprim17ROCPRIM_400000_NS6detail17trampoline_kernelINS0_14default_configENS1_35radix_sort_onesweep_config_selectorIaNS0_10empty_typeEEEZZNS1_29radix_sort_onesweep_iterationIS3_Lb1EPaS8_PS5_S9_mNS0_19identity_decomposerENS1_16block_id_wrapperIjLb1EEEEE10hipError_tT1_PNSt15iterator_traitsISE_E10value_typeET2_T3_PNSF_ISK_E10value_typeET4_T5_PSP_SQ_PNS1_23onesweep_lookback_stateEbbT6_jjT7_P12ihipStream_tbENKUlT_T0_SE_SJ_E_clIS8_S8_S9_S9_EEDaSX_SY_SE_SJ_EUlSX_E_NS1_11comp_targetILNS1_3genE10ELNS1_11target_archE1201ELNS1_3gpuE5ELNS1_3repE0EEENS1_47radix_sort_onesweep_sort_config_static_selectorELNS0_4arch9wavefront6targetE1EEEvSE_
    .private_segment_fixed_size: 0
    .sgpr_count:     4
    .sgpr_spill_count: 0
    .symbol:         _ZN7rocprim17ROCPRIM_400000_NS6detail17trampoline_kernelINS0_14default_configENS1_35radix_sort_onesweep_config_selectorIaNS0_10empty_typeEEEZZNS1_29radix_sort_onesweep_iterationIS3_Lb1EPaS8_PS5_S9_mNS0_19identity_decomposerENS1_16block_id_wrapperIjLb1EEEEE10hipError_tT1_PNSt15iterator_traitsISE_E10value_typeET2_T3_PNSF_ISK_E10value_typeET4_T5_PSP_SQ_PNS1_23onesweep_lookback_stateEbbT6_jjT7_P12ihipStream_tbENKUlT_T0_SE_SJ_E_clIS8_S8_S9_S9_EEDaSX_SY_SE_SJ_EUlSX_E_NS1_11comp_targetILNS1_3genE10ELNS1_11target_archE1201ELNS1_3gpuE5ELNS1_3repE0EEENS1_47radix_sort_onesweep_sort_config_static_selectorELNS0_4arch9wavefront6targetE1EEEvSE_.kd
    .uniform_work_group_size: 1
    .uses_dynamic_stack: false
    .vgpr_count:     0
    .vgpr_spill_count: 0
    .wavefront_size: 64
  - .agpr_count:     0
    .args:
      - .offset:         0
        .size:           88
        .value_kind:     by_value
    .group_segment_fixed_size: 0
    .kernarg_segment_align: 8
    .kernarg_segment_size: 88
    .language:       OpenCL C
    .language_version:
      - 2
      - 0
    .max_flat_workgroup_size: 256
    .name:           _ZN7rocprim17ROCPRIM_400000_NS6detail17trampoline_kernelINS0_14default_configENS1_35radix_sort_onesweep_config_selectorIaNS0_10empty_typeEEEZZNS1_29radix_sort_onesweep_iterationIS3_Lb1EPaS8_PS5_S9_mNS0_19identity_decomposerENS1_16block_id_wrapperIjLb1EEEEE10hipError_tT1_PNSt15iterator_traitsISE_E10value_typeET2_T3_PNSF_ISK_E10value_typeET4_T5_PSP_SQ_PNS1_23onesweep_lookback_stateEbbT6_jjT7_P12ihipStream_tbENKUlT_T0_SE_SJ_E_clIS8_S8_S9_S9_EEDaSX_SY_SE_SJ_EUlSX_E_NS1_11comp_targetILNS1_3genE9ELNS1_11target_archE1100ELNS1_3gpuE3ELNS1_3repE0EEENS1_47radix_sort_onesweep_sort_config_static_selectorELNS0_4arch9wavefront6targetE1EEEvSE_
    .private_segment_fixed_size: 0
    .sgpr_count:     4
    .sgpr_spill_count: 0
    .symbol:         _ZN7rocprim17ROCPRIM_400000_NS6detail17trampoline_kernelINS0_14default_configENS1_35radix_sort_onesweep_config_selectorIaNS0_10empty_typeEEEZZNS1_29radix_sort_onesweep_iterationIS3_Lb1EPaS8_PS5_S9_mNS0_19identity_decomposerENS1_16block_id_wrapperIjLb1EEEEE10hipError_tT1_PNSt15iterator_traitsISE_E10value_typeET2_T3_PNSF_ISK_E10value_typeET4_T5_PSP_SQ_PNS1_23onesweep_lookback_stateEbbT6_jjT7_P12ihipStream_tbENKUlT_T0_SE_SJ_E_clIS8_S8_S9_S9_EEDaSX_SY_SE_SJ_EUlSX_E_NS1_11comp_targetILNS1_3genE9ELNS1_11target_archE1100ELNS1_3gpuE3ELNS1_3repE0EEENS1_47radix_sort_onesweep_sort_config_static_selectorELNS0_4arch9wavefront6targetE1EEEvSE_.kd
    .uniform_work_group_size: 1
    .uses_dynamic_stack: false
    .vgpr_count:     0
    .vgpr_spill_count: 0
    .wavefront_size: 64
  - .agpr_count:     0
    .args:
      - .offset:         0
        .size:           88
        .value_kind:     by_value
    .group_segment_fixed_size: 0
    .kernarg_segment_align: 8
    .kernarg_segment_size: 88
    .language:       OpenCL C
    .language_version:
      - 2
      - 0
    .max_flat_workgroup_size: 256
    .name:           _ZN7rocprim17ROCPRIM_400000_NS6detail17trampoline_kernelINS0_14default_configENS1_35radix_sort_onesweep_config_selectorIaNS0_10empty_typeEEEZZNS1_29radix_sort_onesweep_iterationIS3_Lb1EPaS8_PS5_S9_mNS0_19identity_decomposerENS1_16block_id_wrapperIjLb1EEEEE10hipError_tT1_PNSt15iterator_traitsISE_E10value_typeET2_T3_PNSF_ISK_E10value_typeET4_T5_PSP_SQ_PNS1_23onesweep_lookback_stateEbbT6_jjT7_P12ihipStream_tbENKUlT_T0_SE_SJ_E_clIS8_S8_S9_S9_EEDaSX_SY_SE_SJ_EUlSX_E_NS1_11comp_targetILNS1_3genE8ELNS1_11target_archE1030ELNS1_3gpuE2ELNS1_3repE0EEENS1_47radix_sort_onesweep_sort_config_static_selectorELNS0_4arch9wavefront6targetE1EEEvSE_
    .private_segment_fixed_size: 0
    .sgpr_count:     4
    .sgpr_spill_count: 0
    .symbol:         _ZN7rocprim17ROCPRIM_400000_NS6detail17trampoline_kernelINS0_14default_configENS1_35radix_sort_onesweep_config_selectorIaNS0_10empty_typeEEEZZNS1_29radix_sort_onesweep_iterationIS3_Lb1EPaS8_PS5_S9_mNS0_19identity_decomposerENS1_16block_id_wrapperIjLb1EEEEE10hipError_tT1_PNSt15iterator_traitsISE_E10value_typeET2_T3_PNSF_ISK_E10value_typeET4_T5_PSP_SQ_PNS1_23onesweep_lookback_stateEbbT6_jjT7_P12ihipStream_tbENKUlT_T0_SE_SJ_E_clIS8_S8_S9_S9_EEDaSX_SY_SE_SJ_EUlSX_E_NS1_11comp_targetILNS1_3genE8ELNS1_11target_archE1030ELNS1_3gpuE2ELNS1_3repE0EEENS1_47radix_sort_onesweep_sort_config_static_selectorELNS0_4arch9wavefront6targetE1EEEvSE_.kd
    .uniform_work_group_size: 1
    .uses_dynamic_stack: false
    .vgpr_count:     0
    .vgpr_spill_count: 0
    .wavefront_size: 64
  - .agpr_count:     0
    .args:
      - .offset:         0
        .size:           88
        .value_kind:     by_value
    .group_segment_fixed_size: 0
    .kernarg_segment_align: 8
    .kernarg_segment_size: 88
    .language:       OpenCL C
    .language_version:
      - 2
      - 0
    .max_flat_workgroup_size: 1024
    .name:           _ZN7rocprim17ROCPRIM_400000_NS6detail17trampoline_kernelINS0_14default_configENS1_35radix_sort_onesweep_config_selectorIaNS0_10empty_typeEEEZZNS1_29radix_sort_onesweep_iterationIS3_Lb1EPaS8_PS5_S9_mNS0_19identity_decomposerENS1_16block_id_wrapperIjLb0EEEEE10hipError_tT1_PNSt15iterator_traitsISE_E10value_typeET2_T3_PNSF_ISK_E10value_typeET4_T5_PSP_SQ_PNS1_23onesweep_lookback_stateEbbT6_jjT7_P12ihipStream_tbENKUlT_T0_SE_SJ_E_clIS8_S8_S9_S9_EEDaSX_SY_SE_SJ_EUlSX_E_NS1_11comp_targetILNS1_3genE0ELNS1_11target_archE4294967295ELNS1_3gpuE0ELNS1_3repE0EEENS1_47radix_sort_onesweep_sort_config_static_selectorELNS0_4arch9wavefront6targetE1EEEvSE_
    .private_segment_fixed_size: 0
    .sgpr_count:     4
    .sgpr_spill_count: 0
    .symbol:         _ZN7rocprim17ROCPRIM_400000_NS6detail17trampoline_kernelINS0_14default_configENS1_35radix_sort_onesweep_config_selectorIaNS0_10empty_typeEEEZZNS1_29radix_sort_onesweep_iterationIS3_Lb1EPaS8_PS5_S9_mNS0_19identity_decomposerENS1_16block_id_wrapperIjLb0EEEEE10hipError_tT1_PNSt15iterator_traitsISE_E10value_typeET2_T3_PNSF_ISK_E10value_typeET4_T5_PSP_SQ_PNS1_23onesweep_lookback_stateEbbT6_jjT7_P12ihipStream_tbENKUlT_T0_SE_SJ_E_clIS8_S8_S9_S9_EEDaSX_SY_SE_SJ_EUlSX_E_NS1_11comp_targetILNS1_3genE0ELNS1_11target_archE4294967295ELNS1_3gpuE0ELNS1_3repE0EEENS1_47radix_sort_onesweep_sort_config_static_selectorELNS0_4arch9wavefront6targetE1EEEvSE_.kd
    .uniform_work_group_size: 1
    .uses_dynamic_stack: false
    .vgpr_count:     0
    .vgpr_spill_count: 0
    .wavefront_size: 64
  - .agpr_count:     0
    .args:
      - .offset:         0
        .size:           88
        .value_kind:     by_value
    .group_segment_fixed_size: 0
    .kernarg_segment_align: 8
    .kernarg_segment_size: 88
    .language:       OpenCL C
    .language_version:
      - 2
      - 0
    .max_flat_workgroup_size: 1024
    .name:           _ZN7rocprim17ROCPRIM_400000_NS6detail17trampoline_kernelINS0_14default_configENS1_35radix_sort_onesweep_config_selectorIaNS0_10empty_typeEEEZZNS1_29radix_sort_onesweep_iterationIS3_Lb1EPaS8_PS5_S9_mNS0_19identity_decomposerENS1_16block_id_wrapperIjLb0EEEEE10hipError_tT1_PNSt15iterator_traitsISE_E10value_typeET2_T3_PNSF_ISK_E10value_typeET4_T5_PSP_SQ_PNS1_23onesweep_lookback_stateEbbT6_jjT7_P12ihipStream_tbENKUlT_T0_SE_SJ_E_clIS8_S8_S9_S9_EEDaSX_SY_SE_SJ_EUlSX_E_NS1_11comp_targetILNS1_3genE6ELNS1_11target_archE950ELNS1_3gpuE13ELNS1_3repE0EEENS1_47radix_sort_onesweep_sort_config_static_selectorELNS0_4arch9wavefront6targetE1EEEvSE_
    .private_segment_fixed_size: 0
    .sgpr_count:     4
    .sgpr_spill_count: 0
    .symbol:         _ZN7rocprim17ROCPRIM_400000_NS6detail17trampoline_kernelINS0_14default_configENS1_35radix_sort_onesweep_config_selectorIaNS0_10empty_typeEEEZZNS1_29radix_sort_onesweep_iterationIS3_Lb1EPaS8_PS5_S9_mNS0_19identity_decomposerENS1_16block_id_wrapperIjLb0EEEEE10hipError_tT1_PNSt15iterator_traitsISE_E10value_typeET2_T3_PNSF_ISK_E10value_typeET4_T5_PSP_SQ_PNS1_23onesweep_lookback_stateEbbT6_jjT7_P12ihipStream_tbENKUlT_T0_SE_SJ_E_clIS8_S8_S9_S9_EEDaSX_SY_SE_SJ_EUlSX_E_NS1_11comp_targetILNS1_3genE6ELNS1_11target_archE950ELNS1_3gpuE13ELNS1_3repE0EEENS1_47radix_sort_onesweep_sort_config_static_selectorELNS0_4arch9wavefront6targetE1EEEvSE_.kd
    .uniform_work_group_size: 1
    .uses_dynamic_stack: false
    .vgpr_count:     0
    .vgpr_spill_count: 0
    .wavefront_size: 64
  - .agpr_count:     0
    .args:
      - .offset:         0
        .size:           88
        .value_kind:     by_value
    .group_segment_fixed_size: 0
    .kernarg_segment_align: 8
    .kernarg_segment_size: 88
    .language:       OpenCL C
    .language_version:
      - 2
      - 0
    .max_flat_workgroup_size: 1024
    .name:           _ZN7rocprim17ROCPRIM_400000_NS6detail17trampoline_kernelINS0_14default_configENS1_35radix_sort_onesweep_config_selectorIaNS0_10empty_typeEEEZZNS1_29radix_sort_onesweep_iterationIS3_Lb1EPaS8_PS5_S9_mNS0_19identity_decomposerENS1_16block_id_wrapperIjLb0EEEEE10hipError_tT1_PNSt15iterator_traitsISE_E10value_typeET2_T3_PNSF_ISK_E10value_typeET4_T5_PSP_SQ_PNS1_23onesweep_lookback_stateEbbT6_jjT7_P12ihipStream_tbENKUlT_T0_SE_SJ_E_clIS8_S8_S9_S9_EEDaSX_SY_SE_SJ_EUlSX_E_NS1_11comp_targetILNS1_3genE5ELNS1_11target_archE942ELNS1_3gpuE9ELNS1_3repE0EEENS1_47radix_sort_onesweep_sort_config_static_selectorELNS0_4arch9wavefront6targetE1EEEvSE_
    .private_segment_fixed_size: 0
    .sgpr_count:     4
    .sgpr_spill_count: 0
    .symbol:         _ZN7rocprim17ROCPRIM_400000_NS6detail17trampoline_kernelINS0_14default_configENS1_35radix_sort_onesweep_config_selectorIaNS0_10empty_typeEEEZZNS1_29radix_sort_onesweep_iterationIS3_Lb1EPaS8_PS5_S9_mNS0_19identity_decomposerENS1_16block_id_wrapperIjLb0EEEEE10hipError_tT1_PNSt15iterator_traitsISE_E10value_typeET2_T3_PNSF_ISK_E10value_typeET4_T5_PSP_SQ_PNS1_23onesweep_lookback_stateEbbT6_jjT7_P12ihipStream_tbENKUlT_T0_SE_SJ_E_clIS8_S8_S9_S9_EEDaSX_SY_SE_SJ_EUlSX_E_NS1_11comp_targetILNS1_3genE5ELNS1_11target_archE942ELNS1_3gpuE9ELNS1_3repE0EEENS1_47radix_sort_onesweep_sort_config_static_selectorELNS0_4arch9wavefront6targetE1EEEvSE_.kd
    .uniform_work_group_size: 1
    .uses_dynamic_stack: false
    .vgpr_count:     0
    .vgpr_spill_count: 0
    .wavefront_size: 64
  - .agpr_count:     0
    .args:
      - .offset:         0
        .size:           88
        .value_kind:     by_value
    .group_segment_fixed_size: 0
    .kernarg_segment_align: 8
    .kernarg_segment_size: 88
    .language:       OpenCL C
    .language_version:
      - 2
      - 0
    .max_flat_workgroup_size: 512
    .name:           _ZN7rocprim17ROCPRIM_400000_NS6detail17trampoline_kernelINS0_14default_configENS1_35radix_sort_onesweep_config_selectorIaNS0_10empty_typeEEEZZNS1_29radix_sort_onesweep_iterationIS3_Lb1EPaS8_PS5_S9_mNS0_19identity_decomposerENS1_16block_id_wrapperIjLb0EEEEE10hipError_tT1_PNSt15iterator_traitsISE_E10value_typeET2_T3_PNSF_ISK_E10value_typeET4_T5_PSP_SQ_PNS1_23onesweep_lookback_stateEbbT6_jjT7_P12ihipStream_tbENKUlT_T0_SE_SJ_E_clIS8_S8_S9_S9_EEDaSX_SY_SE_SJ_EUlSX_E_NS1_11comp_targetILNS1_3genE2ELNS1_11target_archE906ELNS1_3gpuE6ELNS1_3repE0EEENS1_47radix_sort_onesweep_sort_config_static_selectorELNS0_4arch9wavefront6targetE1EEEvSE_
    .private_segment_fixed_size: 0
    .sgpr_count:     4
    .sgpr_spill_count: 0
    .symbol:         _ZN7rocprim17ROCPRIM_400000_NS6detail17trampoline_kernelINS0_14default_configENS1_35radix_sort_onesweep_config_selectorIaNS0_10empty_typeEEEZZNS1_29radix_sort_onesweep_iterationIS3_Lb1EPaS8_PS5_S9_mNS0_19identity_decomposerENS1_16block_id_wrapperIjLb0EEEEE10hipError_tT1_PNSt15iterator_traitsISE_E10value_typeET2_T3_PNSF_ISK_E10value_typeET4_T5_PSP_SQ_PNS1_23onesweep_lookback_stateEbbT6_jjT7_P12ihipStream_tbENKUlT_T0_SE_SJ_E_clIS8_S8_S9_S9_EEDaSX_SY_SE_SJ_EUlSX_E_NS1_11comp_targetILNS1_3genE2ELNS1_11target_archE906ELNS1_3gpuE6ELNS1_3repE0EEENS1_47radix_sort_onesweep_sort_config_static_selectorELNS0_4arch9wavefront6targetE1EEEvSE_.kd
    .uniform_work_group_size: 1
    .uses_dynamic_stack: false
    .vgpr_count:     0
    .vgpr_spill_count: 0
    .wavefront_size: 64
  - .agpr_count:     0
    .args:
      - .offset:         0
        .size:           88
        .value_kind:     by_value
      - .offset:         88
        .size:           4
        .value_kind:     hidden_block_count_x
      - .offset:         92
        .size:           4
        .value_kind:     hidden_block_count_y
      - .offset:         96
        .size:           4
        .value_kind:     hidden_block_count_z
      - .offset:         100
        .size:           2
        .value_kind:     hidden_group_size_x
      - .offset:         102
        .size:           2
        .value_kind:     hidden_group_size_y
      - .offset:         104
        .size:           2
        .value_kind:     hidden_group_size_z
      - .offset:         106
        .size:           2
        .value_kind:     hidden_remainder_x
      - .offset:         108
        .size:           2
        .value_kind:     hidden_remainder_y
      - .offset:         110
        .size:           2
        .value_kind:     hidden_remainder_z
      - .offset:         128
        .size:           8
        .value_kind:     hidden_global_offset_x
      - .offset:         136
        .size:           8
        .value_kind:     hidden_global_offset_y
      - .offset:         144
        .size:           8
        .value_kind:     hidden_global_offset_z
      - .offset:         152
        .size:           2
        .value_kind:     hidden_grid_dims
    .group_segment_fixed_size: 16424
    .kernarg_segment_align: 8
    .kernarg_segment_size: 344
    .language:       OpenCL C
    .language_version:
      - 2
      - 0
    .max_flat_workgroup_size: 512
    .name:           _ZN7rocprim17ROCPRIM_400000_NS6detail17trampoline_kernelINS0_14default_configENS1_35radix_sort_onesweep_config_selectorIaNS0_10empty_typeEEEZZNS1_29radix_sort_onesweep_iterationIS3_Lb1EPaS8_PS5_S9_mNS0_19identity_decomposerENS1_16block_id_wrapperIjLb0EEEEE10hipError_tT1_PNSt15iterator_traitsISE_E10value_typeET2_T3_PNSF_ISK_E10value_typeET4_T5_PSP_SQ_PNS1_23onesweep_lookback_stateEbbT6_jjT7_P12ihipStream_tbENKUlT_T0_SE_SJ_E_clIS8_S8_S9_S9_EEDaSX_SY_SE_SJ_EUlSX_E_NS1_11comp_targetILNS1_3genE4ELNS1_11target_archE910ELNS1_3gpuE8ELNS1_3repE0EEENS1_47radix_sort_onesweep_sort_config_static_selectorELNS0_4arch9wavefront6targetE1EEEvSE_
    .private_segment_fixed_size: 0
    .sgpr_count:     34
    .sgpr_spill_count: 0
    .symbol:         _ZN7rocprim17ROCPRIM_400000_NS6detail17trampoline_kernelINS0_14default_configENS1_35radix_sort_onesweep_config_selectorIaNS0_10empty_typeEEEZZNS1_29radix_sort_onesweep_iterationIS3_Lb1EPaS8_PS5_S9_mNS0_19identity_decomposerENS1_16block_id_wrapperIjLb0EEEEE10hipError_tT1_PNSt15iterator_traitsISE_E10value_typeET2_T3_PNSF_ISK_E10value_typeET4_T5_PSP_SQ_PNS1_23onesweep_lookback_stateEbbT6_jjT7_P12ihipStream_tbENKUlT_T0_SE_SJ_E_clIS8_S8_S9_S9_EEDaSX_SY_SE_SJ_EUlSX_E_NS1_11comp_targetILNS1_3genE4ELNS1_11target_archE910ELNS1_3gpuE8ELNS1_3repE0EEENS1_47radix_sort_onesweep_sort_config_static_selectorELNS0_4arch9wavefront6targetE1EEEvSE_.kd
    .uniform_work_group_size: 1
    .uses_dynamic_stack: false
    .vgpr_count:     79
    .vgpr_spill_count: 0
    .wavefront_size: 64
  - .agpr_count:     0
    .args:
      - .offset:         0
        .size:           88
        .value_kind:     by_value
    .group_segment_fixed_size: 0
    .kernarg_segment_align: 8
    .kernarg_segment_size: 88
    .language:       OpenCL C
    .language_version:
      - 2
      - 0
    .max_flat_workgroup_size: 1024
    .name:           _ZN7rocprim17ROCPRIM_400000_NS6detail17trampoline_kernelINS0_14default_configENS1_35radix_sort_onesweep_config_selectorIaNS0_10empty_typeEEEZZNS1_29radix_sort_onesweep_iterationIS3_Lb1EPaS8_PS5_S9_mNS0_19identity_decomposerENS1_16block_id_wrapperIjLb0EEEEE10hipError_tT1_PNSt15iterator_traitsISE_E10value_typeET2_T3_PNSF_ISK_E10value_typeET4_T5_PSP_SQ_PNS1_23onesweep_lookback_stateEbbT6_jjT7_P12ihipStream_tbENKUlT_T0_SE_SJ_E_clIS8_S8_S9_S9_EEDaSX_SY_SE_SJ_EUlSX_E_NS1_11comp_targetILNS1_3genE3ELNS1_11target_archE908ELNS1_3gpuE7ELNS1_3repE0EEENS1_47radix_sort_onesweep_sort_config_static_selectorELNS0_4arch9wavefront6targetE1EEEvSE_
    .private_segment_fixed_size: 0
    .sgpr_count:     4
    .sgpr_spill_count: 0
    .symbol:         _ZN7rocprim17ROCPRIM_400000_NS6detail17trampoline_kernelINS0_14default_configENS1_35radix_sort_onesweep_config_selectorIaNS0_10empty_typeEEEZZNS1_29radix_sort_onesweep_iterationIS3_Lb1EPaS8_PS5_S9_mNS0_19identity_decomposerENS1_16block_id_wrapperIjLb0EEEEE10hipError_tT1_PNSt15iterator_traitsISE_E10value_typeET2_T3_PNSF_ISK_E10value_typeET4_T5_PSP_SQ_PNS1_23onesweep_lookback_stateEbbT6_jjT7_P12ihipStream_tbENKUlT_T0_SE_SJ_E_clIS8_S8_S9_S9_EEDaSX_SY_SE_SJ_EUlSX_E_NS1_11comp_targetILNS1_3genE3ELNS1_11target_archE908ELNS1_3gpuE7ELNS1_3repE0EEENS1_47radix_sort_onesweep_sort_config_static_selectorELNS0_4arch9wavefront6targetE1EEEvSE_.kd
    .uniform_work_group_size: 1
    .uses_dynamic_stack: false
    .vgpr_count:     0
    .vgpr_spill_count: 0
    .wavefront_size: 64
  - .agpr_count:     0
    .args:
      - .offset:         0
        .size:           88
        .value_kind:     by_value
    .group_segment_fixed_size: 0
    .kernarg_segment_align: 8
    .kernarg_segment_size: 88
    .language:       OpenCL C
    .language_version:
      - 2
      - 0
    .max_flat_workgroup_size: 256
    .name:           _ZN7rocprim17ROCPRIM_400000_NS6detail17trampoline_kernelINS0_14default_configENS1_35radix_sort_onesweep_config_selectorIaNS0_10empty_typeEEEZZNS1_29radix_sort_onesweep_iterationIS3_Lb1EPaS8_PS5_S9_mNS0_19identity_decomposerENS1_16block_id_wrapperIjLb0EEEEE10hipError_tT1_PNSt15iterator_traitsISE_E10value_typeET2_T3_PNSF_ISK_E10value_typeET4_T5_PSP_SQ_PNS1_23onesweep_lookback_stateEbbT6_jjT7_P12ihipStream_tbENKUlT_T0_SE_SJ_E_clIS8_S8_S9_S9_EEDaSX_SY_SE_SJ_EUlSX_E_NS1_11comp_targetILNS1_3genE10ELNS1_11target_archE1201ELNS1_3gpuE5ELNS1_3repE0EEENS1_47radix_sort_onesweep_sort_config_static_selectorELNS0_4arch9wavefront6targetE1EEEvSE_
    .private_segment_fixed_size: 0
    .sgpr_count:     4
    .sgpr_spill_count: 0
    .symbol:         _ZN7rocprim17ROCPRIM_400000_NS6detail17trampoline_kernelINS0_14default_configENS1_35radix_sort_onesweep_config_selectorIaNS0_10empty_typeEEEZZNS1_29radix_sort_onesweep_iterationIS3_Lb1EPaS8_PS5_S9_mNS0_19identity_decomposerENS1_16block_id_wrapperIjLb0EEEEE10hipError_tT1_PNSt15iterator_traitsISE_E10value_typeET2_T3_PNSF_ISK_E10value_typeET4_T5_PSP_SQ_PNS1_23onesweep_lookback_stateEbbT6_jjT7_P12ihipStream_tbENKUlT_T0_SE_SJ_E_clIS8_S8_S9_S9_EEDaSX_SY_SE_SJ_EUlSX_E_NS1_11comp_targetILNS1_3genE10ELNS1_11target_archE1201ELNS1_3gpuE5ELNS1_3repE0EEENS1_47radix_sort_onesweep_sort_config_static_selectorELNS0_4arch9wavefront6targetE1EEEvSE_.kd
    .uniform_work_group_size: 1
    .uses_dynamic_stack: false
    .vgpr_count:     0
    .vgpr_spill_count: 0
    .wavefront_size: 64
  - .agpr_count:     0
    .args:
      - .offset:         0
        .size:           88
        .value_kind:     by_value
    .group_segment_fixed_size: 0
    .kernarg_segment_align: 8
    .kernarg_segment_size: 88
    .language:       OpenCL C
    .language_version:
      - 2
      - 0
    .max_flat_workgroup_size: 256
    .name:           _ZN7rocprim17ROCPRIM_400000_NS6detail17trampoline_kernelINS0_14default_configENS1_35radix_sort_onesweep_config_selectorIaNS0_10empty_typeEEEZZNS1_29radix_sort_onesweep_iterationIS3_Lb1EPaS8_PS5_S9_mNS0_19identity_decomposerENS1_16block_id_wrapperIjLb0EEEEE10hipError_tT1_PNSt15iterator_traitsISE_E10value_typeET2_T3_PNSF_ISK_E10value_typeET4_T5_PSP_SQ_PNS1_23onesweep_lookback_stateEbbT6_jjT7_P12ihipStream_tbENKUlT_T0_SE_SJ_E_clIS8_S8_S9_S9_EEDaSX_SY_SE_SJ_EUlSX_E_NS1_11comp_targetILNS1_3genE9ELNS1_11target_archE1100ELNS1_3gpuE3ELNS1_3repE0EEENS1_47radix_sort_onesweep_sort_config_static_selectorELNS0_4arch9wavefront6targetE1EEEvSE_
    .private_segment_fixed_size: 0
    .sgpr_count:     4
    .sgpr_spill_count: 0
    .symbol:         _ZN7rocprim17ROCPRIM_400000_NS6detail17trampoline_kernelINS0_14default_configENS1_35radix_sort_onesweep_config_selectorIaNS0_10empty_typeEEEZZNS1_29radix_sort_onesweep_iterationIS3_Lb1EPaS8_PS5_S9_mNS0_19identity_decomposerENS1_16block_id_wrapperIjLb0EEEEE10hipError_tT1_PNSt15iterator_traitsISE_E10value_typeET2_T3_PNSF_ISK_E10value_typeET4_T5_PSP_SQ_PNS1_23onesweep_lookback_stateEbbT6_jjT7_P12ihipStream_tbENKUlT_T0_SE_SJ_E_clIS8_S8_S9_S9_EEDaSX_SY_SE_SJ_EUlSX_E_NS1_11comp_targetILNS1_3genE9ELNS1_11target_archE1100ELNS1_3gpuE3ELNS1_3repE0EEENS1_47radix_sort_onesweep_sort_config_static_selectorELNS0_4arch9wavefront6targetE1EEEvSE_.kd
    .uniform_work_group_size: 1
    .uses_dynamic_stack: false
    .vgpr_count:     0
    .vgpr_spill_count: 0
    .wavefront_size: 64
  - .agpr_count:     0
    .args:
      - .offset:         0
        .size:           88
        .value_kind:     by_value
    .group_segment_fixed_size: 0
    .kernarg_segment_align: 8
    .kernarg_segment_size: 88
    .language:       OpenCL C
    .language_version:
      - 2
      - 0
    .max_flat_workgroup_size: 256
    .name:           _ZN7rocprim17ROCPRIM_400000_NS6detail17trampoline_kernelINS0_14default_configENS1_35radix_sort_onesweep_config_selectorIaNS0_10empty_typeEEEZZNS1_29radix_sort_onesweep_iterationIS3_Lb1EPaS8_PS5_S9_mNS0_19identity_decomposerENS1_16block_id_wrapperIjLb0EEEEE10hipError_tT1_PNSt15iterator_traitsISE_E10value_typeET2_T3_PNSF_ISK_E10value_typeET4_T5_PSP_SQ_PNS1_23onesweep_lookback_stateEbbT6_jjT7_P12ihipStream_tbENKUlT_T0_SE_SJ_E_clIS8_S8_S9_S9_EEDaSX_SY_SE_SJ_EUlSX_E_NS1_11comp_targetILNS1_3genE8ELNS1_11target_archE1030ELNS1_3gpuE2ELNS1_3repE0EEENS1_47radix_sort_onesweep_sort_config_static_selectorELNS0_4arch9wavefront6targetE1EEEvSE_
    .private_segment_fixed_size: 0
    .sgpr_count:     4
    .sgpr_spill_count: 0
    .symbol:         _ZN7rocprim17ROCPRIM_400000_NS6detail17trampoline_kernelINS0_14default_configENS1_35radix_sort_onesweep_config_selectorIaNS0_10empty_typeEEEZZNS1_29radix_sort_onesweep_iterationIS3_Lb1EPaS8_PS5_S9_mNS0_19identity_decomposerENS1_16block_id_wrapperIjLb0EEEEE10hipError_tT1_PNSt15iterator_traitsISE_E10value_typeET2_T3_PNSF_ISK_E10value_typeET4_T5_PSP_SQ_PNS1_23onesweep_lookback_stateEbbT6_jjT7_P12ihipStream_tbENKUlT_T0_SE_SJ_E_clIS8_S8_S9_S9_EEDaSX_SY_SE_SJ_EUlSX_E_NS1_11comp_targetILNS1_3genE8ELNS1_11target_archE1030ELNS1_3gpuE2ELNS1_3repE0EEENS1_47radix_sort_onesweep_sort_config_static_selectorELNS0_4arch9wavefront6targetE1EEEvSE_.kd
    .uniform_work_group_size: 1
    .uses_dynamic_stack: false
    .vgpr_count:     0
    .vgpr_spill_count: 0
    .wavefront_size: 64
  - .agpr_count:     0
    .args:
      - .offset:         0
        .size:           48
        .value_kind:     by_value
    .group_segment_fixed_size: 0
    .kernarg_segment_align: 8
    .kernarg_segment_size: 48
    .language:       OpenCL C
    .language_version:
      - 2
      - 0
    .max_flat_workgroup_size: 256
    .name:           _ZN7rocprim17ROCPRIM_400000_NS6detail17trampoline_kernelINS0_13kernel_configILj256ELj4ELj4294967295EEENS1_37radix_sort_block_sort_config_selectorIhNS0_10empty_typeEEEZNS1_21radix_sort_block_sortIS4_Lb1EPhS9_PS6_SA_NS0_19identity_decomposerEEE10hipError_tT1_T2_T3_T4_jRjT5_jjP12ihipStream_tbEUlT_E_NS1_11comp_targetILNS1_3genE0ELNS1_11target_archE4294967295ELNS1_3gpuE0ELNS1_3repE0EEENS1_44radix_sort_block_sort_config_static_selectorELNS0_4arch9wavefront6targetE1EEEvSD_
    .private_segment_fixed_size: 0
    .sgpr_count:     4
    .sgpr_spill_count: 0
    .symbol:         _ZN7rocprim17ROCPRIM_400000_NS6detail17trampoline_kernelINS0_13kernel_configILj256ELj4ELj4294967295EEENS1_37radix_sort_block_sort_config_selectorIhNS0_10empty_typeEEEZNS1_21radix_sort_block_sortIS4_Lb1EPhS9_PS6_SA_NS0_19identity_decomposerEEE10hipError_tT1_T2_T3_T4_jRjT5_jjP12ihipStream_tbEUlT_E_NS1_11comp_targetILNS1_3genE0ELNS1_11target_archE4294967295ELNS1_3gpuE0ELNS1_3repE0EEENS1_44radix_sort_block_sort_config_static_selectorELNS0_4arch9wavefront6targetE1EEEvSD_.kd
    .uniform_work_group_size: 1
    .uses_dynamic_stack: false
    .vgpr_count:     0
    .vgpr_spill_count: 0
    .wavefront_size: 64
  - .agpr_count:     0
    .args:
      - .offset:         0
        .size:           48
        .value_kind:     by_value
    .group_segment_fixed_size: 0
    .kernarg_segment_align: 8
    .kernarg_segment_size: 48
    .language:       OpenCL C
    .language_version:
      - 2
      - 0
    .max_flat_workgroup_size: 256
    .name:           _ZN7rocprim17ROCPRIM_400000_NS6detail17trampoline_kernelINS0_13kernel_configILj256ELj4ELj4294967295EEENS1_37radix_sort_block_sort_config_selectorIhNS0_10empty_typeEEEZNS1_21radix_sort_block_sortIS4_Lb1EPhS9_PS6_SA_NS0_19identity_decomposerEEE10hipError_tT1_T2_T3_T4_jRjT5_jjP12ihipStream_tbEUlT_E_NS1_11comp_targetILNS1_3genE5ELNS1_11target_archE942ELNS1_3gpuE9ELNS1_3repE0EEENS1_44radix_sort_block_sort_config_static_selectorELNS0_4arch9wavefront6targetE1EEEvSD_
    .private_segment_fixed_size: 0
    .sgpr_count:     4
    .sgpr_spill_count: 0
    .symbol:         _ZN7rocprim17ROCPRIM_400000_NS6detail17trampoline_kernelINS0_13kernel_configILj256ELj4ELj4294967295EEENS1_37radix_sort_block_sort_config_selectorIhNS0_10empty_typeEEEZNS1_21radix_sort_block_sortIS4_Lb1EPhS9_PS6_SA_NS0_19identity_decomposerEEE10hipError_tT1_T2_T3_T4_jRjT5_jjP12ihipStream_tbEUlT_E_NS1_11comp_targetILNS1_3genE5ELNS1_11target_archE942ELNS1_3gpuE9ELNS1_3repE0EEENS1_44radix_sort_block_sort_config_static_selectorELNS0_4arch9wavefront6targetE1EEEvSD_.kd
    .uniform_work_group_size: 1
    .uses_dynamic_stack: false
    .vgpr_count:     0
    .vgpr_spill_count: 0
    .wavefront_size: 64
  - .agpr_count:     0
    .args:
      - .offset:         0
        .size:           48
        .value_kind:     by_value
      - .offset:         48
        .size:           4
        .value_kind:     hidden_block_count_x
      - .offset:         52
        .size:           4
        .value_kind:     hidden_block_count_y
      - .offset:         56
        .size:           4
        .value_kind:     hidden_block_count_z
      - .offset:         60
        .size:           2
        .value_kind:     hidden_group_size_x
      - .offset:         62
        .size:           2
        .value_kind:     hidden_group_size_y
      - .offset:         64
        .size:           2
        .value_kind:     hidden_group_size_z
      - .offset:         66
        .size:           2
        .value_kind:     hidden_remainder_x
      - .offset:         68
        .size:           2
        .value_kind:     hidden_remainder_y
      - .offset:         70
        .size:           2
        .value_kind:     hidden_remainder_z
      - .offset:         88
        .size:           8
        .value_kind:     hidden_global_offset_x
      - .offset:         96
        .size:           8
        .value_kind:     hidden_global_offset_y
      - .offset:         104
        .size:           8
        .value_kind:     hidden_global_offset_z
      - .offset:         112
        .size:           2
        .value_kind:     hidden_grid_dims
    .group_segment_fixed_size: 4112
    .kernarg_segment_align: 8
    .kernarg_segment_size: 304
    .language:       OpenCL C
    .language_version:
      - 2
      - 0
    .max_flat_workgroup_size: 256
    .name:           _ZN7rocprim17ROCPRIM_400000_NS6detail17trampoline_kernelINS0_13kernel_configILj256ELj4ELj4294967295EEENS1_37radix_sort_block_sort_config_selectorIhNS0_10empty_typeEEEZNS1_21radix_sort_block_sortIS4_Lb1EPhS9_PS6_SA_NS0_19identity_decomposerEEE10hipError_tT1_T2_T3_T4_jRjT5_jjP12ihipStream_tbEUlT_E_NS1_11comp_targetILNS1_3genE4ELNS1_11target_archE910ELNS1_3gpuE8ELNS1_3repE0EEENS1_44radix_sort_block_sort_config_static_selectorELNS0_4arch9wavefront6targetE1EEEvSD_
    .private_segment_fixed_size: 0
    .sgpr_count:     46
    .sgpr_spill_count: 0
    .symbol:         _ZN7rocprim17ROCPRIM_400000_NS6detail17trampoline_kernelINS0_13kernel_configILj256ELj4ELj4294967295EEENS1_37radix_sort_block_sort_config_selectorIhNS0_10empty_typeEEEZNS1_21radix_sort_block_sortIS4_Lb1EPhS9_PS6_SA_NS0_19identity_decomposerEEE10hipError_tT1_T2_T3_T4_jRjT5_jjP12ihipStream_tbEUlT_E_NS1_11comp_targetILNS1_3genE4ELNS1_11target_archE910ELNS1_3gpuE8ELNS1_3repE0EEENS1_44radix_sort_block_sort_config_static_selectorELNS0_4arch9wavefront6targetE1EEEvSD_.kd
    .uniform_work_group_size: 1
    .uses_dynamic_stack: false
    .vgpr_count:     38
    .vgpr_spill_count: 0
    .wavefront_size: 64
  - .agpr_count:     0
    .args:
      - .offset:         0
        .size:           48
        .value_kind:     by_value
    .group_segment_fixed_size: 0
    .kernarg_segment_align: 8
    .kernarg_segment_size: 48
    .language:       OpenCL C
    .language_version:
      - 2
      - 0
    .max_flat_workgroup_size: 256
    .name:           _ZN7rocprim17ROCPRIM_400000_NS6detail17trampoline_kernelINS0_13kernel_configILj256ELj4ELj4294967295EEENS1_37radix_sort_block_sort_config_selectorIhNS0_10empty_typeEEEZNS1_21radix_sort_block_sortIS4_Lb1EPhS9_PS6_SA_NS0_19identity_decomposerEEE10hipError_tT1_T2_T3_T4_jRjT5_jjP12ihipStream_tbEUlT_E_NS1_11comp_targetILNS1_3genE3ELNS1_11target_archE908ELNS1_3gpuE7ELNS1_3repE0EEENS1_44radix_sort_block_sort_config_static_selectorELNS0_4arch9wavefront6targetE1EEEvSD_
    .private_segment_fixed_size: 0
    .sgpr_count:     4
    .sgpr_spill_count: 0
    .symbol:         _ZN7rocprim17ROCPRIM_400000_NS6detail17trampoline_kernelINS0_13kernel_configILj256ELj4ELj4294967295EEENS1_37radix_sort_block_sort_config_selectorIhNS0_10empty_typeEEEZNS1_21radix_sort_block_sortIS4_Lb1EPhS9_PS6_SA_NS0_19identity_decomposerEEE10hipError_tT1_T2_T3_T4_jRjT5_jjP12ihipStream_tbEUlT_E_NS1_11comp_targetILNS1_3genE3ELNS1_11target_archE908ELNS1_3gpuE7ELNS1_3repE0EEENS1_44radix_sort_block_sort_config_static_selectorELNS0_4arch9wavefront6targetE1EEEvSD_.kd
    .uniform_work_group_size: 1
    .uses_dynamic_stack: false
    .vgpr_count:     0
    .vgpr_spill_count: 0
    .wavefront_size: 64
  - .agpr_count:     0
    .args:
      - .offset:         0
        .size:           48
        .value_kind:     by_value
    .group_segment_fixed_size: 0
    .kernarg_segment_align: 8
    .kernarg_segment_size: 48
    .language:       OpenCL C
    .language_version:
      - 2
      - 0
    .max_flat_workgroup_size: 256
    .name:           _ZN7rocprim17ROCPRIM_400000_NS6detail17trampoline_kernelINS0_13kernel_configILj256ELj4ELj4294967295EEENS1_37radix_sort_block_sort_config_selectorIhNS0_10empty_typeEEEZNS1_21radix_sort_block_sortIS4_Lb1EPhS9_PS6_SA_NS0_19identity_decomposerEEE10hipError_tT1_T2_T3_T4_jRjT5_jjP12ihipStream_tbEUlT_E_NS1_11comp_targetILNS1_3genE2ELNS1_11target_archE906ELNS1_3gpuE6ELNS1_3repE0EEENS1_44radix_sort_block_sort_config_static_selectorELNS0_4arch9wavefront6targetE1EEEvSD_
    .private_segment_fixed_size: 0
    .sgpr_count:     4
    .sgpr_spill_count: 0
    .symbol:         _ZN7rocprim17ROCPRIM_400000_NS6detail17trampoline_kernelINS0_13kernel_configILj256ELj4ELj4294967295EEENS1_37radix_sort_block_sort_config_selectorIhNS0_10empty_typeEEEZNS1_21radix_sort_block_sortIS4_Lb1EPhS9_PS6_SA_NS0_19identity_decomposerEEE10hipError_tT1_T2_T3_T4_jRjT5_jjP12ihipStream_tbEUlT_E_NS1_11comp_targetILNS1_3genE2ELNS1_11target_archE906ELNS1_3gpuE6ELNS1_3repE0EEENS1_44radix_sort_block_sort_config_static_selectorELNS0_4arch9wavefront6targetE1EEEvSD_.kd
    .uniform_work_group_size: 1
    .uses_dynamic_stack: false
    .vgpr_count:     0
    .vgpr_spill_count: 0
    .wavefront_size: 64
  - .agpr_count:     0
    .args:
      - .offset:         0
        .size:           48
        .value_kind:     by_value
    .group_segment_fixed_size: 0
    .kernarg_segment_align: 8
    .kernarg_segment_size: 48
    .language:       OpenCL C
    .language_version:
      - 2
      - 0
    .max_flat_workgroup_size: 256
    .name:           _ZN7rocprim17ROCPRIM_400000_NS6detail17trampoline_kernelINS0_13kernel_configILj256ELj4ELj4294967295EEENS1_37radix_sort_block_sort_config_selectorIhNS0_10empty_typeEEEZNS1_21radix_sort_block_sortIS4_Lb1EPhS9_PS6_SA_NS0_19identity_decomposerEEE10hipError_tT1_T2_T3_T4_jRjT5_jjP12ihipStream_tbEUlT_E_NS1_11comp_targetILNS1_3genE10ELNS1_11target_archE1201ELNS1_3gpuE5ELNS1_3repE0EEENS1_44radix_sort_block_sort_config_static_selectorELNS0_4arch9wavefront6targetE1EEEvSD_
    .private_segment_fixed_size: 0
    .sgpr_count:     4
    .sgpr_spill_count: 0
    .symbol:         _ZN7rocprim17ROCPRIM_400000_NS6detail17trampoline_kernelINS0_13kernel_configILj256ELj4ELj4294967295EEENS1_37radix_sort_block_sort_config_selectorIhNS0_10empty_typeEEEZNS1_21radix_sort_block_sortIS4_Lb1EPhS9_PS6_SA_NS0_19identity_decomposerEEE10hipError_tT1_T2_T3_T4_jRjT5_jjP12ihipStream_tbEUlT_E_NS1_11comp_targetILNS1_3genE10ELNS1_11target_archE1201ELNS1_3gpuE5ELNS1_3repE0EEENS1_44radix_sort_block_sort_config_static_selectorELNS0_4arch9wavefront6targetE1EEEvSD_.kd
    .uniform_work_group_size: 1
    .uses_dynamic_stack: false
    .vgpr_count:     0
    .vgpr_spill_count: 0
    .wavefront_size: 64
  - .agpr_count:     0
    .args:
      - .offset:         0
        .size:           48
        .value_kind:     by_value
    .group_segment_fixed_size: 0
    .kernarg_segment_align: 8
    .kernarg_segment_size: 48
    .language:       OpenCL C
    .language_version:
      - 2
      - 0
    .max_flat_workgroup_size: 256
    .name:           _ZN7rocprim17ROCPRIM_400000_NS6detail17trampoline_kernelINS0_13kernel_configILj256ELj4ELj4294967295EEENS1_37radix_sort_block_sort_config_selectorIhNS0_10empty_typeEEEZNS1_21radix_sort_block_sortIS4_Lb1EPhS9_PS6_SA_NS0_19identity_decomposerEEE10hipError_tT1_T2_T3_T4_jRjT5_jjP12ihipStream_tbEUlT_E_NS1_11comp_targetILNS1_3genE10ELNS1_11target_archE1200ELNS1_3gpuE4ELNS1_3repE0EEENS1_44radix_sort_block_sort_config_static_selectorELNS0_4arch9wavefront6targetE1EEEvSD_
    .private_segment_fixed_size: 0
    .sgpr_count:     4
    .sgpr_spill_count: 0
    .symbol:         _ZN7rocprim17ROCPRIM_400000_NS6detail17trampoline_kernelINS0_13kernel_configILj256ELj4ELj4294967295EEENS1_37radix_sort_block_sort_config_selectorIhNS0_10empty_typeEEEZNS1_21radix_sort_block_sortIS4_Lb1EPhS9_PS6_SA_NS0_19identity_decomposerEEE10hipError_tT1_T2_T3_T4_jRjT5_jjP12ihipStream_tbEUlT_E_NS1_11comp_targetILNS1_3genE10ELNS1_11target_archE1200ELNS1_3gpuE4ELNS1_3repE0EEENS1_44radix_sort_block_sort_config_static_selectorELNS0_4arch9wavefront6targetE1EEEvSD_.kd
    .uniform_work_group_size: 1
    .uses_dynamic_stack: false
    .vgpr_count:     0
    .vgpr_spill_count: 0
    .wavefront_size: 64
  - .agpr_count:     0
    .args:
      - .offset:         0
        .size:           48
        .value_kind:     by_value
    .group_segment_fixed_size: 0
    .kernarg_segment_align: 8
    .kernarg_segment_size: 48
    .language:       OpenCL C
    .language_version:
      - 2
      - 0
    .max_flat_workgroup_size: 256
    .name:           _ZN7rocprim17ROCPRIM_400000_NS6detail17trampoline_kernelINS0_13kernel_configILj256ELj4ELj4294967295EEENS1_37radix_sort_block_sort_config_selectorIhNS0_10empty_typeEEEZNS1_21radix_sort_block_sortIS4_Lb1EPhS9_PS6_SA_NS0_19identity_decomposerEEE10hipError_tT1_T2_T3_T4_jRjT5_jjP12ihipStream_tbEUlT_E_NS1_11comp_targetILNS1_3genE9ELNS1_11target_archE1100ELNS1_3gpuE3ELNS1_3repE0EEENS1_44radix_sort_block_sort_config_static_selectorELNS0_4arch9wavefront6targetE1EEEvSD_
    .private_segment_fixed_size: 0
    .sgpr_count:     4
    .sgpr_spill_count: 0
    .symbol:         _ZN7rocprim17ROCPRIM_400000_NS6detail17trampoline_kernelINS0_13kernel_configILj256ELj4ELj4294967295EEENS1_37radix_sort_block_sort_config_selectorIhNS0_10empty_typeEEEZNS1_21radix_sort_block_sortIS4_Lb1EPhS9_PS6_SA_NS0_19identity_decomposerEEE10hipError_tT1_T2_T3_T4_jRjT5_jjP12ihipStream_tbEUlT_E_NS1_11comp_targetILNS1_3genE9ELNS1_11target_archE1100ELNS1_3gpuE3ELNS1_3repE0EEENS1_44radix_sort_block_sort_config_static_selectorELNS0_4arch9wavefront6targetE1EEEvSD_.kd
    .uniform_work_group_size: 1
    .uses_dynamic_stack: false
    .vgpr_count:     0
    .vgpr_spill_count: 0
    .wavefront_size: 64
  - .agpr_count:     0
    .args:
      - .offset:         0
        .size:           48
        .value_kind:     by_value
    .group_segment_fixed_size: 0
    .kernarg_segment_align: 8
    .kernarg_segment_size: 48
    .language:       OpenCL C
    .language_version:
      - 2
      - 0
    .max_flat_workgroup_size: 256
    .name:           _ZN7rocprim17ROCPRIM_400000_NS6detail17trampoline_kernelINS0_13kernel_configILj256ELj4ELj4294967295EEENS1_37radix_sort_block_sort_config_selectorIhNS0_10empty_typeEEEZNS1_21radix_sort_block_sortIS4_Lb1EPhS9_PS6_SA_NS0_19identity_decomposerEEE10hipError_tT1_T2_T3_T4_jRjT5_jjP12ihipStream_tbEUlT_E_NS1_11comp_targetILNS1_3genE8ELNS1_11target_archE1030ELNS1_3gpuE2ELNS1_3repE0EEENS1_44radix_sort_block_sort_config_static_selectorELNS0_4arch9wavefront6targetE1EEEvSD_
    .private_segment_fixed_size: 0
    .sgpr_count:     4
    .sgpr_spill_count: 0
    .symbol:         _ZN7rocprim17ROCPRIM_400000_NS6detail17trampoline_kernelINS0_13kernel_configILj256ELj4ELj4294967295EEENS1_37radix_sort_block_sort_config_selectorIhNS0_10empty_typeEEEZNS1_21radix_sort_block_sortIS4_Lb1EPhS9_PS6_SA_NS0_19identity_decomposerEEE10hipError_tT1_T2_T3_T4_jRjT5_jjP12ihipStream_tbEUlT_E_NS1_11comp_targetILNS1_3genE8ELNS1_11target_archE1030ELNS1_3gpuE2ELNS1_3repE0EEENS1_44radix_sort_block_sort_config_static_selectorELNS0_4arch9wavefront6targetE1EEEvSD_.kd
    .uniform_work_group_size: 1
    .uses_dynamic_stack: false
    .vgpr_count:     0
    .vgpr_spill_count: 0
    .wavefront_size: 64
  - .agpr_count:     0
    .args:
      - .offset:         0
        .size:           40
        .value_kind:     by_value
    .group_segment_fixed_size: 0
    .kernarg_segment_align: 8
    .kernarg_segment_size: 40
    .language:       OpenCL C
    .language_version:
      - 2
      - 0
    .max_flat_workgroup_size: 128
    .name:           _ZN7rocprim17ROCPRIM_400000_NS6detail17trampoline_kernelINS0_14default_configENS1_38merge_sort_block_merge_config_selectorIhNS0_10empty_typeEEEZZNS1_27merge_sort_block_merge_implIS3_PhPS5_jNS1_19radix_merge_compareILb1ELb0EhNS0_19identity_decomposerEEEEE10hipError_tT0_T1_T2_jT3_P12ihipStream_tbPNSt15iterator_traitsISE_E10value_typeEPNSK_ISF_E10value_typeEPSG_NS1_7vsmem_tEENKUlT_SE_SF_SG_E_clIS8_S8_S9_S9_EESD_ST_SE_SF_SG_EUlST_E_NS1_11comp_targetILNS1_3genE0ELNS1_11target_archE4294967295ELNS1_3gpuE0ELNS1_3repE0EEENS1_48merge_mergepath_partition_config_static_selectorELNS0_4arch9wavefront6targetE1EEEvSF_
    .private_segment_fixed_size: 0
    .sgpr_count:     4
    .sgpr_spill_count: 0
    .symbol:         _ZN7rocprim17ROCPRIM_400000_NS6detail17trampoline_kernelINS0_14default_configENS1_38merge_sort_block_merge_config_selectorIhNS0_10empty_typeEEEZZNS1_27merge_sort_block_merge_implIS3_PhPS5_jNS1_19radix_merge_compareILb1ELb0EhNS0_19identity_decomposerEEEEE10hipError_tT0_T1_T2_jT3_P12ihipStream_tbPNSt15iterator_traitsISE_E10value_typeEPNSK_ISF_E10value_typeEPSG_NS1_7vsmem_tEENKUlT_SE_SF_SG_E_clIS8_S8_S9_S9_EESD_ST_SE_SF_SG_EUlST_E_NS1_11comp_targetILNS1_3genE0ELNS1_11target_archE4294967295ELNS1_3gpuE0ELNS1_3repE0EEENS1_48merge_mergepath_partition_config_static_selectorELNS0_4arch9wavefront6targetE1EEEvSF_.kd
    .uniform_work_group_size: 1
    .uses_dynamic_stack: false
    .vgpr_count:     0
    .vgpr_spill_count: 0
    .wavefront_size: 64
  - .agpr_count:     0
    .args:
      - .offset:         0
        .size:           40
        .value_kind:     by_value
    .group_segment_fixed_size: 0
    .kernarg_segment_align: 8
    .kernarg_segment_size: 40
    .language:       OpenCL C
    .language_version:
      - 2
      - 0
    .max_flat_workgroup_size: 128
    .name:           _ZN7rocprim17ROCPRIM_400000_NS6detail17trampoline_kernelINS0_14default_configENS1_38merge_sort_block_merge_config_selectorIhNS0_10empty_typeEEEZZNS1_27merge_sort_block_merge_implIS3_PhPS5_jNS1_19radix_merge_compareILb1ELb0EhNS0_19identity_decomposerEEEEE10hipError_tT0_T1_T2_jT3_P12ihipStream_tbPNSt15iterator_traitsISE_E10value_typeEPNSK_ISF_E10value_typeEPSG_NS1_7vsmem_tEENKUlT_SE_SF_SG_E_clIS8_S8_S9_S9_EESD_ST_SE_SF_SG_EUlST_E_NS1_11comp_targetILNS1_3genE10ELNS1_11target_archE1201ELNS1_3gpuE5ELNS1_3repE0EEENS1_48merge_mergepath_partition_config_static_selectorELNS0_4arch9wavefront6targetE1EEEvSF_
    .private_segment_fixed_size: 0
    .sgpr_count:     4
    .sgpr_spill_count: 0
    .symbol:         _ZN7rocprim17ROCPRIM_400000_NS6detail17trampoline_kernelINS0_14default_configENS1_38merge_sort_block_merge_config_selectorIhNS0_10empty_typeEEEZZNS1_27merge_sort_block_merge_implIS3_PhPS5_jNS1_19radix_merge_compareILb1ELb0EhNS0_19identity_decomposerEEEEE10hipError_tT0_T1_T2_jT3_P12ihipStream_tbPNSt15iterator_traitsISE_E10value_typeEPNSK_ISF_E10value_typeEPSG_NS1_7vsmem_tEENKUlT_SE_SF_SG_E_clIS8_S8_S9_S9_EESD_ST_SE_SF_SG_EUlST_E_NS1_11comp_targetILNS1_3genE10ELNS1_11target_archE1201ELNS1_3gpuE5ELNS1_3repE0EEENS1_48merge_mergepath_partition_config_static_selectorELNS0_4arch9wavefront6targetE1EEEvSF_.kd
    .uniform_work_group_size: 1
    .uses_dynamic_stack: false
    .vgpr_count:     0
    .vgpr_spill_count: 0
    .wavefront_size: 64
  - .agpr_count:     0
    .args:
      - .offset:         0
        .size:           40
        .value_kind:     by_value
    .group_segment_fixed_size: 0
    .kernarg_segment_align: 8
    .kernarg_segment_size: 40
    .language:       OpenCL C
    .language_version:
      - 2
      - 0
    .max_flat_workgroup_size: 128
    .name:           _ZN7rocprim17ROCPRIM_400000_NS6detail17trampoline_kernelINS0_14default_configENS1_38merge_sort_block_merge_config_selectorIhNS0_10empty_typeEEEZZNS1_27merge_sort_block_merge_implIS3_PhPS5_jNS1_19radix_merge_compareILb1ELb0EhNS0_19identity_decomposerEEEEE10hipError_tT0_T1_T2_jT3_P12ihipStream_tbPNSt15iterator_traitsISE_E10value_typeEPNSK_ISF_E10value_typeEPSG_NS1_7vsmem_tEENKUlT_SE_SF_SG_E_clIS8_S8_S9_S9_EESD_ST_SE_SF_SG_EUlST_E_NS1_11comp_targetILNS1_3genE5ELNS1_11target_archE942ELNS1_3gpuE9ELNS1_3repE0EEENS1_48merge_mergepath_partition_config_static_selectorELNS0_4arch9wavefront6targetE1EEEvSF_
    .private_segment_fixed_size: 0
    .sgpr_count:     4
    .sgpr_spill_count: 0
    .symbol:         _ZN7rocprim17ROCPRIM_400000_NS6detail17trampoline_kernelINS0_14default_configENS1_38merge_sort_block_merge_config_selectorIhNS0_10empty_typeEEEZZNS1_27merge_sort_block_merge_implIS3_PhPS5_jNS1_19radix_merge_compareILb1ELb0EhNS0_19identity_decomposerEEEEE10hipError_tT0_T1_T2_jT3_P12ihipStream_tbPNSt15iterator_traitsISE_E10value_typeEPNSK_ISF_E10value_typeEPSG_NS1_7vsmem_tEENKUlT_SE_SF_SG_E_clIS8_S8_S9_S9_EESD_ST_SE_SF_SG_EUlST_E_NS1_11comp_targetILNS1_3genE5ELNS1_11target_archE942ELNS1_3gpuE9ELNS1_3repE0EEENS1_48merge_mergepath_partition_config_static_selectorELNS0_4arch9wavefront6targetE1EEEvSF_.kd
    .uniform_work_group_size: 1
    .uses_dynamic_stack: false
    .vgpr_count:     0
    .vgpr_spill_count: 0
    .wavefront_size: 64
  - .agpr_count:     0
    .args:
      - .offset:         0
        .size:           40
        .value_kind:     by_value
    .group_segment_fixed_size: 0
    .kernarg_segment_align: 8
    .kernarg_segment_size: 40
    .language:       OpenCL C
    .language_version:
      - 2
      - 0
    .max_flat_workgroup_size: 128
    .name:           _ZN7rocprim17ROCPRIM_400000_NS6detail17trampoline_kernelINS0_14default_configENS1_38merge_sort_block_merge_config_selectorIhNS0_10empty_typeEEEZZNS1_27merge_sort_block_merge_implIS3_PhPS5_jNS1_19radix_merge_compareILb1ELb0EhNS0_19identity_decomposerEEEEE10hipError_tT0_T1_T2_jT3_P12ihipStream_tbPNSt15iterator_traitsISE_E10value_typeEPNSK_ISF_E10value_typeEPSG_NS1_7vsmem_tEENKUlT_SE_SF_SG_E_clIS8_S8_S9_S9_EESD_ST_SE_SF_SG_EUlST_E_NS1_11comp_targetILNS1_3genE4ELNS1_11target_archE910ELNS1_3gpuE8ELNS1_3repE0EEENS1_48merge_mergepath_partition_config_static_selectorELNS0_4arch9wavefront6targetE1EEEvSF_
    .private_segment_fixed_size: 0
    .sgpr_count:     12
    .sgpr_spill_count: 0
    .symbol:         _ZN7rocprim17ROCPRIM_400000_NS6detail17trampoline_kernelINS0_14default_configENS1_38merge_sort_block_merge_config_selectorIhNS0_10empty_typeEEEZZNS1_27merge_sort_block_merge_implIS3_PhPS5_jNS1_19radix_merge_compareILb1ELb0EhNS0_19identity_decomposerEEEEE10hipError_tT0_T1_T2_jT3_P12ihipStream_tbPNSt15iterator_traitsISE_E10value_typeEPNSK_ISF_E10value_typeEPSG_NS1_7vsmem_tEENKUlT_SE_SF_SG_E_clIS8_S8_S9_S9_EESD_ST_SE_SF_SG_EUlST_E_NS1_11comp_targetILNS1_3genE4ELNS1_11target_archE910ELNS1_3gpuE8ELNS1_3repE0EEENS1_48merge_mergepath_partition_config_static_selectorELNS0_4arch9wavefront6targetE1EEEvSF_.kd
    .uniform_work_group_size: 1
    .uses_dynamic_stack: false
    .vgpr_count:     16
    .vgpr_spill_count: 0
    .wavefront_size: 64
  - .agpr_count:     0
    .args:
      - .offset:         0
        .size:           40
        .value_kind:     by_value
    .group_segment_fixed_size: 0
    .kernarg_segment_align: 8
    .kernarg_segment_size: 40
    .language:       OpenCL C
    .language_version:
      - 2
      - 0
    .max_flat_workgroup_size: 128
    .name:           _ZN7rocprim17ROCPRIM_400000_NS6detail17trampoline_kernelINS0_14default_configENS1_38merge_sort_block_merge_config_selectorIhNS0_10empty_typeEEEZZNS1_27merge_sort_block_merge_implIS3_PhPS5_jNS1_19radix_merge_compareILb1ELb0EhNS0_19identity_decomposerEEEEE10hipError_tT0_T1_T2_jT3_P12ihipStream_tbPNSt15iterator_traitsISE_E10value_typeEPNSK_ISF_E10value_typeEPSG_NS1_7vsmem_tEENKUlT_SE_SF_SG_E_clIS8_S8_S9_S9_EESD_ST_SE_SF_SG_EUlST_E_NS1_11comp_targetILNS1_3genE3ELNS1_11target_archE908ELNS1_3gpuE7ELNS1_3repE0EEENS1_48merge_mergepath_partition_config_static_selectorELNS0_4arch9wavefront6targetE1EEEvSF_
    .private_segment_fixed_size: 0
    .sgpr_count:     4
    .sgpr_spill_count: 0
    .symbol:         _ZN7rocprim17ROCPRIM_400000_NS6detail17trampoline_kernelINS0_14default_configENS1_38merge_sort_block_merge_config_selectorIhNS0_10empty_typeEEEZZNS1_27merge_sort_block_merge_implIS3_PhPS5_jNS1_19radix_merge_compareILb1ELb0EhNS0_19identity_decomposerEEEEE10hipError_tT0_T1_T2_jT3_P12ihipStream_tbPNSt15iterator_traitsISE_E10value_typeEPNSK_ISF_E10value_typeEPSG_NS1_7vsmem_tEENKUlT_SE_SF_SG_E_clIS8_S8_S9_S9_EESD_ST_SE_SF_SG_EUlST_E_NS1_11comp_targetILNS1_3genE3ELNS1_11target_archE908ELNS1_3gpuE7ELNS1_3repE0EEENS1_48merge_mergepath_partition_config_static_selectorELNS0_4arch9wavefront6targetE1EEEvSF_.kd
    .uniform_work_group_size: 1
    .uses_dynamic_stack: false
    .vgpr_count:     0
    .vgpr_spill_count: 0
    .wavefront_size: 64
  - .agpr_count:     0
    .args:
      - .offset:         0
        .size:           40
        .value_kind:     by_value
    .group_segment_fixed_size: 0
    .kernarg_segment_align: 8
    .kernarg_segment_size: 40
    .language:       OpenCL C
    .language_version:
      - 2
      - 0
    .max_flat_workgroup_size: 128
    .name:           _ZN7rocprim17ROCPRIM_400000_NS6detail17trampoline_kernelINS0_14default_configENS1_38merge_sort_block_merge_config_selectorIhNS0_10empty_typeEEEZZNS1_27merge_sort_block_merge_implIS3_PhPS5_jNS1_19radix_merge_compareILb1ELb0EhNS0_19identity_decomposerEEEEE10hipError_tT0_T1_T2_jT3_P12ihipStream_tbPNSt15iterator_traitsISE_E10value_typeEPNSK_ISF_E10value_typeEPSG_NS1_7vsmem_tEENKUlT_SE_SF_SG_E_clIS8_S8_S9_S9_EESD_ST_SE_SF_SG_EUlST_E_NS1_11comp_targetILNS1_3genE2ELNS1_11target_archE906ELNS1_3gpuE6ELNS1_3repE0EEENS1_48merge_mergepath_partition_config_static_selectorELNS0_4arch9wavefront6targetE1EEEvSF_
    .private_segment_fixed_size: 0
    .sgpr_count:     4
    .sgpr_spill_count: 0
    .symbol:         _ZN7rocprim17ROCPRIM_400000_NS6detail17trampoline_kernelINS0_14default_configENS1_38merge_sort_block_merge_config_selectorIhNS0_10empty_typeEEEZZNS1_27merge_sort_block_merge_implIS3_PhPS5_jNS1_19radix_merge_compareILb1ELb0EhNS0_19identity_decomposerEEEEE10hipError_tT0_T1_T2_jT3_P12ihipStream_tbPNSt15iterator_traitsISE_E10value_typeEPNSK_ISF_E10value_typeEPSG_NS1_7vsmem_tEENKUlT_SE_SF_SG_E_clIS8_S8_S9_S9_EESD_ST_SE_SF_SG_EUlST_E_NS1_11comp_targetILNS1_3genE2ELNS1_11target_archE906ELNS1_3gpuE6ELNS1_3repE0EEENS1_48merge_mergepath_partition_config_static_selectorELNS0_4arch9wavefront6targetE1EEEvSF_.kd
    .uniform_work_group_size: 1
    .uses_dynamic_stack: false
    .vgpr_count:     0
    .vgpr_spill_count: 0
    .wavefront_size: 64
  - .agpr_count:     0
    .args:
      - .offset:         0
        .size:           40
        .value_kind:     by_value
    .group_segment_fixed_size: 0
    .kernarg_segment_align: 8
    .kernarg_segment_size: 40
    .language:       OpenCL C
    .language_version:
      - 2
      - 0
    .max_flat_workgroup_size: 128
    .name:           _ZN7rocprim17ROCPRIM_400000_NS6detail17trampoline_kernelINS0_14default_configENS1_38merge_sort_block_merge_config_selectorIhNS0_10empty_typeEEEZZNS1_27merge_sort_block_merge_implIS3_PhPS5_jNS1_19radix_merge_compareILb1ELb0EhNS0_19identity_decomposerEEEEE10hipError_tT0_T1_T2_jT3_P12ihipStream_tbPNSt15iterator_traitsISE_E10value_typeEPNSK_ISF_E10value_typeEPSG_NS1_7vsmem_tEENKUlT_SE_SF_SG_E_clIS8_S8_S9_S9_EESD_ST_SE_SF_SG_EUlST_E_NS1_11comp_targetILNS1_3genE9ELNS1_11target_archE1100ELNS1_3gpuE3ELNS1_3repE0EEENS1_48merge_mergepath_partition_config_static_selectorELNS0_4arch9wavefront6targetE1EEEvSF_
    .private_segment_fixed_size: 0
    .sgpr_count:     4
    .sgpr_spill_count: 0
    .symbol:         _ZN7rocprim17ROCPRIM_400000_NS6detail17trampoline_kernelINS0_14default_configENS1_38merge_sort_block_merge_config_selectorIhNS0_10empty_typeEEEZZNS1_27merge_sort_block_merge_implIS3_PhPS5_jNS1_19radix_merge_compareILb1ELb0EhNS0_19identity_decomposerEEEEE10hipError_tT0_T1_T2_jT3_P12ihipStream_tbPNSt15iterator_traitsISE_E10value_typeEPNSK_ISF_E10value_typeEPSG_NS1_7vsmem_tEENKUlT_SE_SF_SG_E_clIS8_S8_S9_S9_EESD_ST_SE_SF_SG_EUlST_E_NS1_11comp_targetILNS1_3genE9ELNS1_11target_archE1100ELNS1_3gpuE3ELNS1_3repE0EEENS1_48merge_mergepath_partition_config_static_selectorELNS0_4arch9wavefront6targetE1EEEvSF_.kd
    .uniform_work_group_size: 1
    .uses_dynamic_stack: false
    .vgpr_count:     0
    .vgpr_spill_count: 0
    .wavefront_size: 64
  - .agpr_count:     0
    .args:
      - .offset:         0
        .size:           40
        .value_kind:     by_value
    .group_segment_fixed_size: 0
    .kernarg_segment_align: 8
    .kernarg_segment_size: 40
    .language:       OpenCL C
    .language_version:
      - 2
      - 0
    .max_flat_workgroup_size: 128
    .name:           _ZN7rocprim17ROCPRIM_400000_NS6detail17trampoline_kernelINS0_14default_configENS1_38merge_sort_block_merge_config_selectorIhNS0_10empty_typeEEEZZNS1_27merge_sort_block_merge_implIS3_PhPS5_jNS1_19radix_merge_compareILb1ELb0EhNS0_19identity_decomposerEEEEE10hipError_tT0_T1_T2_jT3_P12ihipStream_tbPNSt15iterator_traitsISE_E10value_typeEPNSK_ISF_E10value_typeEPSG_NS1_7vsmem_tEENKUlT_SE_SF_SG_E_clIS8_S8_S9_S9_EESD_ST_SE_SF_SG_EUlST_E_NS1_11comp_targetILNS1_3genE8ELNS1_11target_archE1030ELNS1_3gpuE2ELNS1_3repE0EEENS1_48merge_mergepath_partition_config_static_selectorELNS0_4arch9wavefront6targetE1EEEvSF_
    .private_segment_fixed_size: 0
    .sgpr_count:     4
    .sgpr_spill_count: 0
    .symbol:         _ZN7rocprim17ROCPRIM_400000_NS6detail17trampoline_kernelINS0_14default_configENS1_38merge_sort_block_merge_config_selectorIhNS0_10empty_typeEEEZZNS1_27merge_sort_block_merge_implIS3_PhPS5_jNS1_19radix_merge_compareILb1ELb0EhNS0_19identity_decomposerEEEEE10hipError_tT0_T1_T2_jT3_P12ihipStream_tbPNSt15iterator_traitsISE_E10value_typeEPNSK_ISF_E10value_typeEPSG_NS1_7vsmem_tEENKUlT_SE_SF_SG_E_clIS8_S8_S9_S9_EESD_ST_SE_SF_SG_EUlST_E_NS1_11comp_targetILNS1_3genE8ELNS1_11target_archE1030ELNS1_3gpuE2ELNS1_3repE0EEENS1_48merge_mergepath_partition_config_static_selectorELNS0_4arch9wavefront6targetE1EEEvSF_.kd
    .uniform_work_group_size: 1
    .uses_dynamic_stack: false
    .vgpr_count:     0
    .vgpr_spill_count: 0
    .wavefront_size: 64
  - .agpr_count:     0
    .args:
      - .offset:         0
        .size:           64
        .value_kind:     by_value
    .group_segment_fixed_size: 0
    .kernarg_segment_align: 8
    .kernarg_segment_size: 64
    .language:       OpenCL C
    .language_version:
      - 2
      - 0
    .max_flat_workgroup_size: 128
    .name:           _ZN7rocprim17ROCPRIM_400000_NS6detail17trampoline_kernelINS0_14default_configENS1_38merge_sort_block_merge_config_selectorIhNS0_10empty_typeEEEZZNS1_27merge_sort_block_merge_implIS3_PhPS5_jNS1_19radix_merge_compareILb1ELb0EhNS0_19identity_decomposerEEEEE10hipError_tT0_T1_T2_jT3_P12ihipStream_tbPNSt15iterator_traitsISE_E10value_typeEPNSK_ISF_E10value_typeEPSG_NS1_7vsmem_tEENKUlT_SE_SF_SG_E_clIS8_S8_S9_S9_EESD_ST_SE_SF_SG_EUlST_E0_NS1_11comp_targetILNS1_3genE0ELNS1_11target_archE4294967295ELNS1_3gpuE0ELNS1_3repE0EEENS1_38merge_mergepath_config_static_selectorELNS0_4arch9wavefront6targetE1EEEvSF_
    .private_segment_fixed_size: 0
    .sgpr_count:     4
    .sgpr_spill_count: 0
    .symbol:         _ZN7rocprim17ROCPRIM_400000_NS6detail17trampoline_kernelINS0_14default_configENS1_38merge_sort_block_merge_config_selectorIhNS0_10empty_typeEEEZZNS1_27merge_sort_block_merge_implIS3_PhPS5_jNS1_19radix_merge_compareILb1ELb0EhNS0_19identity_decomposerEEEEE10hipError_tT0_T1_T2_jT3_P12ihipStream_tbPNSt15iterator_traitsISE_E10value_typeEPNSK_ISF_E10value_typeEPSG_NS1_7vsmem_tEENKUlT_SE_SF_SG_E_clIS8_S8_S9_S9_EESD_ST_SE_SF_SG_EUlST_E0_NS1_11comp_targetILNS1_3genE0ELNS1_11target_archE4294967295ELNS1_3gpuE0ELNS1_3repE0EEENS1_38merge_mergepath_config_static_selectorELNS0_4arch9wavefront6targetE1EEEvSF_.kd
    .uniform_work_group_size: 1
    .uses_dynamic_stack: false
    .vgpr_count:     0
    .vgpr_spill_count: 0
    .wavefront_size: 64
  - .agpr_count:     0
    .args:
      - .offset:         0
        .size:           64
        .value_kind:     by_value
    .group_segment_fixed_size: 0
    .kernarg_segment_align: 8
    .kernarg_segment_size: 64
    .language:       OpenCL C
    .language_version:
      - 2
      - 0
    .max_flat_workgroup_size: 128
    .name:           _ZN7rocprim17ROCPRIM_400000_NS6detail17trampoline_kernelINS0_14default_configENS1_38merge_sort_block_merge_config_selectorIhNS0_10empty_typeEEEZZNS1_27merge_sort_block_merge_implIS3_PhPS5_jNS1_19radix_merge_compareILb1ELb0EhNS0_19identity_decomposerEEEEE10hipError_tT0_T1_T2_jT3_P12ihipStream_tbPNSt15iterator_traitsISE_E10value_typeEPNSK_ISF_E10value_typeEPSG_NS1_7vsmem_tEENKUlT_SE_SF_SG_E_clIS8_S8_S9_S9_EESD_ST_SE_SF_SG_EUlST_E0_NS1_11comp_targetILNS1_3genE10ELNS1_11target_archE1201ELNS1_3gpuE5ELNS1_3repE0EEENS1_38merge_mergepath_config_static_selectorELNS0_4arch9wavefront6targetE1EEEvSF_
    .private_segment_fixed_size: 0
    .sgpr_count:     4
    .sgpr_spill_count: 0
    .symbol:         _ZN7rocprim17ROCPRIM_400000_NS6detail17trampoline_kernelINS0_14default_configENS1_38merge_sort_block_merge_config_selectorIhNS0_10empty_typeEEEZZNS1_27merge_sort_block_merge_implIS3_PhPS5_jNS1_19radix_merge_compareILb1ELb0EhNS0_19identity_decomposerEEEEE10hipError_tT0_T1_T2_jT3_P12ihipStream_tbPNSt15iterator_traitsISE_E10value_typeEPNSK_ISF_E10value_typeEPSG_NS1_7vsmem_tEENKUlT_SE_SF_SG_E_clIS8_S8_S9_S9_EESD_ST_SE_SF_SG_EUlST_E0_NS1_11comp_targetILNS1_3genE10ELNS1_11target_archE1201ELNS1_3gpuE5ELNS1_3repE0EEENS1_38merge_mergepath_config_static_selectorELNS0_4arch9wavefront6targetE1EEEvSF_.kd
    .uniform_work_group_size: 1
    .uses_dynamic_stack: false
    .vgpr_count:     0
    .vgpr_spill_count: 0
    .wavefront_size: 64
  - .agpr_count:     0
    .args:
      - .offset:         0
        .size:           64
        .value_kind:     by_value
    .group_segment_fixed_size: 0
    .kernarg_segment_align: 8
    .kernarg_segment_size: 64
    .language:       OpenCL C
    .language_version:
      - 2
      - 0
    .max_flat_workgroup_size: 128
    .name:           _ZN7rocprim17ROCPRIM_400000_NS6detail17trampoline_kernelINS0_14default_configENS1_38merge_sort_block_merge_config_selectorIhNS0_10empty_typeEEEZZNS1_27merge_sort_block_merge_implIS3_PhPS5_jNS1_19radix_merge_compareILb1ELb0EhNS0_19identity_decomposerEEEEE10hipError_tT0_T1_T2_jT3_P12ihipStream_tbPNSt15iterator_traitsISE_E10value_typeEPNSK_ISF_E10value_typeEPSG_NS1_7vsmem_tEENKUlT_SE_SF_SG_E_clIS8_S8_S9_S9_EESD_ST_SE_SF_SG_EUlST_E0_NS1_11comp_targetILNS1_3genE5ELNS1_11target_archE942ELNS1_3gpuE9ELNS1_3repE0EEENS1_38merge_mergepath_config_static_selectorELNS0_4arch9wavefront6targetE1EEEvSF_
    .private_segment_fixed_size: 0
    .sgpr_count:     4
    .sgpr_spill_count: 0
    .symbol:         _ZN7rocprim17ROCPRIM_400000_NS6detail17trampoline_kernelINS0_14default_configENS1_38merge_sort_block_merge_config_selectorIhNS0_10empty_typeEEEZZNS1_27merge_sort_block_merge_implIS3_PhPS5_jNS1_19radix_merge_compareILb1ELb0EhNS0_19identity_decomposerEEEEE10hipError_tT0_T1_T2_jT3_P12ihipStream_tbPNSt15iterator_traitsISE_E10value_typeEPNSK_ISF_E10value_typeEPSG_NS1_7vsmem_tEENKUlT_SE_SF_SG_E_clIS8_S8_S9_S9_EESD_ST_SE_SF_SG_EUlST_E0_NS1_11comp_targetILNS1_3genE5ELNS1_11target_archE942ELNS1_3gpuE9ELNS1_3repE0EEENS1_38merge_mergepath_config_static_selectorELNS0_4arch9wavefront6targetE1EEEvSF_.kd
    .uniform_work_group_size: 1
    .uses_dynamic_stack: false
    .vgpr_count:     0
    .vgpr_spill_count: 0
    .wavefront_size: 64
  - .agpr_count:     0
    .args:
      - .offset:         0
        .size:           64
        .value_kind:     by_value
      - .offset:         64
        .size:           4
        .value_kind:     hidden_block_count_x
      - .offset:         68
        .size:           4
        .value_kind:     hidden_block_count_y
      - .offset:         72
        .size:           4
        .value_kind:     hidden_block_count_z
      - .offset:         76
        .size:           2
        .value_kind:     hidden_group_size_x
      - .offset:         78
        .size:           2
        .value_kind:     hidden_group_size_y
      - .offset:         80
        .size:           2
        .value_kind:     hidden_group_size_z
      - .offset:         82
        .size:           2
        .value_kind:     hidden_remainder_x
      - .offset:         84
        .size:           2
        .value_kind:     hidden_remainder_y
      - .offset:         86
        .size:           2
        .value_kind:     hidden_remainder_z
      - .offset:         104
        .size:           8
        .value_kind:     hidden_global_offset_x
      - .offset:         112
        .size:           8
        .value_kind:     hidden_global_offset_y
      - .offset:         120
        .size:           8
        .value_kind:     hidden_global_offset_z
      - .offset:         128
        .size:           2
        .value_kind:     hidden_grid_dims
    .group_segment_fixed_size: 1056
    .kernarg_segment_align: 8
    .kernarg_segment_size: 320
    .language:       OpenCL C
    .language_version:
      - 2
      - 0
    .max_flat_workgroup_size: 128
    .name:           _ZN7rocprim17ROCPRIM_400000_NS6detail17trampoline_kernelINS0_14default_configENS1_38merge_sort_block_merge_config_selectorIhNS0_10empty_typeEEEZZNS1_27merge_sort_block_merge_implIS3_PhPS5_jNS1_19radix_merge_compareILb1ELb0EhNS0_19identity_decomposerEEEEE10hipError_tT0_T1_T2_jT3_P12ihipStream_tbPNSt15iterator_traitsISE_E10value_typeEPNSK_ISF_E10value_typeEPSG_NS1_7vsmem_tEENKUlT_SE_SF_SG_E_clIS8_S8_S9_S9_EESD_ST_SE_SF_SG_EUlST_E0_NS1_11comp_targetILNS1_3genE4ELNS1_11target_archE910ELNS1_3gpuE8ELNS1_3repE0EEENS1_38merge_mergepath_config_static_selectorELNS0_4arch9wavefront6targetE1EEEvSF_
    .private_segment_fixed_size: 0
    .sgpr_count:     28
    .sgpr_spill_count: 0
    .symbol:         _ZN7rocprim17ROCPRIM_400000_NS6detail17trampoline_kernelINS0_14default_configENS1_38merge_sort_block_merge_config_selectorIhNS0_10empty_typeEEEZZNS1_27merge_sort_block_merge_implIS3_PhPS5_jNS1_19radix_merge_compareILb1ELb0EhNS0_19identity_decomposerEEEEE10hipError_tT0_T1_T2_jT3_P12ihipStream_tbPNSt15iterator_traitsISE_E10value_typeEPNSK_ISF_E10value_typeEPSG_NS1_7vsmem_tEENKUlT_SE_SF_SG_E_clIS8_S8_S9_S9_EESD_ST_SE_SF_SG_EUlST_E0_NS1_11comp_targetILNS1_3genE4ELNS1_11target_archE910ELNS1_3gpuE8ELNS1_3repE0EEENS1_38merge_mergepath_config_static_selectorELNS0_4arch9wavefront6targetE1EEEvSF_.kd
    .uniform_work_group_size: 1
    .uses_dynamic_stack: false
    .vgpr_count:     28
    .vgpr_spill_count: 0
    .wavefront_size: 64
  - .agpr_count:     0
    .args:
      - .offset:         0
        .size:           64
        .value_kind:     by_value
    .group_segment_fixed_size: 0
    .kernarg_segment_align: 8
    .kernarg_segment_size: 64
    .language:       OpenCL C
    .language_version:
      - 2
      - 0
    .max_flat_workgroup_size: 128
    .name:           _ZN7rocprim17ROCPRIM_400000_NS6detail17trampoline_kernelINS0_14default_configENS1_38merge_sort_block_merge_config_selectorIhNS0_10empty_typeEEEZZNS1_27merge_sort_block_merge_implIS3_PhPS5_jNS1_19radix_merge_compareILb1ELb0EhNS0_19identity_decomposerEEEEE10hipError_tT0_T1_T2_jT3_P12ihipStream_tbPNSt15iterator_traitsISE_E10value_typeEPNSK_ISF_E10value_typeEPSG_NS1_7vsmem_tEENKUlT_SE_SF_SG_E_clIS8_S8_S9_S9_EESD_ST_SE_SF_SG_EUlST_E0_NS1_11comp_targetILNS1_3genE3ELNS1_11target_archE908ELNS1_3gpuE7ELNS1_3repE0EEENS1_38merge_mergepath_config_static_selectorELNS0_4arch9wavefront6targetE1EEEvSF_
    .private_segment_fixed_size: 0
    .sgpr_count:     4
    .sgpr_spill_count: 0
    .symbol:         _ZN7rocprim17ROCPRIM_400000_NS6detail17trampoline_kernelINS0_14default_configENS1_38merge_sort_block_merge_config_selectorIhNS0_10empty_typeEEEZZNS1_27merge_sort_block_merge_implIS3_PhPS5_jNS1_19radix_merge_compareILb1ELb0EhNS0_19identity_decomposerEEEEE10hipError_tT0_T1_T2_jT3_P12ihipStream_tbPNSt15iterator_traitsISE_E10value_typeEPNSK_ISF_E10value_typeEPSG_NS1_7vsmem_tEENKUlT_SE_SF_SG_E_clIS8_S8_S9_S9_EESD_ST_SE_SF_SG_EUlST_E0_NS1_11comp_targetILNS1_3genE3ELNS1_11target_archE908ELNS1_3gpuE7ELNS1_3repE0EEENS1_38merge_mergepath_config_static_selectorELNS0_4arch9wavefront6targetE1EEEvSF_.kd
    .uniform_work_group_size: 1
    .uses_dynamic_stack: false
    .vgpr_count:     0
    .vgpr_spill_count: 0
    .wavefront_size: 64
  - .agpr_count:     0
    .args:
      - .offset:         0
        .size:           64
        .value_kind:     by_value
    .group_segment_fixed_size: 0
    .kernarg_segment_align: 8
    .kernarg_segment_size: 64
    .language:       OpenCL C
    .language_version:
      - 2
      - 0
    .max_flat_workgroup_size: 128
    .name:           _ZN7rocprim17ROCPRIM_400000_NS6detail17trampoline_kernelINS0_14default_configENS1_38merge_sort_block_merge_config_selectorIhNS0_10empty_typeEEEZZNS1_27merge_sort_block_merge_implIS3_PhPS5_jNS1_19radix_merge_compareILb1ELb0EhNS0_19identity_decomposerEEEEE10hipError_tT0_T1_T2_jT3_P12ihipStream_tbPNSt15iterator_traitsISE_E10value_typeEPNSK_ISF_E10value_typeEPSG_NS1_7vsmem_tEENKUlT_SE_SF_SG_E_clIS8_S8_S9_S9_EESD_ST_SE_SF_SG_EUlST_E0_NS1_11comp_targetILNS1_3genE2ELNS1_11target_archE906ELNS1_3gpuE6ELNS1_3repE0EEENS1_38merge_mergepath_config_static_selectorELNS0_4arch9wavefront6targetE1EEEvSF_
    .private_segment_fixed_size: 0
    .sgpr_count:     4
    .sgpr_spill_count: 0
    .symbol:         _ZN7rocprim17ROCPRIM_400000_NS6detail17trampoline_kernelINS0_14default_configENS1_38merge_sort_block_merge_config_selectorIhNS0_10empty_typeEEEZZNS1_27merge_sort_block_merge_implIS3_PhPS5_jNS1_19radix_merge_compareILb1ELb0EhNS0_19identity_decomposerEEEEE10hipError_tT0_T1_T2_jT3_P12ihipStream_tbPNSt15iterator_traitsISE_E10value_typeEPNSK_ISF_E10value_typeEPSG_NS1_7vsmem_tEENKUlT_SE_SF_SG_E_clIS8_S8_S9_S9_EESD_ST_SE_SF_SG_EUlST_E0_NS1_11comp_targetILNS1_3genE2ELNS1_11target_archE906ELNS1_3gpuE6ELNS1_3repE0EEENS1_38merge_mergepath_config_static_selectorELNS0_4arch9wavefront6targetE1EEEvSF_.kd
    .uniform_work_group_size: 1
    .uses_dynamic_stack: false
    .vgpr_count:     0
    .vgpr_spill_count: 0
    .wavefront_size: 64
  - .agpr_count:     0
    .args:
      - .offset:         0
        .size:           64
        .value_kind:     by_value
    .group_segment_fixed_size: 0
    .kernarg_segment_align: 8
    .kernarg_segment_size: 64
    .language:       OpenCL C
    .language_version:
      - 2
      - 0
    .max_flat_workgroup_size: 128
    .name:           _ZN7rocprim17ROCPRIM_400000_NS6detail17trampoline_kernelINS0_14default_configENS1_38merge_sort_block_merge_config_selectorIhNS0_10empty_typeEEEZZNS1_27merge_sort_block_merge_implIS3_PhPS5_jNS1_19radix_merge_compareILb1ELb0EhNS0_19identity_decomposerEEEEE10hipError_tT0_T1_T2_jT3_P12ihipStream_tbPNSt15iterator_traitsISE_E10value_typeEPNSK_ISF_E10value_typeEPSG_NS1_7vsmem_tEENKUlT_SE_SF_SG_E_clIS8_S8_S9_S9_EESD_ST_SE_SF_SG_EUlST_E0_NS1_11comp_targetILNS1_3genE9ELNS1_11target_archE1100ELNS1_3gpuE3ELNS1_3repE0EEENS1_38merge_mergepath_config_static_selectorELNS0_4arch9wavefront6targetE1EEEvSF_
    .private_segment_fixed_size: 0
    .sgpr_count:     4
    .sgpr_spill_count: 0
    .symbol:         _ZN7rocprim17ROCPRIM_400000_NS6detail17trampoline_kernelINS0_14default_configENS1_38merge_sort_block_merge_config_selectorIhNS0_10empty_typeEEEZZNS1_27merge_sort_block_merge_implIS3_PhPS5_jNS1_19radix_merge_compareILb1ELb0EhNS0_19identity_decomposerEEEEE10hipError_tT0_T1_T2_jT3_P12ihipStream_tbPNSt15iterator_traitsISE_E10value_typeEPNSK_ISF_E10value_typeEPSG_NS1_7vsmem_tEENKUlT_SE_SF_SG_E_clIS8_S8_S9_S9_EESD_ST_SE_SF_SG_EUlST_E0_NS1_11comp_targetILNS1_3genE9ELNS1_11target_archE1100ELNS1_3gpuE3ELNS1_3repE0EEENS1_38merge_mergepath_config_static_selectorELNS0_4arch9wavefront6targetE1EEEvSF_.kd
    .uniform_work_group_size: 1
    .uses_dynamic_stack: false
    .vgpr_count:     0
    .vgpr_spill_count: 0
    .wavefront_size: 64
  - .agpr_count:     0
    .args:
      - .offset:         0
        .size:           64
        .value_kind:     by_value
    .group_segment_fixed_size: 0
    .kernarg_segment_align: 8
    .kernarg_segment_size: 64
    .language:       OpenCL C
    .language_version:
      - 2
      - 0
    .max_flat_workgroup_size: 128
    .name:           _ZN7rocprim17ROCPRIM_400000_NS6detail17trampoline_kernelINS0_14default_configENS1_38merge_sort_block_merge_config_selectorIhNS0_10empty_typeEEEZZNS1_27merge_sort_block_merge_implIS3_PhPS5_jNS1_19radix_merge_compareILb1ELb0EhNS0_19identity_decomposerEEEEE10hipError_tT0_T1_T2_jT3_P12ihipStream_tbPNSt15iterator_traitsISE_E10value_typeEPNSK_ISF_E10value_typeEPSG_NS1_7vsmem_tEENKUlT_SE_SF_SG_E_clIS8_S8_S9_S9_EESD_ST_SE_SF_SG_EUlST_E0_NS1_11comp_targetILNS1_3genE8ELNS1_11target_archE1030ELNS1_3gpuE2ELNS1_3repE0EEENS1_38merge_mergepath_config_static_selectorELNS0_4arch9wavefront6targetE1EEEvSF_
    .private_segment_fixed_size: 0
    .sgpr_count:     4
    .sgpr_spill_count: 0
    .symbol:         _ZN7rocprim17ROCPRIM_400000_NS6detail17trampoline_kernelINS0_14default_configENS1_38merge_sort_block_merge_config_selectorIhNS0_10empty_typeEEEZZNS1_27merge_sort_block_merge_implIS3_PhPS5_jNS1_19radix_merge_compareILb1ELb0EhNS0_19identity_decomposerEEEEE10hipError_tT0_T1_T2_jT3_P12ihipStream_tbPNSt15iterator_traitsISE_E10value_typeEPNSK_ISF_E10value_typeEPSG_NS1_7vsmem_tEENKUlT_SE_SF_SG_E_clIS8_S8_S9_S9_EESD_ST_SE_SF_SG_EUlST_E0_NS1_11comp_targetILNS1_3genE8ELNS1_11target_archE1030ELNS1_3gpuE2ELNS1_3repE0EEENS1_38merge_mergepath_config_static_selectorELNS0_4arch9wavefront6targetE1EEEvSF_.kd
    .uniform_work_group_size: 1
    .uses_dynamic_stack: false
    .vgpr_count:     0
    .vgpr_spill_count: 0
    .wavefront_size: 64
  - .agpr_count:     0
    .args:
      - .offset:         0
        .size:           48
        .value_kind:     by_value
    .group_segment_fixed_size: 0
    .kernarg_segment_align: 8
    .kernarg_segment_size: 48
    .language:       OpenCL C
    .language_version:
      - 2
      - 0
    .max_flat_workgroup_size: 256
    .name:           _ZN7rocprim17ROCPRIM_400000_NS6detail17trampoline_kernelINS0_14default_configENS1_38merge_sort_block_merge_config_selectorIhNS0_10empty_typeEEEZZNS1_27merge_sort_block_merge_implIS3_PhPS5_jNS1_19radix_merge_compareILb1ELb0EhNS0_19identity_decomposerEEEEE10hipError_tT0_T1_T2_jT3_P12ihipStream_tbPNSt15iterator_traitsISE_E10value_typeEPNSK_ISF_E10value_typeEPSG_NS1_7vsmem_tEENKUlT_SE_SF_SG_E_clIS8_S8_S9_S9_EESD_ST_SE_SF_SG_EUlST_E1_NS1_11comp_targetILNS1_3genE0ELNS1_11target_archE4294967295ELNS1_3gpuE0ELNS1_3repE0EEENS1_36merge_oddeven_config_static_selectorELNS0_4arch9wavefront6targetE1EEEvSF_
    .private_segment_fixed_size: 0
    .sgpr_count:     4
    .sgpr_spill_count: 0
    .symbol:         _ZN7rocprim17ROCPRIM_400000_NS6detail17trampoline_kernelINS0_14default_configENS1_38merge_sort_block_merge_config_selectorIhNS0_10empty_typeEEEZZNS1_27merge_sort_block_merge_implIS3_PhPS5_jNS1_19radix_merge_compareILb1ELb0EhNS0_19identity_decomposerEEEEE10hipError_tT0_T1_T2_jT3_P12ihipStream_tbPNSt15iterator_traitsISE_E10value_typeEPNSK_ISF_E10value_typeEPSG_NS1_7vsmem_tEENKUlT_SE_SF_SG_E_clIS8_S8_S9_S9_EESD_ST_SE_SF_SG_EUlST_E1_NS1_11comp_targetILNS1_3genE0ELNS1_11target_archE4294967295ELNS1_3gpuE0ELNS1_3repE0EEENS1_36merge_oddeven_config_static_selectorELNS0_4arch9wavefront6targetE1EEEvSF_.kd
    .uniform_work_group_size: 1
    .uses_dynamic_stack: false
    .vgpr_count:     0
    .vgpr_spill_count: 0
    .wavefront_size: 64
  - .agpr_count:     0
    .args:
      - .offset:         0
        .size:           48
        .value_kind:     by_value
    .group_segment_fixed_size: 0
    .kernarg_segment_align: 8
    .kernarg_segment_size: 48
    .language:       OpenCL C
    .language_version:
      - 2
      - 0
    .max_flat_workgroup_size: 256
    .name:           _ZN7rocprim17ROCPRIM_400000_NS6detail17trampoline_kernelINS0_14default_configENS1_38merge_sort_block_merge_config_selectorIhNS0_10empty_typeEEEZZNS1_27merge_sort_block_merge_implIS3_PhPS5_jNS1_19radix_merge_compareILb1ELb0EhNS0_19identity_decomposerEEEEE10hipError_tT0_T1_T2_jT3_P12ihipStream_tbPNSt15iterator_traitsISE_E10value_typeEPNSK_ISF_E10value_typeEPSG_NS1_7vsmem_tEENKUlT_SE_SF_SG_E_clIS8_S8_S9_S9_EESD_ST_SE_SF_SG_EUlST_E1_NS1_11comp_targetILNS1_3genE10ELNS1_11target_archE1201ELNS1_3gpuE5ELNS1_3repE0EEENS1_36merge_oddeven_config_static_selectorELNS0_4arch9wavefront6targetE1EEEvSF_
    .private_segment_fixed_size: 0
    .sgpr_count:     4
    .sgpr_spill_count: 0
    .symbol:         _ZN7rocprim17ROCPRIM_400000_NS6detail17trampoline_kernelINS0_14default_configENS1_38merge_sort_block_merge_config_selectorIhNS0_10empty_typeEEEZZNS1_27merge_sort_block_merge_implIS3_PhPS5_jNS1_19radix_merge_compareILb1ELb0EhNS0_19identity_decomposerEEEEE10hipError_tT0_T1_T2_jT3_P12ihipStream_tbPNSt15iterator_traitsISE_E10value_typeEPNSK_ISF_E10value_typeEPSG_NS1_7vsmem_tEENKUlT_SE_SF_SG_E_clIS8_S8_S9_S9_EESD_ST_SE_SF_SG_EUlST_E1_NS1_11comp_targetILNS1_3genE10ELNS1_11target_archE1201ELNS1_3gpuE5ELNS1_3repE0EEENS1_36merge_oddeven_config_static_selectorELNS0_4arch9wavefront6targetE1EEEvSF_.kd
    .uniform_work_group_size: 1
    .uses_dynamic_stack: false
    .vgpr_count:     0
    .vgpr_spill_count: 0
    .wavefront_size: 64
  - .agpr_count:     0
    .args:
      - .offset:         0
        .size:           48
        .value_kind:     by_value
    .group_segment_fixed_size: 0
    .kernarg_segment_align: 8
    .kernarg_segment_size: 48
    .language:       OpenCL C
    .language_version:
      - 2
      - 0
    .max_flat_workgroup_size: 256
    .name:           _ZN7rocprim17ROCPRIM_400000_NS6detail17trampoline_kernelINS0_14default_configENS1_38merge_sort_block_merge_config_selectorIhNS0_10empty_typeEEEZZNS1_27merge_sort_block_merge_implIS3_PhPS5_jNS1_19radix_merge_compareILb1ELb0EhNS0_19identity_decomposerEEEEE10hipError_tT0_T1_T2_jT3_P12ihipStream_tbPNSt15iterator_traitsISE_E10value_typeEPNSK_ISF_E10value_typeEPSG_NS1_7vsmem_tEENKUlT_SE_SF_SG_E_clIS8_S8_S9_S9_EESD_ST_SE_SF_SG_EUlST_E1_NS1_11comp_targetILNS1_3genE5ELNS1_11target_archE942ELNS1_3gpuE9ELNS1_3repE0EEENS1_36merge_oddeven_config_static_selectorELNS0_4arch9wavefront6targetE1EEEvSF_
    .private_segment_fixed_size: 0
    .sgpr_count:     4
    .sgpr_spill_count: 0
    .symbol:         _ZN7rocprim17ROCPRIM_400000_NS6detail17trampoline_kernelINS0_14default_configENS1_38merge_sort_block_merge_config_selectorIhNS0_10empty_typeEEEZZNS1_27merge_sort_block_merge_implIS3_PhPS5_jNS1_19radix_merge_compareILb1ELb0EhNS0_19identity_decomposerEEEEE10hipError_tT0_T1_T2_jT3_P12ihipStream_tbPNSt15iterator_traitsISE_E10value_typeEPNSK_ISF_E10value_typeEPSG_NS1_7vsmem_tEENKUlT_SE_SF_SG_E_clIS8_S8_S9_S9_EESD_ST_SE_SF_SG_EUlST_E1_NS1_11comp_targetILNS1_3genE5ELNS1_11target_archE942ELNS1_3gpuE9ELNS1_3repE0EEENS1_36merge_oddeven_config_static_selectorELNS0_4arch9wavefront6targetE1EEEvSF_.kd
    .uniform_work_group_size: 1
    .uses_dynamic_stack: false
    .vgpr_count:     0
    .vgpr_spill_count: 0
    .wavefront_size: 64
  - .agpr_count:     0
    .args:
      - .offset:         0
        .size:           48
        .value_kind:     by_value
    .group_segment_fixed_size: 0
    .kernarg_segment_align: 8
    .kernarg_segment_size: 48
    .language:       OpenCL C
    .language_version:
      - 2
      - 0
    .max_flat_workgroup_size: 256
    .name:           _ZN7rocprim17ROCPRIM_400000_NS6detail17trampoline_kernelINS0_14default_configENS1_38merge_sort_block_merge_config_selectorIhNS0_10empty_typeEEEZZNS1_27merge_sort_block_merge_implIS3_PhPS5_jNS1_19radix_merge_compareILb1ELb0EhNS0_19identity_decomposerEEEEE10hipError_tT0_T1_T2_jT3_P12ihipStream_tbPNSt15iterator_traitsISE_E10value_typeEPNSK_ISF_E10value_typeEPSG_NS1_7vsmem_tEENKUlT_SE_SF_SG_E_clIS8_S8_S9_S9_EESD_ST_SE_SF_SG_EUlST_E1_NS1_11comp_targetILNS1_3genE4ELNS1_11target_archE910ELNS1_3gpuE8ELNS1_3repE0EEENS1_36merge_oddeven_config_static_selectorELNS0_4arch9wavefront6targetE1EEEvSF_
    .private_segment_fixed_size: 0
    .sgpr_count:     24
    .sgpr_spill_count: 0
    .symbol:         _ZN7rocprim17ROCPRIM_400000_NS6detail17trampoline_kernelINS0_14default_configENS1_38merge_sort_block_merge_config_selectorIhNS0_10empty_typeEEEZZNS1_27merge_sort_block_merge_implIS3_PhPS5_jNS1_19radix_merge_compareILb1ELb0EhNS0_19identity_decomposerEEEEE10hipError_tT0_T1_T2_jT3_P12ihipStream_tbPNSt15iterator_traitsISE_E10value_typeEPNSK_ISF_E10value_typeEPSG_NS1_7vsmem_tEENKUlT_SE_SF_SG_E_clIS8_S8_S9_S9_EESD_ST_SE_SF_SG_EUlST_E1_NS1_11comp_targetILNS1_3genE4ELNS1_11target_archE910ELNS1_3gpuE8ELNS1_3repE0EEENS1_36merge_oddeven_config_static_selectorELNS0_4arch9wavefront6targetE1EEEvSF_.kd
    .uniform_work_group_size: 1
    .uses_dynamic_stack: false
    .vgpr_count:     8
    .vgpr_spill_count: 0
    .wavefront_size: 64
  - .agpr_count:     0
    .args:
      - .offset:         0
        .size:           48
        .value_kind:     by_value
    .group_segment_fixed_size: 0
    .kernarg_segment_align: 8
    .kernarg_segment_size: 48
    .language:       OpenCL C
    .language_version:
      - 2
      - 0
    .max_flat_workgroup_size: 256
    .name:           _ZN7rocprim17ROCPRIM_400000_NS6detail17trampoline_kernelINS0_14default_configENS1_38merge_sort_block_merge_config_selectorIhNS0_10empty_typeEEEZZNS1_27merge_sort_block_merge_implIS3_PhPS5_jNS1_19radix_merge_compareILb1ELb0EhNS0_19identity_decomposerEEEEE10hipError_tT0_T1_T2_jT3_P12ihipStream_tbPNSt15iterator_traitsISE_E10value_typeEPNSK_ISF_E10value_typeEPSG_NS1_7vsmem_tEENKUlT_SE_SF_SG_E_clIS8_S8_S9_S9_EESD_ST_SE_SF_SG_EUlST_E1_NS1_11comp_targetILNS1_3genE3ELNS1_11target_archE908ELNS1_3gpuE7ELNS1_3repE0EEENS1_36merge_oddeven_config_static_selectorELNS0_4arch9wavefront6targetE1EEEvSF_
    .private_segment_fixed_size: 0
    .sgpr_count:     4
    .sgpr_spill_count: 0
    .symbol:         _ZN7rocprim17ROCPRIM_400000_NS6detail17trampoline_kernelINS0_14default_configENS1_38merge_sort_block_merge_config_selectorIhNS0_10empty_typeEEEZZNS1_27merge_sort_block_merge_implIS3_PhPS5_jNS1_19radix_merge_compareILb1ELb0EhNS0_19identity_decomposerEEEEE10hipError_tT0_T1_T2_jT3_P12ihipStream_tbPNSt15iterator_traitsISE_E10value_typeEPNSK_ISF_E10value_typeEPSG_NS1_7vsmem_tEENKUlT_SE_SF_SG_E_clIS8_S8_S9_S9_EESD_ST_SE_SF_SG_EUlST_E1_NS1_11comp_targetILNS1_3genE3ELNS1_11target_archE908ELNS1_3gpuE7ELNS1_3repE0EEENS1_36merge_oddeven_config_static_selectorELNS0_4arch9wavefront6targetE1EEEvSF_.kd
    .uniform_work_group_size: 1
    .uses_dynamic_stack: false
    .vgpr_count:     0
    .vgpr_spill_count: 0
    .wavefront_size: 64
  - .agpr_count:     0
    .args:
      - .offset:         0
        .size:           48
        .value_kind:     by_value
    .group_segment_fixed_size: 0
    .kernarg_segment_align: 8
    .kernarg_segment_size: 48
    .language:       OpenCL C
    .language_version:
      - 2
      - 0
    .max_flat_workgroup_size: 256
    .name:           _ZN7rocprim17ROCPRIM_400000_NS6detail17trampoline_kernelINS0_14default_configENS1_38merge_sort_block_merge_config_selectorIhNS0_10empty_typeEEEZZNS1_27merge_sort_block_merge_implIS3_PhPS5_jNS1_19radix_merge_compareILb1ELb0EhNS0_19identity_decomposerEEEEE10hipError_tT0_T1_T2_jT3_P12ihipStream_tbPNSt15iterator_traitsISE_E10value_typeEPNSK_ISF_E10value_typeEPSG_NS1_7vsmem_tEENKUlT_SE_SF_SG_E_clIS8_S8_S9_S9_EESD_ST_SE_SF_SG_EUlST_E1_NS1_11comp_targetILNS1_3genE2ELNS1_11target_archE906ELNS1_3gpuE6ELNS1_3repE0EEENS1_36merge_oddeven_config_static_selectorELNS0_4arch9wavefront6targetE1EEEvSF_
    .private_segment_fixed_size: 0
    .sgpr_count:     4
    .sgpr_spill_count: 0
    .symbol:         _ZN7rocprim17ROCPRIM_400000_NS6detail17trampoline_kernelINS0_14default_configENS1_38merge_sort_block_merge_config_selectorIhNS0_10empty_typeEEEZZNS1_27merge_sort_block_merge_implIS3_PhPS5_jNS1_19radix_merge_compareILb1ELb0EhNS0_19identity_decomposerEEEEE10hipError_tT0_T1_T2_jT3_P12ihipStream_tbPNSt15iterator_traitsISE_E10value_typeEPNSK_ISF_E10value_typeEPSG_NS1_7vsmem_tEENKUlT_SE_SF_SG_E_clIS8_S8_S9_S9_EESD_ST_SE_SF_SG_EUlST_E1_NS1_11comp_targetILNS1_3genE2ELNS1_11target_archE906ELNS1_3gpuE6ELNS1_3repE0EEENS1_36merge_oddeven_config_static_selectorELNS0_4arch9wavefront6targetE1EEEvSF_.kd
    .uniform_work_group_size: 1
    .uses_dynamic_stack: false
    .vgpr_count:     0
    .vgpr_spill_count: 0
    .wavefront_size: 64
  - .agpr_count:     0
    .args:
      - .offset:         0
        .size:           48
        .value_kind:     by_value
    .group_segment_fixed_size: 0
    .kernarg_segment_align: 8
    .kernarg_segment_size: 48
    .language:       OpenCL C
    .language_version:
      - 2
      - 0
    .max_flat_workgroup_size: 256
    .name:           _ZN7rocprim17ROCPRIM_400000_NS6detail17trampoline_kernelINS0_14default_configENS1_38merge_sort_block_merge_config_selectorIhNS0_10empty_typeEEEZZNS1_27merge_sort_block_merge_implIS3_PhPS5_jNS1_19radix_merge_compareILb1ELb0EhNS0_19identity_decomposerEEEEE10hipError_tT0_T1_T2_jT3_P12ihipStream_tbPNSt15iterator_traitsISE_E10value_typeEPNSK_ISF_E10value_typeEPSG_NS1_7vsmem_tEENKUlT_SE_SF_SG_E_clIS8_S8_S9_S9_EESD_ST_SE_SF_SG_EUlST_E1_NS1_11comp_targetILNS1_3genE9ELNS1_11target_archE1100ELNS1_3gpuE3ELNS1_3repE0EEENS1_36merge_oddeven_config_static_selectorELNS0_4arch9wavefront6targetE1EEEvSF_
    .private_segment_fixed_size: 0
    .sgpr_count:     4
    .sgpr_spill_count: 0
    .symbol:         _ZN7rocprim17ROCPRIM_400000_NS6detail17trampoline_kernelINS0_14default_configENS1_38merge_sort_block_merge_config_selectorIhNS0_10empty_typeEEEZZNS1_27merge_sort_block_merge_implIS3_PhPS5_jNS1_19radix_merge_compareILb1ELb0EhNS0_19identity_decomposerEEEEE10hipError_tT0_T1_T2_jT3_P12ihipStream_tbPNSt15iterator_traitsISE_E10value_typeEPNSK_ISF_E10value_typeEPSG_NS1_7vsmem_tEENKUlT_SE_SF_SG_E_clIS8_S8_S9_S9_EESD_ST_SE_SF_SG_EUlST_E1_NS1_11comp_targetILNS1_3genE9ELNS1_11target_archE1100ELNS1_3gpuE3ELNS1_3repE0EEENS1_36merge_oddeven_config_static_selectorELNS0_4arch9wavefront6targetE1EEEvSF_.kd
    .uniform_work_group_size: 1
    .uses_dynamic_stack: false
    .vgpr_count:     0
    .vgpr_spill_count: 0
    .wavefront_size: 64
  - .agpr_count:     0
    .args:
      - .offset:         0
        .size:           48
        .value_kind:     by_value
    .group_segment_fixed_size: 0
    .kernarg_segment_align: 8
    .kernarg_segment_size: 48
    .language:       OpenCL C
    .language_version:
      - 2
      - 0
    .max_flat_workgroup_size: 256
    .name:           _ZN7rocprim17ROCPRIM_400000_NS6detail17trampoline_kernelINS0_14default_configENS1_38merge_sort_block_merge_config_selectorIhNS0_10empty_typeEEEZZNS1_27merge_sort_block_merge_implIS3_PhPS5_jNS1_19radix_merge_compareILb1ELb0EhNS0_19identity_decomposerEEEEE10hipError_tT0_T1_T2_jT3_P12ihipStream_tbPNSt15iterator_traitsISE_E10value_typeEPNSK_ISF_E10value_typeEPSG_NS1_7vsmem_tEENKUlT_SE_SF_SG_E_clIS8_S8_S9_S9_EESD_ST_SE_SF_SG_EUlST_E1_NS1_11comp_targetILNS1_3genE8ELNS1_11target_archE1030ELNS1_3gpuE2ELNS1_3repE0EEENS1_36merge_oddeven_config_static_selectorELNS0_4arch9wavefront6targetE1EEEvSF_
    .private_segment_fixed_size: 0
    .sgpr_count:     4
    .sgpr_spill_count: 0
    .symbol:         _ZN7rocprim17ROCPRIM_400000_NS6detail17trampoline_kernelINS0_14default_configENS1_38merge_sort_block_merge_config_selectorIhNS0_10empty_typeEEEZZNS1_27merge_sort_block_merge_implIS3_PhPS5_jNS1_19radix_merge_compareILb1ELb0EhNS0_19identity_decomposerEEEEE10hipError_tT0_T1_T2_jT3_P12ihipStream_tbPNSt15iterator_traitsISE_E10value_typeEPNSK_ISF_E10value_typeEPSG_NS1_7vsmem_tEENKUlT_SE_SF_SG_E_clIS8_S8_S9_S9_EESD_ST_SE_SF_SG_EUlST_E1_NS1_11comp_targetILNS1_3genE8ELNS1_11target_archE1030ELNS1_3gpuE2ELNS1_3repE0EEENS1_36merge_oddeven_config_static_selectorELNS0_4arch9wavefront6targetE1EEEvSF_.kd
    .uniform_work_group_size: 1
    .uses_dynamic_stack: false
    .vgpr_count:     0
    .vgpr_spill_count: 0
    .wavefront_size: 64
  - .agpr_count:     0
    .args:
      - .offset:         0
        .size:           40
        .value_kind:     by_value
    .group_segment_fixed_size: 0
    .kernarg_segment_align: 8
    .kernarg_segment_size: 40
    .language:       OpenCL C
    .language_version:
      - 2
      - 0
    .max_flat_workgroup_size: 128
    .name:           _ZN7rocprim17ROCPRIM_400000_NS6detail17trampoline_kernelINS0_14default_configENS1_38merge_sort_block_merge_config_selectorIhNS0_10empty_typeEEEZZNS1_27merge_sort_block_merge_implIS3_PhPS5_jNS1_19radix_merge_compareILb1ELb1EhNS0_19identity_decomposerEEEEE10hipError_tT0_T1_T2_jT3_P12ihipStream_tbPNSt15iterator_traitsISE_E10value_typeEPNSK_ISF_E10value_typeEPSG_NS1_7vsmem_tEENKUlT_SE_SF_SG_E_clIS8_S8_S9_S9_EESD_ST_SE_SF_SG_EUlST_E_NS1_11comp_targetILNS1_3genE0ELNS1_11target_archE4294967295ELNS1_3gpuE0ELNS1_3repE0EEENS1_48merge_mergepath_partition_config_static_selectorELNS0_4arch9wavefront6targetE1EEEvSF_
    .private_segment_fixed_size: 0
    .sgpr_count:     4
    .sgpr_spill_count: 0
    .symbol:         _ZN7rocprim17ROCPRIM_400000_NS6detail17trampoline_kernelINS0_14default_configENS1_38merge_sort_block_merge_config_selectorIhNS0_10empty_typeEEEZZNS1_27merge_sort_block_merge_implIS3_PhPS5_jNS1_19radix_merge_compareILb1ELb1EhNS0_19identity_decomposerEEEEE10hipError_tT0_T1_T2_jT3_P12ihipStream_tbPNSt15iterator_traitsISE_E10value_typeEPNSK_ISF_E10value_typeEPSG_NS1_7vsmem_tEENKUlT_SE_SF_SG_E_clIS8_S8_S9_S9_EESD_ST_SE_SF_SG_EUlST_E_NS1_11comp_targetILNS1_3genE0ELNS1_11target_archE4294967295ELNS1_3gpuE0ELNS1_3repE0EEENS1_48merge_mergepath_partition_config_static_selectorELNS0_4arch9wavefront6targetE1EEEvSF_.kd
    .uniform_work_group_size: 1
    .uses_dynamic_stack: false
    .vgpr_count:     0
    .vgpr_spill_count: 0
    .wavefront_size: 64
  - .agpr_count:     0
    .args:
      - .offset:         0
        .size:           40
        .value_kind:     by_value
    .group_segment_fixed_size: 0
    .kernarg_segment_align: 8
    .kernarg_segment_size: 40
    .language:       OpenCL C
    .language_version:
      - 2
      - 0
    .max_flat_workgroup_size: 128
    .name:           _ZN7rocprim17ROCPRIM_400000_NS6detail17trampoline_kernelINS0_14default_configENS1_38merge_sort_block_merge_config_selectorIhNS0_10empty_typeEEEZZNS1_27merge_sort_block_merge_implIS3_PhPS5_jNS1_19radix_merge_compareILb1ELb1EhNS0_19identity_decomposerEEEEE10hipError_tT0_T1_T2_jT3_P12ihipStream_tbPNSt15iterator_traitsISE_E10value_typeEPNSK_ISF_E10value_typeEPSG_NS1_7vsmem_tEENKUlT_SE_SF_SG_E_clIS8_S8_S9_S9_EESD_ST_SE_SF_SG_EUlST_E_NS1_11comp_targetILNS1_3genE10ELNS1_11target_archE1201ELNS1_3gpuE5ELNS1_3repE0EEENS1_48merge_mergepath_partition_config_static_selectorELNS0_4arch9wavefront6targetE1EEEvSF_
    .private_segment_fixed_size: 0
    .sgpr_count:     4
    .sgpr_spill_count: 0
    .symbol:         _ZN7rocprim17ROCPRIM_400000_NS6detail17trampoline_kernelINS0_14default_configENS1_38merge_sort_block_merge_config_selectorIhNS0_10empty_typeEEEZZNS1_27merge_sort_block_merge_implIS3_PhPS5_jNS1_19radix_merge_compareILb1ELb1EhNS0_19identity_decomposerEEEEE10hipError_tT0_T1_T2_jT3_P12ihipStream_tbPNSt15iterator_traitsISE_E10value_typeEPNSK_ISF_E10value_typeEPSG_NS1_7vsmem_tEENKUlT_SE_SF_SG_E_clIS8_S8_S9_S9_EESD_ST_SE_SF_SG_EUlST_E_NS1_11comp_targetILNS1_3genE10ELNS1_11target_archE1201ELNS1_3gpuE5ELNS1_3repE0EEENS1_48merge_mergepath_partition_config_static_selectorELNS0_4arch9wavefront6targetE1EEEvSF_.kd
    .uniform_work_group_size: 1
    .uses_dynamic_stack: false
    .vgpr_count:     0
    .vgpr_spill_count: 0
    .wavefront_size: 64
  - .agpr_count:     0
    .args:
      - .offset:         0
        .size:           40
        .value_kind:     by_value
    .group_segment_fixed_size: 0
    .kernarg_segment_align: 8
    .kernarg_segment_size: 40
    .language:       OpenCL C
    .language_version:
      - 2
      - 0
    .max_flat_workgroup_size: 128
    .name:           _ZN7rocprim17ROCPRIM_400000_NS6detail17trampoline_kernelINS0_14default_configENS1_38merge_sort_block_merge_config_selectorIhNS0_10empty_typeEEEZZNS1_27merge_sort_block_merge_implIS3_PhPS5_jNS1_19radix_merge_compareILb1ELb1EhNS0_19identity_decomposerEEEEE10hipError_tT0_T1_T2_jT3_P12ihipStream_tbPNSt15iterator_traitsISE_E10value_typeEPNSK_ISF_E10value_typeEPSG_NS1_7vsmem_tEENKUlT_SE_SF_SG_E_clIS8_S8_S9_S9_EESD_ST_SE_SF_SG_EUlST_E_NS1_11comp_targetILNS1_3genE5ELNS1_11target_archE942ELNS1_3gpuE9ELNS1_3repE0EEENS1_48merge_mergepath_partition_config_static_selectorELNS0_4arch9wavefront6targetE1EEEvSF_
    .private_segment_fixed_size: 0
    .sgpr_count:     4
    .sgpr_spill_count: 0
    .symbol:         _ZN7rocprim17ROCPRIM_400000_NS6detail17trampoline_kernelINS0_14default_configENS1_38merge_sort_block_merge_config_selectorIhNS0_10empty_typeEEEZZNS1_27merge_sort_block_merge_implIS3_PhPS5_jNS1_19radix_merge_compareILb1ELb1EhNS0_19identity_decomposerEEEEE10hipError_tT0_T1_T2_jT3_P12ihipStream_tbPNSt15iterator_traitsISE_E10value_typeEPNSK_ISF_E10value_typeEPSG_NS1_7vsmem_tEENKUlT_SE_SF_SG_E_clIS8_S8_S9_S9_EESD_ST_SE_SF_SG_EUlST_E_NS1_11comp_targetILNS1_3genE5ELNS1_11target_archE942ELNS1_3gpuE9ELNS1_3repE0EEENS1_48merge_mergepath_partition_config_static_selectorELNS0_4arch9wavefront6targetE1EEEvSF_.kd
    .uniform_work_group_size: 1
    .uses_dynamic_stack: false
    .vgpr_count:     0
    .vgpr_spill_count: 0
    .wavefront_size: 64
  - .agpr_count:     0
    .args:
      - .offset:         0
        .size:           40
        .value_kind:     by_value
    .group_segment_fixed_size: 0
    .kernarg_segment_align: 8
    .kernarg_segment_size: 40
    .language:       OpenCL C
    .language_version:
      - 2
      - 0
    .max_flat_workgroup_size: 128
    .name:           _ZN7rocprim17ROCPRIM_400000_NS6detail17trampoline_kernelINS0_14default_configENS1_38merge_sort_block_merge_config_selectorIhNS0_10empty_typeEEEZZNS1_27merge_sort_block_merge_implIS3_PhPS5_jNS1_19radix_merge_compareILb1ELb1EhNS0_19identity_decomposerEEEEE10hipError_tT0_T1_T2_jT3_P12ihipStream_tbPNSt15iterator_traitsISE_E10value_typeEPNSK_ISF_E10value_typeEPSG_NS1_7vsmem_tEENKUlT_SE_SF_SG_E_clIS8_S8_S9_S9_EESD_ST_SE_SF_SG_EUlST_E_NS1_11comp_targetILNS1_3genE4ELNS1_11target_archE910ELNS1_3gpuE8ELNS1_3repE0EEENS1_48merge_mergepath_partition_config_static_selectorELNS0_4arch9wavefront6targetE1EEEvSF_
    .private_segment_fixed_size: 0
    .sgpr_count:     14
    .sgpr_spill_count: 0
    .symbol:         _ZN7rocprim17ROCPRIM_400000_NS6detail17trampoline_kernelINS0_14default_configENS1_38merge_sort_block_merge_config_selectorIhNS0_10empty_typeEEEZZNS1_27merge_sort_block_merge_implIS3_PhPS5_jNS1_19radix_merge_compareILb1ELb1EhNS0_19identity_decomposerEEEEE10hipError_tT0_T1_T2_jT3_P12ihipStream_tbPNSt15iterator_traitsISE_E10value_typeEPNSK_ISF_E10value_typeEPSG_NS1_7vsmem_tEENKUlT_SE_SF_SG_E_clIS8_S8_S9_S9_EESD_ST_SE_SF_SG_EUlST_E_NS1_11comp_targetILNS1_3genE4ELNS1_11target_archE910ELNS1_3gpuE8ELNS1_3repE0EEENS1_48merge_mergepath_partition_config_static_selectorELNS0_4arch9wavefront6targetE1EEEvSF_.kd
    .uniform_work_group_size: 1
    .uses_dynamic_stack: false
    .vgpr_count:     16
    .vgpr_spill_count: 0
    .wavefront_size: 64
  - .agpr_count:     0
    .args:
      - .offset:         0
        .size:           40
        .value_kind:     by_value
    .group_segment_fixed_size: 0
    .kernarg_segment_align: 8
    .kernarg_segment_size: 40
    .language:       OpenCL C
    .language_version:
      - 2
      - 0
    .max_flat_workgroup_size: 128
    .name:           _ZN7rocprim17ROCPRIM_400000_NS6detail17trampoline_kernelINS0_14default_configENS1_38merge_sort_block_merge_config_selectorIhNS0_10empty_typeEEEZZNS1_27merge_sort_block_merge_implIS3_PhPS5_jNS1_19radix_merge_compareILb1ELb1EhNS0_19identity_decomposerEEEEE10hipError_tT0_T1_T2_jT3_P12ihipStream_tbPNSt15iterator_traitsISE_E10value_typeEPNSK_ISF_E10value_typeEPSG_NS1_7vsmem_tEENKUlT_SE_SF_SG_E_clIS8_S8_S9_S9_EESD_ST_SE_SF_SG_EUlST_E_NS1_11comp_targetILNS1_3genE3ELNS1_11target_archE908ELNS1_3gpuE7ELNS1_3repE0EEENS1_48merge_mergepath_partition_config_static_selectorELNS0_4arch9wavefront6targetE1EEEvSF_
    .private_segment_fixed_size: 0
    .sgpr_count:     4
    .sgpr_spill_count: 0
    .symbol:         _ZN7rocprim17ROCPRIM_400000_NS6detail17trampoline_kernelINS0_14default_configENS1_38merge_sort_block_merge_config_selectorIhNS0_10empty_typeEEEZZNS1_27merge_sort_block_merge_implIS3_PhPS5_jNS1_19radix_merge_compareILb1ELb1EhNS0_19identity_decomposerEEEEE10hipError_tT0_T1_T2_jT3_P12ihipStream_tbPNSt15iterator_traitsISE_E10value_typeEPNSK_ISF_E10value_typeEPSG_NS1_7vsmem_tEENKUlT_SE_SF_SG_E_clIS8_S8_S9_S9_EESD_ST_SE_SF_SG_EUlST_E_NS1_11comp_targetILNS1_3genE3ELNS1_11target_archE908ELNS1_3gpuE7ELNS1_3repE0EEENS1_48merge_mergepath_partition_config_static_selectorELNS0_4arch9wavefront6targetE1EEEvSF_.kd
    .uniform_work_group_size: 1
    .uses_dynamic_stack: false
    .vgpr_count:     0
    .vgpr_spill_count: 0
    .wavefront_size: 64
  - .agpr_count:     0
    .args:
      - .offset:         0
        .size:           40
        .value_kind:     by_value
    .group_segment_fixed_size: 0
    .kernarg_segment_align: 8
    .kernarg_segment_size: 40
    .language:       OpenCL C
    .language_version:
      - 2
      - 0
    .max_flat_workgroup_size: 128
    .name:           _ZN7rocprim17ROCPRIM_400000_NS6detail17trampoline_kernelINS0_14default_configENS1_38merge_sort_block_merge_config_selectorIhNS0_10empty_typeEEEZZNS1_27merge_sort_block_merge_implIS3_PhPS5_jNS1_19radix_merge_compareILb1ELb1EhNS0_19identity_decomposerEEEEE10hipError_tT0_T1_T2_jT3_P12ihipStream_tbPNSt15iterator_traitsISE_E10value_typeEPNSK_ISF_E10value_typeEPSG_NS1_7vsmem_tEENKUlT_SE_SF_SG_E_clIS8_S8_S9_S9_EESD_ST_SE_SF_SG_EUlST_E_NS1_11comp_targetILNS1_3genE2ELNS1_11target_archE906ELNS1_3gpuE6ELNS1_3repE0EEENS1_48merge_mergepath_partition_config_static_selectorELNS0_4arch9wavefront6targetE1EEEvSF_
    .private_segment_fixed_size: 0
    .sgpr_count:     4
    .sgpr_spill_count: 0
    .symbol:         _ZN7rocprim17ROCPRIM_400000_NS6detail17trampoline_kernelINS0_14default_configENS1_38merge_sort_block_merge_config_selectorIhNS0_10empty_typeEEEZZNS1_27merge_sort_block_merge_implIS3_PhPS5_jNS1_19radix_merge_compareILb1ELb1EhNS0_19identity_decomposerEEEEE10hipError_tT0_T1_T2_jT3_P12ihipStream_tbPNSt15iterator_traitsISE_E10value_typeEPNSK_ISF_E10value_typeEPSG_NS1_7vsmem_tEENKUlT_SE_SF_SG_E_clIS8_S8_S9_S9_EESD_ST_SE_SF_SG_EUlST_E_NS1_11comp_targetILNS1_3genE2ELNS1_11target_archE906ELNS1_3gpuE6ELNS1_3repE0EEENS1_48merge_mergepath_partition_config_static_selectorELNS0_4arch9wavefront6targetE1EEEvSF_.kd
    .uniform_work_group_size: 1
    .uses_dynamic_stack: false
    .vgpr_count:     0
    .vgpr_spill_count: 0
    .wavefront_size: 64
  - .agpr_count:     0
    .args:
      - .offset:         0
        .size:           40
        .value_kind:     by_value
    .group_segment_fixed_size: 0
    .kernarg_segment_align: 8
    .kernarg_segment_size: 40
    .language:       OpenCL C
    .language_version:
      - 2
      - 0
    .max_flat_workgroup_size: 128
    .name:           _ZN7rocprim17ROCPRIM_400000_NS6detail17trampoline_kernelINS0_14default_configENS1_38merge_sort_block_merge_config_selectorIhNS0_10empty_typeEEEZZNS1_27merge_sort_block_merge_implIS3_PhPS5_jNS1_19radix_merge_compareILb1ELb1EhNS0_19identity_decomposerEEEEE10hipError_tT0_T1_T2_jT3_P12ihipStream_tbPNSt15iterator_traitsISE_E10value_typeEPNSK_ISF_E10value_typeEPSG_NS1_7vsmem_tEENKUlT_SE_SF_SG_E_clIS8_S8_S9_S9_EESD_ST_SE_SF_SG_EUlST_E_NS1_11comp_targetILNS1_3genE9ELNS1_11target_archE1100ELNS1_3gpuE3ELNS1_3repE0EEENS1_48merge_mergepath_partition_config_static_selectorELNS0_4arch9wavefront6targetE1EEEvSF_
    .private_segment_fixed_size: 0
    .sgpr_count:     4
    .sgpr_spill_count: 0
    .symbol:         _ZN7rocprim17ROCPRIM_400000_NS6detail17trampoline_kernelINS0_14default_configENS1_38merge_sort_block_merge_config_selectorIhNS0_10empty_typeEEEZZNS1_27merge_sort_block_merge_implIS3_PhPS5_jNS1_19radix_merge_compareILb1ELb1EhNS0_19identity_decomposerEEEEE10hipError_tT0_T1_T2_jT3_P12ihipStream_tbPNSt15iterator_traitsISE_E10value_typeEPNSK_ISF_E10value_typeEPSG_NS1_7vsmem_tEENKUlT_SE_SF_SG_E_clIS8_S8_S9_S9_EESD_ST_SE_SF_SG_EUlST_E_NS1_11comp_targetILNS1_3genE9ELNS1_11target_archE1100ELNS1_3gpuE3ELNS1_3repE0EEENS1_48merge_mergepath_partition_config_static_selectorELNS0_4arch9wavefront6targetE1EEEvSF_.kd
    .uniform_work_group_size: 1
    .uses_dynamic_stack: false
    .vgpr_count:     0
    .vgpr_spill_count: 0
    .wavefront_size: 64
  - .agpr_count:     0
    .args:
      - .offset:         0
        .size:           40
        .value_kind:     by_value
    .group_segment_fixed_size: 0
    .kernarg_segment_align: 8
    .kernarg_segment_size: 40
    .language:       OpenCL C
    .language_version:
      - 2
      - 0
    .max_flat_workgroup_size: 128
    .name:           _ZN7rocprim17ROCPRIM_400000_NS6detail17trampoline_kernelINS0_14default_configENS1_38merge_sort_block_merge_config_selectorIhNS0_10empty_typeEEEZZNS1_27merge_sort_block_merge_implIS3_PhPS5_jNS1_19radix_merge_compareILb1ELb1EhNS0_19identity_decomposerEEEEE10hipError_tT0_T1_T2_jT3_P12ihipStream_tbPNSt15iterator_traitsISE_E10value_typeEPNSK_ISF_E10value_typeEPSG_NS1_7vsmem_tEENKUlT_SE_SF_SG_E_clIS8_S8_S9_S9_EESD_ST_SE_SF_SG_EUlST_E_NS1_11comp_targetILNS1_3genE8ELNS1_11target_archE1030ELNS1_3gpuE2ELNS1_3repE0EEENS1_48merge_mergepath_partition_config_static_selectorELNS0_4arch9wavefront6targetE1EEEvSF_
    .private_segment_fixed_size: 0
    .sgpr_count:     4
    .sgpr_spill_count: 0
    .symbol:         _ZN7rocprim17ROCPRIM_400000_NS6detail17trampoline_kernelINS0_14default_configENS1_38merge_sort_block_merge_config_selectorIhNS0_10empty_typeEEEZZNS1_27merge_sort_block_merge_implIS3_PhPS5_jNS1_19radix_merge_compareILb1ELb1EhNS0_19identity_decomposerEEEEE10hipError_tT0_T1_T2_jT3_P12ihipStream_tbPNSt15iterator_traitsISE_E10value_typeEPNSK_ISF_E10value_typeEPSG_NS1_7vsmem_tEENKUlT_SE_SF_SG_E_clIS8_S8_S9_S9_EESD_ST_SE_SF_SG_EUlST_E_NS1_11comp_targetILNS1_3genE8ELNS1_11target_archE1030ELNS1_3gpuE2ELNS1_3repE0EEENS1_48merge_mergepath_partition_config_static_selectorELNS0_4arch9wavefront6targetE1EEEvSF_.kd
    .uniform_work_group_size: 1
    .uses_dynamic_stack: false
    .vgpr_count:     0
    .vgpr_spill_count: 0
    .wavefront_size: 64
  - .agpr_count:     0
    .args:
      - .offset:         0
        .size:           64
        .value_kind:     by_value
    .group_segment_fixed_size: 0
    .kernarg_segment_align: 8
    .kernarg_segment_size: 64
    .language:       OpenCL C
    .language_version:
      - 2
      - 0
    .max_flat_workgroup_size: 128
    .name:           _ZN7rocprim17ROCPRIM_400000_NS6detail17trampoline_kernelINS0_14default_configENS1_38merge_sort_block_merge_config_selectorIhNS0_10empty_typeEEEZZNS1_27merge_sort_block_merge_implIS3_PhPS5_jNS1_19radix_merge_compareILb1ELb1EhNS0_19identity_decomposerEEEEE10hipError_tT0_T1_T2_jT3_P12ihipStream_tbPNSt15iterator_traitsISE_E10value_typeEPNSK_ISF_E10value_typeEPSG_NS1_7vsmem_tEENKUlT_SE_SF_SG_E_clIS8_S8_S9_S9_EESD_ST_SE_SF_SG_EUlST_E0_NS1_11comp_targetILNS1_3genE0ELNS1_11target_archE4294967295ELNS1_3gpuE0ELNS1_3repE0EEENS1_38merge_mergepath_config_static_selectorELNS0_4arch9wavefront6targetE1EEEvSF_
    .private_segment_fixed_size: 0
    .sgpr_count:     4
    .sgpr_spill_count: 0
    .symbol:         _ZN7rocprim17ROCPRIM_400000_NS6detail17trampoline_kernelINS0_14default_configENS1_38merge_sort_block_merge_config_selectorIhNS0_10empty_typeEEEZZNS1_27merge_sort_block_merge_implIS3_PhPS5_jNS1_19radix_merge_compareILb1ELb1EhNS0_19identity_decomposerEEEEE10hipError_tT0_T1_T2_jT3_P12ihipStream_tbPNSt15iterator_traitsISE_E10value_typeEPNSK_ISF_E10value_typeEPSG_NS1_7vsmem_tEENKUlT_SE_SF_SG_E_clIS8_S8_S9_S9_EESD_ST_SE_SF_SG_EUlST_E0_NS1_11comp_targetILNS1_3genE0ELNS1_11target_archE4294967295ELNS1_3gpuE0ELNS1_3repE0EEENS1_38merge_mergepath_config_static_selectorELNS0_4arch9wavefront6targetE1EEEvSF_.kd
    .uniform_work_group_size: 1
    .uses_dynamic_stack: false
    .vgpr_count:     0
    .vgpr_spill_count: 0
    .wavefront_size: 64
  - .agpr_count:     0
    .args:
      - .offset:         0
        .size:           64
        .value_kind:     by_value
    .group_segment_fixed_size: 0
    .kernarg_segment_align: 8
    .kernarg_segment_size: 64
    .language:       OpenCL C
    .language_version:
      - 2
      - 0
    .max_flat_workgroup_size: 128
    .name:           _ZN7rocprim17ROCPRIM_400000_NS6detail17trampoline_kernelINS0_14default_configENS1_38merge_sort_block_merge_config_selectorIhNS0_10empty_typeEEEZZNS1_27merge_sort_block_merge_implIS3_PhPS5_jNS1_19radix_merge_compareILb1ELb1EhNS0_19identity_decomposerEEEEE10hipError_tT0_T1_T2_jT3_P12ihipStream_tbPNSt15iterator_traitsISE_E10value_typeEPNSK_ISF_E10value_typeEPSG_NS1_7vsmem_tEENKUlT_SE_SF_SG_E_clIS8_S8_S9_S9_EESD_ST_SE_SF_SG_EUlST_E0_NS1_11comp_targetILNS1_3genE10ELNS1_11target_archE1201ELNS1_3gpuE5ELNS1_3repE0EEENS1_38merge_mergepath_config_static_selectorELNS0_4arch9wavefront6targetE1EEEvSF_
    .private_segment_fixed_size: 0
    .sgpr_count:     4
    .sgpr_spill_count: 0
    .symbol:         _ZN7rocprim17ROCPRIM_400000_NS6detail17trampoline_kernelINS0_14default_configENS1_38merge_sort_block_merge_config_selectorIhNS0_10empty_typeEEEZZNS1_27merge_sort_block_merge_implIS3_PhPS5_jNS1_19radix_merge_compareILb1ELb1EhNS0_19identity_decomposerEEEEE10hipError_tT0_T1_T2_jT3_P12ihipStream_tbPNSt15iterator_traitsISE_E10value_typeEPNSK_ISF_E10value_typeEPSG_NS1_7vsmem_tEENKUlT_SE_SF_SG_E_clIS8_S8_S9_S9_EESD_ST_SE_SF_SG_EUlST_E0_NS1_11comp_targetILNS1_3genE10ELNS1_11target_archE1201ELNS1_3gpuE5ELNS1_3repE0EEENS1_38merge_mergepath_config_static_selectorELNS0_4arch9wavefront6targetE1EEEvSF_.kd
    .uniform_work_group_size: 1
    .uses_dynamic_stack: false
    .vgpr_count:     0
    .vgpr_spill_count: 0
    .wavefront_size: 64
  - .agpr_count:     0
    .args:
      - .offset:         0
        .size:           64
        .value_kind:     by_value
    .group_segment_fixed_size: 0
    .kernarg_segment_align: 8
    .kernarg_segment_size: 64
    .language:       OpenCL C
    .language_version:
      - 2
      - 0
    .max_flat_workgroup_size: 128
    .name:           _ZN7rocprim17ROCPRIM_400000_NS6detail17trampoline_kernelINS0_14default_configENS1_38merge_sort_block_merge_config_selectorIhNS0_10empty_typeEEEZZNS1_27merge_sort_block_merge_implIS3_PhPS5_jNS1_19radix_merge_compareILb1ELb1EhNS0_19identity_decomposerEEEEE10hipError_tT0_T1_T2_jT3_P12ihipStream_tbPNSt15iterator_traitsISE_E10value_typeEPNSK_ISF_E10value_typeEPSG_NS1_7vsmem_tEENKUlT_SE_SF_SG_E_clIS8_S8_S9_S9_EESD_ST_SE_SF_SG_EUlST_E0_NS1_11comp_targetILNS1_3genE5ELNS1_11target_archE942ELNS1_3gpuE9ELNS1_3repE0EEENS1_38merge_mergepath_config_static_selectorELNS0_4arch9wavefront6targetE1EEEvSF_
    .private_segment_fixed_size: 0
    .sgpr_count:     4
    .sgpr_spill_count: 0
    .symbol:         _ZN7rocprim17ROCPRIM_400000_NS6detail17trampoline_kernelINS0_14default_configENS1_38merge_sort_block_merge_config_selectorIhNS0_10empty_typeEEEZZNS1_27merge_sort_block_merge_implIS3_PhPS5_jNS1_19radix_merge_compareILb1ELb1EhNS0_19identity_decomposerEEEEE10hipError_tT0_T1_T2_jT3_P12ihipStream_tbPNSt15iterator_traitsISE_E10value_typeEPNSK_ISF_E10value_typeEPSG_NS1_7vsmem_tEENKUlT_SE_SF_SG_E_clIS8_S8_S9_S9_EESD_ST_SE_SF_SG_EUlST_E0_NS1_11comp_targetILNS1_3genE5ELNS1_11target_archE942ELNS1_3gpuE9ELNS1_3repE0EEENS1_38merge_mergepath_config_static_selectorELNS0_4arch9wavefront6targetE1EEEvSF_.kd
    .uniform_work_group_size: 1
    .uses_dynamic_stack: false
    .vgpr_count:     0
    .vgpr_spill_count: 0
    .wavefront_size: 64
  - .agpr_count:     0
    .args:
      - .offset:         0
        .size:           64
        .value_kind:     by_value
      - .offset:         64
        .size:           4
        .value_kind:     hidden_block_count_x
      - .offset:         68
        .size:           4
        .value_kind:     hidden_block_count_y
      - .offset:         72
        .size:           4
        .value_kind:     hidden_block_count_z
      - .offset:         76
        .size:           2
        .value_kind:     hidden_group_size_x
      - .offset:         78
        .size:           2
        .value_kind:     hidden_group_size_y
      - .offset:         80
        .size:           2
        .value_kind:     hidden_group_size_z
      - .offset:         82
        .size:           2
        .value_kind:     hidden_remainder_x
      - .offset:         84
        .size:           2
        .value_kind:     hidden_remainder_y
      - .offset:         86
        .size:           2
        .value_kind:     hidden_remainder_z
      - .offset:         104
        .size:           8
        .value_kind:     hidden_global_offset_x
      - .offset:         112
        .size:           8
        .value_kind:     hidden_global_offset_y
      - .offset:         120
        .size:           8
        .value_kind:     hidden_global_offset_z
      - .offset:         128
        .size:           2
        .value_kind:     hidden_grid_dims
    .group_segment_fixed_size: 1056
    .kernarg_segment_align: 8
    .kernarg_segment_size: 320
    .language:       OpenCL C
    .language_version:
      - 2
      - 0
    .max_flat_workgroup_size: 128
    .name:           _ZN7rocprim17ROCPRIM_400000_NS6detail17trampoline_kernelINS0_14default_configENS1_38merge_sort_block_merge_config_selectorIhNS0_10empty_typeEEEZZNS1_27merge_sort_block_merge_implIS3_PhPS5_jNS1_19radix_merge_compareILb1ELb1EhNS0_19identity_decomposerEEEEE10hipError_tT0_T1_T2_jT3_P12ihipStream_tbPNSt15iterator_traitsISE_E10value_typeEPNSK_ISF_E10value_typeEPSG_NS1_7vsmem_tEENKUlT_SE_SF_SG_E_clIS8_S8_S9_S9_EESD_ST_SE_SF_SG_EUlST_E0_NS1_11comp_targetILNS1_3genE4ELNS1_11target_archE910ELNS1_3gpuE8ELNS1_3repE0EEENS1_38merge_mergepath_config_static_selectorELNS0_4arch9wavefront6targetE1EEEvSF_
    .private_segment_fixed_size: 0
    .sgpr_count:     30
    .sgpr_spill_count: 0
    .symbol:         _ZN7rocprim17ROCPRIM_400000_NS6detail17trampoline_kernelINS0_14default_configENS1_38merge_sort_block_merge_config_selectorIhNS0_10empty_typeEEEZZNS1_27merge_sort_block_merge_implIS3_PhPS5_jNS1_19radix_merge_compareILb1ELb1EhNS0_19identity_decomposerEEEEE10hipError_tT0_T1_T2_jT3_P12ihipStream_tbPNSt15iterator_traitsISE_E10value_typeEPNSK_ISF_E10value_typeEPSG_NS1_7vsmem_tEENKUlT_SE_SF_SG_E_clIS8_S8_S9_S9_EESD_ST_SE_SF_SG_EUlST_E0_NS1_11comp_targetILNS1_3genE4ELNS1_11target_archE910ELNS1_3gpuE8ELNS1_3repE0EEENS1_38merge_mergepath_config_static_selectorELNS0_4arch9wavefront6targetE1EEEvSF_.kd
    .uniform_work_group_size: 1
    .uses_dynamic_stack: false
    .vgpr_count:     28
    .vgpr_spill_count: 0
    .wavefront_size: 64
  - .agpr_count:     0
    .args:
      - .offset:         0
        .size:           64
        .value_kind:     by_value
    .group_segment_fixed_size: 0
    .kernarg_segment_align: 8
    .kernarg_segment_size: 64
    .language:       OpenCL C
    .language_version:
      - 2
      - 0
    .max_flat_workgroup_size: 128
    .name:           _ZN7rocprim17ROCPRIM_400000_NS6detail17trampoline_kernelINS0_14default_configENS1_38merge_sort_block_merge_config_selectorIhNS0_10empty_typeEEEZZNS1_27merge_sort_block_merge_implIS3_PhPS5_jNS1_19radix_merge_compareILb1ELb1EhNS0_19identity_decomposerEEEEE10hipError_tT0_T1_T2_jT3_P12ihipStream_tbPNSt15iterator_traitsISE_E10value_typeEPNSK_ISF_E10value_typeEPSG_NS1_7vsmem_tEENKUlT_SE_SF_SG_E_clIS8_S8_S9_S9_EESD_ST_SE_SF_SG_EUlST_E0_NS1_11comp_targetILNS1_3genE3ELNS1_11target_archE908ELNS1_3gpuE7ELNS1_3repE0EEENS1_38merge_mergepath_config_static_selectorELNS0_4arch9wavefront6targetE1EEEvSF_
    .private_segment_fixed_size: 0
    .sgpr_count:     4
    .sgpr_spill_count: 0
    .symbol:         _ZN7rocprim17ROCPRIM_400000_NS6detail17trampoline_kernelINS0_14default_configENS1_38merge_sort_block_merge_config_selectorIhNS0_10empty_typeEEEZZNS1_27merge_sort_block_merge_implIS3_PhPS5_jNS1_19radix_merge_compareILb1ELb1EhNS0_19identity_decomposerEEEEE10hipError_tT0_T1_T2_jT3_P12ihipStream_tbPNSt15iterator_traitsISE_E10value_typeEPNSK_ISF_E10value_typeEPSG_NS1_7vsmem_tEENKUlT_SE_SF_SG_E_clIS8_S8_S9_S9_EESD_ST_SE_SF_SG_EUlST_E0_NS1_11comp_targetILNS1_3genE3ELNS1_11target_archE908ELNS1_3gpuE7ELNS1_3repE0EEENS1_38merge_mergepath_config_static_selectorELNS0_4arch9wavefront6targetE1EEEvSF_.kd
    .uniform_work_group_size: 1
    .uses_dynamic_stack: false
    .vgpr_count:     0
    .vgpr_spill_count: 0
    .wavefront_size: 64
  - .agpr_count:     0
    .args:
      - .offset:         0
        .size:           64
        .value_kind:     by_value
    .group_segment_fixed_size: 0
    .kernarg_segment_align: 8
    .kernarg_segment_size: 64
    .language:       OpenCL C
    .language_version:
      - 2
      - 0
    .max_flat_workgroup_size: 128
    .name:           _ZN7rocprim17ROCPRIM_400000_NS6detail17trampoline_kernelINS0_14default_configENS1_38merge_sort_block_merge_config_selectorIhNS0_10empty_typeEEEZZNS1_27merge_sort_block_merge_implIS3_PhPS5_jNS1_19radix_merge_compareILb1ELb1EhNS0_19identity_decomposerEEEEE10hipError_tT0_T1_T2_jT3_P12ihipStream_tbPNSt15iterator_traitsISE_E10value_typeEPNSK_ISF_E10value_typeEPSG_NS1_7vsmem_tEENKUlT_SE_SF_SG_E_clIS8_S8_S9_S9_EESD_ST_SE_SF_SG_EUlST_E0_NS1_11comp_targetILNS1_3genE2ELNS1_11target_archE906ELNS1_3gpuE6ELNS1_3repE0EEENS1_38merge_mergepath_config_static_selectorELNS0_4arch9wavefront6targetE1EEEvSF_
    .private_segment_fixed_size: 0
    .sgpr_count:     4
    .sgpr_spill_count: 0
    .symbol:         _ZN7rocprim17ROCPRIM_400000_NS6detail17trampoline_kernelINS0_14default_configENS1_38merge_sort_block_merge_config_selectorIhNS0_10empty_typeEEEZZNS1_27merge_sort_block_merge_implIS3_PhPS5_jNS1_19radix_merge_compareILb1ELb1EhNS0_19identity_decomposerEEEEE10hipError_tT0_T1_T2_jT3_P12ihipStream_tbPNSt15iterator_traitsISE_E10value_typeEPNSK_ISF_E10value_typeEPSG_NS1_7vsmem_tEENKUlT_SE_SF_SG_E_clIS8_S8_S9_S9_EESD_ST_SE_SF_SG_EUlST_E0_NS1_11comp_targetILNS1_3genE2ELNS1_11target_archE906ELNS1_3gpuE6ELNS1_3repE0EEENS1_38merge_mergepath_config_static_selectorELNS0_4arch9wavefront6targetE1EEEvSF_.kd
    .uniform_work_group_size: 1
    .uses_dynamic_stack: false
    .vgpr_count:     0
    .vgpr_spill_count: 0
    .wavefront_size: 64
  - .agpr_count:     0
    .args:
      - .offset:         0
        .size:           64
        .value_kind:     by_value
    .group_segment_fixed_size: 0
    .kernarg_segment_align: 8
    .kernarg_segment_size: 64
    .language:       OpenCL C
    .language_version:
      - 2
      - 0
    .max_flat_workgroup_size: 128
    .name:           _ZN7rocprim17ROCPRIM_400000_NS6detail17trampoline_kernelINS0_14default_configENS1_38merge_sort_block_merge_config_selectorIhNS0_10empty_typeEEEZZNS1_27merge_sort_block_merge_implIS3_PhPS5_jNS1_19radix_merge_compareILb1ELb1EhNS0_19identity_decomposerEEEEE10hipError_tT0_T1_T2_jT3_P12ihipStream_tbPNSt15iterator_traitsISE_E10value_typeEPNSK_ISF_E10value_typeEPSG_NS1_7vsmem_tEENKUlT_SE_SF_SG_E_clIS8_S8_S9_S9_EESD_ST_SE_SF_SG_EUlST_E0_NS1_11comp_targetILNS1_3genE9ELNS1_11target_archE1100ELNS1_3gpuE3ELNS1_3repE0EEENS1_38merge_mergepath_config_static_selectorELNS0_4arch9wavefront6targetE1EEEvSF_
    .private_segment_fixed_size: 0
    .sgpr_count:     4
    .sgpr_spill_count: 0
    .symbol:         _ZN7rocprim17ROCPRIM_400000_NS6detail17trampoline_kernelINS0_14default_configENS1_38merge_sort_block_merge_config_selectorIhNS0_10empty_typeEEEZZNS1_27merge_sort_block_merge_implIS3_PhPS5_jNS1_19radix_merge_compareILb1ELb1EhNS0_19identity_decomposerEEEEE10hipError_tT0_T1_T2_jT3_P12ihipStream_tbPNSt15iterator_traitsISE_E10value_typeEPNSK_ISF_E10value_typeEPSG_NS1_7vsmem_tEENKUlT_SE_SF_SG_E_clIS8_S8_S9_S9_EESD_ST_SE_SF_SG_EUlST_E0_NS1_11comp_targetILNS1_3genE9ELNS1_11target_archE1100ELNS1_3gpuE3ELNS1_3repE0EEENS1_38merge_mergepath_config_static_selectorELNS0_4arch9wavefront6targetE1EEEvSF_.kd
    .uniform_work_group_size: 1
    .uses_dynamic_stack: false
    .vgpr_count:     0
    .vgpr_spill_count: 0
    .wavefront_size: 64
  - .agpr_count:     0
    .args:
      - .offset:         0
        .size:           64
        .value_kind:     by_value
    .group_segment_fixed_size: 0
    .kernarg_segment_align: 8
    .kernarg_segment_size: 64
    .language:       OpenCL C
    .language_version:
      - 2
      - 0
    .max_flat_workgroup_size: 128
    .name:           _ZN7rocprim17ROCPRIM_400000_NS6detail17trampoline_kernelINS0_14default_configENS1_38merge_sort_block_merge_config_selectorIhNS0_10empty_typeEEEZZNS1_27merge_sort_block_merge_implIS3_PhPS5_jNS1_19radix_merge_compareILb1ELb1EhNS0_19identity_decomposerEEEEE10hipError_tT0_T1_T2_jT3_P12ihipStream_tbPNSt15iterator_traitsISE_E10value_typeEPNSK_ISF_E10value_typeEPSG_NS1_7vsmem_tEENKUlT_SE_SF_SG_E_clIS8_S8_S9_S9_EESD_ST_SE_SF_SG_EUlST_E0_NS1_11comp_targetILNS1_3genE8ELNS1_11target_archE1030ELNS1_3gpuE2ELNS1_3repE0EEENS1_38merge_mergepath_config_static_selectorELNS0_4arch9wavefront6targetE1EEEvSF_
    .private_segment_fixed_size: 0
    .sgpr_count:     4
    .sgpr_spill_count: 0
    .symbol:         _ZN7rocprim17ROCPRIM_400000_NS6detail17trampoline_kernelINS0_14default_configENS1_38merge_sort_block_merge_config_selectorIhNS0_10empty_typeEEEZZNS1_27merge_sort_block_merge_implIS3_PhPS5_jNS1_19radix_merge_compareILb1ELb1EhNS0_19identity_decomposerEEEEE10hipError_tT0_T1_T2_jT3_P12ihipStream_tbPNSt15iterator_traitsISE_E10value_typeEPNSK_ISF_E10value_typeEPSG_NS1_7vsmem_tEENKUlT_SE_SF_SG_E_clIS8_S8_S9_S9_EESD_ST_SE_SF_SG_EUlST_E0_NS1_11comp_targetILNS1_3genE8ELNS1_11target_archE1030ELNS1_3gpuE2ELNS1_3repE0EEENS1_38merge_mergepath_config_static_selectorELNS0_4arch9wavefront6targetE1EEEvSF_.kd
    .uniform_work_group_size: 1
    .uses_dynamic_stack: false
    .vgpr_count:     0
    .vgpr_spill_count: 0
    .wavefront_size: 64
  - .agpr_count:     0
    .args:
      - .offset:         0
        .size:           48
        .value_kind:     by_value
    .group_segment_fixed_size: 0
    .kernarg_segment_align: 8
    .kernarg_segment_size: 48
    .language:       OpenCL C
    .language_version:
      - 2
      - 0
    .max_flat_workgroup_size: 256
    .name:           _ZN7rocprim17ROCPRIM_400000_NS6detail17trampoline_kernelINS0_14default_configENS1_38merge_sort_block_merge_config_selectorIhNS0_10empty_typeEEEZZNS1_27merge_sort_block_merge_implIS3_PhPS5_jNS1_19radix_merge_compareILb1ELb1EhNS0_19identity_decomposerEEEEE10hipError_tT0_T1_T2_jT3_P12ihipStream_tbPNSt15iterator_traitsISE_E10value_typeEPNSK_ISF_E10value_typeEPSG_NS1_7vsmem_tEENKUlT_SE_SF_SG_E_clIS8_S8_S9_S9_EESD_ST_SE_SF_SG_EUlST_E1_NS1_11comp_targetILNS1_3genE0ELNS1_11target_archE4294967295ELNS1_3gpuE0ELNS1_3repE0EEENS1_36merge_oddeven_config_static_selectorELNS0_4arch9wavefront6targetE1EEEvSF_
    .private_segment_fixed_size: 0
    .sgpr_count:     4
    .sgpr_spill_count: 0
    .symbol:         _ZN7rocprim17ROCPRIM_400000_NS6detail17trampoline_kernelINS0_14default_configENS1_38merge_sort_block_merge_config_selectorIhNS0_10empty_typeEEEZZNS1_27merge_sort_block_merge_implIS3_PhPS5_jNS1_19radix_merge_compareILb1ELb1EhNS0_19identity_decomposerEEEEE10hipError_tT0_T1_T2_jT3_P12ihipStream_tbPNSt15iterator_traitsISE_E10value_typeEPNSK_ISF_E10value_typeEPSG_NS1_7vsmem_tEENKUlT_SE_SF_SG_E_clIS8_S8_S9_S9_EESD_ST_SE_SF_SG_EUlST_E1_NS1_11comp_targetILNS1_3genE0ELNS1_11target_archE4294967295ELNS1_3gpuE0ELNS1_3repE0EEENS1_36merge_oddeven_config_static_selectorELNS0_4arch9wavefront6targetE1EEEvSF_.kd
    .uniform_work_group_size: 1
    .uses_dynamic_stack: false
    .vgpr_count:     0
    .vgpr_spill_count: 0
    .wavefront_size: 64
  - .agpr_count:     0
    .args:
      - .offset:         0
        .size:           48
        .value_kind:     by_value
    .group_segment_fixed_size: 0
    .kernarg_segment_align: 8
    .kernarg_segment_size: 48
    .language:       OpenCL C
    .language_version:
      - 2
      - 0
    .max_flat_workgroup_size: 256
    .name:           _ZN7rocprim17ROCPRIM_400000_NS6detail17trampoline_kernelINS0_14default_configENS1_38merge_sort_block_merge_config_selectorIhNS0_10empty_typeEEEZZNS1_27merge_sort_block_merge_implIS3_PhPS5_jNS1_19radix_merge_compareILb1ELb1EhNS0_19identity_decomposerEEEEE10hipError_tT0_T1_T2_jT3_P12ihipStream_tbPNSt15iterator_traitsISE_E10value_typeEPNSK_ISF_E10value_typeEPSG_NS1_7vsmem_tEENKUlT_SE_SF_SG_E_clIS8_S8_S9_S9_EESD_ST_SE_SF_SG_EUlST_E1_NS1_11comp_targetILNS1_3genE10ELNS1_11target_archE1201ELNS1_3gpuE5ELNS1_3repE0EEENS1_36merge_oddeven_config_static_selectorELNS0_4arch9wavefront6targetE1EEEvSF_
    .private_segment_fixed_size: 0
    .sgpr_count:     4
    .sgpr_spill_count: 0
    .symbol:         _ZN7rocprim17ROCPRIM_400000_NS6detail17trampoline_kernelINS0_14default_configENS1_38merge_sort_block_merge_config_selectorIhNS0_10empty_typeEEEZZNS1_27merge_sort_block_merge_implIS3_PhPS5_jNS1_19radix_merge_compareILb1ELb1EhNS0_19identity_decomposerEEEEE10hipError_tT0_T1_T2_jT3_P12ihipStream_tbPNSt15iterator_traitsISE_E10value_typeEPNSK_ISF_E10value_typeEPSG_NS1_7vsmem_tEENKUlT_SE_SF_SG_E_clIS8_S8_S9_S9_EESD_ST_SE_SF_SG_EUlST_E1_NS1_11comp_targetILNS1_3genE10ELNS1_11target_archE1201ELNS1_3gpuE5ELNS1_3repE0EEENS1_36merge_oddeven_config_static_selectorELNS0_4arch9wavefront6targetE1EEEvSF_.kd
    .uniform_work_group_size: 1
    .uses_dynamic_stack: false
    .vgpr_count:     0
    .vgpr_spill_count: 0
    .wavefront_size: 64
  - .agpr_count:     0
    .args:
      - .offset:         0
        .size:           48
        .value_kind:     by_value
    .group_segment_fixed_size: 0
    .kernarg_segment_align: 8
    .kernarg_segment_size: 48
    .language:       OpenCL C
    .language_version:
      - 2
      - 0
    .max_flat_workgroup_size: 256
    .name:           _ZN7rocprim17ROCPRIM_400000_NS6detail17trampoline_kernelINS0_14default_configENS1_38merge_sort_block_merge_config_selectorIhNS0_10empty_typeEEEZZNS1_27merge_sort_block_merge_implIS3_PhPS5_jNS1_19radix_merge_compareILb1ELb1EhNS0_19identity_decomposerEEEEE10hipError_tT0_T1_T2_jT3_P12ihipStream_tbPNSt15iterator_traitsISE_E10value_typeEPNSK_ISF_E10value_typeEPSG_NS1_7vsmem_tEENKUlT_SE_SF_SG_E_clIS8_S8_S9_S9_EESD_ST_SE_SF_SG_EUlST_E1_NS1_11comp_targetILNS1_3genE5ELNS1_11target_archE942ELNS1_3gpuE9ELNS1_3repE0EEENS1_36merge_oddeven_config_static_selectorELNS0_4arch9wavefront6targetE1EEEvSF_
    .private_segment_fixed_size: 0
    .sgpr_count:     4
    .sgpr_spill_count: 0
    .symbol:         _ZN7rocprim17ROCPRIM_400000_NS6detail17trampoline_kernelINS0_14default_configENS1_38merge_sort_block_merge_config_selectorIhNS0_10empty_typeEEEZZNS1_27merge_sort_block_merge_implIS3_PhPS5_jNS1_19radix_merge_compareILb1ELb1EhNS0_19identity_decomposerEEEEE10hipError_tT0_T1_T2_jT3_P12ihipStream_tbPNSt15iterator_traitsISE_E10value_typeEPNSK_ISF_E10value_typeEPSG_NS1_7vsmem_tEENKUlT_SE_SF_SG_E_clIS8_S8_S9_S9_EESD_ST_SE_SF_SG_EUlST_E1_NS1_11comp_targetILNS1_3genE5ELNS1_11target_archE942ELNS1_3gpuE9ELNS1_3repE0EEENS1_36merge_oddeven_config_static_selectorELNS0_4arch9wavefront6targetE1EEEvSF_.kd
    .uniform_work_group_size: 1
    .uses_dynamic_stack: false
    .vgpr_count:     0
    .vgpr_spill_count: 0
    .wavefront_size: 64
  - .agpr_count:     0
    .args:
      - .offset:         0
        .size:           48
        .value_kind:     by_value
    .group_segment_fixed_size: 0
    .kernarg_segment_align: 8
    .kernarg_segment_size: 48
    .language:       OpenCL C
    .language_version:
      - 2
      - 0
    .max_flat_workgroup_size: 256
    .name:           _ZN7rocprim17ROCPRIM_400000_NS6detail17trampoline_kernelINS0_14default_configENS1_38merge_sort_block_merge_config_selectorIhNS0_10empty_typeEEEZZNS1_27merge_sort_block_merge_implIS3_PhPS5_jNS1_19radix_merge_compareILb1ELb1EhNS0_19identity_decomposerEEEEE10hipError_tT0_T1_T2_jT3_P12ihipStream_tbPNSt15iterator_traitsISE_E10value_typeEPNSK_ISF_E10value_typeEPSG_NS1_7vsmem_tEENKUlT_SE_SF_SG_E_clIS8_S8_S9_S9_EESD_ST_SE_SF_SG_EUlST_E1_NS1_11comp_targetILNS1_3genE4ELNS1_11target_archE910ELNS1_3gpuE8ELNS1_3repE0EEENS1_36merge_oddeven_config_static_selectorELNS0_4arch9wavefront6targetE1EEEvSF_
    .private_segment_fixed_size: 0
    .sgpr_count:     26
    .sgpr_spill_count: 0
    .symbol:         _ZN7rocprim17ROCPRIM_400000_NS6detail17trampoline_kernelINS0_14default_configENS1_38merge_sort_block_merge_config_selectorIhNS0_10empty_typeEEEZZNS1_27merge_sort_block_merge_implIS3_PhPS5_jNS1_19radix_merge_compareILb1ELb1EhNS0_19identity_decomposerEEEEE10hipError_tT0_T1_T2_jT3_P12ihipStream_tbPNSt15iterator_traitsISE_E10value_typeEPNSK_ISF_E10value_typeEPSG_NS1_7vsmem_tEENKUlT_SE_SF_SG_E_clIS8_S8_S9_S9_EESD_ST_SE_SF_SG_EUlST_E1_NS1_11comp_targetILNS1_3genE4ELNS1_11target_archE910ELNS1_3gpuE8ELNS1_3repE0EEENS1_36merge_oddeven_config_static_selectorELNS0_4arch9wavefront6targetE1EEEvSF_.kd
    .uniform_work_group_size: 1
    .uses_dynamic_stack: false
    .vgpr_count:     9
    .vgpr_spill_count: 0
    .wavefront_size: 64
  - .agpr_count:     0
    .args:
      - .offset:         0
        .size:           48
        .value_kind:     by_value
    .group_segment_fixed_size: 0
    .kernarg_segment_align: 8
    .kernarg_segment_size: 48
    .language:       OpenCL C
    .language_version:
      - 2
      - 0
    .max_flat_workgroup_size: 256
    .name:           _ZN7rocprim17ROCPRIM_400000_NS6detail17trampoline_kernelINS0_14default_configENS1_38merge_sort_block_merge_config_selectorIhNS0_10empty_typeEEEZZNS1_27merge_sort_block_merge_implIS3_PhPS5_jNS1_19radix_merge_compareILb1ELb1EhNS0_19identity_decomposerEEEEE10hipError_tT0_T1_T2_jT3_P12ihipStream_tbPNSt15iterator_traitsISE_E10value_typeEPNSK_ISF_E10value_typeEPSG_NS1_7vsmem_tEENKUlT_SE_SF_SG_E_clIS8_S8_S9_S9_EESD_ST_SE_SF_SG_EUlST_E1_NS1_11comp_targetILNS1_3genE3ELNS1_11target_archE908ELNS1_3gpuE7ELNS1_3repE0EEENS1_36merge_oddeven_config_static_selectorELNS0_4arch9wavefront6targetE1EEEvSF_
    .private_segment_fixed_size: 0
    .sgpr_count:     4
    .sgpr_spill_count: 0
    .symbol:         _ZN7rocprim17ROCPRIM_400000_NS6detail17trampoline_kernelINS0_14default_configENS1_38merge_sort_block_merge_config_selectorIhNS0_10empty_typeEEEZZNS1_27merge_sort_block_merge_implIS3_PhPS5_jNS1_19radix_merge_compareILb1ELb1EhNS0_19identity_decomposerEEEEE10hipError_tT0_T1_T2_jT3_P12ihipStream_tbPNSt15iterator_traitsISE_E10value_typeEPNSK_ISF_E10value_typeEPSG_NS1_7vsmem_tEENKUlT_SE_SF_SG_E_clIS8_S8_S9_S9_EESD_ST_SE_SF_SG_EUlST_E1_NS1_11comp_targetILNS1_3genE3ELNS1_11target_archE908ELNS1_3gpuE7ELNS1_3repE0EEENS1_36merge_oddeven_config_static_selectorELNS0_4arch9wavefront6targetE1EEEvSF_.kd
    .uniform_work_group_size: 1
    .uses_dynamic_stack: false
    .vgpr_count:     0
    .vgpr_spill_count: 0
    .wavefront_size: 64
  - .agpr_count:     0
    .args:
      - .offset:         0
        .size:           48
        .value_kind:     by_value
    .group_segment_fixed_size: 0
    .kernarg_segment_align: 8
    .kernarg_segment_size: 48
    .language:       OpenCL C
    .language_version:
      - 2
      - 0
    .max_flat_workgroup_size: 256
    .name:           _ZN7rocprim17ROCPRIM_400000_NS6detail17trampoline_kernelINS0_14default_configENS1_38merge_sort_block_merge_config_selectorIhNS0_10empty_typeEEEZZNS1_27merge_sort_block_merge_implIS3_PhPS5_jNS1_19radix_merge_compareILb1ELb1EhNS0_19identity_decomposerEEEEE10hipError_tT0_T1_T2_jT3_P12ihipStream_tbPNSt15iterator_traitsISE_E10value_typeEPNSK_ISF_E10value_typeEPSG_NS1_7vsmem_tEENKUlT_SE_SF_SG_E_clIS8_S8_S9_S9_EESD_ST_SE_SF_SG_EUlST_E1_NS1_11comp_targetILNS1_3genE2ELNS1_11target_archE906ELNS1_3gpuE6ELNS1_3repE0EEENS1_36merge_oddeven_config_static_selectorELNS0_4arch9wavefront6targetE1EEEvSF_
    .private_segment_fixed_size: 0
    .sgpr_count:     4
    .sgpr_spill_count: 0
    .symbol:         _ZN7rocprim17ROCPRIM_400000_NS6detail17trampoline_kernelINS0_14default_configENS1_38merge_sort_block_merge_config_selectorIhNS0_10empty_typeEEEZZNS1_27merge_sort_block_merge_implIS3_PhPS5_jNS1_19radix_merge_compareILb1ELb1EhNS0_19identity_decomposerEEEEE10hipError_tT0_T1_T2_jT3_P12ihipStream_tbPNSt15iterator_traitsISE_E10value_typeEPNSK_ISF_E10value_typeEPSG_NS1_7vsmem_tEENKUlT_SE_SF_SG_E_clIS8_S8_S9_S9_EESD_ST_SE_SF_SG_EUlST_E1_NS1_11comp_targetILNS1_3genE2ELNS1_11target_archE906ELNS1_3gpuE6ELNS1_3repE0EEENS1_36merge_oddeven_config_static_selectorELNS0_4arch9wavefront6targetE1EEEvSF_.kd
    .uniform_work_group_size: 1
    .uses_dynamic_stack: false
    .vgpr_count:     0
    .vgpr_spill_count: 0
    .wavefront_size: 64
  - .agpr_count:     0
    .args:
      - .offset:         0
        .size:           48
        .value_kind:     by_value
    .group_segment_fixed_size: 0
    .kernarg_segment_align: 8
    .kernarg_segment_size: 48
    .language:       OpenCL C
    .language_version:
      - 2
      - 0
    .max_flat_workgroup_size: 256
    .name:           _ZN7rocprim17ROCPRIM_400000_NS6detail17trampoline_kernelINS0_14default_configENS1_38merge_sort_block_merge_config_selectorIhNS0_10empty_typeEEEZZNS1_27merge_sort_block_merge_implIS3_PhPS5_jNS1_19radix_merge_compareILb1ELb1EhNS0_19identity_decomposerEEEEE10hipError_tT0_T1_T2_jT3_P12ihipStream_tbPNSt15iterator_traitsISE_E10value_typeEPNSK_ISF_E10value_typeEPSG_NS1_7vsmem_tEENKUlT_SE_SF_SG_E_clIS8_S8_S9_S9_EESD_ST_SE_SF_SG_EUlST_E1_NS1_11comp_targetILNS1_3genE9ELNS1_11target_archE1100ELNS1_3gpuE3ELNS1_3repE0EEENS1_36merge_oddeven_config_static_selectorELNS0_4arch9wavefront6targetE1EEEvSF_
    .private_segment_fixed_size: 0
    .sgpr_count:     4
    .sgpr_spill_count: 0
    .symbol:         _ZN7rocprim17ROCPRIM_400000_NS6detail17trampoline_kernelINS0_14default_configENS1_38merge_sort_block_merge_config_selectorIhNS0_10empty_typeEEEZZNS1_27merge_sort_block_merge_implIS3_PhPS5_jNS1_19radix_merge_compareILb1ELb1EhNS0_19identity_decomposerEEEEE10hipError_tT0_T1_T2_jT3_P12ihipStream_tbPNSt15iterator_traitsISE_E10value_typeEPNSK_ISF_E10value_typeEPSG_NS1_7vsmem_tEENKUlT_SE_SF_SG_E_clIS8_S8_S9_S9_EESD_ST_SE_SF_SG_EUlST_E1_NS1_11comp_targetILNS1_3genE9ELNS1_11target_archE1100ELNS1_3gpuE3ELNS1_3repE0EEENS1_36merge_oddeven_config_static_selectorELNS0_4arch9wavefront6targetE1EEEvSF_.kd
    .uniform_work_group_size: 1
    .uses_dynamic_stack: false
    .vgpr_count:     0
    .vgpr_spill_count: 0
    .wavefront_size: 64
  - .agpr_count:     0
    .args:
      - .offset:         0
        .size:           48
        .value_kind:     by_value
    .group_segment_fixed_size: 0
    .kernarg_segment_align: 8
    .kernarg_segment_size: 48
    .language:       OpenCL C
    .language_version:
      - 2
      - 0
    .max_flat_workgroup_size: 256
    .name:           _ZN7rocprim17ROCPRIM_400000_NS6detail17trampoline_kernelINS0_14default_configENS1_38merge_sort_block_merge_config_selectorIhNS0_10empty_typeEEEZZNS1_27merge_sort_block_merge_implIS3_PhPS5_jNS1_19radix_merge_compareILb1ELb1EhNS0_19identity_decomposerEEEEE10hipError_tT0_T1_T2_jT3_P12ihipStream_tbPNSt15iterator_traitsISE_E10value_typeEPNSK_ISF_E10value_typeEPSG_NS1_7vsmem_tEENKUlT_SE_SF_SG_E_clIS8_S8_S9_S9_EESD_ST_SE_SF_SG_EUlST_E1_NS1_11comp_targetILNS1_3genE8ELNS1_11target_archE1030ELNS1_3gpuE2ELNS1_3repE0EEENS1_36merge_oddeven_config_static_selectorELNS0_4arch9wavefront6targetE1EEEvSF_
    .private_segment_fixed_size: 0
    .sgpr_count:     4
    .sgpr_spill_count: 0
    .symbol:         _ZN7rocprim17ROCPRIM_400000_NS6detail17trampoline_kernelINS0_14default_configENS1_38merge_sort_block_merge_config_selectorIhNS0_10empty_typeEEEZZNS1_27merge_sort_block_merge_implIS3_PhPS5_jNS1_19radix_merge_compareILb1ELb1EhNS0_19identity_decomposerEEEEE10hipError_tT0_T1_T2_jT3_P12ihipStream_tbPNSt15iterator_traitsISE_E10value_typeEPNSK_ISF_E10value_typeEPSG_NS1_7vsmem_tEENKUlT_SE_SF_SG_E_clIS8_S8_S9_S9_EESD_ST_SE_SF_SG_EUlST_E1_NS1_11comp_targetILNS1_3genE8ELNS1_11target_archE1030ELNS1_3gpuE2ELNS1_3repE0EEENS1_36merge_oddeven_config_static_selectorELNS0_4arch9wavefront6targetE1EEEvSF_.kd
    .uniform_work_group_size: 1
    .uses_dynamic_stack: false
    .vgpr_count:     0
    .vgpr_spill_count: 0
    .wavefront_size: 64
  - .agpr_count:     0
    .args:
      - .offset:         0
        .size:           48
        .value_kind:     by_value
    .group_segment_fixed_size: 0
    .kernarg_segment_align: 8
    .kernarg_segment_size: 48
    .language:       OpenCL C
    .language_version:
      - 2
      - 0
    .max_flat_workgroup_size: 1024
    .name:           _ZN7rocprim17ROCPRIM_400000_NS6detail17trampoline_kernelINS0_14default_configENS1_35radix_sort_onesweep_config_selectorIhNS0_10empty_typeEEEZNS1_34radix_sort_onesweep_global_offsetsIS3_Lb1EPhPS5_mNS0_19identity_decomposerEEE10hipError_tT1_T2_PT3_SE_jT4_jjP12ihipStream_tbEUlT_E_NS1_11comp_targetILNS1_3genE0ELNS1_11target_archE4294967295ELNS1_3gpuE0ELNS1_3repE0EEENS1_52radix_sort_onesweep_histogram_config_static_selectorELNS0_4arch9wavefront6targetE1EEEvSC_
    .private_segment_fixed_size: 0
    .sgpr_count:     4
    .sgpr_spill_count: 0
    .symbol:         _ZN7rocprim17ROCPRIM_400000_NS6detail17trampoline_kernelINS0_14default_configENS1_35radix_sort_onesweep_config_selectorIhNS0_10empty_typeEEEZNS1_34radix_sort_onesweep_global_offsetsIS3_Lb1EPhPS5_mNS0_19identity_decomposerEEE10hipError_tT1_T2_PT3_SE_jT4_jjP12ihipStream_tbEUlT_E_NS1_11comp_targetILNS1_3genE0ELNS1_11target_archE4294967295ELNS1_3gpuE0ELNS1_3repE0EEENS1_52radix_sort_onesweep_histogram_config_static_selectorELNS0_4arch9wavefront6targetE1EEEvSC_.kd
    .uniform_work_group_size: 1
    .uses_dynamic_stack: false
    .vgpr_count:     0
    .vgpr_spill_count: 0
    .wavefront_size: 64
  - .agpr_count:     0
    .args:
      - .offset:         0
        .size:           48
        .value_kind:     by_value
    .group_segment_fixed_size: 0
    .kernarg_segment_align: 8
    .kernarg_segment_size: 48
    .language:       OpenCL C
    .language_version:
      - 2
      - 0
    .max_flat_workgroup_size: 1024
    .name:           _ZN7rocprim17ROCPRIM_400000_NS6detail17trampoline_kernelINS0_14default_configENS1_35radix_sort_onesweep_config_selectorIhNS0_10empty_typeEEEZNS1_34radix_sort_onesweep_global_offsetsIS3_Lb1EPhPS5_mNS0_19identity_decomposerEEE10hipError_tT1_T2_PT3_SE_jT4_jjP12ihipStream_tbEUlT_E_NS1_11comp_targetILNS1_3genE6ELNS1_11target_archE950ELNS1_3gpuE13ELNS1_3repE0EEENS1_52radix_sort_onesweep_histogram_config_static_selectorELNS0_4arch9wavefront6targetE1EEEvSC_
    .private_segment_fixed_size: 0
    .sgpr_count:     4
    .sgpr_spill_count: 0
    .symbol:         _ZN7rocprim17ROCPRIM_400000_NS6detail17trampoline_kernelINS0_14default_configENS1_35radix_sort_onesweep_config_selectorIhNS0_10empty_typeEEEZNS1_34radix_sort_onesweep_global_offsetsIS3_Lb1EPhPS5_mNS0_19identity_decomposerEEE10hipError_tT1_T2_PT3_SE_jT4_jjP12ihipStream_tbEUlT_E_NS1_11comp_targetILNS1_3genE6ELNS1_11target_archE950ELNS1_3gpuE13ELNS1_3repE0EEENS1_52radix_sort_onesweep_histogram_config_static_selectorELNS0_4arch9wavefront6targetE1EEEvSC_.kd
    .uniform_work_group_size: 1
    .uses_dynamic_stack: false
    .vgpr_count:     0
    .vgpr_spill_count: 0
    .wavefront_size: 64
  - .agpr_count:     0
    .args:
      - .offset:         0
        .size:           48
        .value_kind:     by_value
    .group_segment_fixed_size: 0
    .kernarg_segment_align: 8
    .kernarg_segment_size: 48
    .language:       OpenCL C
    .language_version:
      - 2
      - 0
    .max_flat_workgroup_size: 1024
    .name:           _ZN7rocprim17ROCPRIM_400000_NS6detail17trampoline_kernelINS0_14default_configENS1_35radix_sort_onesweep_config_selectorIhNS0_10empty_typeEEEZNS1_34radix_sort_onesweep_global_offsetsIS3_Lb1EPhPS5_mNS0_19identity_decomposerEEE10hipError_tT1_T2_PT3_SE_jT4_jjP12ihipStream_tbEUlT_E_NS1_11comp_targetILNS1_3genE5ELNS1_11target_archE942ELNS1_3gpuE9ELNS1_3repE0EEENS1_52radix_sort_onesweep_histogram_config_static_selectorELNS0_4arch9wavefront6targetE1EEEvSC_
    .private_segment_fixed_size: 0
    .sgpr_count:     4
    .sgpr_spill_count: 0
    .symbol:         _ZN7rocprim17ROCPRIM_400000_NS6detail17trampoline_kernelINS0_14default_configENS1_35radix_sort_onesweep_config_selectorIhNS0_10empty_typeEEEZNS1_34radix_sort_onesweep_global_offsetsIS3_Lb1EPhPS5_mNS0_19identity_decomposerEEE10hipError_tT1_T2_PT3_SE_jT4_jjP12ihipStream_tbEUlT_E_NS1_11comp_targetILNS1_3genE5ELNS1_11target_archE942ELNS1_3gpuE9ELNS1_3repE0EEENS1_52radix_sort_onesweep_histogram_config_static_selectorELNS0_4arch9wavefront6targetE1EEEvSC_.kd
    .uniform_work_group_size: 1
    .uses_dynamic_stack: false
    .vgpr_count:     0
    .vgpr_spill_count: 0
    .wavefront_size: 64
  - .agpr_count:     0
    .args:
      - .offset:         0
        .size:           48
        .value_kind:     by_value
    .group_segment_fixed_size: 0
    .kernarg_segment_align: 8
    .kernarg_segment_size: 48
    .language:       OpenCL C
    .language_version:
      - 2
      - 0
    .max_flat_workgroup_size: 512
    .name:           _ZN7rocprim17ROCPRIM_400000_NS6detail17trampoline_kernelINS0_14default_configENS1_35radix_sort_onesweep_config_selectorIhNS0_10empty_typeEEEZNS1_34radix_sort_onesweep_global_offsetsIS3_Lb1EPhPS5_mNS0_19identity_decomposerEEE10hipError_tT1_T2_PT3_SE_jT4_jjP12ihipStream_tbEUlT_E_NS1_11comp_targetILNS1_3genE2ELNS1_11target_archE906ELNS1_3gpuE6ELNS1_3repE0EEENS1_52radix_sort_onesweep_histogram_config_static_selectorELNS0_4arch9wavefront6targetE1EEEvSC_
    .private_segment_fixed_size: 0
    .sgpr_count:     4
    .sgpr_spill_count: 0
    .symbol:         _ZN7rocprim17ROCPRIM_400000_NS6detail17trampoline_kernelINS0_14default_configENS1_35radix_sort_onesweep_config_selectorIhNS0_10empty_typeEEEZNS1_34radix_sort_onesweep_global_offsetsIS3_Lb1EPhPS5_mNS0_19identity_decomposerEEE10hipError_tT1_T2_PT3_SE_jT4_jjP12ihipStream_tbEUlT_E_NS1_11comp_targetILNS1_3genE2ELNS1_11target_archE906ELNS1_3gpuE6ELNS1_3repE0EEENS1_52radix_sort_onesweep_histogram_config_static_selectorELNS0_4arch9wavefront6targetE1EEEvSC_.kd
    .uniform_work_group_size: 1
    .uses_dynamic_stack: false
    .vgpr_count:     0
    .vgpr_spill_count: 0
    .wavefront_size: 64
  - .agpr_count:     0
    .args:
      - .offset:         0
        .size:           48
        .value_kind:     by_value
    .group_segment_fixed_size: 512
    .kernarg_segment_align: 8
    .kernarg_segment_size: 48
    .language:       OpenCL C
    .language_version:
      - 2
      - 0
    .max_flat_workgroup_size: 512
    .name:           _ZN7rocprim17ROCPRIM_400000_NS6detail17trampoline_kernelINS0_14default_configENS1_35radix_sort_onesweep_config_selectorIhNS0_10empty_typeEEEZNS1_34radix_sort_onesweep_global_offsetsIS3_Lb1EPhPS5_mNS0_19identity_decomposerEEE10hipError_tT1_T2_PT3_SE_jT4_jjP12ihipStream_tbEUlT_E_NS1_11comp_targetILNS1_3genE4ELNS1_11target_archE910ELNS1_3gpuE8ELNS1_3repE0EEENS1_52radix_sort_onesweep_histogram_config_static_selectorELNS0_4arch9wavefront6targetE1EEEvSC_
    .private_segment_fixed_size: 0
    .sgpr_count:     22
    .sgpr_spill_count: 0
    .symbol:         _ZN7rocprim17ROCPRIM_400000_NS6detail17trampoline_kernelINS0_14default_configENS1_35radix_sort_onesweep_config_selectorIhNS0_10empty_typeEEEZNS1_34radix_sort_onesweep_global_offsetsIS3_Lb1EPhPS5_mNS0_19identity_decomposerEEE10hipError_tT1_T2_PT3_SE_jT4_jjP12ihipStream_tbEUlT_E_NS1_11comp_targetILNS1_3genE4ELNS1_11target_archE910ELNS1_3gpuE8ELNS1_3repE0EEENS1_52radix_sort_onesweep_histogram_config_static_selectorELNS0_4arch9wavefront6targetE1EEEvSC_.kd
    .uniform_work_group_size: 1
    .uses_dynamic_stack: false
    .vgpr_count:     47
    .vgpr_spill_count: 0
    .wavefront_size: 64
  - .agpr_count:     0
    .args:
      - .offset:         0
        .size:           48
        .value_kind:     by_value
    .group_segment_fixed_size: 0
    .kernarg_segment_align: 8
    .kernarg_segment_size: 48
    .language:       OpenCL C
    .language_version:
      - 2
      - 0
    .max_flat_workgroup_size: 1024
    .name:           _ZN7rocprim17ROCPRIM_400000_NS6detail17trampoline_kernelINS0_14default_configENS1_35radix_sort_onesweep_config_selectorIhNS0_10empty_typeEEEZNS1_34radix_sort_onesweep_global_offsetsIS3_Lb1EPhPS5_mNS0_19identity_decomposerEEE10hipError_tT1_T2_PT3_SE_jT4_jjP12ihipStream_tbEUlT_E_NS1_11comp_targetILNS1_3genE3ELNS1_11target_archE908ELNS1_3gpuE7ELNS1_3repE0EEENS1_52radix_sort_onesweep_histogram_config_static_selectorELNS0_4arch9wavefront6targetE1EEEvSC_
    .private_segment_fixed_size: 0
    .sgpr_count:     4
    .sgpr_spill_count: 0
    .symbol:         _ZN7rocprim17ROCPRIM_400000_NS6detail17trampoline_kernelINS0_14default_configENS1_35radix_sort_onesweep_config_selectorIhNS0_10empty_typeEEEZNS1_34radix_sort_onesweep_global_offsetsIS3_Lb1EPhPS5_mNS0_19identity_decomposerEEE10hipError_tT1_T2_PT3_SE_jT4_jjP12ihipStream_tbEUlT_E_NS1_11comp_targetILNS1_3genE3ELNS1_11target_archE908ELNS1_3gpuE7ELNS1_3repE0EEENS1_52radix_sort_onesweep_histogram_config_static_selectorELNS0_4arch9wavefront6targetE1EEEvSC_.kd
    .uniform_work_group_size: 1
    .uses_dynamic_stack: false
    .vgpr_count:     0
    .vgpr_spill_count: 0
    .wavefront_size: 64
  - .agpr_count:     0
    .args:
      - .offset:         0
        .size:           48
        .value_kind:     by_value
    .group_segment_fixed_size: 0
    .kernarg_segment_align: 8
    .kernarg_segment_size: 48
    .language:       OpenCL C
    .language_version:
      - 2
      - 0
    .max_flat_workgroup_size: 256
    .name:           _ZN7rocprim17ROCPRIM_400000_NS6detail17trampoline_kernelINS0_14default_configENS1_35radix_sort_onesweep_config_selectorIhNS0_10empty_typeEEEZNS1_34radix_sort_onesweep_global_offsetsIS3_Lb1EPhPS5_mNS0_19identity_decomposerEEE10hipError_tT1_T2_PT3_SE_jT4_jjP12ihipStream_tbEUlT_E_NS1_11comp_targetILNS1_3genE10ELNS1_11target_archE1201ELNS1_3gpuE5ELNS1_3repE0EEENS1_52radix_sort_onesweep_histogram_config_static_selectorELNS0_4arch9wavefront6targetE1EEEvSC_
    .private_segment_fixed_size: 0
    .sgpr_count:     4
    .sgpr_spill_count: 0
    .symbol:         _ZN7rocprim17ROCPRIM_400000_NS6detail17trampoline_kernelINS0_14default_configENS1_35radix_sort_onesweep_config_selectorIhNS0_10empty_typeEEEZNS1_34radix_sort_onesweep_global_offsetsIS3_Lb1EPhPS5_mNS0_19identity_decomposerEEE10hipError_tT1_T2_PT3_SE_jT4_jjP12ihipStream_tbEUlT_E_NS1_11comp_targetILNS1_3genE10ELNS1_11target_archE1201ELNS1_3gpuE5ELNS1_3repE0EEENS1_52radix_sort_onesweep_histogram_config_static_selectorELNS0_4arch9wavefront6targetE1EEEvSC_.kd
    .uniform_work_group_size: 1
    .uses_dynamic_stack: false
    .vgpr_count:     0
    .vgpr_spill_count: 0
    .wavefront_size: 64
  - .agpr_count:     0
    .args:
      - .offset:         0
        .size:           48
        .value_kind:     by_value
    .group_segment_fixed_size: 0
    .kernarg_segment_align: 8
    .kernarg_segment_size: 48
    .language:       OpenCL C
    .language_version:
      - 2
      - 0
    .max_flat_workgroup_size: 256
    .name:           _ZN7rocprim17ROCPRIM_400000_NS6detail17trampoline_kernelINS0_14default_configENS1_35radix_sort_onesweep_config_selectorIhNS0_10empty_typeEEEZNS1_34radix_sort_onesweep_global_offsetsIS3_Lb1EPhPS5_mNS0_19identity_decomposerEEE10hipError_tT1_T2_PT3_SE_jT4_jjP12ihipStream_tbEUlT_E_NS1_11comp_targetILNS1_3genE9ELNS1_11target_archE1100ELNS1_3gpuE3ELNS1_3repE0EEENS1_52radix_sort_onesweep_histogram_config_static_selectorELNS0_4arch9wavefront6targetE1EEEvSC_
    .private_segment_fixed_size: 0
    .sgpr_count:     4
    .sgpr_spill_count: 0
    .symbol:         _ZN7rocprim17ROCPRIM_400000_NS6detail17trampoline_kernelINS0_14default_configENS1_35radix_sort_onesweep_config_selectorIhNS0_10empty_typeEEEZNS1_34radix_sort_onesweep_global_offsetsIS3_Lb1EPhPS5_mNS0_19identity_decomposerEEE10hipError_tT1_T2_PT3_SE_jT4_jjP12ihipStream_tbEUlT_E_NS1_11comp_targetILNS1_3genE9ELNS1_11target_archE1100ELNS1_3gpuE3ELNS1_3repE0EEENS1_52radix_sort_onesweep_histogram_config_static_selectorELNS0_4arch9wavefront6targetE1EEEvSC_.kd
    .uniform_work_group_size: 1
    .uses_dynamic_stack: false
    .vgpr_count:     0
    .vgpr_spill_count: 0
    .wavefront_size: 64
  - .agpr_count:     0
    .args:
      - .offset:         0
        .size:           48
        .value_kind:     by_value
    .group_segment_fixed_size: 0
    .kernarg_segment_align: 8
    .kernarg_segment_size: 48
    .language:       OpenCL C
    .language_version:
      - 2
      - 0
    .max_flat_workgroup_size: 256
    .name:           _ZN7rocprim17ROCPRIM_400000_NS6detail17trampoline_kernelINS0_14default_configENS1_35radix_sort_onesweep_config_selectorIhNS0_10empty_typeEEEZNS1_34radix_sort_onesweep_global_offsetsIS3_Lb1EPhPS5_mNS0_19identity_decomposerEEE10hipError_tT1_T2_PT3_SE_jT4_jjP12ihipStream_tbEUlT_E_NS1_11comp_targetILNS1_3genE8ELNS1_11target_archE1030ELNS1_3gpuE2ELNS1_3repE0EEENS1_52radix_sort_onesweep_histogram_config_static_selectorELNS0_4arch9wavefront6targetE1EEEvSC_
    .private_segment_fixed_size: 0
    .sgpr_count:     4
    .sgpr_spill_count: 0
    .symbol:         _ZN7rocprim17ROCPRIM_400000_NS6detail17trampoline_kernelINS0_14default_configENS1_35radix_sort_onesweep_config_selectorIhNS0_10empty_typeEEEZNS1_34radix_sort_onesweep_global_offsetsIS3_Lb1EPhPS5_mNS0_19identity_decomposerEEE10hipError_tT1_T2_PT3_SE_jT4_jjP12ihipStream_tbEUlT_E_NS1_11comp_targetILNS1_3genE8ELNS1_11target_archE1030ELNS1_3gpuE2ELNS1_3repE0EEENS1_52radix_sort_onesweep_histogram_config_static_selectorELNS0_4arch9wavefront6targetE1EEEvSC_.kd
    .uniform_work_group_size: 1
    .uses_dynamic_stack: false
    .vgpr_count:     0
    .vgpr_spill_count: 0
    .wavefront_size: 64
  - .agpr_count:     0
    .args:
      - .address_space:  global
        .offset:         0
        .size:           8
        .value_kind:     global_buffer
    .group_segment_fixed_size: 0
    .kernarg_segment_align: 8
    .kernarg_segment_size: 8
    .language:       OpenCL C
    .language_version:
      - 2
      - 0
    .max_flat_workgroup_size: 1024
    .name:           _ZN7rocprim17ROCPRIM_400000_NS6detail17trampoline_kernelINS0_14default_configENS1_35radix_sort_onesweep_config_selectorIhNS0_10empty_typeEEEZNS1_34radix_sort_onesweep_global_offsetsIS3_Lb1EPhPS5_mNS0_19identity_decomposerEEE10hipError_tT1_T2_PT3_SE_jT4_jjP12ihipStream_tbEUlT_E0_NS1_11comp_targetILNS1_3genE0ELNS1_11target_archE4294967295ELNS1_3gpuE0ELNS1_3repE0EEENS1_52radix_sort_onesweep_histogram_config_static_selectorELNS0_4arch9wavefront6targetE1EEEvSC_
    .private_segment_fixed_size: 0
    .sgpr_count:     4
    .sgpr_spill_count: 0
    .symbol:         _ZN7rocprim17ROCPRIM_400000_NS6detail17trampoline_kernelINS0_14default_configENS1_35radix_sort_onesweep_config_selectorIhNS0_10empty_typeEEEZNS1_34radix_sort_onesweep_global_offsetsIS3_Lb1EPhPS5_mNS0_19identity_decomposerEEE10hipError_tT1_T2_PT3_SE_jT4_jjP12ihipStream_tbEUlT_E0_NS1_11comp_targetILNS1_3genE0ELNS1_11target_archE4294967295ELNS1_3gpuE0ELNS1_3repE0EEENS1_52radix_sort_onesweep_histogram_config_static_selectorELNS0_4arch9wavefront6targetE1EEEvSC_.kd
    .uniform_work_group_size: 1
    .uses_dynamic_stack: false
    .vgpr_count:     0
    .vgpr_spill_count: 0
    .wavefront_size: 64
  - .agpr_count:     0
    .args:
      - .address_space:  global
        .offset:         0
        .size:           8
        .value_kind:     global_buffer
    .group_segment_fixed_size: 0
    .kernarg_segment_align: 8
    .kernarg_segment_size: 8
    .language:       OpenCL C
    .language_version:
      - 2
      - 0
    .max_flat_workgroup_size: 1024
    .name:           _ZN7rocprim17ROCPRIM_400000_NS6detail17trampoline_kernelINS0_14default_configENS1_35radix_sort_onesweep_config_selectorIhNS0_10empty_typeEEEZNS1_34radix_sort_onesweep_global_offsetsIS3_Lb1EPhPS5_mNS0_19identity_decomposerEEE10hipError_tT1_T2_PT3_SE_jT4_jjP12ihipStream_tbEUlT_E0_NS1_11comp_targetILNS1_3genE6ELNS1_11target_archE950ELNS1_3gpuE13ELNS1_3repE0EEENS1_52radix_sort_onesweep_histogram_config_static_selectorELNS0_4arch9wavefront6targetE1EEEvSC_
    .private_segment_fixed_size: 0
    .sgpr_count:     4
    .sgpr_spill_count: 0
    .symbol:         _ZN7rocprim17ROCPRIM_400000_NS6detail17trampoline_kernelINS0_14default_configENS1_35radix_sort_onesweep_config_selectorIhNS0_10empty_typeEEEZNS1_34radix_sort_onesweep_global_offsetsIS3_Lb1EPhPS5_mNS0_19identity_decomposerEEE10hipError_tT1_T2_PT3_SE_jT4_jjP12ihipStream_tbEUlT_E0_NS1_11comp_targetILNS1_3genE6ELNS1_11target_archE950ELNS1_3gpuE13ELNS1_3repE0EEENS1_52radix_sort_onesweep_histogram_config_static_selectorELNS0_4arch9wavefront6targetE1EEEvSC_.kd
    .uniform_work_group_size: 1
    .uses_dynamic_stack: false
    .vgpr_count:     0
    .vgpr_spill_count: 0
    .wavefront_size: 64
  - .agpr_count:     0
    .args:
      - .address_space:  global
        .offset:         0
        .size:           8
        .value_kind:     global_buffer
    .group_segment_fixed_size: 0
    .kernarg_segment_align: 8
    .kernarg_segment_size: 8
    .language:       OpenCL C
    .language_version:
      - 2
      - 0
    .max_flat_workgroup_size: 1024
    .name:           _ZN7rocprim17ROCPRIM_400000_NS6detail17trampoline_kernelINS0_14default_configENS1_35radix_sort_onesweep_config_selectorIhNS0_10empty_typeEEEZNS1_34radix_sort_onesweep_global_offsetsIS3_Lb1EPhPS5_mNS0_19identity_decomposerEEE10hipError_tT1_T2_PT3_SE_jT4_jjP12ihipStream_tbEUlT_E0_NS1_11comp_targetILNS1_3genE5ELNS1_11target_archE942ELNS1_3gpuE9ELNS1_3repE0EEENS1_52radix_sort_onesweep_histogram_config_static_selectorELNS0_4arch9wavefront6targetE1EEEvSC_
    .private_segment_fixed_size: 0
    .sgpr_count:     4
    .sgpr_spill_count: 0
    .symbol:         _ZN7rocprim17ROCPRIM_400000_NS6detail17trampoline_kernelINS0_14default_configENS1_35radix_sort_onesweep_config_selectorIhNS0_10empty_typeEEEZNS1_34radix_sort_onesweep_global_offsetsIS3_Lb1EPhPS5_mNS0_19identity_decomposerEEE10hipError_tT1_T2_PT3_SE_jT4_jjP12ihipStream_tbEUlT_E0_NS1_11comp_targetILNS1_3genE5ELNS1_11target_archE942ELNS1_3gpuE9ELNS1_3repE0EEENS1_52radix_sort_onesweep_histogram_config_static_selectorELNS0_4arch9wavefront6targetE1EEEvSC_.kd
    .uniform_work_group_size: 1
    .uses_dynamic_stack: false
    .vgpr_count:     0
    .vgpr_spill_count: 0
    .wavefront_size: 64
  - .agpr_count:     0
    .args:
      - .address_space:  global
        .offset:         0
        .size:           8
        .value_kind:     global_buffer
    .group_segment_fixed_size: 0
    .kernarg_segment_align: 8
    .kernarg_segment_size: 8
    .language:       OpenCL C
    .language_version:
      - 2
      - 0
    .max_flat_workgroup_size: 512
    .name:           _ZN7rocprim17ROCPRIM_400000_NS6detail17trampoline_kernelINS0_14default_configENS1_35radix_sort_onesweep_config_selectorIhNS0_10empty_typeEEEZNS1_34radix_sort_onesweep_global_offsetsIS3_Lb1EPhPS5_mNS0_19identity_decomposerEEE10hipError_tT1_T2_PT3_SE_jT4_jjP12ihipStream_tbEUlT_E0_NS1_11comp_targetILNS1_3genE2ELNS1_11target_archE906ELNS1_3gpuE6ELNS1_3repE0EEENS1_52radix_sort_onesweep_histogram_config_static_selectorELNS0_4arch9wavefront6targetE1EEEvSC_
    .private_segment_fixed_size: 0
    .sgpr_count:     4
    .sgpr_spill_count: 0
    .symbol:         _ZN7rocprim17ROCPRIM_400000_NS6detail17trampoline_kernelINS0_14default_configENS1_35radix_sort_onesweep_config_selectorIhNS0_10empty_typeEEEZNS1_34radix_sort_onesweep_global_offsetsIS3_Lb1EPhPS5_mNS0_19identity_decomposerEEE10hipError_tT1_T2_PT3_SE_jT4_jjP12ihipStream_tbEUlT_E0_NS1_11comp_targetILNS1_3genE2ELNS1_11target_archE906ELNS1_3gpuE6ELNS1_3repE0EEENS1_52radix_sort_onesweep_histogram_config_static_selectorELNS0_4arch9wavefront6targetE1EEEvSC_.kd
    .uniform_work_group_size: 1
    .uses_dynamic_stack: false
    .vgpr_count:     0
    .vgpr_spill_count: 0
    .wavefront_size: 64
  - .agpr_count:     0
    .args:
      - .address_space:  global
        .offset:         0
        .size:           8
        .value_kind:     global_buffer
    .group_segment_fixed_size: 64
    .kernarg_segment_align: 8
    .kernarg_segment_size: 8
    .language:       OpenCL C
    .language_version:
      - 2
      - 0
    .max_flat_workgroup_size: 512
    .name:           _ZN7rocprim17ROCPRIM_400000_NS6detail17trampoline_kernelINS0_14default_configENS1_35radix_sort_onesweep_config_selectorIhNS0_10empty_typeEEEZNS1_34radix_sort_onesweep_global_offsetsIS3_Lb1EPhPS5_mNS0_19identity_decomposerEEE10hipError_tT1_T2_PT3_SE_jT4_jjP12ihipStream_tbEUlT_E0_NS1_11comp_targetILNS1_3genE4ELNS1_11target_archE910ELNS1_3gpuE8ELNS1_3repE0EEENS1_52radix_sort_onesweep_histogram_config_static_selectorELNS0_4arch9wavefront6targetE1EEEvSC_
    .private_segment_fixed_size: 0
    .sgpr_count:     16
    .sgpr_spill_count: 0
    .symbol:         _ZN7rocprim17ROCPRIM_400000_NS6detail17trampoline_kernelINS0_14default_configENS1_35radix_sort_onesweep_config_selectorIhNS0_10empty_typeEEEZNS1_34radix_sort_onesweep_global_offsetsIS3_Lb1EPhPS5_mNS0_19identity_decomposerEEE10hipError_tT1_T2_PT3_SE_jT4_jjP12ihipStream_tbEUlT_E0_NS1_11comp_targetILNS1_3genE4ELNS1_11target_archE910ELNS1_3gpuE8ELNS1_3repE0EEENS1_52radix_sort_onesweep_histogram_config_static_selectorELNS0_4arch9wavefront6targetE1EEEvSC_.kd
    .uniform_work_group_size: 1
    .uses_dynamic_stack: false
    .vgpr_count:     16
    .vgpr_spill_count: 0
    .wavefront_size: 64
  - .agpr_count:     0
    .args:
      - .address_space:  global
        .offset:         0
        .size:           8
        .value_kind:     global_buffer
    .group_segment_fixed_size: 0
    .kernarg_segment_align: 8
    .kernarg_segment_size: 8
    .language:       OpenCL C
    .language_version:
      - 2
      - 0
    .max_flat_workgroup_size: 1024
    .name:           _ZN7rocprim17ROCPRIM_400000_NS6detail17trampoline_kernelINS0_14default_configENS1_35radix_sort_onesweep_config_selectorIhNS0_10empty_typeEEEZNS1_34radix_sort_onesweep_global_offsetsIS3_Lb1EPhPS5_mNS0_19identity_decomposerEEE10hipError_tT1_T2_PT3_SE_jT4_jjP12ihipStream_tbEUlT_E0_NS1_11comp_targetILNS1_3genE3ELNS1_11target_archE908ELNS1_3gpuE7ELNS1_3repE0EEENS1_52radix_sort_onesweep_histogram_config_static_selectorELNS0_4arch9wavefront6targetE1EEEvSC_
    .private_segment_fixed_size: 0
    .sgpr_count:     4
    .sgpr_spill_count: 0
    .symbol:         _ZN7rocprim17ROCPRIM_400000_NS6detail17trampoline_kernelINS0_14default_configENS1_35radix_sort_onesweep_config_selectorIhNS0_10empty_typeEEEZNS1_34radix_sort_onesweep_global_offsetsIS3_Lb1EPhPS5_mNS0_19identity_decomposerEEE10hipError_tT1_T2_PT3_SE_jT4_jjP12ihipStream_tbEUlT_E0_NS1_11comp_targetILNS1_3genE3ELNS1_11target_archE908ELNS1_3gpuE7ELNS1_3repE0EEENS1_52radix_sort_onesweep_histogram_config_static_selectorELNS0_4arch9wavefront6targetE1EEEvSC_.kd
    .uniform_work_group_size: 1
    .uses_dynamic_stack: false
    .vgpr_count:     0
    .vgpr_spill_count: 0
    .wavefront_size: 64
  - .agpr_count:     0
    .args:
      - .address_space:  global
        .offset:         0
        .size:           8
        .value_kind:     global_buffer
    .group_segment_fixed_size: 0
    .kernarg_segment_align: 8
    .kernarg_segment_size: 8
    .language:       OpenCL C
    .language_version:
      - 2
      - 0
    .max_flat_workgroup_size: 256
    .name:           _ZN7rocprim17ROCPRIM_400000_NS6detail17trampoline_kernelINS0_14default_configENS1_35radix_sort_onesweep_config_selectorIhNS0_10empty_typeEEEZNS1_34radix_sort_onesweep_global_offsetsIS3_Lb1EPhPS5_mNS0_19identity_decomposerEEE10hipError_tT1_T2_PT3_SE_jT4_jjP12ihipStream_tbEUlT_E0_NS1_11comp_targetILNS1_3genE10ELNS1_11target_archE1201ELNS1_3gpuE5ELNS1_3repE0EEENS1_52radix_sort_onesweep_histogram_config_static_selectorELNS0_4arch9wavefront6targetE1EEEvSC_
    .private_segment_fixed_size: 0
    .sgpr_count:     4
    .sgpr_spill_count: 0
    .symbol:         _ZN7rocprim17ROCPRIM_400000_NS6detail17trampoline_kernelINS0_14default_configENS1_35radix_sort_onesweep_config_selectorIhNS0_10empty_typeEEEZNS1_34radix_sort_onesweep_global_offsetsIS3_Lb1EPhPS5_mNS0_19identity_decomposerEEE10hipError_tT1_T2_PT3_SE_jT4_jjP12ihipStream_tbEUlT_E0_NS1_11comp_targetILNS1_3genE10ELNS1_11target_archE1201ELNS1_3gpuE5ELNS1_3repE0EEENS1_52radix_sort_onesweep_histogram_config_static_selectorELNS0_4arch9wavefront6targetE1EEEvSC_.kd
    .uniform_work_group_size: 1
    .uses_dynamic_stack: false
    .vgpr_count:     0
    .vgpr_spill_count: 0
    .wavefront_size: 64
  - .agpr_count:     0
    .args:
      - .address_space:  global
        .offset:         0
        .size:           8
        .value_kind:     global_buffer
    .group_segment_fixed_size: 0
    .kernarg_segment_align: 8
    .kernarg_segment_size: 8
    .language:       OpenCL C
    .language_version:
      - 2
      - 0
    .max_flat_workgroup_size: 256
    .name:           _ZN7rocprim17ROCPRIM_400000_NS6detail17trampoline_kernelINS0_14default_configENS1_35radix_sort_onesweep_config_selectorIhNS0_10empty_typeEEEZNS1_34radix_sort_onesweep_global_offsetsIS3_Lb1EPhPS5_mNS0_19identity_decomposerEEE10hipError_tT1_T2_PT3_SE_jT4_jjP12ihipStream_tbEUlT_E0_NS1_11comp_targetILNS1_3genE9ELNS1_11target_archE1100ELNS1_3gpuE3ELNS1_3repE0EEENS1_52radix_sort_onesweep_histogram_config_static_selectorELNS0_4arch9wavefront6targetE1EEEvSC_
    .private_segment_fixed_size: 0
    .sgpr_count:     4
    .sgpr_spill_count: 0
    .symbol:         _ZN7rocprim17ROCPRIM_400000_NS6detail17trampoline_kernelINS0_14default_configENS1_35radix_sort_onesweep_config_selectorIhNS0_10empty_typeEEEZNS1_34radix_sort_onesweep_global_offsetsIS3_Lb1EPhPS5_mNS0_19identity_decomposerEEE10hipError_tT1_T2_PT3_SE_jT4_jjP12ihipStream_tbEUlT_E0_NS1_11comp_targetILNS1_3genE9ELNS1_11target_archE1100ELNS1_3gpuE3ELNS1_3repE0EEENS1_52radix_sort_onesweep_histogram_config_static_selectorELNS0_4arch9wavefront6targetE1EEEvSC_.kd
    .uniform_work_group_size: 1
    .uses_dynamic_stack: false
    .vgpr_count:     0
    .vgpr_spill_count: 0
    .wavefront_size: 64
  - .agpr_count:     0
    .args:
      - .address_space:  global
        .offset:         0
        .size:           8
        .value_kind:     global_buffer
    .group_segment_fixed_size: 0
    .kernarg_segment_align: 8
    .kernarg_segment_size: 8
    .language:       OpenCL C
    .language_version:
      - 2
      - 0
    .max_flat_workgroup_size: 256
    .name:           _ZN7rocprim17ROCPRIM_400000_NS6detail17trampoline_kernelINS0_14default_configENS1_35radix_sort_onesweep_config_selectorIhNS0_10empty_typeEEEZNS1_34radix_sort_onesweep_global_offsetsIS3_Lb1EPhPS5_mNS0_19identity_decomposerEEE10hipError_tT1_T2_PT3_SE_jT4_jjP12ihipStream_tbEUlT_E0_NS1_11comp_targetILNS1_3genE8ELNS1_11target_archE1030ELNS1_3gpuE2ELNS1_3repE0EEENS1_52radix_sort_onesweep_histogram_config_static_selectorELNS0_4arch9wavefront6targetE1EEEvSC_
    .private_segment_fixed_size: 0
    .sgpr_count:     4
    .sgpr_spill_count: 0
    .symbol:         _ZN7rocprim17ROCPRIM_400000_NS6detail17trampoline_kernelINS0_14default_configENS1_35radix_sort_onesweep_config_selectorIhNS0_10empty_typeEEEZNS1_34radix_sort_onesweep_global_offsetsIS3_Lb1EPhPS5_mNS0_19identity_decomposerEEE10hipError_tT1_T2_PT3_SE_jT4_jjP12ihipStream_tbEUlT_E0_NS1_11comp_targetILNS1_3genE8ELNS1_11target_archE1030ELNS1_3gpuE2ELNS1_3repE0EEENS1_52radix_sort_onesweep_histogram_config_static_selectorELNS0_4arch9wavefront6targetE1EEEvSC_.kd
    .uniform_work_group_size: 1
    .uses_dynamic_stack: false
    .vgpr_count:     0
    .vgpr_spill_count: 0
    .wavefront_size: 64
  - .agpr_count:     0
    .args:
      - .offset:         0
        .size:           88
        .value_kind:     by_value
    .group_segment_fixed_size: 0
    .kernarg_segment_align: 8
    .kernarg_segment_size: 88
    .language:       OpenCL C
    .language_version:
      - 2
      - 0
    .max_flat_workgroup_size: 1024
    .name:           _ZN7rocprim17ROCPRIM_400000_NS6detail17trampoline_kernelINS0_14default_configENS1_35radix_sort_onesweep_config_selectorIhNS0_10empty_typeEEEZZNS1_29radix_sort_onesweep_iterationIS3_Lb1EPhS8_PS5_S9_mNS0_19identity_decomposerENS1_16block_id_wrapperIjLb1EEEEE10hipError_tT1_PNSt15iterator_traitsISE_E10value_typeET2_T3_PNSF_ISK_E10value_typeET4_T5_PSP_SQ_PNS1_23onesweep_lookback_stateEbbT6_jjT7_P12ihipStream_tbENKUlT_T0_SE_SJ_E_clIS8_S8_S9_S9_EEDaSX_SY_SE_SJ_EUlSX_E_NS1_11comp_targetILNS1_3genE0ELNS1_11target_archE4294967295ELNS1_3gpuE0ELNS1_3repE0EEENS1_47radix_sort_onesweep_sort_config_static_selectorELNS0_4arch9wavefront6targetE1EEEvSE_
    .private_segment_fixed_size: 0
    .sgpr_count:     4
    .sgpr_spill_count: 0
    .symbol:         _ZN7rocprim17ROCPRIM_400000_NS6detail17trampoline_kernelINS0_14default_configENS1_35radix_sort_onesweep_config_selectorIhNS0_10empty_typeEEEZZNS1_29radix_sort_onesweep_iterationIS3_Lb1EPhS8_PS5_S9_mNS0_19identity_decomposerENS1_16block_id_wrapperIjLb1EEEEE10hipError_tT1_PNSt15iterator_traitsISE_E10value_typeET2_T3_PNSF_ISK_E10value_typeET4_T5_PSP_SQ_PNS1_23onesweep_lookback_stateEbbT6_jjT7_P12ihipStream_tbENKUlT_T0_SE_SJ_E_clIS8_S8_S9_S9_EEDaSX_SY_SE_SJ_EUlSX_E_NS1_11comp_targetILNS1_3genE0ELNS1_11target_archE4294967295ELNS1_3gpuE0ELNS1_3repE0EEENS1_47radix_sort_onesweep_sort_config_static_selectorELNS0_4arch9wavefront6targetE1EEEvSE_.kd
    .uniform_work_group_size: 1
    .uses_dynamic_stack: false
    .vgpr_count:     0
    .vgpr_spill_count: 0
    .wavefront_size: 64
  - .agpr_count:     0
    .args:
      - .offset:         0
        .size:           88
        .value_kind:     by_value
    .group_segment_fixed_size: 0
    .kernarg_segment_align: 8
    .kernarg_segment_size: 88
    .language:       OpenCL C
    .language_version:
      - 2
      - 0
    .max_flat_workgroup_size: 1024
    .name:           _ZN7rocprim17ROCPRIM_400000_NS6detail17trampoline_kernelINS0_14default_configENS1_35radix_sort_onesweep_config_selectorIhNS0_10empty_typeEEEZZNS1_29radix_sort_onesweep_iterationIS3_Lb1EPhS8_PS5_S9_mNS0_19identity_decomposerENS1_16block_id_wrapperIjLb1EEEEE10hipError_tT1_PNSt15iterator_traitsISE_E10value_typeET2_T3_PNSF_ISK_E10value_typeET4_T5_PSP_SQ_PNS1_23onesweep_lookback_stateEbbT6_jjT7_P12ihipStream_tbENKUlT_T0_SE_SJ_E_clIS8_S8_S9_S9_EEDaSX_SY_SE_SJ_EUlSX_E_NS1_11comp_targetILNS1_3genE6ELNS1_11target_archE950ELNS1_3gpuE13ELNS1_3repE0EEENS1_47radix_sort_onesweep_sort_config_static_selectorELNS0_4arch9wavefront6targetE1EEEvSE_
    .private_segment_fixed_size: 0
    .sgpr_count:     4
    .sgpr_spill_count: 0
    .symbol:         _ZN7rocprim17ROCPRIM_400000_NS6detail17trampoline_kernelINS0_14default_configENS1_35radix_sort_onesweep_config_selectorIhNS0_10empty_typeEEEZZNS1_29radix_sort_onesweep_iterationIS3_Lb1EPhS8_PS5_S9_mNS0_19identity_decomposerENS1_16block_id_wrapperIjLb1EEEEE10hipError_tT1_PNSt15iterator_traitsISE_E10value_typeET2_T3_PNSF_ISK_E10value_typeET4_T5_PSP_SQ_PNS1_23onesweep_lookback_stateEbbT6_jjT7_P12ihipStream_tbENKUlT_T0_SE_SJ_E_clIS8_S8_S9_S9_EEDaSX_SY_SE_SJ_EUlSX_E_NS1_11comp_targetILNS1_3genE6ELNS1_11target_archE950ELNS1_3gpuE13ELNS1_3repE0EEENS1_47radix_sort_onesweep_sort_config_static_selectorELNS0_4arch9wavefront6targetE1EEEvSE_.kd
    .uniform_work_group_size: 1
    .uses_dynamic_stack: false
    .vgpr_count:     0
    .vgpr_spill_count: 0
    .wavefront_size: 64
  - .agpr_count:     0
    .args:
      - .offset:         0
        .size:           88
        .value_kind:     by_value
    .group_segment_fixed_size: 0
    .kernarg_segment_align: 8
    .kernarg_segment_size: 88
    .language:       OpenCL C
    .language_version:
      - 2
      - 0
    .max_flat_workgroup_size: 1024
    .name:           _ZN7rocprim17ROCPRIM_400000_NS6detail17trampoline_kernelINS0_14default_configENS1_35radix_sort_onesweep_config_selectorIhNS0_10empty_typeEEEZZNS1_29radix_sort_onesweep_iterationIS3_Lb1EPhS8_PS5_S9_mNS0_19identity_decomposerENS1_16block_id_wrapperIjLb1EEEEE10hipError_tT1_PNSt15iterator_traitsISE_E10value_typeET2_T3_PNSF_ISK_E10value_typeET4_T5_PSP_SQ_PNS1_23onesweep_lookback_stateEbbT6_jjT7_P12ihipStream_tbENKUlT_T0_SE_SJ_E_clIS8_S8_S9_S9_EEDaSX_SY_SE_SJ_EUlSX_E_NS1_11comp_targetILNS1_3genE5ELNS1_11target_archE942ELNS1_3gpuE9ELNS1_3repE0EEENS1_47radix_sort_onesweep_sort_config_static_selectorELNS0_4arch9wavefront6targetE1EEEvSE_
    .private_segment_fixed_size: 0
    .sgpr_count:     4
    .sgpr_spill_count: 0
    .symbol:         _ZN7rocprim17ROCPRIM_400000_NS6detail17trampoline_kernelINS0_14default_configENS1_35radix_sort_onesweep_config_selectorIhNS0_10empty_typeEEEZZNS1_29radix_sort_onesweep_iterationIS3_Lb1EPhS8_PS5_S9_mNS0_19identity_decomposerENS1_16block_id_wrapperIjLb1EEEEE10hipError_tT1_PNSt15iterator_traitsISE_E10value_typeET2_T3_PNSF_ISK_E10value_typeET4_T5_PSP_SQ_PNS1_23onesweep_lookback_stateEbbT6_jjT7_P12ihipStream_tbENKUlT_T0_SE_SJ_E_clIS8_S8_S9_S9_EEDaSX_SY_SE_SJ_EUlSX_E_NS1_11comp_targetILNS1_3genE5ELNS1_11target_archE942ELNS1_3gpuE9ELNS1_3repE0EEENS1_47radix_sort_onesweep_sort_config_static_selectorELNS0_4arch9wavefront6targetE1EEEvSE_.kd
    .uniform_work_group_size: 1
    .uses_dynamic_stack: false
    .vgpr_count:     0
    .vgpr_spill_count: 0
    .wavefront_size: 64
  - .agpr_count:     0
    .args:
      - .offset:         0
        .size:           88
        .value_kind:     by_value
    .group_segment_fixed_size: 0
    .kernarg_segment_align: 8
    .kernarg_segment_size: 88
    .language:       OpenCL C
    .language_version:
      - 2
      - 0
    .max_flat_workgroup_size: 512
    .name:           _ZN7rocprim17ROCPRIM_400000_NS6detail17trampoline_kernelINS0_14default_configENS1_35radix_sort_onesweep_config_selectorIhNS0_10empty_typeEEEZZNS1_29radix_sort_onesweep_iterationIS3_Lb1EPhS8_PS5_S9_mNS0_19identity_decomposerENS1_16block_id_wrapperIjLb1EEEEE10hipError_tT1_PNSt15iterator_traitsISE_E10value_typeET2_T3_PNSF_ISK_E10value_typeET4_T5_PSP_SQ_PNS1_23onesweep_lookback_stateEbbT6_jjT7_P12ihipStream_tbENKUlT_T0_SE_SJ_E_clIS8_S8_S9_S9_EEDaSX_SY_SE_SJ_EUlSX_E_NS1_11comp_targetILNS1_3genE2ELNS1_11target_archE906ELNS1_3gpuE6ELNS1_3repE0EEENS1_47radix_sort_onesweep_sort_config_static_selectorELNS0_4arch9wavefront6targetE1EEEvSE_
    .private_segment_fixed_size: 0
    .sgpr_count:     4
    .sgpr_spill_count: 0
    .symbol:         _ZN7rocprim17ROCPRIM_400000_NS6detail17trampoline_kernelINS0_14default_configENS1_35radix_sort_onesweep_config_selectorIhNS0_10empty_typeEEEZZNS1_29radix_sort_onesweep_iterationIS3_Lb1EPhS8_PS5_S9_mNS0_19identity_decomposerENS1_16block_id_wrapperIjLb1EEEEE10hipError_tT1_PNSt15iterator_traitsISE_E10value_typeET2_T3_PNSF_ISK_E10value_typeET4_T5_PSP_SQ_PNS1_23onesweep_lookback_stateEbbT6_jjT7_P12ihipStream_tbENKUlT_T0_SE_SJ_E_clIS8_S8_S9_S9_EEDaSX_SY_SE_SJ_EUlSX_E_NS1_11comp_targetILNS1_3genE2ELNS1_11target_archE906ELNS1_3gpuE6ELNS1_3repE0EEENS1_47radix_sort_onesweep_sort_config_static_selectorELNS0_4arch9wavefront6targetE1EEEvSE_.kd
    .uniform_work_group_size: 1
    .uses_dynamic_stack: false
    .vgpr_count:     0
    .vgpr_spill_count: 0
    .wavefront_size: 64
  - .agpr_count:     0
    .args:
      - .offset:         0
        .size:           88
        .value_kind:     by_value
      - .offset:         88
        .size:           4
        .value_kind:     hidden_block_count_x
      - .offset:         92
        .size:           4
        .value_kind:     hidden_block_count_y
      - .offset:         96
        .size:           4
        .value_kind:     hidden_block_count_z
      - .offset:         100
        .size:           2
        .value_kind:     hidden_group_size_x
      - .offset:         102
        .size:           2
        .value_kind:     hidden_group_size_y
      - .offset:         104
        .size:           2
        .value_kind:     hidden_group_size_z
      - .offset:         106
        .size:           2
        .value_kind:     hidden_remainder_x
      - .offset:         108
        .size:           2
        .value_kind:     hidden_remainder_y
      - .offset:         110
        .size:           2
        .value_kind:     hidden_remainder_z
      - .offset:         128
        .size:           8
        .value_kind:     hidden_global_offset_x
      - .offset:         136
        .size:           8
        .value_kind:     hidden_global_offset_y
      - .offset:         144
        .size:           8
        .value_kind:     hidden_global_offset_z
      - .offset:         152
        .size:           2
        .value_kind:     hidden_grid_dims
    .group_segment_fixed_size: 16424
    .kernarg_segment_align: 8
    .kernarg_segment_size: 344
    .language:       OpenCL C
    .language_version:
      - 2
      - 0
    .max_flat_workgroup_size: 512
    .name:           _ZN7rocprim17ROCPRIM_400000_NS6detail17trampoline_kernelINS0_14default_configENS1_35radix_sort_onesweep_config_selectorIhNS0_10empty_typeEEEZZNS1_29radix_sort_onesweep_iterationIS3_Lb1EPhS8_PS5_S9_mNS0_19identity_decomposerENS1_16block_id_wrapperIjLb1EEEEE10hipError_tT1_PNSt15iterator_traitsISE_E10value_typeET2_T3_PNSF_ISK_E10value_typeET4_T5_PSP_SQ_PNS1_23onesweep_lookback_stateEbbT6_jjT7_P12ihipStream_tbENKUlT_T0_SE_SJ_E_clIS8_S8_S9_S9_EEDaSX_SY_SE_SJ_EUlSX_E_NS1_11comp_targetILNS1_3genE4ELNS1_11target_archE910ELNS1_3gpuE8ELNS1_3repE0EEENS1_47radix_sort_onesweep_sort_config_static_selectorELNS0_4arch9wavefront6targetE1EEEvSE_
    .private_segment_fixed_size: 0
    .sgpr_count:     34
    .sgpr_spill_count: 0
    .symbol:         _ZN7rocprim17ROCPRIM_400000_NS6detail17trampoline_kernelINS0_14default_configENS1_35radix_sort_onesweep_config_selectorIhNS0_10empty_typeEEEZZNS1_29radix_sort_onesweep_iterationIS3_Lb1EPhS8_PS5_S9_mNS0_19identity_decomposerENS1_16block_id_wrapperIjLb1EEEEE10hipError_tT1_PNSt15iterator_traitsISE_E10value_typeET2_T3_PNSF_ISK_E10value_typeET4_T5_PSP_SQ_PNS1_23onesweep_lookback_stateEbbT6_jjT7_P12ihipStream_tbENKUlT_T0_SE_SJ_E_clIS8_S8_S9_S9_EEDaSX_SY_SE_SJ_EUlSX_E_NS1_11comp_targetILNS1_3genE4ELNS1_11target_archE910ELNS1_3gpuE8ELNS1_3repE0EEENS1_47radix_sort_onesweep_sort_config_static_selectorELNS0_4arch9wavefront6targetE1EEEvSE_.kd
    .uniform_work_group_size: 1
    .uses_dynamic_stack: false
    .vgpr_count:     79
    .vgpr_spill_count: 0
    .wavefront_size: 64
  - .agpr_count:     0
    .args:
      - .offset:         0
        .size:           88
        .value_kind:     by_value
    .group_segment_fixed_size: 0
    .kernarg_segment_align: 8
    .kernarg_segment_size: 88
    .language:       OpenCL C
    .language_version:
      - 2
      - 0
    .max_flat_workgroup_size: 1024
    .name:           _ZN7rocprim17ROCPRIM_400000_NS6detail17trampoline_kernelINS0_14default_configENS1_35radix_sort_onesweep_config_selectorIhNS0_10empty_typeEEEZZNS1_29radix_sort_onesweep_iterationIS3_Lb1EPhS8_PS5_S9_mNS0_19identity_decomposerENS1_16block_id_wrapperIjLb1EEEEE10hipError_tT1_PNSt15iterator_traitsISE_E10value_typeET2_T3_PNSF_ISK_E10value_typeET4_T5_PSP_SQ_PNS1_23onesweep_lookback_stateEbbT6_jjT7_P12ihipStream_tbENKUlT_T0_SE_SJ_E_clIS8_S8_S9_S9_EEDaSX_SY_SE_SJ_EUlSX_E_NS1_11comp_targetILNS1_3genE3ELNS1_11target_archE908ELNS1_3gpuE7ELNS1_3repE0EEENS1_47radix_sort_onesweep_sort_config_static_selectorELNS0_4arch9wavefront6targetE1EEEvSE_
    .private_segment_fixed_size: 0
    .sgpr_count:     4
    .sgpr_spill_count: 0
    .symbol:         _ZN7rocprim17ROCPRIM_400000_NS6detail17trampoline_kernelINS0_14default_configENS1_35radix_sort_onesweep_config_selectorIhNS0_10empty_typeEEEZZNS1_29radix_sort_onesweep_iterationIS3_Lb1EPhS8_PS5_S9_mNS0_19identity_decomposerENS1_16block_id_wrapperIjLb1EEEEE10hipError_tT1_PNSt15iterator_traitsISE_E10value_typeET2_T3_PNSF_ISK_E10value_typeET4_T5_PSP_SQ_PNS1_23onesweep_lookback_stateEbbT6_jjT7_P12ihipStream_tbENKUlT_T0_SE_SJ_E_clIS8_S8_S9_S9_EEDaSX_SY_SE_SJ_EUlSX_E_NS1_11comp_targetILNS1_3genE3ELNS1_11target_archE908ELNS1_3gpuE7ELNS1_3repE0EEENS1_47radix_sort_onesweep_sort_config_static_selectorELNS0_4arch9wavefront6targetE1EEEvSE_.kd
    .uniform_work_group_size: 1
    .uses_dynamic_stack: false
    .vgpr_count:     0
    .vgpr_spill_count: 0
    .wavefront_size: 64
  - .agpr_count:     0
    .args:
      - .offset:         0
        .size:           88
        .value_kind:     by_value
    .group_segment_fixed_size: 0
    .kernarg_segment_align: 8
    .kernarg_segment_size: 88
    .language:       OpenCL C
    .language_version:
      - 2
      - 0
    .max_flat_workgroup_size: 256
    .name:           _ZN7rocprim17ROCPRIM_400000_NS6detail17trampoline_kernelINS0_14default_configENS1_35radix_sort_onesweep_config_selectorIhNS0_10empty_typeEEEZZNS1_29radix_sort_onesweep_iterationIS3_Lb1EPhS8_PS5_S9_mNS0_19identity_decomposerENS1_16block_id_wrapperIjLb1EEEEE10hipError_tT1_PNSt15iterator_traitsISE_E10value_typeET2_T3_PNSF_ISK_E10value_typeET4_T5_PSP_SQ_PNS1_23onesweep_lookback_stateEbbT6_jjT7_P12ihipStream_tbENKUlT_T0_SE_SJ_E_clIS8_S8_S9_S9_EEDaSX_SY_SE_SJ_EUlSX_E_NS1_11comp_targetILNS1_3genE10ELNS1_11target_archE1201ELNS1_3gpuE5ELNS1_3repE0EEENS1_47radix_sort_onesweep_sort_config_static_selectorELNS0_4arch9wavefront6targetE1EEEvSE_
    .private_segment_fixed_size: 0
    .sgpr_count:     4
    .sgpr_spill_count: 0
    .symbol:         _ZN7rocprim17ROCPRIM_400000_NS6detail17trampoline_kernelINS0_14default_configENS1_35radix_sort_onesweep_config_selectorIhNS0_10empty_typeEEEZZNS1_29radix_sort_onesweep_iterationIS3_Lb1EPhS8_PS5_S9_mNS0_19identity_decomposerENS1_16block_id_wrapperIjLb1EEEEE10hipError_tT1_PNSt15iterator_traitsISE_E10value_typeET2_T3_PNSF_ISK_E10value_typeET4_T5_PSP_SQ_PNS1_23onesweep_lookback_stateEbbT6_jjT7_P12ihipStream_tbENKUlT_T0_SE_SJ_E_clIS8_S8_S9_S9_EEDaSX_SY_SE_SJ_EUlSX_E_NS1_11comp_targetILNS1_3genE10ELNS1_11target_archE1201ELNS1_3gpuE5ELNS1_3repE0EEENS1_47radix_sort_onesweep_sort_config_static_selectorELNS0_4arch9wavefront6targetE1EEEvSE_.kd
    .uniform_work_group_size: 1
    .uses_dynamic_stack: false
    .vgpr_count:     0
    .vgpr_spill_count: 0
    .wavefront_size: 64
  - .agpr_count:     0
    .args:
      - .offset:         0
        .size:           88
        .value_kind:     by_value
    .group_segment_fixed_size: 0
    .kernarg_segment_align: 8
    .kernarg_segment_size: 88
    .language:       OpenCL C
    .language_version:
      - 2
      - 0
    .max_flat_workgroup_size: 256
    .name:           _ZN7rocprim17ROCPRIM_400000_NS6detail17trampoline_kernelINS0_14default_configENS1_35radix_sort_onesweep_config_selectorIhNS0_10empty_typeEEEZZNS1_29radix_sort_onesweep_iterationIS3_Lb1EPhS8_PS5_S9_mNS0_19identity_decomposerENS1_16block_id_wrapperIjLb1EEEEE10hipError_tT1_PNSt15iterator_traitsISE_E10value_typeET2_T3_PNSF_ISK_E10value_typeET4_T5_PSP_SQ_PNS1_23onesweep_lookback_stateEbbT6_jjT7_P12ihipStream_tbENKUlT_T0_SE_SJ_E_clIS8_S8_S9_S9_EEDaSX_SY_SE_SJ_EUlSX_E_NS1_11comp_targetILNS1_3genE9ELNS1_11target_archE1100ELNS1_3gpuE3ELNS1_3repE0EEENS1_47radix_sort_onesweep_sort_config_static_selectorELNS0_4arch9wavefront6targetE1EEEvSE_
    .private_segment_fixed_size: 0
    .sgpr_count:     4
    .sgpr_spill_count: 0
    .symbol:         _ZN7rocprim17ROCPRIM_400000_NS6detail17trampoline_kernelINS0_14default_configENS1_35radix_sort_onesweep_config_selectorIhNS0_10empty_typeEEEZZNS1_29radix_sort_onesweep_iterationIS3_Lb1EPhS8_PS5_S9_mNS0_19identity_decomposerENS1_16block_id_wrapperIjLb1EEEEE10hipError_tT1_PNSt15iterator_traitsISE_E10value_typeET2_T3_PNSF_ISK_E10value_typeET4_T5_PSP_SQ_PNS1_23onesweep_lookback_stateEbbT6_jjT7_P12ihipStream_tbENKUlT_T0_SE_SJ_E_clIS8_S8_S9_S9_EEDaSX_SY_SE_SJ_EUlSX_E_NS1_11comp_targetILNS1_3genE9ELNS1_11target_archE1100ELNS1_3gpuE3ELNS1_3repE0EEENS1_47radix_sort_onesweep_sort_config_static_selectorELNS0_4arch9wavefront6targetE1EEEvSE_.kd
    .uniform_work_group_size: 1
    .uses_dynamic_stack: false
    .vgpr_count:     0
    .vgpr_spill_count: 0
    .wavefront_size: 64
  - .agpr_count:     0
    .args:
      - .offset:         0
        .size:           88
        .value_kind:     by_value
    .group_segment_fixed_size: 0
    .kernarg_segment_align: 8
    .kernarg_segment_size: 88
    .language:       OpenCL C
    .language_version:
      - 2
      - 0
    .max_flat_workgroup_size: 256
    .name:           _ZN7rocprim17ROCPRIM_400000_NS6detail17trampoline_kernelINS0_14default_configENS1_35radix_sort_onesweep_config_selectorIhNS0_10empty_typeEEEZZNS1_29radix_sort_onesweep_iterationIS3_Lb1EPhS8_PS5_S9_mNS0_19identity_decomposerENS1_16block_id_wrapperIjLb1EEEEE10hipError_tT1_PNSt15iterator_traitsISE_E10value_typeET2_T3_PNSF_ISK_E10value_typeET4_T5_PSP_SQ_PNS1_23onesweep_lookback_stateEbbT6_jjT7_P12ihipStream_tbENKUlT_T0_SE_SJ_E_clIS8_S8_S9_S9_EEDaSX_SY_SE_SJ_EUlSX_E_NS1_11comp_targetILNS1_3genE8ELNS1_11target_archE1030ELNS1_3gpuE2ELNS1_3repE0EEENS1_47radix_sort_onesweep_sort_config_static_selectorELNS0_4arch9wavefront6targetE1EEEvSE_
    .private_segment_fixed_size: 0
    .sgpr_count:     4
    .sgpr_spill_count: 0
    .symbol:         _ZN7rocprim17ROCPRIM_400000_NS6detail17trampoline_kernelINS0_14default_configENS1_35radix_sort_onesweep_config_selectorIhNS0_10empty_typeEEEZZNS1_29radix_sort_onesweep_iterationIS3_Lb1EPhS8_PS5_S9_mNS0_19identity_decomposerENS1_16block_id_wrapperIjLb1EEEEE10hipError_tT1_PNSt15iterator_traitsISE_E10value_typeET2_T3_PNSF_ISK_E10value_typeET4_T5_PSP_SQ_PNS1_23onesweep_lookback_stateEbbT6_jjT7_P12ihipStream_tbENKUlT_T0_SE_SJ_E_clIS8_S8_S9_S9_EEDaSX_SY_SE_SJ_EUlSX_E_NS1_11comp_targetILNS1_3genE8ELNS1_11target_archE1030ELNS1_3gpuE2ELNS1_3repE0EEENS1_47radix_sort_onesweep_sort_config_static_selectorELNS0_4arch9wavefront6targetE1EEEvSE_.kd
    .uniform_work_group_size: 1
    .uses_dynamic_stack: false
    .vgpr_count:     0
    .vgpr_spill_count: 0
    .wavefront_size: 64
  - .agpr_count:     0
    .args:
      - .offset:         0
        .size:           88
        .value_kind:     by_value
    .group_segment_fixed_size: 0
    .kernarg_segment_align: 8
    .kernarg_segment_size: 88
    .language:       OpenCL C
    .language_version:
      - 2
      - 0
    .max_flat_workgroup_size: 1024
    .name:           _ZN7rocprim17ROCPRIM_400000_NS6detail17trampoline_kernelINS0_14default_configENS1_35radix_sort_onesweep_config_selectorIhNS0_10empty_typeEEEZZNS1_29radix_sort_onesweep_iterationIS3_Lb1EPhS8_PS5_S9_mNS0_19identity_decomposerENS1_16block_id_wrapperIjLb0EEEEE10hipError_tT1_PNSt15iterator_traitsISE_E10value_typeET2_T3_PNSF_ISK_E10value_typeET4_T5_PSP_SQ_PNS1_23onesweep_lookback_stateEbbT6_jjT7_P12ihipStream_tbENKUlT_T0_SE_SJ_E_clIS8_S8_S9_S9_EEDaSX_SY_SE_SJ_EUlSX_E_NS1_11comp_targetILNS1_3genE0ELNS1_11target_archE4294967295ELNS1_3gpuE0ELNS1_3repE0EEENS1_47radix_sort_onesweep_sort_config_static_selectorELNS0_4arch9wavefront6targetE1EEEvSE_
    .private_segment_fixed_size: 0
    .sgpr_count:     4
    .sgpr_spill_count: 0
    .symbol:         _ZN7rocprim17ROCPRIM_400000_NS6detail17trampoline_kernelINS0_14default_configENS1_35radix_sort_onesweep_config_selectorIhNS0_10empty_typeEEEZZNS1_29radix_sort_onesweep_iterationIS3_Lb1EPhS8_PS5_S9_mNS0_19identity_decomposerENS1_16block_id_wrapperIjLb0EEEEE10hipError_tT1_PNSt15iterator_traitsISE_E10value_typeET2_T3_PNSF_ISK_E10value_typeET4_T5_PSP_SQ_PNS1_23onesweep_lookback_stateEbbT6_jjT7_P12ihipStream_tbENKUlT_T0_SE_SJ_E_clIS8_S8_S9_S9_EEDaSX_SY_SE_SJ_EUlSX_E_NS1_11comp_targetILNS1_3genE0ELNS1_11target_archE4294967295ELNS1_3gpuE0ELNS1_3repE0EEENS1_47radix_sort_onesweep_sort_config_static_selectorELNS0_4arch9wavefront6targetE1EEEvSE_.kd
    .uniform_work_group_size: 1
    .uses_dynamic_stack: false
    .vgpr_count:     0
    .vgpr_spill_count: 0
    .wavefront_size: 64
  - .agpr_count:     0
    .args:
      - .offset:         0
        .size:           88
        .value_kind:     by_value
    .group_segment_fixed_size: 0
    .kernarg_segment_align: 8
    .kernarg_segment_size: 88
    .language:       OpenCL C
    .language_version:
      - 2
      - 0
    .max_flat_workgroup_size: 1024
    .name:           _ZN7rocprim17ROCPRIM_400000_NS6detail17trampoline_kernelINS0_14default_configENS1_35radix_sort_onesweep_config_selectorIhNS0_10empty_typeEEEZZNS1_29radix_sort_onesweep_iterationIS3_Lb1EPhS8_PS5_S9_mNS0_19identity_decomposerENS1_16block_id_wrapperIjLb0EEEEE10hipError_tT1_PNSt15iterator_traitsISE_E10value_typeET2_T3_PNSF_ISK_E10value_typeET4_T5_PSP_SQ_PNS1_23onesweep_lookback_stateEbbT6_jjT7_P12ihipStream_tbENKUlT_T0_SE_SJ_E_clIS8_S8_S9_S9_EEDaSX_SY_SE_SJ_EUlSX_E_NS1_11comp_targetILNS1_3genE6ELNS1_11target_archE950ELNS1_3gpuE13ELNS1_3repE0EEENS1_47radix_sort_onesweep_sort_config_static_selectorELNS0_4arch9wavefront6targetE1EEEvSE_
    .private_segment_fixed_size: 0
    .sgpr_count:     4
    .sgpr_spill_count: 0
    .symbol:         _ZN7rocprim17ROCPRIM_400000_NS6detail17trampoline_kernelINS0_14default_configENS1_35radix_sort_onesweep_config_selectorIhNS0_10empty_typeEEEZZNS1_29radix_sort_onesweep_iterationIS3_Lb1EPhS8_PS5_S9_mNS0_19identity_decomposerENS1_16block_id_wrapperIjLb0EEEEE10hipError_tT1_PNSt15iterator_traitsISE_E10value_typeET2_T3_PNSF_ISK_E10value_typeET4_T5_PSP_SQ_PNS1_23onesweep_lookback_stateEbbT6_jjT7_P12ihipStream_tbENKUlT_T0_SE_SJ_E_clIS8_S8_S9_S9_EEDaSX_SY_SE_SJ_EUlSX_E_NS1_11comp_targetILNS1_3genE6ELNS1_11target_archE950ELNS1_3gpuE13ELNS1_3repE0EEENS1_47radix_sort_onesweep_sort_config_static_selectorELNS0_4arch9wavefront6targetE1EEEvSE_.kd
    .uniform_work_group_size: 1
    .uses_dynamic_stack: false
    .vgpr_count:     0
    .vgpr_spill_count: 0
    .wavefront_size: 64
  - .agpr_count:     0
    .args:
      - .offset:         0
        .size:           88
        .value_kind:     by_value
    .group_segment_fixed_size: 0
    .kernarg_segment_align: 8
    .kernarg_segment_size: 88
    .language:       OpenCL C
    .language_version:
      - 2
      - 0
    .max_flat_workgroup_size: 1024
    .name:           _ZN7rocprim17ROCPRIM_400000_NS6detail17trampoline_kernelINS0_14default_configENS1_35radix_sort_onesweep_config_selectorIhNS0_10empty_typeEEEZZNS1_29radix_sort_onesweep_iterationIS3_Lb1EPhS8_PS5_S9_mNS0_19identity_decomposerENS1_16block_id_wrapperIjLb0EEEEE10hipError_tT1_PNSt15iterator_traitsISE_E10value_typeET2_T3_PNSF_ISK_E10value_typeET4_T5_PSP_SQ_PNS1_23onesweep_lookback_stateEbbT6_jjT7_P12ihipStream_tbENKUlT_T0_SE_SJ_E_clIS8_S8_S9_S9_EEDaSX_SY_SE_SJ_EUlSX_E_NS1_11comp_targetILNS1_3genE5ELNS1_11target_archE942ELNS1_3gpuE9ELNS1_3repE0EEENS1_47radix_sort_onesweep_sort_config_static_selectorELNS0_4arch9wavefront6targetE1EEEvSE_
    .private_segment_fixed_size: 0
    .sgpr_count:     4
    .sgpr_spill_count: 0
    .symbol:         _ZN7rocprim17ROCPRIM_400000_NS6detail17trampoline_kernelINS0_14default_configENS1_35radix_sort_onesweep_config_selectorIhNS0_10empty_typeEEEZZNS1_29radix_sort_onesweep_iterationIS3_Lb1EPhS8_PS5_S9_mNS0_19identity_decomposerENS1_16block_id_wrapperIjLb0EEEEE10hipError_tT1_PNSt15iterator_traitsISE_E10value_typeET2_T3_PNSF_ISK_E10value_typeET4_T5_PSP_SQ_PNS1_23onesweep_lookback_stateEbbT6_jjT7_P12ihipStream_tbENKUlT_T0_SE_SJ_E_clIS8_S8_S9_S9_EEDaSX_SY_SE_SJ_EUlSX_E_NS1_11comp_targetILNS1_3genE5ELNS1_11target_archE942ELNS1_3gpuE9ELNS1_3repE0EEENS1_47radix_sort_onesweep_sort_config_static_selectorELNS0_4arch9wavefront6targetE1EEEvSE_.kd
    .uniform_work_group_size: 1
    .uses_dynamic_stack: false
    .vgpr_count:     0
    .vgpr_spill_count: 0
    .wavefront_size: 64
  - .agpr_count:     0
    .args:
      - .offset:         0
        .size:           88
        .value_kind:     by_value
    .group_segment_fixed_size: 0
    .kernarg_segment_align: 8
    .kernarg_segment_size: 88
    .language:       OpenCL C
    .language_version:
      - 2
      - 0
    .max_flat_workgroup_size: 512
    .name:           _ZN7rocprim17ROCPRIM_400000_NS6detail17trampoline_kernelINS0_14default_configENS1_35radix_sort_onesweep_config_selectorIhNS0_10empty_typeEEEZZNS1_29radix_sort_onesweep_iterationIS3_Lb1EPhS8_PS5_S9_mNS0_19identity_decomposerENS1_16block_id_wrapperIjLb0EEEEE10hipError_tT1_PNSt15iterator_traitsISE_E10value_typeET2_T3_PNSF_ISK_E10value_typeET4_T5_PSP_SQ_PNS1_23onesweep_lookback_stateEbbT6_jjT7_P12ihipStream_tbENKUlT_T0_SE_SJ_E_clIS8_S8_S9_S9_EEDaSX_SY_SE_SJ_EUlSX_E_NS1_11comp_targetILNS1_3genE2ELNS1_11target_archE906ELNS1_3gpuE6ELNS1_3repE0EEENS1_47radix_sort_onesweep_sort_config_static_selectorELNS0_4arch9wavefront6targetE1EEEvSE_
    .private_segment_fixed_size: 0
    .sgpr_count:     4
    .sgpr_spill_count: 0
    .symbol:         _ZN7rocprim17ROCPRIM_400000_NS6detail17trampoline_kernelINS0_14default_configENS1_35radix_sort_onesweep_config_selectorIhNS0_10empty_typeEEEZZNS1_29radix_sort_onesweep_iterationIS3_Lb1EPhS8_PS5_S9_mNS0_19identity_decomposerENS1_16block_id_wrapperIjLb0EEEEE10hipError_tT1_PNSt15iterator_traitsISE_E10value_typeET2_T3_PNSF_ISK_E10value_typeET4_T5_PSP_SQ_PNS1_23onesweep_lookback_stateEbbT6_jjT7_P12ihipStream_tbENKUlT_T0_SE_SJ_E_clIS8_S8_S9_S9_EEDaSX_SY_SE_SJ_EUlSX_E_NS1_11comp_targetILNS1_3genE2ELNS1_11target_archE906ELNS1_3gpuE6ELNS1_3repE0EEENS1_47radix_sort_onesweep_sort_config_static_selectorELNS0_4arch9wavefront6targetE1EEEvSE_.kd
    .uniform_work_group_size: 1
    .uses_dynamic_stack: false
    .vgpr_count:     0
    .vgpr_spill_count: 0
    .wavefront_size: 64
  - .agpr_count:     0
    .args:
      - .offset:         0
        .size:           88
        .value_kind:     by_value
      - .offset:         88
        .size:           4
        .value_kind:     hidden_block_count_x
      - .offset:         92
        .size:           4
        .value_kind:     hidden_block_count_y
      - .offset:         96
        .size:           4
        .value_kind:     hidden_block_count_z
      - .offset:         100
        .size:           2
        .value_kind:     hidden_group_size_x
      - .offset:         102
        .size:           2
        .value_kind:     hidden_group_size_y
      - .offset:         104
        .size:           2
        .value_kind:     hidden_group_size_z
      - .offset:         106
        .size:           2
        .value_kind:     hidden_remainder_x
      - .offset:         108
        .size:           2
        .value_kind:     hidden_remainder_y
      - .offset:         110
        .size:           2
        .value_kind:     hidden_remainder_z
      - .offset:         128
        .size:           8
        .value_kind:     hidden_global_offset_x
      - .offset:         136
        .size:           8
        .value_kind:     hidden_global_offset_y
      - .offset:         144
        .size:           8
        .value_kind:     hidden_global_offset_z
      - .offset:         152
        .size:           2
        .value_kind:     hidden_grid_dims
    .group_segment_fixed_size: 16424
    .kernarg_segment_align: 8
    .kernarg_segment_size: 344
    .language:       OpenCL C
    .language_version:
      - 2
      - 0
    .max_flat_workgroup_size: 512
    .name:           _ZN7rocprim17ROCPRIM_400000_NS6detail17trampoline_kernelINS0_14default_configENS1_35radix_sort_onesweep_config_selectorIhNS0_10empty_typeEEEZZNS1_29radix_sort_onesweep_iterationIS3_Lb1EPhS8_PS5_S9_mNS0_19identity_decomposerENS1_16block_id_wrapperIjLb0EEEEE10hipError_tT1_PNSt15iterator_traitsISE_E10value_typeET2_T3_PNSF_ISK_E10value_typeET4_T5_PSP_SQ_PNS1_23onesweep_lookback_stateEbbT6_jjT7_P12ihipStream_tbENKUlT_T0_SE_SJ_E_clIS8_S8_S9_S9_EEDaSX_SY_SE_SJ_EUlSX_E_NS1_11comp_targetILNS1_3genE4ELNS1_11target_archE910ELNS1_3gpuE8ELNS1_3repE0EEENS1_47radix_sort_onesweep_sort_config_static_selectorELNS0_4arch9wavefront6targetE1EEEvSE_
    .private_segment_fixed_size: 0
    .sgpr_count:     34
    .sgpr_spill_count: 0
    .symbol:         _ZN7rocprim17ROCPRIM_400000_NS6detail17trampoline_kernelINS0_14default_configENS1_35radix_sort_onesweep_config_selectorIhNS0_10empty_typeEEEZZNS1_29radix_sort_onesweep_iterationIS3_Lb1EPhS8_PS5_S9_mNS0_19identity_decomposerENS1_16block_id_wrapperIjLb0EEEEE10hipError_tT1_PNSt15iterator_traitsISE_E10value_typeET2_T3_PNSF_ISK_E10value_typeET4_T5_PSP_SQ_PNS1_23onesweep_lookback_stateEbbT6_jjT7_P12ihipStream_tbENKUlT_T0_SE_SJ_E_clIS8_S8_S9_S9_EEDaSX_SY_SE_SJ_EUlSX_E_NS1_11comp_targetILNS1_3genE4ELNS1_11target_archE910ELNS1_3gpuE8ELNS1_3repE0EEENS1_47radix_sort_onesweep_sort_config_static_selectorELNS0_4arch9wavefront6targetE1EEEvSE_.kd
    .uniform_work_group_size: 1
    .uses_dynamic_stack: false
    .vgpr_count:     79
    .vgpr_spill_count: 0
    .wavefront_size: 64
  - .agpr_count:     0
    .args:
      - .offset:         0
        .size:           88
        .value_kind:     by_value
    .group_segment_fixed_size: 0
    .kernarg_segment_align: 8
    .kernarg_segment_size: 88
    .language:       OpenCL C
    .language_version:
      - 2
      - 0
    .max_flat_workgroup_size: 1024
    .name:           _ZN7rocprim17ROCPRIM_400000_NS6detail17trampoline_kernelINS0_14default_configENS1_35radix_sort_onesweep_config_selectorIhNS0_10empty_typeEEEZZNS1_29radix_sort_onesweep_iterationIS3_Lb1EPhS8_PS5_S9_mNS0_19identity_decomposerENS1_16block_id_wrapperIjLb0EEEEE10hipError_tT1_PNSt15iterator_traitsISE_E10value_typeET2_T3_PNSF_ISK_E10value_typeET4_T5_PSP_SQ_PNS1_23onesweep_lookback_stateEbbT6_jjT7_P12ihipStream_tbENKUlT_T0_SE_SJ_E_clIS8_S8_S9_S9_EEDaSX_SY_SE_SJ_EUlSX_E_NS1_11comp_targetILNS1_3genE3ELNS1_11target_archE908ELNS1_3gpuE7ELNS1_3repE0EEENS1_47radix_sort_onesweep_sort_config_static_selectorELNS0_4arch9wavefront6targetE1EEEvSE_
    .private_segment_fixed_size: 0
    .sgpr_count:     4
    .sgpr_spill_count: 0
    .symbol:         _ZN7rocprim17ROCPRIM_400000_NS6detail17trampoline_kernelINS0_14default_configENS1_35radix_sort_onesweep_config_selectorIhNS0_10empty_typeEEEZZNS1_29radix_sort_onesweep_iterationIS3_Lb1EPhS8_PS5_S9_mNS0_19identity_decomposerENS1_16block_id_wrapperIjLb0EEEEE10hipError_tT1_PNSt15iterator_traitsISE_E10value_typeET2_T3_PNSF_ISK_E10value_typeET4_T5_PSP_SQ_PNS1_23onesweep_lookback_stateEbbT6_jjT7_P12ihipStream_tbENKUlT_T0_SE_SJ_E_clIS8_S8_S9_S9_EEDaSX_SY_SE_SJ_EUlSX_E_NS1_11comp_targetILNS1_3genE3ELNS1_11target_archE908ELNS1_3gpuE7ELNS1_3repE0EEENS1_47radix_sort_onesweep_sort_config_static_selectorELNS0_4arch9wavefront6targetE1EEEvSE_.kd
    .uniform_work_group_size: 1
    .uses_dynamic_stack: false
    .vgpr_count:     0
    .vgpr_spill_count: 0
    .wavefront_size: 64
  - .agpr_count:     0
    .args:
      - .offset:         0
        .size:           88
        .value_kind:     by_value
    .group_segment_fixed_size: 0
    .kernarg_segment_align: 8
    .kernarg_segment_size: 88
    .language:       OpenCL C
    .language_version:
      - 2
      - 0
    .max_flat_workgroup_size: 256
    .name:           _ZN7rocprim17ROCPRIM_400000_NS6detail17trampoline_kernelINS0_14default_configENS1_35radix_sort_onesweep_config_selectorIhNS0_10empty_typeEEEZZNS1_29radix_sort_onesweep_iterationIS3_Lb1EPhS8_PS5_S9_mNS0_19identity_decomposerENS1_16block_id_wrapperIjLb0EEEEE10hipError_tT1_PNSt15iterator_traitsISE_E10value_typeET2_T3_PNSF_ISK_E10value_typeET4_T5_PSP_SQ_PNS1_23onesweep_lookback_stateEbbT6_jjT7_P12ihipStream_tbENKUlT_T0_SE_SJ_E_clIS8_S8_S9_S9_EEDaSX_SY_SE_SJ_EUlSX_E_NS1_11comp_targetILNS1_3genE10ELNS1_11target_archE1201ELNS1_3gpuE5ELNS1_3repE0EEENS1_47radix_sort_onesweep_sort_config_static_selectorELNS0_4arch9wavefront6targetE1EEEvSE_
    .private_segment_fixed_size: 0
    .sgpr_count:     4
    .sgpr_spill_count: 0
    .symbol:         _ZN7rocprim17ROCPRIM_400000_NS6detail17trampoline_kernelINS0_14default_configENS1_35radix_sort_onesweep_config_selectorIhNS0_10empty_typeEEEZZNS1_29radix_sort_onesweep_iterationIS3_Lb1EPhS8_PS5_S9_mNS0_19identity_decomposerENS1_16block_id_wrapperIjLb0EEEEE10hipError_tT1_PNSt15iterator_traitsISE_E10value_typeET2_T3_PNSF_ISK_E10value_typeET4_T5_PSP_SQ_PNS1_23onesweep_lookback_stateEbbT6_jjT7_P12ihipStream_tbENKUlT_T0_SE_SJ_E_clIS8_S8_S9_S9_EEDaSX_SY_SE_SJ_EUlSX_E_NS1_11comp_targetILNS1_3genE10ELNS1_11target_archE1201ELNS1_3gpuE5ELNS1_3repE0EEENS1_47radix_sort_onesweep_sort_config_static_selectorELNS0_4arch9wavefront6targetE1EEEvSE_.kd
    .uniform_work_group_size: 1
    .uses_dynamic_stack: false
    .vgpr_count:     0
    .vgpr_spill_count: 0
    .wavefront_size: 64
  - .agpr_count:     0
    .args:
      - .offset:         0
        .size:           88
        .value_kind:     by_value
    .group_segment_fixed_size: 0
    .kernarg_segment_align: 8
    .kernarg_segment_size: 88
    .language:       OpenCL C
    .language_version:
      - 2
      - 0
    .max_flat_workgroup_size: 256
    .name:           _ZN7rocprim17ROCPRIM_400000_NS6detail17trampoline_kernelINS0_14default_configENS1_35radix_sort_onesweep_config_selectorIhNS0_10empty_typeEEEZZNS1_29radix_sort_onesweep_iterationIS3_Lb1EPhS8_PS5_S9_mNS0_19identity_decomposerENS1_16block_id_wrapperIjLb0EEEEE10hipError_tT1_PNSt15iterator_traitsISE_E10value_typeET2_T3_PNSF_ISK_E10value_typeET4_T5_PSP_SQ_PNS1_23onesweep_lookback_stateEbbT6_jjT7_P12ihipStream_tbENKUlT_T0_SE_SJ_E_clIS8_S8_S9_S9_EEDaSX_SY_SE_SJ_EUlSX_E_NS1_11comp_targetILNS1_3genE9ELNS1_11target_archE1100ELNS1_3gpuE3ELNS1_3repE0EEENS1_47radix_sort_onesweep_sort_config_static_selectorELNS0_4arch9wavefront6targetE1EEEvSE_
    .private_segment_fixed_size: 0
    .sgpr_count:     4
    .sgpr_spill_count: 0
    .symbol:         _ZN7rocprim17ROCPRIM_400000_NS6detail17trampoline_kernelINS0_14default_configENS1_35radix_sort_onesweep_config_selectorIhNS0_10empty_typeEEEZZNS1_29radix_sort_onesweep_iterationIS3_Lb1EPhS8_PS5_S9_mNS0_19identity_decomposerENS1_16block_id_wrapperIjLb0EEEEE10hipError_tT1_PNSt15iterator_traitsISE_E10value_typeET2_T3_PNSF_ISK_E10value_typeET4_T5_PSP_SQ_PNS1_23onesweep_lookback_stateEbbT6_jjT7_P12ihipStream_tbENKUlT_T0_SE_SJ_E_clIS8_S8_S9_S9_EEDaSX_SY_SE_SJ_EUlSX_E_NS1_11comp_targetILNS1_3genE9ELNS1_11target_archE1100ELNS1_3gpuE3ELNS1_3repE0EEENS1_47radix_sort_onesweep_sort_config_static_selectorELNS0_4arch9wavefront6targetE1EEEvSE_.kd
    .uniform_work_group_size: 1
    .uses_dynamic_stack: false
    .vgpr_count:     0
    .vgpr_spill_count: 0
    .wavefront_size: 64
  - .agpr_count:     0
    .args:
      - .offset:         0
        .size:           88
        .value_kind:     by_value
    .group_segment_fixed_size: 0
    .kernarg_segment_align: 8
    .kernarg_segment_size: 88
    .language:       OpenCL C
    .language_version:
      - 2
      - 0
    .max_flat_workgroup_size: 256
    .name:           _ZN7rocprim17ROCPRIM_400000_NS6detail17trampoline_kernelINS0_14default_configENS1_35radix_sort_onesweep_config_selectorIhNS0_10empty_typeEEEZZNS1_29radix_sort_onesweep_iterationIS3_Lb1EPhS8_PS5_S9_mNS0_19identity_decomposerENS1_16block_id_wrapperIjLb0EEEEE10hipError_tT1_PNSt15iterator_traitsISE_E10value_typeET2_T3_PNSF_ISK_E10value_typeET4_T5_PSP_SQ_PNS1_23onesweep_lookback_stateEbbT6_jjT7_P12ihipStream_tbENKUlT_T0_SE_SJ_E_clIS8_S8_S9_S9_EEDaSX_SY_SE_SJ_EUlSX_E_NS1_11comp_targetILNS1_3genE8ELNS1_11target_archE1030ELNS1_3gpuE2ELNS1_3repE0EEENS1_47radix_sort_onesweep_sort_config_static_selectorELNS0_4arch9wavefront6targetE1EEEvSE_
    .private_segment_fixed_size: 0
    .sgpr_count:     4
    .sgpr_spill_count: 0
    .symbol:         _ZN7rocprim17ROCPRIM_400000_NS6detail17trampoline_kernelINS0_14default_configENS1_35radix_sort_onesweep_config_selectorIhNS0_10empty_typeEEEZZNS1_29radix_sort_onesweep_iterationIS3_Lb1EPhS8_PS5_S9_mNS0_19identity_decomposerENS1_16block_id_wrapperIjLb0EEEEE10hipError_tT1_PNSt15iterator_traitsISE_E10value_typeET2_T3_PNSF_ISK_E10value_typeET4_T5_PSP_SQ_PNS1_23onesweep_lookback_stateEbbT6_jjT7_P12ihipStream_tbENKUlT_T0_SE_SJ_E_clIS8_S8_S9_S9_EEDaSX_SY_SE_SJ_EUlSX_E_NS1_11comp_targetILNS1_3genE8ELNS1_11target_archE1030ELNS1_3gpuE2ELNS1_3repE0EEENS1_47radix_sort_onesweep_sort_config_static_selectorELNS0_4arch9wavefront6targetE1EEEvSE_.kd
    .uniform_work_group_size: 1
    .uses_dynamic_stack: false
    .vgpr_count:     0
    .vgpr_spill_count: 0
    .wavefront_size: 64
  - .agpr_count:     0
    .args:
      - .offset:         0
        .size:           48
        .value_kind:     by_value
    .group_segment_fixed_size: 0
    .kernarg_segment_align: 8
    .kernarg_segment_size: 48
    .language:       OpenCL C
    .language_version:
      - 2
      - 0
    .max_flat_workgroup_size: 256
    .name:           _ZN7rocprim17ROCPRIM_400000_NS6detail17trampoline_kernelINS0_13kernel_configILj256ELj4ELj4294967295EEENS1_37radix_sort_block_sort_config_selectorIsNS0_10empty_typeEEEZNS1_21radix_sort_block_sortIS4_Lb1EPsS9_PS6_SA_NS0_19identity_decomposerEEE10hipError_tT1_T2_T3_T4_jRjT5_jjP12ihipStream_tbEUlT_E_NS1_11comp_targetILNS1_3genE0ELNS1_11target_archE4294967295ELNS1_3gpuE0ELNS1_3repE0EEENS1_44radix_sort_block_sort_config_static_selectorELNS0_4arch9wavefront6targetE1EEEvSD_
    .private_segment_fixed_size: 0
    .sgpr_count:     4
    .sgpr_spill_count: 0
    .symbol:         _ZN7rocprim17ROCPRIM_400000_NS6detail17trampoline_kernelINS0_13kernel_configILj256ELj4ELj4294967295EEENS1_37radix_sort_block_sort_config_selectorIsNS0_10empty_typeEEEZNS1_21radix_sort_block_sortIS4_Lb1EPsS9_PS6_SA_NS0_19identity_decomposerEEE10hipError_tT1_T2_T3_T4_jRjT5_jjP12ihipStream_tbEUlT_E_NS1_11comp_targetILNS1_3genE0ELNS1_11target_archE4294967295ELNS1_3gpuE0ELNS1_3repE0EEENS1_44radix_sort_block_sort_config_static_selectorELNS0_4arch9wavefront6targetE1EEEvSD_.kd
    .uniform_work_group_size: 1
    .uses_dynamic_stack: false
    .vgpr_count:     0
    .vgpr_spill_count: 0
    .wavefront_size: 64
  - .agpr_count:     0
    .args:
      - .offset:         0
        .size:           48
        .value_kind:     by_value
    .group_segment_fixed_size: 0
    .kernarg_segment_align: 8
    .kernarg_segment_size: 48
    .language:       OpenCL C
    .language_version:
      - 2
      - 0
    .max_flat_workgroup_size: 256
    .name:           _ZN7rocprim17ROCPRIM_400000_NS6detail17trampoline_kernelINS0_13kernel_configILj256ELj4ELj4294967295EEENS1_37radix_sort_block_sort_config_selectorIsNS0_10empty_typeEEEZNS1_21radix_sort_block_sortIS4_Lb1EPsS9_PS6_SA_NS0_19identity_decomposerEEE10hipError_tT1_T2_T3_T4_jRjT5_jjP12ihipStream_tbEUlT_E_NS1_11comp_targetILNS1_3genE5ELNS1_11target_archE942ELNS1_3gpuE9ELNS1_3repE0EEENS1_44radix_sort_block_sort_config_static_selectorELNS0_4arch9wavefront6targetE1EEEvSD_
    .private_segment_fixed_size: 0
    .sgpr_count:     4
    .sgpr_spill_count: 0
    .symbol:         _ZN7rocprim17ROCPRIM_400000_NS6detail17trampoline_kernelINS0_13kernel_configILj256ELj4ELj4294967295EEENS1_37radix_sort_block_sort_config_selectorIsNS0_10empty_typeEEEZNS1_21radix_sort_block_sortIS4_Lb1EPsS9_PS6_SA_NS0_19identity_decomposerEEE10hipError_tT1_T2_T3_T4_jRjT5_jjP12ihipStream_tbEUlT_E_NS1_11comp_targetILNS1_3genE5ELNS1_11target_archE942ELNS1_3gpuE9ELNS1_3repE0EEENS1_44radix_sort_block_sort_config_static_selectorELNS0_4arch9wavefront6targetE1EEEvSD_.kd
    .uniform_work_group_size: 1
    .uses_dynamic_stack: false
    .vgpr_count:     0
    .vgpr_spill_count: 0
    .wavefront_size: 64
  - .agpr_count:     0
    .args:
      - .offset:         0
        .size:           48
        .value_kind:     by_value
      - .offset:         48
        .size:           4
        .value_kind:     hidden_block_count_x
      - .offset:         52
        .size:           4
        .value_kind:     hidden_block_count_y
      - .offset:         56
        .size:           4
        .value_kind:     hidden_block_count_z
      - .offset:         60
        .size:           2
        .value_kind:     hidden_group_size_x
      - .offset:         62
        .size:           2
        .value_kind:     hidden_group_size_y
      - .offset:         64
        .size:           2
        .value_kind:     hidden_group_size_z
      - .offset:         66
        .size:           2
        .value_kind:     hidden_remainder_x
      - .offset:         68
        .size:           2
        .value_kind:     hidden_remainder_y
      - .offset:         70
        .size:           2
        .value_kind:     hidden_remainder_z
      - .offset:         88
        .size:           8
        .value_kind:     hidden_global_offset_x
      - .offset:         96
        .size:           8
        .value_kind:     hidden_global_offset_y
      - .offset:         104
        .size:           8
        .value_kind:     hidden_global_offset_z
      - .offset:         112
        .size:           2
        .value_kind:     hidden_grid_dims
    .group_segment_fixed_size: 4112
    .kernarg_segment_align: 8
    .kernarg_segment_size: 304
    .language:       OpenCL C
    .language_version:
      - 2
      - 0
    .max_flat_workgroup_size: 256
    .name:           _ZN7rocprim17ROCPRIM_400000_NS6detail17trampoline_kernelINS0_13kernel_configILj256ELj4ELj4294967295EEENS1_37radix_sort_block_sort_config_selectorIsNS0_10empty_typeEEEZNS1_21radix_sort_block_sortIS4_Lb1EPsS9_PS6_SA_NS0_19identity_decomposerEEE10hipError_tT1_T2_T3_T4_jRjT5_jjP12ihipStream_tbEUlT_E_NS1_11comp_targetILNS1_3genE4ELNS1_11target_archE910ELNS1_3gpuE8ELNS1_3repE0EEENS1_44radix_sort_block_sort_config_static_selectorELNS0_4arch9wavefront6targetE1EEEvSD_
    .private_segment_fixed_size: 0
    .sgpr_count:     48
    .sgpr_spill_count: 0
    .symbol:         _ZN7rocprim17ROCPRIM_400000_NS6detail17trampoline_kernelINS0_13kernel_configILj256ELj4ELj4294967295EEENS1_37radix_sort_block_sort_config_selectorIsNS0_10empty_typeEEEZNS1_21radix_sort_block_sortIS4_Lb1EPsS9_PS6_SA_NS0_19identity_decomposerEEE10hipError_tT1_T2_T3_T4_jRjT5_jjP12ihipStream_tbEUlT_E_NS1_11comp_targetILNS1_3genE4ELNS1_11target_archE910ELNS1_3gpuE8ELNS1_3repE0EEENS1_44radix_sort_block_sort_config_static_selectorELNS0_4arch9wavefront6targetE1EEEvSD_.kd
    .uniform_work_group_size: 1
    .uses_dynamic_stack: false
    .vgpr_count:     38
    .vgpr_spill_count: 0
    .wavefront_size: 64
  - .agpr_count:     0
    .args:
      - .offset:         0
        .size:           48
        .value_kind:     by_value
    .group_segment_fixed_size: 0
    .kernarg_segment_align: 8
    .kernarg_segment_size: 48
    .language:       OpenCL C
    .language_version:
      - 2
      - 0
    .max_flat_workgroup_size: 256
    .name:           _ZN7rocprim17ROCPRIM_400000_NS6detail17trampoline_kernelINS0_13kernel_configILj256ELj4ELj4294967295EEENS1_37radix_sort_block_sort_config_selectorIsNS0_10empty_typeEEEZNS1_21radix_sort_block_sortIS4_Lb1EPsS9_PS6_SA_NS0_19identity_decomposerEEE10hipError_tT1_T2_T3_T4_jRjT5_jjP12ihipStream_tbEUlT_E_NS1_11comp_targetILNS1_3genE3ELNS1_11target_archE908ELNS1_3gpuE7ELNS1_3repE0EEENS1_44radix_sort_block_sort_config_static_selectorELNS0_4arch9wavefront6targetE1EEEvSD_
    .private_segment_fixed_size: 0
    .sgpr_count:     4
    .sgpr_spill_count: 0
    .symbol:         _ZN7rocprim17ROCPRIM_400000_NS6detail17trampoline_kernelINS0_13kernel_configILj256ELj4ELj4294967295EEENS1_37radix_sort_block_sort_config_selectorIsNS0_10empty_typeEEEZNS1_21radix_sort_block_sortIS4_Lb1EPsS9_PS6_SA_NS0_19identity_decomposerEEE10hipError_tT1_T2_T3_T4_jRjT5_jjP12ihipStream_tbEUlT_E_NS1_11comp_targetILNS1_3genE3ELNS1_11target_archE908ELNS1_3gpuE7ELNS1_3repE0EEENS1_44radix_sort_block_sort_config_static_selectorELNS0_4arch9wavefront6targetE1EEEvSD_.kd
    .uniform_work_group_size: 1
    .uses_dynamic_stack: false
    .vgpr_count:     0
    .vgpr_spill_count: 0
    .wavefront_size: 64
  - .agpr_count:     0
    .args:
      - .offset:         0
        .size:           48
        .value_kind:     by_value
    .group_segment_fixed_size: 0
    .kernarg_segment_align: 8
    .kernarg_segment_size: 48
    .language:       OpenCL C
    .language_version:
      - 2
      - 0
    .max_flat_workgroup_size: 256
    .name:           _ZN7rocprim17ROCPRIM_400000_NS6detail17trampoline_kernelINS0_13kernel_configILj256ELj4ELj4294967295EEENS1_37radix_sort_block_sort_config_selectorIsNS0_10empty_typeEEEZNS1_21radix_sort_block_sortIS4_Lb1EPsS9_PS6_SA_NS0_19identity_decomposerEEE10hipError_tT1_T2_T3_T4_jRjT5_jjP12ihipStream_tbEUlT_E_NS1_11comp_targetILNS1_3genE2ELNS1_11target_archE906ELNS1_3gpuE6ELNS1_3repE0EEENS1_44radix_sort_block_sort_config_static_selectorELNS0_4arch9wavefront6targetE1EEEvSD_
    .private_segment_fixed_size: 0
    .sgpr_count:     4
    .sgpr_spill_count: 0
    .symbol:         _ZN7rocprim17ROCPRIM_400000_NS6detail17trampoline_kernelINS0_13kernel_configILj256ELj4ELj4294967295EEENS1_37radix_sort_block_sort_config_selectorIsNS0_10empty_typeEEEZNS1_21radix_sort_block_sortIS4_Lb1EPsS9_PS6_SA_NS0_19identity_decomposerEEE10hipError_tT1_T2_T3_T4_jRjT5_jjP12ihipStream_tbEUlT_E_NS1_11comp_targetILNS1_3genE2ELNS1_11target_archE906ELNS1_3gpuE6ELNS1_3repE0EEENS1_44radix_sort_block_sort_config_static_selectorELNS0_4arch9wavefront6targetE1EEEvSD_.kd
    .uniform_work_group_size: 1
    .uses_dynamic_stack: false
    .vgpr_count:     0
    .vgpr_spill_count: 0
    .wavefront_size: 64
  - .agpr_count:     0
    .args:
      - .offset:         0
        .size:           48
        .value_kind:     by_value
    .group_segment_fixed_size: 0
    .kernarg_segment_align: 8
    .kernarg_segment_size: 48
    .language:       OpenCL C
    .language_version:
      - 2
      - 0
    .max_flat_workgroup_size: 256
    .name:           _ZN7rocprim17ROCPRIM_400000_NS6detail17trampoline_kernelINS0_13kernel_configILj256ELj4ELj4294967295EEENS1_37radix_sort_block_sort_config_selectorIsNS0_10empty_typeEEEZNS1_21radix_sort_block_sortIS4_Lb1EPsS9_PS6_SA_NS0_19identity_decomposerEEE10hipError_tT1_T2_T3_T4_jRjT5_jjP12ihipStream_tbEUlT_E_NS1_11comp_targetILNS1_3genE10ELNS1_11target_archE1201ELNS1_3gpuE5ELNS1_3repE0EEENS1_44radix_sort_block_sort_config_static_selectorELNS0_4arch9wavefront6targetE1EEEvSD_
    .private_segment_fixed_size: 0
    .sgpr_count:     4
    .sgpr_spill_count: 0
    .symbol:         _ZN7rocprim17ROCPRIM_400000_NS6detail17trampoline_kernelINS0_13kernel_configILj256ELj4ELj4294967295EEENS1_37radix_sort_block_sort_config_selectorIsNS0_10empty_typeEEEZNS1_21radix_sort_block_sortIS4_Lb1EPsS9_PS6_SA_NS0_19identity_decomposerEEE10hipError_tT1_T2_T3_T4_jRjT5_jjP12ihipStream_tbEUlT_E_NS1_11comp_targetILNS1_3genE10ELNS1_11target_archE1201ELNS1_3gpuE5ELNS1_3repE0EEENS1_44radix_sort_block_sort_config_static_selectorELNS0_4arch9wavefront6targetE1EEEvSD_.kd
    .uniform_work_group_size: 1
    .uses_dynamic_stack: false
    .vgpr_count:     0
    .vgpr_spill_count: 0
    .wavefront_size: 64
  - .agpr_count:     0
    .args:
      - .offset:         0
        .size:           48
        .value_kind:     by_value
    .group_segment_fixed_size: 0
    .kernarg_segment_align: 8
    .kernarg_segment_size: 48
    .language:       OpenCL C
    .language_version:
      - 2
      - 0
    .max_flat_workgroup_size: 256
    .name:           _ZN7rocprim17ROCPRIM_400000_NS6detail17trampoline_kernelINS0_13kernel_configILj256ELj4ELj4294967295EEENS1_37radix_sort_block_sort_config_selectorIsNS0_10empty_typeEEEZNS1_21radix_sort_block_sortIS4_Lb1EPsS9_PS6_SA_NS0_19identity_decomposerEEE10hipError_tT1_T2_T3_T4_jRjT5_jjP12ihipStream_tbEUlT_E_NS1_11comp_targetILNS1_3genE10ELNS1_11target_archE1200ELNS1_3gpuE4ELNS1_3repE0EEENS1_44radix_sort_block_sort_config_static_selectorELNS0_4arch9wavefront6targetE1EEEvSD_
    .private_segment_fixed_size: 0
    .sgpr_count:     4
    .sgpr_spill_count: 0
    .symbol:         _ZN7rocprim17ROCPRIM_400000_NS6detail17trampoline_kernelINS0_13kernel_configILj256ELj4ELj4294967295EEENS1_37radix_sort_block_sort_config_selectorIsNS0_10empty_typeEEEZNS1_21radix_sort_block_sortIS4_Lb1EPsS9_PS6_SA_NS0_19identity_decomposerEEE10hipError_tT1_T2_T3_T4_jRjT5_jjP12ihipStream_tbEUlT_E_NS1_11comp_targetILNS1_3genE10ELNS1_11target_archE1200ELNS1_3gpuE4ELNS1_3repE0EEENS1_44radix_sort_block_sort_config_static_selectorELNS0_4arch9wavefront6targetE1EEEvSD_.kd
    .uniform_work_group_size: 1
    .uses_dynamic_stack: false
    .vgpr_count:     0
    .vgpr_spill_count: 0
    .wavefront_size: 64
  - .agpr_count:     0
    .args:
      - .offset:         0
        .size:           48
        .value_kind:     by_value
    .group_segment_fixed_size: 0
    .kernarg_segment_align: 8
    .kernarg_segment_size: 48
    .language:       OpenCL C
    .language_version:
      - 2
      - 0
    .max_flat_workgroup_size: 256
    .name:           _ZN7rocprim17ROCPRIM_400000_NS6detail17trampoline_kernelINS0_13kernel_configILj256ELj4ELj4294967295EEENS1_37radix_sort_block_sort_config_selectorIsNS0_10empty_typeEEEZNS1_21radix_sort_block_sortIS4_Lb1EPsS9_PS6_SA_NS0_19identity_decomposerEEE10hipError_tT1_T2_T3_T4_jRjT5_jjP12ihipStream_tbEUlT_E_NS1_11comp_targetILNS1_3genE9ELNS1_11target_archE1100ELNS1_3gpuE3ELNS1_3repE0EEENS1_44radix_sort_block_sort_config_static_selectorELNS0_4arch9wavefront6targetE1EEEvSD_
    .private_segment_fixed_size: 0
    .sgpr_count:     4
    .sgpr_spill_count: 0
    .symbol:         _ZN7rocprim17ROCPRIM_400000_NS6detail17trampoline_kernelINS0_13kernel_configILj256ELj4ELj4294967295EEENS1_37radix_sort_block_sort_config_selectorIsNS0_10empty_typeEEEZNS1_21radix_sort_block_sortIS4_Lb1EPsS9_PS6_SA_NS0_19identity_decomposerEEE10hipError_tT1_T2_T3_T4_jRjT5_jjP12ihipStream_tbEUlT_E_NS1_11comp_targetILNS1_3genE9ELNS1_11target_archE1100ELNS1_3gpuE3ELNS1_3repE0EEENS1_44radix_sort_block_sort_config_static_selectorELNS0_4arch9wavefront6targetE1EEEvSD_.kd
    .uniform_work_group_size: 1
    .uses_dynamic_stack: false
    .vgpr_count:     0
    .vgpr_spill_count: 0
    .wavefront_size: 64
  - .agpr_count:     0
    .args:
      - .offset:         0
        .size:           48
        .value_kind:     by_value
    .group_segment_fixed_size: 0
    .kernarg_segment_align: 8
    .kernarg_segment_size: 48
    .language:       OpenCL C
    .language_version:
      - 2
      - 0
    .max_flat_workgroup_size: 256
    .name:           _ZN7rocprim17ROCPRIM_400000_NS6detail17trampoline_kernelINS0_13kernel_configILj256ELj4ELj4294967295EEENS1_37radix_sort_block_sort_config_selectorIsNS0_10empty_typeEEEZNS1_21radix_sort_block_sortIS4_Lb1EPsS9_PS6_SA_NS0_19identity_decomposerEEE10hipError_tT1_T2_T3_T4_jRjT5_jjP12ihipStream_tbEUlT_E_NS1_11comp_targetILNS1_3genE8ELNS1_11target_archE1030ELNS1_3gpuE2ELNS1_3repE0EEENS1_44radix_sort_block_sort_config_static_selectorELNS0_4arch9wavefront6targetE1EEEvSD_
    .private_segment_fixed_size: 0
    .sgpr_count:     4
    .sgpr_spill_count: 0
    .symbol:         _ZN7rocprim17ROCPRIM_400000_NS6detail17trampoline_kernelINS0_13kernel_configILj256ELj4ELj4294967295EEENS1_37radix_sort_block_sort_config_selectorIsNS0_10empty_typeEEEZNS1_21radix_sort_block_sortIS4_Lb1EPsS9_PS6_SA_NS0_19identity_decomposerEEE10hipError_tT1_T2_T3_T4_jRjT5_jjP12ihipStream_tbEUlT_E_NS1_11comp_targetILNS1_3genE8ELNS1_11target_archE1030ELNS1_3gpuE2ELNS1_3repE0EEENS1_44radix_sort_block_sort_config_static_selectorELNS0_4arch9wavefront6targetE1EEEvSD_.kd
    .uniform_work_group_size: 1
    .uses_dynamic_stack: false
    .vgpr_count:     0
    .vgpr_spill_count: 0
    .wavefront_size: 64
  - .agpr_count:     0
    .args:
      - .offset:         0
        .size:           40
        .value_kind:     by_value
    .group_segment_fixed_size: 0
    .kernarg_segment_align: 8
    .kernarg_segment_size: 40
    .language:       OpenCL C
    .language_version:
      - 2
      - 0
    .max_flat_workgroup_size: 128
    .name:           _ZN7rocprim17ROCPRIM_400000_NS6detail17trampoline_kernelINS0_14default_configENS1_38merge_sort_block_merge_config_selectorIsNS0_10empty_typeEEEZZNS1_27merge_sort_block_merge_implIS3_PsPS5_jNS1_19radix_merge_compareILb1ELb0EsNS0_19identity_decomposerEEEEE10hipError_tT0_T1_T2_jT3_P12ihipStream_tbPNSt15iterator_traitsISE_E10value_typeEPNSK_ISF_E10value_typeEPSG_NS1_7vsmem_tEENKUlT_SE_SF_SG_E_clIS8_S8_S9_S9_EESD_ST_SE_SF_SG_EUlST_E_NS1_11comp_targetILNS1_3genE0ELNS1_11target_archE4294967295ELNS1_3gpuE0ELNS1_3repE0EEENS1_48merge_mergepath_partition_config_static_selectorELNS0_4arch9wavefront6targetE1EEEvSF_
    .private_segment_fixed_size: 0
    .sgpr_count:     4
    .sgpr_spill_count: 0
    .symbol:         _ZN7rocprim17ROCPRIM_400000_NS6detail17trampoline_kernelINS0_14default_configENS1_38merge_sort_block_merge_config_selectorIsNS0_10empty_typeEEEZZNS1_27merge_sort_block_merge_implIS3_PsPS5_jNS1_19radix_merge_compareILb1ELb0EsNS0_19identity_decomposerEEEEE10hipError_tT0_T1_T2_jT3_P12ihipStream_tbPNSt15iterator_traitsISE_E10value_typeEPNSK_ISF_E10value_typeEPSG_NS1_7vsmem_tEENKUlT_SE_SF_SG_E_clIS8_S8_S9_S9_EESD_ST_SE_SF_SG_EUlST_E_NS1_11comp_targetILNS1_3genE0ELNS1_11target_archE4294967295ELNS1_3gpuE0ELNS1_3repE0EEENS1_48merge_mergepath_partition_config_static_selectorELNS0_4arch9wavefront6targetE1EEEvSF_.kd
    .uniform_work_group_size: 1
    .uses_dynamic_stack: false
    .vgpr_count:     0
    .vgpr_spill_count: 0
    .wavefront_size: 64
  - .agpr_count:     0
    .args:
      - .offset:         0
        .size:           40
        .value_kind:     by_value
    .group_segment_fixed_size: 0
    .kernarg_segment_align: 8
    .kernarg_segment_size: 40
    .language:       OpenCL C
    .language_version:
      - 2
      - 0
    .max_flat_workgroup_size: 128
    .name:           _ZN7rocprim17ROCPRIM_400000_NS6detail17trampoline_kernelINS0_14default_configENS1_38merge_sort_block_merge_config_selectorIsNS0_10empty_typeEEEZZNS1_27merge_sort_block_merge_implIS3_PsPS5_jNS1_19radix_merge_compareILb1ELb0EsNS0_19identity_decomposerEEEEE10hipError_tT0_T1_T2_jT3_P12ihipStream_tbPNSt15iterator_traitsISE_E10value_typeEPNSK_ISF_E10value_typeEPSG_NS1_7vsmem_tEENKUlT_SE_SF_SG_E_clIS8_S8_S9_S9_EESD_ST_SE_SF_SG_EUlST_E_NS1_11comp_targetILNS1_3genE10ELNS1_11target_archE1201ELNS1_3gpuE5ELNS1_3repE0EEENS1_48merge_mergepath_partition_config_static_selectorELNS0_4arch9wavefront6targetE1EEEvSF_
    .private_segment_fixed_size: 0
    .sgpr_count:     4
    .sgpr_spill_count: 0
    .symbol:         _ZN7rocprim17ROCPRIM_400000_NS6detail17trampoline_kernelINS0_14default_configENS1_38merge_sort_block_merge_config_selectorIsNS0_10empty_typeEEEZZNS1_27merge_sort_block_merge_implIS3_PsPS5_jNS1_19radix_merge_compareILb1ELb0EsNS0_19identity_decomposerEEEEE10hipError_tT0_T1_T2_jT3_P12ihipStream_tbPNSt15iterator_traitsISE_E10value_typeEPNSK_ISF_E10value_typeEPSG_NS1_7vsmem_tEENKUlT_SE_SF_SG_E_clIS8_S8_S9_S9_EESD_ST_SE_SF_SG_EUlST_E_NS1_11comp_targetILNS1_3genE10ELNS1_11target_archE1201ELNS1_3gpuE5ELNS1_3repE0EEENS1_48merge_mergepath_partition_config_static_selectorELNS0_4arch9wavefront6targetE1EEEvSF_.kd
    .uniform_work_group_size: 1
    .uses_dynamic_stack: false
    .vgpr_count:     0
    .vgpr_spill_count: 0
    .wavefront_size: 64
  - .agpr_count:     0
    .args:
      - .offset:         0
        .size:           40
        .value_kind:     by_value
    .group_segment_fixed_size: 0
    .kernarg_segment_align: 8
    .kernarg_segment_size: 40
    .language:       OpenCL C
    .language_version:
      - 2
      - 0
    .max_flat_workgroup_size: 128
    .name:           _ZN7rocprim17ROCPRIM_400000_NS6detail17trampoline_kernelINS0_14default_configENS1_38merge_sort_block_merge_config_selectorIsNS0_10empty_typeEEEZZNS1_27merge_sort_block_merge_implIS3_PsPS5_jNS1_19radix_merge_compareILb1ELb0EsNS0_19identity_decomposerEEEEE10hipError_tT0_T1_T2_jT3_P12ihipStream_tbPNSt15iterator_traitsISE_E10value_typeEPNSK_ISF_E10value_typeEPSG_NS1_7vsmem_tEENKUlT_SE_SF_SG_E_clIS8_S8_S9_S9_EESD_ST_SE_SF_SG_EUlST_E_NS1_11comp_targetILNS1_3genE5ELNS1_11target_archE942ELNS1_3gpuE9ELNS1_3repE0EEENS1_48merge_mergepath_partition_config_static_selectorELNS0_4arch9wavefront6targetE1EEEvSF_
    .private_segment_fixed_size: 0
    .sgpr_count:     4
    .sgpr_spill_count: 0
    .symbol:         _ZN7rocprim17ROCPRIM_400000_NS6detail17trampoline_kernelINS0_14default_configENS1_38merge_sort_block_merge_config_selectorIsNS0_10empty_typeEEEZZNS1_27merge_sort_block_merge_implIS3_PsPS5_jNS1_19radix_merge_compareILb1ELb0EsNS0_19identity_decomposerEEEEE10hipError_tT0_T1_T2_jT3_P12ihipStream_tbPNSt15iterator_traitsISE_E10value_typeEPNSK_ISF_E10value_typeEPSG_NS1_7vsmem_tEENKUlT_SE_SF_SG_E_clIS8_S8_S9_S9_EESD_ST_SE_SF_SG_EUlST_E_NS1_11comp_targetILNS1_3genE5ELNS1_11target_archE942ELNS1_3gpuE9ELNS1_3repE0EEENS1_48merge_mergepath_partition_config_static_selectorELNS0_4arch9wavefront6targetE1EEEvSF_.kd
    .uniform_work_group_size: 1
    .uses_dynamic_stack: false
    .vgpr_count:     0
    .vgpr_spill_count: 0
    .wavefront_size: 64
  - .agpr_count:     0
    .args:
      - .offset:         0
        .size:           40
        .value_kind:     by_value
    .group_segment_fixed_size: 0
    .kernarg_segment_align: 8
    .kernarg_segment_size: 40
    .language:       OpenCL C
    .language_version:
      - 2
      - 0
    .max_flat_workgroup_size: 128
    .name:           _ZN7rocprim17ROCPRIM_400000_NS6detail17trampoline_kernelINS0_14default_configENS1_38merge_sort_block_merge_config_selectorIsNS0_10empty_typeEEEZZNS1_27merge_sort_block_merge_implIS3_PsPS5_jNS1_19radix_merge_compareILb1ELb0EsNS0_19identity_decomposerEEEEE10hipError_tT0_T1_T2_jT3_P12ihipStream_tbPNSt15iterator_traitsISE_E10value_typeEPNSK_ISF_E10value_typeEPSG_NS1_7vsmem_tEENKUlT_SE_SF_SG_E_clIS8_S8_S9_S9_EESD_ST_SE_SF_SG_EUlST_E_NS1_11comp_targetILNS1_3genE4ELNS1_11target_archE910ELNS1_3gpuE8ELNS1_3repE0EEENS1_48merge_mergepath_partition_config_static_selectorELNS0_4arch9wavefront6targetE1EEEvSF_
    .private_segment_fixed_size: 0
    .sgpr_count:     12
    .sgpr_spill_count: 0
    .symbol:         _ZN7rocprim17ROCPRIM_400000_NS6detail17trampoline_kernelINS0_14default_configENS1_38merge_sort_block_merge_config_selectorIsNS0_10empty_typeEEEZZNS1_27merge_sort_block_merge_implIS3_PsPS5_jNS1_19radix_merge_compareILb1ELb0EsNS0_19identity_decomposerEEEEE10hipError_tT0_T1_T2_jT3_P12ihipStream_tbPNSt15iterator_traitsISE_E10value_typeEPNSK_ISF_E10value_typeEPSG_NS1_7vsmem_tEENKUlT_SE_SF_SG_E_clIS8_S8_S9_S9_EESD_ST_SE_SF_SG_EUlST_E_NS1_11comp_targetILNS1_3genE4ELNS1_11target_archE910ELNS1_3gpuE8ELNS1_3repE0EEENS1_48merge_mergepath_partition_config_static_selectorELNS0_4arch9wavefront6targetE1EEEvSF_.kd
    .uniform_work_group_size: 1
    .uses_dynamic_stack: false
    .vgpr_count:     15
    .vgpr_spill_count: 0
    .wavefront_size: 64
  - .agpr_count:     0
    .args:
      - .offset:         0
        .size:           40
        .value_kind:     by_value
    .group_segment_fixed_size: 0
    .kernarg_segment_align: 8
    .kernarg_segment_size: 40
    .language:       OpenCL C
    .language_version:
      - 2
      - 0
    .max_flat_workgroup_size: 128
    .name:           _ZN7rocprim17ROCPRIM_400000_NS6detail17trampoline_kernelINS0_14default_configENS1_38merge_sort_block_merge_config_selectorIsNS0_10empty_typeEEEZZNS1_27merge_sort_block_merge_implIS3_PsPS5_jNS1_19radix_merge_compareILb1ELb0EsNS0_19identity_decomposerEEEEE10hipError_tT0_T1_T2_jT3_P12ihipStream_tbPNSt15iterator_traitsISE_E10value_typeEPNSK_ISF_E10value_typeEPSG_NS1_7vsmem_tEENKUlT_SE_SF_SG_E_clIS8_S8_S9_S9_EESD_ST_SE_SF_SG_EUlST_E_NS1_11comp_targetILNS1_3genE3ELNS1_11target_archE908ELNS1_3gpuE7ELNS1_3repE0EEENS1_48merge_mergepath_partition_config_static_selectorELNS0_4arch9wavefront6targetE1EEEvSF_
    .private_segment_fixed_size: 0
    .sgpr_count:     4
    .sgpr_spill_count: 0
    .symbol:         _ZN7rocprim17ROCPRIM_400000_NS6detail17trampoline_kernelINS0_14default_configENS1_38merge_sort_block_merge_config_selectorIsNS0_10empty_typeEEEZZNS1_27merge_sort_block_merge_implIS3_PsPS5_jNS1_19radix_merge_compareILb1ELb0EsNS0_19identity_decomposerEEEEE10hipError_tT0_T1_T2_jT3_P12ihipStream_tbPNSt15iterator_traitsISE_E10value_typeEPNSK_ISF_E10value_typeEPSG_NS1_7vsmem_tEENKUlT_SE_SF_SG_E_clIS8_S8_S9_S9_EESD_ST_SE_SF_SG_EUlST_E_NS1_11comp_targetILNS1_3genE3ELNS1_11target_archE908ELNS1_3gpuE7ELNS1_3repE0EEENS1_48merge_mergepath_partition_config_static_selectorELNS0_4arch9wavefront6targetE1EEEvSF_.kd
    .uniform_work_group_size: 1
    .uses_dynamic_stack: false
    .vgpr_count:     0
    .vgpr_spill_count: 0
    .wavefront_size: 64
  - .agpr_count:     0
    .args:
      - .offset:         0
        .size:           40
        .value_kind:     by_value
    .group_segment_fixed_size: 0
    .kernarg_segment_align: 8
    .kernarg_segment_size: 40
    .language:       OpenCL C
    .language_version:
      - 2
      - 0
    .max_flat_workgroup_size: 128
    .name:           _ZN7rocprim17ROCPRIM_400000_NS6detail17trampoline_kernelINS0_14default_configENS1_38merge_sort_block_merge_config_selectorIsNS0_10empty_typeEEEZZNS1_27merge_sort_block_merge_implIS3_PsPS5_jNS1_19radix_merge_compareILb1ELb0EsNS0_19identity_decomposerEEEEE10hipError_tT0_T1_T2_jT3_P12ihipStream_tbPNSt15iterator_traitsISE_E10value_typeEPNSK_ISF_E10value_typeEPSG_NS1_7vsmem_tEENKUlT_SE_SF_SG_E_clIS8_S8_S9_S9_EESD_ST_SE_SF_SG_EUlST_E_NS1_11comp_targetILNS1_3genE2ELNS1_11target_archE906ELNS1_3gpuE6ELNS1_3repE0EEENS1_48merge_mergepath_partition_config_static_selectorELNS0_4arch9wavefront6targetE1EEEvSF_
    .private_segment_fixed_size: 0
    .sgpr_count:     4
    .sgpr_spill_count: 0
    .symbol:         _ZN7rocprim17ROCPRIM_400000_NS6detail17trampoline_kernelINS0_14default_configENS1_38merge_sort_block_merge_config_selectorIsNS0_10empty_typeEEEZZNS1_27merge_sort_block_merge_implIS3_PsPS5_jNS1_19radix_merge_compareILb1ELb0EsNS0_19identity_decomposerEEEEE10hipError_tT0_T1_T2_jT3_P12ihipStream_tbPNSt15iterator_traitsISE_E10value_typeEPNSK_ISF_E10value_typeEPSG_NS1_7vsmem_tEENKUlT_SE_SF_SG_E_clIS8_S8_S9_S9_EESD_ST_SE_SF_SG_EUlST_E_NS1_11comp_targetILNS1_3genE2ELNS1_11target_archE906ELNS1_3gpuE6ELNS1_3repE0EEENS1_48merge_mergepath_partition_config_static_selectorELNS0_4arch9wavefront6targetE1EEEvSF_.kd
    .uniform_work_group_size: 1
    .uses_dynamic_stack: false
    .vgpr_count:     0
    .vgpr_spill_count: 0
    .wavefront_size: 64
  - .agpr_count:     0
    .args:
      - .offset:         0
        .size:           40
        .value_kind:     by_value
    .group_segment_fixed_size: 0
    .kernarg_segment_align: 8
    .kernarg_segment_size: 40
    .language:       OpenCL C
    .language_version:
      - 2
      - 0
    .max_flat_workgroup_size: 128
    .name:           _ZN7rocprim17ROCPRIM_400000_NS6detail17trampoline_kernelINS0_14default_configENS1_38merge_sort_block_merge_config_selectorIsNS0_10empty_typeEEEZZNS1_27merge_sort_block_merge_implIS3_PsPS5_jNS1_19radix_merge_compareILb1ELb0EsNS0_19identity_decomposerEEEEE10hipError_tT0_T1_T2_jT3_P12ihipStream_tbPNSt15iterator_traitsISE_E10value_typeEPNSK_ISF_E10value_typeEPSG_NS1_7vsmem_tEENKUlT_SE_SF_SG_E_clIS8_S8_S9_S9_EESD_ST_SE_SF_SG_EUlST_E_NS1_11comp_targetILNS1_3genE9ELNS1_11target_archE1100ELNS1_3gpuE3ELNS1_3repE0EEENS1_48merge_mergepath_partition_config_static_selectorELNS0_4arch9wavefront6targetE1EEEvSF_
    .private_segment_fixed_size: 0
    .sgpr_count:     4
    .sgpr_spill_count: 0
    .symbol:         _ZN7rocprim17ROCPRIM_400000_NS6detail17trampoline_kernelINS0_14default_configENS1_38merge_sort_block_merge_config_selectorIsNS0_10empty_typeEEEZZNS1_27merge_sort_block_merge_implIS3_PsPS5_jNS1_19radix_merge_compareILb1ELb0EsNS0_19identity_decomposerEEEEE10hipError_tT0_T1_T2_jT3_P12ihipStream_tbPNSt15iterator_traitsISE_E10value_typeEPNSK_ISF_E10value_typeEPSG_NS1_7vsmem_tEENKUlT_SE_SF_SG_E_clIS8_S8_S9_S9_EESD_ST_SE_SF_SG_EUlST_E_NS1_11comp_targetILNS1_3genE9ELNS1_11target_archE1100ELNS1_3gpuE3ELNS1_3repE0EEENS1_48merge_mergepath_partition_config_static_selectorELNS0_4arch9wavefront6targetE1EEEvSF_.kd
    .uniform_work_group_size: 1
    .uses_dynamic_stack: false
    .vgpr_count:     0
    .vgpr_spill_count: 0
    .wavefront_size: 64
  - .agpr_count:     0
    .args:
      - .offset:         0
        .size:           40
        .value_kind:     by_value
    .group_segment_fixed_size: 0
    .kernarg_segment_align: 8
    .kernarg_segment_size: 40
    .language:       OpenCL C
    .language_version:
      - 2
      - 0
    .max_flat_workgroup_size: 128
    .name:           _ZN7rocprim17ROCPRIM_400000_NS6detail17trampoline_kernelINS0_14default_configENS1_38merge_sort_block_merge_config_selectorIsNS0_10empty_typeEEEZZNS1_27merge_sort_block_merge_implIS3_PsPS5_jNS1_19radix_merge_compareILb1ELb0EsNS0_19identity_decomposerEEEEE10hipError_tT0_T1_T2_jT3_P12ihipStream_tbPNSt15iterator_traitsISE_E10value_typeEPNSK_ISF_E10value_typeEPSG_NS1_7vsmem_tEENKUlT_SE_SF_SG_E_clIS8_S8_S9_S9_EESD_ST_SE_SF_SG_EUlST_E_NS1_11comp_targetILNS1_3genE8ELNS1_11target_archE1030ELNS1_3gpuE2ELNS1_3repE0EEENS1_48merge_mergepath_partition_config_static_selectorELNS0_4arch9wavefront6targetE1EEEvSF_
    .private_segment_fixed_size: 0
    .sgpr_count:     4
    .sgpr_spill_count: 0
    .symbol:         _ZN7rocprim17ROCPRIM_400000_NS6detail17trampoline_kernelINS0_14default_configENS1_38merge_sort_block_merge_config_selectorIsNS0_10empty_typeEEEZZNS1_27merge_sort_block_merge_implIS3_PsPS5_jNS1_19radix_merge_compareILb1ELb0EsNS0_19identity_decomposerEEEEE10hipError_tT0_T1_T2_jT3_P12ihipStream_tbPNSt15iterator_traitsISE_E10value_typeEPNSK_ISF_E10value_typeEPSG_NS1_7vsmem_tEENKUlT_SE_SF_SG_E_clIS8_S8_S9_S9_EESD_ST_SE_SF_SG_EUlST_E_NS1_11comp_targetILNS1_3genE8ELNS1_11target_archE1030ELNS1_3gpuE2ELNS1_3repE0EEENS1_48merge_mergepath_partition_config_static_selectorELNS0_4arch9wavefront6targetE1EEEvSF_.kd
    .uniform_work_group_size: 1
    .uses_dynamic_stack: false
    .vgpr_count:     0
    .vgpr_spill_count: 0
    .wavefront_size: 64
  - .agpr_count:     0
    .args:
      - .offset:         0
        .size:           64
        .value_kind:     by_value
    .group_segment_fixed_size: 0
    .kernarg_segment_align: 8
    .kernarg_segment_size: 64
    .language:       OpenCL C
    .language_version:
      - 2
      - 0
    .max_flat_workgroup_size: 128
    .name:           _ZN7rocprim17ROCPRIM_400000_NS6detail17trampoline_kernelINS0_14default_configENS1_38merge_sort_block_merge_config_selectorIsNS0_10empty_typeEEEZZNS1_27merge_sort_block_merge_implIS3_PsPS5_jNS1_19radix_merge_compareILb1ELb0EsNS0_19identity_decomposerEEEEE10hipError_tT0_T1_T2_jT3_P12ihipStream_tbPNSt15iterator_traitsISE_E10value_typeEPNSK_ISF_E10value_typeEPSG_NS1_7vsmem_tEENKUlT_SE_SF_SG_E_clIS8_S8_S9_S9_EESD_ST_SE_SF_SG_EUlST_E0_NS1_11comp_targetILNS1_3genE0ELNS1_11target_archE4294967295ELNS1_3gpuE0ELNS1_3repE0EEENS1_38merge_mergepath_config_static_selectorELNS0_4arch9wavefront6targetE1EEEvSF_
    .private_segment_fixed_size: 0
    .sgpr_count:     4
    .sgpr_spill_count: 0
    .symbol:         _ZN7rocprim17ROCPRIM_400000_NS6detail17trampoline_kernelINS0_14default_configENS1_38merge_sort_block_merge_config_selectorIsNS0_10empty_typeEEEZZNS1_27merge_sort_block_merge_implIS3_PsPS5_jNS1_19radix_merge_compareILb1ELb0EsNS0_19identity_decomposerEEEEE10hipError_tT0_T1_T2_jT3_P12ihipStream_tbPNSt15iterator_traitsISE_E10value_typeEPNSK_ISF_E10value_typeEPSG_NS1_7vsmem_tEENKUlT_SE_SF_SG_E_clIS8_S8_S9_S9_EESD_ST_SE_SF_SG_EUlST_E0_NS1_11comp_targetILNS1_3genE0ELNS1_11target_archE4294967295ELNS1_3gpuE0ELNS1_3repE0EEENS1_38merge_mergepath_config_static_selectorELNS0_4arch9wavefront6targetE1EEEvSF_.kd
    .uniform_work_group_size: 1
    .uses_dynamic_stack: false
    .vgpr_count:     0
    .vgpr_spill_count: 0
    .wavefront_size: 64
  - .agpr_count:     0
    .args:
      - .offset:         0
        .size:           64
        .value_kind:     by_value
    .group_segment_fixed_size: 0
    .kernarg_segment_align: 8
    .kernarg_segment_size: 64
    .language:       OpenCL C
    .language_version:
      - 2
      - 0
    .max_flat_workgroup_size: 128
    .name:           _ZN7rocprim17ROCPRIM_400000_NS6detail17trampoline_kernelINS0_14default_configENS1_38merge_sort_block_merge_config_selectorIsNS0_10empty_typeEEEZZNS1_27merge_sort_block_merge_implIS3_PsPS5_jNS1_19radix_merge_compareILb1ELb0EsNS0_19identity_decomposerEEEEE10hipError_tT0_T1_T2_jT3_P12ihipStream_tbPNSt15iterator_traitsISE_E10value_typeEPNSK_ISF_E10value_typeEPSG_NS1_7vsmem_tEENKUlT_SE_SF_SG_E_clIS8_S8_S9_S9_EESD_ST_SE_SF_SG_EUlST_E0_NS1_11comp_targetILNS1_3genE10ELNS1_11target_archE1201ELNS1_3gpuE5ELNS1_3repE0EEENS1_38merge_mergepath_config_static_selectorELNS0_4arch9wavefront6targetE1EEEvSF_
    .private_segment_fixed_size: 0
    .sgpr_count:     4
    .sgpr_spill_count: 0
    .symbol:         _ZN7rocprim17ROCPRIM_400000_NS6detail17trampoline_kernelINS0_14default_configENS1_38merge_sort_block_merge_config_selectorIsNS0_10empty_typeEEEZZNS1_27merge_sort_block_merge_implIS3_PsPS5_jNS1_19radix_merge_compareILb1ELb0EsNS0_19identity_decomposerEEEEE10hipError_tT0_T1_T2_jT3_P12ihipStream_tbPNSt15iterator_traitsISE_E10value_typeEPNSK_ISF_E10value_typeEPSG_NS1_7vsmem_tEENKUlT_SE_SF_SG_E_clIS8_S8_S9_S9_EESD_ST_SE_SF_SG_EUlST_E0_NS1_11comp_targetILNS1_3genE10ELNS1_11target_archE1201ELNS1_3gpuE5ELNS1_3repE0EEENS1_38merge_mergepath_config_static_selectorELNS0_4arch9wavefront6targetE1EEEvSF_.kd
    .uniform_work_group_size: 1
    .uses_dynamic_stack: false
    .vgpr_count:     0
    .vgpr_spill_count: 0
    .wavefront_size: 64
  - .agpr_count:     0
    .args:
      - .offset:         0
        .size:           64
        .value_kind:     by_value
    .group_segment_fixed_size: 0
    .kernarg_segment_align: 8
    .kernarg_segment_size: 64
    .language:       OpenCL C
    .language_version:
      - 2
      - 0
    .max_flat_workgroup_size: 128
    .name:           _ZN7rocprim17ROCPRIM_400000_NS6detail17trampoline_kernelINS0_14default_configENS1_38merge_sort_block_merge_config_selectorIsNS0_10empty_typeEEEZZNS1_27merge_sort_block_merge_implIS3_PsPS5_jNS1_19radix_merge_compareILb1ELb0EsNS0_19identity_decomposerEEEEE10hipError_tT0_T1_T2_jT3_P12ihipStream_tbPNSt15iterator_traitsISE_E10value_typeEPNSK_ISF_E10value_typeEPSG_NS1_7vsmem_tEENKUlT_SE_SF_SG_E_clIS8_S8_S9_S9_EESD_ST_SE_SF_SG_EUlST_E0_NS1_11comp_targetILNS1_3genE5ELNS1_11target_archE942ELNS1_3gpuE9ELNS1_3repE0EEENS1_38merge_mergepath_config_static_selectorELNS0_4arch9wavefront6targetE1EEEvSF_
    .private_segment_fixed_size: 0
    .sgpr_count:     4
    .sgpr_spill_count: 0
    .symbol:         _ZN7rocprim17ROCPRIM_400000_NS6detail17trampoline_kernelINS0_14default_configENS1_38merge_sort_block_merge_config_selectorIsNS0_10empty_typeEEEZZNS1_27merge_sort_block_merge_implIS3_PsPS5_jNS1_19radix_merge_compareILb1ELb0EsNS0_19identity_decomposerEEEEE10hipError_tT0_T1_T2_jT3_P12ihipStream_tbPNSt15iterator_traitsISE_E10value_typeEPNSK_ISF_E10value_typeEPSG_NS1_7vsmem_tEENKUlT_SE_SF_SG_E_clIS8_S8_S9_S9_EESD_ST_SE_SF_SG_EUlST_E0_NS1_11comp_targetILNS1_3genE5ELNS1_11target_archE942ELNS1_3gpuE9ELNS1_3repE0EEENS1_38merge_mergepath_config_static_selectorELNS0_4arch9wavefront6targetE1EEEvSF_.kd
    .uniform_work_group_size: 1
    .uses_dynamic_stack: false
    .vgpr_count:     0
    .vgpr_spill_count: 0
    .wavefront_size: 64
  - .agpr_count:     0
    .args:
      - .offset:         0
        .size:           64
        .value_kind:     by_value
      - .offset:         64
        .size:           4
        .value_kind:     hidden_block_count_x
      - .offset:         68
        .size:           4
        .value_kind:     hidden_block_count_y
      - .offset:         72
        .size:           4
        .value_kind:     hidden_block_count_z
      - .offset:         76
        .size:           2
        .value_kind:     hidden_group_size_x
      - .offset:         78
        .size:           2
        .value_kind:     hidden_group_size_y
      - .offset:         80
        .size:           2
        .value_kind:     hidden_group_size_z
      - .offset:         82
        .size:           2
        .value_kind:     hidden_remainder_x
      - .offset:         84
        .size:           2
        .value_kind:     hidden_remainder_y
      - .offset:         86
        .size:           2
        .value_kind:     hidden_remainder_z
      - .offset:         104
        .size:           8
        .value_kind:     hidden_global_offset_x
      - .offset:         112
        .size:           8
        .value_kind:     hidden_global_offset_y
      - .offset:         120
        .size:           8
        .value_kind:     hidden_global_offset_z
      - .offset:         128
        .size:           2
        .value_kind:     hidden_grid_dims
    .group_segment_fixed_size: 2112
    .kernarg_segment_align: 8
    .kernarg_segment_size: 320
    .language:       OpenCL C
    .language_version:
      - 2
      - 0
    .max_flat_workgroup_size: 128
    .name:           _ZN7rocprim17ROCPRIM_400000_NS6detail17trampoline_kernelINS0_14default_configENS1_38merge_sort_block_merge_config_selectorIsNS0_10empty_typeEEEZZNS1_27merge_sort_block_merge_implIS3_PsPS5_jNS1_19radix_merge_compareILb1ELb0EsNS0_19identity_decomposerEEEEE10hipError_tT0_T1_T2_jT3_P12ihipStream_tbPNSt15iterator_traitsISE_E10value_typeEPNSK_ISF_E10value_typeEPSG_NS1_7vsmem_tEENKUlT_SE_SF_SG_E_clIS8_S8_S9_S9_EESD_ST_SE_SF_SG_EUlST_E0_NS1_11comp_targetILNS1_3genE4ELNS1_11target_archE910ELNS1_3gpuE8ELNS1_3repE0EEENS1_38merge_mergepath_config_static_selectorELNS0_4arch9wavefront6targetE1EEEvSF_
    .private_segment_fixed_size: 0
    .sgpr_count:     28
    .sgpr_spill_count: 0
    .symbol:         _ZN7rocprim17ROCPRIM_400000_NS6detail17trampoline_kernelINS0_14default_configENS1_38merge_sort_block_merge_config_selectorIsNS0_10empty_typeEEEZZNS1_27merge_sort_block_merge_implIS3_PsPS5_jNS1_19radix_merge_compareILb1ELb0EsNS0_19identity_decomposerEEEEE10hipError_tT0_T1_T2_jT3_P12ihipStream_tbPNSt15iterator_traitsISE_E10value_typeEPNSK_ISF_E10value_typeEPSG_NS1_7vsmem_tEENKUlT_SE_SF_SG_E_clIS8_S8_S9_S9_EESD_ST_SE_SF_SG_EUlST_E0_NS1_11comp_targetILNS1_3genE4ELNS1_11target_archE910ELNS1_3gpuE8ELNS1_3repE0EEENS1_38merge_mergepath_config_static_selectorELNS0_4arch9wavefront6targetE1EEEvSF_.kd
    .uniform_work_group_size: 1
    .uses_dynamic_stack: false
    .vgpr_count:     26
    .vgpr_spill_count: 0
    .wavefront_size: 64
  - .agpr_count:     0
    .args:
      - .offset:         0
        .size:           64
        .value_kind:     by_value
    .group_segment_fixed_size: 0
    .kernarg_segment_align: 8
    .kernarg_segment_size: 64
    .language:       OpenCL C
    .language_version:
      - 2
      - 0
    .max_flat_workgroup_size: 128
    .name:           _ZN7rocprim17ROCPRIM_400000_NS6detail17trampoline_kernelINS0_14default_configENS1_38merge_sort_block_merge_config_selectorIsNS0_10empty_typeEEEZZNS1_27merge_sort_block_merge_implIS3_PsPS5_jNS1_19radix_merge_compareILb1ELb0EsNS0_19identity_decomposerEEEEE10hipError_tT0_T1_T2_jT3_P12ihipStream_tbPNSt15iterator_traitsISE_E10value_typeEPNSK_ISF_E10value_typeEPSG_NS1_7vsmem_tEENKUlT_SE_SF_SG_E_clIS8_S8_S9_S9_EESD_ST_SE_SF_SG_EUlST_E0_NS1_11comp_targetILNS1_3genE3ELNS1_11target_archE908ELNS1_3gpuE7ELNS1_3repE0EEENS1_38merge_mergepath_config_static_selectorELNS0_4arch9wavefront6targetE1EEEvSF_
    .private_segment_fixed_size: 0
    .sgpr_count:     4
    .sgpr_spill_count: 0
    .symbol:         _ZN7rocprim17ROCPRIM_400000_NS6detail17trampoline_kernelINS0_14default_configENS1_38merge_sort_block_merge_config_selectorIsNS0_10empty_typeEEEZZNS1_27merge_sort_block_merge_implIS3_PsPS5_jNS1_19radix_merge_compareILb1ELb0EsNS0_19identity_decomposerEEEEE10hipError_tT0_T1_T2_jT3_P12ihipStream_tbPNSt15iterator_traitsISE_E10value_typeEPNSK_ISF_E10value_typeEPSG_NS1_7vsmem_tEENKUlT_SE_SF_SG_E_clIS8_S8_S9_S9_EESD_ST_SE_SF_SG_EUlST_E0_NS1_11comp_targetILNS1_3genE3ELNS1_11target_archE908ELNS1_3gpuE7ELNS1_3repE0EEENS1_38merge_mergepath_config_static_selectorELNS0_4arch9wavefront6targetE1EEEvSF_.kd
    .uniform_work_group_size: 1
    .uses_dynamic_stack: false
    .vgpr_count:     0
    .vgpr_spill_count: 0
    .wavefront_size: 64
  - .agpr_count:     0
    .args:
      - .offset:         0
        .size:           64
        .value_kind:     by_value
    .group_segment_fixed_size: 0
    .kernarg_segment_align: 8
    .kernarg_segment_size: 64
    .language:       OpenCL C
    .language_version:
      - 2
      - 0
    .max_flat_workgroup_size: 128
    .name:           _ZN7rocprim17ROCPRIM_400000_NS6detail17trampoline_kernelINS0_14default_configENS1_38merge_sort_block_merge_config_selectorIsNS0_10empty_typeEEEZZNS1_27merge_sort_block_merge_implIS3_PsPS5_jNS1_19radix_merge_compareILb1ELb0EsNS0_19identity_decomposerEEEEE10hipError_tT0_T1_T2_jT3_P12ihipStream_tbPNSt15iterator_traitsISE_E10value_typeEPNSK_ISF_E10value_typeEPSG_NS1_7vsmem_tEENKUlT_SE_SF_SG_E_clIS8_S8_S9_S9_EESD_ST_SE_SF_SG_EUlST_E0_NS1_11comp_targetILNS1_3genE2ELNS1_11target_archE906ELNS1_3gpuE6ELNS1_3repE0EEENS1_38merge_mergepath_config_static_selectorELNS0_4arch9wavefront6targetE1EEEvSF_
    .private_segment_fixed_size: 0
    .sgpr_count:     4
    .sgpr_spill_count: 0
    .symbol:         _ZN7rocprim17ROCPRIM_400000_NS6detail17trampoline_kernelINS0_14default_configENS1_38merge_sort_block_merge_config_selectorIsNS0_10empty_typeEEEZZNS1_27merge_sort_block_merge_implIS3_PsPS5_jNS1_19radix_merge_compareILb1ELb0EsNS0_19identity_decomposerEEEEE10hipError_tT0_T1_T2_jT3_P12ihipStream_tbPNSt15iterator_traitsISE_E10value_typeEPNSK_ISF_E10value_typeEPSG_NS1_7vsmem_tEENKUlT_SE_SF_SG_E_clIS8_S8_S9_S9_EESD_ST_SE_SF_SG_EUlST_E0_NS1_11comp_targetILNS1_3genE2ELNS1_11target_archE906ELNS1_3gpuE6ELNS1_3repE0EEENS1_38merge_mergepath_config_static_selectorELNS0_4arch9wavefront6targetE1EEEvSF_.kd
    .uniform_work_group_size: 1
    .uses_dynamic_stack: false
    .vgpr_count:     0
    .vgpr_spill_count: 0
    .wavefront_size: 64
  - .agpr_count:     0
    .args:
      - .offset:         0
        .size:           64
        .value_kind:     by_value
    .group_segment_fixed_size: 0
    .kernarg_segment_align: 8
    .kernarg_segment_size: 64
    .language:       OpenCL C
    .language_version:
      - 2
      - 0
    .max_flat_workgroup_size: 128
    .name:           _ZN7rocprim17ROCPRIM_400000_NS6detail17trampoline_kernelINS0_14default_configENS1_38merge_sort_block_merge_config_selectorIsNS0_10empty_typeEEEZZNS1_27merge_sort_block_merge_implIS3_PsPS5_jNS1_19radix_merge_compareILb1ELb0EsNS0_19identity_decomposerEEEEE10hipError_tT0_T1_T2_jT3_P12ihipStream_tbPNSt15iterator_traitsISE_E10value_typeEPNSK_ISF_E10value_typeEPSG_NS1_7vsmem_tEENKUlT_SE_SF_SG_E_clIS8_S8_S9_S9_EESD_ST_SE_SF_SG_EUlST_E0_NS1_11comp_targetILNS1_3genE9ELNS1_11target_archE1100ELNS1_3gpuE3ELNS1_3repE0EEENS1_38merge_mergepath_config_static_selectorELNS0_4arch9wavefront6targetE1EEEvSF_
    .private_segment_fixed_size: 0
    .sgpr_count:     4
    .sgpr_spill_count: 0
    .symbol:         _ZN7rocprim17ROCPRIM_400000_NS6detail17trampoline_kernelINS0_14default_configENS1_38merge_sort_block_merge_config_selectorIsNS0_10empty_typeEEEZZNS1_27merge_sort_block_merge_implIS3_PsPS5_jNS1_19radix_merge_compareILb1ELb0EsNS0_19identity_decomposerEEEEE10hipError_tT0_T1_T2_jT3_P12ihipStream_tbPNSt15iterator_traitsISE_E10value_typeEPNSK_ISF_E10value_typeEPSG_NS1_7vsmem_tEENKUlT_SE_SF_SG_E_clIS8_S8_S9_S9_EESD_ST_SE_SF_SG_EUlST_E0_NS1_11comp_targetILNS1_3genE9ELNS1_11target_archE1100ELNS1_3gpuE3ELNS1_3repE0EEENS1_38merge_mergepath_config_static_selectorELNS0_4arch9wavefront6targetE1EEEvSF_.kd
    .uniform_work_group_size: 1
    .uses_dynamic_stack: false
    .vgpr_count:     0
    .vgpr_spill_count: 0
    .wavefront_size: 64
  - .agpr_count:     0
    .args:
      - .offset:         0
        .size:           64
        .value_kind:     by_value
    .group_segment_fixed_size: 0
    .kernarg_segment_align: 8
    .kernarg_segment_size: 64
    .language:       OpenCL C
    .language_version:
      - 2
      - 0
    .max_flat_workgroup_size: 128
    .name:           _ZN7rocprim17ROCPRIM_400000_NS6detail17trampoline_kernelINS0_14default_configENS1_38merge_sort_block_merge_config_selectorIsNS0_10empty_typeEEEZZNS1_27merge_sort_block_merge_implIS3_PsPS5_jNS1_19radix_merge_compareILb1ELb0EsNS0_19identity_decomposerEEEEE10hipError_tT0_T1_T2_jT3_P12ihipStream_tbPNSt15iterator_traitsISE_E10value_typeEPNSK_ISF_E10value_typeEPSG_NS1_7vsmem_tEENKUlT_SE_SF_SG_E_clIS8_S8_S9_S9_EESD_ST_SE_SF_SG_EUlST_E0_NS1_11comp_targetILNS1_3genE8ELNS1_11target_archE1030ELNS1_3gpuE2ELNS1_3repE0EEENS1_38merge_mergepath_config_static_selectorELNS0_4arch9wavefront6targetE1EEEvSF_
    .private_segment_fixed_size: 0
    .sgpr_count:     4
    .sgpr_spill_count: 0
    .symbol:         _ZN7rocprim17ROCPRIM_400000_NS6detail17trampoline_kernelINS0_14default_configENS1_38merge_sort_block_merge_config_selectorIsNS0_10empty_typeEEEZZNS1_27merge_sort_block_merge_implIS3_PsPS5_jNS1_19radix_merge_compareILb1ELb0EsNS0_19identity_decomposerEEEEE10hipError_tT0_T1_T2_jT3_P12ihipStream_tbPNSt15iterator_traitsISE_E10value_typeEPNSK_ISF_E10value_typeEPSG_NS1_7vsmem_tEENKUlT_SE_SF_SG_E_clIS8_S8_S9_S9_EESD_ST_SE_SF_SG_EUlST_E0_NS1_11comp_targetILNS1_3genE8ELNS1_11target_archE1030ELNS1_3gpuE2ELNS1_3repE0EEENS1_38merge_mergepath_config_static_selectorELNS0_4arch9wavefront6targetE1EEEvSF_.kd
    .uniform_work_group_size: 1
    .uses_dynamic_stack: false
    .vgpr_count:     0
    .vgpr_spill_count: 0
    .wavefront_size: 64
  - .agpr_count:     0
    .args:
      - .offset:         0
        .size:           48
        .value_kind:     by_value
    .group_segment_fixed_size: 0
    .kernarg_segment_align: 8
    .kernarg_segment_size: 48
    .language:       OpenCL C
    .language_version:
      - 2
      - 0
    .max_flat_workgroup_size: 256
    .name:           _ZN7rocprim17ROCPRIM_400000_NS6detail17trampoline_kernelINS0_14default_configENS1_38merge_sort_block_merge_config_selectorIsNS0_10empty_typeEEEZZNS1_27merge_sort_block_merge_implIS3_PsPS5_jNS1_19radix_merge_compareILb1ELb0EsNS0_19identity_decomposerEEEEE10hipError_tT0_T1_T2_jT3_P12ihipStream_tbPNSt15iterator_traitsISE_E10value_typeEPNSK_ISF_E10value_typeEPSG_NS1_7vsmem_tEENKUlT_SE_SF_SG_E_clIS8_S8_S9_S9_EESD_ST_SE_SF_SG_EUlST_E1_NS1_11comp_targetILNS1_3genE0ELNS1_11target_archE4294967295ELNS1_3gpuE0ELNS1_3repE0EEENS1_36merge_oddeven_config_static_selectorELNS0_4arch9wavefront6targetE1EEEvSF_
    .private_segment_fixed_size: 0
    .sgpr_count:     4
    .sgpr_spill_count: 0
    .symbol:         _ZN7rocprim17ROCPRIM_400000_NS6detail17trampoline_kernelINS0_14default_configENS1_38merge_sort_block_merge_config_selectorIsNS0_10empty_typeEEEZZNS1_27merge_sort_block_merge_implIS3_PsPS5_jNS1_19radix_merge_compareILb1ELb0EsNS0_19identity_decomposerEEEEE10hipError_tT0_T1_T2_jT3_P12ihipStream_tbPNSt15iterator_traitsISE_E10value_typeEPNSK_ISF_E10value_typeEPSG_NS1_7vsmem_tEENKUlT_SE_SF_SG_E_clIS8_S8_S9_S9_EESD_ST_SE_SF_SG_EUlST_E1_NS1_11comp_targetILNS1_3genE0ELNS1_11target_archE4294967295ELNS1_3gpuE0ELNS1_3repE0EEENS1_36merge_oddeven_config_static_selectorELNS0_4arch9wavefront6targetE1EEEvSF_.kd
    .uniform_work_group_size: 1
    .uses_dynamic_stack: false
    .vgpr_count:     0
    .vgpr_spill_count: 0
    .wavefront_size: 64
  - .agpr_count:     0
    .args:
      - .offset:         0
        .size:           48
        .value_kind:     by_value
    .group_segment_fixed_size: 0
    .kernarg_segment_align: 8
    .kernarg_segment_size: 48
    .language:       OpenCL C
    .language_version:
      - 2
      - 0
    .max_flat_workgroup_size: 256
    .name:           _ZN7rocprim17ROCPRIM_400000_NS6detail17trampoline_kernelINS0_14default_configENS1_38merge_sort_block_merge_config_selectorIsNS0_10empty_typeEEEZZNS1_27merge_sort_block_merge_implIS3_PsPS5_jNS1_19radix_merge_compareILb1ELb0EsNS0_19identity_decomposerEEEEE10hipError_tT0_T1_T2_jT3_P12ihipStream_tbPNSt15iterator_traitsISE_E10value_typeEPNSK_ISF_E10value_typeEPSG_NS1_7vsmem_tEENKUlT_SE_SF_SG_E_clIS8_S8_S9_S9_EESD_ST_SE_SF_SG_EUlST_E1_NS1_11comp_targetILNS1_3genE10ELNS1_11target_archE1201ELNS1_3gpuE5ELNS1_3repE0EEENS1_36merge_oddeven_config_static_selectorELNS0_4arch9wavefront6targetE1EEEvSF_
    .private_segment_fixed_size: 0
    .sgpr_count:     4
    .sgpr_spill_count: 0
    .symbol:         _ZN7rocprim17ROCPRIM_400000_NS6detail17trampoline_kernelINS0_14default_configENS1_38merge_sort_block_merge_config_selectorIsNS0_10empty_typeEEEZZNS1_27merge_sort_block_merge_implIS3_PsPS5_jNS1_19radix_merge_compareILb1ELb0EsNS0_19identity_decomposerEEEEE10hipError_tT0_T1_T2_jT3_P12ihipStream_tbPNSt15iterator_traitsISE_E10value_typeEPNSK_ISF_E10value_typeEPSG_NS1_7vsmem_tEENKUlT_SE_SF_SG_E_clIS8_S8_S9_S9_EESD_ST_SE_SF_SG_EUlST_E1_NS1_11comp_targetILNS1_3genE10ELNS1_11target_archE1201ELNS1_3gpuE5ELNS1_3repE0EEENS1_36merge_oddeven_config_static_selectorELNS0_4arch9wavefront6targetE1EEEvSF_.kd
    .uniform_work_group_size: 1
    .uses_dynamic_stack: false
    .vgpr_count:     0
    .vgpr_spill_count: 0
    .wavefront_size: 64
  - .agpr_count:     0
    .args:
      - .offset:         0
        .size:           48
        .value_kind:     by_value
    .group_segment_fixed_size: 0
    .kernarg_segment_align: 8
    .kernarg_segment_size: 48
    .language:       OpenCL C
    .language_version:
      - 2
      - 0
    .max_flat_workgroup_size: 256
    .name:           _ZN7rocprim17ROCPRIM_400000_NS6detail17trampoline_kernelINS0_14default_configENS1_38merge_sort_block_merge_config_selectorIsNS0_10empty_typeEEEZZNS1_27merge_sort_block_merge_implIS3_PsPS5_jNS1_19radix_merge_compareILb1ELb0EsNS0_19identity_decomposerEEEEE10hipError_tT0_T1_T2_jT3_P12ihipStream_tbPNSt15iterator_traitsISE_E10value_typeEPNSK_ISF_E10value_typeEPSG_NS1_7vsmem_tEENKUlT_SE_SF_SG_E_clIS8_S8_S9_S9_EESD_ST_SE_SF_SG_EUlST_E1_NS1_11comp_targetILNS1_3genE5ELNS1_11target_archE942ELNS1_3gpuE9ELNS1_3repE0EEENS1_36merge_oddeven_config_static_selectorELNS0_4arch9wavefront6targetE1EEEvSF_
    .private_segment_fixed_size: 0
    .sgpr_count:     4
    .sgpr_spill_count: 0
    .symbol:         _ZN7rocprim17ROCPRIM_400000_NS6detail17trampoline_kernelINS0_14default_configENS1_38merge_sort_block_merge_config_selectorIsNS0_10empty_typeEEEZZNS1_27merge_sort_block_merge_implIS3_PsPS5_jNS1_19radix_merge_compareILb1ELb0EsNS0_19identity_decomposerEEEEE10hipError_tT0_T1_T2_jT3_P12ihipStream_tbPNSt15iterator_traitsISE_E10value_typeEPNSK_ISF_E10value_typeEPSG_NS1_7vsmem_tEENKUlT_SE_SF_SG_E_clIS8_S8_S9_S9_EESD_ST_SE_SF_SG_EUlST_E1_NS1_11comp_targetILNS1_3genE5ELNS1_11target_archE942ELNS1_3gpuE9ELNS1_3repE0EEENS1_36merge_oddeven_config_static_selectorELNS0_4arch9wavefront6targetE1EEEvSF_.kd
    .uniform_work_group_size: 1
    .uses_dynamic_stack: false
    .vgpr_count:     0
    .vgpr_spill_count: 0
    .wavefront_size: 64
  - .agpr_count:     0
    .args:
      - .offset:         0
        .size:           48
        .value_kind:     by_value
    .group_segment_fixed_size: 0
    .kernarg_segment_align: 8
    .kernarg_segment_size: 48
    .language:       OpenCL C
    .language_version:
      - 2
      - 0
    .max_flat_workgroup_size: 256
    .name:           _ZN7rocprim17ROCPRIM_400000_NS6detail17trampoline_kernelINS0_14default_configENS1_38merge_sort_block_merge_config_selectorIsNS0_10empty_typeEEEZZNS1_27merge_sort_block_merge_implIS3_PsPS5_jNS1_19radix_merge_compareILb1ELb0EsNS0_19identity_decomposerEEEEE10hipError_tT0_T1_T2_jT3_P12ihipStream_tbPNSt15iterator_traitsISE_E10value_typeEPNSK_ISF_E10value_typeEPSG_NS1_7vsmem_tEENKUlT_SE_SF_SG_E_clIS8_S8_S9_S9_EESD_ST_SE_SF_SG_EUlST_E1_NS1_11comp_targetILNS1_3genE4ELNS1_11target_archE910ELNS1_3gpuE8ELNS1_3repE0EEENS1_36merge_oddeven_config_static_selectorELNS0_4arch9wavefront6targetE1EEEvSF_
    .private_segment_fixed_size: 0
    .sgpr_count:     25
    .sgpr_spill_count: 0
    .symbol:         _ZN7rocprim17ROCPRIM_400000_NS6detail17trampoline_kernelINS0_14default_configENS1_38merge_sort_block_merge_config_selectorIsNS0_10empty_typeEEEZZNS1_27merge_sort_block_merge_implIS3_PsPS5_jNS1_19radix_merge_compareILb1ELb0EsNS0_19identity_decomposerEEEEE10hipError_tT0_T1_T2_jT3_P12ihipStream_tbPNSt15iterator_traitsISE_E10value_typeEPNSK_ISF_E10value_typeEPSG_NS1_7vsmem_tEENKUlT_SE_SF_SG_E_clIS8_S8_S9_S9_EESD_ST_SE_SF_SG_EUlST_E1_NS1_11comp_targetILNS1_3genE4ELNS1_11target_archE910ELNS1_3gpuE8ELNS1_3repE0EEENS1_36merge_oddeven_config_static_selectorELNS0_4arch9wavefront6targetE1EEEvSF_.kd
    .uniform_work_group_size: 1
    .uses_dynamic_stack: false
    .vgpr_count:     8
    .vgpr_spill_count: 0
    .wavefront_size: 64
  - .agpr_count:     0
    .args:
      - .offset:         0
        .size:           48
        .value_kind:     by_value
    .group_segment_fixed_size: 0
    .kernarg_segment_align: 8
    .kernarg_segment_size: 48
    .language:       OpenCL C
    .language_version:
      - 2
      - 0
    .max_flat_workgroup_size: 256
    .name:           _ZN7rocprim17ROCPRIM_400000_NS6detail17trampoline_kernelINS0_14default_configENS1_38merge_sort_block_merge_config_selectorIsNS0_10empty_typeEEEZZNS1_27merge_sort_block_merge_implIS3_PsPS5_jNS1_19radix_merge_compareILb1ELb0EsNS0_19identity_decomposerEEEEE10hipError_tT0_T1_T2_jT3_P12ihipStream_tbPNSt15iterator_traitsISE_E10value_typeEPNSK_ISF_E10value_typeEPSG_NS1_7vsmem_tEENKUlT_SE_SF_SG_E_clIS8_S8_S9_S9_EESD_ST_SE_SF_SG_EUlST_E1_NS1_11comp_targetILNS1_3genE3ELNS1_11target_archE908ELNS1_3gpuE7ELNS1_3repE0EEENS1_36merge_oddeven_config_static_selectorELNS0_4arch9wavefront6targetE1EEEvSF_
    .private_segment_fixed_size: 0
    .sgpr_count:     4
    .sgpr_spill_count: 0
    .symbol:         _ZN7rocprim17ROCPRIM_400000_NS6detail17trampoline_kernelINS0_14default_configENS1_38merge_sort_block_merge_config_selectorIsNS0_10empty_typeEEEZZNS1_27merge_sort_block_merge_implIS3_PsPS5_jNS1_19radix_merge_compareILb1ELb0EsNS0_19identity_decomposerEEEEE10hipError_tT0_T1_T2_jT3_P12ihipStream_tbPNSt15iterator_traitsISE_E10value_typeEPNSK_ISF_E10value_typeEPSG_NS1_7vsmem_tEENKUlT_SE_SF_SG_E_clIS8_S8_S9_S9_EESD_ST_SE_SF_SG_EUlST_E1_NS1_11comp_targetILNS1_3genE3ELNS1_11target_archE908ELNS1_3gpuE7ELNS1_3repE0EEENS1_36merge_oddeven_config_static_selectorELNS0_4arch9wavefront6targetE1EEEvSF_.kd
    .uniform_work_group_size: 1
    .uses_dynamic_stack: false
    .vgpr_count:     0
    .vgpr_spill_count: 0
    .wavefront_size: 64
  - .agpr_count:     0
    .args:
      - .offset:         0
        .size:           48
        .value_kind:     by_value
    .group_segment_fixed_size: 0
    .kernarg_segment_align: 8
    .kernarg_segment_size: 48
    .language:       OpenCL C
    .language_version:
      - 2
      - 0
    .max_flat_workgroup_size: 256
    .name:           _ZN7rocprim17ROCPRIM_400000_NS6detail17trampoline_kernelINS0_14default_configENS1_38merge_sort_block_merge_config_selectorIsNS0_10empty_typeEEEZZNS1_27merge_sort_block_merge_implIS3_PsPS5_jNS1_19radix_merge_compareILb1ELb0EsNS0_19identity_decomposerEEEEE10hipError_tT0_T1_T2_jT3_P12ihipStream_tbPNSt15iterator_traitsISE_E10value_typeEPNSK_ISF_E10value_typeEPSG_NS1_7vsmem_tEENKUlT_SE_SF_SG_E_clIS8_S8_S9_S9_EESD_ST_SE_SF_SG_EUlST_E1_NS1_11comp_targetILNS1_3genE2ELNS1_11target_archE906ELNS1_3gpuE6ELNS1_3repE0EEENS1_36merge_oddeven_config_static_selectorELNS0_4arch9wavefront6targetE1EEEvSF_
    .private_segment_fixed_size: 0
    .sgpr_count:     4
    .sgpr_spill_count: 0
    .symbol:         _ZN7rocprim17ROCPRIM_400000_NS6detail17trampoline_kernelINS0_14default_configENS1_38merge_sort_block_merge_config_selectorIsNS0_10empty_typeEEEZZNS1_27merge_sort_block_merge_implIS3_PsPS5_jNS1_19radix_merge_compareILb1ELb0EsNS0_19identity_decomposerEEEEE10hipError_tT0_T1_T2_jT3_P12ihipStream_tbPNSt15iterator_traitsISE_E10value_typeEPNSK_ISF_E10value_typeEPSG_NS1_7vsmem_tEENKUlT_SE_SF_SG_E_clIS8_S8_S9_S9_EESD_ST_SE_SF_SG_EUlST_E1_NS1_11comp_targetILNS1_3genE2ELNS1_11target_archE906ELNS1_3gpuE6ELNS1_3repE0EEENS1_36merge_oddeven_config_static_selectorELNS0_4arch9wavefront6targetE1EEEvSF_.kd
    .uniform_work_group_size: 1
    .uses_dynamic_stack: false
    .vgpr_count:     0
    .vgpr_spill_count: 0
    .wavefront_size: 64
  - .agpr_count:     0
    .args:
      - .offset:         0
        .size:           48
        .value_kind:     by_value
    .group_segment_fixed_size: 0
    .kernarg_segment_align: 8
    .kernarg_segment_size: 48
    .language:       OpenCL C
    .language_version:
      - 2
      - 0
    .max_flat_workgroup_size: 256
    .name:           _ZN7rocprim17ROCPRIM_400000_NS6detail17trampoline_kernelINS0_14default_configENS1_38merge_sort_block_merge_config_selectorIsNS0_10empty_typeEEEZZNS1_27merge_sort_block_merge_implIS3_PsPS5_jNS1_19radix_merge_compareILb1ELb0EsNS0_19identity_decomposerEEEEE10hipError_tT0_T1_T2_jT3_P12ihipStream_tbPNSt15iterator_traitsISE_E10value_typeEPNSK_ISF_E10value_typeEPSG_NS1_7vsmem_tEENKUlT_SE_SF_SG_E_clIS8_S8_S9_S9_EESD_ST_SE_SF_SG_EUlST_E1_NS1_11comp_targetILNS1_3genE9ELNS1_11target_archE1100ELNS1_3gpuE3ELNS1_3repE0EEENS1_36merge_oddeven_config_static_selectorELNS0_4arch9wavefront6targetE1EEEvSF_
    .private_segment_fixed_size: 0
    .sgpr_count:     4
    .sgpr_spill_count: 0
    .symbol:         _ZN7rocprim17ROCPRIM_400000_NS6detail17trampoline_kernelINS0_14default_configENS1_38merge_sort_block_merge_config_selectorIsNS0_10empty_typeEEEZZNS1_27merge_sort_block_merge_implIS3_PsPS5_jNS1_19radix_merge_compareILb1ELb0EsNS0_19identity_decomposerEEEEE10hipError_tT0_T1_T2_jT3_P12ihipStream_tbPNSt15iterator_traitsISE_E10value_typeEPNSK_ISF_E10value_typeEPSG_NS1_7vsmem_tEENKUlT_SE_SF_SG_E_clIS8_S8_S9_S9_EESD_ST_SE_SF_SG_EUlST_E1_NS1_11comp_targetILNS1_3genE9ELNS1_11target_archE1100ELNS1_3gpuE3ELNS1_3repE0EEENS1_36merge_oddeven_config_static_selectorELNS0_4arch9wavefront6targetE1EEEvSF_.kd
    .uniform_work_group_size: 1
    .uses_dynamic_stack: false
    .vgpr_count:     0
    .vgpr_spill_count: 0
    .wavefront_size: 64
  - .agpr_count:     0
    .args:
      - .offset:         0
        .size:           48
        .value_kind:     by_value
    .group_segment_fixed_size: 0
    .kernarg_segment_align: 8
    .kernarg_segment_size: 48
    .language:       OpenCL C
    .language_version:
      - 2
      - 0
    .max_flat_workgroup_size: 256
    .name:           _ZN7rocprim17ROCPRIM_400000_NS6detail17trampoline_kernelINS0_14default_configENS1_38merge_sort_block_merge_config_selectorIsNS0_10empty_typeEEEZZNS1_27merge_sort_block_merge_implIS3_PsPS5_jNS1_19radix_merge_compareILb1ELb0EsNS0_19identity_decomposerEEEEE10hipError_tT0_T1_T2_jT3_P12ihipStream_tbPNSt15iterator_traitsISE_E10value_typeEPNSK_ISF_E10value_typeEPSG_NS1_7vsmem_tEENKUlT_SE_SF_SG_E_clIS8_S8_S9_S9_EESD_ST_SE_SF_SG_EUlST_E1_NS1_11comp_targetILNS1_3genE8ELNS1_11target_archE1030ELNS1_3gpuE2ELNS1_3repE0EEENS1_36merge_oddeven_config_static_selectorELNS0_4arch9wavefront6targetE1EEEvSF_
    .private_segment_fixed_size: 0
    .sgpr_count:     4
    .sgpr_spill_count: 0
    .symbol:         _ZN7rocprim17ROCPRIM_400000_NS6detail17trampoline_kernelINS0_14default_configENS1_38merge_sort_block_merge_config_selectorIsNS0_10empty_typeEEEZZNS1_27merge_sort_block_merge_implIS3_PsPS5_jNS1_19radix_merge_compareILb1ELb0EsNS0_19identity_decomposerEEEEE10hipError_tT0_T1_T2_jT3_P12ihipStream_tbPNSt15iterator_traitsISE_E10value_typeEPNSK_ISF_E10value_typeEPSG_NS1_7vsmem_tEENKUlT_SE_SF_SG_E_clIS8_S8_S9_S9_EESD_ST_SE_SF_SG_EUlST_E1_NS1_11comp_targetILNS1_3genE8ELNS1_11target_archE1030ELNS1_3gpuE2ELNS1_3repE0EEENS1_36merge_oddeven_config_static_selectorELNS0_4arch9wavefront6targetE1EEEvSF_.kd
    .uniform_work_group_size: 1
    .uses_dynamic_stack: false
    .vgpr_count:     0
    .vgpr_spill_count: 0
    .wavefront_size: 64
  - .agpr_count:     0
    .args:
      - .offset:         0
        .size:           40
        .value_kind:     by_value
    .group_segment_fixed_size: 0
    .kernarg_segment_align: 8
    .kernarg_segment_size: 40
    .language:       OpenCL C
    .language_version:
      - 2
      - 0
    .max_flat_workgroup_size: 128
    .name:           _ZN7rocprim17ROCPRIM_400000_NS6detail17trampoline_kernelINS0_14default_configENS1_38merge_sort_block_merge_config_selectorIsNS0_10empty_typeEEEZZNS1_27merge_sort_block_merge_implIS3_PsPS5_jNS1_19radix_merge_compareILb1ELb1EsNS0_19identity_decomposerEEEEE10hipError_tT0_T1_T2_jT3_P12ihipStream_tbPNSt15iterator_traitsISE_E10value_typeEPNSK_ISF_E10value_typeEPSG_NS1_7vsmem_tEENKUlT_SE_SF_SG_E_clIS8_S8_S9_S9_EESD_ST_SE_SF_SG_EUlST_E_NS1_11comp_targetILNS1_3genE0ELNS1_11target_archE4294967295ELNS1_3gpuE0ELNS1_3repE0EEENS1_48merge_mergepath_partition_config_static_selectorELNS0_4arch9wavefront6targetE1EEEvSF_
    .private_segment_fixed_size: 0
    .sgpr_count:     4
    .sgpr_spill_count: 0
    .symbol:         _ZN7rocprim17ROCPRIM_400000_NS6detail17trampoline_kernelINS0_14default_configENS1_38merge_sort_block_merge_config_selectorIsNS0_10empty_typeEEEZZNS1_27merge_sort_block_merge_implIS3_PsPS5_jNS1_19radix_merge_compareILb1ELb1EsNS0_19identity_decomposerEEEEE10hipError_tT0_T1_T2_jT3_P12ihipStream_tbPNSt15iterator_traitsISE_E10value_typeEPNSK_ISF_E10value_typeEPSG_NS1_7vsmem_tEENKUlT_SE_SF_SG_E_clIS8_S8_S9_S9_EESD_ST_SE_SF_SG_EUlST_E_NS1_11comp_targetILNS1_3genE0ELNS1_11target_archE4294967295ELNS1_3gpuE0ELNS1_3repE0EEENS1_48merge_mergepath_partition_config_static_selectorELNS0_4arch9wavefront6targetE1EEEvSF_.kd
    .uniform_work_group_size: 1
    .uses_dynamic_stack: false
    .vgpr_count:     0
    .vgpr_spill_count: 0
    .wavefront_size: 64
  - .agpr_count:     0
    .args:
      - .offset:         0
        .size:           40
        .value_kind:     by_value
    .group_segment_fixed_size: 0
    .kernarg_segment_align: 8
    .kernarg_segment_size: 40
    .language:       OpenCL C
    .language_version:
      - 2
      - 0
    .max_flat_workgroup_size: 128
    .name:           _ZN7rocprim17ROCPRIM_400000_NS6detail17trampoline_kernelINS0_14default_configENS1_38merge_sort_block_merge_config_selectorIsNS0_10empty_typeEEEZZNS1_27merge_sort_block_merge_implIS3_PsPS5_jNS1_19radix_merge_compareILb1ELb1EsNS0_19identity_decomposerEEEEE10hipError_tT0_T1_T2_jT3_P12ihipStream_tbPNSt15iterator_traitsISE_E10value_typeEPNSK_ISF_E10value_typeEPSG_NS1_7vsmem_tEENKUlT_SE_SF_SG_E_clIS8_S8_S9_S9_EESD_ST_SE_SF_SG_EUlST_E_NS1_11comp_targetILNS1_3genE10ELNS1_11target_archE1201ELNS1_3gpuE5ELNS1_3repE0EEENS1_48merge_mergepath_partition_config_static_selectorELNS0_4arch9wavefront6targetE1EEEvSF_
    .private_segment_fixed_size: 0
    .sgpr_count:     4
    .sgpr_spill_count: 0
    .symbol:         _ZN7rocprim17ROCPRIM_400000_NS6detail17trampoline_kernelINS0_14default_configENS1_38merge_sort_block_merge_config_selectorIsNS0_10empty_typeEEEZZNS1_27merge_sort_block_merge_implIS3_PsPS5_jNS1_19radix_merge_compareILb1ELb1EsNS0_19identity_decomposerEEEEE10hipError_tT0_T1_T2_jT3_P12ihipStream_tbPNSt15iterator_traitsISE_E10value_typeEPNSK_ISF_E10value_typeEPSG_NS1_7vsmem_tEENKUlT_SE_SF_SG_E_clIS8_S8_S9_S9_EESD_ST_SE_SF_SG_EUlST_E_NS1_11comp_targetILNS1_3genE10ELNS1_11target_archE1201ELNS1_3gpuE5ELNS1_3repE0EEENS1_48merge_mergepath_partition_config_static_selectorELNS0_4arch9wavefront6targetE1EEEvSF_.kd
    .uniform_work_group_size: 1
    .uses_dynamic_stack: false
    .vgpr_count:     0
    .vgpr_spill_count: 0
    .wavefront_size: 64
  - .agpr_count:     0
    .args:
      - .offset:         0
        .size:           40
        .value_kind:     by_value
    .group_segment_fixed_size: 0
    .kernarg_segment_align: 8
    .kernarg_segment_size: 40
    .language:       OpenCL C
    .language_version:
      - 2
      - 0
    .max_flat_workgroup_size: 128
    .name:           _ZN7rocprim17ROCPRIM_400000_NS6detail17trampoline_kernelINS0_14default_configENS1_38merge_sort_block_merge_config_selectorIsNS0_10empty_typeEEEZZNS1_27merge_sort_block_merge_implIS3_PsPS5_jNS1_19radix_merge_compareILb1ELb1EsNS0_19identity_decomposerEEEEE10hipError_tT0_T1_T2_jT3_P12ihipStream_tbPNSt15iterator_traitsISE_E10value_typeEPNSK_ISF_E10value_typeEPSG_NS1_7vsmem_tEENKUlT_SE_SF_SG_E_clIS8_S8_S9_S9_EESD_ST_SE_SF_SG_EUlST_E_NS1_11comp_targetILNS1_3genE5ELNS1_11target_archE942ELNS1_3gpuE9ELNS1_3repE0EEENS1_48merge_mergepath_partition_config_static_selectorELNS0_4arch9wavefront6targetE1EEEvSF_
    .private_segment_fixed_size: 0
    .sgpr_count:     4
    .sgpr_spill_count: 0
    .symbol:         _ZN7rocprim17ROCPRIM_400000_NS6detail17trampoline_kernelINS0_14default_configENS1_38merge_sort_block_merge_config_selectorIsNS0_10empty_typeEEEZZNS1_27merge_sort_block_merge_implIS3_PsPS5_jNS1_19radix_merge_compareILb1ELb1EsNS0_19identity_decomposerEEEEE10hipError_tT0_T1_T2_jT3_P12ihipStream_tbPNSt15iterator_traitsISE_E10value_typeEPNSK_ISF_E10value_typeEPSG_NS1_7vsmem_tEENKUlT_SE_SF_SG_E_clIS8_S8_S9_S9_EESD_ST_SE_SF_SG_EUlST_E_NS1_11comp_targetILNS1_3genE5ELNS1_11target_archE942ELNS1_3gpuE9ELNS1_3repE0EEENS1_48merge_mergepath_partition_config_static_selectorELNS0_4arch9wavefront6targetE1EEEvSF_.kd
    .uniform_work_group_size: 1
    .uses_dynamic_stack: false
    .vgpr_count:     0
    .vgpr_spill_count: 0
    .wavefront_size: 64
  - .agpr_count:     0
    .args:
      - .offset:         0
        .size:           40
        .value_kind:     by_value
    .group_segment_fixed_size: 0
    .kernarg_segment_align: 8
    .kernarg_segment_size: 40
    .language:       OpenCL C
    .language_version:
      - 2
      - 0
    .max_flat_workgroup_size: 128
    .name:           _ZN7rocprim17ROCPRIM_400000_NS6detail17trampoline_kernelINS0_14default_configENS1_38merge_sort_block_merge_config_selectorIsNS0_10empty_typeEEEZZNS1_27merge_sort_block_merge_implIS3_PsPS5_jNS1_19radix_merge_compareILb1ELb1EsNS0_19identity_decomposerEEEEE10hipError_tT0_T1_T2_jT3_P12ihipStream_tbPNSt15iterator_traitsISE_E10value_typeEPNSK_ISF_E10value_typeEPSG_NS1_7vsmem_tEENKUlT_SE_SF_SG_E_clIS8_S8_S9_S9_EESD_ST_SE_SF_SG_EUlST_E_NS1_11comp_targetILNS1_3genE4ELNS1_11target_archE910ELNS1_3gpuE8ELNS1_3repE0EEENS1_48merge_mergepath_partition_config_static_selectorELNS0_4arch9wavefront6targetE1EEEvSF_
    .private_segment_fixed_size: 0
    .sgpr_count:     14
    .sgpr_spill_count: 0
    .symbol:         _ZN7rocprim17ROCPRIM_400000_NS6detail17trampoline_kernelINS0_14default_configENS1_38merge_sort_block_merge_config_selectorIsNS0_10empty_typeEEEZZNS1_27merge_sort_block_merge_implIS3_PsPS5_jNS1_19radix_merge_compareILb1ELb1EsNS0_19identity_decomposerEEEEE10hipError_tT0_T1_T2_jT3_P12ihipStream_tbPNSt15iterator_traitsISE_E10value_typeEPNSK_ISF_E10value_typeEPSG_NS1_7vsmem_tEENKUlT_SE_SF_SG_E_clIS8_S8_S9_S9_EESD_ST_SE_SF_SG_EUlST_E_NS1_11comp_targetILNS1_3genE4ELNS1_11target_archE910ELNS1_3gpuE8ELNS1_3repE0EEENS1_48merge_mergepath_partition_config_static_selectorELNS0_4arch9wavefront6targetE1EEEvSF_.kd
    .uniform_work_group_size: 1
    .uses_dynamic_stack: false
    .vgpr_count:     15
    .vgpr_spill_count: 0
    .wavefront_size: 64
  - .agpr_count:     0
    .args:
      - .offset:         0
        .size:           40
        .value_kind:     by_value
    .group_segment_fixed_size: 0
    .kernarg_segment_align: 8
    .kernarg_segment_size: 40
    .language:       OpenCL C
    .language_version:
      - 2
      - 0
    .max_flat_workgroup_size: 128
    .name:           _ZN7rocprim17ROCPRIM_400000_NS6detail17trampoline_kernelINS0_14default_configENS1_38merge_sort_block_merge_config_selectorIsNS0_10empty_typeEEEZZNS1_27merge_sort_block_merge_implIS3_PsPS5_jNS1_19radix_merge_compareILb1ELb1EsNS0_19identity_decomposerEEEEE10hipError_tT0_T1_T2_jT3_P12ihipStream_tbPNSt15iterator_traitsISE_E10value_typeEPNSK_ISF_E10value_typeEPSG_NS1_7vsmem_tEENKUlT_SE_SF_SG_E_clIS8_S8_S9_S9_EESD_ST_SE_SF_SG_EUlST_E_NS1_11comp_targetILNS1_3genE3ELNS1_11target_archE908ELNS1_3gpuE7ELNS1_3repE0EEENS1_48merge_mergepath_partition_config_static_selectorELNS0_4arch9wavefront6targetE1EEEvSF_
    .private_segment_fixed_size: 0
    .sgpr_count:     4
    .sgpr_spill_count: 0
    .symbol:         _ZN7rocprim17ROCPRIM_400000_NS6detail17trampoline_kernelINS0_14default_configENS1_38merge_sort_block_merge_config_selectorIsNS0_10empty_typeEEEZZNS1_27merge_sort_block_merge_implIS3_PsPS5_jNS1_19radix_merge_compareILb1ELb1EsNS0_19identity_decomposerEEEEE10hipError_tT0_T1_T2_jT3_P12ihipStream_tbPNSt15iterator_traitsISE_E10value_typeEPNSK_ISF_E10value_typeEPSG_NS1_7vsmem_tEENKUlT_SE_SF_SG_E_clIS8_S8_S9_S9_EESD_ST_SE_SF_SG_EUlST_E_NS1_11comp_targetILNS1_3genE3ELNS1_11target_archE908ELNS1_3gpuE7ELNS1_3repE0EEENS1_48merge_mergepath_partition_config_static_selectorELNS0_4arch9wavefront6targetE1EEEvSF_.kd
    .uniform_work_group_size: 1
    .uses_dynamic_stack: false
    .vgpr_count:     0
    .vgpr_spill_count: 0
    .wavefront_size: 64
  - .agpr_count:     0
    .args:
      - .offset:         0
        .size:           40
        .value_kind:     by_value
    .group_segment_fixed_size: 0
    .kernarg_segment_align: 8
    .kernarg_segment_size: 40
    .language:       OpenCL C
    .language_version:
      - 2
      - 0
    .max_flat_workgroup_size: 128
    .name:           _ZN7rocprim17ROCPRIM_400000_NS6detail17trampoline_kernelINS0_14default_configENS1_38merge_sort_block_merge_config_selectorIsNS0_10empty_typeEEEZZNS1_27merge_sort_block_merge_implIS3_PsPS5_jNS1_19radix_merge_compareILb1ELb1EsNS0_19identity_decomposerEEEEE10hipError_tT0_T1_T2_jT3_P12ihipStream_tbPNSt15iterator_traitsISE_E10value_typeEPNSK_ISF_E10value_typeEPSG_NS1_7vsmem_tEENKUlT_SE_SF_SG_E_clIS8_S8_S9_S9_EESD_ST_SE_SF_SG_EUlST_E_NS1_11comp_targetILNS1_3genE2ELNS1_11target_archE906ELNS1_3gpuE6ELNS1_3repE0EEENS1_48merge_mergepath_partition_config_static_selectorELNS0_4arch9wavefront6targetE1EEEvSF_
    .private_segment_fixed_size: 0
    .sgpr_count:     4
    .sgpr_spill_count: 0
    .symbol:         _ZN7rocprim17ROCPRIM_400000_NS6detail17trampoline_kernelINS0_14default_configENS1_38merge_sort_block_merge_config_selectorIsNS0_10empty_typeEEEZZNS1_27merge_sort_block_merge_implIS3_PsPS5_jNS1_19radix_merge_compareILb1ELb1EsNS0_19identity_decomposerEEEEE10hipError_tT0_T1_T2_jT3_P12ihipStream_tbPNSt15iterator_traitsISE_E10value_typeEPNSK_ISF_E10value_typeEPSG_NS1_7vsmem_tEENKUlT_SE_SF_SG_E_clIS8_S8_S9_S9_EESD_ST_SE_SF_SG_EUlST_E_NS1_11comp_targetILNS1_3genE2ELNS1_11target_archE906ELNS1_3gpuE6ELNS1_3repE0EEENS1_48merge_mergepath_partition_config_static_selectorELNS0_4arch9wavefront6targetE1EEEvSF_.kd
    .uniform_work_group_size: 1
    .uses_dynamic_stack: false
    .vgpr_count:     0
    .vgpr_spill_count: 0
    .wavefront_size: 64
  - .agpr_count:     0
    .args:
      - .offset:         0
        .size:           40
        .value_kind:     by_value
    .group_segment_fixed_size: 0
    .kernarg_segment_align: 8
    .kernarg_segment_size: 40
    .language:       OpenCL C
    .language_version:
      - 2
      - 0
    .max_flat_workgroup_size: 128
    .name:           _ZN7rocprim17ROCPRIM_400000_NS6detail17trampoline_kernelINS0_14default_configENS1_38merge_sort_block_merge_config_selectorIsNS0_10empty_typeEEEZZNS1_27merge_sort_block_merge_implIS3_PsPS5_jNS1_19radix_merge_compareILb1ELb1EsNS0_19identity_decomposerEEEEE10hipError_tT0_T1_T2_jT3_P12ihipStream_tbPNSt15iterator_traitsISE_E10value_typeEPNSK_ISF_E10value_typeEPSG_NS1_7vsmem_tEENKUlT_SE_SF_SG_E_clIS8_S8_S9_S9_EESD_ST_SE_SF_SG_EUlST_E_NS1_11comp_targetILNS1_3genE9ELNS1_11target_archE1100ELNS1_3gpuE3ELNS1_3repE0EEENS1_48merge_mergepath_partition_config_static_selectorELNS0_4arch9wavefront6targetE1EEEvSF_
    .private_segment_fixed_size: 0
    .sgpr_count:     4
    .sgpr_spill_count: 0
    .symbol:         _ZN7rocprim17ROCPRIM_400000_NS6detail17trampoline_kernelINS0_14default_configENS1_38merge_sort_block_merge_config_selectorIsNS0_10empty_typeEEEZZNS1_27merge_sort_block_merge_implIS3_PsPS5_jNS1_19radix_merge_compareILb1ELb1EsNS0_19identity_decomposerEEEEE10hipError_tT0_T1_T2_jT3_P12ihipStream_tbPNSt15iterator_traitsISE_E10value_typeEPNSK_ISF_E10value_typeEPSG_NS1_7vsmem_tEENKUlT_SE_SF_SG_E_clIS8_S8_S9_S9_EESD_ST_SE_SF_SG_EUlST_E_NS1_11comp_targetILNS1_3genE9ELNS1_11target_archE1100ELNS1_3gpuE3ELNS1_3repE0EEENS1_48merge_mergepath_partition_config_static_selectorELNS0_4arch9wavefront6targetE1EEEvSF_.kd
    .uniform_work_group_size: 1
    .uses_dynamic_stack: false
    .vgpr_count:     0
    .vgpr_spill_count: 0
    .wavefront_size: 64
  - .agpr_count:     0
    .args:
      - .offset:         0
        .size:           40
        .value_kind:     by_value
    .group_segment_fixed_size: 0
    .kernarg_segment_align: 8
    .kernarg_segment_size: 40
    .language:       OpenCL C
    .language_version:
      - 2
      - 0
    .max_flat_workgroup_size: 128
    .name:           _ZN7rocprim17ROCPRIM_400000_NS6detail17trampoline_kernelINS0_14default_configENS1_38merge_sort_block_merge_config_selectorIsNS0_10empty_typeEEEZZNS1_27merge_sort_block_merge_implIS3_PsPS5_jNS1_19radix_merge_compareILb1ELb1EsNS0_19identity_decomposerEEEEE10hipError_tT0_T1_T2_jT3_P12ihipStream_tbPNSt15iterator_traitsISE_E10value_typeEPNSK_ISF_E10value_typeEPSG_NS1_7vsmem_tEENKUlT_SE_SF_SG_E_clIS8_S8_S9_S9_EESD_ST_SE_SF_SG_EUlST_E_NS1_11comp_targetILNS1_3genE8ELNS1_11target_archE1030ELNS1_3gpuE2ELNS1_3repE0EEENS1_48merge_mergepath_partition_config_static_selectorELNS0_4arch9wavefront6targetE1EEEvSF_
    .private_segment_fixed_size: 0
    .sgpr_count:     4
    .sgpr_spill_count: 0
    .symbol:         _ZN7rocprim17ROCPRIM_400000_NS6detail17trampoline_kernelINS0_14default_configENS1_38merge_sort_block_merge_config_selectorIsNS0_10empty_typeEEEZZNS1_27merge_sort_block_merge_implIS3_PsPS5_jNS1_19radix_merge_compareILb1ELb1EsNS0_19identity_decomposerEEEEE10hipError_tT0_T1_T2_jT3_P12ihipStream_tbPNSt15iterator_traitsISE_E10value_typeEPNSK_ISF_E10value_typeEPSG_NS1_7vsmem_tEENKUlT_SE_SF_SG_E_clIS8_S8_S9_S9_EESD_ST_SE_SF_SG_EUlST_E_NS1_11comp_targetILNS1_3genE8ELNS1_11target_archE1030ELNS1_3gpuE2ELNS1_3repE0EEENS1_48merge_mergepath_partition_config_static_selectorELNS0_4arch9wavefront6targetE1EEEvSF_.kd
    .uniform_work_group_size: 1
    .uses_dynamic_stack: false
    .vgpr_count:     0
    .vgpr_spill_count: 0
    .wavefront_size: 64
  - .agpr_count:     0
    .args:
      - .offset:         0
        .size:           64
        .value_kind:     by_value
    .group_segment_fixed_size: 0
    .kernarg_segment_align: 8
    .kernarg_segment_size: 64
    .language:       OpenCL C
    .language_version:
      - 2
      - 0
    .max_flat_workgroup_size: 128
    .name:           _ZN7rocprim17ROCPRIM_400000_NS6detail17trampoline_kernelINS0_14default_configENS1_38merge_sort_block_merge_config_selectorIsNS0_10empty_typeEEEZZNS1_27merge_sort_block_merge_implIS3_PsPS5_jNS1_19radix_merge_compareILb1ELb1EsNS0_19identity_decomposerEEEEE10hipError_tT0_T1_T2_jT3_P12ihipStream_tbPNSt15iterator_traitsISE_E10value_typeEPNSK_ISF_E10value_typeEPSG_NS1_7vsmem_tEENKUlT_SE_SF_SG_E_clIS8_S8_S9_S9_EESD_ST_SE_SF_SG_EUlST_E0_NS1_11comp_targetILNS1_3genE0ELNS1_11target_archE4294967295ELNS1_3gpuE0ELNS1_3repE0EEENS1_38merge_mergepath_config_static_selectorELNS0_4arch9wavefront6targetE1EEEvSF_
    .private_segment_fixed_size: 0
    .sgpr_count:     4
    .sgpr_spill_count: 0
    .symbol:         _ZN7rocprim17ROCPRIM_400000_NS6detail17trampoline_kernelINS0_14default_configENS1_38merge_sort_block_merge_config_selectorIsNS0_10empty_typeEEEZZNS1_27merge_sort_block_merge_implIS3_PsPS5_jNS1_19radix_merge_compareILb1ELb1EsNS0_19identity_decomposerEEEEE10hipError_tT0_T1_T2_jT3_P12ihipStream_tbPNSt15iterator_traitsISE_E10value_typeEPNSK_ISF_E10value_typeEPSG_NS1_7vsmem_tEENKUlT_SE_SF_SG_E_clIS8_S8_S9_S9_EESD_ST_SE_SF_SG_EUlST_E0_NS1_11comp_targetILNS1_3genE0ELNS1_11target_archE4294967295ELNS1_3gpuE0ELNS1_3repE0EEENS1_38merge_mergepath_config_static_selectorELNS0_4arch9wavefront6targetE1EEEvSF_.kd
    .uniform_work_group_size: 1
    .uses_dynamic_stack: false
    .vgpr_count:     0
    .vgpr_spill_count: 0
    .wavefront_size: 64
  - .agpr_count:     0
    .args:
      - .offset:         0
        .size:           64
        .value_kind:     by_value
    .group_segment_fixed_size: 0
    .kernarg_segment_align: 8
    .kernarg_segment_size: 64
    .language:       OpenCL C
    .language_version:
      - 2
      - 0
    .max_flat_workgroup_size: 128
    .name:           _ZN7rocprim17ROCPRIM_400000_NS6detail17trampoline_kernelINS0_14default_configENS1_38merge_sort_block_merge_config_selectorIsNS0_10empty_typeEEEZZNS1_27merge_sort_block_merge_implIS3_PsPS5_jNS1_19radix_merge_compareILb1ELb1EsNS0_19identity_decomposerEEEEE10hipError_tT0_T1_T2_jT3_P12ihipStream_tbPNSt15iterator_traitsISE_E10value_typeEPNSK_ISF_E10value_typeEPSG_NS1_7vsmem_tEENKUlT_SE_SF_SG_E_clIS8_S8_S9_S9_EESD_ST_SE_SF_SG_EUlST_E0_NS1_11comp_targetILNS1_3genE10ELNS1_11target_archE1201ELNS1_3gpuE5ELNS1_3repE0EEENS1_38merge_mergepath_config_static_selectorELNS0_4arch9wavefront6targetE1EEEvSF_
    .private_segment_fixed_size: 0
    .sgpr_count:     4
    .sgpr_spill_count: 0
    .symbol:         _ZN7rocprim17ROCPRIM_400000_NS6detail17trampoline_kernelINS0_14default_configENS1_38merge_sort_block_merge_config_selectorIsNS0_10empty_typeEEEZZNS1_27merge_sort_block_merge_implIS3_PsPS5_jNS1_19radix_merge_compareILb1ELb1EsNS0_19identity_decomposerEEEEE10hipError_tT0_T1_T2_jT3_P12ihipStream_tbPNSt15iterator_traitsISE_E10value_typeEPNSK_ISF_E10value_typeEPSG_NS1_7vsmem_tEENKUlT_SE_SF_SG_E_clIS8_S8_S9_S9_EESD_ST_SE_SF_SG_EUlST_E0_NS1_11comp_targetILNS1_3genE10ELNS1_11target_archE1201ELNS1_3gpuE5ELNS1_3repE0EEENS1_38merge_mergepath_config_static_selectorELNS0_4arch9wavefront6targetE1EEEvSF_.kd
    .uniform_work_group_size: 1
    .uses_dynamic_stack: false
    .vgpr_count:     0
    .vgpr_spill_count: 0
    .wavefront_size: 64
  - .agpr_count:     0
    .args:
      - .offset:         0
        .size:           64
        .value_kind:     by_value
    .group_segment_fixed_size: 0
    .kernarg_segment_align: 8
    .kernarg_segment_size: 64
    .language:       OpenCL C
    .language_version:
      - 2
      - 0
    .max_flat_workgroup_size: 128
    .name:           _ZN7rocprim17ROCPRIM_400000_NS6detail17trampoline_kernelINS0_14default_configENS1_38merge_sort_block_merge_config_selectorIsNS0_10empty_typeEEEZZNS1_27merge_sort_block_merge_implIS3_PsPS5_jNS1_19radix_merge_compareILb1ELb1EsNS0_19identity_decomposerEEEEE10hipError_tT0_T1_T2_jT3_P12ihipStream_tbPNSt15iterator_traitsISE_E10value_typeEPNSK_ISF_E10value_typeEPSG_NS1_7vsmem_tEENKUlT_SE_SF_SG_E_clIS8_S8_S9_S9_EESD_ST_SE_SF_SG_EUlST_E0_NS1_11comp_targetILNS1_3genE5ELNS1_11target_archE942ELNS1_3gpuE9ELNS1_3repE0EEENS1_38merge_mergepath_config_static_selectorELNS0_4arch9wavefront6targetE1EEEvSF_
    .private_segment_fixed_size: 0
    .sgpr_count:     4
    .sgpr_spill_count: 0
    .symbol:         _ZN7rocprim17ROCPRIM_400000_NS6detail17trampoline_kernelINS0_14default_configENS1_38merge_sort_block_merge_config_selectorIsNS0_10empty_typeEEEZZNS1_27merge_sort_block_merge_implIS3_PsPS5_jNS1_19radix_merge_compareILb1ELb1EsNS0_19identity_decomposerEEEEE10hipError_tT0_T1_T2_jT3_P12ihipStream_tbPNSt15iterator_traitsISE_E10value_typeEPNSK_ISF_E10value_typeEPSG_NS1_7vsmem_tEENKUlT_SE_SF_SG_E_clIS8_S8_S9_S9_EESD_ST_SE_SF_SG_EUlST_E0_NS1_11comp_targetILNS1_3genE5ELNS1_11target_archE942ELNS1_3gpuE9ELNS1_3repE0EEENS1_38merge_mergepath_config_static_selectorELNS0_4arch9wavefront6targetE1EEEvSF_.kd
    .uniform_work_group_size: 1
    .uses_dynamic_stack: false
    .vgpr_count:     0
    .vgpr_spill_count: 0
    .wavefront_size: 64
  - .agpr_count:     0
    .args:
      - .offset:         0
        .size:           64
        .value_kind:     by_value
      - .offset:         64
        .size:           4
        .value_kind:     hidden_block_count_x
      - .offset:         68
        .size:           4
        .value_kind:     hidden_block_count_y
      - .offset:         72
        .size:           4
        .value_kind:     hidden_block_count_z
      - .offset:         76
        .size:           2
        .value_kind:     hidden_group_size_x
      - .offset:         78
        .size:           2
        .value_kind:     hidden_group_size_y
      - .offset:         80
        .size:           2
        .value_kind:     hidden_group_size_z
      - .offset:         82
        .size:           2
        .value_kind:     hidden_remainder_x
      - .offset:         84
        .size:           2
        .value_kind:     hidden_remainder_y
      - .offset:         86
        .size:           2
        .value_kind:     hidden_remainder_z
      - .offset:         104
        .size:           8
        .value_kind:     hidden_global_offset_x
      - .offset:         112
        .size:           8
        .value_kind:     hidden_global_offset_y
      - .offset:         120
        .size:           8
        .value_kind:     hidden_global_offset_z
      - .offset:         128
        .size:           2
        .value_kind:     hidden_grid_dims
    .group_segment_fixed_size: 2112
    .kernarg_segment_align: 8
    .kernarg_segment_size: 320
    .language:       OpenCL C
    .language_version:
      - 2
      - 0
    .max_flat_workgroup_size: 128
    .name:           _ZN7rocprim17ROCPRIM_400000_NS6detail17trampoline_kernelINS0_14default_configENS1_38merge_sort_block_merge_config_selectorIsNS0_10empty_typeEEEZZNS1_27merge_sort_block_merge_implIS3_PsPS5_jNS1_19radix_merge_compareILb1ELb1EsNS0_19identity_decomposerEEEEE10hipError_tT0_T1_T2_jT3_P12ihipStream_tbPNSt15iterator_traitsISE_E10value_typeEPNSK_ISF_E10value_typeEPSG_NS1_7vsmem_tEENKUlT_SE_SF_SG_E_clIS8_S8_S9_S9_EESD_ST_SE_SF_SG_EUlST_E0_NS1_11comp_targetILNS1_3genE4ELNS1_11target_archE910ELNS1_3gpuE8ELNS1_3repE0EEENS1_38merge_mergepath_config_static_selectorELNS0_4arch9wavefront6targetE1EEEvSF_
    .private_segment_fixed_size: 0
    .sgpr_count:     29
    .sgpr_spill_count: 0
    .symbol:         _ZN7rocprim17ROCPRIM_400000_NS6detail17trampoline_kernelINS0_14default_configENS1_38merge_sort_block_merge_config_selectorIsNS0_10empty_typeEEEZZNS1_27merge_sort_block_merge_implIS3_PsPS5_jNS1_19radix_merge_compareILb1ELb1EsNS0_19identity_decomposerEEEEE10hipError_tT0_T1_T2_jT3_P12ihipStream_tbPNSt15iterator_traitsISE_E10value_typeEPNSK_ISF_E10value_typeEPSG_NS1_7vsmem_tEENKUlT_SE_SF_SG_E_clIS8_S8_S9_S9_EESD_ST_SE_SF_SG_EUlST_E0_NS1_11comp_targetILNS1_3genE4ELNS1_11target_archE910ELNS1_3gpuE8ELNS1_3repE0EEENS1_38merge_mergepath_config_static_selectorELNS0_4arch9wavefront6targetE1EEEvSF_.kd
    .uniform_work_group_size: 1
    .uses_dynamic_stack: false
    .vgpr_count:     26
    .vgpr_spill_count: 0
    .wavefront_size: 64
  - .agpr_count:     0
    .args:
      - .offset:         0
        .size:           64
        .value_kind:     by_value
    .group_segment_fixed_size: 0
    .kernarg_segment_align: 8
    .kernarg_segment_size: 64
    .language:       OpenCL C
    .language_version:
      - 2
      - 0
    .max_flat_workgroup_size: 128
    .name:           _ZN7rocprim17ROCPRIM_400000_NS6detail17trampoline_kernelINS0_14default_configENS1_38merge_sort_block_merge_config_selectorIsNS0_10empty_typeEEEZZNS1_27merge_sort_block_merge_implIS3_PsPS5_jNS1_19radix_merge_compareILb1ELb1EsNS0_19identity_decomposerEEEEE10hipError_tT0_T1_T2_jT3_P12ihipStream_tbPNSt15iterator_traitsISE_E10value_typeEPNSK_ISF_E10value_typeEPSG_NS1_7vsmem_tEENKUlT_SE_SF_SG_E_clIS8_S8_S9_S9_EESD_ST_SE_SF_SG_EUlST_E0_NS1_11comp_targetILNS1_3genE3ELNS1_11target_archE908ELNS1_3gpuE7ELNS1_3repE0EEENS1_38merge_mergepath_config_static_selectorELNS0_4arch9wavefront6targetE1EEEvSF_
    .private_segment_fixed_size: 0
    .sgpr_count:     4
    .sgpr_spill_count: 0
    .symbol:         _ZN7rocprim17ROCPRIM_400000_NS6detail17trampoline_kernelINS0_14default_configENS1_38merge_sort_block_merge_config_selectorIsNS0_10empty_typeEEEZZNS1_27merge_sort_block_merge_implIS3_PsPS5_jNS1_19radix_merge_compareILb1ELb1EsNS0_19identity_decomposerEEEEE10hipError_tT0_T1_T2_jT3_P12ihipStream_tbPNSt15iterator_traitsISE_E10value_typeEPNSK_ISF_E10value_typeEPSG_NS1_7vsmem_tEENKUlT_SE_SF_SG_E_clIS8_S8_S9_S9_EESD_ST_SE_SF_SG_EUlST_E0_NS1_11comp_targetILNS1_3genE3ELNS1_11target_archE908ELNS1_3gpuE7ELNS1_3repE0EEENS1_38merge_mergepath_config_static_selectorELNS0_4arch9wavefront6targetE1EEEvSF_.kd
    .uniform_work_group_size: 1
    .uses_dynamic_stack: false
    .vgpr_count:     0
    .vgpr_spill_count: 0
    .wavefront_size: 64
  - .agpr_count:     0
    .args:
      - .offset:         0
        .size:           64
        .value_kind:     by_value
    .group_segment_fixed_size: 0
    .kernarg_segment_align: 8
    .kernarg_segment_size: 64
    .language:       OpenCL C
    .language_version:
      - 2
      - 0
    .max_flat_workgroup_size: 128
    .name:           _ZN7rocprim17ROCPRIM_400000_NS6detail17trampoline_kernelINS0_14default_configENS1_38merge_sort_block_merge_config_selectorIsNS0_10empty_typeEEEZZNS1_27merge_sort_block_merge_implIS3_PsPS5_jNS1_19radix_merge_compareILb1ELb1EsNS0_19identity_decomposerEEEEE10hipError_tT0_T1_T2_jT3_P12ihipStream_tbPNSt15iterator_traitsISE_E10value_typeEPNSK_ISF_E10value_typeEPSG_NS1_7vsmem_tEENKUlT_SE_SF_SG_E_clIS8_S8_S9_S9_EESD_ST_SE_SF_SG_EUlST_E0_NS1_11comp_targetILNS1_3genE2ELNS1_11target_archE906ELNS1_3gpuE6ELNS1_3repE0EEENS1_38merge_mergepath_config_static_selectorELNS0_4arch9wavefront6targetE1EEEvSF_
    .private_segment_fixed_size: 0
    .sgpr_count:     4
    .sgpr_spill_count: 0
    .symbol:         _ZN7rocprim17ROCPRIM_400000_NS6detail17trampoline_kernelINS0_14default_configENS1_38merge_sort_block_merge_config_selectorIsNS0_10empty_typeEEEZZNS1_27merge_sort_block_merge_implIS3_PsPS5_jNS1_19radix_merge_compareILb1ELb1EsNS0_19identity_decomposerEEEEE10hipError_tT0_T1_T2_jT3_P12ihipStream_tbPNSt15iterator_traitsISE_E10value_typeEPNSK_ISF_E10value_typeEPSG_NS1_7vsmem_tEENKUlT_SE_SF_SG_E_clIS8_S8_S9_S9_EESD_ST_SE_SF_SG_EUlST_E0_NS1_11comp_targetILNS1_3genE2ELNS1_11target_archE906ELNS1_3gpuE6ELNS1_3repE0EEENS1_38merge_mergepath_config_static_selectorELNS0_4arch9wavefront6targetE1EEEvSF_.kd
    .uniform_work_group_size: 1
    .uses_dynamic_stack: false
    .vgpr_count:     0
    .vgpr_spill_count: 0
    .wavefront_size: 64
  - .agpr_count:     0
    .args:
      - .offset:         0
        .size:           64
        .value_kind:     by_value
    .group_segment_fixed_size: 0
    .kernarg_segment_align: 8
    .kernarg_segment_size: 64
    .language:       OpenCL C
    .language_version:
      - 2
      - 0
    .max_flat_workgroup_size: 128
    .name:           _ZN7rocprim17ROCPRIM_400000_NS6detail17trampoline_kernelINS0_14default_configENS1_38merge_sort_block_merge_config_selectorIsNS0_10empty_typeEEEZZNS1_27merge_sort_block_merge_implIS3_PsPS5_jNS1_19radix_merge_compareILb1ELb1EsNS0_19identity_decomposerEEEEE10hipError_tT0_T1_T2_jT3_P12ihipStream_tbPNSt15iterator_traitsISE_E10value_typeEPNSK_ISF_E10value_typeEPSG_NS1_7vsmem_tEENKUlT_SE_SF_SG_E_clIS8_S8_S9_S9_EESD_ST_SE_SF_SG_EUlST_E0_NS1_11comp_targetILNS1_3genE9ELNS1_11target_archE1100ELNS1_3gpuE3ELNS1_3repE0EEENS1_38merge_mergepath_config_static_selectorELNS0_4arch9wavefront6targetE1EEEvSF_
    .private_segment_fixed_size: 0
    .sgpr_count:     4
    .sgpr_spill_count: 0
    .symbol:         _ZN7rocprim17ROCPRIM_400000_NS6detail17trampoline_kernelINS0_14default_configENS1_38merge_sort_block_merge_config_selectorIsNS0_10empty_typeEEEZZNS1_27merge_sort_block_merge_implIS3_PsPS5_jNS1_19radix_merge_compareILb1ELb1EsNS0_19identity_decomposerEEEEE10hipError_tT0_T1_T2_jT3_P12ihipStream_tbPNSt15iterator_traitsISE_E10value_typeEPNSK_ISF_E10value_typeEPSG_NS1_7vsmem_tEENKUlT_SE_SF_SG_E_clIS8_S8_S9_S9_EESD_ST_SE_SF_SG_EUlST_E0_NS1_11comp_targetILNS1_3genE9ELNS1_11target_archE1100ELNS1_3gpuE3ELNS1_3repE0EEENS1_38merge_mergepath_config_static_selectorELNS0_4arch9wavefront6targetE1EEEvSF_.kd
    .uniform_work_group_size: 1
    .uses_dynamic_stack: false
    .vgpr_count:     0
    .vgpr_spill_count: 0
    .wavefront_size: 64
  - .agpr_count:     0
    .args:
      - .offset:         0
        .size:           64
        .value_kind:     by_value
    .group_segment_fixed_size: 0
    .kernarg_segment_align: 8
    .kernarg_segment_size: 64
    .language:       OpenCL C
    .language_version:
      - 2
      - 0
    .max_flat_workgroup_size: 128
    .name:           _ZN7rocprim17ROCPRIM_400000_NS6detail17trampoline_kernelINS0_14default_configENS1_38merge_sort_block_merge_config_selectorIsNS0_10empty_typeEEEZZNS1_27merge_sort_block_merge_implIS3_PsPS5_jNS1_19radix_merge_compareILb1ELb1EsNS0_19identity_decomposerEEEEE10hipError_tT0_T1_T2_jT3_P12ihipStream_tbPNSt15iterator_traitsISE_E10value_typeEPNSK_ISF_E10value_typeEPSG_NS1_7vsmem_tEENKUlT_SE_SF_SG_E_clIS8_S8_S9_S9_EESD_ST_SE_SF_SG_EUlST_E0_NS1_11comp_targetILNS1_3genE8ELNS1_11target_archE1030ELNS1_3gpuE2ELNS1_3repE0EEENS1_38merge_mergepath_config_static_selectorELNS0_4arch9wavefront6targetE1EEEvSF_
    .private_segment_fixed_size: 0
    .sgpr_count:     4
    .sgpr_spill_count: 0
    .symbol:         _ZN7rocprim17ROCPRIM_400000_NS6detail17trampoline_kernelINS0_14default_configENS1_38merge_sort_block_merge_config_selectorIsNS0_10empty_typeEEEZZNS1_27merge_sort_block_merge_implIS3_PsPS5_jNS1_19radix_merge_compareILb1ELb1EsNS0_19identity_decomposerEEEEE10hipError_tT0_T1_T2_jT3_P12ihipStream_tbPNSt15iterator_traitsISE_E10value_typeEPNSK_ISF_E10value_typeEPSG_NS1_7vsmem_tEENKUlT_SE_SF_SG_E_clIS8_S8_S9_S9_EESD_ST_SE_SF_SG_EUlST_E0_NS1_11comp_targetILNS1_3genE8ELNS1_11target_archE1030ELNS1_3gpuE2ELNS1_3repE0EEENS1_38merge_mergepath_config_static_selectorELNS0_4arch9wavefront6targetE1EEEvSF_.kd
    .uniform_work_group_size: 1
    .uses_dynamic_stack: false
    .vgpr_count:     0
    .vgpr_spill_count: 0
    .wavefront_size: 64
  - .agpr_count:     0
    .args:
      - .offset:         0
        .size:           48
        .value_kind:     by_value
    .group_segment_fixed_size: 0
    .kernarg_segment_align: 8
    .kernarg_segment_size: 48
    .language:       OpenCL C
    .language_version:
      - 2
      - 0
    .max_flat_workgroup_size: 256
    .name:           _ZN7rocprim17ROCPRIM_400000_NS6detail17trampoline_kernelINS0_14default_configENS1_38merge_sort_block_merge_config_selectorIsNS0_10empty_typeEEEZZNS1_27merge_sort_block_merge_implIS3_PsPS5_jNS1_19radix_merge_compareILb1ELb1EsNS0_19identity_decomposerEEEEE10hipError_tT0_T1_T2_jT3_P12ihipStream_tbPNSt15iterator_traitsISE_E10value_typeEPNSK_ISF_E10value_typeEPSG_NS1_7vsmem_tEENKUlT_SE_SF_SG_E_clIS8_S8_S9_S9_EESD_ST_SE_SF_SG_EUlST_E1_NS1_11comp_targetILNS1_3genE0ELNS1_11target_archE4294967295ELNS1_3gpuE0ELNS1_3repE0EEENS1_36merge_oddeven_config_static_selectorELNS0_4arch9wavefront6targetE1EEEvSF_
    .private_segment_fixed_size: 0
    .sgpr_count:     4
    .sgpr_spill_count: 0
    .symbol:         _ZN7rocprim17ROCPRIM_400000_NS6detail17trampoline_kernelINS0_14default_configENS1_38merge_sort_block_merge_config_selectorIsNS0_10empty_typeEEEZZNS1_27merge_sort_block_merge_implIS3_PsPS5_jNS1_19radix_merge_compareILb1ELb1EsNS0_19identity_decomposerEEEEE10hipError_tT0_T1_T2_jT3_P12ihipStream_tbPNSt15iterator_traitsISE_E10value_typeEPNSK_ISF_E10value_typeEPSG_NS1_7vsmem_tEENKUlT_SE_SF_SG_E_clIS8_S8_S9_S9_EESD_ST_SE_SF_SG_EUlST_E1_NS1_11comp_targetILNS1_3genE0ELNS1_11target_archE4294967295ELNS1_3gpuE0ELNS1_3repE0EEENS1_36merge_oddeven_config_static_selectorELNS0_4arch9wavefront6targetE1EEEvSF_.kd
    .uniform_work_group_size: 1
    .uses_dynamic_stack: false
    .vgpr_count:     0
    .vgpr_spill_count: 0
    .wavefront_size: 64
  - .agpr_count:     0
    .args:
      - .offset:         0
        .size:           48
        .value_kind:     by_value
    .group_segment_fixed_size: 0
    .kernarg_segment_align: 8
    .kernarg_segment_size: 48
    .language:       OpenCL C
    .language_version:
      - 2
      - 0
    .max_flat_workgroup_size: 256
    .name:           _ZN7rocprim17ROCPRIM_400000_NS6detail17trampoline_kernelINS0_14default_configENS1_38merge_sort_block_merge_config_selectorIsNS0_10empty_typeEEEZZNS1_27merge_sort_block_merge_implIS3_PsPS5_jNS1_19radix_merge_compareILb1ELb1EsNS0_19identity_decomposerEEEEE10hipError_tT0_T1_T2_jT3_P12ihipStream_tbPNSt15iterator_traitsISE_E10value_typeEPNSK_ISF_E10value_typeEPSG_NS1_7vsmem_tEENKUlT_SE_SF_SG_E_clIS8_S8_S9_S9_EESD_ST_SE_SF_SG_EUlST_E1_NS1_11comp_targetILNS1_3genE10ELNS1_11target_archE1201ELNS1_3gpuE5ELNS1_3repE0EEENS1_36merge_oddeven_config_static_selectorELNS0_4arch9wavefront6targetE1EEEvSF_
    .private_segment_fixed_size: 0
    .sgpr_count:     4
    .sgpr_spill_count: 0
    .symbol:         _ZN7rocprim17ROCPRIM_400000_NS6detail17trampoline_kernelINS0_14default_configENS1_38merge_sort_block_merge_config_selectorIsNS0_10empty_typeEEEZZNS1_27merge_sort_block_merge_implIS3_PsPS5_jNS1_19radix_merge_compareILb1ELb1EsNS0_19identity_decomposerEEEEE10hipError_tT0_T1_T2_jT3_P12ihipStream_tbPNSt15iterator_traitsISE_E10value_typeEPNSK_ISF_E10value_typeEPSG_NS1_7vsmem_tEENKUlT_SE_SF_SG_E_clIS8_S8_S9_S9_EESD_ST_SE_SF_SG_EUlST_E1_NS1_11comp_targetILNS1_3genE10ELNS1_11target_archE1201ELNS1_3gpuE5ELNS1_3repE0EEENS1_36merge_oddeven_config_static_selectorELNS0_4arch9wavefront6targetE1EEEvSF_.kd
    .uniform_work_group_size: 1
    .uses_dynamic_stack: false
    .vgpr_count:     0
    .vgpr_spill_count: 0
    .wavefront_size: 64
  - .agpr_count:     0
    .args:
      - .offset:         0
        .size:           48
        .value_kind:     by_value
    .group_segment_fixed_size: 0
    .kernarg_segment_align: 8
    .kernarg_segment_size: 48
    .language:       OpenCL C
    .language_version:
      - 2
      - 0
    .max_flat_workgroup_size: 256
    .name:           _ZN7rocprim17ROCPRIM_400000_NS6detail17trampoline_kernelINS0_14default_configENS1_38merge_sort_block_merge_config_selectorIsNS0_10empty_typeEEEZZNS1_27merge_sort_block_merge_implIS3_PsPS5_jNS1_19radix_merge_compareILb1ELb1EsNS0_19identity_decomposerEEEEE10hipError_tT0_T1_T2_jT3_P12ihipStream_tbPNSt15iterator_traitsISE_E10value_typeEPNSK_ISF_E10value_typeEPSG_NS1_7vsmem_tEENKUlT_SE_SF_SG_E_clIS8_S8_S9_S9_EESD_ST_SE_SF_SG_EUlST_E1_NS1_11comp_targetILNS1_3genE5ELNS1_11target_archE942ELNS1_3gpuE9ELNS1_3repE0EEENS1_36merge_oddeven_config_static_selectorELNS0_4arch9wavefront6targetE1EEEvSF_
    .private_segment_fixed_size: 0
    .sgpr_count:     4
    .sgpr_spill_count: 0
    .symbol:         _ZN7rocprim17ROCPRIM_400000_NS6detail17trampoline_kernelINS0_14default_configENS1_38merge_sort_block_merge_config_selectorIsNS0_10empty_typeEEEZZNS1_27merge_sort_block_merge_implIS3_PsPS5_jNS1_19radix_merge_compareILb1ELb1EsNS0_19identity_decomposerEEEEE10hipError_tT0_T1_T2_jT3_P12ihipStream_tbPNSt15iterator_traitsISE_E10value_typeEPNSK_ISF_E10value_typeEPSG_NS1_7vsmem_tEENKUlT_SE_SF_SG_E_clIS8_S8_S9_S9_EESD_ST_SE_SF_SG_EUlST_E1_NS1_11comp_targetILNS1_3genE5ELNS1_11target_archE942ELNS1_3gpuE9ELNS1_3repE0EEENS1_36merge_oddeven_config_static_selectorELNS0_4arch9wavefront6targetE1EEEvSF_.kd
    .uniform_work_group_size: 1
    .uses_dynamic_stack: false
    .vgpr_count:     0
    .vgpr_spill_count: 0
    .wavefront_size: 64
  - .agpr_count:     0
    .args:
      - .offset:         0
        .size:           48
        .value_kind:     by_value
    .group_segment_fixed_size: 0
    .kernarg_segment_align: 8
    .kernarg_segment_size: 48
    .language:       OpenCL C
    .language_version:
      - 2
      - 0
    .max_flat_workgroup_size: 256
    .name:           _ZN7rocprim17ROCPRIM_400000_NS6detail17trampoline_kernelINS0_14default_configENS1_38merge_sort_block_merge_config_selectorIsNS0_10empty_typeEEEZZNS1_27merge_sort_block_merge_implIS3_PsPS5_jNS1_19radix_merge_compareILb1ELb1EsNS0_19identity_decomposerEEEEE10hipError_tT0_T1_T2_jT3_P12ihipStream_tbPNSt15iterator_traitsISE_E10value_typeEPNSK_ISF_E10value_typeEPSG_NS1_7vsmem_tEENKUlT_SE_SF_SG_E_clIS8_S8_S9_S9_EESD_ST_SE_SF_SG_EUlST_E1_NS1_11comp_targetILNS1_3genE4ELNS1_11target_archE910ELNS1_3gpuE8ELNS1_3repE0EEENS1_36merge_oddeven_config_static_selectorELNS0_4arch9wavefront6targetE1EEEvSF_
    .private_segment_fixed_size: 0
    .sgpr_count:     25
    .sgpr_spill_count: 0
    .symbol:         _ZN7rocprim17ROCPRIM_400000_NS6detail17trampoline_kernelINS0_14default_configENS1_38merge_sort_block_merge_config_selectorIsNS0_10empty_typeEEEZZNS1_27merge_sort_block_merge_implIS3_PsPS5_jNS1_19radix_merge_compareILb1ELb1EsNS0_19identity_decomposerEEEEE10hipError_tT0_T1_T2_jT3_P12ihipStream_tbPNSt15iterator_traitsISE_E10value_typeEPNSK_ISF_E10value_typeEPSG_NS1_7vsmem_tEENKUlT_SE_SF_SG_E_clIS8_S8_S9_S9_EESD_ST_SE_SF_SG_EUlST_E1_NS1_11comp_targetILNS1_3genE4ELNS1_11target_archE910ELNS1_3gpuE8ELNS1_3repE0EEENS1_36merge_oddeven_config_static_selectorELNS0_4arch9wavefront6targetE1EEEvSF_.kd
    .uniform_work_group_size: 1
    .uses_dynamic_stack: false
    .vgpr_count:     9
    .vgpr_spill_count: 0
    .wavefront_size: 64
  - .agpr_count:     0
    .args:
      - .offset:         0
        .size:           48
        .value_kind:     by_value
    .group_segment_fixed_size: 0
    .kernarg_segment_align: 8
    .kernarg_segment_size: 48
    .language:       OpenCL C
    .language_version:
      - 2
      - 0
    .max_flat_workgroup_size: 256
    .name:           _ZN7rocprim17ROCPRIM_400000_NS6detail17trampoline_kernelINS0_14default_configENS1_38merge_sort_block_merge_config_selectorIsNS0_10empty_typeEEEZZNS1_27merge_sort_block_merge_implIS3_PsPS5_jNS1_19radix_merge_compareILb1ELb1EsNS0_19identity_decomposerEEEEE10hipError_tT0_T1_T2_jT3_P12ihipStream_tbPNSt15iterator_traitsISE_E10value_typeEPNSK_ISF_E10value_typeEPSG_NS1_7vsmem_tEENKUlT_SE_SF_SG_E_clIS8_S8_S9_S9_EESD_ST_SE_SF_SG_EUlST_E1_NS1_11comp_targetILNS1_3genE3ELNS1_11target_archE908ELNS1_3gpuE7ELNS1_3repE0EEENS1_36merge_oddeven_config_static_selectorELNS0_4arch9wavefront6targetE1EEEvSF_
    .private_segment_fixed_size: 0
    .sgpr_count:     4
    .sgpr_spill_count: 0
    .symbol:         _ZN7rocprim17ROCPRIM_400000_NS6detail17trampoline_kernelINS0_14default_configENS1_38merge_sort_block_merge_config_selectorIsNS0_10empty_typeEEEZZNS1_27merge_sort_block_merge_implIS3_PsPS5_jNS1_19radix_merge_compareILb1ELb1EsNS0_19identity_decomposerEEEEE10hipError_tT0_T1_T2_jT3_P12ihipStream_tbPNSt15iterator_traitsISE_E10value_typeEPNSK_ISF_E10value_typeEPSG_NS1_7vsmem_tEENKUlT_SE_SF_SG_E_clIS8_S8_S9_S9_EESD_ST_SE_SF_SG_EUlST_E1_NS1_11comp_targetILNS1_3genE3ELNS1_11target_archE908ELNS1_3gpuE7ELNS1_3repE0EEENS1_36merge_oddeven_config_static_selectorELNS0_4arch9wavefront6targetE1EEEvSF_.kd
    .uniform_work_group_size: 1
    .uses_dynamic_stack: false
    .vgpr_count:     0
    .vgpr_spill_count: 0
    .wavefront_size: 64
  - .agpr_count:     0
    .args:
      - .offset:         0
        .size:           48
        .value_kind:     by_value
    .group_segment_fixed_size: 0
    .kernarg_segment_align: 8
    .kernarg_segment_size: 48
    .language:       OpenCL C
    .language_version:
      - 2
      - 0
    .max_flat_workgroup_size: 256
    .name:           _ZN7rocprim17ROCPRIM_400000_NS6detail17trampoline_kernelINS0_14default_configENS1_38merge_sort_block_merge_config_selectorIsNS0_10empty_typeEEEZZNS1_27merge_sort_block_merge_implIS3_PsPS5_jNS1_19radix_merge_compareILb1ELb1EsNS0_19identity_decomposerEEEEE10hipError_tT0_T1_T2_jT3_P12ihipStream_tbPNSt15iterator_traitsISE_E10value_typeEPNSK_ISF_E10value_typeEPSG_NS1_7vsmem_tEENKUlT_SE_SF_SG_E_clIS8_S8_S9_S9_EESD_ST_SE_SF_SG_EUlST_E1_NS1_11comp_targetILNS1_3genE2ELNS1_11target_archE906ELNS1_3gpuE6ELNS1_3repE0EEENS1_36merge_oddeven_config_static_selectorELNS0_4arch9wavefront6targetE1EEEvSF_
    .private_segment_fixed_size: 0
    .sgpr_count:     4
    .sgpr_spill_count: 0
    .symbol:         _ZN7rocprim17ROCPRIM_400000_NS6detail17trampoline_kernelINS0_14default_configENS1_38merge_sort_block_merge_config_selectorIsNS0_10empty_typeEEEZZNS1_27merge_sort_block_merge_implIS3_PsPS5_jNS1_19radix_merge_compareILb1ELb1EsNS0_19identity_decomposerEEEEE10hipError_tT0_T1_T2_jT3_P12ihipStream_tbPNSt15iterator_traitsISE_E10value_typeEPNSK_ISF_E10value_typeEPSG_NS1_7vsmem_tEENKUlT_SE_SF_SG_E_clIS8_S8_S9_S9_EESD_ST_SE_SF_SG_EUlST_E1_NS1_11comp_targetILNS1_3genE2ELNS1_11target_archE906ELNS1_3gpuE6ELNS1_3repE0EEENS1_36merge_oddeven_config_static_selectorELNS0_4arch9wavefront6targetE1EEEvSF_.kd
    .uniform_work_group_size: 1
    .uses_dynamic_stack: false
    .vgpr_count:     0
    .vgpr_spill_count: 0
    .wavefront_size: 64
  - .agpr_count:     0
    .args:
      - .offset:         0
        .size:           48
        .value_kind:     by_value
    .group_segment_fixed_size: 0
    .kernarg_segment_align: 8
    .kernarg_segment_size: 48
    .language:       OpenCL C
    .language_version:
      - 2
      - 0
    .max_flat_workgroup_size: 256
    .name:           _ZN7rocprim17ROCPRIM_400000_NS6detail17trampoline_kernelINS0_14default_configENS1_38merge_sort_block_merge_config_selectorIsNS0_10empty_typeEEEZZNS1_27merge_sort_block_merge_implIS3_PsPS5_jNS1_19radix_merge_compareILb1ELb1EsNS0_19identity_decomposerEEEEE10hipError_tT0_T1_T2_jT3_P12ihipStream_tbPNSt15iterator_traitsISE_E10value_typeEPNSK_ISF_E10value_typeEPSG_NS1_7vsmem_tEENKUlT_SE_SF_SG_E_clIS8_S8_S9_S9_EESD_ST_SE_SF_SG_EUlST_E1_NS1_11comp_targetILNS1_3genE9ELNS1_11target_archE1100ELNS1_3gpuE3ELNS1_3repE0EEENS1_36merge_oddeven_config_static_selectorELNS0_4arch9wavefront6targetE1EEEvSF_
    .private_segment_fixed_size: 0
    .sgpr_count:     4
    .sgpr_spill_count: 0
    .symbol:         _ZN7rocprim17ROCPRIM_400000_NS6detail17trampoline_kernelINS0_14default_configENS1_38merge_sort_block_merge_config_selectorIsNS0_10empty_typeEEEZZNS1_27merge_sort_block_merge_implIS3_PsPS5_jNS1_19radix_merge_compareILb1ELb1EsNS0_19identity_decomposerEEEEE10hipError_tT0_T1_T2_jT3_P12ihipStream_tbPNSt15iterator_traitsISE_E10value_typeEPNSK_ISF_E10value_typeEPSG_NS1_7vsmem_tEENKUlT_SE_SF_SG_E_clIS8_S8_S9_S9_EESD_ST_SE_SF_SG_EUlST_E1_NS1_11comp_targetILNS1_3genE9ELNS1_11target_archE1100ELNS1_3gpuE3ELNS1_3repE0EEENS1_36merge_oddeven_config_static_selectorELNS0_4arch9wavefront6targetE1EEEvSF_.kd
    .uniform_work_group_size: 1
    .uses_dynamic_stack: false
    .vgpr_count:     0
    .vgpr_spill_count: 0
    .wavefront_size: 64
  - .agpr_count:     0
    .args:
      - .offset:         0
        .size:           48
        .value_kind:     by_value
    .group_segment_fixed_size: 0
    .kernarg_segment_align: 8
    .kernarg_segment_size: 48
    .language:       OpenCL C
    .language_version:
      - 2
      - 0
    .max_flat_workgroup_size: 256
    .name:           _ZN7rocprim17ROCPRIM_400000_NS6detail17trampoline_kernelINS0_14default_configENS1_38merge_sort_block_merge_config_selectorIsNS0_10empty_typeEEEZZNS1_27merge_sort_block_merge_implIS3_PsPS5_jNS1_19radix_merge_compareILb1ELb1EsNS0_19identity_decomposerEEEEE10hipError_tT0_T1_T2_jT3_P12ihipStream_tbPNSt15iterator_traitsISE_E10value_typeEPNSK_ISF_E10value_typeEPSG_NS1_7vsmem_tEENKUlT_SE_SF_SG_E_clIS8_S8_S9_S9_EESD_ST_SE_SF_SG_EUlST_E1_NS1_11comp_targetILNS1_3genE8ELNS1_11target_archE1030ELNS1_3gpuE2ELNS1_3repE0EEENS1_36merge_oddeven_config_static_selectorELNS0_4arch9wavefront6targetE1EEEvSF_
    .private_segment_fixed_size: 0
    .sgpr_count:     4
    .sgpr_spill_count: 0
    .symbol:         _ZN7rocprim17ROCPRIM_400000_NS6detail17trampoline_kernelINS0_14default_configENS1_38merge_sort_block_merge_config_selectorIsNS0_10empty_typeEEEZZNS1_27merge_sort_block_merge_implIS3_PsPS5_jNS1_19radix_merge_compareILb1ELb1EsNS0_19identity_decomposerEEEEE10hipError_tT0_T1_T2_jT3_P12ihipStream_tbPNSt15iterator_traitsISE_E10value_typeEPNSK_ISF_E10value_typeEPSG_NS1_7vsmem_tEENKUlT_SE_SF_SG_E_clIS8_S8_S9_S9_EESD_ST_SE_SF_SG_EUlST_E1_NS1_11comp_targetILNS1_3genE8ELNS1_11target_archE1030ELNS1_3gpuE2ELNS1_3repE0EEENS1_36merge_oddeven_config_static_selectorELNS0_4arch9wavefront6targetE1EEEvSF_.kd
    .uniform_work_group_size: 1
    .uses_dynamic_stack: false
    .vgpr_count:     0
    .vgpr_spill_count: 0
    .wavefront_size: 64
  - .agpr_count:     0
    .args:
      - .offset:         0
        .size:           48
        .value_kind:     by_value
    .group_segment_fixed_size: 0
    .kernarg_segment_align: 8
    .kernarg_segment_size: 48
    .language:       OpenCL C
    .language_version:
      - 2
      - 0
    .max_flat_workgroup_size: 512
    .name:           _ZN7rocprim17ROCPRIM_400000_NS6detail17trampoline_kernelINS0_14default_configENS1_35radix_sort_onesweep_config_selectorIsNS0_10empty_typeEEEZNS1_34radix_sort_onesweep_global_offsetsIS3_Lb1EPsPS5_mNS0_19identity_decomposerEEE10hipError_tT1_T2_PT3_SE_jT4_jjP12ihipStream_tbEUlT_E_NS1_11comp_targetILNS1_3genE0ELNS1_11target_archE4294967295ELNS1_3gpuE0ELNS1_3repE0EEENS1_52radix_sort_onesweep_histogram_config_static_selectorELNS0_4arch9wavefront6targetE1EEEvSC_
    .private_segment_fixed_size: 0
    .sgpr_count:     4
    .sgpr_spill_count: 0
    .symbol:         _ZN7rocprim17ROCPRIM_400000_NS6detail17trampoline_kernelINS0_14default_configENS1_35radix_sort_onesweep_config_selectorIsNS0_10empty_typeEEEZNS1_34radix_sort_onesweep_global_offsetsIS3_Lb1EPsPS5_mNS0_19identity_decomposerEEE10hipError_tT1_T2_PT3_SE_jT4_jjP12ihipStream_tbEUlT_E_NS1_11comp_targetILNS1_3genE0ELNS1_11target_archE4294967295ELNS1_3gpuE0ELNS1_3repE0EEENS1_52radix_sort_onesweep_histogram_config_static_selectorELNS0_4arch9wavefront6targetE1EEEvSC_.kd
    .uniform_work_group_size: 1
    .uses_dynamic_stack: false
    .vgpr_count:     0
    .vgpr_spill_count: 0
    .wavefront_size: 64
  - .agpr_count:     0
    .args:
      - .offset:         0
        .size:           48
        .value_kind:     by_value
    .group_segment_fixed_size: 0
    .kernarg_segment_align: 8
    .kernarg_segment_size: 48
    .language:       OpenCL C
    .language_version:
      - 2
      - 0
    .max_flat_workgroup_size: 1024
    .name:           _ZN7rocprim17ROCPRIM_400000_NS6detail17trampoline_kernelINS0_14default_configENS1_35radix_sort_onesweep_config_selectorIsNS0_10empty_typeEEEZNS1_34radix_sort_onesweep_global_offsetsIS3_Lb1EPsPS5_mNS0_19identity_decomposerEEE10hipError_tT1_T2_PT3_SE_jT4_jjP12ihipStream_tbEUlT_E_NS1_11comp_targetILNS1_3genE6ELNS1_11target_archE950ELNS1_3gpuE13ELNS1_3repE0EEENS1_52radix_sort_onesweep_histogram_config_static_selectorELNS0_4arch9wavefront6targetE1EEEvSC_
    .private_segment_fixed_size: 0
    .sgpr_count:     4
    .sgpr_spill_count: 0
    .symbol:         _ZN7rocprim17ROCPRIM_400000_NS6detail17trampoline_kernelINS0_14default_configENS1_35radix_sort_onesweep_config_selectorIsNS0_10empty_typeEEEZNS1_34radix_sort_onesweep_global_offsetsIS3_Lb1EPsPS5_mNS0_19identity_decomposerEEE10hipError_tT1_T2_PT3_SE_jT4_jjP12ihipStream_tbEUlT_E_NS1_11comp_targetILNS1_3genE6ELNS1_11target_archE950ELNS1_3gpuE13ELNS1_3repE0EEENS1_52radix_sort_onesweep_histogram_config_static_selectorELNS0_4arch9wavefront6targetE1EEEvSC_.kd
    .uniform_work_group_size: 1
    .uses_dynamic_stack: false
    .vgpr_count:     0
    .vgpr_spill_count: 0
    .wavefront_size: 64
  - .agpr_count:     0
    .args:
      - .offset:         0
        .size:           48
        .value_kind:     by_value
    .group_segment_fixed_size: 0
    .kernarg_segment_align: 8
    .kernarg_segment_size: 48
    .language:       OpenCL C
    .language_version:
      - 2
      - 0
    .max_flat_workgroup_size: 1024
    .name:           _ZN7rocprim17ROCPRIM_400000_NS6detail17trampoline_kernelINS0_14default_configENS1_35radix_sort_onesweep_config_selectorIsNS0_10empty_typeEEEZNS1_34radix_sort_onesweep_global_offsetsIS3_Lb1EPsPS5_mNS0_19identity_decomposerEEE10hipError_tT1_T2_PT3_SE_jT4_jjP12ihipStream_tbEUlT_E_NS1_11comp_targetILNS1_3genE5ELNS1_11target_archE942ELNS1_3gpuE9ELNS1_3repE0EEENS1_52radix_sort_onesweep_histogram_config_static_selectorELNS0_4arch9wavefront6targetE1EEEvSC_
    .private_segment_fixed_size: 0
    .sgpr_count:     4
    .sgpr_spill_count: 0
    .symbol:         _ZN7rocprim17ROCPRIM_400000_NS6detail17trampoline_kernelINS0_14default_configENS1_35radix_sort_onesweep_config_selectorIsNS0_10empty_typeEEEZNS1_34radix_sort_onesweep_global_offsetsIS3_Lb1EPsPS5_mNS0_19identity_decomposerEEE10hipError_tT1_T2_PT3_SE_jT4_jjP12ihipStream_tbEUlT_E_NS1_11comp_targetILNS1_3genE5ELNS1_11target_archE942ELNS1_3gpuE9ELNS1_3repE0EEENS1_52radix_sort_onesweep_histogram_config_static_selectorELNS0_4arch9wavefront6targetE1EEEvSC_.kd
    .uniform_work_group_size: 1
    .uses_dynamic_stack: false
    .vgpr_count:     0
    .vgpr_spill_count: 0
    .wavefront_size: 64
  - .agpr_count:     0
    .args:
      - .offset:         0
        .size:           48
        .value_kind:     by_value
    .group_segment_fixed_size: 0
    .kernarg_segment_align: 8
    .kernarg_segment_size: 48
    .language:       OpenCL C
    .language_version:
      - 2
      - 0
    .max_flat_workgroup_size: 512
    .name:           _ZN7rocprim17ROCPRIM_400000_NS6detail17trampoline_kernelINS0_14default_configENS1_35radix_sort_onesweep_config_selectorIsNS0_10empty_typeEEEZNS1_34radix_sort_onesweep_global_offsetsIS3_Lb1EPsPS5_mNS0_19identity_decomposerEEE10hipError_tT1_T2_PT3_SE_jT4_jjP12ihipStream_tbEUlT_E_NS1_11comp_targetILNS1_3genE2ELNS1_11target_archE906ELNS1_3gpuE6ELNS1_3repE0EEENS1_52radix_sort_onesweep_histogram_config_static_selectorELNS0_4arch9wavefront6targetE1EEEvSC_
    .private_segment_fixed_size: 0
    .sgpr_count:     4
    .sgpr_spill_count: 0
    .symbol:         _ZN7rocprim17ROCPRIM_400000_NS6detail17trampoline_kernelINS0_14default_configENS1_35radix_sort_onesweep_config_selectorIsNS0_10empty_typeEEEZNS1_34radix_sort_onesweep_global_offsetsIS3_Lb1EPsPS5_mNS0_19identity_decomposerEEE10hipError_tT1_T2_PT3_SE_jT4_jjP12ihipStream_tbEUlT_E_NS1_11comp_targetILNS1_3genE2ELNS1_11target_archE906ELNS1_3gpuE6ELNS1_3repE0EEENS1_52radix_sort_onesweep_histogram_config_static_selectorELNS0_4arch9wavefront6targetE1EEEvSC_.kd
    .uniform_work_group_size: 1
    .uses_dynamic_stack: false
    .vgpr_count:     0
    .vgpr_spill_count: 0
    .wavefront_size: 64
  - .agpr_count:     0
    .args:
      - .offset:         0
        .size:           48
        .value_kind:     by_value
    .group_segment_fixed_size: 8192
    .kernarg_segment_align: 8
    .kernarg_segment_size: 48
    .language:       OpenCL C
    .language_version:
      - 2
      - 0
    .max_flat_workgroup_size: 1024
    .name:           _ZN7rocprim17ROCPRIM_400000_NS6detail17trampoline_kernelINS0_14default_configENS1_35radix_sort_onesweep_config_selectorIsNS0_10empty_typeEEEZNS1_34radix_sort_onesweep_global_offsetsIS3_Lb1EPsPS5_mNS0_19identity_decomposerEEE10hipError_tT1_T2_PT3_SE_jT4_jjP12ihipStream_tbEUlT_E_NS1_11comp_targetILNS1_3genE4ELNS1_11target_archE910ELNS1_3gpuE8ELNS1_3repE0EEENS1_52radix_sort_onesweep_histogram_config_static_selectorELNS0_4arch9wavefront6targetE1EEEvSC_
    .private_segment_fixed_size: 0
    .sgpr_count:     22
    .sgpr_spill_count: 0
    .symbol:         _ZN7rocprim17ROCPRIM_400000_NS6detail17trampoline_kernelINS0_14default_configENS1_35radix_sort_onesweep_config_selectorIsNS0_10empty_typeEEEZNS1_34radix_sort_onesweep_global_offsetsIS3_Lb1EPsPS5_mNS0_19identity_decomposerEEE10hipError_tT1_T2_PT3_SE_jT4_jjP12ihipStream_tbEUlT_E_NS1_11comp_targetILNS1_3genE4ELNS1_11target_archE910ELNS1_3gpuE8ELNS1_3repE0EEENS1_52radix_sort_onesweep_histogram_config_static_selectorELNS0_4arch9wavefront6targetE1EEEvSC_.kd
    .uniform_work_group_size: 1
    .uses_dynamic_stack: false
    .vgpr_count:     24
    .vgpr_spill_count: 0
    .wavefront_size: 64
  - .agpr_count:     0
    .args:
      - .offset:         0
        .size:           48
        .value_kind:     by_value
    .group_segment_fixed_size: 0
    .kernarg_segment_align: 8
    .kernarg_segment_size: 48
    .language:       OpenCL C
    .language_version:
      - 2
      - 0
    .max_flat_workgroup_size: 512
    .name:           _ZN7rocprim17ROCPRIM_400000_NS6detail17trampoline_kernelINS0_14default_configENS1_35radix_sort_onesweep_config_selectorIsNS0_10empty_typeEEEZNS1_34radix_sort_onesweep_global_offsetsIS3_Lb1EPsPS5_mNS0_19identity_decomposerEEE10hipError_tT1_T2_PT3_SE_jT4_jjP12ihipStream_tbEUlT_E_NS1_11comp_targetILNS1_3genE3ELNS1_11target_archE908ELNS1_3gpuE7ELNS1_3repE0EEENS1_52radix_sort_onesweep_histogram_config_static_selectorELNS0_4arch9wavefront6targetE1EEEvSC_
    .private_segment_fixed_size: 0
    .sgpr_count:     4
    .sgpr_spill_count: 0
    .symbol:         _ZN7rocprim17ROCPRIM_400000_NS6detail17trampoline_kernelINS0_14default_configENS1_35radix_sort_onesweep_config_selectorIsNS0_10empty_typeEEEZNS1_34radix_sort_onesweep_global_offsetsIS3_Lb1EPsPS5_mNS0_19identity_decomposerEEE10hipError_tT1_T2_PT3_SE_jT4_jjP12ihipStream_tbEUlT_E_NS1_11comp_targetILNS1_3genE3ELNS1_11target_archE908ELNS1_3gpuE7ELNS1_3repE0EEENS1_52radix_sort_onesweep_histogram_config_static_selectorELNS0_4arch9wavefront6targetE1EEEvSC_.kd
    .uniform_work_group_size: 1
    .uses_dynamic_stack: false
    .vgpr_count:     0
    .vgpr_spill_count: 0
    .wavefront_size: 64
  - .agpr_count:     0
    .args:
      - .offset:         0
        .size:           48
        .value_kind:     by_value
    .group_segment_fixed_size: 0
    .kernarg_segment_align: 8
    .kernarg_segment_size: 48
    .language:       OpenCL C
    .language_version:
      - 2
      - 0
    .max_flat_workgroup_size: 256
    .name:           _ZN7rocprim17ROCPRIM_400000_NS6detail17trampoline_kernelINS0_14default_configENS1_35radix_sort_onesweep_config_selectorIsNS0_10empty_typeEEEZNS1_34radix_sort_onesweep_global_offsetsIS3_Lb1EPsPS5_mNS0_19identity_decomposerEEE10hipError_tT1_T2_PT3_SE_jT4_jjP12ihipStream_tbEUlT_E_NS1_11comp_targetILNS1_3genE10ELNS1_11target_archE1201ELNS1_3gpuE5ELNS1_3repE0EEENS1_52radix_sort_onesweep_histogram_config_static_selectorELNS0_4arch9wavefront6targetE1EEEvSC_
    .private_segment_fixed_size: 0
    .sgpr_count:     4
    .sgpr_spill_count: 0
    .symbol:         _ZN7rocprim17ROCPRIM_400000_NS6detail17trampoline_kernelINS0_14default_configENS1_35radix_sort_onesweep_config_selectorIsNS0_10empty_typeEEEZNS1_34radix_sort_onesweep_global_offsetsIS3_Lb1EPsPS5_mNS0_19identity_decomposerEEE10hipError_tT1_T2_PT3_SE_jT4_jjP12ihipStream_tbEUlT_E_NS1_11comp_targetILNS1_3genE10ELNS1_11target_archE1201ELNS1_3gpuE5ELNS1_3repE0EEENS1_52radix_sort_onesweep_histogram_config_static_selectorELNS0_4arch9wavefront6targetE1EEEvSC_.kd
    .uniform_work_group_size: 1
    .uses_dynamic_stack: false
    .vgpr_count:     0
    .vgpr_spill_count: 0
    .wavefront_size: 64
  - .agpr_count:     0
    .args:
      - .offset:         0
        .size:           48
        .value_kind:     by_value
    .group_segment_fixed_size: 0
    .kernarg_segment_align: 8
    .kernarg_segment_size: 48
    .language:       OpenCL C
    .language_version:
      - 2
      - 0
    .max_flat_workgroup_size: 256
    .name:           _ZN7rocprim17ROCPRIM_400000_NS6detail17trampoline_kernelINS0_14default_configENS1_35radix_sort_onesweep_config_selectorIsNS0_10empty_typeEEEZNS1_34radix_sort_onesweep_global_offsetsIS3_Lb1EPsPS5_mNS0_19identity_decomposerEEE10hipError_tT1_T2_PT3_SE_jT4_jjP12ihipStream_tbEUlT_E_NS1_11comp_targetILNS1_3genE9ELNS1_11target_archE1100ELNS1_3gpuE3ELNS1_3repE0EEENS1_52radix_sort_onesweep_histogram_config_static_selectorELNS0_4arch9wavefront6targetE1EEEvSC_
    .private_segment_fixed_size: 0
    .sgpr_count:     4
    .sgpr_spill_count: 0
    .symbol:         _ZN7rocprim17ROCPRIM_400000_NS6detail17trampoline_kernelINS0_14default_configENS1_35radix_sort_onesweep_config_selectorIsNS0_10empty_typeEEEZNS1_34radix_sort_onesweep_global_offsetsIS3_Lb1EPsPS5_mNS0_19identity_decomposerEEE10hipError_tT1_T2_PT3_SE_jT4_jjP12ihipStream_tbEUlT_E_NS1_11comp_targetILNS1_3genE9ELNS1_11target_archE1100ELNS1_3gpuE3ELNS1_3repE0EEENS1_52radix_sort_onesweep_histogram_config_static_selectorELNS0_4arch9wavefront6targetE1EEEvSC_.kd
    .uniform_work_group_size: 1
    .uses_dynamic_stack: false
    .vgpr_count:     0
    .vgpr_spill_count: 0
    .wavefront_size: 64
  - .agpr_count:     0
    .args:
      - .offset:         0
        .size:           48
        .value_kind:     by_value
    .group_segment_fixed_size: 0
    .kernarg_segment_align: 8
    .kernarg_segment_size: 48
    .language:       OpenCL C
    .language_version:
      - 2
      - 0
    .max_flat_workgroup_size: 256
    .name:           _ZN7rocprim17ROCPRIM_400000_NS6detail17trampoline_kernelINS0_14default_configENS1_35radix_sort_onesweep_config_selectorIsNS0_10empty_typeEEEZNS1_34radix_sort_onesweep_global_offsetsIS3_Lb1EPsPS5_mNS0_19identity_decomposerEEE10hipError_tT1_T2_PT3_SE_jT4_jjP12ihipStream_tbEUlT_E_NS1_11comp_targetILNS1_3genE8ELNS1_11target_archE1030ELNS1_3gpuE2ELNS1_3repE0EEENS1_52radix_sort_onesweep_histogram_config_static_selectorELNS0_4arch9wavefront6targetE1EEEvSC_
    .private_segment_fixed_size: 0
    .sgpr_count:     4
    .sgpr_spill_count: 0
    .symbol:         _ZN7rocprim17ROCPRIM_400000_NS6detail17trampoline_kernelINS0_14default_configENS1_35radix_sort_onesweep_config_selectorIsNS0_10empty_typeEEEZNS1_34radix_sort_onesweep_global_offsetsIS3_Lb1EPsPS5_mNS0_19identity_decomposerEEE10hipError_tT1_T2_PT3_SE_jT4_jjP12ihipStream_tbEUlT_E_NS1_11comp_targetILNS1_3genE8ELNS1_11target_archE1030ELNS1_3gpuE2ELNS1_3repE0EEENS1_52radix_sort_onesweep_histogram_config_static_selectorELNS0_4arch9wavefront6targetE1EEEvSC_.kd
    .uniform_work_group_size: 1
    .uses_dynamic_stack: false
    .vgpr_count:     0
    .vgpr_spill_count: 0
    .wavefront_size: 64
  - .agpr_count:     0
    .args:
      - .address_space:  global
        .offset:         0
        .size:           8
        .value_kind:     global_buffer
    .group_segment_fixed_size: 0
    .kernarg_segment_align: 8
    .kernarg_segment_size: 8
    .language:       OpenCL C
    .language_version:
      - 2
      - 0
    .max_flat_workgroup_size: 512
    .name:           _ZN7rocprim17ROCPRIM_400000_NS6detail17trampoline_kernelINS0_14default_configENS1_35radix_sort_onesweep_config_selectorIsNS0_10empty_typeEEEZNS1_34radix_sort_onesweep_global_offsetsIS3_Lb1EPsPS5_mNS0_19identity_decomposerEEE10hipError_tT1_T2_PT3_SE_jT4_jjP12ihipStream_tbEUlT_E0_NS1_11comp_targetILNS1_3genE0ELNS1_11target_archE4294967295ELNS1_3gpuE0ELNS1_3repE0EEENS1_52radix_sort_onesweep_histogram_config_static_selectorELNS0_4arch9wavefront6targetE1EEEvSC_
    .private_segment_fixed_size: 0
    .sgpr_count:     4
    .sgpr_spill_count: 0
    .symbol:         _ZN7rocprim17ROCPRIM_400000_NS6detail17trampoline_kernelINS0_14default_configENS1_35radix_sort_onesweep_config_selectorIsNS0_10empty_typeEEEZNS1_34radix_sort_onesweep_global_offsetsIS3_Lb1EPsPS5_mNS0_19identity_decomposerEEE10hipError_tT1_T2_PT3_SE_jT4_jjP12ihipStream_tbEUlT_E0_NS1_11comp_targetILNS1_3genE0ELNS1_11target_archE4294967295ELNS1_3gpuE0ELNS1_3repE0EEENS1_52radix_sort_onesweep_histogram_config_static_selectorELNS0_4arch9wavefront6targetE1EEEvSC_.kd
    .uniform_work_group_size: 1
    .uses_dynamic_stack: false
    .vgpr_count:     0
    .vgpr_spill_count: 0
    .wavefront_size: 64
  - .agpr_count:     0
    .args:
      - .address_space:  global
        .offset:         0
        .size:           8
        .value_kind:     global_buffer
    .group_segment_fixed_size: 0
    .kernarg_segment_align: 8
    .kernarg_segment_size: 8
    .language:       OpenCL C
    .language_version:
      - 2
      - 0
    .max_flat_workgroup_size: 1024
    .name:           _ZN7rocprim17ROCPRIM_400000_NS6detail17trampoline_kernelINS0_14default_configENS1_35radix_sort_onesweep_config_selectorIsNS0_10empty_typeEEEZNS1_34radix_sort_onesweep_global_offsetsIS3_Lb1EPsPS5_mNS0_19identity_decomposerEEE10hipError_tT1_T2_PT3_SE_jT4_jjP12ihipStream_tbEUlT_E0_NS1_11comp_targetILNS1_3genE6ELNS1_11target_archE950ELNS1_3gpuE13ELNS1_3repE0EEENS1_52radix_sort_onesweep_histogram_config_static_selectorELNS0_4arch9wavefront6targetE1EEEvSC_
    .private_segment_fixed_size: 0
    .sgpr_count:     4
    .sgpr_spill_count: 0
    .symbol:         _ZN7rocprim17ROCPRIM_400000_NS6detail17trampoline_kernelINS0_14default_configENS1_35radix_sort_onesweep_config_selectorIsNS0_10empty_typeEEEZNS1_34radix_sort_onesweep_global_offsetsIS3_Lb1EPsPS5_mNS0_19identity_decomposerEEE10hipError_tT1_T2_PT3_SE_jT4_jjP12ihipStream_tbEUlT_E0_NS1_11comp_targetILNS1_3genE6ELNS1_11target_archE950ELNS1_3gpuE13ELNS1_3repE0EEENS1_52radix_sort_onesweep_histogram_config_static_selectorELNS0_4arch9wavefront6targetE1EEEvSC_.kd
    .uniform_work_group_size: 1
    .uses_dynamic_stack: false
    .vgpr_count:     0
    .vgpr_spill_count: 0
    .wavefront_size: 64
  - .agpr_count:     0
    .args:
      - .address_space:  global
        .offset:         0
        .size:           8
        .value_kind:     global_buffer
    .group_segment_fixed_size: 0
    .kernarg_segment_align: 8
    .kernarg_segment_size: 8
    .language:       OpenCL C
    .language_version:
      - 2
      - 0
    .max_flat_workgroup_size: 1024
    .name:           _ZN7rocprim17ROCPRIM_400000_NS6detail17trampoline_kernelINS0_14default_configENS1_35radix_sort_onesweep_config_selectorIsNS0_10empty_typeEEEZNS1_34radix_sort_onesweep_global_offsetsIS3_Lb1EPsPS5_mNS0_19identity_decomposerEEE10hipError_tT1_T2_PT3_SE_jT4_jjP12ihipStream_tbEUlT_E0_NS1_11comp_targetILNS1_3genE5ELNS1_11target_archE942ELNS1_3gpuE9ELNS1_3repE0EEENS1_52radix_sort_onesweep_histogram_config_static_selectorELNS0_4arch9wavefront6targetE1EEEvSC_
    .private_segment_fixed_size: 0
    .sgpr_count:     4
    .sgpr_spill_count: 0
    .symbol:         _ZN7rocprim17ROCPRIM_400000_NS6detail17trampoline_kernelINS0_14default_configENS1_35radix_sort_onesweep_config_selectorIsNS0_10empty_typeEEEZNS1_34radix_sort_onesweep_global_offsetsIS3_Lb1EPsPS5_mNS0_19identity_decomposerEEE10hipError_tT1_T2_PT3_SE_jT4_jjP12ihipStream_tbEUlT_E0_NS1_11comp_targetILNS1_3genE5ELNS1_11target_archE942ELNS1_3gpuE9ELNS1_3repE0EEENS1_52radix_sort_onesweep_histogram_config_static_selectorELNS0_4arch9wavefront6targetE1EEEvSC_.kd
    .uniform_work_group_size: 1
    .uses_dynamic_stack: false
    .vgpr_count:     0
    .vgpr_spill_count: 0
    .wavefront_size: 64
  - .agpr_count:     0
    .args:
      - .address_space:  global
        .offset:         0
        .size:           8
        .value_kind:     global_buffer
    .group_segment_fixed_size: 0
    .kernarg_segment_align: 8
    .kernarg_segment_size: 8
    .language:       OpenCL C
    .language_version:
      - 2
      - 0
    .max_flat_workgroup_size: 512
    .name:           _ZN7rocprim17ROCPRIM_400000_NS6detail17trampoline_kernelINS0_14default_configENS1_35radix_sort_onesweep_config_selectorIsNS0_10empty_typeEEEZNS1_34radix_sort_onesweep_global_offsetsIS3_Lb1EPsPS5_mNS0_19identity_decomposerEEE10hipError_tT1_T2_PT3_SE_jT4_jjP12ihipStream_tbEUlT_E0_NS1_11comp_targetILNS1_3genE2ELNS1_11target_archE906ELNS1_3gpuE6ELNS1_3repE0EEENS1_52radix_sort_onesweep_histogram_config_static_selectorELNS0_4arch9wavefront6targetE1EEEvSC_
    .private_segment_fixed_size: 0
    .sgpr_count:     4
    .sgpr_spill_count: 0
    .symbol:         _ZN7rocprim17ROCPRIM_400000_NS6detail17trampoline_kernelINS0_14default_configENS1_35radix_sort_onesweep_config_selectorIsNS0_10empty_typeEEEZNS1_34radix_sort_onesweep_global_offsetsIS3_Lb1EPsPS5_mNS0_19identity_decomposerEEE10hipError_tT1_T2_PT3_SE_jT4_jjP12ihipStream_tbEUlT_E0_NS1_11comp_targetILNS1_3genE2ELNS1_11target_archE906ELNS1_3gpuE6ELNS1_3repE0EEENS1_52radix_sort_onesweep_histogram_config_static_selectorELNS0_4arch9wavefront6targetE1EEEvSC_.kd
    .uniform_work_group_size: 1
    .uses_dynamic_stack: false
    .vgpr_count:     0
    .vgpr_spill_count: 0
    .wavefront_size: 64
  - .agpr_count:     0
    .args:
      - .address_space:  global
        .offset:         0
        .size:           8
        .value_kind:     global_buffer
    .group_segment_fixed_size: 128
    .kernarg_segment_align: 8
    .kernarg_segment_size: 8
    .language:       OpenCL C
    .language_version:
      - 2
      - 0
    .max_flat_workgroup_size: 1024
    .name:           _ZN7rocprim17ROCPRIM_400000_NS6detail17trampoline_kernelINS0_14default_configENS1_35radix_sort_onesweep_config_selectorIsNS0_10empty_typeEEEZNS1_34radix_sort_onesweep_global_offsetsIS3_Lb1EPsPS5_mNS0_19identity_decomposerEEE10hipError_tT1_T2_PT3_SE_jT4_jjP12ihipStream_tbEUlT_E0_NS1_11comp_targetILNS1_3genE4ELNS1_11target_archE910ELNS1_3gpuE8ELNS1_3repE0EEENS1_52radix_sort_onesweep_histogram_config_static_selectorELNS0_4arch9wavefront6targetE1EEEvSC_
    .private_segment_fixed_size: 0
    .sgpr_count:     22
    .sgpr_spill_count: 0
    .symbol:         _ZN7rocprim17ROCPRIM_400000_NS6detail17trampoline_kernelINS0_14default_configENS1_35radix_sort_onesweep_config_selectorIsNS0_10empty_typeEEEZNS1_34radix_sort_onesweep_global_offsetsIS3_Lb1EPsPS5_mNS0_19identity_decomposerEEE10hipError_tT1_T2_PT3_SE_jT4_jjP12ihipStream_tbEUlT_E0_NS1_11comp_targetILNS1_3genE4ELNS1_11target_archE910ELNS1_3gpuE8ELNS1_3repE0EEENS1_52radix_sort_onesweep_histogram_config_static_selectorELNS0_4arch9wavefront6targetE1EEEvSC_.kd
    .uniform_work_group_size: 1
    .uses_dynamic_stack: false
    .vgpr_count:     13
    .vgpr_spill_count: 0
    .wavefront_size: 64
  - .agpr_count:     0
    .args:
      - .address_space:  global
        .offset:         0
        .size:           8
        .value_kind:     global_buffer
    .group_segment_fixed_size: 0
    .kernarg_segment_align: 8
    .kernarg_segment_size: 8
    .language:       OpenCL C
    .language_version:
      - 2
      - 0
    .max_flat_workgroup_size: 512
    .name:           _ZN7rocprim17ROCPRIM_400000_NS6detail17trampoline_kernelINS0_14default_configENS1_35radix_sort_onesweep_config_selectorIsNS0_10empty_typeEEEZNS1_34radix_sort_onesweep_global_offsetsIS3_Lb1EPsPS5_mNS0_19identity_decomposerEEE10hipError_tT1_T2_PT3_SE_jT4_jjP12ihipStream_tbEUlT_E0_NS1_11comp_targetILNS1_3genE3ELNS1_11target_archE908ELNS1_3gpuE7ELNS1_3repE0EEENS1_52radix_sort_onesweep_histogram_config_static_selectorELNS0_4arch9wavefront6targetE1EEEvSC_
    .private_segment_fixed_size: 0
    .sgpr_count:     4
    .sgpr_spill_count: 0
    .symbol:         _ZN7rocprim17ROCPRIM_400000_NS6detail17trampoline_kernelINS0_14default_configENS1_35radix_sort_onesweep_config_selectorIsNS0_10empty_typeEEEZNS1_34radix_sort_onesweep_global_offsetsIS3_Lb1EPsPS5_mNS0_19identity_decomposerEEE10hipError_tT1_T2_PT3_SE_jT4_jjP12ihipStream_tbEUlT_E0_NS1_11comp_targetILNS1_3genE3ELNS1_11target_archE908ELNS1_3gpuE7ELNS1_3repE0EEENS1_52radix_sort_onesweep_histogram_config_static_selectorELNS0_4arch9wavefront6targetE1EEEvSC_.kd
    .uniform_work_group_size: 1
    .uses_dynamic_stack: false
    .vgpr_count:     0
    .vgpr_spill_count: 0
    .wavefront_size: 64
  - .agpr_count:     0
    .args:
      - .address_space:  global
        .offset:         0
        .size:           8
        .value_kind:     global_buffer
    .group_segment_fixed_size: 0
    .kernarg_segment_align: 8
    .kernarg_segment_size: 8
    .language:       OpenCL C
    .language_version:
      - 2
      - 0
    .max_flat_workgroup_size: 256
    .name:           _ZN7rocprim17ROCPRIM_400000_NS6detail17trampoline_kernelINS0_14default_configENS1_35radix_sort_onesweep_config_selectorIsNS0_10empty_typeEEEZNS1_34radix_sort_onesweep_global_offsetsIS3_Lb1EPsPS5_mNS0_19identity_decomposerEEE10hipError_tT1_T2_PT3_SE_jT4_jjP12ihipStream_tbEUlT_E0_NS1_11comp_targetILNS1_3genE10ELNS1_11target_archE1201ELNS1_3gpuE5ELNS1_3repE0EEENS1_52radix_sort_onesweep_histogram_config_static_selectorELNS0_4arch9wavefront6targetE1EEEvSC_
    .private_segment_fixed_size: 0
    .sgpr_count:     4
    .sgpr_spill_count: 0
    .symbol:         _ZN7rocprim17ROCPRIM_400000_NS6detail17trampoline_kernelINS0_14default_configENS1_35radix_sort_onesweep_config_selectorIsNS0_10empty_typeEEEZNS1_34radix_sort_onesweep_global_offsetsIS3_Lb1EPsPS5_mNS0_19identity_decomposerEEE10hipError_tT1_T2_PT3_SE_jT4_jjP12ihipStream_tbEUlT_E0_NS1_11comp_targetILNS1_3genE10ELNS1_11target_archE1201ELNS1_3gpuE5ELNS1_3repE0EEENS1_52radix_sort_onesweep_histogram_config_static_selectorELNS0_4arch9wavefront6targetE1EEEvSC_.kd
    .uniform_work_group_size: 1
    .uses_dynamic_stack: false
    .vgpr_count:     0
    .vgpr_spill_count: 0
    .wavefront_size: 64
  - .agpr_count:     0
    .args:
      - .address_space:  global
        .offset:         0
        .size:           8
        .value_kind:     global_buffer
    .group_segment_fixed_size: 0
    .kernarg_segment_align: 8
    .kernarg_segment_size: 8
    .language:       OpenCL C
    .language_version:
      - 2
      - 0
    .max_flat_workgroup_size: 256
    .name:           _ZN7rocprim17ROCPRIM_400000_NS6detail17trampoline_kernelINS0_14default_configENS1_35radix_sort_onesweep_config_selectorIsNS0_10empty_typeEEEZNS1_34radix_sort_onesweep_global_offsetsIS3_Lb1EPsPS5_mNS0_19identity_decomposerEEE10hipError_tT1_T2_PT3_SE_jT4_jjP12ihipStream_tbEUlT_E0_NS1_11comp_targetILNS1_3genE9ELNS1_11target_archE1100ELNS1_3gpuE3ELNS1_3repE0EEENS1_52radix_sort_onesweep_histogram_config_static_selectorELNS0_4arch9wavefront6targetE1EEEvSC_
    .private_segment_fixed_size: 0
    .sgpr_count:     4
    .sgpr_spill_count: 0
    .symbol:         _ZN7rocprim17ROCPRIM_400000_NS6detail17trampoline_kernelINS0_14default_configENS1_35radix_sort_onesweep_config_selectorIsNS0_10empty_typeEEEZNS1_34radix_sort_onesweep_global_offsetsIS3_Lb1EPsPS5_mNS0_19identity_decomposerEEE10hipError_tT1_T2_PT3_SE_jT4_jjP12ihipStream_tbEUlT_E0_NS1_11comp_targetILNS1_3genE9ELNS1_11target_archE1100ELNS1_3gpuE3ELNS1_3repE0EEENS1_52radix_sort_onesweep_histogram_config_static_selectorELNS0_4arch9wavefront6targetE1EEEvSC_.kd
    .uniform_work_group_size: 1
    .uses_dynamic_stack: false
    .vgpr_count:     0
    .vgpr_spill_count: 0
    .wavefront_size: 64
  - .agpr_count:     0
    .args:
      - .address_space:  global
        .offset:         0
        .size:           8
        .value_kind:     global_buffer
    .group_segment_fixed_size: 0
    .kernarg_segment_align: 8
    .kernarg_segment_size: 8
    .language:       OpenCL C
    .language_version:
      - 2
      - 0
    .max_flat_workgroup_size: 256
    .name:           _ZN7rocprim17ROCPRIM_400000_NS6detail17trampoline_kernelINS0_14default_configENS1_35radix_sort_onesweep_config_selectorIsNS0_10empty_typeEEEZNS1_34radix_sort_onesweep_global_offsetsIS3_Lb1EPsPS5_mNS0_19identity_decomposerEEE10hipError_tT1_T2_PT3_SE_jT4_jjP12ihipStream_tbEUlT_E0_NS1_11comp_targetILNS1_3genE8ELNS1_11target_archE1030ELNS1_3gpuE2ELNS1_3repE0EEENS1_52radix_sort_onesweep_histogram_config_static_selectorELNS0_4arch9wavefront6targetE1EEEvSC_
    .private_segment_fixed_size: 0
    .sgpr_count:     4
    .sgpr_spill_count: 0
    .symbol:         _ZN7rocprim17ROCPRIM_400000_NS6detail17trampoline_kernelINS0_14default_configENS1_35radix_sort_onesweep_config_selectorIsNS0_10empty_typeEEEZNS1_34radix_sort_onesweep_global_offsetsIS3_Lb1EPsPS5_mNS0_19identity_decomposerEEE10hipError_tT1_T2_PT3_SE_jT4_jjP12ihipStream_tbEUlT_E0_NS1_11comp_targetILNS1_3genE8ELNS1_11target_archE1030ELNS1_3gpuE2ELNS1_3repE0EEENS1_52radix_sort_onesweep_histogram_config_static_selectorELNS0_4arch9wavefront6targetE1EEEvSC_.kd
    .uniform_work_group_size: 1
    .uses_dynamic_stack: false
    .vgpr_count:     0
    .vgpr_spill_count: 0
    .wavefront_size: 64
  - .agpr_count:     0
    .args:
      - .offset:         0
        .size:           88
        .value_kind:     by_value
    .group_segment_fixed_size: 0
    .kernarg_segment_align: 8
    .kernarg_segment_size: 88
    .language:       OpenCL C
    .language_version:
      - 2
      - 0
    .max_flat_workgroup_size: 512
    .name:           _ZN7rocprim17ROCPRIM_400000_NS6detail17trampoline_kernelINS0_14default_configENS1_35radix_sort_onesweep_config_selectorIsNS0_10empty_typeEEEZZNS1_29radix_sort_onesweep_iterationIS3_Lb1EPsS8_PS5_S9_mNS0_19identity_decomposerENS1_16block_id_wrapperIjLb1EEEEE10hipError_tT1_PNSt15iterator_traitsISE_E10value_typeET2_T3_PNSF_ISK_E10value_typeET4_T5_PSP_SQ_PNS1_23onesweep_lookback_stateEbbT6_jjT7_P12ihipStream_tbENKUlT_T0_SE_SJ_E_clIS8_S8_S9_S9_EEDaSX_SY_SE_SJ_EUlSX_E_NS1_11comp_targetILNS1_3genE0ELNS1_11target_archE4294967295ELNS1_3gpuE0ELNS1_3repE0EEENS1_47radix_sort_onesweep_sort_config_static_selectorELNS0_4arch9wavefront6targetE1EEEvSE_
    .private_segment_fixed_size: 0
    .sgpr_count:     4
    .sgpr_spill_count: 0
    .symbol:         _ZN7rocprim17ROCPRIM_400000_NS6detail17trampoline_kernelINS0_14default_configENS1_35radix_sort_onesweep_config_selectorIsNS0_10empty_typeEEEZZNS1_29radix_sort_onesweep_iterationIS3_Lb1EPsS8_PS5_S9_mNS0_19identity_decomposerENS1_16block_id_wrapperIjLb1EEEEE10hipError_tT1_PNSt15iterator_traitsISE_E10value_typeET2_T3_PNSF_ISK_E10value_typeET4_T5_PSP_SQ_PNS1_23onesweep_lookback_stateEbbT6_jjT7_P12ihipStream_tbENKUlT_T0_SE_SJ_E_clIS8_S8_S9_S9_EEDaSX_SY_SE_SJ_EUlSX_E_NS1_11comp_targetILNS1_3genE0ELNS1_11target_archE4294967295ELNS1_3gpuE0ELNS1_3repE0EEENS1_47radix_sort_onesweep_sort_config_static_selectorELNS0_4arch9wavefront6targetE1EEEvSE_.kd
    .uniform_work_group_size: 1
    .uses_dynamic_stack: false
    .vgpr_count:     0
    .vgpr_spill_count: 0
    .wavefront_size: 64
  - .agpr_count:     0
    .args:
      - .offset:         0
        .size:           88
        .value_kind:     by_value
    .group_segment_fixed_size: 0
    .kernarg_segment_align: 8
    .kernarg_segment_size: 88
    .language:       OpenCL C
    .language_version:
      - 2
      - 0
    .max_flat_workgroup_size: 1024
    .name:           _ZN7rocprim17ROCPRIM_400000_NS6detail17trampoline_kernelINS0_14default_configENS1_35radix_sort_onesweep_config_selectorIsNS0_10empty_typeEEEZZNS1_29radix_sort_onesweep_iterationIS3_Lb1EPsS8_PS5_S9_mNS0_19identity_decomposerENS1_16block_id_wrapperIjLb1EEEEE10hipError_tT1_PNSt15iterator_traitsISE_E10value_typeET2_T3_PNSF_ISK_E10value_typeET4_T5_PSP_SQ_PNS1_23onesweep_lookback_stateEbbT6_jjT7_P12ihipStream_tbENKUlT_T0_SE_SJ_E_clIS8_S8_S9_S9_EEDaSX_SY_SE_SJ_EUlSX_E_NS1_11comp_targetILNS1_3genE6ELNS1_11target_archE950ELNS1_3gpuE13ELNS1_3repE0EEENS1_47radix_sort_onesweep_sort_config_static_selectorELNS0_4arch9wavefront6targetE1EEEvSE_
    .private_segment_fixed_size: 0
    .sgpr_count:     4
    .sgpr_spill_count: 0
    .symbol:         _ZN7rocprim17ROCPRIM_400000_NS6detail17trampoline_kernelINS0_14default_configENS1_35radix_sort_onesweep_config_selectorIsNS0_10empty_typeEEEZZNS1_29radix_sort_onesweep_iterationIS3_Lb1EPsS8_PS5_S9_mNS0_19identity_decomposerENS1_16block_id_wrapperIjLb1EEEEE10hipError_tT1_PNSt15iterator_traitsISE_E10value_typeET2_T3_PNSF_ISK_E10value_typeET4_T5_PSP_SQ_PNS1_23onesweep_lookback_stateEbbT6_jjT7_P12ihipStream_tbENKUlT_T0_SE_SJ_E_clIS8_S8_S9_S9_EEDaSX_SY_SE_SJ_EUlSX_E_NS1_11comp_targetILNS1_3genE6ELNS1_11target_archE950ELNS1_3gpuE13ELNS1_3repE0EEENS1_47radix_sort_onesweep_sort_config_static_selectorELNS0_4arch9wavefront6targetE1EEEvSE_.kd
    .uniform_work_group_size: 1
    .uses_dynamic_stack: false
    .vgpr_count:     0
    .vgpr_spill_count: 0
    .wavefront_size: 64
  - .agpr_count:     0
    .args:
      - .offset:         0
        .size:           88
        .value_kind:     by_value
    .group_segment_fixed_size: 0
    .kernarg_segment_align: 8
    .kernarg_segment_size: 88
    .language:       OpenCL C
    .language_version:
      - 2
      - 0
    .max_flat_workgroup_size: 1024
    .name:           _ZN7rocprim17ROCPRIM_400000_NS6detail17trampoline_kernelINS0_14default_configENS1_35radix_sort_onesweep_config_selectorIsNS0_10empty_typeEEEZZNS1_29radix_sort_onesweep_iterationIS3_Lb1EPsS8_PS5_S9_mNS0_19identity_decomposerENS1_16block_id_wrapperIjLb1EEEEE10hipError_tT1_PNSt15iterator_traitsISE_E10value_typeET2_T3_PNSF_ISK_E10value_typeET4_T5_PSP_SQ_PNS1_23onesweep_lookback_stateEbbT6_jjT7_P12ihipStream_tbENKUlT_T0_SE_SJ_E_clIS8_S8_S9_S9_EEDaSX_SY_SE_SJ_EUlSX_E_NS1_11comp_targetILNS1_3genE5ELNS1_11target_archE942ELNS1_3gpuE9ELNS1_3repE0EEENS1_47radix_sort_onesweep_sort_config_static_selectorELNS0_4arch9wavefront6targetE1EEEvSE_
    .private_segment_fixed_size: 0
    .sgpr_count:     4
    .sgpr_spill_count: 0
    .symbol:         _ZN7rocprim17ROCPRIM_400000_NS6detail17trampoline_kernelINS0_14default_configENS1_35radix_sort_onesweep_config_selectorIsNS0_10empty_typeEEEZZNS1_29radix_sort_onesweep_iterationIS3_Lb1EPsS8_PS5_S9_mNS0_19identity_decomposerENS1_16block_id_wrapperIjLb1EEEEE10hipError_tT1_PNSt15iterator_traitsISE_E10value_typeET2_T3_PNSF_ISK_E10value_typeET4_T5_PSP_SQ_PNS1_23onesweep_lookback_stateEbbT6_jjT7_P12ihipStream_tbENKUlT_T0_SE_SJ_E_clIS8_S8_S9_S9_EEDaSX_SY_SE_SJ_EUlSX_E_NS1_11comp_targetILNS1_3genE5ELNS1_11target_archE942ELNS1_3gpuE9ELNS1_3repE0EEENS1_47radix_sort_onesweep_sort_config_static_selectorELNS0_4arch9wavefront6targetE1EEEvSE_.kd
    .uniform_work_group_size: 1
    .uses_dynamic_stack: false
    .vgpr_count:     0
    .vgpr_spill_count: 0
    .wavefront_size: 64
  - .agpr_count:     0
    .args:
      - .offset:         0
        .size:           88
        .value_kind:     by_value
    .group_segment_fixed_size: 0
    .kernarg_segment_align: 8
    .kernarg_segment_size: 88
    .language:       OpenCL C
    .language_version:
      - 2
      - 0
    .max_flat_workgroup_size: 512
    .name:           _ZN7rocprim17ROCPRIM_400000_NS6detail17trampoline_kernelINS0_14default_configENS1_35radix_sort_onesweep_config_selectorIsNS0_10empty_typeEEEZZNS1_29radix_sort_onesweep_iterationIS3_Lb1EPsS8_PS5_S9_mNS0_19identity_decomposerENS1_16block_id_wrapperIjLb1EEEEE10hipError_tT1_PNSt15iterator_traitsISE_E10value_typeET2_T3_PNSF_ISK_E10value_typeET4_T5_PSP_SQ_PNS1_23onesweep_lookback_stateEbbT6_jjT7_P12ihipStream_tbENKUlT_T0_SE_SJ_E_clIS8_S8_S9_S9_EEDaSX_SY_SE_SJ_EUlSX_E_NS1_11comp_targetILNS1_3genE2ELNS1_11target_archE906ELNS1_3gpuE6ELNS1_3repE0EEENS1_47radix_sort_onesweep_sort_config_static_selectorELNS0_4arch9wavefront6targetE1EEEvSE_
    .private_segment_fixed_size: 0
    .sgpr_count:     4
    .sgpr_spill_count: 0
    .symbol:         _ZN7rocprim17ROCPRIM_400000_NS6detail17trampoline_kernelINS0_14default_configENS1_35radix_sort_onesweep_config_selectorIsNS0_10empty_typeEEEZZNS1_29radix_sort_onesweep_iterationIS3_Lb1EPsS8_PS5_S9_mNS0_19identity_decomposerENS1_16block_id_wrapperIjLb1EEEEE10hipError_tT1_PNSt15iterator_traitsISE_E10value_typeET2_T3_PNSF_ISK_E10value_typeET4_T5_PSP_SQ_PNS1_23onesweep_lookback_stateEbbT6_jjT7_P12ihipStream_tbENKUlT_T0_SE_SJ_E_clIS8_S8_S9_S9_EEDaSX_SY_SE_SJ_EUlSX_E_NS1_11comp_targetILNS1_3genE2ELNS1_11target_archE906ELNS1_3gpuE6ELNS1_3repE0EEENS1_47radix_sort_onesweep_sort_config_static_selectorELNS0_4arch9wavefront6targetE1EEEvSE_.kd
    .uniform_work_group_size: 1
    .uses_dynamic_stack: false
    .vgpr_count:     0
    .vgpr_spill_count: 0
    .wavefront_size: 64
  - .agpr_count:     0
    .args:
      - .offset:         0
        .size:           88
        .value_kind:     by_value
      - .offset:         88
        .size:           4
        .value_kind:     hidden_block_count_x
      - .offset:         92
        .size:           4
        .value_kind:     hidden_block_count_y
      - .offset:         96
        .size:           4
        .value_kind:     hidden_block_count_z
      - .offset:         100
        .size:           2
        .value_kind:     hidden_group_size_x
      - .offset:         102
        .size:           2
        .value_kind:     hidden_group_size_y
      - .offset:         104
        .size:           2
        .value_kind:     hidden_group_size_z
      - .offset:         106
        .size:           2
        .value_kind:     hidden_remainder_x
      - .offset:         108
        .size:           2
        .value_kind:     hidden_remainder_y
      - .offset:         110
        .size:           2
        .value_kind:     hidden_remainder_z
      - .offset:         128
        .size:           8
        .value_kind:     hidden_global_offset_x
      - .offset:         136
        .size:           8
        .value_kind:     hidden_global_offset_y
      - .offset:         144
        .size:           8
        .value_kind:     hidden_global_offset_z
      - .offset:         152
        .size:           2
        .value_kind:     hidden_grid_dims
    .group_segment_fixed_size: 26632
    .kernarg_segment_align: 8
    .kernarg_segment_size: 344
    .language:       OpenCL C
    .language_version:
      - 2
      - 0
    .max_flat_workgroup_size: 1024
    .name:           _ZN7rocprim17ROCPRIM_400000_NS6detail17trampoline_kernelINS0_14default_configENS1_35radix_sort_onesweep_config_selectorIsNS0_10empty_typeEEEZZNS1_29radix_sort_onesweep_iterationIS3_Lb1EPsS8_PS5_S9_mNS0_19identity_decomposerENS1_16block_id_wrapperIjLb1EEEEE10hipError_tT1_PNSt15iterator_traitsISE_E10value_typeET2_T3_PNSF_ISK_E10value_typeET4_T5_PSP_SQ_PNS1_23onesweep_lookback_stateEbbT6_jjT7_P12ihipStream_tbENKUlT_T0_SE_SJ_E_clIS8_S8_S9_S9_EEDaSX_SY_SE_SJ_EUlSX_E_NS1_11comp_targetILNS1_3genE4ELNS1_11target_archE910ELNS1_3gpuE8ELNS1_3repE0EEENS1_47radix_sort_onesweep_sort_config_static_selectorELNS0_4arch9wavefront6targetE1EEEvSE_
    .private_segment_fixed_size: 0
    .sgpr_count:     39
    .sgpr_spill_count: 0
    .symbol:         _ZN7rocprim17ROCPRIM_400000_NS6detail17trampoline_kernelINS0_14default_configENS1_35radix_sort_onesweep_config_selectorIsNS0_10empty_typeEEEZZNS1_29radix_sort_onesweep_iterationIS3_Lb1EPsS8_PS5_S9_mNS0_19identity_decomposerENS1_16block_id_wrapperIjLb1EEEEE10hipError_tT1_PNSt15iterator_traitsISE_E10value_typeET2_T3_PNSF_ISK_E10value_typeET4_T5_PSP_SQ_PNS1_23onesweep_lookback_stateEbbT6_jjT7_P12ihipStream_tbENKUlT_T0_SE_SJ_E_clIS8_S8_S9_S9_EEDaSX_SY_SE_SJ_EUlSX_E_NS1_11comp_targetILNS1_3genE4ELNS1_11target_archE910ELNS1_3gpuE8ELNS1_3repE0EEENS1_47radix_sort_onesweep_sort_config_static_selectorELNS0_4arch9wavefront6targetE1EEEvSE_.kd
    .uniform_work_group_size: 1
    .uses_dynamic_stack: false
    .vgpr_count:     62
    .vgpr_spill_count: 0
    .wavefront_size: 64
  - .agpr_count:     0
    .args:
      - .offset:         0
        .size:           88
        .value_kind:     by_value
    .group_segment_fixed_size: 0
    .kernarg_segment_align: 8
    .kernarg_segment_size: 88
    .language:       OpenCL C
    .language_version:
      - 2
      - 0
    .max_flat_workgroup_size: 512
    .name:           _ZN7rocprim17ROCPRIM_400000_NS6detail17trampoline_kernelINS0_14default_configENS1_35radix_sort_onesweep_config_selectorIsNS0_10empty_typeEEEZZNS1_29radix_sort_onesweep_iterationIS3_Lb1EPsS8_PS5_S9_mNS0_19identity_decomposerENS1_16block_id_wrapperIjLb1EEEEE10hipError_tT1_PNSt15iterator_traitsISE_E10value_typeET2_T3_PNSF_ISK_E10value_typeET4_T5_PSP_SQ_PNS1_23onesweep_lookback_stateEbbT6_jjT7_P12ihipStream_tbENKUlT_T0_SE_SJ_E_clIS8_S8_S9_S9_EEDaSX_SY_SE_SJ_EUlSX_E_NS1_11comp_targetILNS1_3genE3ELNS1_11target_archE908ELNS1_3gpuE7ELNS1_3repE0EEENS1_47radix_sort_onesweep_sort_config_static_selectorELNS0_4arch9wavefront6targetE1EEEvSE_
    .private_segment_fixed_size: 0
    .sgpr_count:     4
    .sgpr_spill_count: 0
    .symbol:         _ZN7rocprim17ROCPRIM_400000_NS6detail17trampoline_kernelINS0_14default_configENS1_35radix_sort_onesweep_config_selectorIsNS0_10empty_typeEEEZZNS1_29radix_sort_onesweep_iterationIS3_Lb1EPsS8_PS5_S9_mNS0_19identity_decomposerENS1_16block_id_wrapperIjLb1EEEEE10hipError_tT1_PNSt15iterator_traitsISE_E10value_typeET2_T3_PNSF_ISK_E10value_typeET4_T5_PSP_SQ_PNS1_23onesweep_lookback_stateEbbT6_jjT7_P12ihipStream_tbENKUlT_T0_SE_SJ_E_clIS8_S8_S9_S9_EEDaSX_SY_SE_SJ_EUlSX_E_NS1_11comp_targetILNS1_3genE3ELNS1_11target_archE908ELNS1_3gpuE7ELNS1_3repE0EEENS1_47radix_sort_onesweep_sort_config_static_selectorELNS0_4arch9wavefront6targetE1EEEvSE_.kd
    .uniform_work_group_size: 1
    .uses_dynamic_stack: false
    .vgpr_count:     0
    .vgpr_spill_count: 0
    .wavefront_size: 64
  - .agpr_count:     0
    .args:
      - .offset:         0
        .size:           88
        .value_kind:     by_value
    .group_segment_fixed_size: 0
    .kernarg_segment_align: 8
    .kernarg_segment_size: 88
    .language:       OpenCL C
    .language_version:
      - 2
      - 0
    .max_flat_workgroup_size: 256
    .name:           _ZN7rocprim17ROCPRIM_400000_NS6detail17trampoline_kernelINS0_14default_configENS1_35radix_sort_onesweep_config_selectorIsNS0_10empty_typeEEEZZNS1_29radix_sort_onesweep_iterationIS3_Lb1EPsS8_PS5_S9_mNS0_19identity_decomposerENS1_16block_id_wrapperIjLb1EEEEE10hipError_tT1_PNSt15iterator_traitsISE_E10value_typeET2_T3_PNSF_ISK_E10value_typeET4_T5_PSP_SQ_PNS1_23onesweep_lookback_stateEbbT6_jjT7_P12ihipStream_tbENKUlT_T0_SE_SJ_E_clIS8_S8_S9_S9_EEDaSX_SY_SE_SJ_EUlSX_E_NS1_11comp_targetILNS1_3genE10ELNS1_11target_archE1201ELNS1_3gpuE5ELNS1_3repE0EEENS1_47radix_sort_onesweep_sort_config_static_selectorELNS0_4arch9wavefront6targetE1EEEvSE_
    .private_segment_fixed_size: 0
    .sgpr_count:     4
    .sgpr_spill_count: 0
    .symbol:         _ZN7rocprim17ROCPRIM_400000_NS6detail17trampoline_kernelINS0_14default_configENS1_35radix_sort_onesweep_config_selectorIsNS0_10empty_typeEEEZZNS1_29radix_sort_onesweep_iterationIS3_Lb1EPsS8_PS5_S9_mNS0_19identity_decomposerENS1_16block_id_wrapperIjLb1EEEEE10hipError_tT1_PNSt15iterator_traitsISE_E10value_typeET2_T3_PNSF_ISK_E10value_typeET4_T5_PSP_SQ_PNS1_23onesweep_lookback_stateEbbT6_jjT7_P12ihipStream_tbENKUlT_T0_SE_SJ_E_clIS8_S8_S9_S9_EEDaSX_SY_SE_SJ_EUlSX_E_NS1_11comp_targetILNS1_3genE10ELNS1_11target_archE1201ELNS1_3gpuE5ELNS1_3repE0EEENS1_47radix_sort_onesweep_sort_config_static_selectorELNS0_4arch9wavefront6targetE1EEEvSE_.kd
    .uniform_work_group_size: 1
    .uses_dynamic_stack: false
    .vgpr_count:     0
    .vgpr_spill_count: 0
    .wavefront_size: 64
  - .agpr_count:     0
    .args:
      - .offset:         0
        .size:           88
        .value_kind:     by_value
    .group_segment_fixed_size: 0
    .kernarg_segment_align: 8
    .kernarg_segment_size: 88
    .language:       OpenCL C
    .language_version:
      - 2
      - 0
    .max_flat_workgroup_size: 256
    .name:           _ZN7rocprim17ROCPRIM_400000_NS6detail17trampoline_kernelINS0_14default_configENS1_35radix_sort_onesweep_config_selectorIsNS0_10empty_typeEEEZZNS1_29radix_sort_onesweep_iterationIS3_Lb1EPsS8_PS5_S9_mNS0_19identity_decomposerENS1_16block_id_wrapperIjLb1EEEEE10hipError_tT1_PNSt15iterator_traitsISE_E10value_typeET2_T3_PNSF_ISK_E10value_typeET4_T5_PSP_SQ_PNS1_23onesweep_lookback_stateEbbT6_jjT7_P12ihipStream_tbENKUlT_T0_SE_SJ_E_clIS8_S8_S9_S9_EEDaSX_SY_SE_SJ_EUlSX_E_NS1_11comp_targetILNS1_3genE9ELNS1_11target_archE1100ELNS1_3gpuE3ELNS1_3repE0EEENS1_47radix_sort_onesweep_sort_config_static_selectorELNS0_4arch9wavefront6targetE1EEEvSE_
    .private_segment_fixed_size: 0
    .sgpr_count:     4
    .sgpr_spill_count: 0
    .symbol:         _ZN7rocprim17ROCPRIM_400000_NS6detail17trampoline_kernelINS0_14default_configENS1_35radix_sort_onesweep_config_selectorIsNS0_10empty_typeEEEZZNS1_29radix_sort_onesweep_iterationIS3_Lb1EPsS8_PS5_S9_mNS0_19identity_decomposerENS1_16block_id_wrapperIjLb1EEEEE10hipError_tT1_PNSt15iterator_traitsISE_E10value_typeET2_T3_PNSF_ISK_E10value_typeET4_T5_PSP_SQ_PNS1_23onesweep_lookback_stateEbbT6_jjT7_P12ihipStream_tbENKUlT_T0_SE_SJ_E_clIS8_S8_S9_S9_EEDaSX_SY_SE_SJ_EUlSX_E_NS1_11comp_targetILNS1_3genE9ELNS1_11target_archE1100ELNS1_3gpuE3ELNS1_3repE0EEENS1_47radix_sort_onesweep_sort_config_static_selectorELNS0_4arch9wavefront6targetE1EEEvSE_.kd
    .uniform_work_group_size: 1
    .uses_dynamic_stack: false
    .vgpr_count:     0
    .vgpr_spill_count: 0
    .wavefront_size: 64
  - .agpr_count:     0
    .args:
      - .offset:         0
        .size:           88
        .value_kind:     by_value
    .group_segment_fixed_size: 0
    .kernarg_segment_align: 8
    .kernarg_segment_size: 88
    .language:       OpenCL C
    .language_version:
      - 2
      - 0
    .max_flat_workgroup_size: 256
    .name:           _ZN7rocprim17ROCPRIM_400000_NS6detail17trampoline_kernelINS0_14default_configENS1_35radix_sort_onesweep_config_selectorIsNS0_10empty_typeEEEZZNS1_29radix_sort_onesweep_iterationIS3_Lb1EPsS8_PS5_S9_mNS0_19identity_decomposerENS1_16block_id_wrapperIjLb1EEEEE10hipError_tT1_PNSt15iterator_traitsISE_E10value_typeET2_T3_PNSF_ISK_E10value_typeET4_T5_PSP_SQ_PNS1_23onesweep_lookback_stateEbbT6_jjT7_P12ihipStream_tbENKUlT_T0_SE_SJ_E_clIS8_S8_S9_S9_EEDaSX_SY_SE_SJ_EUlSX_E_NS1_11comp_targetILNS1_3genE8ELNS1_11target_archE1030ELNS1_3gpuE2ELNS1_3repE0EEENS1_47radix_sort_onesweep_sort_config_static_selectorELNS0_4arch9wavefront6targetE1EEEvSE_
    .private_segment_fixed_size: 0
    .sgpr_count:     4
    .sgpr_spill_count: 0
    .symbol:         _ZN7rocprim17ROCPRIM_400000_NS6detail17trampoline_kernelINS0_14default_configENS1_35radix_sort_onesweep_config_selectorIsNS0_10empty_typeEEEZZNS1_29radix_sort_onesweep_iterationIS3_Lb1EPsS8_PS5_S9_mNS0_19identity_decomposerENS1_16block_id_wrapperIjLb1EEEEE10hipError_tT1_PNSt15iterator_traitsISE_E10value_typeET2_T3_PNSF_ISK_E10value_typeET4_T5_PSP_SQ_PNS1_23onesweep_lookback_stateEbbT6_jjT7_P12ihipStream_tbENKUlT_T0_SE_SJ_E_clIS8_S8_S9_S9_EEDaSX_SY_SE_SJ_EUlSX_E_NS1_11comp_targetILNS1_3genE8ELNS1_11target_archE1030ELNS1_3gpuE2ELNS1_3repE0EEENS1_47radix_sort_onesweep_sort_config_static_selectorELNS0_4arch9wavefront6targetE1EEEvSE_.kd
    .uniform_work_group_size: 1
    .uses_dynamic_stack: false
    .vgpr_count:     0
    .vgpr_spill_count: 0
    .wavefront_size: 64
  - .agpr_count:     0
    .args:
      - .offset:         0
        .size:           88
        .value_kind:     by_value
    .group_segment_fixed_size: 0
    .kernarg_segment_align: 8
    .kernarg_segment_size: 88
    .language:       OpenCL C
    .language_version:
      - 2
      - 0
    .max_flat_workgroup_size: 512
    .name:           _ZN7rocprim17ROCPRIM_400000_NS6detail17trampoline_kernelINS0_14default_configENS1_35radix_sort_onesweep_config_selectorIsNS0_10empty_typeEEEZZNS1_29radix_sort_onesweep_iterationIS3_Lb1EPsS8_PS5_S9_mNS0_19identity_decomposerENS1_16block_id_wrapperIjLb0EEEEE10hipError_tT1_PNSt15iterator_traitsISE_E10value_typeET2_T3_PNSF_ISK_E10value_typeET4_T5_PSP_SQ_PNS1_23onesweep_lookback_stateEbbT6_jjT7_P12ihipStream_tbENKUlT_T0_SE_SJ_E_clIS8_S8_S9_S9_EEDaSX_SY_SE_SJ_EUlSX_E_NS1_11comp_targetILNS1_3genE0ELNS1_11target_archE4294967295ELNS1_3gpuE0ELNS1_3repE0EEENS1_47radix_sort_onesweep_sort_config_static_selectorELNS0_4arch9wavefront6targetE1EEEvSE_
    .private_segment_fixed_size: 0
    .sgpr_count:     4
    .sgpr_spill_count: 0
    .symbol:         _ZN7rocprim17ROCPRIM_400000_NS6detail17trampoline_kernelINS0_14default_configENS1_35radix_sort_onesweep_config_selectorIsNS0_10empty_typeEEEZZNS1_29radix_sort_onesweep_iterationIS3_Lb1EPsS8_PS5_S9_mNS0_19identity_decomposerENS1_16block_id_wrapperIjLb0EEEEE10hipError_tT1_PNSt15iterator_traitsISE_E10value_typeET2_T3_PNSF_ISK_E10value_typeET4_T5_PSP_SQ_PNS1_23onesweep_lookback_stateEbbT6_jjT7_P12ihipStream_tbENKUlT_T0_SE_SJ_E_clIS8_S8_S9_S9_EEDaSX_SY_SE_SJ_EUlSX_E_NS1_11comp_targetILNS1_3genE0ELNS1_11target_archE4294967295ELNS1_3gpuE0ELNS1_3repE0EEENS1_47radix_sort_onesweep_sort_config_static_selectorELNS0_4arch9wavefront6targetE1EEEvSE_.kd
    .uniform_work_group_size: 1
    .uses_dynamic_stack: false
    .vgpr_count:     0
    .vgpr_spill_count: 0
    .wavefront_size: 64
  - .agpr_count:     0
    .args:
      - .offset:         0
        .size:           88
        .value_kind:     by_value
    .group_segment_fixed_size: 0
    .kernarg_segment_align: 8
    .kernarg_segment_size: 88
    .language:       OpenCL C
    .language_version:
      - 2
      - 0
    .max_flat_workgroup_size: 1024
    .name:           _ZN7rocprim17ROCPRIM_400000_NS6detail17trampoline_kernelINS0_14default_configENS1_35radix_sort_onesweep_config_selectorIsNS0_10empty_typeEEEZZNS1_29radix_sort_onesweep_iterationIS3_Lb1EPsS8_PS5_S9_mNS0_19identity_decomposerENS1_16block_id_wrapperIjLb0EEEEE10hipError_tT1_PNSt15iterator_traitsISE_E10value_typeET2_T3_PNSF_ISK_E10value_typeET4_T5_PSP_SQ_PNS1_23onesweep_lookback_stateEbbT6_jjT7_P12ihipStream_tbENKUlT_T0_SE_SJ_E_clIS8_S8_S9_S9_EEDaSX_SY_SE_SJ_EUlSX_E_NS1_11comp_targetILNS1_3genE6ELNS1_11target_archE950ELNS1_3gpuE13ELNS1_3repE0EEENS1_47radix_sort_onesweep_sort_config_static_selectorELNS0_4arch9wavefront6targetE1EEEvSE_
    .private_segment_fixed_size: 0
    .sgpr_count:     4
    .sgpr_spill_count: 0
    .symbol:         _ZN7rocprim17ROCPRIM_400000_NS6detail17trampoline_kernelINS0_14default_configENS1_35radix_sort_onesweep_config_selectorIsNS0_10empty_typeEEEZZNS1_29radix_sort_onesweep_iterationIS3_Lb1EPsS8_PS5_S9_mNS0_19identity_decomposerENS1_16block_id_wrapperIjLb0EEEEE10hipError_tT1_PNSt15iterator_traitsISE_E10value_typeET2_T3_PNSF_ISK_E10value_typeET4_T5_PSP_SQ_PNS1_23onesweep_lookback_stateEbbT6_jjT7_P12ihipStream_tbENKUlT_T0_SE_SJ_E_clIS8_S8_S9_S9_EEDaSX_SY_SE_SJ_EUlSX_E_NS1_11comp_targetILNS1_3genE6ELNS1_11target_archE950ELNS1_3gpuE13ELNS1_3repE0EEENS1_47radix_sort_onesweep_sort_config_static_selectorELNS0_4arch9wavefront6targetE1EEEvSE_.kd
    .uniform_work_group_size: 1
    .uses_dynamic_stack: false
    .vgpr_count:     0
    .vgpr_spill_count: 0
    .wavefront_size: 64
  - .agpr_count:     0
    .args:
      - .offset:         0
        .size:           88
        .value_kind:     by_value
    .group_segment_fixed_size: 0
    .kernarg_segment_align: 8
    .kernarg_segment_size: 88
    .language:       OpenCL C
    .language_version:
      - 2
      - 0
    .max_flat_workgroup_size: 1024
    .name:           _ZN7rocprim17ROCPRIM_400000_NS6detail17trampoline_kernelINS0_14default_configENS1_35radix_sort_onesweep_config_selectorIsNS0_10empty_typeEEEZZNS1_29radix_sort_onesweep_iterationIS3_Lb1EPsS8_PS5_S9_mNS0_19identity_decomposerENS1_16block_id_wrapperIjLb0EEEEE10hipError_tT1_PNSt15iterator_traitsISE_E10value_typeET2_T3_PNSF_ISK_E10value_typeET4_T5_PSP_SQ_PNS1_23onesweep_lookback_stateEbbT6_jjT7_P12ihipStream_tbENKUlT_T0_SE_SJ_E_clIS8_S8_S9_S9_EEDaSX_SY_SE_SJ_EUlSX_E_NS1_11comp_targetILNS1_3genE5ELNS1_11target_archE942ELNS1_3gpuE9ELNS1_3repE0EEENS1_47radix_sort_onesweep_sort_config_static_selectorELNS0_4arch9wavefront6targetE1EEEvSE_
    .private_segment_fixed_size: 0
    .sgpr_count:     4
    .sgpr_spill_count: 0
    .symbol:         _ZN7rocprim17ROCPRIM_400000_NS6detail17trampoline_kernelINS0_14default_configENS1_35radix_sort_onesweep_config_selectorIsNS0_10empty_typeEEEZZNS1_29radix_sort_onesweep_iterationIS3_Lb1EPsS8_PS5_S9_mNS0_19identity_decomposerENS1_16block_id_wrapperIjLb0EEEEE10hipError_tT1_PNSt15iterator_traitsISE_E10value_typeET2_T3_PNSF_ISK_E10value_typeET4_T5_PSP_SQ_PNS1_23onesweep_lookback_stateEbbT6_jjT7_P12ihipStream_tbENKUlT_T0_SE_SJ_E_clIS8_S8_S9_S9_EEDaSX_SY_SE_SJ_EUlSX_E_NS1_11comp_targetILNS1_3genE5ELNS1_11target_archE942ELNS1_3gpuE9ELNS1_3repE0EEENS1_47radix_sort_onesweep_sort_config_static_selectorELNS0_4arch9wavefront6targetE1EEEvSE_.kd
    .uniform_work_group_size: 1
    .uses_dynamic_stack: false
    .vgpr_count:     0
    .vgpr_spill_count: 0
    .wavefront_size: 64
  - .agpr_count:     0
    .args:
      - .offset:         0
        .size:           88
        .value_kind:     by_value
    .group_segment_fixed_size: 0
    .kernarg_segment_align: 8
    .kernarg_segment_size: 88
    .language:       OpenCL C
    .language_version:
      - 2
      - 0
    .max_flat_workgroup_size: 512
    .name:           _ZN7rocprim17ROCPRIM_400000_NS6detail17trampoline_kernelINS0_14default_configENS1_35radix_sort_onesweep_config_selectorIsNS0_10empty_typeEEEZZNS1_29radix_sort_onesweep_iterationIS3_Lb1EPsS8_PS5_S9_mNS0_19identity_decomposerENS1_16block_id_wrapperIjLb0EEEEE10hipError_tT1_PNSt15iterator_traitsISE_E10value_typeET2_T3_PNSF_ISK_E10value_typeET4_T5_PSP_SQ_PNS1_23onesweep_lookback_stateEbbT6_jjT7_P12ihipStream_tbENKUlT_T0_SE_SJ_E_clIS8_S8_S9_S9_EEDaSX_SY_SE_SJ_EUlSX_E_NS1_11comp_targetILNS1_3genE2ELNS1_11target_archE906ELNS1_3gpuE6ELNS1_3repE0EEENS1_47radix_sort_onesweep_sort_config_static_selectorELNS0_4arch9wavefront6targetE1EEEvSE_
    .private_segment_fixed_size: 0
    .sgpr_count:     4
    .sgpr_spill_count: 0
    .symbol:         _ZN7rocprim17ROCPRIM_400000_NS6detail17trampoline_kernelINS0_14default_configENS1_35radix_sort_onesweep_config_selectorIsNS0_10empty_typeEEEZZNS1_29radix_sort_onesweep_iterationIS3_Lb1EPsS8_PS5_S9_mNS0_19identity_decomposerENS1_16block_id_wrapperIjLb0EEEEE10hipError_tT1_PNSt15iterator_traitsISE_E10value_typeET2_T3_PNSF_ISK_E10value_typeET4_T5_PSP_SQ_PNS1_23onesweep_lookback_stateEbbT6_jjT7_P12ihipStream_tbENKUlT_T0_SE_SJ_E_clIS8_S8_S9_S9_EEDaSX_SY_SE_SJ_EUlSX_E_NS1_11comp_targetILNS1_3genE2ELNS1_11target_archE906ELNS1_3gpuE6ELNS1_3repE0EEENS1_47radix_sort_onesweep_sort_config_static_selectorELNS0_4arch9wavefront6targetE1EEEvSE_.kd
    .uniform_work_group_size: 1
    .uses_dynamic_stack: false
    .vgpr_count:     0
    .vgpr_spill_count: 0
    .wavefront_size: 64
  - .agpr_count:     0
    .args:
      - .offset:         0
        .size:           88
        .value_kind:     by_value
      - .offset:         88
        .size:           4
        .value_kind:     hidden_block_count_x
      - .offset:         92
        .size:           4
        .value_kind:     hidden_block_count_y
      - .offset:         96
        .size:           4
        .value_kind:     hidden_block_count_z
      - .offset:         100
        .size:           2
        .value_kind:     hidden_group_size_x
      - .offset:         102
        .size:           2
        .value_kind:     hidden_group_size_y
      - .offset:         104
        .size:           2
        .value_kind:     hidden_group_size_z
      - .offset:         106
        .size:           2
        .value_kind:     hidden_remainder_x
      - .offset:         108
        .size:           2
        .value_kind:     hidden_remainder_y
      - .offset:         110
        .size:           2
        .value_kind:     hidden_remainder_z
      - .offset:         128
        .size:           8
        .value_kind:     hidden_global_offset_x
      - .offset:         136
        .size:           8
        .value_kind:     hidden_global_offset_y
      - .offset:         144
        .size:           8
        .value_kind:     hidden_global_offset_z
      - .offset:         152
        .size:           2
        .value_kind:     hidden_grid_dims
    .group_segment_fixed_size: 26632
    .kernarg_segment_align: 8
    .kernarg_segment_size: 344
    .language:       OpenCL C
    .language_version:
      - 2
      - 0
    .max_flat_workgroup_size: 1024
    .name:           _ZN7rocprim17ROCPRIM_400000_NS6detail17trampoline_kernelINS0_14default_configENS1_35radix_sort_onesweep_config_selectorIsNS0_10empty_typeEEEZZNS1_29radix_sort_onesweep_iterationIS3_Lb1EPsS8_PS5_S9_mNS0_19identity_decomposerENS1_16block_id_wrapperIjLb0EEEEE10hipError_tT1_PNSt15iterator_traitsISE_E10value_typeET2_T3_PNSF_ISK_E10value_typeET4_T5_PSP_SQ_PNS1_23onesweep_lookback_stateEbbT6_jjT7_P12ihipStream_tbENKUlT_T0_SE_SJ_E_clIS8_S8_S9_S9_EEDaSX_SY_SE_SJ_EUlSX_E_NS1_11comp_targetILNS1_3genE4ELNS1_11target_archE910ELNS1_3gpuE8ELNS1_3repE0EEENS1_47radix_sort_onesweep_sort_config_static_selectorELNS0_4arch9wavefront6targetE1EEEvSE_
    .private_segment_fixed_size: 0
    .sgpr_count:     48
    .sgpr_spill_count: 0
    .symbol:         _ZN7rocprim17ROCPRIM_400000_NS6detail17trampoline_kernelINS0_14default_configENS1_35radix_sort_onesweep_config_selectorIsNS0_10empty_typeEEEZZNS1_29radix_sort_onesweep_iterationIS3_Lb1EPsS8_PS5_S9_mNS0_19identity_decomposerENS1_16block_id_wrapperIjLb0EEEEE10hipError_tT1_PNSt15iterator_traitsISE_E10value_typeET2_T3_PNSF_ISK_E10value_typeET4_T5_PSP_SQ_PNS1_23onesweep_lookback_stateEbbT6_jjT7_P12ihipStream_tbENKUlT_T0_SE_SJ_E_clIS8_S8_S9_S9_EEDaSX_SY_SE_SJ_EUlSX_E_NS1_11comp_targetILNS1_3genE4ELNS1_11target_archE910ELNS1_3gpuE8ELNS1_3repE0EEENS1_47radix_sort_onesweep_sort_config_static_selectorELNS0_4arch9wavefront6targetE1EEEvSE_.kd
    .uniform_work_group_size: 1
    .uses_dynamic_stack: false
    .vgpr_count:     62
    .vgpr_spill_count: 0
    .wavefront_size: 64
  - .agpr_count:     0
    .args:
      - .offset:         0
        .size:           88
        .value_kind:     by_value
    .group_segment_fixed_size: 0
    .kernarg_segment_align: 8
    .kernarg_segment_size: 88
    .language:       OpenCL C
    .language_version:
      - 2
      - 0
    .max_flat_workgroup_size: 512
    .name:           _ZN7rocprim17ROCPRIM_400000_NS6detail17trampoline_kernelINS0_14default_configENS1_35radix_sort_onesweep_config_selectorIsNS0_10empty_typeEEEZZNS1_29radix_sort_onesweep_iterationIS3_Lb1EPsS8_PS5_S9_mNS0_19identity_decomposerENS1_16block_id_wrapperIjLb0EEEEE10hipError_tT1_PNSt15iterator_traitsISE_E10value_typeET2_T3_PNSF_ISK_E10value_typeET4_T5_PSP_SQ_PNS1_23onesweep_lookback_stateEbbT6_jjT7_P12ihipStream_tbENKUlT_T0_SE_SJ_E_clIS8_S8_S9_S9_EEDaSX_SY_SE_SJ_EUlSX_E_NS1_11comp_targetILNS1_3genE3ELNS1_11target_archE908ELNS1_3gpuE7ELNS1_3repE0EEENS1_47radix_sort_onesweep_sort_config_static_selectorELNS0_4arch9wavefront6targetE1EEEvSE_
    .private_segment_fixed_size: 0
    .sgpr_count:     4
    .sgpr_spill_count: 0
    .symbol:         _ZN7rocprim17ROCPRIM_400000_NS6detail17trampoline_kernelINS0_14default_configENS1_35radix_sort_onesweep_config_selectorIsNS0_10empty_typeEEEZZNS1_29radix_sort_onesweep_iterationIS3_Lb1EPsS8_PS5_S9_mNS0_19identity_decomposerENS1_16block_id_wrapperIjLb0EEEEE10hipError_tT1_PNSt15iterator_traitsISE_E10value_typeET2_T3_PNSF_ISK_E10value_typeET4_T5_PSP_SQ_PNS1_23onesweep_lookback_stateEbbT6_jjT7_P12ihipStream_tbENKUlT_T0_SE_SJ_E_clIS8_S8_S9_S9_EEDaSX_SY_SE_SJ_EUlSX_E_NS1_11comp_targetILNS1_3genE3ELNS1_11target_archE908ELNS1_3gpuE7ELNS1_3repE0EEENS1_47radix_sort_onesweep_sort_config_static_selectorELNS0_4arch9wavefront6targetE1EEEvSE_.kd
    .uniform_work_group_size: 1
    .uses_dynamic_stack: false
    .vgpr_count:     0
    .vgpr_spill_count: 0
    .wavefront_size: 64
  - .agpr_count:     0
    .args:
      - .offset:         0
        .size:           88
        .value_kind:     by_value
    .group_segment_fixed_size: 0
    .kernarg_segment_align: 8
    .kernarg_segment_size: 88
    .language:       OpenCL C
    .language_version:
      - 2
      - 0
    .max_flat_workgroup_size: 256
    .name:           _ZN7rocprim17ROCPRIM_400000_NS6detail17trampoline_kernelINS0_14default_configENS1_35radix_sort_onesweep_config_selectorIsNS0_10empty_typeEEEZZNS1_29radix_sort_onesweep_iterationIS3_Lb1EPsS8_PS5_S9_mNS0_19identity_decomposerENS1_16block_id_wrapperIjLb0EEEEE10hipError_tT1_PNSt15iterator_traitsISE_E10value_typeET2_T3_PNSF_ISK_E10value_typeET4_T5_PSP_SQ_PNS1_23onesweep_lookback_stateEbbT6_jjT7_P12ihipStream_tbENKUlT_T0_SE_SJ_E_clIS8_S8_S9_S9_EEDaSX_SY_SE_SJ_EUlSX_E_NS1_11comp_targetILNS1_3genE10ELNS1_11target_archE1201ELNS1_3gpuE5ELNS1_3repE0EEENS1_47radix_sort_onesweep_sort_config_static_selectorELNS0_4arch9wavefront6targetE1EEEvSE_
    .private_segment_fixed_size: 0
    .sgpr_count:     4
    .sgpr_spill_count: 0
    .symbol:         _ZN7rocprim17ROCPRIM_400000_NS6detail17trampoline_kernelINS0_14default_configENS1_35radix_sort_onesweep_config_selectorIsNS0_10empty_typeEEEZZNS1_29radix_sort_onesweep_iterationIS3_Lb1EPsS8_PS5_S9_mNS0_19identity_decomposerENS1_16block_id_wrapperIjLb0EEEEE10hipError_tT1_PNSt15iterator_traitsISE_E10value_typeET2_T3_PNSF_ISK_E10value_typeET4_T5_PSP_SQ_PNS1_23onesweep_lookback_stateEbbT6_jjT7_P12ihipStream_tbENKUlT_T0_SE_SJ_E_clIS8_S8_S9_S9_EEDaSX_SY_SE_SJ_EUlSX_E_NS1_11comp_targetILNS1_3genE10ELNS1_11target_archE1201ELNS1_3gpuE5ELNS1_3repE0EEENS1_47radix_sort_onesweep_sort_config_static_selectorELNS0_4arch9wavefront6targetE1EEEvSE_.kd
    .uniform_work_group_size: 1
    .uses_dynamic_stack: false
    .vgpr_count:     0
    .vgpr_spill_count: 0
    .wavefront_size: 64
  - .agpr_count:     0
    .args:
      - .offset:         0
        .size:           88
        .value_kind:     by_value
    .group_segment_fixed_size: 0
    .kernarg_segment_align: 8
    .kernarg_segment_size: 88
    .language:       OpenCL C
    .language_version:
      - 2
      - 0
    .max_flat_workgroup_size: 256
    .name:           _ZN7rocprim17ROCPRIM_400000_NS6detail17trampoline_kernelINS0_14default_configENS1_35radix_sort_onesweep_config_selectorIsNS0_10empty_typeEEEZZNS1_29radix_sort_onesweep_iterationIS3_Lb1EPsS8_PS5_S9_mNS0_19identity_decomposerENS1_16block_id_wrapperIjLb0EEEEE10hipError_tT1_PNSt15iterator_traitsISE_E10value_typeET2_T3_PNSF_ISK_E10value_typeET4_T5_PSP_SQ_PNS1_23onesweep_lookback_stateEbbT6_jjT7_P12ihipStream_tbENKUlT_T0_SE_SJ_E_clIS8_S8_S9_S9_EEDaSX_SY_SE_SJ_EUlSX_E_NS1_11comp_targetILNS1_3genE9ELNS1_11target_archE1100ELNS1_3gpuE3ELNS1_3repE0EEENS1_47radix_sort_onesweep_sort_config_static_selectorELNS0_4arch9wavefront6targetE1EEEvSE_
    .private_segment_fixed_size: 0
    .sgpr_count:     4
    .sgpr_spill_count: 0
    .symbol:         _ZN7rocprim17ROCPRIM_400000_NS6detail17trampoline_kernelINS0_14default_configENS1_35radix_sort_onesweep_config_selectorIsNS0_10empty_typeEEEZZNS1_29radix_sort_onesweep_iterationIS3_Lb1EPsS8_PS5_S9_mNS0_19identity_decomposerENS1_16block_id_wrapperIjLb0EEEEE10hipError_tT1_PNSt15iterator_traitsISE_E10value_typeET2_T3_PNSF_ISK_E10value_typeET4_T5_PSP_SQ_PNS1_23onesweep_lookback_stateEbbT6_jjT7_P12ihipStream_tbENKUlT_T0_SE_SJ_E_clIS8_S8_S9_S9_EEDaSX_SY_SE_SJ_EUlSX_E_NS1_11comp_targetILNS1_3genE9ELNS1_11target_archE1100ELNS1_3gpuE3ELNS1_3repE0EEENS1_47radix_sort_onesweep_sort_config_static_selectorELNS0_4arch9wavefront6targetE1EEEvSE_.kd
    .uniform_work_group_size: 1
    .uses_dynamic_stack: false
    .vgpr_count:     0
    .vgpr_spill_count: 0
    .wavefront_size: 64
  - .agpr_count:     0
    .args:
      - .offset:         0
        .size:           88
        .value_kind:     by_value
    .group_segment_fixed_size: 0
    .kernarg_segment_align: 8
    .kernarg_segment_size: 88
    .language:       OpenCL C
    .language_version:
      - 2
      - 0
    .max_flat_workgroup_size: 256
    .name:           _ZN7rocprim17ROCPRIM_400000_NS6detail17trampoline_kernelINS0_14default_configENS1_35radix_sort_onesweep_config_selectorIsNS0_10empty_typeEEEZZNS1_29radix_sort_onesweep_iterationIS3_Lb1EPsS8_PS5_S9_mNS0_19identity_decomposerENS1_16block_id_wrapperIjLb0EEEEE10hipError_tT1_PNSt15iterator_traitsISE_E10value_typeET2_T3_PNSF_ISK_E10value_typeET4_T5_PSP_SQ_PNS1_23onesweep_lookback_stateEbbT6_jjT7_P12ihipStream_tbENKUlT_T0_SE_SJ_E_clIS8_S8_S9_S9_EEDaSX_SY_SE_SJ_EUlSX_E_NS1_11comp_targetILNS1_3genE8ELNS1_11target_archE1030ELNS1_3gpuE2ELNS1_3repE0EEENS1_47radix_sort_onesweep_sort_config_static_selectorELNS0_4arch9wavefront6targetE1EEEvSE_
    .private_segment_fixed_size: 0
    .sgpr_count:     4
    .sgpr_spill_count: 0
    .symbol:         _ZN7rocprim17ROCPRIM_400000_NS6detail17trampoline_kernelINS0_14default_configENS1_35radix_sort_onesweep_config_selectorIsNS0_10empty_typeEEEZZNS1_29radix_sort_onesweep_iterationIS3_Lb1EPsS8_PS5_S9_mNS0_19identity_decomposerENS1_16block_id_wrapperIjLb0EEEEE10hipError_tT1_PNSt15iterator_traitsISE_E10value_typeET2_T3_PNSF_ISK_E10value_typeET4_T5_PSP_SQ_PNS1_23onesweep_lookback_stateEbbT6_jjT7_P12ihipStream_tbENKUlT_T0_SE_SJ_E_clIS8_S8_S9_S9_EEDaSX_SY_SE_SJ_EUlSX_E_NS1_11comp_targetILNS1_3genE8ELNS1_11target_archE1030ELNS1_3gpuE2ELNS1_3repE0EEENS1_47radix_sort_onesweep_sort_config_static_selectorELNS0_4arch9wavefront6targetE1EEEvSE_.kd
    .uniform_work_group_size: 1
    .uses_dynamic_stack: false
    .vgpr_count:     0
    .vgpr_spill_count: 0
    .wavefront_size: 64
  - .agpr_count:     0
    .args:
      - .offset:         0
        .size:           48
        .value_kind:     by_value
    .group_segment_fixed_size: 0
    .kernarg_segment_align: 8
    .kernarg_segment_size: 48
    .language:       OpenCL C
    .language_version:
      - 2
      - 0
    .max_flat_workgroup_size: 256
    .name:           _ZN7rocprim17ROCPRIM_400000_NS6detail17trampoline_kernelINS0_13kernel_configILj256ELj4ELj4294967295EEENS1_37radix_sort_block_sort_config_selectorItNS0_10empty_typeEEEZNS1_21radix_sort_block_sortIS4_Lb1EPtS9_PS6_SA_NS0_19identity_decomposerEEE10hipError_tT1_T2_T3_T4_jRjT5_jjP12ihipStream_tbEUlT_E_NS1_11comp_targetILNS1_3genE0ELNS1_11target_archE4294967295ELNS1_3gpuE0ELNS1_3repE0EEENS1_44radix_sort_block_sort_config_static_selectorELNS0_4arch9wavefront6targetE1EEEvSD_
    .private_segment_fixed_size: 0
    .sgpr_count:     4
    .sgpr_spill_count: 0
    .symbol:         _ZN7rocprim17ROCPRIM_400000_NS6detail17trampoline_kernelINS0_13kernel_configILj256ELj4ELj4294967295EEENS1_37radix_sort_block_sort_config_selectorItNS0_10empty_typeEEEZNS1_21radix_sort_block_sortIS4_Lb1EPtS9_PS6_SA_NS0_19identity_decomposerEEE10hipError_tT1_T2_T3_T4_jRjT5_jjP12ihipStream_tbEUlT_E_NS1_11comp_targetILNS1_3genE0ELNS1_11target_archE4294967295ELNS1_3gpuE0ELNS1_3repE0EEENS1_44radix_sort_block_sort_config_static_selectorELNS0_4arch9wavefront6targetE1EEEvSD_.kd
    .uniform_work_group_size: 1
    .uses_dynamic_stack: false
    .vgpr_count:     0
    .vgpr_spill_count: 0
    .wavefront_size: 64
  - .agpr_count:     0
    .args:
      - .offset:         0
        .size:           48
        .value_kind:     by_value
    .group_segment_fixed_size: 0
    .kernarg_segment_align: 8
    .kernarg_segment_size: 48
    .language:       OpenCL C
    .language_version:
      - 2
      - 0
    .max_flat_workgroup_size: 256
    .name:           _ZN7rocprim17ROCPRIM_400000_NS6detail17trampoline_kernelINS0_13kernel_configILj256ELj4ELj4294967295EEENS1_37radix_sort_block_sort_config_selectorItNS0_10empty_typeEEEZNS1_21radix_sort_block_sortIS4_Lb1EPtS9_PS6_SA_NS0_19identity_decomposerEEE10hipError_tT1_T2_T3_T4_jRjT5_jjP12ihipStream_tbEUlT_E_NS1_11comp_targetILNS1_3genE5ELNS1_11target_archE942ELNS1_3gpuE9ELNS1_3repE0EEENS1_44radix_sort_block_sort_config_static_selectorELNS0_4arch9wavefront6targetE1EEEvSD_
    .private_segment_fixed_size: 0
    .sgpr_count:     4
    .sgpr_spill_count: 0
    .symbol:         _ZN7rocprim17ROCPRIM_400000_NS6detail17trampoline_kernelINS0_13kernel_configILj256ELj4ELj4294967295EEENS1_37radix_sort_block_sort_config_selectorItNS0_10empty_typeEEEZNS1_21radix_sort_block_sortIS4_Lb1EPtS9_PS6_SA_NS0_19identity_decomposerEEE10hipError_tT1_T2_T3_T4_jRjT5_jjP12ihipStream_tbEUlT_E_NS1_11comp_targetILNS1_3genE5ELNS1_11target_archE942ELNS1_3gpuE9ELNS1_3repE0EEENS1_44radix_sort_block_sort_config_static_selectorELNS0_4arch9wavefront6targetE1EEEvSD_.kd
    .uniform_work_group_size: 1
    .uses_dynamic_stack: false
    .vgpr_count:     0
    .vgpr_spill_count: 0
    .wavefront_size: 64
  - .agpr_count:     0
    .args:
      - .offset:         0
        .size:           48
        .value_kind:     by_value
      - .offset:         48
        .size:           4
        .value_kind:     hidden_block_count_x
      - .offset:         52
        .size:           4
        .value_kind:     hidden_block_count_y
      - .offset:         56
        .size:           4
        .value_kind:     hidden_block_count_z
      - .offset:         60
        .size:           2
        .value_kind:     hidden_group_size_x
      - .offset:         62
        .size:           2
        .value_kind:     hidden_group_size_y
      - .offset:         64
        .size:           2
        .value_kind:     hidden_group_size_z
      - .offset:         66
        .size:           2
        .value_kind:     hidden_remainder_x
      - .offset:         68
        .size:           2
        .value_kind:     hidden_remainder_y
      - .offset:         70
        .size:           2
        .value_kind:     hidden_remainder_z
      - .offset:         88
        .size:           8
        .value_kind:     hidden_global_offset_x
      - .offset:         96
        .size:           8
        .value_kind:     hidden_global_offset_y
      - .offset:         104
        .size:           8
        .value_kind:     hidden_global_offset_z
      - .offset:         112
        .size:           2
        .value_kind:     hidden_grid_dims
    .group_segment_fixed_size: 4112
    .kernarg_segment_align: 8
    .kernarg_segment_size: 304
    .language:       OpenCL C
    .language_version:
      - 2
      - 0
    .max_flat_workgroup_size: 256
    .name:           _ZN7rocprim17ROCPRIM_400000_NS6detail17trampoline_kernelINS0_13kernel_configILj256ELj4ELj4294967295EEENS1_37radix_sort_block_sort_config_selectorItNS0_10empty_typeEEEZNS1_21radix_sort_block_sortIS4_Lb1EPtS9_PS6_SA_NS0_19identity_decomposerEEE10hipError_tT1_T2_T3_T4_jRjT5_jjP12ihipStream_tbEUlT_E_NS1_11comp_targetILNS1_3genE4ELNS1_11target_archE910ELNS1_3gpuE8ELNS1_3repE0EEENS1_44radix_sort_block_sort_config_static_selectorELNS0_4arch9wavefront6targetE1EEEvSD_
    .private_segment_fixed_size: 0
    .sgpr_count:     48
    .sgpr_spill_count: 0
    .symbol:         _ZN7rocprim17ROCPRIM_400000_NS6detail17trampoline_kernelINS0_13kernel_configILj256ELj4ELj4294967295EEENS1_37radix_sort_block_sort_config_selectorItNS0_10empty_typeEEEZNS1_21radix_sort_block_sortIS4_Lb1EPtS9_PS6_SA_NS0_19identity_decomposerEEE10hipError_tT1_T2_T3_T4_jRjT5_jjP12ihipStream_tbEUlT_E_NS1_11comp_targetILNS1_3genE4ELNS1_11target_archE910ELNS1_3gpuE8ELNS1_3repE0EEENS1_44radix_sort_block_sort_config_static_selectorELNS0_4arch9wavefront6targetE1EEEvSD_.kd
    .uniform_work_group_size: 1
    .uses_dynamic_stack: false
    .vgpr_count:     38
    .vgpr_spill_count: 0
    .wavefront_size: 64
  - .agpr_count:     0
    .args:
      - .offset:         0
        .size:           48
        .value_kind:     by_value
    .group_segment_fixed_size: 0
    .kernarg_segment_align: 8
    .kernarg_segment_size: 48
    .language:       OpenCL C
    .language_version:
      - 2
      - 0
    .max_flat_workgroup_size: 256
    .name:           _ZN7rocprim17ROCPRIM_400000_NS6detail17trampoline_kernelINS0_13kernel_configILj256ELj4ELj4294967295EEENS1_37radix_sort_block_sort_config_selectorItNS0_10empty_typeEEEZNS1_21radix_sort_block_sortIS4_Lb1EPtS9_PS6_SA_NS0_19identity_decomposerEEE10hipError_tT1_T2_T3_T4_jRjT5_jjP12ihipStream_tbEUlT_E_NS1_11comp_targetILNS1_3genE3ELNS1_11target_archE908ELNS1_3gpuE7ELNS1_3repE0EEENS1_44radix_sort_block_sort_config_static_selectorELNS0_4arch9wavefront6targetE1EEEvSD_
    .private_segment_fixed_size: 0
    .sgpr_count:     4
    .sgpr_spill_count: 0
    .symbol:         _ZN7rocprim17ROCPRIM_400000_NS6detail17trampoline_kernelINS0_13kernel_configILj256ELj4ELj4294967295EEENS1_37radix_sort_block_sort_config_selectorItNS0_10empty_typeEEEZNS1_21radix_sort_block_sortIS4_Lb1EPtS9_PS6_SA_NS0_19identity_decomposerEEE10hipError_tT1_T2_T3_T4_jRjT5_jjP12ihipStream_tbEUlT_E_NS1_11comp_targetILNS1_3genE3ELNS1_11target_archE908ELNS1_3gpuE7ELNS1_3repE0EEENS1_44radix_sort_block_sort_config_static_selectorELNS0_4arch9wavefront6targetE1EEEvSD_.kd
    .uniform_work_group_size: 1
    .uses_dynamic_stack: false
    .vgpr_count:     0
    .vgpr_spill_count: 0
    .wavefront_size: 64
  - .agpr_count:     0
    .args:
      - .offset:         0
        .size:           48
        .value_kind:     by_value
    .group_segment_fixed_size: 0
    .kernarg_segment_align: 8
    .kernarg_segment_size: 48
    .language:       OpenCL C
    .language_version:
      - 2
      - 0
    .max_flat_workgroup_size: 256
    .name:           _ZN7rocprim17ROCPRIM_400000_NS6detail17trampoline_kernelINS0_13kernel_configILj256ELj4ELj4294967295EEENS1_37radix_sort_block_sort_config_selectorItNS0_10empty_typeEEEZNS1_21radix_sort_block_sortIS4_Lb1EPtS9_PS6_SA_NS0_19identity_decomposerEEE10hipError_tT1_T2_T3_T4_jRjT5_jjP12ihipStream_tbEUlT_E_NS1_11comp_targetILNS1_3genE2ELNS1_11target_archE906ELNS1_3gpuE6ELNS1_3repE0EEENS1_44radix_sort_block_sort_config_static_selectorELNS0_4arch9wavefront6targetE1EEEvSD_
    .private_segment_fixed_size: 0
    .sgpr_count:     4
    .sgpr_spill_count: 0
    .symbol:         _ZN7rocprim17ROCPRIM_400000_NS6detail17trampoline_kernelINS0_13kernel_configILj256ELj4ELj4294967295EEENS1_37radix_sort_block_sort_config_selectorItNS0_10empty_typeEEEZNS1_21radix_sort_block_sortIS4_Lb1EPtS9_PS6_SA_NS0_19identity_decomposerEEE10hipError_tT1_T2_T3_T4_jRjT5_jjP12ihipStream_tbEUlT_E_NS1_11comp_targetILNS1_3genE2ELNS1_11target_archE906ELNS1_3gpuE6ELNS1_3repE0EEENS1_44radix_sort_block_sort_config_static_selectorELNS0_4arch9wavefront6targetE1EEEvSD_.kd
    .uniform_work_group_size: 1
    .uses_dynamic_stack: false
    .vgpr_count:     0
    .vgpr_spill_count: 0
    .wavefront_size: 64
  - .agpr_count:     0
    .args:
      - .offset:         0
        .size:           48
        .value_kind:     by_value
    .group_segment_fixed_size: 0
    .kernarg_segment_align: 8
    .kernarg_segment_size: 48
    .language:       OpenCL C
    .language_version:
      - 2
      - 0
    .max_flat_workgroup_size: 256
    .name:           _ZN7rocprim17ROCPRIM_400000_NS6detail17trampoline_kernelINS0_13kernel_configILj256ELj4ELj4294967295EEENS1_37radix_sort_block_sort_config_selectorItNS0_10empty_typeEEEZNS1_21radix_sort_block_sortIS4_Lb1EPtS9_PS6_SA_NS0_19identity_decomposerEEE10hipError_tT1_T2_T3_T4_jRjT5_jjP12ihipStream_tbEUlT_E_NS1_11comp_targetILNS1_3genE10ELNS1_11target_archE1201ELNS1_3gpuE5ELNS1_3repE0EEENS1_44radix_sort_block_sort_config_static_selectorELNS0_4arch9wavefront6targetE1EEEvSD_
    .private_segment_fixed_size: 0
    .sgpr_count:     4
    .sgpr_spill_count: 0
    .symbol:         _ZN7rocprim17ROCPRIM_400000_NS6detail17trampoline_kernelINS0_13kernel_configILj256ELj4ELj4294967295EEENS1_37radix_sort_block_sort_config_selectorItNS0_10empty_typeEEEZNS1_21radix_sort_block_sortIS4_Lb1EPtS9_PS6_SA_NS0_19identity_decomposerEEE10hipError_tT1_T2_T3_T4_jRjT5_jjP12ihipStream_tbEUlT_E_NS1_11comp_targetILNS1_3genE10ELNS1_11target_archE1201ELNS1_3gpuE5ELNS1_3repE0EEENS1_44radix_sort_block_sort_config_static_selectorELNS0_4arch9wavefront6targetE1EEEvSD_.kd
    .uniform_work_group_size: 1
    .uses_dynamic_stack: false
    .vgpr_count:     0
    .vgpr_spill_count: 0
    .wavefront_size: 64
  - .agpr_count:     0
    .args:
      - .offset:         0
        .size:           48
        .value_kind:     by_value
    .group_segment_fixed_size: 0
    .kernarg_segment_align: 8
    .kernarg_segment_size: 48
    .language:       OpenCL C
    .language_version:
      - 2
      - 0
    .max_flat_workgroup_size: 256
    .name:           _ZN7rocprim17ROCPRIM_400000_NS6detail17trampoline_kernelINS0_13kernel_configILj256ELj4ELj4294967295EEENS1_37radix_sort_block_sort_config_selectorItNS0_10empty_typeEEEZNS1_21radix_sort_block_sortIS4_Lb1EPtS9_PS6_SA_NS0_19identity_decomposerEEE10hipError_tT1_T2_T3_T4_jRjT5_jjP12ihipStream_tbEUlT_E_NS1_11comp_targetILNS1_3genE10ELNS1_11target_archE1200ELNS1_3gpuE4ELNS1_3repE0EEENS1_44radix_sort_block_sort_config_static_selectorELNS0_4arch9wavefront6targetE1EEEvSD_
    .private_segment_fixed_size: 0
    .sgpr_count:     4
    .sgpr_spill_count: 0
    .symbol:         _ZN7rocprim17ROCPRIM_400000_NS6detail17trampoline_kernelINS0_13kernel_configILj256ELj4ELj4294967295EEENS1_37radix_sort_block_sort_config_selectorItNS0_10empty_typeEEEZNS1_21radix_sort_block_sortIS4_Lb1EPtS9_PS6_SA_NS0_19identity_decomposerEEE10hipError_tT1_T2_T3_T4_jRjT5_jjP12ihipStream_tbEUlT_E_NS1_11comp_targetILNS1_3genE10ELNS1_11target_archE1200ELNS1_3gpuE4ELNS1_3repE0EEENS1_44radix_sort_block_sort_config_static_selectorELNS0_4arch9wavefront6targetE1EEEvSD_.kd
    .uniform_work_group_size: 1
    .uses_dynamic_stack: false
    .vgpr_count:     0
    .vgpr_spill_count: 0
    .wavefront_size: 64
  - .agpr_count:     0
    .args:
      - .offset:         0
        .size:           48
        .value_kind:     by_value
    .group_segment_fixed_size: 0
    .kernarg_segment_align: 8
    .kernarg_segment_size: 48
    .language:       OpenCL C
    .language_version:
      - 2
      - 0
    .max_flat_workgroup_size: 256
    .name:           _ZN7rocprim17ROCPRIM_400000_NS6detail17trampoline_kernelINS0_13kernel_configILj256ELj4ELj4294967295EEENS1_37radix_sort_block_sort_config_selectorItNS0_10empty_typeEEEZNS1_21radix_sort_block_sortIS4_Lb1EPtS9_PS6_SA_NS0_19identity_decomposerEEE10hipError_tT1_T2_T3_T4_jRjT5_jjP12ihipStream_tbEUlT_E_NS1_11comp_targetILNS1_3genE9ELNS1_11target_archE1100ELNS1_3gpuE3ELNS1_3repE0EEENS1_44radix_sort_block_sort_config_static_selectorELNS0_4arch9wavefront6targetE1EEEvSD_
    .private_segment_fixed_size: 0
    .sgpr_count:     4
    .sgpr_spill_count: 0
    .symbol:         _ZN7rocprim17ROCPRIM_400000_NS6detail17trampoline_kernelINS0_13kernel_configILj256ELj4ELj4294967295EEENS1_37radix_sort_block_sort_config_selectorItNS0_10empty_typeEEEZNS1_21radix_sort_block_sortIS4_Lb1EPtS9_PS6_SA_NS0_19identity_decomposerEEE10hipError_tT1_T2_T3_T4_jRjT5_jjP12ihipStream_tbEUlT_E_NS1_11comp_targetILNS1_3genE9ELNS1_11target_archE1100ELNS1_3gpuE3ELNS1_3repE0EEENS1_44radix_sort_block_sort_config_static_selectorELNS0_4arch9wavefront6targetE1EEEvSD_.kd
    .uniform_work_group_size: 1
    .uses_dynamic_stack: false
    .vgpr_count:     0
    .vgpr_spill_count: 0
    .wavefront_size: 64
  - .agpr_count:     0
    .args:
      - .offset:         0
        .size:           48
        .value_kind:     by_value
    .group_segment_fixed_size: 0
    .kernarg_segment_align: 8
    .kernarg_segment_size: 48
    .language:       OpenCL C
    .language_version:
      - 2
      - 0
    .max_flat_workgroup_size: 256
    .name:           _ZN7rocprim17ROCPRIM_400000_NS6detail17trampoline_kernelINS0_13kernel_configILj256ELj4ELj4294967295EEENS1_37radix_sort_block_sort_config_selectorItNS0_10empty_typeEEEZNS1_21radix_sort_block_sortIS4_Lb1EPtS9_PS6_SA_NS0_19identity_decomposerEEE10hipError_tT1_T2_T3_T4_jRjT5_jjP12ihipStream_tbEUlT_E_NS1_11comp_targetILNS1_3genE8ELNS1_11target_archE1030ELNS1_3gpuE2ELNS1_3repE0EEENS1_44radix_sort_block_sort_config_static_selectorELNS0_4arch9wavefront6targetE1EEEvSD_
    .private_segment_fixed_size: 0
    .sgpr_count:     4
    .sgpr_spill_count: 0
    .symbol:         _ZN7rocprim17ROCPRIM_400000_NS6detail17trampoline_kernelINS0_13kernel_configILj256ELj4ELj4294967295EEENS1_37radix_sort_block_sort_config_selectorItNS0_10empty_typeEEEZNS1_21radix_sort_block_sortIS4_Lb1EPtS9_PS6_SA_NS0_19identity_decomposerEEE10hipError_tT1_T2_T3_T4_jRjT5_jjP12ihipStream_tbEUlT_E_NS1_11comp_targetILNS1_3genE8ELNS1_11target_archE1030ELNS1_3gpuE2ELNS1_3repE0EEENS1_44radix_sort_block_sort_config_static_selectorELNS0_4arch9wavefront6targetE1EEEvSD_.kd
    .uniform_work_group_size: 1
    .uses_dynamic_stack: false
    .vgpr_count:     0
    .vgpr_spill_count: 0
    .wavefront_size: 64
  - .agpr_count:     0
    .args:
      - .offset:         0
        .size:           40
        .value_kind:     by_value
    .group_segment_fixed_size: 0
    .kernarg_segment_align: 8
    .kernarg_segment_size: 40
    .language:       OpenCL C
    .language_version:
      - 2
      - 0
    .max_flat_workgroup_size: 128
    .name:           _ZN7rocprim17ROCPRIM_400000_NS6detail17trampoline_kernelINS0_14default_configENS1_38merge_sort_block_merge_config_selectorItNS0_10empty_typeEEEZZNS1_27merge_sort_block_merge_implIS3_PtPS5_jNS1_19radix_merge_compareILb1ELb0EtNS0_19identity_decomposerEEEEE10hipError_tT0_T1_T2_jT3_P12ihipStream_tbPNSt15iterator_traitsISE_E10value_typeEPNSK_ISF_E10value_typeEPSG_NS1_7vsmem_tEENKUlT_SE_SF_SG_E_clIS8_S8_S9_S9_EESD_ST_SE_SF_SG_EUlST_E_NS1_11comp_targetILNS1_3genE0ELNS1_11target_archE4294967295ELNS1_3gpuE0ELNS1_3repE0EEENS1_48merge_mergepath_partition_config_static_selectorELNS0_4arch9wavefront6targetE1EEEvSF_
    .private_segment_fixed_size: 0
    .sgpr_count:     4
    .sgpr_spill_count: 0
    .symbol:         _ZN7rocprim17ROCPRIM_400000_NS6detail17trampoline_kernelINS0_14default_configENS1_38merge_sort_block_merge_config_selectorItNS0_10empty_typeEEEZZNS1_27merge_sort_block_merge_implIS3_PtPS5_jNS1_19radix_merge_compareILb1ELb0EtNS0_19identity_decomposerEEEEE10hipError_tT0_T1_T2_jT3_P12ihipStream_tbPNSt15iterator_traitsISE_E10value_typeEPNSK_ISF_E10value_typeEPSG_NS1_7vsmem_tEENKUlT_SE_SF_SG_E_clIS8_S8_S9_S9_EESD_ST_SE_SF_SG_EUlST_E_NS1_11comp_targetILNS1_3genE0ELNS1_11target_archE4294967295ELNS1_3gpuE0ELNS1_3repE0EEENS1_48merge_mergepath_partition_config_static_selectorELNS0_4arch9wavefront6targetE1EEEvSF_.kd
    .uniform_work_group_size: 1
    .uses_dynamic_stack: false
    .vgpr_count:     0
    .vgpr_spill_count: 0
    .wavefront_size: 64
  - .agpr_count:     0
    .args:
      - .offset:         0
        .size:           40
        .value_kind:     by_value
    .group_segment_fixed_size: 0
    .kernarg_segment_align: 8
    .kernarg_segment_size: 40
    .language:       OpenCL C
    .language_version:
      - 2
      - 0
    .max_flat_workgroup_size: 128
    .name:           _ZN7rocprim17ROCPRIM_400000_NS6detail17trampoline_kernelINS0_14default_configENS1_38merge_sort_block_merge_config_selectorItNS0_10empty_typeEEEZZNS1_27merge_sort_block_merge_implIS3_PtPS5_jNS1_19radix_merge_compareILb1ELb0EtNS0_19identity_decomposerEEEEE10hipError_tT0_T1_T2_jT3_P12ihipStream_tbPNSt15iterator_traitsISE_E10value_typeEPNSK_ISF_E10value_typeEPSG_NS1_7vsmem_tEENKUlT_SE_SF_SG_E_clIS8_S8_S9_S9_EESD_ST_SE_SF_SG_EUlST_E_NS1_11comp_targetILNS1_3genE10ELNS1_11target_archE1201ELNS1_3gpuE5ELNS1_3repE0EEENS1_48merge_mergepath_partition_config_static_selectorELNS0_4arch9wavefront6targetE1EEEvSF_
    .private_segment_fixed_size: 0
    .sgpr_count:     4
    .sgpr_spill_count: 0
    .symbol:         _ZN7rocprim17ROCPRIM_400000_NS6detail17trampoline_kernelINS0_14default_configENS1_38merge_sort_block_merge_config_selectorItNS0_10empty_typeEEEZZNS1_27merge_sort_block_merge_implIS3_PtPS5_jNS1_19radix_merge_compareILb1ELb0EtNS0_19identity_decomposerEEEEE10hipError_tT0_T1_T2_jT3_P12ihipStream_tbPNSt15iterator_traitsISE_E10value_typeEPNSK_ISF_E10value_typeEPSG_NS1_7vsmem_tEENKUlT_SE_SF_SG_E_clIS8_S8_S9_S9_EESD_ST_SE_SF_SG_EUlST_E_NS1_11comp_targetILNS1_3genE10ELNS1_11target_archE1201ELNS1_3gpuE5ELNS1_3repE0EEENS1_48merge_mergepath_partition_config_static_selectorELNS0_4arch9wavefront6targetE1EEEvSF_.kd
    .uniform_work_group_size: 1
    .uses_dynamic_stack: false
    .vgpr_count:     0
    .vgpr_spill_count: 0
    .wavefront_size: 64
  - .agpr_count:     0
    .args:
      - .offset:         0
        .size:           40
        .value_kind:     by_value
    .group_segment_fixed_size: 0
    .kernarg_segment_align: 8
    .kernarg_segment_size: 40
    .language:       OpenCL C
    .language_version:
      - 2
      - 0
    .max_flat_workgroup_size: 128
    .name:           _ZN7rocprim17ROCPRIM_400000_NS6detail17trampoline_kernelINS0_14default_configENS1_38merge_sort_block_merge_config_selectorItNS0_10empty_typeEEEZZNS1_27merge_sort_block_merge_implIS3_PtPS5_jNS1_19radix_merge_compareILb1ELb0EtNS0_19identity_decomposerEEEEE10hipError_tT0_T1_T2_jT3_P12ihipStream_tbPNSt15iterator_traitsISE_E10value_typeEPNSK_ISF_E10value_typeEPSG_NS1_7vsmem_tEENKUlT_SE_SF_SG_E_clIS8_S8_S9_S9_EESD_ST_SE_SF_SG_EUlST_E_NS1_11comp_targetILNS1_3genE5ELNS1_11target_archE942ELNS1_3gpuE9ELNS1_3repE0EEENS1_48merge_mergepath_partition_config_static_selectorELNS0_4arch9wavefront6targetE1EEEvSF_
    .private_segment_fixed_size: 0
    .sgpr_count:     4
    .sgpr_spill_count: 0
    .symbol:         _ZN7rocprim17ROCPRIM_400000_NS6detail17trampoline_kernelINS0_14default_configENS1_38merge_sort_block_merge_config_selectorItNS0_10empty_typeEEEZZNS1_27merge_sort_block_merge_implIS3_PtPS5_jNS1_19radix_merge_compareILb1ELb0EtNS0_19identity_decomposerEEEEE10hipError_tT0_T1_T2_jT3_P12ihipStream_tbPNSt15iterator_traitsISE_E10value_typeEPNSK_ISF_E10value_typeEPSG_NS1_7vsmem_tEENKUlT_SE_SF_SG_E_clIS8_S8_S9_S9_EESD_ST_SE_SF_SG_EUlST_E_NS1_11comp_targetILNS1_3genE5ELNS1_11target_archE942ELNS1_3gpuE9ELNS1_3repE0EEENS1_48merge_mergepath_partition_config_static_selectorELNS0_4arch9wavefront6targetE1EEEvSF_.kd
    .uniform_work_group_size: 1
    .uses_dynamic_stack: false
    .vgpr_count:     0
    .vgpr_spill_count: 0
    .wavefront_size: 64
  - .agpr_count:     0
    .args:
      - .offset:         0
        .size:           40
        .value_kind:     by_value
    .group_segment_fixed_size: 0
    .kernarg_segment_align: 8
    .kernarg_segment_size: 40
    .language:       OpenCL C
    .language_version:
      - 2
      - 0
    .max_flat_workgroup_size: 128
    .name:           _ZN7rocprim17ROCPRIM_400000_NS6detail17trampoline_kernelINS0_14default_configENS1_38merge_sort_block_merge_config_selectorItNS0_10empty_typeEEEZZNS1_27merge_sort_block_merge_implIS3_PtPS5_jNS1_19radix_merge_compareILb1ELb0EtNS0_19identity_decomposerEEEEE10hipError_tT0_T1_T2_jT3_P12ihipStream_tbPNSt15iterator_traitsISE_E10value_typeEPNSK_ISF_E10value_typeEPSG_NS1_7vsmem_tEENKUlT_SE_SF_SG_E_clIS8_S8_S9_S9_EESD_ST_SE_SF_SG_EUlST_E_NS1_11comp_targetILNS1_3genE4ELNS1_11target_archE910ELNS1_3gpuE8ELNS1_3repE0EEENS1_48merge_mergepath_partition_config_static_selectorELNS0_4arch9wavefront6targetE1EEEvSF_
    .private_segment_fixed_size: 0
    .sgpr_count:     12
    .sgpr_spill_count: 0
    .symbol:         _ZN7rocprim17ROCPRIM_400000_NS6detail17trampoline_kernelINS0_14default_configENS1_38merge_sort_block_merge_config_selectorItNS0_10empty_typeEEEZZNS1_27merge_sort_block_merge_implIS3_PtPS5_jNS1_19radix_merge_compareILb1ELb0EtNS0_19identity_decomposerEEEEE10hipError_tT0_T1_T2_jT3_P12ihipStream_tbPNSt15iterator_traitsISE_E10value_typeEPNSK_ISF_E10value_typeEPSG_NS1_7vsmem_tEENKUlT_SE_SF_SG_E_clIS8_S8_S9_S9_EESD_ST_SE_SF_SG_EUlST_E_NS1_11comp_targetILNS1_3genE4ELNS1_11target_archE910ELNS1_3gpuE8ELNS1_3repE0EEENS1_48merge_mergepath_partition_config_static_selectorELNS0_4arch9wavefront6targetE1EEEvSF_.kd
    .uniform_work_group_size: 1
    .uses_dynamic_stack: false
    .vgpr_count:     15
    .vgpr_spill_count: 0
    .wavefront_size: 64
  - .agpr_count:     0
    .args:
      - .offset:         0
        .size:           40
        .value_kind:     by_value
    .group_segment_fixed_size: 0
    .kernarg_segment_align: 8
    .kernarg_segment_size: 40
    .language:       OpenCL C
    .language_version:
      - 2
      - 0
    .max_flat_workgroup_size: 128
    .name:           _ZN7rocprim17ROCPRIM_400000_NS6detail17trampoline_kernelINS0_14default_configENS1_38merge_sort_block_merge_config_selectorItNS0_10empty_typeEEEZZNS1_27merge_sort_block_merge_implIS3_PtPS5_jNS1_19radix_merge_compareILb1ELb0EtNS0_19identity_decomposerEEEEE10hipError_tT0_T1_T2_jT3_P12ihipStream_tbPNSt15iterator_traitsISE_E10value_typeEPNSK_ISF_E10value_typeEPSG_NS1_7vsmem_tEENKUlT_SE_SF_SG_E_clIS8_S8_S9_S9_EESD_ST_SE_SF_SG_EUlST_E_NS1_11comp_targetILNS1_3genE3ELNS1_11target_archE908ELNS1_3gpuE7ELNS1_3repE0EEENS1_48merge_mergepath_partition_config_static_selectorELNS0_4arch9wavefront6targetE1EEEvSF_
    .private_segment_fixed_size: 0
    .sgpr_count:     4
    .sgpr_spill_count: 0
    .symbol:         _ZN7rocprim17ROCPRIM_400000_NS6detail17trampoline_kernelINS0_14default_configENS1_38merge_sort_block_merge_config_selectorItNS0_10empty_typeEEEZZNS1_27merge_sort_block_merge_implIS3_PtPS5_jNS1_19radix_merge_compareILb1ELb0EtNS0_19identity_decomposerEEEEE10hipError_tT0_T1_T2_jT3_P12ihipStream_tbPNSt15iterator_traitsISE_E10value_typeEPNSK_ISF_E10value_typeEPSG_NS1_7vsmem_tEENKUlT_SE_SF_SG_E_clIS8_S8_S9_S9_EESD_ST_SE_SF_SG_EUlST_E_NS1_11comp_targetILNS1_3genE3ELNS1_11target_archE908ELNS1_3gpuE7ELNS1_3repE0EEENS1_48merge_mergepath_partition_config_static_selectorELNS0_4arch9wavefront6targetE1EEEvSF_.kd
    .uniform_work_group_size: 1
    .uses_dynamic_stack: false
    .vgpr_count:     0
    .vgpr_spill_count: 0
    .wavefront_size: 64
  - .agpr_count:     0
    .args:
      - .offset:         0
        .size:           40
        .value_kind:     by_value
    .group_segment_fixed_size: 0
    .kernarg_segment_align: 8
    .kernarg_segment_size: 40
    .language:       OpenCL C
    .language_version:
      - 2
      - 0
    .max_flat_workgroup_size: 128
    .name:           _ZN7rocprim17ROCPRIM_400000_NS6detail17trampoline_kernelINS0_14default_configENS1_38merge_sort_block_merge_config_selectorItNS0_10empty_typeEEEZZNS1_27merge_sort_block_merge_implIS3_PtPS5_jNS1_19radix_merge_compareILb1ELb0EtNS0_19identity_decomposerEEEEE10hipError_tT0_T1_T2_jT3_P12ihipStream_tbPNSt15iterator_traitsISE_E10value_typeEPNSK_ISF_E10value_typeEPSG_NS1_7vsmem_tEENKUlT_SE_SF_SG_E_clIS8_S8_S9_S9_EESD_ST_SE_SF_SG_EUlST_E_NS1_11comp_targetILNS1_3genE2ELNS1_11target_archE906ELNS1_3gpuE6ELNS1_3repE0EEENS1_48merge_mergepath_partition_config_static_selectorELNS0_4arch9wavefront6targetE1EEEvSF_
    .private_segment_fixed_size: 0
    .sgpr_count:     4
    .sgpr_spill_count: 0
    .symbol:         _ZN7rocprim17ROCPRIM_400000_NS6detail17trampoline_kernelINS0_14default_configENS1_38merge_sort_block_merge_config_selectorItNS0_10empty_typeEEEZZNS1_27merge_sort_block_merge_implIS3_PtPS5_jNS1_19radix_merge_compareILb1ELb0EtNS0_19identity_decomposerEEEEE10hipError_tT0_T1_T2_jT3_P12ihipStream_tbPNSt15iterator_traitsISE_E10value_typeEPNSK_ISF_E10value_typeEPSG_NS1_7vsmem_tEENKUlT_SE_SF_SG_E_clIS8_S8_S9_S9_EESD_ST_SE_SF_SG_EUlST_E_NS1_11comp_targetILNS1_3genE2ELNS1_11target_archE906ELNS1_3gpuE6ELNS1_3repE0EEENS1_48merge_mergepath_partition_config_static_selectorELNS0_4arch9wavefront6targetE1EEEvSF_.kd
    .uniform_work_group_size: 1
    .uses_dynamic_stack: false
    .vgpr_count:     0
    .vgpr_spill_count: 0
    .wavefront_size: 64
  - .agpr_count:     0
    .args:
      - .offset:         0
        .size:           40
        .value_kind:     by_value
    .group_segment_fixed_size: 0
    .kernarg_segment_align: 8
    .kernarg_segment_size: 40
    .language:       OpenCL C
    .language_version:
      - 2
      - 0
    .max_flat_workgroup_size: 128
    .name:           _ZN7rocprim17ROCPRIM_400000_NS6detail17trampoline_kernelINS0_14default_configENS1_38merge_sort_block_merge_config_selectorItNS0_10empty_typeEEEZZNS1_27merge_sort_block_merge_implIS3_PtPS5_jNS1_19radix_merge_compareILb1ELb0EtNS0_19identity_decomposerEEEEE10hipError_tT0_T1_T2_jT3_P12ihipStream_tbPNSt15iterator_traitsISE_E10value_typeEPNSK_ISF_E10value_typeEPSG_NS1_7vsmem_tEENKUlT_SE_SF_SG_E_clIS8_S8_S9_S9_EESD_ST_SE_SF_SG_EUlST_E_NS1_11comp_targetILNS1_3genE9ELNS1_11target_archE1100ELNS1_3gpuE3ELNS1_3repE0EEENS1_48merge_mergepath_partition_config_static_selectorELNS0_4arch9wavefront6targetE1EEEvSF_
    .private_segment_fixed_size: 0
    .sgpr_count:     4
    .sgpr_spill_count: 0
    .symbol:         _ZN7rocprim17ROCPRIM_400000_NS6detail17trampoline_kernelINS0_14default_configENS1_38merge_sort_block_merge_config_selectorItNS0_10empty_typeEEEZZNS1_27merge_sort_block_merge_implIS3_PtPS5_jNS1_19radix_merge_compareILb1ELb0EtNS0_19identity_decomposerEEEEE10hipError_tT0_T1_T2_jT3_P12ihipStream_tbPNSt15iterator_traitsISE_E10value_typeEPNSK_ISF_E10value_typeEPSG_NS1_7vsmem_tEENKUlT_SE_SF_SG_E_clIS8_S8_S9_S9_EESD_ST_SE_SF_SG_EUlST_E_NS1_11comp_targetILNS1_3genE9ELNS1_11target_archE1100ELNS1_3gpuE3ELNS1_3repE0EEENS1_48merge_mergepath_partition_config_static_selectorELNS0_4arch9wavefront6targetE1EEEvSF_.kd
    .uniform_work_group_size: 1
    .uses_dynamic_stack: false
    .vgpr_count:     0
    .vgpr_spill_count: 0
    .wavefront_size: 64
  - .agpr_count:     0
    .args:
      - .offset:         0
        .size:           40
        .value_kind:     by_value
    .group_segment_fixed_size: 0
    .kernarg_segment_align: 8
    .kernarg_segment_size: 40
    .language:       OpenCL C
    .language_version:
      - 2
      - 0
    .max_flat_workgroup_size: 128
    .name:           _ZN7rocprim17ROCPRIM_400000_NS6detail17trampoline_kernelINS0_14default_configENS1_38merge_sort_block_merge_config_selectorItNS0_10empty_typeEEEZZNS1_27merge_sort_block_merge_implIS3_PtPS5_jNS1_19radix_merge_compareILb1ELb0EtNS0_19identity_decomposerEEEEE10hipError_tT0_T1_T2_jT3_P12ihipStream_tbPNSt15iterator_traitsISE_E10value_typeEPNSK_ISF_E10value_typeEPSG_NS1_7vsmem_tEENKUlT_SE_SF_SG_E_clIS8_S8_S9_S9_EESD_ST_SE_SF_SG_EUlST_E_NS1_11comp_targetILNS1_3genE8ELNS1_11target_archE1030ELNS1_3gpuE2ELNS1_3repE0EEENS1_48merge_mergepath_partition_config_static_selectorELNS0_4arch9wavefront6targetE1EEEvSF_
    .private_segment_fixed_size: 0
    .sgpr_count:     4
    .sgpr_spill_count: 0
    .symbol:         _ZN7rocprim17ROCPRIM_400000_NS6detail17trampoline_kernelINS0_14default_configENS1_38merge_sort_block_merge_config_selectorItNS0_10empty_typeEEEZZNS1_27merge_sort_block_merge_implIS3_PtPS5_jNS1_19radix_merge_compareILb1ELb0EtNS0_19identity_decomposerEEEEE10hipError_tT0_T1_T2_jT3_P12ihipStream_tbPNSt15iterator_traitsISE_E10value_typeEPNSK_ISF_E10value_typeEPSG_NS1_7vsmem_tEENKUlT_SE_SF_SG_E_clIS8_S8_S9_S9_EESD_ST_SE_SF_SG_EUlST_E_NS1_11comp_targetILNS1_3genE8ELNS1_11target_archE1030ELNS1_3gpuE2ELNS1_3repE0EEENS1_48merge_mergepath_partition_config_static_selectorELNS0_4arch9wavefront6targetE1EEEvSF_.kd
    .uniform_work_group_size: 1
    .uses_dynamic_stack: false
    .vgpr_count:     0
    .vgpr_spill_count: 0
    .wavefront_size: 64
  - .agpr_count:     0
    .args:
      - .offset:         0
        .size:           64
        .value_kind:     by_value
    .group_segment_fixed_size: 0
    .kernarg_segment_align: 8
    .kernarg_segment_size: 64
    .language:       OpenCL C
    .language_version:
      - 2
      - 0
    .max_flat_workgroup_size: 128
    .name:           _ZN7rocprim17ROCPRIM_400000_NS6detail17trampoline_kernelINS0_14default_configENS1_38merge_sort_block_merge_config_selectorItNS0_10empty_typeEEEZZNS1_27merge_sort_block_merge_implIS3_PtPS5_jNS1_19radix_merge_compareILb1ELb0EtNS0_19identity_decomposerEEEEE10hipError_tT0_T1_T2_jT3_P12ihipStream_tbPNSt15iterator_traitsISE_E10value_typeEPNSK_ISF_E10value_typeEPSG_NS1_7vsmem_tEENKUlT_SE_SF_SG_E_clIS8_S8_S9_S9_EESD_ST_SE_SF_SG_EUlST_E0_NS1_11comp_targetILNS1_3genE0ELNS1_11target_archE4294967295ELNS1_3gpuE0ELNS1_3repE0EEENS1_38merge_mergepath_config_static_selectorELNS0_4arch9wavefront6targetE1EEEvSF_
    .private_segment_fixed_size: 0
    .sgpr_count:     4
    .sgpr_spill_count: 0
    .symbol:         _ZN7rocprim17ROCPRIM_400000_NS6detail17trampoline_kernelINS0_14default_configENS1_38merge_sort_block_merge_config_selectorItNS0_10empty_typeEEEZZNS1_27merge_sort_block_merge_implIS3_PtPS5_jNS1_19radix_merge_compareILb1ELb0EtNS0_19identity_decomposerEEEEE10hipError_tT0_T1_T2_jT3_P12ihipStream_tbPNSt15iterator_traitsISE_E10value_typeEPNSK_ISF_E10value_typeEPSG_NS1_7vsmem_tEENKUlT_SE_SF_SG_E_clIS8_S8_S9_S9_EESD_ST_SE_SF_SG_EUlST_E0_NS1_11comp_targetILNS1_3genE0ELNS1_11target_archE4294967295ELNS1_3gpuE0ELNS1_3repE0EEENS1_38merge_mergepath_config_static_selectorELNS0_4arch9wavefront6targetE1EEEvSF_.kd
    .uniform_work_group_size: 1
    .uses_dynamic_stack: false
    .vgpr_count:     0
    .vgpr_spill_count: 0
    .wavefront_size: 64
  - .agpr_count:     0
    .args:
      - .offset:         0
        .size:           64
        .value_kind:     by_value
    .group_segment_fixed_size: 0
    .kernarg_segment_align: 8
    .kernarg_segment_size: 64
    .language:       OpenCL C
    .language_version:
      - 2
      - 0
    .max_flat_workgroup_size: 128
    .name:           _ZN7rocprim17ROCPRIM_400000_NS6detail17trampoline_kernelINS0_14default_configENS1_38merge_sort_block_merge_config_selectorItNS0_10empty_typeEEEZZNS1_27merge_sort_block_merge_implIS3_PtPS5_jNS1_19radix_merge_compareILb1ELb0EtNS0_19identity_decomposerEEEEE10hipError_tT0_T1_T2_jT3_P12ihipStream_tbPNSt15iterator_traitsISE_E10value_typeEPNSK_ISF_E10value_typeEPSG_NS1_7vsmem_tEENKUlT_SE_SF_SG_E_clIS8_S8_S9_S9_EESD_ST_SE_SF_SG_EUlST_E0_NS1_11comp_targetILNS1_3genE10ELNS1_11target_archE1201ELNS1_3gpuE5ELNS1_3repE0EEENS1_38merge_mergepath_config_static_selectorELNS0_4arch9wavefront6targetE1EEEvSF_
    .private_segment_fixed_size: 0
    .sgpr_count:     4
    .sgpr_spill_count: 0
    .symbol:         _ZN7rocprim17ROCPRIM_400000_NS6detail17trampoline_kernelINS0_14default_configENS1_38merge_sort_block_merge_config_selectorItNS0_10empty_typeEEEZZNS1_27merge_sort_block_merge_implIS3_PtPS5_jNS1_19radix_merge_compareILb1ELb0EtNS0_19identity_decomposerEEEEE10hipError_tT0_T1_T2_jT3_P12ihipStream_tbPNSt15iterator_traitsISE_E10value_typeEPNSK_ISF_E10value_typeEPSG_NS1_7vsmem_tEENKUlT_SE_SF_SG_E_clIS8_S8_S9_S9_EESD_ST_SE_SF_SG_EUlST_E0_NS1_11comp_targetILNS1_3genE10ELNS1_11target_archE1201ELNS1_3gpuE5ELNS1_3repE0EEENS1_38merge_mergepath_config_static_selectorELNS0_4arch9wavefront6targetE1EEEvSF_.kd
    .uniform_work_group_size: 1
    .uses_dynamic_stack: false
    .vgpr_count:     0
    .vgpr_spill_count: 0
    .wavefront_size: 64
  - .agpr_count:     0
    .args:
      - .offset:         0
        .size:           64
        .value_kind:     by_value
    .group_segment_fixed_size: 0
    .kernarg_segment_align: 8
    .kernarg_segment_size: 64
    .language:       OpenCL C
    .language_version:
      - 2
      - 0
    .max_flat_workgroup_size: 128
    .name:           _ZN7rocprim17ROCPRIM_400000_NS6detail17trampoline_kernelINS0_14default_configENS1_38merge_sort_block_merge_config_selectorItNS0_10empty_typeEEEZZNS1_27merge_sort_block_merge_implIS3_PtPS5_jNS1_19radix_merge_compareILb1ELb0EtNS0_19identity_decomposerEEEEE10hipError_tT0_T1_T2_jT3_P12ihipStream_tbPNSt15iterator_traitsISE_E10value_typeEPNSK_ISF_E10value_typeEPSG_NS1_7vsmem_tEENKUlT_SE_SF_SG_E_clIS8_S8_S9_S9_EESD_ST_SE_SF_SG_EUlST_E0_NS1_11comp_targetILNS1_3genE5ELNS1_11target_archE942ELNS1_3gpuE9ELNS1_3repE0EEENS1_38merge_mergepath_config_static_selectorELNS0_4arch9wavefront6targetE1EEEvSF_
    .private_segment_fixed_size: 0
    .sgpr_count:     4
    .sgpr_spill_count: 0
    .symbol:         _ZN7rocprim17ROCPRIM_400000_NS6detail17trampoline_kernelINS0_14default_configENS1_38merge_sort_block_merge_config_selectorItNS0_10empty_typeEEEZZNS1_27merge_sort_block_merge_implIS3_PtPS5_jNS1_19radix_merge_compareILb1ELb0EtNS0_19identity_decomposerEEEEE10hipError_tT0_T1_T2_jT3_P12ihipStream_tbPNSt15iterator_traitsISE_E10value_typeEPNSK_ISF_E10value_typeEPSG_NS1_7vsmem_tEENKUlT_SE_SF_SG_E_clIS8_S8_S9_S9_EESD_ST_SE_SF_SG_EUlST_E0_NS1_11comp_targetILNS1_3genE5ELNS1_11target_archE942ELNS1_3gpuE9ELNS1_3repE0EEENS1_38merge_mergepath_config_static_selectorELNS0_4arch9wavefront6targetE1EEEvSF_.kd
    .uniform_work_group_size: 1
    .uses_dynamic_stack: false
    .vgpr_count:     0
    .vgpr_spill_count: 0
    .wavefront_size: 64
  - .agpr_count:     0
    .args:
      - .offset:         0
        .size:           64
        .value_kind:     by_value
      - .offset:         64
        .size:           4
        .value_kind:     hidden_block_count_x
      - .offset:         68
        .size:           4
        .value_kind:     hidden_block_count_y
      - .offset:         72
        .size:           4
        .value_kind:     hidden_block_count_z
      - .offset:         76
        .size:           2
        .value_kind:     hidden_group_size_x
      - .offset:         78
        .size:           2
        .value_kind:     hidden_group_size_y
      - .offset:         80
        .size:           2
        .value_kind:     hidden_group_size_z
      - .offset:         82
        .size:           2
        .value_kind:     hidden_remainder_x
      - .offset:         84
        .size:           2
        .value_kind:     hidden_remainder_y
      - .offset:         86
        .size:           2
        .value_kind:     hidden_remainder_z
      - .offset:         104
        .size:           8
        .value_kind:     hidden_global_offset_x
      - .offset:         112
        .size:           8
        .value_kind:     hidden_global_offset_y
      - .offset:         120
        .size:           8
        .value_kind:     hidden_global_offset_z
      - .offset:         128
        .size:           2
        .value_kind:     hidden_grid_dims
    .group_segment_fixed_size: 2112
    .kernarg_segment_align: 8
    .kernarg_segment_size: 320
    .language:       OpenCL C
    .language_version:
      - 2
      - 0
    .max_flat_workgroup_size: 128
    .name:           _ZN7rocprim17ROCPRIM_400000_NS6detail17trampoline_kernelINS0_14default_configENS1_38merge_sort_block_merge_config_selectorItNS0_10empty_typeEEEZZNS1_27merge_sort_block_merge_implIS3_PtPS5_jNS1_19radix_merge_compareILb1ELb0EtNS0_19identity_decomposerEEEEE10hipError_tT0_T1_T2_jT3_P12ihipStream_tbPNSt15iterator_traitsISE_E10value_typeEPNSK_ISF_E10value_typeEPSG_NS1_7vsmem_tEENKUlT_SE_SF_SG_E_clIS8_S8_S9_S9_EESD_ST_SE_SF_SG_EUlST_E0_NS1_11comp_targetILNS1_3genE4ELNS1_11target_archE910ELNS1_3gpuE8ELNS1_3repE0EEENS1_38merge_mergepath_config_static_selectorELNS0_4arch9wavefront6targetE1EEEvSF_
    .private_segment_fixed_size: 0
    .sgpr_count:     28
    .sgpr_spill_count: 0
    .symbol:         _ZN7rocprim17ROCPRIM_400000_NS6detail17trampoline_kernelINS0_14default_configENS1_38merge_sort_block_merge_config_selectorItNS0_10empty_typeEEEZZNS1_27merge_sort_block_merge_implIS3_PtPS5_jNS1_19radix_merge_compareILb1ELb0EtNS0_19identity_decomposerEEEEE10hipError_tT0_T1_T2_jT3_P12ihipStream_tbPNSt15iterator_traitsISE_E10value_typeEPNSK_ISF_E10value_typeEPSG_NS1_7vsmem_tEENKUlT_SE_SF_SG_E_clIS8_S8_S9_S9_EESD_ST_SE_SF_SG_EUlST_E0_NS1_11comp_targetILNS1_3genE4ELNS1_11target_archE910ELNS1_3gpuE8ELNS1_3repE0EEENS1_38merge_mergepath_config_static_selectorELNS0_4arch9wavefront6targetE1EEEvSF_.kd
    .uniform_work_group_size: 1
    .uses_dynamic_stack: false
    .vgpr_count:     26
    .vgpr_spill_count: 0
    .wavefront_size: 64
  - .agpr_count:     0
    .args:
      - .offset:         0
        .size:           64
        .value_kind:     by_value
    .group_segment_fixed_size: 0
    .kernarg_segment_align: 8
    .kernarg_segment_size: 64
    .language:       OpenCL C
    .language_version:
      - 2
      - 0
    .max_flat_workgroup_size: 128
    .name:           _ZN7rocprim17ROCPRIM_400000_NS6detail17trampoline_kernelINS0_14default_configENS1_38merge_sort_block_merge_config_selectorItNS0_10empty_typeEEEZZNS1_27merge_sort_block_merge_implIS3_PtPS5_jNS1_19radix_merge_compareILb1ELb0EtNS0_19identity_decomposerEEEEE10hipError_tT0_T1_T2_jT3_P12ihipStream_tbPNSt15iterator_traitsISE_E10value_typeEPNSK_ISF_E10value_typeEPSG_NS1_7vsmem_tEENKUlT_SE_SF_SG_E_clIS8_S8_S9_S9_EESD_ST_SE_SF_SG_EUlST_E0_NS1_11comp_targetILNS1_3genE3ELNS1_11target_archE908ELNS1_3gpuE7ELNS1_3repE0EEENS1_38merge_mergepath_config_static_selectorELNS0_4arch9wavefront6targetE1EEEvSF_
    .private_segment_fixed_size: 0
    .sgpr_count:     4
    .sgpr_spill_count: 0
    .symbol:         _ZN7rocprim17ROCPRIM_400000_NS6detail17trampoline_kernelINS0_14default_configENS1_38merge_sort_block_merge_config_selectorItNS0_10empty_typeEEEZZNS1_27merge_sort_block_merge_implIS3_PtPS5_jNS1_19radix_merge_compareILb1ELb0EtNS0_19identity_decomposerEEEEE10hipError_tT0_T1_T2_jT3_P12ihipStream_tbPNSt15iterator_traitsISE_E10value_typeEPNSK_ISF_E10value_typeEPSG_NS1_7vsmem_tEENKUlT_SE_SF_SG_E_clIS8_S8_S9_S9_EESD_ST_SE_SF_SG_EUlST_E0_NS1_11comp_targetILNS1_3genE3ELNS1_11target_archE908ELNS1_3gpuE7ELNS1_3repE0EEENS1_38merge_mergepath_config_static_selectorELNS0_4arch9wavefront6targetE1EEEvSF_.kd
    .uniform_work_group_size: 1
    .uses_dynamic_stack: false
    .vgpr_count:     0
    .vgpr_spill_count: 0
    .wavefront_size: 64
  - .agpr_count:     0
    .args:
      - .offset:         0
        .size:           64
        .value_kind:     by_value
    .group_segment_fixed_size: 0
    .kernarg_segment_align: 8
    .kernarg_segment_size: 64
    .language:       OpenCL C
    .language_version:
      - 2
      - 0
    .max_flat_workgroup_size: 128
    .name:           _ZN7rocprim17ROCPRIM_400000_NS6detail17trampoline_kernelINS0_14default_configENS1_38merge_sort_block_merge_config_selectorItNS0_10empty_typeEEEZZNS1_27merge_sort_block_merge_implIS3_PtPS5_jNS1_19radix_merge_compareILb1ELb0EtNS0_19identity_decomposerEEEEE10hipError_tT0_T1_T2_jT3_P12ihipStream_tbPNSt15iterator_traitsISE_E10value_typeEPNSK_ISF_E10value_typeEPSG_NS1_7vsmem_tEENKUlT_SE_SF_SG_E_clIS8_S8_S9_S9_EESD_ST_SE_SF_SG_EUlST_E0_NS1_11comp_targetILNS1_3genE2ELNS1_11target_archE906ELNS1_3gpuE6ELNS1_3repE0EEENS1_38merge_mergepath_config_static_selectorELNS0_4arch9wavefront6targetE1EEEvSF_
    .private_segment_fixed_size: 0
    .sgpr_count:     4
    .sgpr_spill_count: 0
    .symbol:         _ZN7rocprim17ROCPRIM_400000_NS6detail17trampoline_kernelINS0_14default_configENS1_38merge_sort_block_merge_config_selectorItNS0_10empty_typeEEEZZNS1_27merge_sort_block_merge_implIS3_PtPS5_jNS1_19radix_merge_compareILb1ELb0EtNS0_19identity_decomposerEEEEE10hipError_tT0_T1_T2_jT3_P12ihipStream_tbPNSt15iterator_traitsISE_E10value_typeEPNSK_ISF_E10value_typeEPSG_NS1_7vsmem_tEENKUlT_SE_SF_SG_E_clIS8_S8_S9_S9_EESD_ST_SE_SF_SG_EUlST_E0_NS1_11comp_targetILNS1_3genE2ELNS1_11target_archE906ELNS1_3gpuE6ELNS1_3repE0EEENS1_38merge_mergepath_config_static_selectorELNS0_4arch9wavefront6targetE1EEEvSF_.kd
    .uniform_work_group_size: 1
    .uses_dynamic_stack: false
    .vgpr_count:     0
    .vgpr_spill_count: 0
    .wavefront_size: 64
  - .agpr_count:     0
    .args:
      - .offset:         0
        .size:           64
        .value_kind:     by_value
    .group_segment_fixed_size: 0
    .kernarg_segment_align: 8
    .kernarg_segment_size: 64
    .language:       OpenCL C
    .language_version:
      - 2
      - 0
    .max_flat_workgroup_size: 128
    .name:           _ZN7rocprim17ROCPRIM_400000_NS6detail17trampoline_kernelINS0_14default_configENS1_38merge_sort_block_merge_config_selectorItNS0_10empty_typeEEEZZNS1_27merge_sort_block_merge_implIS3_PtPS5_jNS1_19radix_merge_compareILb1ELb0EtNS0_19identity_decomposerEEEEE10hipError_tT0_T1_T2_jT3_P12ihipStream_tbPNSt15iterator_traitsISE_E10value_typeEPNSK_ISF_E10value_typeEPSG_NS1_7vsmem_tEENKUlT_SE_SF_SG_E_clIS8_S8_S9_S9_EESD_ST_SE_SF_SG_EUlST_E0_NS1_11comp_targetILNS1_3genE9ELNS1_11target_archE1100ELNS1_3gpuE3ELNS1_3repE0EEENS1_38merge_mergepath_config_static_selectorELNS0_4arch9wavefront6targetE1EEEvSF_
    .private_segment_fixed_size: 0
    .sgpr_count:     4
    .sgpr_spill_count: 0
    .symbol:         _ZN7rocprim17ROCPRIM_400000_NS6detail17trampoline_kernelINS0_14default_configENS1_38merge_sort_block_merge_config_selectorItNS0_10empty_typeEEEZZNS1_27merge_sort_block_merge_implIS3_PtPS5_jNS1_19radix_merge_compareILb1ELb0EtNS0_19identity_decomposerEEEEE10hipError_tT0_T1_T2_jT3_P12ihipStream_tbPNSt15iterator_traitsISE_E10value_typeEPNSK_ISF_E10value_typeEPSG_NS1_7vsmem_tEENKUlT_SE_SF_SG_E_clIS8_S8_S9_S9_EESD_ST_SE_SF_SG_EUlST_E0_NS1_11comp_targetILNS1_3genE9ELNS1_11target_archE1100ELNS1_3gpuE3ELNS1_3repE0EEENS1_38merge_mergepath_config_static_selectorELNS0_4arch9wavefront6targetE1EEEvSF_.kd
    .uniform_work_group_size: 1
    .uses_dynamic_stack: false
    .vgpr_count:     0
    .vgpr_spill_count: 0
    .wavefront_size: 64
  - .agpr_count:     0
    .args:
      - .offset:         0
        .size:           64
        .value_kind:     by_value
    .group_segment_fixed_size: 0
    .kernarg_segment_align: 8
    .kernarg_segment_size: 64
    .language:       OpenCL C
    .language_version:
      - 2
      - 0
    .max_flat_workgroup_size: 128
    .name:           _ZN7rocprim17ROCPRIM_400000_NS6detail17trampoline_kernelINS0_14default_configENS1_38merge_sort_block_merge_config_selectorItNS0_10empty_typeEEEZZNS1_27merge_sort_block_merge_implIS3_PtPS5_jNS1_19radix_merge_compareILb1ELb0EtNS0_19identity_decomposerEEEEE10hipError_tT0_T1_T2_jT3_P12ihipStream_tbPNSt15iterator_traitsISE_E10value_typeEPNSK_ISF_E10value_typeEPSG_NS1_7vsmem_tEENKUlT_SE_SF_SG_E_clIS8_S8_S9_S9_EESD_ST_SE_SF_SG_EUlST_E0_NS1_11comp_targetILNS1_3genE8ELNS1_11target_archE1030ELNS1_3gpuE2ELNS1_3repE0EEENS1_38merge_mergepath_config_static_selectorELNS0_4arch9wavefront6targetE1EEEvSF_
    .private_segment_fixed_size: 0
    .sgpr_count:     4
    .sgpr_spill_count: 0
    .symbol:         _ZN7rocprim17ROCPRIM_400000_NS6detail17trampoline_kernelINS0_14default_configENS1_38merge_sort_block_merge_config_selectorItNS0_10empty_typeEEEZZNS1_27merge_sort_block_merge_implIS3_PtPS5_jNS1_19radix_merge_compareILb1ELb0EtNS0_19identity_decomposerEEEEE10hipError_tT0_T1_T2_jT3_P12ihipStream_tbPNSt15iterator_traitsISE_E10value_typeEPNSK_ISF_E10value_typeEPSG_NS1_7vsmem_tEENKUlT_SE_SF_SG_E_clIS8_S8_S9_S9_EESD_ST_SE_SF_SG_EUlST_E0_NS1_11comp_targetILNS1_3genE8ELNS1_11target_archE1030ELNS1_3gpuE2ELNS1_3repE0EEENS1_38merge_mergepath_config_static_selectorELNS0_4arch9wavefront6targetE1EEEvSF_.kd
    .uniform_work_group_size: 1
    .uses_dynamic_stack: false
    .vgpr_count:     0
    .vgpr_spill_count: 0
    .wavefront_size: 64
  - .agpr_count:     0
    .args:
      - .offset:         0
        .size:           48
        .value_kind:     by_value
    .group_segment_fixed_size: 0
    .kernarg_segment_align: 8
    .kernarg_segment_size: 48
    .language:       OpenCL C
    .language_version:
      - 2
      - 0
    .max_flat_workgroup_size: 256
    .name:           _ZN7rocprim17ROCPRIM_400000_NS6detail17trampoline_kernelINS0_14default_configENS1_38merge_sort_block_merge_config_selectorItNS0_10empty_typeEEEZZNS1_27merge_sort_block_merge_implIS3_PtPS5_jNS1_19radix_merge_compareILb1ELb0EtNS0_19identity_decomposerEEEEE10hipError_tT0_T1_T2_jT3_P12ihipStream_tbPNSt15iterator_traitsISE_E10value_typeEPNSK_ISF_E10value_typeEPSG_NS1_7vsmem_tEENKUlT_SE_SF_SG_E_clIS8_S8_S9_S9_EESD_ST_SE_SF_SG_EUlST_E1_NS1_11comp_targetILNS1_3genE0ELNS1_11target_archE4294967295ELNS1_3gpuE0ELNS1_3repE0EEENS1_36merge_oddeven_config_static_selectorELNS0_4arch9wavefront6targetE1EEEvSF_
    .private_segment_fixed_size: 0
    .sgpr_count:     4
    .sgpr_spill_count: 0
    .symbol:         _ZN7rocprim17ROCPRIM_400000_NS6detail17trampoline_kernelINS0_14default_configENS1_38merge_sort_block_merge_config_selectorItNS0_10empty_typeEEEZZNS1_27merge_sort_block_merge_implIS3_PtPS5_jNS1_19radix_merge_compareILb1ELb0EtNS0_19identity_decomposerEEEEE10hipError_tT0_T1_T2_jT3_P12ihipStream_tbPNSt15iterator_traitsISE_E10value_typeEPNSK_ISF_E10value_typeEPSG_NS1_7vsmem_tEENKUlT_SE_SF_SG_E_clIS8_S8_S9_S9_EESD_ST_SE_SF_SG_EUlST_E1_NS1_11comp_targetILNS1_3genE0ELNS1_11target_archE4294967295ELNS1_3gpuE0ELNS1_3repE0EEENS1_36merge_oddeven_config_static_selectorELNS0_4arch9wavefront6targetE1EEEvSF_.kd
    .uniform_work_group_size: 1
    .uses_dynamic_stack: false
    .vgpr_count:     0
    .vgpr_spill_count: 0
    .wavefront_size: 64
  - .agpr_count:     0
    .args:
      - .offset:         0
        .size:           48
        .value_kind:     by_value
    .group_segment_fixed_size: 0
    .kernarg_segment_align: 8
    .kernarg_segment_size: 48
    .language:       OpenCL C
    .language_version:
      - 2
      - 0
    .max_flat_workgroup_size: 256
    .name:           _ZN7rocprim17ROCPRIM_400000_NS6detail17trampoline_kernelINS0_14default_configENS1_38merge_sort_block_merge_config_selectorItNS0_10empty_typeEEEZZNS1_27merge_sort_block_merge_implIS3_PtPS5_jNS1_19radix_merge_compareILb1ELb0EtNS0_19identity_decomposerEEEEE10hipError_tT0_T1_T2_jT3_P12ihipStream_tbPNSt15iterator_traitsISE_E10value_typeEPNSK_ISF_E10value_typeEPSG_NS1_7vsmem_tEENKUlT_SE_SF_SG_E_clIS8_S8_S9_S9_EESD_ST_SE_SF_SG_EUlST_E1_NS1_11comp_targetILNS1_3genE10ELNS1_11target_archE1201ELNS1_3gpuE5ELNS1_3repE0EEENS1_36merge_oddeven_config_static_selectorELNS0_4arch9wavefront6targetE1EEEvSF_
    .private_segment_fixed_size: 0
    .sgpr_count:     4
    .sgpr_spill_count: 0
    .symbol:         _ZN7rocprim17ROCPRIM_400000_NS6detail17trampoline_kernelINS0_14default_configENS1_38merge_sort_block_merge_config_selectorItNS0_10empty_typeEEEZZNS1_27merge_sort_block_merge_implIS3_PtPS5_jNS1_19radix_merge_compareILb1ELb0EtNS0_19identity_decomposerEEEEE10hipError_tT0_T1_T2_jT3_P12ihipStream_tbPNSt15iterator_traitsISE_E10value_typeEPNSK_ISF_E10value_typeEPSG_NS1_7vsmem_tEENKUlT_SE_SF_SG_E_clIS8_S8_S9_S9_EESD_ST_SE_SF_SG_EUlST_E1_NS1_11comp_targetILNS1_3genE10ELNS1_11target_archE1201ELNS1_3gpuE5ELNS1_3repE0EEENS1_36merge_oddeven_config_static_selectorELNS0_4arch9wavefront6targetE1EEEvSF_.kd
    .uniform_work_group_size: 1
    .uses_dynamic_stack: false
    .vgpr_count:     0
    .vgpr_spill_count: 0
    .wavefront_size: 64
  - .agpr_count:     0
    .args:
      - .offset:         0
        .size:           48
        .value_kind:     by_value
    .group_segment_fixed_size: 0
    .kernarg_segment_align: 8
    .kernarg_segment_size: 48
    .language:       OpenCL C
    .language_version:
      - 2
      - 0
    .max_flat_workgroup_size: 256
    .name:           _ZN7rocprim17ROCPRIM_400000_NS6detail17trampoline_kernelINS0_14default_configENS1_38merge_sort_block_merge_config_selectorItNS0_10empty_typeEEEZZNS1_27merge_sort_block_merge_implIS3_PtPS5_jNS1_19radix_merge_compareILb1ELb0EtNS0_19identity_decomposerEEEEE10hipError_tT0_T1_T2_jT3_P12ihipStream_tbPNSt15iterator_traitsISE_E10value_typeEPNSK_ISF_E10value_typeEPSG_NS1_7vsmem_tEENKUlT_SE_SF_SG_E_clIS8_S8_S9_S9_EESD_ST_SE_SF_SG_EUlST_E1_NS1_11comp_targetILNS1_3genE5ELNS1_11target_archE942ELNS1_3gpuE9ELNS1_3repE0EEENS1_36merge_oddeven_config_static_selectorELNS0_4arch9wavefront6targetE1EEEvSF_
    .private_segment_fixed_size: 0
    .sgpr_count:     4
    .sgpr_spill_count: 0
    .symbol:         _ZN7rocprim17ROCPRIM_400000_NS6detail17trampoline_kernelINS0_14default_configENS1_38merge_sort_block_merge_config_selectorItNS0_10empty_typeEEEZZNS1_27merge_sort_block_merge_implIS3_PtPS5_jNS1_19radix_merge_compareILb1ELb0EtNS0_19identity_decomposerEEEEE10hipError_tT0_T1_T2_jT3_P12ihipStream_tbPNSt15iterator_traitsISE_E10value_typeEPNSK_ISF_E10value_typeEPSG_NS1_7vsmem_tEENKUlT_SE_SF_SG_E_clIS8_S8_S9_S9_EESD_ST_SE_SF_SG_EUlST_E1_NS1_11comp_targetILNS1_3genE5ELNS1_11target_archE942ELNS1_3gpuE9ELNS1_3repE0EEENS1_36merge_oddeven_config_static_selectorELNS0_4arch9wavefront6targetE1EEEvSF_.kd
    .uniform_work_group_size: 1
    .uses_dynamic_stack: false
    .vgpr_count:     0
    .vgpr_spill_count: 0
    .wavefront_size: 64
  - .agpr_count:     0
    .args:
      - .offset:         0
        .size:           48
        .value_kind:     by_value
    .group_segment_fixed_size: 0
    .kernarg_segment_align: 8
    .kernarg_segment_size: 48
    .language:       OpenCL C
    .language_version:
      - 2
      - 0
    .max_flat_workgroup_size: 256
    .name:           _ZN7rocprim17ROCPRIM_400000_NS6detail17trampoline_kernelINS0_14default_configENS1_38merge_sort_block_merge_config_selectorItNS0_10empty_typeEEEZZNS1_27merge_sort_block_merge_implIS3_PtPS5_jNS1_19radix_merge_compareILb1ELb0EtNS0_19identity_decomposerEEEEE10hipError_tT0_T1_T2_jT3_P12ihipStream_tbPNSt15iterator_traitsISE_E10value_typeEPNSK_ISF_E10value_typeEPSG_NS1_7vsmem_tEENKUlT_SE_SF_SG_E_clIS8_S8_S9_S9_EESD_ST_SE_SF_SG_EUlST_E1_NS1_11comp_targetILNS1_3genE4ELNS1_11target_archE910ELNS1_3gpuE8ELNS1_3repE0EEENS1_36merge_oddeven_config_static_selectorELNS0_4arch9wavefront6targetE1EEEvSF_
    .private_segment_fixed_size: 0
    .sgpr_count:     25
    .sgpr_spill_count: 0
    .symbol:         _ZN7rocprim17ROCPRIM_400000_NS6detail17trampoline_kernelINS0_14default_configENS1_38merge_sort_block_merge_config_selectorItNS0_10empty_typeEEEZZNS1_27merge_sort_block_merge_implIS3_PtPS5_jNS1_19radix_merge_compareILb1ELb0EtNS0_19identity_decomposerEEEEE10hipError_tT0_T1_T2_jT3_P12ihipStream_tbPNSt15iterator_traitsISE_E10value_typeEPNSK_ISF_E10value_typeEPSG_NS1_7vsmem_tEENKUlT_SE_SF_SG_E_clIS8_S8_S9_S9_EESD_ST_SE_SF_SG_EUlST_E1_NS1_11comp_targetILNS1_3genE4ELNS1_11target_archE910ELNS1_3gpuE8ELNS1_3repE0EEENS1_36merge_oddeven_config_static_selectorELNS0_4arch9wavefront6targetE1EEEvSF_.kd
    .uniform_work_group_size: 1
    .uses_dynamic_stack: false
    .vgpr_count:     8
    .vgpr_spill_count: 0
    .wavefront_size: 64
  - .agpr_count:     0
    .args:
      - .offset:         0
        .size:           48
        .value_kind:     by_value
    .group_segment_fixed_size: 0
    .kernarg_segment_align: 8
    .kernarg_segment_size: 48
    .language:       OpenCL C
    .language_version:
      - 2
      - 0
    .max_flat_workgroup_size: 256
    .name:           _ZN7rocprim17ROCPRIM_400000_NS6detail17trampoline_kernelINS0_14default_configENS1_38merge_sort_block_merge_config_selectorItNS0_10empty_typeEEEZZNS1_27merge_sort_block_merge_implIS3_PtPS5_jNS1_19radix_merge_compareILb1ELb0EtNS0_19identity_decomposerEEEEE10hipError_tT0_T1_T2_jT3_P12ihipStream_tbPNSt15iterator_traitsISE_E10value_typeEPNSK_ISF_E10value_typeEPSG_NS1_7vsmem_tEENKUlT_SE_SF_SG_E_clIS8_S8_S9_S9_EESD_ST_SE_SF_SG_EUlST_E1_NS1_11comp_targetILNS1_3genE3ELNS1_11target_archE908ELNS1_3gpuE7ELNS1_3repE0EEENS1_36merge_oddeven_config_static_selectorELNS0_4arch9wavefront6targetE1EEEvSF_
    .private_segment_fixed_size: 0
    .sgpr_count:     4
    .sgpr_spill_count: 0
    .symbol:         _ZN7rocprim17ROCPRIM_400000_NS6detail17trampoline_kernelINS0_14default_configENS1_38merge_sort_block_merge_config_selectorItNS0_10empty_typeEEEZZNS1_27merge_sort_block_merge_implIS3_PtPS5_jNS1_19radix_merge_compareILb1ELb0EtNS0_19identity_decomposerEEEEE10hipError_tT0_T1_T2_jT3_P12ihipStream_tbPNSt15iterator_traitsISE_E10value_typeEPNSK_ISF_E10value_typeEPSG_NS1_7vsmem_tEENKUlT_SE_SF_SG_E_clIS8_S8_S9_S9_EESD_ST_SE_SF_SG_EUlST_E1_NS1_11comp_targetILNS1_3genE3ELNS1_11target_archE908ELNS1_3gpuE7ELNS1_3repE0EEENS1_36merge_oddeven_config_static_selectorELNS0_4arch9wavefront6targetE1EEEvSF_.kd
    .uniform_work_group_size: 1
    .uses_dynamic_stack: false
    .vgpr_count:     0
    .vgpr_spill_count: 0
    .wavefront_size: 64
  - .agpr_count:     0
    .args:
      - .offset:         0
        .size:           48
        .value_kind:     by_value
    .group_segment_fixed_size: 0
    .kernarg_segment_align: 8
    .kernarg_segment_size: 48
    .language:       OpenCL C
    .language_version:
      - 2
      - 0
    .max_flat_workgroup_size: 256
    .name:           _ZN7rocprim17ROCPRIM_400000_NS6detail17trampoline_kernelINS0_14default_configENS1_38merge_sort_block_merge_config_selectorItNS0_10empty_typeEEEZZNS1_27merge_sort_block_merge_implIS3_PtPS5_jNS1_19radix_merge_compareILb1ELb0EtNS0_19identity_decomposerEEEEE10hipError_tT0_T1_T2_jT3_P12ihipStream_tbPNSt15iterator_traitsISE_E10value_typeEPNSK_ISF_E10value_typeEPSG_NS1_7vsmem_tEENKUlT_SE_SF_SG_E_clIS8_S8_S9_S9_EESD_ST_SE_SF_SG_EUlST_E1_NS1_11comp_targetILNS1_3genE2ELNS1_11target_archE906ELNS1_3gpuE6ELNS1_3repE0EEENS1_36merge_oddeven_config_static_selectorELNS0_4arch9wavefront6targetE1EEEvSF_
    .private_segment_fixed_size: 0
    .sgpr_count:     4
    .sgpr_spill_count: 0
    .symbol:         _ZN7rocprim17ROCPRIM_400000_NS6detail17trampoline_kernelINS0_14default_configENS1_38merge_sort_block_merge_config_selectorItNS0_10empty_typeEEEZZNS1_27merge_sort_block_merge_implIS3_PtPS5_jNS1_19radix_merge_compareILb1ELb0EtNS0_19identity_decomposerEEEEE10hipError_tT0_T1_T2_jT3_P12ihipStream_tbPNSt15iterator_traitsISE_E10value_typeEPNSK_ISF_E10value_typeEPSG_NS1_7vsmem_tEENKUlT_SE_SF_SG_E_clIS8_S8_S9_S9_EESD_ST_SE_SF_SG_EUlST_E1_NS1_11comp_targetILNS1_3genE2ELNS1_11target_archE906ELNS1_3gpuE6ELNS1_3repE0EEENS1_36merge_oddeven_config_static_selectorELNS0_4arch9wavefront6targetE1EEEvSF_.kd
    .uniform_work_group_size: 1
    .uses_dynamic_stack: false
    .vgpr_count:     0
    .vgpr_spill_count: 0
    .wavefront_size: 64
  - .agpr_count:     0
    .args:
      - .offset:         0
        .size:           48
        .value_kind:     by_value
    .group_segment_fixed_size: 0
    .kernarg_segment_align: 8
    .kernarg_segment_size: 48
    .language:       OpenCL C
    .language_version:
      - 2
      - 0
    .max_flat_workgroup_size: 256
    .name:           _ZN7rocprim17ROCPRIM_400000_NS6detail17trampoline_kernelINS0_14default_configENS1_38merge_sort_block_merge_config_selectorItNS0_10empty_typeEEEZZNS1_27merge_sort_block_merge_implIS3_PtPS5_jNS1_19radix_merge_compareILb1ELb0EtNS0_19identity_decomposerEEEEE10hipError_tT0_T1_T2_jT3_P12ihipStream_tbPNSt15iterator_traitsISE_E10value_typeEPNSK_ISF_E10value_typeEPSG_NS1_7vsmem_tEENKUlT_SE_SF_SG_E_clIS8_S8_S9_S9_EESD_ST_SE_SF_SG_EUlST_E1_NS1_11comp_targetILNS1_3genE9ELNS1_11target_archE1100ELNS1_3gpuE3ELNS1_3repE0EEENS1_36merge_oddeven_config_static_selectorELNS0_4arch9wavefront6targetE1EEEvSF_
    .private_segment_fixed_size: 0
    .sgpr_count:     4
    .sgpr_spill_count: 0
    .symbol:         _ZN7rocprim17ROCPRIM_400000_NS6detail17trampoline_kernelINS0_14default_configENS1_38merge_sort_block_merge_config_selectorItNS0_10empty_typeEEEZZNS1_27merge_sort_block_merge_implIS3_PtPS5_jNS1_19radix_merge_compareILb1ELb0EtNS0_19identity_decomposerEEEEE10hipError_tT0_T1_T2_jT3_P12ihipStream_tbPNSt15iterator_traitsISE_E10value_typeEPNSK_ISF_E10value_typeEPSG_NS1_7vsmem_tEENKUlT_SE_SF_SG_E_clIS8_S8_S9_S9_EESD_ST_SE_SF_SG_EUlST_E1_NS1_11comp_targetILNS1_3genE9ELNS1_11target_archE1100ELNS1_3gpuE3ELNS1_3repE0EEENS1_36merge_oddeven_config_static_selectorELNS0_4arch9wavefront6targetE1EEEvSF_.kd
    .uniform_work_group_size: 1
    .uses_dynamic_stack: false
    .vgpr_count:     0
    .vgpr_spill_count: 0
    .wavefront_size: 64
  - .agpr_count:     0
    .args:
      - .offset:         0
        .size:           48
        .value_kind:     by_value
    .group_segment_fixed_size: 0
    .kernarg_segment_align: 8
    .kernarg_segment_size: 48
    .language:       OpenCL C
    .language_version:
      - 2
      - 0
    .max_flat_workgroup_size: 256
    .name:           _ZN7rocprim17ROCPRIM_400000_NS6detail17trampoline_kernelINS0_14default_configENS1_38merge_sort_block_merge_config_selectorItNS0_10empty_typeEEEZZNS1_27merge_sort_block_merge_implIS3_PtPS5_jNS1_19radix_merge_compareILb1ELb0EtNS0_19identity_decomposerEEEEE10hipError_tT0_T1_T2_jT3_P12ihipStream_tbPNSt15iterator_traitsISE_E10value_typeEPNSK_ISF_E10value_typeEPSG_NS1_7vsmem_tEENKUlT_SE_SF_SG_E_clIS8_S8_S9_S9_EESD_ST_SE_SF_SG_EUlST_E1_NS1_11comp_targetILNS1_3genE8ELNS1_11target_archE1030ELNS1_3gpuE2ELNS1_3repE0EEENS1_36merge_oddeven_config_static_selectorELNS0_4arch9wavefront6targetE1EEEvSF_
    .private_segment_fixed_size: 0
    .sgpr_count:     4
    .sgpr_spill_count: 0
    .symbol:         _ZN7rocprim17ROCPRIM_400000_NS6detail17trampoline_kernelINS0_14default_configENS1_38merge_sort_block_merge_config_selectorItNS0_10empty_typeEEEZZNS1_27merge_sort_block_merge_implIS3_PtPS5_jNS1_19radix_merge_compareILb1ELb0EtNS0_19identity_decomposerEEEEE10hipError_tT0_T1_T2_jT3_P12ihipStream_tbPNSt15iterator_traitsISE_E10value_typeEPNSK_ISF_E10value_typeEPSG_NS1_7vsmem_tEENKUlT_SE_SF_SG_E_clIS8_S8_S9_S9_EESD_ST_SE_SF_SG_EUlST_E1_NS1_11comp_targetILNS1_3genE8ELNS1_11target_archE1030ELNS1_3gpuE2ELNS1_3repE0EEENS1_36merge_oddeven_config_static_selectorELNS0_4arch9wavefront6targetE1EEEvSF_.kd
    .uniform_work_group_size: 1
    .uses_dynamic_stack: false
    .vgpr_count:     0
    .vgpr_spill_count: 0
    .wavefront_size: 64
  - .agpr_count:     0
    .args:
      - .offset:         0
        .size:           40
        .value_kind:     by_value
    .group_segment_fixed_size: 0
    .kernarg_segment_align: 8
    .kernarg_segment_size: 40
    .language:       OpenCL C
    .language_version:
      - 2
      - 0
    .max_flat_workgroup_size: 128
    .name:           _ZN7rocprim17ROCPRIM_400000_NS6detail17trampoline_kernelINS0_14default_configENS1_38merge_sort_block_merge_config_selectorItNS0_10empty_typeEEEZZNS1_27merge_sort_block_merge_implIS3_PtPS5_jNS1_19radix_merge_compareILb1ELb1EtNS0_19identity_decomposerEEEEE10hipError_tT0_T1_T2_jT3_P12ihipStream_tbPNSt15iterator_traitsISE_E10value_typeEPNSK_ISF_E10value_typeEPSG_NS1_7vsmem_tEENKUlT_SE_SF_SG_E_clIS8_S8_S9_S9_EESD_ST_SE_SF_SG_EUlST_E_NS1_11comp_targetILNS1_3genE0ELNS1_11target_archE4294967295ELNS1_3gpuE0ELNS1_3repE0EEENS1_48merge_mergepath_partition_config_static_selectorELNS0_4arch9wavefront6targetE1EEEvSF_
    .private_segment_fixed_size: 0
    .sgpr_count:     4
    .sgpr_spill_count: 0
    .symbol:         _ZN7rocprim17ROCPRIM_400000_NS6detail17trampoline_kernelINS0_14default_configENS1_38merge_sort_block_merge_config_selectorItNS0_10empty_typeEEEZZNS1_27merge_sort_block_merge_implIS3_PtPS5_jNS1_19radix_merge_compareILb1ELb1EtNS0_19identity_decomposerEEEEE10hipError_tT0_T1_T2_jT3_P12ihipStream_tbPNSt15iterator_traitsISE_E10value_typeEPNSK_ISF_E10value_typeEPSG_NS1_7vsmem_tEENKUlT_SE_SF_SG_E_clIS8_S8_S9_S9_EESD_ST_SE_SF_SG_EUlST_E_NS1_11comp_targetILNS1_3genE0ELNS1_11target_archE4294967295ELNS1_3gpuE0ELNS1_3repE0EEENS1_48merge_mergepath_partition_config_static_selectorELNS0_4arch9wavefront6targetE1EEEvSF_.kd
    .uniform_work_group_size: 1
    .uses_dynamic_stack: false
    .vgpr_count:     0
    .vgpr_spill_count: 0
    .wavefront_size: 64
  - .agpr_count:     0
    .args:
      - .offset:         0
        .size:           40
        .value_kind:     by_value
    .group_segment_fixed_size: 0
    .kernarg_segment_align: 8
    .kernarg_segment_size: 40
    .language:       OpenCL C
    .language_version:
      - 2
      - 0
    .max_flat_workgroup_size: 128
    .name:           _ZN7rocprim17ROCPRIM_400000_NS6detail17trampoline_kernelINS0_14default_configENS1_38merge_sort_block_merge_config_selectorItNS0_10empty_typeEEEZZNS1_27merge_sort_block_merge_implIS3_PtPS5_jNS1_19radix_merge_compareILb1ELb1EtNS0_19identity_decomposerEEEEE10hipError_tT0_T1_T2_jT3_P12ihipStream_tbPNSt15iterator_traitsISE_E10value_typeEPNSK_ISF_E10value_typeEPSG_NS1_7vsmem_tEENKUlT_SE_SF_SG_E_clIS8_S8_S9_S9_EESD_ST_SE_SF_SG_EUlST_E_NS1_11comp_targetILNS1_3genE10ELNS1_11target_archE1201ELNS1_3gpuE5ELNS1_3repE0EEENS1_48merge_mergepath_partition_config_static_selectorELNS0_4arch9wavefront6targetE1EEEvSF_
    .private_segment_fixed_size: 0
    .sgpr_count:     4
    .sgpr_spill_count: 0
    .symbol:         _ZN7rocprim17ROCPRIM_400000_NS6detail17trampoline_kernelINS0_14default_configENS1_38merge_sort_block_merge_config_selectorItNS0_10empty_typeEEEZZNS1_27merge_sort_block_merge_implIS3_PtPS5_jNS1_19radix_merge_compareILb1ELb1EtNS0_19identity_decomposerEEEEE10hipError_tT0_T1_T2_jT3_P12ihipStream_tbPNSt15iterator_traitsISE_E10value_typeEPNSK_ISF_E10value_typeEPSG_NS1_7vsmem_tEENKUlT_SE_SF_SG_E_clIS8_S8_S9_S9_EESD_ST_SE_SF_SG_EUlST_E_NS1_11comp_targetILNS1_3genE10ELNS1_11target_archE1201ELNS1_3gpuE5ELNS1_3repE0EEENS1_48merge_mergepath_partition_config_static_selectorELNS0_4arch9wavefront6targetE1EEEvSF_.kd
    .uniform_work_group_size: 1
    .uses_dynamic_stack: false
    .vgpr_count:     0
    .vgpr_spill_count: 0
    .wavefront_size: 64
  - .agpr_count:     0
    .args:
      - .offset:         0
        .size:           40
        .value_kind:     by_value
    .group_segment_fixed_size: 0
    .kernarg_segment_align: 8
    .kernarg_segment_size: 40
    .language:       OpenCL C
    .language_version:
      - 2
      - 0
    .max_flat_workgroup_size: 128
    .name:           _ZN7rocprim17ROCPRIM_400000_NS6detail17trampoline_kernelINS0_14default_configENS1_38merge_sort_block_merge_config_selectorItNS0_10empty_typeEEEZZNS1_27merge_sort_block_merge_implIS3_PtPS5_jNS1_19radix_merge_compareILb1ELb1EtNS0_19identity_decomposerEEEEE10hipError_tT0_T1_T2_jT3_P12ihipStream_tbPNSt15iterator_traitsISE_E10value_typeEPNSK_ISF_E10value_typeEPSG_NS1_7vsmem_tEENKUlT_SE_SF_SG_E_clIS8_S8_S9_S9_EESD_ST_SE_SF_SG_EUlST_E_NS1_11comp_targetILNS1_3genE5ELNS1_11target_archE942ELNS1_3gpuE9ELNS1_3repE0EEENS1_48merge_mergepath_partition_config_static_selectorELNS0_4arch9wavefront6targetE1EEEvSF_
    .private_segment_fixed_size: 0
    .sgpr_count:     4
    .sgpr_spill_count: 0
    .symbol:         _ZN7rocprim17ROCPRIM_400000_NS6detail17trampoline_kernelINS0_14default_configENS1_38merge_sort_block_merge_config_selectorItNS0_10empty_typeEEEZZNS1_27merge_sort_block_merge_implIS3_PtPS5_jNS1_19radix_merge_compareILb1ELb1EtNS0_19identity_decomposerEEEEE10hipError_tT0_T1_T2_jT3_P12ihipStream_tbPNSt15iterator_traitsISE_E10value_typeEPNSK_ISF_E10value_typeEPSG_NS1_7vsmem_tEENKUlT_SE_SF_SG_E_clIS8_S8_S9_S9_EESD_ST_SE_SF_SG_EUlST_E_NS1_11comp_targetILNS1_3genE5ELNS1_11target_archE942ELNS1_3gpuE9ELNS1_3repE0EEENS1_48merge_mergepath_partition_config_static_selectorELNS0_4arch9wavefront6targetE1EEEvSF_.kd
    .uniform_work_group_size: 1
    .uses_dynamic_stack: false
    .vgpr_count:     0
    .vgpr_spill_count: 0
    .wavefront_size: 64
  - .agpr_count:     0
    .args:
      - .offset:         0
        .size:           40
        .value_kind:     by_value
    .group_segment_fixed_size: 0
    .kernarg_segment_align: 8
    .kernarg_segment_size: 40
    .language:       OpenCL C
    .language_version:
      - 2
      - 0
    .max_flat_workgroup_size: 128
    .name:           _ZN7rocprim17ROCPRIM_400000_NS6detail17trampoline_kernelINS0_14default_configENS1_38merge_sort_block_merge_config_selectorItNS0_10empty_typeEEEZZNS1_27merge_sort_block_merge_implIS3_PtPS5_jNS1_19radix_merge_compareILb1ELb1EtNS0_19identity_decomposerEEEEE10hipError_tT0_T1_T2_jT3_P12ihipStream_tbPNSt15iterator_traitsISE_E10value_typeEPNSK_ISF_E10value_typeEPSG_NS1_7vsmem_tEENKUlT_SE_SF_SG_E_clIS8_S8_S9_S9_EESD_ST_SE_SF_SG_EUlST_E_NS1_11comp_targetILNS1_3genE4ELNS1_11target_archE910ELNS1_3gpuE8ELNS1_3repE0EEENS1_48merge_mergepath_partition_config_static_selectorELNS0_4arch9wavefront6targetE1EEEvSF_
    .private_segment_fixed_size: 0
    .sgpr_count:     14
    .sgpr_spill_count: 0
    .symbol:         _ZN7rocprim17ROCPRIM_400000_NS6detail17trampoline_kernelINS0_14default_configENS1_38merge_sort_block_merge_config_selectorItNS0_10empty_typeEEEZZNS1_27merge_sort_block_merge_implIS3_PtPS5_jNS1_19radix_merge_compareILb1ELb1EtNS0_19identity_decomposerEEEEE10hipError_tT0_T1_T2_jT3_P12ihipStream_tbPNSt15iterator_traitsISE_E10value_typeEPNSK_ISF_E10value_typeEPSG_NS1_7vsmem_tEENKUlT_SE_SF_SG_E_clIS8_S8_S9_S9_EESD_ST_SE_SF_SG_EUlST_E_NS1_11comp_targetILNS1_3genE4ELNS1_11target_archE910ELNS1_3gpuE8ELNS1_3repE0EEENS1_48merge_mergepath_partition_config_static_selectorELNS0_4arch9wavefront6targetE1EEEvSF_.kd
    .uniform_work_group_size: 1
    .uses_dynamic_stack: false
    .vgpr_count:     15
    .vgpr_spill_count: 0
    .wavefront_size: 64
  - .agpr_count:     0
    .args:
      - .offset:         0
        .size:           40
        .value_kind:     by_value
    .group_segment_fixed_size: 0
    .kernarg_segment_align: 8
    .kernarg_segment_size: 40
    .language:       OpenCL C
    .language_version:
      - 2
      - 0
    .max_flat_workgroup_size: 128
    .name:           _ZN7rocprim17ROCPRIM_400000_NS6detail17trampoline_kernelINS0_14default_configENS1_38merge_sort_block_merge_config_selectorItNS0_10empty_typeEEEZZNS1_27merge_sort_block_merge_implIS3_PtPS5_jNS1_19radix_merge_compareILb1ELb1EtNS0_19identity_decomposerEEEEE10hipError_tT0_T1_T2_jT3_P12ihipStream_tbPNSt15iterator_traitsISE_E10value_typeEPNSK_ISF_E10value_typeEPSG_NS1_7vsmem_tEENKUlT_SE_SF_SG_E_clIS8_S8_S9_S9_EESD_ST_SE_SF_SG_EUlST_E_NS1_11comp_targetILNS1_3genE3ELNS1_11target_archE908ELNS1_3gpuE7ELNS1_3repE0EEENS1_48merge_mergepath_partition_config_static_selectorELNS0_4arch9wavefront6targetE1EEEvSF_
    .private_segment_fixed_size: 0
    .sgpr_count:     4
    .sgpr_spill_count: 0
    .symbol:         _ZN7rocprim17ROCPRIM_400000_NS6detail17trampoline_kernelINS0_14default_configENS1_38merge_sort_block_merge_config_selectorItNS0_10empty_typeEEEZZNS1_27merge_sort_block_merge_implIS3_PtPS5_jNS1_19radix_merge_compareILb1ELb1EtNS0_19identity_decomposerEEEEE10hipError_tT0_T1_T2_jT3_P12ihipStream_tbPNSt15iterator_traitsISE_E10value_typeEPNSK_ISF_E10value_typeEPSG_NS1_7vsmem_tEENKUlT_SE_SF_SG_E_clIS8_S8_S9_S9_EESD_ST_SE_SF_SG_EUlST_E_NS1_11comp_targetILNS1_3genE3ELNS1_11target_archE908ELNS1_3gpuE7ELNS1_3repE0EEENS1_48merge_mergepath_partition_config_static_selectorELNS0_4arch9wavefront6targetE1EEEvSF_.kd
    .uniform_work_group_size: 1
    .uses_dynamic_stack: false
    .vgpr_count:     0
    .vgpr_spill_count: 0
    .wavefront_size: 64
  - .agpr_count:     0
    .args:
      - .offset:         0
        .size:           40
        .value_kind:     by_value
    .group_segment_fixed_size: 0
    .kernarg_segment_align: 8
    .kernarg_segment_size: 40
    .language:       OpenCL C
    .language_version:
      - 2
      - 0
    .max_flat_workgroup_size: 128
    .name:           _ZN7rocprim17ROCPRIM_400000_NS6detail17trampoline_kernelINS0_14default_configENS1_38merge_sort_block_merge_config_selectorItNS0_10empty_typeEEEZZNS1_27merge_sort_block_merge_implIS3_PtPS5_jNS1_19radix_merge_compareILb1ELb1EtNS0_19identity_decomposerEEEEE10hipError_tT0_T1_T2_jT3_P12ihipStream_tbPNSt15iterator_traitsISE_E10value_typeEPNSK_ISF_E10value_typeEPSG_NS1_7vsmem_tEENKUlT_SE_SF_SG_E_clIS8_S8_S9_S9_EESD_ST_SE_SF_SG_EUlST_E_NS1_11comp_targetILNS1_3genE2ELNS1_11target_archE906ELNS1_3gpuE6ELNS1_3repE0EEENS1_48merge_mergepath_partition_config_static_selectorELNS0_4arch9wavefront6targetE1EEEvSF_
    .private_segment_fixed_size: 0
    .sgpr_count:     4
    .sgpr_spill_count: 0
    .symbol:         _ZN7rocprim17ROCPRIM_400000_NS6detail17trampoline_kernelINS0_14default_configENS1_38merge_sort_block_merge_config_selectorItNS0_10empty_typeEEEZZNS1_27merge_sort_block_merge_implIS3_PtPS5_jNS1_19radix_merge_compareILb1ELb1EtNS0_19identity_decomposerEEEEE10hipError_tT0_T1_T2_jT3_P12ihipStream_tbPNSt15iterator_traitsISE_E10value_typeEPNSK_ISF_E10value_typeEPSG_NS1_7vsmem_tEENKUlT_SE_SF_SG_E_clIS8_S8_S9_S9_EESD_ST_SE_SF_SG_EUlST_E_NS1_11comp_targetILNS1_3genE2ELNS1_11target_archE906ELNS1_3gpuE6ELNS1_3repE0EEENS1_48merge_mergepath_partition_config_static_selectorELNS0_4arch9wavefront6targetE1EEEvSF_.kd
    .uniform_work_group_size: 1
    .uses_dynamic_stack: false
    .vgpr_count:     0
    .vgpr_spill_count: 0
    .wavefront_size: 64
  - .agpr_count:     0
    .args:
      - .offset:         0
        .size:           40
        .value_kind:     by_value
    .group_segment_fixed_size: 0
    .kernarg_segment_align: 8
    .kernarg_segment_size: 40
    .language:       OpenCL C
    .language_version:
      - 2
      - 0
    .max_flat_workgroup_size: 128
    .name:           _ZN7rocprim17ROCPRIM_400000_NS6detail17trampoline_kernelINS0_14default_configENS1_38merge_sort_block_merge_config_selectorItNS0_10empty_typeEEEZZNS1_27merge_sort_block_merge_implIS3_PtPS5_jNS1_19radix_merge_compareILb1ELb1EtNS0_19identity_decomposerEEEEE10hipError_tT0_T1_T2_jT3_P12ihipStream_tbPNSt15iterator_traitsISE_E10value_typeEPNSK_ISF_E10value_typeEPSG_NS1_7vsmem_tEENKUlT_SE_SF_SG_E_clIS8_S8_S9_S9_EESD_ST_SE_SF_SG_EUlST_E_NS1_11comp_targetILNS1_3genE9ELNS1_11target_archE1100ELNS1_3gpuE3ELNS1_3repE0EEENS1_48merge_mergepath_partition_config_static_selectorELNS0_4arch9wavefront6targetE1EEEvSF_
    .private_segment_fixed_size: 0
    .sgpr_count:     4
    .sgpr_spill_count: 0
    .symbol:         _ZN7rocprim17ROCPRIM_400000_NS6detail17trampoline_kernelINS0_14default_configENS1_38merge_sort_block_merge_config_selectorItNS0_10empty_typeEEEZZNS1_27merge_sort_block_merge_implIS3_PtPS5_jNS1_19radix_merge_compareILb1ELb1EtNS0_19identity_decomposerEEEEE10hipError_tT0_T1_T2_jT3_P12ihipStream_tbPNSt15iterator_traitsISE_E10value_typeEPNSK_ISF_E10value_typeEPSG_NS1_7vsmem_tEENKUlT_SE_SF_SG_E_clIS8_S8_S9_S9_EESD_ST_SE_SF_SG_EUlST_E_NS1_11comp_targetILNS1_3genE9ELNS1_11target_archE1100ELNS1_3gpuE3ELNS1_3repE0EEENS1_48merge_mergepath_partition_config_static_selectorELNS0_4arch9wavefront6targetE1EEEvSF_.kd
    .uniform_work_group_size: 1
    .uses_dynamic_stack: false
    .vgpr_count:     0
    .vgpr_spill_count: 0
    .wavefront_size: 64
  - .agpr_count:     0
    .args:
      - .offset:         0
        .size:           40
        .value_kind:     by_value
    .group_segment_fixed_size: 0
    .kernarg_segment_align: 8
    .kernarg_segment_size: 40
    .language:       OpenCL C
    .language_version:
      - 2
      - 0
    .max_flat_workgroup_size: 128
    .name:           _ZN7rocprim17ROCPRIM_400000_NS6detail17trampoline_kernelINS0_14default_configENS1_38merge_sort_block_merge_config_selectorItNS0_10empty_typeEEEZZNS1_27merge_sort_block_merge_implIS3_PtPS5_jNS1_19radix_merge_compareILb1ELb1EtNS0_19identity_decomposerEEEEE10hipError_tT0_T1_T2_jT3_P12ihipStream_tbPNSt15iterator_traitsISE_E10value_typeEPNSK_ISF_E10value_typeEPSG_NS1_7vsmem_tEENKUlT_SE_SF_SG_E_clIS8_S8_S9_S9_EESD_ST_SE_SF_SG_EUlST_E_NS1_11comp_targetILNS1_3genE8ELNS1_11target_archE1030ELNS1_3gpuE2ELNS1_3repE0EEENS1_48merge_mergepath_partition_config_static_selectorELNS0_4arch9wavefront6targetE1EEEvSF_
    .private_segment_fixed_size: 0
    .sgpr_count:     4
    .sgpr_spill_count: 0
    .symbol:         _ZN7rocprim17ROCPRIM_400000_NS6detail17trampoline_kernelINS0_14default_configENS1_38merge_sort_block_merge_config_selectorItNS0_10empty_typeEEEZZNS1_27merge_sort_block_merge_implIS3_PtPS5_jNS1_19radix_merge_compareILb1ELb1EtNS0_19identity_decomposerEEEEE10hipError_tT0_T1_T2_jT3_P12ihipStream_tbPNSt15iterator_traitsISE_E10value_typeEPNSK_ISF_E10value_typeEPSG_NS1_7vsmem_tEENKUlT_SE_SF_SG_E_clIS8_S8_S9_S9_EESD_ST_SE_SF_SG_EUlST_E_NS1_11comp_targetILNS1_3genE8ELNS1_11target_archE1030ELNS1_3gpuE2ELNS1_3repE0EEENS1_48merge_mergepath_partition_config_static_selectorELNS0_4arch9wavefront6targetE1EEEvSF_.kd
    .uniform_work_group_size: 1
    .uses_dynamic_stack: false
    .vgpr_count:     0
    .vgpr_spill_count: 0
    .wavefront_size: 64
  - .agpr_count:     0
    .args:
      - .offset:         0
        .size:           64
        .value_kind:     by_value
    .group_segment_fixed_size: 0
    .kernarg_segment_align: 8
    .kernarg_segment_size: 64
    .language:       OpenCL C
    .language_version:
      - 2
      - 0
    .max_flat_workgroup_size: 128
    .name:           _ZN7rocprim17ROCPRIM_400000_NS6detail17trampoline_kernelINS0_14default_configENS1_38merge_sort_block_merge_config_selectorItNS0_10empty_typeEEEZZNS1_27merge_sort_block_merge_implIS3_PtPS5_jNS1_19radix_merge_compareILb1ELb1EtNS0_19identity_decomposerEEEEE10hipError_tT0_T1_T2_jT3_P12ihipStream_tbPNSt15iterator_traitsISE_E10value_typeEPNSK_ISF_E10value_typeEPSG_NS1_7vsmem_tEENKUlT_SE_SF_SG_E_clIS8_S8_S9_S9_EESD_ST_SE_SF_SG_EUlST_E0_NS1_11comp_targetILNS1_3genE0ELNS1_11target_archE4294967295ELNS1_3gpuE0ELNS1_3repE0EEENS1_38merge_mergepath_config_static_selectorELNS0_4arch9wavefront6targetE1EEEvSF_
    .private_segment_fixed_size: 0
    .sgpr_count:     4
    .sgpr_spill_count: 0
    .symbol:         _ZN7rocprim17ROCPRIM_400000_NS6detail17trampoline_kernelINS0_14default_configENS1_38merge_sort_block_merge_config_selectorItNS0_10empty_typeEEEZZNS1_27merge_sort_block_merge_implIS3_PtPS5_jNS1_19radix_merge_compareILb1ELb1EtNS0_19identity_decomposerEEEEE10hipError_tT0_T1_T2_jT3_P12ihipStream_tbPNSt15iterator_traitsISE_E10value_typeEPNSK_ISF_E10value_typeEPSG_NS1_7vsmem_tEENKUlT_SE_SF_SG_E_clIS8_S8_S9_S9_EESD_ST_SE_SF_SG_EUlST_E0_NS1_11comp_targetILNS1_3genE0ELNS1_11target_archE4294967295ELNS1_3gpuE0ELNS1_3repE0EEENS1_38merge_mergepath_config_static_selectorELNS0_4arch9wavefront6targetE1EEEvSF_.kd
    .uniform_work_group_size: 1
    .uses_dynamic_stack: false
    .vgpr_count:     0
    .vgpr_spill_count: 0
    .wavefront_size: 64
  - .agpr_count:     0
    .args:
      - .offset:         0
        .size:           64
        .value_kind:     by_value
    .group_segment_fixed_size: 0
    .kernarg_segment_align: 8
    .kernarg_segment_size: 64
    .language:       OpenCL C
    .language_version:
      - 2
      - 0
    .max_flat_workgroup_size: 128
    .name:           _ZN7rocprim17ROCPRIM_400000_NS6detail17trampoline_kernelINS0_14default_configENS1_38merge_sort_block_merge_config_selectorItNS0_10empty_typeEEEZZNS1_27merge_sort_block_merge_implIS3_PtPS5_jNS1_19radix_merge_compareILb1ELb1EtNS0_19identity_decomposerEEEEE10hipError_tT0_T1_T2_jT3_P12ihipStream_tbPNSt15iterator_traitsISE_E10value_typeEPNSK_ISF_E10value_typeEPSG_NS1_7vsmem_tEENKUlT_SE_SF_SG_E_clIS8_S8_S9_S9_EESD_ST_SE_SF_SG_EUlST_E0_NS1_11comp_targetILNS1_3genE10ELNS1_11target_archE1201ELNS1_3gpuE5ELNS1_3repE0EEENS1_38merge_mergepath_config_static_selectorELNS0_4arch9wavefront6targetE1EEEvSF_
    .private_segment_fixed_size: 0
    .sgpr_count:     4
    .sgpr_spill_count: 0
    .symbol:         _ZN7rocprim17ROCPRIM_400000_NS6detail17trampoline_kernelINS0_14default_configENS1_38merge_sort_block_merge_config_selectorItNS0_10empty_typeEEEZZNS1_27merge_sort_block_merge_implIS3_PtPS5_jNS1_19radix_merge_compareILb1ELb1EtNS0_19identity_decomposerEEEEE10hipError_tT0_T1_T2_jT3_P12ihipStream_tbPNSt15iterator_traitsISE_E10value_typeEPNSK_ISF_E10value_typeEPSG_NS1_7vsmem_tEENKUlT_SE_SF_SG_E_clIS8_S8_S9_S9_EESD_ST_SE_SF_SG_EUlST_E0_NS1_11comp_targetILNS1_3genE10ELNS1_11target_archE1201ELNS1_3gpuE5ELNS1_3repE0EEENS1_38merge_mergepath_config_static_selectorELNS0_4arch9wavefront6targetE1EEEvSF_.kd
    .uniform_work_group_size: 1
    .uses_dynamic_stack: false
    .vgpr_count:     0
    .vgpr_spill_count: 0
    .wavefront_size: 64
  - .agpr_count:     0
    .args:
      - .offset:         0
        .size:           64
        .value_kind:     by_value
    .group_segment_fixed_size: 0
    .kernarg_segment_align: 8
    .kernarg_segment_size: 64
    .language:       OpenCL C
    .language_version:
      - 2
      - 0
    .max_flat_workgroup_size: 128
    .name:           _ZN7rocprim17ROCPRIM_400000_NS6detail17trampoline_kernelINS0_14default_configENS1_38merge_sort_block_merge_config_selectorItNS0_10empty_typeEEEZZNS1_27merge_sort_block_merge_implIS3_PtPS5_jNS1_19radix_merge_compareILb1ELb1EtNS0_19identity_decomposerEEEEE10hipError_tT0_T1_T2_jT3_P12ihipStream_tbPNSt15iterator_traitsISE_E10value_typeEPNSK_ISF_E10value_typeEPSG_NS1_7vsmem_tEENKUlT_SE_SF_SG_E_clIS8_S8_S9_S9_EESD_ST_SE_SF_SG_EUlST_E0_NS1_11comp_targetILNS1_3genE5ELNS1_11target_archE942ELNS1_3gpuE9ELNS1_3repE0EEENS1_38merge_mergepath_config_static_selectorELNS0_4arch9wavefront6targetE1EEEvSF_
    .private_segment_fixed_size: 0
    .sgpr_count:     4
    .sgpr_spill_count: 0
    .symbol:         _ZN7rocprim17ROCPRIM_400000_NS6detail17trampoline_kernelINS0_14default_configENS1_38merge_sort_block_merge_config_selectorItNS0_10empty_typeEEEZZNS1_27merge_sort_block_merge_implIS3_PtPS5_jNS1_19radix_merge_compareILb1ELb1EtNS0_19identity_decomposerEEEEE10hipError_tT0_T1_T2_jT3_P12ihipStream_tbPNSt15iterator_traitsISE_E10value_typeEPNSK_ISF_E10value_typeEPSG_NS1_7vsmem_tEENKUlT_SE_SF_SG_E_clIS8_S8_S9_S9_EESD_ST_SE_SF_SG_EUlST_E0_NS1_11comp_targetILNS1_3genE5ELNS1_11target_archE942ELNS1_3gpuE9ELNS1_3repE0EEENS1_38merge_mergepath_config_static_selectorELNS0_4arch9wavefront6targetE1EEEvSF_.kd
    .uniform_work_group_size: 1
    .uses_dynamic_stack: false
    .vgpr_count:     0
    .vgpr_spill_count: 0
    .wavefront_size: 64
  - .agpr_count:     0
    .args:
      - .offset:         0
        .size:           64
        .value_kind:     by_value
      - .offset:         64
        .size:           4
        .value_kind:     hidden_block_count_x
      - .offset:         68
        .size:           4
        .value_kind:     hidden_block_count_y
      - .offset:         72
        .size:           4
        .value_kind:     hidden_block_count_z
      - .offset:         76
        .size:           2
        .value_kind:     hidden_group_size_x
      - .offset:         78
        .size:           2
        .value_kind:     hidden_group_size_y
      - .offset:         80
        .size:           2
        .value_kind:     hidden_group_size_z
      - .offset:         82
        .size:           2
        .value_kind:     hidden_remainder_x
      - .offset:         84
        .size:           2
        .value_kind:     hidden_remainder_y
      - .offset:         86
        .size:           2
        .value_kind:     hidden_remainder_z
      - .offset:         104
        .size:           8
        .value_kind:     hidden_global_offset_x
      - .offset:         112
        .size:           8
        .value_kind:     hidden_global_offset_y
      - .offset:         120
        .size:           8
        .value_kind:     hidden_global_offset_z
      - .offset:         128
        .size:           2
        .value_kind:     hidden_grid_dims
    .group_segment_fixed_size: 2112
    .kernarg_segment_align: 8
    .kernarg_segment_size: 320
    .language:       OpenCL C
    .language_version:
      - 2
      - 0
    .max_flat_workgroup_size: 128
    .name:           _ZN7rocprim17ROCPRIM_400000_NS6detail17trampoline_kernelINS0_14default_configENS1_38merge_sort_block_merge_config_selectorItNS0_10empty_typeEEEZZNS1_27merge_sort_block_merge_implIS3_PtPS5_jNS1_19radix_merge_compareILb1ELb1EtNS0_19identity_decomposerEEEEE10hipError_tT0_T1_T2_jT3_P12ihipStream_tbPNSt15iterator_traitsISE_E10value_typeEPNSK_ISF_E10value_typeEPSG_NS1_7vsmem_tEENKUlT_SE_SF_SG_E_clIS8_S8_S9_S9_EESD_ST_SE_SF_SG_EUlST_E0_NS1_11comp_targetILNS1_3genE4ELNS1_11target_archE910ELNS1_3gpuE8ELNS1_3repE0EEENS1_38merge_mergepath_config_static_selectorELNS0_4arch9wavefront6targetE1EEEvSF_
    .private_segment_fixed_size: 0
    .sgpr_count:     29
    .sgpr_spill_count: 0
    .symbol:         _ZN7rocprim17ROCPRIM_400000_NS6detail17trampoline_kernelINS0_14default_configENS1_38merge_sort_block_merge_config_selectorItNS0_10empty_typeEEEZZNS1_27merge_sort_block_merge_implIS3_PtPS5_jNS1_19radix_merge_compareILb1ELb1EtNS0_19identity_decomposerEEEEE10hipError_tT0_T1_T2_jT3_P12ihipStream_tbPNSt15iterator_traitsISE_E10value_typeEPNSK_ISF_E10value_typeEPSG_NS1_7vsmem_tEENKUlT_SE_SF_SG_E_clIS8_S8_S9_S9_EESD_ST_SE_SF_SG_EUlST_E0_NS1_11comp_targetILNS1_3genE4ELNS1_11target_archE910ELNS1_3gpuE8ELNS1_3repE0EEENS1_38merge_mergepath_config_static_selectorELNS0_4arch9wavefront6targetE1EEEvSF_.kd
    .uniform_work_group_size: 1
    .uses_dynamic_stack: false
    .vgpr_count:     26
    .vgpr_spill_count: 0
    .wavefront_size: 64
  - .agpr_count:     0
    .args:
      - .offset:         0
        .size:           64
        .value_kind:     by_value
    .group_segment_fixed_size: 0
    .kernarg_segment_align: 8
    .kernarg_segment_size: 64
    .language:       OpenCL C
    .language_version:
      - 2
      - 0
    .max_flat_workgroup_size: 128
    .name:           _ZN7rocprim17ROCPRIM_400000_NS6detail17trampoline_kernelINS0_14default_configENS1_38merge_sort_block_merge_config_selectorItNS0_10empty_typeEEEZZNS1_27merge_sort_block_merge_implIS3_PtPS5_jNS1_19radix_merge_compareILb1ELb1EtNS0_19identity_decomposerEEEEE10hipError_tT0_T1_T2_jT3_P12ihipStream_tbPNSt15iterator_traitsISE_E10value_typeEPNSK_ISF_E10value_typeEPSG_NS1_7vsmem_tEENKUlT_SE_SF_SG_E_clIS8_S8_S9_S9_EESD_ST_SE_SF_SG_EUlST_E0_NS1_11comp_targetILNS1_3genE3ELNS1_11target_archE908ELNS1_3gpuE7ELNS1_3repE0EEENS1_38merge_mergepath_config_static_selectorELNS0_4arch9wavefront6targetE1EEEvSF_
    .private_segment_fixed_size: 0
    .sgpr_count:     4
    .sgpr_spill_count: 0
    .symbol:         _ZN7rocprim17ROCPRIM_400000_NS6detail17trampoline_kernelINS0_14default_configENS1_38merge_sort_block_merge_config_selectorItNS0_10empty_typeEEEZZNS1_27merge_sort_block_merge_implIS3_PtPS5_jNS1_19radix_merge_compareILb1ELb1EtNS0_19identity_decomposerEEEEE10hipError_tT0_T1_T2_jT3_P12ihipStream_tbPNSt15iterator_traitsISE_E10value_typeEPNSK_ISF_E10value_typeEPSG_NS1_7vsmem_tEENKUlT_SE_SF_SG_E_clIS8_S8_S9_S9_EESD_ST_SE_SF_SG_EUlST_E0_NS1_11comp_targetILNS1_3genE3ELNS1_11target_archE908ELNS1_3gpuE7ELNS1_3repE0EEENS1_38merge_mergepath_config_static_selectorELNS0_4arch9wavefront6targetE1EEEvSF_.kd
    .uniform_work_group_size: 1
    .uses_dynamic_stack: false
    .vgpr_count:     0
    .vgpr_spill_count: 0
    .wavefront_size: 64
  - .agpr_count:     0
    .args:
      - .offset:         0
        .size:           64
        .value_kind:     by_value
    .group_segment_fixed_size: 0
    .kernarg_segment_align: 8
    .kernarg_segment_size: 64
    .language:       OpenCL C
    .language_version:
      - 2
      - 0
    .max_flat_workgroup_size: 128
    .name:           _ZN7rocprim17ROCPRIM_400000_NS6detail17trampoline_kernelINS0_14default_configENS1_38merge_sort_block_merge_config_selectorItNS0_10empty_typeEEEZZNS1_27merge_sort_block_merge_implIS3_PtPS5_jNS1_19radix_merge_compareILb1ELb1EtNS0_19identity_decomposerEEEEE10hipError_tT0_T1_T2_jT3_P12ihipStream_tbPNSt15iterator_traitsISE_E10value_typeEPNSK_ISF_E10value_typeEPSG_NS1_7vsmem_tEENKUlT_SE_SF_SG_E_clIS8_S8_S9_S9_EESD_ST_SE_SF_SG_EUlST_E0_NS1_11comp_targetILNS1_3genE2ELNS1_11target_archE906ELNS1_3gpuE6ELNS1_3repE0EEENS1_38merge_mergepath_config_static_selectorELNS0_4arch9wavefront6targetE1EEEvSF_
    .private_segment_fixed_size: 0
    .sgpr_count:     4
    .sgpr_spill_count: 0
    .symbol:         _ZN7rocprim17ROCPRIM_400000_NS6detail17trampoline_kernelINS0_14default_configENS1_38merge_sort_block_merge_config_selectorItNS0_10empty_typeEEEZZNS1_27merge_sort_block_merge_implIS3_PtPS5_jNS1_19radix_merge_compareILb1ELb1EtNS0_19identity_decomposerEEEEE10hipError_tT0_T1_T2_jT3_P12ihipStream_tbPNSt15iterator_traitsISE_E10value_typeEPNSK_ISF_E10value_typeEPSG_NS1_7vsmem_tEENKUlT_SE_SF_SG_E_clIS8_S8_S9_S9_EESD_ST_SE_SF_SG_EUlST_E0_NS1_11comp_targetILNS1_3genE2ELNS1_11target_archE906ELNS1_3gpuE6ELNS1_3repE0EEENS1_38merge_mergepath_config_static_selectorELNS0_4arch9wavefront6targetE1EEEvSF_.kd
    .uniform_work_group_size: 1
    .uses_dynamic_stack: false
    .vgpr_count:     0
    .vgpr_spill_count: 0
    .wavefront_size: 64
  - .agpr_count:     0
    .args:
      - .offset:         0
        .size:           64
        .value_kind:     by_value
    .group_segment_fixed_size: 0
    .kernarg_segment_align: 8
    .kernarg_segment_size: 64
    .language:       OpenCL C
    .language_version:
      - 2
      - 0
    .max_flat_workgroup_size: 128
    .name:           _ZN7rocprim17ROCPRIM_400000_NS6detail17trampoline_kernelINS0_14default_configENS1_38merge_sort_block_merge_config_selectorItNS0_10empty_typeEEEZZNS1_27merge_sort_block_merge_implIS3_PtPS5_jNS1_19radix_merge_compareILb1ELb1EtNS0_19identity_decomposerEEEEE10hipError_tT0_T1_T2_jT3_P12ihipStream_tbPNSt15iterator_traitsISE_E10value_typeEPNSK_ISF_E10value_typeEPSG_NS1_7vsmem_tEENKUlT_SE_SF_SG_E_clIS8_S8_S9_S9_EESD_ST_SE_SF_SG_EUlST_E0_NS1_11comp_targetILNS1_3genE9ELNS1_11target_archE1100ELNS1_3gpuE3ELNS1_3repE0EEENS1_38merge_mergepath_config_static_selectorELNS0_4arch9wavefront6targetE1EEEvSF_
    .private_segment_fixed_size: 0
    .sgpr_count:     4
    .sgpr_spill_count: 0
    .symbol:         _ZN7rocprim17ROCPRIM_400000_NS6detail17trampoline_kernelINS0_14default_configENS1_38merge_sort_block_merge_config_selectorItNS0_10empty_typeEEEZZNS1_27merge_sort_block_merge_implIS3_PtPS5_jNS1_19radix_merge_compareILb1ELb1EtNS0_19identity_decomposerEEEEE10hipError_tT0_T1_T2_jT3_P12ihipStream_tbPNSt15iterator_traitsISE_E10value_typeEPNSK_ISF_E10value_typeEPSG_NS1_7vsmem_tEENKUlT_SE_SF_SG_E_clIS8_S8_S9_S9_EESD_ST_SE_SF_SG_EUlST_E0_NS1_11comp_targetILNS1_3genE9ELNS1_11target_archE1100ELNS1_3gpuE3ELNS1_3repE0EEENS1_38merge_mergepath_config_static_selectorELNS0_4arch9wavefront6targetE1EEEvSF_.kd
    .uniform_work_group_size: 1
    .uses_dynamic_stack: false
    .vgpr_count:     0
    .vgpr_spill_count: 0
    .wavefront_size: 64
  - .agpr_count:     0
    .args:
      - .offset:         0
        .size:           64
        .value_kind:     by_value
    .group_segment_fixed_size: 0
    .kernarg_segment_align: 8
    .kernarg_segment_size: 64
    .language:       OpenCL C
    .language_version:
      - 2
      - 0
    .max_flat_workgroup_size: 128
    .name:           _ZN7rocprim17ROCPRIM_400000_NS6detail17trampoline_kernelINS0_14default_configENS1_38merge_sort_block_merge_config_selectorItNS0_10empty_typeEEEZZNS1_27merge_sort_block_merge_implIS3_PtPS5_jNS1_19radix_merge_compareILb1ELb1EtNS0_19identity_decomposerEEEEE10hipError_tT0_T1_T2_jT3_P12ihipStream_tbPNSt15iterator_traitsISE_E10value_typeEPNSK_ISF_E10value_typeEPSG_NS1_7vsmem_tEENKUlT_SE_SF_SG_E_clIS8_S8_S9_S9_EESD_ST_SE_SF_SG_EUlST_E0_NS1_11comp_targetILNS1_3genE8ELNS1_11target_archE1030ELNS1_3gpuE2ELNS1_3repE0EEENS1_38merge_mergepath_config_static_selectorELNS0_4arch9wavefront6targetE1EEEvSF_
    .private_segment_fixed_size: 0
    .sgpr_count:     4
    .sgpr_spill_count: 0
    .symbol:         _ZN7rocprim17ROCPRIM_400000_NS6detail17trampoline_kernelINS0_14default_configENS1_38merge_sort_block_merge_config_selectorItNS0_10empty_typeEEEZZNS1_27merge_sort_block_merge_implIS3_PtPS5_jNS1_19radix_merge_compareILb1ELb1EtNS0_19identity_decomposerEEEEE10hipError_tT0_T1_T2_jT3_P12ihipStream_tbPNSt15iterator_traitsISE_E10value_typeEPNSK_ISF_E10value_typeEPSG_NS1_7vsmem_tEENKUlT_SE_SF_SG_E_clIS8_S8_S9_S9_EESD_ST_SE_SF_SG_EUlST_E0_NS1_11comp_targetILNS1_3genE8ELNS1_11target_archE1030ELNS1_3gpuE2ELNS1_3repE0EEENS1_38merge_mergepath_config_static_selectorELNS0_4arch9wavefront6targetE1EEEvSF_.kd
    .uniform_work_group_size: 1
    .uses_dynamic_stack: false
    .vgpr_count:     0
    .vgpr_spill_count: 0
    .wavefront_size: 64
  - .agpr_count:     0
    .args:
      - .offset:         0
        .size:           48
        .value_kind:     by_value
    .group_segment_fixed_size: 0
    .kernarg_segment_align: 8
    .kernarg_segment_size: 48
    .language:       OpenCL C
    .language_version:
      - 2
      - 0
    .max_flat_workgroup_size: 256
    .name:           _ZN7rocprim17ROCPRIM_400000_NS6detail17trampoline_kernelINS0_14default_configENS1_38merge_sort_block_merge_config_selectorItNS0_10empty_typeEEEZZNS1_27merge_sort_block_merge_implIS3_PtPS5_jNS1_19radix_merge_compareILb1ELb1EtNS0_19identity_decomposerEEEEE10hipError_tT0_T1_T2_jT3_P12ihipStream_tbPNSt15iterator_traitsISE_E10value_typeEPNSK_ISF_E10value_typeEPSG_NS1_7vsmem_tEENKUlT_SE_SF_SG_E_clIS8_S8_S9_S9_EESD_ST_SE_SF_SG_EUlST_E1_NS1_11comp_targetILNS1_3genE0ELNS1_11target_archE4294967295ELNS1_3gpuE0ELNS1_3repE0EEENS1_36merge_oddeven_config_static_selectorELNS0_4arch9wavefront6targetE1EEEvSF_
    .private_segment_fixed_size: 0
    .sgpr_count:     4
    .sgpr_spill_count: 0
    .symbol:         _ZN7rocprim17ROCPRIM_400000_NS6detail17trampoline_kernelINS0_14default_configENS1_38merge_sort_block_merge_config_selectorItNS0_10empty_typeEEEZZNS1_27merge_sort_block_merge_implIS3_PtPS5_jNS1_19radix_merge_compareILb1ELb1EtNS0_19identity_decomposerEEEEE10hipError_tT0_T1_T2_jT3_P12ihipStream_tbPNSt15iterator_traitsISE_E10value_typeEPNSK_ISF_E10value_typeEPSG_NS1_7vsmem_tEENKUlT_SE_SF_SG_E_clIS8_S8_S9_S9_EESD_ST_SE_SF_SG_EUlST_E1_NS1_11comp_targetILNS1_3genE0ELNS1_11target_archE4294967295ELNS1_3gpuE0ELNS1_3repE0EEENS1_36merge_oddeven_config_static_selectorELNS0_4arch9wavefront6targetE1EEEvSF_.kd
    .uniform_work_group_size: 1
    .uses_dynamic_stack: false
    .vgpr_count:     0
    .vgpr_spill_count: 0
    .wavefront_size: 64
  - .agpr_count:     0
    .args:
      - .offset:         0
        .size:           48
        .value_kind:     by_value
    .group_segment_fixed_size: 0
    .kernarg_segment_align: 8
    .kernarg_segment_size: 48
    .language:       OpenCL C
    .language_version:
      - 2
      - 0
    .max_flat_workgroup_size: 256
    .name:           _ZN7rocprim17ROCPRIM_400000_NS6detail17trampoline_kernelINS0_14default_configENS1_38merge_sort_block_merge_config_selectorItNS0_10empty_typeEEEZZNS1_27merge_sort_block_merge_implIS3_PtPS5_jNS1_19radix_merge_compareILb1ELb1EtNS0_19identity_decomposerEEEEE10hipError_tT0_T1_T2_jT3_P12ihipStream_tbPNSt15iterator_traitsISE_E10value_typeEPNSK_ISF_E10value_typeEPSG_NS1_7vsmem_tEENKUlT_SE_SF_SG_E_clIS8_S8_S9_S9_EESD_ST_SE_SF_SG_EUlST_E1_NS1_11comp_targetILNS1_3genE10ELNS1_11target_archE1201ELNS1_3gpuE5ELNS1_3repE0EEENS1_36merge_oddeven_config_static_selectorELNS0_4arch9wavefront6targetE1EEEvSF_
    .private_segment_fixed_size: 0
    .sgpr_count:     4
    .sgpr_spill_count: 0
    .symbol:         _ZN7rocprim17ROCPRIM_400000_NS6detail17trampoline_kernelINS0_14default_configENS1_38merge_sort_block_merge_config_selectorItNS0_10empty_typeEEEZZNS1_27merge_sort_block_merge_implIS3_PtPS5_jNS1_19radix_merge_compareILb1ELb1EtNS0_19identity_decomposerEEEEE10hipError_tT0_T1_T2_jT3_P12ihipStream_tbPNSt15iterator_traitsISE_E10value_typeEPNSK_ISF_E10value_typeEPSG_NS1_7vsmem_tEENKUlT_SE_SF_SG_E_clIS8_S8_S9_S9_EESD_ST_SE_SF_SG_EUlST_E1_NS1_11comp_targetILNS1_3genE10ELNS1_11target_archE1201ELNS1_3gpuE5ELNS1_3repE0EEENS1_36merge_oddeven_config_static_selectorELNS0_4arch9wavefront6targetE1EEEvSF_.kd
    .uniform_work_group_size: 1
    .uses_dynamic_stack: false
    .vgpr_count:     0
    .vgpr_spill_count: 0
    .wavefront_size: 64
  - .agpr_count:     0
    .args:
      - .offset:         0
        .size:           48
        .value_kind:     by_value
    .group_segment_fixed_size: 0
    .kernarg_segment_align: 8
    .kernarg_segment_size: 48
    .language:       OpenCL C
    .language_version:
      - 2
      - 0
    .max_flat_workgroup_size: 256
    .name:           _ZN7rocprim17ROCPRIM_400000_NS6detail17trampoline_kernelINS0_14default_configENS1_38merge_sort_block_merge_config_selectorItNS0_10empty_typeEEEZZNS1_27merge_sort_block_merge_implIS3_PtPS5_jNS1_19radix_merge_compareILb1ELb1EtNS0_19identity_decomposerEEEEE10hipError_tT0_T1_T2_jT3_P12ihipStream_tbPNSt15iterator_traitsISE_E10value_typeEPNSK_ISF_E10value_typeEPSG_NS1_7vsmem_tEENKUlT_SE_SF_SG_E_clIS8_S8_S9_S9_EESD_ST_SE_SF_SG_EUlST_E1_NS1_11comp_targetILNS1_3genE5ELNS1_11target_archE942ELNS1_3gpuE9ELNS1_3repE0EEENS1_36merge_oddeven_config_static_selectorELNS0_4arch9wavefront6targetE1EEEvSF_
    .private_segment_fixed_size: 0
    .sgpr_count:     4
    .sgpr_spill_count: 0
    .symbol:         _ZN7rocprim17ROCPRIM_400000_NS6detail17trampoline_kernelINS0_14default_configENS1_38merge_sort_block_merge_config_selectorItNS0_10empty_typeEEEZZNS1_27merge_sort_block_merge_implIS3_PtPS5_jNS1_19radix_merge_compareILb1ELb1EtNS0_19identity_decomposerEEEEE10hipError_tT0_T1_T2_jT3_P12ihipStream_tbPNSt15iterator_traitsISE_E10value_typeEPNSK_ISF_E10value_typeEPSG_NS1_7vsmem_tEENKUlT_SE_SF_SG_E_clIS8_S8_S9_S9_EESD_ST_SE_SF_SG_EUlST_E1_NS1_11comp_targetILNS1_3genE5ELNS1_11target_archE942ELNS1_3gpuE9ELNS1_3repE0EEENS1_36merge_oddeven_config_static_selectorELNS0_4arch9wavefront6targetE1EEEvSF_.kd
    .uniform_work_group_size: 1
    .uses_dynamic_stack: false
    .vgpr_count:     0
    .vgpr_spill_count: 0
    .wavefront_size: 64
  - .agpr_count:     0
    .args:
      - .offset:         0
        .size:           48
        .value_kind:     by_value
    .group_segment_fixed_size: 0
    .kernarg_segment_align: 8
    .kernarg_segment_size: 48
    .language:       OpenCL C
    .language_version:
      - 2
      - 0
    .max_flat_workgroup_size: 256
    .name:           _ZN7rocprim17ROCPRIM_400000_NS6detail17trampoline_kernelINS0_14default_configENS1_38merge_sort_block_merge_config_selectorItNS0_10empty_typeEEEZZNS1_27merge_sort_block_merge_implIS3_PtPS5_jNS1_19radix_merge_compareILb1ELb1EtNS0_19identity_decomposerEEEEE10hipError_tT0_T1_T2_jT3_P12ihipStream_tbPNSt15iterator_traitsISE_E10value_typeEPNSK_ISF_E10value_typeEPSG_NS1_7vsmem_tEENKUlT_SE_SF_SG_E_clIS8_S8_S9_S9_EESD_ST_SE_SF_SG_EUlST_E1_NS1_11comp_targetILNS1_3genE4ELNS1_11target_archE910ELNS1_3gpuE8ELNS1_3repE0EEENS1_36merge_oddeven_config_static_selectorELNS0_4arch9wavefront6targetE1EEEvSF_
    .private_segment_fixed_size: 0
    .sgpr_count:     25
    .sgpr_spill_count: 0
    .symbol:         _ZN7rocprim17ROCPRIM_400000_NS6detail17trampoline_kernelINS0_14default_configENS1_38merge_sort_block_merge_config_selectorItNS0_10empty_typeEEEZZNS1_27merge_sort_block_merge_implIS3_PtPS5_jNS1_19radix_merge_compareILb1ELb1EtNS0_19identity_decomposerEEEEE10hipError_tT0_T1_T2_jT3_P12ihipStream_tbPNSt15iterator_traitsISE_E10value_typeEPNSK_ISF_E10value_typeEPSG_NS1_7vsmem_tEENKUlT_SE_SF_SG_E_clIS8_S8_S9_S9_EESD_ST_SE_SF_SG_EUlST_E1_NS1_11comp_targetILNS1_3genE4ELNS1_11target_archE910ELNS1_3gpuE8ELNS1_3repE0EEENS1_36merge_oddeven_config_static_selectorELNS0_4arch9wavefront6targetE1EEEvSF_.kd
    .uniform_work_group_size: 1
    .uses_dynamic_stack: false
    .vgpr_count:     9
    .vgpr_spill_count: 0
    .wavefront_size: 64
  - .agpr_count:     0
    .args:
      - .offset:         0
        .size:           48
        .value_kind:     by_value
    .group_segment_fixed_size: 0
    .kernarg_segment_align: 8
    .kernarg_segment_size: 48
    .language:       OpenCL C
    .language_version:
      - 2
      - 0
    .max_flat_workgroup_size: 256
    .name:           _ZN7rocprim17ROCPRIM_400000_NS6detail17trampoline_kernelINS0_14default_configENS1_38merge_sort_block_merge_config_selectorItNS0_10empty_typeEEEZZNS1_27merge_sort_block_merge_implIS3_PtPS5_jNS1_19radix_merge_compareILb1ELb1EtNS0_19identity_decomposerEEEEE10hipError_tT0_T1_T2_jT3_P12ihipStream_tbPNSt15iterator_traitsISE_E10value_typeEPNSK_ISF_E10value_typeEPSG_NS1_7vsmem_tEENKUlT_SE_SF_SG_E_clIS8_S8_S9_S9_EESD_ST_SE_SF_SG_EUlST_E1_NS1_11comp_targetILNS1_3genE3ELNS1_11target_archE908ELNS1_3gpuE7ELNS1_3repE0EEENS1_36merge_oddeven_config_static_selectorELNS0_4arch9wavefront6targetE1EEEvSF_
    .private_segment_fixed_size: 0
    .sgpr_count:     4
    .sgpr_spill_count: 0
    .symbol:         _ZN7rocprim17ROCPRIM_400000_NS6detail17trampoline_kernelINS0_14default_configENS1_38merge_sort_block_merge_config_selectorItNS0_10empty_typeEEEZZNS1_27merge_sort_block_merge_implIS3_PtPS5_jNS1_19radix_merge_compareILb1ELb1EtNS0_19identity_decomposerEEEEE10hipError_tT0_T1_T2_jT3_P12ihipStream_tbPNSt15iterator_traitsISE_E10value_typeEPNSK_ISF_E10value_typeEPSG_NS1_7vsmem_tEENKUlT_SE_SF_SG_E_clIS8_S8_S9_S9_EESD_ST_SE_SF_SG_EUlST_E1_NS1_11comp_targetILNS1_3genE3ELNS1_11target_archE908ELNS1_3gpuE7ELNS1_3repE0EEENS1_36merge_oddeven_config_static_selectorELNS0_4arch9wavefront6targetE1EEEvSF_.kd
    .uniform_work_group_size: 1
    .uses_dynamic_stack: false
    .vgpr_count:     0
    .vgpr_spill_count: 0
    .wavefront_size: 64
  - .agpr_count:     0
    .args:
      - .offset:         0
        .size:           48
        .value_kind:     by_value
    .group_segment_fixed_size: 0
    .kernarg_segment_align: 8
    .kernarg_segment_size: 48
    .language:       OpenCL C
    .language_version:
      - 2
      - 0
    .max_flat_workgroup_size: 256
    .name:           _ZN7rocprim17ROCPRIM_400000_NS6detail17trampoline_kernelINS0_14default_configENS1_38merge_sort_block_merge_config_selectorItNS0_10empty_typeEEEZZNS1_27merge_sort_block_merge_implIS3_PtPS5_jNS1_19radix_merge_compareILb1ELb1EtNS0_19identity_decomposerEEEEE10hipError_tT0_T1_T2_jT3_P12ihipStream_tbPNSt15iterator_traitsISE_E10value_typeEPNSK_ISF_E10value_typeEPSG_NS1_7vsmem_tEENKUlT_SE_SF_SG_E_clIS8_S8_S9_S9_EESD_ST_SE_SF_SG_EUlST_E1_NS1_11comp_targetILNS1_3genE2ELNS1_11target_archE906ELNS1_3gpuE6ELNS1_3repE0EEENS1_36merge_oddeven_config_static_selectorELNS0_4arch9wavefront6targetE1EEEvSF_
    .private_segment_fixed_size: 0
    .sgpr_count:     4
    .sgpr_spill_count: 0
    .symbol:         _ZN7rocprim17ROCPRIM_400000_NS6detail17trampoline_kernelINS0_14default_configENS1_38merge_sort_block_merge_config_selectorItNS0_10empty_typeEEEZZNS1_27merge_sort_block_merge_implIS3_PtPS5_jNS1_19radix_merge_compareILb1ELb1EtNS0_19identity_decomposerEEEEE10hipError_tT0_T1_T2_jT3_P12ihipStream_tbPNSt15iterator_traitsISE_E10value_typeEPNSK_ISF_E10value_typeEPSG_NS1_7vsmem_tEENKUlT_SE_SF_SG_E_clIS8_S8_S9_S9_EESD_ST_SE_SF_SG_EUlST_E1_NS1_11comp_targetILNS1_3genE2ELNS1_11target_archE906ELNS1_3gpuE6ELNS1_3repE0EEENS1_36merge_oddeven_config_static_selectorELNS0_4arch9wavefront6targetE1EEEvSF_.kd
    .uniform_work_group_size: 1
    .uses_dynamic_stack: false
    .vgpr_count:     0
    .vgpr_spill_count: 0
    .wavefront_size: 64
  - .agpr_count:     0
    .args:
      - .offset:         0
        .size:           48
        .value_kind:     by_value
    .group_segment_fixed_size: 0
    .kernarg_segment_align: 8
    .kernarg_segment_size: 48
    .language:       OpenCL C
    .language_version:
      - 2
      - 0
    .max_flat_workgroup_size: 256
    .name:           _ZN7rocprim17ROCPRIM_400000_NS6detail17trampoline_kernelINS0_14default_configENS1_38merge_sort_block_merge_config_selectorItNS0_10empty_typeEEEZZNS1_27merge_sort_block_merge_implIS3_PtPS5_jNS1_19radix_merge_compareILb1ELb1EtNS0_19identity_decomposerEEEEE10hipError_tT0_T1_T2_jT3_P12ihipStream_tbPNSt15iterator_traitsISE_E10value_typeEPNSK_ISF_E10value_typeEPSG_NS1_7vsmem_tEENKUlT_SE_SF_SG_E_clIS8_S8_S9_S9_EESD_ST_SE_SF_SG_EUlST_E1_NS1_11comp_targetILNS1_3genE9ELNS1_11target_archE1100ELNS1_3gpuE3ELNS1_3repE0EEENS1_36merge_oddeven_config_static_selectorELNS0_4arch9wavefront6targetE1EEEvSF_
    .private_segment_fixed_size: 0
    .sgpr_count:     4
    .sgpr_spill_count: 0
    .symbol:         _ZN7rocprim17ROCPRIM_400000_NS6detail17trampoline_kernelINS0_14default_configENS1_38merge_sort_block_merge_config_selectorItNS0_10empty_typeEEEZZNS1_27merge_sort_block_merge_implIS3_PtPS5_jNS1_19radix_merge_compareILb1ELb1EtNS0_19identity_decomposerEEEEE10hipError_tT0_T1_T2_jT3_P12ihipStream_tbPNSt15iterator_traitsISE_E10value_typeEPNSK_ISF_E10value_typeEPSG_NS1_7vsmem_tEENKUlT_SE_SF_SG_E_clIS8_S8_S9_S9_EESD_ST_SE_SF_SG_EUlST_E1_NS1_11comp_targetILNS1_3genE9ELNS1_11target_archE1100ELNS1_3gpuE3ELNS1_3repE0EEENS1_36merge_oddeven_config_static_selectorELNS0_4arch9wavefront6targetE1EEEvSF_.kd
    .uniform_work_group_size: 1
    .uses_dynamic_stack: false
    .vgpr_count:     0
    .vgpr_spill_count: 0
    .wavefront_size: 64
  - .agpr_count:     0
    .args:
      - .offset:         0
        .size:           48
        .value_kind:     by_value
    .group_segment_fixed_size: 0
    .kernarg_segment_align: 8
    .kernarg_segment_size: 48
    .language:       OpenCL C
    .language_version:
      - 2
      - 0
    .max_flat_workgroup_size: 256
    .name:           _ZN7rocprim17ROCPRIM_400000_NS6detail17trampoline_kernelINS0_14default_configENS1_38merge_sort_block_merge_config_selectorItNS0_10empty_typeEEEZZNS1_27merge_sort_block_merge_implIS3_PtPS5_jNS1_19radix_merge_compareILb1ELb1EtNS0_19identity_decomposerEEEEE10hipError_tT0_T1_T2_jT3_P12ihipStream_tbPNSt15iterator_traitsISE_E10value_typeEPNSK_ISF_E10value_typeEPSG_NS1_7vsmem_tEENKUlT_SE_SF_SG_E_clIS8_S8_S9_S9_EESD_ST_SE_SF_SG_EUlST_E1_NS1_11comp_targetILNS1_3genE8ELNS1_11target_archE1030ELNS1_3gpuE2ELNS1_3repE0EEENS1_36merge_oddeven_config_static_selectorELNS0_4arch9wavefront6targetE1EEEvSF_
    .private_segment_fixed_size: 0
    .sgpr_count:     4
    .sgpr_spill_count: 0
    .symbol:         _ZN7rocprim17ROCPRIM_400000_NS6detail17trampoline_kernelINS0_14default_configENS1_38merge_sort_block_merge_config_selectorItNS0_10empty_typeEEEZZNS1_27merge_sort_block_merge_implIS3_PtPS5_jNS1_19radix_merge_compareILb1ELb1EtNS0_19identity_decomposerEEEEE10hipError_tT0_T1_T2_jT3_P12ihipStream_tbPNSt15iterator_traitsISE_E10value_typeEPNSK_ISF_E10value_typeEPSG_NS1_7vsmem_tEENKUlT_SE_SF_SG_E_clIS8_S8_S9_S9_EESD_ST_SE_SF_SG_EUlST_E1_NS1_11comp_targetILNS1_3genE8ELNS1_11target_archE1030ELNS1_3gpuE2ELNS1_3repE0EEENS1_36merge_oddeven_config_static_selectorELNS0_4arch9wavefront6targetE1EEEvSF_.kd
    .uniform_work_group_size: 1
    .uses_dynamic_stack: false
    .vgpr_count:     0
    .vgpr_spill_count: 0
    .wavefront_size: 64
  - .agpr_count:     0
    .args:
      - .offset:         0
        .size:           48
        .value_kind:     by_value
    .group_segment_fixed_size: 0
    .kernarg_segment_align: 8
    .kernarg_segment_size: 48
    .language:       OpenCL C
    .language_version:
      - 2
      - 0
    .max_flat_workgroup_size: 512
    .name:           _ZN7rocprim17ROCPRIM_400000_NS6detail17trampoline_kernelINS0_14default_configENS1_35radix_sort_onesweep_config_selectorItNS0_10empty_typeEEEZNS1_34radix_sort_onesweep_global_offsetsIS3_Lb1EPtPS5_mNS0_19identity_decomposerEEE10hipError_tT1_T2_PT3_SE_jT4_jjP12ihipStream_tbEUlT_E_NS1_11comp_targetILNS1_3genE0ELNS1_11target_archE4294967295ELNS1_3gpuE0ELNS1_3repE0EEENS1_52radix_sort_onesweep_histogram_config_static_selectorELNS0_4arch9wavefront6targetE1EEEvSC_
    .private_segment_fixed_size: 0
    .sgpr_count:     4
    .sgpr_spill_count: 0
    .symbol:         _ZN7rocprim17ROCPRIM_400000_NS6detail17trampoline_kernelINS0_14default_configENS1_35radix_sort_onesweep_config_selectorItNS0_10empty_typeEEEZNS1_34radix_sort_onesweep_global_offsetsIS3_Lb1EPtPS5_mNS0_19identity_decomposerEEE10hipError_tT1_T2_PT3_SE_jT4_jjP12ihipStream_tbEUlT_E_NS1_11comp_targetILNS1_3genE0ELNS1_11target_archE4294967295ELNS1_3gpuE0ELNS1_3repE0EEENS1_52radix_sort_onesweep_histogram_config_static_selectorELNS0_4arch9wavefront6targetE1EEEvSC_.kd
    .uniform_work_group_size: 1
    .uses_dynamic_stack: false
    .vgpr_count:     0
    .vgpr_spill_count: 0
    .wavefront_size: 64
  - .agpr_count:     0
    .args:
      - .offset:         0
        .size:           48
        .value_kind:     by_value
    .group_segment_fixed_size: 0
    .kernarg_segment_align: 8
    .kernarg_segment_size: 48
    .language:       OpenCL C
    .language_version:
      - 2
      - 0
    .max_flat_workgroup_size: 1024
    .name:           _ZN7rocprim17ROCPRIM_400000_NS6detail17trampoline_kernelINS0_14default_configENS1_35radix_sort_onesweep_config_selectorItNS0_10empty_typeEEEZNS1_34radix_sort_onesweep_global_offsetsIS3_Lb1EPtPS5_mNS0_19identity_decomposerEEE10hipError_tT1_T2_PT3_SE_jT4_jjP12ihipStream_tbEUlT_E_NS1_11comp_targetILNS1_3genE6ELNS1_11target_archE950ELNS1_3gpuE13ELNS1_3repE0EEENS1_52radix_sort_onesweep_histogram_config_static_selectorELNS0_4arch9wavefront6targetE1EEEvSC_
    .private_segment_fixed_size: 0
    .sgpr_count:     4
    .sgpr_spill_count: 0
    .symbol:         _ZN7rocprim17ROCPRIM_400000_NS6detail17trampoline_kernelINS0_14default_configENS1_35radix_sort_onesweep_config_selectorItNS0_10empty_typeEEEZNS1_34radix_sort_onesweep_global_offsetsIS3_Lb1EPtPS5_mNS0_19identity_decomposerEEE10hipError_tT1_T2_PT3_SE_jT4_jjP12ihipStream_tbEUlT_E_NS1_11comp_targetILNS1_3genE6ELNS1_11target_archE950ELNS1_3gpuE13ELNS1_3repE0EEENS1_52radix_sort_onesweep_histogram_config_static_selectorELNS0_4arch9wavefront6targetE1EEEvSC_.kd
    .uniform_work_group_size: 1
    .uses_dynamic_stack: false
    .vgpr_count:     0
    .vgpr_spill_count: 0
    .wavefront_size: 64
  - .agpr_count:     0
    .args:
      - .offset:         0
        .size:           48
        .value_kind:     by_value
    .group_segment_fixed_size: 0
    .kernarg_segment_align: 8
    .kernarg_segment_size: 48
    .language:       OpenCL C
    .language_version:
      - 2
      - 0
    .max_flat_workgroup_size: 1024
    .name:           _ZN7rocprim17ROCPRIM_400000_NS6detail17trampoline_kernelINS0_14default_configENS1_35radix_sort_onesweep_config_selectorItNS0_10empty_typeEEEZNS1_34radix_sort_onesweep_global_offsetsIS3_Lb1EPtPS5_mNS0_19identity_decomposerEEE10hipError_tT1_T2_PT3_SE_jT4_jjP12ihipStream_tbEUlT_E_NS1_11comp_targetILNS1_3genE5ELNS1_11target_archE942ELNS1_3gpuE9ELNS1_3repE0EEENS1_52radix_sort_onesweep_histogram_config_static_selectorELNS0_4arch9wavefront6targetE1EEEvSC_
    .private_segment_fixed_size: 0
    .sgpr_count:     4
    .sgpr_spill_count: 0
    .symbol:         _ZN7rocprim17ROCPRIM_400000_NS6detail17trampoline_kernelINS0_14default_configENS1_35radix_sort_onesweep_config_selectorItNS0_10empty_typeEEEZNS1_34radix_sort_onesweep_global_offsetsIS3_Lb1EPtPS5_mNS0_19identity_decomposerEEE10hipError_tT1_T2_PT3_SE_jT4_jjP12ihipStream_tbEUlT_E_NS1_11comp_targetILNS1_3genE5ELNS1_11target_archE942ELNS1_3gpuE9ELNS1_3repE0EEENS1_52radix_sort_onesweep_histogram_config_static_selectorELNS0_4arch9wavefront6targetE1EEEvSC_.kd
    .uniform_work_group_size: 1
    .uses_dynamic_stack: false
    .vgpr_count:     0
    .vgpr_spill_count: 0
    .wavefront_size: 64
  - .agpr_count:     0
    .args:
      - .offset:         0
        .size:           48
        .value_kind:     by_value
    .group_segment_fixed_size: 0
    .kernarg_segment_align: 8
    .kernarg_segment_size: 48
    .language:       OpenCL C
    .language_version:
      - 2
      - 0
    .max_flat_workgroup_size: 512
    .name:           _ZN7rocprim17ROCPRIM_400000_NS6detail17trampoline_kernelINS0_14default_configENS1_35radix_sort_onesweep_config_selectorItNS0_10empty_typeEEEZNS1_34radix_sort_onesweep_global_offsetsIS3_Lb1EPtPS5_mNS0_19identity_decomposerEEE10hipError_tT1_T2_PT3_SE_jT4_jjP12ihipStream_tbEUlT_E_NS1_11comp_targetILNS1_3genE2ELNS1_11target_archE906ELNS1_3gpuE6ELNS1_3repE0EEENS1_52radix_sort_onesweep_histogram_config_static_selectorELNS0_4arch9wavefront6targetE1EEEvSC_
    .private_segment_fixed_size: 0
    .sgpr_count:     4
    .sgpr_spill_count: 0
    .symbol:         _ZN7rocprim17ROCPRIM_400000_NS6detail17trampoline_kernelINS0_14default_configENS1_35radix_sort_onesweep_config_selectorItNS0_10empty_typeEEEZNS1_34radix_sort_onesweep_global_offsetsIS3_Lb1EPtPS5_mNS0_19identity_decomposerEEE10hipError_tT1_T2_PT3_SE_jT4_jjP12ihipStream_tbEUlT_E_NS1_11comp_targetILNS1_3genE2ELNS1_11target_archE906ELNS1_3gpuE6ELNS1_3repE0EEENS1_52radix_sort_onesweep_histogram_config_static_selectorELNS0_4arch9wavefront6targetE1EEEvSC_.kd
    .uniform_work_group_size: 1
    .uses_dynamic_stack: false
    .vgpr_count:     0
    .vgpr_spill_count: 0
    .wavefront_size: 64
  - .agpr_count:     0
    .args:
      - .offset:         0
        .size:           48
        .value_kind:     by_value
    .group_segment_fixed_size: 8192
    .kernarg_segment_align: 8
    .kernarg_segment_size: 48
    .language:       OpenCL C
    .language_version:
      - 2
      - 0
    .max_flat_workgroup_size: 1024
    .name:           _ZN7rocprim17ROCPRIM_400000_NS6detail17trampoline_kernelINS0_14default_configENS1_35radix_sort_onesweep_config_selectorItNS0_10empty_typeEEEZNS1_34radix_sort_onesweep_global_offsetsIS3_Lb1EPtPS5_mNS0_19identity_decomposerEEE10hipError_tT1_T2_PT3_SE_jT4_jjP12ihipStream_tbEUlT_E_NS1_11comp_targetILNS1_3genE4ELNS1_11target_archE910ELNS1_3gpuE8ELNS1_3repE0EEENS1_52radix_sort_onesweep_histogram_config_static_selectorELNS0_4arch9wavefront6targetE1EEEvSC_
    .private_segment_fixed_size: 0
    .sgpr_count:     22
    .sgpr_spill_count: 0
    .symbol:         _ZN7rocprim17ROCPRIM_400000_NS6detail17trampoline_kernelINS0_14default_configENS1_35radix_sort_onesweep_config_selectorItNS0_10empty_typeEEEZNS1_34radix_sort_onesweep_global_offsetsIS3_Lb1EPtPS5_mNS0_19identity_decomposerEEE10hipError_tT1_T2_PT3_SE_jT4_jjP12ihipStream_tbEUlT_E_NS1_11comp_targetILNS1_3genE4ELNS1_11target_archE910ELNS1_3gpuE8ELNS1_3repE0EEENS1_52radix_sort_onesweep_histogram_config_static_selectorELNS0_4arch9wavefront6targetE1EEEvSC_.kd
    .uniform_work_group_size: 1
    .uses_dynamic_stack: false
    .vgpr_count:     24
    .vgpr_spill_count: 0
    .wavefront_size: 64
  - .agpr_count:     0
    .args:
      - .offset:         0
        .size:           48
        .value_kind:     by_value
    .group_segment_fixed_size: 0
    .kernarg_segment_align: 8
    .kernarg_segment_size: 48
    .language:       OpenCL C
    .language_version:
      - 2
      - 0
    .max_flat_workgroup_size: 512
    .name:           _ZN7rocprim17ROCPRIM_400000_NS6detail17trampoline_kernelINS0_14default_configENS1_35radix_sort_onesweep_config_selectorItNS0_10empty_typeEEEZNS1_34radix_sort_onesweep_global_offsetsIS3_Lb1EPtPS5_mNS0_19identity_decomposerEEE10hipError_tT1_T2_PT3_SE_jT4_jjP12ihipStream_tbEUlT_E_NS1_11comp_targetILNS1_3genE3ELNS1_11target_archE908ELNS1_3gpuE7ELNS1_3repE0EEENS1_52radix_sort_onesweep_histogram_config_static_selectorELNS0_4arch9wavefront6targetE1EEEvSC_
    .private_segment_fixed_size: 0
    .sgpr_count:     4
    .sgpr_spill_count: 0
    .symbol:         _ZN7rocprim17ROCPRIM_400000_NS6detail17trampoline_kernelINS0_14default_configENS1_35radix_sort_onesweep_config_selectorItNS0_10empty_typeEEEZNS1_34radix_sort_onesweep_global_offsetsIS3_Lb1EPtPS5_mNS0_19identity_decomposerEEE10hipError_tT1_T2_PT3_SE_jT4_jjP12ihipStream_tbEUlT_E_NS1_11comp_targetILNS1_3genE3ELNS1_11target_archE908ELNS1_3gpuE7ELNS1_3repE0EEENS1_52radix_sort_onesweep_histogram_config_static_selectorELNS0_4arch9wavefront6targetE1EEEvSC_.kd
    .uniform_work_group_size: 1
    .uses_dynamic_stack: false
    .vgpr_count:     0
    .vgpr_spill_count: 0
    .wavefront_size: 64
  - .agpr_count:     0
    .args:
      - .offset:         0
        .size:           48
        .value_kind:     by_value
    .group_segment_fixed_size: 0
    .kernarg_segment_align: 8
    .kernarg_segment_size: 48
    .language:       OpenCL C
    .language_version:
      - 2
      - 0
    .max_flat_workgroup_size: 256
    .name:           _ZN7rocprim17ROCPRIM_400000_NS6detail17trampoline_kernelINS0_14default_configENS1_35radix_sort_onesweep_config_selectorItNS0_10empty_typeEEEZNS1_34radix_sort_onesweep_global_offsetsIS3_Lb1EPtPS5_mNS0_19identity_decomposerEEE10hipError_tT1_T2_PT3_SE_jT4_jjP12ihipStream_tbEUlT_E_NS1_11comp_targetILNS1_3genE10ELNS1_11target_archE1201ELNS1_3gpuE5ELNS1_3repE0EEENS1_52radix_sort_onesweep_histogram_config_static_selectorELNS0_4arch9wavefront6targetE1EEEvSC_
    .private_segment_fixed_size: 0
    .sgpr_count:     4
    .sgpr_spill_count: 0
    .symbol:         _ZN7rocprim17ROCPRIM_400000_NS6detail17trampoline_kernelINS0_14default_configENS1_35radix_sort_onesweep_config_selectorItNS0_10empty_typeEEEZNS1_34radix_sort_onesweep_global_offsetsIS3_Lb1EPtPS5_mNS0_19identity_decomposerEEE10hipError_tT1_T2_PT3_SE_jT4_jjP12ihipStream_tbEUlT_E_NS1_11comp_targetILNS1_3genE10ELNS1_11target_archE1201ELNS1_3gpuE5ELNS1_3repE0EEENS1_52radix_sort_onesweep_histogram_config_static_selectorELNS0_4arch9wavefront6targetE1EEEvSC_.kd
    .uniform_work_group_size: 1
    .uses_dynamic_stack: false
    .vgpr_count:     0
    .vgpr_spill_count: 0
    .wavefront_size: 64
  - .agpr_count:     0
    .args:
      - .offset:         0
        .size:           48
        .value_kind:     by_value
    .group_segment_fixed_size: 0
    .kernarg_segment_align: 8
    .kernarg_segment_size: 48
    .language:       OpenCL C
    .language_version:
      - 2
      - 0
    .max_flat_workgroup_size: 256
    .name:           _ZN7rocprim17ROCPRIM_400000_NS6detail17trampoline_kernelINS0_14default_configENS1_35radix_sort_onesweep_config_selectorItNS0_10empty_typeEEEZNS1_34radix_sort_onesweep_global_offsetsIS3_Lb1EPtPS5_mNS0_19identity_decomposerEEE10hipError_tT1_T2_PT3_SE_jT4_jjP12ihipStream_tbEUlT_E_NS1_11comp_targetILNS1_3genE9ELNS1_11target_archE1100ELNS1_3gpuE3ELNS1_3repE0EEENS1_52radix_sort_onesweep_histogram_config_static_selectorELNS0_4arch9wavefront6targetE1EEEvSC_
    .private_segment_fixed_size: 0
    .sgpr_count:     4
    .sgpr_spill_count: 0
    .symbol:         _ZN7rocprim17ROCPRIM_400000_NS6detail17trampoline_kernelINS0_14default_configENS1_35radix_sort_onesweep_config_selectorItNS0_10empty_typeEEEZNS1_34radix_sort_onesweep_global_offsetsIS3_Lb1EPtPS5_mNS0_19identity_decomposerEEE10hipError_tT1_T2_PT3_SE_jT4_jjP12ihipStream_tbEUlT_E_NS1_11comp_targetILNS1_3genE9ELNS1_11target_archE1100ELNS1_3gpuE3ELNS1_3repE0EEENS1_52radix_sort_onesweep_histogram_config_static_selectorELNS0_4arch9wavefront6targetE1EEEvSC_.kd
    .uniform_work_group_size: 1
    .uses_dynamic_stack: false
    .vgpr_count:     0
    .vgpr_spill_count: 0
    .wavefront_size: 64
  - .agpr_count:     0
    .args:
      - .offset:         0
        .size:           48
        .value_kind:     by_value
    .group_segment_fixed_size: 0
    .kernarg_segment_align: 8
    .kernarg_segment_size: 48
    .language:       OpenCL C
    .language_version:
      - 2
      - 0
    .max_flat_workgroup_size: 256
    .name:           _ZN7rocprim17ROCPRIM_400000_NS6detail17trampoline_kernelINS0_14default_configENS1_35radix_sort_onesweep_config_selectorItNS0_10empty_typeEEEZNS1_34radix_sort_onesweep_global_offsetsIS3_Lb1EPtPS5_mNS0_19identity_decomposerEEE10hipError_tT1_T2_PT3_SE_jT4_jjP12ihipStream_tbEUlT_E_NS1_11comp_targetILNS1_3genE8ELNS1_11target_archE1030ELNS1_3gpuE2ELNS1_3repE0EEENS1_52radix_sort_onesweep_histogram_config_static_selectorELNS0_4arch9wavefront6targetE1EEEvSC_
    .private_segment_fixed_size: 0
    .sgpr_count:     4
    .sgpr_spill_count: 0
    .symbol:         _ZN7rocprim17ROCPRIM_400000_NS6detail17trampoline_kernelINS0_14default_configENS1_35radix_sort_onesweep_config_selectorItNS0_10empty_typeEEEZNS1_34radix_sort_onesweep_global_offsetsIS3_Lb1EPtPS5_mNS0_19identity_decomposerEEE10hipError_tT1_T2_PT3_SE_jT4_jjP12ihipStream_tbEUlT_E_NS1_11comp_targetILNS1_3genE8ELNS1_11target_archE1030ELNS1_3gpuE2ELNS1_3repE0EEENS1_52radix_sort_onesweep_histogram_config_static_selectorELNS0_4arch9wavefront6targetE1EEEvSC_.kd
    .uniform_work_group_size: 1
    .uses_dynamic_stack: false
    .vgpr_count:     0
    .vgpr_spill_count: 0
    .wavefront_size: 64
  - .agpr_count:     0
    .args:
      - .address_space:  global
        .offset:         0
        .size:           8
        .value_kind:     global_buffer
    .group_segment_fixed_size: 0
    .kernarg_segment_align: 8
    .kernarg_segment_size: 8
    .language:       OpenCL C
    .language_version:
      - 2
      - 0
    .max_flat_workgroup_size: 512
    .name:           _ZN7rocprim17ROCPRIM_400000_NS6detail17trampoline_kernelINS0_14default_configENS1_35radix_sort_onesweep_config_selectorItNS0_10empty_typeEEEZNS1_34radix_sort_onesweep_global_offsetsIS3_Lb1EPtPS5_mNS0_19identity_decomposerEEE10hipError_tT1_T2_PT3_SE_jT4_jjP12ihipStream_tbEUlT_E0_NS1_11comp_targetILNS1_3genE0ELNS1_11target_archE4294967295ELNS1_3gpuE0ELNS1_3repE0EEENS1_52radix_sort_onesweep_histogram_config_static_selectorELNS0_4arch9wavefront6targetE1EEEvSC_
    .private_segment_fixed_size: 0
    .sgpr_count:     4
    .sgpr_spill_count: 0
    .symbol:         _ZN7rocprim17ROCPRIM_400000_NS6detail17trampoline_kernelINS0_14default_configENS1_35radix_sort_onesweep_config_selectorItNS0_10empty_typeEEEZNS1_34radix_sort_onesweep_global_offsetsIS3_Lb1EPtPS5_mNS0_19identity_decomposerEEE10hipError_tT1_T2_PT3_SE_jT4_jjP12ihipStream_tbEUlT_E0_NS1_11comp_targetILNS1_3genE0ELNS1_11target_archE4294967295ELNS1_3gpuE0ELNS1_3repE0EEENS1_52radix_sort_onesweep_histogram_config_static_selectorELNS0_4arch9wavefront6targetE1EEEvSC_.kd
    .uniform_work_group_size: 1
    .uses_dynamic_stack: false
    .vgpr_count:     0
    .vgpr_spill_count: 0
    .wavefront_size: 64
  - .agpr_count:     0
    .args:
      - .address_space:  global
        .offset:         0
        .size:           8
        .value_kind:     global_buffer
    .group_segment_fixed_size: 0
    .kernarg_segment_align: 8
    .kernarg_segment_size: 8
    .language:       OpenCL C
    .language_version:
      - 2
      - 0
    .max_flat_workgroup_size: 1024
    .name:           _ZN7rocprim17ROCPRIM_400000_NS6detail17trampoline_kernelINS0_14default_configENS1_35radix_sort_onesweep_config_selectorItNS0_10empty_typeEEEZNS1_34radix_sort_onesweep_global_offsetsIS3_Lb1EPtPS5_mNS0_19identity_decomposerEEE10hipError_tT1_T2_PT3_SE_jT4_jjP12ihipStream_tbEUlT_E0_NS1_11comp_targetILNS1_3genE6ELNS1_11target_archE950ELNS1_3gpuE13ELNS1_3repE0EEENS1_52radix_sort_onesweep_histogram_config_static_selectorELNS0_4arch9wavefront6targetE1EEEvSC_
    .private_segment_fixed_size: 0
    .sgpr_count:     4
    .sgpr_spill_count: 0
    .symbol:         _ZN7rocprim17ROCPRIM_400000_NS6detail17trampoline_kernelINS0_14default_configENS1_35radix_sort_onesweep_config_selectorItNS0_10empty_typeEEEZNS1_34radix_sort_onesweep_global_offsetsIS3_Lb1EPtPS5_mNS0_19identity_decomposerEEE10hipError_tT1_T2_PT3_SE_jT4_jjP12ihipStream_tbEUlT_E0_NS1_11comp_targetILNS1_3genE6ELNS1_11target_archE950ELNS1_3gpuE13ELNS1_3repE0EEENS1_52radix_sort_onesweep_histogram_config_static_selectorELNS0_4arch9wavefront6targetE1EEEvSC_.kd
    .uniform_work_group_size: 1
    .uses_dynamic_stack: false
    .vgpr_count:     0
    .vgpr_spill_count: 0
    .wavefront_size: 64
  - .agpr_count:     0
    .args:
      - .address_space:  global
        .offset:         0
        .size:           8
        .value_kind:     global_buffer
    .group_segment_fixed_size: 0
    .kernarg_segment_align: 8
    .kernarg_segment_size: 8
    .language:       OpenCL C
    .language_version:
      - 2
      - 0
    .max_flat_workgroup_size: 1024
    .name:           _ZN7rocprim17ROCPRIM_400000_NS6detail17trampoline_kernelINS0_14default_configENS1_35radix_sort_onesweep_config_selectorItNS0_10empty_typeEEEZNS1_34radix_sort_onesweep_global_offsetsIS3_Lb1EPtPS5_mNS0_19identity_decomposerEEE10hipError_tT1_T2_PT3_SE_jT4_jjP12ihipStream_tbEUlT_E0_NS1_11comp_targetILNS1_3genE5ELNS1_11target_archE942ELNS1_3gpuE9ELNS1_3repE0EEENS1_52radix_sort_onesweep_histogram_config_static_selectorELNS0_4arch9wavefront6targetE1EEEvSC_
    .private_segment_fixed_size: 0
    .sgpr_count:     4
    .sgpr_spill_count: 0
    .symbol:         _ZN7rocprim17ROCPRIM_400000_NS6detail17trampoline_kernelINS0_14default_configENS1_35radix_sort_onesweep_config_selectorItNS0_10empty_typeEEEZNS1_34radix_sort_onesweep_global_offsetsIS3_Lb1EPtPS5_mNS0_19identity_decomposerEEE10hipError_tT1_T2_PT3_SE_jT4_jjP12ihipStream_tbEUlT_E0_NS1_11comp_targetILNS1_3genE5ELNS1_11target_archE942ELNS1_3gpuE9ELNS1_3repE0EEENS1_52radix_sort_onesweep_histogram_config_static_selectorELNS0_4arch9wavefront6targetE1EEEvSC_.kd
    .uniform_work_group_size: 1
    .uses_dynamic_stack: false
    .vgpr_count:     0
    .vgpr_spill_count: 0
    .wavefront_size: 64
  - .agpr_count:     0
    .args:
      - .address_space:  global
        .offset:         0
        .size:           8
        .value_kind:     global_buffer
    .group_segment_fixed_size: 0
    .kernarg_segment_align: 8
    .kernarg_segment_size: 8
    .language:       OpenCL C
    .language_version:
      - 2
      - 0
    .max_flat_workgroup_size: 512
    .name:           _ZN7rocprim17ROCPRIM_400000_NS6detail17trampoline_kernelINS0_14default_configENS1_35radix_sort_onesweep_config_selectorItNS0_10empty_typeEEEZNS1_34radix_sort_onesweep_global_offsetsIS3_Lb1EPtPS5_mNS0_19identity_decomposerEEE10hipError_tT1_T2_PT3_SE_jT4_jjP12ihipStream_tbEUlT_E0_NS1_11comp_targetILNS1_3genE2ELNS1_11target_archE906ELNS1_3gpuE6ELNS1_3repE0EEENS1_52radix_sort_onesweep_histogram_config_static_selectorELNS0_4arch9wavefront6targetE1EEEvSC_
    .private_segment_fixed_size: 0
    .sgpr_count:     4
    .sgpr_spill_count: 0
    .symbol:         _ZN7rocprim17ROCPRIM_400000_NS6detail17trampoline_kernelINS0_14default_configENS1_35radix_sort_onesweep_config_selectorItNS0_10empty_typeEEEZNS1_34radix_sort_onesweep_global_offsetsIS3_Lb1EPtPS5_mNS0_19identity_decomposerEEE10hipError_tT1_T2_PT3_SE_jT4_jjP12ihipStream_tbEUlT_E0_NS1_11comp_targetILNS1_3genE2ELNS1_11target_archE906ELNS1_3gpuE6ELNS1_3repE0EEENS1_52radix_sort_onesweep_histogram_config_static_selectorELNS0_4arch9wavefront6targetE1EEEvSC_.kd
    .uniform_work_group_size: 1
    .uses_dynamic_stack: false
    .vgpr_count:     0
    .vgpr_spill_count: 0
    .wavefront_size: 64
  - .agpr_count:     0
    .args:
      - .address_space:  global
        .offset:         0
        .size:           8
        .value_kind:     global_buffer
    .group_segment_fixed_size: 128
    .kernarg_segment_align: 8
    .kernarg_segment_size: 8
    .language:       OpenCL C
    .language_version:
      - 2
      - 0
    .max_flat_workgroup_size: 1024
    .name:           _ZN7rocprim17ROCPRIM_400000_NS6detail17trampoline_kernelINS0_14default_configENS1_35radix_sort_onesweep_config_selectorItNS0_10empty_typeEEEZNS1_34radix_sort_onesweep_global_offsetsIS3_Lb1EPtPS5_mNS0_19identity_decomposerEEE10hipError_tT1_T2_PT3_SE_jT4_jjP12ihipStream_tbEUlT_E0_NS1_11comp_targetILNS1_3genE4ELNS1_11target_archE910ELNS1_3gpuE8ELNS1_3repE0EEENS1_52radix_sort_onesweep_histogram_config_static_selectorELNS0_4arch9wavefront6targetE1EEEvSC_
    .private_segment_fixed_size: 0
    .sgpr_count:     22
    .sgpr_spill_count: 0
    .symbol:         _ZN7rocprim17ROCPRIM_400000_NS6detail17trampoline_kernelINS0_14default_configENS1_35radix_sort_onesweep_config_selectorItNS0_10empty_typeEEEZNS1_34radix_sort_onesweep_global_offsetsIS3_Lb1EPtPS5_mNS0_19identity_decomposerEEE10hipError_tT1_T2_PT3_SE_jT4_jjP12ihipStream_tbEUlT_E0_NS1_11comp_targetILNS1_3genE4ELNS1_11target_archE910ELNS1_3gpuE8ELNS1_3repE0EEENS1_52radix_sort_onesweep_histogram_config_static_selectorELNS0_4arch9wavefront6targetE1EEEvSC_.kd
    .uniform_work_group_size: 1
    .uses_dynamic_stack: false
    .vgpr_count:     13
    .vgpr_spill_count: 0
    .wavefront_size: 64
  - .agpr_count:     0
    .args:
      - .address_space:  global
        .offset:         0
        .size:           8
        .value_kind:     global_buffer
    .group_segment_fixed_size: 0
    .kernarg_segment_align: 8
    .kernarg_segment_size: 8
    .language:       OpenCL C
    .language_version:
      - 2
      - 0
    .max_flat_workgroup_size: 512
    .name:           _ZN7rocprim17ROCPRIM_400000_NS6detail17trampoline_kernelINS0_14default_configENS1_35radix_sort_onesweep_config_selectorItNS0_10empty_typeEEEZNS1_34radix_sort_onesweep_global_offsetsIS3_Lb1EPtPS5_mNS0_19identity_decomposerEEE10hipError_tT1_T2_PT3_SE_jT4_jjP12ihipStream_tbEUlT_E0_NS1_11comp_targetILNS1_3genE3ELNS1_11target_archE908ELNS1_3gpuE7ELNS1_3repE0EEENS1_52radix_sort_onesweep_histogram_config_static_selectorELNS0_4arch9wavefront6targetE1EEEvSC_
    .private_segment_fixed_size: 0
    .sgpr_count:     4
    .sgpr_spill_count: 0
    .symbol:         _ZN7rocprim17ROCPRIM_400000_NS6detail17trampoline_kernelINS0_14default_configENS1_35radix_sort_onesweep_config_selectorItNS0_10empty_typeEEEZNS1_34radix_sort_onesweep_global_offsetsIS3_Lb1EPtPS5_mNS0_19identity_decomposerEEE10hipError_tT1_T2_PT3_SE_jT4_jjP12ihipStream_tbEUlT_E0_NS1_11comp_targetILNS1_3genE3ELNS1_11target_archE908ELNS1_3gpuE7ELNS1_3repE0EEENS1_52radix_sort_onesweep_histogram_config_static_selectorELNS0_4arch9wavefront6targetE1EEEvSC_.kd
    .uniform_work_group_size: 1
    .uses_dynamic_stack: false
    .vgpr_count:     0
    .vgpr_spill_count: 0
    .wavefront_size: 64
  - .agpr_count:     0
    .args:
      - .address_space:  global
        .offset:         0
        .size:           8
        .value_kind:     global_buffer
    .group_segment_fixed_size: 0
    .kernarg_segment_align: 8
    .kernarg_segment_size: 8
    .language:       OpenCL C
    .language_version:
      - 2
      - 0
    .max_flat_workgroup_size: 256
    .name:           _ZN7rocprim17ROCPRIM_400000_NS6detail17trampoline_kernelINS0_14default_configENS1_35radix_sort_onesweep_config_selectorItNS0_10empty_typeEEEZNS1_34radix_sort_onesweep_global_offsetsIS3_Lb1EPtPS5_mNS0_19identity_decomposerEEE10hipError_tT1_T2_PT3_SE_jT4_jjP12ihipStream_tbEUlT_E0_NS1_11comp_targetILNS1_3genE10ELNS1_11target_archE1201ELNS1_3gpuE5ELNS1_3repE0EEENS1_52radix_sort_onesweep_histogram_config_static_selectorELNS0_4arch9wavefront6targetE1EEEvSC_
    .private_segment_fixed_size: 0
    .sgpr_count:     4
    .sgpr_spill_count: 0
    .symbol:         _ZN7rocprim17ROCPRIM_400000_NS6detail17trampoline_kernelINS0_14default_configENS1_35radix_sort_onesweep_config_selectorItNS0_10empty_typeEEEZNS1_34radix_sort_onesweep_global_offsetsIS3_Lb1EPtPS5_mNS0_19identity_decomposerEEE10hipError_tT1_T2_PT3_SE_jT4_jjP12ihipStream_tbEUlT_E0_NS1_11comp_targetILNS1_3genE10ELNS1_11target_archE1201ELNS1_3gpuE5ELNS1_3repE0EEENS1_52radix_sort_onesweep_histogram_config_static_selectorELNS0_4arch9wavefront6targetE1EEEvSC_.kd
    .uniform_work_group_size: 1
    .uses_dynamic_stack: false
    .vgpr_count:     0
    .vgpr_spill_count: 0
    .wavefront_size: 64
  - .agpr_count:     0
    .args:
      - .address_space:  global
        .offset:         0
        .size:           8
        .value_kind:     global_buffer
    .group_segment_fixed_size: 0
    .kernarg_segment_align: 8
    .kernarg_segment_size: 8
    .language:       OpenCL C
    .language_version:
      - 2
      - 0
    .max_flat_workgroup_size: 256
    .name:           _ZN7rocprim17ROCPRIM_400000_NS6detail17trampoline_kernelINS0_14default_configENS1_35radix_sort_onesweep_config_selectorItNS0_10empty_typeEEEZNS1_34radix_sort_onesweep_global_offsetsIS3_Lb1EPtPS5_mNS0_19identity_decomposerEEE10hipError_tT1_T2_PT3_SE_jT4_jjP12ihipStream_tbEUlT_E0_NS1_11comp_targetILNS1_3genE9ELNS1_11target_archE1100ELNS1_3gpuE3ELNS1_3repE0EEENS1_52radix_sort_onesweep_histogram_config_static_selectorELNS0_4arch9wavefront6targetE1EEEvSC_
    .private_segment_fixed_size: 0
    .sgpr_count:     4
    .sgpr_spill_count: 0
    .symbol:         _ZN7rocprim17ROCPRIM_400000_NS6detail17trampoline_kernelINS0_14default_configENS1_35radix_sort_onesweep_config_selectorItNS0_10empty_typeEEEZNS1_34radix_sort_onesweep_global_offsetsIS3_Lb1EPtPS5_mNS0_19identity_decomposerEEE10hipError_tT1_T2_PT3_SE_jT4_jjP12ihipStream_tbEUlT_E0_NS1_11comp_targetILNS1_3genE9ELNS1_11target_archE1100ELNS1_3gpuE3ELNS1_3repE0EEENS1_52radix_sort_onesweep_histogram_config_static_selectorELNS0_4arch9wavefront6targetE1EEEvSC_.kd
    .uniform_work_group_size: 1
    .uses_dynamic_stack: false
    .vgpr_count:     0
    .vgpr_spill_count: 0
    .wavefront_size: 64
  - .agpr_count:     0
    .args:
      - .address_space:  global
        .offset:         0
        .size:           8
        .value_kind:     global_buffer
    .group_segment_fixed_size: 0
    .kernarg_segment_align: 8
    .kernarg_segment_size: 8
    .language:       OpenCL C
    .language_version:
      - 2
      - 0
    .max_flat_workgroup_size: 256
    .name:           _ZN7rocprim17ROCPRIM_400000_NS6detail17trampoline_kernelINS0_14default_configENS1_35radix_sort_onesweep_config_selectorItNS0_10empty_typeEEEZNS1_34radix_sort_onesweep_global_offsetsIS3_Lb1EPtPS5_mNS0_19identity_decomposerEEE10hipError_tT1_T2_PT3_SE_jT4_jjP12ihipStream_tbEUlT_E0_NS1_11comp_targetILNS1_3genE8ELNS1_11target_archE1030ELNS1_3gpuE2ELNS1_3repE0EEENS1_52radix_sort_onesweep_histogram_config_static_selectorELNS0_4arch9wavefront6targetE1EEEvSC_
    .private_segment_fixed_size: 0
    .sgpr_count:     4
    .sgpr_spill_count: 0
    .symbol:         _ZN7rocprim17ROCPRIM_400000_NS6detail17trampoline_kernelINS0_14default_configENS1_35radix_sort_onesweep_config_selectorItNS0_10empty_typeEEEZNS1_34radix_sort_onesweep_global_offsetsIS3_Lb1EPtPS5_mNS0_19identity_decomposerEEE10hipError_tT1_T2_PT3_SE_jT4_jjP12ihipStream_tbEUlT_E0_NS1_11comp_targetILNS1_3genE8ELNS1_11target_archE1030ELNS1_3gpuE2ELNS1_3repE0EEENS1_52radix_sort_onesweep_histogram_config_static_selectorELNS0_4arch9wavefront6targetE1EEEvSC_.kd
    .uniform_work_group_size: 1
    .uses_dynamic_stack: false
    .vgpr_count:     0
    .vgpr_spill_count: 0
    .wavefront_size: 64
  - .agpr_count:     0
    .args:
      - .offset:         0
        .size:           88
        .value_kind:     by_value
    .group_segment_fixed_size: 0
    .kernarg_segment_align: 8
    .kernarg_segment_size: 88
    .language:       OpenCL C
    .language_version:
      - 2
      - 0
    .max_flat_workgroup_size: 512
    .name:           _ZN7rocprim17ROCPRIM_400000_NS6detail17trampoline_kernelINS0_14default_configENS1_35radix_sort_onesweep_config_selectorItNS0_10empty_typeEEEZZNS1_29radix_sort_onesweep_iterationIS3_Lb1EPtS8_PS5_S9_mNS0_19identity_decomposerENS1_16block_id_wrapperIjLb1EEEEE10hipError_tT1_PNSt15iterator_traitsISE_E10value_typeET2_T3_PNSF_ISK_E10value_typeET4_T5_PSP_SQ_PNS1_23onesweep_lookback_stateEbbT6_jjT7_P12ihipStream_tbENKUlT_T0_SE_SJ_E_clIS8_S8_S9_S9_EEDaSX_SY_SE_SJ_EUlSX_E_NS1_11comp_targetILNS1_3genE0ELNS1_11target_archE4294967295ELNS1_3gpuE0ELNS1_3repE0EEENS1_47radix_sort_onesweep_sort_config_static_selectorELNS0_4arch9wavefront6targetE1EEEvSE_
    .private_segment_fixed_size: 0
    .sgpr_count:     4
    .sgpr_spill_count: 0
    .symbol:         _ZN7rocprim17ROCPRIM_400000_NS6detail17trampoline_kernelINS0_14default_configENS1_35radix_sort_onesweep_config_selectorItNS0_10empty_typeEEEZZNS1_29radix_sort_onesweep_iterationIS3_Lb1EPtS8_PS5_S9_mNS0_19identity_decomposerENS1_16block_id_wrapperIjLb1EEEEE10hipError_tT1_PNSt15iterator_traitsISE_E10value_typeET2_T3_PNSF_ISK_E10value_typeET4_T5_PSP_SQ_PNS1_23onesweep_lookback_stateEbbT6_jjT7_P12ihipStream_tbENKUlT_T0_SE_SJ_E_clIS8_S8_S9_S9_EEDaSX_SY_SE_SJ_EUlSX_E_NS1_11comp_targetILNS1_3genE0ELNS1_11target_archE4294967295ELNS1_3gpuE0ELNS1_3repE0EEENS1_47radix_sort_onesweep_sort_config_static_selectorELNS0_4arch9wavefront6targetE1EEEvSE_.kd
    .uniform_work_group_size: 1
    .uses_dynamic_stack: false
    .vgpr_count:     0
    .vgpr_spill_count: 0
    .wavefront_size: 64
  - .agpr_count:     0
    .args:
      - .offset:         0
        .size:           88
        .value_kind:     by_value
    .group_segment_fixed_size: 0
    .kernarg_segment_align: 8
    .kernarg_segment_size: 88
    .language:       OpenCL C
    .language_version:
      - 2
      - 0
    .max_flat_workgroup_size: 1024
    .name:           _ZN7rocprim17ROCPRIM_400000_NS6detail17trampoline_kernelINS0_14default_configENS1_35radix_sort_onesweep_config_selectorItNS0_10empty_typeEEEZZNS1_29radix_sort_onesweep_iterationIS3_Lb1EPtS8_PS5_S9_mNS0_19identity_decomposerENS1_16block_id_wrapperIjLb1EEEEE10hipError_tT1_PNSt15iterator_traitsISE_E10value_typeET2_T3_PNSF_ISK_E10value_typeET4_T5_PSP_SQ_PNS1_23onesweep_lookback_stateEbbT6_jjT7_P12ihipStream_tbENKUlT_T0_SE_SJ_E_clIS8_S8_S9_S9_EEDaSX_SY_SE_SJ_EUlSX_E_NS1_11comp_targetILNS1_3genE6ELNS1_11target_archE950ELNS1_3gpuE13ELNS1_3repE0EEENS1_47radix_sort_onesweep_sort_config_static_selectorELNS0_4arch9wavefront6targetE1EEEvSE_
    .private_segment_fixed_size: 0
    .sgpr_count:     4
    .sgpr_spill_count: 0
    .symbol:         _ZN7rocprim17ROCPRIM_400000_NS6detail17trampoline_kernelINS0_14default_configENS1_35radix_sort_onesweep_config_selectorItNS0_10empty_typeEEEZZNS1_29radix_sort_onesweep_iterationIS3_Lb1EPtS8_PS5_S9_mNS0_19identity_decomposerENS1_16block_id_wrapperIjLb1EEEEE10hipError_tT1_PNSt15iterator_traitsISE_E10value_typeET2_T3_PNSF_ISK_E10value_typeET4_T5_PSP_SQ_PNS1_23onesweep_lookback_stateEbbT6_jjT7_P12ihipStream_tbENKUlT_T0_SE_SJ_E_clIS8_S8_S9_S9_EEDaSX_SY_SE_SJ_EUlSX_E_NS1_11comp_targetILNS1_3genE6ELNS1_11target_archE950ELNS1_3gpuE13ELNS1_3repE0EEENS1_47radix_sort_onesweep_sort_config_static_selectorELNS0_4arch9wavefront6targetE1EEEvSE_.kd
    .uniform_work_group_size: 1
    .uses_dynamic_stack: false
    .vgpr_count:     0
    .vgpr_spill_count: 0
    .wavefront_size: 64
  - .agpr_count:     0
    .args:
      - .offset:         0
        .size:           88
        .value_kind:     by_value
    .group_segment_fixed_size: 0
    .kernarg_segment_align: 8
    .kernarg_segment_size: 88
    .language:       OpenCL C
    .language_version:
      - 2
      - 0
    .max_flat_workgroup_size: 1024
    .name:           _ZN7rocprim17ROCPRIM_400000_NS6detail17trampoline_kernelINS0_14default_configENS1_35radix_sort_onesweep_config_selectorItNS0_10empty_typeEEEZZNS1_29radix_sort_onesweep_iterationIS3_Lb1EPtS8_PS5_S9_mNS0_19identity_decomposerENS1_16block_id_wrapperIjLb1EEEEE10hipError_tT1_PNSt15iterator_traitsISE_E10value_typeET2_T3_PNSF_ISK_E10value_typeET4_T5_PSP_SQ_PNS1_23onesweep_lookback_stateEbbT6_jjT7_P12ihipStream_tbENKUlT_T0_SE_SJ_E_clIS8_S8_S9_S9_EEDaSX_SY_SE_SJ_EUlSX_E_NS1_11comp_targetILNS1_3genE5ELNS1_11target_archE942ELNS1_3gpuE9ELNS1_3repE0EEENS1_47radix_sort_onesweep_sort_config_static_selectorELNS0_4arch9wavefront6targetE1EEEvSE_
    .private_segment_fixed_size: 0
    .sgpr_count:     4
    .sgpr_spill_count: 0
    .symbol:         _ZN7rocprim17ROCPRIM_400000_NS6detail17trampoline_kernelINS0_14default_configENS1_35radix_sort_onesweep_config_selectorItNS0_10empty_typeEEEZZNS1_29radix_sort_onesweep_iterationIS3_Lb1EPtS8_PS5_S9_mNS0_19identity_decomposerENS1_16block_id_wrapperIjLb1EEEEE10hipError_tT1_PNSt15iterator_traitsISE_E10value_typeET2_T3_PNSF_ISK_E10value_typeET4_T5_PSP_SQ_PNS1_23onesweep_lookback_stateEbbT6_jjT7_P12ihipStream_tbENKUlT_T0_SE_SJ_E_clIS8_S8_S9_S9_EEDaSX_SY_SE_SJ_EUlSX_E_NS1_11comp_targetILNS1_3genE5ELNS1_11target_archE942ELNS1_3gpuE9ELNS1_3repE0EEENS1_47radix_sort_onesweep_sort_config_static_selectorELNS0_4arch9wavefront6targetE1EEEvSE_.kd
    .uniform_work_group_size: 1
    .uses_dynamic_stack: false
    .vgpr_count:     0
    .vgpr_spill_count: 0
    .wavefront_size: 64
  - .agpr_count:     0
    .args:
      - .offset:         0
        .size:           88
        .value_kind:     by_value
    .group_segment_fixed_size: 0
    .kernarg_segment_align: 8
    .kernarg_segment_size: 88
    .language:       OpenCL C
    .language_version:
      - 2
      - 0
    .max_flat_workgroup_size: 512
    .name:           _ZN7rocprim17ROCPRIM_400000_NS6detail17trampoline_kernelINS0_14default_configENS1_35radix_sort_onesweep_config_selectorItNS0_10empty_typeEEEZZNS1_29radix_sort_onesweep_iterationIS3_Lb1EPtS8_PS5_S9_mNS0_19identity_decomposerENS1_16block_id_wrapperIjLb1EEEEE10hipError_tT1_PNSt15iterator_traitsISE_E10value_typeET2_T3_PNSF_ISK_E10value_typeET4_T5_PSP_SQ_PNS1_23onesweep_lookback_stateEbbT6_jjT7_P12ihipStream_tbENKUlT_T0_SE_SJ_E_clIS8_S8_S9_S9_EEDaSX_SY_SE_SJ_EUlSX_E_NS1_11comp_targetILNS1_3genE2ELNS1_11target_archE906ELNS1_3gpuE6ELNS1_3repE0EEENS1_47radix_sort_onesweep_sort_config_static_selectorELNS0_4arch9wavefront6targetE1EEEvSE_
    .private_segment_fixed_size: 0
    .sgpr_count:     4
    .sgpr_spill_count: 0
    .symbol:         _ZN7rocprim17ROCPRIM_400000_NS6detail17trampoline_kernelINS0_14default_configENS1_35radix_sort_onesweep_config_selectorItNS0_10empty_typeEEEZZNS1_29radix_sort_onesweep_iterationIS3_Lb1EPtS8_PS5_S9_mNS0_19identity_decomposerENS1_16block_id_wrapperIjLb1EEEEE10hipError_tT1_PNSt15iterator_traitsISE_E10value_typeET2_T3_PNSF_ISK_E10value_typeET4_T5_PSP_SQ_PNS1_23onesweep_lookback_stateEbbT6_jjT7_P12ihipStream_tbENKUlT_T0_SE_SJ_E_clIS8_S8_S9_S9_EEDaSX_SY_SE_SJ_EUlSX_E_NS1_11comp_targetILNS1_3genE2ELNS1_11target_archE906ELNS1_3gpuE6ELNS1_3repE0EEENS1_47radix_sort_onesweep_sort_config_static_selectorELNS0_4arch9wavefront6targetE1EEEvSE_.kd
    .uniform_work_group_size: 1
    .uses_dynamic_stack: false
    .vgpr_count:     0
    .vgpr_spill_count: 0
    .wavefront_size: 64
  - .agpr_count:     0
    .args:
      - .offset:         0
        .size:           88
        .value_kind:     by_value
      - .offset:         88
        .size:           4
        .value_kind:     hidden_block_count_x
      - .offset:         92
        .size:           4
        .value_kind:     hidden_block_count_y
      - .offset:         96
        .size:           4
        .value_kind:     hidden_block_count_z
      - .offset:         100
        .size:           2
        .value_kind:     hidden_group_size_x
      - .offset:         102
        .size:           2
        .value_kind:     hidden_group_size_y
      - .offset:         104
        .size:           2
        .value_kind:     hidden_group_size_z
      - .offset:         106
        .size:           2
        .value_kind:     hidden_remainder_x
      - .offset:         108
        .size:           2
        .value_kind:     hidden_remainder_y
      - .offset:         110
        .size:           2
        .value_kind:     hidden_remainder_z
      - .offset:         128
        .size:           8
        .value_kind:     hidden_global_offset_x
      - .offset:         136
        .size:           8
        .value_kind:     hidden_global_offset_y
      - .offset:         144
        .size:           8
        .value_kind:     hidden_global_offset_z
      - .offset:         152
        .size:           2
        .value_kind:     hidden_grid_dims
    .group_segment_fixed_size: 26632
    .kernarg_segment_align: 8
    .kernarg_segment_size: 344
    .language:       OpenCL C
    .language_version:
      - 2
      - 0
    .max_flat_workgroup_size: 1024
    .name:           _ZN7rocprim17ROCPRIM_400000_NS6detail17trampoline_kernelINS0_14default_configENS1_35radix_sort_onesweep_config_selectorItNS0_10empty_typeEEEZZNS1_29radix_sort_onesweep_iterationIS3_Lb1EPtS8_PS5_S9_mNS0_19identity_decomposerENS1_16block_id_wrapperIjLb1EEEEE10hipError_tT1_PNSt15iterator_traitsISE_E10value_typeET2_T3_PNSF_ISK_E10value_typeET4_T5_PSP_SQ_PNS1_23onesweep_lookback_stateEbbT6_jjT7_P12ihipStream_tbENKUlT_T0_SE_SJ_E_clIS8_S8_S9_S9_EEDaSX_SY_SE_SJ_EUlSX_E_NS1_11comp_targetILNS1_3genE4ELNS1_11target_archE910ELNS1_3gpuE8ELNS1_3repE0EEENS1_47radix_sort_onesweep_sort_config_static_selectorELNS0_4arch9wavefront6targetE1EEEvSE_
    .private_segment_fixed_size: 0
    .sgpr_count:     39
    .sgpr_spill_count: 0
    .symbol:         _ZN7rocprim17ROCPRIM_400000_NS6detail17trampoline_kernelINS0_14default_configENS1_35radix_sort_onesweep_config_selectorItNS0_10empty_typeEEEZZNS1_29radix_sort_onesweep_iterationIS3_Lb1EPtS8_PS5_S9_mNS0_19identity_decomposerENS1_16block_id_wrapperIjLb1EEEEE10hipError_tT1_PNSt15iterator_traitsISE_E10value_typeET2_T3_PNSF_ISK_E10value_typeET4_T5_PSP_SQ_PNS1_23onesweep_lookback_stateEbbT6_jjT7_P12ihipStream_tbENKUlT_T0_SE_SJ_E_clIS8_S8_S9_S9_EEDaSX_SY_SE_SJ_EUlSX_E_NS1_11comp_targetILNS1_3genE4ELNS1_11target_archE910ELNS1_3gpuE8ELNS1_3repE0EEENS1_47radix_sort_onesweep_sort_config_static_selectorELNS0_4arch9wavefront6targetE1EEEvSE_.kd
    .uniform_work_group_size: 1
    .uses_dynamic_stack: false
    .vgpr_count:     62
    .vgpr_spill_count: 0
    .wavefront_size: 64
  - .agpr_count:     0
    .args:
      - .offset:         0
        .size:           88
        .value_kind:     by_value
    .group_segment_fixed_size: 0
    .kernarg_segment_align: 8
    .kernarg_segment_size: 88
    .language:       OpenCL C
    .language_version:
      - 2
      - 0
    .max_flat_workgroup_size: 512
    .name:           _ZN7rocprim17ROCPRIM_400000_NS6detail17trampoline_kernelINS0_14default_configENS1_35radix_sort_onesweep_config_selectorItNS0_10empty_typeEEEZZNS1_29radix_sort_onesweep_iterationIS3_Lb1EPtS8_PS5_S9_mNS0_19identity_decomposerENS1_16block_id_wrapperIjLb1EEEEE10hipError_tT1_PNSt15iterator_traitsISE_E10value_typeET2_T3_PNSF_ISK_E10value_typeET4_T5_PSP_SQ_PNS1_23onesweep_lookback_stateEbbT6_jjT7_P12ihipStream_tbENKUlT_T0_SE_SJ_E_clIS8_S8_S9_S9_EEDaSX_SY_SE_SJ_EUlSX_E_NS1_11comp_targetILNS1_3genE3ELNS1_11target_archE908ELNS1_3gpuE7ELNS1_3repE0EEENS1_47radix_sort_onesweep_sort_config_static_selectorELNS0_4arch9wavefront6targetE1EEEvSE_
    .private_segment_fixed_size: 0
    .sgpr_count:     4
    .sgpr_spill_count: 0
    .symbol:         _ZN7rocprim17ROCPRIM_400000_NS6detail17trampoline_kernelINS0_14default_configENS1_35radix_sort_onesweep_config_selectorItNS0_10empty_typeEEEZZNS1_29radix_sort_onesweep_iterationIS3_Lb1EPtS8_PS5_S9_mNS0_19identity_decomposerENS1_16block_id_wrapperIjLb1EEEEE10hipError_tT1_PNSt15iterator_traitsISE_E10value_typeET2_T3_PNSF_ISK_E10value_typeET4_T5_PSP_SQ_PNS1_23onesweep_lookback_stateEbbT6_jjT7_P12ihipStream_tbENKUlT_T0_SE_SJ_E_clIS8_S8_S9_S9_EEDaSX_SY_SE_SJ_EUlSX_E_NS1_11comp_targetILNS1_3genE3ELNS1_11target_archE908ELNS1_3gpuE7ELNS1_3repE0EEENS1_47radix_sort_onesweep_sort_config_static_selectorELNS0_4arch9wavefront6targetE1EEEvSE_.kd
    .uniform_work_group_size: 1
    .uses_dynamic_stack: false
    .vgpr_count:     0
    .vgpr_spill_count: 0
    .wavefront_size: 64
  - .agpr_count:     0
    .args:
      - .offset:         0
        .size:           88
        .value_kind:     by_value
    .group_segment_fixed_size: 0
    .kernarg_segment_align: 8
    .kernarg_segment_size: 88
    .language:       OpenCL C
    .language_version:
      - 2
      - 0
    .max_flat_workgroup_size: 256
    .name:           _ZN7rocprim17ROCPRIM_400000_NS6detail17trampoline_kernelINS0_14default_configENS1_35radix_sort_onesweep_config_selectorItNS0_10empty_typeEEEZZNS1_29radix_sort_onesweep_iterationIS3_Lb1EPtS8_PS5_S9_mNS0_19identity_decomposerENS1_16block_id_wrapperIjLb1EEEEE10hipError_tT1_PNSt15iterator_traitsISE_E10value_typeET2_T3_PNSF_ISK_E10value_typeET4_T5_PSP_SQ_PNS1_23onesweep_lookback_stateEbbT6_jjT7_P12ihipStream_tbENKUlT_T0_SE_SJ_E_clIS8_S8_S9_S9_EEDaSX_SY_SE_SJ_EUlSX_E_NS1_11comp_targetILNS1_3genE10ELNS1_11target_archE1201ELNS1_3gpuE5ELNS1_3repE0EEENS1_47radix_sort_onesweep_sort_config_static_selectorELNS0_4arch9wavefront6targetE1EEEvSE_
    .private_segment_fixed_size: 0
    .sgpr_count:     4
    .sgpr_spill_count: 0
    .symbol:         _ZN7rocprim17ROCPRIM_400000_NS6detail17trampoline_kernelINS0_14default_configENS1_35radix_sort_onesweep_config_selectorItNS0_10empty_typeEEEZZNS1_29radix_sort_onesweep_iterationIS3_Lb1EPtS8_PS5_S9_mNS0_19identity_decomposerENS1_16block_id_wrapperIjLb1EEEEE10hipError_tT1_PNSt15iterator_traitsISE_E10value_typeET2_T3_PNSF_ISK_E10value_typeET4_T5_PSP_SQ_PNS1_23onesweep_lookback_stateEbbT6_jjT7_P12ihipStream_tbENKUlT_T0_SE_SJ_E_clIS8_S8_S9_S9_EEDaSX_SY_SE_SJ_EUlSX_E_NS1_11comp_targetILNS1_3genE10ELNS1_11target_archE1201ELNS1_3gpuE5ELNS1_3repE0EEENS1_47radix_sort_onesweep_sort_config_static_selectorELNS0_4arch9wavefront6targetE1EEEvSE_.kd
    .uniform_work_group_size: 1
    .uses_dynamic_stack: false
    .vgpr_count:     0
    .vgpr_spill_count: 0
    .wavefront_size: 64
  - .agpr_count:     0
    .args:
      - .offset:         0
        .size:           88
        .value_kind:     by_value
    .group_segment_fixed_size: 0
    .kernarg_segment_align: 8
    .kernarg_segment_size: 88
    .language:       OpenCL C
    .language_version:
      - 2
      - 0
    .max_flat_workgroup_size: 256
    .name:           _ZN7rocprim17ROCPRIM_400000_NS6detail17trampoline_kernelINS0_14default_configENS1_35radix_sort_onesweep_config_selectorItNS0_10empty_typeEEEZZNS1_29radix_sort_onesweep_iterationIS3_Lb1EPtS8_PS5_S9_mNS0_19identity_decomposerENS1_16block_id_wrapperIjLb1EEEEE10hipError_tT1_PNSt15iterator_traitsISE_E10value_typeET2_T3_PNSF_ISK_E10value_typeET4_T5_PSP_SQ_PNS1_23onesweep_lookback_stateEbbT6_jjT7_P12ihipStream_tbENKUlT_T0_SE_SJ_E_clIS8_S8_S9_S9_EEDaSX_SY_SE_SJ_EUlSX_E_NS1_11comp_targetILNS1_3genE9ELNS1_11target_archE1100ELNS1_3gpuE3ELNS1_3repE0EEENS1_47radix_sort_onesweep_sort_config_static_selectorELNS0_4arch9wavefront6targetE1EEEvSE_
    .private_segment_fixed_size: 0
    .sgpr_count:     4
    .sgpr_spill_count: 0
    .symbol:         _ZN7rocprim17ROCPRIM_400000_NS6detail17trampoline_kernelINS0_14default_configENS1_35radix_sort_onesweep_config_selectorItNS0_10empty_typeEEEZZNS1_29radix_sort_onesweep_iterationIS3_Lb1EPtS8_PS5_S9_mNS0_19identity_decomposerENS1_16block_id_wrapperIjLb1EEEEE10hipError_tT1_PNSt15iterator_traitsISE_E10value_typeET2_T3_PNSF_ISK_E10value_typeET4_T5_PSP_SQ_PNS1_23onesweep_lookback_stateEbbT6_jjT7_P12ihipStream_tbENKUlT_T0_SE_SJ_E_clIS8_S8_S9_S9_EEDaSX_SY_SE_SJ_EUlSX_E_NS1_11comp_targetILNS1_3genE9ELNS1_11target_archE1100ELNS1_3gpuE3ELNS1_3repE0EEENS1_47radix_sort_onesweep_sort_config_static_selectorELNS0_4arch9wavefront6targetE1EEEvSE_.kd
    .uniform_work_group_size: 1
    .uses_dynamic_stack: false
    .vgpr_count:     0
    .vgpr_spill_count: 0
    .wavefront_size: 64
  - .agpr_count:     0
    .args:
      - .offset:         0
        .size:           88
        .value_kind:     by_value
    .group_segment_fixed_size: 0
    .kernarg_segment_align: 8
    .kernarg_segment_size: 88
    .language:       OpenCL C
    .language_version:
      - 2
      - 0
    .max_flat_workgroup_size: 256
    .name:           _ZN7rocprim17ROCPRIM_400000_NS6detail17trampoline_kernelINS0_14default_configENS1_35radix_sort_onesweep_config_selectorItNS0_10empty_typeEEEZZNS1_29radix_sort_onesweep_iterationIS3_Lb1EPtS8_PS5_S9_mNS0_19identity_decomposerENS1_16block_id_wrapperIjLb1EEEEE10hipError_tT1_PNSt15iterator_traitsISE_E10value_typeET2_T3_PNSF_ISK_E10value_typeET4_T5_PSP_SQ_PNS1_23onesweep_lookback_stateEbbT6_jjT7_P12ihipStream_tbENKUlT_T0_SE_SJ_E_clIS8_S8_S9_S9_EEDaSX_SY_SE_SJ_EUlSX_E_NS1_11comp_targetILNS1_3genE8ELNS1_11target_archE1030ELNS1_3gpuE2ELNS1_3repE0EEENS1_47radix_sort_onesweep_sort_config_static_selectorELNS0_4arch9wavefront6targetE1EEEvSE_
    .private_segment_fixed_size: 0
    .sgpr_count:     4
    .sgpr_spill_count: 0
    .symbol:         _ZN7rocprim17ROCPRIM_400000_NS6detail17trampoline_kernelINS0_14default_configENS1_35radix_sort_onesweep_config_selectorItNS0_10empty_typeEEEZZNS1_29radix_sort_onesweep_iterationIS3_Lb1EPtS8_PS5_S9_mNS0_19identity_decomposerENS1_16block_id_wrapperIjLb1EEEEE10hipError_tT1_PNSt15iterator_traitsISE_E10value_typeET2_T3_PNSF_ISK_E10value_typeET4_T5_PSP_SQ_PNS1_23onesweep_lookback_stateEbbT6_jjT7_P12ihipStream_tbENKUlT_T0_SE_SJ_E_clIS8_S8_S9_S9_EEDaSX_SY_SE_SJ_EUlSX_E_NS1_11comp_targetILNS1_3genE8ELNS1_11target_archE1030ELNS1_3gpuE2ELNS1_3repE0EEENS1_47radix_sort_onesweep_sort_config_static_selectorELNS0_4arch9wavefront6targetE1EEEvSE_.kd
    .uniform_work_group_size: 1
    .uses_dynamic_stack: false
    .vgpr_count:     0
    .vgpr_spill_count: 0
    .wavefront_size: 64
  - .agpr_count:     0
    .args:
      - .offset:         0
        .size:           88
        .value_kind:     by_value
    .group_segment_fixed_size: 0
    .kernarg_segment_align: 8
    .kernarg_segment_size: 88
    .language:       OpenCL C
    .language_version:
      - 2
      - 0
    .max_flat_workgroup_size: 512
    .name:           _ZN7rocprim17ROCPRIM_400000_NS6detail17trampoline_kernelINS0_14default_configENS1_35radix_sort_onesweep_config_selectorItNS0_10empty_typeEEEZZNS1_29radix_sort_onesweep_iterationIS3_Lb1EPtS8_PS5_S9_mNS0_19identity_decomposerENS1_16block_id_wrapperIjLb0EEEEE10hipError_tT1_PNSt15iterator_traitsISE_E10value_typeET2_T3_PNSF_ISK_E10value_typeET4_T5_PSP_SQ_PNS1_23onesweep_lookback_stateEbbT6_jjT7_P12ihipStream_tbENKUlT_T0_SE_SJ_E_clIS8_S8_S9_S9_EEDaSX_SY_SE_SJ_EUlSX_E_NS1_11comp_targetILNS1_3genE0ELNS1_11target_archE4294967295ELNS1_3gpuE0ELNS1_3repE0EEENS1_47radix_sort_onesweep_sort_config_static_selectorELNS0_4arch9wavefront6targetE1EEEvSE_
    .private_segment_fixed_size: 0
    .sgpr_count:     4
    .sgpr_spill_count: 0
    .symbol:         _ZN7rocprim17ROCPRIM_400000_NS6detail17trampoline_kernelINS0_14default_configENS1_35radix_sort_onesweep_config_selectorItNS0_10empty_typeEEEZZNS1_29radix_sort_onesweep_iterationIS3_Lb1EPtS8_PS5_S9_mNS0_19identity_decomposerENS1_16block_id_wrapperIjLb0EEEEE10hipError_tT1_PNSt15iterator_traitsISE_E10value_typeET2_T3_PNSF_ISK_E10value_typeET4_T5_PSP_SQ_PNS1_23onesweep_lookback_stateEbbT6_jjT7_P12ihipStream_tbENKUlT_T0_SE_SJ_E_clIS8_S8_S9_S9_EEDaSX_SY_SE_SJ_EUlSX_E_NS1_11comp_targetILNS1_3genE0ELNS1_11target_archE4294967295ELNS1_3gpuE0ELNS1_3repE0EEENS1_47radix_sort_onesweep_sort_config_static_selectorELNS0_4arch9wavefront6targetE1EEEvSE_.kd
    .uniform_work_group_size: 1
    .uses_dynamic_stack: false
    .vgpr_count:     0
    .vgpr_spill_count: 0
    .wavefront_size: 64
  - .agpr_count:     0
    .args:
      - .offset:         0
        .size:           88
        .value_kind:     by_value
    .group_segment_fixed_size: 0
    .kernarg_segment_align: 8
    .kernarg_segment_size: 88
    .language:       OpenCL C
    .language_version:
      - 2
      - 0
    .max_flat_workgroup_size: 1024
    .name:           _ZN7rocprim17ROCPRIM_400000_NS6detail17trampoline_kernelINS0_14default_configENS1_35radix_sort_onesweep_config_selectorItNS0_10empty_typeEEEZZNS1_29radix_sort_onesweep_iterationIS3_Lb1EPtS8_PS5_S9_mNS0_19identity_decomposerENS1_16block_id_wrapperIjLb0EEEEE10hipError_tT1_PNSt15iterator_traitsISE_E10value_typeET2_T3_PNSF_ISK_E10value_typeET4_T5_PSP_SQ_PNS1_23onesweep_lookback_stateEbbT6_jjT7_P12ihipStream_tbENKUlT_T0_SE_SJ_E_clIS8_S8_S9_S9_EEDaSX_SY_SE_SJ_EUlSX_E_NS1_11comp_targetILNS1_3genE6ELNS1_11target_archE950ELNS1_3gpuE13ELNS1_3repE0EEENS1_47radix_sort_onesweep_sort_config_static_selectorELNS0_4arch9wavefront6targetE1EEEvSE_
    .private_segment_fixed_size: 0
    .sgpr_count:     4
    .sgpr_spill_count: 0
    .symbol:         _ZN7rocprim17ROCPRIM_400000_NS6detail17trampoline_kernelINS0_14default_configENS1_35radix_sort_onesweep_config_selectorItNS0_10empty_typeEEEZZNS1_29radix_sort_onesweep_iterationIS3_Lb1EPtS8_PS5_S9_mNS0_19identity_decomposerENS1_16block_id_wrapperIjLb0EEEEE10hipError_tT1_PNSt15iterator_traitsISE_E10value_typeET2_T3_PNSF_ISK_E10value_typeET4_T5_PSP_SQ_PNS1_23onesweep_lookback_stateEbbT6_jjT7_P12ihipStream_tbENKUlT_T0_SE_SJ_E_clIS8_S8_S9_S9_EEDaSX_SY_SE_SJ_EUlSX_E_NS1_11comp_targetILNS1_3genE6ELNS1_11target_archE950ELNS1_3gpuE13ELNS1_3repE0EEENS1_47radix_sort_onesweep_sort_config_static_selectorELNS0_4arch9wavefront6targetE1EEEvSE_.kd
    .uniform_work_group_size: 1
    .uses_dynamic_stack: false
    .vgpr_count:     0
    .vgpr_spill_count: 0
    .wavefront_size: 64
  - .agpr_count:     0
    .args:
      - .offset:         0
        .size:           88
        .value_kind:     by_value
    .group_segment_fixed_size: 0
    .kernarg_segment_align: 8
    .kernarg_segment_size: 88
    .language:       OpenCL C
    .language_version:
      - 2
      - 0
    .max_flat_workgroup_size: 1024
    .name:           _ZN7rocprim17ROCPRIM_400000_NS6detail17trampoline_kernelINS0_14default_configENS1_35radix_sort_onesweep_config_selectorItNS0_10empty_typeEEEZZNS1_29radix_sort_onesweep_iterationIS3_Lb1EPtS8_PS5_S9_mNS0_19identity_decomposerENS1_16block_id_wrapperIjLb0EEEEE10hipError_tT1_PNSt15iterator_traitsISE_E10value_typeET2_T3_PNSF_ISK_E10value_typeET4_T5_PSP_SQ_PNS1_23onesweep_lookback_stateEbbT6_jjT7_P12ihipStream_tbENKUlT_T0_SE_SJ_E_clIS8_S8_S9_S9_EEDaSX_SY_SE_SJ_EUlSX_E_NS1_11comp_targetILNS1_3genE5ELNS1_11target_archE942ELNS1_3gpuE9ELNS1_3repE0EEENS1_47radix_sort_onesweep_sort_config_static_selectorELNS0_4arch9wavefront6targetE1EEEvSE_
    .private_segment_fixed_size: 0
    .sgpr_count:     4
    .sgpr_spill_count: 0
    .symbol:         _ZN7rocprim17ROCPRIM_400000_NS6detail17trampoline_kernelINS0_14default_configENS1_35radix_sort_onesweep_config_selectorItNS0_10empty_typeEEEZZNS1_29radix_sort_onesweep_iterationIS3_Lb1EPtS8_PS5_S9_mNS0_19identity_decomposerENS1_16block_id_wrapperIjLb0EEEEE10hipError_tT1_PNSt15iterator_traitsISE_E10value_typeET2_T3_PNSF_ISK_E10value_typeET4_T5_PSP_SQ_PNS1_23onesweep_lookback_stateEbbT6_jjT7_P12ihipStream_tbENKUlT_T0_SE_SJ_E_clIS8_S8_S9_S9_EEDaSX_SY_SE_SJ_EUlSX_E_NS1_11comp_targetILNS1_3genE5ELNS1_11target_archE942ELNS1_3gpuE9ELNS1_3repE0EEENS1_47radix_sort_onesweep_sort_config_static_selectorELNS0_4arch9wavefront6targetE1EEEvSE_.kd
    .uniform_work_group_size: 1
    .uses_dynamic_stack: false
    .vgpr_count:     0
    .vgpr_spill_count: 0
    .wavefront_size: 64
  - .agpr_count:     0
    .args:
      - .offset:         0
        .size:           88
        .value_kind:     by_value
    .group_segment_fixed_size: 0
    .kernarg_segment_align: 8
    .kernarg_segment_size: 88
    .language:       OpenCL C
    .language_version:
      - 2
      - 0
    .max_flat_workgroup_size: 512
    .name:           _ZN7rocprim17ROCPRIM_400000_NS6detail17trampoline_kernelINS0_14default_configENS1_35radix_sort_onesweep_config_selectorItNS0_10empty_typeEEEZZNS1_29radix_sort_onesweep_iterationIS3_Lb1EPtS8_PS5_S9_mNS0_19identity_decomposerENS1_16block_id_wrapperIjLb0EEEEE10hipError_tT1_PNSt15iterator_traitsISE_E10value_typeET2_T3_PNSF_ISK_E10value_typeET4_T5_PSP_SQ_PNS1_23onesweep_lookback_stateEbbT6_jjT7_P12ihipStream_tbENKUlT_T0_SE_SJ_E_clIS8_S8_S9_S9_EEDaSX_SY_SE_SJ_EUlSX_E_NS1_11comp_targetILNS1_3genE2ELNS1_11target_archE906ELNS1_3gpuE6ELNS1_3repE0EEENS1_47radix_sort_onesweep_sort_config_static_selectorELNS0_4arch9wavefront6targetE1EEEvSE_
    .private_segment_fixed_size: 0
    .sgpr_count:     4
    .sgpr_spill_count: 0
    .symbol:         _ZN7rocprim17ROCPRIM_400000_NS6detail17trampoline_kernelINS0_14default_configENS1_35radix_sort_onesweep_config_selectorItNS0_10empty_typeEEEZZNS1_29radix_sort_onesweep_iterationIS3_Lb1EPtS8_PS5_S9_mNS0_19identity_decomposerENS1_16block_id_wrapperIjLb0EEEEE10hipError_tT1_PNSt15iterator_traitsISE_E10value_typeET2_T3_PNSF_ISK_E10value_typeET4_T5_PSP_SQ_PNS1_23onesweep_lookback_stateEbbT6_jjT7_P12ihipStream_tbENKUlT_T0_SE_SJ_E_clIS8_S8_S9_S9_EEDaSX_SY_SE_SJ_EUlSX_E_NS1_11comp_targetILNS1_3genE2ELNS1_11target_archE906ELNS1_3gpuE6ELNS1_3repE0EEENS1_47radix_sort_onesweep_sort_config_static_selectorELNS0_4arch9wavefront6targetE1EEEvSE_.kd
    .uniform_work_group_size: 1
    .uses_dynamic_stack: false
    .vgpr_count:     0
    .vgpr_spill_count: 0
    .wavefront_size: 64
  - .agpr_count:     0
    .args:
      - .offset:         0
        .size:           88
        .value_kind:     by_value
      - .offset:         88
        .size:           4
        .value_kind:     hidden_block_count_x
      - .offset:         92
        .size:           4
        .value_kind:     hidden_block_count_y
      - .offset:         96
        .size:           4
        .value_kind:     hidden_block_count_z
      - .offset:         100
        .size:           2
        .value_kind:     hidden_group_size_x
      - .offset:         102
        .size:           2
        .value_kind:     hidden_group_size_y
      - .offset:         104
        .size:           2
        .value_kind:     hidden_group_size_z
      - .offset:         106
        .size:           2
        .value_kind:     hidden_remainder_x
      - .offset:         108
        .size:           2
        .value_kind:     hidden_remainder_y
      - .offset:         110
        .size:           2
        .value_kind:     hidden_remainder_z
      - .offset:         128
        .size:           8
        .value_kind:     hidden_global_offset_x
      - .offset:         136
        .size:           8
        .value_kind:     hidden_global_offset_y
      - .offset:         144
        .size:           8
        .value_kind:     hidden_global_offset_z
      - .offset:         152
        .size:           2
        .value_kind:     hidden_grid_dims
    .group_segment_fixed_size: 26632
    .kernarg_segment_align: 8
    .kernarg_segment_size: 344
    .language:       OpenCL C
    .language_version:
      - 2
      - 0
    .max_flat_workgroup_size: 1024
    .name:           _ZN7rocprim17ROCPRIM_400000_NS6detail17trampoline_kernelINS0_14default_configENS1_35radix_sort_onesweep_config_selectorItNS0_10empty_typeEEEZZNS1_29radix_sort_onesweep_iterationIS3_Lb1EPtS8_PS5_S9_mNS0_19identity_decomposerENS1_16block_id_wrapperIjLb0EEEEE10hipError_tT1_PNSt15iterator_traitsISE_E10value_typeET2_T3_PNSF_ISK_E10value_typeET4_T5_PSP_SQ_PNS1_23onesweep_lookback_stateEbbT6_jjT7_P12ihipStream_tbENKUlT_T0_SE_SJ_E_clIS8_S8_S9_S9_EEDaSX_SY_SE_SJ_EUlSX_E_NS1_11comp_targetILNS1_3genE4ELNS1_11target_archE910ELNS1_3gpuE8ELNS1_3repE0EEENS1_47radix_sort_onesweep_sort_config_static_selectorELNS0_4arch9wavefront6targetE1EEEvSE_
    .private_segment_fixed_size: 0
    .sgpr_count:     48
    .sgpr_spill_count: 0
    .symbol:         _ZN7rocprim17ROCPRIM_400000_NS6detail17trampoline_kernelINS0_14default_configENS1_35radix_sort_onesweep_config_selectorItNS0_10empty_typeEEEZZNS1_29radix_sort_onesweep_iterationIS3_Lb1EPtS8_PS5_S9_mNS0_19identity_decomposerENS1_16block_id_wrapperIjLb0EEEEE10hipError_tT1_PNSt15iterator_traitsISE_E10value_typeET2_T3_PNSF_ISK_E10value_typeET4_T5_PSP_SQ_PNS1_23onesweep_lookback_stateEbbT6_jjT7_P12ihipStream_tbENKUlT_T0_SE_SJ_E_clIS8_S8_S9_S9_EEDaSX_SY_SE_SJ_EUlSX_E_NS1_11comp_targetILNS1_3genE4ELNS1_11target_archE910ELNS1_3gpuE8ELNS1_3repE0EEENS1_47radix_sort_onesweep_sort_config_static_selectorELNS0_4arch9wavefront6targetE1EEEvSE_.kd
    .uniform_work_group_size: 1
    .uses_dynamic_stack: false
    .vgpr_count:     62
    .vgpr_spill_count: 0
    .wavefront_size: 64
  - .agpr_count:     0
    .args:
      - .offset:         0
        .size:           88
        .value_kind:     by_value
    .group_segment_fixed_size: 0
    .kernarg_segment_align: 8
    .kernarg_segment_size: 88
    .language:       OpenCL C
    .language_version:
      - 2
      - 0
    .max_flat_workgroup_size: 512
    .name:           _ZN7rocprim17ROCPRIM_400000_NS6detail17trampoline_kernelINS0_14default_configENS1_35radix_sort_onesweep_config_selectorItNS0_10empty_typeEEEZZNS1_29radix_sort_onesweep_iterationIS3_Lb1EPtS8_PS5_S9_mNS0_19identity_decomposerENS1_16block_id_wrapperIjLb0EEEEE10hipError_tT1_PNSt15iterator_traitsISE_E10value_typeET2_T3_PNSF_ISK_E10value_typeET4_T5_PSP_SQ_PNS1_23onesweep_lookback_stateEbbT6_jjT7_P12ihipStream_tbENKUlT_T0_SE_SJ_E_clIS8_S8_S9_S9_EEDaSX_SY_SE_SJ_EUlSX_E_NS1_11comp_targetILNS1_3genE3ELNS1_11target_archE908ELNS1_3gpuE7ELNS1_3repE0EEENS1_47radix_sort_onesweep_sort_config_static_selectorELNS0_4arch9wavefront6targetE1EEEvSE_
    .private_segment_fixed_size: 0
    .sgpr_count:     4
    .sgpr_spill_count: 0
    .symbol:         _ZN7rocprim17ROCPRIM_400000_NS6detail17trampoline_kernelINS0_14default_configENS1_35radix_sort_onesweep_config_selectorItNS0_10empty_typeEEEZZNS1_29radix_sort_onesweep_iterationIS3_Lb1EPtS8_PS5_S9_mNS0_19identity_decomposerENS1_16block_id_wrapperIjLb0EEEEE10hipError_tT1_PNSt15iterator_traitsISE_E10value_typeET2_T3_PNSF_ISK_E10value_typeET4_T5_PSP_SQ_PNS1_23onesweep_lookback_stateEbbT6_jjT7_P12ihipStream_tbENKUlT_T0_SE_SJ_E_clIS8_S8_S9_S9_EEDaSX_SY_SE_SJ_EUlSX_E_NS1_11comp_targetILNS1_3genE3ELNS1_11target_archE908ELNS1_3gpuE7ELNS1_3repE0EEENS1_47radix_sort_onesweep_sort_config_static_selectorELNS0_4arch9wavefront6targetE1EEEvSE_.kd
    .uniform_work_group_size: 1
    .uses_dynamic_stack: false
    .vgpr_count:     0
    .vgpr_spill_count: 0
    .wavefront_size: 64
  - .agpr_count:     0
    .args:
      - .offset:         0
        .size:           88
        .value_kind:     by_value
    .group_segment_fixed_size: 0
    .kernarg_segment_align: 8
    .kernarg_segment_size: 88
    .language:       OpenCL C
    .language_version:
      - 2
      - 0
    .max_flat_workgroup_size: 256
    .name:           _ZN7rocprim17ROCPRIM_400000_NS6detail17trampoline_kernelINS0_14default_configENS1_35radix_sort_onesweep_config_selectorItNS0_10empty_typeEEEZZNS1_29radix_sort_onesweep_iterationIS3_Lb1EPtS8_PS5_S9_mNS0_19identity_decomposerENS1_16block_id_wrapperIjLb0EEEEE10hipError_tT1_PNSt15iterator_traitsISE_E10value_typeET2_T3_PNSF_ISK_E10value_typeET4_T5_PSP_SQ_PNS1_23onesweep_lookback_stateEbbT6_jjT7_P12ihipStream_tbENKUlT_T0_SE_SJ_E_clIS8_S8_S9_S9_EEDaSX_SY_SE_SJ_EUlSX_E_NS1_11comp_targetILNS1_3genE10ELNS1_11target_archE1201ELNS1_3gpuE5ELNS1_3repE0EEENS1_47radix_sort_onesweep_sort_config_static_selectorELNS0_4arch9wavefront6targetE1EEEvSE_
    .private_segment_fixed_size: 0
    .sgpr_count:     4
    .sgpr_spill_count: 0
    .symbol:         _ZN7rocprim17ROCPRIM_400000_NS6detail17trampoline_kernelINS0_14default_configENS1_35radix_sort_onesweep_config_selectorItNS0_10empty_typeEEEZZNS1_29radix_sort_onesweep_iterationIS3_Lb1EPtS8_PS5_S9_mNS0_19identity_decomposerENS1_16block_id_wrapperIjLb0EEEEE10hipError_tT1_PNSt15iterator_traitsISE_E10value_typeET2_T3_PNSF_ISK_E10value_typeET4_T5_PSP_SQ_PNS1_23onesweep_lookback_stateEbbT6_jjT7_P12ihipStream_tbENKUlT_T0_SE_SJ_E_clIS8_S8_S9_S9_EEDaSX_SY_SE_SJ_EUlSX_E_NS1_11comp_targetILNS1_3genE10ELNS1_11target_archE1201ELNS1_3gpuE5ELNS1_3repE0EEENS1_47radix_sort_onesweep_sort_config_static_selectorELNS0_4arch9wavefront6targetE1EEEvSE_.kd
    .uniform_work_group_size: 1
    .uses_dynamic_stack: false
    .vgpr_count:     0
    .vgpr_spill_count: 0
    .wavefront_size: 64
  - .agpr_count:     0
    .args:
      - .offset:         0
        .size:           88
        .value_kind:     by_value
    .group_segment_fixed_size: 0
    .kernarg_segment_align: 8
    .kernarg_segment_size: 88
    .language:       OpenCL C
    .language_version:
      - 2
      - 0
    .max_flat_workgroup_size: 256
    .name:           _ZN7rocprim17ROCPRIM_400000_NS6detail17trampoline_kernelINS0_14default_configENS1_35radix_sort_onesweep_config_selectorItNS0_10empty_typeEEEZZNS1_29radix_sort_onesweep_iterationIS3_Lb1EPtS8_PS5_S9_mNS0_19identity_decomposerENS1_16block_id_wrapperIjLb0EEEEE10hipError_tT1_PNSt15iterator_traitsISE_E10value_typeET2_T3_PNSF_ISK_E10value_typeET4_T5_PSP_SQ_PNS1_23onesweep_lookback_stateEbbT6_jjT7_P12ihipStream_tbENKUlT_T0_SE_SJ_E_clIS8_S8_S9_S9_EEDaSX_SY_SE_SJ_EUlSX_E_NS1_11comp_targetILNS1_3genE9ELNS1_11target_archE1100ELNS1_3gpuE3ELNS1_3repE0EEENS1_47radix_sort_onesweep_sort_config_static_selectorELNS0_4arch9wavefront6targetE1EEEvSE_
    .private_segment_fixed_size: 0
    .sgpr_count:     4
    .sgpr_spill_count: 0
    .symbol:         _ZN7rocprim17ROCPRIM_400000_NS6detail17trampoline_kernelINS0_14default_configENS1_35radix_sort_onesweep_config_selectorItNS0_10empty_typeEEEZZNS1_29radix_sort_onesweep_iterationIS3_Lb1EPtS8_PS5_S9_mNS0_19identity_decomposerENS1_16block_id_wrapperIjLb0EEEEE10hipError_tT1_PNSt15iterator_traitsISE_E10value_typeET2_T3_PNSF_ISK_E10value_typeET4_T5_PSP_SQ_PNS1_23onesweep_lookback_stateEbbT6_jjT7_P12ihipStream_tbENKUlT_T0_SE_SJ_E_clIS8_S8_S9_S9_EEDaSX_SY_SE_SJ_EUlSX_E_NS1_11comp_targetILNS1_3genE9ELNS1_11target_archE1100ELNS1_3gpuE3ELNS1_3repE0EEENS1_47radix_sort_onesweep_sort_config_static_selectorELNS0_4arch9wavefront6targetE1EEEvSE_.kd
    .uniform_work_group_size: 1
    .uses_dynamic_stack: false
    .vgpr_count:     0
    .vgpr_spill_count: 0
    .wavefront_size: 64
  - .agpr_count:     0
    .args:
      - .offset:         0
        .size:           88
        .value_kind:     by_value
    .group_segment_fixed_size: 0
    .kernarg_segment_align: 8
    .kernarg_segment_size: 88
    .language:       OpenCL C
    .language_version:
      - 2
      - 0
    .max_flat_workgroup_size: 256
    .name:           _ZN7rocprim17ROCPRIM_400000_NS6detail17trampoline_kernelINS0_14default_configENS1_35radix_sort_onesweep_config_selectorItNS0_10empty_typeEEEZZNS1_29radix_sort_onesweep_iterationIS3_Lb1EPtS8_PS5_S9_mNS0_19identity_decomposerENS1_16block_id_wrapperIjLb0EEEEE10hipError_tT1_PNSt15iterator_traitsISE_E10value_typeET2_T3_PNSF_ISK_E10value_typeET4_T5_PSP_SQ_PNS1_23onesweep_lookback_stateEbbT6_jjT7_P12ihipStream_tbENKUlT_T0_SE_SJ_E_clIS8_S8_S9_S9_EEDaSX_SY_SE_SJ_EUlSX_E_NS1_11comp_targetILNS1_3genE8ELNS1_11target_archE1030ELNS1_3gpuE2ELNS1_3repE0EEENS1_47radix_sort_onesweep_sort_config_static_selectorELNS0_4arch9wavefront6targetE1EEEvSE_
    .private_segment_fixed_size: 0
    .sgpr_count:     4
    .sgpr_spill_count: 0
    .symbol:         _ZN7rocprim17ROCPRIM_400000_NS6detail17trampoline_kernelINS0_14default_configENS1_35radix_sort_onesweep_config_selectorItNS0_10empty_typeEEEZZNS1_29radix_sort_onesweep_iterationIS3_Lb1EPtS8_PS5_S9_mNS0_19identity_decomposerENS1_16block_id_wrapperIjLb0EEEEE10hipError_tT1_PNSt15iterator_traitsISE_E10value_typeET2_T3_PNSF_ISK_E10value_typeET4_T5_PSP_SQ_PNS1_23onesweep_lookback_stateEbbT6_jjT7_P12ihipStream_tbENKUlT_T0_SE_SJ_E_clIS8_S8_S9_S9_EEDaSX_SY_SE_SJ_EUlSX_E_NS1_11comp_targetILNS1_3genE8ELNS1_11target_archE1030ELNS1_3gpuE2ELNS1_3repE0EEENS1_47radix_sort_onesweep_sort_config_static_selectorELNS0_4arch9wavefront6targetE1EEEvSE_.kd
    .uniform_work_group_size: 1
    .uses_dynamic_stack: false
    .vgpr_count:     0
    .vgpr_spill_count: 0
    .wavefront_size: 64
  - .agpr_count:     0
    .args:
      - .offset:         0
        .size:           48
        .value_kind:     by_value
    .group_segment_fixed_size: 0
    .kernarg_segment_align: 8
    .kernarg_segment_size: 48
    .language:       OpenCL C
    .language_version:
      - 2
      - 0
    .max_flat_workgroup_size: 256
    .name:           _ZN7rocprim17ROCPRIM_400000_NS6detail17trampoline_kernelINS0_13kernel_configILj256ELj4ELj4294967295EEENS1_37radix_sort_block_sort_config_selectorIiNS0_10empty_typeEEEZNS1_21radix_sort_block_sortIS4_Lb1EPiS9_PS6_SA_NS0_19identity_decomposerEEE10hipError_tT1_T2_T3_T4_jRjT5_jjP12ihipStream_tbEUlT_E_NS1_11comp_targetILNS1_3genE0ELNS1_11target_archE4294967295ELNS1_3gpuE0ELNS1_3repE0EEENS1_44radix_sort_block_sort_config_static_selectorELNS0_4arch9wavefront6targetE1EEEvSD_
    .private_segment_fixed_size: 0
    .sgpr_count:     4
    .sgpr_spill_count: 0
    .symbol:         _ZN7rocprim17ROCPRIM_400000_NS6detail17trampoline_kernelINS0_13kernel_configILj256ELj4ELj4294967295EEENS1_37radix_sort_block_sort_config_selectorIiNS0_10empty_typeEEEZNS1_21radix_sort_block_sortIS4_Lb1EPiS9_PS6_SA_NS0_19identity_decomposerEEE10hipError_tT1_T2_T3_T4_jRjT5_jjP12ihipStream_tbEUlT_E_NS1_11comp_targetILNS1_3genE0ELNS1_11target_archE4294967295ELNS1_3gpuE0ELNS1_3repE0EEENS1_44radix_sort_block_sort_config_static_selectorELNS0_4arch9wavefront6targetE1EEEvSD_.kd
    .uniform_work_group_size: 1
    .uses_dynamic_stack: false
    .vgpr_count:     0
    .vgpr_spill_count: 0
    .wavefront_size: 64
  - .agpr_count:     0
    .args:
      - .offset:         0
        .size:           48
        .value_kind:     by_value
    .group_segment_fixed_size: 0
    .kernarg_segment_align: 8
    .kernarg_segment_size: 48
    .language:       OpenCL C
    .language_version:
      - 2
      - 0
    .max_flat_workgroup_size: 256
    .name:           _ZN7rocprim17ROCPRIM_400000_NS6detail17trampoline_kernelINS0_13kernel_configILj256ELj4ELj4294967295EEENS1_37radix_sort_block_sort_config_selectorIiNS0_10empty_typeEEEZNS1_21radix_sort_block_sortIS4_Lb1EPiS9_PS6_SA_NS0_19identity_decomposerEEE10hipError_tT1_T2_T3_T4_jRjT5_jjP12ihipStream_tbEUlT_E_NS1_11comp_targetILNS1_3genE5ELNS1_11target_archE942ELNS1_3gpuE9ELNS1_3repE0EEENS1_44radix_sort_block_sort_config_static_selectorELNS0_4arch9wavefront6targetE1EEEvSD_
    .private_segment_fixed_size: 0
    .sgpr_count:     4
    .sgpr_spill_count: 0
    .symbol:         _ZN7rocprim17ROCPRIM_400000_NS6detail17trampoline_kernelINS0_13kernel_configILj256ELj4ELj4294967295EEENS1_37radix_sort_block_sort_config_selectorIiNS0_10empty_typeEEEZNS1_21radix_sort_block_sortIS4_Lb1EPiS9_PS6_SA_NS0_19identity_decomposerEEE10hipError_tT1_T2_T3_T4_jRjT5_jjP12ihipStream_tbEUlT_E_NS1_11comp_targetILNS1_3genE5ELNS1_11target_archE942ELNS1_3gpuE9ELNS1_3repE0EEENS1_44radix_sort_block_sort_config_static_selectorELNS0_4arch9wavefront6targetE1EEEvSD_.kd
    .uniform_work_group_size: 1
    .uses_dynamic_stack: false
    .vgpr_count:     0
    .vgpr_spill_count: 0
    .wavefront_size: 64
  - .agpr_count:     0
    .args:
      - .offset:         0
        .size:           48
        .value_kind:     by_value
      - .offset:         48
        .size:           4
        .value_kind:     hidden_block_count_x
      - .offset:         52
        .size:           4
        .value_kind:     hidden_block_count_y
      - .offset:         56
        .size:           4
        .value_kind:     hidden_block_count_z
      - .offset:         60
        .size:           2
        .value_kind:     hidden_group_size_x
      - .offset:         62
        .size:           2
        .value_kind:     hidden_group_size_y
      - .offset:         64
        .size:           2
        .value_kind:     hidden_group_size_z
      - .offset:         66
        .size:           2
        .value_kind:     hidden_remainder_x
      - .offset:         68
        .size:           2
        .value_kind:     hidden_remainder_y
      - .offset:         70
        .size:           2
        .value_kind:     hidden_remainder_z
      - .offset:         88
        .size:           8
        .value_kind:     hidden_global_offset_x
      - .offset:         96
        .size:           8
        .value_kind:     hidden_global_offset_y
      - .offset:         104
        .size:           8
        .value_kind:     hidden_global_offset_z
      - .offset:         112
        .size:           2
        .value_kind:     hidden_grid_dims
    .group_segment_fixed_size: 4112
    .kernarg_segment_align: 8
    .kernarg_segment_size: 304
    .language:       OpenCL C
    .language_version:
      - 2
      - 0
    .max_flat_workgroup_size: 256
    .name:           _ZN7rocprim17ROCPRIM_400000_NS6detail17trampoline_kernelINS0_13kernel_configILj256ELj4ELj4294967295EEENS1_37radix_sort_block_sort_config_selectorIiNS0_10empty_typeEEEZNS1_21radix_sort_block_sortIS4_Lb1EPiS9_PS6_SA_NS0_19identity_decomposerEEE10hipError_tT1_T2_T3_T4_jRjT5_jjP12ihipStream_tbEUlT_E_NS1_11comp_targetILNS1_3genE4ELNS1_11target_archE910ELNS1_3gpuE8ELNS1_3repE0EEENS1_44radix_sort_block_sort_config_static_selectorELNS0_4arch9wavefront6targetE1EEEvSD_
    .private_segment_fixed_size: 0
    .sgpr_count:     48
    .sgpr_spill_count: 0
    .symbol:         _ZN7rocprim17ROCPRIM_400000_NS6detail17trampoline_kernelINS0_13kernel_configILj256ELj4ELj4294967295EEENS1_37radix_sort_block_sort_config_selectorIiNS0_10empty_typeEEEZNS1_21radix_sort_block_sortIS4_Lb1EPiS9_PS6_SA_NS0_19identity_decomposerEEE10hipError_tT1_T2_T3_T4_jRjT5_jjP12ihipStream_tbEUlT_E_NS1_11comp_targetILNS1_3genE4ELNS1_11target_archE910ELNS1_3gpuE8ELNS1_3repE0EEENS1_44radix_sort_block_sort_config_static_selectorELNS0_4arch9wavefront6targetE1EEEvSD_.kd
    .uniform_work_group_size: 1
    .uses_dynamic_stack: false
    .vgpr_count:     39
    .vgpr_spill_count: 0
    .wavefront_size: 64
  - .agpr_count:     0
    .args:
      - .offset:         0
        .size:           48
        .value_kind:     by_value
    .group_segment_fixed_size: 0
    .kernarg_segment_align: 8
    .kernarg_segment_size: 48
    .language:       OpenCL C
    .language_version:
      - 2
      - 0
    .max_flat_workgroup_size: 256
    .name:           _ZN7rocprim17ROCPRIM_400000_NS6detail17trampoline_kernelINS0_13kernel_configILj256ELj4ELj4294967295EEENS1_37radix_sort_block_sort_config_selectorIiNS0_10empty_typeEEEZNS1_21radix_sort_block_sortIS4_Lb1EPiS9_PS6_SA_NS0_19identity_decomposerEEE10hipError_tT1_T2_T3_T4_jRjT5_jjP12ihipStream_tbEUlT_E_NS1_11comp_targetILNS1_3genE3ELNS1_11target_archE908ELNS1_3gpuE7ELNS1_3repE0EEENS1_44radix_sort_block_sort_config_static_selectorELNS0_4arch9wavefront6targetE1EEEvSD_
    .private_segment_fixed_size: 0
    .sgpr_count:     4
    .sgpr_spill_count: 0
    .symbol:         _ZN7rocprim17ROCPRIM_400000_NS6detail17trampoline_kernelINS0_13kernel_configILj256ELj4ELj4294967295EEENS1_37radix_sort_block_sort_config_selectorIiNS0_10empty_typeEEEZNS1_21radix_sort_block_sortIS4_Lb1EPiS9_PS6_SA_NS0_19identity_decomposerEEE10hipError_tT1_T2_T3_T4_jRjT5_jjP12ihipStream_tbEUlT_E_NS1_11comp_targetILNS1_3genE3ELNS1_11target_archE908ELNS1_3gpuE7ELNS1_3repE0EEENS1_44radix_sort_block_sort_config_static_selectorELNS0_4arch9wavefront6targetE1EEEvSD_.kd
    .uniform_work_group_size: 1
    .uses_dynamic_stack: false
    .vgpr_count:     0
    .vgpr_spill_count: 0
    .wavefront_size: 64
  - .agpr_count:     0
    .args:
      - .offset:         0
        .size:           48
        .value_kind:     by_value
    .group_segment_fixed_size: 0
    .kernarg_segment_align: 8
    .kernarg_segment_size: 48
    .language:       OpenCL C
    .language_version:
      - 2
      - 0
    .max_flat_workgroup_size: 256
    .name:           _ZN7rocprim17ROCPRIM_400000_NS6detail17trampoline_kernelINS0_13kernel_configILj256ELj4ELj4294967295EEENS1_37radix_sort_block_sort_config_selectorIiNS0_10empty_typeEEEZNS1_21radix_sort_block_sortIS4_Lb1EPiS9_PS6_SA_NS0_19identity_decomposerEEE10hipError_tT1_T2_T3_T4_jRjT5_jjP12ihipStream_tbEUlT_E_NS1_11comp_targetILNS1_3genE2ELNS1_11target_archE906ELNS1_3gpuE6ELNS1_3repE0EEENS1_44radix_sort_block_sort_config_static_selectorELNS0_4arch9wavefront6targetE1EEEvSD_
    .private_segment_fixed_size: 0
    .sgpr_count:     4
    .sgpr_spill_count: 0
    .symbol:         _ZN7rocprim17ROCPRIM_400000_NS6detail17trampoline_kernelINS0_13kernel_configILj256ELj4ELj4294967295EEENS1_37radix_sort_block_sort_config_selectorIiNS0_10empty_typeEEEZNS1_21radix_sort_block_sortIS4_Lb1EPiS9_PS6_SA_NS0_19identity_decomposerEEE10hipError_tT1_T2_T3_T4_jRjT5_jjP12ihipStream_tbEUlT_E_NS1_11comp_targetILNS1_3genE2ELNS1_11target_archE906ELNS1_3gpuE6ELNS1_3repE0EEENS1_44radix_sort_block_sort_config_static_selectorELNS0_4arch9wavefront6targetE1EEEvSD_.kd
    .uniform_work_group_size: 1
    .uses_dynamic_stack: false
    .vgpr_count:     0
    .vgpr_spill_count: 0
    .wavefront_size: 64
  - .agpr_count:     0
    .args:
      - .offset:         0
        .size:           48
        .value_kind:     by_value
    .group_segment_fixed_size: 0
    .kernarg_segment_align: 8
    .kernarg_segment_size: 48
    .language:       OpenCL C
    .language_version:
      - 2
      - 0
    .max_flat_workgroup_size: 256
    .name:           _ZN7rocprim17ROCPRIM_400000_NS6detail17trampoline_kernelINS0_13kernel_configILj256ELj4ELj4294967295EEENS1_37radix_sort_block_sort_config_selectorIiNS0_10empty_typeEEEZNS1_21radix_sort_block_sortIS4_Lb1EPiS9_PS6_SA_NS0_19identity_decomposerEEE10hipError_tT1_T2_T3_T4_jRjT5_jjP12ihipStream_tbEUlT_E_NS1_11comp_targetILNS1_3genE10ELNS1_11target_archE1201ELNS1_3gpuE5ELNS1_3repE0EEENS1_44radix_sort_block_sort_config_static_selectorELNS0_4arch9wavefront6targetE1EEEvSD_
    .private_segment_fixed_size: 0
    .sgpr_count:     4
    .sgpr_spill_count: 0
    .symbol:         _ZN7rocprim17ROCPRIM_400000_NS6detail17trampoline_kernelINS0_13kernel_configILj256ELj4ELj4294967295EEENS1_37radix_sort_block_sort_config_selectorIiNS0_10empty_typeEEEZNS1_21radix_sort_block_sortIS4_Lb1EPiS9_PS6_SA_NS0_19identity_decomposerEEE10hipError_tT1_T2_T3_T4_jRjT5_jjP12ihipStream_tbEUlT_E_NS1_11comp_targetILNS1_3genE10ELNS1_11target_archE1201ELNS1_3gpuE5ELNS1_3repE0EEENS1_44radix_sort_block_sort_config_static_selectorELNS0_4arch9wavefront6targetE1EEEvSD_.kd
    .uniform_work_group_size: 1
    .uses_dynamic_stack: false
    .vgpr_count:     0
    .vgpr_spill_count: 0
    .wavefront_size: 64
  - .agpr_count:     0
    .args:
      - .offset:         0
        .size:           48
        .value_kind:     by_value
    .group_segment_fixed_size: 0
    .kernarg_segment_align: 8
    .kernarg_segment_size: 48
    .language:       OpenCL C
    .language_version:
      - 2
      - 0
    .max_flat_workgroup_size: 256
    .name:           _ZN7rocprim17ROCPRIM_400000_NS6detail17trampoline_kernelINS0_13kernel_configILj256ELj4ELj4294967295EEENS1_37radix_sort_block_sort_config_selectorIiNS0_10empty_typeEEEZNS1_21radix_sort_block_sortIS4_Lb1EPiS9_PS6_SA_NS0_19identity_decomposerEEE10hipError_tT1_T2_T3_T4_jRjT5_jjP12ihipStream_tbEUlT_E_NS1_11comp_targetILNS1_3genE10ELNS1_11target_archE1200ELNS1_3gpuE4ELNS1_3repE0EEENS1_44radix_sort_block_sort_config_static_selectorELNS0_4arch9wavefront6targetE1EEEvSD_
    .private_segment_fixed_size: 0
    .sgpr_count:     4
    .sgpr_spill_count: 0
    .symbol:         _ZN7rocprim17ROCPRIM_400000_NS6detail17trampoline_kernelINS0_13kernel_configILj256ELj4ELj4294967295EEENS1_37radix_sort_block_sort_config_selectorIiNS0_10empty_typeEEEZNS1_21radix_sort_block_sortIS4_Lb1EPiS9_PS6_SA_NS0_19identity_decomposerEEE10hipError_tT1_T2_T3_T4_jRjT5_jjP12ihipStream_tbEUlT_E_NS1_11comp_targetILNS1_3genE10ELNS1_11target_archE1200ELNS1_3gpuE4ELNS1_3repE0EEENS1_44radix_sort_block_sort_config_static_selectorELNS0_4arch9wavefront6targetE1EEEvSD_.kd
    .uniform_work_group_size: 1
    .uses_dynamic_stack: false
    .vgpr_count:     0
    .vgpr_spill_count: 0
    .wavefront_size: 64
  - .agpr_count:     0
    .args:
      - .offset:         0
        .size:           48
        .value_kind:     by_value
    .group_segment_fixed_size: 0
    .kernarg_segment_align: 8
    .kernarg_segment_size: 48
    .language:       OpenCL C
    .language_version:
      - 2
      - 0
    .max_flat_workgroup_size: 256
    .name:           _ZN7rocprim17ROCPRIM_400000_NS6detail17trampoline_kernelINS0_13kernel_configILj256ELj4ELj4294967295EEENS1_37radix_sort_block_sort_config_selectorIiNS0_10empty_typeEEEZNS1_21radix_sort_block_sortIS4_Lb1EPiS9_PS6_SA_NS0_19identity_decomposerEEE10hipError_tT1_T2_T3_T4_jRjT5_jjP12ihipStream_tbEUlT_E_NS1_11comp_targetILNS1_3genE9ELNS1_11target_archE1100ELNS1_3gpuE3ELNS1_3repE0EEENS1_44radix_sort_block_sort_config_static_selectorELNS0_4arch9wavefront6targetE1EEEvSD_
    .private_segment_fixed_size: 0
    .sgpr_count:     4
    .sgpr_spill_count: 0
    .symbol:         _ZN7rocprim17ROCPRIM_400000_NS6detail17trampoline_kernelINS0_13kernel_configILj256ELj4ELj4294967295EEENS1_37radix_sort_block_sort_config_selectorIiNS0_10empty_typeEEEZNS1_21radix_sort_block_sortIS4_Lb1EPiS9_PS6_SA_NS0_19identity_decomposerEEE10hipError_tT1_T2_T3_T4_jRjT5_jjP12ihipStream_tbEUlT_E_NS1_11comp_targetILNS1_3genE9ELNS1_11target_archE1100ELNS1_3gpuE3ELNS1_3repE0EEENS1_44radix_sort_block_sort_config_static_selectorELNS0_4arch9wavefront6targetE1EEEvSD_.kd
    .uniform_work_group_size: 1
    .uses_dynamic_stack: false
    .vgpr_count:     0
    .vgpr_spill_count: 0
    .wavefront_size: 64
  - .agpr_count:     0
    .args:
      - .offset:         0
        .size:           48
        .value_kind:     by_value
    .group_segment_fixed_size: 0
    .kernarg_segment_align: 8
    .kernarg_segment_size: 48
    .language:       OpenCL C
    .language_version:
      - 2
      - 0
    .max_flat_workgroup_size: 256
    .name:           _ZN7rocprim17ROCPRIM_400000_NS6detail17trampoline_kernelINS0_13kernel_configILj256ELj4ELj4294967295EEENS1_37radix_sort_block_sort_config_selectorIiNS0_10empty_typeEEEZNS1_21radix_sort_block_sortIS4_Lb1EPiS9_PS6_SA_NS0_19identity_decomposerEEE10hipError_tT1_T2_T3_T4_jRjT5_jjP12ihipStream_tbEUlT_E_NS1_11comp_targetILNS1_3genE8ELNS1_11target_archE1030ELNS1_3gpuE2ELNS1_3repE0EEENS1_44radix_sort_block_sort_config_static_selectorELNS0_4arch9wavefront6targetE1EEEvSD_
    .private_segment_fixed_size: 0
    .sgpr_count:     4
    .sgpr_spill_count: 0
    .symbol:         _ZN7rocprim17ROCPRIM_400000_NS6detail17trampoline_kernelINS0_13kernel_configILj256ELj4ELj4294967295EEENS1_37radix_sort_block_sort_config_selectorIiNS0_10empty_typeEEEZNS1_21radix_sort_block_sortIS4_Lb1EPiS9_PS6_SA_NS0_19identity_decomposerEEE10hipError_tT1_T2_T3_T4_jRjT5_jjP12ihipStream_tbEUlT_E_NS1_11comp_targetILNS1_3genE8ELNS1_11target_archE1030ELNS1_3gpuE2ELNS1_3repE0EEENS1_44radix_sort_block_sort_config_static_selectorELNS0_4arch9wavefront6targetE1EEEvSD_.kd
    .uniform_work_group_size: 1
    .uses_dynamic_stack: false
    .vgpr_count:     0
    .vgpr_spill_count: 0
    .wavefront_size: 64
  - .agpr_count:     0
    .args:
      - .offset:         0
        .size:           40
        .value_kind:     by_value
    .group_segment_fixed_size: 0
    .kernarg_segment_align: 8
    .kernarg_segment_size: 40
    .language:       OpenCL C
    .language_version:
      - 2
      - 0
    .max_flat_workgroup_size: 128
    .name:           _ZN7rocprim17ROCPRIM_400000_NS6detail17trampoline_kernelINS0_14default_configENS1_38merge_sort_block_merge_config_selectorIiNS0_10empty_typeEEEZZNS1_27merge_sort_block_merge_implIS3_PiPS5_jNS1_19radix_merge_compareILb1ELb0EiNS0_19identity_decomposerEEEEE10hipError_tT0_T1_T2_jT3_P12ihipStream_tbPNSt15iterator_traitsISE_E10value_typeEPNSK_ISF_E10value_typeEPSG_NS1_7vsmem_tEENKUlT_SE_SF_SG_E_clIS8_S8_S9_S9_EESD_ST_SE_SF_SG_EUlST_E_NS1_11comp_targetILNS1_3genE0ELNS1_11target_archE4294967295ELNS1_3gpuE0ELNS1_3repE0EEENS1_48merge_mergepath_partition_config_static_selectorELNS0_4arch9wavefront6targetE1EEEvSF_
    .private_segment_fixed_size: 0
    .sgpr_count:     4
    .sgpr_spill_count: 0
    .symbol:         _ZN7rocprim17ROCPRIM_400000_NS6detail17trampoline_kernelINS0_14default_configENS1_38merge_sort_block_merge_config_selectorIiNS0_10empty_typeEEEZZNS1_27merge_sort_block_merge_implIS3_PiPS5_jNS1_19radix_merge_compareILb1ELb0EiNS0_19identity_decomposerEEEEE10hipError_tT0_T1_T2_jT3_P12ihipStream_tbPNSt15iterator_traitsISE_E10value_typeEPNSK_ISF_E10value_typeEPSG_NS1_7vsmem_tEENKUlT_SE_SF_SG_E_clIS8_S8_S9_S9_EESD_ST_SE_SF_SG_EUlST_E_NS1_11comp_targetILNS1_3genE0ELNS1_11target_archE4294967295ELNS1_3gpuE0ELNS1_3repE0EEENS1_48merge_mergepath_partition_config_static_selectorELNS0_4arch9wavefront6targetE1EEEvSF_.kd
    .uniform_work_group_size: 1
    .uses_dynamic_stack: false
    .vgpr_count:     0
    .vgpr_spill_count: 0
    .wavefront_size: 64
  - .agpr_count:     0
    .args:
      - .offset:         0
        .size:           40
        .value_kind:     by_value
    .group_segment_fixed_size: 0
    .kernarg_segment_align: 8
    .kernarg_segment_size: 40
    .language:       OpenCL C
    .language_version:
      - 2
      - 0
    .max_flat_workgroup_size: 128
    .name:           _ZN7rocprim17ROCPRIM_400000_NS6detail17trampoline_kernelINS0_14default_configENS1_38merge_sort_block_merge_config_selectorIiNS0_10empty_typeEEEZZNS1_27merge_sort_block_merge_implIS3_PiPS5_jNS1_19radix_merge_compareILb1ELb0EiNS0_19identity_decomposerEEEEE10hipError_tT0_T1_T2_jT3_P12ihipStream_tbPNSt15iterator_traitsISE_E10value_typeEPNSK_ISF_E10value_typeEPSG_NS1_7vsmem_tEENKUlT_SE_SF_SG_E_clIS8_S8_S9_S9_EESD_ST_SE_SF_SG_EUlST_E_NS1_11comp_targetILNS1_3genE10ELNS1_11target_archE1201ELNS1_3gpuE5ELNS1_3repE0EEENS1_48merge_mergepath_partition_config_static_selectorELNS0_4arch9wavefront6targetE1EEEvSF_
    .private_segment_fixed_size: 0
    .sgpr_count:     4
    .sgpr_spill_count: 0
    .symbol:         _ZN7rocprim17ROCPRIM_400000_NS6detail17trampoline_kernelINS0_14default_configENS1_38merge_sort_block_merge_config_selectorIiNS0_10empty_typeEEEZZNS1_27merge_sort_block_merge_implIS3_PiPS5_jNS1_19radix_merge_compareILb1ELb0EiNS0_19identity_decomposerEEEEE10hipError_tT0_T1_T2_jT3_P12ihipStream_tbPNSt15iterator_traitsISE_E10value_typeEPNSK_ISF_E10value_typeEPSG_NS1_7vsmem_tEENKUlT_SE_SF_SG_E_clIS8_S8_S9_S9_EESD_ST_SE_SF_SG_EUlST_E_NS1_11comp_targetILNS1_3genE10ELNS1_11target_archE1201ELNS1_3gpuE5ELNS1_3repE0EEENS1_48merge_mergepath_partition_config_static_selectorELNS0_4arch9wavefront6targetE1EEEvSF_.kd
    .uniform_work_group_size: 1
    .uses_dynamic_stack: false
    .vgpr_count:     0
    .vgpr_spill_count: 0
    .wavefront_size: 64
  - .agpr_count:     0
    .args:
      - .offset:         0
        .size:           40
        .value_kind:     by_value
    .group_segment_fixed_size: 0
    .kernarg_segment_align: 8
    .kernarg_segment_size: 40
    .language:       OpenCL C
    .language_version:
      - 2
      - 0
    .max_flat_workgroup_size: 128
    .name:           _ZN7rocprim17ROCPRIM_400000_NS6detail17trampoline_kernelINS0_14default_configENS1_38merge_sort_block_merge_config_selectorIiNS0_10empty_typeEEEZZNS1_27merge_sort_block_merge_implIS3_PiPS5_jNS1_19radix_merge_compareILb1ELb0EiNS0_19identity_decomposerEEEEE10hipError_tT0_T1_T2_jT3_P12ihipStream_tbPNSt15iterator_traitsISE_E10value_typeEPNSK_ISF_E10value_typeEPSG_NS1_7vsmem_tEENKUlT_SE_SF_SG_E_clIS8_S8_S9_S9_EESD_ST_SE_SF_SG_EUlST_E_NS1_11comp_targetILNS1_3genE5ELNS1_11target_archE942ELNS1_3gpuE9ELNS1_3repE0EEENS1_48merge_mergepath_partition_config_static_selectorELNS0_4arch9wavefront6targetE1EEEvSF_
    .private_segment_fixed_size: 0
    .sgpr_count:     4
    .sgpr_spill_count: 0
    .symbol:         _ZN7rocprim17ROCPRIM_400000_NS6detail17trampoline_kernelINS0_14default_configENS1_38merge_sort_block_merge_config_selectorIiNS0_10empty_typeEEEZZNS1_27merge_sort_block_merge_implIS3_PiPS5_jNS1_19radix_merge_compareILb1ELb0EiNS0_19identity_decomposerEEEEE10hipError_tT0_T1_T2_jT3_P12ihipStream_tbPNSt15iterator_traitsISE_E10value_typeEPNSK_ISF_E10value_typeEPSG_NS1_7vsmem_tEENKUlT_SE_SF_SG_E_clIS8_S8_S9_S9_EESD_ST_SE_SF_SG_EUlST_E_NS1_11comp_targetILNS1_3genE5ELNS1_11target_archE942ELNS1_3gpuE9ELNS1_3repE0EEENS1_48merge_mergepath_partition_config_static_selectorELNS0_4arch9wavefront6targetE1EEEvSF_.kd
    .uniform_work_group_size: 1
    .uses_dynamic_stack: false
    .vgpr_count:     0
    .vgpr_spill_count: 0
    .wavefront_size: 64
  - .agpr_count:     0
    .args:
      - .offset:         0
        .size:           40
        .value_kind:     by_value
    .group_segment_fixed_size: 0
    .kernarg_segment_align: 8
    .kernarg_segment_size: 40
    .language:       OpenCL C
    .language_version:
      - 2
      - 0
    .max_flat_workgroup_size: 128
    .name:           _ZN7rocprim17ROCPRIM_400000_NS6detail17trampoline_kernelINS0_14default_configENS1_38merge_sort_block_merge_config_selectorIiNS0_10empty_typeEEEZZNS1_27merge_sort_block_merge_implIS3_PiPS5_jNS1_19radix_merge_compareILb1ELb0EiNS0_19identity_decomposerEEEEE10hipError_tT0_T1_T2_jT3_P12ihipStream_tbPNSt15iterator_traitsISE_E10value_typeEPNSK_ISF_E10value_typeEPSG_NS1_7vsmem_tEENKUlT_SE_SF_SG_E_clIS8_S8_S9_S9_EESD_ST_SE_SF_SG_EUlST_E_NS1_11comp_targetILNS1_3genE4ELNS1_11target_archE910ELNS1_3gpuE8ELNS1_3repE0EEENS1_48merge_mergepath_partition_config_static_selectorELNS0_4arch9wavefront6targetE1EEEvSF_
    .private_segment_fixed_size: 0
    .sgpr_count:     12
    .sgpr_spill_count: 0
    .symbol:         _ZN7rocprim17ROCPRIM_400000_NS6detail17trampoline_kernelINS0_14default_configENS1_38merge_sort_block_merge_config_selectorIiNS0_10empty_typeEEEZZNS1_27merge_sort_block_merge_implIS3_PiPS5_jNS1_19radix_merge_compareILb1ELb0EiNS0_19identity_decomposerEEEEE10hipError_tT0_T1_T2_jT3_P12ihipStream_tbPNSt15iterator_traitsISE_E10value_typeEPNSK_ISF_E10value_typeEPSG_NS1_7vsmem_tEENKUlT_SE_SF_SG_E_clIS8_S8_S9_S9_EESD_ST_SE_SF_SG_EUlST_E_NS1_11comp_targetILNS1_3genE4ELNS1_11target_archE910ELNS1_3gpuE8ELNS1_3repE0EEENS1_48merge_mergepath_partition_config_static_selectorELNS0_4arch9wavefront6targetE1EEEvSF_.kd
    .uniform_work_group_size: 1
    .uses_dynamic_stack: false
    .vgpr_count:     17
    .vgpr_spill_count: 0
    .wavefront_size: 64
  - .agpr_count:     0
    .args:
      - .offset:         0
        .size:           40
        .value_kind:     by_value
    .group_segment_fixed_size: 0
    .kernarg_segment_align: 8
    .kernarg_segment_size: 40
    .language:       OpenCL C
    .language_version:
      - 2
      - 0
    .max_flat_workgroup_size: 128
    .name:           _ZN7rocprim17ROCPRIM_400000_NS6detail17trampoline_kernelINS0_14default_configENS1_38merge_sort_block_merge_config_selectorIiNS0_10empty_typeEEEZZNS1_27merge_sort_block_merge_implIS3_PiPS5_jNS1_19radix_merge_compareILb1ELb0EiNS0_19identity_decomposerEEEEE10hipError_tT0_T1_T2_jT3_P12ihipStream_tbPNSt15iterator_traitsISE_E10value_typeEPNSK_ISF_E10value_typeEPSG_NS1_7vsmem_tEENKUlT_SE_SF_SG_E_clIS8_S8_S9_S9_EESD_ST_SE_SF_SG_EUlST_E_NS1_11comp_targetILNS1_3genE3ELNS1_11target_archE908ELNS1_3gpuE7ELNS1_3repE0EEENS1_48merge_mergepath_partition_config_static_selectorELNS0_4arch9wavefront6targetE1EEEvSF_
    .private_segment_fixed_size: 0
    .sgpr_count:     4
    .sgpr_spill_count: 0
    .symbol:         _ZN7rocprim17ROCPRIM_400000_NS6detail17trampoline_kernelINS0_14default_configENS1_38merge_sort_block_merge_config_selectorIiNS0_10empty_typeEEEZZNS1_27merge_sort_block_merge_implIS3_PiPS5_jNS1_19radix_merge_compareILb1ELb0EiNS0_19identity_decomposerEEEEE10hipError_tT0_T1_T2_jT3_P12ihipStream_tbPNSt15iterator_traitsISE_E10value_typeEPNSK_ISF_E10value_typeEPSG_NS1_7vsmem_tEENKUlT_SE_SF_SG_E_clIS8_S8_S9_S9_EESD_ST_SE_SF_SG_EUlST_E_NS1_11comp_targetILNS1_3genE3ELNS1_11target_archE908ELNS1_3gpuE7ELNS1_3repE0EEENS1_48merge_mergepath_partition_config_static_selectorELNS0_4arch9wavefront6targetE1EEEvSF_.kd
    .uniform_work_group_size: 1
    .uses_dynamic_stack: false
    .vgpr_count:     0
    .vgpr_spill_count: 0
    .wavefront_size: 64
  - .agpr_count:     0
    .args:
      - .offset:         0
        .size:           40
        .value_kind:     by_value
    .group_segment_fixed_size: 0
    .kernarg_segment_align: 8
    .kernarg_segment_size: 40
    .language:       OpenCL C
    .language_version:
      - 2
      - 0
    .max_flat_workgroup_size: 128
    .name:           _ZN7rocprim17ROCPRIM_400000_NS6detail17trampoline_kernelINS0_14default_configENS1_38merge_sort_block_merge_config_selectorIiNS0_10empty_typeEEEZZNS1_27merge_sort_block_merge_implIS3_PiPS5_jNS1_19radix_merge_compareILb1ELb0EiNS0_19identity_decomposerEEEEE10hipError_tT0_T1_T2_jT3_P12ihipStream_tbPNSt15iterator_traitsISE_E10value_typeEPNSK_ISF_E10value_typeEPSG_NS1_7vsmem_tEENKUlT_SE_SF_SG_E_clIS8_S8_S9_S9_EESD_ST_SE_SF_SG_EUlST_E_NS1_11comp_targetILNS1_3genE2ELNS1_11target_archE906ELNS1_3gpuE6ELNS1_3repE0EEENS1_48merge_mergepath_partition_config_static_selectorELNS0_4arch9wavefront6targetE1EEEvSF_
    .private_segment_fixed_size: 0
    .sgpr_count:     4
    .sgpr_spill_count: 0
    .symbol:         _ZN7rocprim17ROCPRIM_400000_NS6detail17trampoline_kernelINS0_14default_configENS1_38merge_sort_block_merge_config_selectorIiNS0_10empty_typeEEEZZNS1_27merge_sort_block_merge_implIS3_PiPS5_jNS1_19radix_merge_compareILb1ELb0EiNS0_19identity_decomposerEEEEE10hipError_tT0_T1_T2_jT3_P12ihipStream_tbPNSt15iterator_traitsISE_E10value_typeEPNSK_ISF_E10value_typeEPSG_NS1_7vsmem_tEENKUlT_SE_SF_SG_E_clIS8_S8_S9_S9_EESD_ST_SE_SF_SG_EUlST_E_NS1_11comp_targetILNS1_3genE2ELNS1_11target_archE906ELNS1_3gpuE6ELNS1_3repE0EEENS1_48merge_mergepath_partition_config_static_selectorELNS0_4arch9wavefront6targetE1EEEvSF_.kd
    .uniform_work_group_size: 1
    .uses_dynamic_stack: false
    .vgpr_count:     0
    .vgpr_spill_count: 0
    .wavefront_size: 64
  - .agpr_count:     0
    .args:
      - .offset:         0
        .size:           40
        .value_kind:     by_value
    .group_segment_fixed_size: 0
    .kernarg_segment_align: 8
    .kernarg_segment_size: 40
    .language:       OpenCL C
    .language_version:
      - 2
      - 0
    .max_flat_workgroup_size: 128
    .name:           _ZN7rocprim17ROCPRIM_400000_NS6detail17trampoline_kernelINS0_14default_configENS1_38merge_sort_block_merge_config_selectorIiNS0_10empty_typeEEEZZNS1_27merge_sort_block_merge_implIS3_PiPS5_jNS1_19radix_merge_compareILb1ELb0EiNS0_19identity_decomposerEEEEE10hipError_tT0_T1_T2_jT3_P12ihipStream_tbPNSt15iterator_traitsISE_E10value_typeEPNSK_ISF_E10value_typeEPSG_NS1_7vsmem_tEENKUlT_SE_SF_SG_E_clIS8_S8_S9_S9_EESD_ST_SE_SF_SG_EUlST_E_NS1_11comp_targetILNS1_3genE9ELNS1_11target_archE1100ELNS1_3gpuE3ELNS1_3repE0EEENS1_48merge_mergepath_partition_config_static_selectorELNS0_4arch9wavefront6targetE1EEEvSF_
    .private_segment_fixed_size: 0
    .sgpr_count:     4
    .sgpr_spill_count: 0
    .symbol:         _ZN7rocprim17ROCPRIM_400000_NS6detail17trampoline_kernelINS0_14default_configENS1_38merge_sort_block_merge_config_selectorIiNS0_10empty_typeEEEZZNS1_27merge_sort_block_merge_implIS3_PiPS5_jNS1_19radix_merge_compareILb1ELb0EiNS0_19identity_decomposerEEEEE10hipError_tT0_T1_T2_jT3_P12ihipStream_tbPNSt15iterator_traitsISE_E10value_typeEPNSK_ISF_E10value_typeEPSG_NS1_7vsmem_tEENKUlT_SE_SF_SG_E_clIS8_S8_S9_S9_EESD_ST_SE_SF_SG_EUlST_E_NS1_11comp_targetILNS1_3genE9ELNS1_11target_archE1100ELNS1_3gpuE3ELNS1_3repE0EEENS1_48merge_mergepath_partition_config_static_selectorELNS0_4arch9wavefront6targetE1EEEvSF_.kd
    .uniform_work_group_size: 1
    .uses_dynamic_stack: false
    .vgpr_count:     0
    .vgpr_spill_count: 0
    .wavefront_size: 64
  - .agpr_count:     0
    .args:
      - .offset:         0
        .size:           40
        .value_kind:     by_value
    .group_segment_fixed_size: 0
    .kernarg_segment_align: 8
    .kernarg_segment_size: 40
    .language:       OpenCL C
    .language_version:
      - 2
      - 0
    .max_flat_workgroup_size: 128
    .name:           _ZN7rocprim17ROCPRIM_400000_NS6detail17trampoline_kernelINS0_14default_configENS1_38merge_sort_block_merge_config_selectorIiNS0_10empty_typeEEEZZNS1_27merge_sort_block_merge_implIS3_PiPS5_jNS1_19radix_merge_compareILb1ELb0EiNS0_19identity_decomposerEEEEE10hipError_tT0_T1_T2_jT3_P12ihipStream_tbPNSt15iterator_traitsISE_E10value_typeEPNSK_ISF_E10value_typeEPSG_NS1_7vsmem_tEENKUlT_SE_SF_SG_E_clIS8_S8_S9_S9_EESD_ST_SE_SF_SG_EUlST_E_NS1_11comp_targetILNS1_3genE8ELNS1_11target_archE1030ELNS1_3gpuE2ELNS1_3repE0EEENS1_48merge_mergepath_partition_config_static_selectorELNS0_4arch9wavefront6targetE1EEEvSF_
    .private_segment_fixed_size: 0
    .sgpr_count:     4
    .sgpr_spill_count: 0
    .symbol:         _ZN7rocprim17ROCPRIM_400000_NS6detail17trampoline_kernelINS0_14default_configENS1_38merge_sort_block_merge_config_selectorIiNS0_10empty_typeEEEZZNS1_27merge_sort_block_merge_implIS3_PiPS5_jNS1_19radix_merge_compareILb1ELb0EiNS0_19identity_decomposerEEEEE10hipError_tT0_T1_T2_jT3_P12ihipStream_tbPNSt15iterator_traitsISE_E10value_typeEPNSK_ISF_E10value_typeEPSG_NS1_7vsmem_tEENKUlT_SE_SF_SG_E_clIS8_S8_S9_S9_EESD_ST_SE_SF_SG_EUlST_E_NS1_11comp_targetILNS1_3genE8ELNS1_11target_archE1030ELNS1_3gpuE2ELNS1_3repE0EEENS1_48merge_mergepath_partition_config_static_selectorELNS0_4arch9wavefront6targetE1EEEvSF_.kd
    .uniform_work_group_size: 1
    .uses_dynamic_stack: false
    .vgpr_count:     0
    .vgpr_spill_count: 0
    .wavefront_size: 64
  - .agpr_count:     0
    .args:
      - .offset:         0
        .size:           64
        .value_kind:     by_value
    .group_segment_fixed_size: 0
    .kernarg_segment_align: 8
    .kernarg_segment_size: 64
    .language:       OpenCL C
    .language_version:
      - 2
      - 0
    .max_flat_workgroup_size: 128
    .name:           _ZN7rocprim17ROCPRIM_400000_NS6detail17trampoline_kernelINS0_14default_configENS1_38merge_sort_block_merge_config_selectorIiNS0_10empty_typeEEEZZNS1_27merge_sort_block_merge_implIS3_PiPS5_jNS1_19radix_merge_compareILb1ELb0EiNS0_19identity_decomposerEEEEE10hipError_tT0_T1_T2_jT3_P12ihipStream_tbPNSt15iterator_traitsISE_E10value_typeEPNSK_ISF_E10value_typeEPSG_NS1_7vsmem_tEENKUlT_SE_SF_SG_E_clIS8_S8_S9_S9_EESD_ST_SE_SF_SG_EUlST_E0_NS1_11comp_targetILNS1_3genE0ELNS1_11target_archE4294967295ELNS1_3gpuE0ELNS1_3repE0EEENS1_38merge_mergepath_config_static_selectorELNS0_4arch9wavefront6targetE1EEEvSF_
    .private_segment_fixed_size: 0
    .sgpr_count:     4
    .sgpr_spill_count: 0
    .symbol:         _ZN7rocprim17ROCPRIM_400000_NS6detail17trampoline_kernelINS0_14default_configENS1_38merge_sort_block_merge_config_selectorIiNS0_10empty_typeEEEZZNS1_27merge_sort_block_merge_implIS3_PiPS5_jNS1_19radix_merge_compareILb1ELb0EiNS0_19identity_decomposerEEEEE10hipError_tT0_T1_T2_jT3_P12ihipStream_tbPNSt15iterator_traitsISE_E10value_typeEPNSK_ISF_E10value_typeEPSG_NS1_7vsmem_tEENKUlT_SE_SF_SG_E_clIS8_S8_S9_S9_EESD_ST_SE_SF_SG_EUlST_E0_NS1_11comp_targetILNS1_3genE0ELNS1_11target_archE4294967295ELNS1_3gpuE0ELNS1_3repE0EEENS1_38merge_mergepath_config_static_selectorELNS0_4arch9wavefront6targetE1EEEvSF_.kd
    .uniform_work_group_size: 1
    .uses_dynamic_stack: false
    .vgpr_count:     0
    .vgpr_spill_count: 0
    .wavefront_size: 64
  - .agpr_count:     0
    .args:
      - .offset:         0
        .size:           64
        .value_kind:     by_value
    .group_segment_fixed_size: 0
    .kernarg_segment_align: 8
    .kernarg_segment_size: 64
    .language:       OpenCL C
    .language_version:
      - 2
      - 0
    .max_flat_workgroup_size: 256
    .name:           _ZN7rocprim17ROCPRIM_400000_NS6detail17trampoline_kernelINS0_14default_configENS1_38merge_sort_block_merge_config_selectorIiNS0_10empty_typeEEEZZNS1_27merge_sort_block_merge_implIS3_PiPS5_jNS1_19radix_merge_compareILb1ELb0EiNS0_19identity_decomposerEEEEE10hipError_tT0_T1_T2_jT3_P12ihipStream_tbPNSt15iterator_traitsISE_E10value_typeEPNSK_ISF_E10value_typeEPSG_NS1_7vsmem_tEENKUlT_SE_SF_SG_E_clIS8_S8_S9_S9_EESD_ST_SE_SF_SG_EUlST_E0_NS1_11comp_targetILNS1_3genE10ELNS1_11target_archE1201ELNS1_3gpuE5ELNS1_3repE0EEENS1_38merge_mergepath_config_static_selectorELNS0_4arch9wavefront6targetE1EEEvSF_
    .private_segment_fixed_size: 0
    .sgpr_count:     4
    .sgpr_spill_count: 0
    .symbol:         _ZN7rocprim17ROCPRIM_400000_NS6detail17trampoline_kernelINS0_14default_configENS1_38merge_sort_block_merge_config_selectorIiNS0_10empty_typeEEEZZNS1_27merge_sort_block_merge_implIS3_PiPS5_jNS1_19radix_merge_compareILb1ELb0EiNS0_19identity_decomposerEEEEE10hipError_tT0_T1_T2_jT3_P12ihipStream_tbPNSt15iterator_traitsISE_E10value_typeEPNSK_ISF_E10value_typeEPSG_NS1_7vsmem_tEENKUlT_SE_SF_SG_E_clIS8_S8_S9_S9_EESD_ST_SE_SF_SG_EUlST_E0_NS1_11comp_targetILNS1_3genE10ELNS1_11target_archE1201ELNS1_3gpuE5ELNS1_3repE0EEENS1_38merge_mergepath_config_static_selectorELNS0_4arch9wavefront6targetE1EEEvSF_.kd
    .uniform_work_group_size: 1
    .uses_dynamic_stack: false
    .vgpr_count:     0
    .vgpr_spill_count: 0
    .wavefront_size: 64
  - .agpr_count:     0
    .args:
      - .offset:         0
        .size:           64
        .value_kind:     by_value
    .group_segment_fixed_size: 0
    .kernarg_segment_align: 8
    .kernarg_segment_size: 64
    .language:       OpenCL C
    .language_version:
      - 2
      - 0
    .max_flat_workgroup_size: 128
    .name:           _ZN7rocprim17ROCPRIM_400000_NS6detail17trampoline_kernelINS0_14default_configENS1_38merge_sort_block_merge_config_selectorIiNS0_10empty_typeEEEZZNS1_27merge_sort_block_merge_implIS3_PiPS5_jNS1_19radix_merge_compareILb1ELb0EiNS0_19identity_decomposerEEEEE10hipError_tT0_T1_T2_jT3_P12ihipStream_tbPNSt15iterator_traitsISE_E10value_typeEPNSK_ISF_E10value_typeEPSG_NS1_7vsmem_tEENKUlT_SE_SF_SG_E_clIS8_S8_S9_S9_EESD_ST_SE_SF_SG_EUlST_E0_NS1_11comp_targetILNS1_3genE5ELNS1_11target_archE942ELNS1_3gpuE9ELNS1_3repE0EEENS1_38merge_mergepath_config_static_selectorELNS0_4arch9wavefront6targetE1EEEvSF_
    .private_segment_fixed_size: 0
    .sgpr_count:     4
    .sgpr_spill_count: 0
    .symbol:         _ZN7rocprim17ROCPRIM_400000_NS6detail17trampoline_kernelINS0_14default_configENS1_38merge_sort_block_merge_config_selectorIiNS0_10empty_typeEEEZZNS1_27merge_sort_block_merge_implIS3_PiPS5_jNS1_19radix_merge_compareILb1ELb0EiNS0_19identity_decomposerEEEEE10hipError_tT0_T1_T2_jT3_P12ihipStream_tbPNSt15iterator_traitsISE_E10value_typeEPNSK_ISF_E10value_typeEPSG_NS1_7vsmem_tEENKUlT_SE_SF_SG_E_clIS8_S8_S9_S9_EESD_ST_SE_SF_SG_EUlST_E0_NS1_11comp_targetILNS1_3genE5ELNS1_11target_archE942ELNS1_3gpuE9ELNS1_3repE0EEENS1_38merge_mergepath_config_static_selectorELNS0_4arch9wavefront6targetE1EEEvSF_.kd
    .uniform_work_group_size: 1
    .uses_dynamic_stack: false
    .vgpr_count:     0
    .vgpr_spill_count: 0
    .wavefront_size: 64
  - .agpr_count:     0
    .args:
      - .offset:         0
        .size:           64
        .value_kind:     by_value
      - .offset:         64
        .size:           4
        .value_kind:     hidden_block_count_x
      - .offset:         68
        .size:           4
        .value_kind:     hidden_block_count_y
      - .offset:         72
        .size:           4
        .value_kind:     hidden_block_count_z
      - .offset:         76
        .size:           2
        .value_kind:     hidden_group_size_x
      - .offset:         78
        .size:           2
        .value_kind:     hidden_group_size_y
      - .offset:         80
        .size:           2
        .value_kind:     hidden_group_size_z
      - .offset:         82
        .size:           2
        .value_kind:     hidden_remainder_x
      - .offset:         84
        .size:           2
        .value_kind:     hidden_remainder_y
      - .offset:         86
        .size:           2
        .value_kind:     hidden_remainder_z
      - .offset:         104
        .size:           8
        .value_kind:     hidden_global_offset_x
      - .offset:         112
        .size:           8
        .value_kind:     hidden_global_offset_y
      - .offset:         120
        .size:           8
        .value_kind:     hidden_global_offset_z
      - .offset:         128
        .size:           2
        .value_kind:     hidden_grid_dims
    .group_segment_fixed_size: 4224
    .kernarg_segment_align: 8
    .kernarg_segment_size: 320
    .language:       OpenCL C
    .language_version:
      - 2
      - 0
    .max_flat_workgroup_size: 128
    .name:           _ZN7rocprim17ROCPRIM_400000_NS6detail17trampoline_kernelINS0_14default_configENS1_38merge_sort_block_merge_config_selectorIiNS0_10empty_typeEEEZZNS1_27merge_sort_block_merge_implIS3_PiPS5_jNS1_19radix_merge_compareILb1ELb0EiNS0_19identity_decomposerEEEEE10hipError_tT0_T1_T2_jT3_P12ihipStream_tbPNSt15iterator_traitsISE_E10value_typeEPNSK_ISF_E10value_typeEPSG_NS1_7vsmem_tEENKUlT_SE_SF_SG_E_clIS8_S8_S9_S9_EESD_ST_SE_SF_SG_EUlST_E0_NS1_11comp_targetILNS1_3genE4ELNS1_11target_archE910ELNS1_3gpuE8ELNS1_3repE0EEENS1_38merge_mergepath_config_static_selectorELNS0_4arch9wavefront6targetE1EEEvSF_
    .private_segment_fixed_size: 0
    .sgpr_count:     28
    .sgpr_spill_count: 0
    .symbol:         _ZN7rocprim17ROCPRIM_400000_NS6detail17trampoline_kernelINS0_14default_configENS1_38merge_sort_block_merge_config_selectorIiNS0_10empty_typeEEEZZNS1_27merge_sort_block_merge_implIS3_PiPS5_jNS1_19radix_merge_compareILb1ELb0EiNS0_19identity_decomposerEEEEE10hipError_tT0_T1_T2_jT3_P12ihipStream_tbPNSt15iterator_traitsISE_E10value_typeEPNSK_ISF_E10value_typeEPSG_NS1_7vsmem_tEENKUlT_SE_SF_SG_E_clIS8_S8_S9_S9_EESD_ST_SE_SF_SG_EUlST_E0_NS1_11comp_targetILNS1_3genE4ELNS1_11target_archE910ELNS1_3gpuE8ELNS1_3repE0EEENS1_38merge_mergepath_config_static_selectorELNS0_4arch9wavefront6targetE1EEEvSF_.kd
    .uniform_work_group_size: 1
    .uses_dynamic_stack: false
    .vgpr_count:     26
    .vgpr_spill_count: 0
    .wavefront_size: 64
  - .agpr_count:     0
    .args:
      - .offset:         0
        .size:           64
        .value_kind:     by_value
    .group_segment_fixed_size: 0
    .kernarg_segment_align: 8
    .kernarg_segment_size: 64
    .language:       OpenCL C
    .language_version:
      - 2
      - 0
    .max_flat_workgroup_size: 128
    .name:           _ZN7rocprim17ROCPRIM_400000_NS6detail17trampoline_kernelINS0_14default_configENS1_38merge_sort_block_merge_config_selectorIiNS0_10empty_typeEEEZZNS1_27merge_sort_block_merge_implIS3_PiPS5_jNS1_19radix_merge_compareILb1ELb0EiNS0_19identity_decomposerEEEEE10hipError_tT0_T1_T2_jT3_P12ihipStream_tbPNSt15iterator_traitsISE_E10value_typeEPNSK_ISF_E10value_typeEPSG_NS1_7vsmem_tEENKUlT_SE_SF_SG_E_clIS8_S8_S9_S9_EESD_ST_SE_SF_SG_EUlST_E0_NS1_11comp_targetILNS1_3genE3ELNS1_11target_archE908ELNS1_3gpuE7ELNS1_3repE0EEENS1_38merge_mergepath_config_static_selectorELNS0_4arch9wavefront6targetE1EEEvSF_
    .private_segment_fixed_size: 0
    .sgpr_count:     4
    .sgpr_spill_count: 0
    .symbol:         _ZN7rocprim17ROCPRIM_400000_NS6detail17trampoline_kernelINS0_14default_configENS1_38merge_sort_block_merge_config_selectorIiNS0_10empty_typeEEEZZNS1_27merge_sort_block_merge_implIS3_PiPS5_jNS1_19radix_merge_compareILb1ELb0EiNS0_19identity_decomposerEEEEE10hipError_tT0_T1_T2_jT3_P12ihipStream_tbPNSt15iterator_traitsISE_E10value_typeEPNSK_ISF_E10value_typeEPSG_NS1_7vsmem_tEENKUlT_SE_SF_SG_E_clIS8_S8_S9_S9_EESD_ST_SE_SF_SG_EUlST_E0_NS1_11comp_targetILNS1_3genE3ELNS1_11target_archE908ELNS1_3gpuE7ELNS1_3repE0EEENS1_38merge_mergepath_config_static_selectorELNS0_4arch9wavefront6targetE1EEEvSF_.kd
    .uniform_work_group_size: 1
    .uses_dynamic_stack: false
    .vgpr_count:     0
    .vgpr_spill_count: 0
    .wavefront_size: 64
  - .agpr_count:     0
    .args:
      - .offset:         0
        .size:           64
        .value_kind:     by_value
    .group_segment_fixed_size: 0
    .kernarg_segment_align: 8
    .kernarg_segment_size: 64
    .language:       OpenCL C
    .language_version:
      - 2
      - 0
    .max_flat_workgroup_size: 128
    .name:           _ZN7rocprim17ROCPRIM_400000_NS6detail17trampoline_kernelINS0_14default_configENS1_38merge_sort_block_merge_config_selectorIiNS0_10empty_typeEEEZZNS1_27merge_sort_block_merge_implIS3_PiPS5_jNS1_19radix_merge_compareILb1ELb0EiNS0_19identity_decomposerEEEEE10hipError_tT0_T1_T2_jT3_P12ihipStream_tbPNSt15iterator_traitsISE_E10value_typeEPNSK_ISF_E10value_typeEPSG_NS1_7vsmem_tEENKUlT_SE_SF_SG_E_clIS8_S8_S9_S9_EESD_ST_SE_SF_SG_EUlST_E0_NS1_11comp_targetILNS1_3genE2ELNS1_11target_archE906ELNS1_3gpuE6ELNS1_3repE0EEENS1_38merge_mergepath_config_static_selectorELNS0_4arch9wavefront6targetE1EEEvSF_
    .private_segment_fixed_size: 0
    .sgpr_count:     4
    .sgpr_spill_count: 0
    .symbol:         _ZN7rocprim17ROCPRIM_400000_NS6detail17trampoline_kernelINS0_14default_configENS1_38merge_sort_block_merge_config_selectorIiNS0_10empty_typeEEEZZNS1_27merge_sort_block_merge_implIS3_PiPS5_jNS1_19radix_merge_compareILb1ELb0EiNS0_19identity_decomposerEEEEE10hipError_tT0_T1_T2_jT3_P12ihipStream_tbPNSt15iterator_traitsISE_E10value_typeEPNSK_ISF_E10value_typeEPSG_NS1_7vsmem_tEENKUlT_SE_SF_SG_E_clIS8_S8_S9_S9_EESD_ST_SE_SF_SG_EUlST_E0_NS1_11comp_targetILNS1_3genE2ELNS1_11target_archE906ELNS1_3gpuE6ELNS1_3repE0EEENS1_38merge_mergepath_config_static_selectorELNS0_4arch9wavefront6targetE1EEEvSF_.kd
    .uniform_work_group_size: 1
    .uses_dynamic_stack: false
    .vgpr_count:     0
    .vgpr_spill_count: 0
    .wavefront_size: 64
  - .agpr_count:     0
    .args:
      - .offset:         0
        .size:           64
        .value_kind:     by_value
    .group_segment_fixed_size: 0
    .kernarg_segment_align: 8
    .kernarg_segment_size: 64
    .language:       OpenCL C
    .language_version:
      - 2
      - 0
    .max_flat_workgroup_size: 256
    .name:           _ZN7rocprim17ROCPRIM_400000_NS6detail17trampoline_kernelINS0_14default_configENS1_38merge_sort_block_merge_config_selectorIiNS0_10empty_typeEEEZZNS1_27merge_sort_block_merge_implIS3_PiPS5_jNS1_19radix_merge_compareILb1ELb0EiNS0_19identity_decomposerEEEEE10hipError_tT0_T1_T2_jT3_P12ihipStream_tbPNSt15iterator_traitsISE_E10value_typeEPNSK_ISF_E10value_typeEPSG_NS1_7vsmem_tEENKUlT_SE_SF_SG_E_clIS8_S8_S9_S9_EESD_ST_SE_SF_SG_EUlST_E0_NS1_11comp_targetILNS1_3genE9ELNS1_11target_archE1100ELNS1_3gpuE3ELNS1_3repE0EEENS1_38merge_mergepath_config_static_selectorELNS0_4arch9wavefront6targetE1EEEvSF_
    .private_segment_fixed_size: 0
    .sgpr_count:     4
    .sgpr_spill_count: 0
    .symbol:         _ZN7rocprim17ROCPRIM_400000_NS6detail17trampoline_kernelINS0_14default_configENS1_38merge_sort_block_merge_config_selectorIiNS0_10empty_typeEEEZZNS1_27merge_sort_block_merge_implIS3_PiPS5_jNS1_19radix_merge_compareILb1ELb0EiNS0_19identity_decomposerEEEEE10hipError_tT0_T1_T2_jT3_P12ihipStream_tbPNSt15iterator_traitsISE_E10value_typeEPNSK_ISF_E10value_typeEPSG_NS1_7vsmem_tEENKUlT_SE_SF_SG_E_clIS8_S8_S9_S9_EESD_ST_SE_SF_SG_EUlST_E0_NS1_11comp_targetILNS1_3genE9ELNS1_11target_archE1100ELNS1_3gpuE3ELNS1_3repE0EEENS1_38merge_mergepath_config_static_selectorELNS0_4arch9wavefront6targetE1EEEvSF_.kd
    .uniform_work_group_size: 1
    .uses_dynamic_stack: false
    .vgpr_count:     0
    .vgpr_spill_count: 0
    .wavefront_size: 64
  - .agpr_count:     0
    .args:
      - .offset:         0
        .size:           64
        .value_kind:     by_value
    .group_segment_fixed_size: 0
    .kernarg_segment_align: 8
    .kernarg_segment_size: 64
    .language:       OpenCL C
    .language_version:
      - 2
      - 0
    .max_flat_workgroup_size: 512
    .name:           _ZN7rocprim17ROCPRIM_400000_NS6detail17trampoline_kernelINS0_14default_configENS1_38merge_sort_block_merge_config_selectorIiNS0_10empty_typeEEEZZNS1_27merge_sort_block_merge_implIS3_PiPS5_jNS1_19radix_merge_compareILb1ELb0EiNS0_19identity_decomposerEEEEE10hipError_tT0_T1_T2_jT3_P12ihipStream_tbPNSt15iterator_traitsISE_E10value_typeEPNSK_ISF_E10value_typeEPSG_NS1_7vsmem_tEENKUlT_SE_SF_SG_E_clIS8_S8_S9_S9_EESD_ST_SE_SF_SG_EUlST_E0_NS1_11comp_targetILNS1_3genE8ELNS1_11target_archE1030ELNS1_3gpuE2ELNS1_3repE0EEENS1_38merge_mergepath_config_static_selectorELNS0_4arch9wavefront6targetE1EEEvSF_
    .private_segment_fixed_size: 0
    .sgpr_count:     4
    .sgpr_spill_count: 0
    .symbol:         _ZN7rocprim17ROCPRIM_400000_NS6detail17trampoline_kernelINS0_14default_configENS1_38merge_sort_block_merge_config_selectorIiNS0_10empty_typeEEEZZNS1_27merge_sort_block_merge_implIS3_PiPS5_jNS1_19radix_merge_compareILb1ELb0EiNS0_19identity_decomposerEEEEE10hipError_tT0_T1_T2_jT3_P12ihipStream_tbPNSt15iterator_traitsISE_E10value_typeEPNSK_ISF_E10value_typeEPSG_NS1_7vsmem_tEENKUlT_SE_SF_SG_E_clIS8_S8_S9_S9_EESD_ST_SE_SF_SG_EUlST_E0_NS1_11comp_targetILNS1_3genE8ELNS1_11target_archE1030ELNS1_3gpuE2ELNS1_3repE0EEENS1_38merge_mergepath_config_static_selectorELNS0_4arch9wavefront6targetE1EEEvSF_.kd
    .uniform_work_group_size: 1
    .uses_dynamic_stack: false
    .vgpr_count:     0
    .vgpr_spill_count: 0
    .wavefront_size: 64
  - .agpr_count:     0
    .args:
      - .offset:         0
        .size:           48
        .value_kind:     by_value
    .group_segment_fixed_size: 0
    .kernarg_segment_align: 8
    .kernarg_segment_size: 48
    .language:       OpenCL C
    .language_version:
      - 2
      - 0
    .max_flat_workgroup_size: 256
    .name:           _ZN7rocprim17ROCPRIM_400000_NS6detail17trampoline_kernelINS0_14default_configENS1_38merge_sort_block_merge_config_selectorIiNS0_10empty_typeEEEZZNS1_27merge_sort_block_merge_implIS3_PiPS5_jNS1_19radix_merge_compareILb1ELb0EiNS0_19identity_decomposerEEEEE10hipError_tT0_T1_T2_jT3_P12ihipStream_tbPNSt15iterator_traitsISE_E10value_typeEPNSK_ISF_E10value_typeEPSG_NS1_7vsmem_tEENKUlT_SE_SF_SG_E_clIS8_S8_S9_S9_EESD_ST_SE_SF_SG_EUlST_E1_NS1_11comp_targetILNS1_3genE0ELNS1_11target_archE4294967295ELNS1_3gpuE0ELNS1_3repE0EEENS1_36merge_oddeven_config_static_selectorELNS0_4arch9wavefront6targetE1EEEvSF_
    .private_segment_fixed_size: 0
    .sgpr_count:     4
    .sgpr_spill_count: 0
    .symbol:         _ZN7rocprim17ROCPRIM_400000_NS6detail17trampoline_kernelINS0_14default_configENS1_38merge_sort_block_merge_config_selectorIiNS0_10empty_typeEEEZZNS1_27merge_sort_block_merge_implIS3_PiPS5_jNS1_19radix_merge_compareILb1ELb0EiNS0_19identity_decomposerEEEEE10hipError_tT0_T1_T2_jT3_P12ihipStream_tbPNSt15iterator_traitsISE_E10value_typeEPNSK_ISF_E10value_typeEPSG_NS1_7vsmem_tEENKUlT_SE_SF_SG_E_clIS8_S8_S9_S9_EESD_ST_SE_SF_SG_EUlST_E1_NS1_11comp_targetILNS1_3genE0ELNS1_11target_archE4294967295ELNS1_3gpuE0ELNS1_3repE0EEENS1_36merge_oddeven_config_static_selectorELNS0_4arch9wavefront6targetE1EEEvSF_.kd
    .uniform_work_group_size: 1
    .uses_dynamic_stack: false
    .vgpr_count:     0
    .vgpr_spill_count: 0
    .wavefront_size: 64
  - .agpr_count:     0
    .args:
      - .offset:         0
        .size:           48
        .value_kind:     by_value
    .group_segment_fixed_size: 0
    .kernarg_segment_align: 8
    .kernarg_segment_size: 48
    .language:       OpenCL C
    .language_version:
      - 2
      - 0
    .max_flat_workgroup_size: 256
    .name:           _ZN7rocprim17ROCPRIM_400000_NS6detail17trampoline_kernelINS0_14default_configENS1_38merge_sort_block_merge_config_selectorIiNS0_10empty_typeEEEZZNS1_27merge_sort_block_merge_implIS3_PiPS5_jNS1_19radix_merge_compareILb1ELb0EiNS0_19identity_decomposerEEEEE10hipError_tT0_T1_T2_jT3_P12ihipStream_tbPNSt15iterator_traitsISE_E10value_typeEPNSK_ISF_E10value_typeEPSG_NS1_7vsmem_tEENKUlT_SE_SF_SG_E_clIS8_S8_S9_S9_EESD_ST_SE_SF_SG_EUlST_E1_NS1_11comp_targetILNS1_3genE10ELNS1_11target_archE1201ELNS1_3gpuE5ELNS1_3repE0EEENS1_36merge_oddeven_config_static_selectorELNS0_4arch9wavefront6targetE1EEEvSF_
    .private_segment_fixed_size: 0
    .sgpr_count:     4
    .sgpr_spill_count: 0
    .symbol:         _ZN7rocprim17ROCPRIM_400000_NS6detail17trampoline_kernelINS0_14default_configENS1_38merge_sort_block_merge_config_selectorIiNS0_10empty_typeEEEZZNS1_27merge_sort_block_merge_implIS3_PiPS5_jNS1_19radix_merge_compareILb1ELb0EiNS0_19identity_decomposerEEEEE10hipError_tT0_T1_T2_jT3_P12ihipStream_tbPNSt15iterator_traitsISE_E10value_typeEPNSK_ISF_E10value_typeEPSG_NS1_7vsmem_tEENKUlT_SE_SF_SG_E_clIS8_S8_S9_S9_EESD_ST_SE_SF_SG_EUlST_E1_NS1_11comp_targetILNS1_3genE10ELNS1_11target_archE1201ELNS1_3gpuE5ELNS1_3repE0EEENS1_36merge_oddeven_config_static_selectorELNS0_4arch9wavefront6targetE1EEEvSF_.kd
    .uniform_work_group_size: 1
    .uses_dynamic_stack: false
    .vgpr_count:     0
    .vgpr_spill_count: 0
    .wavefront_size: 64
  - .agpr_count:     0
    .args:
      - .offset:         0
        .size:           48
        .value_kind:     by_value
    .group_segment_fixed_size: 0
    .kernarg_segment_align: 8
    .kernarg_segment_size: 48
    .language:       OpenCL C
    .language_version:
      - 2
      - 0
    .max_flat_workgroup_size: 256
    .name:           _ZN7rocprim17ROCPRIM_400000_NS6detail17trampoline_kernelINS0_14default_configENS1_38merge_sort_block_merge_config_selectorIiNS0_10empty_typeEEEZZNS1_27merge_sort_block_merge_implIS3_PiPS5_jNS1_19radix_merge_compareILb1ELb0EiNS0_19identity_decomposerEEEEE10hipError_tT0_T1_T2_jT3_P12ihipStream_tbPNSt15iterator_traitsISE_E10value_typeEPNSK_ISF_E10value_typeEPSG_NS1_7vsmem_tEENKUlT_SE_SF_SG_E_clIS8_S8_S9_S9_EESD_ST_SE_SF_SG_EUlST_E1_NS1_11comp_targetILNS1_3genE5ELNS1_11target_archE942ELNS1_3gpuE9ELNS1_3repE0EEENS1_36merge_oddeven_config_static_selectorELNS0_4arch9wavefront6targetE1EEEvSF_
    .private_segment_fixed_size: 0
    .sgpr_count:     4
    .sgpr_spill_count: 0
    .symbol:         _ZN7rocprim17ROCPRIM_400000_NS6detail17trampoline_kernelINS0_14default_configENS1_38merge_sort_block_merge_config_selectorIiNS0_10empty_typeEEEZZNS1_27merge_sort_block_merge_implIS3_PiPS5_jNS1_19radix_merge_compareILb1ELb0EiNS0_19identity_decomposerEEEEE10hipError_tT0_T1_T2_jT3_P12ihipStream_tbPNSt15iterator_traitsISE_E10value_typeEPNSK_ISF_E10value_typeEPSG_NS1_7vsmem_tEENKUlT_SE_SF_SG_E_clIS8_S8_S9_S9_EESD_ST_SE_SF_SG_EUlST_E1_NS1_11comp_targetILNS1_3genE5ELNS1_11target_archE942ELNS1_3gpuE9ELNS1_3repE0EEENS1_36merge_oddeven_config_static_selectorELNS0_4arch9wavefront6targetE1EEEvSF_.kd
    .uniform_work_group_size: 1
    .uses_dynamic_stack: false
    .vgpr_count:     0
    .vgpr_spill_count: 0
    .wavefront_size: 64
  - .agpr_count:     0
    .args:
      - .offset:         0
        .size:           48
        .value_kind:     by_value
    .group_segment_fixed_size: 0
    .kernarg_segment_align: 8
    .kernarg_segment_size: 48
    .language:       OpenCL C
    .language_version:
      - 2
      - 0
    .max_flat_workgroup_size: 256
    .name:           _ZN7rocprim17ROCPRIM_400000_NS6detail17trampoline_kernelINS0_14default_configENS1_38merge_sort_block_merge_config_selectorIiNS0_10empty_typeEEEZZNS1_27merge_sort_block_merge_implIS3_PiPS5_jNS1_19radix_merge_compareILb1ELb0EiNS0_19identity_decomposerEEEEE10hipError_tT0_T1_T2_jT3_P12ihipStream_tbPNSt15iterator_traitsISE_E10value_typeEPNSK_ISF_E10value_typeEPSG_NS1_7vsmem_tEENKUlT_SE_SF_SG_E_clIS8_S8_S9_S9_EESD_ST_SE_SF_SG_EUlST_E1_NS1_11comp_targetILNS1_3genE4ELNS1_11target_archE910ELNS1_3gpuE8ELNS1_3repE0EEENS1_36merge_oddeven_config_static_selectorELNS0_4arch9wavefront6targetE1EEEvSF_
    .private_segment_fixed_size: 0
    .sgpr_count:     25
    .sgpr_spill_count: 0
    .symbol:         _ZN7rocprim17ROCPRIM_400000_NS6detail17trampoline_kernelINS0_14default_configENS1_38merge_sort_block_merge_config_selectorIiNS0_10empty_typeEEEZZNS1_27merge_sort_block_merge_implIS3_PiPS5_jNS1_19radix_merge_compareILb1ELb0EiNS0_19identity_decomposerEEEEE10hipError_tT0_T1_T2_jT3_P12ihipStream_tbPNSt15iterator_traitsISE_E10value_typeEPNSK_ISF_E10value_typeEPSG_NS1_7vsmem_tEENKUlT_SE_SF_SG_E_clIS8_S8_S9_S9_EESD_ST_SE_SF_SG_EUlST_E1_NS1_11comp_targetILNS1_3genE4ELNS1_11target_archE910ELNS1_3gpuE8ELNS1_3repE0EEENS1_36merge_oddeven_config_static_selectorELNS0_4arch9wavefront6targetE1EEEvSF_.kd
    .uniform_work_group_size: 1
    .uses_dynamic_stack: false
    .vgpr_count:     10
    .vgpr_spill_count: 0
    .wavefront_size: 64
  - .agpr_count:     0
    .args:
      - .offset:         0
        .size:           48
        .value_kind:     by_value
    .group_segment_fixed_size: 0
    .kernarg_segment_align: 8
    .kernarg_segment_size: 48
    .language:       OpenCL C
    .language_version:
      - 2
      - 0
    .max_flat_workgroup_size: 256
    .name:           _ZN7rocprim17ROCPRIM_400000_NS6detail17trampoline_kernelINS0_14default_configENS1_38merge_sort_block_merge_config_selectorIiNS0_10empty_typeEEEZZNS1_27merge_sort_block_merge_implIS3_PiPS5_jNS1_19radix_merge_compareILb1ELb0EiNS0_19identity_decomposerEEEEE10hipError_tT0_T1_T2_jT3_P12ihipStream_tbPNSt15iterator_traitsISE_E10value_typeEPNSK_ISF_E10value_typeEPSG_NS1_7vsmem_tEENKUlT_SE_SF_SG_E_clIS8_S8_S9_S9_EESD_ST_SE_SF_SG_EUlST_E1_NS1_11comp_targetILNS1_3genE3ELNS1_11target_archE908ELNS1_3gpuE7ELNS1_3repE0EEENS1_36merge_oddeven_config_static_selectorELNS0_4arch9wavefront6targetE1EEEvSF_
    .private_segment_fixed_size: 0
    .sgpr_count:     4
    .sgpr_spill_count: 0
    .symbol:         _ZN7rocprim17ROCPRIM_400000_NS6detail17trampoline_kernelINS0_14default_configENS1_38merge_sort_block_merge_config_selectorIiNS0_10empty_typeEEEZZNS1_27merge_sort_block_merge_implIS3_PiPS5_jNS1_19radix_merge_compareILb1ELb0EiNS0_19identity_decomposerEEEEE10hipError_tT0_T1_T2_jT3_P12ihipStream_tbPNSt15iterator_traitsISE_E10value_typeEPNSK_ISF_E10value_typeEPSG_NS1_7vsmem_tEENKUlT_SE_SF_SG_E_clIS8_S8_S9_S9_EESD_ST_SE_SF_SG_EUlST_E1_NS1_11comp_targetILNS1_3genE3ELNS1_11target_archE908ELNS1_3gpuE7ELNS1_3repE0EEENS1_36merge_oddeven_config_static_selectorELNS0_4arch9wavefront6targetE1EEEvSF_.kd
    .uniform_work_group_size: 1
    .uses_dynamic_stack: false
    .vgpr_count:     0
    .vgpr_spill_count: 0
    .wavefront_size: 64
  - .agpr_count:     0
    .args:
      - .offset:         0
        .size:           48
        .value_kind:     by_value
    .group_segment_fixed_size: 0
    .kernarg_segment_align: 8
    .kernarg_segment_size: 48
    .language:       OpenCL C
    .language_version:
      - 2
      - 0
    .max_flat_workgroup_size: 256
    .name:           _ZN7rocprim17ROCPRIM_400000_NS6detail17trampoline_kernelINS0_14default_configENS1_38merge_sort_block_merge_config_selectorIiNS0_10empty_typeEEEZZNS1_27merge_sort_block_merge_implIS3_PiPS5_jNS1_19radix_merge_compareILb1ELb0EiNS0_19identity_decomposerEEEEE10hipError_tT0_T1_T2_jT3_P12ihipStream_tbPNSt15iterator_traitsISE_E10value_typeEPNSK_ISF_E10value_typeEPSG_NS1_7vsmem_tEENKUlT_SE_SF_SG_E_clIS8_S8_S9_S9_EESD_ST_SE_SF_SG_EUlST_E1_NS1_11comp_targetILNS1_3genE2ELNS1_11target_archE906ELNS1_3gpuE6ELNS1_3repE0EEENS1_36merge_oddeven_config_static_selectorELNS0_4arch9wavefront6targetE1EEEvSF_
    .private_segment_fixed_size: 0
    .sgpr_count:     4
    .sgpr_spill_count: 0
    .symbol:         _ZN7rocprim17ROCPRIM_400000_NS6detail17trampoline_kernelINS0_14default_configENS1_38merge_sort_block_merge_config_selectorIiNS0_10empty_typeEEEZZNS1_27merge_sort_block_merge_implIS3_PiPS5_jNS1_19radix_merge_compareILb1ELb0EiNS0_19identity_decomposerEEEEE10hipError_tT0_T1_T2_jT3_P12ihipStream_tbPNSt15iterator_traitsISE_E10value_typeEPNSK_ISF_E10value_typeEPSG_NS1_7vsmem_tEENKUlT_SE_SF_SG_E_clIS8_S8_S9_S9_EESD_ST_SE_SF_SG_EUlST_E1_NS1_11comp_targetILNS1_3genE2ELNS1_11target_archE906ELNS1_3gpuE6ELNS1_3repE0EEENS1_36merge_oddeven_config_static_selectorELNS0_4arch9wavefront6targetE1EEEvSF_.kd
    .uniform_work_group_size: 1
    .uses_dynamic_stack: false
    .vgpr_count:     0
    .vgpr_spill_count: 0
    .wavefront_size: 64
  - .agpr_count:     0
    .args:
      - .offset:         0
        .size:           48
        .value_kind:     by_value
    .group_segment_fixed_size: 0
    .kernarg_segment_align: 8
    .kernarg_segment_size: 48
    .language:       OpenCL C
    .language_version:
      - 2
      - 0
    .max_flat_workgroup_size: 256
    .name:           _ZN7rocprim17ROCPRIM_400000_NS6detail17trampoline_kernelINS0_14default_configENS1_38merge_sort_block_merge_config_selectorIiNS0_10empty_typeEEEZZNS1_27merge_sort_block_merge_implIS3_PiPS5_jNS1_19radix_merge_compareILb1ELb0EiNS0_19identity_decomposerEEEEE10hipError_tT0_T1_T2_jT3_P12ihipStream_tbPNSt15iterator_traitsISE_E10value_typeEPNSK_ISF_E10value_typeEPSG_NS1_7vsmem_tEENKUlT_SE_SF_SG_E_clIS8_S8_S9_S9_EESD_ST_SE_SF_SG_EUlST_E1_NS1_11comp_targetILNS1_3genE9ELNS1_11target_archE1100ELNS1_3gpuE3ELNS1_3repE0EEENS1_36merge_oddeven_config_static_selectorELNS0_4arch9wavefront6targetE1EEEvSF_
    .private_segment_fixed_size: 0
    .sgpr_count:     4
    .sgpr_spill_count: 0
    .symbol:         _ZN7rocprim17ROCPRIM_400000_NS6detail17trampoline_kernelINS0_14default_configENS1_38merge_sort_block_merge_config_selectorIiNS0_10empty_typeEEEZZNS1_27merge_sort_block_merge_implIS3_PiPS5_jNS1_19radix_merge_compareILb1ELb0EiNS0_19identity_decomposerEEEEE10hipError_tT0_T1_T2_jT3_P12ihipStream_tbPNSt15iterator_traitsISE_E10value_typeEPNSK_ISF_E10value_typeEPSG_NS1_7vsmem_tEENKUlT_SE_SF_SG_E_clIS8_S8_S9_S9_EESD_ST_SE_SF_SG_EUlST_E1_NS1_11comp_targetILNS1_3genE9ELNS1_11target_archE1100ELNS1_3gpuE3ELNS1_3repE0EEENS1_36merge_oddeven_config_static_selectorELNS0_4arch9wavefront6targetE1EEEvSF_.kd
    .uniform_work_group_size: 1
    .uses_dynamic_stack: false
    .vgpr_count:     0
    .vgpr_spill_count: 0
    .wavefront_size: 64
  - .agpr_count:     0
    .args:
      - .offset:         0
        .size:           48
        .value_kind:     by_value
    .group_segment_fixed_size: 0
    .kernarg_segment_align: 8
    .kernarg_segment_size: 48
    .language:       OpenCL C
    .language_version:
      - 2
      - 0
    .max_flat_workgroup_size: 256
    .name:           _ZN7rocprim17ROCPRIM_400000_NS6detail17trampoline_kernelINS0_14default_configENS1_38merge_sort_block_merge_config_selectorIiNS0_10empty_typeEEEZZNS1_27merge_sort_block_merge_implIS3_PiPS5_jNS1_19radix_merge_compareILb1ELb0EiNS0_19identity_decomposerEEEEE10hipError_tT0_T1_T2_jT3_P12ihipStream_tbPNSt15iterator_traitsISE_E10value_typeEPNSK_ISF_E10value_typeEPSG_NS1_7vsmem_tEENKUlT_SE_SF_SG_E_clIS8_S8_S9_S9_EESD_ST_SE_SF_SG_EUlST_E1_NS1_11comp_targetILNS1_3genE8ELNS1_11target_archE1030ELNS1_3gpuE2ELNS1_3repE0EEENS1_36merge_oddeven_config_static_selectorELNS0_4arch9wavefront6targetE1EEEvSF_
    .private_segment_fixed_size: 0
    .sgpr_count:     4
    .sgpr_spill_count: 0
    .symbol:         _ZN7rocprim17ROCPRIM_400000_NS6detail17trampoline_kernelINS0_14default_configENS1_38merge_sort_block_merge_config_selectorIiNS0_10empty_typeEEEZZNS1_27merge_sort_block_merge_implIS3_PiPS5_jNS1_19radix_merge_compareILb1ELb0EiNS0_19identity_decomposerEEEEE10hipError_tT0_T1_T2_jT3_P12ihipStream_tbPNSt15iterator_traitsISE_E10value_typeEPNSK_ISF_E10value_typeEPSG_NS1_7vsmem_tEENKUlT_SE_SF_SG_E_clIS8_S8_S9_S9_EESD_ST_SE_SF_SG_EUlST_E1_NS1_11comp_targetILNS1_3genE8ELNS1_11target_archE1030ELNS1_3gpuE2ELNS1_3repE0EEENS1_36merge_oddeven_config_static_selectorELNS0_4arch9wavefront6targetE1EEEvSF_.kd
    .uniform_work_group_size: 1
    .uses_dynamic_stack: false
    .vgpr_count:     0
    .vgpr_spill_count: 0
    .wavefront_size: 64
  - .agpr_count:     0
    .args:
      - .offset:         0
        .size:           40
        .value_kind:     by_value
    .group_segment_fixed_size: 0
    .kernarg_segment_align: 8
    .kernarg_segment_size: 40
    .language:       OpenCL C
    .language_version:
      - 2
      - 0
    .max_flat_workgroup_size: 128
    .name:           _ZN7rocprim17ROCPRIM_400000_NS6detail17trampoline_kernelINS0_14default_configENS1_38merge_sort_block_merge_config_selectorIiNS0_10empty_typeEEEZZNS1_27merge_sort_block_merge_implIS3_PiPS5_jNS1_19radix_merge_compareILb1ELb1EiNS0_19identity_decomposerEEEEE10hipError_tT0_T1_T2_jT3_P12ihipStream_tbPNSt15iterator_traitsISE_E10value_typeEPNSK_ISF_E10value_typeEPSG_NS1_7vsmem_tEENKUlT_SE_SF_SG_E_clIS8_S8_S9_S9_EESD_ST_SE_SF_SG_EUlST_E_NS1_11comp_targetILNS1_3genE0ELNS1_11target_archE4294967295ELNS1_3gpuE0ELNS1_3repE0EEENS1_48merge_mergepath_partition_config_static_selectorELNS0_4arch9wavefront6targetE1EEEvSF_
    .private_segment_fixed_size: 0
    .sgpr_count:     4
    .sgpr_spill_count: 0
    .symbol:         _ZN7rocprim17ROCPRIM_400000_NS6detail17trampoline_kernelINS0_14default_configENS1_38merge_sort_block_merge_config_selectorIiNS0_10empty_typeEEEZZNS1_27merge_sort_block_merge_implIS3_PiPS5_jNS1_19radix_merge_compareILb1ELb1EiNS0_19identity_decomposerEEEEE10hipError_tT0_T1_T2_jT3_P12ihipStream_tbPNSt15iterator_traitsISE_E10value_typeEPNSK_ISF_E10value_typeEPSG_NS1_7vsmem_tEENKUlT_SE_SF_SG_E_clIS8_S8_S9_S9_EESD_ST_SE_SF_SG_EUlST_E_NS1_11comp_targetILNS1_3genE0ELNS1_11target_archE4294967295ELNS1_3gpuE0ELNS1_3repE0EEENS1_48merge_mergepath_partition_config_static_selectorELNS0_4arch9wavefront6targetE1EEEvSF_.kd
    .uniform_work_group_size: 1
    .uses_dynamic_stack: false
    .vgpr_count:     0
    .vgpr_spill_count: 0
    .wavefront_size: 64
  - .agpr_count:     0
    .args:
      - .offset:         0
        .size:           40
        .value_kind:     by_value
    .group_segment_fixed_size: 0
    .kernarg_segment_align: 8
    .kernarg_segment_size: 40
    .language:       OpenCL C
    .language_version:
      - 2
      - 0
    .max_flat_workgroup_size: 128
    .name:           _ZN7rocprim17ROCPRIM_400000_NS6detail17trampoline_kernelINS0_14default_configENS1_38merge_sort_block_merge_config_selectorIiNS0_10empty_typeEEEZZNS1_27merge_sort_block_merge_implIS3_PiPS5_jNS1_19radix_merge_compareILb1ELb1EiNS0_19identity_decomposerEEEEE10hipError_tT0_T1_T2_jT3_P12ihipStream_tbPNSt15iterator_traitsISE_E10value_typeEPNSK_ISF_E10value_typeEPSG_NS1_7vsmem_tEENKUlT_SE_SF_SG_E_clIS8_S8_S9_S9_EESD_ST_SE_SF_SG_EUlST_E_NS1_11comp_targetILNS1_3genE10ELNS1_11target_archE1201ELNS1_3gpuE5ELNS1_3repE0EEENS1_48merge_mergepath_partition_config_static_selectorELNS0_4arch9wavefront6targetE1EEEvSF_
    .private_segment_fixed_size: 0
    .sgpr_count:     4
    .sgpr_spill_count: 0
    .symbol:         _ZN7rocprim17ROCPRIM_400000_NS6detail17trampoline_kernelINS0_14default_configENS1_38merge_sort_block_merge_config_selectorIiNS0_10empty_typeEEEZZNS1_27merge_sort_block_merge_implIS3_PiPS5_jNS1_19radix_merge_compareILb1ELb1EiNS0_19identity_decomposerEEEEE10hipError_tT0_T1_T2_jT3_P12ihipStream_tbPNSt15iterator_traitsISE_E10value_typeEPNSK_ISF_E10value_typeEPSG_NS1_7vsmem_tEENKUlT_SE_SF_SG_E_clIS8_S8_S9_S9_EESD_ST_SE_SF_SG_EUlST_E_NS1_11comp_targetILNS1_3genE10ELNS1_11target_archE1201ELNS1_3gpuE5ELNS1_3repE0EEENS1_48merge_mergepath_partition_config_static_selectorELNS0_4arch9wavefront6targetE1EEEvSF_.kd
    .uniform_work_group_size: 1
    .uses_dynamic_stack: false
    .vgpr_count:     0
    .vgpr_spill_count: 0
    .wavefront_size: 64
  - .agpr_count:     0
    .args:
      - .offset:         0
        .size:           40
        .value_kind:     by_value
    .group_segment_fixed_size: 0
    .kernarg_segment_align: 8
    .kernarg_segment_size: 40
    .language:       OpenCL C
    .language_version:
      - 2
      - 0
    .max_flat_workgroup_size: 128
    .name:           _ZN7rocprim17ROCPRIM_400000_NS6detail17trampoline_kernelINS0_14default_configENS1_38merge_sort_block_merge_config_selectorIiNS0_10empty_typeEEEZZNS1_27merge_sort_block_merge_implIS3_PiPS5_jNS1_19radix_merge_compareILb1ELb1EiNS0_19identity_decomposerEEEEE10hipError_tT0_T1_T2_jT3_P12ihipStream_tbPNSt15iterator_traitsISE_E10value_typeEPNSK_ISF_E10value_typeEPSG_NS1_7vsmem_tEENKUlT_SE_SF_SG_E_clIS8_S8_S9_S9_EESD_ST_SE_SF_SG_EUlST_E_NS1_11comp_targetILNS1_3genE5ELNS1_11target_archE942ELNS1_3gpuE9ELNS1_3repE0EEENS1_48merge_mergepath_partition_config_static_selectorELNS0_4arch9wavefront6targetE1EEEvSF_
    .private_segment_fixed_size: 0
    .sgpr_count:     4
    .sgpr_spill_count: 0
    .symbol:         _ZN7rocprim17ROCPRIM_400000_NS6detail17trampoline_kernelINS0_14default_configENS1_38merge_sort_block_merge_config_selectorIiNS0_10empty_typeEEEZZNS1_27merge_sort_block_merge_implIS3_PiPS5_jNS1_19radix_merge_compareILb1ELb1EiNS0_19identity_decomposerEEEEE10hipError_tT0_T1_T2_jT3_P12ihipStream_tbPNSt15iterator_traitsISE_E10value_typeEPNSK_ISF_E10value_typeEPSG_NS1_7vsmem_tEENKUlT_SE_SF_SG_E_clIS8_S8_S9_S9_EESD_ST_SE_SF_SG_EUlST_E_NS1_11comp_targetILNS1_3genE5ELNS1_11target_archE942ELNS1_3gpuE9ELNS1_3repE0EEENS1_48merge_mergepath_partition_config_static_selectorELNS0_4arch9wavefront6targetE1EEEvSF_.kd
    .uniform_work_group_size: 1
    .uses_dynamic_stack: false
    .vgpr_count:     0
    .vgpr_spill_count: 0
    .wavefront_size: 64
  - .agpr_count:     0
    .args:
      - .offset:         0
        .size:           40
        .value_kind:     by_value
    .group_segment_fixed_size: 0
    .kernarg_segment_align: 8
    .kernarg_segment_size: 40
    .language:       OpenCL C
    .language_version:
      - 2
      - 0
    .max_flat_workgroup_size: 128
    .name:           _ZN7rocprim17ROCPRIM_400000_NS6detail17trampoline_kernelINS0_14default_configENS1_38merge_sort_block_merge_config_selectorIiNS0_10empty_typeEEEZZNS1_27merge_sort_block_merge_implIS3_PiPS5_jNS1_19radix_merge_compareILb1ELb1EiNS0_19identity_decomposerEEEEE10hipError_tT0_T1_T2_jT3_P12ihipStream_tbPNSt15iterator_traitsISE_E10value_typeEPNSK_ISF_E10value_typeEPSG_NS1_7vsmem_tEENKUlT_SE_SF_SG_E_clIS8_S8_S9_S9_EESD_ST_SE_SF_SG_EUlST_E_NS1_11comp_targetILNS1_3genE4ELNS1_11target_archE910ELNS1_3gpuE8ELNS1_3repE0EEENS1_48merge_mergepath_partition_config_static_selectorELNS0_4arch9wavefront6targetE1EEEvSF_
    .private_segment_fixed_size: 0
    .sgpr_count:     14
    .sgpr_spill_count: 0
    .symbol:         _ZN7rocprim17ROCPRIM_400000_NS6detail17trampoline_kernelINS0_14default_configENS1_38merge_sort_block_merge_config_selectorIiNS0_10empty_typeEEEZZNS1_27merge_sort_block_merge_implIS3_PiPS5_jNS1_19radix_merge_compareILb1ELb1EiNS0_19identity_decomposerEEEEE10hipError_tT0_T1_T2_jT3_P12ihipStream_tbPNSt15iterator_traitsISE_E10value_typeEPNSK_ISF_E10value_typeEPSG_NS1_7vsmem_tEENKUlT_SE_SF_SG_E_clIS8_S8_S9_S9_EESD_ST_SE_SF_SG_EUlST_E_NS1_11comp_targetILNS1_3genE4ELNS1_11target_archE910ELNS1_3gpuE8ELNS1_3repE0EEENS1_48merge_mergepath_partition_config_static_selectorELNS0_4arch9wavefront6targetE1EEEvSF_.kd
    .uniform_work_group_size: 1
    .uses_dynamic_stack: false
    .vgpr_count:     17
    .vgpr_spill_count: 0
    .wavefront_size: 64
  - .agpr_count:     0
    .args:
      - .offset:         0
        .size:           40
        .value_kind:     by_value
    .group_segment_fixed_size: 0
    .kernarg_segment_align: 8
    .kernarg_segment_size: 40
    .language:       OpenCL C
    .language_version:
      - 2
      - 0
    .max_flat_workgroup_size: 128
    .name:           _ZN7rocprim17ROCPRIM_400000_NS6detail17trampoline_kernelINS0_14default_configENS1_38merge_sort_block_merge_config_selectorIiNS0_10empty_typeEEEZZNS1_27merge_sort_block_merge_implIS3_PiPS5_jNS1_19radix_merge_compareILb1ELb1EiNS0_19identity_decomposerEEEEE10hipError_tT0_T1_T2_jT3_P12ihipStream_tbPNSt15iterator_traitsISE_E10value_typeEPNSK_ISF_E10value_typeEPSG_NS1_7vsmem_tEENKUlT_SE_SF_SG_E_clIS8_S8_S9_S9_EESD_ST_SE_SF_SG_EUlST_E_NS1_11comp_targetILNS1_3genE3ELNS1_11target_archE908ELNS1_3gpuE7ELNS1_3repE0EEENS1_48merge_mergepath_partition_config_static_selectorELNS0_4arch9wavefront6targetE1EEEvSF_
    .private_segment_fixed_size: 0
    .sgpr_count:     4
    .sgpr_spill_count: 0
    .symbol:         _ZN7rocprim17ROCPRIM_400000_NS6detail17trampoline_kernelINS0_14default_configENS1_38merge_sort_block_merge_config_selectorIiNS0_10empty_typeEEEZZNS1_27merge_sort_block_merge_implIS3_PiPS5_jNS1_19radix_merge_compareILb1ELb1EiNS0_19identity_decomposerEEEEE10hipError_tT0_T1_T2_jT3_P12ihipStream_tbPNSt15iterator_traitsISE_E10value_typeEPNSK_ISF_E10value_typeEPSG_NS1_7vsmem_tEENKUlT_SE_SF_SG_E_clIS8_S8_S9_S9_EESD_ST_SE_SF_SG_EUlST_E_NS1_11comp_targetILNS1_3genE3ELNS1_11target_archE908ELNS1_3gpuE7ELNS1_3repE0EEENS1_48merge_mergepath_partition_config_static_selectorELNS0_4arch9wavefront6targetE1EEEvSF_.kd
    .uniform_work_group_size: 1
    .uses_dynamic_stack: false
    .vgpr_count:     0
    .vgpr_spill_count: 0
    .wavefront_size: 64
  - .agpr_count:     0
    .args:
      - .offset:         0
        .size:           40
        .value_kind:     by_value
    .group_segment_fixed_size: 0
    .kernarg_segment_align: 8
    .kernarg_segment_size: 40
    .language:       OpenCL C
    .language_version:
      - 2
      - 0
    .max_flat_workgroup_size: 128
    .name:           _ZN7rocprim17ROCPRIM_400000_NS6detail17trampoline_kernelINS0_14default_configENS1_38merge_sort_block_merge_config_selectorIiNS0_10empty_typeEEEZZNS1_27merge_sort_block_merge_implIS3_PiPS5_jNS1_19radix_merge_compareILb1ELb1EiNS0_19identity_decomposerEEEEE10hipError_tT0_T1_T2_jT3_P12ihipStream_tbPNSt15iterator_traitsISE_E10value_typeEPNSK_ISF_E10value_typeEPSG_NS1_7vsmem_tEENKUlT_SE_SF_SG_E_clIS8_S8_S9_S9_EESD_ST_SE_SF_SG_EUlST_E_NS1_11comp_targetILNS1_3genE2ELNS1_11target_archE906ELNS1_3gpuE6ELNS1_3repE0EEENS1_48merge_mergepath_partition_config_static_selectorELNS0_4arch9wavefront6targetE1EEEvSF_
    .private_segment_fixed_size: 0
    .sgpr_count:     4
    .sgpr_spill_count: 0
    .symbol:         _ZN7rocprim17ROCPRIM_400000_NS6detail17trampoline_kernelINS0_14default_configENS1_38merge_sort_block_merge_config_selectorIiNS0_10empty_typeEEEZZNS1_27merge_sort_block_merge_implIS3_PiPS5_jNS1_19radix_merge_compareILb1ELb1EiNS0_19identity_decomposerEEEEE10hipError_tT0_T1_T2_jT3_P12ihipStream_tbPNSt15iterator_traitsISE_E10value_typeEPNSK_ISF_E10value_typeEPSG_NS1_7vsmem_tEENKUlT_SE_SF_SG_E_clIS8_S8_S9_S9_EESD_ST_SE_SF_SG_EUlST_E_NS1_11comp_targetILNS1_3genE2ELNS1_11target_archE906ELNS1_3gpuE6ELNS1_3repE0EEENS1_48merge_mergepath_partition_config_static_selectorELNS0_4arch9wavefront6targetE1EEEvSF_.kd
    .uniform_work_group_size: 1
    .uses_dynamic_stack: false
    .vgpr_count:     0
    .vgpr_spill_count: 0
    .wavefront_size: 64
  - .agpr_count:     0
    .args:
      - .offset:         0
        .size:           40
        .value_kind:     by_value
    .group_segment_fixed_size: 0
    .kernarg_segment_align: 8
    .kernarg_segment_size: 40
    .language:       OpenCL C
    .language_version:
      - 2
      - 0
    .max_flat_workgroup_size: 128
    .name:           _ZN7rocprim17ROCPRIM_400000_NS6detail17trampoline_kernelINS0_14default_configENS1_38merge_sort_block_merge_config_selectorIiNS0_10empty_typeEEEZZNS1_27merge_sort_block_merge_implIS3_PiPS5_jNS1_19radix_merge_compareILb1ELb1EiNS0_19identity_decomposerEEEEE10hipError_tT0_T1_T2_jT3_P12ihipStream_tbPNSt15iterator_traitsISE_E10value_typeEPNSK_ISF_E10value_typeEPSG_NS1_7vsmem_tEENKUlT_SE_SF_SG_E_clIS8_S8_S9_S9_EESD_ST_SE_SF_SG_EUlST_E_NS1_11comp_targetILNS1_3genE9ELNS1_11target_archE1100ELNS1_3gpuE3ELNS1_3repE0EEENS1_48merge_mergepath_partition_config_static_selectorELNS0_4arch9wavefront6targetE1EEEvSF_
    .private_segment_fixed_size: 0
    .sgpr_count:     4
    .sgpr_spill_count: 0
    .symbol:         _ZN7rocprim17ROCPRIM_400000_NS6detail17trampoline_kernelINS0_14default_configENS1_38merge_sort_block_merge_config_selectorIiNS0_10empty_typeEEEZZNS1_27merge_sort_block_merge_implIS3_PiPS5_jNS1_19radix_merge_compareILb1ELb1EiNS0_19identity_decomposerEEEEE10hipError_tT0_T1_T2_jT3_P12ihipStream_tbPNSt15iterator_traitsISE_E10value_typeEPNSK_ISF_E10value_typeEPSG_NS1_7vsmem_tEENKUlT_SE_SF_SG_E_clIS8_S8_S9_S9_EESD_ST_SE_SF_SG_EUlST_E_NS1_11comp_targetILNS1_3genE9ELNS1_11target_archE1100ELNS1_3gpuE3ELNS1_3repE0EEENS1_48merge_mergepath_partition_config_static_selectorELNS0_4arch9wavefront6targetE1EEEvSF_.kd
    .uniform_work_group_size: 1
    .uses_dynamic_stack: false
    .vgpr_count:     0
    .vgpr_spill_count: 0
    .wavefront_size: 64
  - .agpr_count:     0
    .args:
      - .offset:         0
        .size:           40
        .value_kind:     by_value
    .group_segment_fixed_size: 0
    .kernarg_segment_align: 8
    .kernarg_segment_size: 40
    .language:       OpenCL C
    .language_version:
      - 2
      - 0
    .max_flat_workgroup_size: 128
    .name:           _ZN7rocprim17ROCPRIM_400000_NS6detail17trampoline_kernelINS0_14default_configENS1_38merge_sort_block_merge_config_selectorIiNS0_10empty_typeEEEZZNS1_27merge_sort_block_merge_implIS3_PiPS5_jNS1_19radix_merge_compareILb1ELb1EiNS0_19identity_decomposerEEEEE10hipError_tT0_T1_T2_jT3_P12ihipStream_tbPNSt15iterator_traitsISE_E10value_typeEPNSK_ISF_E10value_typeEPSG_NS1_7vsmem_tEENKUlT_SE_SF_SG_E_clIS8_S8_S9_S9_EESD_ST_SE_SF_SG_EUlST_E_NS1_11comp_targetILNS1_3genE8ELNS1_11target_archE1030ELNS1_3gpuE2ELNS1_3repE0EEENS1_48merge_mergepath_partition_config_static_selectorELNS0_4arch9wavefront6targetE1EEEvSF_
    .private_segment_fixed_size: 0
    .sgpr_count:     4
    .sgpr_spill_count: 0
    .symbol:         _ZN7rocprim17ROCPRIM_400000_NS6detail17trampoline_kernelINS0_14default_configENS1_38merge_sort_block_merge_config_selectorIiNS0_10empty_typeEEEZZNS1_27merge_sort_block_merge_implIS3_PiPS5_jNS1_19radix_merge_compareILb1ELb1EiNS0_19identity_decomposerEEEEE10hipError_tT0_T1_T2_jT3_P12ihipStream_tbPNSt15iterator_traitsISE_E10value_typeEPNSK_ISF_E10value_typeEPSG_NS1_7vsmem_tEENKUlT_SE_SF_SG_E_clIS8_S8_S9_S9_EESD_ST_SE_SF_SG_EUlST_E_NS1_11comp_targetILNS1_3genE8ELNS1_11target_archE1030ELNS1_3gpuE2ELNS1_3repE0EEENS1_48merge_mergepath_partition_config_static_selectorELNS0_4arch9wavefront6targetE1EEEvSF_.kd
    .uniform_work_group_size: 1
    .uses_dynamic_stack: false
    .vgpr_count:     0
    .vgpr_spill_count: 0
    .wavefront_size: 64
  - .agpr_count:     0
    .args:
      - .offset:         0
        .size:           64
        .value_kind:     by_value
    .group_segment_fixed_size: 0
    .kernarg_segment_align: 8
    .kernarg_segment_size: 64
    .language:       OpenCL C
    .language_version:
      - 2
      - 0
    .max_flat_workgroup_size: 128
    .name:           _ZN7rocprim17ROCPRIM_400000_NS6detail17trampoline_kernelINS0_14default_configENS1_38merge_sort_block_merge_config_selectorIiNS0_10empty_typeEEEZZNS1_27merge_sort_block_merge_implIS3_PiPS5_jNS1_19radix_merge_compareILb1ELb1EiNS0_19identity_decomposerEEEEE10hipError_tT0_T1_T2_jT3_P12ihipStream_tbPNSt15iterator_traitsISE_E10value_typeEPNSK_ISF_E10value_typeEPSG_NS1_7vsmem_tEENKUlT_SE_SF_SG_E_clIS8_S8_S9_S9_EESD_ST_SE_SF_SG_EUlST_E0_NS1_11comp_targetILNS1_3genE0ELNS1_11target_archE4294967295ELNS1_3gpuE0ELNS1_3repE0EEENS1_38merge_mergepath_config_static_selectorELNS0_4arch9wavefront6targetE1EEEvSF_
    .private_segment_fixed_size: 0
    .sgpr_count:     4
    .sgpr_spill_count: 0
    .symbol:         _ZN7rocprim17ROCPRIM_400000_NS6detail17trampoline_kernelINS0_14default_configENS1_38merge_sort_block_merge_config_selectorIiNS0_10empty_typeEEEZZNS1_27merge_sort_block_merge_implIS3_PiPS5_jNS1_19radix_merge_compareILb1ELb1EiNS0_19identity_decomposerEEEEE10hipError_tT0_T1_T2_jT3_P12ihipStream_tbPNSt15iterator_traitsISE_E10value_typeEPNSK_ISF_E10value_typeEPSG_NS1_7vsmem_tEENKUlT_SE_SF_SG_E_clIS8_S8_S9_S9_EESD_ST_SE_SF_SG_EUlST_E0_NS1_11comp_targetILNS1_3genE0ELNS1_11target_archE4294967295ELNS1_3gpuE0ELNS1_3repE0EEENS1_38merge_mergepath_config_static_selectorELNS0_4arch9wavefront6targetE1EEEvSF_.kd
    .uniform_work_group_size: 1
    .uses_dynamic_stack: false
    .vgpr_count:     0
    .vgpr_spill_count: 0
    .wavefront_size: 64
  - .agpr_count:     0
    .args:
      - .offset:         0
        .size:           64
        .value_kind:     by_value
    .group_segment_fixed_size: 0
    .kernarg_segment_align: 8
    .kernarg_segment_size: 64
    .language:       OpenCL C
    .language_version:
      - 2
      - 0
    .max_flat_workgroup_size: 256
    .name:           _ZN7rocprim17ROCPRIM_400000_NS6detail17trampoline_kernelINS0_14default_configENS1_38merge_sort_block_merge_config_selectorIiNS0_10empty_typeEEEZZNS1_27merge_sort_block_merge_implIS3_PiPS5_jNS1_19radix_merge_compareILb1ELb1EiNS0_19identity_decomposerEEEEE10hipError_tT0_T1_T2_jT3_P12ihipStream_tbPNSt15iterator_traitsISE_E10value_typeEPNSK_ISF_E10value_typeEPSG_NS1_7vsmem_tEENKUlT_SE_SF_SG_E_clIS8_S8_S9_S9_EESD_ST_SE_SF_SG_EUlST_E0_NS1_11comp_targetILNS1_3genE10ELNS1_11target_archE1201ELNS1_3gpuE5ELNS1_3repE0EEENS1_38merge_mergepath_config_static_selectorELNS0_4arch9wavefront6targetE1EEEvSF_
    .private_segment_fixed_size: 0
    .sgpr_count:     4
    .sgpr_spill_count: 0
    .symbol:         _ZN7rocprim17ROCPRIM_400000_NS6detail17trampoline_kernelINS0_14default_configENS1_38merge_sort_block_merge_config_selectorIiNS0_10empty_typeEEEZZNS1_27merge_sort_block_merge_implIS3_PiPS5_jNS1_19radix_merge_compareILb1ELb1EiNS0_19identity_decomposerEEEEE10hipError_tT0_T1_T2_jT3_P12ihipStream_tbPNSt15iterator_traitsISE_E10value_typeEPNSK_ISF_E10value_typeEPSG_NS1_7vsmem_tEENKUlT_SE_SF_SG_E_clIS8_S8_S9_S9_EESD_ST_SE_SF_SG_EUlST_E0_NS1_11comp_targetILNS1_3genE10ELNS1_11target_archE1201ELNS1_3gpuE5ELNS1_3repE0EEENS1_38merge_mergepath_config_static_selectorELNS0_4arch9wavefront6targetE1EEEvSF_.kd
    .uniform_work_group_size: 1
    .uses_dynamic_stack: false
    .vgpr_count:     0
    .vgpr_spill_count: 0
    .wavefront_size: 64
  - .agpr_count:     0
    .args:
      - .offset:         0
        .size:           64
        .value_kind:     by_value
    .group_segment_fixed_size: 0
    .kernarg_segment_align: 8
    .kernarg_segment_size: 64
    .language:       OpenCL C
    .language_version:
      - 2
      - 0
    .max_flat_workgroup_size: 128
    .name:           _ZN7rocprim17ROCPRIM_400000_NS6detail17trampoline_kernelINS0_14default_configENS1_38merge_sort_block_merge_config_selectorIiNS0_10empty_typeEEEZZNS1_27merge_sort_block_merge_implIS3_PiPS5_jNS1_19radix_merge_compareILb1ELb1EiNS0_19identity_decomposerEEEEE10hipError_tT0_T1_T2_jT3_P12ihipStream_tbPNSt15iterator_traitsISE_E10value_typeEPNSK_ISF_E10value_typeEPSG_NS1_7vsmem_tEENKUlT_SE_SF_SG_E_clIS8_S8_S9_S9_EESD_ST_SE_SF_SG_EUlST_E0_NS1_11comp_targetILNS1_3genE5ELNS1_11target_archE942ELNS1_3gpuE9ELNS1_3repE0EEENS1_38merge_mergepath_config_static_selectorELNS0_4arch9wavefront6targetE1EEEvSF_
    .private_segment_fixed_size: 0
    .sgpr_count:     4
    .sgpr_spill_count: 0
    .symbol:         _ZN7rocprim17ROCPRIM_400000_NS6detail17trampoline_kernelINS0_14default_configENS1_38merge_sort_block_merge_config_selectorIiNS0_10empty_typeEEEZZNS1_27merge_sort_block_merge_implIS3_PiPS5_jNS1_19radix_merge_compareILb1ELb1EiNS0_19identity_decomposerEEEEE10hipError_tT0_T1_T2_jT3_P12ihipStream_tbPNSt15iterator_traitsISE_E10value_typeEPNSK_ISF_E10value_typeEPSG_NS1_7vsmem_tEENKUlT_SE_SF_SG_E_clIS8_S8_S9_S9_EESD_ST_SE_SF_SG_EUlST_E0_NS1_11comp_targetILNS1_3genE5ELNS1_11target_archE942ELNS1_3gpuE9ELNS1_3repE0EEENS1_38merge_mergepath_config_static_selectorELNS0_4arch9wavefront6targetE1EEEvSF_.kd
    .uniform_work_group_size: 1
    .uses_dynamic_stack: false
    .vgpr_count:     0
    .vgpr_spill_count: 0
    .wavefront_size: 64
  - .agpr_count:     0
    .args:
      - .offset:         0
        .size:           64
        .value_kind:     by_value
      - .offset:         64
        .size:           4
        .value_kind:     hidden_block_count_x
      - .offset:         68
        .size:           4
        .value_kind:     hidden_block_count_y
      - .offset:         72
        .size:           4
        .value_kind:     hidden_block_count_z
      - .offset:         76
        .size:           2
        .value_kind:     hidden_group_size_x
      - .offset:         78
        .size:           2
        .value_kind:     hidden_group_size_y
      - .offset:         80
        .size:           2
        .value_kind:     hidden_group_size_z
      - .offset:         82
        .size:           2
        .value_kind:     hidden_remainder_x
      - .offset:         84
        .size:           2
        .value_kind:     hidden_remainder_y
      - .offset:         86
        .size:           2
        .value_kind:     hidden_remainder_z
      - .offset:         104
        .size:           8
        .value_kind:     hidden_global_offset_x
      - .offset:         112
        .size:           8
        .value_kind:     hidden_global_offset_y
      - .offset:         120
        .size:           8
        .value_kind:     hidden_global_offset_z
      - .offset:         128
        .size:           2
        .value_kind:     hidden_grid_dims
    .group_segment_fixed_size: 4224
    .kernarg_segment_align: 8
    .kernarg_segment_size: 320
    .language:       OpenCL C
    .language_version:
      - 2
      - 0
    .max_flat_workgroup_size: 128
    .name:           _ZN7rocprim17ROCPRIM_400000_NS6detail17trampoline_kernelINS0_14default_configENS1_38merge_sort_block_merge_config_selectorIiNS0_10empty_typeEEEZZNS1_27merge_sort_block_merge_implIS3_PiPS5_jNS1_19radix_merge_compareILb1ELb1EiNS0_19identity_decomposerEEEEE10hipError_tT0_T1_T2_jT3_P12ihipStream_tbPNSt15iterator_traitsISE_E10value_typeEPNSK_ISF_E10value_typeEPSG_NS1_7vsmem_tEENKUlT_SE_SF_SG_E_clIS8_S8_S9_S9_EESD_ST_SE_SF_SG_EUlST_E0_NS1_11comp_targetILNS1_3genE4ELNS1_11target_archE910ELNS1_3gpuE8ELNS1_3repE0EEENS1_38merge_mergepath_config_static_selectorELNS0_4arch9wavefront6targetE1EEEvSF_
    .private_segment_fixed_size: 0
    .sgpr_count:     29
    .sgpr_spill_count: 0
    .symbol:         _ZN7rocprim17ROCPRIM_400000_NS6detail17trampoline_kernelINS0_14default_configENS1_38merge_sort_block_merge_config_selectorIiNS0_10empty_typeEEEZZNS1_27merge_sort_block_merge_implIS3_PiPS5_jNS1_19radix_merge_compareILb1ELb1EiNS0_19identity_decomposerEEEEE10hipError_tT0_T1_T2_jT3_P12ihipStream_tbPNSt15iterator_traitsISE_E10value_typeEPNSK_ISF_E10value_typeEPSG_NS1_7vsmem_tEENKUlT_SE_SF_SG_E_clIS8_S8_S9_S9_EESD_ST_SE_SF_SG_EUlST_E0_NS1_11comp_targetILNS1_3genE4ELNS1_11target_archE910ELNS1_3gpuE8ELNS1_3repE0EEENS1_38merge_mergepath_config_static_selectorELNS0_4arch9wavefront6targetE1EEEvSF_.kd
    .uniform_work_group_size: 1
    .uses_dynamic_stack: false
    .vgpr_count:     26
    .vgpr_spill_count: 0
    .wavefront_size: 64
  - .agpr_count:     0
    .args:
      - .offset:         0
        .size:           64
        .value_kind:     by_value
    .group_segment_fixed_size: 0
    .kernarg_segment_align: 8
    .kernarg_segment_size: 64
    .language:       OpenCL C
    .language_version:
      - 2
      - 0
    .max_flat_workgroup_size: 128
    .name:           _ZN7rocprim17ROCPRIM_400000_NS6detail17trampoline_kernelINS0_14default_configENS1_38merge_sort_block_merge_config_selectorIiNS0_10empty_typeEEEZZNS1_27merge_sort_block_merge_implIS3_PiPS5_jNS1_19radix_merge_compareILb1ELb1EiNS0_19identity_decomposerEEEEE10hipError_tT0_T1_T2_jT3_P12ihipStream_tbPNSt15iterator_traitsISE_E10value_typeEPNSK_ISF_E10value_typeEPSG_NS1_7vsmem_tEENKUlT_SE_SF_SG_E_clIS8_S8_S9_S9_EESD_ST_SE_SF_SG_EUlST_E0_NS1_11comp_targetILNS1_3genE3ELNS1_11target_archE908ELNS1_3gpuE7ELNS1_3repE0EEENS1_38merge_mergepath_config_static_selectorELNS0_4arch9wavefront6targetE1EEEvSF_
    .private_segment_fixed_size: 0
    .sgpr_count:     4
    .sgpr_spill_count: 0
    .symbol:         _ZN7rocprim17ROCPRIM_400000_NS6detail17trampoline_kernelINS0_14default_configENS1_38merge_sort_block_merge_config_selectorIiNS0_10empty_typeEEEZZNS1_27merge_sort_block_merge_implIS3_PiPS5_jNS1_19radix_merge_compareILb1ELb1EiNS0_19identity_decomposerEEEEE10hipError_tT0_T1_T2_jT3_P12ihipStream_tbPNSt15iterator_traitsISE_E10value_typeEPNSK_ISF_E10value_typeEPSG_NS1_7vsmem_tEENKUlT_SE_SF_SG_E_clIS8_S8_S9_S9_EESD_ST_SE_SF_SG_EUlST_E0_NS1_11comp_targetILNS1_3genE3ELNS1_11target_archE908ELNS1_3gpuE7ELNS1_3repE0EEENS1_38merge_mergepath_config_static_selectorELNS0_4arch9wavefront6targetE1EEEvSF_.kd
    .uniform_work_group_size: 1
    .uses_dynamic_stack: false
    .vgpr_count:     0
    .vgpr_spill_count: 0
    .wavefront_size: 64
  - .agpr_count:     0
    .args:
      - .offset:         0
        .size:           64
        .value_kind:     by_value
    .group_segment_fixed_size: 0
    .kernarg_segment_align: 8
    .kernarg_segment_size: 64
    .language:       OpenCL C
    .language_version:
      - 2
      - 0
    .max_flat_workgroup_size: 128
    .name:           _ZN7rocprim17ROCPRIM_400000_NS6detail17trampoline_kernelINS0_14default_configENS1_38merge_sort_block_merge_config_selectorIiNS0_10empty_typeEEEZZNS1_27merge_sort_block_merge_implIS3_PiPS5_jNS1_19radix_merge_compareILb1ELb1EiNS0_19identity_decomposerEEEEE10hipError_tT0_T1_T2_jT3_P12ihipStream_tbPNSt15iterator_traitsISE_E10value_typeEPNSK_ISF_E10value_typeEPSG_NS1_7vsmem_tEENKUlT_SE_SF_SG_E_clIS8_S8_S9_S9_EESD_ST_SE_SF_SG_EUlST_E0_NS1_11comp_targetILNS1_3genE2ELNS1_11target_archE906ELNS1_3gpuE6ELNS1_3repE0EEENS1_38merge_mergepath_config_static_selectorELNS0_4arch9wavefront6targetE1EEEvSF_
    .private_segment_fixed_size: 0
    .sgpr_count:     4
    .sgpr_spill_count: 0
    .symbol:         _ZN7rocprim17ROCPRIM_400000_NS6detail17trampoline_kernelINS0_14default_configENS1_38merge_sort_block_merge_config_selectorIiNS0_10empty_typeEEEZZNS1_27merge_sort_block_merge_implIS3_PiPS5_jNS1_19radix_merge_compareILb1ELb1EiNS0_19identity_decomposerEEEEE10hipError_tT0_T1_T2_jT3_P12ihipStream_tbPNSt15iterator_traitsISE_E10value_typeEPNSK_ISF_E10value_typeEPSG_NS1_7vsmem_tEENKUlT_SE_SF_SG_E_clIS8_S8_S9_S9_EESD_ST_SE_SF_SG_EUlST_E0_NS1_11comp_targetILNS1_3genE2ELNS1_11target_archE906ELNS1_3gpuE6ELNS1_3repE0EEENS1_38merge_mergepath_config_static_selectorELNS0_4arch9wavefront6targetE1EEEvSF_.kd
    .uniform_work_group_size: 1
    .uses_dynamic_stack: false
    .vgpr_count:     0
    .vgpr_spill_count: 0
    .wavefront_size: 64
  - .agpr_count:     0
    .args:
      - .offset:         0
        .size:           64
        .value_kind:     by_value
    .group_segment_fixed_size: 0
    .kernarg_segment_align: 8
    .kernarg_segment_size: 64
    .language:       OpenCL C
    .language_version:
      - 2
      - 0
    .max_flat_workgroup_size: 256
    .name:           _ZN7rocprim17ROCPRIM_400000_NS6detail17trampoline_kernelINS0_14default_configENS1_38merge_sort_block_merge_config_selectorIiNS0_10empty_typeEEEZZNS1_27merge_sort_block_merge_implIS3_PiPS5_jNS1_19radix_merge_compareILb1ELb1EiNS0_19identity_decomposerEEEEE10hipError_tT0_T1_T2_jT3_P12ihipStream_tbPNSt15iterator_traitsISE_E10value_typeEPNSK_ISF_E10value_typeEPSG_NS1_7vsmem_tEENKUlT_SE_SF_SG_E_clIS8_S8_S9_S9_EESD_ST_SE_SF_SG_EUlST_E0_NS1_11comp_targetILNS1_3genE9ELNS1_11target_archE1100ELNS1_3gpuE3ELNS1_3repE0EEENS1_38merge_mergepath_config_static_selectorELNS0_4arch9wavefront6targetE1EEEvSF_
    .private_segment_fixed_size: 0
    .sgpr_count:     4
    .sgpr_spill_count: 0
    .symbol:         _ZN7rocprim17ROCPRIM_400000_NS6detail17trampoline_kernelINS0_14default_configENS1_38merge_sort_block_merge_config_selectorIiNS0_10empty_typeEEEZZNS1_27merge_sort_block_merge_implIS3_PiPS5_jNS1_19radix_merge_compareILb1ELb1EiNS0_19identity_decomposerEEEEE10hipError_tT0_T1_T2_jT3_P12ihipStream_tbPNSt15iterator_traitsISE_E10value_typeEPNSK_ISF_E10value_typeEPSG_NS1_7vsmem_tEENKUlT_SE_SF_SG_E_clIS8_S8_S9_S9_EESD_ST_SE_SF_SG_EUlST_E0_NS1_11comp_targetILNS1_3genE9ELNS1_11target_archE1100ELNS1_3gpuE3ELNS1_3repE0EEENS1_38merge_mergepath_config_static_selectorELNS0_4arch9wavefront6targetE1EEEvSF_.kd
    .uniform_work_group_size: 1
    .uses_dynamic_stack: false
    .vgpr_count:     0
    .vgpr_spill_count: 0
    .wavefront_size: 64
  - .agpr_count:     0
    .args:
      - .offset:         0
        .size:           64
        .value_kind:     by_value
    .group_segment_fixed_size: 0
    .kernarg_segment_align: 8
    .kernarg_segment_size: 64
    .language:       OpenCL C
    .language_version:
      - 2
      - 0
    .max_flat_workgroup_size: 512
    .name:           _ZN7rocprim17ROCPRIM_400000_NS6detail17trampoline_kernelINS0_14default_configENS1_38merge_sort_block_merge_config_selectorIiNS0_10empty_typeEEEZZNS1_27merge_sort_block_merge_implIS3_PiPS5_jNS1_19radix_merge_compareILb1ELb1EiNS0_19identity_decomposerEEEEE10hipError_tT0_T1_T2_jT3_P12ihipStream_tbPNSt15iterator_traitsISE_E10value_typeEPNSK_ISF_E10value_typeEPSG_NS1_7vsmem_tEENKUlT_SE_SF_SG_E_clIS8_S8_S9_S9_EESD_ST_SE_SF_SG_EUlST_E0_NS1_11comp_targetILNS1_3genE8ELNS1_11target_archE1030ELNS1_3gpuE2ELNS1_3repE0EEENS1_38merge_mergepath_config_static_selectorELNS0_4arch9wavefront6targetE1EEEvSF_
    .private_segment_fixed_size: 0
    .sgpr_count:     4
    .sgpr_spill_count: 0
    .symbol:         _ZN7rocprim17ROCPRIM_400000_NS6detail17trampoline_kernelINS0_14default_configENS1_38merge_sort_block_merge_config_selectorIiNS0_10empty_typeEEEZZNS1_27merge_sort_block_merge_implIS3_PiPS5_jNS1_19radix_merge_compareILb1ELb1EiNS0_19identity_decomposerEEEEE10hipError_tT0_T1_T2_jT3_P12ihipStream_tbPNSt15iterator_traitsISE_E10value_typeEPNSK_ISF_E10value_typeEPSG_NS1_7vsmem_tEENKUlT_SE_SF_SG_E_clIS8_S8_S9_S9_EESD_ST_SE_SF_SG_EUlST_E0_NS1_11comp_targetILNS1_3genE8ELNS1_11target_archE1030ELNS1_3gpuE2ELNS1_3repE0EEENS1_38merge_mergepath_config_static_selectorELNS0_4arch9wavefront6targetE1EEEvSF_.kd
    .uniform_work_group_size: 1
    .uses_dynamic_stack: false
    .vgpr_count:     0
    .vgpr_spill_count: 0
    .wavefront_size: 64
  - .agpr_count:     0
    .args:
      - .offset:         0
        .size:           48
        .value_kind:     by_value
    .group_segment_fixed_size: 0
    .kernarg_segment_align: 8
    .kernarg_segment_size: 48
    .language:       OpenCL C
    .language_version:
      - 2
      - 0
    .max_flat_workgroup_size: 256
    .name:           _ZN7rocprim17ROCPRIM_400000_NS6detail17trampoline_kernelINS0_14default_configENS1_38merge_sort_block_merge_config_selectorIiNS0_10empty_typeEEEZZNS1_27merge_sort_block_merge_implIS3_PiPS5_jNS1_19radix_merge_compareILb1ELb1EiNS0_19identity_decomposerEEEEE10hipError_tT0_T1_T2_jT3_P12ihipStream_tbPNSt15iterator_traitsISE_E10value_typeEPNSK_ISF_E10value_typeEPSG_NS1_7vsmem_tEENKUlT_SE_SF_SG_E_clIS8_S8_S9_S9_EESD_ST_SE_SF_SG_EUlST_E1_NS1_11comp_targetILNS1_3genE0ELNS1_11target_archE4294967295ELNS1_3gpuE0ELNS1_3repE0EEENS1_36merge_oddeven_config_static_selectorELNS0_4arch9wavefront6targetE1EEEvSF_
    .private_segment_fixed_size: 0
    .sgpr_count:     4
    .sgpr_spill_count: 0
    .symbol:         _ZN7rocprim17ROCPRIM_400000_NS6detail17trampoline_kernelINS0_14default_configENS1_38merge_sort_block_merge_config_selectorIiNS0_10empty_typeEEEZZNS1_27merge_sort_block_merge_implIS3_PiPS5_jNS1_19radix_merge_compareILb1ELb1EiNS0_19identity_decomposerEEEEE10hipError_tT0_T1_T2_jT3_P12ihipStream_tbPNSt15iterator_traitsISE_E10value_typeEPNSK_ISF_E10value_typeEPSG_NS1_7vsmem_tEENKUlT_SE_SF_SG_E_clIS8_S8_S9_S9_EESD_ST_SE_SF_SG_EUlST_E1_NS1_11comp_targetILNS1_3genE0ELNS1_11target_archE4294967295ELNS1_3gpuE0ELNS1_3repE0EEENS1_36merge_oddeven_config_static_selectorELNS0_4arch9wavefront6targetE1EEEvSF_.kd
    .uniform_work_group_size: 1
    .uses_dynamic_stack: false
    .vgpr_count:     0
    .vgpr_spill_count: 0
    .wavefront_size: 64
  - .agpr_count:     0
    .args:
      - .offset:         0
        .size:           48
        .value_kind:     by_value
    .group_segment_fixed_size: 0
    .kernarg_segment_align: 8
    .kernarg_segment_size: 48
    .language:       OpenCL C
    .language_version:
      - 2
      - 0
    .max_flat_workgroup_size: 256
    .name:           _ZN7rocprim17ROCPRIM_400000_NS6detail17trampoline_kernelINS0_14default_configENS1_38merge_sort_block_merge_config_selectorIiNS0_10empty_typeEEEZZNS1_27merge_sort_block_merge_implIS3_PiPS5_jNS1_19radix_merge_compareILb1ELb1EiNS0_19identity_decomposerEEEEE10hipError_tT0_T1_T2_jT3_P12ihipStream_tbPNSt15iterator_traitsISE_E10value_typeEPNSK_ISF_E10value_typeEPSG_NS1_7vsmem_tEENKUlT_SE_SF_SG_E_clIS8_S8_S9_S9_EESD_ST_SE_SF_SG_EUlST_E1_NS1_11comp_targetILNS1_3genE10ELNS1_11target_archE1201ELNS1_3gpuE5ELNS1_3repE0EEENS1_36merge_oddeven_config_static_selectorELNS0_4arch9wavefront6targetE1EEEvSF_
    .private_segment_fixed_size: 0
    .sgpr_count:     4
    .sgpr_spill_count: 0
    .symbol:         _ZN7rocprim17ROCPRIM_400000_NS6detail17trampoline_kernelINS0_14default_configENS1_38merge_sort_block_merge_config_selectorIiNS0_10empty_typeEEEZZNS1_27merge_sort_block_merge_implIS3_PiPS5_jNS1_19radix_merge_compareILb1ELb1EiNS0_19identity_decomposerEEEEE10hipError_tT0_T1_T2_jT3_P12ihipStream_tbPNSt15iterator_traitsISE_E10value_typeEPNSK_ISF_E10value_typeEPSG_NS1_7vsmem_tEENKUlT_SE_SF_SG_E_clIS8_S8_S9_S9_EESD_ST_SE_SF_SG_EUlST_E1_NS1_11comp_targetILNS1_3genE10ELNS1_11target_archE1201ELNS1_3gpuE5ELNS1_3repE0EEENS1_36merge_oddeven_config_static_selectorELNS0_4arch9wavefront6targetE1EEEvSF_.kd
    .uniform_work_group_size: 1
    .uses_dynamic_stack: false
    .vgpr_count:     0
    .vgpr_spill_count: 0
    .wavefront_size: 64
  - .agpr_count:     0
    .args:
      - .offset:         0
        .size:           48
        .value_kind:     by_value
    .group_segment_fixed_size: 0
    .kernarg_segment_align: 8
    .kernarg_segment_size: 48
    .language:       OpenCL C
    .language_version:
      - 2
      - 0
    .max_flat_workgroup_size: 256
    .name:           _ZN7rocprim17ROCPRIM_400000_NS6detail17trampoline_kernelINS0_14default_configENS1_38merge_sort_block_merge_config_selectorIiNS0_10empty_typeEEEZZNS1_27merge_sort_block_merge_implIS3_PiPS5_jNS1_19radix_merge_compareILb1ELb1EiNS0_19identity_decomposerEEEEE10hipError_tT0_T1_T2_jT3_P12ihipStream_tbPNSt15iterator_traitsISE_E10value_typeEPNSK_ISF_E10value_typeEPSG_NS1_7vsmem_tEENKUlT_SE_SF_SG_E_clIS8_S8_S9_S9_EESD_ST_SE_SF_SG_EUlST_E1_NS1_11comp_targetILNS1_3genE5ELNS1_11target_archE942ELNS1_3gpuE9ELNS1_3repE0EEENS1_36merge_oddeven_config_static_selectorELNS0_4arch9wavefront6targetE1EEEvSF_
    .private_segment_fixed_size: 0
    .sgpr_count:     4
    .sgpr_spill_count: 0
    .symbol:         _ZN7rocprim17ROCPRIM_400000_NS6detail17trampoline_kernelINS0_14default_configENS1_38merge_sort_block_merge_config_selectorIiNS0_10empty_typeEEEZZNS1_27merge_sort_block_merge_implIS3_PiPS5_jNS1_19radix_merge_compareILb1ELb1EiNS0_19identity_decomposerEEEEE10hipError_tT0_T1_T2_jT3_P12ihipStream_tbPNSt15iterator_traitsISE_E10value_typeEPNSK_ISF_E10value_typeEPSG_NS1_7vsmem_tEENKUlT_SE_SF_SG_E_clIS8_S8_S9_S9_EESD_ST_SE_SF_SG_EUlST_E1_NS1_11comp_targetILNS1_3genE5ELNS1_11target_archE942ELNS1_3gpuE9ELNS1_3repE0EEENS1_36merge_oddeven_config_static_selectorELNS0_4arch9wavefront6targetE1EEEvSF_.kd
    .uniform_work_group_size: 1
    .uses_dynamic_stack: false
    .vgpr_count:     0
    .vgpr_spill_count: 0
    .wavefront_size: 64
  - .agpr_count:     0
    .args:
      - .offset:         0
        .size:           48
        .value_kind:     by_value
    .group_segment_fixed_size: 0
    .kernarg_segment_align: 8
    .kernarg_segment_size: 48
    .language:       OpenCL C
    .language_version:
      - 2
      - 0
    .max_flat_workgroup_size: 256
    .name:           _ZN7rocprim17ROCPRIM_400000_NS6detail17trampoline_kernelINS0_14default_configENS1_38merge_sort_block_merge_config_selectorIiNS0_10empty_typeEEEZZNS1_27merge_sort_block_merge_implIS3_PiPS5_jNS1_19radix_merge_compareILb1ELb1EiNS0_19identity_decomposerEEEEE10hipError_tT0_T1_T2_jT3_P12ihipStream_tbPNSt15iterator_traitsISE_E10value_typeEPNSK_ISF_E10value_typeEPSG_NS1_7vsmem_tEENKUlT_SE_SF_SG_E_clIS8_S8_S9_S9_EESD_ST_SE_SF_SG_EUlST_E1_NS1_11comp_targetILNS1_3genE4ELNS1_11target_archE910ELNS1_3gpuE8ELNS1_3repE0EEENS1_36merge_oddeven_config_static_selectorELNS0_4arch9wavefront6targetE1EEEvSF_
    .private_segment_fixed_size: 0
    .sgpr_count:     25
    .sgpr_spill_count: 0
    .symbol:         _ZN7rocprim17ROCPRIM_400000_NS6detail17trampoline_kernelINS0_14default_configENS1_38merge_sort_block_merge_config_selectorIiNS0_10empty_typeEEEZZNS1_27merge_sort_block_merge_implIS3_PiPS5_jNS1_19radix_merge_compareILb1ELb1EiNS0_19identity_decomposerEEEEE10hipError_tT0_T1_T2_jT3_P12ihipStream_tbPNSt15iterator_traitsISE_E10value_typeEPNSK_ISF_E10value_typeEPSG_NS1_7vsmem_tEENKUlT_SE_SF_SG_E_clIS8_S8_S9_S9_EESD_ST_SE_SF_SG_EUlST_E1_NS1_11comp_targetILNS1_3genE4ELNS1_11target_archE910ELNS1_3gpuE8ELNS1_3repE0EEENS1_36merge_oddeven_config_static_selectorELNS0_4arch9wavefront6targetE1EEEvSF_.kd
    .uniform_work_group_size: 1
    .uses_dynamic_stack: false
    .vgpr_count:     11
    .vgpr_spill_count: 0
    .wavefront_size: 64
  - .agpr_count:     0
    .args:
      - .offset:         0
        .size:           48
        .value_kind:     by_value
    .group_segment_fixed_size: 0
    .kernarg_segment_align: 8
    .kernarg_segment_size: 48
    .language:       OpenCL C
    .language_version:
      - 2
      - 0
    .max_flat_workgroup_size: 256
    .name:           _ZN7rocprim17ROCPRIM_400000_NS6detail17trampoline_kernelINS0_14default_configENS1_38merge_sort_block_merge_config_selectorIiNS0_10empty_typeEEEZZNS1_27merge_sort_block_merge_implIS3_PiPS5_jNS1_19radix_merge_compareILb1ELb1EiNS0_19identity_decomposerEEEEE10hipError_tT0_T1_T2_jT3_P12ihipStream_tbPNSt15iterator_traitsISE_E10value_typeEPNSK_ISF_E10value_typeEPSG_NS1_7vsmem_tEENKUlT_SE_SF_SG_E_clIS8_S8_S9_S9_EESD_ST_SE_SF_SG_EUlST_E1_NS1_11comp_targetILNS1_3genE3ELNS1_11target_archE908ELNS1_3gpuE7ELNS1_3repE0EEENS1_36merge_oddeven_config_static_selectorELNS0_4arch9wavefront6targetE1EEEvSF_
    .private_segment_fixed_size: 0
    .sgpr_count:     4
    .sgpr_spill_count: 0
    .symbol:         _ZN7rocprim17ROCPRIM_400000_NS6detail17trampoline_kernelINS0_14default_configENS1_38merge_sort_block_merge_config_selectorIiNS0_10empty_typeEEEZZNS1_27merge_sort_block_merge_implIS3_PiPS5_jNS1_19radix_merge_compareILb1ELb1EiNS0_19identity_decomposerEEEEE10hipError_tT0_T1_T2_jT3_P12ihipStream_tbPNSt15iterator_traitsISE_E10value_typeEPNSK_ISF_E10value_typeEPSG_NS1_7vsmem_tEENKUlT_SE_SF_SG_E_clIS8_S8_S9_S9_EESD_ST_SE_SF_SG_EUlST_E1_NS1_11comp_targetILNS1_3genE3ELNS1_11target_archE908ELNS1_3gpuE7ELNS1_3repE0EEENS1_36merge_oddeven_config_static_selectorELNS0_4arch9wavefront6targetE1EEEvSF_.kd
    .uniform_work_group_size: 1
    .uses_dynamic_stack: false
    .vgpr_count:     0
    .vgpr_spill_count: 0
    .wavefront_size: 64
  - .agpr_count:     0
    .args:
      - .offset:         0
        .size:           48
        .value_kind:     by_value
    .group_segment_fixed_size: 0
    .kernarg_segment_align: 8
    .kernarg_segment_size: 48
    .language:       OpenCL C
    .language_version:
      - 2
      - 0
    .max_flat_workgroup_size: 256
    .name:           _ZN7rocprim17ROCPRIM_400000_NS6detail17trampoline_kernelINS0_14default_configENS1_38merge_sort_block_merge_config_selectorIiNS0_10empty_typeEEEZZNS1_27merge_sort_block_merge_implIS3_PiPS5_jNS1_19radix_merge_compareILb1ELb1EiNS0_19identity_decomposerEEEEE10hipError_tT0_T1_T2_jT3_P12ihipStream_tbPNSt15iterator_traitsISE_E10value_typeEPNSK_ISF_E10value_typeEPSG_NS1_7vsmem_tEENKUlT_SE_SF_SG_E_clIS8_S8_S9_S9_EESD_ST_SE_SF_SG_EUlST_E1_NS1_11comp_targetILNS1_3genE2ELNS1_11target_archE906ELNS1_3gpuE6ELNS1_3repE0EEENS1_36merge_oddeven_config_static_selectorELNS0_4arch9wavefront6targetE1EEEvSF_
    .private_segment_fixed_size: 0
    .sgpr_count:     4
    .sgpr_spill_count: 0
    .symbol:         _ZN7rocprim17ROCPRIM_400000_NS6detail17trampoline_kernelINS0_14default_configENS1_38merge_sort_block_merge_config_selectorIiNS0_10empty_typeEEEZZNS1_27merge_sort_block_merge_implIS3_PiPS5_jNS1_19radix_merge_compareILb1ELb1EiNS0_19identity_decomposerEEEEE10hipError_tT0_T1_T2_jT3_P12ihipStream_tbPNSt15iterator_traitsISE_E10value_typeEPNSK_ISF_E10value_typeEPSG_NS1_7vsmem_tEENKUlT_SE_SF_SG_E_clIS8_S8_S9_S9_EESD_ST_SE_SF_SG_EUlST_E1_NS1_11comp_targetILNS1_3genE2ELNS1_11target_archE906ELNS1_3gpuE6ELNS1_3repE0EEENS1_36merge_oddeven_config_static_selectorELNS0_4arch9wavefront6targetE1EEEvSF_.kd
    .uniform_work_group_size: 1
    .uses_dynamic_stack: false
    .vgpr_count:     0
    .vgpr_spill_count: 0
    .wavefront_size: 64
  - .agpr_count:     0
    .args:
      - .offset:         0
        .size:           48
        .value_kind:     by_value
    .group_segment_fixed_size: 0
    .kernarg_segment_align: 8
    .kernarg_segment_size: 48
    .language:       OpenCL C
    .language_version:
      - 2
      - 0
    .max_flat_workgroup_size: 256
    .name:           _ZN7rocprim17ROCPRIM_400000_NS6detail17trampoline_kernelINS0_14default_configENS1_38merge_sort_block_merge_config_selectorIiNS0_10empty_typeEEEZZNS1_27merge_sort_block_merge_implIS3_PiPS5_jNS1_19radix_merge_compareILb1ELb1EiNS0_19identity_decomposerEEEEE10hipError_tT0_T1_T2_jT3_P12ihipStream_tbPNSt15iterator_traitsISE_E10value_typeEPNSK_ISF_E10value_typeEPSG_NS1_7vsmem_tEENKUlT_SE_SF_SG_E_clIS8_S8_S9_S9_EESD_ST_SE_SF_SG_EUlST_E1_NS1_11comp_targetILNS1_3genE9ELNS1_11target_archE1100ELNS1_3gpuE3ELNS1_3repE0EEENS1_36merge_oddeven_config_static_selectorELNS0_4arch9wavefront6targetE1EEEvSF_
    .private_segment_fixed_size: 0
    .sgpr_count:     4
    .sgpr_spill_count: 0
    .symbol:         _ZN7rocprim17ROCPRIM_400000_NS6detail17trampoline_kernelINS0_14default_configENS1_38merge_sort_block_merge_config_selectorIiNS0_10empty_typeEEEZZNS1_27merge_sort_block_merge_implIS3_PiPS5_jNS1_19radix_merge_compareILb1ELb1EiNS0_19identity_decomposerEEEEE10hipError_tT0_T1_T2_jT3_P12ihipStream_tbPNSt15iterator_traitsISE_E10value_typeEPNSK_ISF_E10value_typeEPSG_NS1_7vsmem_tEENKUlT_SE_SF_SG_E_clIS8_S8_S9_S9_EESD_ST_SE_SF_SG_EUlST_E1_NS1_11comp_targetILNS1_3genE9ELNS1_11target_archE1100ELNS1_3gpuE3ELNS1_3repE0EEENS1_36merge_oddeven_config_static_selectorELNS0_4arch9wavefront6targetE1EEEvSF_.kd
    .uniform_work_group_size: 1
    .uses_dynamic_stack: false
    .vgpr_count:     0
    .vgpr_spill_count: 0
    .wavefront_size: 64
  - .agpr_count:     0
    .args:
      - .offset:         0
        .size:           48
        .value_kind:     by_value
    .group_segment_fixed_size: 0
    .kernarg_segment_align: 8
    .kernarg_segment_size: 48
    .language:       OpenCL C
    .language_version:
      - 2
      - 0
    .max_flat_workgroup_size: 256
    .name:           _ZN7rocprim17ROCPRIM_400000_NS6detail17trampoline_kernelINS0_14default_configENS1_38merge_sort_block_merge_config_selectorIiNS0_10empty_typeEEEZZNS1_27merge_sort_block_merge_implIS3_PiPS5_jNS1_19radix_merge_compareILb1ELb1EiNS0_19identity_decomposerEEEEE10hipError_tT0_T1_T2_jT3_P12ihipStream_tbPNSt15iterator_traitsISE_E10value_typeEPNSK_ISF_E10value_typeEPSG_NS1_7vsmem_tEENKUlT_SE_SF_SG_E_clIS8_S8_S9_S9_EESD_ST_SE_SF_SG_EUlST_E1_NS1_11comp_targetILNS1_3genE8ELNS1_11target_archE1030ELNS1_3gpuE2ELNS1_3repE0EEENS1_36merge_oddeven_config_static_selectorELNS0_4arch9wavefront6targetE1EEEvSF_
    .private_segment_fixed_size: 0
    .sgpr_count:     4
    .sgpr_spill_count: 0
    .symbol:         _ZN7rocprim17ROCPRIM_400000_NS6detail17trampoline_kernelINS0_14default_configENS1_38merge_sort_block_merge_config_selectorIiNS0_10empty_typeEEEZZNS1_27merge_sort_block_merge_implIS3_PiPS5_jNS1_19radix_merge_compareILb1ELb1EiNS0_19identity_decomposerEEEEE10hipError_tT0_T1_T2_jT3_P12ihipStream_tbPNSt15iterator_traitsISE_E10value_typeEPNSK_ISF_E10value_typeEPSG_NS1_7vsmem_tEENKUlT_SE_SF_SG_E_clIS8_S8_S9_S9_EESD_ST_SE_SF_SG_EUlST_E1_NS1_11comp_targetILNS1_3genE8ELNS1_11target_archE1030ELNS1_3gpuE2ELNS1_3repE0EEENS1_36merge_oddeven_config_static_selectorELNS0_4arch9wavefront6targetE1EEEvSF_.kd
    .uniform_work_group_size: 1
    .uses_dynamic_stack: false
    .vgpr_count:     0
    .vgpr_spill_count: 0
    .wavefront_size: 64
  - .agpr_count:     0
    .args:
      - .offset:         0
        .size:           48
        .value_kind:     by_value
    .group_segment_fixed_size: 0
    .kernarg_segment_align: 8
    .kernarg_segment_size: 48
    .language:       OpenCL C
    .language_version:
      - 2
      - 0
    .max_flat_workgroup_size: 512
    .name:           _ZN7rocprim17ROCPRIM_400000_NS6detail17trampoline_kernelINS0_14default_configENS1_35radix_sort_onesweep_config_selectorIiNS0_10empty_typeEEEZNS1_34radix_sort_onesweep_global_offsetsIS3_Lb1EPiPS5_mNS0_19identity_decomposerEEE10hipError_tT1_T2_PT3_SE_jT4_jjP12ihipStream_tbEUlT_E_NS1_11comp_targetILNS1_3genE0ELNS1_11target_archE4294967295ELNS1_3gpuE0ELNS1_3repE0EEENS1_52radix_sort_onesweep_histogram_config_static_selectorELNS0_4arch9wavefront6targetE1EEEvSC_
    .private_segment_fixed_size: 0
    .sgpr_count:     4
    .sgpr_spill_count: 0
    .symbol:         _ZN7rocprim17ROCPRIM_400000_NS6detail17trampoline_kernelINS0_14default_configENS1_35radix_sort_onesweep_config_selectorIiNS0_10empty_typeEEEZNS1_34radix_sort_onesweep_global_offsetsIS3_Lb1EPiPS5_mNS0_19identity_decomposerEEE10hipError_tT1_T2_PT3_SE_jT4_jjP12ihipStream_tbEUlT_E_NS1_11comp_targetILNS1_3genE0ELNS1_11target_archE4294967295ELNS1_3gpuE0ELNS1_3repE0EEENS1_52radix_sort_onesweep_histogram_config_static_selectorELNS0_4arch9wavefront6targetE1EEEvSC_.kd
    .uniform_work_group_size: 1
    .uses_dynamic_stack: false
    .vgpr_count:     0
    .vgpr_spill_count: 0
    .wavefront_size: 64
  - .agpr_count:     0
    .args:
      - .offset:         0
        .size:           48
        .value_kind:     by_value
    .group_segment_fixed_size: 0
    .kernarg_segment_align: 8
    .kernarg_segment_size: 48
    .language:       OpenCL C
    .language_version:
      - 2
      - 0
    .max_flat_workgroup_size: 1024
    .name:           _ZN7rocprim17ROCPRIM_400000_NS6detail17trampoline_kernelINS0_14default_configENS1_35radix_sort_onesweep_config_selectorIiNS0_10empty_typeEEEZNS1_34radix_sort_onesweep_global_offsetsIS3_Lb1EPiPS5_mNS0_19identity_decomposerEEE10hipError_tT1_T2_PT3_SE_jT4_jjP12ihipStream_tbEUlT_E_NS1_11comp_targetILNS1_3genE6ELNS1_11target_archE950ELNS1_3gpuE13ELNS1_3repE0EEENS1_52radix_sort_onesweep_histogram_config_static_selectorELNS0_4arch9wavefront6targetE1EEEvSC_
    .private_segment_fixed_size: 0
    .sgpr_count:     4
    .sgpr_spill_count: 0
    .symbol:         _ZN7rocprim17ROCPRIM_400000_NS6detail17trampoline_kernelINS0_14default_configENS1_35radix_sort_onesweep_config_selectorIiNS0_10empty_typeEEEZNS1_34radix_sort_onesweep_global_offsetsIS3_Lb1EPiPS5_mNS0_19identity_decomposerEEE10hipError_tT1_T2_PT3_SE_jT4_jjP12ihipStream_tbEUlT_E_NS1_11comp_targetILNS1_3genE6ELNS1_11target_archE950ELNS1_3gpuE13ELNS1_3repE0EEENS1_52radix_sort_onesweep_histogram_config_static_selectorELNS0_4arch9wavefront6targetE1EEEvSC_.kd
    .uniform_work_group_size: 1
    .uses_dynamic_stack: false
    .vgpr_count:     0
    .vgpr_spill_count: 0
    .wavefront_size: 64
  - .agpr_count:     0
    .args:
      - .offset:         0
        .size:           48
        .value_kind:     by_value
    .group_segment_fixed_size: 0
    .kernarg_segment_align: 8
    .kernarg_segment_size: 48
    .language:       OpenCL C
    .language_version:
      - 2
      - 0
    .max_flat_workgroup_size: 1024
    .name:           _ZN7rocprim17ROCPRIM_400000_NS6detail17trampoline_kernelINS0_14default_configENS1_35radix_sort_onesweep_config_selectorIiNS0_10empty_typeEEEZNS1_34radix_sort_onesweep_global_offsetsIS3_Lb1EPiPS5_mNS0_19identity_decomposerEEE10hipError_tT1_T2_PT3_SE_jT4_jjP12ihipStream_tbEUlT_E_NS1_11comp_targetILNS1_3genE5ELNS1_11target_archE942ELNS1_3gpuE9ELNS1_3repE0EEENS1_52radix_sort_onesweep_histogram_config_static_selectorELNS0_4arch9wavefront6targetE1EEEvSC_
    .private_segment_fixed_size: 0
    .sgpr_count:     4
    .sgpr_spill_count: 0
    .symbol:         _ZN7rocprim17ROCPRIM_400000_NS6detail17trampoline_kernelINS0_14default_configENS1_35radix_sort_onesweep_config_selectorIiNS0_10empty_typeEEEZNS1_34radix_sort_onesweep_global_offsetsIS3_Lb1EPiPS5_mNS0_19identity_decomposerEEE10hipError_tT1_T2_PT3_SE_jT4_jjP12ihipStream_tbEUlT_E_NS1_11comp_targetILNS1_3genE5ELNS1_11target_archE942ELNS1_3gpuE9ELNS1_3repE0EEENS1_52radix_sort_onesweep_histogram_config_static_selectorELNS0_4arch9wavefront6targetE1EEEvSC_.kd
    .uniform_work_group_size: 1
    .uses_dynamic_stack: false
    .vgpr_count:     0
    .vgpr_spill_count: 0
    .wavefront_size: 64
  - .agpr_count:     0
    .args:
      - .offset:         0
        .size:           48
        .value_kind:     by_value
    .group_segment_fixed_size: 0
    .kernarg_segment_align: 8
    .kernarg_segment_size: 48
    .language:       OpenCL C
    .language_version:
      - 2
      - 0
    .max_flat_workgroup_size: 1024
    .name:           _ZN7rocprim17ROCPRIM_400000_NS6detail17trampoline_kernelINS0_14default_configENS1_35radix_sort_onesweep_config_selectorIiNS0_10empty_typeEEEZNS1_34radix_sort_onesweep_global_offsetsIS3_Lb1EPiPS5_mNS0_19identity_decomposerEEE10hipError_tT1_T2_PT3_SE_jT4_jjP12ihipStream_tbEUlT_E_NS1_11comp_targetILNS1_3genE2ELNS1_11target_archE906ELNS1_3gpuE6ELNS1_3repE0EEENS1_52radix_sort_onesweep_histogram_config_static_selectorELNS0_4arch9wavefront6targetE1EEEvSC_
    .private_segment_fixed_size: 0
    .sgpr_count:     4
    .sgpr_spill_count: 0
    .symbol:         _ZN7rocprim17ROCPRIM_400000_NS6detail17trampoline_kernelINS0_14default_configENS1_35radix_sort_onesweep_config_selectorIiNS0_10empty_typeEEEZNS1_34radix_sort_onesweep_global_offsetsIS3_Lb1EPiPS5_mNS0_19identity_decomposerEEE10hipError_tT1_T2_PT3_SE_jT4_jjP12ihipStream_tbEUlT_E_NS1_11comp_targetILNS1_3genE2ELNS1_11target_archE906ELNS1_3gpuE6ELNS1_3repE0EEENS1_52radix_sort_onesweep_histogram_config_static_selectorELNS0_4arch9wavefront6targetE1EEEvSC_.kd
    .uniform_work_group_size: 1
    .uses_dynamic_stack: false
    .vgpr_count:     0
    .vgpr_spill_count: 0
    .wavefront_size: 64
  - .agpr_count:     0
    .args:
      - .offset:         0
        .size:           48
        .value_kind:     by_value
    .group_segment_fixed_size: 16384
    .kernarg_segment_align: 8
    .kernarg_segment_size: 48
    .language:       OpenCL C
    .language_version:
      - 2
      - 0
    .max_flat_workgroup_size: 1024
    .name:           _ZN7rocprim17ROCPRIM_400000_NS6detail17trampoline_kernelINS0_14default_configENS1_35radix_sort_onesweep_config_selectorIiNS0_10empty_typeEEEZNS1_34radix_sort_onesweep_global_offsetsIS3_Lb1EPiPS5_mNS0_19identity_decomposerEEE10hipError_tT1_T2_PT3_SE_jT4_jjP12ihipStream_tbEUlT_E_NS1_11comp_targetILNS1_3genE4ELNS1_11target_archE910ELNS1_3gpuE8ELNS1_3repE0EEENS1_52radix_sort_onesweep_histogram_config_static_selectorELNS0_4arch9wavefront6targetE1EEEvSC_
    .private_segment_fixed_size: 0
    .sgpr_count:     22
    .sgpr_spill_count: 0
    .symbol:         _ZN7rocprim17ROCPRIM_400000_NS6detail17trampoline_kernelINS0_14default_configENS1_35radix_sort_onesweep_config_selectorIiNS0_10empty_typeEEEZNS1_34radix_sort_onesweep_global_offsetsIS3_Lb1EPiPS5_mNS0_19identity_decomposerEEE10hipError_tT1_T2_PT3_SE_jT4_jjP12ihipStream_tbEUlT_E_NS1_11comp_targetILNS1_3genE4ELNS1_11target_archE910ELNS1_3gpuE8ELNS1_3repE0EEENS1_52radix_sort_onesweep_histogram_config_static_selectorELNS0_4arch9wavefront6targetE1EEEvSC_.kd
    .uniform_work_group_size: 1
    .uses_dynamic_stack: false
    .vgpr_count:     27
    .vgpr_spill_count: 0
    .wavefront_size: 64
  - .agpr_count:     0
    .args:
      - .offset:         0
        .size:           48
        .value_kind:     by_value
    .group_segment_fixed_size: 0
    .kernarg_segment_align: 8
    .kernarg_segment_size: 48
    .language:       OpenCL C
    .language_version:
      - 2
      - 0
    .max_flat_workgroup_size: 512
    .name:           _ZN7rocprim17ROCPRIM_400000_NS6detail17trampoline_kernelINS0_14default_configENS1_35radix_sort_onesweep_config_selectorIiNS0_10empty_typeEEEZNS1_34radix_sort_onesweep_global_offsetsIS3_Lb1EPiPS5_mNS0_19identity_decomposerEEE10hipError_tT1_T2_PT3_SE_jT4_jjP12ihipStream_tbEUlT_E_NS1_11comp_targetILNS1_3genE3ELNS1_11target_archE908ELNS1_3gpuE7ELNS1_3repE0EEENS1_52radix_sort_onesweep_histogram_config_static_selectorELNS0_4arch9wavefront6targetE1EEEvSC_
    .private_segment_fixed_size: 0
    .sgpr_count:     4
    .sgpr_spill_count: 0
    .symbol:         _ZN7rocprim17ROCPRIM_400000_NS6detail17trampoline_kernelINS0_14default_configENS1_35radix_sort_onesweep_config_selectorIiNS0_10empty_typeEEEZNS1_34radix_sort_onesweep_global_offsetsIS3_Lb1EPiPS5_mNS0_19identity_decomposerEEE10hipError_tT1_T2_PT3_SE_jT4_jjP12ihipStream_tbEUlT_E_NS1_11comp_targetILNS1_3genE3ELNS1_11target_archE908ELNS1_3gpuE7ELNS1_3repE0EEENS1_52radix_sort_onesweep_histogram_config_static_selectorELNS0_4arch9wavefront6targetE1EEEvSC_.kd
    .uniform_work_group_size: 1
    .uses_dynamic_stack: false
    .vgpr_count:     0
    .vgpr_spill_count: 0
    .wavefront_size: 64
  - .agpr_count:     0
    .args:
      - .offset:         0
        .size:           48
        .value_kind:     by_value
    .group_segment_fixed_size: 0
    .kernarg_segment_align: 8
    .kernarg_segment_size: 48
    .language:       OpenCL C
    .language_version:
      - 2
      - 0
    .max_flat_workgroup_size: 1024
    .name:           _ZN7rocprim17ROCPRIM_400000_NS6detail17trampoline_kernelINS0_14default_configENS1_35radix_sort_onesweep_config_selectorIiNS0_10empty_typeEEEZNS1_34radix_sort_onesweep_global_offsetsIS3_Lb1EPiPS5_mNS0_19identity_decomposerEEE10hipError_tT1_T2_PT3_SE_jT4_jjP12ihipStream_tbEUlT_E_NS1_11comp_targetILNS1_3genE10ELNS1_11target_archE1201ELNS1_3gpuE5ELNS1_3repE0EEENS1_52radix_sort_onesweep_histogram_config_static_selectorELNS0_4arch9wavefront6targetE1EEEvSC_
    .private_segment_fixed_size: 0
    .sgpr_count:     4
    .sgpr_spill_count: 0
    .symbol:         _ZN7rocprim17ROCPRIM_400000_NS6detail17trampoline_kernelINS0_14default_configENS1_35radix_sort_onesweep_config_selectorIiNS0_10empty_typeEEEZNS1_34radix_sort_onesweep_global_offsetsIS3_Lb1EPiPS5_mNS0_19identity_decomposerEEE10hipError_tT1_T2_PT3_SE_jT4_jjP12ihipStream_tbEUlT_E_NS1_11comp_targetILNS1_3genE10ELNS1_11target_archE1201ELNS1_3gpuE5ELNS1_3repE0EEENS1_52radix_sort_onesweep_histogram_config_static_selectorELNS0_4arch9wavefront6targetE1EEEvSC_.kd
    .uniform_work_group_size: 1
    .uses_dynamic_stack: false
    .vgpr_count:     0
    .vgpr_spill_count: 0
    .wavefront_size: 64
  - .agpr_count:     0
    .args:
      - .offset:         0
        .size:           48
        .value_kind:     by_value
    .group_segment_fixed_size: 0
    .kernarg_segment_align: 8
    .kernarg_segment_size: 48
    .language:       OpenCL C
    .language_version:
      - 2
      - 0
    .max_flat_workgroup_size: 1024
    .name:           _ZN7rocprim17ROCPRIM_400000_NS6detail17trampoline_kernelINS0_14default_configENS1_35radix_sort_onesweep_config_selectorIiNS0_10empty_typeEEEZNS1_34radix_sort_onesweep_global_offsetsIS3_Lb1EPiPS5_mNS0_19identity_decomposerEEE10hipError_tT1_T2_PT3_SE_jT4_jjP12ihipStream_tbEUlT_E_NS1_11comp_targetILNS1_3genE9ELNS1_11target_archE1100ELNS1_3gpuE3ELNS1_3repE0EEENS1_52radix_sort_onesweep_histogram_config_static_selectorELNS0_4arch9wavefront6targetE1EEEvSC_
    .private_segment_fixed_size: 0
    .sgpr_count:     4
    .sgpr_spill_count: 0
    .symbol:         _ZN7rocprim17ROCPRIM_400000_NS6detail17trampoline_kernelINS0_14default_configENS1_35radix_sort_onesweep_config_selectorIiNS0_10empty_typeEEEZNS1_34radix_sort_onesweep_global_offsetsIS3_Lb1EPiPS5_mNS0_19identity_decomposerEEE10hipError_tT1_T2_PT3_SE_jT4_jjP12ihipStream_tbEUlT_E_NS1_11comp_targetILNS1_3genE9ELNS1_11target_archE1100ELNS1_3gpuE3ELNS1_3repE0EEENS1_52radix_sort_onesweep_histogram_config_static_selectorELNS0_4arch9wavefront6targetE1EEEvSC_.kd
    .uniform_work_group_size: 1
    .uses_dynamic_stack: false
    .vgpr_count:     0
    .vgpr_spill_count: 0
    .wavefront_size: 64
  - .agpr_count:     0
    .args:
      - .offset:         0
        .size:           48
        .value_kind:     by_value
    .group_segment_fixed_size: 0
    .kernarg_segment_align: 8
    .kernarg_segment_size: 48
    .language:       OpenCL C
    .language_version:
      - 2
      - 0
    .max_flat_workgroup_size: 1024
    .name:           _ZN7rocprim17ROCPRIM_400000_NS6detail17trampoline_kernelINS0_14default_configENS1_35radix_sort_onesweep_config_selectorIiNS0_10empty_typeEEEZNS1_34radix_sort_onesweep_global_offsetsIS3_Lb1EPiPS5_mNS0_19identity_decomposerEEE10hipError_tT1_T2_PT3_SE_jT4_jjP12ihipStream_tbEUlT_E_NS1_11comp_targetILNS1_3genE8ELNS1_11target_archE1030ELNS1_3gpuE2ELNS1_3repE0EEENS1_52radix_sort_onesweep_histogram_config_static_selectorELNS0_4arch9wavefront6targetE1EEEvSC_
    .private_segment_fixed_size: 0
    .sgpr_count:     4
    .sgpr_spill_count: 0
    .symbol:         _ZN7rocprim17ROCPRIM_400000_NS6detail17trampoline_kernelINS0_14default_configENS1_35radix_sort_onesweep_config_selectorIiNS0_10empty_typeEEEZNS1_34radix_sort_onesweep_global_offsetsIS3_Lb1EPiPS5_mNS0_19identity_decomposerEEE10hipError_tT1_T2_PT3_SE_jT4_jjP12ihipStream_tbEUlT_E_NS1_11comp_targetILNS1_3genE8ELNS1_11target_archE1030ELNS1_3gpuE2ELNS1_3repE0EEENS1_52radix_sort_onesweep_histogram_config_static_selectorELNS0_4arch9wavefront6targetE1EEEvSC_.kd
    .uniform_work_group_size: 1
    .uses_dynamic_stack: false
    .vgpr_count:     0
    .vgpr_spill_count: 0
    .wavefront_size: 64
  - .agpr_count:     0
    .args:
      - .address_space:  global
        .offset:         0
        .size:           8
        .value_kind:     global_buffer
    .group_segment_fixed_size: 0
    .kernarg_segment_align: 8
    .kernarg_segment_size: 8
    .language:       OpenCL C
    .language_version:
      - 2
      - 0
    .max_flat_workgroup_size: 512
    .name:           _ZN7rocprim17ROCPRIM_400000_NS6detail17trampoline_kernelINS0_14default_configENS1_35radix_sort_onesweep_config_selectorIiNS0_10empty_typeEEEZNS1_34radix_sort_onesweep_global_offsetsIS3_Lb1EPiPS5_mNS0_19identity_decomposerEEE10hipError_tT1_T2_PT3_SE_jT4_jjP12ihipStream_tbEUlT_E0_NS1_11comp_targetILNS1_3genE0ELNS1_11target_archE4294967295ELNS1_3gpuE0ELNS1_3repE0EEENS1_52radix_sort_onesweep_histogram_config_static_selectorELNS0_4arch9wavefront6targetE1EEEvSC_
    .private_segment_fixed_size: 0
    .sgpr_count:     4
    .sgpr_spill_count: 0
    .symbol:         _ZN7rocprim17ROCPRIM_400000_NS6detail17trampoline_kernelINS0_14default_configENS1_35radix_sort_onesweep_config_selectorIiNS0_10empty_typeEEEZNS1_34radix_sort_onesweep_global_offsetsIS3_Lb1EPiPS5_mNS0_19identity_decomposerEEE10hipError_tT1_T2_PT3_SE_jT4_jjP12ihipStream_tbEUlT_E0_NS1_11comp_targetILNS1_3genE0ELNS1_11target_archE4294967295ELNS1_3gpuE0ELNS1_3repE0EEENS1_52radix_sort_onesweep_histogram_config_static_selectorELNS0_4arch9wavefront6targetE1EEEvSC_.kd
    .uniform_work_group_size: 1
    .uses_dynamic_stack: false
    .vgpr_count:     0
    .vgpr_spill_count: 0
    .wavefront_size: 64
  - .agpr_count:     0
    .args:
      - .address_space:  global
        .offset:         0
        .size:           8
        .value_kind:     global_buffer
    .group_segment_fixed_size: 0
    .kernarg_segment_align: 8
    .kernarg_segment_size: 8
    .language:       OpenCL C
    .language_version:
      - 2
      - 0
    .max_flat_workgroup_size: 1024
    .name:           _ZN7rocprim17ROCPRIM_400000_NS6detail17trampoline_kernelINS0_14default_configENS1_35radix_sort_onesweep_config_selectorIiNS0_10empty_typeEEEZNS1_34radix_sort_onesweep_global_offsetsIS3_Lb1EPiPS5_mNS0_19identity_decomposerEEE10hipError_tT1_T2_PT3_SE_jT4_jjP12ihipStream_tbEUlT_E0_NS1_11comp_targetILNS1_3genE6ELNS1_11target_archE950ELNS1_3gpuE13ELNS1_3repE0EEENS1_52radix_sort_onesweep_histogram_config_static_selectorELNS0_4arch9wavefront6targetE1EEEvSC_
    .private_segment_fixed_size: 0
    .sgpr_count:     4
    .sgpr_spill_count: 0
    .symbol:         _ZN7rocprim17ROCPRIM_400000_NS6detail17trampoline_kernelINS0_14default_configENS1_35radix_sort_onesweep_config_selectorIiNS0_10empty_typeEEEZNS1_34radix_sort_onesweep_global_offsetsIS3_Lb1EPiPS5_mNS0_19identity_decomposerEEE10hipError_tT1_T2_PT3_SE_jT4_jjP12ihipStream_tbEUlT_E0_NS1_11comp_targetILNS1_3genE6ELNS1_11target_archE950ELNS1_3gpuE13ELNS1_3repE0EEENS1_52radix_sort_onesweep_histogram_config_static_selectorELNS0_4arch9wavefront6targetE1EEEvSC_.kd
    .uniform_work_group_size: 1
    .uses_dynamic_stack: false
    .vgpr_count:     0
    .vgpr_spill_count: 0
    .wavefront_size: 64
  - .agpr_count:     0
    .args:
      - .address_space:  global
        .offset:         0
        .size:           8
        .value_kind:     global_buffer
    .group_segment_fixed_size: 0
    .kernarg_segment_align: 8
    .kernarg_segment_size: 8
    .language:       OpenCL C
    .language_version:
      - 2
      - 0
    .max_flat_workgroup_size: 1024
    .name:           _ZN7rocprim17ROCPRIM_400000_NS6detail17trampoline_kernelINS0_14default_configENS1_35radix_sort_onesweep_config_selectorIiNS0_10empty_typeEEEZNS1_34radix_sort_onesweep_global_offsetsIS3_Lb1EPiPS5_mNS0_19identity_decomposerEEE10hipError_tT1_T2_PT3_SE_jT4_jjP12ihipStream_tbEUlT_E0_NS1_11comp_targetILNS1_3genE5ELNS1_11target_archE942ELNS1_3gpuE9ELNS1_3repE0EEENS1_52radix_sort_onesweep_histogram_config_static_selectorELNS0_4arch9wavefront6targetE1EEEvSC_
    .private_segment_fixed_size: 0
    .sgpr_count:     4
    .sgpr_spill_count: 0
    .symbol:         _ZN7rocprim17ROCPRIM_400000_NS6detail17trampoline_kernelINS0_14default_configENS1_35radix_sort_onesweep_config_selectorIiNS0_10empty_typeEEEZNS1_34radix_sort_onesweep_global_offsetsIS3_Lb1EPiPS5_mNS0_19identity_decomposerEEE10hipError_tT1_T2_PT3_SE_jT4_jjP12ihipStream_tbEUlT_E0_NS1_11comp_targetILNS1_3genE5ELNS1_11target_archE942ELNS1_3gpuE9ELNS1_3repE0EEENS1_52radix_sort_onesweep_histogram_config_static_selectorELNS0_4arch9wavefront6targetE1EEEvSC_.kd
    .uniform_work_group_size: 1
    .uses_dynamic_stack: false
    .vgpr_count:     0
    .vgpr_spill_count: 0
    .wavefront_size: 64
  - .agpr_count:     0
    .args:
      - .address_space:  global
        .offset:         0
        .size:           8
        .value_kind:     global_buffer
    .group_segment_fixed_size: 0
    .kernarg_segment_align: 8
    .kernarg_segment_size: 8
    .language:       OpenCL C
    .language_version:
      - 2
      - 0
    .max_flat_workgroup_size: 1024
    .name:           _ZN7rocprim17ROCPRIM_400000_NS6detail17trampoline_kernelINS0_14default_configENS1_35radix_sort_onesweep_config_selectorIiNS0_10empty_typeEEEZNS1_34radix_sort_onesweep_global_offsetsIS3_Lb1EPiPS5_mNS0_19identity_decomposerEEE10hipError_tT1_T2_PT3_SE_jT4_jjP12ihipStream_tbEUlT_E0_NS1_11comp_targetILNS1_3genE2ELNS1_11target_archE906ELNS1_3gpuE6ELNS1_3repE0EEENS1_52radix_sort_onesweep_histogram_config_static_selectorELNS0_4arch9wavefront6targetE1EEEvSC_
    .private_segment_fixed_size: 0
    .sgpr_count:     4
    .sgpr_spill_count: 0
    .symbol:         _ZN7rocprim17ROCPRIM_400000_NS6detail17trampoline_kernelINS0_14default_configENS1_35radix_sort_onesweep_config_selectorIiNS0_10empty_typeEEEZNS1_34radix_sort_onesweep_global_offsetsIS3_Lb1EPiPS5_mNS0_19identity_decomposerEEE10hipError_tT1_T2_PT3_SE_jT4_jjP12ihipStream_tbEUlT_E0_NS1_11comp_targetILNS1_3genE2ELNS1_11target_archE906ELNS1_3gpuE6ELNS1_3repE0EEENS1_52radix_sort_onesweep_histogram_config_static_selectorELNS0_4arch9wavefront6targetE1EEEvSC_.kd
    .uniform_work_group_size: 1
    .uses_dynamic_stack: false
    .vgpr_count:     0
    .vgpr_spill_count: 0
    .wavefront_size: 64
  - .agpr_count:     0
    .args:
      - .address_space:  global
        .offset:         0
        .size:           8
        .value_kind:     global_buffer
    .group_segment_fixed_size: 128
    .kernarg_segment_align: 8
    .kernarg_segment_size: 8
    .language:       OpenCL C
    .language_version:
      - 2
      - 0
    .max_flat_workgroup_size: 1024
    .name:           _ZN7rocprim17ROCPRIM_400000_NS6detail17trampoline_kernelINS0_14default_configENS1_35radix_sort_onesweep_config_selectorIiNS0_10empty_typeEEEZNS1_34radix_sort_onesweep_global_offsetsIS3_Lb1EPiPS5_mNS0_19identity_decomposerEEE10hipError_tT1_T2_PT3_SE_jT4_jjP12ihipStream_tbEUlT_E0_NS1_11comp_targetILNS1_3genE4ELNS1_11target_archE910ELNS1_3gpuE8ELNS1_3repE0EEENS1_52radix_sort_onesweep_histogram_config_static_selectorELNS0_4arch9wavefront6targetE1EEEvSC_
    .private_segment_fixed_size: 0
    .sgpr_count:     22
    .sgpr_spill_count: 0
    .symbol:         _ZN7rocprim17ROCPRIM_400000_NS6detail17trampoline_kernelINS0_14default_configENS1_35radix_sort_onesweep_config_selectorIiNS0_10empty_typeEEEZNS1_34radix_sort_onesweep_global_offsetsIS3_Lb1EPiPS5_mNS0_19identity_decomposerEEE10hipError_tT1_T2_PT3_SE_jT4_jjP12ihipStream_tbEUlT_E0_NS1_11comp_targetILNS1_3genE4ELNS1_11target_archE910ELNS1_3gpuE8ELNS1_3repE0EEENS1_52radix_sort_onesweep_histogram_config_static_selectorELNS0_4arch9wavefront6targetE1EEEvSC_.kd
    .uniform_work_group_size: 1
    .uses_dynamic_stack: false
    .vgpr_count:     13
    .vgpr_spill_count: 0
    .wavefront_size: 64
  - .agpr_count:     0
    .args:
      - .address_space:  global
        .offset:         0
        .size:           8
        .value_kind:     global_buffer
    .group_segment_fixed_size: 0
    .kernarg_segment_align: 8
    .kernarg_segment_size: 8
    .language:       OpenCL C
    .language_version:
      - 2
      - 0
    .max_flat_workgroup_size: 512
    .name:           _ZN7rocprim17ROCPRIM_400000_NS6detail17trampoline_kernelINS0_14default_configENS1_35radix_sort_onesweep_config_selectorIiNS0_10empty_typeEEEZNS1_34radix_sort_onesweep_global_offsetsIS3_Lb1EPiPS5_mNS0_19identity_decomposerEEE10hipError_tT1_T2_PT3_SE_jT4_jjP12ihipStream_tbEUlT_E0_NS1_11comp_targetILNS1_3genE3ELNS1_11target_archE908ELNS1_3gpuE7ELNS1_3repE0EEENS1_52radix_sort_onesweep_histogram_config_static_selectorELNS0_4arch9wavefront6targetE1EEEvSC_
    .private_segment_fixed_size: 0
    .sgpr_count:     4
    .sgpr_spill_count: 0
    .symbol:         _ZN7rocprim17ROCPRIM_400000_NS6detail17trampoline_kernelINS0_14default_configENS1_35radix_sort_onesweep_config_selectorIiNS0_10empty_typeEEEZNS1_34radix_sort_onesweep_global_offsetsIS3_Lb1EPiPS5_mNS0_19identity_decomposerEEE10hipError_tT1_T2_PT3_SE_jT4_jjP12ihipStream_tbEUlT_E0_NS1_11comp_targetILNS1_3genE3ELNS1_11target_archE908ELNS1_3gpuE7ELNS1_3repE0EEENS1_52radix_sort_onesweep_histogram_config_static_selectorELNS0_4arch9wavefront6targetE1EEEvSC_.kd
    .uniform_work_group_size: 1
    .uses_dynamic_stack: false
    .vgpr_count:     0
    .vgpr_spill_count: 0
    .wavefront_size: 64
  - .agpr_count:     0
    .args:
      - .address_space:  global
        .offset:         0
        .size:           8
        .value_kind:     global_buffer
    .group_segment_fixed_size: 0
    .kernarg_segment_align: 8
    .kernarg_segment_size: 8
    .language:       OpenCL C
    .language_version:
      - 2
      - 0
    .max_flat_workgroup_size: 1024
    .name:           _ZN7rocprim17ROCPRIM_400000_NS6detail17trampoline_kernelINS0_14default_configENS1_35radix_sort_onesweep_config_selectorIiNS0_10empty_typeEEEZNS1_34radix_sort_onesweep_global_offsetsIS3_Lb1EPiPS5_mNS0_19identity_decomposerEEE10hipError_tT1_T2_PT3_SE_jT4_jjP12ihipStream_tbEUlT_E0_NS1_11comp_targetILNS1_3genE10ELNS1_11target_archE1201ELNS1_3gpuE5ELNS1_3repE0EEENS1_52radix_sort_onesweep_histogram_config_static_selectorELNS0_4arch9wavefront6targetE1EEEvSC_
    .private_segment_fixed_size: 0
    .sgpr_count:     4
    .sgpr_spill_count: 0
    .symbol:         _ZN7rocprim17ROCPRIM_400000_NS6detail17trampoline_kernelINS0_14default_configENS1_35radix_sort_onesweep_config_selectorIiNS0_10empty_typeEEEZNS1_34radix_sort_onesweep_global_offsetsIS3_Lb1EPiPS5_mNS0_19identity_decomposerEEE10hipError_tT1_T2_PT3_SE_jT4_jjP12ihipStream_tbEUlT_E0_NS1_11comp_targetILNS1_3genE10ELNS1_11target_archE1201ELNS1_3gpuE5ELNS1_3repE0EEENS1_52radix_sort_onesweep_histogram_config_static_selectorELNS0_4arch9wavefront6targetE1EEEvSC_.kd
    .uniform_work_group_size: 1
    .uses_dynamic_stack: false
    .vgpr_count:     0
    .vgpr_spill_count: 0
    .wavefront_size: 64
  - .agpr_count:     0
    .args:
      - .address_space:  global
        .offset:         0
        .size:           8
        .value_kind:     global_buffer
    .group_segment_fixed_size: 0
    .kernarg_segment_align: 8
    .kernarg_segment_size: 8
    .language:       OpenCL C
    .language_version:
      - 2
      - 0
    .max_flat_workgroup_size: 1024
    .name:           _ZN7rocprim17ROCPRIM_400000_NS6detail17trampoline_kernelINS0_14default_configENS1_35radix_sort_onesweep_config_selectorIiNS0_10empty_typeEEEZNS1_34radix_sort_onesweep_global_offsetsIS3_Lb1EPiPS5_mNS0_19identity_decomposerEEE10hipError_tT1_T2_PT3_SE_jT4_jjP12ihipStream_tbEUlT_E0_NS1_11comp_targetILNS1_3genE9ELNS1_11target_archE1100ELNS1_3gpuE3ELNS1_3repE0EEENS1_52radix_sort_onesweep_histogram_config_static_selectorELNS0_4arch9wavefront6targetE1EEEvSC_
    .private_segment_fixed_size: 0
    .sgpr_count:     4
    .sgpr_spill_count: 0
    .symbol:         _ZN7rocprim17ROCPRIM_400000_NS6detail17trampoline_kernelINS0_14default_configENS1_35radix_sort_onesweep_config_selectorIiNS0_10empty_typeEEEZNS1_34radix_sort_onesweep_global_offsetsIS3_Lb1EPiPS5_mNS0_19identity_decomposerEEE10hipError_tT1_T2_PT3_SE_jT4_jjP12ihipStream_tbEUlT_E0_NS1_11comp_targetILNS1_3genE9ELNS1_11target_archE1100ELNS1_3gpuE3ELNS1_3repE0EEENS1_52radix_sort_onesweep_histogram_config_static_selectorELNS0_4arch9wavefront6targetE1EEEvSC_.kd
    .uniform_work_group_size: 1
    .uses_dynamic_stack: false
    .vgpr_count:     0
    .vgpr_spill_count: 0
    .wavefront_size: 64
  - .agpr_count:     0
    .args:
      - .address_space:  global
        .offset:         0
        .size:           8
        .value_kind:     global_buffer
    .group_segment_fixed_size: 0
    .kernarg_segment_align: 8
    .kernarg_segment_size: 8
    .language:       OpenCL C
    .language_version:
      - 2
      - 0
    .max_flat_workgroup_size: 1024
    .name:           _ZN7rocprim17ROCPRIM_400000_NS6detail17trampoline_kernelINS0_14default_configENS1_35radix_sort_onesweep_config_selectorIiNS0_10empty_typeEEEZNS1_34radix_sort_onesweep_global_offsetsIS3_Lb1EPiPS5_mNS0_19identity_decomposerEEE10hipError_tT1_T2_PT3_SE_jT4_jjP12ihipStream_tbEUlT_E0_NS1_11comp_targetILNS1_3genE8ELNS1_11target_archE1030ELNS1_3gpuE2ELNS1_3repE0EEENS1_52radix_sort_onesweep_histogram_config_static_selectorELNS0_4arch9wavefront6targetE1EEEvSC_
    .private_segment_fixed_size: 0
    .sgpr_count:     4
    .sgpr_spill_count: 0
    .symbol:         _ZN7rocprim17ROCPRIM_400000_NS6detail17trampoline_kernelINS0_14default_configENS1_35radix_sort_onesweep_config_selectorIiNS0_10empty_typeEEEZNS1_34radix_sort_onesweep_global_offsetsIS3_Lb1EPiPS5_mNS0_19identity_decomposerEEE10hipError_tT1_T2_PT3_SE_jT4_jjP12ihipStream_tbEUlT_E0_NS1_11comp_targetILNS1_3genE8ELNS1_11target_archE1030ELNS1_3gpuE2ELNS1_3repE0EEENS1_52radix_sort_onesweep_histogram_config_static_selectorELNS0_4arch9wavefront6targetE1EEEvSC_.kd
    .uniform_work_group_size: 1
    .uses_dynamic_stack: false
    .vgpr_count:     0
    .vgpr_spill_count: 0
    .wavefront_size: 64
  - .agpr_count:     0
    .args:
      - .offset:         0
        .size:           88
        .value_kind:     by_value
    .group_segment_fixed_size: 0
    .kernarg_segment_align: 8
    .kernarg_segment_size: 88
    .language:       OpenCL C
    .language_version:
      - 2
      - 0
    .max_flat_workgroup_size: 512
    .name:           _ZN7rocprim17ROCPRIM_400000_NS6detail17trampoline_kernelINS0_14default_configENS1_35radix_sort_onesweep_config_selectorIiNS0_10empty_typeEEEZZNS1_29radix_sort_onesweep_iterationIS3_Lb1EPiS8_PS5_S9_mNS0_19identity_decomposerENS1_16block_id_wrapperIjLb1EEEEE10hipError_tT1_PNSt15iterator_traitsISE_E10value_typeET2_T3_PNSF_ISK_E10value_typeET4_T5_PSP_SQ_PNS1_23onesweep_lookback_stateEbbT6_jjT7_P12ihipStream_tbENKUlT_T0_SE_SJ_E_clIS8_S8_S9_S9_EEDaSX_SY_SE_SJ_EUlSX_E_NS1_11comp_targetILNS1_3genE0ELNS1_11target_archE4294967295ELNS1_3gpuE0ELNS1_3repE0EEENS1_47radix_sort_onesweep_sort_config_static_selectorELNS0_4arch9wavefront6targetE1EEEvSE_
    .private_segment_fixed_size: 0
    .sgpr_count:     4
    .sgpr_spill_count: 0
    .symbol:         _ZN7rocprim17ROCPRIM_400000_NS6detail17trampoline_kernelINS0_14default_configENS1_35radix_sort_onesweep_config_selectorIiNS0_10empty_typeEEEZZNS1_29radix_sort_onesweep_iterationIS3_Lb1EPiS8_PS5_S9_mNS0_19identity_decomposerENS1_16block_id_wrapperIjLb1EEEEE10hipError_tT1_PNSt15iterator_traitsISE_E10value_typeET2_T3_PNSF_ISK_E10value_typeET4_T5_PSP_SQ_PNS1_23onesweep_lookback_stateEbbT6_jjT7_P12ihipStream_tbENKUlT_T0_SE_SJ_E_clIS8_S8_S9_S9_EEDaSX_SY_SE_SJ_EUlSX_E_NS1_11comp_targetILNS1_3genE0ELNS1_11target_archE4294967295ELNS1_3gpuE0ELNS1_3repE0EEENS1_47radix_sort_onesweep_sort_config_static_selectorELNS0_4arch9wavefront6targetE1EEEvSE_.kd
    .uniform_work_group_size: 1
    .uses_dynamic_stack: false
    .vgpr_count:     0
    .vgpr_spill_count: 0
    .wavefront_size: 64
  - .agpr_count:     0
    .args:
      - .offset:         0
        .size:           88
        .value_kind:     by_value
    .group_segment_fixed_size: 0
    .kernarg_segment_align: 8
    .kernarg_segment_size: 88
    .language:       OpenCL C
    .language_version:
      - 2
      - 0
    .max_flat_workgroup_size: 1024
    .name:           _ZN7rocprim17ROCPRIM_400000_NS6detail17trampoline_kernelINS0_14default_configENS1_35radix_sort_onesweep_config_selectorIiNS0_10empty_typeEEEZZNS1_29radix_sort_onesweep_iterationIS3_Lb1EPiS8_PS5_S9_mNS0_19identity_decomposerENS1_16block_id_wrapperIjLb1EEEEE10hipError_tT1_PNSt15iterator_traitsISE_E10value_typeET2_T3_PNSF_ISK_E10value_typeET4_T5_PSP_SQ_PNS1_23onesweep_lookback_stateEbbT6_jjT7_P12ihipStream_tbENKUlT_T0_SE_SJ_E_clIS8_S8_S9_S9_EEDaSX_SY_SE_SJ_EUlSX_E_NS1_11comp_targetILNS1_3genE6ELNS1_11target_archE950ELNS1_3gpuE13ELNS1_3repE0EEENS1_47radix_sort_onesweep_sort_config_static_selectorELNS0_4arch9wavefront6targetE1EEEvSE_
    .private_segment_fixed_size: 0
    .sgpr_count:     4
    .sgpr_spill_count: 0
    .symbol:         _ZN7rocprim17ROCPRIM_400000_NS6detail17trampoline_kernelINS0_14default_configENS1_35radix_sort_onesweep_config_selectorIiNS0_10empty_typeEEEZZNS1_29radix_sort_onesweep_iterationIS3_Lb1EPiS8_PS5_S9_mNS0_19identity_decomposerENS1_16block_id_wrapperIjLb1EEEEE10hipError_tT1_PNSt15iterator_traitsISE_E10value_typeET2_T3_PNSF_ISK_E10value_typeET4_T5_PSP_SQ_PNS1_23onesweep_lookback_stateEbbT6_jjT7_P12ihipStream_tbENKUlT_T0_SE_SJ_E_clIS8_S8_S9_S9_EEDaSX_SY_SE_SJ_EUlSX_E_NS1_11comp_targetILNS1_3genE6ELNS1_11target_archE950ELNS1_3gpuE13ELNS1_3repE0EEENS1_47radix_sort_onesweep_sort_config_static_selectorELNS0_4arch9wavefront6targetE1EEEvSE_.kd
    .uniform_work_group_size: 1
    .uses_dynamic_stack: false
    .vgpr_count:     0
    .vgpr_spill_count: 0
    .wavefront_size: 64
  - .agpr_count:     0
    .args:
      - .offset:         0
        .size:           88
        .value_kind:     by_value
    .group_segment_fixed_size: 0
    .kernarg_segment_align: 8
    .kernarg_segment_size: 88
    .language:       OpenCL C
    .language_version:
      - 2
      - 0
    .max_flat_workgroup_size: 1024
    .name:           _ZN7rocprim17ROCPRIM_400000_NS6detail17trampoline_kernelINS0_14default_configENS1_35radix_sort_onesweep_config_selectorIiNS0_10empty_typeEEEZZNS1_29radix_sort_onesweep_iterationIS3_Lb1EPiS8_PS5_S9_mNS0_19identity_decomposerENS1_16block_id_wrapperIjLb1EEEEE10hipError_tT1_PNSt15iterator_traitsISE_E10value_typeET2_T3_PNSF_ISK_E10value_typeET4_T5_PSP_SQ_PNS1_23onesweep_lookback_stateEbbT6_jjT7_P12ihipStream_tbENKUlT_T0_SE_SJ_E_clIS8_S8_S9_S9_EEDaSX_SY_SE_SJ_EUlSX_E_NS1_11comp_targetILNS1_3genE5ELNS1_11target_archE942ELNS1_3gpuE9ELNS1_3repE0EEENS1_47radix_sort_onesweep_sort_config_static_selectorELNS0_4arch9wavefront6targetE1EEEvSE_
    .private_segment_fixed_size: 0
    .sgpr_count:     4
    .sgpr_spill_count: 0
    .symbol:         _ZN7rocprim17ROCPRIM_400000_NS6detail17trampoline_kernelINS0_14default_configENS1_35radix_sort_onesweep_config_selectorIiNS0_10empty_typeEEEZZNS1_29radix_sort_onesweep_iterationIS3_Lb1EPiS8_PS5_S9_mNS0_19identity_decomposerENS1_16block_id_wrapperIjLb1EEEEE10hipError_tT1_PNSt15iterator_traitsISE_E10value_typeET2_T3_PNSF_ISK_E10value_typeET4_T5_PSP_SQ_PNS1_23onesweep_lookback_stateEbbT6_jjT7_P12ihipStream_tbENKUlT_T0_SE_SJ_E_clIS8_S8_S9_S9_EEDaSX_SY_SE_SJ_EUlSX_E_NS1_11comp_targetILNS1_3genE5ELNS1_11target_archE942ELNS1_3gpuE9ELNS1_3repE0EEENS1_47radix_sort_onesweep_sort_config_static_selectorELNS0_4arch9wavefront6targetE1EEEvSE_.kd
    .uniform_work_group_size: 1
    .uses_dynamic_stack: false
    .vgpr_count:     0
    .vgpr_spill_count: 0
    .wavefront_size: 64
  - .agpr_count:     0
    .args:
      - .offset:         0
        .size:           88
        .value_kind:     by_value
    .group_segment_fixed_size: 0
    .kernarg_segment_align: 8
    .kernarg_segment_size: 88
    .language:       OpenCL C
    .language_version:
      - 2
      - 0
    .max_flat_workgroup_size: 1024
    .name:           _ZN7rocprim17ROCPRIM_400000_NS6detail17trampoline_kernelINS0_14default_configENS1_35radix_sort_onesweep_config_selectorIiNS0_10empty_typeEEEZZNS1_29radix_sort_onesweep_iterationIS3_Lb1EPiS8_PS5_S9_mNS0_19identity_decomposerENS1_16block_id_wrapperIjLb1EEEEE10hipError_tT1_PNSt15iterator_traitsISE_E10value_typeET2_T3_PNSF_ISK_E10value_typeET4_T5_PSP_SQ_PNS1_23onesweep_lookback_stateEbbT6_jjT7_P12ihipStream_tbENKUlT_T0_SE_SJ_E_clIS8_S8_S9_S9_EEDaSX_SY_SE_SJ_EUlSX_E_NS1_11comp_targetILNS1_3genE2ELNS1_11target_archE906ELNS1_3gpuE6ELNS1_3repE0EEENS1_47radix_sort_onesweep_sort_config_static_selectorELNS0_4arch9wavefront6targetE1EEEvSE_
    .private_segment_fixed_size: 0
    .sgpr_count:     4
    .sgpr_spill_count: 0
    .symbol:         _ZN7rocprim17ROCPRIM_400000_NS6detail17trampoline_kernelINS0_14default_configENS1_35radix_sort_onesweep_config_selectorIiNS0_10empty_typeEEEZZNS1_29radix_sort_onesweep_iterationIS3_Lb1EPiS8_PS5_S9_mNS0_19identity_decomposerENS1_16block_id_wrapperIjLb1EEEEE10hipError_tT1_PNSt15iterator_traitsISE_E10value_typeET2_T3_PNSF_ISK_E10value_typeET4_T5_PSP_SQ_PNS1_23onesweep_lookback_stateEbbT6_jjT7_P12ihipStream_tbENKUlT_T0_SE_SJ_E_clIS8_S8_S9_S9_EEDaSX_SY_SE_SJ_EUlSX_E_NS1_11comp_targetILNS1_3genE2ELNS1_11target_archE906ELNS1_3gpuE6ELNS1_3repE0EEENS1_47radix_sort_onesweep_sort_config_static_selectorELNS0_4arch9wavefront6targetE1EEEvSE_.kd
    .uniform_work_group_size: 1
    .uses_dynamic_stack: false
    .vgpr_count:     0
    .vgpr_spill_count: 0
    .wavefront_size: 64
  - .agpr_count:     0
    .args:
      - .offset:         0
        .size:           88
        .value_kind:     by_value
      - .offset:         88
        .size:           4
        .value_kind:     hidden_block_count_x
      - .offset:         92
        .size:           4
        .value_kind:     hidden_block_count_y
      - .offset:         96
        .size:           4
        .value_kind:     hidden_block_count_z
      - .offset:         100
        .size:           2
        .value_kind:     hidden_group_size_x
      - .offset:         102
        .size:           2
        .value_kind:     hidden_group_size_y
      - .offset:         104
        .size:           2
        .value_kind:     hidden_group_size_z
      - .offset:         106
        .size:           2
        .value_kind:     hidden_remainder_x
      - .offset:         108
        .size:           2
        .value_kind:     hidden_remainder_y
      - .offset:         110
        .size:           2
        .value_kind:     hidden_remainder_z
      - .offset:         128
        .size:           8
        .value_kind:     hidden_global_offset_x
      - .offset:         136
        .size:           8
        .value_kind:     hidden_global_offset_y
      - .offset:         144
        .size:           8
        .value_kind:     hidden_global_offset_z
      - .offset:         152
        .size:           2
        .value_kind:     hidden_grid_dims
    .group_segment_fixed_size: 20552
    .kernarg_segment_align: 8
    .kernarg_segment_size: 344
    .language:       OpenCL C
    .language_version:
      - 2
      - 0
    .max_flat_workgroup_size: 1024
    .name:           _ZN7rocprim17ROCPRIM_400000_NS6detail17trampoline_kernelINS0_14default_configENS1_35radix_sort_onesweep_config_selectorIiNS0_10empty_typeEEEZZNS1_29radix_sort_onesweep_iterationIS3_Lb1EPiS8_PS5_S9_mNS0_19identity_decomposerENS1_16block_id_wrapperIjLb1EEEEE10hipError_tT1_PNSt15iterator_traitsISE_E10value_typeET2_T3_PNSF_ISK_E10value_typeET4_T5_PSP_SQ_PNS1_23onesweep_lookback_stateEbbT6_jjT7_P12ihipStream_tbENKUlT_T0_SE_SJ_E_clIS8_S8_S9_S9_EEDaSX_SY_SE_SJ_EUlSX_E_NS1_11comp_targetILNS1_3genE4ELNS1_11target_archE910ELNS1_3gpuE8ELNS1_3repE0EEENS1_47radix_sort_onesweep_sort_config_static_selectorELNS0_4arch9wavefront6targetE1EEEvSE_
    .private_segment_fixed_size: 0
    .sgpr_count:     39
    .sgpr_spill_count: 0
    .symbol:         _ZN7rocprim17ROCPRIM_400000_NS6detail17trampoline_kernelINS0_14default_configENS1_35radix_sort_onesweep_config_selectorIiNS0_10empty_typeEEEZZNS1_29radix_sort_onesweep_iterationIS3_Lb1EPiS8_PS5_S9_mNS0_19identity_decomposerENS1_16block_id_wrapperIjLb1EEEEE10hipError_tT1_PNSt15iterator_traitsISE_E10value_typeET2_T3_PNSF_ISK_E10value_typeET4_T5_PSP_SQ_PNS1_23onesweep_lookback_stateEbbT6_jjT7_P12ihipStream_tbENKUlT_T0_SE_SJ_E_clIS8_S8_S9_S9_EEDaSX_SY_SE_SJ_EUlSX_E_NS1_11comp_targetILNS1_3genE4ELNS1_11target_archE910ELNS1_3gpuE8ELNS1_3repE0EEENS1_47radix_sort_onesweep_sort_config_static_selectorELNS0_4arch9wavefront6targetE1EEEvSE_.kd
    .uniform_work_group_size: 1
    .uses_dynamic_stack: false
    .vgpr_count:     62
    .vgpr_spill_count: 0
    .wavefront_size: 64
  - .agpr_count:     0
    .args:
      - .offset:         0
        .size:           88
        .value_kind:     by_value
    .group_segment_fixed_size: 0
    .kernarg_segment_align: 8
    .kernarg_segment_size: 88
    .language:       OpenCL C
    .language_version:
      - 2
      - 0
    .max_flat_workgroup_size: 512
    .name:           _ZN7rocprim17ROCPRIM_400000_NS6detail17trampoline_kernelINS0_14default_configENS1_35radix_sort_onesweep_config_selectorIiNS0_10empty_typeEEEZZNS1_29radix_sort_onesweep_iterationIS3_Lb1EPiS8_PS5_S9_mNS0_19identity_decomposerENS1_16block_id_wrapperIjLb1EEEEE10hipError_tT1_PNSt15iterator_traitsISE_E10value_typeET2_T3_PNSF_ISK_E10value_typeET4_T5_PSP_SQ_PNS1_23onesweep_lookback_stateEbbT6_jjT7_P12ihipStream_tbENKUlT_T0_SE_SJ_E_clIS8_S8_S9_S9_EEDaSX_SY_SE_SJ_EUlSX_E_NS1_11comp_targetILNS1_3genE3ELNS1_11target_archE908ELNS1_3gpuE7ELNS1_3repE0EEENS1_47radix_sort_onesweep_sort_config_static_selectorELNS0_4arch9wavefront6targetE1EEEvSE_
    .private_segment_fixed_size: 0
    .sgpr_count:     4
    .sgpr_spill_count: 0
    .symbol:         _ZN7rocprim17ROCPRIM_400000_NS6detail17trampoline_kernelINS0_14default_configENS1_35radix_sort_onesweep_config_selectorIiNS0_10empty_typeEEEZZNS1_29radix_sort_onesweep_iterationIS3_Lb1EPiS8_PS5_S9_mNS0_19identity_decomposerENS1_16block_id_wrapperIjLb1EEEEE10hipError_tT1_PNSt15iterator_traitsISE_E10value_typeET2_T3_PNSF_ISK_E10value_typeET4_T5_PSP_SQ_PNS1_23onesweep_lookback_stateEbbT6_jjT7_P12ihipStream_tbENKUlT_T0_SE_SJ_E_clIS8_S8_S9_S9_EEDaSX_SY_SE_SJ_EUlSX_E_NS1_11comp_targetILNS1_3genE3ELNS1_11target_archE908ELNS1_3gpuE7ELNS1_3repE0EEENS1_47radix_sort_onesweep_sort_config_static_selectorELNS0_4arch9wavefront6targetE1EEEvSE_.kd
    .uniform_work_group_size: 1
    .uses_dynamic_stack: false
    .vgpr_count:     0
    .vgpr_spill_count: 0
    .wavefront_size: 64
  - .agpr_count:     0
    .args:
      - .offset:         0
        .size:           88
        .value_kind:     by_value
    .group_segment_fixed_size: 0
    .kernarg_segment_align: 8
    .kernarg_segment_size: 88
    .language:       OpenCL C
    .language_version:
      - 2
      - 0
    .max_flat_workgroup_size: 1024
    .name:           _ZN7rocprim17ROCPRIM_400000_NS6detail17trampoline_kernelINS0_14default_configENS1_35radix_sort_onesweep_config_selectorIiNS0_10empty_typeEEEZZNS1_29radix_sort_onesweep_iterationIS3_Lb1EPiS8_PS5_S9_mNS0_19identity_decomposerENS1_16block_id_wrapperIjLb1EEEEE10hipError_tT1_PNSt15iterator_traitsISE_E10value_typeET2_T3_PNSF_ISK_E10value_typeET4_T5_PSP_SQ_PNS1_23onesweep_lookback_stateEbbT6_jjT7_P12ihipStream_tbENKUlT_T0_SE_SJ_E_clIS8_S8_S9_S9_EEDaSX_SY_SE_SJ_EUlSX_E_NS1_11comp_targetILNS1_3genE10ELNS1_11target_archE1201ELNS1_3gpuE5ELNS1_3repE0EEENS1_47radix_sort_onesweep_sort_config_static_selectorELNS0_4arch9wavefront6targetE1EEEvSE_
    .private_segment_fixed_size: 0
    .sgpr_count:     4
    .sgpr_spill_count: 0
    .symbol:         _ZN7rocprim17ROCPRIM_400000_NS6detail17trampoline_kernelINS0_14default_configENS1_35radix_sort_onesweep_config_selectorIiNS0_10empty_typeEEEZZNS1_29radix_sort_onesweep_iterationIS3_Lb1EPiS8_PS5_S9_mNS0_19identity_decomposerENS1_16block_id_wrapperIjLb1EEEEE10hipError_tT1_PNSt15iterator_traitsISE_E10value_typeET2_T3_PNSF_ISK_E10value_typeET4_T5_PSP_SQ_PNS1_23onesweep_lookback_stateEbbT6_jjT7_P12ihipStream_tbENKUlT_T0_SE_SJ_E_clIS8_S8_S9_S9_EEDaSX_SY_SE_SJ_EUlSX_E_NS1_11comp_targetILNS1_3genE10ELNS1_11target_archE1201ELNS1_3gpuE5ELNS1_3repE0EEENS1_47radix_sort_onesweep_sort_config_static_selectorELNS0_4arch9wavefront6targetE1EEEvSE_.kd
    .uniform_work_group_size: 1
    .uses_dynamic_stack: false
    .vgpr_count:     0
    .vgpr_spill_count: 0
    .wavefront_size: 64
  - .agpr_count:     0
    .args:
      - .offset:         0
        .size:           88
        .value_kind:     by_value
    .group_segment_fixed_size: 0
    .kernarg_segment_align: 8
    .kernarg_segment_size: 88
    .language:       OpenCL C
    .language_version:
      - 2
      - 0
    .max_flat_workgroup_size: 1024
    .name:           _ZN7rocprim17ROCPRIM_400000_NS6detail17trampoline_kernelINS0_14default_configENS1_35radix_sort_onesweep_config_selectorIiNS0_10empty_typeEEEZZNS1_29radix_sort_onesweep_iterationIS3_Lb1EPiS8_PS5_S9_mNS0_19identity_decomposerENS1_16block_id_wrapperIjLb1EEEEE10hipError_tT1_PNSt15iterator_traitsISE_E10value_typeET2_T3_PNSF_ISK_E10value_typeET4_T5_PSP_SQ_PNS1_23onesweep_lookback_stateEbbT6_jjT7_P12ihipStream_tbENKUlT_T0_SE_SJ_E_clIS8_S8_S9_S9_EEDaSX_SY_SE_SJ_EUlSX_E_NS1_11comp_targetILNS1_3genE9ELNS1_11target_archE1100ELNS1_3gpuE3ELNS1_3repE0EEENS1_47radix_sort_onesweep_sort_config_static_selectorELNS0_4arch9wavefront6targetE1EEEvSE_
    .private_segment_fixed_size: 0
    .sgpr_count:     4
    .sgpr_spill_count: 0
    .symbol:         _ZN7rocprim17ROCPRIM_400000_NS6detail17trampoline_kernelINS0_14default_configENS1_35radix_sort_onesweep_config_selectorIiNS0_10empty_typeEEEZZNS1_29radix_sort_onesweep_iterationIS3_Lb1EPiS8_PS5_S9_mNS0_19identity_decomposerENS1_16block_id_wrapperIjLb1EEEEE10hipError_tT1_PNSt15iterator_traitsISE_E10value_typeET2_T3_PNSF_ISK_E10value_typeET4_T5_PSP_SQ_PNS1_23onesweep_lookback_stateEbbT6_jjT7_P12ihipStream_tbENKUlT_T0_SE_SJ_E_clIS8_S8_S9_S9_EEDaSX_SY_SE_SJ_EUlSX_E_NS1_11comp_targetILNS1_3genE9ELNS1_11target_archE1100ELNS1_3gpuE3ELNS1_3repE0EEENS1_47radix_sort_onesweep_sort_config_static_selectorELNS0_4arch9wavefront6targetE1EEEvSE_.kd
    .uniform_work_group_size: 1
    .uses_dynamic_stack: false
    .vgpr_count:     0
    .vgpr_spill_count: 0
    .wavefront_size: 64
  - .agpr_count:     0
    .args:
      - .offset:         0
        .size:           88
        .value_kind:     by_value
    .group_segment_fixed_size: 0
    .kernarg_segment_align: 8
    .kernarg_segment_size: 88
    .language:       OpenCL C
    .language_version:
      - 2
      - 0
    .max_flat_workgroup_size: 1024
    .name:           _ZN7rocprim17ROCPRIM_400000_NS6detail17trampoline_kernelINS0_14default_configENS1_35radix_sort_onesweep_config_selectorIiNS0_10empty_typeEEEZZNS1_29radix_sort_onesweep_iterationIS3_Lb1EPiS8_PS5_S9_mNS0_19identity_decomposerENS1_16block_id_wrapperIjLb1EEEEE10hipError_tT1_PNSt15iterator_traitsISE_E10value_typeET2_T3_PNSF_ISK_E10value_typeET4_T5_PSP_SQ_PNS1_23onesweep_lookback_stateEbbT6_jjT7_P12ihipStream_tbENKUlT_T0_SE_SJ_E_clIS8_S8_S9_S9_EEDaSX_SY_SE_SJ_EUlSX_E_NS1_11comp_targetILNS1_3genE8ELNS1_11target_archE1030ELNS1_3gpuE2ELNS1_3repE0EEENS1_47radix_sort_onesweep_sort_config_static_selectorELNS0_4arch9wavefront6targetE1EEEvSE_
    .private_segment_fixed_size: 0
    .sgpr_count:     4
    .sgpr_spill_count: 0
    .symbol:         _ZN7rocprim17ROCPRIM_400000_NS6detail17trampoline_kernelINS0_14default_configENS1_35radix_sort_onesweep_config_selectorIiNS0_10empty_typeEEEZZNS1_29radix_sort_onesweep_iterationIS3_Lb1EPiS8_PS5_S9_mNS0_19identity_decomposerENS1_16block_id_wrapperIjLb1EEEEE10hipError_tT1_PNSt15iterator_traitsISE_E10value_typeET2_T3_PNSF_ISK_E10value_typeET4_T5_PSP_SQ_PNS1_23onesweep_lookback_stateEbbT6_jjT7_P12ihipStream_tbENKUlT_T0_SE_SJ_E_clIS8_S8_S9_S9_EEDaSX_SY_SE_SJ_EUlSX_E_NS1_11comp_targetILNS1_3genE8ELNS1_11target_archE1030ELNS1_3gpuE2ELNS1_3repE0EEENS1_47radix_sort_onesweep_sort_config_static_selectorELNS0_4arch9wavefront6targetE1EEEvSE_.kd
    .uniform_work_group_size: 1
    .uses_dynamic_stack: false
    .vgpr_count:     0
    .vgpr_spill_count: 0
    .wavefront_size: 64
  - .agpr_count:     0
    .args:
      - .offset:         0
        .size:           88
        .value_kind:     by_value
    .group_segment_fixed_size: 0
    .kernarg_segment_align: 8
    .kernarg_segment_size: 88
    .language:       OpenCL C
    .language_version:
      - 2
      - 0
    .max_flat_workgroup_size: 512
    .name:           _ZN7rocprim17ROCPRIM_400000_NS6detail17trampoline_kernelINS0_14default_configENS1_35radix_sort_onesweep_config_selectorIiNS0_10empty_typeEEEZZNS1_29radix_sort_onesweep_iterationIS3_Lb1EPiS8_PS5_S9_mNS0_19identity_decomposerENS1_16block_id_wrapperIjLb0EEEEE10hipError_tT1_PNSt15iterator_traitsISE_E10value_typeET2_T3_PNSF_ISK_E10value_typeET4_T5_PSP_SQ_PNS1_23onesweep_lookback_stateEbbT6_jjT7_P12ihipStream_tbENKUlT_T0_SE_SJ_E_clIS8_S8_S9_S9_EEDaSX_SY_SE_SJ_EUlSX_E_NS1_11comp_targetILNS1_3genE0ELNS1_11target_archE4294967295ELNS1_3gpuE0ELNS1_3repE0EEENS1_47radix_sort_onesweep_sort_config_static_selectorELNS0_4arch9wavefront6targetE1EEEvSE_
    .private_segment_fixed_size: 0
    .sgpr_count:     4
    .sgpr_spill_count: 0
    .symbol:         _ZN7rocprim17ROCPRIM_400000_NS6detail17trampoline_kernelINS0_14default_configENS1_35radix_sort_onesweep_config_selectorIiNS0_10empty_typeEEEZZNS1_29radix_sort_onesweep_iterationIS3_Lb1EPiS8_PS5_S9_mNS0_19identity_decomposerENS1_16block_id_wrapperIjLb0EEEEE10hipError_tT1_PNSt15iterator_traitsISE_E10value_typeET2_T3_PNSF_ISK_E10value_typeET4_T5_PSP_SQ_PNS1_23onesweep_lookback_stateEbbT6_jjT7_P12ihipStream_tbENKUlT_T0_SE_SJ_E_clIS8_S8_S9_S9_EEDaSX_SY_SE_SJ_EUlSX_E_NS1_11comp_targetILNS1_3genE0ELNS1_11target_archE4294967295ELNS1_3gpuE0ELNS1_3repE0EEENS1_47radix_sort_onesweep_sort_config_static_selectorELNS0_4arch9wavefront6targetE1EEEvSE_.kd
    .uniform_work_group_size: 1
    .uses_dynamic_stack: false
    .vgpr_count:     0
    .vgpr_spill_count: 0
    .wavefront_size: 64
  - .agpr_count:     0
    .args:
      - .offset:         0
        .size:           88
        .value_kind:     by_value
    .group_segment_fixed_size: 0
    .kernarg_segment_align: 8
    .kernarg_segment_size: 88
    .language:       OpenCL C
    .language_version:
      - 2
      - 0
    .max_flat_workgroup_size: 1024
    .name:           _ZN7rocprim17ROCPRIM_400000_NS6detail17trampoline_kernelINS0_14default_configENS1_35radix_sort_onesweep_config_selectorIiNS0_10empty_typeEEEZZNS1_29radix_sort_onesweep_iterationIS3_Lb1EPiS8_PS5_S9_mNS0_19identity_decomposerENS1_16block_id_wrapperIjLb0EEEEE10hipError_tT1_PNSt15iterator_traitsISE_E10value_typeET2_T3_PNSF_ISK_E10value_typeET4_T5_PSP_SQ_PNS1_23onesweep_lookback_stateEbbT6_jjT7_P12ihipStream_tbENKUlT_T0_SE_SJ_E_clIS8_S8_S9_S9_EEDaSX_SY_SE_SJ_EUlSX_E_NS1_11comp_targetILNS1_3genE6ELNS1_11target_archE950ELNS1_3gpuE13ELNS1_3repE0EEENS1_47radix_sort_onesweep_sort_config_static_selectorELNS0_4arch9wavefront6targetE1EEEvSE_
    .private_segment_fixed_size: 0
    .sgpr_count:     4
    .sgpr_spill_count: 0
    .symbol:         _ZN7rocprim17ROCPRIM_400000_NS6detail17trampoline_kernelINS0_14default_configENS1_35radix_sort_onesweep_config_selectorIiNS0_10empty_typeEEEZZNS1_29radix_sort_onesweep_iterationIS3_Lb1EPiS8_PS5_S9_mNS0_19identity_decomposerENS1_16block_id_wrapperIjLb0EEEEE10hipError_tT1_PNSt15iterator_traitsISE_E10value_typeET2_T3_PNSF_ISK_E10value_typeET4_T5_PSP_SQ_PNS1_23onesweep_lookback_stateEbbT6_jjT7_P12ihipStream_tbENKUlT_T0_SE_SJ_E_clIS8_S8_S9_S9_EEDaSX_SY_SE_SJ_EUlSX_E_NS1_11comp_targetILNS1_3genE6ELNS1_11target_archE950ELNS1_3gpuE13ELNS1_3repE0EEENS1_47radix_sort_onesweep_sort_config_static_selectorELNS0_4arch9wavefront6targetE1EEEvSE_.kd
    .uniform_work_group_size: 1
    .uses_dynamic_stack: false
    .vgpr_count:     0
    .vgpr_spill_count: 0
    .wavefront_size: 64
  - .agpr_count:     0
    .args:
      - .offset:         0
        .size:           88
        .value_kind:     by_value
    .group_segment_fixed_size: 0
    .kernarg_segment_align: 8
    .kernarg_segment_size: 88
    .language:       OpenCL C
    .language_version:
      - 2
      - 0
    .max_flat_workgroup_size: 1024
    .name:           _ZN7rocprim17ROCPRIM_400000_NS6detail17trampoline_kernelINS0_14default_configENS1_35radix_sort_onesweep_config_selectorIiNS0_10empty_typeEEEZZNS1_29radix_sort_onesweep_iterationIS3_Lb1EPiS8_PS5_S9_mNS0_19identity_decomposerENS1_16block_id_wrapperIjLb0EEEEE10hipError_tT1_PNSt15iterator_traitsISE_E10value_typeET2_T3_PNSF_ISK_E10value_typeET4_T5_PSP_SQ_PNS1_23onesweep_lookback_stateEbbT6_jjT7_P12ihipStream_tbENKUlT_T0_SE_SJ_E_clIS8_S8_S9_S9_EEDaSX_SY_SE_SJ_EUlSX_E_NS1_11comp_targetILNS1_3genE5ELNS1_11target_archE942ELNS1_3gpuE9ELNS1_3repE0EEENS1_47radix_sort_onesweep_sort_config_static_selectorELNS0_4arch9wavefront6targetE1EEEvSE_
    .private_segment_fixed_size: 0
    .sgpr_count:     4
    .sgpr_spill_count: 0
    .symbol:         _ZN7rocprim17ROCPRIM_400000_NS6detail17trampoline_kernelINS0_14default_configENS1_35radix_sort_onesweep_config_selectorIiNS0_10empty_typeEEEZZNS1_29radix_sort_onesweep_iterationIS3_Lb1EPiS8_PS5_S9_mNS0_19identity_decomposerENS1_16block_id_wrapperIjLb0EEEEE10hipError_tT1_PNSt15iterator_traitsISE_E10value_typeET2_T3_PNSF_ISK_E10value_typeET4_T5_PSP_SQ_PNS1_23onesweep_lookback_stateEbbT6_jjT7_P12ihipStream_tbENKUlT_T0_SE_SJ_E_clIS8_S8_S9_S9_EEDaSX_SY_SE_SJ_EUlSX_E_NS1_11comp_targetILNS1_3genE5ELNS1_11target_archE942ELNS1_3gpuE9ELNS1_3repE0EEENS1_47radix_sort_onesweep_sort_config_static_selectorELNS0_4arch9wavefront6targetE1EEEvSE_.kd
    .uniform_work_group_size: 1
    .uses_dynamic_stack: false
    .vgpr_count:     0
    .vgpr_spill_count: 0
    .wavefront_size: 64
  - .agpr_count:     0
    .args:
      - .offset:         0
        .size:           88
        .value_kind:     by_value
    .group_segment_fixed_size: 0
    .kernarg_segment_align: 8
    .kernarg_segment_size: 88
    .language:       OpenCL C
    .language_version:
      - 2
      - 0
    .max_flat_workgroup_size: 1024
    .name:           _ZN7rocprim17ROCPRIM_400000_NS6detail17trampoline_kernelINS0_14default_configENS1_35radix_sort_onesweep_config_selectorIiNS0_10empty_typeEEEZZNS1_29radix_sort_onesweep_iterationIS3_Lb1EPiS8_PS5_S9_mNS0_19identity_decomposerENS1_16block_id_wrapperIjLb0EEEEE10hipError_tT1_PNSt15iterator_traitsISE_E10value_typeET2_T3_PNSF_ISK_E10value_typeET4_T5_PSP_SQ_PNS1_23onesweep_lookback_stateEbbT6_jjT7_P12ihipStream_tbENKUlT_T0_SE_SJ_E_clIS8_S8_S9_S9_EEDaSX_SY_SE_SJ_EUlSX_E_NS1_11comp_targetILNS1_3genE2ELNS1_11target_archE906ELNS1_3gpuE6ELNS1_3repE0EEENS1_47radix_sort_onesweep_sort_config_static_selectorELNS0_4arch9wavefront6targetE1EEEvSE_
    .private_segment_fixed_size: 0
    .sgpr_count:     4
    .sgpr_spill_count: 0
    .symbol:         _ZN7rocprim17ROCPRIM_400000_NS6detail17trampoline_kernelINS0_14default_configENS1_35radix_sort_onesweep_config_selectorIiNS0_10empty_typeEEEZZNS1_29radix_sort_onesweep_iterationIS3_Lb1EPiS8_PS5_S9_mNS0_19identity_decomposerENS1_16block_id_wrapperIjLb0EEEEE10hipError_tT1_PNSt15iterator_traitsISE_E10value_typeET2_T3_PNSF_ISK_E10value_typeET4_T5_PSP_SQ_PNS1_23onesweep_lookback_stateEbbT6_jjT7_P12ihipStream_tbENKUlT_T0_SE_SJ_E_clIS8_S8_S9_S9_EEDaSX_SY_SE_SJ_EUlSX_E_NS1_11comp_targetILNS1_3genE2ELNS1_11target_archE906ELNS1_3gpuE6ELNS1_3repE0EEENS1_47radix_sort_onesweep_sort_config_static_selectorELNS0_4arch9wavefront6targetE1EEEvSE_.kd
    .uniform_work_group_size: 1
    .uses_dynamic_stack: false
    .vgpr_count:     0
    .vgpr_spill_count: 0
    .wavefront_size: 64
  - .agpr_count:     0
    .args:
      - .offset:         0
        .size:           88
        .value_kind:     by_value
      - .offset:         88
        .size:           4
        .value_kind:     hidden_block_count_x
      - .offset:         92
        .size:           4
        .value_kind:     hidden_block_count_y
      - .offset:         96
        .size:           4
        .value_kind:     hidden_block_count_z
      - .offset:         100
        .size:           2
        .value_kind:     hidden_group_size_x
      - .offset:         102
        .size:           2
        .value_kind:     hidden_group_size_y
      - .offset:         104
        .size:           2
        .value_kind:     hidden_group_size_z
      - .offset:         106
        .size:           2
        .value_kind:     hidden_remainder_x
      - .offset:         108
        .size:           2
        .value_kind:     hidden_remainder_y
      - .offset:         110
        .size:           2
        .value_kind:     hidden_remainder_z
      - .offset:         128
        .size:           8
        .value_kind:     hidden_global_offset_x
      - .offset:         136
        .size:           8
        .value_kind:     hidden_global_offset_y
      - .offset:         144
        .size:           8
        .value_kind:     hidden_global_offset_z
      - .offset:         152
        .size:           2
        .value_kind:     hidden_grid_dims
    .group_segment_fixed_size: 20552
    .kernarg_segment_align: 8
    .kernarg_segment_size: 344
    .language:       OpenCL C
    .language_version:
      - 2
      - 0
    .max_flat_workgroup_size: 1024
    .name:           _ZN7rocprim17ROCPRIM_400000_NS6detail17trampoline_kernelINS0_14default_configENS1_35radix_sort_onesweep_config_selectorIiNS0_10empty_typeEEEZZNS1_29radix_sort_onesweep_iterationIS3_Lb1EPiS8_PS5_S9_mNS0_19identity_decomposerENS1_16block_id_wrapperIjLb0EEEEE10hipError_tT1_PNSt15iterator_traitsISE_E10value_typeET2_T3_PNSF_ISK_E10value_typeET4_T5_PSP_SQ_PNS1_23onesweep_lookback_stateEbbT6_jjT7_P12ihipStream_tbENKUlT_T0_SE_SJ_E_clIS8_S8_S9_S9_EEDaSX_SY_SE_SJ_EUlSX_E_NS1_11comp_targetILNS1_3genE4ELNS1_11target_archE910ELNS1_3gpuE8ELNS1_3repE0EEENS1_47radix_sort_onesweep_sort_config_static_selectorELNS0_4arch9wavefront6targetE1EEEvSE_
    .private_segment_fixed_size: 0
    .sgpr_count:     35
    .sgpr_spill_count: 0
    .symbol:         _ZN7rocprim17ROCPRIM_400000_NS6detail17trampoline_kernelINS0_14default_configENS1_35radix_sort_onesweep_config_selectorIiNS0_10empty_typeEEEZZNS1_29radix_sort_onesweep_iterationIS3_Lb1EPiS8_PS5_S9_mNS0_19identity_decomposerENS1_16block_id_wrapperIjLb0EEEEE10hipError_tT1_PNSt15iterator_traitsISE_E10value_typeET2_T3_PNSF_ISK_E10value_typeET4_T5_PSP_SQ_PNS1_23onesweep_lookback_stateEbbT6_jjT7_P12ihipStream_tbENKUlT_T0_SE_SJ_E_clIS8_S8_S9_S9_EEDaSX_SY_SE_SJ_EUlSX_E_NS1_11comp_targetILNS1_3genE4ELNS1_11target_archE910ELNS1_3gpuE8ELNS1_3repE0EEENS1_47radix_sort_onesweep_sort_config_static_selectorELNS0_4arch9wavefront6targetE1EEEvSE_.kd
    .uniform_work_group_size: 1
    .uses_dynamic_stack: false
    .vgpr_count:     63
    .vgpr_spill_count: 0
    .wavefront_size: 64
  - .agpr_count:     0
    .args:
      - .offset:         0
        .size:           88
        .value_kind:     by_value
    .group_segment_fixed_size: 0
    .kernarg_segment_align: 8
    .kernarg_segment_size: 88
    .language:       OpenCL C
    .language_version:
      - 2
      - 0
    .max_flat_workgroup_size: 512
    .name:           _ZN7rocprim17ROCPRIM_400000_NS6detail17trampoline_kernelINS0_14default_configENS1_35radix_sort_onesweep_config_selectorIiNS0_10empty_typeEEEZZNS1_29radix_sort_onesweep_iterationIS3_Lb1EPiS8_PS5_S9_mNS0_19identity_decomposerENS1_16block_id_wrapperIjLb0EEEEE10hipError_tT1_PNSt15iterator_traitsISE_E10value_typeET2_T3_PNSF_ISK_E10value_typeET4_T5_PSP_SQ_PNS1_23onesweep_lookback_stateEbbT6_jjT7_P12ihipStream_tbENKUlT_T0_SE_SJ_E_clIS8_S8_S9_S9_EEDaSX_SY_SE_SJ_EUlSX_E_NS1_11comp_targetILNS1_3genE3ELNS1_11target_archE908ELNS1_3gpuE7ELNS1_3repE0EEENS1_47radix_sort_onesweep_sort_config_static_selectorELNS0_4arch9wavefront6targetE1EEEvSE_
    .private_segment_fixed_size: 0
    .sgpr_count:     4
    .sgpr_spill_count: 0
    .symbol:         _ZN7rocprim17ROCPRIM_400000_NS6detail17trampoline_kernelINS0_14default_configENS1_35radix_sort_onesweep_config_selectorIiNS0_10empty_typeEEEZZNS1_29radix_sort_onesweep_iterationIS3_Lb1EPiS8_PS5_S9_mNS0_19identity_decomposerENS1_16block_id_wrapperIjLb0EEEEE10hipError_tT1_PNSt15iterator_traitsISE_E10value_typeET2_T3_PNSF_ISK_E10value_typeET4_T5_PSP_SQ_PNS1_23onesweep_lookback_stateEbbT6_jjT7_P12ihipStream_tbENKUlT_T0_SE_SJ_E_clIS8_S8_S9_S9_EEDaSX_SY_SE_SJ_EUlSX_E_NS1_11comp_targetILNS1_3genE3ELNS1_11target_archE908ELNS1_3gpuE7ELNS1_3repE0EEENS1_47radix_sort_onesweep_sort_config_static_selectorELNS0_4arch9wavefront6targetE1EEEvSE_.kd
    .uniform_work_group_size: 1
    .uses_dynamic_stack: false
    .vgpr_count:     0
    .vgpr_spill_count: 0
    .wavefront_size: 64
  - .agpr_count:     0
    .args:
      - .offset:         0
        .size:           88
        .value_kind:     by_value
    .group_segment_fixed_size: 0
    .kernarg_segment_align: 8
    .kernarg_segment_size: 88
    .language:       OpenCL C
    .language_version:
      - 2
      - 0
    .max_flat_workgroup_size: 1024
    .name:           _ZN7rocprim17ROCPRIM_400000_NS6detail17trampoline_kernelINS0_14default_configENS1_35radix_sort_onesweep_config_selectorIiNS0_10empty_typeEEEZZNS1_29radix_sort_onesweep_iterationIS3_Lb1EPiS8_PS5_S9_mNS0_19identity_decomposerENS1_16block_id_wrapperIjLb0EEEEE10hipError_tT1_PNSt15iterator_traitsISE_E10value_typeET2_T3_PNSF_ISK_E10value_typeET4_T5_PSP_SQ_PNS1_23onesweep_lookback_stateEbbT6_jjT7_P12ihipStream_tbENKUlT_T0_SE_SJ_E_clIS8_S8_S9_S9_EEDaSX_SY_SE_SJ_EUlSX_E_NS1_11comp_targetILNS1_3genE10ELNS1_11target_archE1201ELNS1_3gpuE5ELNS1_3repE0EEENS1_47radix_sort_onesweep_sort_config_static_selectorELNS0_4arch9wavefront6targetE1EEEvSE_
    .private_segment_fixed_size: 0
    .sgpr_count:     4
    .sgpr_spill_count: 0
    .symbol:         _ZN7rocprim17ROCPRIM_400000_NS6detail17trampoline_kernelINS0_14default_configENS1_35radix_sort_onesweep_config_selectorIiNS0_10empty_typeEEEZZNS1_29radix_sort_onesweep_iterationIS3_Lb1EPiS8_PS5_S9_mNS0_19identity_decomposerENS1_16block_id_wrapperIjLb0EEEEE10hipError_tT1_PNSt15iterator_traitsISE_E10value_typeET2_T3_PNSF_ISK_E10value_typeET4_T5_PSP_SQ_PNS1_23onesweep_lookback_stateEbbT6_jjT7_P12ihipStream_tbENKUlT_T0_SE_SJ_E_clIS8_S8_S9_S9_EEDaSX_SY_SE_SJ_EUlSX_E_NS1_11comp_targetILNS1_3genE10ELNS1_11target_archE1201ELNS1_3gpuE5ELNS1_3repE0EEENS1_47radix_sort_onesweep_sort_config_static_selectorELNS0_4arch9wavefront6targetE1EEEvSE_.kd
    .uniform_work_group_size: 1
    .uses_dynamic_stack: false
    .vgpr_count:     0
    .vgpr_spill_count: 0
    .wavefront_size: 64
  - .agpr_count:     0
    .args:
      - .offset:         0
        .size:           88
        .value_kind:     by_value
    .group_segment_fixed_size: 0
    .kernarg_segment_align: 8
    .kernarg_segment_size: 88
    .language:       OpenCL C
    .language_version:
      - 2
      - 0
    .max_flat_workgroup_size: 1024
    .name:           _ZN7rocprim17ROCPRIM_400000_NS6detail17trampoline_kernelINS0_14default_configENS1_35radix_sort_onesweep_config_selectorIiNS0_10empty_typeEEEZZNS1_29radix_sort_onesweep_iterationIS3_Lb1EPiS8_PS5_S9_mNS0_19identity_decomposerENS1_16block_id_wrapperIjLb0EEEEE10hipError_tT1_PNSt15iterator_traitsISE_E10value_typeET2_T3_PNSF_ISK_E10value_typeET4_T5_PSP_SQ_PNS1_23onesweep_lookback_stateEbbT6_jjT7_P12ihipStream_tbENKUlT_T0_SE_SJ_E_clIS8_S8_S9_S9_EEDaSX_SY_SE_SJ_EUlSX_E_NS1_11comp_targetILNS1_3genE9ELNS1_11target_archE1100ELNS1_3gpuE3ELNS1_3repE0EEENS1_47radix_sort_onesweep_sort_config_static_selectorELNS0_4arch9wavefront6targetE1EEEvSE_
    .private_segment_fixed_size: 0
    .sgpr_count:     4
    .sgpr_spill_count: 0
    .symbol:         _ZN7rocprim17ROCPRIM_400000_NS6detail17trampoline_kernelINS0_14default_configENS1_35radix_sort_onesweep_config_selectorIiNS0_10empty_typeEEEZZNS1_29radix_sort_onesweep_iterationIS3_Lb1EPiS8_PS5_S9_mNS0_19identity_decomposerENS1_16block_id_wrapperIjLb0EEEEE10hipError_tT1_PNSt15iterator_traitsISE_E10value_typeET2_T3_PNSF_ISK_E10value_typeET4_T5_PSP_SQ_PNS1_23onesweep_lookback_stateEbbT6_jjT7_P12ihipStream_tbENKUlT_T0_SE_SJ_E_clIS8_S8_S9_S9_EEDaSX_SY_SE_SJ_EUlSX_E_NS1_11comp_targetILNS1_3genE9ELNS1_11target_archE1100ELNS1_3gpuE3ELNS1_3repE0EEENS1_47radix_sort_onesweep_sort_config_static_selectorELNS0_4arch9wavefront6targetE1EEEvSE_.kd
    .uniform_work_group_size: 1
    .uses_dynamic_stack: false
    .vgpr_count:     0
    .vgpr_spill_count: 0
    .wavefront_size: 64
  - .agpr_count:     0
    .args:
      - .offset:         0
        .size:           88
        .value_kind:     by_value
    .group_segment_fixed_size: 0
    .kernarg_segment_align: 8
    .kernarg_segment_size: 88
    .language:       OpenCL C
    .language_version:
      - 2
      - 0
    .max_flat_workgroup_size: 1024
    .name:           _ZN7rocprim17ROCPRIM_400000_NS6detail17trampoline_kernelINS0_14default_configENS1_35radix_sort_onesweep_config_selectorIiNS0_10empty_typeEEEZZNS1_29radix_sort_onesweep_iterationIS3_Lb1EPiS8_PS5_S9_mNS0_19identity_decomposerENS1_16block_id_wrapperIjLb0EEEEE10hipError_tT1_PNSt15iterator_traitsISE_E10value_typeET2_T3_PNSF_ISK_E10value_typeET4_T5_PSP_SQ_PNS1_23onesweep_lookback_stateEbbT6_jjT7_P12ihipStream_tbENKUlT_T0_SE_SJ_E_clIS8_S8_S9_S9_EEDaSX_SY_SE_SJ_EUlSX_E_NS1_11comp_targetILNS1_3genE8ELNS1_11target_archE1030ELNS1_3gpuE2ELNS1_3repE0EEENS1_47radix_sort_onesweep_sort_config_static_selectorELNS0_4arch9wavefront6targetE1EEEvSE_
    .private_segment_fixed_size: 0
    .sgpr_count:     4
    .sgpr_spill_count: 0
    .symbol:         _ZN7rocprim17ROCPRIM_400000_NS6detail17trampoline_kernelINS0_14default_configENS1_35radix_sort_onesweep_config_selectorIiNS0_10empty_typeEEEZZNS1_29radix_sort_onesweep_iterationIS3_Lb1EPiS8_PS5_S9_mNS0_19identity_decomposerENS1_16block_id_wrapperIjLb0EEEEE10hipError_tT1_PNSt15iterator_traitsISE_E10value_typeET2_T3_PNSF_ISK_E10value_typeET4_T5_PSP_SQ_PNS1_23onesweep_lookback_stateEbbT6_jjT7_P12ihipStream_tbENKUlT_T0_SE_SJ_E_clIS8_S8_S9_S9_EEDaSX_SY_SE_SJ_EUlSX_E_NS1_11comp_targetILNS1_3genE8ELNS1_11target_archE1030ELNS1_3gpuE2ELNS1_3repE0EEENS1_47radix_sort_onesweep_sort_config_static_selectorELNS0_4arch9wavefront6targetE1EEEvSE_.kd
    .uniform_work_group_size: 1
    .uses_dynamic_stack: false
    .vgpr_count:     0
    .vgpr_spill_count: 0
    .wavefront_size: 64
  - .agpr_count:     0
    .args:
      - .offset:         0
        .size:           48
        .value_kind:     by_value
    .group_segment_fixed_size: 0
    .kernarg_segment_align: 8
    .kernarg_segment_size: 48
    .language:       OpenCL C
    .language_version:
      - 2
      - 0
    .max_flat_workgroup_size: 256
    .name:           _ZN7rocprim17ROCPRIM_400000_NS6detail17trampoline_kernelINS0_13kernel_configILj256ELj4ELj4294967295EEENS1_37radix_sort_block_sort_config_selectorIjNS0_10empty_typeEEEZNS1_21radix_sort_block_sortIS4_Lb1EPjS9_PS6_SA_NS0_19identity_decomposerEEE10hipError_tT1_T2_T3_T4_jRjT5_jjP12ihipStream_tbEUlT_E_NS1_11comp_targetILNS1_3genE0ELNS1_11target_archE4294967295ELNS1_3gpuE0ELNS1_3repE0EEENS1_44radix_sort_block_sort_config_static_selectorELNS0_4arch9wavefront6targetE1EEEvSD_
    .private_segment_fixed_size: 0
    .sgpr_count:     4
    .sgpr_spill_count: 0
    .symbol:         _ZN7rocprim17ROCPRIM_400000_NS6detail17trampoline_kernelINS0_13kernel_configILj256ELj4ELj4294967295EEENS1_37radix_sort_block_sort_config_selectorIjNS0_10empty_typeEEEZNS1_21radix_sort_block_sortIS4_Lb1EPjS9_PS6_SA_NS0_19identity_decomposerEEE10hipError_tT1_T2_T3_T4_jRjT5_jjP12ihipStream_tbEUlT_E_NS1_11comp_targetILNS1_3genE0ELNS1_11target_archE4294967295ELNS1_3gpuE0ELNS1_3repE0EEENS1_44radix_sort_block_sort_config_static_selectorELNS0_4arch9wavefront6targetE1EEEvSD_.kd
    .uniform_work_group_size: 1
    .uses_dynamic_stack: false
    .vgpr_count:     0
    .vgpr_spill_count: 0
    .wavefront_size: 64
  - .agpr_count:     0
    .args:
      - .offset:         0
        .size:           48
        .value_kind:     by_value
    .group_segment_fixed_size: 0
    .kernarg_segment_align: 8
    .kernarg_segment_size: 48
    .language:       OpenCL C
    .language_version:
      - 2
      - 0
    .max_flat_workgroup_size: 256
    .name:           _ZN7rocprim17ROCPRIM_400000_NS6detail17trampoline_kernelINS0_13kernel_configILj256ELj4ELj4294967295EEENS1_37radix_sort_block_sort_config_selectorIjNS0_10empty_typeEEEZNS1_21radix_sort_block_sortIS4_Lb1EPjS9_PS6_SA_NS0_19identity_decomposerEEE10hipError_tT1_T2_T3_T4_jRjT5_jjP12ihipStream_tbEUlT_E_NS1_11comp_targetILNS1_3genE5ELNS1_11target_archE942ELNS1_3gpuE9ELNS1_3repE0EEENS1_44radix_sort_block_sort_config_static_selectorELNS0_4arch9wavefront6targetE1EEEvSD_
    .private_segment_fixed_size: 0
    .sgpr_count:     4
    .sgpr_spill_count: 0
    .symbol:         _ZN7rocprim17ROCPRIM_400000_NS6detail17trampoline_kernelINS0_13kernel_configILj256ELj4ELj4294967295EEENS1_37radix_sort_block_sort_config_selectorIjNS0_10empty_typeEEEZNS1_21radix_sort_block_sortIS4_Lb1EPjS9_PS6_SA_NS0_19identity_decomposerEEE10hipError_tT1_T2_T3_T4_jRjT5_jjP12ihipStream_tbEUlT_E_NS1_11comp_targetILNS1_3genE5ELNS1_11target_archE942ELNS1_3gpuE9ELNS1_3repE0EEENS1_44radix_sort_block_sort_config_static_selectorELNS0_4arch9wavefront6targetE1EEEvSD_.kd
    .uniform_work_group_size: 1
    .uses_dynamic_stack: false
    .vgpr_count:     0
    .vgpr_spill_count: 0
    .wavefront_size: 64
  - .agpr_count:     0
    .args:
      - .offset:         0
        .size:           48
        .value_kind:     by_value
      - .offset:         48
        .size:           4
        .value_kind:     hidden_block_count_x
      - .offset:         52
        .size:           4
        .value_kind:     hidden_block_count_y
      - .offset:         56
        .size:           4
        .value_kind:     hidden_block_count_z
      - .offset:         60
        .size:           2
        .value_kind:     hidden_group_size_x
      - .offset:         62
        .size:           2
        .value_kind:     hidden_group_size_y
      - .offset:         64
        .size:           2
        .value_kind:     hidden_group_size_z
      - .offset:         66
        .size:           2
        .value_kind:     hidden_remainder_x
      - .offset:         68
        .size:           2
        .value_kind:     hidden_remainder_y
      - .offset:         70
        .size:           2
        .value_kind:     hidden_remainder_z
      - .offset:         88
        .size:           8
        .value_kind:     hidden_global_offset_x
      - .offset:         96
        .size:           8
        .value_kind:     hidden_global_offset_y
      - .offset:         104
        .size:           8
        .value_kind:     hidden_global_offset_z
      - .offset:         112
        .size:           2
        .value_kind:     hidden_grid_dims
    .group_segment_fixed_size: 4112
    .kernarg_segment_align: 8
    .kernarg_segment_size: 304
    .language:       OpenCL C
    .language_version:
      - 2
      - 0
    .max_flat_workgroup_size: 256
    .name:           _ZN7rocprim17ROCPRIM_400000_NS6detail17trampoline_kernelINS0_13kernel_configILj256ELj4ELj4294967295EEENS1_37radix_sort_block_sort_config_selectorIjNS0_10empty_typeEEEZNS1_21radix_sort_block_sortIS4_Lb1EPjS9_PS6_SA_NS0_19identity_decomposerEEE10hipError_tT1_T2_T3_T4_jRjT5_jjP12ihipStream_tbEUlT_E_NS1_11comp_targetILNS1_3genE4ELNS1_11target_archE910ELNS1_3gpuE8ELNS1_3repE0EEENS1_44radix_sort_block_sort_config_static_selectorELNS0_4arch9wavefront6targetE1EEEvSD_
    .private_segment_fixed_size: 0
    .sgpr_count:     48
    .sgpr_spill_count: 0
    .symbol:         _ZN7rocprim17ROCPRIM_400000_NS6detail17trampoline_kernelINS0_13kernel_configILj256ELj4ELj4294967295EEENS1_37radix_sort_block_sort_config_selectorIjNS0_10empty_typeEEEZNS1_21radix_sort_block_sortIS4_Lb1EPjS9_PS6_SA_NS0_19identity_decomposerEEE10hipError_tT1_T2_T3_T4_jRjT5_jjP12ihipStream_tbEUlT_E_NS1_11comp_targetILNS1_3genE4ELNS1_11target_archE910ELNS1_3gpuE8ELNS1_3repE0EEENS1_44radix_sort_block_sort_config_static_selectorELNS0_4arch9wavefront6targetE1EEEvSD_.kd
    .uniform_work_group_size: 1
    .uses_dynamic_stack: false
    .vgpr_count:     39
    .vgpr_spill_count: 0
    .wavefront_size: 64
  - .agpr_count:     0
    .args:
      - .offset:         0
        .size:           48
        .value_kind:     by_value
    .group_segment_fixed_size: 0
    .kernarg_segment_align: 8
    .kernarg_segment_size: 48
    .language:       OpenCL C
    .language_version:
      - 2
      - 0
    .max_flat_workgroup_size: 256
    .name:           _ZN7rocprim17ROCPRIM_400000_NS6detail17trampoline_kernelINS0_13kernel_configILj256ELj4ELj4294967295EEENS1_37radix_sort_block_sort_config_selectorIjNS0_10empty_typeEEEZNS1_21radix_sort_block_sortIS4_Lb1EPjS9_PS6_SA_NS0_19identity_decomposerEEE10hipError_tT1_T2_T3_T4_jRjT5_jjP12ihipStream_tbEUlT_E_NS1_11comp_targetILNS1_3genE3ELNS1_11target_archE908ELNS1_3gpuE7ELNS1_3repE0EEENS1_44radix_sort_block_sort_config_static_selectorELNS0_4arch9wavefront6targetE1EEEvSD_
    .private_segment_fixed_size: 0
    .sgpr_count:     4
    .sgpr_spill_count: 0
    .symbol:         _ZN7rocprim17ROCPRIM_400000_NS6detail17trampoline_kernelINS0_13kernel_configILj256ELj4ELj4294967295EEENS1_37radix_sort_block_sort_config_selectorIjNS0_10empty_typeEEEZNS1_21radix_sort_block_sortIS4_Lb1EPjS9_PS6_SA_NS0_19identity_decomposerEEE10hipError_tT1_T2_T3_T4_jRjT5_jjP12ihipStream_tbEUlT_E_NS1_11comp_targetILNS1_3genE3ELNS1_11target_archE908ELNS1_3gpuE7ELNS1_3repE0EEENS1_44radix_sort_block_sort_config_static_selectorELNS0_4arch9wavefront6targetE1EEEvSD_.kd
    .uniform_work_group_size: 1
    .uses_dynamic_stack: false
    .vgpr_count:     0
    .vgpr_spill_count: 0
    .wavefront_size: 64
  - .agpr_count:     0
    .args:
      - .offset:         0
        .size:           48
        .value_kind:     by_value
    .group_segment_fixed_size: 0
    .kernarg_segment_align: 8
    .kernarg_segment_size: 48
    .language:       OpenCL C
    .language_version:
      - 2
      - 0
    .max_flat_workgroup_size: 256
    .name:           _ZN7rocprim17ROCPRIM_400000_NS6detail17trampoline_kernelINS0_13kernel_configILj256ELj4ELj4294967295EEENS1_37radix_sort_block_sort_config_selectorIjNS0_10empty_typeEEEZNS1_21radix_sort_block_sortIS4_Lb1EPjS9_PS6_SA_NS0_19identity_decomposerEEE10hipError_tT1_T2_T3_T4_jRjT5_jjP12ihipStream_tbEUlT_E_NS1_11comp_targetILNS1_3genE2ELNS1_11target_archE906ELNS1_3gpuE6ELNS1_3repE0EEENS1_44radix_sort_block_sort_config_static_selectorELNS0_4arch9wavefront6targetE1EEEvSD_
    .private_segment_fixed_size: 0
    .sgpr_count:     4
    .sgpr_spill_count: 0
    .symbol:         _ZN7rocprim17ROCPRIM_400000_NS6detail17trampoline_kernelINS0_13kernel_configILj256ELj4ELj4294967295EEENS1_37radix_sort_block_sort_config_selectorIjNS0_10empty_typeEEEZNS1_21radix_sort_block_sortIS4_Lb1EPjS9_PS6_SA_NS0_19identity_decomposerEEE10hipError_tT1_T2_T3_T4_jRjT5_jjP12ihipStream_tbEUlT_E_NS1_11comp_targetILNS1_3genE2ELNS1_11target_archE906ELNS1_3gpuE6ELNS1_3repE0EEENS1_44radix_sort_block_sort_config_static_selectorELNS0_4arch9wavefront6targetE1EEEvSD_.kd
    .uniform_work_group_size: 1
    .uses_dynamic_stack: false
    .vgpr_count:     0
    .vgpr_spill_count: 0
    .wavefront_size: 64
  - .agpr_count:     0
    .args:
      - .offset:         0
        .size:           48
        .value_kind:     by_value
    .group_segment_fixed_size: 0
    .kernarg_segment_align: 8
    .kernarg_segment_size: 48
    .language:       OpenCL C
    .language_version:
      - 2
      - 0
    .max_flat_workgroup_size: 256
    .name:           _ZN7rocprim17ROCPRIM_400000_NS6detail17trampoline_kernelINS0_13kernel_configILj256ELj4ELj4294967295EEENS1_37radix_sort_block_sort_config_selectorIjNS0_10empty_typeEEEZNS1_21radix_sort_block_sortIS4_Lb1EPjS9_PS6_SA_NS0_19identity_decomposerEEE10hipError_tT1_T2_T3_T4_jRjT5_jjP12ihipStream_tbEUlT_E_NS1_11comp_targetILNS1_3genE10ELNS1_11target_archE1201ELNS1_3gpuE5ELNS1_3repE0EEENS1_44radix_sort_block_sort_config_static_selectorELNS0_4arch9wavefront6targetE1EEEvSD_
    .private_segment_fixed_size: 0
    .sgpr_count:     4
    .sgpr_spill_count: 0
    .symbol:         _ZN7rocprim17ROCPRIM_400000_NS6detail17trampoline_kernelINS0_13kernel_configILj256ELj4ELj4294967295EEENS1_37radix_sort_block_sort_config_selectorIjNS0_10empty_typeEEEZNS1_21radix_sort_block_sortIS4_Lb1EPjS9_PS6_SA_NS0_19identity_decomposerEEE10hipError_tT1_T2_T3_T4_jRjT5_jjP12ihipStream_tbEUlT_E_NS1_11comp_targetILNS1_3genE10ELNS1_11target_archE1201ELNS1_3gpuE5ELNS1_3repE0EEENS1_44radix_sort_block_sort_config_static_selectorELNS0_4arch9wavefront6targetE1EEEvSD_.kd
    .uniform_work_group_size: 1
    .uses_dynamic_stack: false
    .vgpr_count:     0
    .vgpr_spill_count: 0
    .wavefront_size: 64
  - .agpr_count:     0
    .args:
      - .offset:         0
        .size:           48
        .value_kind:     by_value
    .group_segment_fixed_size: 0
    .kernarg_segment_align: 8
    .kernarg_segment_size: 48
    .language:       OpenCL C
    .language_version:
      - 2
      - 0
    .max_flat_workgroup_size: 256
    .name:           _ZN7rocprim17ROCPRIM_400000_NS6detail17trampoline_kernelINS0_13kernel_configILj256ELj4ELj4294967295EEENS1_37radix_sort_block_sort_config_selectorIjNS0_10empty_typeEEEZNS1_21radix_sort_block_sortIS4_Lb1EPjS9_PS6_SA_NS0_19identity_decomposerEEE10hipError_tT1_T2_T3_T4_jRjT5_jjP12ihipStream_tbEUlT_E_NS1_11comp_targetILNS1_3genE10ELNS1_11target_archE1200ELNS1_3gpuE4ELNS1_3repE0EEENS1_44radix_sort_block_sort_config_static_selectorELNS0_4arch9wavefront6targetE1EEEvSD_
    .private_segment_fixed_size: 0
    .sgpr_count:     4
    .sgpr_spill_count: 0
    .symbol:         _ZN7rocprim17ROCPRIM_400000_NS6detail17trampoline_kernelINS0_13kernel_configILj256ELj4ELj4294967295EEENS1_37radix_sort_block_sort_config_selectorIjNS0_10empty_typeEEEZNS1_21radix_sort_block_sortIS4_Lb1EPjS9_PS6_SA_NS0_19identity_decomposerEEE10hipError_tT1_T2_T3_T4_jRjT5_jjP12ihipStream_tbEUlT_E_NS1_11comp_targetILNS1_3genE10ELNS1_11target_archE1200ELNS1_3gpuE4ELNS1_3repE0EEENS1_44radix_sort_block_sort_config_static_selectorELNS0_4arch9wavefront6targetE1EEEvSD_.kd
    .uniform_work_group_size: 1
    .uses_dynamic_stack: false
    .vgpr_count:     0
    .vgpr_spill_count: 0
    .wavefront_size: 64
  - .agpr_count:     0
    .args:
      - .offset:         0
        .size:           48
        .value_kind:     by_value
    .group_segment_fixed_size: 0
    .kernarg_segment_align: 8
    .kernarg_segment_size: 48
    .language:       OpenCL C
    .language_version:
      - 2
      - 0
    .max_flat_workgroup_size: 256
    .name:           _ZN7rocprim17ROCPRIM_400000_NS6detail17trampoline_kernelINS0_13kernel_configILj256ELj4ELj4294967295EEENS1_37radix_sort_block_sort_config_selectorIjNS0_10empty_typeEEEZNS1_21radix_sort_block_sortIS4_Lb1EPjS9_PS6_SA_NS0_19identity_decomposerEEE10hipError_tT1_T2_T3_T4_jRjT5_jjP12ihipStream_tbEUlT_E_NS1_11comp_targetILNS1_3genE9ELNS1_11target_archE1100ELNS1_3gpuE3ELNS1_3repE0EEENS1_44radix_sort_block_sort_config_static_selectorELNS0_4arch9wavefront6targetE1EEEvSD_
    .private_segment_fixed_size: 0
    .sgpr_count:     4
    .sgpr_spill_count: 0
    .symbol:         _ZN7rocprim17ROCPRIM_400000_NS6detail17trampoline_kernelINS0_13kernel_configILj256ELj4ELj4294967295EEENS1_37radix_sort_block_sort_config_selectorIjNS0_10empty_typeEEEZNS1_21radix_sort_block_sortIS4_Lb1EPjS9_PS6_SA_NS0_19identity_decomposerEEE10hipError_tT1_T2_T3_T4_jRjT5_jjP12ihipStream_tbEUlT_E_NS1_11comp_targetILNS1_3genE9ELNS1_11target_archE1100ELNS1_3gpuE3ELNS1_3repE0EEENS1_44radix_sort_block_sort_config_static_selectorELNS0_4arch9wavefront6targetE1EEEvSD_.kd
    .uniform_work_group_size: 1
    .uses_dynamic_stack: false
    .vgpr_count:     0
    .vgpr_spill_count: 0
    .wavefront_size: 64
  - .agpr_count:     0
    .args:
      - .offset:         0
        .size:           48
        .value_kind:     by_value
    .group_segment_fixed_size: 0
    .kernarg_segment_align: 8
    .kernarg_segment_size: 48
    .language:       OpenCL C
    .language_version:
      - 2
      - 0
    .max_flat_workgroup_size: 256
    .name:           _ZN7rocprim17ROCPRIM_400000_NS6detail17trampoline_kernelINS0_13kernel_configILj256ELj4ELj4294967295EEENS1_37radix_sort_block_sort_config_selectorIjNS0_10empty_typeEEEZNS1_21radix_sort_block_sortIS4_Lb1EPjS9_PS6_SA_NS0_19identity_decomposerEEE10hipError_tT1_T2_T3_T4_jRjT5_jjP12ihipStream_tbEUlT_E_NS1_11comp_targetILNS1_3genE8ELNS1_11target_archE1030ELNS1_3gpuE2ELNS1_3repE0EEENS1_44radix_sort_block_sort_config_static_selectorELNS0_4arch9wavefront6targetE1EEEvSD_
    .private_segment_fixed_size: 0
    .sgpr_count:     4
    .sgpr_spill_count: 0
    .symbol:         _ZN7rocprim17ROCPRIM_400000_NS6detail17trampoline_kernelINS0_13kernel_configILj256ELj4ELj4294967295EEENS1_37radix_sort_block_sort_config_selectorIjNS0_10empty_typeEEEZNS1_21radix_sort_block_sortIS4_Lb1EPjS9_PS6_SA_NS0_19identity_decomposerEEE10hipError_tT1_T2_T3_T4_jRjT5_jjP12ihipStream_tbEUlT_E_NS1_11comp_targetILNS1_3genE8ELNS1_11target_archE1030ELNS1_3gpuE2ELNS1_3repE0EEENS1_44radix_sort_block_sort_config_static_selectorELNS0_4arch9wavefront6targetE1EEEvSD_.kd
    .uniform_work_group_size: 1
    .uses_dynamic_stack: false
    .vgpr_count:     0
    .vgpr_spill_count: 0
    .wavefront_size: 64
  - .agpr_count:     0
    .args:
      - .offset:         0
        .size:           40
        .value_kind:     by_value
    .group_segment_fixed_size: 0
    .kernarg_segment_align: 8
    .kernarg_segment_size: 40
    .language:       OpenCL C
    .language_version:
      - 2
      - 0
    .max_flat_workgroup_size: 128
    .name:           _ZN7rocprim17ROCPRIM_400000_NS6detail17trampoline_kernelINS0_14default_configENS1_38merge_sort_block_merge_config_selectorIjNS0_10empty_typeEEEZZNS1_27merge_sort_block_merge_implIS3_PjPS5_jNS1_19radix_merge_compareILb1ELb0EjNS0_19identity_decomposerEEEEE10hipError_tT0_T1_T2_jT3_P12ihipStream_tbPNSt15iterator_traitsISE_E10value_typeEPNSK_ISF_E10value_typeEPSG_NS1_7vsmem_tEENKUlT_SE_SF_SG_E_clIS8_S8_S9_S9_EESD_ST_SE_SF_SG_EUlST_E_NS1_11comp_targetILNS1_3genE0ELNS1_11target_archE4294967295ELNS1_3gpuE0ELNS1_3repE0EEENS1_48merge_mergepath_partition_config_static_selectorELNS0_4arch9wavefront6targetE1EEEvSF_
    .private_segment_fixed_size: 0
    .sgpr_count:     4
    .sgpr_spill_count: 0
    .symbol:         _ZN7rocprim17ROCPRIM_400000_NS6detail17trampoline_kernelINS0_14default_configENS1_38merge_sort_block_merge_config_selectorIjNS0_10empty_typeEEEZZNS1_27merge_sort_block_merge_implIS3_PjPS5_jNS1_19radix_merge_compareILb1ELb0EjNS0_19identity_decomposerEEEEE10hipError_tT0_T1_T2_jT3_P12ihipStream_tbPNSt15iterator_traitsISE_E10value_typeEPNSK_ISF_E10value_typeEPSG_NS1_7vsmem_tEENKUlT_SE_SF_SG_E_clIS8_S8_S9_S9_EESD_ST_SE_SF_SG_EUlST_E_NS1_11comp_targetILNS1_3genE0ELNS1_11target_archE4294967295ELNS1_3gpuE0ELNS1_3repE0EEENS1_48merge_mergepath_partition_config_static_selectorELNS0_4arch9wavefront6targetE1EEEvSF_.kd
    .uniform_work_group_size: 1
    .uses_dynamic_stack: false
    .vgpr_count:     0
    .vgpr_spill_count: 0
    .wavefront_size: 64
  - .agpr_count:     0
    .args:
      - .offset:         0
        .size:           40
        .value_kind:     by_value
    .group_segment_fixed_size: 0
    .kernarg_segment_align: 8
    .kernarg_segment_size: 40
    .language:       OpenCL C
    .language_version:
      - 2
      - 0
    .max_flat_workgroup_size: 128
    .name:           _ZN7rocprim17ROCPRIM_400000_NS6detail17trampoline_kernelINS0_14default_configENS1_38merge_sort_block_merge_config_selectorIjNS0_10empty_typeEEEZZNS1_27merge_sort_block_merge_implIS3_PjPS5_jNS1_19radix_merge_compareILb1ELb0EjNS0_19identity_decomposerEEEEE10hipError_tT0_T1_T2_jT3_P12ihipStream_tbPNSt15iterator_traitsISE_E10value_typeEPNSK_ISF_E10value_typeEPSG_NS1_7vsmem_tEENKUlT_SE_SF_SG_E_clIS8_S8_S9_S9_EESD_ST_SE_SF_SG_EUlST_E_NS1_11comp_targetILNS1_3genE10ELNS1_11target_archE1201ELNS1_3gpuE5ELNS1_3repE0EEENS1_48merge_mergepath_partition_config_static_selectorELNS0_4arch9wavefront6targetE1EEEvSF_
    .private_segment_fixed_size: 0
    .sgpr_count:     4
    .sgpr_spill_count: 0
    .symbol:         _ZN7rocprim17ROCPRIM_400000_NS6detail17trampoline_kernelINS0_14default_configENS1_38merge_sort_block_merge_config_selectorIjNS0_10empty_typeEEEZZNS1_27merge_sort_block_merge_implIS3_PjPS5_jNS1_19radix_merge_compareILb1ELb0EjNS0_19identity_decomposerEEEEE10hipError_tT0_T1_T2_jT3_P12ihipStream_tbPNSt15iterator_traitsISE_E10value_typeEPNSK_ISF_E10value_typeEPSG_NS1_7vsmem_tEENKUlT_SE_SF_SG_E_clIS8_S8_S9_S9_EESD_ST_SE_SF_SG_EUlST_E_NS1_11comp_targetILNS1_3genE10ELNS1_11target_archE1201ELNS1_3gpuE5ELNS1_3repE0EEENS1_48merge_mergepath_partition_config_static_selectorELNS0_4arch9wavefront6targetE1EEEvSF_.kd
    .uniform_work_group_size: 1
    .uses_dynamic_stack: false
    .vgpr_count:     0
    .vgpr_spill_count: 0
    .wavefront_size: 64
  - .agpr_count:     0
    .args:
      - .offset:         0
        .size:           40
        .value_kind:     by_value
    .group_segment_fixed_size: 0
    .kernarg_segment_align: 8
    .kernarg_segment_size: 40
    .language:       OpenCL C
    .language_version:
      - 2
      - 0
    .max_flat_workgroup_size: 128
    .name:           _ZN7rocprim17ROCPRIM_400000_NS6detail17trampoline_kernelINS0_14default_configENS1_38merge_sort_block_merge_config_selectorIjNS0_10empty_typeEEEZZNS1_27merge_sort_block_merge_implIS3_PjPS5_jNS1_19radix_merge_compareILb1ELb0EjNS0_19identity_decomposerEEEEE10hipError_tT0_T1_T2_jT3_P12ihipStream_tbPNSt15iterator_traitsISE_E10value_typeEPNSK_ISF_E10value_typeEPSG_NS1_7vsmem_tEENKUlT_SE_SF_SG_E_clIS8_S8_S9_S9_EESD_ST_SE_SF_SG_EUlST_E_NS1_11comp_targetILNS1_3genE5ELNS1_11target_archE942ELNS1_3gpuE9ELNS1_3repE0EEENS1_48merge_mergepath_partition_config_static_selectorELNS0_4arch9wavefront6targetE1EEEvSF_
    .private_segment_fixed_size: 0
    .sgpr_count:     4
    .sgpr_spill_count: 0
    .symbol:         _ZN7rocprim17ROCPRIM_400000_NS6detail17trampoline_kernelINS0_14default_configENS1_38merge_sort_block_merge_config_selectorIjNS0_10empty_typeEEEZZNS1_27merge_sort_block_merge_implIS3_PjPS5_jNS1_19radix_merge_compareILb1ELb0EjNS0_19identity_decomposerEEEEE10hipError_tT0_T1_T2_jT3_P12ihipStream_tbPNSt15iterator_traitsISE_E10value_typeEPNSK_ISF_E10value_typeEPSG_NS1_7vsmem_tEENKUlT_SE_SF_SG_E_clIS8_S8_S9_S9_EESD_ST_SE_SF_SG_EUlST_E_NS1_11comp_targetILNS1_3genE5ELNS1_11target_archE942ELNS1_3gpuE9ELNS1_3repE0EEENS1_48merge_mergepath_partition_config_static_selectorELNS0_4arch9wavefront6targetE1EEEvSF_.kd
    .uniform_work_group_size: 1
    .uses_dynamic_stack: false
    .vgpr_count:     0
    .vgpr_spill_count: 0
    .wavefront_size: 64
  - .agpr_count:     0
    .args:
      - .offset:         0
        .size:           40
        .value_kind:     by_value
    .group_segment_fixed_size: 0
    .kernarg_segment_align: 8
    .kernarg_segment_size: 40
    .language:       OpenCL C
    .language_version:
      - 2
      - 0
    .max_flat_workgroup_size: 128
    .name:           _ZN7rocprim17ROCPRIM_400000_NS6detail17trampoline_kernelINS0_14default_configENS1_38merge_sort_block_merge_config_selectorIjNS0_10empty_typeEEEZZNS1_27merge_sort_block_merge_implIS3_PjPS5_jNS1_19radix_merge_compareILb1ELb0EjNS0_19identity_decomposerEEEEE10hipError_tT0_T1_T2_jT3_P12ihipStream_tbPNSt15iterator_traitsISE_E10value_typeEPNSK_ISF_E10value_typeEPSG_NS1_7vsmem_tEENKUlT_SE_SF_SG_E_clIS8_S8_S9_S9_EESD_ST_SE_SF_SG_EUlST_E_NS1_11comp_targetILNS1_3genE4ELNS1_11target_archE910ELNS1_3gpuE8ELNS1_3repE0EEENS1_48merge_mergepath_partition_config_static_selectorELNS0_4arch9wavefront6targetE1EEEvSF_
    .private_segment_fixed_size: 0
    .sgpr_count:     12
    .sgpr_spill_count: 0
    .symbol:         _ZN7rocprim17ROCPRIM_400000_NS6detail17trampoline_kernelINS0_14default_configENS1_38merge_sort_block_merge_config_selectorIjNS0_10empty_typeEEEZZNS1_27merge_sort_block_merge_implIS3_PjPS5_jNS1_19radix_merge_compareILb1ELb0EjNS0_19identity_decomposerEEEEE10hipError_tT0_T1_T2_jT3_P12ihipStream_tbPNSt15iterator_traitsISE_E10value_typeEPNSK_ISF_E10value_typeEPSG_NS1_7vsmem_tEENKUlT_SE_SF_SG_E_clIS8_S8_S9_S9_EESD_ST_SE_SF_SG_EUlST_E_NS1_11comp_targetILNS1_3genE4ELNS1_11target_archE910ELNS1_3gpuE8ELNS1_3repE0EEENS1_48merge_mergepath_partition_config_static_selectorELNS0_4arch9wavefront6targetE1EEEvSF_.kd
    .uniform_work_group_size: 1
    .uses_dynamic_stack: false
    .vgpr_count:     17
    .vgpr_spill_count: 0
    .wavefront_size: 64
  - .agpr_count:     0
    .args:
      - .offset:         0
        .size:           40
        .value_kind:     by_value
    .group_segment_fixed_size: 0
    .kernarg_segment_align: 8
    .kernarg_segment_size: 40
    .language:       OpenCL C
    .language_version:
      - 2
      - 0
    .max_flat_workgroup_size: 128
    .name:           _ZN7rocprim17ROCPRIM_400000_NS6detail17trampoline_kernelINS0_14default_configENS1_38merge_sort_block_merge_config_selectorIjNS0_10empty_typeEEEZZNS1_27merge_sort_block_merge_implIS3_PjPS5_jNS1_19radix_merge_compareILb1ELb0EjNS0_19identity_decomposerEEEEE10hipError_tT0_T1_T2_jT3_P12ihipStream_tbPNSt15iterator_traitsISE_E10value_typeEPNSK_ISF_E10value_typeEPSG_NS1_7vsmem_tEENKUlT_SE_SF_SG_E_clIS8_S8_S9_S9_EESD_ST_SE_SF_SG_EUlST_E_NS1_11comp_targetILNS1_3genE3ELNS1_11target_archE908ELNS1_3gpuE7ELNS1_3repE0EEENS1_48merge_mergepath_partition_config_static_selectorELNS0_4arch9wavefront6targetE1EEEvSF_
    .private_segment_fixed_size: 0
    .sgpr_count:     4
    .sgpr_spill_count: 0
    .symbol:         _ZN7rocprim17ROCPRIM_400000_NS6detail17trampoline_kernelINS0_14default_configENS1_38merge_sort_block_merge_config_selectorIjNS0_10empty_typeEEEZZNS1_27merge_sort_block_merge_implIS3_PjPS5_jNS1_19radix_merge_compareILb1ELb0EjNS0_19identity_decomposerEEEEE10hipError_tT0_T1_T2_jT3_P12ihipStream_tbPNSt15iterator_traitsISE_E10value_typeEPNSK_ISF_E10value_typeEPSG_NS1_7vsmem_tEENKUlT_SE_SF_SG_E_clIS8_S8_S9_S9_EESD_ST_SE_SF_SG_EUlST_E_NS1_11comp_targetILNS1_3genE3ELNS1_11target_archE908ELNS1_3gpuE7ELNS1_3repE0EEENS1_48merge_mergepath_partition_config_static_selectorELNS0_4arch9wavefront6targetE1EEEvSF_.kd
    .uniform_work_group_size: 1
    .uses_dynamic_stack: false
    .vgpr_count:     0
    .vgpr_spill_count: 0
    .wavefront_size: 64
  - .agpr_count:     0
    .args:
      - .offset:         0
        .size:           40
        .value_kind:     by_value
    .group_segment_fixed_size: 0
    .kernarg_segment_align: 8
    .kernarg_segment_size: 40
    .language:       OpenCL C
    .language_version:
      - 2
      - 0
    .max_flat_workgroup_size: 128
    .name:           _ZN7rocprim17ROCPRIM_400000_NS6detail17trampoline_kernelINS0_14default_configENS1_38merge_sort_block_merge_config_selectorIjNS0_10empty_typeEEEZZNS1_27merge_sort_block_merge_implIS3_PjPS5_jNS1_19radix_merge_compareILb1ELb0EjNS0_19identity_decomposerEEEEE10hipError_tT0_T1_T2_jT3_P12ihipStream_tbPNSt15iterator_traitsISE_E10value_typeEPNSK_ISF_E10value_typeEPSG_NS1_7vsmem_tEENKUlT_SE_SF_SG_E_clIS8_S8_S9_S9_EESD_ST_SE_SF_SG_EUlST_E_NS1_11comp_targetILNS1_3genE2ELNS1_11target_archE906ELNS1_3gpuE6ELNS1_3repE0EEENS1_48merge_mergepath_partition_config_static_selectorELNS0_4arch9wavefront6targetE1EEEvSF_
    .private_segment_fixed_size: 0
    .sgpr_count:     4
    .sgpr_spill_count: 0
    .symbol:         _ZN7rocprim17ROCPRIM_400000_NS6detail17trampoline_kernelINS0_14default_configENS1_38merge_sort_block_merge_config_selectorIjNS0_10empty_typeEEEZZNS1_27merge_sort_block_merge_implIS3_PjPS5_jNS1_19radix_merge_compareILb1ELb0EjNS0_19identity_decomposerEEEEE10hipError_tT0_T1_T2_jT3_P12ihipStream_tbPNSt15iterator_traitsISE_E10value_typeEPNSK_ISF_E10value_typeEPSG_NS1_7vsmem_tEENKUlT_SE_SF_SG_E_clIS8_S8_S9_S9_EESD_ST_SE_SF_SG_EUlST_E_NS1_11comp_targetILNS1_3genE2ELNS1_11target_archE906ELNS1_3gpuE6ELNS1_3repE0EEENS1_48merge_mergepath_partition_config_static_selectorELNS0_4arch9wavefront6targetE1EEEvSF_.kd
    .uniform_work_group_size: 1
    .uses_dynamic_stack: false
    .vgpr_count:     0
    .vgpr_spill_count: 0
    .wavefront_size: 64
  - .agpr_count:     0
    .args:
      - .offset:         0
        .size:           40
        .value_kind:     by_value
    .group_segment_fixed_size: 0
    .kernarg_segment_align: 8
    .kernarg_segment_size: 40
    .language:       OpenCL C
    .language_version:
      - 2
      - 0
    .max_flat_workgroup_size: 128
    .name:           _ZN7rocprim17ROCPRIM_400000_NS6detail17trampoline_kernelINS0_14default_configENS1_38merge_sort_block_merge_config_selectorIjNS0_10empty_typeEEEZZNS1_27merge_sort_block_merge_implIS3_PjPS5_jNS1_19radix_merge_compareILb1ELb0EjNS0_19identity_decomposerEEEEE10hipError_tT0_T1_T2_jT3_P12ihipStream_tbPNSt15iterator_traitsISE_E10value_typeEPNSK_ISF_E10value_typeEPSG_NS1_7vsmem_tEENKUlT_SE_SF_SG_E_clIS8_S8_S9_S9_EESD_ST_SE_SF_SG_EUlST_E_NS1_11comp_targetILNS1_3genE9ELNS1_11target_archE1100ELNS1_3gpuE3ELNS1_3repE0EEENS1_48merge_mergepath_partition_config_static_selectorELNS0_4arch9wavefront6targetE1EEEvSF_
    .private_segment_fixed_size: 0
    .sgpr_count:     4
    .sgpr_spill_count: 0
    .symbol:         _ZN7rocprim17ROCPRIM_400000_NS6detail17trampoline_kernelINS0_14default_configENS1_38merge_sort_block_merge_config_selectorIjNS0_10empty_typeEEEZZNS1_27merge_sort_block_merge_implIS3_PjPS5_jNS1_19radix_merge_compareILb1ELb0EjNS0_19identity_decomposerEEEEE10hipError_tT0_T1_T2_jT3_P12ihipStream_tbPNSt15iterator_traitsISE_E10value_typeEPNSK_ISF_E10value_typeEPSG_NS1_7vsmem_tEENKUlT_SE_SF_SG_E_clIS8_S8_S9_S9_EESD_ST_SE_SF_SG_EUlST_E_NS1_11comp_targetILNS1_3genE9ELNS1_11target_archE1100ELNS1_3gpuE3ELNS1_3repE0EEENS1_48merge_mergepath_partition_config_static_selectorELNS0_4arch9wavefront6targetE1EEEvSF_.kd
    .uniform_work_group_size: 1
    .uses_dynamic_stack: false
    .vgpr_count:     0
    .vgpr_spill_count: 0
    .wavefront_size: 64
  - .agpr_count:     0
    .args:
      - .offset:         0
        .size:           40
        .value_kind:     by_value
    .group_segment_fixed_size: 0
    .kernarg_segment_align: 8
    .kernarg_segment_size: 40
    .language:       OpenCL C
    .language_version:
      - 2
      - 0
    .max_flat_workgroup_size: 128
    .name:           _ZN7rocprim17ROCPRIM_400000_NS6detail17trampoline_kernelINS0_14default_configENS1_38merge_sort_block_merge_config_selectorIjNS0_10empty_typeEEEZZNS1_27merge_sort_block_merge_implIS3_PjPS5_jNS1_19radix_merge_compareILb1ELb0EjNS0_19identity_decomposerEEEEE10hipError_tT0_T1_T2_jT3_P12ihipStream_tbPNSt15iterator_traitsISE_E10value_typeEPNSK_ISF_E10value_typeEPSG_NS1_7vsmem_tEENKUlT_SE_SF_SG_E_clIS8_S8_S9_S9_EESD_ST_SE_SF_SG_EUlST_E_NS1_11comp_targetILNS1_3genE8ELNS1_11target_archE1030ELNS1_3gpuE2ELNS1_3repE0EEENS1_48merge_mergepath_partition_config_static_selectorELNS0_4arch9wavefront6targetE1EEEvSF_
    .private_segment_fixed_size: 0
    .sgpr_count:     4
    .sgpr_spill_count: 0
    .symbol:         _ZN7rocprim17ROCPRIM_400000_NS6detail17trampoline_kernelINS0_14default_configENS1_38merge_sort_block_merge_config_selectorIjNS0_10empty_typeEEEZZNS1_27merge_sort_block_merge_implIS3_PjPS5_jNS1_19radix_merge_compareILb1ELb0EjNS0_19identity_decomposerEEEEE10hipError_tT0_T1_T2_jT3_P12ihipStream_tbPNSt15iterator_traitsISE_E10value_typeEPNSK_ISF_E10value_typeEPSG_NS1_7vsmem_tEENKUlT_SE_SF_SG_E_clIS8_S8_S9_S9_EESD_ST_SE_SF_SG_EUlST_E_NS1_11comp_targetILNS1_3genE8ELNS1_11target_archE1030ELNS1_3gpuE2ELNS1_3repE0EEENS1_48merge_mergepath_partition_config_static_selectorELNS0_4arch9wavefront6targetE1EEEvSF_.kd
    .uniform_work_group_size: 1
    .uses_dynamic_stack: false
    .vgpr_count:     0
    .vgpr_spill_count: 0
    .wavefront_size: 64
  - .agpr_count:     0
    .args:
      - .offset:         0
        .size:           64
        .value_kind:     by_value
    .group_segment_fixed_size: 0
    .kernarg_segment_align: 8
    .kernarg_segment_size: 64
    .language:       OpenCL C
    .language_version:
      - 2
      - 0
    .max_flat_workgroup_size: 128
    .name:           _ZN7rocprim17ROCPRIM_400000_NS6detail17trampoline_kernelINS0_14default_configENS1_38merge_sort_block_merge_config_selectorIjNS0_10empty_typeEEEZZNS1_27merge_sort_block_merge_implIS3_PjPS5_jNS1_19radix_merge_compareILb1ELb0EjNS0_19identity_decomposerEEEEE10hipError_tT0_T1_T2_jT3_P12ihipStream_tbPNSt15iterator_traitsISE_E10value_typeEPNSK_ISF_E10value_typeEPSG_NS1_7vsmem_tEENKUlT_SE_SF_SG_E_clIS8_S8_S9_S9_EESD_ST_SE_SF_SG_EUlST_E0_NS1_11comp_targetILNS1_3genE0ELNS1_11target_archE4294967295ELNS1_3gpuE0ELNS1_3repE0EEENS1_38merge_mergepath_config_static_selectorELNS0_4arch9wavefront6targetE1EEEvSF_
    .private_segment_fixed_size: 0
    .sgpr_count:     4
    .sgpr_spill_count: 0
    .symbol:         _ZN7rocprim17ROCPRIM_400000_NS6detail17trampoline_kernelINS0_14default_configENS1_38merge_sort_block_merge_config_selectorIjNS0_10empty_typeEEEZZNS1_27merge_sort_block_merge_implIS3_PjPS5_jNS1_19radix_merge_compareILb1ELb0EjNS0_19identity_decomposerEEEEE10hipError_tT0_T1_T2_jT3_P12ihipStream_tbPNSt15iterator_traitsISE_E10value_typeEPNSK_ISF_E10value_typeEPSG_NS1_7vsmem_tEENKUlT_SE_SF_SG_E_clIS8_S8_S9_S9_EESD_ST_SE_SF_SG_EUlST_E0_NS1_11comp_targetILNS1_3genE0ELNS1_11target_archE4294967295ELNS1_3gpuE0ELNS1_3repE0EEENS1_38merge_mergepath_config_static_selectorELNS0_4arch9wavefront6targetE1EEEvSF_.kd
    .uniform_work_group_size: 1
    .uses_dynamic_stack: false
    .vgpr_count:     0
    .vgpr_spill_count: 0
    .wavefront_size: 64
  - .agpr_count:     0
    .args:
      - .offset:         0
        .size:           64
        .value_kind:     by_value
    .group_segment_fixed_size: 0
    .kernarg_segment_align: 8
    .kernarg_segment_size: 64
    .language:       OpenCL C
    .language_version:
      - 2
      - 0
    .max_flat_workgroup_size: 256
    .name:           _ZN7rocprim17ROCPRIM_400000_NS6detail17trampoline_kernelINS0_14default_configENS1_38merge_sort_block_merge_config_selectorIjNS0_10empty_typeEEEZZNS1_27merge_sort_block_merge_implIS3_PjPS5_jNS1_19radix_merge_compareILb1ELb0EjNS0_19identity_decomposerEEEEE10hipError_tT0_T1_T2_jT3_P12ihipStream_tbPNSt15iterator_traitsISE_E10value_typeEPNSK_ISF_E10value_typeEPSG_NS1_7vsmem_tEENKUlT_SE_SF_SG_E_clIS8_S8_S9_S9_EESD_ST_SE_SF_SG_EUlST_E0_NS1_11comp_targetILNS1_3genE10ELNS1_11target_archE1201ELNS1_3gpuE5ELNS1_3repE0EEENS1_38merge_mergepath_config_static_selectorELNS0_4arch9wavefront6targetE1EEEvSF_
    .private_segment_fixed_size: 0
    .sgpr_count:     4
    .sgpr_spill_count: 0
    .symbol:         _ZN7rocprim17ROCPRIM_400000_NS6detail17trampoline_kernelINS0_14default_configENS1_38merge_sort_block_merge_config_selectorIjNS0_10empty_typeEEEZZNS1_27merge_sort_block_merge_implIS3_PjPS5_jNS1_19radix_merge_compareILb1ELb0EjNS0_19identity_decomposerEEEEE10hipError_tT0_T1_T2_jT3_P12ihipStream_tbPNSt15iterator_traitsISE_E10value_typeEPNSK_ISF_E10value_typeEPSG_NS1_7vsmem_tEENKUlT_SE_SF_SG_E_clIS8_S8_S9_S9_EESD_ST_SE_SF_SG_EUlST_E0_NS1_11comp_targetILNS1_3genE10ELNS1_11target_archE1201ELNS1_3gpuE5ELNS1_3repE0EEENS1_38merge_mergepath_config_static_selectorELNS0_4arch9wavefront6targetE1EEEvSF_.kd
    .uniform_work_group_size: 1
    .uses_dynamic_stack: false
    .vgpr_count:     0
    .vgpr_spill_count: 0
    .wavefront_size: 64
  - .agpr_count:     0
    .args:
      - .offset:         0
        .size:           64
        .value_kind:     by_value
    .group_segment_fixed_size: 0
    .kernarg_segment_align: 8
    .kernarg_segment_size: 64
    .language:       OpenCL C
    .language_version:
      - 2
      - 0
    .max_flat_workgroup_size: 128
    .name:           _ZN7rocprim17ROCPRIM_400000_NS6detail17trampoline_kernelINS0_14default_configENS1_38merge_sort_block_merge_config_selectorIjNS0_10empty_typeEEEZZNS1_27merge_sort_block_merge_implIS3_PjPS5_jNS1_19radix_merge_compareILb1ELb0EjNS0_19identity_decomposerEEEEE10hipError_tT0_T1_T2_jT3_P12ihipStream_tbPNSt15iterator_traitsISE_E10value_typeEPNSK_ISF_E10value_typeEPSG_NS1_7vsmem_tEENKUlT_SE_SF_SG_E_clIS8_S8_S9_S9_EESD_ST_SE_SF_SG_EUlST_E0_NS1_11comp_targetILNS1_3genE5ELNS1_11target_archE942ELNS1_3gpuE9ELNS1_3repE0EEENS1_38merge_mergepath_config_static_selectorELNS0_4arch9wavefront6targetE1EEEvSF_
    .private_segment_fixed_size: 0
    .sgpr_count:     4
    .sgpr_spill_count: 0
    .symbol:         _ZN7rocprim17ROCPRIM_400000_NS6detail17trampoline_kernelINS0_14default_configENS1_38merge_sort_block_merge_config_selectorIjNS0_10empty_typeEEEZZNS1_27merge_sort_block_merge_implIS3_PjPS5_jNS1_19radix_merge_compareILb1ELb0EjNS0_19identity_decomposerEEEEE10hipError_tT0_T1_T2_jT3_P12ihipStream_tbPNSt15iterator_traitsISE_E10value_typeEPNSK_ISF_E10value_typeEPSG_NS1_7vsmem_tEENKUlT_SE_SF_SG_E_clIS8_S8_S9_S9_EESD_ST_SE_SF_SG_EUlST_E0_NS1_11comp_targetILNS1_3genE5ELNS1_11target_archE942ELNS1_3gpuE9ELNS1_3repE0EEENS1_38merge_mergepath_config_static_selectorELNS0_4arch9wavefront6targetE1EEEvSF_.kd
    .uniform_work_group_size: 1
    .uses_dynamic_stack: false
    .vgpr_count:     0
    .vgpr_spill_count: 0
    .wavefront_size: 64
  - .agpr_count:     0
    .args:
      - .offset:         0
        .size:           64
        .value_kind:     by_value
      - .offset:         64
        .size:           4
        .value_kind:     hidden_block_count_x
      - .offset:         68
        .size:           4
        .value_kind:     hidden_block_count_y
      - .offset:         72
        .size:           4
        .value_kind:     hidden_block_count_z
      - .offset:         76
        .size:           2
        .value_kind:     hidden_group_size_x
      - .offset:         78
        .size:           2
        .value_kind:     hidden_group_size_y
      - .offset:         80
        .size:           2
        .value_kind:     hidden_group_size_z
      - .offset:         82
        .size:           2
        .value_kind:     hidden_remainder_x
      - .offset:         84
        .size:           2
        .value_kind:     hidden_remainder_y
      - .offset:         86
        .size:           2
        .value_kind:     hidden_remainder_z
      - .offset:         104
        .size:           8
        .value_kind:     hidden_global_offset_x
      - .offset:         112
        .size:           8
        .value_kind:     hidden_global_offset_y
      - .offset:         120
        .size:           8
        .value_kind:     hidden_global_offset_z
      - .offset:         128
        .size:           2
        .value_kind:     hidden_grid_dims
    .group_segment_fixed_size: 4224
    .kernarg_segment_align: 8
    .kernarg_segment_size: 320
    .language:       OpenCL C
    .language_version:
      - 2
      - 0
    .max_flat_workgroup_size: 128
    .name:           _ZN7rocprim17ROCPRIM_400000_NS6detail17trampoline_kernelINS0_14default_configENS1_38merge_sort_block_merge_config_selectorIjNS0_10empty_typeEEEZZNS1_27merge_sort_block_merge_implIS3_PjPS5_jNS1_19radix_merge_compareILb1ELb0EjNS0_19identity_decomposerEEEEE10hipError_tT0_T1_T2_jT3_P12ihipStream_tbPNSt15iterator_traitsISE_E10value_typeEPNSK_ISF_E10value_typeEPSG_NS1_7vsmem_tEENKUlT_SE_SF_SG_E_clIS8_S8_S9_S9_EESD_ST_SE_SF_SG_EUlST_E0_NS1_11comp_targetILNS1_3genE4ELNS1_11target_archE910ELNS1_3gpuE8ELNS1_3repE0EEENS1_38merge_mergepath_config_static_selectorELNS0_4arch9wavefront6targetE1EEEvSF_
    .private_segment_fixed_size: 0
    .sgpr_count:     28
    .sgpr_spill_count: 0
    .symbol:         _ZN7rocprim17ROCPRIM_400000_NS6detail17trampoline_kernelINS0_14default_configENS1_38merge_sort_block_merge_config_selectorIjNS0_10empty_typeEEEZZNS1_27merge_sort_block_merge_implIS3_PjPS5_jNS1_19radix_merge_compareILb1ELb0EjNS0_19identity_decomposerEEEEE10hipError_tT0_T1_T2_jT3_P12ihipStream_tbPNSt15iterator_traitsISE_E10value_typeEPNSK_ISF_E10value_typeEPSG_NS1_7vsmem_tEENKUlT_SE_SF_SG_E_clIS8_S8_S9_S9_EESD_ST_SE_SF_SG_EUlST_E0_NS1_11comp_targetILNS1_3genE4ELNS1_11target_archE910ELNS1_3gpuE8ELNS1_3repE0EEENS1_38merge_mergepath_config_static_selectorELNS0_4arch9wavefront6targetE1EEEvSF_.kd
    .uniform_work_group_size: 1
    .uses_dynamic_stack: false
    .vgpr_count:     26
    .vgpr_spill_count: 0
    .wavefront_size: 64
  - .agpr_count:     0
    .args:
      - .offset:         0
        .size:           64
        .value_kind:     by_value
    .group_segment_fixed_size: 0
    .kernarg_segment_align: 8
    .kernarg_segment_size: 64
    .language:       OpenCL C
    .language_version:
      - 2
      - 0
    .max_flat_workgroup_size: 128
    .name:           _ZN7rocprim17ROCPRIM_400000_NS6detail17trampoline_kernelINS0_14default_configENS1_38merge_sort_block_merge_config_selectorIjNS0_10empty_typeEEEZZNS1_27merge_sort_block_merge_implIS3_PjPS5_jNS1_19radix_merge_compareILb1ELb0EjNS0_19identity_decomposerEEEEE10hipError_tT0_T1_T2_jT3_P12ihipStream_tbPNSt15iterator_traitsISE_E10value_typeEPNSK_ISF_E10value_typeEPSG_NS1_7vsmem_tEENKUlT_SE_SF_SG_E_clIS8_S8_S9_S9_EESD_ST_SE_SF_SG_EUlST_E0_NS1_11comp_targetILNS1_3genE3ELNS1_11target_archE908ELNS1_3gpuE7ELNS1_3repE0EEENS1_38merge_mergepath_config_static_selectorELNS0_4arch9wavefront6targetE1EEEvSF_
    .private_segment_fixed_size: 0
    .sgpr_count:     4
    .sgpr_spill_count: 0
    .symbol:         _ZN7rocprim17ROCPRIM_400000_NS6detail17trampoline_kernelINS0_14default_configENS1_38merge_sort_block_merge_config_selectorIjNS0_10empty_typeEEEZZNS1_27merge_sort_block_merge_implIS3_PjPS5_jNS1_19radix_merge_compareILb1ELb0EjNS0_19identity_decomposerEEEEE10hipError_tT0_T1_T2_jT3_P12ihipStream_tbPNSt15iterator_traitsISE_E10value_typeEPNSK_ISF_E10value_typeEPSG_NS1_7vsmem_tEENKUlT_SE_SF_SG_E_clIS8_S8_S9_S9_EESD_ST_SE_SF_SG_EUlST_E0_NS1_11comp_targetILNS1_3genE3ELNS1_11target_archE908ELNS1_3gpuE7ELNS1_3repE0EEENS1_38merge_mergepath_config_static_selectorELNS0_4arch9wavefront6targetE1EEEvSF_.kd
    .uniform_work_group_size: 1
    .uses_dynamic_stack: false
    .vgpr_count:     0
    .vgpr_spill_count: 0
    .wavefront_size: 64
  - .agpr_count:     0
    .args:
      - .offset:         0
        .size:           64
        .value_kind:     by_value
    .group_segment_fixed_size: 0
    .kernarg_segment_align: 8
    .kernarg_segment_size: 64
    .language:       OpenCL C
    .language_version:
      - 2
      - 0
    .max_flat_workgroup_size: 128
    .name:           _ZN7rocprim17ROCPRIM_400000_NS6detail17trampoline_kernelINS0_14default_configENS1_38merge_sort_block_merge_config_selectorIjNS0_10empty_typeEEEZZNS1_27merge_sort_block_merge_implIS3_PjPS5_jNS1_19radix_merge_compareILb1ELb0EjNS0_19identity_decomposerEEEEE10hipError_tT0_T1_T2_jT3_P12ihipStream_tbPNSt15iterator_traitsISE_E10value_typeEPNSK_ISF_E10value_typeEPSG_NS1_7vsmem_tEENKUlT_SE_SF_SG_E_clIS8_S8_S9_S9_EESD_ST_SE_SF_SG_EUlST_E0_NS1_11comp_targetILNS1_3genE2ELNS1_11target_archE906ELNS1_3gpuE6ELNS1_3repE0EEENS1_38merge_mergepath_config_static_selectorELNS0_4arch9wavefront6targetE1EEEvSF_
    .private_segment_fixed_size: 0
    .sgpr_count:     4
    .sgpr_spill_count: 0
    .symbol:         _ZN7rocprim17ROCPRIM_400000_NS6detail17trampoline_kernelINS0_14default_configENS1_38merge_sort_block_merge_config_selectorIjNS0_10empty_typeEEEZZNS1_27merge_sort_block_merge_implIS3_PjPS5_jNS1_19radix_merge_compareILb1ELb0EjNS0_19identity_decomposerEEEEE10hipError_tT0_T1_T2_jT3_P12ihipStream_tbPNSt15iterator_traitsISE_E10value_typeEPNSK_ISF_E10value_typeEPSG_NS1_7vsmem_tEENKUlT_SE_SF_SG_E_clIS8_S8_S9_S9_EESD_ST_SE_SF_SG_EUlST_E0_NS1_11comp_targetILNS1_3genE2ELNS1_11target_archE906ELNS1_3gpuE6ELNS1_3repE0EEENS1_38merge_mergepath_config_static_selectorELNS0_4arch9wavefront6targetE1EEEvSF_.kd
    .uniform_work_group_size: 1
    .uses_dynamic_stack: false
    .vgpr_count:     0
    .vgpr_spill_count: 0
    .wavefront_size: 64
  - .agpr_count:     0
    .args:
      - .offset:         0
        .size:           64
        .value_kind:     by_value
    .group_segment_fixed_size: 0
    .kernarg_segment_align: 8
    .kernarg_segment_size: 64
    .language:       OpenCL C
    .language_version:
      - 2
      - 0
    .max_flat_workgroup_size: 256
    .name:           _ZN7rocprim17ROCPRIM_400000_NS6detail17trampoline_kernelINS0_14default_configENS1_38merge_sort_block_merge_config_selectorIjNS0_10empty_typeEEEZZNS1_27merge_sort_block_merge_implIS3_PjPS5_jNS1_19radix_merge_compareILb1ELb0EjNS0_19identity_decomposerEEEEE10hipError_tT0_T1_T2_jT3_P12ihipStream_tbPNSt15iterator_traitsISE_E10value_typeEPNSK_ISF_E10value_typeEPSG_NS1_7vsmem_tEENKUlT_SE_SF_SG_E_clIS8_S8_S9_S9_EESD_ST_SE_SF_SG_EUlST_E0_NS1_11comp_targetILNS1_3genE9ELNS1_11target_archE1100ELNS1_3gpuE3ELNS1_3repE0EEENS1_38merge_mergepath_config_static_selectorELNS0_4arch9wavefront6targetE1EEEvSF_
    .private_segment_fixed_size: 0
    .sgpr_count:     4
    .sgpr_spill_count: 0
    .symbol:         _ZN7rocprim17ROCPRIM_400000_NS6detail17trampoline_kernelINS0_14default_configENS1_38merge_sort_block_merge_config_selectorIjNS0_10empty_typeEEEZZNS1_27merge_sort_block_merge_implIS3_PjPS5_jNS1_19radix_merge_compareILb1ELb0EjNS0_19identity_decomposerEEEEE10hipError_tT0_T1_T2_jT3_P12ihipStream_tbPNSt15iterator_traitsISE_E10value_typeEPNSK_ISF_E10value_typeEPSG_NS1_7vsmem_tEENKUlT_SE_SF_SG_E_clIS8_S8_S9_S9_EESD_ST_SE_SF_SG_EUlST_E0_NS1_11comp_targetILNS1_3genE9ELNS1_11target_archE1100ELNS1_3gpuE3ELNS1_3repE0EEENS1_38merge_mergepath_config_static_selectorELNS0_4arch9wavefront6targetE1EEEvSF_.kd
    .uniform_work_group_size: 1
    .uses_dynamic_stack: false
    .vgpr_count:     0
    .vgpr_spill_count: 0
    .wavefront_size: 64
  - .agpr_count:     0
    .args:
      - .offset:         0
        .size:           64
        .value_kind:     by_value
    .group_segment_fixed_size: 0
    .kernarg_segment_align: 8
    .kernarg_segment_size: 64
    .language:       OpenCL C
    .language_version:
      - 2
      - 0
    .max_flat_workgroup_size: 512
    .name:           _ZN7rocprim17ROCPRIM_400000_NS6detail17trampoline_kernelINS0_14default_configENS1_38merge_sort_block_merge_config_selectorIjNS0_10empty_typeEEEZZNS1_27merge_sort_block_merge_implIS3_PjPS5_jNS1_19radix_merge_compareILb1ELb0EjNS0_19identity_decomposerEEEEE10hipError_tT0_T1_T2_jT3_P12ihipStream_tbPNSt15iterator_traitsISE_E10value_typeEPNSK_ISF_E10value_typeEPSG_NS1_7vsmem_tEENKUlT_SE_SF_SG_E_clIS8_S8_S9_S9_EESD_ST_SE_SF_SG_EUlST_E0_NS1_11comp_targetILNS1_3genE8ELNS1_11target_archE1030ELNS1_3gpuE2ELNS1_3repE0EEENS1_38merge_mergepath_config_static_selectorELNS0_4arch9wavefront6targetE1EEEvSF_
    .private_segment_fixed_size: 0
    .sgpr_count:     4
    .sgpr_spill_count: 0
    .symbol:         _ZN7rocprim17ROCPRIM_400000_NS6detail17trampoline_kernelINS0_14default_configENS1_38merge_sort_block_merge_config_selectorIjNS0_10empty_typeEEEZZNS1_27merge_sort_block_merge_implIS3_PjPS5_jNS1_19radix_merge_compareILb1ELb0EjNS0_19identity_decomposerEEEEE10hipError_tT0_T1_T2_jT3_P12ihipStream_tbPNSt15iterator_traitsISE_E10value_typeEPNSK_ISF_E10value_typeEPSG_NS1_7vsmem_tEENKUlT_SE_SF_SG_E_clIS8_S8_S9_S9_EESD_ST_SE_SF_SG_EUlST_E0_NS1_11comp_targetILNS1_3genE8ELNS1_11target_archE1030ELNS1_3gpuE2ELNS1_3repE0EEENS1_38merge_mergepath_config_static_selectorELNS0_4arch9wavefront6targetE1EEEvSF_.kd
    .uniform_work_group_size: 1
    .uses_dynamic_stack: false
    .vgpr_count:     0
    .vgpr_spill_count: 0
    .wavefront_size: 64
  - .agpr_count:     0
    .args:
      - .offset:         0
        .size:           48
        .value_kind:     by_value
    .group_segment_fixed_size: 0
    .kernarg_segment_align: 8
    .kernarg_segment_size: 48
    .language:       OpenCL C
    .language_version:
      - 2
      - 0
    .max_flat_workgroup_size: 256
    .name:           _ZN7rocprim17ROCPRIM_400000_NS6detail17trampoline_kernelINS0_14default_configENS1_38merge_sort_block_merge_config_selectorIjNS0_10empty_typeEEEZZNS1_27merge_sort_block_merge_implIS3_PjPS5_jNS1_19radix_merge_compareILb1ELb0EjNS0_19identity_decomposerEEEEE10hipError_tT0_T1_T2_jT3_P12ihipStream_tbPNSt15iterator_traitsISE_E10value_typeEPNSK_ISF_E10value_typeEPSG_NS1_7vsmem_tEENKUlT_SE_SF_SG_E_clIS8_S8_S9_S9_EESD_ST_SE_SF_SG_EUlST_E1_NS1_11comp_targetILNS1_3genE0ELNS1_11target_archE4294967295ELNS1_3gpuE0ELNS1_3repE0EEENS1_36merge_oddeven_config_static_selectorELNS0_4arch9wavefront6targetE1EEEvSF_
    .private_segment_fixed_size: 0
    .sgpr_count:     4
    .sgpr_spill_count: 0
    .symbol:         _ZN7rocprim17ROCPRIM_400000_NS6detail17trampoline_kernelINS0_14default_configENS1_38merge_sort_block_merge_config_selectorIjNS0_10empty_typeEEEZZNS1_27merge_sort_block_merge_implIS3_PjPS5_jNS1_19radix_merge_compareILb1ELb0EjNS0_19identity_decomposerEEEEE10hipError_tT0_T1_T2_jT3_P12ihipStream_tbPNSt15iterator_traitsISE_E10value_typeEPNSK_ISF_E10value_typeEPSG_NS1_7vsmem_tEENKUlT_SE_SF_SG_E_clIS8_S8_S9_S9_EESD_ST_SE_SF_SG_EUlST_E1_NS1_11comp_targetILNS1_3genE0ELNS1_11target_archE4294967295ELNS1_3gpuE0ELNS1_3repE0EEENS1_36merge_oddeven_config_static_selectorELNS0_4arch9wavefront6targetE1EEEvSF_.kd
    .uniform_work_group_size: 1
    .uses_dynamic_stack: false
    .vgpr_count:     0
    .vgpr_spill_count: 0
    .wavefront_size: 64
  - .agpr_count:     0
    .args:
      - .offset:         0
        .size:           48
        .value_kind:     by_value
    .group_segment_fixed_size: 0
    .kernarg_segment_align: 8
    .kernarg_segment_size: 48
    .language:       OpenCL C
    .language_version:
      - 2
      - 0
    .max_flat_workgroup_size: 256
    .name:           _ZN7rocprim17ROCPRIM_400000_NS6detail17trampoline_kernelINS0_14default_configENS1_38merge_sort_block_merge_config_selectorIjNS0_10empty_typeEEEZZNS1_27merge_sort_block_merge_implIS3_PjPS5_jNS1_19radix_merge_compareILb1ELb0EjNS0_19identity_decomposerEEEEE10hipError_tT0_T1_T2_jT3_P12ihipStream_tbPNSt15iterator_traitsISE_E10value_typeEPNSK_ISF_E10value_typeEPSG_NS1_7vsmem_tEENKUlT_SE_SF_SG_E_clIS8_S8_S9_S9_EESD_ST_SE_SF_SG_EUlST_E1_NS1_11comp_targetILNS1_3genE10ELNS1_11target_archE1201ELNS1_3gpuE5ELNS1_3repE0EEENS1_36merge_oddeven_config_static_selectorELNS0_4arch9wavefront6targetE1EEEvSF_
    .private_segment_fixed_size: 0
    .sgpr_count:     4
    .sgpr_spill_count: 0
    .symbol:         _ZN7rocprim17ROCPRIM_400000_NS6detail17trampoline_kernelINS0_14default_configENS1_38merge_sort_block_merge_config_selectorIjNS0_10empty_typeEEEZZNS1_27merge_sort_block_merge_implIS3_PjPS5_jNS1_19radix_merge_compareILb1ELb0EjNS0_19identity_decomposerEEEEE10hipError_tT0_T1_T2_jT3_P12ihipStream_tbPNSt15iterator_traitsISE_E10value_typeEPNSK_ISF_E10value_typeEPSG_NS1_7vsmem_tEENKUlT_SE_SF_SG_E_clIS8_S8_S9_S9_EESD_ST_SE_SF_SG_EUlST_E1_NS1_11comp_targetILNS1_3genE10ELNS1_11target_archE1201ELNS1_3gpuE5ELNS1_3repE0EEENS1_36merge_oddeven_config_static_selectorELNS0_4arch9wavefront6targetE1EEEvSF_.kd
    .uniform_work_group_size: 1
    .uses_dynamic_stack: false
    .vgpr_count:     0
    .vgpr_spill_count: 0
    .wavefront_size: 64
  - .agpr_count:     0
    .args:
      - .offset:         0
        .size:           48
        .value_kind:     by_value
    .group_segment_fixed_size: 0
    .kernarg_segment_align: 8
    .kernarg_segment_size: 48
    .language:       OpenCL C
    .language_version:
      - 2
      - 0
    .max_flat_workgroup_size: 256
    .name:           _ZN7rocprim17ROCPRIM_400000_NS6detail17trampoline_kernelINS0_14default_configENS1_38merge_sort_block_merge_config_selectorIjNS0_10empty_typeEEEZZNS1_27merge_sort_block_merge_implIS3_PjPS5_jNS1_19radix_merge_compareILb1ELb0EjNS0_19identity_decomposerEEEEE10hipError_tT0_T1_T2_jT3_P12ihipStream_tbPNSt15iterator_traitsISE_E10value_typeEPNSK_ISF_E10value_typeEPSG_NS1_7vsmem_tEENKUlT_SE_SF_SG_E_clIS8_S8_S9_S9_EESD_ST_SE_SF_SG_EUlST_E1_NS1_11comp_targetILNS1_3genE5ELNS1_11target_archE942ELNS1_3gpuE9ELNS1_3repE0EEENS1_36merge_oddeven_config_static_selectorELNS0_4arch9wavefront6targetE1EEEvSF_
    .private_segment_fixed_size: 0
    .sgpr_count:     4
    .sgpr_spill_count: 0
    .symbol:         _ZN7rocprim17ROCPRIM_400000_NS6detail17trampoline_kernelINS0_14default_configENS1_38merge_sort_block_merge_config_selectorIjNS0_10empty_typeEEEZZNS1_27merge_sort_block_merge_implIS3_PjPS5_jNS1_19radix_merge_compareILb1ELb0EjNS0_19identity_decomposerEEEEE10hipError_tT0_T1_T2_jT3_P12ihipStream_tbPNSt15iterator_traitsISE_E10value_typeEPNSK_ISF_E10value_typeEPSG_NS1_7vsmem_tEENKUlT_SE_SF_SG_E_clIS8_S8_S9_S9_EESD_ST_SE_SF_SG_EUlST_E1_NS1_11comp_targetILNS1_3genE5ELNS1_11target_archE942ELNS1_3gpuE9ELNS1_3repE0EEENS1_36merge_oddeven_config_static_selectorELNS0_4arch9wavefront6targetE1EEEvSF_.kd
    .uniform_work_group_size: 1
    .uses_dynamic_stack: false
    .vgpr_count:     0
    .vgpr_spill_count: 0
    .wavefront_size: 64
  - .agpr_count:     0
    .args:
      - .offset:         0
        .size:           48
        .value_kind:     by_value
    .group_segment_fixed_size: 0
    .kernarg_segment_align: 8
    .kernarg_segment_size: 48
    .language:       OpenCL C
    .language_version:
      - 2
      - 0
    .max_flat_workgroup_size: 256
    .name:           _ZN7rocprim17ROCPRIM_400000_NS6detail17trampoline_kernelINS0_14default_configENS1_38merge_sort_block_merge_config_selectorIjNS0_10empty_typeEEEZZNS1_27merge_sort_block_merge_implIS3_PjPS5_jNS1_19radix_merge_compareILb1ELb0EjNS0_19identity_decomposerEEEEE10hipError_tT0_T1_T2_jT3_P12ihipStream_tbPNSt15iterator_traitsISE_E10value_typeEPNSK_ISF_E10value_typeEPSG_NS1_7vsmem_tEENKUlT_SE_SF_SG_E_clIS8_S8_S9_S9_EESD_ST_SE_SF_SG_EUlST_E1_NS1_11comp_targetILNS1_3genE4ELNS1_11target_archE910ELNS1_3gpuE8ELNS1_3repE0EEENS1_36merge_oddeven_config_static_selectorELNS0_4arch9wavefront6targetE1EEEvSF_
    .private_segment_fixed_size: 0
    .sgpr_count:     25
    .sgpr_spill_count: 0
    .symbol:         _ZN7rocprim17ROCPRIM_400000_NS6detail17trampoline_kernelINS0_14default_configENS1_38merge_sort_block_merge_config_selectorIjNS0_10empty_typeEEEZZNS1_27merge_sort_block_merge_implIS3_PjPS5_jNS1_19radix_merge_compareILb1ELb0EjNS0_19identity_decomposerEEEEE10hipError_tT0_T1_T2_jT3_P12ihipStream_tbPNSt15iterator_traitsISE_E10value_typeEPNSK_ISF_E10value_typeEPSG_NS1_7vsmem_tEENKUlT_SE_SF_SG_E_clIS8_S8_S9_S9_EESD_ST_SE_SF_SG_EUlST_E1_NS1_11comp_targetILNS1_3genE4ELNS1_11target_archE910ELNS1_3gpuE8ELNS1_3repE0EEENS1_36merge_oddeven_config_static_selectorELNS0_4arch9wavefront6targetE1EEEvSF_.kd
    .uniform_work_group_size: 1
    .uses_dynamic_stack: false
    .vgpr_count:     10
    .vgpr_spill_count: 0
    .wavefront_size: 64
  - .agpr_count:     0
    .args:
      - .offset:         0
        .size:           48
        .value_kind:     by_value
    .group_segment_fixed_size: 0
    .kernarg_segment_align: 8
    .kernarg_segment_size: 48
    .language:       OpenCL C
    .language_version:
      - 2
      - 0
    .max_flat_workgroup_size: 256
    .name:           _ZN7rocprim17ROCPRIM_400000_NS6detail17trampoline_kernelINS0_14default_configENS1_38merge_sort_block_merge_config_selectorIjNS0_10empty_typeEEEZZNS1_27merge_sort_block_merge_implIS3_PjPS5_jNS1_19radix_merge_compareILb1ELb0EjNS0_19identity_decomposerEEEEE10hipError_tT0_T1_T2_jT3_P12ihipStream_tbPNSt15iterator_traitsISE_E10value_typeEPNSK_ISF_E10value_typeEPSG_NS1_7vsmem_tEENKUlT_SE_SF_SG_E_clIS8_S8_S9_S9_EESD_ST_SE_SF_SG_EUlST_E1_NS1_11comp_targetILNS1_3genE3ELNS1_11target_archE908ELNS1_3gpuE7ELNS1_3repE0EEENS1_36merge_oddeven_config_static_selectorELNS0_4arch9wavefront6targetE1EEEvSF_
    .private_segment_fixed_size: 0
    .sgpr_count:     4
    .sgpr_spill_count: 0
    .symbol:         _ZN7rocprim17ROCPRIM_400000_NS6detail17trampoline_kernelINS0_14default_configENS1_38merge_sort_block_merge_config_selectorIjNS0_10empty_typeEEEZZNS1_27merge_sort_block_merge_implIS3_PjPS5_jNS1_19radix_merge_compareILb1ELb0EjNS0_19identity_decomposerEEEEE10hipError_tT0_T1_T2_jT3_P12ihipStream_tbPNSt15iterator_traitsISE_E10value_typeEPNSK_ISF_E10value_typeEPSG_NS1_7vsmem_tEENKUlT_SE_SF_SG_E_clIS8_S8_S9_S9_EESD_ST_SE_SF_SG_EUlST_E1_NS1_11comp_targetILNS1_3genE3ELNS1_11target_archE908ELNS1_3gpuE7ELNS1_3repE0EEENS1_36merge_oddeven_config_static_selectorELNS0_4arch9wavefront6targetE1EEEvSF_.kd
    .uniform_work_group_size: 1
    .uses_dynamic_stack: false
    .vgpr_count:     0
    .vgpr_spill_count: 0
    .wavefront_size: 64
  - .agpr_count:     0
    .args:
      - .offset:         0
        .size:           48
        .value_kind:     by_value
    .group_segment_fixed_size: 0
    .kernarg_segment_align: 8
    .kernarg_segment_size: 48
    .language:       OpenCL C
    .language_version:
      - 2
      - 0
    .max_flat_workgroup_size: 256
    .name:           _ZN7rocprim17ROCPRIM_400000_NS6detail17trampoline_kernelINS0_14default_configENS1_38merge_sort_block_merge_config_selectorIjNS0_10empty_typeEEEZZNS1_27merge_sort_block_merge_implIS3_PjPS5_jNS1_19radix_merge_compareILb1ELb0EjNS0_19identity_decomposerEEEEE10hipError_tT0_T1_T2_jT3_P12ihipStream_tbPNSt15iterator_traitsISE_E10value_typeEPNSK_ISF_E10value_typeEPSG_NS1_7vsmem_tEENKUlT_SE_SF_SG_E_clIS8_S8_S9_S9_EESD_ST_SE_SF_SG_EUlST_E1_NS1_11comp_targetILNS1_3genE2ELNS1_11target_archE906ELNS1_3gpuE6ELNS1_3repE0EEENS1_36merge_oddeven_config_static_selectorELNS0_4arch9wavefront6targetE1EEEvSF_
    .private_segment_fixed_size: 0
    .sgpr_count:     4
    .sgpr_spill_count: 0
    .symbol:         _ZN7rocprim17ROCPRIM_400000_NS6detail17trampoline_kernelINS0_14default_configENS1_38merge_sort_block_merge_config_selectorIjNS0_10empty_typeEEEZZNS1_27merge_sort_block_merge_implIS3_PjPS5_jNS1_19radix_merge_compareILb1ELb0EjNS0_19identity_decomposerEEEEE10hipError_tT0_T1_T2_jT3_P12ihipStream_tbPNSt15iterator_traitsISE_E10value_typeEPNSK_ISF_E10value_typeEPSG_NS1_7vsmem_tEENKUlT_SE_SF_SG_E_clIS8_S8_S9_S9_EESD_ST_SE_SF_SG_EUlST_E1_NS1_11comp_targetILNS1_3genE2ELNS1_11target_archE906ELNS1_3gpuE6ELNS1_3repE0EEENS1_36merge_oddeven_config_static_selectorELNS0_4arch9wavefront6targetE1EEEvSF_.kd
    .uniform_work_group_size: 1
    .uses_dynamic_stack: false
    .vgpr_count:     0
    .vgpr_spill_count: 0
    .wavefront_size: 64
  - .agpr_count:     0
    .args:
      - .offset:         0
        .size:           48
        .value_kind:     by_value
    .group_segment_fixed_size: 0
    .kernarg_segment_align: 8
    .kernarg_segment_size: 48
    .language:       OpenCL C
    .language_version:
      - 2
      - 0
    .max_flat_workgroup_size: 256
    .name:           _ZN7rocprim17ROCPRIM_400000_NS6detail17trampoline_kernelINS0_14default_configENS1_38merge_sort_block_merge_config_selectorIjNS0_10empty_typeEEEZZNS1_27merge_sort_block_merge_implIS3_PjPS5_jNS1_19radix_merge_compareILb1ELb0EjNS0_19identity_decomposerEEEEE10hipError_tT0_T1_T2_jT3_P12ihipStream_tbPNSt15iterator_traitsISE_E10value_typeEPNSK_ISF_E10value_typeEPSG_NS1_7vsmem_tEENKUlT_SE_SF_SG_E_clIS8_S8_S9_S9_EESD_ST_SE_SF_SG_EUlST_E1_NS1_11comp_targetILNS1_3genE9ELNS1_11target_archE1100ELNS1_3gpuE3ELNS1_3repE0EEENS1_36merge_oddeven_config_static_selectorELNS0_4arch9wavefront6targetE1EEEvSF_
    .private_segment_fixed_size: 0
    .sgpr_count:     4
    .sgpr_spill_count: 0
    .symbol:         _ZN7rocprim17ROCPRIM_400000_NS6detail17trampoline_kernelINS0_14default_configENS1_38merge_sort_block_merge_config_selectorIjNS0_10empty_typeEEEZZNS1_27merge_sort_block_merge_implIS3_PjPS5_jNS1_19radix_merge_compareILb1ELb0EjNS0_19identity_decomposerEEEEE10hipError_tT0_T1_T2_jT3_P12ihipStream_tbPNSt15iterator_traitsISE_E10value_typeEPNSK_ISF_E10value_typeEPSG_NS1_7vsmem_tEENKUlT_SE_SF_SG_E_clIS8_S8_S9_S9_EESD_ST_SE_SF_SG_EUlST_E1_NS1_11comp_targetILNS1_3genE9ELNS1_11target_archE1100ELNS1_3gpuE3ELNS1_3repE0EEENS1_36merge_oddeven_config_static_selectorELNS0_4arch9wavefront6targetE1EEEvSF_.kd
    .uniform_work_group_size: 1
    .uses_dynamic_stack: false
    .vgpr_count:     0
    .vgpr_spill_count: 0
    .wavefront_size: 64
  - .agpr_count:     0
    .args:
      - .offset:         0
        .size:           48
        .value_kind:     by_value
    .group_segment_fixed_size: 0
    .kernarg_segment_align: 8
    .kernarg_segment_size: 48
    .language:       OpenCL C
    .language_version:
      - 2
      - 0
    .max_flat_workgroup_size: 256
    .name:           _ZN7rocprim17ROCPRIM_400000_NS6detail17trampoline_kernelINS0_14default_configENS1_38merge_sort_block_merge_config_selectorIjNS0_10empty_typeEEEZZNS1_27merge_sort_block_merge_implIS3_PjPS5_jNS1_19radix_merge_compareILb1ELb0EjNS0_19identity_decomposerEEEEE10hipError_tT0_T1_T2_jT3_P12ihipStream_tbPNSt15iterator_traitsISE_E10value_typeEPNSK_ISF_E10value_typeEPSG_NS1_7vsmem_tEENKUlT_SE_SF_SG_E_clIS8_S8_S9_S9_EESD_ST_SE_SF_SG_EUlST_E1_NS1_11comp_targetILNS1_3genE8ELNS1_11target_archE1030ELNS1_3gpuE2ELNS1_3repE0EEENS1_36merge_oddeven_config_static_selectorELNS0_4arch9wavefront6targetE1EEEvSF_
    .private_segment_fixed_size: 0
    .sgpr_count:     4
    .sgpr_spill_count: 0
    .symbol:         _ZN7rocprim17ROCPRIM_400000_NS6detail17trampoline_kernelINS0_14default_configENS1_38merge_sort_block_merge_config_selectorIjNS0_10empty_typeEEEZZNS1_27merge_sort_block_merge_implIS3_PjPS5_jNS1_19radix_merge_compareILb1ELb0EjNS0_19identity_decomposerEEEEE10hipError_tT0_T1_T2_jT3_P12ihipStream_tbPNSt15iterator_traitsISE_E10value_typeEPNSK_ISF_E10value_typeEPSG_NS1_7vsmem_tEENKUlT_SE_SF_SG_E_clIS8_S8_S9_S9_EESD_ST_SE_SF_SG_EUlST_E1_NS1_11comp_targetILNS1_3genE8ELNS1_11target_archE1030ELNS1_3gpuE2ELNS1_3repE0EEENS1_36merge_oddeven_config_static_selectorELNS0_4arch9wavefront6targetE1EEEvSF_.kd
    .uniform_work_group_size: 1
    .uses_dynamic_stack: false
    .vgpr_count:     0
    .vgpr_spill_count: 0
    .wavefront_size: 64
  - .agpr_count:     0
    .args:
      - .offset:         0
        .size:           40
        .value_kind:     by_value
    .group_segment_fixed_size: 0
    .kernarg_segment_align: 8
    .kernarg_segment_size: 40
    .language:       OpenCL C
    .language_version:
      - 2
      - 0
    .max_flat_workgroup_size: 128
    .name:           _ZN7rocprim17ROCPRIM_400000_NS6detail17trampoline_kernelINS0_14default_configENS1_38merge_sort_block_merge_config_selectorIjNS0_10empty_typeEEEZZNS1_27merge_sort_block_merge_implIS3_PjPS5_jNS1_19radix_merge_compareILb1ELb1EjNS0_19identity_decomposerEEEEE10hipError_tT0_T1_T2_jT3_P12ihipStream_tbPNSt15iterator_traitsISE_E10value_typeEPNSK_ISF_E10value_typeEPSG_NS1_7vsmem_tEENKUlT_SE_SF_SG_E_clIS8_S8_S9_S9_EESD_ST_SE_SF_SG_EUlST_E_NS1_11comp_targetILNS1_3genE0ELNS1_11target_archE4294967295ELNS1_3gpuE0ELNS1_3repE0EEENS1_48merge_mergepath_partition_config_static_selectorELNS0_4arch9wavefront6targetE1EEEvSF_
    .private_segment_fixed_size: 0
    .sgpr_count:     4
    .sgpr_spill_count: 0
    .symbol:         _ZN7rocprim17ROCPRIM_400000_NS6detail17trampoline_kernelINS0_14default_configENS1_38merge_sort_block_merge_config_selectorIjNS0_10empty_typeEEEZZNS1_27merge_sort_block_merge_implIS3_PjPS5_jNS1_19radix_merge_compareILb1ELb1EjNS0_19identity_decomposerEEEEE10hipError_tT0_T1_T2_jT3_P12ihipStream_tbPNSt15iterator_traitsISE_E10value_typeEPNSK_ISF_E10value_typeEPSG_NS1_7vsmem_tEENKUlT_SE_SF_SG_E_clIS8_S8_S9_S9_EESD_ST_SE_SF_SG_EUlST_E_NS1_11comp_targetILNS1_3genE0ELNS1_11target_archE4294967295ELNS1_3gpuE0ELNS1_3repE0EEENS1_48merge_mergepath_partition_config_static_selectorELNS0_4arch9wavefront6targetE1EEEvSF_.kd
    .uniform_work_group_size: 1
    .uses_dynamic_stack: false
    .vgpr_count:     0
    .vgpr_spill_count: 0
    .wavefront_size: 64
  - .agpr_count:     0
    .args:
      - .offset:         0
        .size:           40
        .value_kind:     by_value
    .group_segment_fixed_size: 0
    .kernarg_segment_align: 8
    .kernarg_segment_size: 40
    .language:       OpenCL C
    .language_version:
      - 2
      - 0
    .max_flat_workgroup_size: 128
    .name:           _ZN7rocprim17ROCPRIM_400000_NS6detail17trampoline_kernelINS0_14default_configENS1_38merge_sort_block_merge_config_selectorIjNS0_10empty_typeEEEZZNS1_27merge_sort_block_merge_implIS3_PjPS5_jNS1_19radix_merge_compareILb1ELb1EjNS0_19identity_decomposerEEEEE10hipError_tT0_T1_T2_jT3_P12ihipStream_tbPNSt15iterator_traitsISE_E10value_typeEPNSK_ISF_E10value_typeEPSG_NS1_7vsmem_tEENKUlT_SE_SF_SG_E_clIS8_S8_S9_S9_EESD_ST_SE_SF_SG_EUlST_E_NS1_11comp_targetILNS1_3genE10ELNS1_11target_archE1201ELNS1_3gpuE5ELNS1_3repE0EEENS1_48merge_mergepath_partition_config_static_selectorELNS0_4arch9wavefront6targetE1EEEvSF_
    .private_segment_fixed_size: 0
    .sgpr_count:     4
    .sgpr_spill_count: 0
    .symbol:         _ZN7rocprim17ROCPRIM_400000_NS6detail17trampoline_kernelINS0_14default_configENS1_38merge_sort_block_merge_config_selectorIjNS0_10empty_typeEEEZZNS1_27merge_sort_block_merge_implIS3_PjPS5_jNS1_19radix_merge_compareILb1ELb1EjNS0_19identity_decomposerEEEEE10hipError_tT0_T1_T2_jT3_P12ihipStream_tbPNSt15iterator_traitsISE_E10value_typeEPNSK_ISF_E10value_typeEPSG_NS1_7vsmem_tEENKUlT_SE_SF_SG_E_clIS8_S8_S9_S9_EESD_ST_SE_SF_SG_EUlST_E_NS1_11comp_targetILNS1_3genE10ELNS1_11target_archE1201ELNS1_3gpuE5ELNS1_3repE0EEENS1_48merge_mergepath_partition_config_static_selectorELNS0_4arch9wavefront6targetE1EEEvSF_.kd
    .uniform_work_group_size: 1
    .uses_dynamic_stack: false
    .vgpr_count:     0
    .vgpr_spill_count: 0
    .wavefront_size: 64
  - .agpr_count:     0
    .args:
      - .offset:         0
        .size:           40
        .value_kind:     by_value
    .group_segment_fixed_size: 0
    .kernarg_segment_align: 8
    .kernarg_segment_size: 40
    .language:       OpenCL C
    .language_version:
      - 2
      - 0
    .max_flat_workgroup_size: 128
    .name:           _ZN7rocprim17ROCPRIM_400000_NS6detail17trampoline_kernelINS0_14default_configENS1_38merge_sort_block_merge_config_selectorIjNS0_10empty_typeEEEZZNS1_27merge_sort_block_merge_implIS3_PjPS5_jNS1_19radix_merge_compareILb1ELb1EjNS0_19identity_decomposerEEEEE10hipError_tT0_T1_T2_jT3_P12ihipStream_tbPNSt15iterator_traitsISE_E10value_typeEPNSK_ISF_E10value_typeEPSG_NS1_7vsmem_tEENKUlT_SE_SF_SG_E_clIS8_S8_S9_S9_EESD_ST_SE_SF_SG_EUlST_E_NS1_11comp_targetILNS1_3genE5ELNS1_11target_archE942ELNS1_3gpuE9ELNS1_3repE0EEENS1_48merge_mergepath_partition_config_static_selectorELNS0_4arch9wavefront6targetE1EEEvSF_
    .private_segment_fixed_size: 0
    .sgpr_count:     4
    .sgpr_spill_count: 0
    .symbol:         _ZN7rocprim17ROCPRIM_400000_NS6detail17trampoline_kernelINS0_14default_configENS1_38merge_sort_block_merge_config_selectorIjNS0_10empty_typeEEEZZNS1_27merge_sort_block_merge_implIS3_PjPS5_jNS1_19radix_merge_compareILb1ELb1EjNS0_19identity_decomposerEEEEE10hipError_tT0_T1_T2_jT3_P12ihipStream_tbPNSt15iterator_traitsISE_E10value_typeEPNSK_ISF_E10value_typeEPSG_NS1_7vsmem_tEENKUlT_SE_SF_SG_E_clIS8_S8_S9_S9_EESD_ST_SE_SF_SG_EUlST_E_NS1_11comp_targetILNS1_3genE5ELNS1_11target_archE942ELNS1_3gpuE9ELNS1_3repE0EEENS1_48merge_mergepath_partition_config_static_selectorELNS0_4arch9wavefront6targetE1EEEvSF_.kd
    .uniform_work_group_size: 1
    .uses_dynamic_stack: false
    .vgpr_count:     0
    .vgpr_spill_count: 0
    .wavefront_size: 64
  - .agpr_count:     0
    .args:
      - .offset:         0
        .size:           40
        .value_kind:     by_value
    .group_segment_fixed_size: 0
    .kernarg_segment_align: 8
    .kernarg_segment_size: 40
    .language:       OpenCL C
    .language_version:
      - 2
      - 0
    .max_flat_workgroup_size: 128
    .name:           _ZN7rocprim17ROCPRIM_400000_NS6detail17trampoline_kernelINS0_14default_configENS1_38merge_sort_block_merge_config_selectorIjNS0_10empty_typeEEEZZNS1_27merge_sort_block_merge_implIS3_PjPS5_jNS1_19radix_merge_compareILb1ELb1EjNS0_19identity_decomposerEEEEE10hipError_tT0_T1_T2_jT3_P12ihipStream_tbPNSt15iterator_traitsISE_E10value_typeEPNSK_ISF_E10value_typeEPSG_NS1_7vsmem_tEENKUlT_SE_SF_SG_E_clIS8_S8_S9_S9_EESD_ST_SE_SF_SG_EUlST_E_NS1_11comp_targetILNS1_3genE4ELNS1_11target_archE910ELNS1_3gpuE8ELNS1_3repE0EEENS1_48merge_mergepath_partition_config_static_selectorELNS0_4arch9wavefront6targetE1EEEvSF_
    .private_segment_fixed_size: 0
    .sgpr_count:     14
    .sgpr_spill_count: 0
    .symbol:         _ZN7rocprim17ROCPRIM_400000_NS6detail17trampoline_kernelINS0_14default_configENS1_38merge_sort_block_merge_config_selectorIjNS0_10empty_typeEEEZZNS1_27merge_sort_block_merge_implIS3_PjPS5_jNS1_19radix_merge_compareILb1ELb1EjNS0_19identity_decomposerEEEEE10hipError_tT0_T1_T2_jT3_P12ihipStream_tbPNSt15iterator_traitsISE_E10value_typeEPNSK_ISF_E10value_typeEPSG_NS1_7vsmem_tEENKUlT_SE_SF_SG_E_clIS8_S8_S9_S9_EESD_ST_SE_SF_SG_EUlST_E_NS1_11comp_targetILNS1_3genE4ELNS1_11target_archE910ELNS1_3gpuE8ELNS1_3repE0EEENS1_48merge_mergepath_partition_config_static_selectorELNS0_4arch9wavefront6targetE1EEEvSF_.kd
    .uniform_work_group_size: 1
    .uses_dynamic_stack: false
    .vgpr_count:     17
    .vgpr_spill_count: 0
    .wavefront_size: 64
  - .agpr_count:     0
    .args:
      - .offset:         0
        .size:           40
        .value_kind:     by_value
    .group_segment_fixed_size: 0
    .kernarg_segment_align: 8
    .kernarg_segment_size: 40
    .language:       OpenCL C
    .language_version:
      - 2
      - 0
    .max_flat_workgroup_size: 128
    .name:           _ZN7rocprim17ROCPRIM_400000_NS6detail17trampoline_kernelINS0_14default_configENS1_38merge_sort_block_merge_config_selectorIjNS0_10empty_typeEEEZZNS1_27merge_sort_block_merge_implIS3_PjPS5_jNS1_19radix_merge_compareILb1ELb1EjNS0_19identity_decomposerEEEEE10hipError_tT0_T1_T2_jT3_P12ihipStream_tbPNSt15iterator_traitsISE_E10value_typeEPNSK_ISF_E10value_typeEPSG_NS1_7vsmem_tEENKUlT_SE_SF_SG_E_clIS8_S8_S9_S9_EESD_ST_SE_SF_SG_EUlST_E_NS1_11comp_targetILNS1_3genE3ELNS1_11target_archE908ELNS1_3gpuE7ELNS1_3repE0EEENS1_48merge_mergepath_partition_config_static_selectorELNS0_4arch9wavefront6targetE1EEEvSF_
    .private_segment_fixed_size: 0
    .sgpr_count:     4
    .sgpr_spill_count: 0
    .symbol:         _ZN7rocprim17ROCPRIM_400000_NS6detail17trampoline_kernelINS0_14default_configENS1_38merge_sort_block_merge_config_selectorIjNS0_10empty_typeEEEZZNS1_27merge_sort_block_merge_implIS3_PjPS5_jNS1_19radix_merge_compareILb1ELb1EjNS0_19identity_decomposerEEEEE10hipError_tT0_T1_T2_jT3_P12ihipStream_tbPNSt15iterator_traitsISE_E10value_typeEPNSK_ISF_E10value_typeEPSG_NS1_7vsmem_tEENKUlT_SE_SF_SG_E_clIS8_S8_S9_S9_EESD_ST_SE_SF_SG_EUlST_E_NS1_11comp_targetILNS1_3genE3ELNS1_11target_archE908ELNS1_3gpuE7ELNS1_3repE0EEENS1_48merge_mergepath_partition_config_static_selectorELNS0_4arch9wavefront6targetE1EEEvSF_.kd
    .uniform_work_group_size: 1
    .uses_dynamic_stack: false
    .vgpr_count:     0
    .vgpr_spill_count: 0
    .wavefront_size: 64
  - .agpr_count:     0
    .args:
      - .offset:         0
        .size:           40
        .value_kind:     by_value
    .group_segment_fixed_size: 0
    .kernarg_segment_align: 8
    .kernarg_segment_size: 40
    .language:       OpenCL C
    .language_version:
      - 2
      - 0
    .max_flat_workgroup_size: 128
    .name:           _ZN7rocprim17ROCPRIM_400000_NS6detail17trampoline_kernelINS0_14default_configENS1_38merge_sort_block_merge_config_selectorIjNS0_10empty_typeEEEZZNS1_27merge_sort_block_merge_implIS3_PjPS5_jNS1_19radix_merge_compareILb1ELb1EjNS0_19identity_decomposerEEEEE10hipError_tT0_T1_T2_jT3_P12ihipStream_tbPNSt15iterator_traitsISE_E10value_typeEPNSK_ISF_E10value_typeEPSG_NS1_7vsmem_tEENKUlT_SE_SF_SG_E_clIS8_S8_S9_S9_EESD_ST_SE_SF_SG_EUlST_E_NS1_11comp_targetILNS1_3genE2ELNS1_11target_archE906ELNS1_3gpuE6ELNS1_3repE0EEENS1_48merge_mergepath_partition_config_static_selectorELNS0_4arch9wavefront6targetE1EEEvSF_
    .private_segment_fixed_size: 0
    .sgpr_count:     4
    .sgpr_spill_count: 0
    .symbol:         _ZN7rocprim17ROCPRIM_400000_NS6detail17trampoline_kernelINS0_14default_configENS1_38merge_sort_block_merge_config_selectorIjNS0_10empty_typeEEEZZNS1_27merge_sort_block_merge_implIS3_PjPS5_jNS1_19radix_merge_compareILb1ELb1EjNS0_19identity_decomposerEEEEE10hipError_tT0_T1_T2_jT3_P12ihipStream_tbPNSt15iterator_traitsISE_E10value_typeEPNSK_ISF_E10value_typeEPSG_NS1_7vsmem_tEENKUlT_SE_SF_SG_E_clIS8_S8_S9_S9_EESD_ST_SE_SF_SG_EUlST_E_NS1_11comp_targetILNS1_3genE2ELNS1_11target_archE906ELNS1_3gpuE6ELNS1_3repE0EEENS1_48merge_mergepath_partition_config_static_selectorELNS0_4arch9wavefront6targetE1EEEvSF_.kd
    .uniform_work_group_size: 1
    .uses_dynamic_stack: false
    .vgpr_count:     0
    .vgpr_spill_count: 0
    .wavefront_size: 64
  - .agpr_count:     0
    .args:
      - .offset:         0
        .size:           40
        .value_kind:     by_value
    .group_segment_fixed_size: 0
    .kernarg_segment_align: 8
    .kernarg_segment_size: 40
    .language:       OpenCL C
    .language_version:
      - 2
      - 0
    .max_flat_workgroup_size: 128
    .name:           _ZN7rocprim17ROCPRIM_400000_NS6detail17trampoline_kernelINS0_14default_configENS1_38merge_sort_block_merge_config_selectorIjNS0_10empty_typeEEEZZNS1_27merge_sort_block_merge_implIS3_PjPS5_jNS1_19radix_merge_compareILb1ELb1EjNS0_19identity_decomposerEEEEE10hipError_tT0_T1_T2_jT3_P12ihipStream_tbPNSt15iterator_traitsISE_E10value_typeEPNSK_ISF_E10value_typeEPSG_NS1_7vsmem_tEENKUlT_SE_SF_SG_E_clIS8_S8_S9_S9_EESD_ST_SE_SF_SG_EUlST_E_NS1_11comp_targetILNS1_3genE9ELNS1_11target_archE1100ELNS1_3gpuE3ELNS1_3repE0EEENS1_48merge_mergepath_partition_config_static_selectorELNS0_4arch9wavefront6targetE1EEEvSF_
    .private_segment_fixed_size: 0
    .sgpr_count:     4
    .sgpr_spill_count: 0
    .symbol:         _ZN7rocprim17ROCPRIM_400000_NS6detail17trampoline_kernelINS0_14default_configENS1_38merge_sort_block_merge_config_selectorIjNS0_10empty_typeEEEZZNS1_27merge_sort_block_merge_implIS3_PjPS5_jNS1_19radix_merge_compareILb1ELb1EjNS0_19identity_decomposerEEEEE10hipError_tT0_T1_T2_jT3_P12ihipStream_tbPNSt15iterator_traitsISE_E10value_typeEPNSK_ISF_E10value_typeEPSG_NS1_7vsmem_tEENKUlT_SE_SF_SG_E_clIS8_S8_S9_S9_EESD_ST_SE_SF_SG_EUlST_E_NS1_11comp_targetILNS1_3genE9ELNS1_11target_archE1100ELNS1_3gpuE3ELNS1_3repE0EEENS1_48merge_mergepath_partition_config_static_selectorELNS0_4arch9wavefront6targetE1EEEvSF_.kd
    .uniform_work_group_size: 1
    .uses_dynamic_stack: false
    .vgpr_count:     0
    .vgpr_spill_count: 0
    .wavefront_size: 64
  - .agpr_count:     0
    .args:
      - .offset:         0
        .size:           40
        .value_kind:     by_value
    .group_segment_fixed_size: 0
    .kernarg_segment_align: 8
    .kernarg_segment_size: 40
    .language:       OpenCL C
    .language_version:
      - 2
      - 0
    .max_flat_workgroup_size: 128
    .name:           _ZN7rocprim17ROCPRIM_400000_NS6detail17trampoline_kernelINS0_14default_configENS1_38merge_sort_block_merge_config_selectorIjNS0_10empty_typeEEEZZNS1_27merge_sort_block_merge_implIS3_PjPS5_jNS1_19radix_merge_compareILb1ELb1EjNS0_19identity_decomposerEEEEE10hipError_tT0_T1_T2_jT3_P12ihipStream_tbPNSt15iterator_traitsISE_E10value_typeEPNSK_ISF_E10value_typeEPSG_NS1_7vsmem_tEENKUlT_SE_SF_SG_E_clIS8_S8_S9_S9_EESD_ST_SE_SF_SG_EUlST_E_NS1_11comp_targetILNS1_3genE8ELNS1_11target_archE1030ELNS1_3gpuE2ELNS1_3repE0EEENS1_48merge_mergepath_partition_config_static_selectorELNS0_4arch9wavefront6targetE1EEEvSF_
    .private_segment_fixed_size: 0
    .sgpr_count:     4
    .sgpr_spill_count: 0
    .symbol:         _ZN7rocprim17ROCPRIM_400000_NS6detail17trampoline_kernelINS0_14default_configENS1_38merge_sort_block_merge_config_selectorIjNS0_10empty_typeEEEZZNS1_27merge_sort_block_merge_implIS3_PjPS5_jNS1_19radix_merge_compareILb1ELb1EjNS0_19identity_decomposerEEEEE10hipError_tT0_T1_T2_jT3_P12ihipStream_tbPNSt15iterator_traitsISE_E10value_typeEPNSK_ISF_E10value_typeEPSG_NS1_7vsmem_tEENKUlT_SE_SF_SG_E_clIS8_S8_S9_S9_EESD_ST_SE_SF_SG_EUlST_E_NS1_11comp_targetILNS1_3genE8ELNS1_11target_archE1030ELNS1_3gpuE2ELNS1_3repE0EEENS1_48merge_mergepath_partition_config_static_selectorELNS0_4arch9wavefront6targetE1EEEvSF_.kd
    .uniform_work_group_size: 1
    .uses_dynamic_stack: false
    .vgpr_count:     0
    .vgpr_spill_count: 0
    .wavefront_size: 64
  - .agpr_count:     0
    .args:
      - .offset:         0
        .size:           64
        .value_kind:     by_value
    .group_segment_fixed_size: 0
    .kernarg_segment_align: 8
    .kernarg_segment_size: 64
    .language:       OpenCL C
    .language_version:
      - 2
      - 0
    .max_flat_workgroup_size: 128
    .name:           _ZN7rocprim17ROCPRIM_400000_NS6detail17trampoline_kernelINS0_14default_configENS1_38merge_sort_block_merge_config_selectorIjNS0_10empty_typeEEEZZNS1_27merge_sort_block_merge_implIS3_PjPS5_jNS1_19radix_merge_compareILb1ELb1EjNS0_19identity_decomposerEEEEE10hipError_tT0_T1_T2_jT3_P12ihipStream_tbPNSt15iterator_traitsISE_E10value_typeEPNSK_ISF_E10value_typeEPSG_NS1_7vsmem_tEENKUlT_SE_SF_SG_E_clIS8_S8_S9_S9_EESD_ST_SE_SF_SG_EUlST_E0_NS1_11comp_targetILNS1_3genE0ELNS1_11target_archE4294967295ELNS1_3gpuE0ELNS1_3repE0EEENS1_38merge_mergepath_config_static_selectorELNS0_4arch9wavefront6targetE1EEEvSF_
    .private_segment_fixed_size: 0
    .sgpr_count:     4
    .sgpr_spill_count: 0
    .symbol:         _ZN7rocprim17ROCPRIM_400000_NS6detail17trampoline_kernelINS0_14default_configENS1_38merge_sort_block_merge_config_selectorIjNS0_10empty_typeEEEZZNS1_27merge_sort_block_merge_implIS3_PjPS5_jNS1_19radix_merge_compareILb1ELb1EjNS0_19identity_decomposerEEEEE10hipError_tT0_T1_T2_jT3_P12ihipStream_tbPNSt15iterator_traitsISE_E10value_typeEPNSK_ISF_E10value_typeEPSG_NS1_7vsmem_tEENKUlT_SE_SF_SG_E_clIS8_S8_S9_S9_EESD_ST_SE_SF_SG_EUlST_E0_NS1_11comp_targetILNS1_3genE0ELNS1_11target_archE4294967295ELNS1_3gpuE0ELNS1_3repE0EEENS1_38merge_mergepath_config_static_selectorELNS0_4arch9wavefront6targetE1EEEvSF_.kd
    .uniform_work_group_size: 1
    .uses_dynamic_stack: false
    .vgpr_count:     0
    .vgpr_spill_count: 0
    .wavefront_size: 64
  - .agpr_count:     0
    .args:
      - .offset:         0
        .size:           64
        .value_kind:     by_value
    .group_segment_fixed_size: 0
    .kernarg_segment_align: 8
    .kernarg_segment_size: 64
    .language:       OpenCL C
    .language_version:
      - 2
      - 0
    .max_flat_workgroup_size: 256
    .name:           _ZN7rocprim17ROCPRIM_400000_NS6detail17trampoline_kernelINS0_14default_configENS1_38merge_sort_block_merge_config_selectorIjNS0_10empty_typeEEEZZNS1_27merge_sort_block_merge_implIS3_PjPS5_jNS1_19radix_merge_compareILb1ELb1EjNS0_19identity_decomposerEEEEE10hipError_tT0_T1_T2_jT3_P12ihipStream_tbPNSt15iterator_traitsISE_E10value_typeEPNSK_ISF_E10value_typeEPSG_NS1_7vsmem_tEENKUlT_SE_SF_SG_E_clIS8_S8_S9_S9_EESD_ST_SE_SF_SG_EUlST_E0_NS1_11comp_targetILNS1_3genE10ELNS1_11target_archE1201ELNS1_3gpuE5ELNS1_3repE0EEENS1_38merge_mergepath_config_static_selectorELNS0_4arch9wavefront6targetE1EEEvSF_
    .private_segment_fixed_size: 0
    .sgpr_count:     4
    .sgpr_spill_count: 0
    .symbol:         _ZN7rocprim17ROCPRIM_400000_NS6detail17trampoline_kernelINS0_14default_configENS1_38merge_sort_block_merge_config_selectorIjNS0_10empty_typeEEEZZNS1_27merge_sort_block_merge_implIS3_PjPS5_jNS1_19radix_merge_compareILb1ELb1EjNS0_19identity_decomposerEEEEE10hipError_tT0_T1_T2_jT3_P12ihipStream_tbPNSt15iterator_traitsISE_E10value_typeEPNSK_ISF_E10value_typeEPSG_NS1_7vsmem_tEENKUlT_SE_SF_SG_E_clIS8_S8_S9_S9_EESD_ST_SE_SF_SG_EUlST_E0_NS1_11comp_targetILNS1_3genE10ELNS1_11target_archE1201ELNS1_3gpuE5ELNS1_3repE0EEENS1_38merge_mergepath_config_static_selectorELNS0_4arch9wavefront6targetE1EEEvSF_.kd
    .uniform_work_group_size: 1
    .uses_dynamic_stack: false
    .vgpr_count:     0
    .vgpr_spill_count: 0
    .wavefront_size: 64
  - .agpr_count:     0
    .args:
      - .offset:         0
        .size:           64
        .value_kind:     by_value
    .group_segment_fixed_size: 0
    .kernarg_segment_align: 8
    .kernarg_segment_size: 64
    .language:       OpenCL C
    .language_version:
      - 2
      - 0
    .max_flat_workgroup_size: 128
    .name:           _ZN7rocprim17ROCPRIM_400000_NS6detail17trampoline_kernelINS0_14default_configENS1_38merge_sort_block_merge_config_selectorIjNS0_10empty_typeEEEZZNS1_27merge_sort_block_merge_implIS3_PjPS5_jNS1_19radix_merge_compareILb1ELb1EjNS0_19identity_decomposerEEEEE10hipError_tT0_T1_T2_jT3_P12ihipStream_tbPNSt15iterator_traitsISE_E10value_typeEPNSK_ISF_E10value_typeEPSG_NS1_7vsmem_tEENKUlT_SE_SF_SG_E_clIS8_S8_S9_S9_EESD_ST_SE_SF_SG_EUlST_E0_NS1_11comp_targetILNS1_3genE5ELNS1_11target_archE942ELNS1_3gpuE9ELNS1_3repE0EEENS1_38merge_mergepath_config_static_selectorELNS0_4arch9wavefront6targetE1EEEvSF_
    .private_segment_fixed_size: 0
    .sgpr_count:     4
    .sgpr_spill_count: 0
    .symbol:         _ZN7rocprim17ROCPRIM_400000_NS6detail17trampoline_kernelINS0_14default_configENS1_38merge_sort_block_merge_config_selectorIjNS0_10empty_typeEEEZZNS1_27merge_sort_block_merge_implIS3_PjPS5_jNS1_19radix_merge_compareILb1ELb1EjNS0_19identity_decomposerEEEEE10hipError_tT0_T1_T2_jT3_P12ihipStream_tbPNSt15iterator_traitsISE_E10value_typeEPNSK_ISF_E10value_typeEPSG_NS1_7vsmem_tEENKUlT_SE_SF_SG_E_clIS8_S8_S9_S9_EESD_ST_SE_SF_SG_EUlST_E0_NS1_11comp_targetILNS1_3genE5ELNS1_11target_archE942ELNS1_3gpuE9ELNS1_3repE0EEENS1_38merge_mergepath_config_static_selectorELNS0_4arch9wavefront6targetE1EEEvSF_.kd
    .uniform_work_group_size: 1
    .uses_dynamic_stack: false
    .vgpr_count:     0
    .vgpr_spill_count: 0
    .wavefront_size: 64
  - .agpr_count:     0
    .args:
      - .offset:         0
        .size:           64
        .value_kind:     by_value
      - .offset:         64
        .size:           4
        .value_kind:     hidden_block_count_x
      - .offset:         68
        .size:           4
        .value_kind:     hidden_block_count_y
      - .offset:         72
        .size:           4
        .value_kind:     hidden_block_count_z
      - .offset:         76
        .size:           2
        .value_kind:     hidden_group_size_x
      - .offset:         78
        .size:           2
        .value_kind:     hidden_group_size_y
      - .offset:         80
        .size:           2
        .value_kind:     hidden_group_size_z
      - .offset:         82
        .size:           2
        .value_kind:     hidden_remainder_x
      - .offset:         84
        .size:           2
        .value_kind:     hidden_remainder_y
      - .offset:         86
        .size:           2
        .value_kind:     hidden_remainder_z
      - .offset:         104
        .size:           8
        .value_kind:     hidden_global_offset_x
      - .offset:         112
        .size:           8
        .value_kind:     hidden_global_offset_y
      - .offset:         120
        .size:           8
        .value_kind:     hidden_global_offset_z
      - .offset:         128
        .size:           2
        .value_kind:     hidden_grid_dims
    .group_segment_fixed_size: 4224
    .kernarg_segment_align: 8
    .kernarg_segment_size: 320
    .language:       OpenCL C
    .language_version:
      - 2
      - 0
    .max_flat_workgroup_size: 128
    .name:           _ZN7rocprim17ROCPRIM_400000_NS6detail17trampoline_kernelINS0_14default_configENS1_38merge_sort_block_merge_config_selectorIjNS0_10empty_typeEEEZZNS1_27merge_sort_block_merge_implIS3_PjPS5_jNS1_19radix_merge_compareILb1ELb1EjNS0_19identity_decomposerEEEEE10hipError_tT0_T1_T2_jT3_P12ihipStream_tbPNSt15iterator_traitsISE_E10value_typeEPNSK_ISF_E10value_typeEPSG_NS1_7vsmem_tEENKUlT_SE_SF_SG_E_clIS8_S8_S9_S9_EESD_ST_SE_SF_SG_EUlST_E0_NS1_11comp_targetILNS1_3genE4ELNS1_11target_archE910ELNS1_3gpuE8ELNS1_3repE0EEENS1_38merge_mergepath_config_static_selectorELNS0_4arch9wavefront6targetE1EEEvSF_
    .private_segment_fixed_size: 0
    .sgpr_count:     29
    .sgpr_spill_count: 0
    .symbol:         _ZN7rocprim17ROCPRIM_400000_NS6detail17trampoline_kernelINS0_14default_configENS1_38merge_sort_block_merge_config_selectorIjNS0_10empty_typeEEEZZNS1_27merge_sort_block_merge_implIS3_PjPS5_jNS1_19radix_merge_compareILb1ELb1EjNS0_19identity_decomposerEEEEE10hipError_tT0_T1_T2_jT3_P12ihipStream_tbPNSt15iterator_traitsISE_E10value_typeEPNSK_ISF_E10value_typeEPSG_NS1_7vsmem_tEENKUlT_SE_SF_SG_E_clIS8_S8_S9_S9_EESD_ST_SE_SF_SG_EUlST_E0_NS1_11comp_targetILNS1_3genE4ELNS1_11target_archE910ELNS1_3gpuE8ELNS1_3repE0EEENS1_38merge_mergepath_config_static_selectorELNS0_4arch9wavefront6targetE1EEEvSF_.kd
    .uniform_work_group_size: 1
    .uses_dynamic_stack: false
    .vgpr_count:     26
    .vgpr_spill_count: 0
    .wavefront_size: 64
  - .agpr_count:     0
    .args:
      - .offset:         0
        .size:           64
        .value_kind:     by_value
    .group_segment_fixed_size: 0
    .kernarg_segment_align: 8
    .kernarg_segment_size: 64
    .language:       OpenCL C
    .language_version:
      - 2
      - 0
    .max_flat_workgroup_size: 128
    .name:           _ZN7rocprim17ROCPRIM_400000_NS6detail17trampoline_kernelINS0_14default_configENS1_38merge_sort_block_merge_config_selectorIjNS0_10empty_typeEEEZZNS1_27merge_sort_block_merge_implIS3_PjPS5_jNS1_19radix_merge_compareILb1ELb1EjNS0_19identity_decomposerEEEEE10hipError_tT0_T1_T2_jT3_P12ihipStream_tbPNSt15iterator_traitsISE_E10value_typeEPNSK_ISF_E10value_typeEPSG_NS1_7vsmem_tEENKUlT_SE_SF_SG_E_clIS8_S8_S9_S9_EESD_ST_SE_SF_SG_EUlST_E0_NS1_11comp_targetILNS1_3genE3ELNS1_11target_archE908ELNS1_3gpuE7ELNS1_3repE0EEENS1_38merge_mergepath_config_static_selectorELNS0_4arch9wavefront6targetE1EEEvSF_
    .private_segment_fixed_size: 0
    .sgpr_count:     4
    .sgpr_spill_count: 0
    .symbol:         _ZN7rocprim17ROCPRIM_400000_NS6detail17trampoline_kernelINS0_14default_configENS1_38merge_sort_block_merge_config_selectorIjNS0_10empty_typeEEEZZNS1_27merge_sort_block_merge_implIS3_PjPS5_jNS1_19radix_merge_compareILb1ELb1EjNS0_19identity_decomposerEEEEE10hipError_tT0_T1_T2_jT3_P12ihipStream_tbPNSt15iterator_traitsISE_E10value_typeEPNSK_ISF_E10value_typeEPSG_NS1_7vsmem_tEENKUlT_SE_SF_SG_E_clIS8_S8_S9_S9_EESD_ST_SE_SF_SG_EUlST_E0_NS1_11comp_targetILNS1_3genE3ELNS1_11target_archE908ELNS1_3gpuE7ELNS1_3repE0EEENS1_38merge_mergepath_config_static_selectorELNS0_4arch9wavefront6targetE1EEEvSF_.kd
    .uniform_work_group_size: 1
    .uses_dynamic_stack: false
    .vgpr_count:     0
    .vgpr_spill_count: 0
    .wavefront_size: 64
  - .agpr_count:     0
    .args:
      - .offset:         0
        .size:           64
        .value_kind:     by_value
    .group_segment_fixed_size: 0
    .kernarg_segment_align: 8
    .kernarg_segment_size: 64
    .language:       OpenCL C
    .language_version:
      - 2
      - 0
    .max_flat_workgroup_size: 128
    .name:           _ZN7rocprim17ROCPRIM_400000_NS6detail17trampoline_kernelINS0_14default_configENS1_38merge_sort_block_merge_config_selectorIjNS0_10empty_typeEEEZZNS1_27merge_sort_block_merge_implIS3_PjPS5_jNS1_19radix_merge_compareILb1ELb1EjNS0_19identity_decomposerEEEEE10hipError_tT0_T1_T2_jT3_P12ihipStream_tbPNSt15iterator_traitsISE_E10value_typeEPNSK_ISF_E10value_typeEPSG_NS1_7vsmem_tEENKUlT_SE_SF_SG_E_clIS8_S8_S9_S9_EESD_ST_SE_SF_SG_EUlST_E0_NS1_11comp_targetILNS1_3genE2ELNS1_11target_archE906ELNS1_3gpuE6ELNS1_3repE0EEENS1_38merge_mergepath_config_static_selectorELNS0_4arch9wavefront6targetE1EEEvSF_
    .private_segment_fixed_size: 0
    .sgpr_count:     4
    .sgpr_spill_count: 0
    .symbol:         _ZN7rocprim17ROCPRIM_400000_NS6detail17trampoline_kernelINS0_14default_configENS1_38merge_sort_block_merge_config_selectorIjNS0_10empty_typeEEEZZNS1_27merge_sort_block_merge_implIS3_PjPS5_jNS1_19radix_merge_compareILb1ELb1EjNS0_19identity_decomposerEEEEE10hipError_tT0_T1_T2_jT3_P12ihipStream_tbPNSt15iterator_traitsISE_E10value_typeEPNSK_ISF_E10value_typeEPSG_NS1_7vsmem_tEENKUlT_SE_SF_SG_E_clIS8_S8_S9_S9_EESD_ST_SE_SF_SG_EUlST_E0_NS1_11comp_targetILNS1_3genE2ELNS1_11target_archE906ELNS1_3gpuE6ELNS1_3repE0EEENS1_38merge_mergepath_config_static_selectorELNS0_4arch9wavefront6targetE1EEEvSF_.kd
    .uniform_work_group_size: 1
    .uses_dynamic_stack: false
    .vgpr_count:     0
    .vgpr_spill_count: 0
    .wavefront_size: 64
  - .agpr_count:     0
    .args:
      - .offset:         0
        .size:           64
        .value_kind:     by_value
    .group_segment_fixed_size: 0
    .kernarg_segment_align: 8
    .kernarg_segment_size: 64
    .language:       OpenCL C
    .language_version:
      - 2
      - 0
    .max_flat_workgroup_size: 256
    .name:           _ZN7rocprim17ROCPRIM_400000_NS6detail17trampoline_kernelINS0_14default_configENS1_38merge_sort_block_merge_config_selectorIjNS0_10empty_typeEEEZZNS1_27merge_sort_block_merge_implIS3_PjPS5_jNS1_19radix_merge_compareILb1ELb1EjNS0_19identity_decomposerEEEEE10hipError_tT0_T1_T2_jT3_P12ihipStream_tbPNSt15iterator_traitsISE_E10value_typeEPNSK_ISF_E10value_typeEPSG_NS1_7vsmem_tEENKUlT_SE_SF_SG_E_clIS8_S8_S9_S9_EESD_ST_SE_SF_SG_EUlST_E0_NS1_11comp_targetILNS1_3genE9ELNS1_11target_archE1100ELNS1_3gpuE3ELNS1_3repE0EEENS1_38merge_mergepath_config_static_selectorELNS0_4arch9wavefront6targetE1EEEvSF_
    .private_segment_fixed_size: 0
    .sgpr_count:     4
    .sgpr_spill_count: 0
    .symbol:         _ZN7rocprim17ROCPRIM_400000_NS6detail17trampoline_kernelINS0_14default_configENS1_38merge_sort_block_merge_config_selectorIjNS0_10empty_typeEEEZZNS1_27merge_sort_block_merge_implIS3_PjPS5_jNS1_19radix_merge_compareILb1ELb1EjNS0_19identity_decomposerEEEEE10hipError_tT0_T1_T2_jT3_P12ihipStream_tbPNSt15iterator_traitsISE_E10value_typeEPNSK_ISF_E10value_typeEPSG_NS1_7vsmem_tEENKUlT_SE_SF_SG_E_clIS8_S8_S9_S9_EESD_ST_SE_SF_SG_EUlST_E0_NS1_11comp_targetILNS1_3genE9ELNS1_11target_archE1100ELNS1_3gpuE3ELNS1_3repE0EEENS1_38merge_mergepath_config_static_selectorELNS0_4arch9wavefront6targetE1EEEvSF_.kd
    .uniform_work_group_size: 1
    .uses_dynamic_stack: false
    .vgpr_count:     0
    .vgpr_spill_count: 0
    .wavefront_size: 64
  - .agpr_count:     0
    .args:
      - .offset:         0
        .size:           64
        .value_kind:     by_value
    .group_segment_fixed_size: 0
    .kernarg_segment_align: 8
    .kernarg_segment_size: 64
    .language:       OpenCL C
    .language_version:
      - 2
      - 0
    .max_flat_workgroup_size: 512
    .name:           _ZN7rocprim17ROCPRIM_400000_NS6detail17trampoline_kernelINS0_14default_configENS1_38merge_sort_block_merge_config_selectorIjNS0_10empty_typeEEEZZNS1_27merge_sort_block_merge_implIS3_PjPS5_jNS1_19radix_merge_compareILb1ELb1EjNS0_19identity_decomposerEEEEE10hipError_tT0_T1_T2_jT3_P12ihipStream_tbPNSt15iterator_traitsISE_E10value_typeEPNSK_ISF_E10value_typeEPSG_NS1_7vsmem_tEENKUlT_SE_SF_SG_E_clIS8_S8_S9_S9_EESD_ST_SE_SF_SG_EUlST_E0_NS1_11comp_targetILNS1_3genE8ELNS1_11target_archE1030ELNS1_3gpuE2ELNS1_3repE0EEENS1_38merge_mergepath_config_static_selectorELNS0_4arch9wavefront6targetE1EEEvSF_
    .private_segment_fixed_size: 0
    .sgpr_count:     4
    .sgpr_spill_count: 0
    .symbol:         _ZN7rocprim17ROCPRIM_400000_NS6detail17trampoline_kernelINS0_14default_configENS1_38merge_sort_block_merge_config_selectorIjNS0_10empty_typeEEEZZNS1_27merge_sort_block_merge_implIS3_PjPS5_jNS1_19radix_merge_compareILb1ELb1EjNS0_19identity_decomposerEEEEE10hipError_tT0_T1_T2_jT3_P12ihipStream_tbPNSt15iterator_traitsISE_E10value_typeEPNSK_ISF_E10value_typeEPSG_NS1_7vsmem_tEENKUlT_SE_SF_SG_E_clIS8_S8_S9_S9_EESD_ST_SE_SF_SG_EUlST_E0_NS1_11comp_targetILNS1_3genE8ELNS1_11target_archE1030ELNS1_3gpuE2ELNS1_3repE0EEENS1_38merge_mergepath_config_static_selectorELNS0_4arch9wavefront6targetE1EEEvSF_.kd
    .uniform_work_group_size: 1
    .uses_dynamic_stack: false
    .vgpr_count:     0
    .vgpr_spill_count: 0
    .wavefront_size: 64
  - .agpr_count:     0
    .args:
      - .offset:         0
        .size:           48
        .value_kind:     by_value
    .group_segment_fixed_size: 0
    .kernarg_segment_align: 8
    .kernarg_segment_size: 48
    .language:       OpenCL C
    .language_version:
      - 2
      - 0
    .max_flat_workgroup_size: 256
    .name:           _ZN7rocprim17ROCPRIM_400000_NS6detail17trampoline_kernelINS0_14default_configENS1_38merge_sort_block_merge_config_selectorIjNS0_10empty_typeEEEZZNS1_27merge_sort_block_merge_implIS3_PjPS5_jNS1_19radix_merge_compareILb1ELb1EjNS0_19identity_decomposerEEEEE10hipError_tT0_T1_T2_jT3_P12ihipStream_tbPNSt15iterator_traitsISE_E10value_typeEPNSK_ISF_E10value_typeEPSG_NS1_7vsmem_tEENKUlT_SE_SF_SG_E_clIS8_S8_S9_S9_EESD_ST_SE_SF_SG_EUlST_E1_NS1_11comp_targetILNS1_3genE0ELNS1_11target_archE4294967295ELNS1_3gpuE0ELNS1_3repE0EEENS1_36merge_oddeven_config_static_selectorELNS0_4arch9wavefront6targetE1EEEvSF_
    .private_segment_fixed_size: 0
    .sgpr_count:     4
    .sgpr_spill_count: 0
    .symbol:         _ZN7rocprim17ROCPRIM_400000_NS6detail17trampoline_kernelINS0_14default_configENS1_38merge_sort_block_merge_config_selectorIjNS0_10empty_typeEEEZZNS1_27merge_sort_block_merge_implIS3_PjPS5_jNS1_19radix_merge_compareILb1ELb1EjNS0_19identity_decomposerEEEEE10hipError_tT0_T1_T2_jT3_P12ihipStream_tbPNSt15iterator_traitsISE_E10value_typeEPNSK_ISF_E10value_typeEPSG_NS1_7vsmem_tEENKUlT_SE_SF_SG_E_clIS8_S8_S9_S9_EESD_ST_SE_SF_SG_EUlST_E1_NS1_11comp_targetILNS1_3genE0ELNS1_11target_archE4294967295ELNS1_3gpuE0ELNS1_3repE0EEENS1_36merge_oddeven_config_static_selectorELNS0_4arch9wavefront6targetE1EEEvSF_.kd
    .uniform_work_group_size: 1
    .uses_dynamic_stack: false
    .vgpr_count:     0
    .vgpr_spill_count: 0
    .wavefront_size: 64
  - .agpr_count:     0
    .args:
      - .offset:         0
        .size:           48
        .value_kind:     by_value
    .group_segment_fixed_size: 0
    .kernarg_segment_align: 8
    .kernarg_segment_size: 48
    .language:       OpenCL C
    .language_version:
      - 2
      - 0
    .max_flat_workgroup_size: 256
    .name:           _ZN7rocprim17ROCPRIM_400000_NS6detail17trampoline_kernelINS0_14default_configENS1_38merge_sort_block_merge_config_selectorIjNS0_10empty_typeEEEZZNS1_27merge_sort_block_merge_implIS3_PjPS5_jNS1_19radix_merge_compareILb1ELb1EjNS0_19identity_decomposerEEEEE10hipError_tT0_T1_T2_jT3_P12ihipStream_tbPNSt15iterator_traitsISE_E10value_typeEPNSK_ISF_E10value_typeEPSG_NS1_7vsmem_tEENKUlT_SE_SF_SG_E_clIS8_S8_S9_S9_EESD_ST_SE_SF_SG_EUlST_E1_NS1_11comp_targetILNS1_3genE10ELNS1_11target_archE1201ELNS1_3gpuE5ELNS1_3repE0EEENS1_36merge_oddeven_config_static_selectorELNS0_4arch9wavefront6targetE1EEEvSF_
    .private_segment_fixed_size: 0
    .sgpr_count:     4
    .sgpr_spill_count: 0
    .symbol:         _ZN7rocprim17ROCPRIM_400000_NS6detail17trampoline_kernelINS0_14default_configENS1_38merge_sort_block_merge_config_selectorIjNS0_10empty_typeEEEZZNS1_27merge_sort_block_merge_implIS3_PjPS5_jNS1_19radix_merge_compareILb1ELb1EjNS0_19identity_decomposerEEEEE10hipError_tT0_T1_T2_jT3_P12ihipStream_tbPNSt15iterator_traitsISE_E10value_typeEPNSK_ISF_E10value_typeEPSG_NS1_7vsmem_tEENKUlT_SE_SF_SG_E_clIS8_S8_S9_S9_EESD_ST_SE_SF_SG_EUlST_E1_NS1_11comp_targetILNS1_3genE10ELNS1_11target_archE1201ELNS1_3gpuE5ELNS1_3repE0EEENS1_36merge_oddeven_config_static_selectorELNS0_4arch9wavefront6targetE1EEEvSF_.kd
    .uniform_work_group_size: 1
    .uses_dynamic_stack: false
    .vgpr_count:     0
    .vgpr_spill_count: 0
    .wavefront_size: 64
  - .agpr_count:     0
    .args:
      - .offset:         0
        .size:           48
        .value_kind:     by_value
    .group_segment_fixed_size: 0
    .kernarg_segment_align: 8
    .kernarg_segment_size: 48
    .language:       OpenCL C
    .language_version:
      - 2
      - 0
    .max_flat_workgroup_size: 256
    .name:           _ZN7rocprim17ROCPRIM_400000_NS6detail17trampoline_kernelINS0_14default_configENS1_38merge_sort_block_merge_config_selectorIjNS0_10empty_typeEEEZZNS1_27merge_sort_block_merge_implIS3_PjPS5_jNS1_19radix_merge_compareILb1ELb1EjNS0_19identity_decomposerEEEEE10hipError_tT0_T1_T2_jT3_P12ihipStream_tbPNSt15iterator_traitsISE_E10value_typeEPNSK_ISF_E10value_typeEPSG_NS1_7vsmem_tEENKUlT_SE_SF_SG_E_clIS8_S8_S9_S9_EESD_ST_SE_SF_SG_EUlST_E1_NS1_11comp_targetILNS1_3genE5ELNS1_11target_archE942ELNS1_3gpuE9ELNS1_3repE0EEENS1_36merge_oddeven_config_static_selectorELNS0_4arch9wavefront6targetE1EEEvSF_
    .private_segment_fixed_size: 0
    .sgpr_count:     4
    .sgpr_spill_count: 0
    .symbol:         _ZN7rocprim17ROCPRIM_400000_NS6detail17trampoline_kernelINS0_14default_configENS1_38merge_sort_block_merge_config_selectorIjNS0_10empty_typeEEEZZNS1_27merge_sort_block_merge_implIS3_PjPS5_jNS1_19radix_merge_compareILb1ELb1EjNS0_19identity_decomposerEEEEE10hipError_tT0_T1_T2_jT3_P12ihipStream_tbPNSt15iterator_traitsISE_E10value_typeEPNSK_ISF_E10value_typeEPSG_NS1_7vsmem_tEENKUlT_SE_SF_SG_E_clIS8_S8_S9_S9_EESD_ST_SE_SF_SG_EUlST_E1_NS1_11comp_targetILNS1_3genE5ELNS1_11target_archE942ELNS1_3gpuE9ELNS1_3repE0EEENS1_36merge_oddeven_config_static_selectorELNS0_4arch9wavefront6targetE1EEEvSF_.kd
    .uniform_work_group_size: 1
    .uses_dynamic_stack: false
    .vgpr_count:     0
    .vgpr_spill_count: 0
    .wavefront_size: 64
  - .agpr_count:     0
    .args:
      - .offset:         0
        .size:           48
        .value_kind:     by_value
    .group_segment_fixed_size: 0
    .kernarg_segment_align: 8
    .kernarg_segment_size: 48
    .language:       OpenCL C
    .language_version:
      - 2
      - 0
    .max_flat_workgroup_size: 256
    .name:           _ZN7rocprim17ROCPRIM_400000_NS6detail17trampoline_kernelINS0_14default_configENS1_38merge_sort_block_merge_config_selectorIjNS0_10empty_typeEEEZZNS1_27merge_sort_block_merge_implIS3_PjPS5_jNS1_19radix_merge_compareILb1ELb1EjNS0_19identity_decomposerEEEEE10hipError_tT0_T1_T2_jT3_P12ihipStream_tbPNSt15iterator_traitsISE_E10value_typeEPNSK_ISF_E10value_typeEPSG_NS1_7vsmem_tEENKUlT_SE_SF_SG_E_clIS8_S8_S9_S9_EESD_ST_SE_SF_SG_EUlST_E1_NS1_11comp_targetILNS1_3genE4ELNS1_11target_archE910ELNS1_3gpuE8ELNS1_3repE0EEENS1_36merge_oddeven_config_static_selectorELNS0_4arch9wavefront6targetE1EEEvSF_
    .private_segment_fixed_size: 0
    .sgpr_count:     25
    .sgpr_spill_count: 0
    .symbol:         _ZN7rocprim17ROCPRIM_400000_NS6detail17trampoline_kernelINS0_14default_configENS1_38merge_sort_block_merge_config_selectorIjNS0_10empty_typeEEEZZNS1_27merge_sort_block_merge_implIS3_PjPS5_jNS1_19radix_merge_compareILb1ELb1EjNS0_19identity_decomposerEEEEE10hipError_tT0_T1_T2_jT3_P12ihipStream_tbPNSt15iterator_traitsISE_E10value_typeEPNSK_ISF_E10value_typeEPSG_NS1_7vsmem_tEENKUlT_SE_SF_SG_E_clIS8_S8_S9_S9_EESD_ST_SE_SF_SG_EUlST_E1_NS1_11comp_targetILNS1_3genE4ELNS1_11target_archE910ELNS1_3gpuE8ELNS1_3repE0EEENS1_36merge_oddeven_config_static_selectorELNS0_4arch9wavefront6targetE1EEEvSF_.kd
    .uniform_work_group_size: 1
    .uses_dynamic_stack: false
    .vgpr_count:     11
    .vgpr_spill_count: 0
    .wavefront_size: 64
  - .agpr_count:     0
    .args:
      - .offset:         0
        .size:           48
        .value_kind:     by_value
    .group_segment_fixed_size: 0
    .kernarg_segment_align: 8
    .kernarg_segment_size: 48
    .language:       OpenCL C
    .language_version:
      - 2
      - 0
    .max_flat_workgroup_size: 256
    .name:           _ZN7rocprim17ROCPRIM_400000_NS6detail17trampoline_kernelINS0_14default_configENS1_38merge_sort_block_merge_config_selectorIjNS0_10empty_typeEEEZZNS1_27merge_sort_block_merge_implIS3_PjPS5_jNS1_19radix_merge_compareILb1ELb1EjNS0_19identity_decomposerEEEEE10hipError_tT0_T1_T2_jT3_P12ihipStream_tbPNSt15iterator_traitsISE_E10value_typeEPNSK_ISF_E10value_typeEPSG_NS1_7vsmem_tEENKUlT_SE_SF_SG_E_clIS8_S8_S9_S9_EESD_ST_SE_SF_SG_EUlST_E1_NS1_11comp_targetILNS1_3genE3ELNS1_11target_archE908ELNS1_3gpuE7ELNS1_3repE0EEENS1_36merge_oddeven_config_static_selectorELNS0_4arch9wavefront6targetE1EEEvSF_
    .private_segment_fixed_size: 0
    .sgpr_count:     4
    .sgpr_spill_count: 0
    .symbol:         _ZN7rocprim17ROCPRIM_400000_NS6detail17trampoline_kernelINS0_14default_configENS1_38merge_sort_block_merge_config_selectorIjNS0_10empty_typeEEEZZNS1_27merge_sort_block_merge_implIS3_PjPS5_jNS1_19radix_merge_compareILb1ELb1EjNS0_19identity_decomposerEEEEE10hipError_tT0_T1_T2_jT3_P12ihipStream_tbPNSt15iterator_traitsISE_E10value_typeEPNSK_ISF_E10value_typeEPSG_NS1_7vsmem_tEENKUlT_SE_SF_SG_E_clIS8_S8_S9_S9_EESD_ST_SE_SF_SG_EUlST_E1_NS1_11comp_targetILNS1_3genE3ELNS1_11target_archE908ELNS1_3gpuE7ELNS1_3repE0EEENS1_36merge_oddeven_config_static_selectorELNS0_4arch9wavefront6targetE1EEEvSF_.kd
    .uniform_work_group_size: 1
    .uses_dynamic_stack: false
    .vgpr_count:     0
    .vgpr_spill_count: 0
    .wavefront_size: 64
  - .agpr_count:     0
    .args:
      - .offset:         0
        .size:           48
        .value_kind:     by_value
    .group_segment_fixed_size: 0
    .kernarg_segment_align: 8
    .kernarg_segment_size: 48
    .language:       OpenCL C
    .language_version:
      - 2
      - 0
    .max_flat_workgroup_size: 256
    .name:           _ZN7rocprim17ROCPRIM_400000_NS6detail17trampoline_kernelINS0_14default_configENS1_38merge_sort_block_merge_config_selectorIjNS0_10empty_typeEEEZZNS1_27merge_sort_block_merge_implIS3_PjPS5_jNS1_19radix_merge_compareILb1ELb1EjNS0_19identity_decomposerEEEEE10hipError_tT0_T1_T2_jT3_P12ihipStream_tbPNSt15iterator_traitsISE_E10value_typeEPNSK_ISF_E10value_typeEPSG_NS1_7vsmem_tEENKUlT_SE_SF_SG_E_clIS8_S8_S9_S9_EESD_ST_SE_SF_SG_EUlST_E1_NS1_11comp_targetILNS1_3genE2ELNS1_11target_archE906ELNS1_3gpuE6ELNS1_3repE0EEENS1_36merge_oddeven_config_static_selectorELNS0_4arch9wavefront6targetE1EEEvSF_
    .private_segment_fixed_size: 0
    .sgpr_count:     4
    .sgpr_spill_count: 0
    .symbol:         _ZN7rocprim17ROCPRIM_400000_NS6detail17trampoline_kernelINS0_14default_configENS1_38merge_sort_block_merge_config_selectorIjNS0_10empty_typeEEEZZNS1_27merge_sort_block_merge_implIS3_PjPS5_jNS1_19radix_merge_compareILb1ELb1EjNS0_19identity_decomposerEEEEE10hipError_tT0_T1_T2_jT3_P12ihipStream_tbPNSt15iterator_traitsISE_E10value_typeEPNSK_ISF_E10value_typeEPSG_NS1_7vsmem_tEENKUlT_SE_SF_SG_E_clIS8_S8_S9_S9_EESD_ST_SE_SF_SG_EUlST_E1_NS1_11comp_targetILNS1_3genE2ELNS1_11target_archE906ELNS1_3gpuE6ELNS1_3repE0EEENS1_36merge_oddeven_config_static_selectorELNS0_4arch9wavefront6targetE1EEEvSF_.kd
    .uniform_work_group_size: 1
    .uses_dynamic_stack: false
    .vgpr_count:     0
    .vgpr_spill_count: 0
    .wavefront_size: 64
  - .agpr_count:     0
    .args:
      - .offset:         0
        .size:           48
        .value_kind:     by_value
    .group_segment_fixed_size: 0
    .kernarg_segment_align: 8
    .kernarg_segment_size: 48
    .language:       OpenCL C
    .language_version:
      - 2
      - 0
    .max_flat_workgroup_size: 256
    .name:           _ZN7rocprim17ROCPRIM_400000_NS6detail17trampoline_kernelINS0_14default_configENS1_38merge_sort_block_merge_config_selectorIjNS0_10empty_typeEEEZZNS1_27merge_sort_block_merge_implIS3_PjPS5_jNS1_19radix_merge_compareILb1ELb1EjNS0_19identity_decomposerEEEEE10hipError_tT0_T1_T2_jT3_P12ihipStream_tbPNSt15iterator_traitsISE_E10value_typeEPNSK_ISF_E10value_typeEPSG_NS1_7vsmem_tEENKUlT_SE_SF_SG_E_clIS8_S8_S9_S9_EESD_ST_SE_SF_SG_EUlST_E1_NS1_11comp_targetILNS1_3genE9ELNS1_11target_archE1100ELNS1_3gpuE3ELNS1_3repE0EEENS1_36merge_oddeven_config_static_selectorELNS0_4arch9wavefront6targetE1EEEvSF_
    .private_segment_fixed_size: 0
    .sgpr_count:     4
    .sgpr_spill_count: 0
    .symbol:         _ZN7rocprim17ROCPRIM_400000_NS6detail17trampoline_kernelINS0_14default_configENS1_38merge_sort_block_merge_config_selectorIjNS0_10empty_typeEEEZZNS1_27merge_sort_block_merge_implIS3_PjPS5_jNS1_19radix_merge_compareILb1ELb1EjNS0_19identity_decomposerEEEEE10hipError_tT0_T1_T2_jT3_P12ihipStream_tbPNSt15iterator_traitsISE_E10value_typeEPNSK_ISF_E10value_typeEPSG_NS1_7vsmem_tEENKUlT_SE_SF_SG_E_clIS8_S8_S9_S9_EESD_ST_SE_SF_SG_EUlST_E1_NS1_11comp_targetILNS1_3genE9ELNS1_11target_archE1100ELNS1_3gpuE3ELNS1_3repE0EEENS1_36merge_oddeven_config_static_selectorELNS0_4arch9wavefront6targetE1EEEvSF_.kd
    .uniform_work_group_size: 1
    .uses_dynamic_stack: false
    .vgpr_count:     0
    .vgpr_spill_count: 0
    .wavefront_size: 64
  - .agpr_count:     0
    .args:
      - .offset:         0
        .size:           48
        .value_kind:     by_value
    .group_segment_fixed_size: 0
    .kernarg_segment_align: 8
    .kernarg_segment_size: 48
    .language:       OpenCL C
    .language_version:
      - 2
      - 0
    .max_flat_workgroup_size: 256
    .name:           _ZN7rocprim17ROCPRIM_400000_NS6detail17trampoline_kernelINS0_14default_configENS1_38merge_sort_block_merge_config_selectorIjNS0_10empty_typeEEEZZNS1_27merge_sort_block_merge_implIS3_PjPS5_jNS1_19radix_merge_compareILb1ELb1EjNS0_19identity_decomposerEEEEE10hipError_tT0_T1_T2_jT3_P12ihipStream_tbPNSt15iterator_traitsISE_E10value_typeEPNSK_ISF_E10value_typeEPSG_NS1_7vsmem_tEENKUlT_SE_SF_SG_E_clIS8_S8_S9_S9_EESD_ST_SE_SF_SG_EUlST_E1_NS1_11comp_targetILNS1_3genE8ELNS1_11target_archE1030ELNS1_3gpuE2ELNS1_3repE0EEENS1_36merge_oddeven_config_static_selectorELNS0_4arch9wavefront6targetE1EEEvSF_
    .private_segment_fixed_size: 0
    .sgpr_count:     4
    .sgpr_spill_count: 0
    .symbol:         _ZN7rocprim17ROCPRIM_400000_NS6detail17trampoline_kernelINS0_14default_configENS1_38merge_sort_block_merge_config_selectorIjNS0_10empty_typeEEEZZNS1_27merge_sort_block_merge_implIS3_PjPS5_jNS1_19radix_merge_compareILb1ELb1EjNS0_19identity_decomposerEEEEE10hipError_tT0_T1_T2_jT3_P12ihipStream_tbPNSt15iterator_traitsISE_E10value_typeEPNSK_ISF_E10value_typeEPSG_NS1_7vsmem_tEENKUlT_SE_SF_SG_E_clIS8_S8_S9_S9_EESD_ST_SE_SF_SG_EUlST_E1_NS1_11comp_targetILNS1_3genE8ELNS1_11target_archE1030ELNS1_3gpuE2ELNS1_3repE0EEENS1_36merge_oddeven_config_static_selectorELNS0_4arch9wavefront6targetE1EEEvSF_.kd
    .uniform_work_group_size: 1
    .uses_dynamic_stack: false
    .vgpr_count:     0
    .vgpr_spill_count: 0
    .wavefront_size: 64
  - .agpr_count:     0
    .args:
      - .offset:         0
        .size:           48
        .value_kind:     by_value
    .group_segment_fixed_size: 0
    .kernarg_segment_align: 8
    .kernarg_segment_size: 48
    .language:       OpenCL C
    .language_version:
      - 2
      - 0
    .max_flat_workgroup_size: 512
    .name:           _ZN7rocprim17ROCPRIM_400000_NS6detail17trampoline_kernelINS0_14default_configENS1_35radix_sort_onesweep_config_selectorIjNS0_10empty_typeEEEZNS1_34radix_sort_onesweep_global_offsetsIS3_Lb1EPjPS5_mNS0_19identity_decomposerEEE10hipError_tT1_T2_PT3_SE_jT4_jjP12ihipStream_tbEUlT_E_NS1_11comp_targetILNS1_3genE0ELNS1_11target_archE4294967295ELNS1_3gpuE0ELNS1_3repE0EEENS1_52radix_sort_onesweep_histogram_config_static_selectorELNS0_4arch9wavefront6targetE1EEEvSC_
    .private_segment_fixed_size: 0
    .sgpr_count:     4
    .sgpr_spill_count: 0
    .symbol:         _ZN7rocprim17ROCPRIM_400000_NS6detail17trampoline_kernelINS0_14default_configENS1_35radix_sort_onesweep_config_selectorIjNS0_10empty_typeEEEZNS1_34radix_sort_onesweep_global_offsetsIS3_Lb1EPjPS5_mNS0_19identity_decomposerEEE10hipError_tT1_T2_PT3_SE_jT4_jjP12ihipStream_tbEUlT_E_NS1_11comp_targetILNS1_3genE0ELNS1_11target_archE4294967295ELNS1_3gpuE0ELNS1_3repE0EEENS1_52radix_sort_onesweep_histogram_config_static_selectorELNS0_4arch9wavefront6targetE1EEEvSC_.kd
    .uniform_work_group_size: 1
    .uses_dynamic_stack: false
    .vgpr_count:     0
    .vgpr_spill_count: 0
    .wavefront_size: 64
  - .agpr_count:     0
    .args:
      - .offset:         0
        .size:           48
        .value_kind:     by_value
    .group_segment_fixed_size: 0
    .kernarg_segment_align: 8
    .kernarg_segment_size: 48
    .language:       OpenCL C
    .language_version:
      - 2
      - 0
    .max_flat_workgroup_size: 1024
    .name:           _ZN7rocprim17ROCPRIM_400000_NS6detail17trampoline_kernelINS0_14default_configENS1_35radix_sort_onesweep_config_selectorIjNS0_10empty_typeEEEZNS1_34radix_sort_onesweep_global_offsetsIS3_Lb1EPjPS5_mNS0_19identity_decomposerEEE10hipError_tT1_T2_PT3_SE_jT4_jjP12ihipStream_tbEUlT_E_NS1_11comp_targetILNS1_3genE6ELNS1_11target_archE950ELNS1_3gpuE13ELNS1_3repE0EEENS1_52radix_sort_onesweep_histogram_config_static_selectorELNS0_4arch9wavefront6targetE1EEEvSC_
    .private_segment_fixed_size: 0
    .sgpr_count:     4
    .sgpr_spill_count: 0
    .symbol:         _ZN7rocprim17ROCPRIM_400000_NS6detail17trampoline_kernelINS0_14default_configENS1_35radix_sort_onesweep_config_selectorIjNS0_10empty_typeEEEZNS1_34radix_sort_onesweep_global_offsetsIS3_Lb1EPjPS5_mNS0_19identity_decomposerEEE10hipError_tT1_T2_PT3_SE_jT4_jjP12ihipStream_tbEUlT_E_NS1_11comp_targetILNS1_3genE6ELNS1_11target_archE950ELNS1_3gpuE13ELNS1_3repE0EEENS1_52radix_sort_onesweep_histogram_config_static_selectorELNS0_4arch9wavefront6targetE1EEEvSC_.kd
    .uniform_work_group_size: 1
    .uses_dynamic_stack: false
    .vgpr_count:     0
    .vgpr_spill_count: 0
    .wavefront_size: 64
  - .agpr_count:     0
    .args:
      - .offset:         0
        .size:           48
        .value_kind:     by_value
    .group_segment_fixed_size: 0
    .kernarg_segment_align: 8
    .kernarg_segment_size: 48
    .language:       OpenCL C
    .language_version:
      - 2
      - 0
    .max_flat_workgroup_size: 1024
    .name:           _ZN7rocprim17ROCPRIM_400000_NS6detail17trampoline_kernelINS0_14default_configENS1_35radix_sort_onesweep_config_selectorIjNS0_10empty_typeEEEZNS1_34radix_sort_onesweep_global_offsetsIS3_Lb1EPjPS5_mNS0_19identity_decomposerEEE10hipError_tT1_T2_PT3_SE_jT4_jjP12ihipStream_tbEUlT_E_NS1_11comp_targetILNS1_3genE5ELNS1_11target_archE942ELNS1_3gpuE9ELNS1_3repE0EEENS1_52radix_sort_onesweep_histogram_config_static_selectorELNS0_4arch9wavefront6targetE1EEEvSC_
    .private_segment_fixed_size: 0
    .sgpr_count:     4
    .sgpr_spill_count: 0
    .symbol:         _ZN7rocprim17ROCPRIM_400000_NS6detail17trampoline_kernelINS0_14default_configENS1_35radix_sort_onesweep_config_selectorIjNS0_10empty_typeEEEZNS1_34radix_sort_onesweep_global_offsetsIS3_Lb1EPjPS5_mNS0_19identity_decomposerEEE10hipError_tT1_T2_PT3_SE_jT4_jjP12ihipStream_tbEUlT_E_NS1_11comp_targetILNS1_3genE5ELNS1_11target_archE942ELNS1_3gpuE9ELNS1_3repE0EEENS1_52radix_sort_onesweep_histogram_config_static_selectorELNS0_4arch9wavefront6targetE1EEEvSC_.kd
    .uniform_work_group_size: 1
    .uses_dynamic_stack: false
    .vgpr_count:     0
    .vgpr_spill_count: 0
    .wavefront_size: 64
  - .agpr_count:     0
    .args:
      - .offset:         0
        .size:           48
        .value_kind:     by_value
    .group_segment_fixed_size: 0
    .kernarg_segment_align: 8
    .kernarg_segment_size: 48
    .language:       OpenCL C
    .language_version:
      - 2
      - 0
    .max_flat_workgroup_size: 1024
    .name:           _ZN7rocprim17ROCPRIM_400000_NS6detail17trampoline_kernelINS0_14default_configENS1_35radix_sort_onesweep_config_selectorIjNS0_10empty_typeEEEZNS1_34radix_sort_onesweep_global_offsetsIS3_Lb1EPjPS5_mNS0_19identity_decomposerEEE10hipError_tT1_T2_PT3_SE_jT4_jjP12ihipStream_tbEUlT_E_NS1_11comp_targetILNS1_3genE2ELNS1_11target_archE906ELNS1_3gpuE6ELNS1_3repE0EEENS1_52radix_sort_onesweep_histogram_config_static_selectorELNS0_4arch9wavefront6targetE1EEEvSC_
    .private_segment_fixed_size: 0
    .sgpr_count:     4
    .sgpr_spill_count: 0
    .symbol:         _ZN7rocprim17ROCPRIM_400000_NS6detail17trampoline_kernelINS0_14default_configENS1_35radix_sort_onesweep_config_selectorIjNS0_10empty_typeEEEZNS1_34radix_sort_onesweep_global_offsetsIS3_Lb1EPjPS5_mNS0_19identity_decomposerEEE10hipError_tT1_T2_PT3_SE_jT4_jjP12ihipStream_tbEUlT_E_NS1_11comp_targetILNS1_3genE2ELNS1_11target_archE906ELNS1_3gpuE6ELNS1_3repE0EEENS1_52radix_sort_onesweep_histogram_config_static_selectorELNS0_4arch9wavefront6targetE1EEEvSC_.kd
    .uniform_work_group_size: 1
    .uses_dynamic_stack: false
    .vgpr_count:     0
    .vgpr_spill_count: 0
    .wavefront_size: 64
  - .agpr_count:     0
    .args:
      - .offset:         0
        .size:           48
        .value_kind:     by_value
    .group_segment_fixed_size: 16384
    .kernarg_segment_align: 8
    .kernarg_segment_size: 48
    .language:       OpenCL C
    .language_version:
      - 2
      - 0
    .max_flat_workgroup_size: 1024
    .name:           _ZN7rocprim17ROCPRIM_400000_NS6detail17trampoline_kernelINS0_14default_configENS1_35radix_sort_onesweep_config_selectorIjNS0_10empty_typeEEEZNS1_34radix_sort_onesweep_global_offsetsIS3_Lb1EPjPS5_mNS0_19identity_decomposerEEE10hipError_tT1_T2_PT3_SE_jT4_jjP12ihipStream_tbEUlT_E_NS1_11comp_targetILNS1_3genE4ELNS1_11target_archE910ELNS1_3gpuE8ELNS1_3repE0EEENS1_52radix_sort_onesweep_histogram_config_static_selectorELNS0_4arch9wavefront6targetE1EEEvSC_
    .private_segment_fixed_size: 0
    .sgpr_count:     22
    .sgpr_spill_count: 0
    .symbol:         _ZN7rocprim17ROCPRIM_400000_NS6detail17trampoline_kernelINS0_14default_configENS1_35radix_sort_onesweep_config_selectorIjNS0_10empty_typeEEEZNS1_34radix_sort_onesweep_global_offsetsIS3_Lb1EPjPS5_mNS0_19identity_decomposerEEE10hipError_tT1_T2_PT3_SE_jT4_jjP12ihipStream_tbEUlT_E_NS1_11comp_targetILNS1_3genE4ELNS1_11target_archE910ELNS1_3gpuE8ELNS1_3repE0EEENS1_52radix_sort_onesweep_histogram_config_static_selectorELNS0_4arch9wavefront6targetE1EEEvSC_.kd
    .uniform_work_group_size: 1
    .uses_dynamic_stack: false
    .vgpr_count:     27
    .vgpr_spill_count: 0
    .wavefront_size: 64
  - .agpr_count:     0
    .args:
      - .offset:         0
        .size:           48
        .value_kind:     by_value
    .group_segment_fixed_size: 0
    .kernarg_segment_align: 8
    .kernarg_segment_size: 48
    .language:       OpenCL C
    .language_version:
      - 2
      - 0
    .max_flat_workgroup_size: 512
    .name:           _ZN7rocprim17ROCPRIM_400000_NS6detail17trampoline_kernelINS0_14default_configENS1_35radix_sort_onesweep_config_selectorIjNS0_10empty_typeEEEZNS1_34radix_sort_onesweep_global_offsetsIS3_Lb1EPjPS5_mNS0_19identity_decomposerEEE10hipError_tT1_T2_PT3_SE_jT4_jjP12ihipStream_tbEUlT_E_NS1_11comp_targetILNS1_3genE3ELNS1_11target_archE908ELNS1_3gpuE7ELNS1_3repE0EEENS1_52radix_sort_onesweep_histogram_config_static_selectorELNS0_4arch9wavefront6targetE1EEEvSC_
    .private_segment_fixed_size: 0
    .sgpr_count:     4
    .sgpr_spill_count: 0
    .symbol:         _ZN7rocprim17ROCPRIM_400000_NS6detail17trampoline_kernelINS0_14default_configENS1_35radix_sort_onesweep_config_selectorIjNS0_10empty_typeEEEZNS1_34radix_sort_onesweep_global_offsetsIS3_Lb1EPjPS5_mNS0_19identity_decomposerEEE10hipError_tT1_T2_PT3_SE_jT4_jjP12ihipStream_tbEUlT_E_NS1_11comp_targetILNS1_3genE3ELNS1_11target_archE908ELNS1_3gpuE7ELNS1_3repE0EEENS1_52radix_sort_onesweep_histogram_config_static_selectorELNS0_4arch9wavefront6targetE1EEEvSC_.kd
    .uniform_work_group_size: 1
    .uses_dynamic_stack: false
    .vgpr_count:     0
    .vgpr_spill_count: 0
    .wavefront_size: 64
  - .agpr_count:     0
    .args:
      - .offset:         0
        .size:           48
        .value_kind:     by_value
    .group_segment_fixed_size: 0
    .kernarg_segment_align: 8
    .kernarg_segment_size: 48
    .language:       OpenCL C
    .language_version:
      - 2
      - 0
    .max_flat_workgroup_size: 1024
    .name:           _ZN7rocprim17ROCPRIM_400000_NS6detail17trampoline_kernelINS0_14default_configENS1_35radix_sort_onesweep_config_selectorIjNS0_10empty_typeEEEZNS1_34radix_sort_onesweep_global_offsetsIS3_Lb1EPjPS5_mNS0_19identity_decomposerEEE10hipError_tT1_T2_PT3_SE_jT4_jjP12ihipStream_tbEUlT_E_NS1_11comp_targetILNS1_3genE10ELNS1_11target_archE1201ELNS1_3gpuE5ELNS1_3repE0EEENS1_52radix_sort_onesweep_histogram_config_static_selectorELNS0_4arch9wavefront6targetE1EEEvSC_
    .private_segment_fixed_size: 0
    .sgpr_count:     4
    .sgpr_spill_count: 0
    .symbol:         _ZN7rocprim17ROCPRIM_400000_NS6detail17trampoline_kernelINS0_14default_configENS1_35radix_sort_onesweep_config_selectorIjNS0_10empty_typeEEEZNS1_34radix_sort_onesweep_global_offsetsIS3_Lb1EPjPS5_mNS0_19identity_decomposerEEE10hipError_tT1_T2_PT3_SE_jT4_jjP12ihipStream_tbEUlT_E_NS1_11comp_targetILNS1_3genE10ELNS1_11target_archE1201ELNS1_3gpuE5ELNS1_3repE0EEENS1_52radix_sort_onesweep_histogram_config_static_selectorELNS0_4arch9wavefront6targetE1EEEvSC_.kd
    .uniform_work_group_size: 1
    .uses_dynamic_stack: false
    .vgpr_count:     0
    .vgpr_spill_count: 0
    .wavefront_size: 64
  - .agpr_count:     0
    .args:
      - .offset:         0
        .size:           48
        .value_kind:     by_value
    .group_segment_fixed_size: 0
    .kernarg_segment_align: 8
    .kernarg_segment_size: 48
    .language:       OpenCL C
    .language_version:
      - 2
      - 0
    .max_flat_workgroup_size: 1024
    .name:           _ZN7rocprim17ROCPRIM_400000_NS6detail17trampoline_kernelINS0_14default_configENS1_35radix_sort_onesweep_config_selectorIjNS0_10empty_typeEEEZNS1_34radix_sort_onesweep_global_offsetsIS3_Lb1EPjPS5_mNS0_19identity_decomposerEEE10hipError_tT1_T2_PT3_SE_jT4_jjP12ihipStream_tbEUlT_E_NS1_11comp_targetILNS1_3genE9ELNS1_11target_archE1100ELNS1_3gpuE3ELNS1_3repE0EEENS1_52radix_sort_onesweep_histogram_config_static_selectorELNS0_4arch9wavefront6targetE1EEEvSC_
    .private_segment_fixed_size: 0
    .sgpr_count:     4
    .sgpr_spill_count: 0
    .symbol:         _ZN7rocprim17ROCPRIM_400000_NS6detail17trampoline_kernelINS0_14default_configENS1_35radix_sort_onesweep_config_selectorIjNS0_10empty_typeEEEZNS1_34radix_sort_onesweep_global_offsetsIS3_Lb1EPjPS5_mNS0_19identity_decomposerEEE10hipError_tT1_T2_PT3_SE_jT4_jjP12ihipStream_tbEUlT_E_NS1_11comp_targetILNS1_3genE9ELNS1_11target_archE1100ELNS1_3gpuE3ELNS1_3repE0EEENS1_52radix_sort_onesweep_histogram_config_static_selectorELNS0_4arch9wavefront6targetE1EEEvSC_.kd
    .uniform_work_group_size: 1
    .uses_dynamic_stack: false
    .vgpr_count:     0
    .vgpr_spill_count: 0
    .wavefront_size: 64
  - .agpr_count:     0
    .args:
      - .offset:         0
        .size:           48
        .value_kind:     by_value
    .group_segment_fixed_size: 0
    .kernarg_segment_align: 8
    .kernarg_segment_size: 48
    .language:       OpenCL C
    .language_version:
      - 2
      - 0
    .max_flat_workgroup_size: 1024
    .name:           _ZN7rocprim17ROCPRIM_400000_NS6detail17trampoline_kernelINS0_14default_configENS1_35radix_sort_onesweep_config_selectorIjNS0_10empty_typeEEEZNS1_34radix_sort_onesweep_global_offsetsIS3_Lb1EPjPS5_mNS0_19identity_decomposerEEE10hipError_tT1_T2_PT3_SE_jT4_jjP12ihipStream_tbEUlT_E_NS1_11comp_targetILNS1_3genE8ELNS1_11target_archE1030ELNS1_3gpuE2ELNS1_3repE0EEENS1_52radix_sort_onesweep_histogram_config_static_selectorELNS0_4arch9wavefront6targetE1EEEvSC_
    .private_segment_fixed_size: 0
    .sgpr_count:     4
    .sgpr_spill_count: 0
    .symbol:         _ZN7rocprim17ROCPRIM_400000_NS6detail17trampoline_kernelINS0_14default_configENS1_35radix_sort_onesweep_config_selectorIjNS0_10empty_typeEEEZNS1_34radix_sort_onesweep_global_offsetsIS3_Lb1EPjPS5_mNS0_19identity_decomposerEEE10hipError_tT1_T2_PT3_SE_jT4_jjP12ihipStream_tbEUlT_E_NS1_11comp_targetILNS1_3genE8ELNS1_11target_archE1030ELNS1_3gpuE2ELNS1_3repE0EEENS1_52radix_sort_onesweep_histogram_config_static_selectorELNS0_4arch9wavefront6targetE1EEEvSC_.kd
    .uniform_work_group_size: 1
    .uses_dynamic_stack: false
    .vgpr_count:     0
    .vgpr_spill_count: 0
    .wavefront_size: 64
  - .agpr_count:     0
    .args:
      - .address_space:  global
        .offset:         0
        .size:           8
        .value_kind:     global_buffer
    .group_segment_fixed_size: 0
    .kernarg_segment_align: 8
    .kernarg_segment_size: 8
    .language:       OpenCL C
    .language_version:
      - 2
      - 0
    .max_flat_workgroup_size: 512
    .name:           _ZN7rocprim17ROCPRIM_400000_NS6detail17trampoline_kernelINS0_14default_configENS1_35radix_sort_onesweep_config_selectorIjNS0_10empty_typeEEEZNS1_34radix_sort_onesweep_global_offsetsIS3_Lb1EPjPS5_mNS0_19identity_decomposerEEE10hipError_tT1_T2_PT3_SE_jT4_jjP12ihipStream_tbEUlT_E0_NS1_11comp_targetILNS1_3genE0ELNS1_11target_archE4294967295ELNS1_3gpuE0ELNS1_3repE0EEENS1_52radix_sort_onesweep_histogram_config_static_selectorELNS0_4arch9wavefront6targetE1EEEvSC_
    .private_segment_fixed_size: 0
    .sgpr_count:     4
    .sgpr_spill_count: 0
    .symbol:         _ZN7rocprim17ROCPRIM_400000_NS6detail17trampoline_kernelINS0_14default_configENS1_35radix_sort_onesweep_config_selectorIjNS0_10empty_typeEEEZNS1_34radix_sort_onesweep_global_offsetsIS3_Lb1EPjPS5_mNS0_19identity_decomposerEEE10hipError_tT1_T2_PT3_SE_jT4_jjP12ihipStream_tbEUlT_E0_NS1_11comp_targetILNS1_3genE0ELNS1_11target_archE4294967295ELNS1_3gpuE0ELNS1_3repE0EEENS1_52radix_sort_onesweep_histogram_config_static_selectorELNS0_4arch9wavefront6targetE1EEEvSC_.kd
    .uniform_work_group_size: 1
    .uses_dynamic_stack: false
    .vgpr_count:     0
    .vgpr_spill_count: 0
    .wavefront_size: 64
  - .agpr_count:     0
    .args:
      - .address_space:  global
        .offset:         0
        .size:           8
        .value_kind:     global_buffer
    .group_segment_fixed_size: 0
    .kernarg_segment_align: 8
    .kernarg_segment_size: 8
    .language:       OpenCL C
    .language_version:
      - 2
      - 0
    .max_flat_workgroup_size: 1024
    .name:           _ZN7rocprim17ROCPRIM_400000_NS6detail17trampoline_kernelINS0_14default_configENS1_35radix_sort_onesweep_config_selectorIjNS0_10empty_typeEEEZNS1_34radix_sort_onesweep_global_offsetsIS3_Lb1EPjPS5_mNS0_19identity_decomposerEEE10hipError_tT1_T2_PT3_SE_jT4_jjP12ihipStream_tbEUlT_E0_NS1_11comp_targetILNS1_3genE6ELNS1_11target_archE950ELNS1_3gpuE13ELNS1_3repE0EEENS1_52radix_sort_onesweep_histogram_config_static_selectorELNS0_4arch9wavefront6targetE1EEEvSC_
    .private_segment_fixed_size: 0
    .sgpr_count:     4
    .sgpr_spill_count: 0
    .symbol:         _ZN7rocprim17ROCPRIM_400000_NS6detail17trampoline_kernelINS0_14default_configENS1_35radix_sort_onesweep_config_selectorIjNS0_10empty_typeEEEZNS1_34radix_sort_onesweep_global_offsetsIS3_Lb1EPjPS5_mNS0_19identity_decomposerEEE10hipError_tT1_T2_PT3_SE_jT4_jjP12ihipStream_tbEUlT_E0_NS1_11comp_targetILNS1_3genE6ELNS1_11target_archE950ELNS1_3gpuE13ELNS1_3repE0EEENS1_52radix_sort_onesweep_histogram_config_static_selectorELNS0_4arch9wavefront6targetE1EEEvSC_.kd
    .uniform_work_group_size: 1
    .uses_dynamic_stack: false
    .vgpr_count:     0
    .vgpr_spill_count: 0
    .wavefront_size: 64
  - .agpr_count:     0
    .args:
      - .address_space:  global
        .offset:         0
        .size:           8
        .value_kind:     global_buffer
    .group_segment_fixed_size: 0
    .kernarg_segment_align: 8
    .kernarg_segment_size: 8
    .language:       OpenCL C
    .language_version:
      - 2
      - 0
    .max_flat_workgroup_size: 1024
    .name:           _ZN7rocprim17ROCPRIM_400000_NS6detail17trampoline_kernelINS0_14default_configENS1_35radix_sort_onesweep_config_selectorIjNS0_10empty_typeEEEZNS1_34radix_sort_onesweep_global_offsetsIS3_Lb1EPjPS5_mNS0_19identity_decomposerEEE10hipError_tT1_T2_PT3_SE_jT4_jjP12ihipStream_tbEUlT_E0_NS1_11comp_targetILNS1_3genE5ELNS1_11target_archE942ELNS1_3gpuE9ELNS1_3repE0EEENS1_52radix_sort_onesweep_histogram_config_static_selectorELNS0_4arch9wavefront6targetE1EEEvSC_
    .private_segment_fixed_size: 0
    .sgpr_count:     4
    .sgpr_spill_count: 0
    .symbol:         _ZN7rocprim17ROCPRIM_400000_NS6detail17trampoline_kernelINS0_14default_configENS1_35radix_sort_onesweep_config_selectorIjNS0_10empty_typeEEEZNS1_34radix_sort_onesweep_global_offsetsIS3_Lb1EPjPS5_mNS0_19identity_decomposerEEE10hipError_tT1_T2_PT3_SE_jT4_jjP12ihipStream_tbEUlT_E0_NS1_11comp_targetILNS1_3genE5ELNS1_11target_archE942ELNS1_3gpuE9ELNS1_3repE0EEENS1_52radix_sort_onesweep_histogram_config_static_selectorELNS0_4arch9wavefront6targetE1EEEvSC_.kd
    .uniform_work_group_size: 1
    .uses_dynamic_stack: false
    .vgpr_count:     0
    .vgpr_spill_count: 0
    .wavefront_size: 64
  - .agpr_count:     0
    .args:
      - .address_space:  global
        .offset:         0
        .size:           8
        .value_kind:     global_buffer
    .group_segment_fixed_size: 0
    .kernarg_segment_align: 8
    .kernarg_segment_size: 8
    .language:       OpenCL C
    .language_version:
      - 2
      - 0
    .max_flat_workgroup_size: 1024
    .name:           _ZN7rocprim17ROCPRIM_400000_NS6detail17trampoline_kernelINS0_14default_configENS1_35radix_sort_onesweep_config_selectorIjNS0_10empty_typeEEEZNS1_34radix_sort_onesweep_global_offsetsIS3_Lb1EPjPS5_mNS0_19identity_decomposerEEE10hipError_tT1_T2_PT3_SE_jT4_jjP12ihipStream_tbEUlT_E0_NS1_11comp_targetILNS1_3genE2ELNS1_11target_archE906ELNS1_3gpuE6ELNS1_3repE0EEENS1_52radix_sort_onesweep_histogram_config_static_selectorELNS0_4arch9wavefront6targetE1EEEvSC_
    .private_segment_fixed_size: 0
    .sgpr_count:     4
    .sgpr_spill_count: 0
    .symbol:         _ZN7rocprim17ROCPRIM_400000_NS6detail17trampoline_kernelINS0_14default_configENS1_35radix_sort_onesweep_config_selectorIjNS0_10empty_typeEEEZNS1_34radix_sort_onesweep_global_offsetsIS3_Lb1EPjPS5_mNS0_19identity_decomposerEEE10hipError_tT1_T2_PT3_SE_jT4_jjP12ihipStream_tbEUlT_E0_NS1_11comp_targetILNS1_3genE2ELNS1_11target_archE906ELNS1_3gpuE6ELNS1_3repE0EEENS1_52radix_sort_onesweep_histogram_config_static_selectorELNS0_4arch9wavefront6targetE1EEEvSC_.kd
    .uniform_work_group_size: 1
    .uses_dynamic_stack: false
    .vgpr_count:     0
    .vgpr_spill_count: 0
    .wavefront_size: 64
  - .agpr_count:     0
    .args:
      - .address_space:  global
        .offset:         0
        .size:           8
        .value_kind:     global_buffer
    .group_segment_fixed_size: 128
    .kernarg_segment_align: 8
    .kernarg_segment_size: 8
    .language:       OpenCL C
    .language_version:
      - 2
      - 0
    .max_flat_workgroup_size: 1024
    .name:           _ZN7rocprim17ROCPRIM_400000_NS6detail17trampoline_kernelINS0_14default_configENS1_35radix_sort_onesweep_config_selectorIjNS0_10empty_typeEEEZNS1_34radix_sort_onesweep_global_offsetsIS3_Lb1EPjPS5_mNS0_19identity_decomposerEEE10hipError_tT1_T2_PT3_SE_jT4_jjP12ihipStream_tbEUlT_E0_NS1_11comp_targetILNS1_3genE4ELNS1_11target_archE910ELNS1_3gpuE8ELNS1_3repE0EEENS1_52radix_sort_onesweep_histogram_config_static_selectorELNS0_4arch9wavefront6targetE1EEEvSC_
    .private_segment_fixed_size: 0
    .sgpr_count:     22
    .sgpr_spill_count: 0
    .symbol:         _ZN7rocprim17ROCPRIM_400000_NS6detail17trampoline_kernelINS0_14default_configENS1_35radix_sort_onesweep_config_selectorIjNS0_10empty_typeEEEZNS1_34radix_sort_onesweep_global_offsetsIS3_Lb1EPjPS5_mNS0_19identity_decomposerEEE10hipError_tT1_T2_PT3_SE_jT4_jjP12ihipStream_tbEUlT_E0_NS1_11comp_targetILNS1_3genE4ELNS1_11target_archE910ELNS1_3gpuE8ELNS1_3repE0EEENS1_52radix_sort_onesweep_histogram_config_static_selectorELNS0_4arch9wavefront6targetE1EEEvSC_.kd
    .uniform_work_group_size: 1
    .uses_dynamic_stack: false
    .vgpr_count:     13
    .vgpr_spill_count: 0
    .wavefront_size: 64
  - .agpr_count:     0
    .args:
      - .address_space:  global
        .offset:         0
        .size:           8
        .value_kind:     global_buffer
    .group_segment_fixed_size: 0
    .kernarg_segment_align: 8
    .kernarg_segment_size: 8
    .language:       OpenCL C
    .language_version:
      - 2
      - 0
    .max_flat_workgroup_size: 512
    .name:           _ZN7rocprim17ROCPRIM_400000_NS6detail17trampoline_kernelINS0_14default_configENS1_35radix_sort_onesweep_config_selectorIjNS0_10empty_typeEEEZNS1_34radix_sort_onesweep_global_offsetsIS3_Lb1EPjPS5_mNS0_19identity_decomposerEEE10hipError_tT1_T2_PT3_SE_jT4_jjP12ihipStream_tbEUlT_E0_NS1_11comp_targetILNS1_3genE3ELNS1_11target_archE908ELNS1_3gpuE7ELNS1_3repE0EEENS1_52radix_sort_onesweep_histogram_config_static_selectorELNS0_4arch9wavefront6targetE1EEEvSC_
    .private_segment_fixed_size: 0
    .sgpr_count:     4
    .sgpr_spill_count: 0
    .symbol:         _ZN7rocprim17ROCPRIM_400000_NS6detail17trampoline_kernelINS0_14default_configENS1_35radix_sort_onesweep_config_selectorIjNS0_10empty_typeEEEZNS1_34radix_sort_onesweep_global_offsetsIS3_Lb1EPjPS5_mNS0_19identity_decomposerEEE10hipError_tT1_T2_PT3_SE_jT4_jjP12ihipStream_tbEUlT_E0_NS1_11comp_targetILNS1_3genE3ELNS1_11target_archE908ELNS1_3gpuE7ELNS1_3repE0EEENS1_52radix_sort_onesweep_histogram_config_static_selectorELNS0_4arch9wavefront6targetE1EEEvSC_.kd
    .uniform_work_group_size: 1
    .uses_dynamic_stack: false
    .vgpr_count:     0
    .vgpr_spill_count: 0
    .wavefront_size: 64
  - .agpr_count:     0
    .args:
      - .address_space:  global
        .offset:         0
        .size:           8
        .value_kind:     global_buffer
    .group_segment_fixed_size: 0
    .kernarg_segment_align: 8
    .kernarg_segment_size: 8
    .language:       OpenCL C
    .language_version:
      - 2
      - 0
    .max_flat_workgroup_size: 1024
    .name:           _ZN7rocprim17ROCPRIM_400000_NS6detail17trampoline_kernelINS0_14default_configENS1_35radix_sort_onesweep_config_selectorIjNS0_10empty_typeEEEZNS1_34radix_sort_onesweep_global_offsetsIS3_Lb1EPjPS5_mNS0_19identity_decomposerEEE10hipError_tT1_T2_PT3_SE_jT4_jjP12ihipStream_tbEUlT_E0_NS1_11comp_targetILNS1_3genE10ELNS1_11target_archE1201ELNS1_3gpuE5ELNS1_3repE0EEENS1_52radix_sort_onesweep_histogram_config_static_selectorELNS0_4arch9wavefront6targetE1EEEvSC_
    .private_segment_fixed_size: 0
    .sgpr_count:     4
    .sgpr_spill_count: 0
    .symbol:         _ZN7rocprim17ROCPRIM_400000_NS6detail17trampoline_kernelINS0_14default_configENS1_35radix_sort_onesweep_config_selectorIjNS0_10empty_typeEEEZNS1_34radix_sort_onesweep_global_offsetsIS3_Lb1EPjPS5_mNS0_19identity_decomposerEEE10hipError_tT1_T2_PT3_SE_jT4_jjP12ihipStream_tbEUlT_E0_NS1_11comp_targetILNS1_3genE10ELNS1_11target_archE1201ELNS1_3gpuE5ELNS1_3repE0EEENS1_52radix_sort_onesweep_histogram_config_static_selectorELNS0_4arch9wavefront6targetE1EEEvSC_.kd
    .uniform_work_group_size: 1
    .uses_dynamic_stack: false
    .vgpr_count:     0
    .vgpr_spill_count: 0
    .wavefront_size: 64
  - .agpr_count:     0
    .args:
      - .address_space:  global
        .offset:         0
        .size:           8
        .value_kind:     global_buffer
    .group_segment_fixed_size: 0
    .kernarg_segment_align: 8
    .kernarg_segment_size: 8
    .language:       OpenCL C
    .language_version:
      - 2
      - 0
    .max_flat_workgroup_size: 1024
    .name:           _ZN7rocprim17ROCPRIM_400000_NS6detail17trampoline_kernelINS0_14default_configENS1_35radix_sort_onesweep_config_selectorIjNS0_10empty_typeEEEZNS1_34radix_sort_onesweep_global_offsetsIS3_Lb1EPjPS5_mNS0_19identity_decomposerEEE10hipError_tT1_T2_PT3_SE_jT4_jjP12ihipStream_tbEUlT_E0_NS1_11comp_targetILNS1_3genE9ELNS1_11target_archE1100ELNS1_3gpuE3ELNS1_3repE0EEENS1_52radix_sort_onesweep_histogram_config_static_selectorELNS0_4arch9wavefront6targetE1EEEvSC_
    .private_segment_fixed_size: 0
    .sgpr_count:     4
    .sgpr_spill_count: 0
    .symbol:         _ZN7rocprim17ROCPRIM_400000_NS6detail17trampoline_kernelINS0_14default_configENS1_35radix_sort_onesweep_config_selectorIjNS0_10empty_typeEEEZNS1_34radix_sort_onesweep_global_offsetsIS3_Lb1EPjPS5_mNS0_19identity_decomposerEEE10hipError_tT1_T2_PT3_SE_jT4_jjP12ihipStream_tbEUlT_E0_NS1_11comp_targetILNS1_3genE9ELNS1_11target_archE1100ELNS1_3gpuE3ELNS1_3repE0EEENS1_52radix_sort_onesweep_histogram_config_static_selectorELNS0_4arch9wavefront6targetE1EEEvSC_.kd
    .uniform_work_group_size: 1
    .uses_dynamic_stack: false
    .vgpr_count:     0
    .vgpr_spill_count: 0
    .wavefront_size: 64
  - .agpr_count:     0
    .args:
      - .address_space:  global
        .offset:         0
        .size:           8
        .value_kind:     global_buffer
    .group_segment_fixed_size: 0
    .kernarg_segment_align: 8
    .kernarg_segment_size: 8
    .language:       OpenCL C
    .language_version:
      - 2
      - 0
    .max_flat_workgroup_size: 1024
    .name:           _ZN7rocprim17ROCPRIM_400000_NS6detail17trampoline_kernelINS0_14default_configENS1_35radix_sort_onesweep_config_selectorIjNS0_10empty_typeEEEZNS1_34radix_sort_onesweep_global_offsetsIS3_Lb1EPjPS5_mNS0_19identity_decomposerEEE10hipError_tT1_T2_PT3_SE_jT4_jjP12ihipStream_tbEUlT_E0_NS1_11comp_targetILNS1_3genE8ELNS1_11target_archE1030ELNS1_3gpuE2ELNS1_3repE0EEENS1_52radix_sort_onesweep_histogram_config_static_selectorELNS0_4arch9wavefront6targetE1EEEvSC_
    .private_segment_fixed_size: 0
    .sgpr_count:     4
    .sgpr_spill_count: 0
    .symbol:         _ZN7rocprim17ROCPRIM_400000_NS6detail17trampoline_kernelINS0_14default_configENS1_35radix_sort_onesweep_config_selectorIjNS0_10empty_typeEEEZNS1_34radix_sort_onesweep_global_offsetsIS3_Lb1EPjPS5_mNS0_19identity_decomposerEEE10hipError_tT1_T2_PT3_SE_jT4_jjP12ihipStream_tbEUlT_E0_NS1_11comp_targetILNS1_3genE8ELNS1_11target_archE1030ELNS1_3gpuE2ELNS1_3repE0EEENS1_52radix_sort_onesweep_histogram_config_static_selectorELNS0_4arch9wavefront6targetE1EEEvSC_.kd
    .uniform_work_group_size: 1
    .uses_dynamic_stack: false
    .vgpr_count:     0
    .vgpr_spill_count: 0
    .wavefront_size: 64
  - .agpr_count:     0
    .args:
      - .offset:         0
        .size:           88
        .value_kind:     by_value
    .group_segment_fixed_size: 0
    .kernarg_segment_align: 8
    .kernarg_segment_size: 88
    .language:       OpenCL C
    .language_version:
      - 2
      - 0
    .max_flat_workgroup_size: 512
    .name:           _ZN7rocprim17ROCPRIM_400000_NS6detail17trampoline_kernelINS0_14default_configENS1_35radix_sort_onesweep_config_selectorIjNS0_10empty_typeEEEZZNS1_29radix_sort_onesweep_iterationIS3_Lb1EPjS8_PS5_S9_mNS0_19identity_decomposerENS1_16block_id_wrapperIjLb1EEEEE10hipError_tT1_PNSt15iterator_traitsISE_E10value_typeET2_T3_PNSF_ISK_E10value_typeET4_T5_PSP_SQ_PNS1_23onesweep_lookback_stateEbbT6_jjT7_P12ihipStream_tbENKUlT_T0_SE_SJ_E_clIS8_S8_S9_S9_EEDaSX_SY_SE_SJ_EUlSX_E_NS1_11comp_targetILNS1_3genE0ELNS1_11target_archE4294967295ELNS1_3gpuE0ELNS1_3repE0EEENS1_47radix_sort_onesweep_sort_config_static_selectorELNS0_4arch9wavefront6targetE1EEEvSE_
    .private_segment_fixed_size: 0
    .sgpr_count:     4
    .sgpr_spill_count: 0
    .symbol:         _ZN7rocprim17ROCPRIM_400000_NS6detail17trampoline_kernelINS0_14default_configENS1_35radix_sort_onesweep_config_selectorIjNS0_10empty_typeEEEZZNS1_29radix_sort_onesweep_iterationIS3_Lb1EPjS8_PS5_S9_mNS0_19identity_decomposerENS1_16block_id_wrapperIjLb1EEEEE10hipError_tT1_PNSt15iterator_traitsISE_E10value_typeET2_T3_PNSF_ISK_E10value_typeET4_T5_PSP_SQ_PNS1_23onesweep_lookback_stateEbbT6_jjT7_P12ihipStream_tbENKUlT_T0_SE_SJ_E_clIS8_S8_S9_S9_EEDaSX_SY_SE_SJ_EUlSX_E_NS1_11comp_targetILNS1_3genE0ELNS1_11target_archE4294967295ELNS1_3gpuE0ELNS1_3repE0EEENS1_47radix_sort_onesweep_sort_config_static_selectorELNS0_4arch9wavefront6targetE1EEEvSE_.kd
    .uniform_work_group_size: 1
    .uses_dynamic_stack: false
    .vgpr_count:     0
    .vgpr_spill_count: 0
    .wavefront_size: 64
  - .agpr_count:     0
    .args:
      - .offset:         0
        .size:           88
        .value_kind:     by_value
    .group_segment_fixed_size: 0
    .kernarg_segment_align: 8
    .kernarg_segment_size: 88
    .language:       OpenCL C
    .language_version:
      - 2
      - 0
    .max_flat_workgroup_size: 1024
    .name:           _ZN7rocprim17ROCPRIM_400000_NS6detail17trampoline_kernelINS0_14default_configENS1_35radix_sort_onesweep_config_selectorIjNS0_10empty_typeEEEZZNS1_29radix_sort_onesweep_iterationIS3_Lb1EPjS8_PS5_S9_mNS0_19identity_decomposerENS1_16block_id_wrapperIjLb1EEEEE10hipError_tT1_PNSt15iterator_traitsISE_E10value_typeET2_T3_PNSF_ISK_E10value_typeET4_T5_PSP_SQ_PNS1_23onesweep_lookback_stateEbbT6_jjT7_P12ihipStream_tbENKUlT_T0_SE_SJ_E_clIS8_S8_S9_S9_EEDaSX_SY_SE_SJ_EUlSX_E_NS1_11comp_targetILNS1_3genE6ELNS1_11target_archE950ELNS1_3gpuE13ELNS1_3repE0EEENS1_47radix_sort_onesweep_sort_config_static_selectorELNS0_4arch9wavefront6targetE1EEEvSE_
    .private_segment_fixed_size: 0
    .sgpr_count:     4
    .sgpr_spill_count: 0
    .symbol:         _ZN7rocprim17ROCPRIM_400000_NS6detail17trampoline_kernelINS0_14default_configENS1_35radix_sort_onesweep_config_selectorIjNS0_10empty_typeEEEZZNS1_29radix_sort_onesweep_iterationIS3_Lb1EPjS8_PS5_S9_mNS0_19identity_decomposerENS1_16block_id_wrapperIjLb1EEEEE10hipError_tT1_PNSt15iterator_traitsISE_E10value_typeET2_T3_PNSF_ISK_E10value_typeET4_T5_PSP_SQ_PNS1_23onesweep_lookback_stateEbbT6_jjT7_P12ihipStream_tbENKUlT_T0_SE_SJ_E_clIS8_S8_S9_S9_EEDaSX_SY_SE_SJ_EUlSX_E_NS1_11comp_targetILNS1_3genE6ELNS1_11target_archE950ELNS1_3gpuE13ELNS1_3repE0EEENS1_47radix_sort_onesweep_sort_config_static_selectorELNS0_4arch9wavefront6targetE1EEEvSE_.kd
    .uniform_work_group_size: 1
    .uses_dynamic_stack: false
    .vgpr_count:     0
    .vgpr_spill_count: 0
    .wavefront_size: 64
  - .agpr_count:     0
    .args:
      - .offset:         0
        .size:           88
        .value_kind:     by_value
    .group_segment_fixed_size: 0
    .kernarg_segment_align: 8
    .kernarg_segment_size: 88
    .language:       OpenCL C
    .language_version:
      - 2
      - 0
    .max_flat_workgroup_size: 1024
    .name:           _ZN7rocprim17ROCPRIM_400000_NS6detail17trampoline_kernelINS0_14default_configENS1_35radix_sort_onesweep_config_selectorIjNS0_10empty_typeEEEZZNS1_29radix_sort_onesweep_iterationIS3_Lb1EPjS8_PS5_S9_mNS0_19identity_decomposerENS1_16block_id_wrapperIjLb1EEEEE10hipError_tT1_PNSt15iterator_traitsISE_E10value_typeET2_T3_PNSF_ISK_E10value_typeET4_T5_PSP_SQ_PNS1_23onesweep_lookback_stateEbbT6_jjT7_P12ihipStream_tbENKUlT_T0_SE_SJ_E_clIS8_S8_S9_S9_EEDaSX_SY_SE_SJ_EUlSX_E_NS1_11comp_targetILNS1_3genE5ELNS1_11target_archE942ELNS1_3gpuE9ELNS1_3repE0EEENS1_47radix_sort_onesweep_sort_config_static_selectorELNS0_4arch9wavefront6targetE1EEEvSE_
    .private_segment_fixed_size: 0
    .sgpr_count:     4
    .sgpr_spill_count: 0
    .symbol:         _ZN7rocprim17ROCPRIM_400000_NS6detail17trampoline_kernelINS0_14default_configENS1_35radix_sort_onesweep_config_selectorIjNS0_10empty_typeEEEZZNS1_29radix_sort_onesweep_iterationIS3_Lb1EPjS8_PS5_S9_mNS0_19identity_decomposerENS1_16block_id_wrapperIjLb1EEEEE10hipError_tT1_PNSt15iterator_traitsISE_E10value_typeET2_T3_PNSF_ISK_E10value_typeET4_T5_PSP_SQ_PNS1_23onesweep_lookback_stateEbbT6_jjT7_P12ihipStream_tbENKUlT_T0_SE_SJ_E_clIS8_S8_S9_S9_EEDaSX_SY_SE_SJ_EUlSX_E_NS1_11comp_targetILNS1_3genE5ELNS1_11target_archE942ELNS1_3gpuE9ELNS1_3repE0EEENS1_47radix_sort_onesweep_sort_config_static_selectorELNS0_4arch9wavefront6targetE1EEEvSE_.kd
    .uniform_work_group_size: 1
    .uses_dynamic_stack: false
    .vgpr_count:     0
    .vgpr_spill_count: 0
    .wavefront_size: 64
  - .agpr_count:     0
    .args:
      - .offset:         0
        .size:           88
        .value_kind:     by_value
    .group_segment_fixed_size: 0
    .kernarg_segment_align: 8
    .kernarg_segment_size: 88
    .language:       OpenCL C
    .language_version:
      - 2
      - 0
    .max_flat_workgroup_size: 1024
    .name:           _ZN7rocprim17ROCPRIM_400000_NS6detail17trampoline_kernelINS0_14default_configENS1_35radix_sort_onesweep_config_selectorIjNS0_10empty_typeEEEZZNS1_29radix_sort_onesweep_iterationIS3_Lb1EPjS8_PS5_S9_mNS0_19identity_decomposerENS1_16block_id_wrapperIjLb1EEEEE10hipError_tT1_PNSt15iterator_traitsISE_E10value_typeET2_T3_PNSF_ISK_E10value_typeET4_T5_PSP_SQ_PNS1_23onesweep_lookback_stateEbbT6_jjT7_P12ihipStream_tbENKUlT_T0_SE_SJ_E_clIS8_S8_S9_S9_EEDaSX_SY_SE_SJ_EUlSX_E_NS1_11comp_targetILNS1_3genE2ELNS1_11target_archE906ELNS1_3gpuE6ELNS1_3repE0EEENS1_47radix_sort_onesweep_sort_config_static_selectorELNS0_4arch9wavefront6targetE1EEEvSE_
    .private_segment_fixed_size: 0
    .sgpr_count:     4
    .sgpr_spill_count: 0
    .symbol:         _ZN7rocprim17ROCPRIM_400000_NS6detail17trampoline_kernelINS0_14default_configENS1_35radix_sort_onesweep_config_selectorIjNS0_10empty_typeEEEZZNS1_29radix_sort_onesweep_iterationIS3_Lb1EPjS8_PS5_S9_mNS0_19identity_decomposerENS1_16block_id_wrapperIjLb1EEEEE10hipError_tT1_PNSt15iterator_traitsISE_E10value_typeET2_T3_PNSF_ISK_E10value_typeET4_T5_PSP_SQ_PNS1_23onesweep_lookback_stateEbbT6_jjT7_P12ihipStream_tbENKUlT_T0_SE_SJ_E_clIS8_S8_S9_S9_EEDaSX_SY_SE_SJ_EUlSX_E_NS1_11comp_targetILNS1_3genE2ELNS1_11target_archE906ELNS1_3gpuE6ELNS1_3repE0EEENS1_47radix_sort_onesweep_sort_config_static_selectorELNS0_4arch9wavefront6targetE1EEEvSE_.kd
    .uniform_work_group_size: 1
    .uses_dynamic_stack: false
    .vgpr_count:     0
    .vgpr_spill_count: 0
    .wavefront_size: 64
  - .agpr_count:     0
    .args:
      - .offset:         0
        .size:           88
        .value_kind:     by_value
      - .offset:         88
        .size:           4
        .value_kind:     hidden_block_count_x
      - .offset:         92
        .size:           4
        .value_kind:     hidden_block_count_y
      - .offset:         96
        .size:           4
        .value_kind:     hidden_block_count_z
      - .offset:         100
        .size:           2
        .value_kind:     hidden_group_size_x
      - .offset:         102
        .size:           2
        .value_kind:     hidden_group_size_y
      - .offset:         104
        .size:           2
        .value_kind:     hidden_group_size_z
      - .offset:         106
        .size:           2
        .value_kind:     hidden_remainder_x
      - .offset:         108
        .size:           2
        .value_kind:     hidden_remainder_y
      - .offset:         110
        .size:           2
        .value_kind:     hidden_remainder_z
      - .offset:         128
        .size:           8
        .value_kind:     hidden_global_offset_x
      - .offset:         136
        .size:           8
        .value_kind:     hidden_global_offset_y
      - .offset:         144
        .size:           8
        .value_kind:     hidden_global_offset_z
      - .offset:         152
        .size:           2
        .value_kind:     hidden_grid_dims
    .group_segment_fixed_size: 20552
    .kernarg_segment_align: 8
    .kernarg_segment_size: 344
    .language:       OpenCL C
    .language_version:
      - 2
      - 0
    .max_flat_workgroup_size: 1024
    .name:           _ZN7rocprim17ROCPRIM_400000_NS6detail17trampoline_kernelINS0_14default_configENS1_35radix_sort_onesweep_config_selectorIjNS0_10empty_typeEEEZZNS1_29radix_sort_onesweep_iterationIS3_Lb1EPjS8_PS5_S9_mNS0_19identity_decomposerENS1_16block_id_wrapperIjLb1EEEEE10hipError_tT1_PNSt15iterator_traitsISE_E10value_typeET2_T3_PNSF_ISK_E10value_typeET4_T5_PSP_SQ_PNS1_23onesweep_lookback_stateEbbT6_jjT7_P12ihipStream_tbENKUlT_T0_SE_SJ_E_clIS8_S8_S9_S9_EEDaSX_SY_SE_SJ_EUlSX_E_NS1_11comp_targetILNS1_3genE4ELNS1_11target_archE910ELNS1_3gpuE8ELNS1_3repE0EEENS1_47radix_sort_onesweep_sort_config_static_selectorELNS0_4arch9wavefront6targetE1EEEvSE_
    .private_segment_fixed_size: 0
    .sgpr_count:     39
    .sgpr_spill_count: 0
    .symbol:         _ZN7rocprim17ROCPRIM_400000_NS6detail17trampoline_kernelINS0_14default_configENS1_35radix_sort_onesweep_config_selectorIjNS0_10empty_typeEEEZZNS1_29radix_sort_onesweep_iterationIS3_Lb1EPjS8_PS5_S9_mNS0_19identity_decomposerENS1_16block_id_wrapperIjLb1EEEEE10hipError_tT1_PNSt15iterator_traitsISE_E10value_typeET2_T3_PNSF_ISK_E10value_typeET4_T5_PSP_SQ_PNS1_23onesweep_lookback_stateEbbT6_jjT7_P12ihipStream_tbENKUlT_T0_SE_SJ_E_clIS8_S8_S9_S9_EEDaSX_SY_SE_SJ_EUlSX_E_NS1_11comp_targetILNS1_3genE4ELNS1_11target_archE910ELNS1_3gpuE8ELNS1_3repE0EEENS1_47radix_sort_onesweep_sort_config_static_selectorELNS0_4arch9wavefront6targetE1EEEvSE_.kd
    .uniform_work_group_size: 1
    .uses_dynamic_stack: false
    .vgpr_count:     62
    .vgpr_spill_count: 0
    .wavefront_size: 64
  - .agpr_count:     0
    .args:
      - .offset:         0
        .size:           88
        .value_kind:     by_value
    .group_segment_fixed_size: 0
    .kernarg_segment_align: 8
    .kernarg_segment_size: 88
    .language:       OpenCL C
    .language_version:
      - 2
      - 0
    .max_flat_workgroup_size: 512
    .name:           _ZN7rocprim17ROCPRIM_400000_NS6detail17trampoline_kernelINS0_14default_configENS1_35radix_sort_onesweep_config_selectorIjNS0_10empty_typeEEEZZNS1_29radix_sort_onesweep_iterationIS3_Lb1EPjS8_PS5_S9_mNS0_19identity_decomposerENS1_16block_id_wrapperIjLb1EEEEE10hipError_tT1_PNSt15iterator_traitsISE_E10value_typeET2_T3_PNSF_ISK_E10value_typeET4_T5_PSP_SQ_PNS1_23onesweep_lookback_stateEbbT6_jjT7_P12ihipStream_tbENKUlT_T0_SE_SJ_E_clIS8_S8_S9_S9_EEDaSX_SY_SE_SJ_EUlSX_E_NS1_11comp_targetILNS1_3genE3ELNS1_11target_archE908ELNS1_3gpuE7ELNS1_3repE0EEENS1_47radix_sort_onesweep_sort_config_static_selectorELNS0_4arch9wavefront6targetE1EEEvSE_
    .private_segment_fixed_size: 0
    .sgpr_count:     4
    .sgpr_spill_count: 0
    .symbol:         _ZN7rocprim17ROCPRIM_400000_NS6detail17trampoline_kernelINS0_14default_configENS1_35radix_sort_onesweep_config_selectorIjNS0_10empty_typeEEEZZNS1_29radix_sort_onesweep_iterationIS3_Lb1EPjS8_PS5_S9_mNS0_19identity_decomposerENS1_16block_id_wrapperIjLb1EEEEE10hipError_tT1_PNSt15iterator_traitsISE_E10value_typeET2_T3_PNSF_ISK_E10value_typeET4_T5_PSP_SQ_PNS1_23onesweep_lookback_stateEbbT6_jjT7_P12ihipStream_tbENKUlT_T0_SE_SJ_E_clIS8_S8_S9_S9_EEDaSX_SY_SE_SJ_EUlSX_E_NS1_11comp_targetILNS1_3genE3ELNS1_11target_archE908ELNS1_3gpuE7ELNS1_3repE0EEENS1_47radix_sort_onesweep_sort_config_static_selectorELNS0_4arch9wavefront6targetE1EEEvSE_.kd
    .uniform_work_group_size: 1
    .uses_dynamic_stack: false
    .vgpr_count:     0
    .vgpr_spill_count: 0
    .wavefront_size: 64
  - .agpr_count:     0
    .args:
      - .offset:         0
        .size:           88
        .value_kind:     by_value
    .group_segment_fixed_size: 0
    .kernarg_segment_align: 8
    .kernarg_segment_size: 88
    .language:       OpenCL C
    .language_version:
      - 2
      - 0
    .max_flat_workgroup_size: 1024
    .name:           _ZN7rocprim17ROCPRIM_400000_NS6detail17trampoline_kernelINS0_14default_configENS1_35radix_sort_onesweep_config_selectorIjNS0_10empty_typeEEEZZNS1_29radix_sort_onesweep_iterationIS3_Lb1EPjS8_PS5_S9_mNS0_19identity_decomposerENS1_16block_id_wrapperIjLb1EEEEE10hipError_tT1_PNSt15iterator_traitsISE_E10value_typeET2_T3_PNSF_ISK_E10value_typeET4_T5_PSP_SQ_PNS1_23onesweep_lookback_stateEbbT6_jjT7_P12ihipStream_tbENKUlT_T0_SE_SJ_E_clIS8_S8_S9_S9_EEDaSX_SY_SE_SJ_EUlSX_E_NS1_11comp_targetILNS1_3genE10ELNS1_11target_archE1201ELNS1_3gpuE5ELNS1_3repE0EEENS1_47radix_sort_onesweep_sort_config_static_selectorELNS0_4arch9wavefront6targetE1EEEvSE_
    .private_segment_fixed_size: 0
    .sgpr_count:     4
    .sgpr_spill_count: 0
    .symbol:         _ZN7rocprim17ROCPRIM_400000_NS6detail17trampoline_kernelINS0_14default_configENS1_35radix_sort_onesweep_config_selectorIjNS0_10empty_typeEEEZZNS1_29radix_sort_onesweep_iterationIS3_Lb1EPjS8_PS5_S9_mNS0_19identity_decomposerENS1_16block_id_wrapperIjLb1EEEEE10hipError_tT1_PNSt15iterator_traitsISE_E10value_typeET2_T3_PNSF_ISK_E10value_typeET4_T5_PSP_SQ_PNS1_23onesweep_lookback_stateEbbT6_jjT7_P12ihipStream_tbENKUlT_T0_SE_SJ_E_clIS8_S8_S9_S9_EEDaSX_SY_SE_SJ_EUlSX_E_NS1_11comp_targetILNS1_3genE10ELNS1_11target_archE1201ELNS1_3gpuE5ELNS1_3repE0EEENS1_47radix_sort_onesweep_sort_config_static_selectorELNS0_4arch9wavefront6targetE1EEEvSE_.kd
    .uniform_work_group_size: 1
    .uses_dynamic_stack: false
    .vgpr_count:     0
    .vgpr_spill_count: 0
    .wavefront_size: 64
  - .agpr_count:     0
    .args:
      - .offset:         0
        .size:           88
        .value_kind:     by_value
    .group_segment_fixed_size: 0
    .kernarg_segment_align: 8
    .kernarg_segment_size: 88
    .language:       OpenCL C
    .language_version:
      - 2
      - 0
    .max_flat_workgroup_size: 1024
    .name:           _ZN7rocprim17ROCPRIM_400000_NS6detail17trampoline_kernelINS0_14default_configENS1_35radix_sort_onesweep_config_selectorIjNS0_10empty_typeEEEZZNS1_29radix_sort_onesweep_iterationIS3_Lb1EPjS8_PS5_S9_mNS0_19identity_decomposerENS1_16block_id_wrapperIjLb1EEEEE10hipError_tT1_PNSt15iterator_traitsISE_E10value_typeET2_T3_PNSF_ISK_E10value_typeET4_T5_PSP_SQ_PNS1_23onesweep_lookback_stateEbbT6_jjT7_P12ihipStream_tbENKUlT_T0_SE_SJ_E_clIS8_S8_S9_S9_EEDaSX_SY_SE_SJ_EUlSX_E_NS1_11comp_targetILNS1_3genE9ELNS1_11target_archE1100ELNS1_3gpuE3ELNS1_3repE0EEENS1_47radix_sort_onesweep_sort_config_static_selectorELNS0_4arch9wavefront6targetE1EEEvSE_
    .private_segment_fixed_size: 0
    .sgpr_count:     4
    .sgpr_spill_count: 0
    .symbol:         _ZN7rocprim17ROCPRIM_400000_NS6detail17trampoline_kernelINS0_14default_configENS1_35radix_sort_onesweep_config_selectorIjNS0_10empty_typeEEEZZNS1_29radix_sort_onesweep_iterationIS3_Lb1EPjS8_PS5_S9_mNS0_19identity_decomposerENS1_16block_id_wrapperIjLb1EEEEE10hipError_tT1_PNSt15iterator_traitsISE_E10value_typeET2_T3_PNSF_ISK_E10value_typeET4_T5_PSP_SQ_PNS1_23onesweep_lookback_stateEbbT6_jjT7_P12ihipStream_tbENKUlT_T0_SE_SJ_E_clIS8_S8_S9_S9_EEDaSX_SY_SE_SJ_EUlSX_E_NS1_11comp_targetILNS1_3genE9ELNS1_11target_archE1100ELNS1_3gpuE3ELNS1_3repE0EEENS1_47radix_sort_onesweep_sort_config_static_selectorELNS0_4arch9wavefront6targetE1EEEvSE_.kd
    .uniform_work_group_size: 1
    .uses_dynamic_stack: false
    .vgpr_count:     0
    .vgpr_spill_count: 0
    .wavefront_size: 64
  - .agpr_count:     0
    .args:
      - .offset:         0
        .size:           88
        .value_kind:     by_value
    .group_segment_fixed_size: 0
    .kernarg_segment_align: 8
    .kernarg_segment_size: 88
    .language:       OpenCL C
    .language_version:
      - 2
      - 0
    .max_flat_workgroup_size: 1024
    .name:           _ZN7rocprim17ROCPRIM_400000_NS6detail17trampoline_kernelINS0_14default_configENS1_35radix_sort_onesweep_config_selectorIjNS0_10empty_typeEEEZZNS1_29radix_sort_onesweep_iterationIS3_Lb1EPjS8_PS5_S9_mNS0_19identity_decomposerENS1_16block_id_wrapperIjLb1EEEEE10hipError_tT1_PNSt15iterator_traitsISE_E10value_typeET2_T3_PNSF_ISK_E10value_typeET4_T5_PSP_SQ_PNS1_23onesweep_lookback_stateEbbT6_jjT7_P12ihipStream_tbENKUlT_T0_SE_SJ_E_clIS8_S8_S9_S9_EEDaSX_SY_SE_SJ_EUlSX_E_NS1_11comp_targetILNS1_3genE8ELNS1_11target_archE1030ELNS1_3gpuE2ELNS1_3repE0EEENS1_47radix_sort_onesweep_sort_config_static_selectorELNS0_4arch9wavefront6targetE1EEEvSE_
    .private_segment_fixed_size: 0
    .sgpr_count:     4
    .sgpr_spill_count: 0
    .symbol:         _ZN7rocprim17ROCPRIM_400000_NS6detail17trampoline_kernelINS0_14default_configENS1_35radix_sort_onesweep_config_selectorIjNS0_10empty_typeEEEZZNS1_29radix_sort_onesweep_iterationIS3_Lb1EPjS8_PS5_S9_mNS0_19identity_decomposerENS1_16block_id_wrapperIjLb1EEEEE10hipError_tT1_PNSt15iterator_traitsISE_E10value_typeET2_T3_PNSF_ISK_E10value_typeET4_T5_PSP_SQ_PNS1_23onesweep_lookback_stateEbbT6_jjT7_P12ihipStream_tbENKUlT_T0_SE_SJ_E_clIS8_S8_S9_S9_EEDaSX_SY_SE_SJ_EUlSX_E_NS1_11comp_targetILNS1_3genE8ELNS1_11target_archE1030ELNS1_3gpuE2ELNS1_3repE0EEENS1_47radix_sort_onesweep_sort_config_static_selectorELNS0_4arch9wavefront6targetE1EEEvSE_.kd
    .uniform_work_group_size: 1
    .uses_dynamic_stack: false
    .vgpr_count:     0
    .vgpr_spill_count: 0
    .wavefront_size: 64
  - .agpr_count:     0
    .args:
      - .offset:         0
        .size:           88
        .value_kind:     by_value
    .group_segment_fixed_size: 0
    .kernarg_segment_align: 8
    .kernarg_segment_size: 88
    .language:       OpenCL C
    .language_version:
      - 2
      - 0
    .max_flat_workgroup_size: 512
    .name:           _ZN7rocprim17ROCPRIM_400000_NS6detail17trampoline_kernelINS0_14default_configENS1_35radix_sort_onesweep_config_selectorIjNS0_10empty_typeEEEZZNS1_29radix_sort_onesweep_iterationIS3_Lb1EPjS8_PS5_S9_mNS0_19identity_decomposerENS1_16block_id_wrapperIjLb0EEEEE10hipError_tT1_PNSt15iterator_traitsISE_E10value_typeET2_T3_PNSF_ISK_E10value_typeET4_T5_PSP_SQ_PNS1_23onesweep_lookback_stateEbbT6_jjT7_P12ihipStream_tbENKUlT_T0_SE_SJ_E_clIS8_S8_S9_S9_EEDaSX_SY_SE_SJ_EUlSX_E_NS1_11comp_targetILNS1_3genE0ELNS1_11target_archE4294967295ELNS1_3gpuE0ELNS1_3repE0EEENS1_47radix_sort_onesweep_sort_config_static_selectorELNS0_4arch9wavefront6targetE1EEEvSE_
    .private_segment_fixed_size: 0
    .sgpr_count:     4
    .sgpr_spill_count: 0
    .symbol:         _ZN7rocprim17ROCPRIM_400000_NS6detail17trampoline_kernelINS0_14default_configENS1_35radix_sort_onesweep_config_selectorIjNS0_10empty_typeEEEZZNS1_29radix_sort_onesweep_iterationIS3_Lb1EPjS8_PS5_S9_mNS0_19identity_decomposerENS1_16block_id_wrapperIjLb0EEEEE10hipError_tT1_PNSt15iterator_traitsISE_E10value_typeET2_T3_PNSF_ISK_E10value_typeET4_T5_PSP_SQ_PNS1_23onesweep_lookback_stateEbbT6_jjT7_P12ihipStream_tbENKUlT_T0_SE_SJ_E_clIS8_S8_S9_S9_EEDaSX_SY_SE_SJ_EUlSX_E_NS1_11comp_targetILNS1_3genE0ELNS1_11target_archE4294967295ELNS1_3gpuE0ELNS1_3repE0EEENS1_47radix_sort_onesweep_sort_config_static_selectorELNS0_4arch9wavefront6targetE1EEEvSE_.kd
    .uniform_work_group_size: 1
    .uses_dynamic_stack: false
    .vgpr_count:     0
    .vgpr_spill_count: 0
    .wavefront_size: 64
  - .agpr_count:     0
    .args:
      - .offset:         0
        .size:           88
        .value_kind:     by_value
    .group_segment_fixed_size: 0
    .kernarg_segment_align: 8
    .kernarg_segment_size: 88
    .language:       OpenCL C
    .language_version:
      - 2
      - 0
    .max_flat_workgroup_size: 1024
    .name:           _ZN7rocprim17ROCPRIM_400000_NS6detail17trampoline_kernelINS0_14default_configENS1_35radix_sort_onesweep_config_selectorIjNS0_10empty_typeEEEZZNS1_29radix_sort_onesweep_iterationIS3_Lb1EPjS8_PS5_S9_mNS0_19identity_decomposerENS1_16block_id_wrapperIjLb0EEEEE10hipError_tT1_PNSt15iterator_traitsISE_E10value_typeET2_T3_PNSF_ISK_E10value_typeET4_T5_PSP_SQ_PNS1_23onesweep_lookback_stateEbbT6_jjT7_P12ihipStream_tbENKUlT_T0_SE_SJ_E_clIS8_S8_S9_S9_EEDaSX_SY_SE_SJ_EUlSX_E_NS1_11comp_targetILNS1_3genE6ELNS1_11target_archE950ELNS1_3gpuE13ELNS1_3repE0EEENS1_47radix_sort_onesweep_sort_config_static_selectorELNS0_4arch9wavefront6targetE1EEEvSE_
    .private_segment_fixed_size: 0
    .sgpr_count:     4
    .sgpr_spill_count: 0
    .symbol:         _ZN7rocprim17ROCPRIM_400000_NS6detail17trampoline_kernelINS0_14default_configENS1_35radix_sort_onesweep_config_selectorIjNS0_10empty_typeEEEZZNS1_29radix_sort_onesweep_iterationIS3_Lb1EPjS8_PS5_S9_mNS0_19identity_decomposerENS1_16block_id_wrapperIjLb0EEEEE10hipError_tT1_PNSt15iterator_traitsISE_E10value_typeET2_T3_PNSF_ISK_E10value_typeET4_T5_PSP_SQ_PNS1_23onesweep_lookback_stateEbbT6_jjT7_P12ihipStream_tbENKUlT_T0_SE_SJ_E_clIS8_S8_S9_S9_EEDaSX_SY_SE_SJ_EUlSX_E_NS1_11comp_targetILNS1_3genE6ELNS1_11target_archE950ELNS1_3gpuE13ELNS1_3repE0EEENS1_47radix_sort_onesweep_sort_config_static_selectorELNS0_4arch9wavefront6targetE1EEEvSE_.kd
    .uniform_work_group_size: 1
    .uses_dynamic_stack: false
    .vgpr_count:     0
    .vgpr_spill_count: 0
    .wavefront_size: 64
  - .agpr_count:     0
    .args:
      - .offset:         0
        .size:           88
        .value_kind:     by_value
    .group_segment_fixed_size: 0
    .kernarg_segment_align: 8
    .kernarg_segment_size: 88
    .language:       OpenCL C
    .language_version:
      - 2
      - 0
    .max_flat_workgroup_size: 1024
    .name:           _ZN7rocprim17ROCPRIM_400000_NS6detail17trampoline_kernelINS0_14default_configENS1_35radix_sort_onesweep_config_selectorIjNS0_10empty_typeEEEZZNS1_29radix_sort_onesweep_iterationIS3_Lb1EPjS8_PS5_S9_mNS0_19identity_decomposerENS1_16block_id_wrapperIjLb0EEEEE10hipError_tT1_PNSt15iterator_traitsISE_E10value_typeET2_T3_PNSF_ISK_E10value_typeET4_T5_PSP_SQ_PNS1_23onesweep_lookback_stateEbbT6_jjT7_P12ihipStream_tbENKUlT_T0_SE_SJ_E_clIS8_S8_S9_S9_EEDaSX_SY_SE_SJ_EUlSX_E_NS1_11comp_targetILNS1_3genE5ELNS1_11target_archE942ELNS1_3gpuE9ELNS1_3repE0EEENS1_47radix_sort_onesweep_sort_config_static_selectorELNS0_4arch9wavefront6targetE1EEEvSE_
    .private_segment_fixed_size: 0
    .sgpr_count:     4
    .sgpr_spill_count: 0
    .symbol:         _ZN7rocprim17ROCPRIM_400000_NS6detail17trampoline_kernelINS0_14default_configENS1_35radix_sort_onesweep_config_selectorIjNS0_10empty_typeEEEZZNS1_29radix_sort_onesweep_iterationIS3_Lb1EPjS8_PS5_S9_mNS0_19identity_decomposerENS1_16block_id_wrapperIjLb0EEEEE10hipError_tT1_PNSt15iterator_traitsISE_E10value_typeET2_T3_PNSF_ISK_E10value_typeET4_T5_PSP_SQ_PNS1_23onesweep_lookback_stateEbbT6_jjT7_P12ihipStream_tbENKUlT_T0_SE_SJ_E_clIS8_S8_S9_S9_EEDaSX_SY_SE_SJ_EUlSX_E_NS1_11comp_targetILNS1_3genE5ELNS1_11target_archE942ELNS1_3gpuE9ELNS1_3repE0EEENS1_47radix_sort_onesweep_sort_config_static_selectorELNS0_4arch9wavefront6targetE1EEEvSE_.kd
    .uniform_work_group_size: 1
    .uses_dynamic_stack: false
    .vgpr_count:     0
    .vgpr_spill_count: 0
    .wavefront_size: 64
  - .agpr_count:     0
    .args:
      - .offset:         0
        .size:           88
        .value_kind:     by_value
    .group_segment_fixed_size: 0
    .kernarg_segment_align: 8
    .kernarg_segment_size: 88
    .language:       OpenCL C
    .language_version:
      - 2
      - 0
    .max_flat_workgroup_size: 1024
    .name:           _ZN7rocprim17ROCPRIM_400000_NS6detail17trampoline_kernelINS0_14default_configENS1_35radix_sort_onesweep_config_selectorIjNS0_10empty_typeEEEZZNS1_29radix_sort_onesweep_iterationIS3_Lb1EPjS8_PS5_S9_mNS0_19identity_decomposerENS1_16block_id_wrapperIjLb0EEEEE10hipError_tT1_PNSt15iterator_traitsISE_E10value_typeET2_T3_PNSF_ISK_E10value_typeET4_T5_PSP_SQ_PNS1_23onesweep_lookback_stateEbbT6_jjT7_P12ihipStream_tbENKUlT_T0_SE_SJ_E_clIS8_S8_S9_S9_EEDaSX_SY_SE_SJ_EUlSX_E_NS1_11comp_targetILNS1_3genE2ELNS1_11target_archE906ELNS1_3gpuE6ELNS1_3repE0EEENS1_47radix_sort_onesweep_sort_config_static_selectorELNS0_4arch9wavefront6targetE1EEEvSE_
    .private_segment_fixed_size: 0
    .sgpr_count:     4
    .sgpr_spill_count: 0
    .symbol:         _ZN7rocprim17ROCPRIM_400000_NS6detail17trampoline_kernelINS0_14default_configENS1_35radix_sort_onesweep_config_selectorIjNS0_10empty_typeEEEZZNS1_29radix_sort_onesweep_iterationIS3_Lb1EPjS8_PS5_S9_mNS0_19identity_decomposerENS1_16block_id_wrapperIjLb0EEEEE10hipError_tT1_PNSt15iterator_traitsISE_E10value_typeET2_T3_PNSF_ISK_E10value_typeET4_T5_PSP_SQ_PNS1_23onesweep_lookback_stateEbbT6_jjT7_P12ihipStream_tbENKUlT_T0_SE_SJ_E_clIS8_S8_S9_S9_EEDaSX_SY_SE_SJ_EUlSX_E_NS1_11comp_targetILNS1_3genE2ELNS1_11target_archE906ELNS1_3gpuE6ELNS1_3repE0EEENS1_47radix_sort_onesweep_sort_config_static_selectorELNS0_4arch9wavefront6targetE1EEEvSE_.kd
    .uniform_work_group_size: 1
    .uses_dynamic_stack: false
    .vgpr_count:     0
    .vgpr_spill_count: 0
    .wavefront_size: 64
  - .agpr_count:     0
    .args:
      - .offset:         0
        .size:           88
        .value_kind:     by_value
      - .offset:         88
        .size:           4
        .value_kind:     hidden_block_count_x
      - .offset:         92
        .size:           4
        .value_kind:     hidden_block_count_y
      - .offset:         96
        .size:           4
        .value_kind:     hidden_block_count_z
      - .offset:         100
        .size:           2
        .value_kind:     hidden_group_size_x
      - .offset:         102
        .size:           2
        .value_kind:     hidden_group_size_y
      - .offset:         104
        .size:           2
        .value_kind:     hidden_group_size_z
      - .offset:         106
        .size:           2
        .value_kind:     hidden_remainder_x
      - .offset:         108
        .size:           2
        .value_kind:     hidden_remainder_y
      - .offset:         110
        .size:           2
        .value_kind:     hidden_remainder_z
      - .offset:         128
        .size:           8
        .value_kind:     hidden_global_offset_x
      - .offset:         136
        .size:           8
        .value_kind:     hidden_global_offset_y
      - .offset:         144
        .size:           8
        .value_kind:     hidden_global_offset_z
      - .offset:         152
        .size:           2
        .value_kind:     hidden_grid_dims
    .group_segment_fixed_size: 20552
    .kernarg_segment_align: 8
    .kernarg_segment_size: 344
    .language:       OpenCL C
    .language_version:
      - 2
      - 0
    .max_flat_workgroup_size: 1024
    .name:           _ZN7rocprim17ROCPRIM_400000_NS6detail17trampoline_kernelINS0_14default_configENS1_35radix_sort_onesweep_config_selectorIjNS0_10empty_typeEEEZZNS1_29radix_sort_onesweep_iterationIS3_Lb1EPjS8_PS5_S9_mNS0_19identity_decomposerENS1_16block_id_wrapperIjLb0EEEEE10hipError_tT1_PNSt15iterator_traitsISE_E10value_typeET2_T3_PNSF_ISK_E10value_typeET4_T5_PSP_SQ_PNS1_23onesweep_lookback_stateEbbT6_jjT7_P12ihipStream_tbENKUlT_T0_SE_SJ_E_clIS8_S8_S9_S9_EEDaSX_SY_SE_SJ_EUlSX_E_NS1_11comp_targetILNS1_3genE4ELNS1_11target_archE910ELNS1_3gpuE8ELNS1_3repE0EEENS1_47radix_sort_onesweep_sort_config_static_selectorELNS0_4arch9wavefront6targetE1EEEvSE_
    .private_segment_fixed_size: 0
    .sgpr_count:     35
    .sgpr_spill_count: 0
    .symbol:         _ZN7rocprim17ROCPRIM_400000_NS6detail17trampoline_kernelINS0_14default_configENS1_35radix_sort_onesweep_config_selectorIjNS0_10empty_typeEEEZZNS1_29radix_sort_onesweep_iterationIS3_Lb1EPjS8_PS5_S9_mNS0_19identity_decomposerENS1_16block_id_wrapperIjLb0EEEEE10hipError_tT1_PNSt15iterator_traitsISE_E10value_typeET2_T3_PNSF_ISK_E10value_typeET4_T5_PSP_SQ_PNS1_23onesweep_lookback_stateEbbT6_jjT7_P12ihipStream_tbENKUlT_T0_SE_SJ_E_clIS8_S8_S9_S9_EEDaSX_SY_SE_SJ_EUlSX_E_NS1_11comp_targetILNS1_3genE4ELNS1_11target_archE910ELNS1_3gpuE8ELNS1_3repE0EEENS1_47radix_sort_onesweep_sort_config_static_selectorELNS0_4arch9wavefront6targetE1EEEvSE_.kd
    .uniform_work_group_size: 1
    .uses_dynamic_stack: false
    .vgpr_count:     63
    .vgpr_spill_count: 0
    .wavefront_size: 64
  - .agpr_count:     0
    .args:
      - .offset:         0
        .size:           88
        .value_kind:     by_value
    .group_segment_fixed_size: 0
    .kernarg_segment_align: 8
    .kernarg_segment_size: 88
    .language:       OpenCL C
    .language_version:
      - 2
      - 0
    .max_flat_workgroup_size: 512
    .name:           _ZN7rocprim17ROCPRIM_400000_NS6detail17trampoline_kernelINS0_14default_configENS1_35radix_sort_onesweep_config_selectorIjNS0_10empty_typeEEEZZNS1_29radix_sort_onesweep_iterationIS3_Lb1EPjS8_PS5_S9_mNS0_19identity_decomposerENS1_16block_id_wrapperIjLb0EEEEE10hipError_tT1_PNSt15iterator_traitsISE_E10value_typeET2_T3_PNSF_ISK_E10value_typeET4_T5_PSP_SQ_PNS1_23onesweep_lookback_stateEbbT6_jjT7_P12ihipStream_tbENKUlT_T0_SE_SJ_E_clIS8_S8_S9_S9_EEDaSX_SY_SE_SJ_EUlSX_E_NS1_11comp_targetILNS1_3genE3ELNS1_11target_archE908ELNS1_3gpuE7ELNS1_3repE0EEENS1_47radix_sort_onesweep_sort_config_static_selectorELNS0_4arch9wavefront6targetE1EEEvSE_
    .private_segment_fixed_size: 0
    .sgpr_count:     4
    .sgpr_spill_count: 0
    .symbol:         _ZN7rocprim17ROCPRIM_400000_NS6detail17trampoline_kernelINS0_14default_configENS1_35radix_sort_onesweep_config_selectorIjNS0_10empty_typeEEEZZNS1_29radix_sort_onesweep_iterationIS3_Lb1EPjS8_PS5_S9_mNS0_19identity_decomposerENS1_16block_id_wrapperIjLb0EEEEE10hipError_tT1_PNSt15iterator_traitsISE_E10value_typeET2_T3_PNSF_ISK_E10value_typeET4_T5_PSP_SQ_PNS1_23onesweep_lookback_stateEbbT6_jjT7_P12ihipStream_tbENKUlT_T0_SE_SJ_E_clIS8_S8_S9_S9_EEDaSX_SY_SE_SJ_EUlSX_E_NS1_11comp_targetILNS1_3genE3ELNS1_11target_archE908ELNS1_3gpuE7ELNS1_3repE0EEENS1_47radix_sort_onesweep_sort_config_static_selectorELNS0_4arch9wavefront6targetE1EEEvSE_.kd
    .uniform_work_group_size: 1
    .uses_dynamic_stack: false
    .vgpr_count:     0
    .vgpr_spill_count: 0
    .wavefront_size: 64
  - .agpr_count:     0
    .args:
      - .offset:         0
        .size:           88
        .value_kind:     by_value
    .group_segment_fixed_size: 0
    .kernarg_segment_align: 8
    .kernarg_segment_size: 88
    .language:       OpenCL C
    .language_version:
      - 2
      - 0
    .max_flat_workgroup_size: 1024
    .name:           _ZN7rocprim17ROCPRIM_400000_NS6detail17trampoline_kernelINS0_14default_configENS1_35radix_sort_onesweep_config_selectorIjNS0_10empty_typeEEEZZNS1_29radix_sort_onesweep_iterationIS3_Lb1EPjS8_PS5_S9_mNS0_19identity_decomposerENS1_16block_id_wrapperIjLb0EEEEE10hipError_tT1_PNSt15iterator_traitsISE_E10value_typeET2_T3_PNSF_ISK_E10value_typeET4_T5_PSP_SQ_PNS1_23onesweep_lookback_stateEbbT6_jjT7_P12ihipStream_tbENKUlT_T0_SE_SJ_E_clIS8_S8_S9_S9_EEDaSX_SY_SE_SJ_EUlSX_E_NS1_11comp_targetILNS1_3genE10ELNS1_11target_archE1201ELNS1_3gpuE5ELNS1_3repE0EEENS1_47radix_sort_onesweep_sort_config_static_selectorELNS0_4arch9wavefront6targetE1EEEvSE_
    .private_segment_fixed_size: 0
    .sgpr_count:     4
    .sgpr_spill_count: 0
    .symbol:         _ZN7rocprim17ROCPRIM_400000_NS6detail17trampoline_kernelINS0_14default_configENS1_35radix_sort_onesweep_config_selectorIjNS0_10empty_typeEEEZZNS1_29radix_sort_onesweep_iterationIS3_Lb1EPjS8_PS5_S9_mNS0_19identity_decomposerENS1_16block_id_wrapperIjLb0EEEEE10hipError_tT1_PNSt15iterator_traitsISE_E10value_typeET2_T3_PNSF_ISK_E10value_typeET4_T5_PSP_SQ_PNS1_23onesweep_lookback_stateEbbT6_jjT7_P12ihipStream_tbENKUlT_T0_SE_SJ_E_clIS8_S8_S9_S9_EEDaSX_SY_SE_SJ_EUlSX_E_NS1_11comp_targetILNS1_3genE10ELNS1_11target_archE1201ELNS1_3gpuE5ELNS1_3repE0EEENS1_47radix_sort_onesweep_sort_config_static_selectorELNS0_4arch9wavefront6targetE1EEEvSE_.kd
    .uniform_work_group_size: 1
    .uses_dynamic_stack: false
    .vgpr_count:     0
    .vgpr_spill_count: 0
    .wavefront_size: 64
  - .agpr_count:     0
    .args:
      - .offset:         0
        .size:           88
        .value_kind:     by_value
    .group_segment_fixed_size: 0
    .kernarg_segment_align: 8
    .kernarg_segment_size: 88
    .language:       OpenCL C
    .language_version:
      - 2
      - 0
    .max_flat_workgroup_size: 1024
    .name:           _ZN7rocprim17ROCPRIM_400000_NS6detail17trampoline_kernelINS0_14default_configENS1_35radix_sort_onesweep_config_selectorIjNS0_10empty_typeEEEZZNS1_29radix_sort_onesweep_iterationIS3_Lb1EPjS8_PS5_S9_mNS0_19identity_decomposerENS1_16block_id_wrapperIjLb0EEEEE10hipError_tT1_PNSt15iterator_traitsISE_E10value_typeET2_T3_PNSF_ISK_E10value_typeET4_T5_PSP_SQ_PNS1_23onesweep_lookback_stateEbbT6_jjT7_P12ihipStream_tbENKUlT_T0_SE_SJ_E_clIS8_S8_S9_S9_EEDaSX_SY_SE_SJ_EUlSX_E_NS1_11comp_targetILNS1_3genE9ELNS1_11target_archE1100ELNS1_3gpuE3ELNS1_3repE0EEENS1_47radix_sort_onesweep_sort_config_static_selectorELNS0_4arch9wavefront6targetE1EEEvSE_
    .private_segment_fixed_size: 0
    .sgpr_count:     4
    .sgpr_spill_count: 0
    .symbol:         _ZN7rocprim17ROCPRIM_400000_NS6detail17trampoline_kernelINS0_14default_configENS1_35radix_sort_onesweep_config_selectorIjNS0_10empty_typeEEEZZNS1_29radix_sort_onesweep_iterationIS3_Lb1EPjS8_PS5_S9_mNS0_19identity_decomposerENS1_16block_id_wrapperIjLb0EEEEE10hipError_tT1_PNSt15iterator_traitsISE_E10value_typeET2_T3_PNSF_ISK_E10value_typeET4_T5_PSP_SQ_PNS1_23onesweep_lookback_stateEbbT6_jjT7_P12ihipStream_tbENKUlT_T0_SE_SJ_E_clIS8_S8_S9_S9_EEDaSX_SY_SE_SJ_EUlSX_E_NS1_11comp_targetILNS1_3genE9ELNS1_11target_archE1100ELNS1_3gpuE3ELNS1_3repE0EEENS1_47radix_sort_onesweep_sort_config_static_selectorELNS0_4arch9wavefront6targetE1EEEvSE_.kd
    .uniform_work_group_size: 1
    .uses_dynamic_stack: false
    .vgpr_count:     0
    .vgpr_spill_count: 0
    .wavefront_size: 64
  - .agpr_count:     0
    .args:
      - .offset:         0
        .size:           88
        .value_kind:     by_value
    .group_segment_fixed_size: 0
    .kernarg_segment_align: 8
    .kernarg_segment_size: 88
    .language:       OpenCL C
    .language_version:
      - 2
      - 0
    .max_flat_workgroup_size: 1024
    .name:           _ZN7rocprim17ROCPRIM_400000_NS6detail17trampoline_kernelINS0_14default_configENS1_35radix_sort_onesweep_config_selectorIjNS0_10empty_typeEEEZZNS1_29radix_sort_onesweep_iterationIS3_Lb1EPjS8_PS5_S9_mNS0_19identity_decomposerENS1_16block_id_wrapperIjLb0EEEEE10hipError_tT1_PNSt15iterator_traitsISE_E10value_typeET2_T3_PNSF_ISK_E10value_typeET4_T5_PSP_SQ_PNS1_23onesweep_lookback_stateEbbT6_jjT7_P12ihipStream_tbENKUlT_T0_SE_SJ_E_clIS8_S8_S9_S9_EEDaSX_SY_SE_SJ_EUlSX_E_NS1_11comp_targetILNS1_3genE8ELNS1_11target_archE1030ELNS1_3gpuE2ELNS1_3repE0EEENS1_47radix_sort_onesweep_sort_config_static_selectorELNS0_4arch9wavefront6targetE1EEEvSE_
    .private_segment_fixed_size: 0
    .sgpr_count:     4
    .sgpr_spill_count: 0
    .symbol:         _ZN7rocprim17ROCPRIM_400000_NS6detail17trampoline_kernelINS0_14default_configENS1_35radix_sort_onesweep_config_selectorIjNS0_10empty_typeEEEZZNS1_29radix_sort_onesweep_iterationIS3_Lb1EPjS8_PS5_S9_mNS0_19identity_decomposerENS1_16block_id_wrapperIjLb0EEEEE10hipError_tT1_PNSt15iterator_traitsISE_E10value_typeET2_T3_PNSF_ISK_E10value_typeET4_T5_PSP_SQ_PNS1_23onesweep_lookback_stateEbbT6_jjT7_P12ihipStream_tbENKUlT_T0_SE_SJ_E_clIS8_S8_S9_S9_EEDaSX_SY_SE_SJ_EUlSX_E_NS1_11comp_targetILNS1_3genE8ELNS1_11target_archE1030ELNS1_3gpuE2ELNS1_3repE0EEENS1_47radix_sort_onesweep_sort_config_static_selectorELNS0_4arch9wavefront6targetE1EEEvSE_.kd
    .uniform_work_group_size: 1
    .uses_dynamic_stack: false
    .vgpr_count:     0
    .vgpr_spill_count: 0
    .wavefront_size: 64
  - .agpr_count:     0
    .args:
      - .offset:         0
        .size:           48
        .value_kind:     by_value
    .group_segment_fixed_size: 0
    .kernarg_segment_align: 8
    .kernarg_segment_size: 48
    .language:       OpenCL C
    .language_version:
      - 2
      - 0
    .max_flat_workgroup_size: 256
    .name:           _ZN7rocprim17ROCPRIM_400000_NS6detail17trampoline_kernelINS0_13kernel_configILj256ELj4ELj4294967295EEENS1_37radix_sort_block_sort_config_selectorIlNS0_10empty_typeEEEZNS1_21radix_sort_block_sortIS4_Lb1EPlS9_PS6_SA_NS0_19identity_decomposerEEE10hipError_tT1_T2_T3_T4_jRjT5_jjP12ihipStream_tbEUlT_E_NS1_11comp_targetILNS1_3genE0ELNS1_11target_archE4294967295ELNS1_3gpuE0ELNS1_3repE0EEENS1_44radix_sort_block_sort_config_static_selectorELNS0_4arch9wavefront6targetE1EEEvSD_
    .private_segment_fixed_size: 0
    .sgpr_count:     4
    .sgpr_spill_count: 0
    .symbol:         _ZN7rocprim17ROCPRIM_400000_NS6detail17trampoline_kernelINS0_13kernel_configILj256ELj4ELj4294967295EEENS1_37radix_sort_block_sort_config_selectorIlNS0_10empty_typeEEEZNS1_21radix_sort_block_sortIS4_Lb1EPlS9_PS6_SA_NS0_19identity_decomposerEEE10hipError_tT1_T2_T3_T4_jRjT5_jjP12ihipStream_tbEUlT_E_NS1_11comp_targetILNS1_3genE0ELNS1_11target_archE4294967295ELNS1_3gpuE0ELNS1_3repE0EEENS1_44radix_sort_block_sort_config_static_selectorELNS0_4arch9wavefront6targetE1EEEvSD_.kd
    .uniform_work_group_size: 1
    .uses_dynamic_stack: false
    .vgpr_count:     0
    .vgpr_spill_count: 0
    .wavefront_size: 64
  - .agpr_count:     0
    .args:
      - .offset:         0
        .size:           48
        .value_kind:     by_value
    .group_segment_fixed_size: 0
    .kernarg_segment_align: 8
    .kernarg_segment_size: 48
    .language:       OpenCL C
    .language_version:
      - 2
      - 0
    .max_flat_workgroup_size: 256
    .name:           _ZN7rocprim17ROCPRIM_400000_NS6detail17trampoline_kernelINS0_13kernel_configILj256ELj4ELj4294967295EEENS1_37radix_sort_block_sort_config_selectorIlNS0_10empty_typeEEEZNS1_21radix_sort_block_sortIS4_Lb1EPlS9_PS6_SA_NS0_19identity_decomposerEEE10hipError_tT1_T2_T3_T4_jRjT5_jjP12ihipStream_tbEUlT_E_NS1_11comp_targetILNS1_3genE5ELNS1_11target_archE942ELNS1_3gpuE9ELNS1_3repE0EEENS1_44radix_sort_block_sort_config_static_selectorELNS0_4arch9wavefront6targetE1EEEvSD_
    .private_segment_fixed_size: 0
    .sgpr_count:     4
    .sgpr_spill_count: 0
    .symbol:         _ZN7rocprim17ROCPRIM_400000_NS6detail17trampoline_kernelINS0_13kernel_configILj256ELj4ELj4294967295EEENS1_37radix_sort_block_sort_config_selectorIlNS0_10empty_typeEEEZNS1_21radix_sort_block_sortIS4_Lb1EPlS9_PS6_SA_NS0_19identity_decomposerEEE10hipError_tT1_T2_T3_T4_jRjT5_jjP12ihipStream_tbEUlT_E_NS1_11comp_targetILNS1_3genE5ELNS1_11target_archE942ELNS1_3gpuE9ELNS1_3repE0EEENS1_44radix_sort_block_sort_config_static_selectorELNS0_4arch9wavefront6targetE1EEEvSD_.kd
    .uniform_work_group_size: 1
    .uses_dynamic_stack: false
    .vgpr_count:     0
    .vgpr_spill_count: 0
    .wavefront_size: 64
  - .agpr_count:     0
    .args:
      - .offset:         0
        .size:           48
        .value_kind:     by_value
      - .offset:         48
        .size:           4
        .value_kind:     hidden_block_count_x
      - .offset:         52
        .size:           4
        .value_kind:     hidden_block_count_y
      - .offset:         56
        .size:           4
        .value_kind:     hidden_block_count_z
      - .offset:         60
        .size:           2
        .value_kind:     hidden_group_size_x
      - .offset:         62
        .size:           2
        .value_kind:     hidden_group_size_y
      - .offset:         64
        .size:           2
        .value_kind:     hidden_group_size_z
      - .offset:         66
        .size:           2
        .value_kind:     hidden_remainder_x
      - .offset:         68
        .size:           2
        .value_kind:     hidden_remainder_y
      - .offset:         70
        .size:           2
        .value_kind:     hidden_remainder_z
      - .offset:         88
        .size:           8
        .value_kind:     hidden_global_offset_x
      - .offset:         96
        .size:           8
        .value_kind:     hidden_global_offset_y
      - .offset:         104
        .size:           8
        .value_kind:     hidden_global_offset_z
      - .offset:         112
        .size:           2
        .value_kind:     hidden_grid_dims
    .group_segment_fixed_size: 8192
    .kernarg_segment_align: 8
    .kernarg_segment_size: 304
    .language:       OpenCL C
    .language_version:
      - 2
      - 0
    .max_flat_workgroup_size: 256
    .name:           _ZN7rocprim17ROCPRIM_400000_NS6detail17trampoline_kernelINS0_13kernel_configILj256ELj4ELj4294967295EEENS1_37radix_sort_block_sort_config_selectorIlNS0_10empty_typeEEEZNS1_21radix_sort_block_sortIS4_Lb1EPlS9_PS6_SA_NS0_19identity_decomposerEEE10hipError_tT1_T2_T3_T4_jRjT5_jjP12ihipStream_tbEUlT_E_NS1_11comp_targetILNS1_3genE4ELNS1_11target_archE910ELNS1_3gpuE8ELNS1_3repE0EEENS1_44radix_sort_block_sort_config_static_selectorELNS0_4arch9wavefront6targetE1EEEvSD_
    .private_segment_fixed_size: 0
    .sgpr_count:     48
    .sgpr_spill_count: 0
    .symbol:         _ZN7rocprim17ROCPRIM_400000_NS6detail17trampoline_kernelINS0_13kernel_configILj256ELj4ELj4294967295EEENS1_37radix_sort_block_sort_config_selectorIlNS0_10empty_typeEEEZNS1_21radix_sort_block_sortIS4_Lb1EPlS9_PS6_SA_NS0_19identity_decomposerEEE10hipError_tT1_T2_T3_T4_jRjT5_jjP12ihipStream_tbEUlT_E_NS1_11comp_targetILNS1_3genE4ELNS1_11target_archE910ELNS1_3gpuE8ELNS1_3repE0EEENS1_44radix_sort_block_sort_config_static_selectorELNS0_4arch9wavefront6targetE1EEEvSD_.kd
    .uniform_work_group_size: 1
    .uses_dynamic_stack: false
    .vgpr_count:     42
    .vgpr_spill_count: 0
    .wavefront_size: 64
  - .agpr_count:     0
    .args:
      - .offset:         0
        .size:           48
        .value_kind:     by_value
    .group_segment_fixed_size: 0
    .kernarg_segment_align: 8
    .kernarg_segment_size: 48
    .language:       OpenCL C
    .language_version:
      - 2
      - 0
    .max_flat_workgroup_size: 256
    .name:           _ZN7rocprim17ROCPRIM_400000_NS6detail17trampoline_kernelINS0_13kernel_configILj256ELj4ELj4294967295EEENS1_37radix_sort_block_sort_config_selectorIlNS0_10empty_typeEEEZNS1_21radix_sort_block_sortIS4_Lb1EPlS9_PS6_SA_NS0_19identity_decomposerEEE10hipError_tT1_T2_T3_T4_jRjT5_jjP12ihipStream_tbEUlT_E_NS1_11comp_targetILNS1_3genE3ELNS1_11target_archE908ELNS1_3gpuE7ELNS1_3repE0EEENS1_44radix_sort_block_sort_config_static_selectorELNS0_4arch9wavefront6targetE1EEEvSD_
    .private_segment_fixed_size: 0
    .sgpr_count:     4
    .sgpr_spill_count: 0
    .symbol:         _ZN7rocprim17ROCPRIM_400000_NS6detail17trampoline_kernelINS0_13kernel_configILj256ELj4ELj4294967295EEENS1_37radix_sort_block_sort_config_selectorIlNS0_10empty_typeEEEZNS1_21radix_sort_block_sortIS4_Lb1EPlS9_PS6_SA_NS0_19identity_decomposerEEE10hipError_tT1_T2_T3_T4_jRjT5_jjP12ihipStream_tbEUlT_E_NS1_11comp_targetILNS1_3genE3ELNS1_11target_archE908ELNS1_3gpuE7ELNS1_3repE0EEENS1_44radix_sort_block_sort_config_static_selectorELNS0_4arch9wavefront6targetE1EEEvSD_.kd
    .uniform_work_group_size: 1
    .uses_dynamic_stack: false
    .vgpr_count:     0
    .vgpr_spill_count: 0
    .wavefront_size: 64
  - .agpr_count:     0
    .args:
      - .offset:         0
        .size:           48
        .value_kind:     by_value
    .group_segment_fixed_size: 0
    .kernarg_segment_align: 8
    .kernarg_segment_size: 48
    .language:       OpenCL C
    .language_version:
      - 2
      - 0
    .max_flat_workgroup_size: 256
    .name:           _ZN7rocprim17ROCPRIM_400000_NS6detail17trampoline_kernelINS0_13kernel_configILj256ELj4ELj4294967295EEENS1_37radix_sort_block_sort_config_selectorIlNS0_10empty_typeEEEZNS1_21radix_sort_block_sortIS4_Lb1EPlS9_PS6_SA_NS0_19identity_decomposerEEE10hipError_tT1_T2_T3_T4_jRjT5_jjP12ihipStream_tbEUlT_E_NS1_11comp_targetILNS1_3genE2ELNS1_11target_archE906ELNS1_3gpuE6ELNS1_3repE0EEENS1_44radix_sort_block_sort_config_static_selectorELNS0_4arch9wavefront6targetE1EEEvSD_
    .private_segment_fixed_size: 0
    .sgpr_count:     4
    .sgpr_spill_count: 0
    .symbol:         _ZN7rocprim17ROCPRIM_400000_NS6detail17trampoline_kernelINS0_13kernel_configILj256ELj4ELj4294967295EEENS1_37radix_sort_block_sort_config_selectorIlNS0_10empty_typeEEEZNS1_21radix_sort_block_sortIS4_Lb1EPlS9_PS6_SA_NS0_19identity_decomposerEEE10hipError_tT1_T2_T3_T4_jRjT5_jjP12ihipStream_tbEUlT_E_NS1_11comp_targetILNS1_3genE2ELNS1_11target_archE906ELNS1_3gpuE6ELNS1_3repE0EEENS1_44radix_sort_block_sort_config_static_selectorELNS0_4arch9wavefront6targetE1EEEvSD_.kd
    .uniform_work_group_size: 1
    .uses_dynamic_stack: false
    .vgpr_count:     0
    .vgpr_spill_count: 0
    .wavefront_size: 64
  - .agpr_count:     0
    .args:
      - .offset:         0
        .size:           48
        .value_kind:     by_value
    .group_segment_fixed_size: 0
    .kernarg_segment_align: 8
    .kernarg_segment_size: 48
    .language:       OpenCL C
    .language_version:
      - 2
      - 0
    .max_flat_workgroup_size: 256
    .name:           _ZN7rocprim17ROCPRIM_400000_NS6detail17trampoline_kernelINS0_13kernel_configILj256ELj4ELj4294967295EEENS1_37radix_sort_block_sort_config_selectorIlNS0_10empty_typeEEEZNS1_21radix_sort_block_sortIS4_Lb1EPlS9_PS6_SA_NS0_19identity_decomposerEEE10hipError_tT1_T2_T3_T4_jRjT5_jjP12ihipStream_tbEUlT_E_NS1_11comp_targetILNS1_3genE10ELNS1_11target_archE1201ELNS1_3gpuE5ELNS1_3repE0EEENS1_44radix_sort_block_sort_config_static_selectorELNS0_4arch9wavefront6targetE1EEEvSD_
    .private_segment_fixed_size: 0
    .sgpr_count:     4
    .sgpr_spill_count: 0
    .symbol:         _ZN7rocprim17ROCPRIM_400000_NS6detail17trampoline_kernelINS0_13kernel_configILj256ELj4ELj4294967295EEENS1_37radix_sort_block_sort_config_selectorIlNS0_10empty_typeEEEZNS1_21radix_sort_block_sortIS4_Lb1EPlS9_PS6_SA_NS0_19identity_decomposerEEE10hipError_tT1_T2_T3_T4_jRjT5_jjP12ihipStream_tbEUlT_E_NS1_11comp_targetILNS1_3genE10ELNS1_11target_archE1201ELNS1_3gpuE5ELNS1_3repE0EEENS1_44radix_sort_block_sort_config_static_selectorELNS0_4arch9wavefront6targetE1EEEvSD_.kd
    .uniform_work_group_size: 1
    .uses_dynamic_stack: false
    .vgpr_count:     0
    .vgpr_spill_count: 0
    .wavefront_size: 64
  - .agpr_count:     0
    .args:
      - .offset:         0
        .size:           48
        .value_kind:     by_value
    .group_segment_fixed_size: 0
    .kernarg_segment_align: 8
    .kernarg_segment_size: 48
    .language:       OpenCL C
    .language_version:
      - 2
      - 0
    .max_flat_workgroup_size: 256
    .name:           _ZN7rocprim17ROCPRIM_400000_NS6detail17trampoline_kernelINS0_13kernel_configILj256ELj4ELj4294967295EEENS1_37radix_sort_block_sort_config_selectorIlNS0_10empty_typeEEEZNS1_21radix_sort_block_sortIS4_Lb1EPlS9_PS6_SA_NS0_19identity_decomposerEEE10hipError_tT1_T2_T3_T4_jRjT5_jjP12ihipStream_tbEUlT_E_NS1_11comp_targetILNS1_3genE10ELNS1_11target_archE1200ELNS1_3gpuE4ELNS1_3repE0EEENS1_44radix_sort_block_sort_config_static_selectorELNS0_4arch9wavefront6targetE1EEEvSD_
    .private_segment_fixed_size: 0
    .sgpr_count:     4
    .sgpr_spill_count: 0
    .symbol:         _ZN7rocprim17ROCPRIM_400000_NS6detail17trampoline_kernelINS0_13kernel_configILj256ELj4ELj4294967295EEENS1_37radix_sort_block_sort_config_selectorIlNS0_10empty_typeEEEZNS1_21radix_sort_block_sortIS4_Lb1EPlS9_PS6_SA_NS0_19identity_decomposerEEE10hipError_tT1_T2_T3_T4_jRjT5_jjP12ihipStream_tbEUlT_E_NS1_11comp_targetILNS1_3genE10ELNS1_11target_archE1200ELNS1_3gpuE4ELNS1_3repE0EEENS1_44radix_sort_block_sort_config_static_selectorELNS0_4arch9wavefront6targetE1EEEvSD_.kd
    .uniform_work_group_size: 1
    .uses_dynamic_stack: false
    .vgpr_count:     0
    .vgpr_spill_count: 0
    .wavefront_size: 64
  - .agpr_count:     0
    .args:
      - .offset:         0
        .size:           48
        .value_kind:     by_value
    .group_segment_fixed_size: 0
    .kernarg_segment_align: 8
    .kernarg_segment_size: 48
    .language:       OpenCL C
    .language_version:
      - 2
      - 0
    .max_flat_workgroup_size: 256
    .name:           _ZN7rocprim17ROCPRIM_400000_NS6detail17trampoline_kernelINS0_13kernel_configILj256ELj4ELj4294967295EEENS1_37radix_sort_block_sort_config_selectorIlNS0_10empty_typeEEEZNS1_21radix_sort_block_sortIS4_Lb1EPlS9_PS6_SA_NS0_19identity_decomposerEEE10hipError_tT1_T2_T3_T4_jRjT5_jjP12ihipStream_tbEUlT_E_NS1_11comp_targetILNS1_3genE9ELNS1_11target_archE1100ELNS1_3gpuE3ELNS1_3repE0EEENS1_44radix_sort_block_sort_config_static_selectorELNS0_4arch9wavefront6targetE1EEEvSD_
    .private_segment_fixed_size: 0
    .sgpr_count:     4
    .sgpr_spill_count: 0
    .symbol:         _ZN7rocprim17ROCPRIM_400000_NS6detail17trampoline_kernelINS0_13kernel_configILj256ELj4ELj4294967295EEENS1_37radix_sort_block_sort_config_selectorIlNS0_10empty_typeEEEZNS1_21radix_sort_block_sortIS4_Lb1EPlS9_PS6_SA_NS0_19identity_decomposerEEE10hipError_tT1_T2_T3_T4_jRjT5_jjP12ihipStream_tbEUlT_E_NS1_11comp_targetILNS1_3genE9ELNS1_11target_archE1100ELNS1_3gpuE3ELNS1_3repE0EEENS1_44radix_sort_block_sort_config_static_selectorELNS0_4arch9wavefront6targetE1EEEvSD_.kd
    .uniform_work_group_size: 1
    .uses_dynamic_stack: false
    .vgpr_count:     0
    .vgpr_spill_count: 0
    .wavefront_size: 64
  - .agpr_count:     0
    .args:
      - .offset:         0
        .size:           48
        .value_kind:     by_value
    .group_segment_fixed_size: 0
    .kernarg_segment_align: 8
    .kernarg_segment_size: 48
    .language:       OpenCL C
    .language_version:
      - 2
      - 0
    .max_flat_workgroup_size: 256
    .name:           _ZN7rocprim17ROCPRIM_400000_NS6detail17trampoline_kernelINS0_13kernel_configILj256ELj4ELj4294967295EEENS1_37radix_sort_block_sort_config_selectorIlNS0_10empty_typeEEEZNS1_21radix_sort_block_sortIS4_Lb1EPlS9_PS6_SA_NS0_19identity_decomposerEEE10hipError_tT1_T2_T3_T4_jRjT5_jjP12ihipStream_tbEUlT_E_NS1_11comp_targetILNS1_3genE8ELNS1_11target_archE1030ELNS1_3gpuE2ELNS1_3repE0EEENS1_44radix_sort_block_sort_config_static_selectorELNS0_4arch9wavefront6targetE1EEEvSD_
    .private_segment_fixed_size: 0
    .sgpr_count:     4
    .sgpr_spill_count: 0
    .symbol:         _ZN7rocprim17ROCPRIM_400000_NS6detail17trampoline_kernelINS0_13kernel_configILj256ELj4ELj4294967295EEENS1_37radix_sort_block_sort_config_selectorIlNS0_10empty_typeEEEZNS1_21radix_sort_block_sortIS4_Lb1EPlS9_PS6_SA_NS0_19identity_decomposerEEE10hipError_tT1_T2_T3_T4_jRjT5_jjP12ihipStream_tbEUlT_E_NS1_11comp_targetILNS1_3genE8ELNS1_11target_archE1030ELNS1_3gpuE2ELNS1_3repE0EEENS1_44radix_sort_block_sort_config_static_selectorELNS0_4arch9wavefront6targetE1EEEvSD_.kd
    .uniform_work_group_size: 1
    .uses_dynamic_stack: false
    .vgpr_count:     0
    .vgpr_spill_count: 0
    .wavefront_size: 64
  - .agpr_count:     0
    .args:
      - .offset:         0
        .size:           40
        .value_kind:     by_value
    .group_segment_fixed_size: 0
    .kernarg_segment_align: 8
    .kernarg_segment_size: 40
    .language:       OpenCL C
    .language_version:
      - 2
      - 0
    .max_flat_workgroup_size: 128
    .name:           _ZN7rocprim17ROCPRIM_400000_NS6detail17trampoline_kernelINS0_14default_configENS1_38merge_sort_block_merge_config_selectorIlNS0_10empty_typeEEEZZNS1_27merge_sort_block_merge_implIS3_PlPS5_jNS1_19radix_merge_compareILb1ELb0ElNS0_19identity_decomposerEEEEE10hipError_tT0_T1_T2_jT3_P12ihipStream_tbPNSt15iterator_traitsISE_E10value_typeEPNSK_ISF_E10value_typeEPSG_NS1_7vsmem_tEENKUlT_SE_SF_SG_E_clIS8_S8_S9_S9_EESD_ST_SE_SF_SG_EUlST_E_NS1_11comp_targetILNS1_3genE0ELNS1_11target_archE4294967295ELNS1_3gpuE0ELNS1_3repE0EEENS1_48merge_mergepath_partition_config_static_selectorELNS0_4arch9wavefront6targetE1EEEvSF_
    .private_segment_fixed_size: 0
    .sgpr_count:     4
    .sgpr_spill_count: 0
    .symbol:         _ZN7rocprim17ROCPRIM_400000_NS6detail17trampoline_kernelINS0_14default_configENS1_38merge_sort_block_merge_config_selectorIlNS0_10empty_typeEEEZZNS1_27merge_sort_block_merge_implIS3_PlPS5_jNS1_19radix_merge_compareILb1ELb0ElNS0_19identity_decomposerEEEEE10hipError_tT0_T1_T2_jT3_P12ihipStream_tbPNSt15iterator_traitsISE_E10value_typeEPNSK_ISF_E10value_typeEPSG_NS1_7vsmem_tEENKUlT_SE_SF_SG_E_clIS8_S8_S9_S9_EESD_ST_SE_SF_SG_EUlST_E_NS1_11comp_targetILNS1_3genE0ELNS1_11target_archE4294967295ELNS1_3gpuE0ELNS1_3repE0EEENS1_48merge_mergepath_partition_config_static_selectorELNS0_4arch9wavefront6targetE1EEEvSF_.kd
    .uniform_work_group_size: 1
    .uses_dynamic_stack: false
    .vgpr_count:     0
    .vgpr_spill_count: 0
    .wavefront_size: 64
  - .agpr_count:     0
    .args:
      - .offset:         0
        .size:           40
        .value_kind:     by_value
    .group_segment_fixed_size: 0
    .kernarg_segment_align: 8
    .kernarg_segment_size: 40
    .language:       OpenCL C
    .language_version:
      - 2
      - 0
    .max_flat_workgroup_size: 128
    .name:           _ZN7rocprim17ROCPRIM_400000_NS6detail17trampoline_kernelINS0_14default_configENS1_38merge_sort_block_merge_config_selectorIlNS0_10empty_typeEEEZZNS1_27merge_sort_block_merge_implIS3_PlPS5_jNS1_19radix_merge_compareILb1ELb0ElNS0_19identity_decomposerEEEEE10hipError_tT0_T1_T2_jT3_P12ihipStream_tbPNSt15iterator_traitsISE_E10value_typeEPNSK_ISF_E10value_typeEPSG_NS1_7vsmem_tEENKUlT_SE_SF_SG_E_clIS8_S8_S9_S9_EESD_ST_SE_SF_SG_EUlST_E_NS1_11comp_targetILNS1_3genE10ELNS1_11target_archE1201ELNS1_3gpuE5ELNS1_3repE0EEENS1_48merge_mergepath_partition_config_static_selectorELNS0_4arch9wavefront6targetE1EEEvSF_
    .private_segment_fixed_size: 0
    .sgpr_count:     4
    .sgpr_spill_count: 0
    .symbol:         _ZN7rocprim17ROCPRIM_400000_NS6detail17trampoline_kernelINS0_14default_configENS1_38merge_sort_block_merge_config_selectorIlNS0_10empty_typeEEEZZNS1_27merge_sort_block_merge_implIS3_PlPS5_jNS1_19radix_merge_compareILb1ELb0ElNS0_19identity_decomposerEEEEE10hipError_tT0_T1_T2_jT3_P12ihipStream_tbPNSt15iterator_traitsISE_E10value_typeEPNSK_ISF_E10value_typeEPSG_NS1_7vsmem_tEENKUlT_SE_SF_SG_E_clIS8_S8_S9_S9_EESD_ST_SE_SF_SG_EUlST_E_NS1_11comp_targetILNS1_3genE10ELNS1_11target_archE1201ELNS1_3gpuE5ELNS1_3repE0EEENS1_48merge_mergepath_partition_config_static_selectorELNS0_4arch9wavefront6targetE1EEEvSF_.kd
    .uniform_work_group_size: 1
    .uses_dynamic_stack: false
    .vgpr_count:     0
    .vgpr_spill_count: 0
    .wavefront_size: 64
  - .agpr_count:     0
    .args:
      - .offset:         0
        .size:           40
        .value_kind:     by_value
    .group_segment_fixed_size: 0
    .kernarg_segment_align: 8
    .kernarg_segment_size: 40
    .language:       OpenCL C
    .language_version:
      - 2
      - 0
    .max_flat_workgroup_size: 128
    .name:           _ZN7rocprim17ROCPRIM_400000_NS6detail17trampoline_kernelINS0_14default_configENS1_38merge_sort_block_merge_config_selectorIlNS0_10empty_typeEEEZZNS1_27merge_sort_block_merge_implIS3_PlPS5_jNS1_19radix_merge_compareILb1ELb0ElNS0_19identity_decomposerEEEEE10hipError_tT0_T1_T2_jT3_P12ihipStream_tbPNSt15iterator_traitsISE_E10value_typeEPNSK_ISF_E10value_typeEPSG_NS1_7vsmem_tEENKUlT_SE_SF_SG_E_clIS8_S8_S9_S9_EESD_ST_SE_SF_SG_EUlST_E_NS1_11comp_targetILNS1_3genE5ELNS1_11target_archE942ELNS1_3gpuE9ELNS1_3repE0EEENS1_48merge_mergepath_partition_config_static_selectorELNS0_4arch9wavefront6targetE1EEEvSF_
    .private_segment_fixed_size: 0
    .sgpr_count:     4
    .sgpr_spill_count: 0
    .symbol:         _ZN7rocprim17ROCPRIM_400000_NS6detail17trampoline_kernelINS0_14default_configENS1_38merge_sort_block_merge_config_selectorIlNS0_10empty_typeEEEZZNS1_27merge_sort_block_merge_implIS3_PlPS5_jNS1_19radix_merge_compareILb1ELb0ElNS0_19identity_decomposerEEEEE10hipError_tT0_T1_T2_jT3_P12ihipStream_tbPNSt15iterator_traitsISE_E10value_typeEPNSK_ISF_E10value_typeEPSG_NS1_7vsmem_tEENKUlT_SE_SF_SG_E_clIS8_S8_S9_S9_EESD_ST_SE_SF_SG_EUlST_E_NS1_11comp_targetILNS1_3genE5ELNS1_11target_archE942ELNS1_3gpuE9ELNS1_3repE0EEENS1_48merge_mergepath_partition_config_static_selectorELNS0_4arch9wavefront6targetE1EEEvSF_.kd
    .uniform_work_group_size: 1
    .uses_dynamic_stack: false
    .vgpr_count:     0
    .vgpr_spill_count: 0
    .wavefront_size: 64
  - .agpr_count:     0
    .args:
      - .offset:         0
        .size:           40
        .value_kind:     by_value
    .group_segment_fixed_size: 0
    .kernarg_segment_align: 8
    .kernarg_segment_size: 40
    .language:       OpenCL C
    .language_version:
      - 2
      - 0
    .max_flat_workgroup_size: 128
    .name:           _ZN7rocprim17ROCPRIM_400000_NS6detail17trampoline_kernelINS0_14default_configENS1_38merge_sort_block_merge_config_selectorIlNS0_10empty_typeEEEZZNS1_27merge_sort_block_merge_implIS3_PlPS5_jNS1_19radix_merge_compareILb1ELb0ElNS0_19identity_decomposerEEEEE10hipError_tT0_T1_T2_jT3_P12ihipStream_tbPNSt15iterator_traitsISE_E10value_typeEPNSK_ISF_E10value_typeEPSG_NS1_7vsmem_tEENKUlT_SE_SF_SG_E_clIS8_S8_S9_S9_EESD_ST_SE_SF_SG_EUlST_E_NS1_11comp_targetILNS1_3genE4ELNS1_11target_archE910ELNS1_3gpuE8ELNS1_3repE0EEENS1_48merge_mergepath_partition_config_static_selectorELNS0_4arch9wavefront6targetE1EEEvSF_
    .private_segment_fixed_size: 0
    .sgpr_count:     12
    .sgpr_spill_count: 0
    .symbol:         _ZN7rocprim17ROCPRIM_400000_NS6detail17trampoline_kernelINS0_14default_configENS1_38merge_sort_block_merge_config_selectorIlNS0_10empty_typeEEEZZNS1_27merge_sort_block_merge_implIS3_PlPS5_jNS1_19radix_merge_compareILb1ELb0ElNS0_19identity_decomposerEEEEE10hipError_tT0_T1_T2_jT3_P12ihipStream_tbPNSt15iterator_traitsISE_E10value_typeEPNSK_ISF_E10value_typeEPSG_NS1_7vsmem_tEENKUlT_SE_SF_SG_E_clIS8_S8_S9_S9_EESD_ST_SE_SF_SG_EUlST_E_NS1_11comp_targetILNS1_3genE4ELNS1_11target_archE910ELNS1_3gpuE8ELNS1_3repE0EEENS1_48merge_mergepath_partition_config_static_selectorELNS0_4arch9wavefront6targetE1EEEvSF_.kd
    .uniform_work_group_size: 1
    .uses_dynamic_stack: false
    .vgpr_count:     20
    .vgpr_spill_count: 0
    .wavefront_size: 64
  - .agpr_count:     0
    .args:
      - .offset:         0
        .size:           40
        .value_kind:     by_value
    .group_segment_fixed_size: 0
    .kernarg_segment_align: 8
    .kernarg_segment_size: 40
    .language:       OpenCL C
    .language_version:
      - 2
      - 0
    .max_flat_workgroup_size: 128
    .name:           _ZN7rocprim17ROCPRIM_400000_NS6detail17trampoline_kernelINS0_14default_configENS1_38merge_sort_block_merge_config_selectorIlNS0_10empty_typeEEEZZNS1_27merge_sort_block_merge_implIS3_PlPS5_jNS1_19radix_merge_compareILb1ELb0ElNS0_19identity_decomposerEEEEE10hipError_tT0_T1_T2_jT3_P12ihipStream_tbPNSt15iterator_traitsISE_E10value_typeEPNSK_ISF_E10value_typeEPSG_NS1_7vsmem_tEENKUlT_SE_SF_SG_E_clIS8_S8_S9_S9_EESD_ST_SE_SF_SG_EUlST_E_NS1_11comp_targetILNS1_3genE3ELNS1_11target_archE908ELNS1_3gpuE7ELNS1_3repE0EEENS1_48merge_mergepath_partition_config_static_selectorELNS0_4arch9wavefront6targetE1EEEvSF_
    .private_segment_fixed_size: 0
    .sgpr_count:     4
    .sgpr_spill_count: 0
    .symbol:         _ZN7rocprim17ROCPRIM_400000_NS6detail17trampoline_kernelINS0_14default_configENS1_38merge_sort_block_merge_config_selectorIlNS0_10empty_typeEEEZZNS1_27merge_sort_block_merge_implIS3_PlPS5_jNS1_19radix_merge_compareILb1ELb0ElNS0_19identity_decomposerEEEEE10hipError_tT0_T1_T2_jT3_P12ihipStream_tbPNSt15iterator_traitsISE_E10value_typeEPNSK_ISF_E10value_typeEPSG_NS1_7vsmem_tEENKUlT_SE_SF_SG_E_clIS8_S8_S9_S9_EESD_ST_SE_SF_SG_EUlST_E_NS1_11comp_targetILNS1_3genE3ELNS1_11target_archE908ELNS1_3gpuE7ELNS1_3repE0EEENS1_48merge_mergepath_partition_config_static_selectorELNS0_4arch9wavefront6targetE1EEEvSF_.kd
    .uniform_work_group_size: 1
    .uses_dynamic_stack: false
    .vgpr_count:     0
    .vgpr_spill_count: 0
    .wavefront_size: 64
  - .agpr_count:     0
    .args:
      - .offset:         0
        .size:           40
        .value_kind:     by_value
    .group_segment_fixed_size: 0
    .kernarg_segment_align: 8
    .kernarg_segment_size: 40
    .language:       OpenCL C
    .language_version:
      - 2
      - 0
    .max_flat_workgroup_size: 128
    .name:           _ZN7rocprim17ROCPRIM_400000_NS6detail17trampoline_kernelINS0_14default_configENS1_38merge_sort_block_merge_config_selectorIlNS0_10empty_typeEEEZZNS1_27merge_sort_block_merge_implIS3_PlPS5_jNS1_19radix_merge_compareILb1ELb0ElNS0_19identity_decomposerEEEEE10hipError_tT0_T1_T2_jT3_P12ihipStream_tbPNSt15iterator_traitsISE_E10value_typeEPNSK_ISF_E10value_typeEPSG_NS1_7vsmem_tEENKUlT_SE_SF_SG_E_clIS8_S8_S9_S9_EESD_ST_SE_SF_SG_EUlST_E_NS1_11comp_targetILNS1_3genE2ELNS1_11target_archE906ELNS1_3gpuE6ELNS1_3repE0EEENS1_48merge_mergepath_partition_config_static_selectorELNS0_4arch9wavefront6targetE1EEEvSF_
    .private_segment_fixed_size: 0
    .sgpr_count:     4
    .sgpr_spill_count: 0
    .symbol:         _ZN7rocprim17ROCPRIM_400000_NS6detail17trampoline_kernelINS0_14default_configENS1_38merge_sort_block_merge_config_selectorIlNS0_10empty_typeEEEZZNS1_27merge_sort_block_merge_implIS3_PlPS5_jNS1_19radix_merge_compareILb1ELb0ElNS0_19identity_decomposerEEEEE10hipError_tT0_T1_T2_jT3_P12ihipStream_tbPNSt15iterator_traitsISE_E10value_typeEPNSK_ISF_E10value_typeEPSG_NS1_7vsmem_tEENKUlT_SE_SF_SG_E_clIS8_S8_S9_S9_EESD_ST_SE_SF_SG_EUlST_E_NS1_11comp_targetILNS1_3genE2ELNS1_11target_archE906ELNS1_3gpuE6ELNS1_3repE0EEENS1_48merge_mergepath_partition_config_static_selectorELNS0_4arch9wavefront6targetE1EEEvSF_.kd
    .uniform_work_group_size: 1
    .uses_dynamic_stack: false
    .vgpr_count:     0
    .vgpr_spill_count: 0
    .wavefront_size: 64
  - .agpr_count:     0
    .args:
      - .offset:         0
        .size:           40
        .value_kind:     by_value
    .group_segment_fixed_size: 0
    .kernarg_segment_align: 8
    .kernarg_segment_size: 40
    .language:       OpenCL C
    .language_version:
      - 2
      - 0
    .max_flat_workgroup_size: 128
    .name:           _ZN7rocprim17ROCPRIM_400000_NS6detail17trampoline_kernelINS0_14default_configENS1_38merge_sort_block_merge_config_selectorIlNS0_10empty_typeEEEZZNS1_27merge_sort_block_merge_implIS3_PlPS5_jNS1_19radix_merge_compareILb1ELb0ElNS0_19identity_decomposerEEEEE10hipError_tT0_T1_T2_jT3_P12ihipStream_tbPNSt15iterator_traitsISE_E10value_typeEPNSK_ISF_E10value_typeEPSG_NS1_7vsmem_tEENKUlT_SE_SF_SG_E_clIS8_S8_S9_S9_EESD_ST_SE_SF_SG_EUlST_E_NS1_11comp_targetILNS1_3genE9ELNS1_11target_archE1100ELNS1_3gpuE3ELNS1_3repE0EEENS1_48merge_mergepath_partition_config_static_selectorELNS0_4arch9wavefront6targetE1EEEvSF_
    .private_segment_fixed_size: 0
    .sgpr_count:     4
    .sgpr_spill_count: 0
    .symbol:         _ZN7rocprim17ROCPRIM_400000_NS6detail17trampoline_kernelINS0_14default_configENS1_38merge_sort_block_merge_config_selectorIlNS0_10empty_typeEEEZZNS1_27merge_sort_block_merge_implIS3_PlPS5_jNS1_19radix_merge_compareILb1ELb0ElNS0_19identity_decomposerEEEEE10hipError_tT0_T1_T2_jT3_P12ihipStream_tbPNSt15iterator_traitsISE_E10value_typeEPNSK_ISF_E10value_typeEPSG_NS1_7vsmem_tEENKUlT_SE_SF_SG_E_clIS8_S8_S9_S9_EESD_ST_SE_SF_SG_EUlST_E_NS1_11comp_targetILNS1_3genE9ELNS1_11target_archE1100ELNS1_3gpuE3ELNS1_3repE0EEENS1_48merge_mergepath_partition_config_static_selectorELNS0_4arch9wavefront6targetE1EEEvSF_.kd
    .uniform_work_group_size: 1
    .uses_dynamic_stack: false
    .vgpr_count:     0
    .vgpr_spill_count: 0
    .wavefront_size: 64
  - .agpr_count:     0
    .args:
      - .offset:         0
        .size:           40
        .value_kind:     by_value
    .group_segment_fixed_size: 0
    .kernarg_segment_align: 8
    .kernarg_segment_size: 40
    .language:       OpenCL C
    .language_version:
      - 2
      - 0
    .max_flat_workgroup_size: 128
    .name:           _ZN7rocprim17ROCPRIM_400000_NS6detail17trampoline_kernelINS0_14default_configENS1_38merge_sort_block_merge_config_selectorIlNS0_10empty_typeEEEZZNS1_27merge_sort_block_merge_implIS3_PlPS5_jNS1_19radix_merge_compareILb1ELb0ElNS0_19identity_decomposerEEEEE10hipError_tT0_T1_T2_jT3_P12ihipStream_tbPNSt15iterator_traitsISE_E10value_typeEPNSK_ISF_E10value_typeEPSG_NS1_7vsmem_tEENKUlT_SE_SF_SG_E_clIS8_S8_S9_S9_EESD_ST_SE_SF_SG_EUlST_E_NS1_11comp_targetILNS1_3genE8ELNS1_11target_archE1030ELNS1_3gpuE2ELNS1_3repE0EEENS1_48merge_mergepath_partition_config_static_selectorELNS0_4arch9wavefront6targetE1EEEvSF_
    .private_segment_fixed_size: 0
    .sgpr_count:     4
    .sgpr_spill_count: 0
    .symbol:         _ZN7rocprim17ROCPRIM_400000_NS6detail17trampoline_kernelINS0_14default_configENS1_38merge_sort_block_merge_config_selectorIlNS0_10empty_typeEEEZZNS1_27merge_sort_block_merge_implIS3_PlPS5_jNS1_19radix_merge_compareILb1ELb0ElNS0_19identity_decomposerEEEEE10hipError_tT0_T1_T2_jT3_P12ihipStream_tbPNSt15iterator_traitsISE_E10value_typeEPNSK_ISF_E10value_typeEPSG_NS1_7vsmem_tEENKUlT_SE_SF_SG_E_clIS8_S8_S9_S9_EESD_ST_SE_SF_SG_EUlST_E_NS1_11comp_targetILNS1_3genE8ELNS1_11target_archE1030ELNS1_3gpuE2ELNS1_3repE0EEENS1_48merge_mergepath_partition_config_static_selectorELNS0_4arch9wavefront6targetE1EEEvSF_.kd
    .uniform_work_group_size: 1
    .uses_dynamic_stack: false
    .vgpr_count:     0
    .vgpr_spill_count: 0
    .wavefront_size: 64
  - .agpr_count:     0
    .args:
      - .offset:         0
        .size:           64
        .value_kind:     by_value
    .group_segment_fixed_size: 0
    .kernarg_segment_align: 8
    .kernarg_segment_size: 64
    .language:       OpenCL C
    .language_version:
      - 2
      - 0
    .max_flat_workgroup_size: 128
    .name:           _ZN7rocprim17ROCPRIM_400000_NS6detail17trampoline_kernelINS0_14default_configENS1_38merge_sort_block_merge_config_selectorIlNS0_10empty_typeEEEZZNS1_27merge_sort_block_merge_implIS3_PlPS5_jNS1_19radix_merge_compareILb1ELb0ElNS0_19identity_decomposerEEEEE10hipError_tT0_T1_T2_jT3_P12ihipStream_tbPNSt15iterator_traitsISE_E10value_typeEPNSK_ISF_E10value_typeEPSG_NS1_7vsmem_tEENKUlT_SE_SF_SG_E_clIS8_S8_S9_S9_EESD_ST_SE_SF_SG_EUlST_E0_NS1_11comp_targetILNS1_3genE0ELNS1_11target_archE4294967295ELNS1_3gpuE0ELNS1_3repE0EEENS1_38merge_mergepath_config_static_selectorELNS0_4arch9wavefront6targetE1EEEvSF_
    .private_segment_fixed_size: 0
    .sgpr_count:     4
    .sgpr_spill_count: 0
    .symbol:         _ZN7rocprim17ROCPRIM_400000_NS6detail17trampoline_kernelINS0_14default_configENS1_38merge_sort_block_merge_config_selectorIlNS0_10empty_typeEEEZZNS1_27merge_sort_block_merge_implIS3_PlPS5_jNS1_19radix_merge_compareILb1ELb0ElNS0_19identity_decomposerEEEEE10hipError_tT0_T1_T2_jT3_P12ihipStream_tbPNSt15iterator_traitsISE_E10value_typeEPNSK_ISF_E10value_typeEPSG_NS1_7vsmem_tEENKUlT_SE_SF_SG_E_clIS8_S8_S9_S9_EESD_ST_SE_SF_SG_EUlST_E0_NS1_11comp_targetILNS1_3genE0ELNS1_11target_archE4294967295ELNS1_3gpuE0ELNS1_3repE0EEENS1_38merge_mergepath_config_static_selectorELNS0_4arch9wavefront6targetE1EEEvSF_.kd
    .uniform_work_group_size: 1
    .uses_dynamic_stack: false
    .vgpr_count:     0
    .vgpr_spill_count: 0
    .wavefront_size: 64
  - .agpr_count:     0
    .args:
      - .offset:         0
        .size:           64
        .value_kind:     by_value
    .group_segment_fixed_size: 0
    .kernarg_segment_align: 8
    .kernarg_segment_size: 64
    .language:       OpenCL C
    .language_version:
      - 2
      - 0
    .max_flat_workgroup_size: 512
    .name:           _ZN7rocprim17ROCPRIM_400000_NS6detail17trampoline_kernelINS0_14default_configENS1_38merge_sort_block_merge_config_selectorIlNS0_10empty_typeEEEZZNS1_27merge_sort_block_merge_implIS3_PlPS5_jNS1_19radix_merge_compareILb1ELb0ElNS0_19identity_decomposerEEEEE10hipError_tT0_T1_T2_jT3_P12ihipStream_tbPNSt15iterator_traitsISE_E10value_typeEPNSK_ISF_E10value_typeEPSG_NS1_7vsmem_tEENKUlT_SE_SF_SG_E_clIS8_S8_S9_S9_EESD_ST_SE_SF_SG_EUlST_E0_NS1_11comp_targetILNS1_3genE10ELNS1_11target_archE1201ELNS1_3gpuE5ELNS1_3repE0EEENS1_38merge_mergepath_config_static_selectorELNS0_4arch9wavefront6targetE1EEEvSF_
    .private_segment_fixed_size: 0
    .sgpr_count:     4
    .sgpr_spill_count: 0
    .symbol:         _ZN7rocprim17ROCPRIM_400000_NS6detail17trampoline_kernelINS0_14default_configENS1_38merge_sort_block_merge_config_selectorIlNS0_10empty_typeEEEZZNS1_27merge_sort_block_merge_implIS3_PlPS5_jNS1_19radix_merge_compareILb1ELb0ElNS0_19identity_decomposerEEEEE10hipError_tT0_T1_T2_jT3_P12ihipStream_tbPNSt15iterator_traitsISE_E10value_typeEPNSK_ISF_E10value_typeEPSG_NS1_7vsmem_tEENKUlT_SE_SF_SG_E_clIS8_S8_S9_S9_EESD_ST_SE_SF_SG_EUlST_E0_NS1_11comp_targetILNS1_3genE10ELNS1_11target_archE1201ELNS1_3gpuE5ELNS1_3repE0EEENS1_38merge_mergepath_config_static_selectorELNS0_4arch9wavefront6targetE1EEEvSF_.kd
    .uniform_work_group_size: 1
    .uses_dynamic_stack: false
    .vgpr_count:     0
    .vgpr_spill_count: 0
    .wavefront_size: 64
  - .agpr_count:     0
    .args:
      - .offset:         0
        .size:           64
        .value_kind:     by_value
    .group_segment_fixed_size: 0
    .kernarg_segment_align: 8
    .kernarg_segment_size: 64
    .language:       OpenCL C
    .language_version:
      - 2
      - 0
    .max_flat_workgroup_size: 128
    .name:           _ZN7rocprim17ROCPRIM_400000_NS6detail17trampoline_kernelINS0_14default_configENS1_38merge_sort_block_merge_config_selectorIlNS0_10empty_typeEEEZZNS1_27merge_sort_block_merge_implIS3_PlPS5_jNS1_19radix_merge_compareILb1ELb0ElNS0_19identity_decomposerEEEEE10hipError_tT0_T1_T2_jT3_P12ihipStream_tbPNSt15iterator_traitsISE_E10value_typeEPNSK_ISF_E10value_typeEPSG_NS1_7vsmem_tEENKUlT_SE_SF_SG_E_clIS8_S8_S9_S9_EESD_ST_SE_SF_SG_EUlST_E0_NS1_11comp_targetILNS1_3genE5ELNS1_11target_archE942ELNS1_3gpuE9ELNS1_3repE0EEENS1_38merge_mergepath_config_static_selectorELNS0_4arch9wavefront6targetE1EEEvSF_
    .private_segment_fixed_size: 0
    .sgpr_count:     4
    .sgpr_spill_count: 0
    .symbol:         _ZN7rocprim17ROCPRIM_400000_NS6detail17trampoline_kernelINS0_14default_configENS1_38merge_sort_block_merge_config_selectorIlNS0_10empty_typeEEEZZNS1_27merge_sort_block_merge_implIS3_PlPS5_jNS1_19radix_merge_compareILb1ELb0ElNS0_19identity_decomposerEEEEE10hipError_tT0_T1_T2_jT3_P12ihipStream_tbPNSt15iterator_traitsISE_E10value_typeEPNSK_ISF_E10value_typeEPSG_NS1_7vsmem_tEENKUlT_SE_SF_SG_E_clIS8_S8_S9_S9_EESD_ST_SE_SF_SG_EUlST_E0_NS1_11comp_targetILNS1_3genE5ELNS1_11target_archE942ELNS1_3gpuE9ELNS1_3repE0EEENS1_38merge_mergepath_config_static_selectorELNS0_4arch9wavefront6targetE1EEEvSF_.kd
    .uniform_work_group_size: 1
    .uses_dynamic_stack: false
    .vgpr_count:     0
    .vgpr_spill_count: 0
    .wavefront_size: 64
  - .agpr_count:     0
    .args:
      - .offset:         0
        .size:           64
        .value_kind:     by_value
      - .offset:         64
        .size:           4
        .value_kind:     hidden_block_count_x
      - .offset:         68
        .size:           4
        .value_kind:     hidden_block_count_y
      - .offset:         72
        .size:           4
        .value_kind:     hidden_block_count_z
      - .offset:         76
        .size:           2
        .value_kind:     hidden_group_size_x
      - .offset:         78
        .size:           2
        .value_kind:     hidden_group_size_y
      - .offset:         80
        .size:           2
        .value_kind:     hidden_group_size_z
      - .offset:         82
        .size:           2
        .value_kind:     hidden_remainder_x
      - .offset:         84
        .size:           2
        .value_kind:     hidden_remainder_y
      - .offset:         86
        .size:           2
        .value_kind:     hidden_remainder_z
      - .offset:         104
        .size:           8
        .value_kind:     hidden_global_offset_x
      - .offset:         112
        .size:           8
        .value_kind:     hidden_global_offset_y
      - .offset:         120
        .size:           8
        .value_kind:     hidden_global_offset_z
      - .offset:         128
        .size:           2
        .value_kind:     hidden_grid_dims
    .group_segment_fixed_size: 8448
    .kernarg_segment_align: 8
    .kernarg_segment_size: 320
    .language:       OpenCL C
    .language_version:
      - 2
      - 0
    .max_flat_workgroup_size: 256
    .name:           _ZN7rocprim17ROCPRIM_400000_NS6detail17trampoline_kernelINS0_14default_configENS1_38merge_sort_block_merge_config_selectorIlNS0_10empty_typeEEEZZNS1_27merge_sort_block_merge_implIS3_PlPS5_jNS1_19radix_merge_compareILb1ELb0ElNS0_19identity_decomposerEEEEE10hipError_tT0_T1_T2_jT3_P12ihipStream_tbPNSt15iterator_traitsISE_E10value_typeEPNSK_ISF_E10value_typeEPSG_NS1_7vsmem_tEENKUlT_SE_SF_SG_E_clIS8_S8_S9_S9_EESD_ST_SE_SF_SG_EUlST_E0_NS1_11comp_targetILNS1_3genE4ELNS1_11target_archE910ELNS1_3gpuE8ELNS1_3repE0EEENS1_38merge_mergepath_config_static_selectorELNS0_4arch9wavefront6targetE1EEEvSF_
    .private_segment_fixed_size: 0
    .sgpr_count:     27
    .sgpr_spill_count: 0
    .symbol:         _ZN7rocprim17ROCPRIM_400000_NS6detail17trampoline_kernelINS0_14default_configENS1_38merge_sort_block_merge_config_selectorIlNS0_10empty_typeEEEZZNS1_27merge_sort_block_merge_implIS3_PlPS5_jNS1_19radix_merge_compareILb1ELb0ElNS0_19identity_decomposerEEEEE10hipError_tT0_T1_T2_jT3_P12ihipStream_tbPNSt15iterator_traitsISE_E10value_typeEPNSK_ISF_E10value_typeEPSG_NS1_7vsmem_tEENKUlT_SE_SF_SG_E_clIS8_S8_S9_S9_EESD_ST_SE_SF_SG_EUlST_E0_NS1_11comp_targetILNS1_3genE4ELNS1_11target_archE910ELNS1_3gpuE8ELNS1_3repE0EEENS1_38merge_mergepath_config_static_selectorELNS0_4arch9wavefront6targetE1EEEvSF_.kd
    .uniform_work_group_size: 1
    .uses_dynamic_stack: false
    .vgpr_count:     21
    .vgpr_spill_count: 0
    .wavefront_size: 64
  - .agpr_count:     0
    .args:
      - .offset:         0
        .size:           64
        .value_kind:     by_value
    .group_segment_fixed_size: 0
    .kernarg_segment_align: 8
    .kernarg_segment_size: 64
    .language:       OpenCL C
    .language_version:
      - 2
      - 0
    .max_flat_workgroup_size: 128
    .name:           _ZN7rocprim17ROCPRIM_400000_NS6detail17trampoline_kernelINS0_14default_configENS1_38merge_sort_block_merge_config_selectorIlNS0_10empty_typeEEEZZNS1_27merge_sort_block_merge_implIS3_PlPS5_jNS1_19radix_merge_compareILb1ELb0ElNS0_19identity_decomposerEEEEE10hipError_tT0_T1_T2_jT3_P12ihipStream_tbPNSt15iterator_traitsISE_E10value_typeEPNSK_ISF_E10value_typeEPSG_NS1_7vsmem_tEENKUlT_SE_SF_SG_E_clIS8_S8_S9_S9_EESD_ST_SE_SF_SG_EUlST_E0_NS1_11comp_targetILNS1_3genE3ELNS1_11target_archE908ELNS1_3gpuE7ELNS1_3repE0EEENS1_38merge_mergepath_config_static_selectorELNS0_4arch9wavefront6targetE1EEEvSF_
    .private_segment_fixed_size: 0
    .sgpr_count:     4
    .sgpr_spill_count: 0
    .symbol:         _ZN7rocprim17ROCPRIM_400000_NS6detail17trampoline_kernelINS0_14default_configENS1_38merge_sort_block_merge_config_selectorIlNS0_10empty_typeEEEZZNS1_27merge_sort_block_merge_implIS3_PlPS5_jNS1_19radix_merge_compareILb1ELb0ElNS0_19identity_decomposerEEEEE10hipError_tT0_T1_T2_jT3_P12ihipStream_tbPNSt15iterator_traitsISE_E10value_typeEPNSK_ISF_E10value_typeEPSG_NS1_7vsmem_tEENKUlT_SE_SF_SG_E_clIS8_S8_S9_S9_EESD_ST_SE_SF_SG_EUlST_E0_NS1_11comp_targetILNS1_3genE3ELNS1_11target_archE908ELNS1_3gpuE7ELNS1_3repE0EEENS1_38merge_mergepath_config_static_selectorELNS0_4arch9wavefront6targetE1EEEvSF_.kd
    .uniform_work_group_size: 1
    .uses_dynamic_stack: false
    .vgpr_count:     0
    .vgpr_spill_count: 0
    .wavefront_size: 64
  - .agpr_count:     0
    .args:
      - .offset:         0
        .size:           64
        .value_kind:     by_value
    .group_segment_fixed_size: 0
    .kernarg_segment_align: 8
    .kernarg_segment_size: 64
    .language:       OpenCL C
    .language_version:
      - 2
      - 0
    .max_flat_workgroup_size: 256
    .name:           _ZN7rocprim17ROCPRIM_400000_NS6detail17trampoline_kernelINS0_14default_configENS1_38merge_sort_block_merge_config_selectorIlNS0_10empty_typeEEEZZNS1_27merge_sort_block_merge_implIS3_PlPS5_jNS1_19radix_merge_compareILb1ELb0ElNS0_19identity_decomposerEEEEE10hipError_tT0_T1_T2_jT3_P12ihipStream_tbPNSt15iterator_traitsISE_E10value_typeEPNSK_ISF_E10value_typeEPSG_NS1_7vsmem_tEENKUlT_SE_SF_SG_E_clIS8_S8_S9_S9_EESD_ST_SE_SF_SG_EUlST_E0_NS1_11comp_targetILNS1_3genE2ELNS1_11target_archE906ELNS1_3gpuE6ELNS1_3repE0EEENS1_38merge_mergepath_config_static_selectorELNS0_4arch9wavefront6targetE1EEEvSF_
    .private_segment_fixed_size: 0
    .sgpr_count:     4
    .sgpr_spill_count: 0
    .symbol:         _ZN7rocprim17ROCPRIM_400000_NS6detail17trampoline_kernelINS0_14default_configENS1_38merge_sort_block_merge_config_selectorIlNS0_10empty_typeEEEZZNS1_27merge_sort_block_merge_implIS3_PlPS5_jNS1_19radix_merge_compareILb1ELb0ElNS0_19identity_decomposerEEEEE10hipError_tT0_T1_T2_jT3_P12ihipStream_tbPNSt15iterator_traitsISE_E10value_typeEPNSK_ISF_E10value_typeEPSG_NS1_7vsmem_tEENKUlT_SE_SF_SG_E_clIS8_S8_S9_S9_EESD_ST_SE_SF_SG_EUlST_E0_NS1_11comp_targetILNS1_3genE2ELNS1_11target_archE906ELNS1_3gpuE6ELNS1_3repE0EEENS1_38merge_mergepath_config_static_selectorELNS0_4arch9wavefront6targetE1EEEvSF_.kd
    .uniform_work_group_size: 1
    .uses_dynamic_stack: false
    .vgpr_count:     0
    .vgpr_spill_count: 0
    .wavefront_size: 64
  - .agpr_count:     0
    .args:
      - .offset:         0
        .size:           64
        .value_kind:     by_value
    .group_segment_fixed_size: 0
    .kernarg_segment_align: 8
    .kernarg_segment_size: 64
    .language:       OpenCL C
    .language_version:
      - 2
      - 0
    .max_flat_workgroup_size: 512
    .name:           _ZN7rocprim17ROCPRIM_400000_NS6detail17trampoline_kernelINS0_14default_configENS1_38merge_sort_block_merge_config_selectorIlNS0_10empty_typeEEEZZNS1_27merge_sort_block_merge_implIS3_PlPS5_jNS1_19radix_merge_compareILb1ELb0ElNS0_19identity_decomposerEEEEE10hipError_tT0_T1_T2_jT3_P12ihipStream_tbPNSt15iterator_traitsISE_E10value_typeEPNSK_ISF_E10value_typeEPSG_NS1_7vsmem_tEENKUlT_SE_SF_SG_E_clIS8_S8_S9_S9_EESD_ST_SE_SF_SG_EUlST_E0_NS1_11comp_targetILNS1_3genE9ELNS1_11target_archE1100ELNS1_3gpuE3ELNS1_3repE0EEENS1_38merge_mergepath_config_static_selectorELNS0_4arch9wavefront6targetE1EEEvSF_
    .private_segment_fixed_size: 0
    .sgpr_count:     4
    .sgpr_spill_count: 0
    .symbol:         _ZN7rocprim17ROCPRIM_400000_NS6detail17trampoline_kernelINS0_14default_configENS1_38merge_sort_block_merge_config_selectorIlNS0_10empty_typeEEEZZNS1_27merge_sort_block_merge_implIS3_PlPS5_jNS1_19radix_merge_compareILb1ELb0ElNS0_19identity_decomposerEEEEE10hipError_tT0_T1_T2_jT3_P12ihipStream_tbPNSt15iterator_traitsISE_E10value_typeEPNSK_ISF_E10value_typeEPSG_NS1_7vsmem_tEENKUlT_SE_SF_SG_E_clIS8_S8_S9_S9_EESD_ST_SE_SF_SG_EUlST_E0_NS1_11comp_targetILNS1_3genE9ELNS1_11target_archE1100ELNS1_3gpuE3ELNS1_3repE0EEENS1_38merge_mergepath_config_static_selectorELNS0_4arch9wavefront6targetE1EEEvSF_.kd
    .uniform_work_group_size: 1
    .uses_dynamic_stack: false
    .vgpr_count:     0
    .vgpr_spill_count: 0
    .wavefront_size: 64
  - .agpr_count:     0
    .args:
      - .offset:         0
        .size:           64
        .value_kind:     by_value
    .group_segment_fixed_size: 0
    .kernarg_segment_align: 8
    .kernarg_segment_size: 64
    .language:       OpenCL C
    .language_version:
      - 2
      - 0
    .max_flat_workgroup_size: 1024
    .name:           _ZN7rocprim17ROCPRIM_400000_NS6detail17trampoline_kernelINS0_14default_configENS1_38merge_sort_block_merge_config_selectorIlNS0_10empty_typeEEEZZNS1_27merge_sort_block_merge_implIS3_PlPS5_jNS1_19radix_merge_compareILb1ELb0ElNS0_19identity_decomposerEEEEE10hipError_tT0_T1_T2_jT3_P12ihipStream_tbPNSt15iterator_traitsISE_E10value_typeEPNSK_ISF_E10value_typeEPSG_NS1_7vsmem_tEENKUlT_SE_SF_SG_E_clIS8_S8_S9_S9_EESD_ST_SE_SF_SG_EUlST_E0_NS1_11comp_targetILNS1_3genE8ELNS1_11target_archE1030ELNS1_3gpuE2ELNS1_3repE0EEENS1_38merge_mergepath_config_static_selectorELNS0_4arch9wavefront6targetE1EEEvSF_
    .private_segment_fixed_size: 0
    .sgpr_count:     4
    .sgpr_spill_count: 0
    .symbol:         _ZN7rocprim17ROCPRIM_400000_NS6detail17trampoline_kernelINS0_14default_configENS1_38merge_sort_block_merge_config_selectorIlNS0_10empty_typeEEEZZNS1_27merge_sort_block_merge_implIS3_PlPS5_jNS1_19radix_merge_compareILb1ELb0ElNS0_19identity_decomposerEEEEE10hipError_tT0_T1_T2_jT3_P12ihipStream_tbPNSt15iterator_traitsISE_E10value_typeEPNSK_ISF_E10value_typeEPSG_NS1_7vsmem_tEENKUlT_SE_SF_SG_E_clIS8_S8_S9_S9_EESD_ST_SE_SF_SG_EUlST_E0_NS1_11comp_targetILNS1_3genE8ELNS1_11target_archE1030ELNS1_3gpuE2ELNS1_3repE0EEENS1_38merge_mergepath_config_static_selectorELNS0_4arch9wavefront6targetE1EEEvSF_.kd
    .uniform_work_group_size: 1
    .uses_dynamic_stack: false
    .vgpr_count:     0
    .vgpr_spill_count: 0
    .wavefront_size: 64
  - .agpr_count:     0
    .args:
      - .offset:         0
        .size:           48
        .value_kind:     by_value
    .group_segment_fixed_size: 0
    .kernarg_segment_align: 8
    .kernarg_segment_size: 48
    .language:       OpenCL C
    .language_version:
      - 2
      - 0
    .max_flat_workgroup_size: 256
    .name:           _ZN7rocprim17ROCPRIM_400000_NS6detail17trampoline_kernelINS0_14default_configENS1_38merge_sort_block_merge_config_selectorIlNS0_10empty_typeEEEZZNS1_27merge_sort_block_merge_implIS3_PlPS5_jNS1_19radix_merge_compareILb1ELb0ElNS0_19identity_decomposerEEEEE10hipError_tT0_T1_T2_jT3_P12ihipStream_tbPNSt15iterator_traitsISE_E10value_typeEPNSK_ISF_E10value_typeEPSG_NS1_7vsmem_tEENKUlT_SE_SF_SG_E_clIS8_S8_S9_S9_EESD_ST_SE_SF_SG_EUlST_E1_NS1_11comp_targetILNS1_3genE0ELNS1_11target_archE4294967295ELNS1_3gpuE0ELNS1_3repE0EEENS1_36merge_oddeven_config_static_selectorELNS0_4arch9wavefront6targetE1EEEvSF_
    .private_segment_fixed_size: 0
    .sgpr_count:     4
    .sgpr_spill_count: 0
    .symbol:         _ZN7rocprim17ROCPRIM_400000_NS6detail17trampoline_kernelINS0_14default_configENS1_38merge_sort_block_merge_config_selectorIlNS0_10empty_typeEEEZZNS1_27merge_sort_block_merge_implIS3_PlPS5_jNS1_19radix_merge_compareILb1ELb0ElNS0_19identity_decomposerEEEEE10hipError_tT0_T1_T2_jT3_P12ihipStream_tbPNSt15iterator_traitsISE_E10value_typeEPNSK_ISF_E10value_typeEPSG_NS1_7vsmem_tEENKUlT_SE_SF_SG_E_clIS8_S8_S9_S9_EESD_ST_SE_SF_SG_EUlST_E1_NS1_11comp_targetILNS1_3genE0ELNS1_11target_archE4294967295ELNS1_3gpuE0ELNS1_3repE0EEENS1_36merge_oddeven_config_static_selectorELNS0_4arch9wavefront6targetE1EEEvSF_.kd
    .uniform_work_group_size: 1
    .uses_dynamic_stack: false
    .vgpr_count:     0
    .vgpr_spill_count: 0
    .wavefront_size: 64
  - .agpr_count:     0
    .args:
      - .offset:         0
        .size:           48
        .value_kind:     by_value
    .group_segment_fixed_size: 0
    .kernarg_segment_align: 8
    .kernarg_segment_size: 48
    .language:       OpenCL C
    .language_version:
      - 2
      - 0
    .max_flat_workgroup_size: 256
    .name:           _ZN7rocprim17ROCPRIM_400000_NS6detail17trampoline_kernelINS0_14default_configENS1_38merge_sort_block_merge_config_selectorIlNS0_10empty_typeEEEZZNS1_27merge_sort_block_merge_implIS3_PlPS5_jNS1_19radix_merge_compareILb1ELb0ElNS0_19identity_decomposerEEEEE10hipError_tT0_T1_T2_jT3_P12ihipStream_tbPNSt15iterator_traitsISE_E10value_typeEPNSK_ISF_E10value_typeEPSG_NS1_7vsmem_tEENKUlT_SE_SF_SG_E_clIS8_S8_S9_S9_EESD_ST_SE_SF_SG_EUlST_E1_NS1_11comp_targetILNS1_3genE10ELNS1_11target_archE1201ELNS1_3gpuE5ELNS1_3repE0EEENS1_36merge_oddeven_config_static_selectorELNS0_4arch9wavefront6targetE1EEEvSF_
    .private_segment_fixed_size: 0
    .sgpr_count:     4
    .sgpr_spill_count: 0
    .symbol:         _ZN7rocprim17ROCPRIM_400000_NS6detail17trampoline_kernelINS0_14default_configENS1_38merge_sort_block_merge_config_selectorIlNS0_10empty_typeEEEZZNS1_27merge_sort_block_merge_implIS3_PlPS5_jNS1_19radix_merge_compareILb1ELb0ElNS0_19identity_decomposerEEEEE10hipError_tT0_T1_T2_jT3_P12ihipStream_tbPNSt15iterator_traitsISE_E10value_typeEPNSK_ISF_E10value_typeEPSG_NS1_7vsmem_tEENKUlT_SE_SF_SG_E_clIS8_S8_S9_S9_EESD_ST_SE_SF_SG_EUlST_E1_NS1_11comp_targetILNS1_3genE10ELNS1_11target_archE1201ELNS1_3gpuE5ELNS1_3repE0EEENS1_36merge_oddeven_config_static_selectorELNS0_4arch9wavefront6targetE1EEEvSF_.kd
    .uniform_work_group_size: 1
    .uses_dynamic_stack: false
    .vgpr_count:     0
    .vgpr_spill_count: 0
    .wavefront_size: 64
  - .agpr_count:     0
    .args:
      - .offset:         0
        .size:           48
        .value_kind:     by_value
    .group_segment_fixed_size: 0
    .kernarg_segment_align: 8
    .kernarg_segment_size: 48
    .language:       OpenCL C
    .language_version:
      - 2
      - 0
    .max_flat_workgroup_size: 256
    .name:           _ZN7rocprim17ROCPRIM_400000_NS6detail17trampoline_kernelINS0_14default_configENS1_38merge_sort_block_merge_config_selectorIlNS0_10empty_typeEEEZZNS1_27merge_sort_block_merge_implIS3_PlPS5_jNS1_19radix_merge_compareILb1ELb0ElNS0_19identity_decomposerEEEEE10hipError_tT0_T1_T2_jT3_P12ihipStream_tbPNSt15iterator_traitsISE_E10value_typeEPNSK_ISF_E10value_typeEPSG_NS1_7vsmem_tEENKUlT_SE_SF_SG_E_clIS8_S8_S9_S9_EESD_ST_SE_SF_SG_EUlST_E1_NS1_11comp_targetILNS1_3genE5ELNS1_11target_archE942ELNS1_3gpuE9ELNS1_3repE0EEENS1_36merge_oddeven_config_static_selectorELNS0_4arch9wavefront6targetE1EEEvSF_
    .private_segment_fixed_size: 0
    .sgpr_count:     4
    .sgpr_spill_count: 0
    .symbol:         _ZN7rocprim17ROCPRIM_400000_NS6detail17trampoline_kernelINS0_14default_configENS1_38merge_sort_block_merge_config_selectorIlNS0_10empty_typeEEEZZNS1_27merge_sort_block_merge_implIS3_PlPS5_jNS1_19radix_merge_compareILb1ELb0ElNS0_19identity_decomposerEEEEE10hipError_tT0_T1_T2_jT3_P12ihipStream_tbPNSt15iterator_traitsISE_E10value_typeEPNSK_ISF_E10value_typeEPSG_NS1_7vsmem_tEENKUlT_SE_SF_SG_E_clIS8_S8_S9_S9_EESD_ST_SE_SF_SG_EUlST_E1_NS1_11comp_targetILNS1_3genE5ELNS1_11target_archE942ELNS1_3gpuE9ELNS1_3repE0EEENS1_36merge_oddeven_config_static_selectorELNS0_4arch9wavefront6targetE1EEEvSF_.kd
    .uniform_work_group_size: 1
    .uses_dynamic_stack: false
    .vgpr_count:     0
    .vgpr_spill_count: 0
    .wavefront_size: 64
  - .agpr_count:     0
    .args:
      - .offset:         0
        .size:           48
        .value_kind:     by_value
    .group_segment_fixed_size: 0
    .kernarg_segment_align: 8
    .kernarg_segment_size: 48
    .language:       OpenCL C
    .language_version:
      - 2
      - 0
    .max_flat_workgroup_size: 256
    .name:           _ZN7rocprim17ROCPRIM_400000_NS6detail17trampoline_kernelINS0_14default_configENS1_38merge_sort_block_merge_config_selectorIlNS0_10empty_typeEEEZZNS1_27merge_sort_block_merge_implIS3_PlPS5_jNS1_19radix_merge_compareILb1ELb0ElNS0_19identity_decomposerEEEEE10hipError_tT0_T1_T2_jT3_P12ihipStream_tbPNSt15iterator_traitsISE_E10value_typeEPNSK_ISF_E10value_typeEPSG_NS1_7vsmem_tEENKUlT_SE_SF_SG_E_clIS8_S8_S9_S9_EESD_ST_SE_SF_SG_EUlST_E1_NS1_11comp_targetILNS1_3genE4ELNS1_11target_archE910ELNS1_3gpuE8ELNS1_3repE0EEENS1_36merge_oddeven_config_static_selectorELNS0_4arch9wavefront6targetE1EEEvSF_
    .private_segment_fixed_size: 0
    .sgpr_count:     25
    .sgpr_spill_count: 0
    .symbol:         _ZN7rocprim17ROCPRIM_400000_NS6detail17trampoline_kernelINS0_14default_configENS1_38merge_sort_block_merge_config_selectorIlNS0_10empty_typeEEEZZNS1_27merge_sort_block_merge_implIS3_PlPS5_jNS1_19radix_merge_compareILb1ELb0ElNS0_19identity_decomposerEEEEE10hipError_tT0_T1_T2_jT3_P12ihipStream_tbPNSt15iterator_traitsISE_E10value_typeEPNSK_ISF_E10value_typeEPSG_NS1_7vsmem_tEENKUlT_SE_SF_SG_E_clIS8_S8_S9_S9_EESD_ST_SE_SF_SG_EUlST_E1_NS1_11comp_targetILNS1_3genE4ELNS1_11target_archE910ELNS1_3gpuE8ELNS1_3repE0EEENS1_36merge_oddeven_config_static_selectorELNS0_4arch9wavefront6targetE1EEEvSF_.kd
    .uniform_work_group_size: 1
    .uses_dynamic_stack: false
    .vgpr_count:     12
    .vgpr_spill_count: 0
    .wavefront_size: 64
  - .agpr_count:     0
    .args:
      - .offset:         0
        .size:           48
        .value_kind:     by_value
    .group_segment_fixed_size: 0
    .kernarg_segment_align: 8
    .kernarg_segment_size: 48
    .language:       OpenCL C
    .language_version:
      - 2
      - 0
    .max_flat_workgroup_size: 256
    .name:           _ZN7rocprim17ROCPRIM_400000_NS6detail17trampoline_kernelINS0_14default_configENS1_38merge_sort_block_merge_config_selectorIlNS0_10empty_typeEEEZZNS1_27merge_sort_block_merge_implIS3_PlPS5_jNS1_19radix_merge_compareILb1ELb0ElNS0_19identity_decomposerEEEEE10hipError_tT0_T1_T2_jT3_P12ihipStream_tbPNSt15iterator_traitsISE_E10value_typeEPNSK_ISF_E10value_typeEPSG_NS1_7vsmem_tEENKUlT_SE_SF_SG_E_clIS8_S8_S9_S9_EESD_ST_SE_SF_SG_EUlST_E1_NS1_11comp_targetILNS1_3genE3ELNS1_11target_archE908ELNS1_3gpuE7ELNS1_3repE0EEENS1_36merge_oddeven_config_static_selectorELNS0_4arch9wavefront6targetE1EEEvSF_
    .private_segment_fixed_size: 0
    .sgpr_count:     4
    .sgpr_spill_count: 0
    .symbol:         _ZN7rocprim17ROCPRIM_400000_NS6detail17trampoline_kernelINS0_14default_configENS1_38merge_sort_block_merge_config_selectorIlNS0_10empty_typeEEEZZNS1_27merge_sort_block_merge_implIS3_PlPS5_jNS1_19radix_merge_compareILb1ELb0ElNS0_19identity_decomposerEEEEE10hipError_tT0_T1_T2_jT3_P12ihipStream_tbPNSt15iterator_traitsISE_E10value_typeEPNSK_ISF_E10value_typeEPSG_NS1_7vsmem_tEENKUlT_SE_SF_SG_E_clIS8_S8_S9_S9_EESD_ST_SE_SF_SG_EUlST_E1_NS1_11comp_targetILNS1_3genE3ELNS1_11target_archE908ELNS1_3gpuE7ELNS1_3repE0EEENS1_36merge_oddeven_config_static_selectorELNS0_4arch9wavefront6targetE1EEEvSF_.kd
    .uniform_work_group_size: 1
    .uses_dynamic_stack: false
    .vgpr_count:     0
    .vgpr_spill_count: 0
    .wavefront_size: 64
  - .agpr_count:     0
    .args:
      - .offset:         0
        .size:           48
        .value_kind:     by_value
    .group_segment_fixed_size: 0
    .kernarg_segment_align: 8
    .kernarg_segment_size: 48
    .language:       OpenCL C
    .language_version:
      - 2
      - 0
    .max_flat_workgroup_size: 256
    .name:           _ZN7rocprim17ROCPRIM_400000_NS6detail17trampoline_kernelINS0_14default_configENS1_38merge_sort_block_merge_config_selectorIlNS0_10empty_typeEEEZZNS1_27merge_sort_block_merge_implIS3_PlPS5_jNS1_19radix_merge_compareILb1ELb0ElNS0_19identity_decomposerEEEEE10hipError_tT0_T1_T2_jT3_P12ihipStream_tbPNSt15iterator_traitsISE_E10value_typeEPNSK_ISF_E10value_typeEPSG_NS1_7vsmem_tEENKUlT_SE_SF_SG_E_clIS8_S8_S9_S9_EESD_ST_SE_SF_SG_EUlST_E1_NS1_11comp_targetILNS1_3genE2ELNS1_11target_archE906ELNS1_3gpuE6ELNS1_3repE0EEENS1_36merge_oddeven_config_static_selectorELNS0_4arch9wavefront6targetE1EEEvSF_
    .private_segment_fixed_size: 0
    .sgpr_count:     4
    .sgpr_spill_count: 0
    .symbol:         _ZN7rocprim17ROCPRIM_400000_NS6detail17trampoline_kernelINS0_14default_configENS1_38merge_sort_block_merge_config_selectorIlNS0_10empty_typeEEEZZNS1_27merge_sort_block_merge_implIS3_PlPS5_jNS1_19radix_merge_compareILb1ELb0ElNS0_19identity_decomposerEEEEE10hipError_tT0_T1_T2_jT3_P12ihipStream_tbPNSt15iterator_traitsISE_E10value_typeEPNSK_ISF_E10value_typeEPSG_NS1_7vsmem_tEENKUlT_SE_SF_SG_E_clIS8_S8_S9_S9_EESD_ST_SE_SF_SG_EUlST_E1_NS1_11comp_targetILNS1_3genE2ELNS1_11target_archE906ELNS1_3gpuE6ELNS1_3repE0EEENS1_36merge_oddeven_config_static_selectorELNS0_4arch9wavefront6targetE1EEEvSF_.kd
    .uniform_work_group_size: 1
    .uses_dynamic_stack: false
    .vgpr_count:     0
    .vgpr_spill_count: 0
    .wavefront_size: 64
  - .agpr_count:     0
    .args:
      - .offset:         0
        .size:           48
        .value_kind:     by_value
    .group_segment_fixed_size: 0
    .kernarg_segment_align: 8
    .kernarg_segment_size: 48
    .language:       OpenCL C
    .language_version:
      - 2
      - 0
    .max_flat_workgroup_size: 256
    .name:           _ZN7rocprim17ROCPRIM_400000_NS6detail17trampoline_kernelINS0_14default_configENS1_38merge_sort_block_merge_config_selectorIlNS0_10empty_typeEEEZZNS1_27merge_sort_block_merge_implIS3_PlPS5_jNS1_19radix_merge_compareILb1ELb0ElNS0_19identity_decomposerEEEEE10hipError_tT0_T1_T2_jT3_P12ihipStream_tbPNSt15iterator_traitsISE_E10value_typeEPNSK_ISF_E10value_typeEPSG_NS1_7vsmem_tEENKUlT_SE_SF_SG_E_clIS8_S8_S9_S9_EESD_ST_SE_SF_SG_EUlST_E1_NS1_11comp_targetILNS1_3genE9ELNS1_11target_archE1100ELNS1_3gpuE3ELNS1_3repE0EEENS1_36merge_oddeven_config_static_selectorELNS0_4arch9wavefront6targetE1EEEvSF_
    .private_segment_fixed_size: 0
    .sgpr_count:     4
    .sgpr_spill_count: 0
    .symbol:         _ZN7rocprim17ROCPRIM_400000_NS6detail17trampoline_kernelINS0_14default_configENS1_38merge_sort_block_merge_config_selectorIlNS0_10empty_typeEEEZZNS1_27merge_sort_block_merge_implIS3_PlPS5_jNS1_19radix_merge_compareILb1ELb0ElNS0_19identity_decomposerEEEEE10hipError_tT0_T1_T2_jT3_P12ihipStream_tbPNSt15iterator_traitsISE_E10value_typeEPNSK_ISF_E10value_typeEPSG_NS1_7vsmem_tEENKUlT_SE_SF_SG_E_clIS8_S8_S9_S9_EESD_ST_SE_SF_SG_EUlST_E1_NS1_11comp_targetILNS1_3genE9ELNS1_11target_archE1100ELNS1_3gpuE3ELNS1_3repE0EEENS1_36merge_oddeven_config_static_selectorELNS0_4arch9wavefront6targetE1EEEvSF_.kd
    .uniform_work_group_size: 1
    .uses_dynamic_stack: false
    .vgpr_count:     0
    .vgpr_spill_count: 0
    .wavefront_size: 64
  - .agpr_count:     0
    .args:
      - .offset:         0
        .size:           48
        .value_kind:     by_value
    .group_segment_fixed_size: 0
    .kernarg_segment_align: 8
    .kernarg_segment_size: 48
    .language:       OpenCL C
    .language_version:
      - 2
      - 0
    .max_flat_workgroup_size: 256
    .name:           _ZN7rocprim17ROCPRIM_400000_NS6detail17trampoline_kernelINS0_14default_configENS1_38merge_sort_block_merge_config_selectorIlNS0_10empty_typeEEEZZNS1_27merge_sort_block_merge_implIS3_PlPS5_jNS1_19radix_merge_compareILb1ELb0ElNS0_19identity_decomposerEEEEE10hipError_tT0_T1_T2_jT3_P12ihipStream_tbPNSt15iterator_traitsISE_E10value_typeEPNSK_ISF_E10value_typeEPSG_NS1_7vsmem_tEENKUlT_SE_SF_SG_E_clIS8_S8_S9_S9_EESD_ST_SE_SF_SG_EUlST_E1_NS1_11comp_targetILNS1_3genE8ELNS1_11target_archE1030ELNS1_3gpuE2ELNS1_3repE0EEENS1_36merge_oddeven_config_static_selectorELNS0_4arch9wavefront6targetE1EEEvSF_
    .private_segment_fixed_size: 0
    .sgpr_count:     4
    .sgpr_spill_count: 0
    .symbol:         _ZN7rocprim17ROCPRIM_400000_NS6detail17trampoline_kernelINS0_14default_configENS1_38merge_sort_block_merge_config_selectorIlNS0_10empty_typeEEEZZNS1_27merge_sort_block_merge_implIS3_PlPS5_jNS1_19radix_merge_compareILb1ELb0ElNS0_19identity_decomposerEEEEE10hipError_tT0_T1_T2_jT3_P12ihipStream_tbPNSt15iterator_traitsISE_E10value_typeEPNSK_ISF_E10value_typeEPSG_NS1_7vsmem_tEENKUlT_SE_SF_SG_E_clIS8_S8_S9_S9_EESD_ST_SE_SF_SG_EUlST_E1_NS1_11comp_targetILNS1_3genE8ELNS1_11target_archE1030ELNS1_3gpuE2ELNS1_3repE0EEENS1_36merge_oddeven_config_static_selectorELNS0_4arch9wavefront6targetE1EEEvSF_.kd
    .uniform_work_group_size: 1
    .uses_dynamic_stack: false
    .vgpr_count:     0
    .vgpr_spill_count: 0
    .wavefront_size: 64
  - .agpr_count:     0
    .args:
      - .offset:         0
        .size:           40
        .value_kind:     by_value
    .group_segment_fixed_size: 0
    .kernarg_segment_align: 8
    .kernarg_segment_size: 40
    .language:       OpenCL C
    .language_version:
      - 2
      - 0
    .max_flat_workgroup_size: 128
    .name:           _ZN7rocprim17ROCPRIM_400000_NS6detail17trampoline_kernelINS0_14default_configENS1_38merge_sort_block_merge_config_selectorIlNS0_10empty_typeEEEZZNS1_27merge_sort_block_merge_implIS3_PlPS5_jNS1_19radix_merge_compareILb1ELb1ElNS0_19identity_decomposerEEEEE10hipError_tT0_T1_T2_jT3_P12ihipStream_tbPNSt15iterator_traitsISE_E10value_typeEPNSK_ISF_E10value_typeEPSG_NS1_7vsmem_tEENKUlT_SE_SF_SG_E_clIS8_S8_S9_S9_EESD_ST_SE_SF_SG_EUlST_E_NS1_11comp_targetILNS1_3genE0ELNS1_11target_archE4294967295ELNS1_3gpuE0ELNS1_3repE0EEENS1_48merge_mergepath_partition_config_static_selectorELNS0_4arch9wavefront6targetE1EEEvSF_
    .private_segment_fixed_size: 0
    .sgpr_count:     4
    .sgpr_spill_count: 0
    .symbol:         _ZN7rocprim17ROCPRIM_400000_NS6detail17trampoline_kernelINS0_14default_configENS1_38merge_sort_block_merge_config_selectorIlNS0_10empty_typeEEEZZNS1_27merge_sort_block_merge_implIS3_PlPS5_jNS1_19radix_merge_compareILb1ELb1ElNS0_19identity_decomposerEEEEE10hipError_tT0_T1_T2_jT3_P12ihipStream_tbPNSt15iterator_traitsISE_E10value_typeEPNSK_ISF_E10value_typeEPSG_NS1_7vsmem_tEENKUlT_SE_SF_SG_E_clIS8_S8_S9_S9_EESD_ST_SE_SF_SG_EUlST_E_NS1_11comp_targetILNS1_3genE0ELNS1_11target_archE4294967295ELNS1_3gpuE0ELNS1_3repE0EEENS1_48merge_mergepath_partition_config_static_selectorELNS0_4arch9wavefront6targetE1EEEvSF_.kd
    .uniform_work_group_size: 1
    .uses_dynamic_stack: false
    .vgpr_count:     0
    .vgpr_spill_count: 0
    .wavefront_size: 64
  - .agpr_count:     0
    .args:
      - .offset:         0
        .size:           40
        .value_kind:     by_value
    .group_segment_fixed_size: 0
    .kernarg_segment_align: 8
    .kernarg_segment_size: 40
    .language:       OpenCL C
    .language_version:
      - 2
      - 0
    .max_flat_workgroup_size: 128
    .name:           _ZN7rocprim17ROCPRIM_400000_NS6detail17trampoline_kernelINS0_14default_configENS1_38merge_sort_block_merge_config_selectorIlNS0_10empty_typeEEEZZNS1_27merge_sort_block_merge_implIS3_PlPS5_jNS1_19radix_merge_compareILb1ELb1ElNS0_19identity_decomposerEEEEE10hipError_tT0_T1_T2_jT3_P12ihipStream_tbPNSt15iterator_traitsISE_E10value_typeEPNSK_ISF_E10value_typeEPSG_NS1_7vsmem_tEENKUlT_SE_SF_SG_E_clIS8_S8_S9_S9_EESD_ST_SE_SF_SG_EUlST_E_NS1_11comp_targetILNS1_3genE10ELNS1_11target_archE1201ELNS1_3gpuE5ELNS1_3repE0EEENS1_48merge_mergepath_partition_config_static_selectorELNS0_4arch9wavefront6targetE1EEEvSF_
    .private_segment_fixed_size: 0
    .sgpr_count:     4
    .sgpr_spill_count: 0
    .symbol:         _ZN7rocprim17ROCPRIM_400000_NS6detail17trampoline_kernelINS0_14default_configENS1_38merge_sort_block_merge_config_selectorIlNS0_10empty_typeEEEZZNS1_27merge_sort_block_merge_implIS3_PlPS5_jNS1_19radix_merge_compareILb1ELb1ElNS0_19identity_decomposerEEEEE10hipError_tT0_T1_T2_jT3_P12ihipStream_tbPNSt15iterator_traitsISE_E10value_typeEPNSK_ISF_E10value_typeEPSG_NS1_7vsmem_tEENKUlT_SE_SF_SG_E_clIS8_S8_S9_S9_EESD_ST_SE_SF_SG_EUlST_E_NS1_11comp_targetILNS1_3genE10ELNS1_11target_archE1201ELNS1_3gpuE5ELNS1_3repE0EEENS1_48merge_mergepath_partition_config_static_selectorELNS0_4arch9wavefront6targetE1EEEvSF_.kd
    .uniform_work_group_size: 1
    .uses_dynamic_stack: false
    .vgpr_count:     0
    .vgpr_spill_count: 0
    .wavefront_size: 64
  - .agpr_count:     0
    .args:
      - .offset:         0
        .size:           40
        .value_kind:     by_value
    .group_segment_fixed_size: 0
    .kernarg_segment_align: 8
    .kernarg_segment_size: 40
    .language:       OpenCL C
    .language_version:
      - 2
      - 0
    .max_flat_workgroup_size: 128
    .name:           _ZN7rocprim17ROCPRIM_400000_NS6detail17trampoline_kernelINS0_14default_configENS1_38merge_sort_block_merge_config_selectorIlNS0_10empty_typeEEEZZNS1_27merge_sort_block_merge_implIS3_PlPS5_jNS1_19radix_merge_compareILb1ELb1ElNS0_19identity_decomposerEEEEE10hipError_tT0_T1_T2_jT3_P12ihipStream_tbPNSt15iterator_traitsISE_E10value_typeEPNSK_ISF_E10value_typeEPSG_NS1_7vsmem_tEENKUlT_SE_SF_SG_E_clIS8_S8_S9_S9_EESD_ST_SE_SF_SG_EUlST_E_NS1_11comp_targetILNS1_3genE5ELNS1_11target_archE942ELNS1_3gpuE9ELNS1_3repE0EEENS1_48merge_mergepath_partition_config_static_selectorELNS0_4arch9wavefront6targetE1EEEvSF_
    .private_segment_fixed_size: 0
    .sgpr_count:     4
    .sgpr_spill_count: 0
    .symbol:         _ZN7rocprim17ROCPRIM_400000_NS6detail17trampoline_kernelINS0_14default_configENS1_38merge_sort_block_merge_config_selectorIlNS0_10empty_typeEEEZZNS1_27merge_sort_block_merge_implIS3_PlPS5_jNS1_19radix_merge_compareILb1ELb1ElNS0_19identity_decomposerEEEEE10hipError_tT0_T1_T2_jT3_P12ihipStream_tbPNSt15iterator_traitsISE_E10value_typeEPNSK_ISF_E10value_typeEPSG_NS1_7vsmem_tEENKUlT_SE_SF_SG_E_clIS8_S8_S9_S9_EESD_ST_SE_SF_SG_EUlST_E_NS1_11comp_targetILNS1_3genE5ELNS1_11target_archE942ELNS1_3gpuE9ELNS1_3repE0EEENS1_48merge_mergepath_partition_config_static_selectorELNS0_4arch9wavefront6targetE1EEEvSF_.kd
    .uniform_work_group_size: 1
    .uses_dynamic_stack: false
    .vgpr_count:     0
    .vgpr_spill_count: 0
    .wavefront_size: 64
  - .agpr_count:     0
    .args:
      - .offset:         0
        .size:           40
        .value_kind:     by_value
    .group_segment_fixed_size: 0
    .kernarg_segment_align: 8
    .kernarg_segment_size: 40
    .language:       OpenCL C
    .language_version:
      - 2
      - 0
    .max_flat_workgroup_size: 128
    .name:           _ZN7rocprim17ROCPRIM_400000_NS6detail17trampoline_kernelINS0_14default_configENS1_38merge_sort_block_merge_config_selectorIlNS0_10empty_typeEEEZZNS1_27merge_sort_block_merge_implIS3_PlPS5_jNS1_19radix_merge_compareILb1ELb1ElNS0_19identity_decomposerEEEEE10hipError_tT0_T1_T2_jT3_P12ihipStream_tbPNSt15iterator_traitsISE_E10value_typeEPNSK_ISF_E10value_typeEPSG_NS1_7vsmem_tEENKUlT_SE_SF_SG_E_clIS8_S8_S9_S9_EESD_ST_SE_SF_SG_EUlST_E_NS1_11comp_targetILNS1_3genE4ELNS1_11target_archE910ELNS1_3gpuE8ELNS1_3repE0EEENS1_48merge_mergepath_partition_config_static_selectorELNS0_4arch9wavefront6targetE1EEEvSF_
    .private_segment_fixed_size: 0
    .sgpr_count:     14
    .sgpr_spill_count: 0
    .symbol:         _ZN7rocprim17ROCPRIM_400000_NS6detail17trampoline_kernelINS0_14default_configENS1_38merge_sort_block_merge_config_selectorIlNS0_10empty_typeEEEZZNS1_27merge_sort_block_merge_implIS3_PlPS5_jNS1_19radix_merge_compareILb1ELb1ElNS0_19identity_decomposerEEEEE10hipError_tT0_T1_T2_jT3_P12ihipStream_tbPNSt15iterator_traitsISE_E10value_typeEPNSK_ISF_E10value_typeEPSG_NS1_7vsmem_tEENKUlT_SE_SF_SG_E_clIS8_S8_S9_S9_EESD_ST_SE_SF_SG_EUlST_E_NS1_11comp_targetILNS1_3genE4ELNS1_11target_archE910ELNS1_3gpuE8ELNS1_3repE0EEENS1_48merge_mergepath_partition_config_static_selectorELNS0_4arch9wavefront6targetE1EEEvSF_.kd
    .uniform_work_group_size: 1
    .uses_dynamic_stack: false
    .vgpr_count:     16
    .vgpr_spill_count: 0
    .wavefront_size: 64
  - .agpr_count:     0
    .args:
      - .offset:         0
        .size:           40
        .value_kind:     by_value
    .group_segment_fixed_size: 0
    .kernarg_segment_align: 8
    .kernarg_segment_size: 40
    .language:       OpenCL C
    .language_version:
      - 2
      - 0
    .max_flat_workgroup_size: 128
    .name:           _ZN7rocprim17ROCPRIM_400000_NS6detail17trampoline_kernelINS0_14default_configENS1_38merge_sort_block_merge_config_selectorIlNS0_10empty_typeEEEZZNS1_27merge_sort_block_merge_implIS3_PlPS5_jNS1_19radix_merge_compareILb1ELb1ElNS0_19identity_decomposerEEEEE10hipError_tT0_T1_T2_jT3_P12ihipStream_tbPNSt15iterator_traitsISE_E10value_typeEPNSK_ISF_E10value_typeEPSG_NS1_7vsmem_tEENKUlT_SE_SF_SG_E_clIS8_S8_S9_S9_EESD_ST_SE_SF_SG_EUlST_E_NS1_11comp_targetILNS1_3genE3ELNS1_11target_archE908ELNS1_3gpuE7ELNS1_3repE0EEENS1_48merge_mergepath_partition_config_static_selectorELNS0_4arch9wavefront6targetE1EEEvSF_
    .private_segment_fixed_size: 0
    .sgpr_count:     4
    .sgpr_spill_count: 0
    .symbol:         _ZN7rocprim17ROCPRIM_400000_NS6detail17trampoline_kernelINS0_14default_configENS1_38merge_sort_block_merge_config_selectorIlNS0_10empty_typeEEEZZNS1_27merge_sort_block_merge_implIS3_PlPS5_jNS1_19radix_merge_compareILb1ELb1ElNS0_19identity_decomposerEEEEE10hipError_tT0_T1_T2_jT3_P12ihipStream_tbPNSt15iterator_traitsISE_E10value_typeEPNSK_ISF_E10value_typeEPSG_NS1_7vsmem_tEENKUlT_SE_SF_SG_E_clIS8_S8_S9_S9_EESD_ST_SE_SF_SG_EUlST_E_NS1_11comp_targetILNS1_3genE3ELNS1_11target_archE908ELNS1_3gpuE7ELNS1_3repE0EEENS1_48merge_mergepath_partition_config_static_selectorELNS0_4arch9wavefront6targetE1EEEvSF_.kd
    .uniform_work_group_size: 1
    .uses_dynamic_stack: false
    .vgpr_count:     0
    .vgpr_spill_count: 0
    .wavefront_size: 64
  - .agpr_count:     0
    .args:
      - .offset:         0
        .size:           40
        .value_kind:     by_value
    .group_segment_fixed_size: 0
    .kernarg_segment_align: 8
    .kernarg_segment_size: 40
    .language:       OpenCL C
    .language_version:
      - 2
      - 0
    .max_flat_workgroup_size: 128
    .name:           _ZN7rocprim17ROCPRIM_400000_NS6detail17trampoline_kernelINS0_14default_configENS1_38merge_sort_block_merge_config_selectorIlNS0_10empty_typeEEEZZNS1_27merge_sort_block_merge_implIS3_PlPS5_jNS1_19radix_merge_compareILb1ELb1ElNS0_19identity_decomposerEEEEE10hipError_tT0_T1_T2_jT3_P12ihipStream_tbPNSt15iterator_traitsISE_E10value_typeEPNSK_ISF_E10value_typeEPSG_NS1_7vsmem_tEENKUlT_SE_SF_SG_E_clIS8_S8_S9_S9_EESD_ST_SE_SF_SG_EUlST_E_NS1_11comp_targetILNS1_3genE2ELNS1_11target_archE906ELNS1_3gpuE6ELNS1_3repE0EEENS1_48merge_mergepath_partition_config_static_selectorELNS0_4arch9wavefront6targetE1EEEvSF_
    .private_segment_fixed_size: 0
    .sgpr_count:     4
    .sgpr_spill_count: 0
    .symbol:         _ZN7rocprim17ROCPRIM_400000_NS6detail17trampoline_kernelINS0_14default_configENS1_38merge_sort_block_merge_config_selectorIlNS0_10empty_typeEEEZZNS1_27merge_sort_block_merge_implIS3_PlPS5_jNS1_19radix_merge_compareILb1ELb1ElNS0_19identity_decomposerEEEEE10hipError_tT0_T1_T2_jT3_P12ihipStream_tbPNSt15iterator_traitsISE_E10value_typeEPNSK_ISF_E10value_typeEPSG_NS1_7vsmem_tEENKUlT_SE_SF_SG_E_clIS8_S8_S9_S9_EESD_ST_SE_SF_SG_EUlST_E_NS1_11comp_targetILNS1_3genE2ELNS1_11target_archE906ELNS1_3gpuE6ELNS1_3repE0EEENS1_48merge_mergepath_partition_config_static_selectorELNS0_4arch9wavefront6targetE1EEEvSF_.kd
    .uniform_work_group_size: 1
    .uses_dynamic_stack: false
    .vgpr_count:     0
    .vgpr_spill_count: 0
    .wavefront_size: 64
  - .agpr_count:     0
    .args:
      - .offset:         0
        .size:           40
        .value_kind:     by_value
    .group_segment_fixed_size: 0
    .kernarg_segment_align: 8
    .kernarg_segment_size: 40
    .language:       OpenCL C
    .language_version:
      - 2
      - 0
    .max_flat_workgroup_size: 128
    .name:           _ZN7rocprim17ROCPRIM_400000_NS6detail17trampoline_kernelINS0_14default_configENS1_38merge_sort_block_merge_config_selectorIlNS0_10empty_typeEEEZZNS1_27merge_sort_block_merge_implIS3_PlPS5_jNS1_19radix_merge_compareILb1ELb1ElNS0_19identity_decomposerEEEEE10hipError_tT0_T1_T2_jT3_P12ihipStream_tbPNSt15iterator_traitsISE_E10value_typeEPNSK_ISF_E10value_typeEPSG_NS1_7vsmem_tEENKUlT_SE_SF_SG_E_clIS8_S8_S9_S9_EESD_ST_SE_SF_SG_EUlST_E_NS1_11comp_targetILNS1_3genE9ELNS1_11target_archE1100ELNS1_3gpuE3ELNS1_3repE0EEENS1_48merge_mergepath_partition_config_static_selectorELNS0_4arch9wavefront6targetE1EEEvSF_
    .private_segment_fixed_size: 0
    .sgpr_count:     4
    .sgpr_spill_count: 0
    .symbol:         _ZN7rocprim17ROCPRIM_400000_NS6detail17trampoline_kernelINS0_14default_configENS1_38merge_sort_block_merge_config_selectorIlNS0_10empty_typeEEEZZNS1_27merge_sort_block_merge_implIS3_PlPS5_jNS1_19radix_merge_compareILb1ELb1ElNS0_19identity_decomposerEEEEE10hipError_tT0_T1_T2_jT3_P12ihipStream_tbPNSt15iterator_traitsISE_E10value_typeEPNSK_ISF_E10value_typeEPSG_NS1_7vsmem_tEENKUlT_SE_SF_SG_E_clIS8_S8_S9_S9_EESD_ST_SE_SF_SG_EUlST_E_NS1_11comp_targetILNS1_3genE9ELNS1_11target_archE1100ELNS1_3gpuE3ELNS1_3repE0EEENS1_48merge_mergepath_partition_config_static_selectorELNS0_4arch9wavefront6targetE1EEEvSF_.kd
    .uniform_work_group_size: 1
    .uses_dynamic_stack: false
    .vgpr_count:     0
    .vgpr_spill_count: 0
    .wavefront_size: 64
  - .agpr_count:     0
    .args:
      - .offset:         0
        .size:           40
        .value_kind:     by_value
    .group_segment_fixed_size: 0
    .kernarg_segment_align: 8
    .kernarg_segment_size: 40
    .language:       OpenCL C
    .language_version:
      - 2
      - 0
    .max_flat_workgroup_size: 128
    .name:           _ZN7rocprim17ROCPRIM_400000_NS6detail17trampoline_kernelINS0_14default_configENS1_38merge_sort_block_merge_config_selectorIlNS0_10empty_typeEEEZZNS1_27merge_sort_block_merge_implIS3_PlPS5_jNS1_19radix_merge_compareILb1ELb1ElNS0_19identity_decomposerEEEEE10hipError_tT0_T1_T2_jT3_P12ihipStream_tbPNSt15iterator_traitsISE_E10value_typeEPNSK_ISF_E10value_typeEPSG_NS1_7vsmem_tEENKUlT_SE_SF_SG_E_clIS8_S8_S9_S9_EESD_ST_SE_SF_SG_EUlST_E_NS1_11comp_targetILNS1_3genE8ELNS1_11target_archE1030ELNS1_3gpuE2ELNS1_3repE0EEENS1_48merge_mergepath_partition_config_static_selectorELNS0_4arch9wavefront6targetE1EEEvSF_
    .private_segment_fixed_size: 0
    .sgpr_count:     4
    .sgpr_spill_count: 0
    .symbol:         _ZN7rocprim17ROCPRIM_400000_NS6detail17trampoline_kernelINS0_14default_configENS1_38merge_sort_block_merge_config_selectorIlNS0_10empty_typeEEEZZNS1_27merge_sort_block_merge_implIS3_PlPS5_jNS1_19radix_merge_compareILb1ELb1ElNS0_19identity_decomposerEEEEE10hipError_tT0_T1_T2_jT3_P12ihipStream_tbPNSt15iterator_traitsISE_E10value_typeEPNSK_ISF_E10value_typeEPSG_NS1_7vsmem_tEENKUlT_SE_SF_SG_E_clIS8_S8_S9_S9_EESD_ST_SE_SF_SG_EUlST_E_NS1_11comp_targetILNS1_3genE8ELNS1_11target_archE1030ELNS1_3gpuE2ELNS1_3repE0EEENS1_48merge_mergepath_partition_config_static_selectorELNS0_4arch9wavefront6targetE1EEEvSF_.kd
    .uniform_work_group_size: 1
    .uses_dynamic_stack: false
    .vgpr_count:     0
    .vgpr_spill_count: 0
    .wavefront_size: 64
  - .agpr_count:     0
    .args:
      - .offset:         0
        .size:           72
        .value_kind:     by_value
    .group_segment_fixed_size: 0
    .kernarg_segment_align: 8
    .kernarg_segment_size: 72
    .language:       OpenCL C
    .language_version:
      - 2
      - 0
    .max_flat_workgroup_size: 128
    .name:           _ZN7rocprim17ROCPRIM_400000_NS6detail17trampoline_kernelINS0_14default_configENS1_38merge_sort_block_merge_config_selectorIlNS0_10empty_typeEEEZZNS1_27merge_sort_block_merge_implIS3_PlPS5_jNS1_19radix_merge_compareILb1ELb1ElNS0_19identity_decomposerEEEEE10hipError_tT0_T1_T2_jT3_P12ihipStream_tbPNSt15iterator_traitsISE_E10value_typeEPNSK_ISF_E10value_typeEPSG_NS1_7vsmem_tEENKUlT_SE_SF_SG_E_clIS8_S8_S9_S9_EESD_ST_SE_SF_SG_EUlST_E0_NS1_11comp_targetILNS1_3genE0ELNS1_11target_archE4294967295ELNS1_3gpuE0ELNS1_3repE0EEENS1_38merge_mergepath_config_static_selectorELNS0_4arch9wavefront6targetE1EEEvSF_
    .private_segment_fixed_size: 0
    .sgpr_count:     4
    .sgpr_spill_count: 0
    .symbol:         _ZN7rocprim17ROCPRIM_400000_NS6detail17trampoline_kernelINS0_14default_configENS1_38merge_sort_block_merge_config_selectorIlNS0_10empty_typeEEEZZNS1_27merge_sort_block_merge_implIS3_PlPS5_jNS1_19radix_merge_compareILb1ELb1ElNS0_19identity_decomposerEEEEE10hipError_tT0_T1_T2_jT3_P12ihipStream_tbPNSt15iterator_traitsISE_E10value_typeEPNSK_ISF_E10value_typeEPSG_NS1_7vsmem_tEENKUlT_SE_SF_SG_E_clIS8_S8_S9_S9_EESD_ST_SE_SF_SG_EUlST_E0_NS1_11comp_targetILNS1_3genE0ELNS1_11target_archE4294967295ELNS1_3gpuE0ELNS1_3repE0EEENS1_38merge_mergepath_config_static_selectorELNS0_4arch9wavefront6targetE1EEEvSF_.kd
    .uniform_work_group_size: 1
    .uses_dynamic_stack: false
    .vgpr_count:     0
    .vgpr_spill_count: 0
    .wavefront_size: 64
  - .agpr_count:     0
    .args:
      - .offset:         0
        .size:           72
        .value_kind:     by_value
    .group_segment_fixed_size: 0
    .kernarg_segment_align: 8
    .kernarg_segment_size: 72
    .language:       OpenCL C
    .language_version:
      - 2
      - 0
    .max_flat_workgroup_size: 512
    .name:           _ZN7rocprim17ROCPRIM_400000_NS6detail17trampoline_kernelINS0_14default_configENS1_38merge_sort_block_merge_config_selectorIlNS0_10empty_typeEEEZZNS1_27merge_sort_block_merge_implIS3_PlPS5_jNS1_19radix_merge_compareILb1ELb1ElNS0_19identity_decomposerEEEEE10hipError_tT0_T1_T2_jT3_P12ihipStream_tbPNSt15iterator_traitsISE_E10value_typeEPNSK_ISF_E10value_typeEPSG_NS1_7vsmem_tEENKUlT_SE_SF_SG_E_clIS8_S8_S9_S9_EESD_ST_SE_SF_SG_EUlST_E0_NS1_11comp_targetILNS1_3genE10ELNS1_11target_archE1201ELNS1_3gpuE5ELNS1_3repE0EEENS1_38merge_mergepath_config_static_selectorELNS0_4arch9wavefront6targetE1EEEvSF_
    .private_segment_fixed_size: 0
    .sgpr_count:     4
    .sgpr_spill_count: 0
    .symbol:         _ZN7rocprim17ROCPRIM_400000_NS6detail17trampoline_kernelINS0_14default_configENS1_38merge_sort_block_merge_config_selectorIlNS0_10empty_typeEEEZZNS1_27merge_sort_block_merge_implIS3_PlPS5_jNS1_19radix_merge_compareILb1ELb1ElNS0_19identity_decomposerEEEEE10hipError_tT0_T1_T2_jT3_P12ihipStream_tbPNSt15iterator_traitsISE_E10value_typeEPNSK_ISF_E10value_typeEPSG_NS1_7vsmem_tEENKUlT_SE_SF_SG_E_clIS8_S8_S9_S9_EESD_ST_SE_SF_SG_EUlST_E0_NS1_11comp_targetILNS1_3genE10ELNS1_11target_archE1201ELNS1_3gpuE5ELNS1_3repE0EEENS1_38merge_mergepath_config_static_selectorELNS0_4arch9wavefront6targetE1EEEvSF_.kd
    .uniform_work_group_size: 1
    .uses_dynamic_stack: false
    .vgpr_count:     0
    .vgpr_spill_count: 0
    .wavefront_size: 64
  - .agpr_count:     0
    .args:
      - .offset:         0
        .size:           72
        .value_kind:     by_value
    .group_segment_fixed_size: 0
    .kernarg_segment_align: 8
    .kernarg_segment_size: 72
    .language:       OpenCL C
    .language_version:
      - 2
      - 0
    .max_flat_workgroup_size: 128
    .name:           _ZN7rocprim17ROCPRIM_400000_NS6detail17trampoline_kernelINS0_14default_configENS1_38merge_sort_block_merge_config_selectorIlNS0_10empty_typeEEEZZNS1_27merge_sort_block_merge_implIS3_PlPS5_jNS1_19radix_merge_compareILb1ELb1ElNS0_19identity_decomposerEEEEE10hipError_tT0_T1_T2_jT3_P12ihipStream_tbPNSt15iterator_traitsISE_E10value_typeEPNSK_ISF_E10value_typeEPSG_NS1_7vsmem_tEENKUlT_SE_SF_SG_E_clIS8_S8_S9_S9_EESD_ST_SE_SF_SG_EUlST_E0_NS1_11comp_targetILNS1_3genE5ELNS1_11target_archE942ELNS1_3gpuE9ELNS1_3repE0EEENS1_38merge_mergepath_config_static_selectorELNS0_4arch9wavefront6targetE1EEEvSF_
    .private_segment_fixed_size: 0
    .sgpr_count:     4
    .sgpr_spill_count: 0
    .symbol:         _ZN7rocprim17ROCPRIM_400000_NS6detail17trampoline_kernelINS0_14default_configENS1_38merge_sort_block_merge_config_selectorIlNS0_10empty_typeEEEZZNS1_27merge_sort_block_merge_implIS3_PlPS5_jNS1_19radix_merge_compareILb1ELb1ElNS0_19identity_decomposerEEEEE10hipError_tT0_T1_T2_jT3_P12ihipStream_tbPNSt15iterator_traitsISE_E10value_typeEPNSK_ISF_E10value_typeEPSG_NS1_7vsmem_tEENKUlT_SE_SF_SG_E_clIS8_S8_S9_S9_EESD_ST_SE_SF_SG_EUlST_E0_NS1_11comp_targetILNS1_3genE5ELNS1_11target_archE942ELNS1_3gpuE9ELNS1_3repE0EEENS1_38merge_mergepath_config_static_selectorELNS0_4arch9wavefront6targetE1EEEvSF_.kd
    .uniform_work_group_size: 1
    .uses_dynamic_stack: false
    .vgpr_count:     0
    .vgpr_spill_count: 0
    .wavefront_size: 64
  - .agpr_count:     0
    .args:
      - .offset:         0
        .size:           72
        .value_kind:     by_value
      - .offset:         72
        .size:           4
        .value_kind:     hidden_block_count_x
      - .offset:         76
        .size:           4
        .value_kind:     hidden_block_count_y
      - .offset:         80
        .size:           4
        .value_kind:     hidden_block_count_z
      - .offset:         84
        .size:           2
        .value_kind:     hidden_group_size_x
      - .offset:         86
        .size:           2
        .value_kind:     hidden_group_size_y
      - .offset:         88
        .size:           2
        .value_kind:     hidden_group_size_z
      - .offset:         90
        .size:           2
        .value_kind:     hidden_remainder_x
      - .offset:         92
        .size:           2
        .value_kind:     hidden_remainder_y
      - .offset:         94
        .size:           2
        .value_kind:     hidden_remainder_z
      - .offset:         112
        .size:           8
        .value_kind:     hidden_global_offset_x
      - .offset:         120
        .size:           8
        .value_kind:     hidden_global_offset_y
      - .offset:         128
        .size:           8
        .value_kind:     hidden_global_offset_z
      - .offset:         136
        .size:           2
        .value_kind:     hidden_grid_dims
    .group_segment_fixed_size: 8448
    .kernarg_segment_align: 8
    .kernarg_segment_size: 328
    .language:       OpenCL C
    .language_version:
      - 2
      - 0
    .max_flat_workgroup_size: 256
    .name:           _ZN7rocprim17ROCPRIM_400000_NS6detail17trampoline_kernelINS0_14default_configENS1_38merge_sort_block_merge_config_selectorIlNS0_10empty_typeEEEZZNS1_27merge_sort_block_merge_implIS3_PlPS5_jNS1_19radix_merge_compareILb1ELb1ElNS0_19identity_decomposerEEEEE10hipError_tT0_T1_T2_jT3_P12ihipStream_tbPNSt15iterator_traitsISE_E10value_typeEPNSK_ISF_E10value_typeEPSG_NS1_7vsmem_tEENKUlT_SE_SF_SG_E_clIS8_S8_S9_S9_EESD_ST_SE_SF_SG_EUlST_E0_NS1_11comp_targetILNS1_3genE4ELNS1_11target_archE910ELNS1_3gpuE8ELNS1_3repE0EEENS1_38merge_mergepath_config_static_selectorELNS0_4arch9wavefront6targetE1EEEvSF_
    .private_segment_fixed_size: 0
    .sgpr_count:     30
    .sgpr_spill_count: 0
    .symbol:         _ZN7rocprim17ROCPRIM_400000_NS6detail17trampoline_kernelINS0_14default_configENS1_38merge_sort_block_merge_config_selectorIlNS0_10empty_typeEEEZZNS1_27merge_sort_block_merge_implIS3_PlPS5_jNS1_19radix_merge_compareILb1ELb1ElNS0_19identity_decomposerEEEEE10hipError_tT0_T1_T2_jT3_P12ihipStream_tbPNSt15iterator_traitsISE_E10value_typeEPNSK_ISF_E10value_typeEPSG_NS1_7vsmem_tEENKUlT_SE_SF_SG_E_clIS8_S8_S9_S9_EESD_ST_SE_SF_SG_EUlST_E0_NS1_11comp_targetILNS1_3genE4ELNS1_11target_archE910ELNS1_3gpuE8ELNS1_3repE0EEENS1_38merge_mergepath_config_static_selectorELNS0_4arch9wavefront6targetE1EEEvSF_.kd
    .uniform_work_group_size: 1
    .uses_dynamic_stack: false
    .vgpr_count:     23
    .vgpr_spill_count: 0
    .wavefront_size: 64
  - .agpr_count:     0
    .args:
      - .offset:         0
        .size:           72
        .value_kind:     by_value
    .group_segment_fixed_size: 0
    .kernarg_segment_align: 8
    .kernarg_segment_size: 72
    .language:       OpenCL C
    .language_version:
      - 2
      - 0
    .max_flat_workgroup_size: 128
    .name:           _ZN7rocprim17ROCPRIM_400000_NS6detail17trampoline_kernelINS0_14default_configENS1_38merge_sort_block_merge_config_selectorIlNS0_10empty_typeEEEZZNS1_27merge_sort_block_merge_implIS3_PlPS5_jNS1_19radix_merge_compareILb1ELb1ElNS0_19identity_decomposerEEEEE10hipError_tT0_T1_T2_jT3_P12ihipStream_tbPNSt15iterator_traitsISE_E10value_typeEPNSK_ISF_E10value_typeEPSG_NS1_7vsmem_tEENKUlT_SE_SF_SG_E_clIS8_S8_S9_S9_EESD_ST_SE_SF_SG_EUlST_E0_NS1_11comp_targetILNS1_3genE3ELNS1_11target_archE908ELNS1_3gpuE7ELNS1_3repE0EEENS1_38merge_mergepath_config_static_selectorELNS0_4arch9wavefront6targetE1EEEvSF_
    .private_segment_fixed_size: 0
    .sgpr_count:     4
    .sgpr_spill_count: 0
    .symbol:         _ZN7rocprim17ROCPRIM_400000_NS6detail17trampoline_kernelINS0_14default_configENS1_38merge_sort_block_merge_config_selectorIlNS0_10empty_typeEEEZZNS1_27merge_sort_block_merge_implIS3_PlPS5_jNS1_19radix_merge_compareILb1ELb1ElNS0_19identity_decomposerEEEEE10hipError_tT0_T1_T2_jT3_P12ihipStream_tbPNSt15iterator_traitsISE_E10value_typeEPNSK_ISF_E10value_typeEPSG_NS1_7vsmem_tEENKUlT_SE_SF_SG_E_clIS8_S8_S9_S9_EESD_ST_SE_SF_SG_EUlST_E0_NS1_11comp_targetILNS1_3genE3ELNS1_11target_archE908ELNS1_3gpuE7ELNS1_3repE0EEENS1_38merge_mergepath_config_static_selectorELNS0_4arch9wavefront6targetE1EEEvSF_.kd
    .uniform_work_group_size: 1
    .uses_dynamic_stack: false
    .vgpr_count:     0
    .vgpr_spill_count: 0
    .wavefront_size: 64
  - .agpr_count:     0
    .args:
      - .offset:         0
        .size:           72
        .value_kind:     by_value
    .group_segment_fixed_size: 0
    .kernarg_segment_align: 8
    .kernarg_segment_size: 72
    .language:       OpenCL C
    .language_version:
      - 2
      - 0
    .max_flat_workgroup_size: 256
    .name:           _ZN7rocprim17ROCPRIM_400000_NS6detail17trampoline_kernelINS0_14default_configENS1_38merge_sort_block_merge_config_selectorIlNS0_10empty_typeEEEZZNS1_27merge_sort_block_merge_implIS3_PlPS5_jNS1_19radix_merge_compareILb1ELb1ElNS0_19identity_decomposerEEEEE10hipError_tT0_T1_T2_jT3_P12ihipStream_tbPNSt15iterator_traitsISE_E10value_typeEPNSK_ISF_E10value_typeEPSG_NS1_7vsmem_tEENKUlT_SE_SF_SG_E_clIS8_S8_S9_S9_EESD_ST_SE_SF_SG_EUlST_E0_NS1_11comp_targetILNS1_3genE2ELNS1_11target_archE906ELNS1_3gpuE6ELNS1_3repE0EEENS1_38merge_mergepath_config_static_selectorELNS0_4arch9wavefront6targetE1EEEvSF_
    .private_segment_fixed_size: 0
    .sgpr_count:     4
    .sgpr_spill_count: 0
    .symbol:         _ZN7rocprim17ROCPRIM_400000_NS6detail17trampoline_kernelINS0_14default_configENS1_38merge_sort_block_merge_config_selectorIlNS0_10empty_typeEEEZZNS1_27merge_sort_block_merge_implIS3_PlPS5_jNS1_19radix_merge_compareILb1ELb1ElNS0_19identity_decomposerEEEEE10hipError_tT0_T1_T2_jT3_P12ihipStream_tbPNSt15iterator_traitsISE_E10value_typeEPNSK_ISF_E10value_typeEPSG_NS1_7vsmem_tEENKUlT_SE_SF_SG_E_clIS8_S8_S9_S9_EESD_ST_SE_SF_SG_EUlST_E0_NS1_11comp_targetILNS1_3genE2ELNS1_11target_archE906ELNS1_3gpuE6ELNS1_3repE0EEENS1_38merge_mergepath_config_static_selectorELNS0_4arch9wavefront6targetE1EEEvSF_.kd
    .uniform_work_group_size: 1
    .uses_dynamic_stack: false
    .vgpr_count:     0
    .vgpr_spill_count: 0
    .wavefront_size: 64
  - .agpr_count:     0
    .args:
      - .offset:         0
        .size:           72
        .value_kind:     by_value
    .group_segment_fixed_size: 0
    .kernarg_segment_align: 8
    .kernarg_segment_size: 72
    .language:       OpenCL C
    .language_version:
      - 2
      - 0
    .max_flat_workgroup_size: 512
    .name:           _ZN7rocprim17ROCPRIM_400000_NS6detail17trampoline_kernelINS0_14default_configENS1_38merge_sort_block_merge_config_selectorIlNS0_10empty_typeEEEZZNS1_27merge_sort_block_merge_implIS3_PlPS5_jNS1_19radix_merge_compareILb1ELb1ElNS0_19identity_decomposerEEEEE10hipError_tT0_T1_T2_jT3_P12ihipStream_tbPNSt15iterator_traitsISE_E10value_typeEPNSK_ISF_E10value_typeEPSG_NS1_7vsmem_tEENKUlT_SE_SF_SG_E_clIS8_S8_S9_S9_EESD_ST_SE_SF_SG_EUlST_E0_NS1_11comp_targetILNS1_3genE9ELNS1_11target_archE1100ELNS1_3gpuE3ELNS1_3repE0EEENS1_38merge_mergepath_config_static_selectorELNS0_4arch9wavefront6targetE1EEEvSF_
    .private_segment_fixed_size: 0
    .sgpr_count:     4
    .sgpr_spill_count: 0
    .symbol:         _ZN7rocprim17ROCPRIM_400000_NS6detail17trampoline_kernelINS0_14default_configENS1_38merge_sort_block_merge_config_selectorIlNS0_10empty_typeEEEZZNS1_27merge_sort_block_merge_implIS3_PlPS5_jNS1_19radix_merge_compareILb1ELb1ElNS0_19identity_decomposerEEEEE10hipError_tT0_T1_T2_jT3_P12ihipStream_tbPNSt15iterator_traitsISE_E10value_typeEPNSK_ISF_E10value_typeEPSG_NS1_7vsmem_tEENKUlT_SE_SF_SG_E_clIS8_S8_S9_S9_EESD_ST_SE_SF_SG_EUlST_E0_NS1_11comp_targetILNS1_3genE9ELNS1_11target_archE1100ELNS1_3gpuE3ELNS1_3repE0EEENS1_38merge_mergepath_config_static_selectorELNS0_4arch9wavefront6targetE1EEEvSF_.kd
    .uniform_work_group_size: 1
    .uses_dynamic_stack: false
    .vgpr_count:     0
    .vgpr_spill_count: 0
    .wavefront_size: 64
  - .agpr_count:     0
    .args:
      - .offset:         0
        .size:           72
        .value_kind:     by_value
    .group_segment_fixed_size: 0
    .kernarg_segment_align: 8
    .kernarg_segment_size: 72
    .language:       OpenCL C
    .language_version:
      - 2
      - 0
    .max_flat_workgroup_size: 1024
    .name:           _ZN7rocprim17ROCPRIM_400000_NS6detail17trampoline_kernelINS0_14default_configENS1_38merge_sort_block_merge_config_selectorIlNS0_10empty_typeEEEZZNS1_27merge_sort_block_merge_implIS3_PlPS5_jNS1_19radix_merge_compareILb1ELb1ElNS0_19identity_decomposerEEEEE10hipError_tT0_T1_T2_jT3_P12ihipStream_tbPNSt15iterator_traitsISE_E10value_typeEPNSK_ISF_E10value_typeEPSG_NS1_7vsmem_tEENKUlT_SE_SF_SG_E_clIS8_S8_S9_S9_EESD_ST_SE_SF_SG_EUlST_E0_NS1_11comp_targetILNS1_3genE8ELNS1_11target_archE1030ELNS1_3gpuE2ELNS1_3repE0EEENS1_38merge_mergepath_config_static_selectorELNS0_4arch9wavefront6targetE1EEEvSF_
    .private_segment_fixed_size: 0
    .sgpr_count:     4
    .sgpr_spill_count: 0
    .symbol:         _ZN7rocprim17ROCPRIM_400000_NS6detail17trampoline_kernelINS0_14default_configENS1_38merge_sort_block_merge_config_selectorIlNS0_10empty_typeEEEZZNS1_27merge_sort_block_merge_implIS3_PlPS5_jNS1_19radix_merge_compareILb1ELb1ElNS0_19identity_decomposerEEEEE10hipError_tT0_T1_T2_jT3_P12ihipStream_tbPNSt15iterator_traitsISE_E10value_typeEPNSK_ISF_E10value_typeEPSG_NS1_7vsmem_tEENKUlT_SE_SF_SG_E_clIS8_S8_S9_S9_EESD_ST_SE_SF_SG_EUlST_E0_NS1_11comp_targetILNS1_3genE8ELNS1_11target_archE1030ELNS1_3gpuE2ELNS1_3repE0EEENS1_38merge_mergepath_config_static_selectorELNS0_4arch9wavefront6targetE1EEEvSF_.kd
    .uniform_work_group_size: 1
    .uses_dynamic_stack: false
    .vgpr_count:     0
    .vgpr_spill_count: 0
    .wavefront_size: 64
  - .agpr_count:     0
    .args:
      - .offset:         0
        .size:           48
        .value_kind:     by_value
    .group_segment_fixed_size: 0
    .kernarg_segment_align: 8
    .kernarg_segment_size: 48
    .language:       OpenCL C
    .language_version:
      - 2
      - 0
    .max_flat_workgroup_size: 256
    .name:           _ZN7rocprim17ROCPRIM_400000_NS6detail17trampoline_kernelINS0_14default_configENS1_38merge_sort_block_merge_config_selectorIlNS0_10empty_typeEEEZZNS1_27merge_sort_block_merge_implIS3_PlPS5_jNS1_19radix_merge_compareILb1ELb1ElNS0_19identity_decomposerEEEEE10hipError_tT0_T1_T2_jT3_P12ihipStream_tbPNSt15iterator_traitsISE_E10value_typeEPNSK_ISF_E10value_typeEPSG_NS1_7vsmem_tEENKUlT_SE_SF_SG_E_clIS8_S8_S9_S9_EESD_ST_SE_SF_SG_EUlST_E1_NS1_11comp_targetILNS1_3genE0ELNS1_11target_archE4294967295ELNS1_3gpuE0ELNS1_3repE0EEENS1_36merge_oddeven_config_static_selectorELNS0_4arch9wavefront6targetE1EEEvSF_
    .private_segment_fixed_size: 0
    .sgpr_count:     4
    .sgpr_spill_count: 0
    .symbol:         _ZN7rocprim17ROCPRIM_400000_NS6detail17trampoline_kernelINS0_14default_configENS1_38merge_sort_block_merge_config_selectorIlNS0_10empty_typeEEEZZNS1_27merge_sort_block_merge_implIS3_PlPS5_jNS1_19radix_merge_compareILb1ELb1ElNS0_19identity_decomposerEEEEE10hipError_tT0_T1_T2_jT3_P12ihipStream_tbPNSt15iterator_traitsISE_E10value_typeEPNSK_ISF_E10value_typeEPSG_NS1_7vsmem_tEENKUlT_SE_SF_SG_E_clIS8_S8_S9_S9_EESD_ST_SE_SF_SG_EUlST_E1_NS1_11comp_targetILNS1_3genE0ELNS1_11target_archE4294967295ELNS1_3gpuE0ELNS1_3repE0EEENS1_36merge_oddeven_config_static_selectorELNS0_4arch9wavefront6targetE1EEEvSF_.kd
    .uniform_work_group_size: 1
    .uses_dynamic_stack: false
    .vgpr_count:     0
    .vgpr_spill_count: 0
    .wavefront_size: 64
  - .agpr_count:     0
    .args:
      - .offset:         0
        .size:           48
        .value_kind:     by_value
    .group_segment_fixed_size: 0
    .kernarg_segment_align: 8
    .kernarg_segment_size: 48
    .language:       OpenCL C
    .language_version:
      - 2
      - 0
    .max_flat_workgroup_size: 256
    .name:           _ZN7rocprim17ROCPRIM_400000_NS6detail17trampoline_kernelINS0_14default_configENS1_38merge_sort_block_merge_config_selectorIlNS0_10empty_typeEEEZZNS1_27merge_sort_block_merge_implIS3_PlPS5_jNS1_19radix_merge_compareILb1ELb1ElNS0_19identity_decomposerEEEEE10hipError_tT0_T1_T2_jT3_P12ihipStream_tbPNSt15iterator_traitsISE_E10value_typeEPNSK_ISF_E10value_typeEPSG_NS1_7vsmem_tEENKUlT_SE_SF_SG_E_clIS8_S8_S9_S9_EESD_ST_SE_SF_SG_EUlST_E1_NS1_11comp_targetILNS1_3genE10ELNS1_11target_archE1201ELNS1_3gpuE5ELNS1_3repE0EEENS1_36merge_oddeven_config_static_selectorELNS0_4arch9wavefront6targetE1EEEvSF_
    .private_segment_fixed_size: 0
    .sgpr_count:     4
    .sgpr_spill_count: 0
    .symbol:         _ZN7rocprim17ROCPRIM_400000_NS6detail17trampoline_kernelINS0_14default_configENS1_38merge_sort_block_merge_config_selectorIlNS0_10empty_typeEEEZZNS1_27merge_sort_block_merge_implIS3_PlPS5_jNS1_19radix_merge_compareILb1ELb1ElNS0_19identity_decomposerEEEEE10hipError_tT0_T1_T2_jT3_P12ihipStream_tbPNSt15iterator_traitsISE_E10value_typeEPNSK_ISF_E10value_typeEPSG_NS1_7vsmem_tEENKUlT_SE_SF_SG_E_clIS8_S8_S9_S9_EESD_ST_SE_SF_SG_EUlST_E1_NS1_11comp_targetILNS1_3genE10ELNS1_11target_archE1201ELNS1_3gpuE5ELNS1_3repE0EEENS1_36merge_oddeven_config_static_selectorELNS0_4arch9wavefront6targetE1EEEvSF_.kd
    .uniform_work_group_size: 1
    .uses_dynamic_stack: false
    .vgpr_count:     0
    .vgpr_spill_count: 0
    .wavefront_size: 64
  - .agpr_count:     0
    .args:
      - .offset:         0
        .size:           48
        .value_kind:     by_value
    .group_segment_fixed_size: 0
    .kernarg_segment_align: 8
    .kernarg_segment_size: 48
    .language:       OpenCL C
    .language_version:
      - 2
      - 0
    .max_flat_workgroup_size: 256
    .name:           _ZN7rocprim17ROCPRIM_400000_NS6detail17trampoline_kernelINS0_14default_configENS1_38merge_sort_block_merge_config_selectorIlNS0_10empty_typeEEEZZNS1_27merge_sort_block_merge_implIS3_PlPS5_jNS1_19radix_merge_compareILb1ELb1ElNS0_19identity_decomposerEEEEE10hipError_tT0_T1_T2_jT3_P12ihipStream_tbPNSt15iterator_traitsISE_E10value_typeEPNSK_ISF_E10value_typeEPSG_NS1_7vsmem_tEENKUlT_SE_SF_SG_E_clIS8_S8_S9_S9_EESD_ST_SE_SF_SG_EUlST_E1_NS1_11comp_targetILNS1_3genE5ELNS1_11target_archE942ELNS1_3gpuE9ELNS1_3repE0EEENS1_36merge_oddeven_config_static_selectorELNS0_4arch9wavefront6targetE1EEEvSF_
    .private_segment_fixed_size: 0
    .sgpr_count:     4
    .sgpr_spill_count: 0
    .symbol:         _ZN7rocprim17ROCPRIM_400000_NS6detail17trampoline_kernelINS0_14default_configENS1_38merge_sort_block_merge_config_selectorIlNS0_10empty_typeEEEZZNS1_27merge_sort_block_merge_implIS3_PlPS5_jNS1_19radix_merge_compareILb1ELb1ElNS0_19identity_decomposerEEEEE10hipError_tT0_T1_T2_jT3_P12ihipStream_tbPNSt15iterator_traitsISE_E10value_typeEPNSK_ISF_E10value_typeEPSG_NS1_7vsmem_tEENKUlT_SE_SF_SG_E_clIS8_S8_S9_S9_EESD_ST_SE_SF_SG_EUlST_E1_NS1_11comp_targetILNS1_3genE5ELNS1_11target_archE942ELNS1_3gpuE9ELNS1_3repE0EEENS1_36merge_oddeven_config_static_selectorELNS0_4arch9wavefront6targetE1EEEvSF_.kd
    .uniform_work_group_size: 1
    .uses_dynamic_stack: false
    .vgpr_count:     0
    .vgpr_spill_count: 0
    .wavefront_size: 64
  - .agpr_count:     0
    .args:
      - .offset:         0
        .size:           48
        .value_kind:     by_value
    .group_segment_fixed_size: 0
    .kernarg_segment_align: 8
    .kernarg_segment_size: 48
    .language:       OpenCL C
    .language_version:
      - 2
      - 0
    .max_flat_workgroup_size: 256
    .name:           _ZN7rocprim17ROCPRIM_400000_NS6detail17trampoline_kernelINS0_14default_configENS1_38merge_sort_block_merge_config_selectorIlNS0_10empty_typeEEEZZNS1_27merge_sort_block_merge_implIS3_PlPS5_jNS1_19radix_merge_compareILb1ELb1ElNS0_19identity_decomposerEEEEE10hipError_tT0_T1_T2_jT3_P12ihipStream_tbPNSt15iterator_traitsISE_E10value_typeEPNSK_ISF_E10value_typeEPSG_NS1_7vsmem_tEENKUlT_SE_SF_SG_E_clIS8_S8_S9_S9_EESD_ST_SE_SF_SG_EUlST_E1_NS1_11comp_targetILNS1_3genE4ELNS1_11target_archE910ELNS1_3gpuE8ELNS1_3repE0EEENS1_36merge_oddeven_config_static_selectorELNS0_4arch9wavefront6targetE1EEEvSF_
    .private_segment_fixed_size: 0
    .sgpr_count:     25
    .sgpr_spill_count: 0
    .symbol:         _ZN7rocprim17ROCPRIM_400000_NS6detail17trampoline_kernelINS0_14default_configENS1_38merge_sort_block_merge_config_selectorIlNS0_10empty_typeEEEZZNS1_27merge_sort_block_merge_implIS3_PlPS5_jNS1_19radix_merge_compareILb1ELb1ElNS0_19identity_decomposerEEEEE10hipError_tT0_T1_T2_jT3_P12ihipStream_tbPNSt15iterator_traitsISE_E10value_typeEPNSK_ISF_E10value_typeEPSG_NS1_7vsmem_tEENKUlT_SE_SF_SG_E_clIS8_S8_S9_S9_EESD_ST_SE_SF_SG_EUlST_E1_NS1_11comp_targetILNS1_3genE4ELNS1_11target_archE910ELNS1_3gpuE8ELNS1_3repE0EEENS1_36merge_oddeven_config_static_selectorELNS0_4arch9wavefront6targetE1EEEvSF_.kd
    .uniform_work_group_size: 1
    .uses_dynamic_stack: false
    .vgpr_count:     14
    .vgpr_spill_count: 0
    .wavefront_size: 64
  - .agpr_count:     0
    .args:
      - .offset:         0
        .size:           48
        .value_kind:     by_value
    .group_segment_fixed_size: 0
    .kernarg_segment_align: 8
    .kernarg_segment_size: 48
    .language:       OpenCL C
    .language_version:
      - 2
      - 0
    .max_flat_workgroup_size: 256
    .name:           _ZN7rocprim17ROCPRIM_400000_NS6detail17trampoline_kernelINS0_14default_configENS1_38merge_sort_block_merge_config_selectorIlNS0_10empty_typeEEEZZNS1_27merge_sort_block_merge_implIS3_PlPS5_jNS1_19radix_merge_compareILb1ELb1ElNS0_19identity_decomposerEEEEE10hipError_tT0_T1_T2_jT3_P12ihipStream_tbPNSt15iterator_traitsISE_E10value_typeEPNSK_ISF_E10value_typeEPSG_NS1_7vsmem_tEENKUlT_SE_SF_SG_E_clIS8_S8_S9_S9_EESD_ST_SE_SF_SG_EUlST_E1_NS1_11comp_targetILNS1_3genE3ELNS1_11target_archE908ELNS1_3gpuE7ELNS1_3repE0EEENS1_36merge_oddeven_config_static_selectorELNS0_4arch9wavefront6targetE1EEEvSF_
    .private_segment_fixed_size: 0
    .sgpr_count:     4
    .sgpr_spill_count: 0
    .symbol:         _ZN7rocprim17ROCPRIM_400000_NS6detail17trampoline_kernelINS0_14default_configENS1_38merge_sort_block_merge_config_selectorIlNS0_10empty_typeEEEZZNS1_27merge_sort_block_merge_implIS3_PlPS5_jNS1_19radix_merge_compareILb1ELb1ElNS0_19identity_decomposerEEEEE10hipError_tT0_T1_T2_jT3_P12ihipStream_tbPNSt15iterator_traitsISE_E10value_typeEPNSK_ISF_E10value_typeEPSG_NS1_7vsmem_tEENKUlT_SE_SF_SG_E_clIS8_S8_S9_S9_EESD_ST_SE_SF_SG_EUlST_E1_NS1_11comp_targetILNS1_3genE3ELNS1_11target_archE908ELNS1_3gpuE7ELNS1_3repE0EEENS1_36merge_oddeven_config_static_selectorELNS0_4arch9wavefront6targetE1EEEvSF_.kd
    .uniform_work_group_size: 1
    .uses_dynamic_stack: false
    .vgpr_count:     0
    .vgpr_spill_count: 0
    .wavefront_size: 64
  - .agpr_count:     0
    .args:
      - .offset:         0
        .size:           48
        .value_kind:     by_value
    .group_segment_fixed_size: 0
    .kernarg_segment_align: 8
    .kernarg_segment_size: 48
    .language:       OpenCL C
    .language_version:
      - 2
      - 0
    .max_flat_workgroup_size: 256
    .name:           _ZN7rocprim17ROCPRIM_400000_NS6detail17trampoline_kernelINS0_14default_configENS1_38merge_sort_block_merge_config_selectorIlNS0_10empty_typeEEEZZNS1_27merge_sort_block_merge_implIS3_PlPS5_jNS1_19radix_merge_compareILb1ELb1ElNS0_19identity_decomposerEEEEE10hipError_tT0_T1_T2_jT3_P12ihipStream_tbPNSt15iterator_traitsISE_E10value_typeEPNSK_ISF_E10value_typeEPSG_NS1_7vsmem_tEENKUlT_SE_SF_SG_E_clIS8_S8_S9_S9_EESD_ST_SE_SF_SG_EUlST_E1_NS1_11comp_targetILNS1_3genE2ELNS1_11target_archE906ELNS1_3gpuE6ELNS1_3repE0EEENS1_36merge_oddeven_config_static_selectorELNS0_4arch9wavefront6targetE1EEEvSF_
    .private_segment_fixed_size: 0
    .sgpr_count:     4
    .sgpr_spill_count: 0
    .symbol:         _ZN7rocprim17ROCPRIM_400000_NS6detail17trampoline_kernelINS0_14default_configENS1_38merge_sort_block_merge_config_selectorIlNS0_10empty_typeEEEZZNS1_27merge_sort_block_merge_implIS3_PlPS5_jNS1_19radix_merge_compareILb1ELb1ElNS0_19identity_decomposerEEEEE10hipError_tT0_T1_T2_jT3_P12ihipStream_tbPNSt15iterator_traitsISE_E10value_typeEPNSK_ISF_E10value_typeEPSG_NS1_7vsmem_tEENKUlT_SE_SF_SG_E_clIS8_S8_S9_S9_EESD_ST_SE_SF_SG_EUlST_E1_NS1_11comp_targetILNS1_3genE2ELNS1_11target_archE906ELNS1_3gpuE6ELNS1_3repE0EEENS1_36merge_oddeven_config_static_selectorELNS0_4arch9wavefront6targetE1EEEvSF_.kd
    .uniform_work_group_size: 1
    .uses_dynamic_stack: false
    .vgpr_count:     0
    .vgpr_spill_count: 0
    .wavefront_size: 64
  - .agpr_count:     0
    .args:
      - .offset:         0
        .size:           48
        .value_kind:     by_value
    .group_segment_fixed_size: 0
    .kernarg_segment_align: 8
    .kernarg_segment_size: 48
    .language:       OpenCL C
    .language_version:
      - 2
      - 0
    .max_flat_workgroup_size: 256
    .name:           _ZN7rocprim17ROCPRIM_400000_NS6detail17trampoline_kernelINS0_14default_configENS1_38merge_sort_block_merge_config_selectorIlNS0_10empty_typeEEEZZNS1_27merge_sort_block_merge_implIS3_PlPS5_jNS1_19radix_merge_compareILb1ELb1ElNS0_19identity_decomposerEEEEE10hipError_tT0_T1_T2_jT3_P12ihipStream_tbPNSt15iterator_traitsISE_E10value_typeEPNSK_ISF_E10value_typeEPSG_NS1_7vsmem_tEENKUlT_SE_SF_SG_E_clIS8_S8_S9_S9_EESD_ST_SE_SF_SG_EUlST_E1_NS1_11comp_targetILNS1_3genE9ELNS1_11target_archE1100ELNS1_3gpuE3ELNS1_3repE0EEENS1_36merge_oddeven_config_static_selectorELNS0_4arch9wavefront6targetE1EEEvSF_
    .private_segment_fixed_size: 0
    .sgpr_count:     4
    .sgpr_spill_count: 0
    .symbol:         _ZN7rocprim17ROCPRIM_400000_NS6detail17trampoline_kernelINS0_14default_configENS1_38merge_sort_block_merge_config_selectorIlNS0_10empty_typeEEEZZNS1_27merge_sort_block_merge_implIS3_PlPS5_jNS1_19radix_merge_compareILb1ELb1ElNS0_19identity_decomposerEEEEE10hipError_tT0_T1_T2_jT3_P12ihipStream_tbPNSt15iterator_traitsISE_E10value_typeEPNSK_ISF_E10value_typeEPSG_NS1_7vsmem_tEENKUlT_SE_SF_SG_E_clIS8_S8_S9_S9_EESD_ST_SE_SF_SG_EUlST_E1_NS1_11comp_targetILNS1_3genE9ELNS1_11target_archE1100ELNS1_3gpuE3ELNS1_3repE0EEENS1_36merge_oddeven_config_static_selectorELNS0_4arch9wavefront6targetE1EEEvSF_.kd
    .uniform_work_group_size: 1
    .uses_dynamic_stack: false
    .vgpr_count:     0
    .vgpr_spill_count: 0
    .wavefront_size: 64
  - .agpr_count:     0
    .args:
      - .offset:         0
        .size:           48
        .value_kind:     by_value
    .group_segment_fixed_size: 0
    .kernarg_segment_align: 8
    .kernarg_segment_size: 48
    .language:       OpenCL C
    .language_version:
      - 2
      - 0
    .max_flat_workgroup_size: 256
    .name:           _ZN7rocprim17ROCPRIM_400000_NS6detail17trampoline_kernelINS0_14default_configENS1_38merge_sort_block_merge_config_selectorIlNS0_10empty_typeEEEZZNS1_27merge_sort_block_merge_implIS3_PlPS5_jNS1_19radix_merge_compareILb1ELb1ElNS0_19identity_decomposerEEEEE10hipError_tT0_T1_T2_jT3_P12ihipStream_tbPNSt15iterator_traitsISE_E10value_typeEPNSK_ISF_E10value_typeEPSG_NS1_7vsmem_tEENKUlT_SE_SF_SG_E_clIS8_S8_S9_S9_EESD_ST_SE_SF_SG_EUlST_E1_NS1_11comp_targetILNS1_3genE8ELNS1_11target_archE1030ELNS1_3gpuE2ELNS1_3repE0EEENS1_36merge_oddeven_config_static_selectorELNS0_4arch9wavefront6targetE1EEEvSF_
    .private_segment_fixed_size: 0
    .sgpr_count:     4
    .sgpr_spill_count: 0
    .symbol:         _ZN7rocprim17ROCPRIM_400000_NS6detail17trampoline_kernelINS0_14default_configENS1_38merge_sort_block_merge_config_selectorIlNS0_10empty_typeEEEZZNS1_27merge_sort_block_merge_implIS3_PlPS5_jNS1_19radix_merge_compareILb1ELb1ElNS0_19identity_decomposerEEEEE10hipError_tT0_T1_T2_jT3_P12ihipStream_tbPNSt15iterator_traitsISE_E10value_typeEPNSK_ISF_E10value_typeEPSG_NS1_7vsmem_tEENKUlT_SE_SF_SG_E_clIS8_S8_S9_S9_EESD_ST_SE_SF_SG_EUlST_E1_NS1_11comp_targetILNS1_3genE8ELNS1_11target_archE1030ELNS1_3gpuE2ELNS1_3repE0EEENS1_36merge_oddeven_config_static_selectorELNS0_4arch9wavefront6targetE1EEEvSF_.kd
    .uniform_work_group_size: 1
    .uses_dynamic_stack: false
    .vgpr_count:     0
    .vgpr_spill_count: 0
    .wavefront_size: 64
  - .agpr_count:     0
    .args:
      - .offset:         0
        .size:           48
        .value_kind:     by_value
    .group_segment_fixed_size: 0
    .kernarg_segment_align: 8
    .kernarg_segment_size: 48
    .language:       OpenCL C
    .language_version:
      - 2
      - 0
    .max_flat_workgroup_size: 512
    .name:           _ZN7rocprim17ROCPRIM_400000_NS6detail17trampoline_kernelINS0_14default_configENS1_35radix_sort_onesweep_config_selectorIlNS0_10empty_typeEEEZNS1_34radix_sort_onesweep_global_offsetsIS3_Lb1EPlPS5_mNS0_19identity_decomposerEEE10hipError_tT1_T2_PT3_SE_jT4_jjP12ihipStream_tbEUlT_E_NS1_11comp_targetILNS1_3genE0ELNS1_11target_archE4294967295ELNS1_3gpuE0ELNS1_3repE0EEENS1_52radix_sort_onesweep_histogram_config_static_selectorELNS0_4arch9wavefront6targetE1EEEvSC_
    .private_segment_fixed_size: 0
    .sgpr_count:     4
    .sgpr_spill_count: 0
    .symbol:         _ZN7rocprim17ROCPRIM_400000_NS6detail17trampoline_kernelINS0_14default_configENS1_35radix_sort_onesweep_config_selectorIlNS0_10empty_typeEEEZNS1_34radix_sort_onesweep_global_offsetsIS3_Lb1EPlPS5_mNS0_19identity_decomposerEEE10hipError_tT1_T2_PT3_SE_jT4_jjP12ihipStream_tbEUlT_E_NS1_11comp_targetILNS1_3genE0ELNS1_11target_archE4294967295ELNS1_3gpuE0ELNS1_3repE0EEENS1_52radix_sort_onesweep_histogram_config_static_selectorELNS0_4arch9wavefront6targetE1EEEvSC_.kd
    .uniform_work_group_size: 1
    .uses_dynamic_stack: false
    .vgpr_count:     0
    .vgpr_spill_count: 0
    .wavefront_size: 64
  - .agpr_count:     0
    .args:
      - .offset:         0
        .size:           48
        .value_kind:     by_value
    .group_segment_fixed_size: 0
    .kernarg_segment_align: 8
    .kernarg_segment_size: 48
    .language:       OpenCL C
    .language_version:
      - 2
      - 0
    .max_flat_workgroup_size: 512
    .name:           _ZN7rocprim17ROCPRIM_400000_NS6detail17trampoline_kernelINS0_14default_configENS1_35radix_sort_onesweep_config_selectorIlNS0_10empty_typeEEEZNS1_34radix_sort_onesweep_global_offsetsIS3_Lb1EPlPS5_mNS0_19identity_decomposerEEE10hipError_tT1_T2_PT3_SE_jT4_jjP12ihipStream_tbEUlT_E_NS1_11comp_targetILNS1_3genE6ELNS1_11target_archE950ELNS1_3gpuE13ELNS1_3repE0EEENS1_52radix_sort_onesweep_histogram_config_static_selectorELNS0_4arch9wavefront6targetE1EEEvSC_
    .private_segment_fixed_size: 0
    .sgpr_count:     4
    .sgpr_spill_count: 0
    .symbol:         _ZN7rocprim17ROCPRIM_400000_NS6detail17trampoline_kernelINS0_14default_configENS1_35radix_sort_onesweep_config_selectorIlNS0_10empty_typeEEEZNS1_34radix_sort_onesweep_global_offsetsIS3_Lb1EPlPS5_mNS0_19identity_decomposerEEE10hipError_tT1_T2_PT3_SE_jT4_jjP12ihipStream_tbEUlT_E_NS1_11comp_targetILNS1_3genE6ELNS1_11target_archE950ELNS1_3gpuE13ELNS1_3repE0EEENS1_52radix_sort_onesweep_histogram_config_static_selectorELNS0_4arch9wavefront6targetE1EEEvSC_.kd
    .uniform_work_group_size: 1
    .uses_dynamic_stack: false
    .vgpr_count:     0
    .vgpr_spill_count: 0
    .wavefront_size: 64
  - .agpr_count:     0
    .args:
      - .offset:         0
        .size:           48
        .value_kind:     by_value
    .group_segment_fixed_size: 0
    .kernarg_segment_align: 8
    .kernarg_segment_size: 48
    .language:       OpenCL C
    .language_version:
      - 2
      - 0
    .max_flat_workgroup_size: 512
    .name:           _ZN7rocprim17ROCPRIM_400000_NS6detail17trampoline_kernelINS0_14default_configENS1_35radix_sort_onesweep_config_selectorIlNS0_10empty_typeEEEZNS1_34radix_sort_onesweep_global_offsetsIS3_Lb1EPlPS5_mNS0_19identity_decomposerEEE10hipError_tT1_T2_PT3_SE_jT4_jjP12ihipStream_tbEUlT_E_NS1_11comp_targetILNS1_3genE5ELNS1_11target_archE942ELNS1_3gpuE9ELNS1_3repE0EEENS1_52radix_sort_onesweep_histogram_config_static_selectorELNS0_4arch9wavefront6targetE1EEEvSC_
    .private_segment_fixed_size: 0
    .sgpr_count:     4
    .sgpr_spill_count: 0
    .symbol:         _ZN7rocprim17ROCPRIM_400000_NS6detail17trampoline_kernelINS0_14default_configENS1_35radix_sort_onesweep_config_selectorIlNS0_10empty_typeEEEZNS1_34radix_sort_onesweep_global_offsetsIS3_Lb1EPlPS5_mNS0_19identity_decomposerEEE10hipError_tT1_T2_PT3_SE_jT4_jjP12ihipStream_tbEUlT_E_NS1_11comp_targetILNS1_3genE5ELNS1_11target_archE942ELNS1_3gpuE9ELNS1_3repE0EEENS1_52radix_sort_onesweep_histogram_config_static_selectorELNS0_4arch9wavefront6targetE1EEEvSC_.kd
    .uniform_work_group_size: 1
    .uses_dynamic_stack: false
    .vgpr_count:     0
    .vgpr_spill_count: 0
    .wavefront_size: 64
  - .agpr_count:     0
    .args:
      - .offset:         0
        .size:           48
        .value_kind:     by_value
    .group_segment_fixed_size: 0
    .kernarg_segment_align: 8
    .kernarg_segment_size: 48
    .language:       OpenCL C
    .language_version:
      - 2
      - 0
    .max_flat_workgroup_size: 512
    .name:           _ZN7rocprim17ROCPRIM_400000_NS6detail17trampoline_kernelINS0_14default_configENS1_35radix_sort_onesweep_config_selectorIlNS0_10empty_typeEEEZNS1_34radix_sort_onesweep_global_offsetsIS3_Lb1EPlPS5_mNS0_19identity_decomposerEEE10hipError_tT1_T2_PT3_SE_jT4_jjP12ihipStream_tbEUlT_E_NS1_11comp_targetILNS1_3genE2ELNS1_11target_archE906ELNS1_3gpuE6ELNS1_3repE0EEENS1_52radix_sort_onesweep_histogram_config_static_selectorELNS0_4arch9wavefront6targetE1EEEvSC_
    .private_segment_fixed_size: 0
    .sgpr_count:     4
    .sgpr_spill_count: 0
    .symbol:         _ZN7rocprim17ROCPRIM_400000_NS6detail17trampoline_kernelINS0_14default_configENS1_35radix_sort_onesweep_config_selectorIlNS0_10empty_typeEEEZNS1_34radix_sort_onesweep_global_offsetsIS3_Lb1EPlPS5_mNS0_19identity_decomposerEEE10hipError_tT1_T2_PT3_SE_jT4_jjP12ihipStream_tbEUlT_E_NS1_11comp_targetILNS1_3genE2ELNS1_11target_archE906ELNS1_3gpuE6ELNS1_3repE0EEENS1_52radix_sort_onesweep_histogram_config_static_selectorELNS0_4arch9wavefront6targetE1EEEvSC_.kd
    .uniform_work_group_size: 1
    .uses_dynamic_stack: false
    .vgpr_count:     0
    .vgpr_spill_count: 0
    .wavefront_size: 64
  - .agpr_count:     0
    .args:
      - .offset:         0
        .size:           48
        .value_kind:     by_value
    .group_segment_fixed_size: 32768
    .kernarg_segment_align: 8
    .kernarg_segment_size: 48
    .language:       OpenCL C
    .language_version:
      - 2
      - 0
    .max_flat_workgroup_size: 1024
    .name:           _ZN7rocprim17ROCPRIM_400000_NS6detail17trampoline_kernelINS0_14default_configENS1_35radix_sort_onesweep_config_selectorIlNS0_10empty_typeEEEZNS1_34radix_sort_onesweep_global_offsetsIS3_Lb1EPlPS5_mNS0_19identity_decomposerEEE10hipError_tT1_T2_PT3_SE_jT4_jjP12ihipStream_tbEUlT_E_NS1_11comp_targetILNS1_3genE4ELNS1_11target_archE910ELNS1_3gpuE8ELNS1_3repE0EEENS1_52radix_sort_onesweep_histogram_config_static_selectorELNS0_4arch9wavefront6targetE1EEEvSC_
    .private_segment_fixed_size: 0
    .sgpr_count:     22
    .sgpr_spill_count: 0
    .symbol:         _ZN7rocprim17ROCPRIM_400000_NS6detail17trampoline_kernelINS0_14default_configENS1_35radix_sort_onesweep_config_selectorIlNS0_10empty_typeEEEZNS1_34radix_sort_onesweep_global_offsetsIS3_Lb1EPlPS5_mNS0_19identity_decomposerEEE10hipError_tT1_T2_PT3_SE_jT4_jjP12ihipStream_tbEUlT_E_NS1_11comp_targetILNS1_3genE4ELNS1_11target_archE910ELNS1_3gpuE8ELNS1_3repE0EEENS1_52radix_sort_onesweep_histogram_config_static_selectorELNS0_4arch9wavefront6targetE1EEEvSC_.kd
    .uniform_work_group_size: 1
    .uses_dynamic_stack: false
    .vgpr_count:     30
    .vgpr_spill_count: 0
    .wavefront_size: 64
  - .agpr_count:     0
    .args:
      - .offset:         0
        .size:           48
        .value_kind:     by_value
    .group_segment_fixed_size: 0
    .kernarg_segment_align: 8
    .kernarg_segment_size: 48
    .language:       OpenCL C
    .language_version:
      - 2
      - 0
    .max_flat_workgroup_size: 512
    .name:           _ZN7rocprim17ROCPRIM_400000_NS6detail17trampoline_kernelINS0_14default_configENS1_35radix_sort_onesweep_config_selectorIlNS0_10empty_typeEEEZNS1_34radix_sort_onesweep_global_offsetsIS3_Lb1EPlPS5_mNS0_19identity_decomposerEEE10hipError_tT1_T2_PT3_SE_jT4_jjP12ihipStream_tbEUlT_E_NS1_11comp_targetILNS1_3genE3ELNS1_11target_archE908ELNS1_3gpuE7ELNS1_3repE0EEENS1_52radix_sort_onesweep_histogram_config_static_selectorELNS0_4arch9wavefront6targetE1EEEvSC_
    .private_segment_fixed_size: 0
    .sgpr_count:     4
    .sgpr_spill_count: 0
    .symbol:         _ZN7rocprim17ROCPRIM_400000_NS6detail17trampoline_kernelINS0_14default_configENS1_35radix_sort_onesweep_config_selectorIlNS0_10empty_typeEEEZNS1_34radix_sort_onesweep_global_offsetsIS3_Lb1EPlPS5_mNS0_19identity_decomposerEEE10hipError_tT1_T2_PT3_SE_jT4_jjP12ihipStream_tbEUlT_E_NS1_11comp_targetILNS1_3genE3ELNS1_11target_archE908ELNS1_3gpuE7ELNS1_3repE0EEENS1_52radix_sort_onesweep_histogram_config_static_selectorELNS0_4arch9wavefront6targetE1EEEvSC_.kd
    .uniform_work_group_size: 1
    .uses_dynamic_stack: false
    .vgpr_count:     0
    .vgpr_spill_count: 0
    .wavefront_size: 64
  - .agpr_count:     0
    .args:
      - .offset:         0
        .size:           48
        .value_kind:     by_value
    .group_segment_fixed_size: 0
    .kernarg_segment_align: 8
    .kernarg_segment_size: 48
    .language:       OpenCL C
    .language_version:
      - 2
      - 0
    .max_flat_workgroup_size: 512
    .name:           _ZN7rocprim17ROCPRIM_400000_NS6detail17trampoline_kernelINS0_14default_configENS1_35radix_sort_onesweep_config_selectorIlNS0_10empty_typeEEEZNS1_34radix_sort_onesweep_global_offsetsIS3_Lb1EPlPS5_mNS0_19identity_decomposerEEE10hipError_tT1_T2_PT3_SE_jT4_jjP12ihipStream_tbEUlT_E_NS1_11comp_targetILNS1_3genE10ELNS1_11target_archE1201ELNS1_3gpuE5ELNS1_3repE0EEENS1_52radix_sort_onesweep_histogram_config_static_selectorELNS0_4arch9wavefront6targetE1EEEvSC_
    .private_segment_fixed_size: 0
    .sgpr_count:     4
    .sgpr_spill_count: 0
    .symbol:         _ZN7rocprim17ROCPRIM_400000_NS6detail17trampoline_kernelINS0_14default_configENS1_35radix_sort_onesweep_config_selectorIlNS0_10empty_typeEEEZNS1_34radix_sort_onesweep_global_offsetsIS3_Lb1EPlPS5_mNS0_19identity_decomposerEEE10hipError_tT1_T2_PT3_SE_jT4_jjP12ihipStream_tbEUlT_E_NS1_11comp_targetILNS1_3genE10ELNS1_11target_archE1201ELNS1_3gpuE5ELNS1_3repE0EEENS1_52radix_sort_onesweep_histogram_config_static_selectorELNS0_4arch9wavefront6targetE1EEEvSC_.kd
    .uniform_work_group_size: 1
    .uses_dynamic_stack: false
    .vgpr_count:     0
    .vgpr_spill_count: 0
    .wavefront_size: 64
  - .agpr_count:     0
    .args:
      - .offset:         0
        .size:           48
        .value_kind:     by_value
    .group_segment_fixed_size: 0
    .kernarg_segment_align: 8
    .kernarg_segment_size: 48
    .language:       OpenCL C
    .language_version:
      - 2
      - 0
    .max_flat_workgroup_size: 1024
    .name:           _ZN7rocprim17ROCPRIM_400000_NS6detail17trampoline_kernelINS0_14default_configENS1_35radix_sort_onesweep_config_selectorIlNS0_10empty_typeEEEZNS1_34radix_sort_onesweep_global_offsetsIS3_Lb1EPlPS5_mNS0_19identity_decomposerEEE10hipError_tT1_T2_PT3_SE_jT4_jjP12ihipStream_tbEUlT_E_NS1_11comp_targetILNS1_3genE9ELNS1_11target_archE1100ELNS1_3gpuE3ELNS1_3repE0EEENS1_52radix_sort_onesweep_histogram_config_static_selectorELNS0_4arch9wavefront6targetE1EEEvSC_
    .private_segment_fixed_size: 0
    .sgpr_count:     4
    .sgpr_spill_count: 0
    .symbol:         _ZN7rocprim17ROCPRIM_400000_NS6detail17trampoline_kernelINS0_14default_configENS1_35radix_sort_onesweep_config_selectorIlNS0_10empty_typeEEEZNS1_34radix_sort_onesweep_global_offsetsIS3_Lb1EPlPS5_mNS0_19identity_decomposerEEE10hipError_tT1_T2_PT3_SE_jT4_jjP12ihipStream_tbEUlT_E_NS1_11comp_targetILNS1_3genE9ELNS1_11target_archE1100ELNS1_3gpuE3ELNS1_3repE0EEENS1_52radix_sort_onesweep_histogram_config_static_selectorELNS0_4arch9wavefront6targetE1EEEvSC_.kd
    .uniform_work_group_size: 1
    .uses_dynamic_stack: false
    .vgpr_count:     0
    .vgpr_spill_count: 0
    .wavefront_size: 64
  - .agpr_count:     0
    .args:
      - .offset:         0
        .size:           48
        .value_kind:     by_value
    .group_segment_fixed_size: 0
    .kernarg_segment_align: 8
    .kernarg_segment_size: 48
    .language:       OpenCL C
    .language_version:
      - 2
      - 0
    .max_flat_workgroup_size: 1024
    .name:           _ZN7rocprim17ROCPRIM_400000_NS6detail17trampoline_kernelINS0_14default_configENS1_35radix_sort_onesweep_config_selectorIlNS0_10empty_typeEEEZNS1_34radix_sort_onesweep_global_offsetsIS3_Lb1EPlPS5_mNS0_19identity_decomposerEEE10hipError_tT1_T2_PT3_SE_jT4_jjP12ihipStream_tbEUlT_E_NS1_11comp_targetILNS1_3genE8ELNS1_11target_archE1030ELNS1_3gpuE2ELNS1_3repE0EEENS1_52radix_sort_onesweep_histogram_config_static_selectorELNS0_4arch9wavefront6targetE1EEEvSC_
    .private_segment_fixed_size: 0
    .sgpr_count:     4
    .sgpr_spill_count: 0
    .symbol:         _ZN7rocprim17ROCPRIM_400000_NS6detail17trampoline_kernelINS0_14default_configENS1_35radix_sort_onesweep_config_selectorIlNS0_10empty_typeEEEZNS1_34radix_sort_onesweep_global_offsetsIS3_Lb1EPlPS5_mNS0_19identity_decomposerEEE10hipError_tT1_T2_PT3_SE_jT4_jjP12ihipStream_tbEUlT_E_NS1_11comp_targetILNS1_3genE8ELNS1_11target_archE1030ELNS1_3gpuE2ELNS1_3repE0EEENS1_52radix_sort_onesweep_histogram_config_static_selectorELNS0_4arch9wavefront6targetE1EEEvSC_.kd
    .uniform_work_group_size: 1
    .uses_dynamic_stack: false
    .vgpr_count:     0
    .vgpr_spill_count: 0
    .wavefront_size: 64
  - .agpr_count:     0
    .args:
      - .address_space:  global
        .offset:         0
        .size:           8
        .value_kind:     global_buffer
    .group_segment_fixed_size: 0
    .kernarg_segment_align: 8
    .kernarg_segment_size: 8
    .language:       OpenCL C
    .language_version:
      - 2
      - 0
    .max_flat_workgroup_size: 512
    .name:           _ZN7rocprim17ROCPRIM_400000_NS6detail17trampoline_kernelINS0_14default_configENS1_35radix_sort_onesweep_config_selectorIlNS0_10empty_typeEEEZNS1_34radix_sort_onesweep_global_offsetsIS3_Lb1EPlPS5_mNS0_19identity_decomposerEEE10hipError_tT1_T2_PT3_SE_jT4_jjP12ihipStream_tbEUlT_E0_NS1_11comp_targetILNS1_3genE0ELNS1_11target_archE4294967295ELNS1_3gpuE0ELNS1_3repE0EEENS1_52radix_sort_onesweep_histogram_config_static_selectorELNS0_4arch9wavefront6targetE1EEEvSC_
    .private_segment_fixed_size: 0
    .sgpr_count:     4
    .sgpr_spill_count: 0
    .symbol:         _ZN7rocprim17ROCPRIM_400000_NS6detail17trampoline_kernelINS0_14default_configENS1_35radix_sort_onesweep_config_selectorIlNS0_10empty_typeEEEZNS1_34radix_sort_onesweep_global_offsetsIS3_Lb1EPlPS5_mNS0_19identity_decomposerEEE10hipError_tT1_T2_PT3_SE_jT4_jjP12ihipStream_tbEUlT_E0_NS1_11comp_targetILNS1_3genE0ELNS1_11target_archE4294967295ELNS1_3gpuE0ELNS1_3repE0EEENS1_52radix_sort_onesweep_histogram_config_static_selectorELNS0_4arch9wavefront6targetE1EEEvSC_.kd
    .uniform_work_group_size: 1
    .uses_dynamic_stack: false
    .vgpr_count:     0
    .vgpr_spill_count: 0
    .wavefront_size: 64
  - .agpr_count:     0
    .args:
      - .address_space:  global
        .offset:         0
        .size:           8
        .value_kind:     global_buffer
    .group_segment_fixed_size: 0
    .kernarg_segment_align: 8
    .kernarg_segment_size: 8
    .language:       OpenCL C
    .language_version:
      - 2
      - 0
    .max_flat_workgroup_size: 512
    .name:           _ZN7rocprim17ROCPRIM_400000_NS6detail17trampoline_kernelINS0_14default_configENS1_35radix_sort_onesweep_config_selectorIlNS0_10empty_typeEEEZNS1_34radix_sort_onesweep_global_offsetsIS3_Lb1EPlPS5_mNS0_19identity_decomposerEEE10hipError_tT1_T2_PT3_SE_jT4_jjP12ihipStream_tbEUlT_E0_NS1_11comp_targetILNS1_3genE6ELNS1_11target_archE950ELNS1_3gpuE13ELNS1_3repE0EEENS1_52radix_sort_onesweep_histogram_config_static_selectorELNS0_4arch9wavefront6targetE1EEEvSC_
    .private_segment_fixed_size: 0
    .sgpr_count:     4
    .sgpr_spill_count: 0
    .symbol:         _ZN7rocprim17ROCPRIM_400000_NS6detail17trampoline_kernelINS0_14default_configENS1_35radix_sort_onesweep_config_selectorIlNS0_10empty_typeEEEZNS1_34radix_sort_onesweep_global_offsetsIS3_Lb1EPlPS5_mNS0_19identity_decomposerEEE10hipError_tT1_T2_PT3_SE_jT4_jjP12ihipStream_tbEUlT_E0_NS1_11comp_targetILNS1_3genE6ELNS1_11target_archE950ELNS1_3gpuE13ELNS1_3repE0EEENS1_52radix_sort_onesweep_histogram_config_static_selectorELNS0_4arch9wavefront6targetE1EEEvSC_.kd
    .uniform_work_group_size: 1
    .uses_dynamic_stack: false
    .vgpr_count:     0
    .vgpr_spill_count: 0
    .wavefront_size: 64
  - .agpr_count:     0
    .args:
      - .address_space:  global
        .offset:         0
        .size:           8
        .value_kind:     global_buffer
    .group_segment_fixed_size: 0
    .kernarg_segment_align: 8
    .kernarg_segment_size: 8
    .language:       OpenCL C
    .language_version:
      - 2
      - 0
    .max_flat_workgroup_size: 512
    .name:           _ZN7rocprim17ROCPRIM_400000_NS6detail17trampoline_kernelINS0_14default_configENS1_35radix_sort_onesweep_config_selectorIlNS0_10empty_typeEEEZNS1_34radix_sort_onesweep_global_offsetsIS3_Lb1EPlPS5_mNS0_19identity_decomposerEEE10hipError_tT1_T2_PT3_SE_jT4_jjP12ihipStream_tbEUlT_E0_NS1_11comp_targetILNS1_3genE5ELNS1_11target_archE942ELNS1_3gpuE9ELNS1_3repE0EEENS1_52radix_sort_onesweep_histogram_config_static_selectorELNS0_4arch9wavefront6targetE1EEEvSC_
    .private_segment_fixed_size: 0
    .sgpr_count:     4
    .sgpr_spill_count: 0
    .symbol:         _ZN7rocprim17ROCPRIM_400000_NS6detail17trampoline_kernelINS0_14default_configENS1_35radix_sort_onesweep_config_selectorIlNS0_10empty_typeEEEZNS1_34radix_sort_onesweep_global_offsetsIS3_Lb1EPlPS5_mNS0_19identity_decomposerEEE10hipError_tT1_T2_PT3_SE_jT4_jjP12ihipStream_tbEUlT_E0_NS1_11comp_targetILNS1_3genE5ELNS1_11target_archE942ELNS1_3gpuE9ELNS1_3repE0EEENS1_52radix_sort_onesweep_histogram_config_static_selectorELNS0_4arch9wavefront6targetE1EEEvSC_.kd
    .uniform_work_group_size: 1
    .uses_dynamic_stack: false
    .vgpr_count:     0
    .vgpr_spill_count: 0
    .wavefront_size: 64
  - .agpr_count:     0
    .args:
      - .address_space:  global
        .offset:         0
        .size:           8
        .value_kind:     global_buffer
    .group_segment_fixed_size: 0
    .kernarg_segment_align: 8
    .kernarg_segment_size: 8
    .language:       OpenCL C
    .language_version:
      - 2
      - 0
    .max_flat_workgroup_size: 512
    .name:           _ZN7rocprim17ROCPRIM_400000_NS6detail17trampoline_kernelINS0_14default_configENS1_35radix_sort_onesweep_config_selectorIlNS0_10empty_typeEEEZNS1_34radix_sort_onesweep_global_offsetsIS3_Lb1EPlPS5_mNS0_19identity_decomposerEEE10hipError_tT1_T2_PT3_SE_jT4_jjP12ihipStream_tbEUlT_E0_NS1_11comp_targetILNS1_3genE2ELNS1_11target_archE906ELNS1_3gpuE6ELNS1_3repE0EEENS1_52radix_sort_onesweep_histogram_config_static_selectorELNS0_4arch9wavefront6targetE1EEEvSC_
    .private_segment_fixed_size: 0
    .sgpr_count:     4
    .sgpr_spill_count: 0
    .symbol:         _ZN7rocprim17ROCPRIM_400000_NS6detail17trampoline_kernelINS0_14default_configENS1_35radix_sort_onesweep_config_selectorIlNS0_10empty_typeEEEZNS1_34radix_sort_onesweep_global_offsetsIS3_Lb1EPlPS5_mNS0_19identity_decomposerEEE10hipError_tT1_T2_PT3_SE_jT4_jjP12ihipStream_tbEUlT_E0_NS1_11comp_targetILNS1_3genE2ELNS1_11target_archE906ELNS1_3gpuE6ELNS1_3repE0EEENS1_52radix_sort_onesweep_histogram_config_static_selectorELNS0_4arch9wavefront6targetE1EEEvSC_.kd
    .uniform_work_group_size: 1
    .uses_dynamic_stack: false
    .vgpr_count:     0
    .vgpr_spill_count: 0
    .wavefront_size: 64
  - .agpr_count:     0
    .args:
      - .address_space:  global
        .offset:         0
        .size:           8
        .value_kind:     global_buffer
    .group_segment_fixed_size: 128
    .kernarg_segment_align: 8
    .kernarg_segment_size: 8
    .language:       OpenCL C
    .language_version:
      - 2
      - 0
    .max_flat_workgroup_size: 1024
    .name:           _ZN7rocprim17ROCPRIM_400000_NS6detail17trampoline_kernelINS0_14default_configENS1_35radix_sort_onesweep_config_selectorIlNS0_10empty_typeEEEZNS1_34radix_sort_onesweep_global_offsetsIS3_Lb1EPlPS5_mNS0_19identity_decomposerEEE10hipError_tT1_T2_PT3_SE_jT4_jjP12ihipStream_tbEUlT_E0_NS1_11comp_targetILNS1_3genE4ELNS1_11target_archE910ELNS1_3gpuE8ELNS1_3repE0EEENS1_52radix_sort_onesweep_histogram_config_static_selectorELNS0_4arch9wavefront6targetE1EEEvSC_
    .private_segment_fixed_size: 0
    .sgpr_count:     22
    .sgpr_spill_count: 0
    .symbol:         _ZN7rocprim17ROCPRIM_400000_NS6detail17trampoline_kernelINS0_14default_configENS1_35radix_sort_onesweep_config_selectorIlNS0_10empty_typeEEEZNS1_34radix_sort_onesweep_global_offsetsIS3_Lb1EPlPS5_mNS0_19identity_decomposerEEE10hipError_tT1_T2_PT3_SE_jT4_jjP12ihipStream_tbEUlT_E0_NS1_11comp_targetILNS1_3genE4ELNS1_11target_archE910ELNS1_3gpuE8ELNS1_3repE0EEENS1_52radix_sort_onesweep_histogram_config_static_selectorELNS0_4arch9wavefront6targetE1EEEvSC_.kd
    .uniform_work_group_size: 1
    .uses_dynamic_stack: false
    .vgpr_count:     13
    .vgpr_spill_count: 0
    .wavefront_size: 64
  - .agpr_count:     0
    .args:
      - .address_space:  global
        .offset:         0
        .size:           8
        .value_kind:     global_buffer
    .group_segment_fixed_size: 0
    .kernarg_segment_align: 8
    .kernarg_segment_size: 8
    .language:       OpenCL C
    .language_version:
      - 2
      - 0
    .max_flat_workgroup_size: 512
    .name:           _ZN7rocprim17ROCPRIM_400000_NS6detail17trampoline_kernelINS0_14default_configENS1_35radix_sort_onesweep_config_selectorIlNS0_10empty_typeEEEZNS1_34radix_sort_onesweep_global_offsetsIS3_Lb1EPlPS5_mNS0_19identity_decomposerEEE10hipError_tT1_T2_PT3_SE_jT4_jjP12ihipStream_tbEUlT_E0_NS1_11comp_targetILNS1_3genE3ELNS1_11target_archE908ELNS1_3gpuE7ELNS1_3repE0EEENS1_52radix_sort_onesweep_histogram_config_static_selectorELNS0_4arch9wavefront6targetE1EEEvSC_
    .private_segment_fixed_size: 0
    .sgpr_count:     4
    .sgpr_spill_count: 0
    .symbol:         _ZN7rocprim17ROCPRIM_400000_NS6detail17trampoline_kernelINS0_14default_configENS1_35radix_sort_onesweep_config_selectorIlNS0_10empty_typeEEEZNS1_34radix_sort_onesweep_global_offsetsIS3_Lb1EPlPS5_mNS0_19identity_decomposerEEE10hipError_tT1_T2_PT3_SE_jT4_jjP12ihipStream_tbEUlT_E0_NS1_11comp_targetILNS1_3genE3ELNS1_11target_archE908ELNS1_3gpuE7ELNS1_3repE0EEENS1_52radix_sort_onesweep_histogram_config_static_selectorELNS0_4arch9wavefront6targetE1EEEvSC_.kd
    .uniform_work_group_size: 1
    .uses_dynamic_stack: false
    .vgpr_count:     0
    .vgpr_spill_count: 0
    .wavefront_size: 64
  - .agpr_count:     0
    .args:
      - .address_space:  global
        .offset:         0
        .size:           8
        .value_kind:     global_buffer
    .group_segment_fixed_size: 0
    .kernarg_segment_align: 8
    .kernarg_segment_size: 8
    .language:       OpenCL C
    .language_version:
      - 2
      - 0
    .max_flat_workgroup_size: 512
    .name:           _ZN7rocprim17ROCPRIM_400000_NS6detail17trampoline_kernelINS0_14default_configENS1_35radix_sort_onesweep_config_selectorIlNS0_10empty_typeEEEZNS1_34radix_sort_onesweep_global_offsetsIS3_Lb1EPlPS5_mNS0_19identity_decomposerEEE10hipError_tT1_T2_PT3_SE_jT4_jjP12ihipStream_tbEUlT_E0_NS1_11comp_targetILNS1_3genE10ELNS1_11target_archE1201ELNS1_3gpuE5ELNS1_3repE0EEENS1_52radix_sort_onesweep_histogram_config_static_selectorELNS0_4arch9wavefront6targetE1EEEvSC_
    .private_segment_fixed_size: 0
    .sgpr_count:     4
    .sgpr_spill_count: 0
    .symbol:         _ZN7rocprim17ROCPRIM_400000_NS6detail17trampoline_kernelINS0_14default_configENS1_35radix_sort_onesweep_config_selectorIlNS0_10empty_typeEEEZNS1_34radix_sort_onesweep_global_offsetsIS3_Lb1EPlPS5_mNS0_19identity_decomposerEEE10hipError_tT1_T2_PT3_SE_jT4_jjP12ihipStream_tbEUlT_E0_NS1_11comp_targetILNS1_3genE10ELNS1_11target_archE1201ELNS1_3gpuE5ELNS1_3repE0EEENS1_52radix_sort_onesweep_histogram_config_static_selectorELNS0_4arch9wavefront6targetE1EEEvSC_.kd
    .uniform_work_group_size: 1
    .uses_dynamic_stack: false
    .vgpr_count:     0
    .vgpr_spill_count: 0
    .wavefront_size: 64
  - .agpr_count:     0
    .args:
      - .address_space:  global
        .offset:         0
        .size:           8
        .value_kind:     global_buffer
    .group_segment_fixed_size: 0
    .kernarg_segment_align: 8
    .kernarg_segment_size: 8
    .language:       OpenCL C
    .language_version:
      - 2
      - 0
    .max_flat_workgroup_size: 1024
    .name:           _ZN7rocprim17ROCPRIM_400000_NS6detail17trampoline_kernelINS0_14default_configENS1_35radix_sort_onesweep_config_selectorIlNS0_10empty_typeEEEZNS1_34radix_sort_onesweep_global_offsetsIS3_Lb1EPlPS5_mNS0_19identity_decomposerEEE10hipError_tT1_T2_PT3_SE_jT4_jjP12ihipStream_tbEUlT_E0_NS1_11comp_targetILNS1_3genE9ELNS1_11target_archE1100ELNS1_3gpuE3ELNS1_3repE0EEENS1_52radix_sort_onesweep_histogram_config_static_selectorELNS0_4arch9wavefront6targetE1EEEvSC_
    .private_segment_fixed_size: 0
    .sgpr_count:     4
    .sgpr_spill_count: 0
    .symbol:         _ZN7rocprim17ROCPRIM_400000_NS6detail17trampoline_kernelINS0_14default_configENS1_35radix_sort_onesweep_config_selectorIlNS0_10empty_typeEEEZNS1_34radix_sort_onesweep_global_offsetsIS3_Lb1EPlPS5_mNS0_19identity_decomposerEEE10hipError_tT1_T2_PT3_SE_jT4_jjP12ihipStream_tbEUlT_E0_NS1_11comp_targetILNS1_3genE9ELNS1_11target_archE1100ELNS1_3gpuE3ELNS1_3repE0EEENS1_52radix_sort_onesweep_histogram_config_static_selectorELNS0_4arch9wavefront6targetE1EEEvSC_.kd
    .uniform_work_group_size: 1
    .uses_dynamic_stack: false
    .vgpr_count:     0
    .vgpr_spill_count: 0
    .wavefront_size: 64
  - .agpr_count:     0
    .args:
      - .address_space:  global
        .offset:         0
        .size:           8
        .value_kind:     global_buffer
    .group_segment_fixed_size: 0
    .kernarg_segment_align: 8
    .kernarg_segment_size: 8
    .language:       OpenCL C
    .language_version:
      - 2
      - 0
    .max_flat_workgroup_size: 1024
    .name:           _ZN7rocprim17ROCPRIM_400000_NS6detail17trampoline_kernelINS0_14default_configENS1_35radix_sort_onesweep_config_selectorIlNS0_10empty_typeEEEZNS1_34radix_sort_onesweep_global_offsetsIS3_Lb1EPlPS5_mNS0_19identity_decomposerEEE10hipError_tT1_T2_PT3_SE_jT4_jjP12ihipStream_tbEUlT_E0_NS1_11comp_targetILNS1_3genE8ELNS1_11target_archE1030ELNS1_3gpuE2ELNS1_3repE0EEENS1_52radix_sort_onesweep_histogram_config_static_selectorELNS0_4arch9wavefront6targetE1EEEvSC_
    .private_segment_fixed_size: 0
    .sgpr_count:     4
    .sgpr_spill_count: 0
    .symbol:         _ZN7rocprim17ROCPRIM_400000_NS6detail17trampoline_kernelINS0_14default_configENS1_35radix_sort_onesweep_config_selectorIlNS0_10empty_typeEEEZNS1_34radix_sort_onesweep_global_offsetsIS3_Lb1EPlPS5_mNS0_19identity_decomposerEEE10hipError_tT1_T2_PT3_SE_jT4_jjP12ihipStream_tbEUlT_E0_NS1_11comp_targetILNS1_3genE8ELNS1_11target_archE1030ELNS1_3gpuE2ELNS1_3repE0EEENS1_52radix_sort_onesweep_histogram_config_static_selectorELNS0_4arch9wavefront6targetE1EEEvSC_.kd
    .uniform_work_group_size: 1
    .uses_dynamic_stack: false
    .vgpr_count:     0
    .vgpr_spill_count: 0
    .wavefront_size: 64
  - .agpr_count:     0
    .args:
      - .offset:         0
        .size:           88
        .value_kind:     by_value
    .group_segment_fixed_size: 0
    .kernarg_segment_align: 8
    .kernarg_segment_size: 88
    .language:       OpenCL C
    .language_version:
      - 2
      - 0
    .max_flat_workgroup_size: 512
    .name:           _ZN7rocprim17ROCPRIM_400000_NS6detail17trampoline_kernelINS0_14default_configENS1_35radix_sort_onesweep_config_selectorIlNS0_10empty_typeEEEZZNS1_29radix_sort_onesweep_iterationIS3_Lb1EPlS8_PS5_S9_mNS0_19identity_decomposerENS1_16block_id_wrapperIjLb1EEEEE10hipError_tT1_PNSt15iterator_traitsISE_E10value_typeET2_T3_PNSF_ISK_E10value_typeET4_T5_PSP_SQ_PNS1_23onesweep_lookback_stateEbbT6_jjT7_P12ihipStream_tbENKUlT_T0_SE_SJ_E_clIS8_S8_S9_S9_EEDaSX_SY_SE_SJ_EUlSX_E_NS1_11comp_targetILNS1_3genE0ELNS1_11target_archE4294967295ELNS1_3gpuE0ELNS1_3repE0EEENS1_47radix_sort_onesweep_sort_config_static_selectorELNS0_4arch9wavefront6targetE1EEEvSE_
    .private_segment_fixed_size: 0
    .sgpr_count:     4
    .sgpr_spill_count: 0
    .symbol:         _ZN7rocprim17ROCPRIM_400000_NS6detail17trampoline_kernelINS0_14default_configENS1_35radix_sort_onesweep_config_selectorIlNS0_10empty_typeEEEZZNS1_29radix_sort_onesweep_iterationIS3_Lb1EPlS8_PS5_S9_mNS0_19identity_decomposerENS1_16block_id_wrapperIjLb1EEEEE10hipError_tT1_PNSt15iterator_traitsISE_E10value_typeET2_T3_PNSF_ISK_E10value_typeET4_T5_PSP_SQ_PNS1_23onesweep_lookback_stateEbbT6_jjT7_P12ihipStream_tbENKUlT_T0_SE_SJ_E_clIS8_S8_S9_S9_EEDaSX_SY_SE_SJ_EUlSX_E_NS1_11comp_targetILNS1_3genE0ELNS1_11target_archE4294967295ELNS1_3gpuE0ELNS1_3repE0EEENS1_47radix_sort_onesweep_sort_config_static_selectorELNS0_4arch9wavefront6targetE1EEEvSE_.kd
    .uniform_work_group_size: 1
    .uses_dynamic_stack: false
    .vgpr_count:     0
    .vgpr_spill_count: 0
    .wavefront_size: 64
  - .agpr_count:     0
    .args:
      - .offset:         0
        .size:           88
        .value_kind:     by_value
    .group_segment_fixed_size: 0
    .kernarg_segment_align: 8
    .kernarg_segment_size: 88
    .language:       OpenCL C
    .language_version:
      - 2
      - 0
    .max_flat_workgroup_size: 512
    .name:           _ZN7rocprim17ROCPRIM_400000_NS6detail17trampoline_kernelINS0_14default_configENS1_35radix_sort_onesweep_config_selectorIlNS0_10empty_typeEEEZZNS1_29radix_sort_onesweep_iterationIS3_Lb1EPlS8_PS5_S9_mNS0_19identity_decomposerENS1_16block_id_wrapperIjLb1EEEEE10hipError_tT1_PNSt15iterator_traitsISE_E10value_typeET2_T3_PNSF_ISK_E10value_typeET4_T5_PSP_SQ_PNS1_23onesweep_lookback_stateEbbT6_jjT7_P12ihipStream_tbENKUlT_T0_SE_SJ_E_clIS8_S8_S9_S9_EEDaSX_SY_SE_SJ_EUlSX_E_NS1_11comp_targetILNS1_3genE6ELNS1_11target_archE950ELNS1_3gpuE13ELNS1_3repE0EEENS1_47radix_sort_onesweep_sort_config_static_selectorELNS0_4arch9wavefront6targetE1EEEvSE_
    .private_segment_fixed_size: 0
    .sgpr_count:     4
    .sgpr_spill_count: 0
    .symbol:         _ZN7rocprim17ROCPRIM_400000_NS6detail17trampoline_kernelINS0_14default_configENS1_35radix_sort_onesweep_config_selectorIlNS0_10empty_typeEEEZZNS1_29radix_sort_onesweep_iterationIS3_Lb1EPlS8_PS5_S9_mNS0_19identity_decomposerENS1_16block_id_wrapperIjLb1EEEEE10hipError_tT1_PNSt15iterator_traitsISE_E10value_typeET2_T3_PNSF_ISK_E10value_typeET4_T5_PSP_SQ_PNS1_23onesweep_lookback_stateEbbT6_jjT7_P12ihipStream_tbENKUlT_T0_SE_SJ_E_clIS8_S8_S9_S9_EEDaSX_SY_SE_SJ_EUlSX_E_NS1_11comp_targetILNS1_3genE6ELNS1_11target_archE950ELNS1_3gpuE13ELNS1_3repE0EEENS1_47radix_sort_onesweep_sort_config_static_selectorELNS0_4arch9wavefront6targetE1EEEvSE_.kd
    .uniform_work_group_size: 1
    .uses_dynamic_stack: false
    .vgpr_count:     0
    .vgpr_spill_count: 0
    .wavefront_size: 64
  - .agpr_count:     0
    .args:
      - .offset:         0
        .size:           88
        .value_kind:     by_value
    .group_segment_fixed_size: 0
    .kernarg_segment_align: 8
    .kernarg_segment_size: 88
    .language:       OpenCL C
    .language_version:
      - 2
      - 0
    .max_flat_workgroup_size: 512
    .name:           _ZN7rocprim17ROCPRIM_400000_NS6detail17trampoline_kernelINS0_14default_configENS1_35radix_sort_onesweep_config_selectorIlNS0_10empty_typeEEEZZNS1_29radix_sort_onesweep_iterationIS3_Lb1EPlS8_PS5_S9_mNS0_19identity_decomposerENS1_16block_id_wrapperIjLb1EEEEE10hipError_tT1_PNSt15iterator_traitsISE_E10value_typeET2_T3_PNSF_ISK_E10value_typeET4_T5_PSP_SQ_PNS1_23onesweep_lookback_stateEbbT6_jjT7_P12ihipStream_tbENKUlT_T0_SE_SJ_E_clIS8_S8_S9_S9_EEDaSX_SY_SE_SJ_EUlSX_E_NS1_11comp_targetILNS1_3genE5ELNS1_11target_archE942ELNS1_3gpuE9ELNS1_3repE0EEENS1_47radix_sort_onesweep_sort_config_static_selectorELNS0_4arch9wavefront6targetE1EEEvSE_
    .private_segment_fixed_size: 0
    .sgpr_count:     4
    .sgpr_spill_count: 0
    .symbol:         _ZN7rocprim17ROCPRIM_400000_NS6detail17trampoline_kernelINS0_14default_configENS1_35radix_sort_onesweep_config_selectorIlNS0_10empty_typeEEEZZNS1_29radix_sort_onesweep_iterationIS3_Lb1EPlS8_PS5_S9_mNS0_19identity_decomposerENS1_16block_id_wrapperIjLb1EEEEE10hipError_tT1_PNSt15iterator_traitsISE_E10value_typeET2_T3_PNSF_ISK_E10value_typeET4_T5_PSP_SQ_PNS1_23onesweep_lookback_stateEbbT6_jjT7_P12ihipStream_tbENKUlT_T0_SE_SJ_E_clIS8_S8_S9_S9_EEDaSX_SY_SE_SJ_EUlSX_E_NS1_11comp_targetILNS1_3genE5ELNS1_11target_archE942ELNS1_3gpuE9ELNS1_3repE0EEENS1_47radix_sort_onesweep_sort_config_static_selectorELNS0_4arch9wavefront6targetE1EEEvSE_.kd
    .uniform_work_group_size: 1
    .uses_dynamic_stack: false
    .vgpr_count:     0
    .vgpr_spill_count: 0
    .wavefront_size: 64
  - .agpr_count:     0
    .args:
      - .offset:         0
        .size:           88
        .value_kind:     by_value
    .group_segment_fixed_size: 0
    .kernarg_segment_align: 8
    .kernarg_segment_size: 88
    .language:       OpenCL C
    .language_version:
      - 2
      - 0
    .max_flat_workgroup_size: 512
    .name:           _ZN7rocprim17ROCPRIM_400000_NS6detail17trampoline_kernelINS0_14default_configENS1_35radix_sort_onesweep_config_selectorIlNS0_10empty_typeEEEZZNS1_29radix_sort_onesweep_iterationIS3_Lb1EPlS8_PS5_S9_mNS0_19identity_decomposerENS1_16block_id_wrapperIjLb1EEEEE10hipError_tT1_PNSt15iterator_traitsISE_E10value_typeET2_T3_PNSF_ISK_E10value_typeET4_T5_PSP_SQ_PNS1_23onesweep_lookback_stateEbbT6_jjT7_P12ihipStream_tbENKUlT_T0_SE_SJ_E_clIS8_S8_S9_S9_EEDaSX_SY_SE_SJ_EUlSX_E_NS1_11comp_targetILNS1_3genE2ELNS1_11target_archE906ELNS1_3gpuE6ELNS1_3repE0EEENS1_47radix_sort_onesweep_sort_config_static_selectorELNS0_4arch9wavefront6targetE1EEEvSE_
    .private_segment_fixed_size: 0
    .sgpr_count:     4
    .sgpr_spill_count: 0
    .symbol:         _ZN7rocprim17ROCPRIM_400000_NS6detail17trampoline_kernelINS0_14default_configENS1_35radix_sort_onesweep_config_selectorIlNS0_10empty_typeEEEZZNS1_29radix_sort_onesweep_iterationIS3_Lb1EPlS8_PS5_S9_mNS0_19identity_decomposerENS1_16block_id_wrapperIjLb1EEEEE10hipError_tT1_PNSt15iterator_traitsISE_E10value_typeET2_T3_PNSF_ISK_E10value_typeET4_T5_PSP_SQ_PNS1_23onesweep_lookback_stateEbbT6_jjT7_P12ihipStream_tbENKUlT_T0_SE_SJ_E_clIS8_S8_S9_S9_EEDaSX_SY_SE_SJ_EUlSX_E_NS1_11comp_targetILNS1_3genE2ELNS1_11target_archE906ELNS1_3gpuE6ELNS1_3repE0EEENS1_47radix_sort_onesweep_sort_config_static_selectorELNS0_4arch9wavefront6targetE1EEEvSE_.kd
    .uniform_work_group_size: 1
    .uses_dynamic_stack: false
    .vgpr_count:     0
    .vgpr_spill_count: 0
    .wavefront_size: 64
  - .agpr_count:     0
    .args:
      - .offset:         0
        .size:           88
        .value_kind:     by_value
      - .offset:         88
        .size:           4
        .value_kind:     hidden_block_count_x
      - .offset:         92
        .size:           4
        .value_kind:     hidden_block_count_y
      - .offset:         96
        .size:           4
        .value_kind:     hidden_block_count_z
      - .offset:         100
        .size:           2
        .value_kind:     hidden_group_size_x
      - .offset:         102
        .size:           2
        .value_kind:     hidden_group_size_y
      - .offset:         104
        .size:           2
        .value_kind:     hidden_group_size_z
      - .offset:         106
        .size:           2
        .value_kind:     hidden_remainder_x
      - .offset:         108
        .size:           2
        .value_kind:     hidden_remainder_y
      - .offset:         110
        .size:           2
        .value_kind:     hidden_remainder_z
      - .offset:         128
        .size:           8
        .value_kind:     hidden_global_offset_x
      - .offset:         136
        .size:           8
        .value_kind:     hidden_global_offset_y
      - .offset:         144
        .size:           8
        .value_kind:     hidden_global_offset_z
      - .offset:         152
        .size:           2
        .value_kind:     hidden_grid_dims
    .group_segment_fixed_size: 20552
    .kernarg_segment_align: 8
    .kernarg_segment_size: 344
    .language:       OpenCL C
    .language_version:
      - 2
      - 0
    .max_flat_workgroup_size: 1024
    .name:           _ZN7rocprim17ROCPRIM_400000_NS6detail17trampoline_kernelINS0_14default_configENS1_35radix_sort_onesweep_config_selectorIlNS0_10empty_typeEEEZZNS1_29radix_sort_onesweep_iterationIS3_Lb1EPlS8_PS5_S9_mNS0_19identity_decomposerENS1_16block_id_wrapperIjLb1EEEEE10hipError_tT1_PNSt15iterator_traitsISE_E10value_typeET2_T3_PNSF_ISK_E10value_typeET4_T5_PSP_SQ_PNS1_23onesweep_lookback_stateEbbT6_jjT7_P12ihipStream_tbENKUlT_T0_SE_SJ_E_clIS8_S8_S9_S9_EEDaSX_SY_SE_SJ_EUlSX_E_NS1_11comp_targetILNS1_3genE4ELNS1_11target_archE910ELNS1_3gpuE8ELNS1_3repE0EEENS1_47radix_sort_onesweep_sort_config_static_selectorELNS0_4arch9wavefront6targetE1EEEvSE_
    .private_segment_fixed_size: 0
    .sgpr_count:     38
    .sgpr_spill_count: 0
    .symbol:         _ZN7rocprim17ROCPRIM_400000_NS6detail17trampoline_kernelINS0_14default_configENS1_35radix_sort_onesweep_config_selectorIlNS0_10empty_typeEEEZZNS1_29radix_sort_onesweep_iterationIS3_Lb1EPlS8_PS5_S9_mNS0_19identity_decomposerENS1_16block_id_wrapperIjLb1EEEEE10hipError_tT1_PNSt15iterator_traitsISE_E10value_typeET2_T3_PNSF_ISK_E10value_typeET4_T5_PSP_SQ_PNS1_23onesweep_lookback_stateEbbT6_jjT7_P12ihipStream_tbENKUlT_T0_SE_SJ_E_clIS8_S8_S9_S9_EEDaSX_SY_SE_SJ_EUlSX_E_NS1_11comp_targetILNS1_3genE4ELNS1_11target_archE910ELNS1_3gpuE8ELNS1_3repE0EEENS1_47radix_sort_onesweep_sort_config_static_selectorELNS0_4arch9wavefront6targetE1EEEvSE_.kd
    .uniform_work_group_size: 1
    .uses_dynamic_stack: false
    .vgpr_count:     55
    .vgpr_spill_count: 0
    .wavefront_size: 64
  - .agpr_count:     0
    .args:
      - .offset:         0
        .size:           88
        .value_kind:     by_value
    .group_segment_fixed_size: 0
    .kernarg_segment_align: 8
    .kernarg_segment_size: 88
    .language:       OpenCL C
    .language_version:
      - 2
      - 0
    .max_flat_workgroup_size: 512
    .name:           _ZN7rocprim17ROCPRIM_400000_NS6detail17trampoline_kernelINS0_14default_configENS1_35radix_sort_onesweep_config_selectorIlNS0_10empty_typeEEEZZNS1_29radix_sort_onesweep_iterationIS3_Lb1EPlS8_PS5_S9_mNS0_19identity_decomposerENS1_16block_id_wrapperIjLb1EEEEE10hipError_tT1_PNSt15iterator_traitsISE_E10value_typeET2_T3_PNSF_ISK_E10value_typeET4_T5_PSP_SQ_PNS1_23onesweep_lookback_stateEbbT6_jjT7_P12ihipStream_tbENKUlT_T0_SE_SJ_E_clIS8_S8_S9_S9_EEDaSX_SY_SE_SJ_EUlSX_E_NS1_11comp_targetILNS1_3genE3ELNS1_11target_archE908ELNS1_3gpuE7ELNS1_3repE0EEENS1_47radix_sort_onesweep_sort_config_static_selectorELNS0_4arch9wavefront6targetE1EEEvSE_
    .private_segment_fixed_size: 0
    .sgpr_count:     4
    .sgpr_spill_count: 0
    .symbol:         _ZN7rocprim17ROCPRIM_400000_NS6detail17trampoline_kernelINS0_14default_configENS1_35radix_sort_onesweep_config_selectorIlNS0_10empty_typeEEEZZNS1_29radix_sort_onesweep_iterationIS3_Lb1EPlS8_PS5_S9_mNS0_19identity_decomposerENS1_16block_id_wrapperIjLb1EEEEE10hipError_tT1_PNSt15iterator_traitsISE_E10value_typeET2_T3_PNSF_ISK_E10value_typeET4_T5_PSP_SQ_PNS1_23onesweep_lookback_stateEbbT6_jjT7_P12ihipStream_tbENKUlT_T0_SE_SJ_E_clIS8_S8_S9_S9_EEDaSX_SY_SE_SJ_EUlSX_E_NS1_11comp_targetILNS1_3genE3ELNS1_11target_archE908ELNS1_3gpuE7ELNS1_3repE0EEENS1_47radix_sort_onesweep_sort_config_static_selectorELNS0_4arch9wavefront6targetE1EEEvSE_.kd
    .uniform_work_group_size: 1
    .uses_dynamic_stack: false
    .vgpr_count:     0
    .vgpr_spill_count: 0
    .wavefront_size: 64
  - .agpr_count:     0
    .args:
      - .offset:         0
        .size:           88
        .value_kind:     by_value
    .group_segment_fixed_size: 0
    .kernarg_segment_align: 8
    .kernarg_segment_size: 88
    .language:       OpenCL C
    .language_version:
      - 2
      - 0
    .max_flat_workgroup_size: 512
    .name:           _ZN7rocprim17ROCPRIM_400000_NS6detail17trampoline_kernelINS0_14default_configENS1_35radix_sort_onesweep_config_selectorIlNS0_10empty_typeEEEZZNS1_29radix_sort_onesweep_iterationIS3_Lb1EPlS8_PS5_S9_mNS0_19identity_decomposerENS1_16block_id_wrapperIjLb1EEEEE10hipError_tT1_PNSt15iterator_traitsISE_E10value_typeET2_T3_PNSF_ISK_E10value_typeET4_T5_PSP_SQ_PNS1_23onesweep_lookback_stateEbbT6_jjT7_P12ihipStream_tbENKUlT_T0_SE_SJ_E_clIS8_S8_S9_S9_EEDaSX_SY_SE_SJ_EUlSX_E_NS1_11comp_targetILNS1_3genE10ELNS1_11target_archE1201ELNS1_3gpuE5ELNS1_3repE0EEENS1_47radix_sort_onesweep_sort_config_static_selectorELNS0_4arch9wavefront6targetE1EEEvSE_
    .private_segment_fixed_size: 0
    .sgpr_count:     4
    .sgpr_spill_count: 0
    .symbol:         _ZN7rocprim17ROCPRIM_400000_NS6detail17trampoline_kernelINS0_14default_configENS1_35radix_sort_onesweep_config_selectorIlNS0_10empty_typeEEEZZNS1_29radix_sort_onesweep_iterationIS3_Lb1EPlS8_PS5_S9_mNS0_19identity_decomposerENS1_16block_id_wrapperIjLb1EEEEE10hipError_tT1_PNSt15iterator_traitsISE_E10value_typeET2_T3_PNSF_ISK_E10value_typeET4_T5_PSP_SQ_PNS1_23onesweep_lookback_stateEbbT6_jjT7_P12ihipStream_tbENKUlT_T0_SE_SJ_E_clIS8_S8_S9_S9_EEDaSX_SY_SE_SJ_EUlSX_E_NS1_11comp_targetILNS1_3genE10ELNS1_11target_archE1201ELNS1_3gpuE5ELNS1_3repE0EEENS1_47radix_sort_onesweep_sort_config_static_selectorELNS0_4arch9wavefront6targetE1EEEvSE_.kd
    .uniform_work_group_size: 1
    .uses_dynamic_stack: false
    .vgpr_count:     0
    .vgpr_spill_count: 0
    .wavefront_size: 64
  - .agpr_count:     0
    .args:
      - .offset:         0
        .size:           88
        .value_kind:     by_value
    .group_segment_fixed_size: 0
    .kernarg_segment_align: 8
    .kernarg_segment_size: 88
    .language:       OpenCL C
    .language_version:
      - 2
      - 0
    .max_flat_workgroup_size: 1024
    .name:           _ZN7rocprim17ROCPRIM_400000_NS6detail17trampoline_kernelINS0_14default_configENS1_35radix_sort_onesweep_config_selectorIlNS0_10empty_typeEEEZZNS1_29radix_sort_onesweep_iterationIS3_Lb1EPlS8_PS5_S9_mNS0_19identity_decomposerENS1_16block_id_wrapperIjLb1EEEEE10hipError_tT1_PNSt15iterator_traitsISE_E10value_typeET2_T3_PNSF_ISK_E10value_typeET4_T5_PSP_SQ_PNS1_23onesweep_lookback_stateEbbT6_jjT7_P12ihipStream_tbENKUlT_T0_SE_SJ_E_clIS8_S8_S9_S9_EEDaSX_SY_SE_SJ_EUlSX_E_NS1_11comp_targetILNS1_3genE9ELNS1_11target_archE1100ELNS1_3gpuE3ELNS1_3repE0EEENS1_47radix_sort_onesweep_sort_config_static_selectorELNS0_4arch9wavefront6targetE1EEEvSE_
    .private_segment_fixed_size: 0
    .sgpr_count:     4
    .sgpr_spill_count: 0
    .symbol:         _ZN7rocprim17ROCPRIM_400000_NS6detail17trampoline_kernelINS0_14default_configENS1_35radix_sort_onesweep_config_selectorIlNS0_10empty_typeEEEZZNS1_29radix_sort_onesweep_iterationIS3_Lb1EPlS8_PS5_S9_mNS0_19identity_decomposerENS1_16block_id_wrapperIjLb1EEEEE10hipError_tT1_PNSt15iterator_traitsISE_E10value_typeET2_T3_PNSF_ISK_E10value_typeET4_T5_PSP_SQ_PNS1_23onesweep_lookback_stateEbbT6_jjT7_P12ihipStream_tbENKUlT_T0_SE_SJ_E_clIS8_S8_S9_S9_EEDaSX_SY_SE_SJ_EUlSX_E_NS1_11comp_targetILNS1_3genE9ELNS1_11target_archE1100ELNS1_3gpuE3ELNS1_3repE0EEENS1_47radix_sort_onesweep_sort_config_static_selectorELNS0_4arch9wavefront6targetE1EEEvSE_.kd
    .uniform_work_group_size: 1
    .uses_dynamic_stack: false
    .vgpr_count:     0
    .vgpr_spill_count: 0
    .wavefront_size: 64
  - .agpr_count:     0
    .args:
      - .offset:         0
        .size:           88
        .value_kind:     by_value
    .group_segment_fixed_size: 0
    .kernarg_segment_align: 8
    .kernarg_segment_size: 88
    .language:       OpenCL C
    .language_version:
      - 2
      - 0
    .max_flat_workgroup_size: 1024
    .name:           _ZN7rocprim17ROCPRIM_400000_NS6detail17trampoline_kernelINS0_14default_configENS1_35radix_sort_onesweep_config_selectorIlNS0_10empty_typeEEEZZNS1_29radix_sort_onesweep_iterationIS3_Lb1EPlS8_PS5_S9_mNS0_19identity_decomposerENS1_16block_id_wrapperIjLb1EEEEE10hipError_tT1_PNSt15iterator_traitsISE_E10value_typeET2_T3_PNSF_ISK_E10value_typeET4_T5_PSP_SQ_PNS1_23onesweep_lookback_stateEbbT6_jjT7_P12ihipStream_tbENKUlT_T0_SE_SJ_E_clIS8_S8_S9_S9_EEDaSX_SY_SE_SJ_EUlSX_E_NS1_11comp_targetILNS1_3genE8ELNS1_11target_archE1030ELNS1_3gpuE2ELNS1_3repE0EEENS1_47radix_sort_onesweep_sort_config_static_selectorELNS0_4arch9wavefront6targetE1EEEvSE_
    .private_segment_fixed_size: 0
    .sgpr_count:     4
    .sgpr_spill_count: 0
    .symbol:         _ZN7rocprim17ROCPRIM_400000_NS6detail17trampoline_kernelINS0_14default_configENS1_35radix_sort_onesweep_config_selectorIlNS0_10empty_typeEEEZZNS1_29radix_sort_onesweep_iterationIS3_Lb1EPlS8_PS5_S9_mNS0_19identity_decomposerENS1_16block_id_wrapperIjLb1EEEEE10hipError_tT1_PNSt15iterator_traitsISE_E10value_typeET2_T3_PNSF_ISK_E10value_typeET4_T5_PSP_SQ_PNS1_23onesweep_lookback_stateEbbT6_jjT7_P12ihipStream_tbENKUlT_T0_SE_SJ_E_clIS8_S8_S9_S9_EEDaSX_SY_SE_SJ_EUlSX_E_NS1_11comp_targetILNS1_3genE8ELNS1_11target_archE1030ELNS1_3gpuE2ELNS1_3repE0EEENS1_47radix_sort_onesweep_sort_config_static_selectorELNS0_4arch9wavefront6targetE1EEEvSE_.kd
    .uniform_work_group_size: 1
    .uses_dynamic_stack: false
    .vgpr_count:     0
    .vgpr_spill_count: 0
    .wavefront_size: 64
  - .agpr_count:     0
    .args:
      - .offset:         0
        .size:           88
        .value_kind:     by_value
    .group_segment_fixed_size: 0
    .kernarg_segment_align: 8
    .kernarg_segment_size: 88
    .language:       OpenCL C
    .language_version:
      - 2
      - 0
    .max_flat_workgroup_size: 512
    .name:           _ZN7rocprim17ROCPRIM_400000_NS6detail17trampoline_kernelINS0_14default_configENS1_35radix_sort_onesweep_config_selectorIlNS0_10empty_typeEEEZZNS1_29radix_sort_onesweep_iterationIS3_Lb1EPlS8_PS5_S9_mNS0_19identity_decomposerENS1_16block_id_wrapperIjLb0EEEEE10hipError_tT1_PNSt15iterator_traitsISE_E10value_typeET2_T3_PNSF_ISK_E10value_typeET4_T5_PSP_SQ_PNS1_23onesweep_lookback_stateEbbT6_jjT7_P12ihipStream_tbENKUlT_T0_SE_SJ_E_clIS8_S8_S9_S9_EEDaSX_SY_SE_SJ_EUlSX_E_NS1_11comp_targetILNS1_3genE0ELNS1_11target_archE4294967295ELNS1_3gpuE0ELNS1_3repE0EEENS1_47radix_sort_onesweep_sort_config_static_selectorELNS0_4arch9wavefront6targetE1EEEvSE_
    .private_segment_fixed_size: 0
    .sgpr_count:     4
    .sgpr_spill_count: 0
    .symbol:         _ZN7rocprim17ROCPRIM_400000_NS6detail17trampoline_kernelINS0_14default_configENS1_35radix_sort_onesweep_config_selectorIlNS0_10empty_typeEEEZZNS1_29radix_sort_onesweep_iterationIS3_Lb1EPlS8_PS5_S9_mNS0_19identity_decomposerENS1_16block_id_wrapperIjLb0EEEEE10hipError_tT1_PNSt15iterator_traitsISE_E10value_typeET2_T3_PNSF_ISK_E10value_typeET4_T5_PSP_SQ_PNS1_23onesweep_lookback_stateEbbT6_jjT7_P12ihipStream_tbENKUlT_T0_SE_SJ_E_clIS8_S8_S9_S9_EEDaSX_SY_SE_SJ_EUlSX_E_NS1_11comp_targetILNS1_3genE0ELNS1_11target_archE4294967295ELNS1_3gpuE0ELNS1_3repE0EEENS1_47radix_sort_onesweep_sort_config_static_selectorELNS0_4arch9wavefront6targetE1EEEvSE_.kd
    .uniform_work_group_size: 1
    .uses_dynamic_stack: false
    .vgpr_count:     0
    .vgpr_spill_count: 0
    .wavefront_size: 64
  - .agpr_count:     0
    .args:
      - .offset:         0
        .size:           88
        .value_kind:     by_value
    .group_segment_fixed_size: 0
    .kernarg_segment_align: 8
    .kernarg_segment_size: 88
    .language:       OpenCL C
    .language_version:
      - 2
      - 0
    .max_flat_workgroup_size: 512
    .name:           _ZN7rocprim17ROCPRIM_400000_NS6detail17trampoline_kernelINS0_14default_configENS1_35radix_sort_onesweep_config_selectorIlNS0_10empty_typeEEEZZNS1_29radix_sort_onesweep_iterationIS3_Lb1EPlS8_PS5_S9_mNS0_19identity_decomposerENS1_16block_id_wrapperIjLb0EEEEE10hipError_tT1_PNSt15iterator_traitsISE_E10value_typeET2_T3_PNSF_ISK_E10value_typeET4_T5_PSP_SQ_PNS1_23onesweep_lookback_stateEbbT6_jjT7_P12ihipStream_tbENKUlT_T0_SE_SJ_E_clIS8_S8_S9_S9_EEDaSX_SY_SE_SJ_EUlSX_E_NS1_11comp_targetILNS1_3genE6ELNS1_11target_archE950ELNS1_3gpuE13ELNS1_3repE0EEENS1_47radix_sort_onesweep_sort_config_static_selectorELNS0_4arch9wavefront6targetE1EEEvSE_
    .private_segment_fixed_size: 0
    .sgpr_count:     4
    .sgpr_spill_count: 0
    .symbol:         _ZN7rocprim17ROCPRIM_400000_NS6detail17trampoline_kernelINS0_14default_configENS1_35radix_sort_onesweep_config_selectorIlNS0_10empty_typeEEEZZNS1_29radix_sort_onesweep_iterationIS3_Lb1EPlS8_PS5_S9_mNS0_19identity_decomposerENS1_16block_id_wrapperIjLb0EEEEE10hipError_tT1_PNSt15iterator_traitsISE_E10value_typeET2_T3_PNSF_ISK_E10value_typeET4_T5_PSP_SQ_PNS1_23onesweep_lookback_stateEbbT6_jjT7_P12ihipStream_tbENKUlT_T0_SE_SJ_E_clIS8_S8_S9_S9_EEDaSX_SY_SE_SJ_EUlSX_E_NS1_11comp_targetILNS1_3genE6ELNS1_11target_archE950ELNS1_3gpuE13ELNS1_3repE0EEENS1_47radix_sort_onesweep_sort_config_static_selectorELNS0_4arch9wavefront6targetE1EEEvSE_.kd
    .uniform_work_group_size: 1
    .uses_dynamic_stack: false
    .vgpr_count:     0
    .vgpr_spill_count: 0
    .wavefront_size: 64
  - .agpr_count:     0
    .args:
      - .offset:         0
        .size:           88
        .value_kind:     by_value
    .group_segment_fixed_size: 0
    .kernarg_segment_align: 8
    .kernarg_segment_size: 88
    .language:       OpenCL C
    .language_version:
      - 2
      - 0
    .max_flat_workgroup_size: 512
    .name:           _ZN7rocprim17ROCPRIM_400000_NS6detail17trampoline_kernelINS0_14default_configENS1_35radix_sort_onesweep_config_selectorIlNS0_10empty_typeEEEZZNS1_29radix_sort_onesweep_iterationIS3_Lb1EPlS8_PS5_S9_mNS0_19identity_decomposerENS1_16block_id_wrapperIjLb0EEEEE10hipError_tT1_PNSt15iterator_traitsISE_E10value_typeET2_T3_PNSF_ISK_E10value_typeET4_T5_PSP_SQ_PNS1_23onesweep_lookback_stateEbbT6_jjT7_P12ihipStream_tbENKUlT_T0_SE_SJ_E_clIS8_S8_S9_S9_EEDaSX_SY_SE_SJ_EUlSX_E_NS1_11comp_targetILNS1_3genE5ELNS1_11target_archE942ELNS1_3gpuE9ELNS1_3repE0EEENS1_47radix_sort_onesweep_sort_config_static_selectorELNS0_4arch9wavefront6targetE1EEEvSE_
    .private_segment_fixed_size: 0
    .sgpr_count:     4
    .sgpr_spill_count: 0
    .symbol:         _ZN7rocprim17ROCPRIM_400000_NS6detail17trampoline_kernelINS0_14default_configENS1_35radix_sort_onesweep_config_selectorIlNS0_10empty_typeEEEZZNS1_29radix_sort_onesweep_iterationIS3_Lb1EPlS8_PS5_S9_mNS0_19identity_decomposerENS1_16block_id_wrapperIjLb0EEEEE10hipError_tT1_PNSt15iterator_traitsISE_E10value_typeET2_T3_PNSF_ISK_E10value_typeET4_T5_PSP_SQ_PNS1_23onesweep_lookback_stateEbbT6_jjT7_P12ihipStream_tbENKUlT_T0_SE_SJ_E_clIS8_S8_S9_S9_EEDaSX_SY_SE_SJ_EUlSX_E_NS1_11comp_targetILNS1_3genE5ELNS1_11target_archE942ELNS1_3gpuE9ELNS1_3repE0EEENS1_47radix_sort_onesweep_sort_config_static_selectorELNS0_4arch9wavefront6targetE1EEEvSE_.kd
    .uniform_work_group_size: 1
    .uses_dynamic_stack: false
    .vgpr_count:     0
    .vgpr_spill_count: 0
    .wavefront_size: 64
  - .agpr_count:     0
    .args:
      - .offset:         0
        .size:           88
        .value_kind:     by_value
    .group_segment_fixed_size: 0
    .kernarg_segment_align: 8
    .kernarg_segment_size: 88
    .language:       OpenCL C
    .language_version:
      - 2
      - 0
    .max_flat_workgroup_size: 512
    .name:           _ZN7rocprim17ROCPRIM_400000_NS6detail17trampoline_kernelINS0_14default_configENS1_35radix_sort_onesweep_config_selectorIlNS0_10empty_typeEEEZZNS1_29radix_sort_onesweep_iterationIS3_Lb1EPlS8_PS5_S9_mNS0_19identity_decomposerENS1_16block_id_wrapperIjLb0EEEEE10hipError_tT1_PNSt15iterator_traitsISE_E10value_typeET2_T3_PNSF_ISK_E10value_typeET4_T5_PSP_SQ_PNS1_23onesweep_lookback_stateEbbT6_jjT7_P12ihipStream_tbENKUlT_T0_SE_SJ_E_clIS8_S8_S9_S9_EEDaSX_SY_SE_SJ_EUlSX_E_NS1_11comp_targetILNS1_3genE2ELNS1_11target_archE906ELNS1_3gpuE6ELNS1_3repE0EEENS1_47radix_sort_onesweep_sort_config_static_selectorELNS0_4arch9wavefront6targetE1EEEvSE_
    .private_segment_fixed_size: 0
    .sgpr_count:     4
    .sgpr_spill_count: 0
    .symbol:         _ZN7rocprim17ROCPRIM_400000_NS6detail17trampoline_kernelINS0_14default_configENS1_35radix_sort_onesweep_config_selectorIlNS0_10empty_typeEEEZZNS1_29radix_sort_onesweep_iterationIS3_Lb1EPlS8_PS5_S9_mNS0_19identity_decomposerENS1_16block_id_wrapperIjLb0EEEEE10hipError_tT1_PNSt15iterator_traitsISE_E10value_typeET2_T3_PNSF_ISK_E10value_typeET4_T5_PSP_SQ_PNS1_23onesweep_lookback_stateEbbT6_jjT7_P12ihipStream_tbENKUlT_T0_SE_SJ_E_clIS8_S8_S9_S9_EEDaSX_SY_SE_SJ_EUlSX_E_NS1_11comp_targetILNS1_3genE2ELNS1_11target_archE906ELNS1_3gpuE6ELNS1_3repE0EEENS1_47radix_sort_onesweep_sort_config_static_selectorELNS0_4arch9wavefront6targetE1EEEvSE_.kd
    .uniform_work_group_size: 1
    .uses_dynamic_stack: false
    .vgpr_count:     0
    .vgpr_spill_count: 0
    .wavefront_size: 64
  - .agpr_count:     0
    .args:
      - .offset:         0
        .size:           88
        .value_kind:     by_value
      - .offset:         88
        .size:           4
        .value_kind:     hidden_block_count_x
      - .offset:         92
        .size:           4
        .value_kind:     hidden_block_count_y
      - .offset:         96
        .size:           4
        .value_kind:     hidden_block_count_z
      - .offset:         100
        .size:           2
        .value_kind:     hidden_group_size_x
      - .offset:         102
        .size:           2
        .value_kind:     hidden_group_size_y
      - .offset:         104
        .size:           2
        .value_kind:     hidden_group_size_z
      - .offset:         106
        .size:           2
        .value_kind:     hidden_remainder_x
      - .offset:         108
        .size:           2
        .value_kind:     hidden_remainder_y
      - .offset:         110
        .size:           2
        .value_kind:     hidden_remainder_z
      - .offset:         128
        .size:           8
        .value_kind:     hidden_global_offset_x
      - .offset:         136
        .size:           8
        .value_kind:     hidden_global_offset_y
      - .offset:         144
        .size:           8
        .value_kind:     hidden_global_offset_z
      - .offset:         152
        .size:           2
        .value_kind:     hidden_grid_dims
    .group_segment_fixed_size: 20552
    .kernarg_segment_align: 8
    .kernarg_segment_size: 344
    .language:       OpenCL C
    .language_version:
      - 2
      - 0
    .max_flat_workgroup_size: 1024
    .name:           _ZN7rocprim17ROCPRIM_400000_NS6detail17trampoline_kernelINS0_14default_configENS1_35radix_sort_onesweep_config_selectorIlNS0_10empty_typeEEEZZNS1_29radix_sort_onesweep_iterationIS3_Lb1EPlS8_PS5_S9_mNS0_19identity_decomposerENS1_16block_id_wrapperIjLb0EEEEE10hipError_tT1_PNSt15iterator_traitsISE_E10value_typeET2_T3_PNSF_ISK_E10value_typeET4_T5_PSP_SQ_PNS1_23onesweep_lookback_stateEbbT6_jjT7_P12ihipStream_tbENKUlT_T0_SE_SJ_E_clIS8_S8_S9_S9_EEDaSX_SY_SE_SJ_EUlSX_E_NS1_11comp_targetILNS1_3genE4ELNS1_11target_archE910ELNS1_3gpuE8ELNS1_3repE0EEENS1_47radix_sort_onesweep_sort_config_static_selectorELNS0_4arch9wavefront6targetE1EEEvSE_
    .private_segment_fixed_size: 0
    .sgpr_count:     34
    .sgpr_spill_count: 0
    .symbol:         _ZN7rocprim17ROCPRIM_400000_NS6detail17trampoline_kernelINS0_14default_configENS1_35radix_sort_onesweep_config_selectorIlNS0_10empty_typeEEEZZNS1_29radix_sort_onesweep_iterationIS3_Lb1EPlS8_PS5_S9_mNS0_19identity_decomposerENS1_16block_id_wrapperIjLb0EEEEE10hipError_tT1_PNSt15iterator_traitsISE_E10value_typeET2_T3_PNSF_ISK_E10value_typeET4_T5_PSP_SQ_PNS1_23onesweep_lookback_stateEbbT6_jjT7_P12ihipStream_tbENKUlT_T0_SE_SJ_E_clIS8_S8_S9_S9_EEDaSX_SY_SE_SJ_EUlSX_E_NS1_11comp_targetILNS1_3genE4ELNS1_11target_archE910ELNS1_3gpuE8ELNS1_3repE0EEENS1_47radix_sort_onesweep_sort_config_static_selectorELNS0_4arch9wavefront6targetE1EEEvSE_.kd
    .uniform_work_group_size: 1
    .uses_dynamic_stack: false
    .vgpr_count:     55
    .vgpr_spill_count: 0
    .wavefront_size: 64
  - .agpr_count:     0
    .args:
      - .offset:         0
        .size:           88
        .value_kind:     by_value
    .group_segment_fixed_size: 0
    .kernarg_segment_align: 8
    .kernarg_segment_size: 88
    .language:       OpenCL C
    .language_version:
      - 2
      - 0
    .max_flat_workgroup_size: 512
    .name:           _ZN7rocprim17ROCPRIM_400000_NS6detail17trampoline_kernelINS0_14default_configENS1_35radix_sort_onesweep_config_selectorIlNS0_10empty_typeEEEZZNS1_29radix_sort_onesweep_iterationIS3_Lb1EPlS8_PS5_S9_mNS0_19identity_decomposerENS1_16block_id_wrapperIjLb0EEEEE10hipError_tT1_PNSt15iterator_traitsISE_E10value_typeET2_T3_PNSF_ISK_E10value_typeET4_T5_PSP_SQ_PNS1_23onesweep_lookback_stateEbbT6_jjT7_P12ihipStream_tbENKUlT_T0_SE_SJ_E_clIS8_S8_S9_S9_EEDaSX_SY_SE_SJ_EUlSX_E_NS1_11comp_targetILNS1_3genE3ELNS1_11target_archE908ELNS1_3gpuE7ELNS1_3repE0EEENS1_47radix_sort_onesweep_sort_config_static_selectorELNS0_4arch9wavefront6targetE1EEEvSE_
    .private_segment_fixed_size: 0
    .sgpr_count:     4
    .sgpr_spill_count: 0
    .symbol:         _ZN7rocprim17ROCPRIM_400000_NS6detail17trampoline_kernelINS0_14default_configENS1_35radix_sort_onesweep_config_selectorIlNS0_10empty_typeEEEZZNS1_29radix_sort_onesweep_iterationIS3_Lb1EPlS8_PS5_S9_mNS0_19identity_decomposerENS1_16block_id_wrapperIjLb0EEEEE10hipError_tT1_PNSt15iterator_traitsISE_E10value_typeET2_T3_PNSF_ISK_E10value_typeET4_T5_PSP_SQ_PNS1_23onesweep_lookback_stateEbbT6_jjT7_P12ihipStream_tbENKUlT_T0_SE_SJ_E_clIS8_S8_S9_S9_EEDaSX_SY_SE_SJ_EUlSX_E_NS1_11comp_targetILNS1_3genE3ELNS1_11target_archE908ELNS1_3gpuE7ELNS1_3repE0EEENS1_47radix_sort_onesweep_sort_config_static_selectorELNS0_4arch9wavefront6targetE1EEEvSE_.kd
    .uniform_work_group_size: 1
    .uses_dynamic_stack: false
    .vgpr_count:     0
    .vgpr_spill_count: 0
    .wavefront_size: 64
  - .agpr_count:     0
    .args:
      - .offset:         0
        .size:           88
        .value_kind:     by_value
    .group_segment_fixed_size: 0
    .kernarg_segment_align: 8
    .kernarg_segment_size: 88
    .language:       OpenCL C
    .language_version:
      - 2
      - 0
    .max_flat_workgroup_size: 512
    .name:           _ZN7rocprim17ROCPRIM_400000_NS6detail17trampoline_kernelINS0_14default_configENS1_35radix_sort_onesweep_config_selectorIlNS0_10empty_typeEEEZZNS1_29radix_sort_onesweep_iterationIS3_Lb1EPlS8_PS5_S9_mNS0_19identity_decomposerENS1_16block_id_wrapperIjLb0EEEEE10hipError_tT1_PNSt15iterator_traitsISE_E10value_typeET2_T3_PNSF_ISK_E10value_typeET4_T5_PSP_SQ_PNS1_23onesweep_lookback_stateEbbT6_jjT7_P12ihipStream_tbENKUlT_T0_SE_SJ_E_clIS8_S8_S9_S9_EEDaSX_SY_SE_SJ_EUlSX_E_NS1_11comp_targetILNS1_3genE10ELNS1_11target_archE1201ELNS1_3gpuE5ELNS1_3repE0EEENS1_47radix_sort_onesweep_sort_config_static_selectorELNS0_4arch9wavefront6targetE1EEEvSE_
    .private_segment_fixed_size: 0
    .sgpr_count:     4
    .sgpr_spill_count: 0
    .symbol:         _ZN7rocprim17ROCPRIM_400000_NS6detail17trampoline_kernelINS0_14default_configENS1_35radix_sort_onesweep_config_selectorIlNS0_10empty_typeEEEZZNS1_29radix_sort_onesweep_iterationIS3_Lb1EPlS8_PS5_S9_mNS0_19identity_decomposerENS1_16block_id_wrapperIjLb0EEEEE10hipError_tT1_PNSt15iterator_traitsISE_E10value_typeET2_T3_PNSF_ISK_E10value_typeET4_T5_PSP_SQ_PNS1_23onesweep_lookback_stateEbbT6_jjT7_P12ihipStream_tbENKUlT_T0_SE_SJ_E_clIS8_S8_S9_S9_EEDaSX_SY_SE_SJ_EUlSX_E_NS1_11comp_targetILNS1_3genE10ELNS1_11target_archE1201ELNS1_3gpuE5ELNS1_3repE0EEENS1_47radix_sort_onesweep_sort_config_static_selectorELNS0_4arch9wavefront6targetE1EEEvSE_.kd
    .uniform_work_group_size: 1
    .uses_dynamic_stack: false
    .vgpr_count:     0
    .vgpr_spill_count: 0
    .wavefront_size: 64
  - .agpr_count:     0
    .args:
      - .offset:         0
        .size:           88
        .value_kind:     by_value
    .group_segment_fixed_size: 0
    .kernarg_segment_align: 8
    .kernarg_segment_size: 88
    .language:       OpenCL C
    .language_version:
      - 2
      - 0
    .max_flat_workgroup_size: 1024
    .name:           _ZN7rocprim17ROCPRIM_400000_NS6detail17trampoline_kernelINS0_14default_configENS1_35radix_sort_onesweep_config_selectorIlNS0_10empty_typeEEEZZNS1_29radix_sort_onesweep_iterationIS3_Lb1EPlS8_PS5_S9_mNS0_19identity_decomposerENS1_16block_id_wrapperIjLb0EEEEE10hipError_tT1_PNSt15iterator_traitsISE_E10value_typeET2_T3_PNSF_ISK_E10value_typeET4_T5_PSP_SQ_PNS1_23onesweep_lookback_stateEbbT6_jjT7_P12ihipStream_tbENKUlT_T0_SE_SJ_E_clIS8_S8_S9_S9_EEDaSX_SY_SE_SJ_EUlSX_E_NS1_11comp_targetILNS1_3genE9ELNS1_11target_archE1100ELNS1_3gpuE3ELNS1_3repE0EEENS1_47radix_sort_onesweep_sort_config_static_selectorELNS0_4arch9wavefront6targetE1EEEvSE_
    .private_segment_fixed_size: 0
    .sgpr_count:     4
    .sgpr_spill_count: 0
    .symbol:         _ZN7rocprim17ROCPRIM_400000_NS6detail17trampoline_kernelINS0_14default_configENS1_35radix_sort_onesweep_config_selectorIlNS0_10empty_typeEEEZZNS1_29radix_sort_onesweep_iterationIS3_Lb1EPlS8_PS5_S9_mNS0_19identity_decomposerENS1_16block_id_wrapperIjLb0EEEEE10hipError_tT1_PNSt15iterator_traitsISE_E10value_typeET2_T3_PNSF_ISK_E10value_typeET4_T5_PSP_SQ_PNS1_23onesweep_lookback_stateEbbT6_jjT7_P12ihipStream_tbENKUlT_T0_SE_SJ_E_clIS8_S8_S9_S9_EEDaSX_SY_SE_SJ_EUlSX_E_NS1_11comp_targetILNS1_3genE9ELNS1_11target_archE1100ELNS1_3gpuE3ELNS1_3repE0EEENS1_47radix_sort_onesweep_sort_config_static_selectorELNS0_4arch9wavefront6targetE1EEEvSE_.kd
    .uniform_work_group_size: 1
    .uses_dynamic_stack: false
    .vgpr_count:     0
    .vgpr_spill_count: 0
    .wavefront_size: 64
  - .agpr_count:     0
    .args:
      - .offset:         0
        .size:           88
        .value_kind:     by_value
    .group_segment_fixed_size: 0
    .kernarg_segment_align: 8
    .kernarg_segment_size: 88
    .language:       OpenCL C
    .language_version:
      - 2
      - 0
    .max_flat_workgroup_size: 1024
    .name:           _ZN7rocprim17ROCPRIM_400000_NS6detail17trampoline_kernelINS0_14default_configENS1_35radix_sort_onesweep_config_selectorIlNS0_10empty_typeEEEZZNS1_29radix_sort_onesweep_iterationIS3_Lb1EPlS8_PS5_S9_mNS0_19identity_decomposerENS1_16block_id_wrapperIjLb0EEEEE10hipError_tT1_PNSt15iterator_traitsISE_E10value_typeET2_T3_PNSF_ISK_E10value_typeET4_T5_PSP_SQ_PNS1_23onesweep_lookback_stateEbbT6_jjT7_P12ihipStream_tbENKUlT_T0_SE_SJ_E_clIS8_S8_S9_S9_EEDaSX_SY_SE_SJ_EUlSX_E_NS1_11comp_targetILNS1_3genE8ELNS1_11target_archE1030ELNS1_3gpuE2ELNS1_3repE0EEENS1_47radix_sort_onesweep_sort_config_static_selectorELNS0_4arch9wavefront6targetE1EEEvSE_
    .private_segment_fixed_size: 0
    .sgpr_count:     4
    .sgpr_spill_count: 0
    .symbol:         _ZN7rocprim17ROCPRIM_400000_NS6detail17trampoline_kernelINS0_14default_configENS1_35radix_sort_onesweep_config_selectorIlNS0_10empty_typeEEEZZNS1_29radix_sort_onesweep_iterationIS3_Lb1EPlS8_PS5_S9_mNS0_19identity_decomposerENS1_16block_id_wrapperIjLb0EEEEE10hipError_tT1_PNSt15iterator_traitsISE_E10value_typeET2_T3_PNSF_ISK_E10value_typeET4_T5_PSP_SQ_PNS1_23onesweep_lookback_stateEbbT6_jjT7_P12ihipStream_tbENKUlT_T0_SE_SJ_E_clIS8_S8_S9_S9_EEDaSX_SY_SE_SJ_EUlSX_E_NS1_11comp_targetILNS1_3genE8ELNS1_11target_archE1030ELNS1_3gpuE2ELNS1_3repE0EEENS1_47radix_sort_onesweep_sort_config_static_selectorELNS0_4arch9wavefront6targetE1EEEvSE_.kd
    .uniform_work_group_size: 1
    .uses_dynamic_stack: false
    .vgpr_count:     0
    .vgpr_spill_count: 0
    .wavefront_size: 64
  - .agpr_count:     0
    .args:
      - .offset:         0
        .size:           48
        .value_kind:     by_value
    .group_segment_fixed_size: 0
    .kernarg_segment_align: 8
    .kernarg_segment_size: 48
    .language:       OpenCL C
    .language_version:
      - 2
      - 0
    .max_flat_workgroup_size: 256
    .name:           _ZN7rocprim17ROCPRIM_400000_NS6detail17trampoline_kernelINS0_13kernel_configILj256ELj4ELj4294967295EEENS1_37radix_sort_block_sort_config_selectorImNS0_10empty_typeEEEZNS1_21radix_sort_block_sortIS4_Lb1EPmS9_PS6_SA_NS0_19identity_decomposerEEE10hipError_tT1_T2_T3_T4_jRjT5_jjP12ihipStream_tbEUlT_E_NS1_11comp_targetILNS1_3genE0ELNS1_11target_archE4294967295ELNS1_3gpuE0ELNS1_3repE0EEENS1_44radix_sort_block_sort_config_static_selectorELNS0_4arch9wavefront6targetE1EEEvSD_
    .private_segment_fixed_size: 0
    .sgpr_count:     4
    .sgpr_spill_count: 0
    .symbol:         _ZN7rocprim17ROCPRIM_400000_NS6detail17trampoline_kernelINS0_13kernel_configILj256ELj4ELj4294967295EEENS1_37radix_sort_block_sort_config_selectorImNS0_10empty_typeEEEZNS1_21radix_sort_block_sortIS4_Lb1EPmS9_PS6_SA_NS0_19identity_decomposerEEE10hipError_tT1_T2_T3_T4_jRjT5_jjP12ihipStream_tbEUlT_E_NS1_11comp_targetILNS1_3genE0ELNS1_11target_archE4294967295ELNS1_3gpuE0ELNS1_3repE0EEENS1_44radix_sort_block_sort_config_static_selectorELNS0_4arch9wavefront6targetE1EEEvSD_.kd
    .uniform_work_group_size: 1
    .uses_dynamic_stack: false
    .vgpr_count:     0
    .vgpr_spill_count: 0
    .wavefront_size: 64
  - .agpr_count:     0
    .args:
      - .offset:         0
        .size:           48
        .value_kind:     by_value
    .group_segment_fixed_size: 0
    .kernarg_segment_align: 8
    .kernarg_segment_size: 48
    .language:       OpenCL C
    .language_version:
      - 2
      - 0
    .max_flat_workgroup_size: 256
    .name:           _ZN7rocprim17ROCPRIM_400000_NS6detail17trampoline_kernelINS0_13kernel_configILj256ELj4ELj4294967295EEENS1_37radix_sort_block_sort_config_selectorImNS0_10empty_typeEEEZNS1_21radix_sort_block_sortIS4_Lb1EPmS9_PS6_SA_NS0_19identity_decomposerEEE10hipError_tT1_T2_T3_T4_jRjT5_jjP12ihipStream_tbEUlT_E_NS1_11comp_targetILNS1_3genE5ELNS1_11target_archE942ELNS1_3gpuE9ELNS1_3repE0EEENS1_44radix_sort_block_sort_config_static_selectorELNS0_4arch9wavefront6targetE1EEEvSD_
    .private_segment_fixed_size: 0
    .sgpr_count:     4
    .sgpr_spill_count: 0
    .symbol:         _ZN7rocprim17ROCPRIM_400000_NS6detail17trampoline_kernelINS0_13kernel_configILj256ELj4ELj4294967295EEENS1_37radix_sort_block_sort_config_selectorImNS0_10empty_typeEEEZNS1_21radix_sort_block_sortIS4_Lb1EPmS9_PS6_SA_NS0_19identity_decomposerEEE10hipError_tT1_T2_T3_T4_jRjT5_jjP12ihipStream_tbEUlT_E_NS1_11comp_targetILNS1_3genE5ELNS1_11target_archE942ELNS1_3gpuE9ELNS1_3repE0EEENS1_44radix_sort_block_sort_config_static_selectorELNS0_4arch9wavefront6targetE1EEEvSD_.kd
    .uniform_work_group_size: 1
    .uses_dynamic_stack: false
    .vgpr_count:     0
    .vgpr_spill_count: 0
    .wavefront_size: 64
  - .agpr_count:     0
    .args:
      - .offset:         0
        .size:           48
        .value_kind:     by_value
      - .offset:         48
        .size:           4
        .value_kind:     hidden_block_count_x
      - .offset:         52
        .size:           4
        .value_kind:     hidden_block_count_y
      - .offset:         56
        .size:           4
        .value_kind:     hidden_block_count_z
      - .offset:         60
        .size:           2
        .value_kind:     hidden_group_size_x
      - .offset:         62
        .size:           2
        .value_kind:     hidden_group_size_y
      - .offset:         64
        .size:           2
        .value_kind:     hidden_group_size_z
      - .offset:         66
        .size:           2
        .value_kind:     hidden_remainder_x
      - .offset:         68
        .size:           2
        .value_kind:     hidden_remainder_y
      - .offset:         70
        .size:           2
        .value_kind:     hidden_remainder_z
      - .offset:         88
        .size:           8
        .value_kind:     hidden_global_offset_x
      - .offset:         96
        .size:           8
        .value_kind:     hidden_global_offset_y
      - .offset:         104
        .size:           8
        .value_kind:     hidden_global_offset_z
      - .offset:         112
        .size:           2
        .value_kind:     hidden_grid_dims
    .group_segment_fixed_size: 8192
    .kernarg_segment_align: 8
    .kernarg_segment_size: 304
    .language:       OpenCL C
    .language_version:
      - 2
      - 0
    .max_flat_workgroup_size: 256
    .name:           _ZN7rocprim17ROCPRIM_400000_NS6detail17trampoline_kernelINS0_13kernel_configILj256ELj4ELj4294967295EEENS1_37radix_sort_block_sort_config_selectorImNS0_10empty_typeEEEZNS1_21radix_sort_block_sortIS4_Lb1EPmS9_PS6_SA_NS0_19identity_decomposerEEE10hipError_tT1_T2_T3_T4_jRjT5_jjP12ihipStream_tbEUlT_E_NS1_11comp_targetILNS1_3genE4ELNS1_11target_archE910ELNS1_3gpuE8ELNS1_3repE0EEENS1_44radix_sort_block_sort_config_static_selectorELNS0_4arch9wavefront6targetE1EEEvSD_
    .private_segment_fixed_size: 0
    .sgpr_count:     48
    .sgpr_spill_count: 0
    .symbol:         _ZN7rocprim17ROCPRIM_400000_NS6detail17trampoline_kernelINS0_13kernel_configILj256ELj4ELj4294967295EEENS1_37radix_sort_block_sort_config_selectorImNS0_10empty_typeEEEZNS1_21radix_sort_block_sortIS4_Lb1EPmS9_PS6_SA_NS0_19identity_decomposerEEE10hipError_tT1_T2_T3_T4_jRjT5_jjP12ihipStream_tbEUlT_E_NS1_11comp_targetILNS1_3genE4ELNS1_11target_archE910ELNS1_3gpuE8ELNS1_3repE0EEENS1_44radix_sort_block_sort_config_static_selectorELNS0_4arch9wavefront6targetE1EEEvSD_.kd
    .uniform_work_group_size: 1
    .uses_dynamic_stack: false
    .vgpr_count:     42
    .vgpr_spill_count: 0
    .wavefront_size: 64
  - .agpr_count:     0
    .args:
      - .offset:         0
        .size:           48
        .value_kind:     by_value
    .group_segment_fixed_size: 0
    .kernarg_segment_align: 8
    .kernarg_segment_size: 48
    .language:       OpenCL C
    .language_version:
      - 2
      - 0
    .max_flat_workgroup_size: 256
    .name:           _ZN7rocprim17ROCPRIM_400000_NS6detail17trampoline_kernelINS0_13kernel_configILj256ELj4ELj4294967295EEENS1_37radix_sort_block_sort_config_selectorImNS0_10empty_typeEEEZNS1_21radix_sort_block_sortIS4_Lb1EPmS9_PS6_SA_NS0_19identity_decomposerEEE10hipError_tT1_T2_T3_T4_jRjT5_jjP12ihipStream_tbEUlT_E_NS1_11comp_targetILNS1_3genE3ELNS1_11target_archE908ELNS1_3gpuE7ELNS1_3repE0EEENS1_44radix_sort_block_sort_config_static_selectorELNS0_4arch9wavefront6targetE1EEEvSD_
    .private_segment_fixed_size: 0
    .sgpr_count:     4
    .sgpr_spill_count: 0
    .symbol:         _ZN7rocprim17ROCPRIM_400000_NS6detail17trampoline_kernelINS0_13kernel_configILj256ELj4ELj4294967295EEENS1_37radix_sort_block_sort_config_selectorImNS0_10empty_typeEEEZNS1_21radix_sort_block_sortIS4_Lb1EPmS9_PS6_SA_NS0_19identity_decomposerEEE10hipError_tT1_T2_T3_T4_jRjT5_jjP12ihipStream_tbEUlT_E_NS1_11comp_targetILNS1_3genE3ELNS1_11target_archE908ELNS1_3gpuE7ELNS1_3repE0EEENS1_44radix_sort_block_sort_config_static_selectorELNS0_4arch9wavefront6targetE1EEEvSD_.kd
    .uniform_work_group_size: 1
    .uses_dynamic_stack: false
    .vgpr_count:     0
    .vgpr_spill_count: 0
    .wavefront_size: 64
  - .agpr_count:     0
    .args:
      - .offset:         0
        .size:           48
        .value_kind:     by_value
    .group_segment_fixed_size: 0
    .kernarg_segment_align: 8
    .kernarg_segment_size: 48
    .language:       OpenCL C
    .language_version:
      - 2
      - 0
    .max_flat_workgroup_size: 256
    .name:           _ZN7rocprim17ROCPRIM_400000_NS6detail17trampoline_kernelINS0_13kernel_configILj256ELj4ELj4294967295EEENS1_37radix_sort_block_sort_config_selectorImNS0_10empty_typeEEEZNS1_21radix_sort_block_sortIS4_Lb1EPmS9_PS6_SA_NS0_19identity_decomposerEEE10hipError_tT1_T2_T3_T4_jRjT5_jjP12ihipStream_tbEUlT_E_NS1_11comp_targetILNS1_3genE2ELNS1_11target_archE906ELNS1_3gpuE6ELNS1_3repE0EEENS1_44radix_sort_block_sort_config_static_selectorELNS0_4arch9wavefront6targetE1EEEvSD_
    .private_segment_fixed_size: 0
    .sgpr_count:     4
    .sgpr_spill_count: 0
    .symbol:         _ZN7rocprim17ROCPRIM_400000_NS6detail17trampoline_kernelINS0_13kernel_configILj256ELj4ELj4294967295EEENS1_37radix_sort_block_sort_config_selectorImNS0_10empty_typeEEEZNS1_21radix_sort_block_sortIS4_Lb1EPmS9_PS6_SA_NS0_19identity_decomposerEEE10hipError_tT1_T2_T3_T4_jRjT5_jjP12ihipStream_tbEUlT_E_NS1_11comp_targetILNS1_3genE2ELNS1_11target_archE906ELNS1_3gpuE6ELNS1_3repE0EEENS1_44radix_sort_block_sort_config_static_selectorELNS0_4arch9wavefront6targetE1EEEvSD_.kd
    .uniform_work_group_size: 1
    .uses_dynamic_stack: false
    .vgpr_count:     0
    .vgpr_spill_count: 0
    .wavefront_size: 64
  - .agpr_count:     0
    .args:
      - .offset:         0
        .size:           48
        .value_kind:     by_value
    .group_segment_fixed_size: 0
    .kernarg_segment_align: 8
    .kernarg_segment_size: 48
    .language:       OpenCL C
    .language_version:
      - 2
      - 0
    .max_flat_workgroup_size: 256
    .name:           _ZN7rocprim17ROCPRIM_400000_NS6detail17trampoline_kernelINS0_13kernel_configILj256ELj4ELj4294967295EEENS1_37radix_sort_block_sort_config_selectorImNS0_10empty_typeEEEZNS1_21radix_sort_block_sortIS4_Lb1EPmS9_PS6_SA_NS0_19identity_decomposerEEE10hipError_tT1_T2_T3_T4_jRjT5_jjP12ihipStream_tbEUlT_E_NS1_11comp_targetILNS1_3genE10ELNS1_11target_archE1201ELNS1_3gpuE5ELNS1_3repE0EEENS1_44radix_sort_block_sort_config_static_selectorELNS0_4arch9wavefront6targetE1EEEvSD_
    .private_segment_fixed_size: 0
    .sgpr_count:     4
    .sgpr_spill_count: 0
    .symbol:         _ZN7rocprim17ROCPRIM_400000_NS6detail17trampoline_kernelINS0_13kernel_configILj256ELj4ELj4294967295EEENS1_37radix_sort_block_sort_config_selectorImNS0_10empty_typeEEEZNS1_21radix_sort_block_sortIS4_Lb1EPmS9_PS6_SA_NS0_19identity_decomposerEEE10hipError_tT1_T2_T3_T4_jRjT5_jjP12ihipStream_tbEUlT_E_NS1_11comp_targetILNS1_3genE10ELNS1_11target_archE1201ELNS1_3gpuE5ELNS1_3repE0EEENS1_44radix_sort_block_sort_config_static_selectorELNS0_4arch9wavefront6targetE1EEEvSD_.kd
    .uniform_work_group_size: 1
    .uses_dynamic_stack: false
    .vgpr_count:     0
    .vgpr_spill_count: 0
    .wavefront_size: 64
  - .agpr_count:     0
    .args:
      - .offset:         0
        .size:           48
        .value_kind:     by_value
    .group_segment_fixed_size: 0
    .kernarg_segment_align: 8
    .kernarg_segment_size: 48
    .language:       OpenCL C
    .language_version:
      - 2
      - 0
    .max_flat_workgroup_size: 256
    .name:           _ZN7rocprim17ROCPRIM_400000_NS6detail17trampoline_kernelINS0_13kernel_configILj256ELj4ELj4294967295EEENS1_37radix_sort_block_sort_config_selectorImNS0_10empty_typeEEEZNS1_21radix_sort_block_sortIS4_Lb1EPmS9_PS6_SA_NS0_19identity_decomposerEEE10hipError_tT1_T2_T3_T4_jRjT5_jjP12ihipStream_tbEUlT_E_NS1_11comp_targetILNS1_3genE10ELNS1_11target_archE1200ELNS1_3gpuE4ELNS1_3repE0EEENS1_44radix_sort_block_sort_config_static_selectorELNS0_4arch9wavefront6targetE1EEEvSD_
    .private_segment_fixed_size: 0
    .sgpr_count:     4
    .sgpr_spill_count: 0
    .symbol:         _ZN7rocprim17ROCPRIM_400000_NS6detail17trampoline_kernelINS0_13kernel_configILj256ELj4ELj4294967295EEENS1_37radix_sort_block_sort_config_selectorImNS0_10empty_typeEEEZNS1_21radix_sort_block_sortIS4_Lb1EPmS9_PS6_SA_NS0_19identity_decomposerEEE10hipError_tT1_T2_T3_T4_jRjT5_jjP12ihipStream_tbEUlT_E_NS1_11comp_targetILNS1_3genE10ELNS1_11target_archE1200ELNS1_3gpuE4ELNS1_3repE0EEENS1_44radix_sort_block_sort_config_static_selectorELNS0_4arch9wavefront6targetE1EEEvSD_.kd
    .uniform_work_group_size: 1
    .uses_dynamic_stack: false
    .vgpr_count:     0
    .vgpr_spill_count: 0
    .wavefront_size: 64
  - .agpr_count:     0
    .args:
      - .offset:         0
        .size:           48
        .value_kind:     by_value
    .group_segment_fixed_size: 0
    .kernarg_segment_align: 8
    .kernarg_segment_size: 48
    .language:       OpenCL C
    .language_version:
      - 2
      - 0
    .max_flat_workgroup_size: 256
    .name:           _ZN7rocprim17ROCPRIM_400000_NS6detail17trampoline_kernelINS0_13kernel_configILj256ELj4ELj4294967295EEENS1_37radix_sort_block_sort_config_selectorImNS0_10empty_typeEEEZNS1_21radix_sort_block_sortIS4_Lb1EPmS9_PS6_SA_NS0_19identity_decomposerEEE10hipError_tT1_T2_T3_T4_jRjT5_jjP12ihipStream_tbEUlT_E_NS1_11comp_targetILNS1_3genE9ELNS1_11target_archE1100ELNS1_3gpuE3ELNS1_3repE0EEENS1_44radix_sort_block_sort_config_static_selectorELNS0_4arch9wavefront6targetE1EEEvSD_
    .private_segment_fixed_size: 0
    .sgpr_count:     4
    .sgpr_spill_count: 0
    .symbol:         _ZN7rocprim17ROCPRIM_400000_NS6detail17trampoline_kernelINS0_13kernel_configILj256ELj4ELj4294967295EEENS1_37radix_sort_block_sort_config_selectorImNS0_10empty_typeEEEZNS1_21radix_sort_block_sortIS4_Lb1EPmS9_PS6_SA_NS0_19identity_decomposerEEE10hipError_tT1_T2_T3_T4_jRjT5_jjP12ihipStream_tbEUlT_E_NS1_11comp_targetILNS1_3genE9ELNS1_11target_archE1100ELNS1_3gpuE3ELNS1_3repE0EEENS1_44radix_sort_block_sort_config_static_selectorELNS0_4arch9wavefront6targetE1EEEvSD_.kd
    .uniform_work_group_size: 1
    .uses_dynamic_stack: false
    .vgpr_count:     0
    .vgpr_spill_count: 0
    .wavefront_size: 64
  - .agpr_count:     0
    .args:
      - .offset:         0
        .size:           48
        .value_kind:     by_value
    .group_segment_fixed_size: 0
    .kernarg_segment_align: 8
    .kernarg_segment_size: 48
    .language:       OpenCL C
    .language_version:
      - 2
      - 0
    .max_flat_workgroup_size: 256
    .name:           _ZN7rocprim17ROCPRIM_400000_NS6detail17trampoline_kernelINS0_13kernel_configILj256ELj4ELj4294967295EEENS1_37radix_sort_block_sort_config_selectorImNS0_10empty_typeEEEZNS1_21radix_sort_block_sortIS4_Lb1EPmS9_PS6_SA_NS0_19identity_decomposerEEE10hipError_tT1_T2_T3_T4_jRjT5_jjP12ihipStream_tbEUlT_E_NS1_11comp_targetILNS1_3genE8ELNS1_11target_archE1030ELNS1_3gpuE2ELNS1_3repE0EEENS1_44radix_sort_block_sort_config_static_selectorELNS0_4arch9wavefront6targetE1EEEvSD_
    .private_segment_fixed_size: 0
    .sgpr_count:     4
    .sgpr_spill_count: 0
    .symbol:         _ZN7rocprim17ROCPRIM_400000_NS6detail17trampoline_kernelINS0_13kernel_configILj256ELj4ELj4294967295EEENS1_37radix_sort_block_sort_config_selectorImNS0_10empty_typeEEEZNS1_21radix_sort_block_sortIS4_Lb1EPmS9_PS6_SA_NS0_19identity_decomposerEEE10hipError_tT1_T2_T3_T4_jRjT5_jjP12ihipStream_tbEUlT_E_NS1_11comp_targetILNS1_3genE8ELNS1_11target_archE1030ELNS1_3gpuE2ELNS1_3repE0EEENS1_44radix_sort_block_sort_config_static_selectorELNS0_4arch9wavefront6targetE1EEEvSD_.kd
    .uniform_work_group_size: 1
    .uses_dynamic_stack: false
    .vgpr_count:     0
    .vgpr_spill_count: 0
    .wavefront_size: 64
  - .agpr_count:     0
    .args:
      - .offset:         0
        .size:           40
        .value_kind:     by_value
    .group_segment_fixed_size: 0
    .kernarg_segment_align: 8
    .kernarg_segment_size: 40
    .language:       OpenCL C
    .language_version:
      - 2
      - 0
    .max_flat_workgroup_size: 128
    .name:           _ZN7rocprim17ROCPRIM_400000_NS6detail17trampoline_kernelINS0_14default_configENS1_38merge_sort_block_merge_config_selectorImNS0_10empty_typeEEEZZNS1_27merge_sort_block_merge_implIS3_PmPS5_jNS1_19radix_merge_compareILb1ELb0EmNS0_19identity_decomposerEEEEE10hipError_tT0_T1_T2_jT3_P12ihipStream_tbPNSt15iterator_traitsISE_E10value_typeEPNSK_ISF_E10value_typeEPSG_NS1_7vsmem_tEENKUlT_SE_SF_SG_E_clIS8_S8_S9_S9_EESD_ST_SE_SF_SG_EUlST_E_NS1_11comp_targetILNS1_3genE0ELNS1_11target_archE4294967295ELNS1_3gpuE0ELNS1_3repE0EEENS1_48merge_mergepath_partition_config_static_selectorELNS0_4arch9wavefront6targetE1EEEvSF_
    .private_segment_fixed_size: 0
    .sgpr_count:     4
    .sgpr_spill_count: 0
    .symbol:         _ZN7rocprim17ROCPRIM_400000_NS6detail17trampoline_kernelINS0_14default_configENS1_38merge_sort_block_merge_config_selectorImNS0_10empty_typeEEEZZNS1_27merge_sort_block_merge_implIS3_PmPS5_jNS1_19radix_merge_compareILb1ELb0EmNS0_19identity_decomposerEEEEE10hipError_tT0_T1_T2_jT3_P12ihipStream_tbPNSt15iterator_traitsISE_E10value_typeEPNSK_ISF_E10value_typeEPSG_NS1_7vsmem_tEENKUlT_SE_SF_SG_E_clIS8_S8_S9_S9_EESD_ST_SE_SF_SG_EUlST_E_NS1_11comp_targetILNS1_3genE0ELNS1_11target_archE4294967295ELNS1_3gpuE0ELNS1_3repE0EEENS1_48merge_mergepath_partition_config_static_selectorELNS0_4arch9wavefront6targetE1EEEvSF_.kd
    .uniform_work_group_size: 1
    .uses_dynamic_stack: false
    .vgpr_count:     0
    .vgpr_spill_count: 0
    .wavefront_size: 64
  - .agpr_count:     0
    .args:
      - .offset:         0
        .size:           40
        .value_kind:     by_value
    .group_segment_fixed_size: 0
    .kernarg_segment_align: 8
    .kernarg_segment_size: 40
    .language:       OpenCL C
    .language_version:
      - 2
      - 0
    .max_flat_workgroup_size: 128
    .name:           _ZN7rocprim17ROCPRIM_400000_NS6detail17trampoline_kernelINS0_14default_configENS1_38merge_sort_block_merge_config_selectorImNS0_10empty_typeEEEZZNS1_27merge_sort_block_merge_implIS3_PmPS5_jNS1_19radix_merge_compareILb1ELb0EmNS0_19identity_decomposerEEEEE10hipError_tT0_T1_T2_jT3_P12ihipStream_tbPNSt15iterator_traitsISE_E10value_typeEPNSK_ISF_E10value_typeEPSG_NS1_7vsmem_tEENKUlT_SE_SF_SG_E_clIS8_S8_S9_S9_EESD_ST_SE_SF_SG_EUlST_E_NS1_11comp_targetILNS1_3genE10ELNS1_11target_archE1201ELNS1_3gpuE5ELNS1_3repE0EEENS1_48merge_mergepath_partition_config_static_selectorELNS0_4arch9wavefront6targetE1EEEvSF_
    .private_segment_fixed_size: 0
    .sgpr_count:     4
    .sgpr_spill_count: 0
    .symbol:         _ZN7rocprim17ROCPRIM_400000_NS6detail17trampoline_kernelINS0_14default_configENS1_38merge_sort_block_merge_config_selectorImNS0_10empty_typeEEEZZNS1_27merge_sort_block_merge_implIS3_PmPS5_jNS1_19radix_merge_compareILb1ELb0EmNS0_19identity_decomposerEEEEE10hipError_tT0_T1_T2_jT3_P12ihipStream_tbPNSt15iterator_traitsISE_E10value_typeEPNSK_ISF_E10value_typeEPSG_NS1_7vsmem_tEENKUlT_SE_SF_SG_E_clIS8_S8_S9_S9_EESD_ST_SE_SF_SG_EUlST_E_NS1_11comp_targetILNS1_3genE10ELNS1_11target_archE1201ELNS1_3gpuE5ELNS1_3repE0EEENS1_48merge_mergepath_partition_config_static_selectorELNS0_4arch9wavefront6targetE1EEEvSF_.kd
    .uniform_work_group_size: 1
    .uses_dynamic_stack: false
    .vgpr_count:     0
    .vgpr_spill_count: 0
    .wavefront_size: 64
  - .agpr_count:     0
    .args:
      - .offset:         0
        .size:           40
        .value_kind:     by_value
    .group_segment_fixed_size: 0
    .kernarg_segment_align: 8
    .kernarg_segment_size: 40
    .language:       OpenCL C
    .language_version:
      - 2
      - 0
    .max_flat_workgroup_size: 128
    .name:           _ZN7rocprim17ROCPRIM_400000_NS6detail17trampoline_kernelINS0_14default_configENS1_38merge_sort_block_merge_config_selectorImNS0_10empty_typeEEEZZNS1_27merge_sort_block_merge_implIS3_PmPS5_jNS1_19radix_merge_compareILb1ELb0EmNS0_19identity_decomposerEEEEE10hipError_tT0_T1_T2_jT3_P12ihipStream_tbPNSt15iterator_traitsISE_E10value_typeEPNSK_ISF_E10value_typeEPSG_NS1_7vsmem_tEENKUlT_SE_SF_SG_E_clIS8_S8_S9_S9_EESD_ST_SE_SF_SG_EUlST_E_NS1_11comp_targetILNS1_3genE5ELNS1_11target_archE942ELNS1_3gpuE9ELNS1_3repE0EEENS1_48merge_mergepath_partition_config_static_selectorELNS0_4arch9wavefront6targetE1EEEvSF_
    .private_segment_fixed_size: 0
    .sgpr_count:     4
    .sgpr_spill_count: 0
    .symbol:         _ZN7rocprim17ROCPRIM_400000_NS6detail17trampoline_kernelINS0_14default_configENS1_38merge_sort_block_merge_config_selectorImNS0_10empty_typeEEEZZNS1_27merge_sort_block_merge_implIS3_PmPS5_jNS1_19radix_merge_compareILb1ELb0EmNS0_19identity_decomposerEEEEE10hipError_tT0_T1_T2_jT3_P12ihipStream_tbPNSt15iterator_traitsISE_E10value_typeEPNSK_ISF_E10value_typeEPSG_NS1_7vsmem_tEENKUlT_SE_SF_SG_E_clIS8_S8_S9_S9_EESD_ST_SE_SF_SG_EUlST_E_NS1_11comp_targetILNS1_3genE5ELNS1_11target_archE942ELNS1_3gpuE9ELNS1_3repE0EEENS1_48merge_mergepath_partition_config_static_selectorELNS0_4arch9wavefront6targetE1EEEvSF_.kd
    .uniform_work_group_size: 1
    .uses_dynamic_stack: false
    .vgpr_count:     0
    .vgpr_spill_count: 0
    .wavefront_size: 64
  - .agpr_count:     0
    .args:
      - .offset:         0
        .size:           40
        .value_kind:     by_value
    .group_segment_fixed_size: 0
    .kernarg_segment_align: 8
    .kernarg_segment_size: 40
    .language:       OpenCL C
    .language_version:
      - 2
      - 0
    .max_flat_workgroup_size: 128
    .name:           _ZN7rocprim17ROCPRIM_400000_NS6detail17trampoline_kernelINS0_14default_configENS1_38merge_sort_block_merge_config_selectorImNS0_10empty_typeEEEZZNS1_27merge_sort_block_merge_implIS3_PmPS5_jNS1_19radix_merge_compareILb1ELb0EmNS0_19identity_decomposerEEEEE10hipError_tT0_T1_T2_jT3_P12ihipStream_tbPNSt15iterator_traitsISE_E10value_typeEPNSK_ISF_E10value_typeEPSG_NS1_7vsmem_tEENKUlT_SE_SF_SG_E_clIS8_S8_S9_S9_EESD_ST_SE_SF_SG_EUlST_E_NS1_11comp_targetILNS1_3genE4ELNS1_11target_archE910ELNS1_3gpuE8ELNS1_3repE0EEENS1_48merge_mergepath_partition_config_static_selectorELNS0_4arch9wavefront6targetE1EEEvSF_
    .private_segment_fixed_size: 0
    .sgpr_count:     12
    .sgpr_spill_count: 0
    .symbol:         _ZN7rocprim17ROCPRIM_400000_NS6detail17trampoline_kernelINS0_14default_configENS1_38merge_sort_block_merge_config_selectorImNS0_10empty_typeEEEZZNS1_27merge_sort_block_merge_implIS3_PmPS5_jNS1_19radix_merge_compareILb1ELb0EmNS0_19identity_decomposerEEEEE10hipError_tT0_T1_T2_jT3_P12ihipStream_tbPNSt15iterator_traitsISE_E10value_typeEPNSK_ISF_E10value_typeEPSG_NS1_7vsmem_tEENKUlT_SE_SF_SG_E_clIS8_S8_S9_S9_EESD_ST_SE_SF_SG_EUlST_E_NS1_11comp_targetILNS1_3genE4ELNS1_11target_archE910ELNS1_3gpuE8ELNS1_3repE0EEENS1_48merge_mergepath_partition_config_static_selectorELNS0_4arch9wavefront6targetE1EEEvSF_.kd
    .uniform_work_group_size: 1
    .uses_dynamic_stack: false
    .vgpr_count:     20
    .vgpr_spill_count: 0
    .wavefront_size: 64
  - .agpr_count:     0
    .args:
      - .offset:         0
        .size:           40
        .value_kind:     by_value
    .group_segment_fixed_size: 0
    .kernarg_segment_align: 8
    .kernarg_segment_size: 40
    .language:       OpenCL C
    .language_version:
      - 2
      - 0
    .max_flat_workgroup_size: 128
    .name:           _ZN7rocprim17ROCPRIM_400000_NS6detail17trampoline_kernelINS0_14default_configENS1_38merge_sort_block_merge_config_selectorImNS0_10empty_typeEEEZZNS1_27merge_sort_block_merge_implIS3_PmPS5_jNS1_19radix_merge_compareILb1ELb0EmNS0_19identity_decomposerEEEEE10hipError_tT0_T1_T2_jT3_P12ihipStream_tbPNSt15iterator_traitsISE_E10value_typeEPNSK_ISF_E10value_typeEPSG_NS1_7vsmem_tEENKUlT_SE_SF_SG_E_clIS8_S8_S9_S9_EESD_ST_SE_SF_SG_EUlST_E_NS1_11comp_targetILNS1_3genE3ELNS1_11target_archE908ELNS1_3gpuE7ELNS1_3repE0EEENS1_48merge_mergepath_partition_config_static_selectorELNS0_4arch9wavefront6targetE1EEEvSF_
    .private_segment_fixed_size: 0
    .sgpr_count:     4
    .sgpr_spill_count: 0
    .symbol:         _ZN7rocprim17ROCPRIM_400000_NS6detail17trampoline_kernelINS0_14default_configENS1_38merge_sort_block_merge_config_selectorImNS0_10empty_typeEEEZZNS1_27merge_sort_block_merge_implIS3_PmPS5_jNS1_19radix_merge_compareILb1ELb0EmNS0_19identity_decomposerEEEEE10hipError_tT0_T1_T2_jT3_P12ihipStream_tbPNSt15iterator_traitsISE_E10value_typeEPNSK_ISF_E10value_typeEPSG_NS1_7vsmem_tEENKUlT_SE_SF_SG_E_clIS8_S8_S9_S9_EESD_ST_SE_SF_SG_EUlST_E_NS1_11comp_targetILNS1_3genE3ELNS1_11target_archE908ELNS1_3gpuE7ELNS1_3repE0EEENS1_48merge_mergepath_partition_config_static_selectorELNS0_4arch9wavefront6targetE1EEEvSF_.kd
    .uniform_work_group_size: 1
    .uses_dynamic_stack: false
    .vgpr_count:     0
    .vgpr_spill_count: 0
    .wavefront_size: 64
  - .agpr_count:     0
    .args:
      - .offset:         0
        .size:           40
        .value_kind:     by_value
    .group_segment_fixed_size: 0
    .kernarg_segment_align: 8
    .kernarg_segment_size: 40
    .language:       OpenCL C
    .language_version:
      - 2
      - 0
    .max_flat_workgroup_size: 128
    .name:           _ZN7rocprim17ROCPRIM_400000_NS6detail17trampoline_kernelINS0_14default_configENS1_38merge_sort_block_merge_config_selectorImNS0_10empty_typeEEEZZNS1_27merge_sort_block_merge_implIS3_PmPS5_jNS1_19radix_merge_compareILb1ELb0EmNS0_19identity_decomposerEEEEE10hipError_tT0_T1_T2_jT3_P12ihipStream_tbPNSt15iterator_traitsISE_E10value_typeEPNSK_ISF_E10value_typeEPSG_NS1_7vsmem_tEENKUlT_SE_SF_SG_E_clIS8_S8_S9_S9_EESD_ST_SE_SF_SG_EUlST_E_NS1_11comp_targetILNS1_3genE2ELNS1_11target_archE906ELNS1_3gpuE6ELNS1_3repE0EEENS1_48merge_mergepath_partition_config_static_selectorELNS0_4arch9wavefront6targetE1EEEvSF_
    .private_segment_fixed_size: 0
    .sgpr_count:     4
    .sgpr_spill_count: 0
    .symbol:         _ZN7rocprim17ROCPRIM_400000_NS6detail17trampoline_kernelINS0_14default_configENS1_38merge_sort_block_merge_config_selectorImNS0_10empty_typeEEEZZNS1_27merge_sort_block_merge_implIS3_PmPS5_jNS1_19radix_merge_compareILb1ELb0EmNS0_19identity_decomposerEEEEE10hipError_tT0_T1_T2_jT3_P12ihipStream_tbPNSt15iterator_traitsISE_E10value_typeEPNSK_ISF_E10value_typeEPSG_NS1_7vsmem_tEENKUlT_SE_SF_SG_E_clIS8_S8_S9_S9_EESD_ST_SE_SF_SG_EUlST_E_NS1_11comp_targetILNS1_3genE2ELNS1_11target_archE906ELNS1_3gpuE6ELNS1_3repE0EEENS1_48merge_mergepath_partition_config_static_selectorELNS0_4arch9wavefront6targetE1EEEvSF_.kd
    .uniform_work_group_size: 1
    .uses_dynamic_stack: false
    .vgpr_count:     0
    .vgpr_spill_count: 0
    .wavefront_size: 64
  - .agpr_count:     0
    .args:
      - .offset:         0
        .size:           40
        .value_kind:     by_value
    .group_segment_fixed_size: 0
    .kernarg_segment_align: 8
    .kernarg_segment_size: 40
    .language:       OpenCL C
    .language_version:
      - 2
      - 0
    .max_flat_workgroup_size: 128
    .name:           _ZN7rocprim17ROCPRIM_400000_NS6detail17trampoline_kernelINS0_14default_configENS1_38merge_sort_block_merge_config_selectorImNS0_10empty_typeEEEZZNS1_27merge_sort_block_merge_implIS3_PmPS5_jNS1_19radix_merge_compareILb1ELb0EmNS0_19identity_decomposerEEEEE10hipError_tT0_T1_T2_jT3_P12ihipStream_tbPNSt15iterator_traitsISE_E10value_typeEPNSK_ISF_E10value_typeEPSG_NS1_7vsmem_tEENKUlT_SE_SF_SG_E_clIS8_S8_S9_S9_EESD_ST_SE_SF_SG_EUlST_E_NS1_11comp_targetILNS1_3genE9ELNS1_11target_archE1100ELNS1_3gpuE3ELNS1_3repE0EEENS1_48merge_mergepath_partition_config_static_selectorELNS0_4arch9wavefront6targetE1EEEvSF_
    .private_segment_fixed_size: 0
    .sgpr_count:     4
    .sgpr_spill_count: 0
    .symbol:         _ZN7rocprim17ROCPRIM_400000_NS6detail17trampoline_kernelINS0_14default_configENS1_38merge_sort_block_merge_config_selectorImNS0_10empty_typeEEEZZNS1_27merge_sort_block_merge_implIS3_PmPS5_jNS1_19radix_merge_compareILb1ELb0EmNS0_19identity_decomposerEEEEE10hipError_tT0_T1_T2_jT3_P12ihipStream_tbPNSt15iterator_traitsISE_E10value_typeEPNSK_ISF_E10value_typeEPSG_NS1_7vsmem_tEENKUlT_SE_SF_SG_E_clIS8_S8_S9_S9_EESD_ST_SE_SF_SG_EUlST_E_NS1_11comp_targetILNS1_3genE9ELNS1_11target_archE1100ELNS1_3gpuE3ELNS1_3repE0EEENS1_48merge_mergepath_partition_config_static_selectorELNS0_4arch9wavefront6targetE1EEEvSF_.kd
    .uniform_work_group_size: 1
    .uses_dynamic_stack: false
    .vgpr_count:     0
    .vgpr_spill_count: 0
    .wavefront_size: 64
  - .agpr_count:     0
    .args:
      - .offset:         0
        .size:           40
        .value_kind:     by_value
    .group_segment_fixed_size: 0
    .kernarg_segment_align: 8
    .kernarg_segment_size: 40
    .language:       OpenCL C
    .language_version:
      - 2
      - 0
    .max_flat_workgroup_size: 128
    .name:           _ZN7rocprim17ROCPRIM_400000_NS6detail17trampoline_kernelINS0_14default_configENS1_38merge_sort_block_merge_config_selectorImNS0_10empty_typeEEEZZNS1_27merge_sort_block_merge_implIS3_PmPS5_jNS1_19radix_merge_compareILb1ELb0EmNS0_19identity_decomposerEEEEE10hipError_tT0_T1_T2_jT3_P12ihipStream_tbPNSt15iterator_traitsISE_E10value_typeEPNSK_ISF_E10value_typeEPSG_NS1_7vsmem_tEENKUlT_SE_SF_SG_E_clIS8_S8_S9_S9_EESD_ST_SE_SF_SG_EUlST_E_NS1_11comp_targetILNS1_3genE8ELNS1_11target_archE1030ELNS1_3gpuE2ELNS1_3repE0EEENS1_48merge_mergepath_partition_config_static_selectorELNS0_4arch9wavefront6targetE1EEEvSF_
    .private_segment_fixed_size: 0
    .sgpr_count:     4
    .sgpr_spill_count: 0
    .symbol:         _ZN7rocprim17ROCPRIM_400000_NS6detail17trampoline_kernelINS0_14default_configENS1_38merge_sort_block_merge_config_selectorImNS0_10empty_typeEEEZZNS1_27merge_sort_block_merge_implIS3_PmPS5_jNS1_19radix_merge_compareILb1ELb0EmNS0_19identity_decomposerEEEEE10hipError_tT0_T1_T2_jT3_P12ihipStream_tbPNSt15iterator_traitsISE_E10value_typeEPNSK_ISF_E10value_typeEPSG_NS1_7vsmem_tEENKUlT_SE_SF_SG_E_clIS8_S8_S9_S9_EESD_ST_SE_SF_SG_EUlST_E_NS1_11comp_targetILNS1_3genE8ELNS1_11target_archE1030ELNS1_3gpuE2ELNS1_3repE0EEENS1_48merge_mergepath_partition_config_static_selectorELNS0_4arch9wavefront6targetE1EEEvSF_.kd
    .uniform_work_group_size: 1
    .uses_dynamic_stack: false
    .vgpr_count:     0
    .vgpr_spill_count: 0
    .wavefront_size: 64
  - .agpr_count:     0
    .args:
      - .offset:         0
        .size:           64
        .value_kind:     by_value
    .group_segment_fixed_size: 0
    .kernarg_segment_align: 8
    .kernarg_segment_size: 64
    .language:       OpenCL C
    .language_version:
      - 2
      - 0
    .max_flat_workgroup_size: 128
    .name:           _ZN7rocprim17ROCPRIM_400000_NS6detail17trampoline_kernelINS0_14default_configENS1_38merge_sort_block_merge_config_selectorImNS0_10empty_typeEEEZZNS1_27merge_sort_block_merge_implIS3_PmPS5_jNS1_19radix_merge_compareILb1ELb0EmNS0_19identity_decomposerEEEEE10hipError_tT0_T1_T2_jT3_P12ihipStream_tbPNSt15iterator_traitsISE_E10value_typeEPNSK_ISF_E10value_typeEPSG_NS1_7vsmem_tEENKUlT_SE_SF_SG_E_clIS8_S8_S9_S9_EESD_ST_SE_SF_SG_EUlST_E0_NS1_11comp_targetILNS1_3genE0ELNS1_11target_archE4294967295ELNS1_3gpuE0ELNS1_3repE0EEENS1_38merge_mergepath_config_static_selectorELNS0_4arch9wavefront6targetE1EEEvSF_
    .private_segment_fixed_size: 0
    .sgpr_count:     4
    .sgpr_spill_count: 0
    .symbol:         _ZN7rocprim17ROCPRIM_400000_NS6detail17trampoline_kernelINS0_14default_configENS1_38merge_sort_block_merge_config_selectorImNS0_10empty_typeEEEZZNS1_27merge_sort_block_merge_implIS3_PmPS5_jNS1_19radix_merge_compareILb1ELb0EmNS0_19identity_decomposerEEEEE10hipError_tT0_T1_T2_jT3_P12ihipStream_tbPNSt15iterator_traitsISE_E10value_typeEPNSK_ISF_E10value_typeEPSG_NS1_7vsmem_tEENKUlT_SE_SF_SG_E_clIS8_S8_S9_S9_EESD_ST_SE_SF_SG_EUlST_E0_NS1_11comp_targetILNS1_3genE0ELNS1_11target_archE4294967295ELNS1_3gpuE0ELNS1_3repE0EEENS1_38merge_mergepath_config_static_selectorELNS0_4arch9wavefront6targetE1EEEvSF_.kd
    .uniform_work_group_size: 1
    .uses_dynamic_stack: false
    .vgpr_count:     0
    .vgpr_spill_count: 0
    .wavefront_size: 64
  - .agpr_count:     0
    .args:
      - .offset:         0
        .size:           64
        .value_kind:     by_value
    .group_segment_fixed_size: 0
    .kernarg_segment_align: 8
    .kernarg_segment_size: 64
    .language:       OpenCL C
    .language_version:
      - 2
      - 0
    .max_flat_workgroup_size: 512
    .name:           _ZN7rocprim17ROCPRIM_400000_NS6detail17trampoline_kernelINS0_14default_configENS1_38merge_sort_block_merge_config_selectorImNS0_10empty_typeEEEZZNS1_27merge_sort_block_merge_implIS3_PmPS5_jNS1_19radix_merge_compareILb1ELb0EmNS0_19identity_decomposerEEEEE10hipError_tT0_T1_T2_jT3_P12ihipStream_tbPNSt15iterator_traitsISE_E10value_typeEPNSK_ISF_E10value_typeEPSG_NS1_7vsmem_tEENKUlT_SE_SF_SG_E_clIS8_S8_S9_S9_EESD_ST_SE_SF_SG_EUlST_E0_NS1_11comp_targetILNS1_3genE10ELNS1_11target_archE1201ELNS1_3gpuE5ELNS1_3repE0EEENS1_38merge_mergepath_config_static_selectorELNS0_4arch9wavefront6targetE1EEEvSF_
    .private_segment_fixed_size: 0
    .sgpr_count:     4
    .sgpr_spill_count: 0
    .symbol:         _ZN7rocprim17ROCPRIM_400000_NS6detail17trampoline_kernelINS0_14default_configENS1_38merge_sort_block_merge_config_selectorImNS0_10empty_typeEEEZZNS1_27merge_sort_block_merge_implIS3_PmPS5_jNS1_19radix_merge_compareILb1ELb0EmNS0_19identity_decomposerEEEEE10hipError_tT0_T1_T2_jT3_P12ihipStream_tbPNSt15iterator_traitsISE_E10value_typeEPNSK_ISF_E10value_typeEPSG_NS1_7vsmem_tEENKUlT_SE_SF_SG_E_clIS8_S8_S9_S9_EESD_ST_SE_SF_SG_EUlST_E0_NS1_11comp_targetILNS1_3genE10ELNS1_11target_archE1201ELNS1_3gpuE5ELNS1_3repE0EEENS1_38merge_mergepath_config_static_selectorELNS0_4arch9wavefront6targetE1EEEvSF_.kd
    .uniform_work_group_size: 1
    .uses_dynamic_stack: false
    .vgpr_count:     0
    .vgpr_spill_count: 0
    .wavefront_size: 64
  - .agpr_count:     0
    .args:
      - .offset:         0
        .size:           64
        .value_kind:     by_value
    .group_segment_fixed_size: 0
    .kernarg_segment_align: 8
    .kernarg_segment_size: 64
    .language:       OpenCL C
    .language_version:
      - 2
      - 0
    .max_flat_workgroup_size: 128
    .name:           _ZN7rocprim17ROCPRIM_400000_NS6detail17trampoline_kernelINS0_14default_configENS1_38merge_sort_block_merge_config_selectorImNS0_10empty_typeEEEZZNS1_27merge_sort_block_merge_implIS3_PmPS5_jNS1_19radix_merge_compareILb1ELb0EmNS0_19identity_decomposerEEEEE10hipError_tT0_T1_T2_jT3_P12ihipStream_tbPNSt15iterator_traitsISE_E10value_typeEPNSK_ISF_E10value_typeEPSG_NS1_7vsmem_tEENKUlT_SE_SF_SG_E_clIS8_S8_S9_S9_EESD_ST_SE_SF_SG_EUlST_E0_NS1_11comp_targetILNS1_3genE5ELNS1_11target_archE942ELNS1_3gpuE9ELNS1_3repE0EEENS1_38merge_mergepath_config_static_selectorELNS0_4arch9wavefront6targetE1EEEvSF_
    .private_segment_fixed_size: 0
    .sgpr_count:     4
    .sgpr_spill_count: 0
    .symbol:         _ZN7rocprim17ROCPRIM_400000_NS6detail17trampoline_kernelINS0_14default_configENS1_38merge_sort_block_merge_config_selectorImNS0_10empty_typeEEEZZNS1_27merge_sort_block_merge_implIS3_PmPS5_jNS1_19radix_merge_compareILb1ELb0EmNS0_19identity_decomposerEEEEE10hipError_tT0_T1_T2_jT3_P12ihipStream_tbPNSt15iterator_traitsISE_E10value_typeEPNSK_ISF_E10value_typeEPSG_NS1_7vsmem_tEENKUlT_SE_SF_SG_E_clIS8_S8_S9_S9_EESD_ST_SE_SF_SG_EUlST_E0_NS1_11comp_targetILNS1_3genE5ELNS1_11target_archE942ELNS1_3gpuE9ELNS1_3repE0EEENS1_38merge_mergepath_config_static_selectorELNS0_4arch9wavefront6targetE1EEEvSF_.kd
    .uniform_work_group_size: 1
    .uses_dynamic_stack: false
    .vgpr_count:     0
    .vgpr_spill_count: 0
    .wavefront_size: 64
  - .agpr_count:     0
    .args:
      - .offset:         0
        .size:           64
        .value_kind:     by_value
      - .offset:         64
        .size:           4
        .value_kind:     hidden_block_count_x
      - .offset:         68
        .size:           4
        .value_kind:     hidden_block_count_y
      - .offset:         72
        .size:           4
        .value_kind:     hidden_block_count_z
      - .offset:         76
        .size:           2
        .value_kind:     hidden_group_size_x
      - .offset:         78
        .size:           2
        .value_kind:     hidden_group_size_y
      - .offset:         80
        .size:           2
        .value_kind:     hidden_group_size_z
      - .offset:         82
        .size:           2
        .value_kind:     hidden_remainder_x
      - .offset:         84
        .size:           2
        .value_kind:     hidden_remainder_y
      - .offset:         86
        .size:           2
        .value_kind:     hidden_remainder_z
      - .offset:         104
        .size:           8
        .value_kind:     hidden_global_offset_x
      - .offset:         112
        .size:           8
        .value_kind:     hidden_global_offset_y
      - .offset:         120
        .size:           8
        .value_kind:     hidden_global_offset_z
      - .offset:         128
        .size:           2
        .value_kind:     hidden_grid_dims
    .group_segment_fixed_size: 8448
    .kernarg_segment_align: 8
    .kernarg_segment_size: 320
    .language:       OpenCL C
    .language_version:
      - 2
      - 0
    .max_flat_workgroup_size: 256
    .name:           _ZN7rocprim17ROCPRIM_400000_NS6detail17trampoline_kernelINS0_14default_configENS1_38merge_sort_block_merge_config_selectorImNS0_10empty_typeEEEZZNS1_27merge_sort_block_merge_implIS3_PmPS5_jNS1_19radix_merge_compareILb1ELb0EmNS0_19identity_decomposerEEEEE10hipError_tT0_T1_T2_jT3_P12ihipStream_tbPNSt15iterator_traitsISE_E10value_typeEPNSK_ISF_E10value_typeEPSG_NS1_7vsmem_tEENKUlT_SE_SF_SG_E_clIS8_S8_S9_S9_EESD_ST_SE_SF_SG_EUlST_E0_NS1_11comp_targetILNS1_3genE4ELNS1_11target_archE910ELNS1_3gpuE8ELNS1_3repE0EEENS1_38merge_mergepath_config_static_selectorELNS0_4arch9wavefront6targetE1EEEvSF_
    .private_segment_fixed_size: 0
    .sgpr_count:     27
    .sgpr_spill_count: 0
    .symbol:         _ZN7rocprim17ROCPRIM_400000_NS6detail17trampoline_kernelINS0_14default_configENS1_38merge_sort_block_merge_config_selectorImNS0_10empty_typeEEEZZNS1_27merge_sort_block_merge_implIS3_PmPS5_jNS1_19radix_merge_compareILb1ELb0EmNS0_19identity_decomposerEEEEE10hipError_tT0_T1_T2_jT3_P12ihipStream_tbPNSt15iterator_traitsISE_E10value_typeEPNSK_ISF_E10value_typeEPSG_NS1_7vsmem_tEENKUlT_SE_SF_SG_E_clIS8_S8_S9_S9_EESD_ST_SE_SF_SG_EUlST_E0_NS1_11comp_targetILNS1_3genE4ELNS1_11target_archE910ELNS1_3gpuE8ELNS1_3repE0EEENS1_38merge_mergepath_config_static_selectorELNS0_4arch9wavefront6targetE1EEEvSF_.kd
    .uniform_work_group_size: 1
    .uses_dynamic_stack: false
    .vgpr_count:     21
    .vgpr_spill_count: 0
    .wavefront_size: 64
  - .agpr_count:     0
    .args:
      - .offset:         0
        .size:           64
        .value_kind:     by_value
    .group_segment_fixed_size: 0
    .kernarg_segment_align: 8
    .kernarg_segment_size: 64
    .language:       OpenCL C
    .language_version:
      - 2
      - 0
    .max_flat_workgroup_size: 128
    .name:           _ZN7rocprim17ROCPRIM_400000_NS6detail17trampoline_kernelINS0_14default_configENS1_38merge_sort_block_merge_config_selectorImNS0_10empty_typeEEEZZNS1_27merge_sort_block_merge_implIS3_PmPS5_jNS1_19radix_merge_compareILb1ELb0EmNS0_19identity_decomposerEEEEE10hipError_tT0_T1_T2_jT3_P12ihipStream_tbPNSt15iterator_traitsISE_E10value_typeEPNSK_ISF_E10value_typeEPSG_NS1_7vsmem_tEENKUlT_SE_SF_SG_E_clIS8_S8_S9_S9_EESD_ST_SE_SF_SG_EUlST_E0_NS1_11comp_targetILNS1_3genE3ELNS1_11target_archE908ELNS1_3gpuE7ELNS1_3repE0EEENS1_38merge_mergepath_config_static_selectorELNS0_4arch9wavefront6targetE1EEEvSF_
    .private_segment_fixed_size: 0
    .sgpr_count:     4
    .sgpr_spill_count: 0
    .symbol:         _ZN7rocprim17ROCPRIM_400000_NS6detail17trampoline_kernelINS0_14default_configENS1_38merge_sort_block_merge_config_selectorImNS0_10empty_typeEEEZZNS1_27merge_sort_block_merge_implIS3_PmPS5_jNS1_19radix_merge_compareILb1ELb0EmNS0_19identity_decomposerEEEEE10hipError_tT0_T1_T2_jT3_P12ihipStream_tbPNSt15iterator_traitsISE_E10value_typeEPNSK_ISF_E10value_typeEPSG_NS1_7vsmem_tEENKUlT_SE_SF_SG_E_clIS8_S8_S9_S9_EESD_ST_SE_SF_SG_EUlST_E0_NS1_11comp_targetILNS1_3genE3ELNS1_11target_archE908ELNS1_3gpuE7ELNS1_3repE0EEENS1_38merge_mergepath_config_static_selectorELNS0_4arch9wavefront6targetE1EEEvSF_.kd
    .uniform_work_group_size: 1
    .uses_dynamic_stack: false
    .vgpr_count:     0
    .vgpr_spill_count: 0
    .wavefront_size: 64
  - .agpr_count:     0
    .args:
      - .offset:         0
        .size:           64
        .value_kind:     by_value
    .group_segment_fixed_size: 0
    .kernarg_segment_align: 8
    .kernarg_segment_size: 64
    .language:       OpenCL C
    .language_version:
      - 2
      - 0
    .max_flat_workgroup_size: 256
    .name:           _ZN7rocprim17ROCPRIM_400000_NS6detail17trampoline_kernelINS0_14default_configENS1_38merge_sort_block_merge_config_selectorImNS0_10empty_typeEEEZZNS1_27merge_sort_block_merge_implIS3_PmPS5_jNS1_19radix_merge_compareILb1ELb0EmNS0_19identity_decomposerEEEEE10hipError_tT0_T1_T2_jT3_P12ihipStream_tbPNSt15iterator_traitsISE_E10value_typeEPNSK_ISF_E10value_typeEPSG_NS1_7vsmem_tEENKUlT_SE_SF_SG_E_clIS8_S8_S9_S9_EESD_ST_SE_SF_SG_EUlST_E0_NS1_11comp_targetILNS1_3genE2ELNS1_11target_archE906ELNS1_3gpuE6ELNS1_3repE0EEENS1_38merge_mergepath_config_static_selectorELNS0_4arch9wavefront6targetE1EEEvSF_
    .private_segment_fixed_size: 0
    .sgpr_count:     4
    .sgpr_spill_count: 0
    .symbol:         _ZN7rocprim17ROCPRIM_400000_NS6detail17trampoline_kernelINS0_14default_configENS1_38merge_sort_block_merge_config_selectorImNS0_10empty_typeEEEZZNS1_27merge_sort_block_merge_implIS3_PmPS5_jNS1_19radix_merge_compareILb1ELb0EmNS0_19identity_decomposerEEEEE10hipError_tT0_T1_T2_jT3_P12ihipStream_tbPNSt15iterator_traitsISE_E10value_typeEPNSK_ISF_E10value_typeEPSG_NS1_7vsmem_tEENKUlT_SE_SF_SG_E_clIS8_S8_S9_S9_EESD_ST_SE_SF_SG_EUlST_E0_NS1_11comp_targetILNS1_3genE2ELNS1_11target_archE906ELNS1_3gpuE6ELNS1_3repE0EEENS1_38merge_mergepath_config_static_selectorELNS0_4arch9wavefront6targetE1EEEvSF_.kd
    .uniform_work_group_size: 1
    .uses_dynamic_stack: false
    .vgpr_count:     0
    .vgpr_spill_count: 0
    .wavefront_size: 64
  - .agpr_count:     0
    .args:
      - .offset:         0
        .size:           64
        .value_kind:     by_value
    .group_segment_fixed_size: 0
    .kernarg_segment_align: 8
    .kernarg_segment_size: 64
    .language:       OpenCL C
    .language_version:
      - 2
      - 0
    .max_flat_workgroup_size: 512
    .name:           _ZN7rocprim17ROCPRIM_400000_NS6detail17trampoline_kernelINS0_14default_configENS1_38merge_sort_block_merge_config_selectorImNS0_10empty_typeEEEZZNS1_27merge_sort_block_merge_implIS3_PmPS5_jNS1_19radix_merge_compareILb1ELb0EmNS0_19identity_decomposerEEEEE10hipError_tT0_T1_T2_jT3_P12ihipStream_tbPNSt15iterator_traitsISE_E10value_typeEPNSK_ISF_E10value_typeEPSG_NS1_7vsmem_tEENKUlT_SE_SF_SG_E_clIS8_S8_S9_S9_EESD_ST_SE_SF_SG_EUlST_E0_NS1_11comp_targetILNS1_3genE9ELNS1_11target_archE1100ELNS1_3gpuE3ELNS1_3repE0EEENS1_38merge_mergepath_config_static_selectorELNS0_4arch9wavefront6targetE1EEEvSF_
    .private_segment_fixed_size: 0
    .sgpr_count:     4
    .sgpr_spill_count: 0
    .symbol:         _ZN7rocprim17ROCPRIM_400000_NS6detail17trampoline_kernelINS0_14default_configENS1_38merge_sort_block_merge_config_selectorImNS0_10empty_typeEEEZZNS1_27merge_sort_block_merge_implIS3_PmPS5_jNS1_19radix_merge_compareILb1ELb0EmNS0_19identity_decomposerEEEEE10hipError_tT0_T1_T2_jT3_P12ihipStream_tbPNSt15iterator_traitsISE_E10value_typeEPNSK_ISF_E10value_typeEPSG_NS1_7vsmem_tEENKUlT_SE_SF_SG_E_clIS8_S8_S9_S9_EESD_ST_SE_SF_SG_EUlST_E0_NS1_11comp_targetILNS1_3genE9ELNS1_11target_archE1100ELNS1_3gpuE3ELNS1_3repE0EEENS1_38merge_mergepath_config_static_selectorELNS0_4arch9wavefront6targetE1EEEvSF_.kd
    .uniform_work_group_size: 1
    .uses_dynamic_stack: false
    .vgpr_count:     0
    .vgpr_spill_count: 0
    .wavefront_size: 64
  - .agpr_count:     0
    .args:
      - .offset:         0
        .size:           64
        .value_kind:     by_value
    .group_segment_fixed_size: 0
    .kernarg_segment_align: 8
    .kernarg_segment_size: 64
    .language:       OpenCL C
    .language_version:
      - 2
      - 0
    .max_flat_workgroup_size: 1024
    .name:           _ZN7rocprim17ROCPRIM_400000_NS6detail17trampoline_kernelINS0_14default_configENS1_38merge_sort_block_merge_config_selectorImNS0_10empty_typeEEEZZNS1_27merge_sort_block_merge_implIS3_PmPS5_jNS1_19radix_merge_compareILb1ELb0EmNS0_19identity_decomposerEEEEE10hipError_tT0_T1_T2_jT3_P12ihipStream_tbPNSt15iterator_traitsISE_E10value_typeEPNSK_ISF_E10value_typeEPSG_NS1_7vsmem_tEENKUlT_SE_SF_SG_E_clIS8_S8_S9_S9_EESD_ST_SE_SF_SG_EUlST_E0_NS1_11comp_targetILNS1_3genE8ELNS1_11target_archE1030ELNS1_3gpuE2ELNS1_3repE0EEENS1_38merge_mergepath_config_static_selectorELNS0_4arch9wavefront6targetE1EEEvSF_
    .private_segment_fixed_size: 0
    .sgpr_count:     4
    .sgpr_spill_count: 0
    .symbol:         _ZN7rocprim17ROCPRIM_400000_NS6detail17trampoline_kernelINS0_14default_configENS1_38merge_sort_block_merge_config_selectorImNS0_10empty_typeEEEZZNS1_27merge_sort_block_merge_implIS3_PmPS5_jNS1_19radix_merge_compareILb1ELb0EmNS0_19identity_decomposerEEEEE10hipError_tT0_T1_T2_jT3_P12ihipStream_tbPNSt15iterator_traitsISE_E10value_typeEPNSK_ISF_E10value_typeEPSG_NS1_7vsmem_tEENKUlT_SE_SF_SG_E_clIS8_S8_S9_S9_EESD_ST_SE_SF_SG_EUlST_E0_NS1_11comp_targetILNS1_3genE8ELNS1_11target_archE1030ELNS1_3gpuE2ELNS1_3repE0EEENS1_38merge_mergepath_config_static_selectorELNS0_4arch9wavefront6targetE1EEEvSF_.kd
    .uniform_work_group_size: 1
    .uses_dynamic_stack: false
    .vgpr_count:     0
    .vgpr_spill_count: 0
    .wavefront_size: 64
  - .agpr_count:     0
    .args:
      - .offset:         0
        .size:           48
        .value_kind:     by_value
    .group_segment_fixed_size: 0
    .kernarg_segment_align: 8
    .kernarg_segment_size: 48
    .language:       OpenCL C
    .language_version:
      - 2
      - 0
    .max_flat_workgroup_size: 256
    .name:           _ZN7rocprim17ROCPRIM_400000_NS6detail17trampoline_kernelINS0_14default_configENS1_38merge_sort_block_merge_config_selectorImNS0_10empty_typeEEEZZNS1_27merge_sort_block_merge_implIS3_PmPS5_jNS1_19radix_merge_compareILb1ELb0EmNS0_19identity_decomposerEEEEE10hipError_tT0_T1_T2_jT3_P12ihipStream_tbPNSt15iterator_traitsISE_E10value_typeEPNSK_ISF_E10value_typeEPSG_NS1_7vsmem_tEENKUlT_SE_SF_SG_E_clIS8_S8_S9_S9_EESD_ST_SE_SF_SG_EUlST_E1_NS1_11comp_targetILNS1_3genE0ELNS1_11target_archE4294967295ELNS1_3gpuE0ELNS1_3repE0EEENS1_36merge_oddeven_config_static_selectorELNS0_4arch9wavefront6targetE1EEEvSF_
    .private_segment_fixed_size: 0
    .sgpr_count:     4
    .sgpr_spill_count: 0
    .symbol:         _ZN7rocprim17ROCPRIM_400000_NS6detail17trampoline_kernelINS0_14default_configENS1_38merge_sort_block_merge_config_selectorImNS0_10empty_typeEEEZZNS1_27merge_sort_block_merge_implIS3_PmPS5_jNS1_19radix_merge_compareILb1ELb0EmNS0_19identity_decomposerEEEEE10hipError_tT0_T1_T2_jT3_P12ihipStream_tbPNSt15iterator_traitsISE_E10value_typeEPNSK_ISF_E10value_typeEPSG_NS1_7vsmem_tEENKUlT_SE_SF_SG_E_clIS8_S8_S9_S9_EESD_ST_SE_SF_SG_EUlST_E1_NS1_11comp_targetILNS1_3genE0ELNS1_11target_archE4294967295ELNS1_3gpuE0ELNS1_3repE0EEENS1_36merge_oddeven_config_static_selectorELNS0_4arch9wavefront6targetE1EEEvSF_.kd
    .uniform_work_group_size: 1
    .uses_dynamic_stack: false
    .vgpr_count:     0
    .vgpr_spill_count: 0
    .wavefront_size: 64
  - .agpr_count:     0
    .args:
      - .offset:         0
        .size:           48
        .value_kind:     by_value
    .group_segment_fixed_size: 0
    .kernarg_segment_align: 8
    .kernarg_segment_size: 48
    .language:       OpenCL C
    .language_version:
      - 2
      - 0
    .max_flat_workgroup_size: 256
    .name:           _ZN7rocprim17ROCPRIM_400000_NS6detail17trampoline_kernelINS0_14default_configENS1_38merge_sort_block_merge_config_selectorImNS0_10empty_typeEEEZZNS1_27merge_sort_block_merge_implIS3_PmPS5_jNS1_19radix_merge_compareILb1ELb0EmNS0_19identity_decomposerEEEEE10hipError_tT0_T1_T2_jT3_P12ihipStream_tbPNSt15iterator_traitsISE_E10value_typeEPNSK_ISF_E10value_typeEPSG_NS1_7vsmem_tEENKUlT_SE_SF_SG_E_clIS8_S8_S9_S9_EESD_ST_SE_SF_SG_EUlST_E1_NS1_11comp_targetILNS1_3genE10ELNS1_11target_archE1201ELNS1_3gpuE5ELNS1_3repE0EEENS1_36merge_oddeven_config_static_selectorELNS0_4arch9wavefront6targetE1EEEvSF_
    .private_segment_fixed_size: 0
    .sgpr_count:     4
    .sgpr_spill_count: 0
    .symbol:         _ZN7rocprim17ROCPRIM_400000_NS6detail17trampoline_kernelINS0_14default_configENS1_38merge_sort_block_merge_config_selectorImNS0_10empty_typeEEEZZNS1_27merge_sort_block_merge_implIS3_PmPS5_jNS1_19radix_merge_compareILb1ELb0EmNS0_19identity_decomposerEEEEE10hipError_tT0_T1_T2_jT3_P12ihipStream_tbPNSt15iterator_traitsISE_E10value_typeEPNSK_ISF_E10value_typeEPSG_NS1_7vsmem_tEENKUlT_SE_SF_SG_E_clIS8_S8_S9_S9_EESD_ST_SE_SF_SG_EUlST_E1_NS1_11comp_targetILNS1_3genE10ELNS1_11target_archE1201ELNS1_3gpuE5ELNS1_3repE0EEENS1_36merge_oddeven_config_static_selectorELNS0_4arch9wavefront6targetE1EEEvSF_.kd
    .uniform_work_group_size: 1
    .uses_dynamic_stack: false
    .vgpr_count:     0
    .vgpr_spill_count: 0
    .wavefront_size: 64
  - .agpr_count:     0
    .args:
      - .offset:         0
        .size:           48
        .value_kind:     by_value
    .group_segment_fixed_size: 0
    .kernarg_segment_align: 8
    .kernarg_segment_size: 48
    .language:       OpenCL C
    .language_version:
      - 2
      - 0
    .max_flat_workgroup_size: 256
    .name:           _ZN7rocprim17ROCPRIM_400000_NS6detail17trampoline_kernelINS0_14default_configENS1_38merge_sort_block_merge_config_selectorImNS0_10empty_typeEEEZZNS1_27merge_sort_block_merge_implIS3_PmPS5_jNS1_19radix_merge_compareILb1ELb0EmNS0_19identity_decomposerEEEEE10hipError_tT0_T1_T2_jT3_P12ihipStream_tbPNSt15iterator_traitsISE_E10value_typeEPNSK_ISF_E10value_typeEPSG_NS1_7vsmem_tEENKUlT_SE_SF_SG_E_clIS8_S8_S9_S9_EESD_ST_SE_SF_SG_EUlST_E1_NS1_11comp_targetILNS1_3genE5ELNS1_11target_archE942ELNS1_3gpuE9ELNS1_3repE0EEENS1_36merge_oddeven_config_static_selectorELNS0_4arch9wavefront6targetE1EEEvSF_
    .private_segment_fixed_size: 0
    .sgpr_count:     4
    .sgpr_spill_count: 0
    .symbol:         _ZN7rocprim17ROCPRIM_400000_NS6detail17trampoline_kernelINS0_14default_configENS1_38merge_sort_block_merge_config_selectorImNS0_10empty_typeEEEZZNS1_27merge_sort_block_merge_implIS3_PmPS5_jNS1_19radix_merge_compareILb1ELb0EmNS0_19identity_decomposerEEEEE10hipError_tT0_T1_T2_jT3_P12ihipStream_tbPNSt15iterator_traitsISE_E10value_typeEPNSK_ISF_E10value_typeEPSG_NS1_7vsmem_tEENKUlT_SE_SF_SG_E_clIS8_S8_S9_S9_EESD_ST_SE_SF_SG_EUlST_E1_NS1_11comp_targetILNS1_3genE5ELNS1_11target_archE942ELNS1_3gpuE9ELNS1_3repE0EEENS1_36merge_oddeven_config_static_selectorELNS0_4arch9wavefront6targetE1EEEvSF_.kd
    .uniform_work_group_size: 1
    .uses_dynamic_stack: false
    .vgpr_count:     0
    .vgpr_spill_count: 0
    .wavefront_size: 64
  - .agpr_count:     0
    .args:
      - .offset:         0
        .size:           48
        .value_kind:     by_value
    .group_segment_fixed_size: 0
    .kernarg_segment_align: 8
    .kernarg_segment_size: 48
    .language:       OpenCL C
    .language_version:
      - 2
      - 0
    .max_flat_workgroup_size: 256
    .name:           _ZN7rocprim17ROCPRIM_400000_NS6detail17trampoline_kernelINS0_14default_configENS1_38merge_sort_block_merge_config_selectorImNS0_10empty_typeEEEZZNS1_27merge_sort_block_merge_implIS3_PmPS5_jNS1_19radix_merge_compareILb1ELb0EmNS0_19identity_decomposerEEEEE10hipError_tT0_T1_T2_jT3_P12ihipStream_tbPNSt15iterator_traitsISE_E10value_typeEPNSK_ISF_E10value_typeEPSG_NS1_7vsmem_tEENKUlT_SE_SF_SG_E_clIS8_S8_S9_S9_EESD_ST_SE_SF_SG_EUlST_E1_NS1_11comp_targetILNS1_3genE4ELNS1_11target_archE910ELNS1_3gpuE8ELNS1_3repE0EEENS1_36merge_oddeven_config_static_selectorELNS0_4arch9wavefront6targetE1EEEvSF_
    .private_segment_fixed_size: 0
    .sgpr_count:     25
    .sgpr_spill_count: 0
    .symbol:         _ZN7rocprim17ROCPRIM_400000_NS6detail17trampoline_kernelINS0_14default_configENS1_38merge_sort_block_merge_config_selectorImNS0_10empty_typeEEEZZNS1_27merge_sort_block_merge_implIS3_PmPS5_jNS1_19radix_merge_compareILb1ELb0EmNS0_19identity_decomposerEEEEE10hipError_tT0_T1_T2_jT3_P12ihipStream_tbPNSt15iterator_traitsISE_E10value_typeEPNSK_ISF_E10value_typeEPSG_NS1_7vsmem_tEENKUlT_SE_SF_SG_E_clIS8_S8_S9_S9_EESD_ST_SE_SF_SG_EUlST_E1_NS1_11comp_targetILNS1_3genE4ELNS1_11target_archE910ELNS1_3gpuE8ELNS1_3repE0EEENS1_36merge_oddeven_config_static_selectorELNS0_4arch9wavefront6targetE1EEEvSF_.kd
    .uniform_work_group_size: 1
    .uses_dynamic_stack: false
    .vgpr_count:     12
    .vgpr_spill_count: 0
    .wavefront_size: 64
  - .agpr_count:     0
    .args:
      - .offset:         0
        .size:           48
        .value_kind:     by_value
    .group_segment_fixed_size: 0
    .kernarg_segment_align: 8
    .kernarg_segment_size: 48
    .language:       OpenCL C
    .language_version:
      - 2
      - 0
    .max_flat_workgroup_size: 256
    .name:           _ZN7rocprim17ROCPRIM_400000_NS6detail17trampoline_kernelINS0_14default_configENS1_38merge_sort_block_merge_config_selectorImNS0_10empty_typeEEEZZNS1_27merge_sort_block_merge_implIS3_PmPS5_jNS1_19radix_merge_compareILb1ELb0EmNS0_19identity_decomposerEEEEE10hipError_tT0_T1_T2_jT3_P12ihipStream_tbPNSt15iterator_traitsISE_E10value_typeEPNSK_ISF_E10value_typeEPSG_NS1_7vsmem_tEENKUlT_SE_SF_SG_E_clIS8_S8_S9_S9_EESD_ST_SE_SF_SG_EUlST_E1_NS1_11comp_targetILNS1_3genE3ELNS1_11target_archE908ELNS1_3gpuE7ELNS1_3repE0EEENS1_36merge_oddeven_config_static_selectorELNS0_4arch9wavefront6targetE1EEEvSF_
    .private_segment_fixed_size: 0
    .sgpr_count:     4
    .sgpr_spill_count: 0
    .symbol:         _ZN7rocprim17ROCPRIM_400000_NS6detail17trampoline_kernelINS0_14default_configENS1_38merge_sort_block_merge_config_selectorImNS0_10empty_typeEEEZZNS1_27merge_sort_block_merge_implIS3_PmPS5_jNS1_19radix_merge_compareILb1ELb0EmNS0_19identity_decomposerEEEEE10hipError_tT0_T1_T2_jT3_P12ihipStream_tbPNSt15iterator_traitsISE_E10value_typeEPNSK_ISF_E10value_typeEPSG_NS1_7vsmem_tEENKUlT_SE_SF_SG_E_clIS8_S8_S9_S9_EESD_ST_SE_SF_SG_EUlST_E1_NS1_11comp_targetILNS1_3genE3ELNS1_11target_archE908ELNS1_3gpuE7ELNS1_3repE0EEENS1_36merge_oddeven_config_static_selectorELNS0_4arch9wavefront6targetE1EEEvSF_.kd
    .uniform_work_group_size: 1
    .uses_dynamic_stack: false
    .vgpr_count:     0
    .vgpr_spill_count: 0
    .wavefront_size: 64
  - .agpr_count:     0
    .args:
      - .offset:         0
        .size:           48
        .value_kind:     by_value
    .group_segment_fixed_size: 0
    .kernarg_segment_align: 8
    .kernarg_segment_size: 48
    .language:       OpenCL C
    .language_version:
      - 2
      - 0
    .max_flat_workgroup_size: 256
    .name:           _ZN7rocprim17ROCPRIM_400000_NS6detail17trampoline_kernelINS0_14default_configENS1_38merge_sort_block_merge_config_selectorImNS0_10empty_typeEEEZZNS1_27merge_sort_block_merge_implIS3_PmPS5_jNS1_19radix_merge_compareILb1ELb0EmNS0_19identity_decomposerEEEEE10hipError_tT0_T1_T2_jT3_P12ihipStream_tbPNSt15iterator_traitsISE_E10value_typeEPNSK_ISF_E10value_typeEPSG_NS1_7vsmem_tEENKUlT_SE_SF_SG_E_clIS8_S8_S9_S9_EESD_ST_SE_SF_SG_EUlST_E1_NS1_11comp_targetILNS1_3genE2ELNS1_11target_archE906ELNS1_3gpuE6ELNS1_3repE0EEENS1_36merge_oddeven_config_static_selectorELNS0_4arch9wavefront6targetE1EEEvSF_
    .private_segment_fixed_size: 0
    .sgpr_count:     4
    .sgpr_spill_count: 0
    .symbol:         _ZN7rocprim17ROCPRIM_400000_NS6detail17trampoline_kernelINS0_14default_configENS1_38merge_sort_block_merge_config_selectorImNS0_10empty_typeEEEZZNS1_27merge_sort_block_merge_implIS3_PmPS5_jNS1_19radix_merge_compareILb1ELb0EmNS0_19identity_decomposerEEEEE10hipError_tT0_T1_T2_jT3_P12ihipStream_tbPNSt15iterator_traitsISE_E10value_typeEPNSK_ISF_E10value_typeEPSG_NS1_7vsmem_tEENKUlT_SE_SF_SG_E_clIS8_S8_S9_S9_EESD_ST_SE_SF_SG_EUlST_E1_NS1_11comp_targetILNS1_3genE2ELNS1_11target_archE906ELNS1_3gpuE6ELNS1_3repE0EEENS1_36merge_oddeven_config_static_selectorELNS0_4arch9wavefront6targetE1EEEvSF_.kd
    .uniform_work_group_size: 1
    .uses_dynamic_stack: false
    .vgpr_count:     0
    .vgpr_spill_count: 0
    .wavefront_size: 64
  - .agpr_count:     0
    .args:
      - .offset:         0
        .size:           48
        .value_kind:     by_value
    .group_segment_fixed_size: 0
    .kernarg_segment_align: 8
    .kernarg_segment_size: 48
    .language:       OpenCL C
    .language_version:
      - 2
      - 0
    .max_flat_workgroup_size: 256
    .name:           _ZN7rocprim17ROCPRIM_400000_NS6detail17trampoline_kernelINS0_14default_configENS1_38merge_sort_block_merge_config_selectorImNS0_10empty_typeEEEZZNS1_27merge_sort_block_merge_implIS3_PmPS5_jNS1_19radix_merge_compareILb1ELb0EmNS0_19identity_decomposerEEEEE10hipError_tT0_T1_T2_jT3_P12ihipStream_tbPNSt15iterator_traitsISE_E10value_typeEPNSK_ISF_E10value_typeEPSG_NS1_7vsmem_tEENKUlT_SE_SF_SG_E_clIS8_S8_S9_S9_EESD_ST_SE_SF_SG_EUlST_E1_NS1_11comp_targetILNS1_3genE9ELNS1_11target_archE1100ELNS1_3gpuE3ELNS1_3repE0EEENS1_36merge_oddeven_config_static_selectorELNS0_4arch9wavefront6targetE1EEEvSF_
    .private_segment_fixed_size: 0
    .sgpr_count:     4
    .sgpr_spill_count: 0
    .symbol:         _ZN7rocprim17ROCPRIM_400000_NS6detail17trampoline_kernelINS0_14default_configENS1_38merge_sort_block_merge_config_selectorImNS0_10empty_typeEEEZZNS1_27merge_sort_block_merge_implIS3_PmPS5_jNS1_19radix_merge_compareILb1ELb0EmNS0_19identity_decomposerEEEEE10hipError_tT0_T1_T2_jT3_P12ihipStream_tbPNSt15iterator_traitsISE_E10value_typeEPNSK_ISF_E10value_typeEPSG_NS1_7vsmem_tEENKUlT_SE_SF_SG_E_clIS8_S8_S9_S9_EESD_ST_SE_SF_SG_EUlST_E1_NS1_11comp_targetILNS1_3genE9ELNS1_11target_archE1100ELNS1_3gpuE3ELNS1_3repE0EEENS1_36merge_oddeven_config_static_selectorELNS0_4arch9wavefront6targetE1EEEvSF_.kd
    .uniform_work_group_size: 1
    .uses_dynamic_stack: false
    .vgpr_count:     0
    .vgpr_spill_count: 0
    .wavefront_size: 64
  - .agpr_count:     0
    .args:
      - .offset:         0
        .size:           48
        .value_kind:     by_value
    .group_segment_fixed_size: 0
    .kernarg_segment_align: 8
    .kernarg_segment_size: 48
    .language:       OpenCL C
    .language_version:
      - 2
      - 0
    .max_flat_workgroup_size: 256
    .name:           _ZN7rocprim17ROCPRIM_400000_NS6detail17trampoline_kernelINS0_14default_configENS1_38merge_sort_block_merge_config_selectorImNS0_10empty_typeEEEZZNS1_27merge_sort_block_merge_implIS3_PmPS5_jNS1_19radix_merge_compareILb1ELb0EmNS0_19identity_decomposerEEEEE10hipError_tT0_T1_T2_jT3_P12ihipStream_tbPNSt15iterator_traitsISE_E10value_typeEPNSK_ISF_E10value_typeEPSG_NS1_7vsmem_tEENKUlT_SE_SF_SG_E_clIS8_S8_S9_S9_EESD_ST_SE_SF_SG_EUlST_E1_NS1_11comp_targetILNS1_3genE8ELNS1_11target_archE1030ELNS1_3gpuE2ELNS1_3repE0EEENS1_36merge_oddeven_config_static_selectorELNS0_4arch9wavefront6targetE1EEEvSF_
    .private_segment_fixed_size: 0
    .sgpr_count:     4
    .sgpr_spill_count: 0
    .symbol:         _ZN7rocprim17ROCPRIM_400000_NS6detail17trampoline_kernelINS0_14default_configENS1_38merge_sort_block_merge_config_selectorImNS0_10empty_typeEEEZZNS1_27merge_sort_block_merge_implIS3_PmPS5_jNS1_19radix_merge_compareILb1ELb0EmNS0_19identity_decomposerEEEEE10hipError_tT0_T1_T2_jT3_P12ihipStream_tbPNSt15iterator_traitsISE_E10value_typeEPNSK_ISF_E10value_typeEPSG_NS1_7vsmem_tEENKUlT_SE_SF_SG_E_clIS8_S8_S9_S9_EESD_ST_SE_SF_SG_EUlST_E1_NS1_11comp_targetILNS1_3genE8ELNS1_11target_archE1030ELNS1_3gpuE2ELNS1_3repE0EEENS1_36merge_oddeven_config_static_selectorELNS0_4arch9wavefront6targetE1EEEvSF_.kd
    .uniform_work_group_size: 1
    .uses_dynamic_stack: false
    .vgpr_count:     0
    .vgpr_spill_count: 0
    .wavefront_size: 64
  - .agpr_count:     0
    .args:
      - .offset:         0
        .size:           40
        .value_kind:     by_value
    .group_segment_fixed_size: 0
    .kernarg_segment_align: 8
    .kernarg_segment_size: 40
    .language:       OpenCL C
    .language_version:
      - 2
      - 0
    .max_flat_workgroup_size: 128
    .name:           _ZN7rocprim17ROCPRIM_400000_NS6detail17trampoline_kernelINS0_14default_configENS1_38merge_sort_block_merge_config_selectorImNS0_10empty_typeEEEZZNS1_27merge_sort_block_merge_implIS3_PmPS5_jNS1_19radix_merge_compareILb1ELb1EmNS0_19identity_decomposerEEEEE10hipError_tT0_T1_T2_jT3_P12ihipStream_tbPNSt15iterator_traitsISE_E10value_typeEPNSK_ISF_E10value_typeEPSG_NS1_7vsmem_tEENKUlT_SE_SF_SG_E_clIS8_S8_S9_S9_EESD_ST_SE_SF_SG_EUlST_E_NS1_11comp_targetILNS1_3genE0ELNS1_11target_archE4294967295ELNS1_3gpuE0ELNS1_3repE0EEENS1_48merge_mergepath_partition_config_static_selectorELNS0_4arch9wavefront6targetE1EEEvSF_
    .private_segment_fixed_size: 0
    .sgpr_count:     4
    .sgpr_spill_count: 0
    .symbol:         _ZN7rocprim17ROCPRIM_400000_NS6detail17trampoline_kernelINS0_14default_configENS1_38merge_sort_block_merge_config_selectorImNS0_10empty_typeEEEZZNS1_27merge_sort_block_merge_implIS3_PmPS5_jNS1_19radix_merge_compareILb1ELb1EmNS0_19identity_decomposerEEEEE10hipError_tT0_T1_T2_jT3_P12ihipStream_tbPNSt15iterator_traitsISE_E10value_typeEPNSK_ISF_E10value_typeEPSG_NS1_7vsmem_tEENKUlT_SE_SF_SG_E_clIS8_S8_S9_S9_EESD_ST_SE_SF_SG_EUlST_E_NS1_11comp_targetILNS1_3genE0ELNS1_11target_archE4294967295ELNS1_3gpuE0ELNS1_3repE0EEENS1_48merge_mergepath_partition_config_static_selectorELNS0_4arch9wavefront6targetE1EEEvSF_.kd
    .uniform_work_group_size: 1
    .uses_dynamic_stack: false
    .vgpr_count:     0
    .vgpr_spill_count: 0
    .wavefront_size: 64
  - .agpr_count:     0
    .args:
      - .offset:         0
        .size:           40
        .value_kind:     by_value
    .group_segment_fixed_size: 0
    .kernarg_segment_align: 8
    .kernarg_segment_size: 40
    .language:       OpenCL C
    .language_version:
      - 2
      - 0
    .max_flat_workgroup_size: 128
    .name:           _ZN7rocprim17ROCPRIM_400000_NS6detail17trampoline_kernelINS0_14default_configENS1_38merge_sort_block_merge_config_selectorImNS0_10empty_typeEEEZZNS1_27merge_sort_block_merge_implIS3_PmPS5_jNS1_19radix_merge_compareILb1ELb1EmNS0_19identity_decomposerEEEEE10hipError_tT0_T1_T2_jT3_P12ihipStream_tbPNSt15iterator_traitsISE_E10value_typeEPNSK_ISF_E10value_typeEPSG_NS1_7vsmem_tEENKUlT_SE_SF_SG_E_clIS8_S8_S9_S9_EESD_ST_SE_SF_SG_EUlST_E_NS1_11comp_targetILNS1_3genE10ELNS1_11target_archE1201ELNS1_3gpuE5ELNS1_3repE0EEENS1_48merge_mergepath_partition_config_static_selectorELNS0_4arch9wavefront6targetE1EEEvSF_
    .private_segment_fixed_size: 0
    .sgpr_count:     4
    .sgpr_spill_count: 0
    .symbol:         _ZN7rocprim17ROCPRIM_400000_NS6detail17trampoline_kernelINS0_14default_configENS1_38merge_sort_block_merge_config_selectorImNS0_10empty_typeEEEZZNS1_27merge_sort_block_merge_implIS3_PmPS5_jNS1_19radix_merge_compareILb1ELb1EmNS0_19identity_decomposerEEEEE10hipError_tT0_T1_T2_jT3_P12ihipStream_tbPNSt15iterator_traitsISE_E10value_typeEPNSK_ISF_E10value_typeEPSG_NS1_7vsmem_tEENKUlT_SE_SF_SG_E_clIS8_S8_S9_S9_EESD_ST_SE_SF_SG_EUlST_E_NS1_11comp_targetILNS1_3genE10ELNS1_11target_archE1201ELNS1_3gpuE5ELNS1_3repE0EEENS1_48merge_mergepath_partition_config_static_selectorELNS0_4arch9wavefront6targetE1EEEvSF_.kd
    .uniform_work_group_size: 1
    .uses_dynamic_stack: false
    .vgpr_count:     0
    .vgpr_spill_count: 0
    .wavefront_size: 64
  - .agpr_count:     0
    .args:
      - .offset:         0
        .size:           40
        .value_kind:     by_value
    .group_segment_fixed_size: 0
    .kernarg_segment_align: 8
    .kernarg_segment_size: 40
    .language:       OpenCL C
    .language_version:
      - 2
      - 0
    .max_flat_workgroup_size: 128
    .name:           _ZN7rocprim17ROCPRIM_400000_NS6detail17trampoline_kernelINS0_14default_configENS1_38merge_sort_block_merge_config_selectorImNS0_10empty_typeEEEZZNS1_27merge_sort_block_merge_implIS3_PmPS5_jNS1_19radix_merge_compareILb1ELb1EmNS0_19identity_decomposerEEEEE10hipError_tT0_T1_T2_jT3_P12ihipStream_tbPNSt15iterator_traitsISE_E10value_typeEPNSK_ISF_E10value_typeEPSG_NS1_7vsmem_tEENKUlT_SE_SF_SG_E_clIS8_S8_S9_S9_EESD_ST_SE_SF_SG_EUlST_E_NS1_11comp_targetILNS1_3genE5ELNS1_11target_archE942ELNS1_3gpuE9ELNS1_3repE0EEENS1_48merge_mergepath_partition_config_static_selectorELNS0_4arch9wavefront6targetE1EEEvSF_
    .private_segment_fixed_size: 0
    .sgpr_count:     4
    .sgpr_spill_count: 0
    .symbol:         _ZN7rocprim17ROCPRIM_400000_NS6detail17trampoline_kernelINS0_14default_configENS1_38merge_sort_block_merge_config_selectorImNS0_10empty_typeEEEZZNS1_27merge_sort_block_merge_implIS3_PmPS5_jNS1_19radix_merge_compareILb1ELb1EmNS0_19identity_decomposerEEEEE10hipError_tT0_T1_T2_jT3_P12ihipStream_tbPNSt15iterator_traitsISE_E10value_typeEPNSK_ISF_E10value_typeEPSG_NS1_7vsmem_tEENKUlT_SE_SF_SG_E_clIS8_S8_S9_S9_EESD_ST_SE_SF_SG_EUlST_E_NS1_11comp_targetILNS1_3genE5ELNS1_11target_archE942ELNS1_3gpuE9ELNS1_3repE0EEENS1_48merge_mergepath_partition_config_static_selectorELNS0_4arch9wavefront6targetE1EEEvSF_.kd
    .uniform_work_group_size: 1
    .uses_dynamic_stack: false
    .vgpr_count:     0
    .vgpr_spill_count: 0
    .wavefront_size: 64
  - .agpr_count:     0
    .args:
      - .offset:         0
        .size:           40
        .value_kind:     by_value
    .group_segment_fixed_size: 0
    .kernarg_segment_align: 8
    .kernarg_segment_size: 40
    .language:       OpenCL C
    .language_version:
      - 2
      - 0
    .max_flat_workgroup_size: 128
    .name:           _ZN7rocprim17ROCPRIM_400000_NS6detail17trampoline_kernelINS0_14default_configENS1_38merge_sort_block_merge_config_selectorImNS0_10empty_typeEEEZZNS1_27merge_sort_block_merge_implIS3_PmPS5_jNS1_19radix_merge_compareILb1ELb1EmNS0_19identity_decomposerEEEEE10hipError_tT0_T1_T2_jT3_P12ihipStream_tbPNSt15iterator_traitsISE_E10value_typeEPNSK_ISF_E10value_typeEPSG_NS1_7vsmem_tEENKUlT_SE_SF_SG_E_clIS8_S8_S9_S9_EESD_ST_SE_SF_SG_EUlST_E_NS1_11comp_targetILNS1_3genE4ELNS1_11target_archE910ELNS1_3gpuE8ELNS1_3repE0EEENS1_48merge_mergepath_partition_config_static_selectorELNS0_4arch9wavefront6targetE1EEEvSF_
    .private_segment_fixed_size: 0
    .sgpr_count:     14
    .sgpr_spill_count: 0
    .symbol:         _ZN7rocprim17ROCPRIM_400000_NS6detail17trampoline_kernelINS0_14default_configENS1_38merge_sort_block_merge_config_selectorImNS0_10empty_typeEEEZZNS1_27merge_sort_block_merge_implIS3_PmPS5_jNS1_19radix_merge_compareILb1ELb1EmNS0_19identity_decomposerEEEEE10hipError_tT0_T1_T2_jT3_P12ihipStream_tbPNSt15iterator_traitsISE_E10value_typeEPNSK_ISF_E10value_typeEPSG_NS1_7vsmem_tEENKUlT_SE_SF_SG_E_clIS8_S8_S9_S9_EESD_ST_SE_SF_SG_EUlST_E_NS1_11comp_targetILNS1_3genE4ELNS1_11target_archE910ELNS1_3gpuE8ELNS1_3repE0EEENS1_48merge_mergepath_partition_config_static_selectorELNS0_4arch9wavefront6targetE1EEEvSF_.kd
    .uniform_work_group_size: 1
    .uses_dynamic_stack: false
    .vgpr_count:     16
    .vgpr_spill_count: 0
    .wavefront_size: 64
  - .agpr_count:     0
    .args:
      - .offset:         0
        .size:           40
        .value_kind:     by_value
    .group_segment_fixed_size: 0
    .kernarg_segment_align: 8
    .kernarg_segment_size: 40
    .language:       OpenCL C
    .language_version:
      - 2
      - 0
    .max_flat_workgroup_size: 128
    .name:           _ZN7rocprim17ROCPRIM_400000_NS6detail17trampoline_kernelINS0_14default_configENS1_38merge_sort_block_merge_config_selectorImNS0_10empty_typeEEEZZNS1_27merge_sort_block_merge_implIS3_PmPS5_jNS1_19radix_merge_compareILb1ELb1EmNS0_19identity_decomposerEEEEE10hipError_tT0_T1_T2_jT3_P12ihipStream_tbPNSt15iterator_traitsISE_E10value_typeEPNSK_ISF_E10value_typeEPSG_NS1_7vsmem_tEENKUlT_SE_SF_SG_E_clIS8_S8_S9_S9_EESD_ST_SE_SF_SG_EUlST_E_NS1_11comp_targetILNS1_3genE3ELNS1_11target_archE908ELNS1_3gpuE7ELNS1_3repE0EEENS1_48merge_mergepath_partition_config_static_selectorELNS0_4arch9wavefront6targetE1EEEvSF_
    .private_segment_fixed_size: 0
    .sgpr_count:     4
    .sgpr_spill_count: 0
    .symbol:         _ZN7rocprim17ROCPRIM_400000_NS6detail17trampoline_kernelINS0_14default_configENS1_38merge_sort_block_merge_config_selectorImNS0_10empty_typeEEEZZNS1_27merge_sort_block_merge_implIS3_PmPS5_jNS1_19radix_merge_compareILb1ELb1EmNS0_19identity_decomposerEEEEE10hipError_tT0_T1_T2_jT3_P12ihipStream_tbPNSt15iterator_traitsISE_E10value_typeEPNSK_ISF_E10value_typeEPSG_NS1_7vsmem_tEENKUlT_SE_SF_SG_E_clIS8_S8_S9_S9_EESD_ST_SE_SF_SG_EUlST_E_NS1_11comp_targetILNS1_3genE3ELNS1_11target_archE908ELNS1_3gpuE7ELNS1_3repE0EEENS1_48merge_mergepath_partition_config_static_selectorELNS0_4arch9wavefront6targetE1EEEvSF_.kd
    .uniform_work_group_size: 1
    .uses_dynamic_stack: false
    .vgpr_count:     0
    .vgpr_spill_count: 0
    .wavefront_size: 64
  - .agpr_count:     0
    .args:
      - .offset:         0
        .size:           40
        .value_kind:     by_value
    .group_segment_fixed_size: 0
    .kernarg_segment_align: 8
    .kernarg_segment_size: 40
    .language:       OpenCL C
    .language_version:
      - 2
      - 0
    .max_flat_workgroup_size: 128
    .name:           _ZN7rocprim17ROCPRIM_400000_NS6detail17trampoline_kernelINS0_14default_configENS1_38merge_sort_block_merge_config_selectorImNS0_10empty_typeEEEZZNS1_27merge_sort_block_merge_implIS3_PmPS5_jNS1_19radix_merge_compareILb1ELb1EmNS0_19identity_decomposerEEEEE10hipError_tT0_T1_T2_jT3_P12ihipStream_tbPNSt15iterator_traitsISE_E10value_typeEPNSK_ISF_E10value_typeEPSG_NS1_7vsmem_tEENKUlT_SE_SF_SG_E_clIS8_S8_S9_S9_EESD_ST_SE_SF_SG_EUlST_E_NS1_11comp_targetILNS1_3genE2ELNS1_11target_archE906ELNS1_3gpuE6ELNS1_3repE0EEENS1_48merge_mergepath_partition_config_static_selectorELNS0_4arch9wavefront6targetE1EEEvSF_
    .private_segment_fixed_size: 0
    .sgpr_count:     4
    .sgpr_spill_count: 0
    .symbol:         _ZN7rocprim17ROCPRIM_400000_NS6detail17trampoline_kernelINS0_14default_configENS1_38merge_sort_block_merge_config_selectorImNS0_10empty_typeEEEZZNS1_27merge_sort_block_merge_implIS3_PmPS5_jNS1_19radix_merge_compareILb1ELb1EmNS0_19identity_decomposerEEEEE10hipError_tT0_T1_T2_jT3_P12ihipStream_tbPNSt15iterator_traitsISE_E10value_typeEPNSK_ISF_E10value_typeEPSG_NS1_7vsmem_tEENKUlT_SE_SF_SG_E_clIS8_S8_S9_S9_EESD_ST_SE_SF_SG_EUlST_E_NS1_11comp_targetILNS1_3genE2ELNS1_11target_archE906ELNS1_3gpuE6ELNS1_3repE0EEENS1_48merge_mergepath_partition_config_static_selectorELNS0_4arch9wavefront6targetE1EEEvSF_.kd
    .uniform_work_group_size: 1
    .uses_dynamic_stack: false
    .vgpr_count:     0
    .vgpr_spill_count: 0
    .wavefront_size: 64
  - .agpr_count:     0
    .args:
      - .offset:         0
        .size:           40
        .value_kind:     by_value
    .group_segment_fixed_size: 0
    .kernarg_segment_align: 8
    .kernarg_segment_size: 40
    .language:       OpenCL C
    .language_version:
      - 2
      - 0
    .max_flat_workgroup_size: 128
    .name:           _ZN7rocprim17ROCPRIM_400000_NS6detail17trampoline_kernelINS0_14default_configENS1_38merge_sort_block_merge_config_selectorImNS0_10empty_typeEEEZZNS1_27merge_sort_block_merge_implIS3_PmPS5_jNS1_19radix_merge_compareILb1ELb1EmNS0_19identity_decomposerEEEEE10hipError_tT0_T1_T2_jT3_P12ihipStream_tbPNSt15iterator_traitsISE_E10value_typeEPNSK_ISF_E10value_typeEPSG_NS1_7vsmem_tEENKUlT_SE_SF_SG_E_clIS8_S8_S9_S9_EESD_ST_SE_SF_SG_EUlST_E_NS1_11comp_targetILNS1_3genE9ELNS1_11target_archE1100ELNS1_3gpuE3ELNS1_3repE0EEENS1_48merge_mergepath_partition_config_static_selectorELNS0_4arch9wavefront6targetE1EEEvSF_
    .private_segment_fixed_size: 0
    .sgpr_count:     4
    .sgpr_spill_count: 0
    .symbol:         _ZN7rocprim17ROCPRIM_400000_NS6detail17trampoline_kernelINS0_14default_configENS1_38merge_sort_block_merge_config_selectorImNS0_10empty_typeEEEZZNS1_27merge_sort_block_merge_implIS3_PmPS5_jNS1_19radix_merge_compareILb1ELb1EmNS0_19identity_decomposerEEEEE10hipError_tT0_T1_T2_jT3_P12ihipStream_tbPNSt15iterator_traitsISE_E10value_typeEPNSK_ISF_E10value_typeEPSG_NS1_7vsmem_tEENKUlT_SE_SF_SG_E_clIS8_S8_S9_S9_EESD_ST_SE_SF_SG_EUlST_E_NS1_11comp_targetILNS1_3genE9ELNS1_11target_archE1100ELNS1_3gpuE3ELNS1_3repE0EEENS1_48merge_mergepath_partition_config_static_selectorELNS0_4arch9wavefront6targetE1EEEvSF_.kd
    .uniform_work_group_size: 1
    .uses_dynamic_stack: false
    .vgpr_count:     0
    .vgpr_spill_count: 0
    .wavefront_size: 64
  - .agpr_count:     0
    .args:
      - .offset:         0
        .size:           40
        .value_kind:     by_value
    .group_segment_fixed_size: 0
    .kernarg_segment_align: 8
    .kernarg_segment_size: 40
    .language:       OpenCL C
    .language_version:
      - 2
      - 0
    .max_flat_workgroup_size: 128
    .name:           _ZN7rocprim17ROCPRIM_400000_NS6detail17trampoline_kernelINS0_14default_configENS1_38merge_sort_block_merge_config_selectorImNS0_10empty_typeEEEZZNS1_27merge_sort_block_merge_implIS3_PmPS5_jNS1_19radix_merge_compareILb1ELb1EmNS0_19identity_decomposerEEEEE10hipError_tT0_T1_T2_jT3_P12ihipStream_tbPNSt15iterator_traitsISE_E10value_typeEPNSK_ISF_E10value_typeEPSG_NS1_7vsmem_tEENKUlT_SE_SF_SG_E_clIS8_S8_S9_S9_EESD_ST_SE_SF_SG_EUlST_E_NS1_11comp_targetILNS1_3genE8ELNS1_11target_archE1030ELNS1_3gpuE2ELNS1_3repE0EEENS1_48merge_mergepath_partition_config_static_selectorELNS0_4arch9wavefront6targetE1EEEvSF_
    .private_segment_fixed_size: 0
    .sgpr_count:     4
    .sgpr_spill_count: 0
    .symbol:         _ZN7rocprim17ROCPRIM_400000_NS6detail17trampoline_kernelINS0_14default_configENS1_38merge_sort_block_merge_config_selectorImNS0_10empty_typeEEEZZNS1_27merge_sort_block_merge_implIS3_PmPS5_jNS1_19radix_merge_compareILb1ELb1EmNS0_19identity_decomposerEEEEE10hipError_tT0_T1_T2_jT3_P12ihipStream_tbPNSt15iterator_traitsISE_E10value_typeEPNSK_ISF_E10value_typeEPSG_NS1_7vsmem_tEENKUlT_SE_SF_SG_E_clIS8_S8_S9_S9_EESD_ST_SE_SF_SG_EUlST_E_NS1_11comp_targetILNS1_3genE8ELNS1_11target_archE1030ELNS1_3gpuE2ELNS1_3repE0EEENS1_48merge_mergepath_partition_config_static_selectorELNS0_4arch9wavefront6targetE1EEEvSF_.kd
    .uniform_work_group_size: 1
    .uses_dynamic_stack: false
    .vgpr_count:     0
    .vgpr_spill_count: 0
    .wavefront_size: 64
  - .agpr_count:     0
    .args:
      - .offset:         0
        .size:           72
        .value_kind:     by_value
    .group_segment_fixed_size: 0
    .kernarg_segment_align: 8
    .kernarg_segment_size: 72
    .language:       OpenCL C
    .language_version:
      - 2
      - 0
    .max_flat_workgroup_size: 128
    .name:           _ZN7rocprim17ROCPRIM_400000_NS6detail17trampoline_kernelINS0_14default_configENS1_38merge_sort_block_merge_config_selectorImNS0_10empty_typeEEEZZNS1_27merge_sort_block_merge_implIS3_PmPS5_jNS1_19radix_merge_compareILb1ELb1EmNS0_19identity_decomposerEEEEE10hipError_tT0_T1_T2_jT3_P12ihipStream_tbPNSt15iterator_traitsISE_E10value_typeEPNSK_ISF_E10value_typeEPSG_NS1_7vsmem_tEENKUlT_SE_SF_SG_E_clIS8_S8_S9_S9_EESD_ST_SE_SF_SG_EUlST_E0_NS1_11comp_targetILNS1_3genE0ELNS1_11target_archE4294967295ELNS1_3gpuE0ELNS1_3repE0EEENS1_38merge_mergepath_config_static_selectorELNS0_4arch9wavefront6targetE1EEEvSF_
    .private_segment_fixed_size: 0
    .sgpr_count:     4
    .sgpr_spill_count: 0
    .symbol:         _ZN7rocprim17ROCPRIM_400000_NS6detail17trampoline_kernelINS0_14default_configENS1_38merge_sort_block_merge_config_selectorImNS0_10empty_typeEEEZZNS1_27merge_sort_block_merge_implIS3_PmPS5_jNS1_19radix_merge_compareILb1ELb1EmNS0_19identity_decomposerEEEEE10hipError_tT0_T1_T2_jT3_P12ihipStream_tbPNSt15iterator_traitsISE_E10value_typeEPNSK_ISF_E10value_typeEPSG_NS1_7vsmem_tEENKUlT_SE_SF_SG_E_clIS8_S8_S9_S9_EESD_ST_SE_SF_SG_EUlST_E0_NS1_11comp_targetILNS1_3genE0ELNS1_11target_archE4294967295ELNS1_3gpuE0ELNS1_3repE0EEENS1_38merge_mergepath_config_static_selectorELNS0_4arch9wavefront6targetE1EEEvSF_.kd
    .uniform_work_group_size: 1
    .uses_dynamic_stack: false
    .vgpr_count:     0
    .vgpr_spill_count: 0
    .wavefront_size: 64
  - .agpr_count:     0
    .args:
      - .offset:         0
        .size:           72
        .value_kind:     by_value
    .group_segment_fixed_size: 0
    .kernarg_segment_align: 8
    .kernarg_segment_size: 72
    .language:       OpenCL C
    .language_version:
      - 2
      - 0
    .max_flat_workgroup_size: 512
    .name:           _ZN7rocprim17ROCPRIM_400000_NS6detail17trampoline_kernelINS0_14default_configENS1_38merge_sort_block_merge_config_selectorImNS0_10empty_typeEEEZZNS1_27merge_sort_block_merge_implIS3_PmPS5_jNS1_19radix_merge_compareILb1ELb1EmNS0_19identity_decomposerEEEEE10hipError_tT0_T1_T2_jT3_P12ihipStream_tbPNSt15iterator_traitsISE_E10value_typeEPNSK_ISF_E10value_typeEPSG_NS1_7vsmem_tEENKUlT_SE_SF_SG_E_clIS8_S8_S9_S9_EESD_ST_SE_SF_SG_EUlST_E0_NS1_11comp_targetILNS1_3genE10ELNS1_11target_archE1201ELNS1_3gpuE5ELNS1_3repE0EEENS1_38merge_mergepath_config_static_selectorELNS0_4arch9wavefront6targetE1EEEvSF_
    .private_segment_fixed_size: 0
    .sgpr_count:     4
    .sgpr_spill_count: 0
    .symbol:         _ZN7rocprim17ROCPRIM_400000_NS6detail17trampoline_kernelINS0_14default_configENS1_38merge_sort_block_merge_config_selectorImNS0_10empty_typeEEEZZNS1_27merge_sort_block_merge_implIS3_PmPS5_jNS1_19radix_merge_compareILb1ELb1EmNS0_19identity_decomposerEEEEE10hipError_tT0_T1_T2_jT3_P12ihipStream_tbPNSt15iterator_traitsISE_E10value_typeEPNSK_ISF_E10value_typeEPSG_NS1_7vsmem_tEENKUlT_SE_SF_SG_E_clIS8_S8_S9_S9_EESD_ST_SE_SF_SG_EUlST_E0_NS1_11comp_targetILNS1_3genE10ELNS1_11target_archE1201ELNS1_3gpuE5ELNS1_3repE0EEENS1_38merge_mergepath_config_static_selectorELNS0_4arch9wavefront6targetE1EEEvSF_.kd
    .uniform_work_group_size: 1
    .uses_dynamic_stack: false
    .vgpr_count:     0
    .vgpr_spill_count: 0
    .wavefront_size: 64
  - .agpr_count:     0
    .args:
      - .offset:         0
        .size:           72
        .value_kind:     by_value
    .group_segment_fixed_size: 0
    .kernarg_segment_align: 8
    .kernarg_segment_size: 72
    .language:       OpenCL C
    .language_version:
      - 2
      - 0
    .max_flat_workgroup_size: 128
    .name:           _ZN7rocprim17ROCPRIM_400000_NS6detail17trampoline_kernelINS0_14default_configENS1_38merge_sort_block_merge_config_selectorImNS0_10empty_typeEEEZZNS1_27merge_sort_block_merge_implIS3_PmPS5_jNS1_19radix_merge_compareILb1ELb1EmNS0_19identity_decomposerEEEEE10hipError_tT0_T1_T2_jT3_P12ihipStream_tbPNSt15iterator_traitsISE_E10value_typeEPNSK_ISF_E10value_typeEPSG_NS1_7vsmem_tEENKUlT_SE_SF_SG_E_clIS8_S8_S9_S9_EESD_ST_SE_SF_SG_EUlST_E0_NS1_11comp_targetILNS1_3genE5ELNS1_11target_archE942ELNS1_3gpuE9ELNS1_3repE0EEENS1_38merge_mergepath_config_static_selectorELNS0_4arch9wavefront6targetE1EEEvSF_
    .private_segment_fixed_size: 0
    .sgpr_count:     4
    .sgpr_spill_count: 0
    .symbol:         _ZN7rocprim17ROCPRIM_400000_NS6detail17trampoline_kernelINS0_14default_configENS1_38merge_sort_block_merge_config_selectorImNS0_10empty_typeEEEZZNS1_27merge_sort_block_merge_implIS3_PmPS5_jNS1_19radix_merge_compareILb1ELb1EmNS0_19identity_decomposerEEEEE10hipError_tT0_T1_T2_jT3_P12ihipStream_tbPNSt15iterator_traitsISE_E10value_typeEPNSK_ISF_E10value_typeEPSG_NS1_7vsmem_tEENKUlT_SE_SF_SG_E_clIS8_S8_S9_S9_EESD_ST_SE_SF_SG_EUlST_E0_NS1_11comp_targetILNS1_3genE5ELNS1_11target_archE942ELNS1_3gpuE9ELNS1_3repE0EEENS1_38merge_mergepath_config_static_selectorELNS0_4arch9wavefront6targetE1EEEvSF_.kd
    .uniform_work_group_size: 1
    .uses_dynamic_stack: false
    .vgpr_count:     0
    .vgpr_spill_count: 0
    .wavefront_size: 64
  - .agpr_count:     0
    .args:
      - .offset:         0
        .size:           72
        .value_kind:     by_value
      - .offset:         72
        .size:           4
        .value_kind:     hidden_block_count_x
      - .offset:         76
        .size:           4
        .value_kind:     hidden_block_count_y
      - .offset:         80
        .size:           4
        .value_kind:     hidden_block_count_z
      - .offset:         84
        .size:           2
        .value_kind:     hidden_group_size_x
      - .offset:         86
        .size:           2
        .value_kind:     hidden_group_size_y
      - .offset:         88
        .size:           2
        .value_kind:     hidden_group_size_z
      - .offset:         90
        .size:           2
        .value_kind:     hidden_remainder_x
      - .offset:         92
        .size:           2
        .value_kind:     hidden_remainder_y
      - .offset:         94
        .size:           2
        .value_kind:     hidden_remainder_z
      - .offset:         112
        .size:           8
        .value_kind:     hidden_global_offset_x
      - .offset:         120
        .size:           8
        .value_kind:     hidden_global_offset_y
      - .offset:         128
        .size:           8
        .value_kind:     hidden_global_offset_z
      - .offset:         136
        .size:           2
        .value_kind:     hidden_grid_dims
    .group_segment_fixed_size: 8448
    .kernarg_segment_align: 8
    .kernarg_segment_size: 328
    .language:       OpenCL C
    .language_version:
      - 2
      - 0
    .max_flat_workgroup_size: 256
    .name:           _ZN7rocprim17ROCPRIM_400000_NS6detail17trampoline_kernelINS0_14default_configENS1_38merge_sort_block_merge_config_selectorImNS0_10empty_typeEEEZZNS1_27merge_sort_block_merge_implIS3_PmPS5_jNS1_19radix_merge_compareILb1ELb1EmNS0_19identity_decomposerEEEEE10hipError_tT0_T1_T2_jT3_P12ihipStream_tbPNSt15iterator_traitsISE_E10value_typeEPNSK_ISF_E10value_typeEPSG_NS1_7vsmem_tEENKUlT_SE_SF_SG_E_clIS8_S8_S9_S9_EESD_ST_SE_SF_SG_EUlST_E0_NS1_11comp_targetILNS1_3genE4ELNS1_11target_archE910ELNS1_3gpuE8ELNS1_3repE0EEENS1_38merge_mergepath_config_static_selectorELNS0_4arch9wavefront6targetE1EEEvSF_
    .private_segment_fixed_size: 0
    .sgpr_count:     30
    .sgpr_spill_count: 0
    .symbol:         _ZN7rocprim17ROCPRIM_400000_NS6detail17trampoline_kernelINS0_14default_configENS1_38merge_sort_block_merge_config_selectorImNS0_10empty_typeEEEZZNS1_27merge_sort_block_merge_implIS3_PmPS5_jNS1_19radix_merge_compareILb1ELb1EmNS0_19identity_decomposerEEEEE10hipError_tT0_T1_T2_jT3_P12ihipStream_tbPNSt15iterator_traitsISE_E10value_typeEPNSK_ISF_E10value_typeEPSG_NS1_7vsmem_tEENKUlT_SE_SF_SG_E_clIS8_S8_S9_S9_EESD_ST_SE_SF_SG_EUlST_E0_NS1_11comp_targetILNS1_3genE4ELNS1_11target_archE910ELNS1_3gpuE8ELNS1_3repE0EEENS1_38merge_mergepath_config_static_selectorELNS0_4arch9wavefront6targetE1EEEvSF_.kd
    .uniform_work_group_size: 1
    .uses_dynamic_stack: false
    .vgpr_count:     23
    .vgpr_spill_count: 0
    .wavefront_size: 64
  - .agpr_count:     0
    .args:
      - .offset:         0
        .size:           72
        .value_kind:     by_value
    .group_segment_fixed_size: 0
    .kernarg_segment_align: 8
    .kernarg_segment_size: 72
    .language:       OpenCL C
    .language_version:
      - 2
      - 0
    .max_flat_workgroup_size: 128
    .name:           _ZN7rocprim17ROCPRIM_400000_NS6detail17trampoline_kernelINS0_14default_configENS1_38merge_sort_block_merge_config_selectorImNS0_10empty_typeEEEZZNS1_27merge_sort_block_merge_implIS3_PmPS5_jNS1_19radix_merge_compareILb1ELb1EmNS0_19identity_decomposerEEEEE10hipError_tT0_T1_T2_jT3_P12ihipStream_tbPNSt15iterator_traitsISE_E10value_typeEPNSK_ISF_E10value_typeEPSG_NS1_7vsmem_tEENKUlT_SE_SF_SG_E_clIS8_S8_S9_S9_EESD_ST_SE_SF_SG_EUlST_E0_NS1_11comp_targetILNS1_3genE3ELNS1_11target_archE908ELNS1_3gpuE7ELNS1_3repE0EEENS1_38merge_mergepath_config_static_selectorELNS0_4arch9wavefront6targetE1EEEvSF_
    .private_segment_fixed_size: 0
    .sgpr_count:     4
    .sgpr_spill_count: 0
    .symbol:         _ZN7rocprim17ROCPRIM_400000_NS6detail17trampoline_kernelINS0_14default_configENS1_38merge_sort_block_merge_config_selectorImNS0_10empty_typeEEEZZNS1_27merge_sort_block_merge_implIS3_PmPS5_jNS1_19radix_merge_compareILb1ELb1EmNS0_19identity_decomposerEEEEE10hipError_tT0_T1_T2_jT3_P12ihipStream_tbPNSt15iterator_traitsISE_E10value_typeEPNSK_ISF_E10value_typeEPSG_NS1_7vsmem_tEENKUlT_SE_SF_SG_E_clIS8_S8_S9_S9_EESD_ST_SE_SF_SG_EUlST_E0_NS1_11comp_targetILNS1_3genE3ELNS1_11target_archE908ELNS1_3gpuE7ELNS1_3repE0EEENS1_38merge_mergepath_config_static_selectorELNS0_4arch9wavefront6targetE1EEEvSF_.kd
    .uniform_work_group_size: 1
    .uses_dynamic_stack: false
    .vgpr_count:     0
    .vgpr_spill_count: 0
    .wavefront_size: 64
  - .agpr_count:     0
    .args:
      - .offset:         0
        .size:           72
        .value_kind:     by_value
    .group_segment_fixed_size: 0
    .kernarg_segment_align: 8
    .kernarg_segment_size: 72
    .language:       OpenCL C
    .language_version:
      - 2
      - 0
    .max_flat_workgroup_size: 256
    .name:           _ZN7rocprim17ROCPRIM_400000_NS6detail17trampoline_kernelINS0_14default_configENS1_38merge_sort_block_merge_config_selectorImNS0_10empty_typeEEEZZNS1_27merge_sort_block_merge_implIS3_PmPS5_jNS1_19radix_merge_compareILb1ELb1EmNS0_19identity_decomposerEEEEE10hipError_tT0_T1_T2_jT3_P12ihipStream_tbPNSt15iterator_traitsISE_E10value_typeEPNSK_ISF_E10value_typeEPSG_NS1_7vsmem_tEENKUlT_SE_SF_SG_E_clIS8_S8_S9_S9_EESD_ST_SE_SF_SG_EUlST_E0_NS1_11comp_targetILNS1_3genE2ELNS1_11target_archE906ELNS1_3gpuE6ELNS1_3repE0EEENS1_38merge_mergepath_config_static_selectorELNS0_4arch9wavefront6targetE1EEEvSF_
    .private_segment_fixed_size: 0
    .sgpr_count:     4
    .sgpr_spill_count: 0
    .symbol:         _ZN7rocprim17ROCPRIM_400000_NS6detail17trampoline_kernelINS0_14default_configENS1_38merge_sort_block_merge_config_selectorImNS0_10empty_typeEEEZZNS1_27merge_sort_block_merge_implIS3_PmPS5_jNS1_19radix_merge_compareILb1ELb1EmNS0_19identity_decomposerEEEEE10hipError_tT0_T1_T2_jT3_P12ihipStream_tbPNSt15iterator_traitsISE_E10value_typeEPNSK_ISF_E10value_typeEPSG_NS1_7vsmem_tEENKUlT_SE_SF_SG_E_clIS8_S8_S9_S9_EESD_ST_SE_SF_SG_EUlST_E0_NS1_11comp_targetILNS1_3genE2ELNS1_11target_archE906ELNS1_3gpuE6ELNS1_3repE0EEENS1_38merge_mergepath_config_static_selectorELNS0_4arch9wavefront6targetE1EEEvSF_.kd
    .uniform_work_group_size: 1
    .uses_dynamic_stack: false
    .vgpr_count:     0
    .vgpr_spill_count: 0
    .wavefront_size: 64
  - .agpr_count:     0
    .args:
      - .offset:         0
        .size:           72
        .value_kind:     by_value
    .group_segment_fixed_size: 0
    .kernarg_segment_align: 8
    .kernarg_segment_size: 72
    .language:       OpenCL C
    .language_version:
      - 2
      - 0
    .max_flat_workgroup_size: 512
    .name:           _ZN7rocprim17ROCPRIM_400000_NS6detail17trampoline_kernelINS0_14default_configENS1_38merge_sort_block_merge_config_selectorImNS0_10empty_typeEEEZZNS1_27merge_sort_block_merge_implIS3_PmPS5_jNS1_19radix_merge_compareILb1ELb1EmNS0_19identity_decomposerEEEEE10hipError_tT0_T1_T2_jT3_P12ihipStream_tbPNSt15iterator_traitsISE_E10value_typeEPNSK_ISF_E10value_typeEPSG_NS1_7vsmem_tEENKUlT_SE_SF_SG_E_clIS8_S8_S9_S9_EESD_ST_SE_SF_SG_EUlST_E0_NS1_11comp_targetILNS1_3genE9ELNS1_11target_archE1100ELNS1_3gpuE3ELNS1_3repE0EEENS1_38merge_mergepath_config_static_selectorELNS0_4arch9wavefront6targetE1EEEvSF_
    .private_segment_fixed_size: 0
    .sgpr_count:     4
    .sgpr_spill_count: 0
    .symbol:         _ZN7rocprim17ROCPRIM_400000_NS6detail17trampoline_kernelINS0_14default_configENS1_38merge_sort_block_merge_config_selectorImNS0_10empty_typeEEEZZNS1_27merge_sort_block_merge_implIS3_PmPS5_jNS1_19radix_merge_compareILb1ELb1EmNS0_19identity_decomposerEEEEE10hipError_tT0_T1_T2_jT3_P12ihipStream_tbPNSt15iterator_traitsISE_E10value_typeEPNSK_ISF_E10value_typeEPSG_NS1_7vsmem_tEENKUlT_SE_SF_SG_E_clIS8_S8_S9_S9_EESD_ST_SE_SF_SG_EUlST_E0_NS1_11comp_targetILNS1_3genE9ELNS1_11target_archE1100ELNS1_3gpuE3ELNS1_3repE0EEENS1_38merge_mergepath_config_static_selectorELNS0_4arch9wavefront6targetE1EEEvSF_.kd
    .uniform_work_group_size: 1
    .uses_dynamic_stack: false
    .vgpr_count:     0
    .vgpr_spill_count: 0
    .wavefront_size: 64
  - .agpr_count:     0
    .args:
      - .offset:         0
        .size:           72
        .value_kind:     by_value
    .group_segment_fixed_size: 0
    .kernarg_segment_align: 8
    .kernarg_segment_size: 72
    .language:       OpenCL C
    .language_version:
      - 2
      - 0
    .max_flat_workgroup_size: 1024
    .name:           _ZN7rocprim17ROCPRIM_400000_NS6detail17trampoline_kernelINS0_14default_configENS1_38merge_sort_block_merge_config_selectorImNS0_10empty_typeEEEZZNS1_27merge_sort_block_merge_implIS3_PmPS5_jNS1_19radix_merge_compareILb1ELb1EmNS0_19identity_decomposerEEEEE10hipError_tT0_T1_T2_jT3_P12ihipStream_tbPNSt15iterator_traitsISE_E10value_typeEPNSK_ISF_E10value_typeEPSG_NS1_7vsmem_tEENKUlT_SE_SF_SG_E_clIS8_S8_S9_S9_EESD_ST_SE_SF_SG_EUlST_E0_NS1_11comp_targetILNS1_3genE8ELNS1_11target_archE1030ELNS1_3gpuE2ELNS1_3repE0EEENS1_38merge_mergepath_config_static_selectorELNS0_4arch9wavefront6targetE1EEEvSF_
    .private_segment_fixed_size: 0
    .sgpr_count:     4
    .sgpr_spill_count: 0
    .symbol:         _ZN7rocprim17ROCPRIM_400000_NS6detail17trampoline_kernelINS0_14default_configENS1_38merge_sort_block_merge_config_selectorImNS0_10empty_typeEEEZZNS1_27merge_sort_block_merge_implIS3_PmPS5_jNS1_19radix_merge_compareILb1ELb1EmNS0_19identity_decomposerEEEEE10hipError_tT0_T1_T2_jT3_P12ihipStream_tbPNSt15iterator_traitsISE_E10value_typeEPNSK_ISF_E10value_typeEPSG_NS1_7vsmem_tEENKUlT_SE_SF_SG_E_clIS8_S8_S9_S9_EESD_ST_SE_SF_SG_EUlST_E0_NS1_11comp_targetILNS1_3genE8ELNS1_11target_archE1030ELNS1_3gpuE2ELNS1_3repE0EEENS1_38merge_mergepath_config_static_selectorELNS0_4arch9wavefront6targetE1EEEvSF_.kd
    .uniform_work_group_size: 1
    .uses_dynamic_stack: false
    .vgpr_count:     0
    .vgpr_spill_count: 0
    .wavefront_size: 64
  - .agpr_count:     0
    .args:
      - .offset:         0
        .size:           48
        .value_kind:     by_value
    .group_segment_fixed_size: 0
    .kernarg_segment_align: 8
    .kernarg_segment_size: 48
    .language:       OpenCL C
    .language_version:
      - 2
      - 0
    .max_flat_workgroup_size: 256
    .name:           _ZN7rocprim17ROCPRIM_400000_NS6detail17trampoline_kernelINS0_14default_configENS1_38merge_sort_block_merge_config_selectorImNS0_10empty_typeEEEZZNS1_27merge_sort_block_merge_implIS3_PmPS5_jNS1_19radix_merge_compareILb1ELb1EmNS0_19identity_decomposerEEEEE10hipError_tT0_T1_T2_jT3_P12ihipStream_tbPNSt15iterator_traitsISE_E10value_typeEPNSK_ISF_E10value_typeEPSG_NS1_7vsmem_tEENKUlT_SE_SF_SG_E_clIS8_S8_S9_S9_EESD_ST_SE_SF_SG_EUlST_E1_NS1_11comp_targetILNS1_3genE0ELNS1_11target_archE4294967295ELNS1_3gpuE0ELNS1_3repE0EEENS1_36merge_oddeven_config_static_selectorELNS0_4arch9wavefront6targetE1EEEvSF_
    .private_segment_fixed_size: 0
    .sgpr_count:     4
    .sgpr_spill_count: 0
    .symbol:         _ZN7rocprim17ROCPRIM_400000_NS6detail17trampoline_kernelINS0_14default_configENS1_38merge_sort_block_merge_config_selectorImNS0_10empty_typeEEEZZNS1_27merge_sort_block_merge_implIS3_PmPS5_jNS1_19radix_merge_compareILb1ELb1EmNS0_19identity_decomposerEEEEE10hipError_tT0_T1_T2_jT3_P12ihipStream_tbPNSt15iterator_traitsISE_E10value_typeEPNSK_ISF_E10value_typeEPSG_NS1_7vsmem_tEENKUlT_SE_SF_SG_E_clIS8_S8_S9_S9_EESD_ST_SE_SF_SG_EUlST_E1_NS1_11comp_targetILNS1_3genE0ELNS1_11target_archE4294967295ELNS1_3gpuE0ELNS1_3repE0EEENS1_36merge_oddeven_config_static_selectorELNS0_4arch9wavefront6targetE1EEEvSF_.kd
    .uniform_work_group_size: 1
    .uses_dynamic_stack: false
    .vgpr_count:     0
    .vgpr_spill_count: 0
    .wavefront_size: 64
  - .agpr_count:     0
    .args:
      - .offset:         0
        .size:           48
        .value_kind:     by_value
    .group_segment_fixed_size: 0
    .kernarg_segment_align: 8
    .kernarg_segment_size: 48
    .language:       OpenCL C
    .language_version:
      - 2
      - 0
    .max_flat_workgroup_size: 256
    .name:           _ZN7rocprim17ROCPRIM_400000_NS6detail17trampoline_kernelINS0_14default_configENS1_38merge_sort_block_merge_config_selectorImNS0_10empty_typeEEEZZNS1_27merge_sort_block_merge_implIS3_PmPS5_jNS1_19radix_merge_compareILb1ELb1EmNS0_19identity_decomposerEEEEE10hipError_tT0_T1_T2_jT3_P12ihipStream_tbPNSt15iterator_traitsISE_E10value_typeEPNSK_ISF_E10value_typeEPSG_NS1_7vsmem_tEENKUlT_SE_SF_SG_E_clIS8_S8_S9_S9_EESD_ST_SE_SF_SG_EUlST_E1_NS1_11comp_targetILNS1_3genE10ELNS1_11target_archE1201ELNS1_3gpuE5ELNS1_3repE0EEENS1_36merge_oddeven_config_static_selectorELNS0_4arch9wavefront6targetE1EEEvSF_
    .private_segment_fixed_size: 0
    .sgpr_count:     4
    .sgpr_spill_count: 0
    .symbol:         _ZN7rocprim17ROCPRIM_400000_NS6detail17trampoline_kernelINS0_14default_configENS1_38merge_sort_block_merge_config_selectorImNS0_10empty_typeEEEZZNS1_27merge_sort_block_merge_implIS3_PmPS5_jNS1_19radix_merge_compareILb1ELb1EmNS0_19identity_decomposerEEEEE10hipError_tT0_T1_T2_jT3_P12ihipStream_tbPNSt15iterator_traitsISE_E10value_typeEPNSK_ISF_E10value_typeEPSG_NS1_7vsmem_tEENKUlT_SE_SF_SG_E_clIS8_S8_S9_S9_EESD_ST_SE_SF_SG_EUlST_E1_NS1_11comp_targetILNS1_3genE10ELNS1_11target_archE1201ELNS1_3gpuE5ELNS1_3repE0EEENS1_36merge_oddeven_config_static_selectorELNS0_4arch9wavefront6targetE1EEEvSF_.kd
    .uniform_work_group_size: 1
    .uses_dynamic_stack: false
    .vgpr_count:     0
    .vgpr_spill_count: 0
    .wavefront_size: 64
  - .agpr_count:     0
    .args:
      - .offset:         0
        .size:           48
        .value_kind:     by_value
    .group_segment_fixed_size: 0
    .kernarg_segment_align: 8
    .kernarg_segment_size: 48
    .language:       OpenCL C
    .language_version:
      - 2
      - 0
    .max_flat_workgroup_size: 256
    .name:           _ZN7rocprim17ROCPRIM_400000_NS6detail17trampoline_kernelINS0_14default_configENS1_38merge_sort_block_merge_config_selectorImNS0_10empty_typeEEEZZNS1_27merge_sort_block_merge_implIS3_PmPS5_jNS1_19radix_merge_compareILb1ELb1EmNS0_19identity_decomposerEEEEE10hipError_tT0_T1_T2_jT3_P12ihipStream_tbPNSt15iterator_traitsISE_E10value_typeEPNSK_ISF_E10value_typeEPSG_NS1_7vsmem_tEENKUlT_SE_SF_SG_E_clIS8_S8_S9_S9_EESD_ST_SE_SF_SG_EUlST_E1_NS1_11comp_targetILNS1_3genE5ELNS1_11target_archE942ELNS1_3gpuE9ELNS1_3repE0EEENS1_36merge_oddeven_config_static_selectorELNS0_4arch9wavefront6targetE1EEEvSF_
    .private_segment_fixed_size: 0
    .sgpr_count:     4
    .sgpr_spill_count: 0
    .symbol:         _ZN7rocprim17ROCPRIM_400000_NS6detail17trampoline_kernelINS0_14default_configENS1_38merge_sort_block_merge_config_selectorImNS0_10empty_typeEEEZZNS1_27merge_sort_block_merge_implIS3_PmPS5_jNS1_19radix_merge_compareILb1ELb1EmNS0_19identity_decomposerEEEEE10hipError_tT0_T1_T2_jT3_P12ihipStream_tbPNSt15iterator_traitsISE_E10value_typeEPNSK_ISF_E10value_typeEPSG_NS1_7vsmem_tEENKUlT_SE_SF_SG_E_clIS8_S8_S9_S9_EESD_ST_SE_SF_SG_EUlST_E1_NS1_11comp_targetILNS1_3genE5ELNS1_11target_archE942ELNS1_3gpuE9ELNS1_3repE0EEENS1_36merge_oddeven_config_static_selectorELNS0_4arch9wavefront6targetE1EEEvSF_.kd
    .uniform_work_group_size: 1
    .uses_dynamic_stack: false
    .vgpr_count:     0
    .vgpr_spill_count: 0
    .wavefront_size: 64
  - .agpr_count:     0
    .args:
      - .offset:         0
        .size:           48
        .value_kind:     by_value
    .group_segment_fixed_size: 0
    .kernarg_segment_align: 8
    .kernarg_segment_size: 48
    .language:       OpenCL C
    .language_version:
      - 2
      - 0
    .max_flat_workgroup_size: 256
    .name:           _ZN7rocprim17ROCPRIM_400000_NS6detail17trampoline_kernelINS0_14default_configENS1_38merge_sort_block_merge_config_selectorImNS0_10empty_typeEEEZZNS1_27merge_sort_block_merge_implIS3_PmPS5_jNS1_19radix_merge_compareILb1ELb1EmNS0_19identity_decomposerEEEEE10hipError_tT0_T1_T2_jT3_P12ihipStream_tbPNSt15iterator_traitsISE_E10value_typeEPNSK_ISF_E10value_typeEPSG_NS1_7vsmem_tEENKUlT_SE_SF_SG_E_clIS8_S8_S9_S9_EESD_ST_SE_SF_SG_EUlST_E1_NS1_11comp_targetILNS1_3genE4ELNS1_11target_archE910ELNS1_3gpuE8ELNS1_3repE0EEENS1_36merge_oddeven_config_static_selectorELNS0_4arch9wavefront6targetE1EEEvSF_
    .private_segment_fixed_size: 0
    .sgpr_count:     25
    .sgpr_spill_count: 0
    .symbol:         _ZN7rocprim17ROCPRIM_400000_NS6detail17trampoline_kernelINS0_14default_configENS1_38merge_sort_block_merge_config_selectorImNS0_10empty_typeEEEZZNS1_27merge_sort_block_merge_implIS3_PmPS5_jNS1_19radix_merge_compareILb1ELb1EmNS0_19identity_decomposerEEEEE10hipError_tT0_T1_T2_jT3_P12ihipStream_tbPNSt15iterator_traitsISE_E10value_typeEPNSK_ISF_E10value_typeEPSG_NS1_7vsmem_tEENKUlT_SE_SF_SG_E_clIS8_S8_S9_S9_EESD_ST_SE_SF_SG_EUlST_E1_NS1_11comp_targetILNS1_3genE4ELNS1_11target_archE910ELNS1_3gpuE8ELNS1_3repE0EEENS1_36merge_oddeven_config_static_selectorELNS0_4arch9wavefront6targetE1EEEvSF_.kd
    .uniform_work_group_size: 1
    .uses_dynamic_stack: false
    .vgpr_count:     14
    .vgpr_spill_count: 0
    .wavefront_size: 64
  - .agpr_count:     0
    .args:
      - .offset:         0
        .size:           48
        .value_kind:     by_value
    .group_segment_fixed_size: 0
    .kernarg_segment_align: 8
    .kernarg_segment_size: 48
    .language:       OpenCL C
    .language_version:
      - 2
      - 0
    .max_flat_workgroup_size: 256
    .name:           _ZN7rocprim17ROCPRIM_400000_NS6detail17trampoline_kernelINS0_14default_configENS1_38merge_sort_block_merge_config_selectorImNS0_10empty_typeEEEZZNS1_27merge_sort_block_merge_implIS3_PmPS5_jNS1_19radix_merge_compareILb1ELb1EmNS0_19identity_decomposerEEEEE10hipError_tT0_T1_T2_jT3_P12ihipStream_tbPNSt15iterator_traitsISE_E10value_typeEPNSK_ISF_E10value_typeEPSG_NS1_7vsmem_tEENKUlT_SE_SF_SG_E_clIS8_S8_S9_S9_EESD_ST_SE_SF_SG_EUlST_E1_NS1_11comp_targetILNS1_3genE3ELNS1_11target_archE908ELNS1_3gpuE7ELNS1_3repE0EEENS1_36merge_oddeven_config_static_selectorELNS0_4arch9wavefront6targetE1EEEvSF_
    .private_segment_fixed_size: 0
    .sgpr_count:     4
    .sgpr_spill_count: 0
    .symbol:         _ZN7rocprim17ROCPRIM_400000_NS6detail17trampoline_kernelINS0_14default_configENS1_38merge_sort_block_merge_config_selectorImNS0_10empty_typeEEEZZNS1_27merge_sort_block_merge_implIS3_PmPS5_jNS1_19radix_merge_compareILb1ELb1EmNS0_19identity_decomposerEEEEE10hipError_tT0_T1_T2_jT3_P12ihipStream_tbPNSt15iterator_traitsISE_E10value_typeEPNSK_ISF_E10value_typeEPSG_NS1_7vsmem_tEENKUlT_SE_SF_SG_E_clIS8_S8_S9_S9_EESD_ST_SE_SF_SG_EUlST_E1_NS1_11comp_targetILNS1_3genE3ELNS1_11target_archE908ELNS1_3gpuE7ELNS1_3repE0EEENS1_36merge_oddeven_config_static_selectorELNS0_4arch9wavefront6targetE1EEEvSF_.kd
    .uniform_work_group_size: 1
    .uses_dynamic_stack: false
    .vgpr_count:     0
    .vgpr_spill_count: 0
    .wavefront_size: 64
  - .agpr_count:     0
    .args:
      - .offset:         0
        .size:           48
        .value_kind:     by_value
    .group_segment_fixed_size: 0
    .kernarg_segment_align: 8
    .kernarg_segment_size: 48
    .language:       OpenCL C
    .language_version:
      - 2
      - 0
    .max_flat_workgroup_size: 256
    .name:           _ZN7rocprim17ROCPRIM_400000_NS6detail17trampoline_kernelINS0_14default_configENS1_38merge_sort_block_merge_config_selectorImNS0_10empty_typeEEEZZNS1_27merge_sort_block_merge_implIS3_PmPS5_jNS1_19radix_merge_compareILb1ELb1EmNS0_19identity_decomposerEEEEE10hipError_tT0_T1_T2_jT3_P12ihipStream_tbPNSt15iterator_traitsISE_E10value_typeEPNSK_ISF_E10value_typeEPSG_NS1_7vsmem_tEENKUlT_SE_SF_SG_E_clIS8_S8_S9_S9_EESD_ST_SE_SF_SG_EUlST_E1_NS1_11comp_targetILNS1_3genE2ELNS1_11target_archE906ELNS1_3gpuE6ELNS1_3repE0EEENS1_36merge_oddeven_config_static_selectorELNS0_4arch9wavefront6targetE1EEEvSF_
    .private_segment_fixed_size: 0
    .sgpr_count:     4
    .sgpr_spill_count: 0
    .symbol:         _ZN7rocprim17ROCPRIM_400000_NS6detail17trampoline_kernelINS0_14default_configENS1_38merge_sort_block_merge_config_selectorImNS0_10empty_typeEEEZZNS1_27merge_sort_block_merge_implIS3_PmPS5_jNS1_19radix_merge_compareILb1ELb1EmNS0_19identity_decomposerEEEEE10hipError_tT0_T1_T2_jT3_P12ihipStream_tbPNSt15iterator_traitsISE_E10value_typeEPNSK_ISF_E10value_typeEPSG_NS1_7vsmem_tEENKUlT_SE_SF_SG_E_clIS8_S8_S9_S9_EESD_ST_SE_SF_SG_EUlST_E1_NS1_11comp_targetILNS1_3genE2ELNS1_11target_archE906ELNS1_3gpuE6ELNS1_3repE0EEENS1_36merge_oddeven_config_static_selectorELNS0_4arch9wavefront6targetE1EEEvSF_.kd
    .uniform_work_group_size: 1
    .uses_dynamic_stack: false
    .vgpr_count:     0
    .vgpr_spill_count: 0
    .wavefront_size: 64
  - .agpr_count:     0
    .args:
      - .offset:         0
        .size:           48
        .value_kind:     by_value
    .group_segment_fixed_size: 0
    .kernarg_segment_align: 8
    .kernarg_segment_size: 48
    .language:       OpenCL C
    .language_version:
      - 2
      - 0
    .max_flat_workgroup_size: 256
    .name:           _ZN7rocprim17ROCPRIM_400000_NS6detail17trampoline_kernelINS0_14default_configENS1_38merge_sort_block_merge_config_selectorImNS0_10empty_typeEEEZZNS1_27merge_sort_block_merge_implIS3_PmPS5_jNS1_19radix_merge_compareILb1ELb1EmNS0_19identity_decomposerEEEEE10hipError_tT0_T1_T2_jT3_P12ihipStream_tbPNSt15iterator_traitsISE_E10value_typeEPNSK_ISF_E10value_typeEPSG_NS1_7vsmem_tEENKUlT_SE_SF_SG_E_clIS8_S8_S9_S9_EESD_ST_SE_SF_SG_EUlST_E1_NS1_11comp_targetILNS1_3genE9ELNS1_11target_archE1100ELNS1_3gpuE3ELNS1_3repE0EEENS1_36merge_oddeven_config_static_selectorELNS0_4arch9wavefront6targetE1EEEvSF_
    .private_segment_fixed_size: 0
    .sgpr_count:     4
    .sgpr_spill_count: 0
    .symbol:         _ZN7rocprim17ROCPRIM_400000_NS6detail17trampoline_kernelINS0_14default_configENS1_38merge_sort_block_merge_config_selectorImNS0_10empty_typeEEEZZNS1_27merge_sort_block_merge_implIS3_PmPS5_jNS1_19radix_merge_compareILb1ELb1EmNS0_19identity_decomposerEEEEE10hipError_tT0_T1_T2_jT3_P12ihipStream_tbPNSt15iterator_traitsISE_E10value_typeEPNSK_ISF_E10value_typeEPSG_NS1_7vsmem_tEENKUlT_SE_SF_SG_E_clIS8_S8_S9_S9_EESD_ST_SE_SF_SG_EUlST_E1_NS1_11comp_targetILNS1_3genE9ELNS1_11target_archE1100ELNS1_3gpuE3ELNS1_3repE0EEENS1_36merge_oddeven_config_static_selectorELNS0_4arch9wavefront6targetE1EEEvSF_.kd
    .uniform_work_group_size: 1
    .uses_dynamic_stack: false
    .vgpr_count:     0
    .vgpr_spill_count: 0
    .wavefront_size: 64
  - .agpr_count:     0
    .args:
      - .offset:         0
        .size:           48
        .value_kind:     by_value
    .group_segment_fixed_size: 0
    .kernarg_segment_align: 8
    .kernarg_segment_size: 48
    .language:       OpenCL C
    .language_version:
      - 2
      - 0
    .max_flat_workgroup_size: 256
    .name:           _ZN7rocprim17ROCPRIM_400000_NS6detail17trampoline_kernelINS0_14default_configENS1_38merge_sort_block_merge_config_selectorImNS0_10empty_typeEEEZZNS1_27merge_sort_block_merge_implIS3_PmPS5_jNS1_19radix_merge_compareILb1ELb1EmNS0_19identity_decomposerEEEEE10hipError_tT0_T1_T2_jT3_P12ihipStream_tbPNSt15iterator_traitsISE_E10value_typeEPNSK_ISF_E10value_typeEPSG_NS1_7vsmem_tEENKUlT_SE_SF_SG_E_clIS8_S8_S9_S9_EESD_ST_SE_SF_SG_EUlST_E1_NS1_11comp_targetILNS1_3genE8ELNS1_11target_archE1030ELNS1_3gpuE2ELNS1_3repE0EEENS1_36merge_oddeven_config_static_selectorELNS0_4arch9wavefront6targetE1EEEvSF_
    .private_segment_fixed_size: 0
    .sgpr_count:     4
    .sgpr_spill_count: 0
    .symbol:         _ZN7rocprim17ROCPRIM_400000_NS6detail17trampoline_kernelINS0_14default_configENS1_38merge_sort_block_merge_config_selectorImNS0_10empty_typeEEEZZNS1_27merge_sort_block_merge_implIS3_PmPS5_jNS1_19radix_merge_compareILb1ELb1EmNS0_19identity_decomposerEEEEE10hipError_tT0_T1_T2_jT3_P12ihipStream_tbPNSt15iterator_traitsISE_E10value_typeEPNSK_ISF_E10value_typeEPSG_NS1_7vsmem_tEENKUlT_SE_SF_SG_E_clIS8_S8_S9_S9_EESD_ST_SE_SF_SG_EUlST_E1_NS1_11comp_targetILNS1_3genE8ELNS1_11target_archE1030ELNS1_3gpuE2ELNS1_3repE0EEENS1_36merge_oddeven_config_static_selectorELNS0_4arch9wavefront6targetE1EEEvSF_.kd
    .uniform_work_group_size: 1
    .uses_dynamic_stack: false
    .vgpr_count:     0
    .vgpr_spill_count: 0
    .wavefront_size: 64
  - .agpr_count:     0
    .args:
      - .offset:         0
        .size:           48
        .value_kind:     by_value
    .group_segment_fixed_size: 0
    .kernarg_segment_align: 8
    .kernarg_segment_size: 48
    .language:       OpenCL C
    .language_version:
      - 2
      - 0
    .max_flat_workgroup_size: 512
    .name:           _ZN7rocprim17ROCPRIM_400000_NS6detail17trampoline_kernelINS0_14default_configENS1_35radix_sort_onesweep_config_selectorImNS0_10empty_typeEEEZNS1_34radix_sort_onesweep_global_offsetsIS3_Lb1EPmPS5_mNS0_19identity_decomposerEEE10hipError_tT1_T2_PT3_SE_jT4_jjP12ihipStream_tbEUlT_E_NS1_11comp_targetILNS1_3genE0ELNS1_11target_archE4294967295ELNS1_3gpuE0ELNS1_3repE0EEENS1_52radix_sort_onesweep_histogram_config_static_selectorELNS0_4arch9wavefront6targetE1EEEvSC_
    .private_segment_fixed_size: 0
    .sgpr_count:     4
    .sgpr_spill_count: 0
    .symbol:         _ZN7rocprim17ROCPRIM_400000_NS6detail17trampoline_kernelINS0_14default_configENS1_35radix_sort_onesweep_config_selectorImNS0_10empty_typeEEEZNS1_34radix_sort_onesweep_global_offsetsIS3_Lb1EPmPS5_mNS0_19identity_decomposerEEE10hipError_tT1_T2_PT3_SE_jT4_jjP12ihipStream_tbEUlT_E_NS1_11comp_targetILNS1_3genE0ELNS1_11target_archE4294967295ELNS1_3gpuE0ELNS1_3repE0EEENS1_52radix_sort_onesweep_histogram_config_static_selectorELNS0_4arch9wavefront6targetE1EEEvSC_.kd
    .uniform_work_group_size: 1
    .uses_dynamic_stack: false
    .vgpr_count:     0
    .vgpr_spill_count: 0
    .wavefront_size: 64
  - .agpr_count:     0
    .args:
      - .offset:         0
        .size:           48
        .value_kind:     by_value
    .group_segment_fixed_size: 0
    .kernarg_segment_align: 8
    .kernarg_segment_size: 48
    .language:       OpenCL C
    .language_version:
      - 2
      - 0
    .max_flat_workgroup_size: 512
    .name:           _ZN7rocprim17ROCPRIM_400000_NS6detail17trampoline_kernelINS0_14default_configENS1_35radix_sort_onesweep_config_selectorImNS0_10empty_typeEEEZNS1_34radix_sort_onesweep_global_offsetsIS3_Lb1EPmPS5_mNS0_19identity_decomposerEEE10hipError_tT1_T2_PT3_SE_jT4_jjP12ihipStream_tbEUlT_E_NS1_11comp_targetILNS1_3genE6ELNS1_11target_archE950ELNS1_3gpuE13ELNS1_3repE0EEENS1_52radix_sort_onesweep_histogram_config_static_selectorELNS0_4arch9wavefront6targetE1EEEvSC_
    .private_segment_fixed_size: 0
    .sgpr_count:     4
    .sgpr_spill_count: 0
    .symbol:         _ZN7rocprim17ROCPRIM_400000_NS6detail17trampoline_kernelINS0_14default_configENS1_35radix_sort_onesweep_config_selectorImNS0_10empty_typeEEEZNS1_34radix_sort_onesweep_global_offsetsIS3_Lb1EPmPS5_mNS0_19identity_decomposerEEE10hipError_tT1_T2_PT3_SE_jT4_jjP12ihipStream_tbEUlT_E_NS1_11comp_targetILNS1_3genE6ELNS1_11target_archE950ELNS1_3gpuE13ELNS1_3repE0EEENS1_52radix_sort_onesweep_histogram_config_static_selectorELNS0_4arch9wavefront6targetE1EEEvSC_.kd
    .uniform_work_group_size: 1
    .uses_dynamic_stack: false
    .vgpr_count:     0
    .vgpr_spill_count: 0
    .wavefront_size: 64
  - .agpr_count:     0
    .args:
      - .offset:         0
        .size:           48
        .value_kind:     by_value
    .group_segment_fixed_size: 0
    .kernarg_segment_align: 8
    .kernarg_segment_size: 48
    .language:       OpenCL C
    .language_version:
      - 2
      - 0
    .max_flat_workgroup_size: 512
    .name:           _ZN7rocprim17ROCPRIM_400000_NS6detail17trampoline_kernelINS0_14default_configENS1_35radix_sort_onesweep_config_selectorImNS0_10empty_typeEEEZNS1_34radix_sort_onesweep_global_offsetsIS3_Lb1EPmPS5_mNS0_19identity_decomposerEEE10hipError_tT1_T2_PT3_SE_jT4_jjP12ihipStream_tbEUlT_E_NS1_11comp_targetILNS1_3genE5ELNS1_11target_archE942ELNS1_3gpuE9ELNS1_3repE0EEENS1_52radix_sort_onesweep_histogram_config_static_selectorELNS0_4arch9wavefront6targetE1EEEvSC_
    .private_segment_fixed_size: 0
    .sgpr_count:     4
    .sgpr_spill_count: 0
    .symbol:         _ZN7rocprim17ROCPRIM_400000_NS6detail17trampoline_kernelINS0_14default_configENS1_35radix_sort_onesweep_config_selectorImNS0_10empty_typeEEEZNS1_34radix_sort_onesweep_global_offsetsIS3_Lb1EPmPS5_mNS0_19identity_decomposerEEE10hipError_tT1_T2_PT3_SE_jT4_jjP12ihipStream_tbEUlT_E_NS1_11comp_targetILNS1_3genE5ELNS1_11target_archE942ELNS1_3gpuE9ELNS1_3repE0EEENS1_52radix_sort_onesweep_histogram_config_static_selectorELNS0_4arch9wavefront6targetE1EEEvSC_.kd
    .uniform_work_group_size: 1
    .uses_dynamic_stack: false
    .vgpr_count:     0
    .vgpr_spill_count: 0
    .wavefront_size: 64
  - .agpr_count:     0
    .args:
      - .offset:         0
        .size:           48
        .value_kind:     by_value
    .group_segment_fixed_size: 0
    .kernarg_segment_align: 8
    .kernarg_segment_size: 48
    .language:       OpenCL C
    .language_version:
      - 2
      - 0
    .max_flat_workgroup_size: 512
    .name:           _ZN7rocprim17ROCPRIM_400000_NS6detail17trampoline_kernelINS0_14default_configENS1_35radix_sort_onesweep_config_selectorImNS0_10empty_typeEEEZNS1_34radix_sort_onesweep_global_offsetsIS3_Lb1EPmPS5_mNS0_19identity_decomposerEEE10hipError_tT1_T2_PT3_SE_jT4_jjP12ihipStream_tbEUlT_E_NS1_11comp_targetILNS1_3genE2ELNS1_11target_archE906ELNS1_3gpuE6ELNS1_3repE0EEENS1_52radix_sort_onesweep_histogram_config_static_selectorELNS0_4arch9wavefront6targetE1EEEvSC_
    .private_segment_fixed_size: 0
    .sgpr_count:     4
    .sgpr_spill_count: 0
    .symbol:         _ZN7rocprim17ROCPRIM_400000_NS6detail17trampoline_kernelINS0_14default_configENS1_35radix_sort_onesweep_config_selectorImNS0_10empty_typeEEEZNS1_34radix_sort_onesweep_global_offsetsIS3_Lb1EPmPS5_mNS0_19identity_decomposerEEE10hipError_tT1_T2_PT3_SE_jT4_jjP12ihipStream_tbEUlT_E_NS1_11comp_targetILNS1_3genE2ELNS1_11target_archE906ELNS1_3gpuE6ELNS1_3repE0EEENS1_52radix_sort_onesweep_histogram_config_static_selectorELNS0_4arch9wavefront6targetE1EEEvSC_.kd
    .uniform_work_group_size: 1
    .uses_dynamic_stack: false
    .vgpr_count:     0
    .vgpr_spill_count: 0
    .wavefront_size: 64
  - .agpr_count:     0
    .args:
      - .offset:         0
        .size:           48
        .value_kind:     by_value
    .group_segment_fixed_size: 32768
    .kernarg_segment_align: 8
    .kernarg_segment_size: 48
    .language:       OpenCL C
    .language_version:
      - 2
      - 0
    .max_flat_workgroup_size: 1024
    .name:           _ZN7rocprim17ROCPRIM_400000_NS6detail17trampoline_kernelINS0_14default_configENS1_35radix_sort_onesweep_config_selectorImNS0_10empty_typeEEEZNS1_34radix_sort_onesweep_global_offsetsIS3_Lb1EPmPS5_mNS0_19identity_decomposerEEE10hipError_tT1_T2_PT3_SE_jT4_jjP12ihipStream_tbEUlT_E_NS1_11comp_targetILNS1_3genE4ELNS1_11target_archE910ELNS1_3gpuE8ELNS1_3repE0EEENS1_52radix_sort_onesweep_histogram_config_static_selectorELNS0_4arch9wavefront6targetE1EEEvSC_
    .private_segment_fixed_size: 0
    .sgpr_count:     22
    .sgpr_spill_count: 0
    .symbol:         _ZN7rocprim17ROCPRIM_400000_NS6detail17trampoline_kernelINS0_14default_configENS1_35radix_sort_onesweep_config_selectorImNS0_10empty_typeEEEZNS1_34radix_sort_onesweep_global_offsetsIS3_Lb1EPmPS5_mNS0_19identity_decomposerEEE10hipError_tT1_T2_PT3_SE_jT4_jjP12ihipStream_tbEUlT_E_NS1_11comp_targetILNS1_3genE4ELNS1_11target_archE910ELNS1_3gpuE8ELNS1_3repE0EEENS1_52radix_sort_onesweep_histogram_config_static_selectorELNS0_4arch9wavefront6targetE1EEEvSC_.kd
    .uniform_work_group_size: 1
    .uses_dynamic_stack: false
    .vgpr_count:     30
    .vgpr_spill_count: 0
    .wavefront_size: 64
  - .agpr_count:     0
    .args:
      - .offset:         0
        .size:           48
        .value_kind:     by_value
    .group_segment_fixed_size: 0
    .kernarg_segment_align: 8
    .kernarg_segment_size: 48
    .language:       OpenCL C
    .language_version:
      - 2
      - 0
    .max_flat_workgroup_size: 512
    .name:           _ZN7rocprim17ROCPRIM_400000_NS6detail17trampoline_kernelINS0_14default_configENS1_35radix_sort_onesweep_config_selectorImNS0_10empty_typeEEEZNS1_34radix_sort_onesweep_global_offsetsIS3_Lb1EPmPS5_mNS0_19identity_decomposerEEE10hipError_tT1_T2_PT3_SE_jT4_jjP12ihipStream_tbEUlT_E_NS1_11comp_targetILNS1_3genE3ELNS1_11target_archE908ELNS1_3gpuE7ELNS1_3repE0EEENS1_52radix_sort_onesweep_histogram_config_static_selectorELNS0_4arch9wavefront6targetE1EEEvSC_
    .private_segment_fixed_size: 0
    .sgpr_count:     4
    .sgpr_spill_count: 0
    .symbol:         _ZN7rocprim17ROCPRIM_400000_NS6detail17trampoline_kernelINS0_14default_configENS1_35radix_sort_onesweep_config_selectorImNS0_10empty_typeEEEZNS1_34radix_sort_onesweep_global_offsetsIS3_Lb1EPmPS5_mNS0_19identity_decomposerEEE10hipError_tT1_T2_PT3_SE_jT4_jjP12ihipStream_tbEUlT_E_NS1_11comp_targetILNS1_3genE3ELNS1_11target_archE908ELNS1_3gpuE7ELNS1_3repE0EEENS1_52radix_sort_onesweep_histogram_config_static_selectorELNS0_4arch9wavefront6targetE1EEEvSC_.kd
    .uniform_work_group_size: 1
    .uses_dynamic_stack: false
    .vgpr_count:     0
    .vgpr_spill_count: 0
    .wavefront_size: 64
  - .agpr_count:     0
    .args:
      - .offset:         0
        .size:           48
        .value_kind:     by_value
    .group_segment_fixed_size: 0
    .kernarg_segment_align: 8
    .kernarg_segment_size: 48
    .language:       OpenCL C
    .language_version:
      - 2
      - 0
    .max_flat_workgroup_size: 512
    .name:           _ZN7rocprim17ROCPRIM_400000_NS6detail17trampoline_kernelINS0_14default_configENS1_35radix_sort_onesweep_config_selectorImNS0_10empty_typeEEEZNS1_34radix_sort_onesweep_global_offsetsIS3_Lb1EPmPS5_mNS0_19identity_decomposerEEE10hipError_tT1_T2_PT3_SE_jT4_jjP12ihipStream_tbEUlT_E_NS1_11comp_targetILNS1_3genE10ELNS1_11target_archE1201ELNS1_3gpuE5ELNS1_3repE0EEENS1_52radix_sort_onesweep_histogram_config_static_selectorELNS0_4arch9wavefront6targetE1EEEvSC_
    .private_segment_fixed_size: 0
    .sgpr_count:     4
    .sgpr_spill_count: 0
    .symbol:         _ZN7rocprim17ROCPRIM_400000_NS6detail17trampoline_kernelINS0_14default_configENS1_35radix_sort_onesweep_config_selectorImNS0_10empty_typeEEEZNS1_34radix_sort_onesweep_global_offsetsIS3_Lb1EPmPS5_mNS0_19identity_decomposerEEE10hipError_tT1_T2_PT3_SE_jT4_jjP12ihipStream_tbEUlT_E_NS1_11comp_targetILNS1_3genE10ELNS1_11target_archE1201ELNS1_3gpuE5ELNS1_3repE0EEENS1_52radix_sort_onesweep_histogram_config_static_selectorELNS0_4arch9wavefront6targetE1EEEvSC_.kd
    .uniform_work_group_size: 1
    .uses_dynamic_stack: false
    .vgpr_count:     0
    .vgpr_spill_count: 0
    .wavefront_size: 64
  - .agpr_count:     0
    .args:
      - .offset:         0
        .size:           48
        .value_kind:     by_value
    .group_segment_fixed_size: 0
    .kernarg_segment_align: 8
    .kernarg_segment_size: 48
    .language:       OpenCL C
    .language_version:
      - 2
      - 0
    .max_flat_workgroup_size: 1024
    .name:           _ZN7rocprim17ROCPRIM_400000_NS6detail17trampoline_kernelINS0_14default_configENS1_35radix_sort_onesweep_config_selectorImNS0_10empty_typeEEEZNS1_34radix_sort_onesweep_global_offsetsIS3_Lb1EPmPS5_mNS0_19identity_decomposerEEE10hipError_tT1_T2_PT3_SE_jT4_jjP12ihipStream_tbEUlT_E_NS1_11comp_targetILNS1_3genE9ELNS1_11target_archE1100ELNS1_3gpuE3ELNS1_3repE0EEENS1_52radix_sort_onesweep_histogram_config_static_selectorELNS0_4arch9wavefront6targetE1EEEvSC_
    .private_segment_fixed_size: 0
    .sgpr_count:     4
    .sgpr_spill_count: 0
    .symbol:         _ZN7rocprim17ROCPRIM_400000_NS6detail17trampoline_kernelINS0_14default_configENS1_35radix_sort_onesweep_config_selectorImNS0_10empty_typeEEEZNS1_34radix_sort_onesweep_global_offsetsIS3_Lb1EPmPS5_mNS0_19identity_decomposerEEE10hipError_tT1_T2_PT3_SE_jT4_jjP12ihipStream_tbEUlT_E_NS1_11comp_targetILNS1_3genE9ELNS1_11target_archE1100ELNS1_3gpuE3ELNS1_3repE0EEENS1_52radix_sort_onesweep_histogram_config_static_selectorELNS0_4arch9wavefront6targetE1EEEvSC_.kd
    .uniform_work_group_size: 1
    .uses_dynamic_stack: false
    .vgpr_count:     0
    .vgpr_spill_count: 0
    .wavefront_size: 64
  - .agpr_count:     0
    .args:
      - .offset:         0
        .size:           48
        .value_kind:     by_value
    .group_segment_fixed_size: 0
    .kernarg_segment_align: 8
    .kernarg_segment_size: 48
    .language:       OpenCL C
    .language_version:
      - 2
      - 0
    .max_flat_workgroup_size: 1024
    .name:           _ZN7rocprim17ROCPRIM_400000_NS6detail17trampoline_kernelINS0_14default_configENS1_35radix_sort_onesweep_config_selectorImNS0_10empty_typeEEEZNS1_34radix_sort_onesweep_global_offsetsIS3_Lb1EPmPS5_mNS0_19identity_decomposerEEE10hipError_tT1_T2_PT3_SE_jT4_jjP12ihipStream_tbEUlT_E_NS1_11comp_targetILNS1_3genE8ELNS1_11target_archE1030ELNS1_3gpuE2ELNS1_3repE0EEENS1_52radix_sort_onesweep_histogram_config_static_selectorELNS0_4arch9wavefront6targetE1EEEvSC_
    .private_segment_fixed_size: 0
    .sgpr_count:     4
    .sgpr_spill_count: 0
    .symbol:         _ZN7rocprim17ROCPRIM_400000_NS6detail17trampoline_kernelINS0_14default_configENS1_35radix_sort_onesweep_config_selectorImNS0_10empty_typeEEEZNS1_34radix_sort_onesweep_global_offsetsIS3_Lb1EPmPS5_mNS0_19identity_decomposerEEE10hipError_tT1_T2_PT3_SE_jT4_jjP12ihipStream_tbEUlT_E_NS1_11comp_targetILNS1_3genE8ELNS1_11target_archE1030ELNS1_3gpuE2ELNS1_3repE0EEENS1_52radix_sort_onesweep_histogram_config_static_selectorELNS0_4arch9wavefront6targetE1EEEvSC_.kd
    .uniform_work_group_size: 1
    .uses_dynamic_stack: false
    .vgpr_count:     0
    .vgpr_spill_count: 0
    .wavefront_size: 64
  - .agpr_count:     0
    .args:
      - .address_space:  global
        .offset:         0
        .size:           8
        .value_kind:     global_buffer
    .group_segment_fixed_size: 0
    .kernarg_segment_align: 8
    .kernarg_segment_size: 8
    .language:       OpenCL C
    .language_version:
      - 2
      - 0
    .max_flat_workgroup_size: 512
    .name:           _ZN7rocprim17ROCPRIM_400000_NS6detail17trampoline_kernelINS0_14default_configENS1_35radix_sort_onesweep_config_selectorImNS0_10empty_typeEEEZNS1_34radix_sort_onesweep_global_offsetsIS3_Lb1EPmPS5_mNS0_19identity_decomposerEEE10hipError_tT1_T2_PT3_SE_jT4_jjP12ihipStream_tbEUlT_E0_NS1_11comp_targetILNS1_3genE0ELNS1_11target_archE4294967295ELNS1_3gpuE0ELNS1_3repE0EEENS1_52radix_sort_onesweep_histogram_config_static_selectorELNS0_4arch9wavefront6targetE1EEEvSC_
    .private_segment_fixed_size: 0
    .sgpr_count:     4
    .sgpr_spill_count: 0
    .symbol:         _ZN7rocprim17ROCPRIM_400000_NS6detail17trampoline_kernelINS0_14default_configENS1_35radix_sort_onesweep_config_selectorImNS0_10empty_typeEEEZNS1_34radix_sort_onesweep_global_offsetsIS3_Lb1EPmPS5_mNS0_19identity_decomposerEEE10hipError_tT1_T2_PT3_SE_jT4_jjP12ihipStream_tbEUlT_E0_NS1_11comp_targetILNS1_3genE0ELNS1_11target_archE4294967295ELNS1_3gpuE0ELNS1_3repE0EEENS1_52radix_sort_onesweep_histogram_config_static_selectorELNS0_4arch9wavefront6targetE1EEEvSC_.kd
    .uniform_work_group_size: 1
    .uses_dynamic_stack: false
    .vgpr_count:     0
    .vgpr_spill_count: 0
    .wavefront_size: 64
  - .agpr_count:     0
    .args:
      - .address_space:  global
        .offset:         0
        .size:           8
        .value_kind:     global_buffer
    .group_segment_fixed_size: 0
    .kernarg_segment_align: 8
    .kernarg_segment_size: 8
    .language:       OpenCL C
    .language_version:
      - 2
      - 0
    .max_flat_workgroup_size: 512
    .name:           _ZN7rocprim17ROCPRIM_400000_NS6detail17trampoline_kernelINS0_14default_configENS1_35radix_sort_onesweep_config_selectorImNS0_10empty_typeEEEZNS1_34radix_sort_onesweep_global_offsetsIS3_Lb1EPmPS5_mNS0_19identity_decomposerEEE10hipError_tT1_T2_PT3_SE_jT4_jjP12ihipStream_tbEUlT_E0_NS1_11comp_targetILNS1_3genE6ELNS1_11target_archE950ELNS1_3gpuE13ELNS1_3repE0EEENS1_52radix_sort_onesweep_histogram_config_static_selectorELNS0_4arch9wavefront6targetE1EEEvSC_
    .private_segment_fixed_size: 0
    .sgpr_count:     4
    .sgpr_spill_count: 0
    .symbol:         _ZN7rocprim17ROCPRIM_400000_NS6detail17trampoline_kernelINS0_14default_configENS1_35radix_sort_onesweep_config_selectorImNS0_10empty_typeEEEZNS1_34radix_sort_onesweep_global_offsetsIS3_Lb1EPmPS5_mNS0_19identity_decomposerEEE10hipError_tT1_T2_PT3_SE_jT4_jjP12ihipStream_tbEUlT_E0_NS1_11comp_targetILNS1_3genE6ELNS1_11target_archE950ELNS1_3gpuE13ELNS1_3repE0EEENS1_52radix_sort_onesweep_histogram_config_static_selectorELNS0_4arch9wavefront6targetE1EEEvSC_.kd
    .uniform_work_group_size: 1
    .uses_dynamic_stack: false
    .vgpr_count:     0
    .vgpr_spill_count: 0
    .wavefront_size: 64
  - .agpr_count:     0
    .args:
      - .address_space:  global
        .offset:         0
        .size:           8
        .value_kind:     global_buffer
    .group_segment_fixed_size: 0
    .kernarg_segment_align: 8
    .kernarg_segment_size: 8
    .language:       OpenCL C
    .language_version:
      - 2
      - 0
    .max_flat_workgroup_size: 512
    .name:           _ZN7rocprim17ROCPRIM_400000_NS6detail17trampoline_kernelINS0_14default_configENS1_35radix_sort_onesweep_config_selectorImNS0_10empty_typeEEEZNS1_34radix_sort_onesweep_global_offsetsIS3_Lb1EPmPS5_mNS0_19identity_decomposerEEE10hipError_tT1_T2_PT3_SE_jT4_jjP12ihipStream_tbEUlT_E0_NS1_11comp_targetILNS1_3genE5ELNS1_11target_archE942ELNS1_3gpuE9ELNS1_3repE0EEENS1_52radix_sort_onesweep_histogram_config_static_selectorELNS0_4arch9wavefront6targetE1EEEvSC_
    .private_segment_fixed_size: 0
    .sgpr_count:     4
    .sgpr_spill_count: 0
    .symbol:         _ZN7rocprim17ROCPRIM_400000_NS6detail17trampoline_kernelINS0_14default_configENS1_35radix_sort_onesweep_config_selectorImNS0_10empty_typeEEEZNS1_34radix_sort_onesweep_global_offsetsIS3_Lb1EPmPS5_mNS0_19identity_decomposerEEE10hipError_tT1_T2_PT3_SE_jT4_jjP12ihipStream_tbEUlT_E0_NS1_11comp_targetILNS1_3genE5ELNS1_11target_archE942ELNS1_3gpuE9ELNS1_3repE0EEENS1_52radix_sort_onesweep_histogram_config_static_selectorELNS0_4arch9wavefront6targetE1EEEvSC_.kd
    .uniform_work_group_size: 1
    .uses_dynamic_stack: false
    .vgpr_count:     0
    .vgpr_spill_count: 0
    .wavefront_size: 64
  - .agpr_count:     0
    .args:
      - .address_space:  global
        .offset:         0
        .size:           8
        .value_kind:     global_buffer
    .group_segment_fixed_size: 0
    .kernarg_segment_align: 8
    .kernarg_segment_size: 8
    .language:       OpenCL C
    .language_version:
      - 2
      - 0
    .max_flat_workgroup_size: 512
    .name:           _ZN7rocprim17ROCPRIM_400000_NS6detail17trampoline_kernelINS0_14default_configENS1_35radix_sort_onesweep_config_selectorImNS0_10empty_typeEEEZNS1_34radix_sort_onesweep_global_offsetsIS3_Lb1EPmPS5_mNS0_19identity_decomposerEEE10hipError_tT1_T2_PT3_SE_jT4_jjP12ihipStream_tbEUlT_E0_NS1_11comp_targetILNS1_3genE2ELNS1_11target_archE906ELNS1_3gpuE6ELNS1_3repE0EEENS1_52radix_sort_onesweep_histogram_config_static_selectorELNS0_4arch9wavefront6targetE1EEEvSC_
    .private_segment_fixed_size: 0
    .sgpr_count:     4
    .sgpr_spill_count: 0
    .symbol:         _ZN7rocprim17ROCPRIM_400000_NS6detail17trampoline_kernelINS0_14default_configENS1_35radix_sort_onesweep_config_selectorImNS0_10empty_typeEEEZNS1_34radix_sort_onesweep_global_offsetsIS3_Lb1EPmPS5_mNS0_19identity_decomposerEEE10hipError_tT1_T2_PT3_SE_jT4_jjP12ihipStream_tbEUlT_E0_NS1_11comp_targetILNS1_3genE2ELNS1_11target_archE906ELNS1_3gpuE6ELNS1_3repE0EEENS1_52radix_sort_onesweep_histogram_config_static_selectorELNS0_4arch9wavefront6targetE1EEEvSC_.kd
    .uniform_work_group_size: 1
    .uses_dynamic_stack: false
    .vgpr_count:     0
    .vgpr_spill_count: 0
    .wavefront_size: 64
  - .agpr_count:     0
    .args:
      - .address_space:  global
        .offset:         0
        .size:           8
        .value_kind:     global_buffer
    .group_segment_fixed_size: 128
    .kernarg_segment_align: 8
    .kernarg_segment_size: 8
    .language:       OpenCL C
    .language_version:
      - 2
      - 0
    .max_flat_workgroup_size: 1024
    .name:           _ZN7rocprim17ROCPRIM_400000_NS6detail17trampoline_kernelINS0_14default_configENS1_35radix_sort_onesweep_config_selectorImNS0_10empty_typeEEEZNS1_34radix_sort_onesweep_global_offsetsIS3_Lb1EPmPS5_mNS0_19identity_decomposerEEE10hipError_tT1_T2_PT3_SE_jT4_jjP12ihipStream_tbEUlT_E0_NS1_11comp_targetILNS1_3genE4ELNS1_11target_archE910ELNS1_3gpuE8ELNS1_3repE0EEENS1_52radix_sort_onesweep_histogram_config_static_selectorELNS0_4arch9wavefront6targetE1EEEvSC_
    .private_segment_fixed_size: 0
    .sgpr_count:     22
    .sgpr_spill_count: 0
    .symbol:         _ZN7rocprim17ROCPRIM_400000_NS6detail17trampoline_kernelINS0_14default_configENS1_35radix_sort_onesweep_config_selectorImNS0_10empty_typeEEEZNS1_34radix_sort_onesweep_global_offsetsIS3_Lb1EPmPS5_mNS0_19identity_decomposerEEE10hipError_tT1_T2_PT3_SE_jT4_jjP12ihipStream_tbEUlT_E0_NS1_11comp_targetILNS1_3genE4ELNS1_11target_archE910ELNS1_3gpuE8ELNS1_3repE0EEENS1_52radix_sort_onesweep_histogram_config_static_selectorELNS0_4arch9wavefront6targetE1EEEvSC_.kd
    .uniform_work_group_size: 1
    .uses_dynamic_stack: false
    .vgpr_count:     13
    .vgpr_spill_count: 0
    .wavefront_size: 64
  - .agpr_count:     0
    .args:
      - .address_space:  global
        .offset:         0
        .size:           8
        .value_kind:     global_buffer
    .group_segment_fixed_size: 0
    .kernarg_segment_align: 8
    .kernarg_segment_size: 8
    .language:       OpenCL C
    .language_version:
      - 2
      - 0
    .max_flat_workgroup_size: 512
    .name:           _ZN7rocprim17ROCPRIM_400000_NS6detail17trampoline_kernelINS0_14default_configENS1_35radix_sort_onesweep_config_selectorImNS0_10empty_typeEEEZNS1_34radix_sort_onesweep_global_offsetsIS3_Lb1EPmPS5_mNS0_19identity_decomposerEEE10hipError_tT1_T2_PT3_SE_jT4_jjP12ihipStream_tbEUlT_E0_NS1_11comp_targetILNS1_3genE3ELNS1_11target_archE908ELNS1_3gpuE7ELNS1_3repE0EEENS1_52radix_sort_onesweep_histogram_config_static_selectorELNS0_4arch9wavefront6targetE1EEEvSC_
    .private_segment_fixed_size: 0
    .sgpr_count:     4
    .sgpr_spill_count: 0
    .symbol:         _ZN7rocprim17ROCPRIM_400000_NS6detail17trampoline_kernelINS0_14default_configENS1_35radix_sort_onesweep_config_selectorImNS0_10empty_typeEEEZNS1_34radix_sort_onesweep_global_offsetsIS3_Lb1EPmPS5_mNS0_19identity_decomposerEEE10hipError_tT1_T2_PT3_SE_jT4_jjP12ihipStream_tbEUlT_E0_NS1_11comp_targetILNS1_3genE3ELNS1_11target_archE908ELNS1_3gpuE7ELNS1_3repE0EEENS1_52radix_sort_onesweep_histogram_config_static_selectorELNS0_4arch9wavefront6targetE1EEEvSC_.kd
    .uniform_work_group_size: 1
    .uses_dynamic_stack: false
    .vgpr_count:     0
    .vgpr_spill_count: 0
    .wavefront_size: 64
  - .agpr_count:     0
    .args:
      - .address_space:  global
        .offset:         0
        .size:           8
        .value_kind:     global_buffer
    .group_segment_fixed_size: 0
    .kernarg_segment_align: 8
    .kernarg_segment_size: 8
    .language:       OpenCL C
    .language_version:
      - 2
      - 0
    .max_flat_workgroup_size: 512
    .name:           _ZN7rocprim17ROCPRIM_400000_NS6detail17trampoline_kernelINS0_14default_configENS1_35radix_sort_onesweep_config_selectorImNS0_10empty_typeEEEZNS1_34radix_sort_onesweep_global_offsetsIS3_Lb1EPmPS5_mNS0_19identity_decomposerEEE10hipError_tT1_T2_PT3_SE_jT4_jjP12ihipStream_tbEUlT_E0_NS1_11comp_targetILNS1_3genE10ELNS1_11target_archE1201ELNS1_3gpuE5ELNS1_3repE0EEENS1_52radix_sort_onesweep_histogram_config_static_selectorELNS0_4arch9wavefront6targetE1EEEvSC_
    .private_segment_fixed_size: 0
    .sgpr_count:     4
    .sgpr_spill_count: 0
    .symbol:         _ZN7rocprim17ROCPRIM_400000_NS6detail17trampoline_kernelINS0_14default_configENS1_35radix_sort_onesweep_config_selectorImNS0_10empty_typeEEEZNS1_34radix_sort_onesweep_global_offsetsIS3_Lb1EPmPS5_mNS0_19identity_decomposerEEE10hipError_tT1_T2_PT3_SE_jT4_jjP12ihipStream_tbEUlT_E0_NS1_11comp_targetILNS1_3genE10ELNS1_11target_archE1201ELNS1_3gpuE5ELNS1_3repE0EEENS1_52radix_sort_onesweep_histogram_config_static_selectorELNS0_4arch9wavefront6targetE1EEEvSC_.kd
    .uniform_work_group_size: 1
    .uses_dynamic_stack: false
    .vgpr_count:     0
    .vgpr_spill_count: 0
    .wavefront_size: 64
  - .agpr_count:     0
    .args:
      - .address_space:  global
        .offset:         0
        .size:           8
        .value_kind:     global_buffer
    .group_segment_fixed_size: 0
    .kernarg_segment_align: 8
    .kernarg_segment_size: 8
    .language:       OpenCL C
    .language_version:
      - 2
      - 0
    .max_flat_workgroup_size: 1024
    .name:           _ZN7rocprim17ROCPRIM_400000_NS6detail17trampoline_kernelINS0_14default_configENS1_35radix_sort_onesweep_config_selectorImNS0_10empty_typeEEEZNS1_34radix_sort_onesweep_global_offsetsIS3_Lb1EPmPS5_mNS0_19identity_decomposerEEE10hipError_tT1_T2_PT3_SE_jT4_jjP12ihipStream_tbEUlT_E0_NS1_11comp_targetILNS1_3genE9ELNS1_11target_archE1100ELNS1_3gpuE3ELNS1_3repE0EEENS1_52radix_sort_onesweep_histogram_config_static_selectorELNS0_4arch9wavefront6targetE1EEEvSC_
    .private_segment_fixed_size: 0
    .sgpr_count:     4
    .sgpr_spill_count: 0
    .symbol:         _ZN7rocprim17ROCPRIM_400000_NS6detail17trampoline_kernelINS0_14default_configENS1_35radix_sort_onesweep_config_selectorImNS0_10empty_typeEEEZNS1_34radix_sort_onesweep_global_offsetsIS3_Lb1EPmPS5_mNS0_19identity_decomposerEEE10hipError_tT1_T2_PT3_SE_jT4_jjP12ihipStream_tbEUlT_E0_NS1_11comp_targetILNS1_3genE9ELNS1_11target_archE1100ELNS1_3gpuE3ELNS1_3repE0EEENS1_52radix_sort_onesweep_histogram_config_static_selectorELNS0_4arch9wavefront6targetE1EEEvSC_.kd
    .uniform_work_group_size: 1
    .uses_dynamic_stack: false
    .vgpr_count:     0
    .vgpr_spill_count: 0
    .wavefront_size: 64
  - .agpr_count:     0
    .args:
      - .address_space:  global
        .offset:         0
        .size:           8
        .value_kind:     global_buffer
    .group_segment_fixed_size: 0
    .kernarg_segment_align: 8
    .kernarg_segment_size: 8
    .language:       OpenCL C
    .language_version:
      - 2
      - 0
    .max_flat_workgroup_size: 1024
    .name:           _ZN7rocprim17ROCPRIM_400000_NS6detail17trampoline_kernelINS0_14default_configENS1_35radix_sort_onesweep_config_selectorImNS0_10empty_typeEEEZNS1_34radix_sort_onesweep_global_offsetsIS3_Lb1EPmPS5_mNS0_19identity_decomposerEEE10hipError_tT1_T2_PT3_SE_jT4_jjP12ihipStream_tbEUlT_E0_NS1_11comp_targetILNS1_3genE8ELNS1_11target_archE1030ELNS1_3gpuE2ELNS1_3repE0EEENS1_52radix_sort_onesweep_histogram_config_static_selectorELNS0_4arch9wavefront6targetE1EEEvSC_
    .private_segment_fixed_size: 0
    .sgpr_count:     4
    .sgpr_spill_count: 0
    .symbol:         _ZN7rocprim17ROCPRIM_400000_NS6detail17trampoline_kernelINS0_14default_configENS1_35radix_sort_onesweep_config_selectorImNS0_10empty_typeEEEZNS1_34radix_sort_onesweep_global_offsetsIS3_Lb1EPmPS5_mNS0_19identity_decomposerEEE10hipError_tT1_T2_PT3_SE_jT4_jjP12ihipStream_tbEUlT_E0_NS1_11comp_targetILNS1_3genE8ELNS1_11target_archE1030ELNS1_3gpuE2ELNS1_3repE0EEENS1_52radix_sort_onesweep_histogram_config_static_selectorELNS0_4arch9wavefront6targetE1EEEvSC_.kd
    .uniform_work_group_size: 1
    .uses_dynamic_stack: false
    .vgpr_count:     0
    .vgpr_spill_count: 0
    .wavefront_size: 64
  - .agpr_count:     0
    .args:
      - .offset:         0
        .size:           88
        .value_kind:     by_value
    .group_segment_fixed_size: 0
    .kernarg_segment_align: 8
    .kernarg_segment_size: 88
    .language:       OpenCL C
    .language_version:
      - 2
      - 0
    .max_flat_workgroup_size: 512
    .name:           _ZN7rocprim17ROCPRIM_400000_NS6detail17trampoline_kernelINS0_14default_configENS1_35radix_sort_onesweep_config_selectorImNS0_10empty_typeEEEZZNS1_29radix_sort_onesweep_iterationIS3_Lb1EPmS8_PS5_S9_mNS0_19identity_decomposerENS1_16block_id_wrapperIjLb1EEEEE10hipError_tT1_PNSt15iterator_traitsISE_E10value_typeET2_T3_PNSF_ISK_E10value_typeET4_T5_PSP_SQ_PNS1_23onesweep_lookback_stateEbbT6_jjT7_P12ihipStream_tbENKUlT_T0_SE_SJ_E_clIS8_S8_S9_S9_EEDaSX_SY_SE_SJ_EUlSX_E_NS1_11comp_targetILNS1_3genE0ELNS1_11target_archE4294967295ELNS1_3gpuE0ELNS1_3repE0EEENS1_47radix_sort_onesweep_sort_config_static_selectorELNS0_4arch9wavefront6targetE1EEEvSE_
    .private_segment_fixed_size: 0
    .sgpr_count:     4
    .sgpr_spill_count: 0
    .symbol:         _ZN7rocprim17ROCPRIM_400000_NS6detail17trampoline_kernelINS0_14default_configENS1_35radix_sort_onesweep_config_selectorImNS0_10empty_typeEEEZZNS1_29radix_sort_onesweep_iterationIS3_Lb1EPmS8_PS5_S9_mNS0_19identity_decomposerENS1_16block_id_wrapperIjLb1EEEEE10hipError_tT1_PNSt15iterator_traitsISE_E10value_typeET2_T3_PNSF_ISK_E10value_typeET4_T5_PSP_SQ_PNS1_23onesweep_lookback_stateEbbT6_jjT7_P12ihipStream_tbENKUlT_T0_SE_SJ_E_clIS8_S8_S9_S9_EEDaSX_SY_SE_SJ_EUlSX_E_NS1_11comp_targetILNS1_3genE0ELNS1_11target_archE4294967295ELNS1_3gpuE0ELNS1_3repE0EEENS1_47radix_sort_onesweep_sort_config_static_selectorELNS0_4arch9wavefront6targetE1EEEvSE_.kd
    .uniform_work_group_size: 1
    .uses_dynamic_stack: false
    .vgpr_count:     0
    .vgpr_spill_count: 0
    .wavefront_size: 64
  - .agpr_count:     0
    .args:
      - .offset:         0
        .size:           88
        .value_kind:     by_value
    .group_segment_fixed_size: 0
    .kernarg_segment_align: 8
    .kernarg_segment_size: 88
    .language:       OpenCL C
    .language_version:
      - 2
      - 0
    .max_flat_workgroup_size: 512
    .name:           _ZN7rocprim17ROCPRIM_400000_NS6detail17trampoline_kernelINS0_14default_configENS1_35radix_sort_onesweep_config_selectorImNS0_10empty_typeEEEZZNS1_29radix_sort_onesweep_iterationIS3_Lb1EPmS8_PS5_S9_mNS0_19identity_decomposerENS1_16block_id_wrapperIjLb1EEEEE10hipError_tT1_PNSt15iterator_traitsISE_E10value_typeET2_T3_PNSF_ISK_E10value_typeET4_T5_PSP_SQ_PNS1_23onesweep_lookback_stateEbbT6_jjT7_P12ihipStream_tbENKUlT_T0_SE_SJ_E_clIS8_S8_S9_S9_EEDaSX_SY_SE_SJ_EUlSX_E_NS1_11comp_targetILNS1_3genE6ELNS1_11target_archE950ELNS1_3gpuE13ELNS1_3repE0EEENS1_47radix_sort_onesweep_sort_config_static_selectorELNS0_4arch9wavefront6targetE1EEEvSE_
    .private_segment_fixed_size: 0
    .sgpr_count:     4
    .sgpr_spill_count: 0
    .symbol:         _ZN7rocprim17ROCPRIM_400000_NS6detail17trampoline_kernelINS0_14default_configENS1_35radix_sort_onesweep_config_selectorImNS0_10empty_typeEEEZZNS1_29radix_sort_onesweep_iterationIS3_Lb1EPmS8_PS5_S9_mNS0_19identity_decomposerENS1_16block_id_wrapperIjLb1EEEEE10hipError_tT1_PNSt15iterator_traitsISE_E10value_typeET2_T3_PNSF_ISK_E10value_typeET4_T5_PSP_SQ_PNS1_23onesweep_lookback_stateEbbT6_jjT7_P12ihipStream_tbENKUlT_T0_SE_SJ_E_clIS8_S8_S9_S9_EEDaSX_SY_SE_SJ_EUlSX_E_NS1_11comp_targetILNS1_3genE6ELNS1_11target_archE950ELNS1_3gpuE13ELNS1_3repE0EEENS1_47radix_sort_onesweep_sort_config_static_selectorELNS0_4arch9wavefront6targetE1EEEvSE_.kd
    .uniform_work_group_size: 1
    .uses_dynamic_stack: false
    .vgpr_count:     0
    .vgpr_spill_count: 0
    .wavefront_size: 64
  - .agpr_count:     0
    .args:
      - .offset:         0
        .size:           88
        .value_kind:     by_value
    .group_segment_fixed_size: 0
    .kernarg_segment_align: 8
    .kernarg_segment_size: 88
    .language:       OpenCL C
    .language_version:
      - 2
      - 0
    .max_flat_workgroup_size: 512
    .name:           _ZN7rocprim17ROCPRIM_400000_NS6detail17trampoline_kernelINS0_14default_configENS1_35radix_sort_onesweep_config_selectorImNS0_10empty_typeEEEZZNS1_29radix_sort_onesweep_iterationIS3_Lb1EPmS8_PS5_S9_mNS0_19identity_decomposerENS1_16block_id_wrapperIjLb1EEEEE10hipError_tT1_PNSt15iterator_traitsISE_E10value_typeET2_T3_PNSF_ISK_E10value_typeET4_T5_PSP_SQ_PNS1_23onesweep_lookback_stateEbbT6_jjT7_P12ihipStream_tbENKUlT_T0_SE_SJ_E_clIS8_S8_S9_S9_EEDaSX_SY_SE_SJ_EUlSX_E_NS1_11comp_targetILNS1_3genE5ELNS1_11target_archE942ELNS1_3gpuE9ELNS1_3repE0EEENS1_47radix_sort_onesweep_sort_config_static_selectorELNS0_4arch9wavefront6targetE1EEEvSE_
    .private_segment_fixed_size: 0
    .sgpr_count:     4
    .sgpr_spill_count: 0
    .symbol:         _ZN7rocprim17ROCPRIM_400000_NS6detail17trampoline_kernelINS0_14default_configENS1_35radix_sort_onesweep_config_selectorImNS0_10empty_typeEEEZZNS1_29radix_sort_onesweep_iterationIS3_Lb1EPmS8_PS5_S9_mNS0_19identity_decomposerENS1_16block_id_wrapperIjLb1EEEEE10hipError_tT1_PNSt15iterator_traitsISE_E10value_typeET2_T3_PNSF_ISK_E10value_typeET4_T5_PSP_SQ_PNS1_23onesweep_lookback_stateEbbT6_jjT7_P12ihipStream_tbENKUlT_T0_SE_SJ_E_clIS8_S8_S9_S9_EEDaSX_SY_SE_SJ_EUlSX_E_NS1_11comp_targetILNS1_3genE5ELNS1_11target_archE942ELNS1_3gpuE9ELNS1_3repE0EEENS1_47radix_sort_onesweep_sort_config_static_selectorELNS0_4arch9wavefront6targetE1EEEvSE_.kd
    .uniform_work_group_size: 1
    .uses_dynamic_stack: false
    .vgpr_count:     0
    .vgpr_spill_count: 0
    .wavefront_size: 64
  - .agpr_count:     0
    .args:
      - .offset:         0
        .size:           88
        .value_kind:     by_value
    .group_segment_fixed_size: 0
    .kernarg_segment_align: 8
    .kernarg_segment_size: 88
    .language:       OpenCL C
    .language_version:
      - 2
      - 0
    .max_flat_workgroup_size: 512
    .name:           _ZN7rocprim17ROCPRIM_400000_NS6detail17trampoline_kernelINS0_14default_configENS1_35radix_sort_onesweep_config_selectorImNS0_10empty_typeEEEZZNS1_29radix_sort_onesweep_iterationIS3_Lb1EPmS8_PS5_S9_mNS0_19identity_decomposerENS1_16block_id_wrapperIjLb1EEEEE10hipError_tT1_PNSt15iterator_traitsISE_E10value_typeET2_T3_PNSF_ISK_E10value_typeET4_T5_PSP_SQ_PNS1_23onesweep_lookback_stateEbbT6_jjT7_P12ihipStream_tbENKUlT_T0_SE_SJ_E_clIS8_S8_S9_S9_EEDaSX_SY_SE_SJ_EUlSX_E_NS1_11comp_targetILNS1_3genE2ELNS1_11target_archE906ELNS1_3gpuE6ELNS1_3repE0EEENS1_47radix_sort_onesweep_sort_config_static_selectorELNS0_4arch9wavefront6targetE1EEEvSE_
    .private_segment_fixed_size: 0
    .sgpr_count:     4
    .sgpr_spill_count: 0
    .symbol:         _ZN7rocprim17ROCPRIM_400000_NS6detail17trampoline_kernelINS0_14default_configENS1_35radix_sort_onesweep_config_selectorImNS0_10empty_typeEEEZZNS1_29radix_sort_onesweep_iterationIS3_Lb1EPmS8_PS5_S9_mNS0_19identity_decomposerENS1_16block_id_wrapperIjLb1EEEEE10hipError_tT1_PNSt15iterator_traitsISE_E10value_typeET2_T3_PNSF_ISK_E10value_typeET4_T5_PSP_SQ_PNS1_23onesweep_lookback_stateEbbT6_jjT7_P12ihipStream_tbENKUlT_T0_SE_SJ_E_clIS8_S8_S9_S9_EEDaSX_SY_SE_SJ_EUlSX_E_NS1_11comp_targetILNS1_3genE2ELNS1_11target_archE906ELNS1_3gpuE6ELNS1_3repE0EEENS1_47radix_sort_onesweep_sort_config_static_selectorELNS0_4arch9wavefront6targetE1EEEvSE_.kd
    .uniform_work_group_size: 1
    .uses_dynamic_stack: false
    .vgpr_count:     0
    .vgpr_spill_count: 0
    .wavefront_size: 64
  - .agpr_count:     0
    .args:
      - .offset:         0
        .size:           88
        .value_kind:     by_value
      - .offset:         88
        .size:           4
        .value_kind:     hidden_block_count_x
      - .offset:         92
        .size:           4
        .value_kind:     hidden_block_count_y
      - .offset:         96
        .size:           4
        .value_kind:     hidden_block_count_z
      - .offset:         100
        .size:           2
        .value_kind:     hidden_group_size_x
      - .offset:         102
        .size:           2
        .value_kind:     hidden_group_size_y
      - .offset:         104
        .size:           2
        .value_kind:     hidden_group_size_z
      - .offset:         106
        .size:           2
        .value_kind:     hidden_remainder_x
      - .offset:         108
        .size:           2
        .value_kind:     hidden_remainder_y
      - .offset:         110
        .size:           2
        .value_kind:     hidden_remainder_z
      - .offset:         128
        .size:           8
        .value_kind:     hidden_global_offset_x
      - .offset:         136
        .size:           8
        .value_kind:     hidden_global_offset_y
      - .offset:         144
        .size:           8
        .value_kind:     hidden_global_offset_z
      - .offset:         152
        .size:           2
        .value_kind:     hidden_grid_dims
    .group_segment_fixed_size: 20552
    .kernarg_segment_align: 8
    .kernarg_segment_size: 344
    .language:       OpenCL C
    .language_version:
      - 2
      - 0
    .max_flat_workgroup_size: 1024
    .name:           _ZN7rocprim17ROCPRIM_400000_NS6detail17trampoline_kernelINS0_14default_configENS1_35radix_sort_onesweep_config_selectorImNS0_10empty_typeEEEZZNS1_29radix_sort_onesweep_iterationIS3_Lb1EPmS8_PS5_S9_mNS0_19identity_decomposerENS1_16block_id_wrapperIjLb1EEEEE10hipError_tT1_PNSt15iterator_traitsISE_E10value_typeET2_T3_PNSF_ISK_E10value_typeET4_T5_PSP_SQ_PNS1_23onesweep_lookback_stateEbbT6_jjT7_P12ihipStream_tbENKUlT_T0_SE_SJ_E_clIS8_S8_S9_S9_EEDaSX_SY_SE_SJ_EUlSX_E_NS1_11comp_targetILNS1_3genE4ELNS1_11target_archE910ELNS1_3gpuE8ELNS1_3repE0EEENS1_47radix_sort_onesweep_sort_config_static_selectorELNS0_4arch9wavefront6targetE1EEEvSE_
    .private_segment_fixed_size: 0
    .sgpr_count:     38
    .sgpr_spill_count: 0
    .symbol:         _ZN7rocprim17ROCPRIM_400000_NS6detail17trampoline_kernelINS0_14default_configENS1_35radix_sort_onesweep_config_selectorImNS0_10empty_typeEEEZZNS1_29radix_sort_onesweep_iterationIS3_Lb1EPmS8_PS5_S9_mNS0_19identity_decomposerENS1_16block_id_wrapperIjLb1EEEEE10hipError_tT1_PNSt15iterator_traitsISE_E10value_typeET2_T3_PNSF_ISK_E10value_typeET4_T5_PSP_SQ_PNS1_23onesweep_lookback_stateEbbT6_jjT7_P12ihipStream_tbENKUlT_T0_SE_SJ_E_clIS8_S8_S9_S9_EEDaSX_SY_SE_SJ_EUlSX_E_NS1_11comp_targetILNS1_3genE4ELNS1_11target_archE910ELNS1_3gpuE8ELNS1_3repE0EEENS1_47radix_sort_onesweep_sort_config_static_selectorELNS0_4arch9wavefront6targetE1EEEvSE_.kd
    .uniform_work_group_size: 1
    .uses_dynamic_stack: false
    .vgpr_count:     55
    .vgpr_spill_count: 0
    .wavefront_size: 64
  - .agpr_count:     0
    .args:
      - .offset:         0
        .size:           88
        .value_kind:     by_value
    .group_segment_fixed_size: 0
    .kernarg_segment_align: 8
    .kernarg_segment_size: 88
    .language:       OpenCL C
    .language_version:
      - 2
      - 0
    .max_flat_workgroup_size: 512
    .name:           _ZN7rocprim17ROCPRIM_400000_NS6detail17trampoline_kernelINS0_14default_configENS1_35radix_sort_onesweep_config_selectorImNS0_10empty_typeEEEZZNS1_29radix_sort_onesweep_iterationIS3_Lb1EPmS8_PS5_S9_mNS0_19identity_decomposerENS1_16block_id_wrapperIjLb1EEEEE10hipError_tT1_PNSt15iterator_traitsISE_E10value_typeET2_T3_PNSF_ISK_E10value_typeET4_T5_PSP_SQ_PNS1_23onesweep_lookback_stateEbbT6_jjT7_P12ihipStream_tbENKUlT_T0_SE_SJ_E_clIS8_S8_S9_S9_EEDaSX_SY_SE_SJ_EUlSX_E_NS1_11comp_targetILNS1_3genE3ELNS1_11target_archE908ELNS1_3gpuE7ELNS1_3repE0EEENS1_47radix_sort_onesweep_sort_config_static_selectorELNS0_4arch9wavefront6targetE1EEEvSE_
    .private_segment_fixed_size: 0
    .sgpr_count:     4
    .sgpr_spill_count: 0
    .symbol:         _ZN7rocprim17ROCPRIM_400000_NS6detail17trampoline_kernelINS0_14default_configENS1_35radix_sort_onesweep_config_selectorImNS0_10empty_typeEEEZZNS1_29radix_sort_onesweep_iterationIS3_Lb1EPmS8_PS5_S9_mNS0_19identity_decomposerENS1_16block_id_wrapperIjLb1EEEEE10hipError_tT1_PNSt15iterator_traitsISE_E10value_typeET2_T3_PNSF_ISK_E10value_typeET4_T5_PSP_SQ_PNS1_23onesweep_lookback_stateEbbT6_jjT7_P12ihipStream_tbENKUlT_T0_SE_SJ_E_clIS8_S8_S9_S9_EEDaSX_SY_SE_SJ_EUlSX_E_NS1_11comp_targetILNS1_3genE3ELNS1_11target_archE908ELNS1_3gpuE7ELNS1_3repE0EEENS1_47radix_sort_onesweep_sort_config_static_selectorELNS0_4arch9wavefront6targetE1EEEvSE_.kd
    .uniform_work_group_size: 1
    .uses_dynamic_stack: false
    .vgpr_count:     0
    .vgpr_spill_count: 0
    .wavefront_size: 64
  - .agpr_count:     0
    .args:
      - .offset:         0
        .size:           88
        .value_kind:     by_value
    .group_segment_fixed_size: 0
    .kernarg_segment_align: 8
    .kernarg_segment_size: 88
    .language:       OpenCL C
    .language_version:
      - 2
      - 0
    .max_flat_workgroup_size: 512
    .name:           _ZN7rocprim17ROCPRIM_400000_NS6detail17trampoline_kernelINS0_14default_configENS1_35radix_sort_onesweep_config_selectorImNS0_10empty_typeEEEZZNS1_29radix_sort_onesweep_iterationIS3_Lb1EPmS8_PS5_S9_mNS0_19identity_decomposerENS1_16block_id_wrapperIjLb1EEEEE10hipError_tT1_PNSt15iterator_traitsISE_E10value_typeET2_T3_PNSF_ISK_E10value_typeET4_T5_PSP_SQ_PNS1_23onesweep_lookback_stateEbbT6_jjT7_P12ihipStream_tbENKUlT_T0_SE_SJ_E_clIS8_S8_S9_S9_EEDaSX_SY_SE_SJ_EUlSX_E_NS1_11comp_targetILNS1_3genE10ELNS1_11target_archE1201ELNS1_3gpuE5ELNS1_3repE0EEENS1_47radix_sort_onesweep_sort_config_static_selectorELNS0_4arch9wavefront6targetE1EEEvSE_
    .private_segment_fixed_size: 0
    .sgpr_count:     4
    .sgpr_spill_count: 0
    .symbol:         _ZN7rocprim17ROCPRIM_400000_NS6detail17trampoline_kernelINS0_14default_configENS1_35radix_sort_onesweep_config_selectorImNS0_10empty_typeEEEZZNS1_29radix_sort_onesweep_iterationIS3_Lb1EPmS8_PS5_S9_mNS0_19identity_decomposerENS1_16block_id_wrapperIjLb1EEEEE10hipError_tT1_PNSt15iterator_traitsISE_E10value_typeET2_T3_PNSF_ISK_E10value_typeET4_T5_PSP_SQ_PNS1_23onesweep_lookback_stateEbbT6_jjT7_P12ihipStream_tbENKUlT_T0_SE_SJ_E_clIS8_S8_S9_S9_EEDaSX_SY_SE_SJ_EUlSX_E_NS1_11comp_targetILNS1_3genE10ELNS1_11target_archE1201ELNS1_3gpuE5ELNS1_3repE0EEENS1_47radix_sort_onesweep_sort_config_static_selectorELNS0_4arch9wavefront6targetE1EEEvSE_.kd
    .uniform_work_group_size: 1
    .uses_dynamic_stack: false
    .vgpr_count:     0
    .vgpr_spill_count: 0
    .wavefront_size: 64
  - .agpr_count:     0
    .args:
      - .offset:         0
        .size:           88
        .value_kind:     by_value
    .group_segment_fixed_size: 0
    .kernarg_segment_align: 8
    .kernarg_segment_size: 88
    .language:       OpenCL C
    .language_version:
      - 2
      - 0
    .max_flat_workgroup_size: 1024
    .name:           _ZN7rocprim17ROCPRIM_400000_NS6detail17trampoline_kernelINS0_14default_configENS1_35radix_sort_onesweep_config_selectorImNS0_10empty_typeEEEZZNS1_29radix_sort_onesweep_iterationIS3_Lb1EPmS8_PS5_S9_mNS0_19identity_decomposerENS1_16block_id_wrapperIjLb1EEEEE10hipError_tT1_PNSt15iterator_traitsISE_E10value_typeET2_T3_PNSF_ISK_E10value_typeET4_T5_PSP_SQ_PNS1_23onesweep_lookback_stateEbbT6_jjT7_P12ihipStream_tbENKUlT_T0_SE_SJ_E_clIS8_S8_S9_S9_EEDaSX_SY_SE_SJ_EUlSX_E_NS1_11comp_targetILNS1_3genE9ELNS1_11target_archE1100ELNS1_3gpuE3ELNS1_3repE0EEENS1_47radix_sort_onesweep_sort_config_static_selectorELNS0_4arch9wavefront6targetE1EEEvSE_
    .private_segment_fixed_size: 0
    .sgpr_count:     4
    .sgpr_spill_count: 0
    .symbol:         _ZN7rocprim17ROCPRIM_400000_NS6detail17trampoline_kernelINS0_14default_configENS1_35radix_sort_onesweep_config_selectorImNS0_10empty_typeEEEZZNS1_29radix_sort_onesweep_iterationIS3_Lb1EPmS8_PS5_S9_mNS0_19identity_decomposerENS1_16block_id_wrapperIjLb1EEEEE10hipError_tT1_PNSt15iterator_traitsISE_E10value_typeET2_T3_PNSF_ISK_E10value_typeET4_T5_PSP_SQ_PNS1_23onesweep_lookback_stateEbbT6_jjT7_P12ihipStream_tbENKUlT_T0_SE_SJ_E_clIS8_S8_S9_S9_EEDaSX_SY_SE_SJ_EUlSX_E_NS1_11comp_targetILNS1_3genE9ELNS1_11target_archE1100ELNS1_3gpuE3ELNS1_3repE0EEENS1_47radix_sort_onesweep_sort_config_static_selectorELNS0_4arch9wavefront6targetE1EEEvSE_.kd
    .uniform_work_group_size: 1
    .uses_dynamic_stack: false
    .vgpr_count:     0
    .vgpr_spill_count: 0
    .wavefront_size: 64
  - .agpr_count:     0
    .args:
      - .offset:         0
        .size:           88
        .value_kind:     by_value
    .group_segment_fixed_size: 0
    .kernarg_segment_align: 8
    .kernarg_segment_size: 88
    .language:       OpenCL C
    .language_version:
      - 2
      - 0
    .max_flat_workgroup_size: 1024
    .name:           _ZN7rocprim17ROCPRIM_400000_NS6detail17trampoline_kernelINS0_14default_configENS1_35radix_sort_onesweep_config_selectorImNS0_10empty_typeEEEZZNS1_29radix_sort_onesweep_iterationIS3_Lb1EPmS8_PS5_S9_mNS0_19identity_decomposerENS1_16block_id_wrapperIjLb1EEEEE10hipError_tT1_PNSt15iterator_traitsISE_E10value_typeET2_T3_PNSF_ISK_E10value_typeET4_T5_PSP_SQ_PNS1_23onesweep_lookback_stateEbbT6_jjT7_P12ihipStream_tbENKUlT_T0_SE_SJ_E_clIS8_S8_S9_S9_EEDaSX_SY_SE_SJ_EUlSX_E_NS1_11comp_targetILNS1_3genE8ELNS1_11target_archE1030ELNS1_3gpuE2ELNS1_3repE0EEENS1_47radix_sort_onesweep_sort_config_static_selectorELNS0_4arch9wavefront6targetE1EEEvSE_
    .private_segment_fixed_size: 0
    .sgpr_count:     4
    .sgpr_spill_count: 0
    .symbol:         _ZN7rocprim17ROCPRIM_400000_NS6detail17trampoline_kernelINS0_14default_configENS1_35radix_sort_onesweep_config_selectorImNS0_10empty_typeEEEZZNS1_29radix_sort_onesweep_iterationIS3_Lb1EPmS8_PS5_S9_mNS0_19identity_decomposerENS1_16block_id_wrapperIjLb1EEEEE10hipError_tT1_PNSt15iterator_traitsISE_E10value_typeET2_T3_PNSF_ISK_E10value_typeET4_T5_PSP_SQ_PNS1_23onesweep_lookback_stateEbbT6_jjT7_P12ihipStream_tbENKUlT_T0_SE_SJ_E_clIS8_S8_S9_S9_EEDaSX_SY_SE_SJ_EUlSX_E_NS1_11comp_targetILNS1_3genE8ELNS1_11target_archE1030ELNS1_3gpuE2ELNS1_3repE0EEENS1_47radix_sort_onesweep_sort_config_static_selectorELNS0_4arch9wavefront6targetE1EEEvSE_.kd
    .uniform_work_group_size: 1
    .uses_dynamic_stack: false
    .vgpr_count:     0
    .vgpr_spill_count: 0
    .wavefront_size: 64
  - .agpr_count:     0
    .args:
      - .offset:         0
        .size:           88
        .value_kind:     by_value
    .group_segment_fixed_size: 0
    .kernarg_segment_align: 8
    .kernarg_segment_size: 88
    .language:       OpenCL C
    .language_version:
      - 2
      - 0
    .max_flat_workgroup_size: 512
    .name:           _ZN7rocprim17ROCPRIM_400000_NS6detail17trampoline_kernelINS0_14default_configENS1_35radix_sort_onesweep_config_selectorImNS0_10empty_typeEEEZZNS1_29radix_sort_onesweep_iterationIS3_Lb1EPmS8_PS5_S9_mNS0_19identity_decomposerENS1_16block_id_wrapperIjLb0EEEEE10hipError_tT1_PNSt15iterator_traitsISE_E10value_typeET2_T3_PNSF_ISK_E10value_typeET4_T5_PSP_SQ_PNS1_23onesweep_lookback_stateEbbT6_jjT7_P12ihipStream_tbENKUlT_T0_SE_SJ_E_clIS8_S8_S9_S9_EEDaSX_SY_SE_SJ_EUlSX_E_NS1_11comp_targetILNS1_3genE0ELNS1_11target_archE4294967295ELNS1_3gpuE0ELNS1_3repE0EEENS1_47radix_sort_onesweep_sort_config_static_selectorELNS0_4arch9wavefront6targetE1EEEvSE_
    .private_segment_fixed_size: 0
    .sgpr_count:     4
    .sgpr_spill_count: 0
    .symbol:         _ZN7rocprim17ROCPRIM_400000_NS6detail17trampoline_kernelINS0_14default_configENS1_35radix_sort_onesweep_config_selectorImNS0_10empty_typeEEEZZNS1_29radix_sort_onesweep_iterationIS3_Lb1EPmS8_PS5_S9_mNS0_19identity_decomposerENS1_16block_id_wrapperIjLb0EEEEE10hipError_tT1_PNSt15iterator_traitsISE_E10value_typeET2_T3_PNSF_ISK_E10value_typeET4_T5_PSP_SQ_PNS1_23onesweep_lookback_stateEbbT6_jjT7_P12ihipStream_tbENKUlT_T0_SE_SJ_E_clIS8_S8_S9_S9_EEDaSX_SY_SE_SJ_EUlSX_E_NS1_11comp_targetILNS1_3genE0ELNS1_11target_archE4294967295ELNS1_3gpuE0ELNS1_3repE0EEENS1_47radix_sort_onesweep_sort_config_static_selectorELNS0_4arch9wavefront6targetE1EEEvSE_.kd
    .uniform_work_group_size: 1
    .uses_dynamic_stack: false
    .vgpr_count:     0
    .vgpr_spill_count: 0
    .wavefront_size: 64
  - .agpr_count:     0
    .args:
      - .offset:         0
        .size:           88
        .value_kind:     by_value
    .group_segment_fixed_size: 0
    .kernarg_segment_align: 8
    .kernarg_segment_size: 88
    .language:       OpenCL C
    .language_version:
      - 2
      - 0
    .max_flat_workgroup_size: 512
    .name:           _ZN7rocprim17ROCPRIM_400000_NS6detail17trampoline_kernelINS0_14default_configENS1_35radix_sort_onesweep_config_selectorImNS0_10empty_typeEEEZZNS1_29radix_sort_onesweep_iterationIS3_Lb1EPmS8_PS5_S9_mNS0_19identity_decomposerENS1_16block_id_wrapperIjLb0EEEEE10hipError_tT1_PNSt15iterator_traitsISE_E10value_typeET2_T3_PNSF_ISK_E10value_typeET4_T5_PSP_SQ_PNS1_23onesweep_lookback_stateEbbT6_jjT7_P12ihipStream_tbENKUlT_T0_SE_SJ_E_clIS8_S8_S9_S9_EEDaSX_SY_SE_SJ_EUlSX_E_NS1_11comp_targetILNS1_3genE6ELNS1_11target_archE950ELNS1_3gpuE13ELNS1_3repE0EEENS1_47radix_sort_onesweep_sort_config_static_selectorELNS0_4arch9wavefront6targetE1EEEvSE_
    .private_segment_fixed_size: 0
    .sgpr_count:     4
    .sgpr_spill_count: 0
    .symbol:         _ZN7rocprim17ROCPRIM_400000_NS6detail17trampoline_kernelINS0_14default_configENS1_35radix_sort_onesweep_config_selectorImNS0_10empty_typeEEEZZNS1_29radix_sort_onesweep_iterationIS3_Lb1EPmS8_PS5_S9_mNS0_19identity_decomposerENS1_16block_id_wrapperIjLb0EEEEE10hipError_tT1_PNSt15iterator_traitsISE_E10value_typeET2_T3_PNSF_ISK_E10value_typeET4_T5_PSP_SQ_PNS1_23onesweep_lookback_stateEbbT6_jjT7_P12ihipStream_tbENKUlT_T0_SE_SJ_E_clIS8_S8_S9_S9_EEDaSX_SY_SE_SJ_EUlSX_E_NS1_11comp_targetILNS1_3genE6ELNS1_11target_archE950ELNS1_3gpuE13ELNS1_3repE0EEENS1_47radix_sort_onesweep_sort_config_static_selectorELNS0_4arch9wavefront6targetE1EEEvSE_.kd
    .uniform_work_group_size: 1
    .uses_dynamic_stack: false
    .vgpr_count:     0
    .vgpr_spill_count: 0
    .wavefront_size: 64
  - .agpr_count:     0
    .args:
      - .offset:         0
        .size:           88
        .value_kind:     by_value
    .group_segment_fixed_size: 0
    .kernarg_segment_align: 8
    .kernarg_segment_size: 88
    .language:       OpenCL C
    .language_version:
      - 2
      - 0
    .max_flat_workgroup_size: 512
    .name:           _ZN7rocprim17ROCPRIM_400000_NS6detail17trampoline_kernelINS0_14default_configENS1_35radix_sort_onesweep_config_selectorImNS0_10empty_typeEEEZZNS1_29radix_sort_onesweep_iterationIS3_Lb1EPmS8_PS5_S9_mNS0_19identity_decomposerENS1_16block_id_wrapperIjLb0EEEEE10hipError_tT1_PNSt15iterator_traitsISE_E10value_typeET2_T3_PNSF_ISK_E10value_typeET4_T5_PSP_SQ_PNS1_23onesweep_lookback_stateEbbT6_jjT7_P12ihipStream_tbENKUlT_T0_SE_SJ_E_clIS8_S8_S9_S9_EEDaSX_SY_SE_SJ_EUlSX_E_NS1_11comp_targetILNS1_3genE5ELNS1_11target_archE942ELNS1_3gpuE9ELNS1_3repE0EEENS1_47radix_sort_onesweep_sort_config_static_selectorELNS0_4arch9wavefront6targetE1EEEvSE_
    .private_segment_fixed_size: 0
    .sgpr_count:     4
    .sgpr_spill_count: 0
    .symbol:         _ZN7rocprim17ROCPRIM_400000_NS6detail17trampoline_kernelINS0_14default_configENS1_35radix_sort_onesweep_config_selectorImNS0_10empty_typeEEEZZNS1_29radix_sort_onesweep_iterationIS3_Lb1EPmS8_PS5_S9_mNS0_19identity_decomposerENS1_16block_id_wrapperIjLb0EEEEE10hipError_tT1_PNSt15iterator_traitsISE_E10value_typeET2_T3_PNSF_ISK_E10value_typeET4_T5_PSP_SQ_PNS1_23onesweep_lookback_stateEbbT6_jjT7_P12ihipStream_tbENKUlT_T0_SE_SJ_E_clIS8_S8_S9_S9_EEDaSX_SY_SE_SJ_EUlSX_E_NS1_11comp_targetILNS1_3genE5ELNS1_11target_archE942ELNS1_3gpuE9ELNS1_3repE0EEENS1_47radix_sort_onesweep_sort_config_static_selectorELNS0_4arch9wavefront6targetE1EEEvSE_.kd
    .uniform_work_group_size: 1
    .uses_dynamic_stack: false
    .vgpr_count:     0
    .vgpr_spill_count: 0
    .wavefront_size: 64
  - .agpr_count:     0
    .args:
      - .offset:         0
        .size:           88
        .value_kind:     by_value
    .group_segment_fixed_size: 0
    .kernarg_segment_align: 8
    .kernarg_segment_size: 88
    .language:       OpenCL C
    .language_version:
      - 2
      - 0
    .max_flat_workgroup_size: 512
    .name:           _ZN7rocprim17ROCPRIM_400000_NS6detail17trampoline_kernelINS0_14default_configENS1_35radix_sort_onesweep_config_selectorImNS0_10empty_typeEEEZZNS1_29radix_sort_onesweep_iterationIS3_Lb1EPmS8_PS5_S9_mNS0_19identity_decomposerENS1_16block_id_wrapperIjLb0EEEEE10hipError_tT1_PNSt15iterator_traitsISE_E10value_typeET2_T3_PNSF_ISK_E10value_typeET4_T5_PSP_SQ_PNS1_23onesweep_lookback_stateEbbT6_jjT7_P12ihipStream_tbENKUlT_T0_SE_SJ_E_clIS8_S8_S9_S9_EEDaSX_SY_SE_SJ_EUlSX_E_NS1_11comp_targetILNS1_3genE2ELNS1_11target_archE906ELNS1_3gpuE6ELNS1_3repE0EEENS1_47radix_sort_onesweep_sort_config_static_selectorELNS0_4arch9wavefront6targetE1EEEvSE_
    .private_segment_fixed_size: 0
    .sgpr_count:     4
    .sgpr_spill_count: 0
    .symbol:         _ZN7rocprim17ROCPRIM_400000_NS6detail17trampoline_kernelINS0_14default_configENS1_35radix_sort_onesweep_config_selectorImNS0_10empty_typeEEEZZNS1_29radix_sort_onesweep_iterationIS3_Lb1EPmS8_PS5_S9_mNS0_19identity_decomposerENS1_16block_id_wrapperIjLb0EEEEE10hipError_tT1_PNSt15iterator_traitsISE_E10value_typeET2_T3_PNSF_ISK_E10value_typeET4_T5_PSP_SQ_PNS1_23onesweep_lookback_stateEbbT6_jjT7_P12ihipStream_tbENKUlT_T0_SE_SJ_E_clIS8_S8_S9_S9_EEDaSX_SY_SE_SJ_EUlSX_E_NS1_11comp_targetILNS1_3genE2ELNS1_11target_archE906ELNS1_3gpuE6ELNS1_3repE0EEENS1_47radix_sort_onesweep_sort_config_static_selectorELNS0_4arch9wavefront6targetE1EEEvSE_.kd
    .uniform_work_group_size: 1
    .uses_dynamic_stack: false
    .vgpr_count:     0
    .vgpr_spill_count: 0
    .wavefront_size: 64
  - .agpr_count:     0
    .args:
      - .offset:         0
        .size:           88
        .value_kind:     by_value
      - .offset:         88
        .size:           4
        .value_kind:     hidden_block_count_x
      - .offset:         92
        .size:           4
        .value_kind:     hidden_block_count_y
      - .offset:         96
        .size:           4
        .value_kind:     hidden_block_count_z
      - .offset:         100
        .size:           2
        .value_kind:     hidden_group_size_x
      - .offset:         102
        .size:           2
        .value_kind:     hidden_group_size_y
      - .offset:         104
        .size:           2
        .value_kind:     hidden_group_size_z
      - .offset:         106
        .size:           2
        .value_kind:     hidden_remainder_x
      - .offset:         108
        .size:           2
        .value_kind:     hidden_remainder_y
      - .offset:         110
        .size:           2
        .value_kind:     hidden_remainder_z
      - .offset:         128
        .size:           8
        .value_kind:     hidden_global_offset_x
      - .offset:         136
        .size:           8
        .value_kind:     hidden_global_offset_y
      - .offset:         144
        .size:           8
        .value_kind:     hidden_global_offset_z
      - .offset:         152
        .size:           2
        .value_kind:     hidden_grid_dims
    .group_segment_fixed_size: 20552
    .kernarg_segment_align: 8
    .kernarg_segment_size: 344
    .language:       OpenCL C
    .language_version:
      - 2
      - 0
    .max_flat_workgroup_size: 1024
    .name:           _ZN7rocprim17ROCPRIM_400000_NS6detail17trampoline_kernelINS0_14default_configENS1_35radix_sort_onesweep_config_selectorImNS0_10empty_typeEEEZZNS1_29radix_sort_onesweep_iterationIS3_Lb1EPmS8_PS5_S9_mNS0_19identity_decomposerENS1_16block_id_wrapperIjLb0EEEEE10hipError_tT1_PNSt15iterator_traitsISE_E10value_typeET2_T3_PNSF_ISK_E10value_typeET4_T5_PSP_SQ_PNS1_23onesweep_lookback_stateEbbT6_jjT7_P12ihipStream_tbENKUlT_T0_SE_SJ_E_clIS8_S8_S9_S9_EEDaSX_SY_SE_SJ_EUlSX_E_NS1_11comp_targetILNS1_3genE4ELNS1_11target_archE910ELNS1_3gpuE8ELNS1_3repE0EEENS1_47radix_sort_onesweep_sort_config_static_selectorELNS0_4arch9wavefront6targetE1EEEvSE_
    .private_segment_fixed_size: 0
    .sgpr_count:     34
    .sgpr_spill_count: 0
    .symbol:         _ZN7rocprim17ROCPRIM_400000_NS6detail17trampoline_kernelINS0_14default_configENS1_35radix_sort_onesweep_config_selectorImNS0_10empty_typeEEEZZNS1_29radix_sort_onesweep_iterationIS3_Lb1EPmS8_PS5_S9_mNS0_19identity_decomposerENS1_16block_id_wrapperIjLb0EEEEE10hipError_tT1_PNSt15iterator_traitsISE_E10value_typeET2_T3_PNSF_ISK_E10value_typeET4_T5_PSP_SQ_PNS1_23onesweep_lookback_stateEbbT6_jjT7_P12ihipStream_tbENKUlT_T0_SE_SJ_E_clIS8_S8_S9_S9_EEDaSX_SY_SE_SJ_EUlSX_E_NS1_11comp_targetILNS1_3genE4ELNS1_11target_archE910ELNS1_3gpuE8ELNS1_3repE0EEENS1_47radix_sort_onesweep_sort_config_static_selectorELNS0_4arch9wavefront6targetE1EEEvSE_.kd
    .uniform_work_group_size: 1
    .uses_dynamic_stack: false
    .vgpr_count:     55
    .vgpr_spill_count: 0
    .wavefront_size: 64
  - .agpr_count:     0
    .args:
      - .offset:         0
        .size:           88
        .value_kind:     by_value
    .group_segment_fixed_size: 0
    .kernarg_segment_align: 8
    .kernarg_segment_size: 88
    .language:       OpenCL C
    .language_version:
      - 2
      - 0
    .max_flat_workgroup_size: 512
    .name:           _ZN7rocprim17ROCPRIM_400000_NS6detail17trampoline_kernelINS0_14default_configENS1_35radix_sort_onesweep_config_selectorImNS0_10empty_typeEEEZZNS1_29radix_sort_onesweep_iterationIS3_Lb1EPmS8_PS5_S9_mNS0_19identity_decomposerENS1_16block_id_wrapperIjLb0EEEEE10hipError_tT1_PNSt15iterator_traitsISE_E10value_typeET2_T3_PNSF_ISK_E10value_typeET4_T5_PSP_SQ_PNS1_23onesweep_lookback_stateEbbT6_jjT7_P12ihipStream_tbENKUlT_T0_SE_SJ_E_clIS8_S8_S9_S9_EEDaSX_SY_SE_SJ_EUlSX_E_NS1_11comp_targetILNS1_3genE3ELNS1_11target_archE908ELNS1_3gpuE7ELNS1_3repE0EEENS1_47radix_sort_onesweep_sort_config_static_selectorELNS0_4arch9wavefront6targetE1EEEvSE_
    .private_segment_fixed_size: 0
    .sgpr_count:     4
    .sgpr_spill_count: 0
    .symbol:         _ZN7rocprim17ROCPRIM_400000_NS6detail17trampoline_kernelINS0_14default_configENS1_35radix_sort_onesweep_config_selectorImNS0_10empty_typeEEEZZNS1_29radix_sort_onesweep_iterationIS3_Lb1EPmS8_PS5_S9_mNS0_19identity_decomposerENS1_16block_id_wrapperIjLb0EEEEE10hipError_tT1_PNSt15iterator_traitsISE_E10value_typeET2_T3_PNSF_ISK_E10value_typeET4_T5_PSP_SQ_PNS1_23onesweep_lookback_stateEbbT6_jjT7_P12ihipStream_tbENKUlT_T0_SE_SJ_E_clIS8_S8_S9_S9_EEDaSX_SY_SE_SJ_EUlSX_E_NS1_11comp_targetILNS1_3genE3ELNS1_11target_archE908ELNS1_3gpuE7ELNS1_3repE0EEENS1_47radix_sort_onesweep_sort_config_static_selectorELNS0_4arch9wavefront6targetE1EEEvSE_.kd
    .uniform_work_group_size: 1
    .uses_dynamic_stack: false
    .vgpr_count:     0
    .vgpr_spill_count: 0
    .wavefront_size: 64
  - .agpr_count:     0
    .args:
      - .offset:         0
        .size:           88
        .value_kind:     by_value
    .group_segment_fixed_size: 0
    .kernarg_segment_align: 8
    .kernarg_segment_size: 88
    .language:       OpenCL C
    .language_version:
      - 2
      - 0
    .max_flat_workgroup_size: 512
    .name:           _ZN7rocprim17ROCPRIM_400000_NS6detail17trampoline_kernelINS0_14default_configENS1_35radix_sort_onesweep_config_selectorImNS0_10empty_typeEEEZZNS1_29radix_sort_onesweep_iterationIS3_Lb1EPmS8_PS5_S9_mNS0_19identity_decomposerENS1_16block_id_wrapperIjLb0EEEEE10hipError_tT1_PNSt15iterator_traitsISE_E10value_typeET2_T3_PNSF_ISK_E10value_typeET4_T5_PSP_SQ_PNS1_23onesweep_lookback_stateEbbT6_jjT7_P12ihipStream_tbENKUlT_T0_SE_SJ_E_clIS8_S8_S9_S9_EEDaSX_SY_SE_SJ_EUlSX_E_NS1_11comp_targetILNS1_3genE10ELNS1_11target_archE1201ELNS1_3gpuE5ELNS1_3repE0EEENS1_47radix_sort_onesweep_sort_config_static_selectorELNS0_4arch9wavefront6targetE1EEEvSE_
    .private_segment_fixed_size: 0
    .sgpr_count:     4
    .sgpr_spill_count: 0
    .symbol:         _ZN7rocprim17ROCPRIM_400000_NS6detail17trampoline_kernelINS0_14default_configENS1_35radix_sort_onesweep_config_selectorImNS0_10empty_typeEEEZZNS1_29radix_sort_onesweep_iterationIS3_Lb1EPmS8_PS5_S9_mNS0_19identity_decomposerENS1_16block_id_wrapperIjLb0EEEEE10hipError_tT1_PNSt15iterator_traitsISE_E10value_typeET2_T3_PNSF_ISK_E10value_typeET4_T5_PSP_SQ_PNS1_23onesweep_lookback_stateEbbT6_jjT7_P12ihipStream_tbENKUlT_T0_SE_SJ_E_clIS8_S8_S9_S9_EEDaSX_SY_SE_SJ_EUlSX_E_NS1_11comp_targetILNS1_3genE10ELNS1_11target_archE1201ELNS1_3gpuE5ELNS1_3repE0EEENS1_47radix_sort_onesweep_sort_config_static_selectorELNS0_4arch9wavefront6targetE1EEEvSE_.kd
    .uniform_work_group_size: 1
    .uses_dynamic_stack: false
    .vgpr_count:     0
    .vgpr_spill_count: 0
    .wavefront_size: 64
  - .agpr_count:     0
    .args:
      - .offset:         0
        .size:           88
        .value_kind:     by_value
    .group_segment_fixed_size: 0
    .kernarg_segment_align: 8
    .kernarg_segment_size: 88
    .language:       OpenCL C
    .language_version:
      - 2
      - 0
    .max_flat_workgroup_size: 1024
    .name:           _ZN7rocprim17ROCPRIM_400000_NS6detail17trampoline_kernelINS0_14default_configENS1_35radix_sort_onesweep_config_selectorImNS0_10empty_typeEEEZZNS1_29radix_sort_onesweep_iterationIS3_Lb1EPmS8_PS5_S9_mNS0_19identity_decomposerENS1_16block_id_wrapperIjLb0EEEEE10hipError_tT1_PNSt15iterator_traitsISE_E10value_typeET2_T3_PNSF_ISK_E10value_typeET4_T5_PSP_SQ_PNS1_23onesweep_lookback_stateEbbT6_jjT7_P12ihipStream_tbENKUlT_T0_SE_SJ_E_clIS8_S8_S9_S9_EEDaSX_SY_SE_SJ_EUlSX_E_NS1_11comp_targetILNS1_3genE9ELNS1_11target_archE1100ELNS1_3gpuE3ELNS1_3repE0EEENS1_47radix_sort_onesweep_sort_config_static_selectorELNS0_4arch9wavefront6targetE1EEEvSE_
    .private_segment_fixed_size: 0
    .sgpr_count:     4
    .sgpr_spill_count: 0
    .symbol:         _ZN7rocprim17ROCPRIM_400000_NS6detail17trampoline_kernelINS0_14default_configENS1_35radix_sort_onesweep_config_selectorImNS0_10empty_typeEEEZZNS1_29radix_sort_onesweep_iterationIS3_Lb1EPmS8_PS5_S9_mNS0_19identity_decomposerENS1_16block_id_wrapperIjLb0EEEEE10hipError_tT1_PNSt15iterator_traitsISE_E10value_typeET2_T3_PNSF_ISK_E10value_typeET4_T5_PSP_SQ_PNS1_23onesweep_lookback_stateEbbT6_jjT7_P12ihipStream_tbENKUlT_T0_SE_SJ_E_clIS8_S8_S9_S9_EEDaSX_SY_SE_SJ_EUlSX_E_NS1_11comp_targetILNS1_3genE9ELNS1_11target_archE1100ELNS1_3gpuE3ELNS1_3repE0EEENS1_47radix_sort_onesweep_sort_config_static_selectorELNS0_4arch9wavefront6targetE1EEEvSE_.kd
    .uniform_work_group_size: 1
    .uses_dynamic_stack: false
    .vgpr_count:     0
    .vgpr_spill_count: 0
    .wavefront_size: 64
  - .agpr_count:     0
    .args:
      - .offset:         0
        .size:           88
        .value_kind:     by_value
    .group_segment_fixed_size: 0
    .kernarg_segment_align: 8
    .kernarg_segment_size: 88
    .language:       OpenCL C
    .language_version:
      - 2
      - 0
    .max_flat_workgroup_size: 1024
    .name:           _ZN7rocprim17ROCPRIM_400000_NS6detail17trampoline_kernelINS0_14default_configENS1_35radix_sort_onesweep_config_selectorImNS0_10empty_typeEEEZZNS1_29radix_sort_onesweep_iterationIS3_Lb1EPmS8_PS5_S9_mNS0_19identity_decomposerENS1_16block_id_wrapperIjLb0EEEEE10hipError_tT1_PNSt15iterator_traitsISE_E10value_typeET2_T3_PNSF_ISK_E10value_typeET4_T5_PSP_SQ_PNS1_23onesweep_lookback_stateEbbT6_jjT7_P12ihipStream_tbENKUlT_T0_SE_SJ_E_clIS8_S8_S9_S9_EEDaSX_SY_SE_SJ_EUlSX_E_NS1_11comp_targetILNS1_3genE8ELNS1_11target_archE1030ELNS1_3gpuE2ELNS1_3repE0EEENS1_47radix_sort_onesweep_sort_config_static_selectorELNS0_4arch9wavefront6targetE1EEEvSE_
    .private_segment_fixed_size: 0
    .sgpr_count:     4
    .sgpr_spill_count: 0
    .symbol:         _ZN7rocprim17ROCPRIM_400000_NS6detail17trampoline_kernelINS0_14default_configENS1_35radix_sort_onesweep_config_selectorImNS0_10empty_typeEEEZZNS1_29radix_sort_onesweep_iterationIS3_Lb1EPmS8_PS5_S9_mNS0_19identity_decomposerENS1_16block_id_wrapperIjLb0EEEEE10hipError_tT1_PNSt15iterator_traitsISE_E10value_typeET2_T3_PNSF_ISK_E10value_typeET4_T5_PSP_SQ_PNS1_23onesweep_lookback_stateEbbT6_jjT7_P12ihipStream_tbENKUlT_T0_SE_SJ_E_clIS8_S8_S9_S9_EEDaSX_SY_SE_SJ_EUlSX_E_NS1_11comp_targetILNS1_3genE8ELNS1_11target_archE1030ELNS1_3gpuE2ELNS1_3repE0EEENS1_47radix_sort_onesweep_sort_config_static_selectorELNS0_4arch9wavefront6targetE1EEEvSE_.kd
    .uniform_work_group_size: 1
    .uses_dynamic_stack: false
    .vgpr_count:     0
    .vgpr_spill_count: 0
    .wavefront_size: 64
  - .agpr_count:     0
    .args:
      - .offset:         0
        .size:           48
        .value_kind:     by_value
    .group_segment_fixed_size: 0
    .kernarg_segment_align: 8
    .kernarg_segment_size: 48
    .language:       OpenCL C
    .language_version:
      - 2
      - 0
    .max_flat_workgroup_size: 256
    .name:           _ZN7rocprim17ROCPRIM_400000_NS6detail17trampoline_kernelINS0_13kernel_configILj256ELj4ELj4294967295EEENS1_37radix_sort_block_sort_config_selectorIxNS0_10empty_typeEEEZNS1_21radix_sort_block_sortIS4_Lb1EPxS9_PS6_SA_NS0_19identity_decomposerEEE10hipError_tT1_T2_T3_T4_jRjT5_jjP12ihipStream_tbEUlT_E_NS1_11comp_targetILNS1_3genE0ELNS1_11target_archE4294967295ELNS1_3gpuE0ELNS1_3repE0EEENS1_44radix_sort_block_sort_config_static_selectorELNS0_4arch9wavefront6targetE1EEEvSD_
    .private_segment_fixed_size: 0
    .sgpr_count:     4
    .sgpr_spill_count: 0
    .symbol:         _ZN7rocprim17ROCPRIM_400000_NS6detail17trampoline_kernelINS0_13kernel_configILj256ELj4ELj4294967295EEENS1_37radix_sort_block_sort_config_selectorIxNS0_10empty_typeEEEZNS1_21radix_sort_block_sortIS4_Lb1EPxS9_PS6_SA_NS0_19identity_decomposerEEE10hipError_tT1_T2_T3_T4_jRjT5_jjP12ihipStream_tbEUlT_E_NS1_11comp_targetILNS1_3genE0ELNS1_11target_archE4294967295ELNS1_3gpuE0ELNS1_3repE0EEENS1_44radix_sort_block_sort_config_static_selectorELNS0_4arch9wavefront6targetE1EEEvSD_.kd
    .uniform_work_group_size: 1
    .uses_dynamic_stack: false
    .vgpr_count:     0
    .vgpr_spill_count: 0
    .wavefront_size: 64
  - .agpr_count:     0
    .args:
      - .offset:         0
        .size:           48
        .value_kind:     by_value
    .group_segment_fixed_size: 0
    .kernarg_segment_align: 8
    .kernarg_segment_size: 48
    .language:       OpenCL C
    .language_version:
      - 2
      - 0
    .max_flat_workgroup_size: 256
    .name:           _ZN7rocprim17ROCPRIM_400000_NS6detail17trampoline_kernelINS0_13kernel_configILj256ELj4ELj4294967295EEENS1_37radix_sort_block_sort_config_selectorIxNS0_10empty_typeEEEZNS1_21radix_sort_block_sortIS4_Lb1EPxS9_PS6_SA_NS0_19identity_decomposerEEE10hipError_tT1_T2_T3_T4_jRjT5_jjP12ihipStream_tbEUlT_E_NS1_11comp_targetILNS1_3genE5ELNS1_11target_archE942ELNS1_3gpuE9ELNS1_3repE0EEENS1_44radix_sort_block_sort_config_static_selectorELNS0_4arch9wavefront6targetE1EEEvSD_
    .private_segment_fixed_size: 0
    .sgpr_count:     4
    .sgpr_spill_count: 0
    .symbol:         _ZN7rocprim17ROCPRIM_400000_NS6detail17trampoline_kernelINS0_13kernel_configILj256ELj4ELj4294967295EEENS1_37radix_sort_block_sort_config_selectorIxNS0_10empty_typeEEEZNS1_21radix_sort_block_sortIS4_Lb1EPxS9_PS6_SA_NS0_19identity_decomposerEEE10hipError_tT1_T2_T3_T4_jRjT5_jjP12ihipStream_tbEUlT_E_NS1_11comp_targetILNS1_3genE5ELNS1_11target_archE942ELNS1_3gpuE9ELNS1_3repE0EEENS1_44radix_sort_block_sort_config_static_selectorELNS0_4arch9wavefront6targetE1EEEvSD_.kd
    .uniform_work_group_size: 1
    .uses_dynamic_stack: false
    .vgpr_count:     0
    .vgpr_spill_count: 0
    .wavefront_size: 64
  - .agpr_count:     0
    .args:
      - .offset:         0
        .size:           48
        .value_kind:     by_value
      - .offset:         48
        .size:           4
        .value_kind:     hidden_block_count_x
      - .offset:         52
        .size:           4
        .value_kind:     hidden_block_count_y
      - .offset:         56
        .size:           4
        .value_kind:     hidden_block_count_z
      - .offset:         60
        .size:           2
        .value_kind:     hidden_group_size_x
      - .offset:         62
        .size:           2
        .value_kind:     hidden_group_size_y
      - .offset:         64
        .size:           2
        .value_kind:     hidden_group_size_z
      - .offset:         66
        .size:           2
        .value_kind:     hidden_remainder_x
      - .offset:         68
        .size:           2
        .value_kind:     hidden_remainder_y
      - .offset:         70
        .size:           2
        .value_kind:     hidden_remainder_z
      - .offset:         88
        .size:           8
        .value_kind:     hidden_global_offset_x
      - .offset:         96
        .size:           8
        .value_kind:     hidden_global_offset_y
      - .offset:         104
        .size:           8
        .value_kind:     hidden_global_offset_z
      - .offset:         112
        .size:           2
        .value_kind:     hidden_grid_dims
    .group_segment_fixed_size: 8192
    .kernarg_segment_align: 8
    .kernarg_segment_size: 304
    .language:       OpenCL C
    .language_version:
      - 2
      - 0
    .max_flat_workgroup_size: 256
    .name:           _ZN7rocprim17ROCPRIM_400000_NS6detail17trampoline_kernelINS0_13kernel_configILj256ELj4ELj4294967295EEENS1_37radix_sort_block_sort_config_selectorIxNS0_10empty_typeEEEZNS1_21radix_sort_block_sortIS4_Lb1EPxS9_PS6_SA_NS0_19identity_decomposerEEE10hipError_tT1_T2_T3_T4_jRjT5_jjP12ihipStream_tbEUlT_E_NS1_11comp_targetILNS1_3genE4ELNS1_11target_archE910ELNS1_3gpuE8ELNS1_3repE0EEENS1_44radix_sort_block_sort_config_static_selectorELNS0_4arch9wavefront6targetE1EEEvSD_
    .private_segment_fixed_size: 0
    .sgpr_count:     48
    .sgpr_spill_count: 0
    .symbol:         _ZN7rocprim17ROCPRIM_400000_NS6detail17trampoline_kernelINS0_13kernel_configILj256ELj4ELj4294967295EEENS1_37radix_sort_block_sort_config_selectorIxNS0_10empty_typeEEEZNS1_21radix_sort_block_sortIS4_Lb1EPxS9_PS6_SA_NS0_19identity_decomposerEEE10hipError_tT1_T2_T3_T4_jRjT5_jjP12ihipStream_tbEUlT_E_NS1_11comp_targetILNS1_3genE4ELNS1_11target_archE910ELNS1_3gpuE8ELNS1_3repE0EEENS1_44radix_sort_block_sort_config_static_selectorELNS0_4arch9wavefront6targetE1EEEvSD_.kd
    .uniform_work_group_size: 1
    .uses_dynamic_stack: false
    .vgpr_count:     42
    .vgpr_spill_count: 0
    .wavefront_size: 64
  - .agpr_count:     0
    .args:
      - .offset:         0
        .size:           48
        .value_kind:     by_value
    .group_segment_fixed_size: 0
    .kernarg_segment_align: 8
    .kernarg_segment_size: 48
    .language:       OpenCL C
    .language_version:
      - 2
      - 0
    .max_flat_workgroup_size: 256
    .name:           _ZN7rocprim17ROCPRIM_400000_NS6detail17trampoline_kernelINS0_13kernel_configILj256ELj4ELj4294967295EEENS1_37radix_sort_block_sort_config_selectorIxNS0_10empty_typeEEEZNS1_21radix_sort_block_sortIS4_Lb1EPxS9_PS6_SA_NS0_19identity_decomposerEEE10hipError_tT1_T2_T3_T4_jRjT5_jjP12ihipStream_tbEUlT_E_NS1_11comp_targetILNS1_3genE3ELNS1_11target_archE908ELNS1_3gpuE7ELNS1_3repE0EEENS1_44radix_sort_block_sort_config_static_selectorELNS0_4arch9wavefront6targetE1EEEvSD_
    .private_segment_fixed_size: 0
    .sgpr_count:     4
    .sgpr_spill_count: 0
    .symbol:         _ZN7rocprim17ROCPRIM_400000_NS6detail17trampoline_kernelINS0_13kernel_configILj256ELj4ELj4294967295EEENS1_37radix_sort_block_sort_config_selectorIxNS0_10empty_typeEEEZNS1_21radix_sort_block_sortIS4_Lb1EPxS9_PS6_SA_NS0_19identity_decomposerEEE10hipError_tT1_T2_T3_T4_jRjT5_jjP12ihipStream_tbEUlT_E_NS1_11comp_targetILNS1_3genE3ELNS1_11target_archE908ELNS1_3gpuE7ELNS1_3repE0EEENS1_44radix_sort_block_sort_config_static_selectorELNS0_4arch9wavefront6targetE1EEEvSD_.kd
    .uniform_work_group_size: 1
    .uses_dynamic_stack: false
    .vgpr_count:     0
    .vgpr_spill_count: 0
    .wavefront_size: 64
  - .agpr_count:     0
    .args:
      - .offset:         0
        .size:           48
        .value_kind:     by_value
    .group_segment_fixed_size: 0
    .kernarg_segment_align: 8
    .kernarg_segment_size: 48
    .language:       OpenCL C
    .language_version:
      - 2
      - 0
    .max_flat_workgroup_size: 256
    .name:           _ZN7rocprim17ROCPRIM_400000_NS6detail17trampoline_kernelINS0_13kernel_configILj256ELj4ELj4294967295EEENS1_37radix_sort_block_sort_config_selectorIxNS0_10empty_typeEEEZNS1_21radix_sort_block_sortIS4_Lb1EPxS9_PS6_SA_NS0_19identity_decomposerEEE10hipError_tT1_T2_T3_T4_jRjT5_jjP12ihipStream_tbEUlT_E_NS1_11comp_targetILNS1_3genE2ELNS1_11target_archE906ELNS1_3gpuE6ELNS1_3repE0EEENS1_44radix_sort_block_sort_config_static_selectorELNS0_4arch9wavefront6targetE1EEEvSD_
    .private_segment_fixed_size: 0
    .sgpr_count:     4
    .sgpr_spill_count: 0
    .symbol:         _ZN7rocprim17ROCPRIM_400000_NS6detail17trampoline_kernelINS0_13kernel_configILj256ELj4ELj4294967295EEENS1_37radix_sort_block_sort_config_selectorIxNS0_10empty_typeEEEZNS1_21radix_sort_block_sortIS4_Lb1EPxS9_PS6_SA_NS0_19identity_decomposerEEE10hipError_tT1_T2_T3_T4_jRjT5_jjP12ihipStream_tbEUlT_E_NS1_11comp_targetILNS1_3genE2ELNS1_11target_archE906ELNS1_3gpuE6ELNS1_3repE0EEENS1_44radix_sort_block_sort_config_static_selectorELNS0_4arch9wavefront6targetE1EEEvSD_.kd
    .uniform_work_group_size: 1
    .uses_dynamic_stack: false
    .vgpr_count:     0
    .vgpr_spill_count: 0
    .wavefront_size: 64
  - .agpr_count:     0
    .args:
      - .offset:         0
        .size:           48
        .value_kind:     by_value
    .group_segment_fixed_size: 0
    .kernarg_segment_align: 8
    .kernarg_segment_size: 48
    .language:       OpenCL C
    .language_version:
      - 2
      - 0
    .max_flat_workgroup_size: 256
    .name:           _ZN7rocprim17ROCPRIM_400000_NS6detail17trampoline_kernelINS0_13kernel_configILj256ELj4ELj4294967295EEENS1_37radix_sort_block_sort_config_selectorIxNS0_10empty_typeEEEZNS1_21radix_sort_block_sortIS4_Lb1EPxS9_PS6_SA_NS0_19identity_decomposerEEE10hipError_tT1_T2_T3_T4_jRjT5_jjP12ihipStream_tbEUlT_E_NS1_11comp_targetILNS1_3genE10ELNS1_11target_archE1201ELNS1_3gpuE5ELNS1_3repE0EEENS1_44radix_sort_block_sort_config_static_selectorELNS0_4arch9wavefront6targetE1EEEvSD_
    .private_segment_fixed_size: 0
    .sgpr_count:     4
    .sgpr_spill_count: 0
    .symbol:         _ZN7rocprim17ROCPRIM_400000_NS6detail17trampoline_kernelINS0_13kernel_configILj256ELj4ELj4294967295EEENS1_37radix_sort_block_sort_config_selectorIxNS0_10empty_typeEEEZNS1_21radix_sort_block_sortIS4_Lb1EPxS9_PS6_SA_NS0_19identity_decomposerEEE10hipError_tT1_T2_T3_T4_jRjT5_jjP12ihipStream_tbEUlT_E_NS1_11comp_targetILNS1_3genE10ELNS1_11target_archE1201ELNS1_3gpuE5ELNS1_3repE0EEENS1_44radix_sort_block_sort_config_static_selectorELNS0_4arch9wavefront6targetE1EEEvSD_.kd
    .uniform_work_group_size: 1
    .uses_dynamic_stack: false
    .vgpr_count:     0
    .vgpr_spill_count: 0
    .wavefront_size: 64
  - .agpr_count:     0
    .args:
      - .offset:         0
        .size:           48
        .value_kind:     by_value
    .group_segment_fixed_size: 0
    .kernarg_segment_align: 8
    .kernarg_segment_size: 48
    .language:       OpenCL C
    .language_version:
      - 2
      - 0
    .max_flat_workgroup_size: 256
    .name:           _ZN7rocprim17ROCPRIM_400000_NS6detail17trampoline_kernelINS0_13kernel_configILj256ELj4ELj4294967295EEENS1_37radix_sort_block_sort_config_selectorIxNS0_10empty_typeEEEZNS1_21radix_sort_block_sortIS4_Lb1EPxS9_PS6_SA_NS0_19identity_decomposerEEE10hipError_tT1_T2_T3_T4_jRjT5_jjP12ihipStream_tbEUlT_E_NS1_11comp_targetILNS1_3genE10ELNS1_11target_archE1200ELNS1_3gpuE4ELNS1_3repE0EEENS1_44radix_sort_block_sort_config_static_selectorELNS0_4arch9wavefront6targetE1EEEvSD_
    .private_segment_fixed_size: 0
    .sgpr_count:     4
    .sgpr_spill_count: 0
    .symbol:         _ZN7rocprim17ROCPRIM_400000_NS6detail17trampoline_kernelINS0_13kernel_configILj256ELj4ELj4294967295EEENS1_37radix_sort_block_sort_config_selectorIxNS0_10empty_typeEEEZNS1_21radix_sort_block_sortIS4_Lb1EPxS9_PS6_SA_NS0_19identity_decomposerEEE10hipError_tT1_T2_T3_T4_jRjT5_jjP12ihipStream_tbEUlT_E_NS1_11comp_targetILNS1_3genE10ELNS1_11target_archE1200ELNS1_3gpuE4ELNS1_3repE0EEENS1_44radix_sort_block_sort_config_static_selectorELNS0_4arch9wavefront6targetE1EEEvSD_.kd
    .uniform_work_group_size: 1
    .uses_dynamic_stack: false
    .vgpr_count:     0
    .vgpr_spill_count: 0
    .wavefront_size: 64
  - .agpr_count:     0
    .args:
      - .offset:         0
        .size:           48
        .value_kind:     by_value
    .group_segment_fixed_size: 0
    .kernarg_segment_align: 8
    .kernarg_segment_size: 48
    .language:       OpenCL C
    .language_version:
      - 2
      - 0
    .max_flat_workgroup_size: 256
    .name:           _ZN7rocprim17ROCPRIM_400000_NS6detail17trampoline_kernelINS0_13kernel_configILj256ELj4ELj4294967295EEENS1_37radix_sort_block_sort_config_selectorIxNS0_10empty_typeEEEZNS1_21radix_sort_block_sortIS4_Lb1EPxS9_PS6_SA_NS0_19identity_decomposerEEE10hipError_tT1_T2_T3_T4_jRjT5_jjP12ihipStream_tbEUlT_E_NS1_11comp_targetILNS1_3genE9ELNS1_11target_archE1100ELNS1_3gpuE3ELNS1_3repE0EEENS1_44radix_sort_block_sort_config_static_selectorELNS0_4arch9wavefront6targetE1EEEvSD_
    .private_segment_fixed_size: 0
    .sgpr_count:     4
    .sgpr_spill_count: 0
    .symbol:         _ZN7rocprim17ROCPRIM_400000_NS6detail17trampoline_kernelINS0_13kernel_configILj256ELj4ELj4294967295EEENS1_37radix_sort_block_sort_config_selectorIxNS0_10empty_typeEEEZNS1_21radix_sort_block_sortIS4_Lb1EPxS9_PS6_SA_NS0_19identity_decomposerEEE10hipError_tT1_T2_T3_T4_jRjT5_jjP12ihipStream_tbEUlT_E_NS1_11comp_targetILNS1_3genE9ELNS1_11target_archE1100ELNS1_3gpuE3ELNS1_3repE0EEENS1_44radix_sort_block_sort_config_static_selectorELNS0_4arch9wavefront6targetE1EEEvSD_.kd
    .uniform_work_group_size: 1
    .uses_dynamic_stack: false
    .vgpr_count:     0
    .vgpr_spill_count: 0
    .wavefront_size: 64
  - .agpr_count:     0
    .args:
      - .offset:         0
        .size:           48
        .value_kind:     by_value
    .group_segment_fixed_size: 0
    .kernarg_segment_align: 8
    .kernarg_segment_size: 48
    .language:       OpenCL C
    .language_version:
      - 2
      - 0
    .max_flat_workgroup_size: 256
    .name:           _ZN7rocprim17ROCPRIM_400000_NS6detail17trampoline_kernelINS0_13kernel_configILj256ELj4ELj4294967295EEENS1_37radix_sort_block_sort_config_selectorIxNS0_10empty_typeEEEZNS1_21radix_sort_block_sortIS4_Lb1EPxS9_PS6_SA_NS0_19identity_decomposerEEE10hipError_tT1_T2_T3_T4_jRjT5_jjP12ihipStream_tbEUlT_E_NS1_11comp_targetILNS1_3genE8ELNS1_11target_archE1030ELNS1_3gpuE2ELNS1_3repE0EEENS1_44radix_sort_block_sort_config_static_selectorELNS0_4arch9wavefront6targetE1EEEvSD_
    .private_segment_fixed_size: 0
    .sgpr_count:     4
    .sgpr_spill_count: 0
    .symbol:         _ZN7rocprim17ROCPRIM_400000_NS6detail17trampoline_kernelINS0_13kernel_configILj256ELj4ELj4294967295EEENS1_37radix_sort_block_sort_config_selectorIxNS0_10empty_typeEEEZNS1_21radix_sort_block_sortIS4_Lb1EPxS9_PS6_SA_NS0_19identity_decomposerEEE10hipError_tT1_T2_T3_T4_jRjT5_jjP12ihipStream_tbEUlT_E_NS1_11comp_targetILNS1_3genE8ELNS1_11target_archE1030ELNS1_3gpuE2ELNS1_3repE0EEENS1_44radix_sort_block_sort_config_static_selectorELNS0_4arch9wavefront6targetE1EEEvSD_.kd
    .uniform_work_group_size: 1
    .uses_dynamic_stack: false
    .vgpr_count:     0
    .vgpr_spill_count: 0
    .wavefront_size: 64
  - .agpr_count:     0
    .args:
      - .offset:         0
        .size:           40
        .value_kind:     by_value
    .group_segment_fixed_size: 0
    .kernarg_segment_align: 8
    .kernarg_segment_size: 40
    .language:       OpenCL C
    .language_version:
      - 2
      - 0
    .max_flat_workgroup_size: 128
    .name:           _ZN7rocprim17ROCPRIM_400000_NS6detail17trampoline_kernelINS0_14default_configENS1_38merge_sort_block_merge_config_selectorIxNS0_10empty_typeEEEZZNS1_27merge_sort_block_merge_implIS3_PxPS5_jNS1_19radix_merge_compareILb1ELb0ExNS0_19identity_decomposerEEEEE10hipError_tT0_T1_T2_jT3_P12ihipStream_tbPNSt15iterator_traitsISE_E10value_typeEPNSK_ISF_E10value_typeEPSG_NS1_7vsmem_tEENKUlT_SE_SF_SG_E_clIS8_S8_S9_S9_EESD_ST_SE_SF_SG_EUlST_E_NS1_11comp_targetILNS1_3genE0ELNS1_11target_archE4294967295ELNS1_3gpuE0ELNS1_3repE0EEENS1_48merge_mergepath_partition_config_static_selectorELNS0_4arch9wavefront6targetE1EEEvSF_
    .private_segment_fixed_size: 0
    .sgpr_count:     4
    .sgpr_spill_count: 0
    .symbol:         _ZN7rocprim17ROCPRIM_400000_NS6detail17trampoline_kernelINS0_14default_configENS1_38merge_sort_block_merge_config_selectorIxNS0_10empty_typeEEEZZNS1_27merge_sort_block_merge_implIS3_PxPS5_jNS1_19radix_merge_compareILb1ELb0ExNS0_19identity_decomposerEEEEE10hipError_tT0_T1_T2_jT3_P12ihipStream_tbPNSt15iterator_traitsISE_E10value_typeEPNSK_ISF_E10value_typeEPSG_NS1_7vsmem_tEENKUlT_SE_SF_SG_E_clIS8_S8_S9_S9_EESD_ST_SE_SF_SG_EUlST_E_NS1_11comp_targetILNS1_3genE0ELNS1_11target_archE4294967295ELNS1_3gpuE0ELNS1_3repE0EEENS1_48merge_mergepath_partition_config_static_selectorELNS0_4arch9wavefront6targetE1EEEvSF_.kd
    .uniform_work_group_size: 1
    .uses_dynamic_stack: false
    .vgpr_count:     0
    .vgpr_spill_count: 0
    .wavefront_size: 64
  - .agpr_count:     0
    .args:
      - .offset:         0
        .size:           40
        .value_kind:     by_value
    .group_segment_fixed_size: 0
    .kernarg_segment_align: 8
    .kernarg_segment_size: 40
    .language:       OpenCL C
    .language_version:
      - 2
      - 0
    .max_flat_workgroup_size: 128
    .name:           _ZN7rocprim17ROCPRIM_400000_NS6detail17trampoline_kernelINS0_14default_configENS1_38merge_sort_block_merge_config_selectorIxNS0_10empty_typeEEEZZNS1_27merge_sort_block_merge_implIS3_PxPS5_jNS1_19radix_merge_compareILb1ELb0ExNS0_19identity_decomposerEEEEE10hipError_tT0_T1_T2_jT3_P12ihipStream_tbPNSt15iterator_traitsISE_E10value_typeEPNSK_ISF_E10value_typeEPSG_NS1_7vsmem_tEENKUlT_SE_SF_SG_E_clIS8_S8_S9_S9_EESD_ST_SE_SF_SG_EUlST_E_NS1_11comp_targetILNS1_3genE10ELNS1_11target_archE1201ELNS1_3gpuE5ELNS1_3repE0EEENS1_48merge_mergepath_partition_config_static_selectorELNS0_4arch9wavefront6targetE1EEEvSF_
    .private_segment_fixed_size: 0
    .sgpr_count:     4
    .sgpr_spill_count: 0
    .symbol:         _ZN7rocprim17ROCPRIM_400000_NS6detail17trampoline_kernelINS0_14default_configENS1_38merge_sort_block_merge_config_selectorIxNS0_10empty_typeEEEZZNS1_27merge_sort_block_merge_implIS3_PxPS5_jNS1_19radix_merge_compareILb1ELb0ExNS0_19identity_decomposerEEEEE10hipError_tT0_T1_T2_jT3_P12ihipStream_tbPNSt15iterator_traitsISE_E10value_typeEPNSK_ISF_E10value_typeEPSG_NS1_7vsmem_tEENKUlT_SE_SF_SG_E_clIS8_S8_S9_S9_EESD_ST_SE_SF_SG_EUlST_E_NS1_11comp_targetILNS1_3genE10ELNS1_11target_archE1201ELNS1_3gpuE5ELNS1_3repE0EEENS1_48merge_mergepath_partition_config_static_selectorELNS0_4arch9wavefront6targetE1EEEvSF_.kd
    .uniform_work_group_size: 1
    .uses_dynamic_stack: false
    .vgpr_count:     0
    .vgpr_spill_count: 0
    .wavefront_size: 64
  - .agpr_count:     0
    .args:
      - .offset:         0
        .size:           40
        .value_kind:     by_value
    .group_segment_fixed_size: 0
    .kernarg_segment_align: 8
    .kernarg_segment_size: 40
    .language:       OpenCL C
    .language_version:
      - 2
      - 0
    .max_flat_workgroup_size: 128
    .name:           _ZN7rocprim17ROCPRIM_400000_NS6detail17trampoline_kernelINS0_14default_configENS1_38merge_sort_block_merge_config_selectorIxNS0_10empty_typeEEEZZNS1_27merge_sort_block_merge_implIS3_PxPS5_jNS1_19radix_merge_compareILb1ELb0ExNS0_19identity_decomposerEEEEE10hipError_tT0_T1_T2_jT3_P12ihipStream_tbPNSt15iterator_traitsISE_E10value_typeEPNSK_ISF_E10value_typeEPSG_NS1_7vsmem_tEENKUlT_SE_SF_SG_E_clIS8_S8_S9_S9_EESD_ST_SE_SF_SG_EUlST_E_NS1_11comp_targetILNS1_3genE5ELNS1_11target_archE942ELNS1_3gpuE9ELNS1_3repE0EEENS1_48merge_mergepath_partition_config_static_selectorELNS0_4arch9wavefront6targetE1EEEvSF_
    .private_segment_fixed_size: 0
    .sgpr_count:     4
    .sgpr_spill_count: 0
    .symbol:         _ZN7rocprim17ROCPRIM_400000_NS6detail17trampoline_kernelINS0_14default_configENS1_38merge_sort_block_merge_config_selectorIxNS0_10empty_typeEEEZZNS1_27merge_sort_block_merge_implIS3_PxPS5_jNS1_19radix_merge_compareILb1ELb0ExNS0_19identity_decomposerEEEEE10hipError_tT0_T1_T2_jT3_P12ihipStream_tbPNSt15iterator_traitsISE_E10value_typeEPNSK_ISF_E10value_typeEPSG_NS1_7vsmem_tEENKUlT_SE_SF_SG_E_clIS8_S8_S9_S9_EESD_ST_SE_SF_SG_EUlST_E_NS1_11comp_targetILNS1_3genE5ELNS1_11target_archE942ELNS1_3gpuE9ELNS1_3repE0EEENS1_48merge_mergepath_partition_config_static_selectorELNS0_4arch9wavefront6targetE1EEEvSF_.kd
    .uniform_work_group_size: 1
    .uses_dynamic_stack: false
    .vgpr_count:     0
    .vgpr_spill_count: 0
    .wavefront_size: 64
  - .agpr_count:     0
    .args:
      - .offset:         0
        .size:           40
        .value_kind:     by_value
    .group_segment_fixed_size: 0
    .kernarg_segment_align: 8
    .kernarg_segment_size: 40
    .language:       OpenCL C
    .language_version:
      - 2
      - 0
    .max_flat_workgroup_size: 128
    .name:           _ZN7rocprim17ROCPRIM_400000_NS6detail17trampoline_kernelINS0_14default_configENS1_38merge_sort_block_merge_config_selectorIxNS0_10empty_typeEEEZZNS1_27merge_sort_block_merge_implIS3_PxPS5_jNS1_19radix_merge_compareILb1ELb0ExNS0_19identity_decomposerEEEEE10hipError_tT0_T1_T2_jT3_P12ihipStream_tbPNSt15iterator_traitsISE_E10value_typeEPNSK_ISF_E10value_typeEPSG_NS1_7vsmem_tEENKUlT_SE_SF_SG_E_clIS8_S8_S9_S9_EESD_ST_SE_SF_SG_EUlST_E_NS1_11comp_targetILNS1_3genE4ELNS1_11target_archE910ELNS1_3gpuE8ELNS1_3repE0EEENS1_48merge_mergepath_partition_config_static_selectorELNS0_4arch9wavefront6targetE1EEEvSF_
    .private_segment_fixed_size: 0
    .sgpr_count:     12
    .sgpr_spill_count: 0
    .symbol:         _ZN7rocprim17ROCPRIM_400000_NS6detail17trampoline_kernelINS0_14default_configENS1_38merge_sort_block_merge_config_selectorIxNS0_10empty_typeEEEZZNS1_27merge_sort_block_merge_implIS3_PxPS5_jNS1_19radix_merge_compareILb1ELb0ExNS0_19identity_decomposerEEEEE10hipError_tT0_T1_T2_jT3_P12ihipStream_tbPNSt15iterator_traitsISE_E10value_typeEPNSK_ISF_E10value_typeEPSG_NS1_7vsmem_tEENKUlT_SE_SF_SG_E_clIS8_S8_S9_S9_EESD_ST_SE_SF_SG_EUlST_E_NS1_11comp_targetILNS1_3genE4ELNS1_11target_archE910ELNS1_3gpuE8ELNS1_3repE0EEENS1_48merge_mergepath_partition_config_static_selectorELNS0_4arch9wavefront6targetE1EEEvSF_.kd
    .uniform_work_group_size: 1
    .uses_dynamic_stack: false
    .vgpr_count:     20
    .vgpr_spill_count: 0
    .wavefront_size: 64
  - .agpr_count:     0
    .args:
      - .offset:         0
        .size:           40
        .value_kind:     by_value
    .group_segment_fixed_size: 0
    .kernarg_segment_align: 8
    .kernarg_segment_size: 40
    .language:       OpenCL C
    .language_version:
      - 2
      - 0
    .max_flat_workgroup_size: 128
    .name:           _ZN7rocprim17ROCPRIM_400000_NS6detail17trampoline_kernelINS0_14default_configENS1_38merge_sort_block_merge_config_selectorIxNS0_10empty_typeEEEZZNS1_27merge_sort_block_merge_implIS3_PxPS5_jNS1_19radix_merge_compareILb1ELb0ExNS0_19identity_decomposerEEEEE10hipError_tT0_T1_T2_jT3_P12ihipStream_tbPNSt15iterator_traitsISE_E10value_typeEPNSK_ISF_E10value_typeEPSG_NS1_7vsmem_tEENKUlT_SE_SF_SG_E_clIS8_S8_S9_S9_EESD_ST_SE_SF_SG_EUlST_E_NS1_11comp_targetILNS1_3genE3ELNS1_11target_archE908ELNS1_3gpuE7ELNS1_3repE0EEENS1_48merge_mergepath_partition_config_static_selectorELNS0_4arch9wavefront6targetE1EEEvSF_
    .private_segment_fixed_size: 0
    .sgpr_count:     4
    .sgpr_spill_count: 0
    .symbol:         _ZN7rocprim17ROCPRIM_400000_NS6detail17trampoline_kernelINS0_14default_configENS1_38merge_sort_block_merge_config_selectorIxNS0_10empty_typeEEEZZNS1_27merge_sort_block_merge_implIS3_PxPS5_jNS1_19radix_merge_compareILb1ELb0ExNS0_19identity_decomposerEEEEE10hipError_tT0_T1_T2_jT3_P12ihipStream_tbPNSt15iterator_traitsISE_E10value_typeEPNSK_ISF_E10value_typeEPSG_NS1_7vsmem_tEENKUlT_SE_SF_SG_E_clIS8_S8_S9_S9_EESD_ST_SE_SF_SG_EUlST_E_NS1_11comp_targetILNS1_3genE3ELNS1_11target_archE908ELNS1_3gpuE7ELNS1_3repE0EEENS1_48merge_mergepath_partition_config_static_selectorELNS0_4arch9wavefront6targetE1EEEvSF_.kd
    .uniform_work_group_size: 1
    .uses_dynamic_stack: false
    .vgpr_count:     0
    .vgpr_spill_count: 0
    .wavefront_size: 64
  - .agpr_count:     0
    .args:
      - .offset:         0
        .size:           40
        .value_kind:     by_value
    .group_segment_fixed_size: 0
    .kernarg_segment_align: 8
    .kernarg_segment_size: 40
    .language:       OpenCL C
    .language_version:
      - 2
      - 0
    .max_flat_workgroup_size: 128
    .name:           _ZN7rocprim17ROCPRIM_400000_NS6detail17trampoline_kernelINS0_14default_configENS1_38merge_sort_block_merge_config_selectorIxNS0_10empty_typeEEEZZNS1_27merge_sort_block_merge_implIS3_PxPS5_jNS1_19radix_merge_compareILb1ELb0ExNS0_19identity_decomposerEEEEE10hipError_tT0_T1_T2_jT3_P12ihipStream_tbPNSt15iterator_traitsISE_E10value_typeEPNSK_ISF_E10value_typeEPSG_NS1_7vsmem_tEENKUlT_SE_SF_SG_E_clIS8_S8_S9_S9_EESD_ST_SE_SF_SG_EUlST_E_NS1_11comp_targetILNS1_3genE2ELNS1_11target_archE906ELNS1_3gpuE6ELNS1_3repE0EEENS1_48merge_mergepath_partition_config_static_selectorELNS0_4arch9wavefront6targetE1EEEvSF_
    .private_segment_fixed_size: 0
    .sgpr_count:     4
    .sgpr_spill_count: 0
    .symbol:         _ZN7rocprim17ROCPRIM_400000_NS6detail17trampoline_kernelINS0_14default_configENS1_38merge_sort_block_merge_config_selectorIxNS0_10empty_typeEEEZZNS1_27merge_sort_block_merge_implIS3_PxPS5_jNS1_19radix_merge_compareILb1ELb0ExNS0_19identity_decomposerEEEEE10hipError_tT0_T1_T2_jT3_P12ihipStream_tbPNSt15iterator_traitsISE_E10value_typeEPNSK_ISF_E10value_typeEPSG_NS1_7vsmem_tEENKUlT_SE_SF_SG_E_clIS8_S8_S9_S9_EESD_ST_SE_SF_SG_EUlST_E_NS1_11comp_targetILNS1_3genE2ELNS1_11target_archE906ELNS1_3gpuE6ELNS1_3repE0EEENS1_48merge_mergepath_partition_config_static_selectorELNS0_4arch9wavefront6targetE1EEEvSF_.kd
    .uniform_work_group_size: 1
    .uses_dynamic_stack: false
    .vgpr_count:     0
    .vgpr_spill_count: 0
    .wavefront_size: 64
  - .agpr_count:     0
    .args:
      - .offset:         0
        .size:           40
        .value_kind:     by_value
    .group_segment_fixed_size: 0
    .kernarg_segment_align: 8
    .kernarg_segment_size: 40
    .language:       OpenCL C
    .language_version:
      - 2
      - 0
    .max_flat_workgroup_size: 128
    .name:           _ZN7rocprim17ROCPRIM_400000_NS6detail17trampoline_kernelINS0_14default_configENS1_38merge_sort_block_merge_config_selectorIxNS0_10empty_typeEEEZZNS1_27merge_sort_block_merge_implIS3_PxPS5_jNS1_19radix_merge_compareILb1ELb0ExNS0_19identity_decomposerEEEEE10hipError_tT0_T1_T2_jT3_P12ihipStream_tbPNSt15iterator_traitsISE_E10value_typeEPNSK_ISF_E10value_typeEPSG_NS1_7vsmem_tEENKUlT_SE_SF_SG_E_clIS8_S8_S9_S9_EESD_ST_SE_SF_SG_EUlST_E_NS1_11comp_targetILNS1_3genE9ELNS1_11target_archE1100ELNS1_3gpuE3ELNS1_3repE0EEENS1_48merge_mergepath_partition_config_static_selectorELNS0_4arch9wavefront6targetE1EEEvSF_
    .private_segment_fixed_size: 0
    .sgpr_count:     4
    .sgpr_spill_count: 0
    .symbol:         _ZN7rocprim17ROCPRIM_400000_NS6detail17trampoline_kernelINS0_14default_configENS1_38merge_sort_block_merge_config_selectorIxNS0_10empty_typeEEEZZNS1_27merge_sort_block_merge_implIS3_PxPS5_jNS1_19radix_merge_compareILb1ELb0ExNS0_19identity_decomposerEEEEE10hipError_tT0_T1_T2_jT3_P12ihipStream_tbPNSt15iterator_traitsISE_E10value_typeEPNSK_ISF_E10value_typeEPSG_NS1_7vsmem_tEENKUlT_SE_SF_SG_E_clIS8_S8_S9_S9_EESD_ST_SE_SF_SG_EUlST_E_NS1_11comp_targetILNS1_3genE9ELNS1_11target_archE1100ELNS1_3gpuE3ELNS1_3repE0EEENS1_48merge_mergepath_partition_config_static_selectorELNS0_4arch9wavefront6targetE1EEEvSF_.kd
    .uniform_work_group_size: 1
    .uses_dynamic_stack: false
    .vgpr_count:     0
    .vgpr_spill_count: 0
    .wavefront_size: 64
  - .agpr_count:     0
    .args:
      - .offset:         0
        .size:           40
        .value_kind:     by_value
    .group_segment_fixed_size: 0
    .kernarg_segment_align: 8
    .kernarg_segment_size: 40
    .language:       OpenCL C
    .language_version:
      - 2
      - 0
    .max_flat_workgroup_size: 128
    .name:           _ZN7rocprim17ROCPRIM_400000_NS6detail17trampoline_kernelINS0_14default_configENS1_38merge_sort_block_merge_config_selectorIxNS0_10empty_typeEEEZZNS1_27merge_sort_block_merge_implIS3_PxPS5_jNS1_19radix_merge_compareILb1ELb0ExNS0_19identity_decomposerEEEEE10hipError_tT0_T1_T2_jT3_P12ihipStream_tbPNSt15iterator_traitsISE_E10value_typeEPNSK_ISF_E10value_typeEPSG_NS1_7vsmem_tEENKUlT_SE_SF_SG_E_clIS8_S8_S9_S9_EESD_ST_SE_SF_SG_EUlST_E_NS1_11comp_targetILNS1_3genE8ELNS1_11target_archE1030ELNS1_3gpuE2ELNS1_3repE0EEENS1_48merge_mergepath_partition_config_static_selectorELNS0_4arch9wavefront6targetE1EEEvSF_
    .private_segment_fixed_size: 0
    .sgpr_count:     4
    .sgpr_spill_count: 0
    .symbol:         _ZN7rocprim17ROCPRIM_400000_NS6detail17trampoline_kernelINS0_14default_configENS1_38merge_sort_block_merge_config_selectorIxNS0_10empty_typeEEEZZNS1_27merge_sort_block_merge_implIS3_PxPS5_jNS1_19radix_merge_compareILb1ELb0ExNS0_19identity_decomposerEEEEE10hipError_tT0_T1_T2_jT3_P12ihipStream_tbPNSt15iterator_traitsISE_E10value_typeEPNSK_ISF_E10value_typeEPSG_NS1_7vsmem_tEENKUlT_SE_SF_SG_E_clIS8_S8_S9_S9_EESD_ST_SE_SF_SG_EUlST_E_NS1_11comp_targetILNS1_3genE8ELNS1_11target_archE1030ELNS1_3gpuE2ELNS1_3repE0EEENS1_48merge_mergepath_partition_config_static_selectorELNS0_4arch9wavefront6targetE1EEEvSF_.kd
    .uniform_work_group_size: 1
    .uses_dynamic_stack: false
    .vgpr_count:     0
    .vgpr_spill_count: 0
    .wavefront_size: 64
  - .agpr_count:     0
    .args:
      - .offset:         0
        .size:           64
        .value_kind:     by_value
    .group_segment_fixed_size: 0
    .kernarg_segment_align: 8
    .kernarg_segment_size: 64
    .language:       OpenCL C
    .language_version:
      - 2
      - 0
    .max_flat_workgroup_size: 128
    .name:           _ZN7rocprim17ROCPRIM_400000_NS6detail17trampoline_kernelINS0_14default_configENS1_38merge_sort_block_merge_config_selectorIxNS0_10empty_typeEEEZZNS1_27merge_sort_block_merge_implIS3_PxPS5_jNS1_19radix_merge_compareILb1ELb0ExNS0_19identity_decomposerEEEEE10hipError_tT0_T1_T2_jT3_P12ihipStream_tbPNSt15iterator_traitsISE_E10value_typeEPNSK_ISF_E10value_typeEPSG_NS1_7vsmem_tEENKUlT_SE_SF_SG_E_clIS8_S8_S9_S9_EESD_ST_SE_SF_SG_EUlST_E0_NS1_11comp_targetILNS1_3genE0ELNS1_11target_archE4294967295ELNS1_3gpuE0ELNS1_3repE0EEENS1_38merge_mergepath_config_static_selectorELNS0_4arch9wavefront6targetE1EEEvSF_
    .private_segment_fixed_size: 0
    .sgpr_count:     4
    .sgpr_spill_count: 0
    .symbol:         _ZN7rocprim17ROCPRIM_400000_NS6detail17trampoline_kernelINS0_14default_configENS1_38merge_sort_block_merge_config_selectorIxNS0_10empty_typeEEEZZNS1_27merge_sort_block_merge_implIS3_PxPS5_jNS1_19radix_merge_compareILb1ELb0ExNS0_19identity_decomposerEEEEE10hipError_tT0_T1_T2_jT3_P12ihipStream_tbPNSt15iterator_traitsISE_E10value_typeEPNSK_ISF_E10value_typeEPSG_NS1_7vsmem_tEENKUlT_SE_SF_SG_E_clIS8_S8_S9_S9_EESD_ST_SE_SF_SG_EUlST_E0_NS1_11comp_targetILNS1_3genE0ELNS1_11target_archE4294967295ELNS1_3gpuE0ELNS1_3repE0EEENS1_38merge_mergepath_config_static_selectorELNS0_4arch9wavefront6targetE1EEEvSF_.kd
    .uniform_work_group_size: 1
    .uses_dynamic_stack: false
    .vgpr_count:     0
    .vgpr_spill_count: 0
    .wavefront_size: 64
  - .agpr_count:     0
    .args:
      - .offset:         0
        .size:           64
        .value_kind:     by_value
    .group_segment_fixed_size: 0
    .kernarg_segment_align: 8
    .kernarg_segment_size: 64
    .language:       OpenCL C
    .language_version:
      - 2
      - 0
    .max_flat_workgroup_size: 512
    .name:           _ZN7rocprim17ROCPRIM_400000_NS6detail17trampoline_kernelINS0_14default_configENS1_38merge_sort_block_merge_config_selectorIxNS0_10empty_typeEEEZZNS1_27merge_sort_block_merge_implIS3_PxPS5_jNS1_19radix_merge_compareILb1ELb0ExNS0_19identity_decomposerEEEEE10hipError_tT0_T1_T2_jT3_P12ihipStream_tbPNSt15iterator_traitsISE_E10value_typeEPNSK_ISF_E10value_typeEPSG_NS1_7vsmem_tEENKUlT_SE_SF_SG_E_clIS8_S8_S9_S9_EESD_ST_SE_SF_SG_EUlST_E0_NS1_11comp_targetILNS1_3genE10ELNS1_11target_archE1201ELNS1_3gpuE5ELNS1_3repE0EEENS1_38merge_mergepath_config_static_selectorELNS0_4arch9wavefront6targetE1EEEvSF_
    .private_segment_fixed_size: 0
    .sgpr_count:     4
    .sgpr_spill_count: 0
    .symbol:         _ZN7rocprim17ROCPRIM_400000_NS6detail17trampoline_kernelINS0_14default_configENS1_38merge_sort_block_merge_config_selectorIxNS0_10empty_typeEEEZZNS1_27merge_sort_block_merge_implIS3_PxPS5_jNS1_19radix_merge_compareILb1ELb0ExNS0_19identity_decomposerEEEEE10hipError_tT0_T1_T2_jT3_P12ihipStream_tbPNSt15iterator_traitsISE_E10value_typeEPNSK_ISF_E10value_typeEPSG_NS1_7vsmem_tEENKUlT_SE_SF_SG_E_clIS8_S8_S9_S9_EESD_ST_SE_SF_SG_EUlST_E0_NS1_11comp_targetILNS1_3genE10ELNS1_11target_archE1201ELNS1_3gpuE5ELNS1_3repE0EEENS1_38merge_mergepath_config_static_selectorELNS0_4arch9wavefront6targetE1EEEvSF_.kd
    .uniform_work_group_size: 1
    .uses_dynamic_stack: false
    .vgpr_count:     0
    .vgpr_spill_count: 0
    .wavefront_size: 64
  - .agpr_count:     0
    .args:
      - .offset:         0
        .size:           64
        .value_kind:     by_value
    .group_segment_fixed_size: 0
    .kernarg_segment_align: 8
    .kernarg_segment_size: 64
    .language:       OpenCL C
    .language_version:
      - 2
      - 0
    .max_flat_workgroup_size: 128
    .name:           _ZN7rocprim17ROCPRIM_400000_NS6detail17trampoline_kernelINS0_14default_configENS1_38merge_sort_block_merge_config_selectorIxNS0_10empty_typeEEEZZNS1_27merge_sort_block_merge_implIS3_PxPS5_jNS1_19radix_merge_compareILb1ELb0ExNS0_19identity_decomposerEEEEE10hipError_tT0_T1_T2_jT3_P12ihipStream_tbPNSt15iterator_traitsISE_E10value_typeEPNSK_ISF_E10value_typeEPSG_NS1_7vsmem_tEENKUlT_SE_SF_SG_E_clIS8_S8_S9_S9_EESD_ST_SE_SF_SG_EUlST_E0_NS1_11comp_targetILNS1_3genE5ELNS1_11target_archE942ELNS1_3gpuE9ELNS1_3repE0EEENS1_38merge_mergepath_config_static_selectorELNS0_4arch9wavefront6targetE1EEEvSF_
    .private_segment_fixed_size: 0
    .sgpr_count:     4
    .sgpr_spill_count: 0
    .symbol:         _ZN7rocprim17ROCPRIM_400000_NS6detail17trampoline_kernelINS0_14default_configENS1_38merge_sort_block_merge_config_selectorIxNS0_10empty_typeEEEZZNS1_27merge_sort_block_merge_implIS3_PxPS5_jNS1_19radix_merge_compareILb1ELb0ExNS0_19identity_decomposerEEEEE10hipError_tT0_T1_T2_jT3_P12ihipStream_tbPNSt15iterator_traitsISE_E10value_typeEPNSK_ISF_E10value_typeEPSG_NS1_7vsmem_tEENKUlT_SE_SF_SG_E_clIS8_S8_S9_S9_EESD_ST_SE_SF_SG_EUlST_E0_NS1_11comp_targetILNS1_3genE5ELNS1_11target_archE942ELNS1_3gpuE9ELNS1_3repE0EEENS1_38merge_mergepath_config_static_selectorELNS0_4arch9wavefront6targetE1EEEvSF_.kd
    .uniform_work_group_size: 1
    .uses_dynamic_stack: false
    .vgpr_count:     0
    .vgpr_spill_count: 0
    .wavefront_size: 64
  - .agpr_count:     0
    .args:
      - .offset:         0
        .size:           64
        .value_kind:     by_value
      - .offset:         64
        .size:           4
        .value_kind:     hidden_block_count_x
      - .offset:         68
        .size:           4
        .value_kind:     hidden_block_count_y
      - .offset:         72
        .size:           4
        .value_kind:     hidden_block_count_z
      - .offset:         76
        .size:           2
        .value_kind:     hidden_group_size_x
      - .offset:         78
        .size:           2
        .value_kind:     hidden_group_size_y
      - .offset:         80
        .size:           2
        .value_kind:     hidden_group_size_z
      - .offset:         82
        .size:           2
        .value_kind:     hidden_remainder_x
      - .offset:         84
        .size:           2
        .value_kind:     hidden_remainder_y
      - .offset:         86
        .size:           2
        .value_kind:     hidden_remainder_z
      - .offset:         104
        .size:           8
        .value_kind:     hidden_global_offset_x
      - .offset:         112
        .size:           8
        .value_kind:     hidden_global_offset_y
      - .offset:         120
        .size:           8
        .value_kind:     hidden_global_offset_z
      - .offset:         128
        .size:           2
        .value_kind:     hidden_grid_dims
    .group_segment_fixed_size: 8448
    .kernarg_segment_align: 8
    .kernarg_segment_size: 320
    .language:       OpenCL C
    .language_version:
      - 2
      - 0
    .max_flat_workgroup_size: 256
    .name:           _ZN7rocprim17ROCPRIM_400000_NS6detail17trampoline_kernelINS0_14default_configENS1_38merge_sort_block_merge_config_selectorIxNS0_10empty_typeEEEZZNS1_27merge_sort_block_merge_implIS3_PxPS5_jNS1_19radix_merge_compareILb1ELb0ExNS0_19identity_decomposerEEEEE10hipError_tT0_T1_T2_jT3_P12ihipStream_tbPNSt15iterator_traitsISE_E10value_typeEPNSK_ISF_E10value_typeEPSG_NS1_7vsmem_tEENKUlT_SE_SF_SG_E_clIS8_S8_S9_S9_EESD_ST_SE_SF_SG_EUlST_E0_NS1_11comp_targetILNS1_3genE4ELNS1_11target_archE910ELNS1_3gpuE8ELNS1_3repE0EEENS1_38merge_mergepath_config_static_selectorELNS0_4arch9wavefront6targetE1EEEvSF_
    .private_segment_fixed_size: 0
    .sgpr_count:     27
    .sgpr_spill_count: 0
    .symbol:         _ZN7rocprim17ROCPRIM_400000_NS6detail17trampoline_kernelINS0_14default_configENS1_38merge_sort_block_merge_config_selectorIxNS0_10empty_typeEEEZZNS1_27merge_sort_block_merge_implIS3_PxPS5_jNS1_19radix_merge_compareILb1ELb0ExNS0_19identity_decomposerEEEEE10hipError_tT0_T1_T2_jT3_P12ihipStream_tbPNSt15iterator_traitsISE_E10value_typeEPNSK_ISF_E10value_typeEPSG_NS1_7vsmem_tEENKUlT_SE_SF_SG_E_clIS8_S8_S9_S9_EESD_ST_SE_SF_SG_EUlST_E0_NS1_11comp_targetILNS1_3genE4ELNS1_11target_archE910ELNS1_3gpuE8ELNS1_3repE0EEENS1_38merge_mergepath_config_static_selectorELNS0_4arch9wavefront6targetE1EEEvSF_.kd
    .uniform_work_group_size: 1
    .uses_dynamic_stack: false
    .vgpr_count:     21
    .vgpr_spill_count: 0
    .wavefront_size: 64
  - .agpr_count:     0
    .args:
      - .offset:         0
        .size:           64
        .value_kind:     by_value
    .group_segment_fixed_size: 0
    .kernarg_segment_align: 8
    .kernarg_segment_size: 64
    .language:       OpenCL C
    .language_version:
      - 2
      - 0
    .max_flat_workgroup_size: 128
    .name:           _ZN7rocprim17ROCPRIM_400000_NS6detail17trampoline_kernelINS0_14default_configENS1_38merge_sort_block_merge_config_selectorIxNS0_10empty_typeEEEZZNS1_27merge_sort_block_merge_implIS3_PxPS5_jNS1_19radix_merge_compareILb1ELb0ExNS0_19identity_decomposerEEEEE10hipError_tT0_T1_T2_jT3_P12ihipStream_tbPNSt15iterator_traitsISE_E10value_typeEPNSK_ISF_E10value_typeEPSG_NS1_7vsmem_tEENKUlT_SE_SF_SG_E_clIS8_S8_S9_S9_EESD_ST_SE_SF_SG_EUlST_E0_NS1_11comp_targetILNS1_3genE3ELNS1_11target_archE908ELNS1_3gpuE7ELNS1_3repE0EEENS1_38merge_mergepath_config_static_selectorELNS0_4arch9wavefront6targetE1EEEvSF_
    .private_segment_fixed_size: 0
    .sgpr_count:     4
    .sgpr_spill_count: 0
    .symbol:         _ZN7rocprim17ROCPRIM_400000_NS6detail17trampoline_kernelINS0_14default_configENS1_38merge_sort_block_merge_config_selectorIxNS0_10empty_typeEEEZZNS1_27merge_sort_block_merge_implIS3_PxPS5_jNS1_19radix_merge_compareILb1ELb0ExNS0_19identity_decomposerEEEEE10hipError_tT0_T1_T2_jT3_P12ihipStream_tbPNSt15iterator_traitsISE_E10value_typeEPNSK_ISF_E10value_typeEPSG_NS1_7vsmem_tEENKUlT_SE_SF_SG_E_clIS8_S8_S9_S9_EESD_ST_SE_SF_SG_EUlST_E0_NS1_11comp_targetILNS1_3genE3ELNS1_11target_archE908ELNS1_3gpuE7ELNS1_3repE0EEENS1_38merge_mergepath_config_static_selectorELNS0_4arch9wavefront6targetE1EEEvSF_.kd
    .uniform_work_group_size: 1
    .uses_dynamic_stack: false
    .vgpr_count:     0
    .vgpr_spill_count: 0
    .wavefront_size: 64
  - .agpr_count:     0
    .args:
      - .offset:         0
        .size:           64
        .value_kind:     by_value
    .group_segment_fixed_size: 0
    .kernarg_segment_align: 8
    .kernarg_segment_size: 64
    .language:       OpenCL C
    .language_version:
      - 2
      - 0
    .max_flat_workgroup_size: 256
    .name:           _ZN7rocprim17ROCPRIM_400000_NS6detail17trampoline_kernelINS0_14default_configENS1_38merge_sort_block_merge_config_selectorIxNS0_10empty_typeEEEZZNS1_27merge_sort_block_merge_implIS3_PxPS5_jNS1_19radix_merge_compareILb1ELb0ExNS0_19identity_decomposerEEEEE10hipError_tT0_T1_T2_jT3_P12ihipStream_tbPNSt15iterator_traitsISE_E10value_typeEPNSK_ISF_E10value_typeEPSG_NS1_7vsmem_tEENKUlT_SE_SF_SG_E_clIS8_S8_S9_S9_EESD_ST_SE_SF_SG_EUlST_E0_NS1_11comp_targetILNS1_3genE2ELNS1_11target_archE906ELNS1_3gpuE6ELNS1_3repE0EEENS1_38merge_mergepath_config_static_selectorELNS0_4arch9wavefront6targetE1EEEvSF_
    .private_segment_fixed_size: 0
    .sgpr_count:     4
    .sgpr_spill_count: 0
    .symbol:         _ZN7rocprim17ROCPRIM_400000_NS6detail17trampoline_kernelINS0_14default_configENS1_38merge_sort_block_merge_config_selectorIxNS0_10empty_typeEEEZZNS1_27merge_sort_block_merge_implIS3_PxPS5_jNS1_19radix_merge_compareILb1ELb0ExNS0_19identity_decomposerEEEEE10hipError_tT0_T1_T2_jT3_P12ihipStream_tbPNSt15iterator_traitsISE_E10value_typeEPNSK_ISF_E10value_typeEPSG_NS1_7vsmem_tEENKUlT_SE_SF_SG_E_clIS8_S8_S9_S9_EESD_ST_SE_SF_SG_EUlST_E0_NS1_11comp_targetILNS1_3genE2ELNS1_11target_archE906ELNS1_3gpuE6ELNS1_3repE0EEENS1_38merge_mergepath_config_static_selectorELNS0_4arch9wavefront6targetE1EEEvSF_.kd
    .uniform_work_group_size: 1
    .uses_dynamic_stack: false
    .vgpr_count:     0
    .vgpr_spill_count: 0
    .wavefront_size: 64
  - .agpr_count:     0
    .args:
      - .offset:         0
        .size:           64
        .value_kind:     by_value
    .group_segment_fixed_size: 0
    .kernarg_segment_align: 8
    .kernarg_segment_size: 64
    .language:       OpenCL C
    .language_version:
      - 2
      - 0
    .max_flat_workgroup_size: 512
    .name:           _ZN7rocprim17ROCPRIM_400000_NS6detail17trampoline_kernelINS0_14default_configENS1_38merge_sort_block_merge_config_selectorIxNS0_10empty_typeEEEZZNS1_27merge_sort_block_merge_implIS3_PxPS5_jNS1_19radix_merge_compareILb1ELb0ExNS0_19identity_decomposerEEEEE10hipError_tT0_T1_T2_jT3_P12ihipStream_tbPNSt15iterator_traitsISE_E10value_typeEPNSK_ISF_E10value_typeEPSG_NS1_7vsmem_tEENKUlT_SE_SF_SG_E_clIS8_S8_S9_S9_EESD_ST_SE_SF_SG_EUlST_E0_NS1_11comp_targetILNS1_3genE9ELNS1_11target_archE1100ELNS1_3gpuE3ELNS1_3repE0EEENS1_38merge_mergepath_config_static_selectorELNS0_4arch9wavefront6targetE1EEEvSF_
    .private_segment_fixed_size: 0
    .sgpr_count:     4
    .sgpr_spill_count: 0
    .symbol:         _ZN7rocprim17ROCPRIM_400000_NS6detail17trampoline_kernelINS0_14default_configENS1_38merge_sort_block_merge_config_selectorIxNS0_10empty_typeEEEZZNS1_27merge_sort_block_merge_implIS3_PxPS5_jNS1_19radix_merge_compareILb1ELb0ExNS0_19identity_decomposerEEEEE10hipError_tT0_T1_T2_jT3_P12ihipStream_tbPNSt15iterator_traitsISE_E10value_typeEPNSK_ISF_E10value_typeEPSG_NS1_7vsmem_tEENKUlT_SE_SF_SG_E_clIS8_S8_S9_S9_EESD_ST_SE_SF_SG_EUlST_E0_NS1_11comp_targetILNS1_3genE9ELNS1_11target_archE1100ELNS1_3gpuE3ELNS1_3repE0EEENS1_38merge_mergepath_config_static_selectorELNS0_4arch9wavefront6targetE1EEEvSF_.kd
    .uniform_work_group_size: 1
    .uses_dynamic_stack: false
    .vgpr_count:     0
    .vgpr_spill_count: 0
    .wavefront_size: 64
  - .agpr_count:     0
    .args:
      - .offset:         0
        .size:           64
        .value_kind:     by_value
    .group_segment_fixed_size: 0
    .kernarg_segment_align: 8
    .kernarg_segment_size: 64
    .language:       OpenCL C
    .language_version:
      - 2
      - 0
    .max_flat_workgroup_size: 1024
    .name:           _ZN7rocprim17ROCPRIM_400000_NS6detail17trampoline_kernelINS0_14default_configENS1_38merge_sort_block_merge_config_selectorIxNS0_10empty_typeEEEZZNS1_27merge_sort_block_merge_implIS3_PxPS5_jNS1_19radix_merge_compareILb1ELb0ExNS0_19identity_decomposerEEEEE10hipError_tT0_T1_T2_jT3_P12ihipStream_tbPNSt15iterator_traitsISE_E10value_typeEPNSK_ISF_E10value_typeEPSG_NS1_7vsmem_tEENKUlT_SE_SF_SG_E_clIS8_S8_S9_S9_EESD_ST_SE_SF_SG_EUlST_E0_NS1_11comp_targetILNS1_3genE8ELNS1_11target_archE1030ELNS1_3gpuE2ELNS1_3repE0EEENS1_38merge_mergepath_config_static_selectorELNS0_4arch9wavefront6targetE1EEEvSF_
    .private_segment_fixed_size: 0
    .sgpr_count:     4
    .sgpr_spill_count: 0
    .symbol:         _ZN7rocprim17ROCPRIM_400000_NS6detail17trampoline_kernelINS0_14default_configENS1_38merge_sort_block_merge_config_selectorIxNS0_10empty_typeEEEZZNS1_27merge_sort_block_merge_implIS3_PxPS5_jNS1_19radix_merge_compareILb1ELb0ExNS0_19identity_decomposerEEEEE10hipError_tT0_T1_T2_jT3_P12ihipStream_tbPNSt15iterator_traitsISE_E10value_typeEPNSK_ISF_E10value_typeEPSG_NS1_7vsmem_tEENKUlT_SE_SF_SG_E_clIS8_S8_S9_S9_EESD_ST_SE_SF_SG_EUlST_E0_NS1_11comp_targetILNS1_3genE8ELNS1_11target_archE1030ELNS1_3gpuE2ELNS1_3repE0EEENS1_38merge_mergepath_config_static_selectorELNS0_4arch9wavefront6targetE1EEEvSF_.kd
    .uniform_work_group_size: 1
    .uses_dynamic_stack: false
    .vgpr_count:     0
    .vgpr_spill_count: 0
    .wavefront_size: 64
  - .agpr_count:     0
    .args:
      - .offset:         0
        .size:           48
        .value_kind:     by_value
    .group_segment_fixed_size: 0
    .kernarg_segment_align: 8
    .kernarg_segment_size: 48
    .language:       OpenCL C
    .language_version:
      - 2
      - 0
    .max_flat_workgroup_size: 256
    .name:           _ZN7rocprim17ROCPRIM_400000_NS6detail17trampoline_kernelINS0_14default_configENS1_38merge_sort_block_merge_config_selectorIxNS0_10empty_typeEEEZZNS1_27merge_sort_block_merge_implIS3_PxPS5_jNS1_19radix_merge_compareILb1ELb0ExNS0_19identity_decomposerEEEEE10hipError_tT0_T1_T2_jT3_P12ihipStream_tbPNSt15iterator_traitsISE_E10value_typeEPNSK_ISF_E10value_typeEPSG_NS1_7vsmem_tEENKUlT_SE_SF_SG_E_clIS8_S8_S9_S9_EESD_ST_SE_SF_SG_EUlST_E1_NS1_11comp_targetILNS1_3genE0ELNS1_11target_archE4294967295ELNS1_3gpuE0ELNS1_3repE0EEENS1_36merge_oddeven_config_static_selectorELNS0_4arch9wavefront6targetE1EEEvSF_
    .private_segment_fixed_size: 0
    .sgpr_count:     4
    .sgpr_spill_count: 0
    .symbol:         _ZN7rocprim17ROCPRIM_400000_NS6detail17trampoline_kernelINS0_14default_configENS1_38merge_sort_block_merge_config_selectorIxNS0_10empty_typeEEEZZNS1_27merge_sort_block_merge_implIS3_PxPS5_jNS1_19radix_merge_compareILb1ELb0ExNS0_19identity_decomposerEEEEE10hipError_tT0_T1_T2_jT3_P12ihipStream_tbPNSt15iterator_traitsISE_E10value_typeEPNSK_ISF_E10value_typeEPSG_NS1_7vsmem_tEENKUlT_SE_SF_SG_E_clIS8_S8_S9_S9_EESD_ST_SE_SF_SG_EUlST_E1_NS1_11comp_targetILNS1_3genE0ELNS1_11target_archE4294967295ELNS1_3gpuE0ELNS1_3repE0EEENS1_36merge_oddeven_config_static_selectorELNS0_4arch9wavefront6targetE1EEEvSF_.kd
    .uniform_work_group_size: 1
    .uses_dynamic_stack: false
    .vgpr_count:     0
    .vgpr_spill_count: 0
    .wavefront_size: 64
  - .agpr_count:     0
    .args:
      - .offset:         0
        .size:           48
        .value_kind:     by_value
    .group_segment_fixed_size: 0
    .kernarg_segment_align: 8
    .kernarg_segment_size: 48
    .language:       OpenCL C
    .language_version:
      - 2
      - 0
    .max_flat_workgroup_size: 256
    .name:           _ZN7rocprim17ROCPRIM_400000_NS6detail17trampoline_kernelINS0_14default_configENS1_38merge_sort_block_merge_config_selectorIxNS0_10empty_typeEEEZZNS1_27merge_sort_block_merge_implIS3_PxPS5_jNS1_19radix_merge_compareILb1ELb0ExNS0_19identity_decomposerEEEEE10hipError_tT0_T1_T2_jT3_P12ihipStream_tbPNSt15iterator_traitsISE_E10value_typeEPNSK_ISF_E10value_typeEPSG_NS1_7vsmem_tEENKUlT_SE_SF_SG_E_clIS8_S8_S9_S9_EESD_ST_SE_SF_SG_EUlST_E1_NS1_11comp_targetILNS1_3genE10ELNS1_11target_archE1201ELNS1_3gpuE5ELNS1_3repE0EEENS1_36merge_oddeven_config_static_selectorELNS0_4arch9wavefront6targetE1EEEvSF_
    .private_segment_fixed_size: 0
    .sgpr_count:     4
    .sgpr_spill_count: 0
    .symbol:         _ZN7rocprim17ROCPRIM_400000_NS6detail17trampoline_kernelINS0_14default_configENS1_38merge_sort_block_merge_config_selectorIxNS0_10empty_typeEEEZZNS1_27merge_sort_block_merge_implIS3_PxPS5_jNS1_19radix_merge_compareILb1ELb0ExNS0_19identity_decomposerEEEEE10hipError_tT0_T1_T2_jT3_P12ihipStream_tbPNSt15iterator_traitsISE_E10value_typeEPNSK_ISF_E10value_typeEPSG_NS1_7vsmem_tEENKUlT_SE_SF_SG_E_clIS8_S8_S9_S9_EESD_ST_SE_SF_SG_EUlST_E1_NS1_11comp_targetILNS1_3genE10ELNS1_11target_archE1201ELNS1_3gpuE5ELNS1_3repE0EEENS1_36merge_oddeven_config_static_selectorELNS0_4arch9wavefront6targetE1EEEvSF_.kd
    .uniform_work_group_size: 1
    .uses_dynamic_stack: false
    .vgpr_count:     0
    .vgpr_spill_count: 0
    .wavefront_size: 64
  - .agpr_count:     0
    .args:
      - .offset:         0
        .size:           48
        .value_kind:     by_value
    .group_segment_fixed_size: 0
    .kernarg_segment_align: 8
    .kernarg_segment_size: 48
    .language:       OpenCL C
    .language_version:
      - 2
      - 0
    .max_flat_workgroup_size: 256
    .name:           _ZN7rocprim17ROCPRIM_400000_NS6detail17trampoline_kernelINS0_14default_configENS1_38merge_sort_block_merge_config_selectorIxNS0_10empty_typeEEEZZNS1_27merge_sort_block_merge_implIS3_PxPS5_jNS1_19radix_merge_compareILb1ELb0ExNS0_19identity_decomposerEEEEE10hipError_tT0_T1_T2_jT3_P12ihipStream_tbPNSt15iterator_traitsISE_E10value_typeEPNSK_ISF_E10value_typeEPSG_NS1_7vsmem_tEENKUlT_SE_SF_SG_E_clIS8_S8_S9_S9_EESD_ST_SE_SF_SG_EUlST_E1_NS1_11comp_targetILNS1_3genE5ELNS1_11target_archE942ELNS1_3gpuE9ELNS1_3repE0EEENS1_36merge_oddeven_config_static_selectorELNS0_4arch9wavefront6targetE1EEEvSF_
    .private_segment_fixed_size: 0
    .sgpr_count:     4
    .sgpr_spill_count: 0
    .symbol:         _ZN7rocprim17ROCPRIM_400000_NS6detail17trampoline_kernelINS0_14default_configENS1_38merge_sort_block_merge_config_selectorIxNS0_10empty_typeEEEZZNS1_27merge_sort_block_merge_implIS3_PxPS5_jNS1_19radix_merge_compareILb1ELb0ExNS0_19identity_decomposerEEEEE10hipError_tT0_T1_T2_jT3_P12ihipStream_tbPNSt15iterator_traitsISE_E10value_typeEPNSK_ISF_E10value_typeEPSG_NS1_7vsmem_tEENKUlT_SE_SF_SG_E_clIS8_S8_S9_S9_EESD_ST_SE_SF_SG_EUlST_E1_NS1_11comp_targetILNS1_3genE5ELNS1_11target_archE942ELNS1_3gpuE9ELNS1_3repE0EEENS1_36merge_oddeven_config_static_selectorELNS0_4arch9wavefront6targetE1EEEvSF_.kd
    .uniform_work_group_size: 1
    .uses_dynamic_stack: false
    .vgpr_count:     0
    .vgpr_spill_count: 0
    .wavefront_size: 64
  - .agpr_count:     0
    .args:
      - .offset:         0
        .size:           48
        .value_kind:     by_value
    .group_segment_fixed_size: 0
    .kernarg_segment_align: 8
    .kernarg_segment_size: 48
    .language:       OpenCL C
    .language_version:
      - 2
      - 0
    .max_flat_workgroup_size: 256
    .name:           _ZN7rocprim17ROCPRIM_400000_NS6detail17trampoline_kernelINS0_14default_configENS1_38merge_sort_block_merge_config_selectorIxNS0_10empty_typeEEEZZNS1_27merge_sort_block_merge_implIS3_PxPS5_jNS1_19radix_merge_compareILb1ELb0ExNS0_19identity_decomposerEEEEE10hipError_tT0_T1_T2_jT3_P12ihipStream_tbPNSt15iterator_traitsISE_E10value_typeEPNSK_ISF_E10value_typeEPSG_NS1_7vsmem_tEENKUlT_SE_SF_SG_E_clIS8_S8_S9_S9_EESD_ST_SE_SF_SG_EUlST_E1_NS1_11comp_targetILNS1_3genE4ELNS1_11target_archE910ELNS1_3gpuE8ELNS1_3repE0EEENS1_36merge_oddeven_config_static_selectorELNS0_4arch9wavefront6targetE1EEEvSF_
    .private_segment_fixed_size: 0
    .sgpr_count:     25
    .sgpr_spill_count: 0
    .symbol:         _ZN7rocprim17ROCPRIM_400000_NS6detail17trampoline_kernelINS0_14default_configENS1_38merge_sort_block_merge_config_selectorIxNS0_10empty_typeEEEZZNS1_27merge_sort_block_merge_implIS3_PxPS5_jNS1_19radix_merge_compareILb1ELb0ExNS0_19identity_decomposerEEEEE10hipError_tT0_T1_T2_jT3_P12ihipStream_tbPNSt15iterator_traitsISE_E10value_typeEPNSK_ISF_E10value_typeEPSG_NS1_7vsmem_tEENKUlT_SE_SF_SG_E_clIS8_S8_S9_S9_EESD_ST_SE_SF_SG_EUlST_E1_NS1_11comp_targetILNS1_3genE4ELNS1_11target_archE910ELNS1_3gpuE8ELNS1_3repE0EEENS1_36merge_oddeven_config_static_selectorELNS0_4arch9wavefront6targetE1EEEvSF_.kd
    .uniform_work_group_size: 1
    .uses_dynamic_stack: false
    .vgpr_count:     12
    .vgpr_spill_count: 0
    .wavefront_size: 64
  - .agpr_count:     0
    .args:
      - .offset:         0
        .size:           48
        .value_kind:     by_value
    .group_segment_fixed_size: 0
    .kernarg_segment_align: 8
    .kernarg_segment_size: 48
    .language:       OpenCL C
    .language_version:
      - 2
      - 0
    .max_flat_workgroup_size: 256
    .name:           _ZN7rocprim17ROCPRIM_400000_NS6detail17trampoline_kernelINS0_14default_configENS1_38merge_sort_block_merge_config_selectorIxNS0_10empty_typeEEEZZNS1_27merge_sort_block_merge_implIS3_PxPS5_jNS1_19radix_merge_compareILb1ELb0ExNS0_19identity_decomposerEEEEE10hipError_tT0_T1_T2_jT3_P12ihipStream_tbPNSt15iterator_traitsISE_E10value_typeEPNSK_ISF_E10value_typeEPSG_NS1_7vsmem_tEENKUlT_SE_SF_SG_E_clIS8_S8_S9_S9_EESD_ST_SE_SF_SG_EUlST_E1_NS1_11comp_targetILNS1_3genE3ELNS1_11target_archE908ELNS1_3gpuE7ELNS1_3repE0EEENS1_36merge_oddeven_config_static_selectorELNS0_4arch9wavefront6targetE1EEEvSF_
    .private_segment_fixed_size: 0
    .sgpr_count:     4
    .sgpr_spill_count: 0
    .symbol:         _ZN7rocprim17ROCPRIM_400000_NS6detail17trampoline_kernelINS0_14default_configENS1_38merge_sort_block_merge_config_selectorIxNS0_10empty_typeEEEZZNS1_27merge_sort_block_merge_implIS3_PxPS5_jNS1_19radix_merge_compareILb1ELb0ExNS0_19identity_decomposerEEEEE10hipError_tT0_T1_T2_jT3_P12ihipStream_tbPNSt15iterator_traitsISE_E10value_typeEPNSK_ISF_E10value_typeEPSG_NS1_7vsmem_tEENKUlT_SE_SF_SG_E_clIS8_S8_S9_S9_EESD_ST_SE_SF_SG_EUlST_E1_NS1_11comp_targetILNS1_3genE3ELNS1_11target_archE908ELNS1_3gpuE7ELNS1_3repE0EEENS1_36merge_oddeven_config_static_selectorELNS0_4arch9wavefront6targetE1EEEvSF_.kd
    .uniform_work_group_size: 1
    .uses_dynamic_stack: false
    .vgpr_count:     0
    .vgpr_spill_count: 0
    .wavefront_size: 64
  - .agpr_count:     0
    .args:
      - .offset:         0
        .size:           48
        .value_kind:     by_value
    .group_segment_fixed_size: 0
    .kernarg_segment_align: 8
    .kernarg_segment_size: 48
    .language:       OpenCL C
    .language_version:
      - 2
      - 0
    .max_flat_workgroup_size: 256
    .name:           _ZN7rocprim17ROCPRIM_400000_NS6detail17trampoline_kernelINS0_14default_configENS1_38merge_sort_block_merge_config_selectorIxNS0_10empty_typeEEEZZNS1_27merge_sort_block_merge_implIS3_PxPS5_jNS1_19radix_merge_compareILb1ELb0ExNS0_19identity_decomposerEEEEE10hipError_tT0_T1_T2_jT3_P12ihipStream_tbPNSt15iterator_traitsISE_E10value_typeEPNSK_ISF_E10value_typeEPSG_NS1_7vsmem_tEENKUlT_SE_SF_SG_E_clIS8_S8_S9_S9_EESD_ST_SE_SF_SG_EUlST_E1_NS1_11comp_targetILNS1_3genE2ELNS1_11target_archE906ELNS1_3gpuE6ELNS1_3repE0EEENS1_36merge_oddeven_config_static_selectorELNS0_4arch9wavefront6targetE1EEEvSF_
    .private_segment_fixed_size: 0
    .sgpr_count:     4
    .sgpr_spill_count: 0
    .symbol:         _ZN7rocprim17ROCPRIM_400000_NS6detail17trampoline_kernelINS0_14default_configENS1_38merge_sort_block_merge_config_selectorIxNS0_10empty_typeEEEZZNS1_27merge_sort_block_merge_implIS3_PxPS5_jNS1_19radix_merge_compareILb1ELb0ExNS0_19identity_decomposerEEEEE10hipError_tT0_T1_T2_jT3_P12ihipStream_tbPNSt15iterator_traitsISE_E10value_typeEPNSK_ISF_E10value_typeEPSG_NS1_7vsmem_tEENKUlT_SE_SF_SG_E_clIS8_S8_S9_S9_EESD_ST_SE_SF_SG_EUlST_E1_NS1_11comp_targetILNS1_3genE2ELNS1_11target_archE906ELNS1_3gpuE6ELNS1_3repE0EEENS1_36merge_oddeven_config_static_selectorELNS0_4arch9wavefront6targetE1EEEvSF_.kd
    .uniform_work_group_size: 1
    .uses_dynamic_stack: false
    .vgpr_count:     0
    .vgpr_spill_count: 0
    .wavefront_size: 64
  - .agpr_count:     0
    .args:
      - .offset:         0
        .size:           48
        .value_kind:     by_value
    .group_segment_fixed_size: 0
    .kernarg_segment_align: 8
    .kernarg_segment_size: 48
    .language:       OpenCL C
    .language_version:
      - 2
      - 0
    .max_flat_workgroup_size: 256
    .name:           _ZN7rocprim17ROCPRIM_400000_NS6detail17trampoline_kernelINS0_14default_configENS1_38merge_sort_block_merge_config_selectorIxNS0_10empty_typeEEEZZNS1_27merge_sort_block_merge_implIS3_PxPS5_jNS1_19radix_merge_compareILb1ELb0ExNS0_19identity_decomposerEEEEE10hipError_tT0_T1_T2_jT3_P12ihipStream_tbPNSt15iterator_traitsISE_E10value_typeEPNSK_ISF_E10value_typeEPSG_NS1_7vsmem_tEENKUlT_SE_SF_SG_E_clIS8_S8_S9_S9_EESD_ST_SE_SF_SG_EUlST_E1_NS1_11comp_targetILNS1_3genE9ELNS1_11target_archE1100ELNS1_3gpuE3ELNS1_3repE0EEENS1_36merge_oddeven_config_static_selectorELNS0_4arch9wavefront6targetE1EEEvSF_
    .private_segment_fixed_size: 0
    .sgpr_count:     4
    .sgpr_spill_count: 0
    .symbol:         _ZN7rocprim17ROCPRIM_400000_NS6detail17trampoline_kernelINS0_14default_configENS1_38merge_sort_block_merge_config_selectorIxNS0_10empty_typeEEEZZNS1_27merge_sort_block_merge_implIS3_PxPS5_jNS1_19radix_merge_compareILb1ELb0ExNS0_19identity_decomposerEEEEE10hipError_tT0_T1_T2_jT3_P12ihipStream_tbPNSt15iterator_traitsISE_E10value_typeEPNSK_ISF_E10value_typeEPSG_NS1_7vsmem_tEENKUlT_SE_SF_SG_E_clIS8_S8_S9_S9_EESD_ST_SE_SF_SG_EUlST_E1_NS1_11comp_targetILNS1_3genE9ELNS1_11target_archE1100ELNS1_3gpuE3ELNS1_3repE0EEENS1_36merge_oddeven_config_static_selectorELNS0_4arch9wavefront6targetE1EEEvSF_.kd
    .uniform_work_group_size: 1
    .uses_dynamic_stack: false
    .vgpr_count:     0
    .vgpr_spill_count: 0
    .wavefront_size: 64
  - .agpr_count:     0
    .args:
      - .offset:         0
        .size:           48
        .value_kind:     by_value
    .group_segment_fixed_size: 0
    .kernarg_segment_align: 8
    .kernarg_segment_size: 48
    .language:       OpenCL C
    .language_version:
      - 2
      - 0
    .max_flat_workgroup_size: 256
    .name:           _ZN7rocprim17ROCPRIM_400000_NS6detail17trampoline_kernelINS0_14default_configENS1_38merge_sort_block_merge_config_selectorIxNS0_10empty_typeEEEZZNS1_27merge_sort_block_merge_implIS3_PxPS5_jNS1_19radix_merge_compareILb1ELb0ExNS0_19identity_decomposerEEEEE10hipError_tT0_T1_T2_jT3_P12ihipStream_tbPNSt15iterator_traitsISE_E10value_typeEPNSK_ISF_E10value_typeEPSG_NS1_7vsmem_tEENKUlT_SE_SF_SG_E_clIS8_S8_S9_S9_EESD_ST_SE_SF_SG_EUlST_E1_NS1_11comp_targetILNS1_3genE8ELNS1_11target_archE1030ELNS1_3gpuE2ELNS1_3repE0EEENS1_36merge_oddeven_config_static_selectorELNS0_4arch9wavefront6targetE1EEEvSF_
    .private_segment_fixed_size: 0
    .sgpr_count:     4
    .sgpr_spill_count: 0
    .symbol:         _ZN7rocprim17ROCPRIM_400000_NS6detail17trampoline_kernelINS0_14default_configENS1_38merge_sort_block_merge_config_selectorIxNS0_10empty_typeEEEZZNS1_27merge_sort_block_merge_implIS3_PxPS5_jNS1_19radix_merge_compareILb1ELb0ExNS0_19identity_decomposerEEEEE10hipError_tT0_T1_T2_jT3_P12ihipStream_tbPNSt15iterator_traitsISE_E10value_typeEPNSK_ISF_E10value_typeEPSG_NS1_7vsmem_tEENKUlT_SE_SF_SG_E_clIS8_S8_S9_S9_EESD_ST_SE_SF_SG_EUlST_E1_NS1_11comp_targetILNS1_3genE8ELNS1_11target_archE1030ELNS1_3gpuE2ELNS1_3repE0EEENS1_36merge_oddeven_config_static_selectorELNS0_4arch9wavefront6targetE1EEEvSF_.kd
    .uniform_work_group_size: 1
    .uses_dynamic_stack: false
    .vgpr_count:     0
    .vgpr_spill_count: 0
    .wavefront_size: 64
  - .agpr_count:     0
    .args:
      - .offset:         0
        .size:           40
        .value_kind:     by_value
    .group_segment_fixed_size: 0
    .kernarg_segment_align: 8
    .kernarg_segment_size: 40
    .language:       OpenCL C
    .language_version:
      - 2
      - 0
    .max_flat_workgroup_size: 128
    .name:           _ZN7rocprim17ROCPRIM_400000_NS6detail17trampoline_kernelINS0_14default_configENS1_38merge_sort_block_merge_config_selectorIxNS0_10empty_typeEEEZZNS1_27merge_sort_block_merge_implIS3_PxPS5_jNS1_19radix_merge_compareILb1ELb1ExNS0_19identity_decomposerEEEEE10hipError_tT0_T1_T2_jT3_P12ihipStream_tbPNSt15iterator_traitsISE_E10value_typeEPNSK_ISF_E10value_typeEPSG_NS1_7vsmem_tEENKUlT_SE_SF_SG_E_clIS8_S8_S9_S9_EESD_ST_SE_SF_SG_EUlST_E_NS1_11comp_targetILNS1_3genE0ELNS1_11target_archE4294967295ELNS1_3gpuE0ELNS1_3repE0EEENS1_48merge_mergepath_partition_config_static_selectorELNS0_4arch9wavefront6targetE1EEEvSF_
    .private_segment_fixed_size: 0
    .sgpr_count:     4
    .sgpr_spill_count: 0
    .symbol:         _ZN7rocprim17ROCPRIM_400000_NS6detail17trampoline_kernelINS0_14default_configENS1_38merge_sort_block_merge_config_selectorIxNS0_10empty_typeEEEZZNS1_27merge_sort_block_merge_implIS3_PxPS5_jNS1_19radix_merge_compareILb1ELb1ExNS0_19identity_decomposerEEEEE10hipError_tT0_T1_T2_jT3_P12ihipStream_tbPNSt15iterator_traitsISE_E10value_typeEPNSK_ISF_E10value_typeEPSG_NS1_7vsmem_tEENKUlT_SE_SF_SG_E_clIS8_S8_S9_S9_EESD_ST_SE_SF_SG_EUlST_E_NS1_11comp_targetILNS1_3genE0ELNS1_11target_archE4294967295ELNS1_3gpuE0ELNS1_3repE0EEENS1_48merge_mergepath_partition_config_static_selectorELNS0_4arch9wavefront6targetE1EEEvSF_.kd
    .uniform_work_group_size: 1
    .uses_dynamic_stack: false
    .vgpr_count:     0
    .vgpr_spill_count: 0
    .wavefront_size: 64
  - .agpr_count:     0
    .args:
      - .offset:         0
        .size:           40
        .value_kind:     by_value
    .group_segment_fixed_size: 0
    .kernarg_segment_align: 8
    .kernarg_segment_size: 40
    .language:       OpenCL C
    .language_version:
      - 2
      - 0
    .max_flat_workgroup_size: 128
    .name:           _ZN7rocprim17ROCPRIM_400000_NS6detail17trampoline_kernelINS0_14default_configENS1_38merge_sort_block_merge_config_selectorIxNS0_10empty_typeEEEZZNS1_27merge_sort_block_merge_implIS3_PxPS5_jNS1_19radix_merge_compareILb1ELb1ExNS0_19identity_decomposerEEEEE10hipError_tT0_T1_T2_jT3_P12ihipStream_tbPNSt15iterator_traitsISE_E10value_typeEPNSK_ISF_E10value_typeEPSG_NS1_7vsmem_tEENKUlT_SE_SF_SG_E_clIS8_S8_S9_S9_EESD_ST_SE_SF_SG_EUlST_E_NS1_11comp_targetILNS1_3genE10ELNS1_11target_archE1201ELNS1_3gpuE5ELNS1_3repE0EEENS1_48merge_mergepath_partition_config_static_selectorELNS0_4arch9wavefront6targetE1EEEvSF_
    .private_segment_fixed_size: 0
    .sgpr_count:     4
    .sgpr_spill_count: 0
    .symbol:         _ZN7rocprim17ROCPRIM_400000_NS6detail17trampoline_kernelINS0_14default_configENS1_38merge_sort_block_merge_config_selectorIxNS0_10empty_typeEEEZZNS1_27merge_sort_block_merge_implIS3_PxPS5_jNS1_19radix_merge_compareILb1ELb1ExNS0_19identity_decomposerEEEEE10hipError_tT0_T1_T2_jT3_P12ihipStream_tbPNSt15iterator_traitsISE_E10value_typeEPNSK_ISF_E10value_typeEPSG_NS1_7vsmem_tEENKUlT_SE_SF_SG_E_clIS8_S8_S9_S9_EESD_ST_SE_SF_SG_EUlST_E_NS1_11comp_targetILNS1_3genE10ELNS1_11target_archE1201ELNS1_3gpuE5ELNS1_3repE0EEENS1_48merge_mergepath_partition_config_static_selectorELNS0_4arch9wavefront6targetE1EEEvSF_.kd
    .uniform_work_group_size: 1
    .uses_dynamic_stack: false
    .vgpr_count:     0
    .vgpr_spill_count: 0
    .wavefront_size: 64
  - .agpr_count:     0
    .args:
      - .offset:         0
        .size:           40
        .value_kind:     by_value
    .group_segment_fixed_size: 0
    .kernarg_segment_align: 8
    .kernarg_segment_size: 40
    .language:       OpenCL C
    .language_version:
      - 2
      - 0
    .max_flat_workgroup_size: 128
    .name:           _ZN7rocprim17ROCPRIM_400000_NS6detail17trampoline_kernelINS0_14default_configENS1_38merge_sort_block_merge_config_selectorIxNS0_10empty_typeEEEZZNS1_27merge_sort_block_merge_implIS3_PxPS5_jNS1_19radix_merge_compareILb1ELb1ExNS0_19identity_decomposerEEEEE10hipError_tT0_T1_T2_jT3_P12ihipStream_tbPNSt15iterator_traitsISE_E10value_typeEPNSK_ISF_E10value_typeEPSG_NS1_7vsmem_tEENKUlT_SE_SF_SG_E_clIS8_S8_S9_S9_EESD_ST_SE_SF_SG_EUlST_E_NS1_11comp_targetILNS1_3genE5ELNS1_11target_archE942ELNS1_3gpuE9ELNS1_3repE0EEENS1_48merge_mergepath_partition_config_static_selectorELNS0_4arch9wavefront6targetE1EEEvSF_
    .private_segment_fixed_size: 0
    .sgpr_count:     4
    .sgpr_spill_count: 0
    .symbol:         _ZN7rocprim17ROCPRIM_400000_NS6detail17trampoline_kernelINS0_14default_configENS1_38merge_sort_block_merge_config_selectorIxNS0_10empty_typeEEEZZNS1_27merge_sort_block_merge_implIS3_PxPS5_jNS1_19radix_merge_compareILb1ELb1ExNS0_19identity_decomposerEEEEE10hipError_tT0_T1_T2_jT3_P12ihipStream_tbPNSt15iterator_traitsISE_E10value_typeEPNSK_ISF_E10value_typeEPSG_NS1_7vsmem_tEENKUlT_SE_SF_SG_E_clIS8_S8_S9_S9_EESD_ST_SE_SF_SG_EUlST_E_NS1_11comp_targetILNS1_3genE5ELNS1_11target_archE942ELNS1_3gpuE9ELNS1_3repE0EEENS1_48merge_mergepath_partition_config_static_selectorELNS0_4arch9wavefront6targetE1EEEvSF_.kd
    .uniform_work_group_size: 1
    .uses_dynamic_stack: false
    .vgpr_count:     0
    .vgpr_spill_count: 0
    .wavefront_size: 64
  - .agpr_count:     0
    .args:
      - .offset:         0
        .size:           40
        .value_kind:     by_value
    .group_segment_fixed_size: 0
    .kernarg_segment_align: 8
    .kernarg_segment_size: 40
    .language:       OpenCL C
    .language_version:
      - 2
      - 0
    .max_flat_workgroup_size: 128
    .name:           _ZN7rocprim17ROCPRIM_400000_NS6detail17trampoline_kernelINS0_14default_configENS1_38merge_sort_block_merge_config_selectorIxNS0_10empty_typeEEEZZNS1_27merge_sort_block_merge_implIS3_PxPS5_jNS1_19radix_merge_compareILb1ELb1ExNS0_19identity_decomposerEEEEE10hipError_tT0_T1_T2_jT3_P12ihipStream_tbPNSt15iterator_traitsISE_E10value_typeEPNSK_ISF_E10value_typeEPSG_NS1_7vsmem_tEENKUlT_SE_SF_SG_E_clIS8_S8_S9_S9_EESD_ST_SE_SF_SG_EUlST_E_NS1_11comp_targetILNS1_3genE4ELNS1_11target_archE910ELNS1_3gpuE8ELNS1_3repE0EEENS1_48merge_mergepath_partition_config_static_selectorELNS0_4arch9wavefront6targetE1EEEvSF_
    .private_segment_fixed_size: 0
    .sgpr_count:     14
    .sgpr_spill_count: 0
    .symbol:         _ZN7rocprim17ROCPRIM_400000_NS6detail17trampoline_kernelINS0_14default_configENS1_38merge_sort_block_merge_config_selectorIxNS0_10empty_typeEEEZZNS1_27merge_sort_block_merge_implIS3_PxPS5_jNS1_19radix_merge_compareILb1ELb1ExNS0_19identity_decomposerEEEEE10hipError_tT0_T1_T2_jT3_P12ihipStream_tbPNSt15iterator_traitsISE_E10value_typeEPNSK_ISF_E10value_typeEPSG_NS1_7vsmem_tEENKUlT_SE_SF_SG_E_clIS8_S8_S9_S9_EESD_ST_SE_SF_SG_EUlST_E_NS1_11comp_targetILNS1_3genE4ELNS1_11target_archE910ELNS1_3gpuE8ELNS1_3repE0EEENS1_48merge_mergepath_partition_config_static_selectorELNS0_4arch9wavefront6targetE1EEEvSF_.kd
    .uniform_work_group_size: 1
    .uses_dynamic_stack: false
    .vgpr_count:     16
    .vgpr_spill_count: 0
    .wavefront_size: 64
  - .agpr_count:     0
    .args:
      - .offset:         0
        .size:           40
        .value_kind:     by_value
    .group_segment_fixed_size: 0
    .kernarg_segment_align: 8
    .kernarg_segment_size: 40
    .language:       OpenCL C
    .language_version:
      - 2
      - 0
    .max_flat_workgroup_size: 128
    .name:           _ZN7rocprim17ROCPRIM_400000_NS6detail17trampoline_kernelINS0_14default_configENS1_38merge_sort_block_merge_config_selectorIxNS0_10empty_typeEEEZZNS1_27merge_sort_block_merge_implIS3_PxPS5_jNS1_19radix_merge_compareILb1ELb1ExNS0_19identity_decomposerEEEEE10hipError_tT0_T1_T2_jT3_P12ihipStream_tbPNSt15iterator_traitsISE_E10value_typeEPNSK_ISF_E10value_typeEPSG_NS1_7vsmem_tEENKUlT_SE_SF_SG_E_clIS8_S8_S9_S9_EESD_ST_SE_SF_SG_EUlST_E_NS1_11comp_targetILNS1_3genE3ELNS1_11target_archE908ELNS1_3gpuE7ELNS1_3repE0EEENS1_48merge_mergepath_partition_config_static_selectorELNS0_4arch9wavefront6targetE1EEEvSF_
    .private_segment_fixed_size: 0
    .sgpr_count:     4
    .sgpr_spill_count: 0
    .symbol:         _ZN7rocprim17ROCPRIM_400000_NS6detail17trampoline_kernelINS0_14default_configENS1_38merge_sort_block_merge_config_selectorIxNS0_10empty_typeEEEZZNS1_27merge_sort_block_merge_implIS3_PxPS5_jNS1_19radix_merge_compareILb1ELb1ExNS0_19identity_decomposerEEEEE10hipError_tT0_T1_T2_jT3_P12ihipStream_tbPNSt15iterator_traitsISE_E10value_typeEPNSK_ISF_E10value_typeEPSG_NS1_7vsmem_tEENKUlT_SE_SF_SG_E_clIS8_S8_S9_S9_EESD_ST_SE_SF_SG_EUlST_E_NS1_11comp_targetILNS1_3genE3ELNS1_11target_archE908ELNS1_3gpuE7ELNS1_3repE0EEENS1_48merge_mergepath_partition_config_static_selectorELNS0_4arch9wavefront6targetE1EEEvSF_.kd
    .uniform_work_group_size: 1
    .uses_dynamic_stack: false
    .vgpr_count:     0
    .vgpr_spill_count: 0
    .wavefront_size: 64
  - .agpr_count:     0
    .args:
      - .offset:         0
        .size:           40
        .value_kind:     by_value
    .group_segment_fixed_size: 0
    .kernarg_segment_align: 8
    .kernarg_segment_size: 40
    .language:       OpenCL C
    .language_version:
      - 2
      - 0
    .max_flat_workgroup_size: 128
    .name:           _ZN7rocprim17ROCPRIM_400000_NS6detail17trampoline_kernelINS0_14default_configENS1_38merge_sort_block_merge_config_selectorIxNS0_10empty_typeEEEZZNS1_27merge_sort_block_merge_implIS3_PxPS5_jNS1_19radix_merge_compareILb1ELb1ExNS0_19identity_decomposerEEEEE10hipError_tT0_T1_T2_jT3_P12ihipStream_tbPNSt15iterator_traitsISE_E10value_typeEPNSK_ISF_E10value_typeEPSG_NS1_7vsmem_tEENKUlT_SE_SF_SG_E_clIS8_S8_S9_S9_EESD_ST_SE_SF_SG_EUlST_E_NS1_11comp_targetILNS1_3genE2ELNS1_11target_archE906ELNS1_3gpuE6ELNS1_3repE0EEENS1_48merge_mergepath_partition_config_static_selectorELNS0_4arch9wavefront6targetE1EEEvSF_
    .private_segment_fixed_size: 0
    .sgpr_count:     4
    .sgpr_spill_count: 0
    .symbol:         _ZN7rocprim17ROCPRIM_400000_NS6detail17trampoline_kernelINS0_14default_configENS1_38merge_sort_block_merge_config_selectorIxNS0_10empty_typeEEEZZNS1_27merge_sort_block_merge_implIS3_PxPS5_jNS1_19radix_merge_compareILb1ELb1ExNS0_19identity_decomposerEEEEE10hipError_tT0_T1_T2_jT3_P12ihipStream_tbPNSt15iterator_traitsISE_E10value_typeEPNSK_ISF_E10value_typeEPSG_NS1_7vsmem_tEENKUlT_SE_SF_SG_E_clIS8_S8_S9_S9_EESD_ST_SE_SF_SG_EUlST_E_NS1_11comp_targetILNS1_3genE2ELNS1_11target_archE906ELNS1_3gpuE6ELNS1_3repE0EEENS1_48merge_mergepath_partition_config_static_selectorELNS0_4arch9wavefront6targetE1EEEvSF_.kd
    .uniform_work_group_size: 1
    .uses_dynamic_stack: false
    .vgpr_count:     0
    .vgpr_spill_count: 0
    .wavefront_size: 64
  - .agpr_count:     0
    .args:
      - .offset:         0
        .size:           40
        .value_kind:     by_value
    .group_segment_fixed_size: 0
    .kernarg_segment_align: 8
    .kernarg_segment_size: 40
    .language:       OpenCL C
    .language_version:
      - 2
      - 0
    .max_flat_workgroup_size: 128
    .name:           _ZN7rocprim17ROCPRIM_400000_NS6detail17trampoline_kernelINS0_14default_configENS1_38merge_sort_block_merge_config_selectorIxNS0_10empty_typeEEEZZNS1_27merge_sort_block_merge_implIS3_PxPS5_jNS1_19radix_merge_compareILb1ELb1ExNS0_19identity_decomposerEEEEE10hipError_tT0_T1_T2_jT3_P12ihipStream_tbPNSt15iterator_traitsISE_E10value_typeEPNSK_ISF_E10value_typeEPSG_NS1_7vsmem_tEENKUlT_SE_SF_SG_E_clIS8_S8_S9_S9_EESD_ST_SE_SF_SG_EUlST_E_NS1_11comp_targetILNS1_3genE9ELNS1_11target_archE1100ELNS1_3gpuE3ELNS1_3repE0EEENS1_48merge_mergepath_partition_config_static_selectorELNS0_4arch9wavefront6targetE1EEEvSF_
    .private_segment_fixed_size: 0
    .sgpr_count:     4
    .sgpr_spill_count: 0
    .symbol:         _ZN7rocprim17ROCPRIM_400000_NS6detail17trampoline_kernelINS0_14default_configENS1_38merge_sort_block_merge_config_selectorIxNS0_10empty_typeEEEZZNS1_27merge_sort_block_merge_implIS3_PxPS5_jNS1_19radix_merge_compareILb1ELb1ExNS0_19identity_decomposerEEEEE10hipError_tT0_T1_T2_jT3_P12ihipStream_tbPNSt15iterator_traitsISE_E10value_typeEPNSK_ISF_E10value_typeEPSG_NS1_7vsmem_tEENKUlT_SE_SF_SG_E_clIS8_S8_S9_S9_EESD_ST_SE_SF_SG_EUlST_E_NS1_11comp_targetILNS1_3genE9ELNS1_11target_archE1100ELNS1_3gpuE3ELNS1_3repE0EEENS1_48merge_mergepath_partition_config_static_selectorELNS0_4arch9wavefront6targetE1EEEvSF_.kd
    .uniform_work_group_size: 1
    .uses_dynamic_stack: false
    .vgpr_count:     0
    .vgpr_spill_count: 0
    .wavefront_size: 64
  - .agpr_count:     0
    .args:
      - .offset:         0
        .size:           40
        .value_kind:     by_value
    .group_segment_fixed_size: 0
    .kernarg_segment_align: 8
    .kernarg_segment_size: 40
    .language:       OpenCL C
    .language_version:
      - 2
      - 0
    .max_flat_workgroup_size: 128
    .name:           _ZN7rocprim17ROCPRIM_400000_NS6detail17trampoline_kernelINS0_14default_configENS1_38merge_sort_block_merge_config_selectorIxNS0_10empty_typeEEEZZNS1_27merge_sort_block_merge_implIS3_PxPS5_jNS1_19radix_merge_compareILb1ELb1ExNS0_19identity_decomposerEEEEE10hipError_tT0_T1_T2_jT3_P12ihipStream_tbPNSt15iterator_traitsISE_E10value_typeEPNSK_ISF_E10value_typeEPSG_NS1_7vsmem_tEENKUlT_SE_SF_SG_E_clIS8_S8_S9_S9_EESD_ST_SE_SF_SG_EUlST_E_NS1_11comp_targetILNS1_3genE8ELNS1_11target_archE1030ELNS1_3gpuE2ELNS1_3repE0EEENS1_48merge_mergepath_partition_config_static_selectorELNS0_4arch9wavefront6targetE1EEEvSF_
    .private_segment_fixed_size: 0
    .sgpr_count:     4
    .sgpr_spill_count: 0
    .symbol:         _ZN7rocprim17ROCPRIM_400000_NS6detail17trampoline_kernelINS0_14default_configENS1_38merge_sort_block_merge_config_selectorIxNS0_10empty_typeEEEZZNS1_27merge_sort_block_merge_implIS3_PxPS5_jNS1_19radix_merge_compareILb1ELb1ExNS0_19identity_decomposerEEEEE10hipError_tT0_T1_T2_jT3_P12ihipStream_tbPNSt15iterator_traitsISE_E10value_typeEPNSK_ISF_E10value_typeEPSG_NS1_7vsmem_tEENKUlT_SE_SF_SG_E_clIS8_S8_S9_S9_EESD_ST_SE_SF_SG_EUlST_E_NS1_11comp_targetILNS1_3genE8ELNS1_11target_archE1030ELNS1_3gpuE2ELNS1_3repE0EEENS1_48merge_mergepath_partition_config_static_selectorELNS0_4arch9wavefront6targetE1EEEvSF_.kd
    .uniform_work_group_size: 1
    .uses_dynamic_stack: false
    .vgpr_count:     0
    .vgpr_spill_count: 0
    .wavefront_size: 64
  - .agpr_count:     0
    .args:
      - .offset:         0
        .size:           72
        .value_kind:     by_value
    .group_segment_fixed_size: 0
    .kernarg_segment_align: 8
    .kernarg_segment_size: 72
    .language:       OpenCL C
    .language_version:
      - 2
      - 0
    .max_flat_workgroup_size: 128
    .name:           _ZN7rocprim17ROCPRIM_400000_NS6detail17trampoline_kernelINS0_14default_configENS1_38merge_sort_block_merge_config_selectorIxNS0_10empty_typeEEEZZNS1_27merge_sort_block_merge_implIS3_PxPS5_jNS1_19radix_merge_compareILb1ELb1ExNS0_19identity_decomposerEEEEE10hipError_tT0_T1_T2_jT3_P12ihipStream_tbPNSt15iterator_traitsISE_E10value_typeEPNSK_ISF_E10value_typeEPSG_NS1_7vsmem_tEENKUlT_SE_SF_SG_E_clIS8_S8_S9_S9_EESD_ST_SE_SF_SG_EUlST_E0_NS1_11comp_targetILNS1_3genE0ELNS1_11target_archE4294967295ELNS1_3gpuE0ELNS1_3repE0EEENS1_38merge_mergepath_config_static_selectorELNS0_4arch9wavefront6targetE1EEEvSF_
    .private_segment_fixed_size: 0
    .sgpr_count:     4
    .sgpr_spill_count: 0
    .symbol:         _ZN7rocprim17ROCPRIM_400000_NS6detail17trampoline_kernelINS0_14default_configENS1_38merge_sort_block_merge_config_selectorIxNS0_10empty_typeEEEZZNS1_27merge_sort_block_merge_implIS3_PxPS5_jNS1_19radix_merge_compareILb1ELb1ExNS0_19identity_decomposerEEEEE10hipError_tT0_T1_T2_jT3_P12ihipStream_tbPNSt15iterator_traitsISE_E10value_typeEPNSK_ISF_E10value_typeEPSG_NS1_7vsmem_tEENKUlT_SE_SF_SG_E_clIS8_S8_S9_S9_EESD_ST_SE_SF_SG_EUlST_E0_NS1_11comp_targetILNS1_3genE0ELNS1_11target_archE4294967295ELNS1_3gpuE0ELNS1_3repE0EEENS1_38merge_mergepath_config_static_selectorELNS0_4arch9wavefront6targetE1EEEvSF_.kd
    .uniform_work_group_size: 1
    .uses_dynamic_stack: false
    .vgpr_count:     0
    .vgpr_spill_count: 0
    .wavefront_size: 64
  - .agpr_count:     0
    .args:
      - .offset:         0
        .size:           72
        .value_kind:     by_value
    .group_segment_fixed_size: 0
    .kernarg_segment_align: 8
    .kernarg_segment_size: 72
    .language:       OpenCL C
    .language_version:
      - 2
      - 0
    .max_flat_workgroup_size: 512
    .name:           _ZN7rocprim17ROCPRIM_400000_NS6detail17trampoline_kernelINS0_14default_configENS1_38merge_sort_block_merge_config_selectorIxNS0_10empty_typeEEEZZNS1_27merge_sort_block_merge_implIS3_PxPS5_jNS1_19radix_merge_compareILb1ELb1ExNS0_19identity_decomposerEEEEE10hipError_tT0_T1_T2_jT3_P12ihipStream_tbPNSt15iterator_traitsISE_E10value_typeEPNSK_ISF_E10value_typeEPSG_NS1_7vsmem_tEENKUlT_SE_SF_SG_E_clIS8_S8_S9_S9_EESD_ST_SE_SF_SG_EUlST_E0_NS1_11comp_targetILNS1_3genE10ELNS1_11target_archE1201ELNS1_3gpuE5ELNS1_3repE0EEENS1_38merge_mergepath_config_static_selectorELNS0_4arch9wavefront6targetE1EEEvSF_
    .private_segment_fixed_size: 0
    .sgpr_count:     4
    .sgpr_spill_count: 0
    .symbol:         _ZN7rocprim17ROCPRIM_400000_NS6detail17trampoline_kernelINS0_14default_configENS1_38merge_sort_block_merge_config_selectorIxNS0_10empty_typeEEEZZNS1_27merge_sort_block_merge_implIS3_PxPS5_jNS1_19radix_merge_compareILb1ELb1ExNS0_19identity_decomposerEEEEE10hipError_tT0_T1_T2_jT3_P12ihipStream_tbPNSt15iterator_traitsISE_E10value_typeEPNSK_ISF_E10value_typeEPSG_NS1_7vsmem_tEENKUlT_SE_SF_SG_E_clIS8_S8_S9_S9_EESD_ST_SE_SF_SG_EUlST_E0_NS1_11comp_targetILNS1_3genE10ELNS1_11target_archE1201ELNS1_3gpuE5ELNS1_3repE0EEENS1_38merge_mergepath_config_static_selectorELNS0_4arch9wavefront6targetE1EEEvSF_.kd
    .uniform_work_group_size: 1
    .uses_dynamic_stack: false
    .vgpr_count:     0
    .vgpr_spill_count: 0
    .wavefront_size: 64
  - .agpr_count:     0
    .args:
      - .offset:         0
        .size:           72
        .value_kind:     by_value
    .group_segment_fixed_size: 0
    .kernarg_segment_align: 8
    .kernarg_segment_size: 72
    .language:       OpenCL C
    .language_version:
      - 2
      - 0
    .max_flat_workgroup_size: 128
    .name:           _ZN7rocprim17ROCPRIM_400000_NS6detail17trampoline_kernelINS0_14default_configENS1_38merge_sort_block_merge_config_selectorIxNS0_10empty_typeEEEZZNS1_27merge_sort_block_merge_implIS3_PxPS5_jNS1_19radix_merge_compareILb1ELb1ExNS0_19identity_decomposerEEEEE10hipError_tT0_T1_T2_jT3_P12ihipStream_tbPNSt15iterator_traitsISE_E10value_typeEPNSK_ISF_E10value_typeEPSG_NS1_7vsmem_tEENKUlT_SE_SF_SG_E_clIS8_S8_S9_S9_EESD_ST_SE_SF_SG_EUlST_E0_NS1_11comp_targetILNS1_3genE5ELNS1_11target_archE942ELNS1_3gpuE9ELNS1_3repE0EEENS1_38merge_mergepath_config_static_selectorELNS0_4arch9wavefront6targetE1EEEvSF_
    .private_segment_fixed_size: 0
    .sgpr_count:     4
    .sgpr_spill_count: 0
    .symbol:         _ZN7rocprim17ROCPRIM_400000_NS6detail17trampoline_kernelINS0_14default_configENS1_38merge_sort_block_merge_config_selectorIxNS0_10empty_typeEEEZZNS1_27merge_sort_block_merge_implIS3_PxPS5_jNS1_19radix_merge_compareILb1ELb1ExNS0_19identity_decomposerEEEEE10hipError_tT0_T1_T2_jT3_P12ihipStream_tbPNSt15iterator_traitsISE_E10value_typeEPNSK_ISF_E10value_typeEPSG_NS1_7vsmem_tEENKUlT_SE_SF_SG_E_clIS8_S8_S9_S9_EESD_ST_SE_SF_SG_EUlST_E0_NS1_11comp_targetILNS1_3genE5ELNS1_11target_archE942ELNS1_3gpuE9ELNS1_3repE0EEENS1_38merge_mergepath_config_static_selectorELNS0_4arch9wavefront6targetE1EEEvSF_.kd
    .uniform_work_group_size: 1
    .uses_dynamic_stack: false
    .vgpr_count:     0
    .vgpr_spill_count: 0
    .wavefront_size: 64
  - .agpr_count:     0
    .args:
      - .offset:         0
        .size:           72
        .value_kind:     by_value
      - .offset:         72
        .size:           4
        .value_kind:     hidden_block_count_x
      - .offset:         76
        .size:           4
        .value_kind:     hidden_block_count_y
      - .offset:         80
        .size:           4
        .value_kind:     hidden_block_count_z
      - .offset:         84
        .size:           2
        .value_kind:     hidden_group_size_x
      - .offset:         86
        .size:           2
        .value_kind:     hidden_group_size_y
      - .offset:         88
        .size:           2
        .value_kind:     hidden_group_size_z
      - .offset:         90
        .size:           2
        .value_kind:     hidden_remainder_x
      - .offset:         92
        .size:           2
        .value_kind:     hidden_remainder_y
      - .offset:         94
        .size:           2
        .value_kind:     hidden_remainder_z
      - .offset:         112
        .size:           8
        .value_kind:     hidden_global_offset_x
      - .offset:         120
        .size:           8
        .value_kind:     hidden_global_offset_y
      - .offset:         128
        .size:           8
        .value_kind:     hidden_global_offset_z
      - .offset:         136
        .size:           2
        .value_kind:     hidden_grid_dims
    .group_segment_fixed_size: 8448
    .kernarg_segment_align: 8
    .kernarg_segment_size: 328
    .language:       OpenCL C
    .language_version:
      - 2
      - 0
    .max_flat_workgroup_size: 256
    .name:           _ZN7rocprim17ROCPRIM_400000_NS6detail17trampoline_kernelINS0_14default_configENS1_38merge_sort_block_merge_config_selectorIxNS0_10empty_typeEEEZZNS1_27merge_sort_block_merge_implIS3_PxPS5_jNS1_19radix_merge_compareILb1ELb1ExNS0_19identity_decomposerEEEEE10hipError_tT0_T1_T2_jT3_P12ihipStream_tbPNSt15iterator_traitsISE_E10value_typeEPNSK_ISF_E10value_typeEPSG_NS1_7vsmem_tEENKUlT_SE_SF_SG_E_clIS8_S8_S9_S9_EESD_ST_SE_SF_SG_EUlST_E0_NS1_11comp_targetILNS1_3genE4ELNS1_11target_archE910ELNS1_3gpuE8ELNS1_3repE0EEENS1_38merge_mergepath_config_static_selectorELNS0_4arch9wavefront6targetE1EEEvSF_
    .private_segment_fixed_size: 0
    .sgpr_count:     30
    .sgpr_spill_count: 0
    .symbol:         _ZN7rocprim17ROCPRIM_400000_NS6detail17trampoline_kernelINS0_14default_configENS1_38merge_sort_block_merge_config_selectorIxNS0_10empty_typeEEEZZNS1_27merge_sort_block_merge_implIS3_PxPS5_jNS1_19radix_merge_compareILb1ELb1ExNS0_19identity_decomposerEEEEE10hipError_tT0_T1_T2_jT3_P12ihipStream_tbPNSt15iterator_traitsISE_E10value_typeEPNSK_ISF_E10value_typeEPSG_NS1_7vsmem_tEENKUlT_SE_SF_SG_E_clIS8_S8_S9_S9_EESD_ST_SE_SF_SG_EUlST_E0_NS1_11comp_targetILNS1_3genE4ELNS1_11target_archE910ELNS1_3gpuE8ELNS1_3repE0EEENS1_38merge_mergepath_config_static_selectorELNS0_4arch9wavefront6targetE1EEEvSF_.kd
    .uniform_work_group_size: 1
    .uses_dynamic_stack: false
    .vgpr_count:     23
    .vgpr_spill_count: 0
    .wavefront_size: 64
  - .agpr_count:     0
    .args:
      - .offset:         0
        .size:           72
        .value_kind:     by_value
    .group_segment_fixed_size: 0
    .kernarg_segment_align: 8
    .kernarg_segment_size: 72
    .language:       OpenCL C
    .language_version:
      - 2
      - 0
    .max_flat_workgroup_size: 128
    .name:           _ZN7rocprim17ROCPRIM_400000_NS6detail17trampoline_kernelINS0_14default_configENS1_38merge_sort_block_merge_config_selectorIxNS0_10empty_typeEEEZZNS1_27merge_sort_block_merge_implIS3_PxPS5_jNS1_19radix_merge_compareILb1ELb1ExNS0_19identity_decomposerEEEEE10hipError_tT0_T1_T2_jT3_P12ihipStream_tbPNSt15iterator_traitsISE_E10value_typeEPNSK_ISF_E10value_typeEPSG_NS1_7vsmem_tEENKUlT_SE_SF_SG_E_clIS8_S8_S9_S9_EESD_ST_SE_SF_SG_EUlST_E0_NS1_11comp_targetILNS1_3genE3ELNS1_11target_archE908ELNS1_3gpuE7ELNS1_3repE0EEENS1_38merge_mergepath_config_static_selectorELNS0_4arch9wavefront6targetE1EEEvSF_
    .private_segment_fixed_size: 0
    .sgpr_count:     4
    .sgpr_spill_count: 0
    .symbol:         _ZN7rocprim17ROCPRIM_400000_NS6detail17trampoline_kernelINS0_14default_configENS1_38merge_sort_block_merge_config_selectorIxNS0_10empty_typeEEEZZNS1_27merge_sort_block_merge_implIS3_PxPS5_jNS1_19radix_merge_compareILb1ELb1ExNS0_19identity_decomposerEEEEE10hipError_tT0_T1_T2_jT3_P12ihipStream_tbPNSt15iterator_traitsISE_E10value_typeEPNSK_ISF_E10value_typeEPSG_NS1_7vsmem_tEENKUlT_SE_SF_SG_E_clIS8_S8_S9_S9_EESD_ST_SE_SF_SG_EUlST_E0_NS1_11comp_targetILNS1_3genE3ELNS1_11target_archE908ELNS1_3gpuE7ELNS1_3repE0EEENS1_38merge_mergepath_config_static_selectorELNS0_4arch9wavefront6targetE1EEEvSF_.kd
    .uniform_work_group_size: 1
    .uses_dynamic_stack: false
    .vgpr_count:     0
    .vgpr_spill_count: 0
    .wavefront_size: 64
  - .agpr_count:     0
    .args:
      - .offset:         0
        .size:           72
        .value_kind:     by_value
    .group_segment_fixed_size: 0
    .kernarg_segment_align: 8
    .kernarg_segment_size: 72
    .language:       OpenCL C
    .language_version:
      - 2
      - 0
    .max_flat_workgroup_size: 256
    .name:           _ZN7rocprim17ROCPRIM_400000_NS6detail17trampoline_kernelINS0_14default_configENS1_38merge_sort_block_merge_config_selectorIxNS0_10empty_typeEEEZZNS1_27merge_sort_block_merge_implIS3_PxPS5_jNS1_19radix_merge_compareILb1ELb1ExNS0_19identity_decomposerEEEEE10hipError_tT0_T1_T2_jT3_P12ihipStream_tbPNSt15iterator_traitsISE_E10value_typeEPNSK_ISF_E10value_typeEPSG_NS1_7vsmem_tEENKUlT_SE_SF_SG_E_clIS8_S8_S9_S9_EESD_ST_SE_SF_SG_EUlST_E0_NS1_11comp_targetILNS1_3genE2ELNS1_11target_archE906ELNS1_3gpuE6ELNS1_3repE0EEENS1_38merge_mergepath_config_static_selectorELNS0_4arch9wavefront6targetE1EEEvSF_
    .private_segment_fixed_size: 0
    .sgpr_count:     4
    .sgpr_spill_count: 0
    .symbol:         _ZN7rocprim17ROCPRIM_400000_NS6detail17trampoline_kernelINS0_14default_configENS1_38merge_sort_block_merge_config_selectorIxNS0_10empty_typeEEEZZNS1_27merge_sort_block_merge_implIS3_PxPS5_jNS1_19radix_merge_compareILb1ELb1ExNS0_19identity_decomposerEEEEE10hipError_tT0_T1_T2_jT3_P12ihipStream_tbPNSt15iterator_traitsISE_E10value_typeEPNSK_ISF_E10value_typeEPSG_NS1_7vsmem_tEENKUlT_SE_SF_SG_E_clIS8_S8_S9_S9_EESD_ST_SE_SF_SG_EUlST_E0_NS1_11comp_targetILNS1_3genE2ELNS1_11target_archE906ELNS1_3gpuE6ELNS1_3repE0EEENS1_38merge_mergepath_config_static_selectorELNS0_4arch9wavefront6targetE1EEEvSF_.kd
    .uniform_work_group_size: 1
    .uses_dynamic_stack: false
    .vgpr_count:     0
    .vgpr_spill_count: 0
    .wavefront_size: 64
  - .agpr_count:     0
    .args:
      - .offset:         0
        .size:           72
        .value_kind:     by_value
    .group_segment_fixed_size: 0
    .kernarg_segment_align: 8
    .kernarg_segment_size: 72
    .language:       OpenCL C
    .language_version:
      - 2
      - 0
    .max_flat_workgroup_size: 512
    .name:           _ZN7rocprim17ROCPRIM_400000_NS6detail17trampoline_kernelINS0_14default_configENS1_38merge_sort_block_merge_config_selectorIxNS0_10empty_typeEEEZZNS1_27merge_sort_block_merge_implIS3_PxPS5_jNS1_19radix_merge_compareILb1ELb1ExNS0_19identity_decomposerEEEEE10hipError_tT0_T1_T2_jT3_P12ihipStream_tbPNSt15iterator_traitsISE_E10value_typeEPNSK_ISF_E10value_typeEPSG_NS1_7vsmem_tEENKUlT_SE_SF_SG_E_clIS8_S8_S9_S9_EESD_ST_SE_SF_SG_EUlST_E0_NS1_11comp_targetILNS1_3genE9ELNS1_11target_archE1100ELNS1_3gpuE3ELNS1_3repE0EEENS1_38merge_mergepath_config_static_selectorELNS0_4arch9wavefront6targetE1EEEvSF_
    .private_segment_fixed_size: 0
    .sgpr_count:     4
    .sgpr_spill_count: 0
    .symbol:         _ZN7rocprim17ROCPRIM_400000_NS6detail17trampoline_kernelINS0_14default_configENS1_38merge_sort_block_merge_config_selectorIxNS0_10empty_typeEEEZZNS1_27merge_sort_block_merge_implIS3_PxPS5_jNS1_19radix_merge_compareILb1ELb1ExNS0_19identity_decomposerEEEEE10hipError_tT0_T1_T2_jT3_P12ihipStream_tbPNSt15iterator_traitsISE_E10value_typeEPNSK_ISF_E10value_typeEPSG_NS1_7vsmem_tEENKUlT_SE_SF_SG_E_clIS8_S8_S9_S9_EESD_ST_SE_SF_SG_EUlST_E0_NS1_11comp_targetILNS1_3genE9ELNS1_11target_archE1100ELNS1_3gpuE3ELNS1_3repE0EEENS1_38merge_mergepath_config_static_selectorELNS0_4arch9wavefront6targetE1EEEvSF_.kd
    .uniform_work_group_size: 1
    .uses_dynamic_stack: false
    .vgpr_count:     0
    .vgpr_spill_count: 0
    .wavefront_size: 64
  - .agpr_count:     0
    .args:
      - .offset:         0
        .size:           72
        .value_kind:     by_value
    .group_segment_fixed_size: 0
    .kernarg_segment_align: 8
    .kernarg_segment_size: 72
    .language:       OpenCL C
    .language_version:
      - 2
      - 0
    .max_flat_workgroup_size: 1024
    .name:           _ZN7rocprim17ROCPRIM_400000_NS6detail17trampoline_kernelINS0_14default_configENS1_38merge_sort_block_merge_config_selectorIxNS0_10empty_typeEEEZZNS1_27merge_sort_block_merge_implIS3_PxPS5_jNS1_19radix_merge_compareILb1ELb1ExNS0_19identity_decomposerEEEEE10hipError_tT0_T1_T2_jT3_P12ihipStream_tbPNSt15iterator_traitsISE_E10value_typeEPNSK_ISF_E10value_typeEPSG_NS1_7vsmem_tEENKUlT_SE_SF_SG_E_clIS8_S8_S9_S9_EESD_ST_SE_SF_SG_EUlST_E0_NS1_11comp_targetILNS1_3genE8ELNS1_11target_archE1030ELNS1_3gpuE2ELNS1_3repE0EEENS1_38merge_mergepath_config_static_selectorELNS0_4arch9wavefront6targetE1EEEvSF_
    .private_segment_fixed_size: 0
    .sgpr_count:     4
    .sgpr_spill_count: 0
    .symbol:         _ZN7rocprim17ROCPRIM_400000_NS6detail17trampoline_kernelINS0_14default_configENS1_38merge_sort_block_merge_config_selectorIxNS0_10empty_typeEEEZZNS1_27merge_sort_block_merge_implIS3_PxPS5_jNS1_19radix_merge_compareILb1ELb1ExNS0_19identity_decomposerEEEEE10hipError_tT0_T1_T2_jT3_P12ihipStream_tbPNSt15iterator_traitsISE_E10value_typeEPNSK_ISF_E10value_typeEPSG_NS1_7vsmem_tEENKUlT_SE_SF_SG_E_clIS8_S8_S9_S9_EESD_ST_SE_SF_SG_EUlST_E0_NS1_11comp_targetILNS1_3genE8ELNS1_11target_archE1030ELNS1_3gpuE2ELNS1_3repE0EEENS1_38merge_mergepath_config_static_selectorELNS0_4arch9wavefront6targetE1EEEvSF_.kd
    .uniform_work_group_size: 1
    .uses_dynamic_stack: false
    .vgpr_count:     0
    .vgpr_spill_count: 0
    .wavefront_size: 64
  - .agpr_count:     0
    .args:
      - .offset:         0
        .size:           48
        .value_kind:     by_value
    .group_segment_fixed_size: 0
    .kernarg_segment_align: 8
    .kernarg_segment_size: 48
    .language:       OpenCL C
    .language_version:
      - 2
      - 0
    .max_flat_workgroup_size: 256
    .name:           _ZN7rocprim17ROCPRIM_400000_NS6detail17trampoline_kernelINS0_14default_configENS1_38merge_sort_block_merge_config_selectorIxNS0_10empty_typeEEEZZNS1_27merge_sort_block_merge_implIS3_PxPS5_jNS1_19radix_merge_compareILb1ELb1ExNS0_19identity_decomposerEEEEE10hipError_tT0_T1_T2_jT3_P12ihipStream_tbPNSt15iterator_traitsISE_E10value_typeEPNSK_ISF_E10value_typeEPSG_NS1_7vsmem_tEENKUlT_SE_SF_SG_E_clIS8_S8_S9_S9_EESD_ST_SE_SF_SG_EUlST_E1_NS1_11comp_targetILNS1_3genE0ELNS1_11target_archE4294967295ELNS1_3gpuE0ELNS1_3repE0EEENS1_36merge_oddeven_config_static_selectorELNS0_4arch9wavefront6targetE1EEEvSF_
    .private_segment_fixed_size: 0
    .sgpr_count:     4
    .sgpr_spill_count: 0
    .symbol:         _ZN7rocprim17ROCPRIM_400000_NS6detail17trampoline_kernelINS0_14default_configENS1_38merge_sort_block_merge_config_selectorIxNS0_10empty_typeEEEZZNS1_27merge_sort_block_merge_implIS3_PxPS5_jNS1_19radix_merge_compareILb1ELb1ExNS0_19identity_decomposerEEEEE10hipError_tT0_T1_T2_jT3_P12ihipStream_tbPNSt15iterator_traitsISE_E10value_typeEPNSK_ISF_E10value_typeEPSG_NS1_7vsmem_tEENKUlT_SE_SF_SG_E_clIS8_S8_S9_S9_EESD_ST_SE_SF_SG_EUlST_E1_NS1_11comp_targetILNS1_3genE0ELNS1_11target_archE4294967295ELNS1_3gpuE0ELNS1_3repE0EEENS1_36merge_oddeven_config_static_selectorELNS0_4arch9wavefront6targetE1EEEvSF_.kd
    .uniform_work_group_size: 1
    .uses_dynamic_stack: false
    .vgpr_count:     0
    .vgpr_spill_count: 0
    .wavefront_size: 64
  - .agpr_count:     0
    .args:
      - .offset:         0
        .size:           48
        .value_kind:     by_value
    .group_segment_fixed_size: 0
    .kernarg_segment_align: 8
    .kernarg_segment_size: 48
    .language:       OpenCL C
    .language_version:
      - 2
      - 0
    .max_flat_workgroup_size: 256
    .name:           _ZN7rocprim17ROCPRIM_400000_NS6detail17trampoline_kernelINS0_14default_configENS1_38merge_sort_block_merge_config_selectorIxNS0_10empty_typeEEEZZNS1_27merge_sort_block_merge_implIS3_PxPS5_jNS1_19radix_merge_compareILb1ELb1ExNS0_19identity_decomposerEEEEE10hipError_tT0_T1_T2_jT3_P12ihipStream_tbPNSt15iterator_traitsISE_E10value_typeEPNSK_ISF_E10value_typeEPSG_NS1_7vsmem_tEENKUlT_SE_SF_SG_E_clIS8_S8_S9_S9_EESD_ST_SE_SF_SG_EUlST_E1_NS1_11comp_targetILNS1_3genE10ELNS1_11target_archE1201ELNS1_3gpuE5ELNS1_3repE0EEENS1_36merge_oddeven_config_static_selectorELNS0_4arch9wavefront6targetE1EEEvSF_
    .private_segment_fixed_size: 0
    .sgpr_count:     4
    .sgpr_spill_count: 0
    .symbol:         _ZN7rocprim17ROCPRIM_400000_NS6detail17trampoline_kernelINS0_14default_configENS1_38merge_sort_block_merge_config_selectorIxNS0_10empty_typeEEEZZNS1_27merge_sort_block_merge_implIS3_PxPS5_jNS1_19radix_merge_compareILb1ELb1ExNS0_19identity_decomposerEEEEE10hipError_tT0_T1_T2_jT3_P12ihipStream_tbPNSt15iterator_traitsISE_E10value_typeEPNSK_ISF_E10value_typeEPSG_NS1_7vsmem_tEENKUlT_SE_SF_SG_E_clIS8_S8_S9_S9_EESD_ST_SE_SF_SG_EUlST_E1_NS1_11comp_targetILNS1_3genE10ELNS1_11target_archE1201ELNS1_3gpuE5ELNS1_3repE0EEENS1_36merge_oddeven_config_static_selectorELNS0_4arch9wavefront6targetE1EEEvSF_.kd
    .uniform_work_group_size: 1
    .uses_dynamic_stack: false
    .vgpr_count:     0
    .vgpr_spill_count: 0
    .wavefront_size: 64
  - .agpr_count:     0
    .args:
      - .offset:         0
        .size:           48
        .value_kind:     by_value
    .group_segment_fixed_size: 0
    .kernarg_segment_align: 8
    .kernarg_segment_size: 48
    .language:       OpenCL C
    .language_version:
      - 2
      - 0
    .max_flat_workgroup_size: 256
    .name:           _ZN7rocprim17ROCPRIM_400000_NS6detail17trampoline_kernelINS0_14default_configENS1_38merge_sort_block_merge_config_selectorIxNS0_10empty_typeEEEZZNS1_27merge_sort_block_merge_implIS3_PxPS5_jNS1_19radix_merge_compareILb1ELb1ExNS0_19identity_decomposerEEEEE10hipError_tT0_T1_T2_jT3_P12ihipStream_tbPNSt15iterator_traitsISE_E10value_typeEPNSK_ISF_E10value_typeEPSG_NS1_7vsmem_tEENKUlT_SE_SF_SG_E_clIS8_S8_S9_S9_EESD_ST_SE_SF_SG_EUlST_E1_NS1_11comp_targetILNS1_3genE5ELNS1_11target_archE942ELNS1_3gpuE9ELNS1_3repE0EEENS1_36merge_oddeven_config_static_selectorELNS0_4arch9wavefront6targetE1EEEvSF_
    .private_segment_fixed_size: 0
    .sgpr_count:     4
    .sgpr_spill_count: 0
    .symbol:         _ZN7rocprim17ROCPRIM_400000_NS6detail17trampoline_kernelINS0_14default_configENS1_38merge_sort_block_merge_config_selectorIxNS0_10empty_typeEEEZZNS1_27merge_sort_block_merge_implIS3_PxPS5_jNS1_19radix_merge_compareILb1ELb1ExNS0_19identity_decomposerEEEEE10hipError_tT0_T1_T2_jT3_P12ihipStream_tbPNSt15iterator_traitsISE_E10value_typeEPNSK_ISF_E10value_typeEPSG_NS1_7vsmem_tEENKUlT_SE_SF_SG_E_clIS8_S8_S9_S9_EESD_ST_SE_SF_SG_EUlST_E1_NS1_11comp_targetILNS1_3genE5ELNS1_11target_archE942ELNS1_3gpuE9ELNS1_3repE0EEENS1_36merge_oddeven_config_static_selectorELNS0_4arch9wavefront6targetE1EEEvSF_.kd
    .uniform_work_group_size: 1
    .uses_dynamic_stack: false
    .vgpr_count:     0
    .vgpr_spill_count: 0
    .wavefront_size: 64
  - .agpr_count:     0
    .args:
      - .offset:         0
        .size:           48
        .value_kind:     by_value
    .group_segment_fixed_size: 0
    .kernarg_segment_align: 8
    .kernarg_segment_size: 48
    .language:       OpenCL C
    .language_version:
      - 2
      - 0
    .max_flat_workgroup_size: 256
    .name:           _ZN7rocprim17ROCPRIM_400000_NS6detail17trampoline_kernelINS0_14default_configENS1_38merge_sort_block_merge_config_selectorIxNS0_10empty_typeEEEZZNS1_27merge_sort_block_merge_implIS3_PxPS5_jNS1_19radix_merge_compareILb1ELb1ExNS0_19identity_decomposerEEEEE10hipError_tT0_T1_T2_jT3_P12ihipStream_tbPNSt15iterator_traitsISE_E10value_typeEPNSK_ISF_E10value_typeEPSG_NS1_7vsmem_tEENKUlT_SE_SF_SG_E_clIS8_S8_S9_S9_EESD_ST_SE_SF_SG_EUlST_E1_NS1_11comp_targetILNS1_3genE4ELNS1_11target_archE910ELNS1_3gpuE8ELNS1_3repE0EEENS1_36merge_oddeven_config_static_selectorELNS0_4arch9wavefront6targetE1EEEvSF_
    .private_segment_fixed_size: 0
    .sgpr_count:     25
    .sgpr_spill_count: 0
    .symbol:         _ZN7rocprim17ROCPRIM_400000_NS6detail17trampoline_kernelINS0_14default_configENS1_38merge_sort_block_merge_config_selectorIxNS0_10empty_typeEEEZZNS1_27merge_sort_block_merge_implIS3_PxPS5_jNS1_19radix_merge_compareILb1ELb1ExNS0_19identity_decomposerEEEEE10hipError_tT0_T1_T2_jT3_P12ihipStream_tbPNSt15iterator_traitsISE_E10value_typeEPNSK_ISF_E10value_typeEPSG_NS1_7vsmem_tEENKUlT_SE_SF_SG_E_clIS8_S8_S9_S9_EESD_ST_SE_SF_SG_EUlST_E1_NS1_11comp_targetILNS1_3genE4ELNS1_11target_archE910ELNS1_3gpuE8ELNS1_3repE0EEENS1_36merge_oddeven_config_static_selectorELNS0_4arch9wavefront6targetE1EEEvSF_.kd
    .uniform_work_group_size: 1
    .uses_dynamic_stack: false
    .vgpr_count:     14
    .vgpr_spill_count: 0
    .wavefront_size: 64
  - .agpr_count:     0
    .args:
      - .offset:         0
        .size:           48
        .value_kind:     by_value
    .group_segment_fixed_size: 0
    .kernarg_segment_align: 8
    .kernarg_segment_size: 48
    .language:       OpenCL C
    .language_version:
      - 2
      - 0
    .max_flat_workgroup_size: 256
    .name:           _ZN7rocprim17ROCPRIM_400000_NS6detail17trampoline_kernelINS0_14default_configENS1_38merge_sort_block_merge_config_selectorIxNS0_10empty_typeEEEZZNS1_27merge_sort_block_merge_implIS3_PxPS5_jNS1_19radix_merge_compareILb1ELb1ExNS0_19identity_decomposerEEEEE10hipError_tT0_T1_T2_jT3_P12ihipStream_tbPNSt15iterator_traitsISE_E10value_typeEPNSK_ISF_E10value_typeEPSG_NS1_7vsmem_tEENKUlT_SE_SF_SG_E_clIS8_S8_S9_S9_EESD_ST_SE_SF_SG_EUlST_E1_NS1_11comp_targetILNS1_3genE3ELNS1_11target_archE908ELNS1_3gpuE7ELNS1_3repE0EEENS1_36merge_oddeven_config_static_selectorELNS0_4arch9wavefront6targetE1EEEvSF_
    .private_segment_fixed_size: 0
    .sgpr_count:     4
    .sgpr_spill_count: 0
    .symbol:         _ZN7rocprim17ROCPRIM_400000_NS6detail17trampoline_kernelINS0_14default_configENS1_38merge_sort_block_merge_config_selectorIxNS0_10empty_typeEEEZZNS1_27merge_sort_block_merge_implIS3_PxPS5_jNS1_19radix_merge_compareILb1ELb1ExNS0_19identity_decomposerEEEEE10hipError_tT0_T1_T2_jT3_P12ihipStream_tbPNSt15iterator_traitsISE_E10value_typeEPNSK_ISF_E10value_typeEPSG_NS1_7vsmem_tEENKUlT_SE_SF_SG_E_clIS8_S8_S9_S9_EESD_ST_SE_SF_SG_EUlST_E1_NS1_11comp_targetILNS1_3genE3ELNS1_11target_archE908ELNS1_3gpuE7ELNS1_3repE0EEENS1_36merge_oddeven_config_static_selectorELNS0_4arch9wavefront6targetE1EEEvSF_.kd
    .uniform_work_group_size: 1
    .uses_dynamic_stack: false
    .vgpr_count:     0
    .vgpr_spill_count: 0
    .wavefront_size: 64
  - .agpr_count:     0
    .args:
      - .offset:         0
        .size:           48
        .value_kind:     by_value
    .group_segment_fixed_size: 0
    .kernarg_segment_align: 8
    .kernarg_segment_size: 48
    .language:       OpenCL C
    .language_version:
      - 2
      - 0
    .max_flat_workgroup_size: 256
    .name:           _ZN7rocprim17ROCPRIM_400000_NS6detail17trampoline_kernelINS0_14default_configENS1_38merge_sort_block_merge_config_selectorIxNS0_10empty_typeEEEZZNS1_27merge_sort_block_merge_implIS3_PxPS5_jNS1_19radix_merge_compareILb1ELb1ExNS0_19identity_decomposerEEEEE10hipError_tT0_T1_T2_jT3_P12ihipStream_tbPNSt15iterator_traitsISE_E10value_typeEPNSK_ISF_E10value_typeEPSG_NS1_7vsmem_tEENKUlT_SE_SF_SG_E_clIS8_S8_S9_S9_EESD_ST_SE_SF_SG_EUlST_E1_NS1_11comp_targetILNS1_3genE2ELNS1_11target_archE906ELNS1_3gpuE6ELNS1_3repE0EEENS1_36merge_oddeven_config_static_selectorELNS0_4arch9wavefront6targetE1EEEvSF_
    .private_segment_fixed_size: 0
    .sgpr_count:     4
    .sgpr_spill_count: 0
    .symbol:         _ZN7rocprim17ROCPRIM_400000_NS6detail17trampoline_kernelINS0_14default_configENS1_38merge_sort_block_merge_config_selectorIxNS0_10empty_typeEEEZZNS1_27merge_sort_block_merge_implIS3_PxPS5_jNS1_19radix_merge_compareILb1ELb1ExNS0_19identity_decomposerEEEEE10hipError_tT0_T1_T2_jT3_P12ihipStream_tbPNSt15iterator_traitsISE_E10value_typeEPNSK_ISF_E10value_typeEPSG_NS1_7vsmem_tEENKUlT_SE_SF_SG_E_clIS8_S8_S9_S9_EESD_ST_SE_SF_SG_EUlST_E1_NS1_11comp_targetILNS1_3genE2ELNS1_11target_archE906ELNS1_3gpuE6ELNS1_3repE0EEENS1_36merge_oddeven_config_static_selectorELNS0_4arch9wavefront6targetE1EEEvSF_.kd
    .uniform_work_group_size: 1
    .uses_dynamic_stack: false
    .vgpr_count:     0
    .vgpr_spill_count: 0
    .wavefront_size: 64
  - .agpr_count:     0
    .args:
      - .offset:         0
        .size:           48
        .value_kind:     by_value
    .group_segment_fixed_size: 0
    .kernarg_segment_align: 8
    .kernarg_segment_size: 48
    .language:       OpenCL C
    .language_version:
      - 2
      - 0
    .max_flat_workgroup_size: 256
    .name:           _ZN7rocprim17ROCPRIM_400000_NS6detail17trampoline_kernelINS0_14default_configENS1_38merge_sort_block_merge_config_selectorIxNS0_10empty_typeEEEZZNS1_27merge_sort_block_merge_implIS3_PxPS5_jNS1_19radix_merge_compareILb1ELb1ExNS0_19identity_decomposerEEEEE10hipError_tT0_T1_T2_jT3_P12ihipStream_tbPNSt15iterator_traitsISE_E10value_typeEPNSK_ISF_E10value_typeEPSG_NS1_7vsmem_tEENKUlT_SE_SF_SG_E_clIS8_S8_S9_S9_EESD_ST_SE_SF_SG_EUlST_E1_NS1_11comp_targetILNS1_3genE9ELNS1_11target_archE1100ELNS1_3gpuE3ELNS1_3repE0EEENS1_36merge_oddeven_config_static_selectorELNS0_4arch9wavefront6targetE1EEEvSF_
    .private_segment_fixed_size: 0
    .sgpr_count:     4
    .sgpr_spill_count: 0
    .symbol:         _ZN7rocprim17ROCPRIM_400000_NS6detail17trampoline_kernelINS0_14default_configENS1_38merge_sort_block_merge_config_selectorIxNS0_10empty_typeEEEZZNS1_27merge_sort_block_merge_implIS3_PxPS5_jNS1_19radix_merge_compareILb1ELb1ExNS0_19identity_decomposerEEEEE10hipError_tT0_T1_T2_jT3_P12ihipStream_tbPNSt15iterator_traitsISE_E10value_typeEPNSK_ISF_E10value_typeEPSG_NS1_7vsmem_tEENKUlT_SE_SF_SG_E_clIS8_S8_S9_S9_EESD_ST_SE_SF_SG_EUlST_E1_NS1_11comp_targetILNS1_3genE9ELNS1_11target_archE1100ELNS1_3gpuE3ELNS1_3repE0EEENS1_36merge_oddeven_config_static_selectorELNS0_4arch9wavefront6targetE1EEEvSF_.kd
    .uniform_work_group_size: 1
    .uses_dynamic_stack: false
    .vgpr_count:     0
    .vgpr_spill_count: 0
    .wavefront_size: 64
  - .agpr_count:     0
    .args:
      - .offset:         0
        .size:           48
        .value_kind:     by_value
    .group_segment_fixed_size: 0
    .kernarg_segment_align: 8
    .kernarg_segment_size: 48
    .language:       OpenCL C
    .language_version:
      - 2
      - 0
    .max_flat_workgroup_size: 256
    .name:           _ZN7rocprim17ROCPRIM_400000_NS6detail17trampoline_kernelINS0_14default_configENS1_38merge_sort_block_merge_config_selectorIxNS0_10empty_typeEEEZZNS1_27merge_sort_block_merge_implIS3_PxPS5_jNS1_19radix_merge_compareILb1ELb1ExNS0_19identity_decomposerEEEEE10hipError_tT0_T1_T2_jT3_P12ihipStream_tbPNSt15iterator_traitsISE_E10value_typeEPNSK_ISF_E10value_typeEPSG_NS1_7vsmem_tEENKUlT_SE_SF_SG_E_clIS8_S8_S9_S9_EESD_ST_SE_SF_SG_EUlST_E1_NS1_11comp_targetILNS1_3genE8ELNS1_11target_archE1030ELNS1_3gpuE2ELNS1_3repE0EEENS1_36merge_oddeven_config_static_selectorELNS0_4arch9wavefront6targetE1EEEvSF_
    .private_segment_fixed_size: 0
    .sgpr_count:     4
    .sgpr_spill_count: 0
    .symbol:         _ZN7rocprim17ROCPRIM_400000_NS6detail17trampoline_kernelINS0_14default_configENS1_38merge_sort_block_merge_config_selectorIxNS0_10empty_typeEEEZZNS1_27merge_sort_block_merge_implIS3_PxPS5_jNS1_19radix_merge_compareILb1ELb1ExNS0_19identity_decomposerEEEEE10hipError_tT0_T1_T2_jT3_P12ihipStream_tbPNSt15iterator_traitsISE_E10value_typeEPNSK_ISF_E10value_typeEPSG_NS1_7vsmem_tEENKUlT_SE_SF_SG_E_clIS8_S8_S9_S9_EESD_ST_SE_SF_SG_EUlST_E1_NS1_11comp_targetILNS1_3genE8ELNS1_11target_archE1030ELNS1_3gpuE2ELNS1_3repE0EEENS1_36merge_oddeven_config_static_selectorELNS0_4arch9wavefront6targetE1EEEvSF_.kd
    .uniform_work_group_size: 1
    .uses_dynamic_stack: false
    .vgpr_count:     0
    .vgpr_spill_count: 0
    .wavefront_size: 64
  - .agpr_count:     0
    .args:
      - .offset:         0
        .size:           48
        .value_kind:     by_value
    .group_segment_fixed_size: 0
    .kernarg_segment_align: 8
    .kernarg_segment_size: 48
    .language:       OpenCL C
    .language_version:
      - 2
      - 0
    .max_flat_workgroup_size: 512
    .name:           _ZN7rocprim17ROCPRIM_400000_NS6detail17trampoline_kernelINS0_14default_configENS1_35radix_sort_onesweep_config_selectorIxNS0_10empty_typeEEEZNS1_34radix_sort_onesweep_global_offsetsIS3_Lb1EPxPS5_mNS0_19identity_decomposerEEE10hipError_tT1_T2_PT3_SE_jT4_jjP12ihipStream_tbEUlT_E_NS1_11comp_targetILNS1_3genE0ELNS1_11target_archE4294967295ELNS1_3gpuE0ELNS1_3repE0EEENS1_52radix_sort_onesweep_histogram_config_static_selectorELNS0_4arch9wavefront6targetE1EEEvSC_
    .private_segment_fixed_size: 0
    .sgpr_count:     4
    .sgpr_spill_count: 0
    .symbol:         _ZN7rocprim17ROCPRIM_400000_NS6detail17trampoline_kernelINS0_14default_configENS1_35radix_sort_onesweep_config_selectorIxNS0_10empty_typeEEEZNS1_34radix_sort_onesweep_global_offsetsIS3_Lb1EPxPS5_mNS0_19identity_decomposerEEE10hipError_tT1_T2_PT3_SE_jT4_jjP12ihipStream_tbEUlT_E_NS1_11comp_targetILNS1_3genE0ELNS1_11target_archE4294967295ELNS1_3gpuE0ELNS1_3repE0EEENS1_52radix_sort_onesweep_histogram_config_static_selectorELNS0_4arch9wavefront6targetE1EEEvSC_.kd
    .uniform_work_group_size: 1
    .uses_dynamic_stack: false
    .vgpr_count:     0
    .vgpr_spill_count: 0
    .wavefront_size: 64
  - .agpr_count:     0
    .args:
      - .offset:         0
        .size:           48
        .value_kind:     by_value
    .group_segment_fixed_size: 0
    .kernarg_segment_align: 8
    .kernarg_segment_size: 48
    .language:       OpenCL C
    .language_version:
      - 2
      - 0
    .max_flat_workgroup_size: 512
    .name:           _ZN7rocprim17ROCPRIM_400000_NS6detail17trampoline_kernelINS0_14default_configENS1_35radix_sort_onesweep_config_selectorIxNS0_10empty_typeEEEZNS1_34radix_sort_onesweep_global_offsetsIS3_Lb1EPxPS5_mNS0_19identity_decomposerEEE10hipError_tT1_T2_PT3_SE_jT4_jjP12ihipStream_tbEUlT_E_NS1_11comp_targetILNS1_3genE6ELNS1_11target_archE950ELNS1_3gpuE13ELNS1_3repE0EEENS1_52radix_sort_onesweep_histogram_config_static_selectorELNS0_4arch9wavefront6targetE1EEEvSC_
    .private_segment_fixed_size: 0
    .sgpr_count:     4
    .sgpr_spill_count: 0
    .symbol:         _ZN7rocprim17ROCPRIM_400000_NS6detail17trampoline_kernelINS0_14default_configENS1_35radix_sort_onesweep_config_selectorIxNS0_10empty_typeEEEZNS1_34radix_sort_onesweep_global_offsetsIS3_Lb1EPxPS5_mNS0_19identity_decomposerEEE10hipError_tT1_T2_PT3_SE_jT4_jjP12ihipStream_tbEUlT_E_NS1_11comp_targetILNS1_3genE6ELNS1_11target_archE950ELNS1_3gpuE13ELNS1_3repE0EEENS1_52radix_sort_onesweep_histogram_config_static_selectorELNS0_4arch9wavefront6targetE1EEEvSC_.kd
    .uniform_work_group_size: 1
    .uses_dynamic_stack: false
    .vgpr_count:     0
    .vgpr_spill_count: 0
    .wavefront_size: 64
  - .agpr_count:     0
    .args:
      - .offset:         0
        .size:           48
        .value_kind:     by_value
    .group_segment_fixed_size: 0
    .kernarg_segment_align: 8
    .kernarg_segment_size: 48
    .language:       OpenCL C
    .language_version:
      - 2
      - 0
    .max_flat_workgroup_size: 512
    .name:           _ZN7rocprim17ROCPRIM_400000_NS6detail17trampoline_kernelINS0_14default_configENS1_35radix_sort_onesweep_config_selectorIxNS0_10empty_typeEEEZNS1_34radix_sort_onesweep_global_offsetsIS3_Lb1EPxPS5_mNS0_19identity_decomposerEEE10hipError_tT1_T2_PT3_SE_jT4_jjP12ihipStream_tbEUlT_E_NS1_11comp_targetILNS1_3genE5ELNS1_11target_archE942ELNS1_3gpuE9ELNS1_3repE0EEENS1_52radix_sort_onesweep_histogram_config_static_selectorELNS0_4arch9wavefront6targetE1EEEvSC_
    .private_segment_fixed_size: 0
    .sgpr_count:     4
    .sgpr_spill_count: 0
    .symbol:         _ZN7rocprim17ROCPRIM_400000_NS6detail17trampoline_kernelINS0_14default_configENS1_35radix_sort_onesweep_config_selectorIxNS0_10empty_typeEEEZNS1_34radix_sort_onesweep_global_offsetsIS3_Lb1EPxPS5_mNS0_19identity_decomposerEEE10hipError_tT1_T2_PT3_SE_jT4_jjP12ihipStream_tbEUlT_E_NS1_11comp_targetILNS1_3genE5ELNS1_11target_archE942ELNS1_3gpuE9ELNS1_3repE0EEENS1_52radix_sort_onesweep_histogram_config_static_selectorELNS0_4arch9wavefront6targetE1EEEvSC_.kd
    .uniform_work_group_size: 1
    .uses_dynamic_stack: false
    .vgpr_count:     0
    .vgpr_spill_count: 0
    .wavefront_size: 64
  - .agpr_count:     0
    .args:
      - .offset:         0
        .size:           48
        .value_kind:     by_value
    .group_segment_fixed_size: 0
    .kernarg_segment_align: 8
    .kernarg_segment_size: 48
    .language:       OpenCL C
    .language_version:
      - 2
      - 0
    .max_flat_workgroup_size: 512
    .name:           _ZN7rocprim17ROCPRIM_400000_NS6detail17trampoline_kernelINS0_14default_configENS1_35radix_sort_onesweep_config_selectorIxNS0_10empty_typeEEEZNS1_34radix_sort_onesweep_global_offsetsIS3_Lb1EPxPS5_mNS0_19identity_decomposerEEE10hipError_tT1_T2_PT3_SE_jT4_jjP12ihipStream_tbEUlT_E_NS1_11comp_targetILNS1_3genE2ELNS1_11target_archE906ELNS1_3gpuE6ELNS1_3repE0EEENS1_52radix_sort_onesweep_histogram_config_static_selectorELNS0_4arch9wavefront6targetE1EEEvSC_
    .private_segment_fixed_size: 0
    .sgpr_count:     4
    .sgpr_spill_count: 0
    .symbol:         _ZN7rocprim17ROCPRIM_400000_NS6detail17trampoline_kernelINS0_14default_configENS1_35radix_sort_onesweep_config_selectorIxNS0_10empty_typeEEEZNS1_34radix_sort_onesweep_global_offsetsIS3_Lb1EPxPS5_mNS0_19identity_decomposerEEE10hipError_tT1_T2_PT3_SE_jT4_jjP12ihipStream_tbEUlT_E_NS1_11comp_targetILNS1_3genE2ELNS1_11target_archE906ELNS1_3gpuE6ELNS1_3repE0EEENS1_52radix_sort_onesweep_histogram_config_static_selectorELNS0_4arch9wavefront6targetE1EEEvSC_.kd
    .uniform_work_group_size: 1
    .uses_dynamic_stack: false
    .vgpr_count:     0
    .vgpr_spill_count: 0
    .wavefront_size: 64
  - .agpr_count:     0
    .args:
      - .offset:         0
        .size:           48
        .value_kind:     by_value
    .group_segment_fixed_size: 32768
    .kernarg_segment_align: 8
    .kernarg_segment_size: 48
    .language:       OpenCL C
    .language_version:
      - 2
      - 0
    .max_flat_workgroup_size: 1024
    .name:           _ZN7rocprim17ROCPRIM_400000_NS6detail17trampoline_kernelINS0_14default_configENS1_35radix_sort_onesweep_config_selectorIxNS0_10empty_typeEEEZNS1_34radix_sort_onesweep_global_offsetsIS3_Lb1EPxPS5_mNS0_19identity_decomposerEEE10hipError_tT1_T2_PT3_SE_jT4_jjP12ihipStream_tbEUlT_E_NS1_11comp_targetILNS1_3genE4ELNS1_11target_archE910ELNS1_3gpuE8ELNS1_3repE0EEENS1_52radix_sort_onesweep_histogram_config_static_selectorELNS0_4arch9wavefront6targetE1EEEvSC_
    .private_segment_fixed_size: 0
    .sgpr_count:     22
    .sgpr_spill_count: 0
    .symbol:         _ZN7rocprim17ROCPRIM_400000_NS6detail17trampoline_kernelINS0_14default_configENS1_35radix_sort_onesweep_config_selectorIxNS0_10empty_typeEEEZNS1_34radix_sort_onesweep_global_offsetsIS3_Lb1EPxPS5_mNS0_19identity_decomposerEEE10hipError_tT1_T2_PT3_SE_jT4_jjP12ihipStream_tbEUlT_E_NS1_11comp_targetILNS1_3genE4ELNS1_11target_archE910ELNS1_3gpuE8ELNS1_3repE0EEENS1_52radix_sort_onesweep_histogram_config_static_selectorELNS0_4arch9wavefront6targetE1EEEvSC_.kd
    .uniform_work_group_size: 1
    .uses_dynamic_stack: false
    .vgpr_count:     30
    .vgpr_spill_count: 0
    .wavefront_size: 64
  - .agpr_count:     0
    .args:
      - .offset:         0
        .size:           48
        .value_kind:     by_value
    .group_segment_fixed_size: 0
    .kernarg_segment_align: 8
    .kernarg_segment_size: 48
    .language:       OpenCL C
    .language_version:
      - 2
      - 0
    .max_flat_workgroup_size: 512
    .name:           _ZN7rocprim17ROCPRIM_400000_NS6detail17trampoline_kernelINS0_14default_configENS1_35radix_sort_onesweep_config_selectorIxNS0_10empty_typeEEEZNS1_34radix_sort_onesweep_global_offsetsIS3_Lb1EPxPS5_mNS0_19identity_decomposerEEE10hipError_tT1_T2_PT3_SE_jT4_jjP12ihipStream_tbEUlT_E_NS1_11comp_targetILNS1_3genE3ELNS1_11target_archE908ELNS1_3gpuE7ELNS1_3repE0EEENS1_52radix_sort_onesweep_histogram_config_static_selectorELNS0_4arch9wavefront6targetE1EEEvSC_
    .private_segment_fixed_size: 0
    .sgpr_count:     4
    .sgpr_spill_count: 0
    .symbol:         _ZN7rocprim17ROCPRIM_400000_NS6detail17trampoline_kernelINS0_14default_configENS1_35radix_sort_onesweep_config_selectorIxNS0_10empty_typeEEEZNS1_34radix_sort_onesweep_global_offsetsIS3_Lb1EPxPS5_mNS0_19identity_decomposerEEE10hipError_tT1_T2_PT3_SE_jT4_jjP12ihipStream_tbEUlT_E_NS1_11comp_targetILNS1_3genE3ELNS1_11target_archE908ELNS1_3gpuE7ELNS1_3repE0EEENS1_52radix_sort_onesweep_histogram_config_static_selectorELNS0_4arch9wavefront6targetE1EEEvSC_.kd
    .uniform_work_group_size: 1
    .uses_dynamic_stack: false
    .vgpr_count:     0
    .vgpr_spill_count: 0
    .wavefront_size: 64
  - .agpr_count:     0
    .args:
      - .offset:         0
        .size:           48
        .value_kind:     by_value
    .group_segment_fixed_size: 0
    .kernarg_segment_align: 8
    .kernarg_segment_size: 48
    .language:       OpenCL C
    .language_version:
      - 2
      - 0
    .max_flat_workgroup_size: 512
    .name:           _ZN7rocprim17ROCPRIM_400000_NS6detail17trampoline_kernelINS0_14default_configENS1_35radix_sort_onesweep_config_selectorIxNS0_10empty_typeEEEZNS1_34radix_sort_onesweep_global_offsetsIS3_Lb1EPxPS5_mNS0_19identity_decomposerEEE10hipError_tT1_T2_PT3_SE_jT4_jjP12ihipStream_tbEUlT_E_NS1_11comp_targetILNS1_3genE10ELNS1_11target_archE1201ELNS1_3gpuE5ELNS1_3repE0EEENS1_52radix_sort_onesweep_histogram_config_static_selectorELNS0_4arch9wavefront6targetE1EEEvSC_
    .private_segment_fixed_size: 0
    .sgpr_count:     4
    .sgpr_spill_count: 0
    .symbol:         _ZN7rocprim17ROCPRIM_400000_NS6detail17trampoline_kernelINS0_14default_configENS1_35radix_sort_onesweep_config_selectorIxNS0_10empty_typeEEEZNS1_34radix_sort_onesweep_global_offsetsIS3_Lb1EPxPS5_mNS0_19identity_decomposerEEE10hipError_tT1_T2_PT3_SE_jT4_jjP12ihipStream_tbEUlT_E_NS1_11comp_targetILNS1_3genE10ELNS1_11target_archE1201ELNS1_3gpuE5ELNS1_3repE0EEENS1_52radix_sort_onesweep_histogram_config_static_selectorELNS0_4arch9wavefront6targetE1EEEvSC_.kd
    .uniform_work_group_size: 1
    .uses_dynamic_stack: false
    .vgpr_count:     0
    .vgpr_spill_count: 0
    .wavefront_size: 64
  - .agpr_count:     0
    .args:
      - .offset:         0
        .size:           48
        .value_kind:     by_value
    .group_segment_fixed_size: 0
    .kernarg_segment_align: 8
    .kernarg_segment_size: 48
    .language:       OpenCL C
    .language_version:
      - 2
      - 0
    .max_flat_workgroup_size: 1024
    .name:           _ZN7rocprim17ROCPRIM_400000_NS6detail17trampoline_kernelINS0_14default_configENS1_35radix_sort_onesweep_config_selectorIxNS0_10empty_typeEEEZNS1_34radix_sort_onesweep_global_offsetsIS3_Lb1EPxPS5_mNS0_19identity_decomposerEEE10hipError_tT1_T2_PT3_SE_jT4_jjP12ihipStream_tbEUlT_E_NS1_11comp_targetILNS1_3genE9ELNS1_11target_archE1100ELNS1_3gpuE3ELNS1_3repE0EEENS1_52radix_sort_onesweep_histogram_config_static_selectorELNS0_4arch9wavefront6targetE1EEEvSC_
    .private_segment_fixed_size: 0
    .sgpr_count:     4
    .sgpr_spill_count: 0
    .symbol:         _ZN7rocprim17ROCPRIM_400000_NS6detail17trampoline_kernelINS0_14default_configENS1_35radix_sort_onesweep_config_selectorIxNS0_10empty_typeEEEZNS1_34radix_sort_onesweep_global_offsetsIS3_Lb1EPxPS5_mNS0_19identity_decomposerEEE10hipError_tT1_T2_PT3_SE_jT4_jjP12ihipStream_tbEUlT_E_NS1_11comp_targetILNS1_3genE9ELNS1_11target_archE1100ELNS1_3gpuE3ELNS1_3repE0EEENS1_52radix_sort_onesweep_histogram_config_static_selectorELNS0_4arch9wavefront6targetE1EEEvSC_.kd
    .uniform_work_group_size: 1
    .uses_dynamic_stack: false
    .vgpr_count:     0
    .vgpr_spill_count: 0
    .wavefront_size: 64
  - .agpr_count:     0
    .args:
      - .offset:         0
        .size:           48
        .value_kind:     by_value
    .group_segment_fixed_size: 0
    .kernarg_segment_align: 8
    .kernarg_segment_size: 48
    .language:       OpenCL C
    .language_version:
      - 2
      - 0
    .max_flat_workgroup_size: 1024
    .name:           _ZN7rocprim17ROCPRIM_400000_NS6detail17trampoline_kernelINS0_14default_configENS1_35radix_sort_onesweep_config_selectorIxNS0_10empty_typeEEEZNS1_34radix_sort_onesweep_global_offsetsIS3_Lb1EPxPS5_mNS0_19identity_decomposerEEE10hipError_tT1_T2_PT3_SE_jT4_jjP12ihipStream_tbEUlT_E_NS1_11comp_targetILNS1_3genE8ELNS1_11target_archE1030ELNS1_3gpuE2ELNS1_3repE0EEENS1_52radix_sort_onesweep_histogram_config_static_selectorELNS0_4arch9wavefront6targetE1EEEvSC_
    .private_segment_fixed_size: 0
    .sgpr_count:     4
    .sgpr_spill_count: 0
    .symbol:         _ZN7rocprim17ROCPRIM_400000_NS6detail17trampoline_kernelINS0_14default_configENS1_35radix_sort_onesweep_config_selectorIxNS0_10empty_typeEEEZNS1_34radix_sort_onesweep_global_offsetsIS3_Lb1EPxPS5_mNS0_19identity_decomposerEEE10hipError_tT1_T2_PT3_SE_jT4_jjP12ihipStream_tbEUlT_E_NS1_11comp_targetILNS1_3genE8ELNS1_11target_archE1030ELNS1_3gpuE2ELNS1_3repE0EEENS1_52radix_sort_onesweep_histogram_config_static_selectorELNS0_4arch9wavefront6targetE1EEEvSC_.kd
    .uniform_work_group_size: 1
    .uses_dynamic_stack: false
    .vgpr_count:     0
    .vgpr_spill_count: 0
    .wavefront_size: 64
  - .agpr_count:     0
    .args:
      - .address_space:  global
        .offset:         0
        .size:           8
        .value_kind:     global_buffer
    .group_segment_fixed_size: 0
    .kernarg_segment_align: 8
    .kernarg_segment_size: 8
    .language:       OpenCL C
    .language_version:
      - 2
      - 0
    .max_flat_workgroup_size: 512
    .name:           _ZN7rocprim17ROCPRIM_400000_NS6detail17trampoline_kernelINS0_14default_configENS1_35radix_sort_onesweep_config_selectorIxNS0_10empty_typeEEEZNS1_34radix_sort_onesweep_global_offsetsIS3_Lb1EPxPS5_mNS0_19identity_decomposerEEE10hipError_tT1_T2_PT3_SE_jT4_jjP12ihipStream_tbEUlT_E0_NS1_11comp_targetILNS1_3genE0ELNS1_11target_archE4294967295ELNS1_3gpuE0ELNS1_3repE0EEENS1_52radix_sort_onesweep_histogram_config_static_selectorELNS0_4arch9wavefront6targetE1EEEvSC_
    .private_segment_fixed_size: 0
    .sgpr_count:     4
    .sgpr_spill_count: 0
    .symbol:         _ZN7rocprim17ROCPRIM_400000_NS6detail17trampoline_kernelINS0_14default_configENS1_35radix_sort_onesweep_config_selectorIxNS0_10empty_typeEEEZNS1_34radix_sort_onesweep_global_offsetsIS3_Lb1EPxPS5_mNS0_19identity_decomposerEEE10hipError_tT1_T2_PT3_SE_jT4_jjP12ihipStream_tbEUlT_E0_NS1_11comp_targetILNS1_3genE0ELNS1_11target_archE4294967295ELNS1_3gpuE0ELNS1_3repE0EEENS1_52radix_sort_onesweep_histogram_config_static_selectorELNS0_4arch9wavefront6targetE1EEEvSC_.kd
    .uniform_work_group_size: 1
    .uses_dynamic_stack: false
    .vgpr_count:     0
    .vgpr_spill_count: 0
    .wavefront_size: 64
  - .agpr_count:     0
    .args:
      - .address_space:  global
        .offset:         0
        .size:           8
        .value_kind:     global_buffer
    .group_segment_fixed_size: 0
    .kernarg_segment_align: 8
    .kernarg_segment_size: 8
    .language:       OpenCL C
    .language_version:
      - 2
      - 0
    .max_flat_workgroup_size: 512
    .name:           _ZN7rocprim17ROCPRIM_400000_NS6detail17trampoline_kernelINS0_14default_configENS1_35radix_sort_onesweep_config_selectorIxNS0_10empty_typeEEEZNS1_34radix_sort_onesweep_global_offsetsIS3_Lb1EPxPS5_mNS0_19identity_decomposerEEE10hipError_tT1_T2_PT3_SE_jT4_jjP12ihipStream_tbEUlT_E0_NS1_11comp_targetILNS1_3genE6ELNS1_11target_archE950ELNS1_3gpuE13ELNS1_3repE0EEENS1_52radix_sort_onesweep_histogram_config_static_selectorELNS0_4arch9wavefront6targetE1EEEvSC_
    .private_segment_fixed_size: 0
    .sgpr_count:     4
    .sgpr_spill_count: 0
    .symbol:         _ZN7rocprim17ROCPRIM_400000_NS6detail17trampoline_kernelINS0_14default_configENS1_35radix_sort_onesweep_config_selectorIxNS0_10empty_typeEEEZNS1_34radix_sort_onesweep_global_offsetsIS3_Lb1EPxPS5_mNS0_19identity_decomposerEEE10hipError_tT1_T2_PT3_SE_jT4_jjP12ihipStream_tbEUlT_E0_NS1_11comp_targetILNS1_3genE6ELNS1_11target_archE950ELNS1_3gpuE13ELNS1_3repE0EEENS1_52radix_sort_onesweep_histogram_config_static_selectorELNS0_4arch9wavefront6targetE1EEEvSC_.kd
    .uniform_work_group_size: 1
    .uses_dynamic_stack: false
    .vgpr_count:     0
    .vgpr_spill_count: 0
    .wavefront_size: 64
  - .agpr_count:     0
    .args:
      - .address_space:  global
        .offset:         0
        .size:           8
        .value_kind:     global_buffer
    .group_segment_fixed_size: 0
    .kernarg_segment_align: 8
    .kernarg_segment_size: 8
    .language:       OpenCL C
    .language_version:
      - 2
      - 0
    .max_flat_workgroup_size: 512
    .name:           _ZN7rocprim17ROCPRIM_400000_NS6detail17trampoline_kernelINS0_14default_configENS1_35radix_sort_onesweep_config_selectorIxNS0_10empty_typeEEEZNS1_34radix_sort_onesweep_global_offsetsIS3_Lb1EPxPS5_mNS0_19identity_decomposerEEE10hipError_tT1_T2_PT3_SE_jT4_jjP12ihipStream_tbEUlT_E0_NS1_11comp_targetILNS1_3genE5ELNS1_11target_archE942ELNS1_3gpuE9ELNS1_3repE0EEENS1_52radix_sort_onesweep_histogram_config_static_selectorELNS0_4arch9wavefront6targetE1EEEvSC_
    .private_segment_fixed_size: 0
    .sgpr_count:     4
    .sgpr_spill_count: 0
    .symbol:         _ZN7rocprim17ROCPRIM_400000_NS6detail17trampoline_kernelINS0_14default_configENS1_35radix_sort_onesweep_config_selectorIxNS0_10empty_typeEEEZNS1_34radix_sort_onesweep_global_offsetsIS3_Lb1EPxPS5_mNS0_19identity_decomposerEEE10hipError_tT1_T2_PT3_SE_jT4_jjP12ihipStream_tbEUlT_E0_NS1_11comp_targetILNS1_3genE5ELNS1_11target_archE942ELNS1_3gpuE9ELNS1_3repE0EEENS1_52radix_sort_onesweep_histogram_config_static_selectorELNS0_4arch9wavefront6targetE1EEEvSC_.kd
    .uniform_work_group_size: 1
    .uses_dynamic_stack: false
    .vgpr_count:     0
    .vgpr_spill_count: 0
    .wavefront_size: 64
  - .agpr_count:     0
    .args:
      - .address_space:  global
        .offset:         0
        .size:           8
        .value_kind:     global_buffer
    .group_segment_fixed_size: 0
    .kernarg_segment_align: 8
    .kernarg_segment_size: 8
    .language:       OpenCL C
    .language_version:
      - 2
      - 0
    .max_flat_workgroup_size: 512
    .name:           _ZN7rocprim17ROCPRIM_400000_NS6detail17trampoline_kernelINS0_14default_configENS1_35radix_sort_onesweep_config_selectorIxNS0_10empty_typeEEEZNS1_34radix_sort_onesweep_global_offsetsIS3_Lb1EPxPS5_mNS0_19identity_decomposerEEE10hipError_tT1_T2_PT3_SE_jT4_jjP12ihipStream_tbEUlT_E0_NS1_11comp_targetILNS1_3genE2ELNS1_11target_archE906ELNS1_3gpuE6ELNS1_3repE0EEENS1_52radix_sort_onesweep_histogram_config_static_selectorELNS0_4arch9wavefront6targetE1EEEvSC_
    .private_segment_fixed_size: 0
    .sgpr_count:     4
    .sgpr_spill_count: 0
    .symbol:         _ZN7rocprim17ROCPRIM_400000_NS6detail17trampoline_kernelINS0_14default_configENS1_35radix_sort_onesweep_config_selectorIxNS0_10empty_typeEEEZNS1_34radix_sort_onesweep_global_offsetsIS3_Lb1EPxPS5_mNS0_19identity_decomposerEEE10hipError_tT1_T2_PT3_SE_jT4_jjP12ihipStream_tbEUlT_E0_NS1_11comp_targetILNS1_3genE2ELNS1_11target_archE906ELNS1_3gpuE6ELNS1_3repE0EEENS1_52radix_sort_onesweep_histogram_config_static_selectorELNS0_4arch9wavefront6targetE1EEEvSC_.kd
    .uniform_work_group_size: 1
    .uses_dynamic_stack: false
    .vgpr_count:     0
    .vgpr_spill_count: 0
    .wavefront_size: 64
  - .agpr_count:     0
    .args:
      - .address_space:  global
        .offset:         0
        .size:           8
        .value_kind:     global_buffer
    .group_segment_fixed_size: 128
    .kernarg_segment_align: 8
    .kernarg_segment_size: 8
    .language:       OpenCL C
    .language_version:
      - 2
      - 0
    .max_flat_workgroup_size: 1024
    .name:           _ZN7rocprim17ROCPRIM_400000_NS6detail17trampoline_kernelINS0_14default_configENS1_35radix_sort_onesweep_config_selectorIxNS0_10empty_typeEEEZNS1_34radix_sort_onesweep_global_offsetsIS3_Lb1EPxPS5_mNS0_19identity_decomposerEEE10hipError_tT1_T2_PT3_SE_jT4_jjP12ihipStream_tbEUlT_E0_NS1_11comp_targetILNS1_3genE4ELNS1_11target_archE910ELNS1_3gpuE8ELNS1_3repE0EEENS1_52radix_sort_onesweep_histogram_config_static_selectorELNS0_4arch9wavefront6targetE1EEEvSC_
    .private_segment_fixed_size: 0
    .sgpr_count:     22
    .sgpr_spill_count: 0
    .symbol:         _ZN7rocprim17ROCPRIM_400000_NS6detail17trampoline_kernelINS0_14default_configENS1_35radix_sort_onesweep_config_selectorIxNS0_10empty_typeEEEZNS1_34radix_sort_onesweep_global_offsetsIS3_Lb1EPxPS5_mNS0_19identity_decomposerEEE10hipError_tT1_T2_PT3_SE_jT4_jjP12ihipStream_tbEUlT_E0_NS1_11comp_targetILNS1_3genE4ELNS1_11target_archE910ELNS1_3gpuE8ELNS1_3repE0EEENS1_52radix_sort_onesweep_histogram_config_static_selectorELNS0_4arch9wavefront6targetE1EEEvSC_.kd
    .uniform_work_group_size: 1
    .uses_dynamic_stack: false
    .vgpr_count:     13
    .vgpr_spill_count: 0
    .wavefront_size: 64
  - .agpr_count:     0
    .args:
      - .address_space:  global
        .offset:         0
        .size:           8
        .value_kind:     global_buffer
    .group_segment_fixed_size: 0
    .kernarg_segment_align: 8
    .kernarg_segment_size: 8
    .language:       OpenCL C
    .language_version:
      - 2
      - 0
    .max_flat_workgroup_size: 512
    .name:           _ZN7rocprim17ROCPRIM_400000_NS6detail17trampoline_kernelINS0_14default_configENS1_35radix_sort_onesweep_config_selectorIxNS0_10empty_typeEEEZNS1_34radix_sort_onesweep_global_offsetsIS3_Lb1EPxPS5_mNS0_19identity_decomposerEEE10hipError_tT1_T2_PT3_SE_jT4_jjP12ihipStream_tbEUlT_E0_NS1_11comp_targetILNS1_3genE3ELNS1_11target_archE908ELNS1_3gpuE7ELNS1_3repE0EEENS1_52radix_sort_onesweep_histogram_config_static_selectorELNS0_4arch9wavefront6targetE1EEEvSC_
    .private_segment_fixed_size: 0
    .sgpr_count:     4
    .sgpr_spill_count: 0
    .symbol:         _ZN7rocprim17ROCPRIM_400000_NS6detail17trampoline_kernelINS0_14default_configENS1_35radix_sort_onesweep_config_selectorIxNS0_10empty_typeEEEZNS1_34radix_sort_onesweep_global_offsetsIS3_Lb1EPxPS5_mNS0_19identity_decomposerEEE10hipError_tT1_T2_PT3_SE_jT4_jjP12ihipStream_tbEUlT_E0_NS1_11comp_targetILNS1_3genE3ELNS1_11target_archE908ELNS1_3gpuE7ELNS1_3repE0EEENS1_52radix_sort_onesweep_histogram_config_static_selectorELNS0_4arch9wavefront6targetE1EEEvSC_.kd
    .uniform_work_group_size: 1
    .uses_dynamic_stack: false
    .vgpr_count:     0
    .vgpr_spill_count: 0
    .wavefront_size: 64
  - .agpr_count:     0
    .args:
      - .address_space:  global
        .offset:         0
        .size:           8
        .value_kind:     global_buffer
    .group_segment_fixed_size: 0
    .kernarg_segment_align: 8
    .kernarg_segment_size: 8
    .language:       OpenCL C
    .language_version:
      - 2
      - 0
    .max_flat_workgroup_size: 512
    .name:           _ZN7rocprim17ROCPRIM_400000_NS6detail17trampoline_kernelINS0_14default_configENS1_35radix_sort_onesweep_config_selectorIxNS0_10empty_typeEEEZNS1_34radix_sort_onesweep_global_offsetsIS3_Lb1EPxPS5_mNS0_19identity_decomposerEEE10hipError_tT1_T2_PT3_SE_jT4_jjP12ihipStream_tbEUlT_E0_NS1_11comp_targetILNS1_3genE10ELNS1_11target_archE1201ELNS1_3gpuE5ELNS1_3repE0EEENS1_52radix_sort_onesweep_histogram_config_static_selectorELNS0_4arch9wavefront6targetE1EEEvSC_
    .private_segment_fixed_size: 0
    .sgpr_count:     4
    .sgpr_spill_count: 0
    .symbol:         _ZN7rocprim17ROCPRIM_400000_NS6detail17trampoline_kernelINS0_14default_configENS1_35radix_sort_onesweep_config_selectorIxNS0_10empty_typeEEEZNS1_34radix_sort_onesweep_global_offsetsIS3_Lb1EPxPS5_mNS0_19identity_decomposerEEE10hipError_tT1_T2_PT3_SE_jT4_jjP12ihipStream_tbEUlT_E0_NS1_11comp_targetILNS1_3genE10ELNS1_11target_archE1201ELNS1_3gpuE5ELNS1_3repE0EEENS1_52radix_sort_onesweep_histogram_config_static_selectorELNS0_4arch9wavefront6targetE1EEEvSC_.kd
    .uniform_work_group_size: 1
    .uses_dynamic_stack: false
    .vgpr_count:     0
    .vgpr_spill_count: 0
    .wavefront_size: 64
  - .agpr_count:     0
    .args:
      - .address_space:  global
        .offset:         0
        .size:           8
        .value_kind:     global_buffer
    .group_segment_fixed_size: 0
    .kernarg_segment_align: 8
    .kernarg_segment_size: 8
    .language:       OpenCL C
    .language_version:
      - 2
      - 0
    .max_flat_workgroup_size: 1024
    .name:           _ZN7rocprim17ROCPRIM_400000_NS6detail17trampoline_kernelINS0_14default_configENS1_35radix_sort_onesweep_config_selectorIxNS0_10empty_typeEEEZNS1_34radix_sort_onesweep_global_offsetsIS3_Lb1EPxPS5_mNS0_19identity_decomposerEEE10hipError_tT1_T2_PT3_SE_jT4_jjP12ihipStream_tbEUlT_E0_NS1_11comp_targetILNS1_3genE9ELNS1_11target_archE1100ELNS1_3gpuE3ELNS1_3repE0EEENS1_52radix_sort_onesweep_histogram_config_static_selectorELNS0_4arch9wavefront6targetE1EEEvSC_
    .private_segment_fixed_size: 0
    .sgpr_count:     4
    .sgpr_spill_count: 0
    .symbol:         _ZN7rocprim17ROCPRIM_400000_NS6detail17trampoline_kernelINS0_14default_configENS1_35radix_sort_onesweep_config_selectorIxNS0_10empty_typeEEEZNS1_34radix_sort_onesweep_global_offsetsIS3_Lb1EPxPS5_mNS0_19identity_decomposerEEE10hipError_tT1_T2_PT3_SE_jT4_jjP12ihipStream_tbEUlT_E0_NS1_11comp_targetILNS1_3genE9ELNS1_11target_archE1100ELNS1_3gpuE3ELNS1_3repE0EEENS1_52radix_sort_onesweep_histogram_config_static_selectorELNS0_4arch9wavefront6targetE1EEEvSC_.kd
    .uniform_work_group_size: 1
    .uses_dynamic_stack: false
    .vgpr_count:     0
    .vgpr_spill_count: 0
    .wavefront_size: 64
  - .agpr_count:     0
    .args:
      - .address_space:  global
        .offset:         0
        .size:           8
        .value_kind:     global_buffer
    .group_segment_fixed_size: 0
    .kernarg_segment_align: 8
    .kernarg_segment_size: 8
    .language:       OpenCL C
    .language_version:
      - 2
      - 0
    .max_flat_workgroup_size: 1024
    .name:           _ZN7rocprim17ROCPRIM_400000_NS6detail17trampoline_kernelINS0_14default_configENS1_35radix_sort_onesweep_config_selectorIxNS0_10empty_typeEEEZNS1_34radix_sort_onesweep_global_offsetsIS3_Lb1EPxPS5_mNS0_19identity_decomposerEEE10hipError_tT1_T2_PT3_SE_jT4_jjP12ihipStream_tbEUlT_E0_NS1_11comp_targetILNS1_3genE8ELNS1_11target_archE1030ELNS1_3gpuE2ELNS1_3repE0EEENS1_52radix_sort_onesweep_histogram_config_static_selectorELNS0_4arch9wavefront6targetE1EEEvSC_
    .private_segment_fixed_size: 0
    .sgpr_count:     4
    .sgpr_spill_count: 0
    .symbol:         _ZN7rocprim17ROCPRIM_400000_NS6detail17trampoline_kernelINS0_14default_configENS1_35radix_sort_onesweep_config_selectorIxNS0_10empty_typeEEEZNS1_34radix_sort_onesweep_global_offsetsIS3_Lb1EPxPS5_mNS0_19identity_decomposerEEE10hipError_tT1_T2_PT3_SE_jT4_jjP12ihipStream_tbEUlT_E0_NS1_11comp_targetILNS1_3genE8ELNS1_11target_archE1030ELNS1_3gpuE2ELNS1_3repE0EEENS1_52radix_sort_onesweep_histogram_config_static_selectorELNS0_4arch9wavefront6targetE1EEEvSC_.kd
    .uniform_work_group_size: 1
    .uses_dynamic_stack: false
    .vgpr_count:     0
    .vgpr_spill_count: 0
    .wavefront_size: 64
  - .agpr_count:     0
    .args:
      - .offset:         0
        .size:           88
        .value_kind:     by_value
    .group_segment_fixed_size: 0
    .kernarg_segment_align: 8
    .kernarg_segment_size: 88
    .language:       OpenCL C
    .language_version:
      - 2
      - 0
    .max_flat_workgroup_size: 512
    .name:           _ZN7rocprim17ROCPRIM_400000_NS6detail17trampoline_kernelINS0_14default_configENS1_35radix_sort_onesweep_config_selectorIxNS0_10empty_typeEEEZZNS1_29radix_sort_onesweep_iterationIS3_Lb1EPxS8_PS5_S9_mNS0_19identity_decomposerENS1_16block_id_wrapperIjLb1EEEEE10hipError_tT1_PNSt15iterator_traitsISE_E10value_typeET2_T3_PNSF_ISK_E10value_typeET4_T5_PSP_SQ_PNS1_23onesweep_lookback_stateEbbT6_jjT7_P12ihipStream_tbENKUlT_T0_SE_SJ_E_clIS8_S8_S9_S9_EEDaSX_SY_SE_SJ_EUlSX_E_NS1_11comp_targetILNS1_3genE0ELNS1_11target_archE4294967295ELNS1_3gpuE0ELNS1_3repE0EEENS1_47radix_sort_onesweep_sort_config_static_selectorELNS0_4arch9wavefront6targetE1EEEvSE_
    .private_segment_fixed_size: 0
    .sgpr_count:     4
    .sgpr_spill_count: 0
    .symbol:         _ZN7rocprim17ROCPRIM_400000_NS6detail17trampoline_kernelINS0_14default_configENS1_35radix_sort_onesweep_config_selectorIxNS0_10empty_typeEEEZZNS1_29radix_sort_onesweep_iterationIS3_Lb1EPxS8_PS5_S9_mNS0_19identity_decomposerENS1_16block_id_wrapperIjLb1EEEEE10hipError_tT1_PNSt15iterator_traitsISE_E10value_typeET2_T3_PNSF_ISK_E10value_typeET4_T5_PSP_SQ_PNS1_23onesweep_lookback_stateEbbT6_jjT7_P12ihipStream_tbENKUlT_T0_SE_SJ_E_clIS8_S8_S9_S9_EEDaSX_SY_SE_SJ_EUlSX_E_NS1_11comp_targetILNS1_3genE0ELNS1_11target_archE4294967295ELNS1_3gpuE0ELNS1_3repE0EEENS1_47radix_sort_onesweep_sort_config_static_selectorELNS0_4arch9wavefront6targetE1EEEvSE_.kd
    .uniform_work_group_size: 1
    .uses_dynamic_stack: false
    .vgpr_count:     0
    .vgpr_spill_count: 0
    .wavefront_size: 64
  - .agpr_count:     0
    .args:
      - .offset:         0
        .size:           88
        .value_kind:     by_value
    .group_segment_fixed_size: 0
    .kernarg_segment_align: 8
    .kernarg_segment_size: 88
    .language:       OpenCL C
    .language_version:
      - 2
      - 0
    .max_flat_workgroup_size: 512
    .name:           _ZN7rocprim17ROCPRIM_400000_NS6detail17trampoline_kernelINS0_14default_configENS1_35radix_sort_onesweep_config_selectorIxNS0_10empty_typeEEEZZNS1_29radix_sort_onesweep_iterationIS3_Lb1EPxS8_PS5_S9_mNS0_19identity_decomposerENS1_16block_id_wrapperIjLb1EEEEE10hipError_tT1_PNSt15iterator_traitsISE_E10value_typeET2_T3_PNSF_ISK_E10value_typeET4_T5_PSP_SQ_PNS1_23onesweep_lookback_stateEbbT6_jjT7_P12ihipStream_tbENKUlT_T0_SE_SJ_E_clIS8_S8_S9_S9_EEDaSX_SY_SE_SJ_EUlSX_E_NS1_11comp_targetILNS1_3genE6ELNS1_11target_archE950ELNS1_3gpuE13ELNS1_3repE0EEENS1_47radix_sort_onesweep_sort_config_static_selectorELNS0_4arch9wavefront6targetE1EEEvSE_
    .private_segment_fixed_size: 0
    .sgpr_count:     4
    .sgpr_spill_count: 0
    .symbol:         _ZN7rocprim17ROCPRIM_400000_NS6detail17trampoline_kernelINS0_14default_configENS1_35radix_sort_onesweep_config_selectorIxNS0_10empty_typeEEEZZNS1_29radix_sort_onesweep_iterationIS3_Lb1EPxS8_PS5_S9_mNS0_19identity_decomposerENS1_16block_id_wrapperIjLb1EEEEE10hipError_tT1_PNSt15iterator_traitsISE_E10value_typeET2_T3_PNSF_ISK_E10value_typeET4_T5_PSP_SQ_PNS1_23onesweep_lookback_stateEbbT6_jjT7_P12ihipStream_tbENKUlT_T0_SE_SJ_E_clIS8_S8_S9_S9_EEDaSX_SY_SE_SJ_EUlSX_E_NS1_11comp_targetILNS1_3genE6ELNS1_11target_archE950ELNS1_3gpuE13ELNS1_3repE0EEENS1_47radix_sort_onesweep_sort_config_static_selectorELNS0_4arch9wavefront6targetE1EEEvSE_.kd
    .uniform_work_group_size: 1
    .uses_dynamic_stack: false
    .vgpr_count:     0
    .vgpr_spill_count: 0
    .wavefront_size: 64
  - .agpr_count:     0
    .args:
      - .offset:         0
        .size:           88
        .value_kind:     by_value
    .group_segment_fixed_size: 0
    .kernarg_segment_align: 8
    .kernarg_segment_size: 88
    .language:       OpenCL C
    .language_version:
      - 2
      - 0
    .max_flat_workgroup_size: 512
    .name:           _ZN7rocprim17ROCPRIM_400000_NS6detail17trampoline_kernelINS0_14default_configENS1_35radix_sort_onesweep_config_selectorIxNS0_10empty_typeEEEZZNS1_29radix_sort_onesweep_iterationIS3_Lb1EPxS8_PS5_S9_mNS0_19identity_decomposerENS1_16block_id_wrapperIjLb1EEEEE10hipError_tT1_PNSt15iterator_traitsISE_E10value_typeET2_T3_PNSF_ISK_E10value_typeET4_T5_PSP_SQ_PNS1_23onesweep_lookback_stateEbbT6_jjT7_P12ihipStream_tbENKUlT_T0_SE_SJ_E_clIS8_S8_S9_S9_EEDaSX_SY_SE_SJ_EUlSX_E_NS1_11comp_targetILNS1_3genE5ELNS1_11target_archE942ELNS1_3gpuE9ELNS1_3repE0EEENS1_47radix_sort_onesweep_sort_config_static_selectorELNS0_4arch9wavefront6targetE1EEEvSE_
    .private_segment_fixed_size: 0
    .sgpr_count:     4
    .sgpr_spill_count: 0
    .symbol:         _ZN7rocprim17ROCPRIM_400000_NS6detail17trampoline_kernelINS0_14default_configENS1_35radix_sort_onesweep_config_selectorIxNS0_10empty_typeEEEZZNS1_29radix_sort_onesweep_iterationIS3_Lb1EPxS8_PS5_S9_mNS0_19identity_decomposerENS1_16block_id_wrapperIjLb1EEEEE10hipError_tT1_PNSt15iterator_traitsISE_E10value_typeET2_T3_PNSF_ISK_E10value_typeET4_T5_PSP_SQ_PNS1_23onesweep_lookback_stateEbbT6_jjT7_P12ihipStream_tbENKUlT_T0_SE_SJ_E_clIS8_S8_S9_S9_EEDaSX_SY_SE_SJ_EUlSX_E_NS1_11comp_targetILNS1_3genE5ELNS1_11target_archE942ELNS1_3gpuE9ELNS1_3repE0EEENS1_47radix_sort_onesweep_sort_config_static_selectorELNS0_4arch9wavefront6targetE1EEEvSE_.kd
    .uniform_work_group_size: 1
    .uses_dynamic_stack: false
    .vgpr_count:     0
    .vgpr_spill_count: 0
    .wavefront_size: 64
  - .agpr_count:     0
    .args:
      - .offset:         0
        .size:           88
        .value_kind:     by_value
    .group_segment_fixed_size: 0
    .kernarg_segment_align: 8
    .kernarg_segment_size: 88
    .language:       OpenCL C
    .language_version:
      - 2
      - 0
    .max_flat_workgroup_size: 512
    .name:           _ZN7rocprim17ROCPRIM_400000_NS6detail17trampoline_kernelINS0_14default_configENS1_35radix_sort_onesweep_config_selectorIxNS0_10empty_typeEEEZZNS1_29radix_sort_onesweep_iterationIS3_Lb1EPxS8_PS5_S9_mNS0_19identity_decomposerENS1_16block_id_wrapperIjLb1EEEEE10hipError_tT1_PNSt15iterator_traitsISE_E10value_typeET2_T3_PNSF_ISK_E10value_typeET4_T5_PSP_SQ_PNS1_23onesweep_lookback_stateEbbT6_jjT7_P12ihipStream_tbENKUlT_T0_SE_SJ_E_clIS8_S8_S9_S9_EEDaSX_SY_SE_SJ_EUlSX_E_NS1_11comp_targetILNS1_3genE2ELNS1_11target_archE906ELNS1_3gpuE6ELNS1_3repE0EEENS1_47radix_sort_onesweep_sort_config_static_selectorELNS0_4arch9wavefront6targetE1EEEvSE_
    .private_segment_fixed_size: 0
    .sgpr_count:     4
    .sgpr_spill_count: 0
    .symbol:         _ZN7rocprim17ROCPRIM_400000_NS6detail17trampoline_kernelINS0_14default_configENS1_35radix_sort_onesweep_config_selectorIxNS0_10empty_typeEEEZZNS1_29radix_sort_onesweep_iterationIS3_Lb1EPxS8_PS5_S9_mNS0_19identity_decomposerENS1_16block_id_wrapperIjLb1EEEEE10hipError_tT1_PNSt15iterator_traitsISE_E10value_typeET2_T3_PNSF_ISK_E10value_typeET4_T5_PSP_SQ_PNS1_23onesweep_lookback_stateEbbT6_jjT7_P12ihipStream_tbENKUlT_T0_SE_SJ_E_clIS8_S8_S9_S9_EEDaSX_SY_SE_SJ_EUlSX_E_NS1_11comp_targetILNS1_3genE2ELNS1_11target_archE906ELNS1_3gpuE6ELNS1_3repE0EEENS1_47radix_sort_onesweep_sort_config_static_selectorELNS0_4arch9wavefront6targetE1EEEvSE_.kd
    .uniform_work_group_size: 1
    .uses_dynamic_stack: false
    .vgpr_count:     0
    .vgpr_spill_count: 0
    .wavefront_size: 64
  - .agpr_count:     0
    .args:
      - .offset:         0
        .size:           88
        .value_kind:     by_value
      - .offset:         88
        .size:           4
        .value_kind:     hidden_block_count_x
      - .offset:         92
        .size:           4
        .value_kind:     hidden_block_count_y
      - .offset:         96
        .size:           4
        .value_kind:     hidden_block_count_z
      - .offset:         100
        .size:           2
        .value_kind:     hidden_group_size_x
      - .offset:         102
        .size:           2
        .value_kind:     hidden_group_size_y
      - .offset:         104
        .size:           2
        .value_kind:     hidden_group_size_z
      - .offset:         106
        .size:           2
        .value_kind:     hidden_remainder_x
      - .offset:         108
        .size:           2
        .value_kind:     hidden_remainder_y
      - .offset:         110
        .size:           2
        .value_kind:     hidden_remainder_z
      - .offset:         128
        .size:           8
        .value_kind:     hidden_global_offset_x
      - .offset:         136
        .size:           8
        .value_kind:     hidden_global_offset_y
      - .offset:         144
        .size:           8
        .value_kind:     hidden_global_offset_z
      - .offset:         152
        .size:           2
        .value_kind:     hidden_grid_dims
    .group_segment_fixed_size: 20552
    .kernarg_segment_align: 8
    .kernarg_segment_size: 344
    .language:       OpenCL C
    .language_version:
      - 2
      - 0
    .max_flat_workgroup_size: 1024
    .name:           _ZN7rocprim17ROCPRIM_400000_NS6detail17trampoline_kernelINS0_14default_configENS1_35radix_sort_onesweep_config_selectorIxNS0_10empty_typeEEEZZNS1_29radix_sort_onesweep_iterationIS3_Lb1EPxS8_PS5_S9_mNS0_19identity_decomposerENS1_16block_id_wrapperIjLb1EEEEE10hipError_tT1_PNSt15iterator_traitsISE_E10value_typeET2_T3_PNSF_ISK_E10value_typeET4_T5_PSP_SQ_PNS1_23onesweep_lookback_stateEbbT6_jjT7_P12ihipStream_tbENKUlT_T0_SE_SJ_E_clIS8_S8_S9_S9_EEDaSX_SY_SE_SJ_EUlSX_E_NS1_11comp_targetILNS1_3genE4ELNS1_11target_archE910ELNS1_3gpuE8ELNS1_3repE0EEENS1_47radix_sort_onesweep_sort_config_static_selectorELNS0_4arch9wavefront6targetE1EEEvSE_
    .private_segment_fixed_size: 0
    .sgpr_count:     38
    .sgpr_spill_count: 0
    .symbol:         _ZN7rocprim17ROCPRIM_400000_NS6detail17trampoline_kernelINS0_14default_configENS1_35radix_sort_onesweep_config_selectorIxNS0_10empty_typeEEEZZNS1_29radix_sort_onesweep_iterationIS3_Lb1EPxS8_PS5_S9_mNS0_19identity_decomposerENS1_16block_id_wrapperIjLb1EEEEE10hipError_tT1_PNSt15iterator_traitsISE_E10value_typeET2_T3_PNSF_ISK_E10value_typeET4_T5_PSP_SQ_PNS1_23onesweep_lookback_stateEbbT6_jjT7_P12ihipStream_tbENKUlT_T0_SE_SJ_E_clIS8_S8_S9_S9_EEDaSX_SY_SE_SJ_EUlSX_E_NS1_11comp_targetILNS1_3genE4ELNS1_11target_archE910ELNS1_3gpuE8ELNS1_3repE0EEENS1_47radix_sort_onesweep_sort_config_static_selectorELNS0_4arch9wavefront6targetE1EEEvSE_.kd
    .uniform_work_group_size: 1
    .uses_dynamic_stack: false
    .vgpr_count:     55
    .vgpr_spill_count: 0
    .wavefront_size: 64
  - .agpr_count:     0
    .args:
      - .offset:         0
        .size:           88
        .value_kind:     by_value
    .group_segment_fixed_size: 0
    .kernarg_segment_align: 8
    .kernarg_segment_size: 88
    .language:       OpenCL C
    .language_version:
      - 2
      - 0
    .max_flat_workgroup_size: 512
    .name:           _ZN7rocprim17ROCPRIM_400000_NS6detail17trampoline_kernelINS0_14default_configENS1_35radix_sort_onesweep_config_selectorIxNS0_10empty_typeEEEZZNS1_29radix_sort_onesweep_iterationIS3_Lb1EPxS8_PS5_S9_mNS0_19identity_decomposerENS1_16block_id_wrapperIjLb1EEEEE10hipError_tT1_PNSt15iterator_traitsISE_E10value_typeET2_T3_PNSF_ISK_E10value_typeET4_T5_PSP_SQ_PNS1_23onesweep_lookback_stateEbbT6_jjT7_P12ihipStream_tbENKUlT_T0_SE_SJ_E_clIS8_S8_S9_S9_EEDaSX_SY_SE_SJ_EUlSX_E_NS1_11comp_targetILNS1_3genE3ELNS1_11target_archE908ELNS1_3gpuE7ELNS1_3repE0EEENS1_47radix_sort_onesweep_sort_config_static_selectorELNS0_4arch9wavefront6targetE1EEEvSE_
    .private_segment_fixed_size: 0
    .sgpr_count:     4
    .sgpr_spill_count: 0
    .symbol:         _ZN7rocprim17ROCPRIM_400000_NS6detail17trampoline_kernelINS0_14default_configENS1_35radix_sort_onesweep_config_selectorIxNS0_10empty_typeEEEZZNS1_29radix_sort_onesweep_iterationIS3_Lb1EPxS8_PS5_S9_mNS0_19identity_decomposerENS1_16block_id_wrapperIjLb1EEEEE10hipError_tT1_PNSt15iterator_traitsISE_E10value_typeET2_T3_PNSF_ISK_E10value_typeET4_T5_PSP_SQ_PNS1_23onesweep_lookback_stateEbbT6_jjT7_P12ihipStream_tbENKUlT_T0_SE_SJ_E_clIS8_S8_S9_S9_EEDaSX_SY_SE_SJ_EUlSX_E_NS1_11comp_targetILNS1_3genE3ELNS1_11target_archE908ELNS1_3gpuE7ELNS1_3repE0EEENS1_47radix_sort_onesweep_sort_config_static_selectorELNS0_4arch9wavefront6targetE1EEEvSE_.kd
    .uniform_work_group_size: 1
    .uses_dynamic_stack: false
    .vgpr_count:     0
    .vgpr_spill_count: 0
    .wavefront_size: 64
  - .agpr_count:     0
    .args:
      - .offset:         0
        .size:           88
        .value_kind:     by_value
    .group_segment_fixed_size: 0
    .kernarg_segment_align: 8
    .kernarg_segment_size: 88
    .language:       OpenCL C
    .language_version:
      - 2
      - 0
    .max_flat_workgroup_size: 512
    .name:           _ZN7rocprim17ROCPRIM_400000_NS6detail17trampoline_kernelINS0_14default_configENS1_35radix_sort_onesweep_config_selectorIxNS0_10empty_typeEEEZZNS1_29radix_sort_onesweep_iterationIS3_Lb1EPxS8_PS5_S9_mNS0_19identity_decomposerENS1_16block_id_wrapperIjLb1EEEEE10hipError_tT1_PNSt15iterator_traitsISE_E10value_typeET2_T3_PNSF_ISK_E10value_typeET4_T5_PSP_SQ_PNS1_23onesweep_lookback_stateEbbT6_jjT7_P12ihipStream_tbENKUlT_T0_SE_SJ_E_clIS8_S8_S9_S9_EEDaSX_SY_SE_SJ_EUlSX_E_NS1_11comp_targetILNS1_3genE10ELNS1_11target_archE1201ELNS1_3gpuE5ELNS1_3repE0EEENS1_47radix_sort_onesweep_sort_config_static_selectorELNS0_4arch9wavefront6targetE1EEEvSE_
    .private_segment_fixed_size: 0
    .sgpr_count:     4
    .sgpr_spill_count: 0
    .symbol:         _ZN7rocprim17ROCPRIM_400000_NS6detail17trampoline_kernelINS0_14default_configENS1_35radix_sort_onesweep_config_selectorIxNS0_10empty_typeEEEZZNS1_29radix_sort_onesweep_iterationIS3_Lb1EPxS8_PS5_S9_mNS0_19identity_decomposerENS1_16block_id_wrapperIjLb1EEEEE10hipError_tT1_PNSt15iterator_traitsISE_E10value_typeET2_T3_PNSF_ISK_E10value_typeET4_T5_PSP_SQ_PNS1_23onesweep_lookback_stateEbbT6_jjT7_P12ihipStream_tbENKUlT_T0_SE_SJ_E_clIS8_S8_S9_S9_EEDaSX_SY_SE_SJ_EUlSX_E_NS1_11comp_targetILNS1_3genE10ELNS1_11target_archE1201ELNS1_3gpuE5ELNS1_3repE0EEENS1_47radix_sort_onesweep_sort_config_static_selectorELNS0_4arch9wavefront6targetE1EEEvSE_.kd
    .uniform_work_group_size: 1
    .uses_dynamic_stack: false
    .vgpr_count:     0
    .vgpr_spill_count: 0
    .wavefront_size: 64
  - .agpr_count:     0
    .args:
      - .offset:         0
        .size:           88
        .value_kind:     by_value
    .group_segment_fixed_size: 0
    .kernarg_segment_align: 8
    .kernarg_segment_size: 88
    .language:       OpenCL C
    .language_version:
      - 2
      - 0
    .max_flat_workgroup_size: 1024
    .name:           _ZN7rocprim17ROCPRIM_400000_NS6detail17trampoline_kernelINS0_14default_configENS1_35radix_sort_onesweep_config_selectorIxNS0_10empty_typeEEEZZNS1_29radix_sort_onesweep_iterationIS3_Lb1EPxS8_PS5_S9_mNS0_19identity_decomposerENS1_16block_id_wrapperIjLb1EEEEE10hipError_tT1_PNSt15iterator_traitsISE_E10value_typeET2_T3_PNSF_ISK_E10value_typeET4_T5_PSP_SQ_PNS1_23onesweep_lookback_stateEbbT6_jjT7_P12ihipStream_tbENKUlT_T0_SE_SJ_E_clIS8_S8_S9_S9_EEDaSX_SY_SE_SJ_EUlSX_E_NS1_11comp_targetILNS1_3genE9ELNS1_11target_archE1100ELNS1_3gpuE3ELNS1_3repE0EEENS1_47radix_sort_onesweep_sort_config_static_selectorELNS0_4arch9wavefront6targetE1EEEvSE_
    .private_segment_fixed_size: 0
    .sgpr_count:     4
    .sgpr_spill_count: 0
    .symbol:         _ZN7rocprim17ROCPRIM_400000_NS6detail17trampoline_kernelINS0_14default_configENS1_35radix_sort_onesweep_config_selectorIxNS0_10empty_typeEEEZZNS1_29radix_sort_onesweep_iterationIS3_Lb1EPxS8_PS5_S9_mNS0_19identity_decomposerENS1_16block_id_wrapperIjLb1EEEEE10hipError_tT1_PNSt15iterator_traitsISE_E10value_typeET2_T3_PNSF_ISK_E10value_typeET4_T5_PSP_SQ_PNS1_23onesweep_lookback_stateEbbT6_jjT7_P12ihipStream_tbENKUlT_T0_SE_SJ_E_clIS8_S8_S9_S9_EEDaSX_SY_SE_SJ_EUlSX_E_NS1_11comp_targetILNS1_3genE9ELNS1_11target_archE1100ELNS1_3gpuE3ELNS1_3repE0EEENS1_47radix_sort_onesweep_sort_config_static_selectorELNS0_4arch9wavefront6targetE1EEEvSE_.kd
    .uniform_work_group_size: 1
    .uses_dynamic_stack: false
    .vgpr_count:     0
    .vgpr_spill_count: 0
    .wavefront_size: 64
  - .agpr_count:     0
    .args:
      - .offset:         0
        .size:           88
        .value_kind:     by_value
    .group_segment_fixed_size: 0
    .kernarg_segment_align: 8
    .kernarg_segment_size: 88
    .language:       OpenCL C
    .language_version:
      - 2
      - 0
    .max_flat_workgroup_size: 1024
    .name:           _ZN7rocprim17ROCPRIM_400000_NS6detail17trampoline_kernelINS0_14default_configENS1_35radix_sort_onesweep_config_selectorIxNS0_10empty_typeEEEZZNS1_29radix_sort_onesweep_iterationIS3_Lb1EPxS8_PS5_S9_mNS0_19identity_decomposerENS1_16block_id_wrapperIjLb1EEEEE10hipError_tT1_PNSt15iterator_traitsISE_E10value_typeET2_T3_PNSF_ISK_E10value_typeET4_T5_PSP_SQ_PNS1_23onesweep_lookback_stateEbbT6_jjT7_P12ihipStream_tbENKUlT_T0_SE_SJ_E_clIS8_S8_S9_S9_EEDaSX_SY_SE_SJ_EUlSX_E_NS1_11comp_targetILNS1_3genE8ELNS1_11target_archE1030ELNS1_3gpuE2ELNS1_3repE0EEENS1_47radix_sort_onesweep_sort_config_static_selectorELNS0_4arch9wavefront6targetE1EEEvSE_
    .private_segment_fixed_size: 0
    .sgpr_count:     4
    .sgpr_spill_count: 0
    .symbol:         _ZN7rocprim17ROCPRIM_400000_NS6detail17trampoline_kernelINS0_14default_configENS1_35radix_sort_onesweep_config_selectorIxNS0_10empty_typeEEEZZNS1_29radix_sort_onesweep_iterationIS3_Lb1EPxS8_PS5_S9_mNS0_19identity_decomposerENS1_16block_id_wrapperIjLb1EEEEE10hipError_tT1_PNSt15iterator_traitsISE_E10value_typeET2_T3_PNSF_ISK_E10value_typeET4_T5_PSP_SQ_PNS1_23onesweep_lookback_stateEbbT6_jjT7_P12ihipStream_tbENKUlT_T0_SE_SJ_E_clIS8_S8_S9_S9_EEDaSX_SY_SE_SJ_EUlSX_E_NS1_11comp_targetILNS1_3genE8ELNS1_11target_archE1030ELNS1_3gpuE2ELNS1_3repE0EEENS1_47radix_sort_onesweep_sort_config_static_selectorELNS0_4arch9wavefront6targetE1EEEvSE_.kd
    .uniform_work_group_size: 1
    .uses_dynamic_stack: false
    .vgpr_count:     0
    .vgpr_spill_count: 0
    .wavefront_size: 64
  - .agpr_count:     0
    .args:
      - .offset:         0
        .size:           88
        .value_kind:     by_value
    .group_segment_fixed_size: 0
    .kernarg_segment_align: 8
    .kernarg_segment_size: 88
    .language:       OpenCL C
    .language_version:
      - 2
      - 0
    .max_flat_workgroup_size: 512
    .name:           _ZN7rocprim17ROCPRIM_400000_NS6detail17trampoline_kernelINS0_14default_configENS1_35radix_sort_onesweep_config_selectorIxNS0_10empty_typeEEEZZNS1_29radix_sort_onesweep_iterationIS3_Lb1EPxS8_PS5_S9_mNS0_19identity_decomposerENS1_16block_id_wrapperIjLb0EEEEE10hipError_tT1_PNSt15iterator_traitsISE_E10value_typeET2_T3_PNSF_ISK_E10value_typeET4_T5_PSP_SQ_PNS1_23onesweep_lookback_stateEbbT6_jjT7_P12ihipStream_tbENKUlT_T0_SE_SJ_E_clIS8_S8_S9_S9_EEDaSX_SY_SE_SJ_EUlSX_E_NS1_11comp_targetILNS1_3genE0ELNS1_11target_archE4294967295ELNS1_3gpuE0ELNS1_3repE0EEENS1_47radix_sort_onesweep_sort_config_static_selectorELNS0_4arch9wavefront6targetE1EEEvSE_
    .private_segment_fixed_size: 0
    .sgpr_count:     4
    .sgpr_spill_count: 0
    .symbol:         _ZN7rocprim17ROCPRIM_400000_NS6detail17trampoline_kernelINS0_14default_configENS1_35radix_sort_onesweep_config_selectorIxNS0_10empty_typeEEEZZNS1_29radix_sort_onesweep_iterationIS3_Lb1EPxS8_PS5_S9_mNS0_19identity_decomposerENS1_16block_id_wrapperIjLb0EEEEE10hipError_tT1_PNSt15iterator_traitsISE_E10value_typeET2_T3_PNSF_ISK_E10value_typeET4_T5_PSP_SQ_PNS1_23onesweep_lookback_stateEbbT6_jjT7_P12ihipStream_tbENKUlT_T0_SE_SJ_E_clIS8_S8_S9_S9_EEDaSX_SY_SE_SJ_EUlSX_E_NS1_11comp_targetILNS1_3genE0ELNS1_11target_archE4294967295ELNS1_3gpuE0ELNS1_3repE0EEENS1_47radix_sort_onesweep_sort_config_static_selectorELNS0_4arch9wavefront6targetE1EEEvSE_.kd
    .uniform_work_group_size: 1
    .uses_dynamic_stack: false
    .vgpr_count:     0
    .vgpr_spill_count: 0
    .wavefront_size: 64
  - .agpr_count:     0
    .args:
      - .offset:         0
        .size:           88
        .value_kind:     by_value
    .group_segment_fixed_size: 0
    .kernarg_segment_align: 8
    .kernarg_segment_size: 88
    .language:       OpenCL C
    .language_version:
      - 2
      - 0
    .max_flat_workgroup_size: 512
    .name:           _ZN7rocprim17ROCPRIM_400000_NS6detail17trampoline_kernelINS0_14default_configENS1_35radix_sort_onesweep_config_selectorIxNS0_10empty_typeEEEZZNS1_29radix_sort_onesweep_iterationIS3_Lb1EPxS8_PS5_S9_mNS0_19identity_decomposerENS1_16block_id_wrapperIjLb0EEEEE10hipError_tT1_PNSt15iterator_traitsISE_E10value_typeET2_T3_PNSF_ISK_E10value_typeET4_T5_PSP_SQ_PNS1_23onesweep_lookback_stateEbbT6_jjT7_P12ihipStream_tbENKUlT_T0_SE_SJ_E_clIS8_S8_S9_S9_EEDaSX_SY_SE_SJ_EUlSX_E_NS1_11comp_targetILNS1_3genE6ELNS1_11target_archE950ELNS1_3gpuE13ELNS1_3repE0EEENS1_47radix_sort_onesweep_sort_config_static_selectorELNS0_4arch9wavefront6targetE1EEEvSE_
    .private_segment_fixed_size: 0
    .sgpr_count:     4
    .sgpr_spill_count: 0
    .symbol:         _ZN7rocprim17ROCPRIM_400000_NS6detail17trampoline_kernelINS0_14default_configENS1_35radix_sort_onesweep_config_selectorIxNS0_10empty_typeEEEZZNS1_29radix_sort_onesweep_iterationIS3_Lb1EPxS8_PS5_S9_mNS0_19identity_decomposerENS1_16block_id_wrapperIjLb0EEEEE10hipError_tT1_PNSt15iterator_traitsISE_E10value_typeET2_T3_PNSF_ISK_E10value_typeET4_T5_PSP_SQ_PNS1_23onesweep_lookback_stateEbbT6_jjT7_P12ihipStream_tbENKUlT_T0_SE_SJ_E_clIS8_S8_S9_S9_EEDaSX_SY_SE_SJ_EUlSX_E_NS1_11comp_targetILNS1_3genE6ELNS1_11target_archE950ELNS1_3gpuE13ELNS1_3repE0EEENS1_47radix_sort_onesweep_sort_config_static_selectorELNS0_4arch9wavefront6targetE1EEEvSE_.kd
    .uniform_work_group_size: 1
    .uses_dynamic_stack: false
    .vgpr_count:     0
    .vgpr_spill_count: 0
    .wavefront_size: 64
  - .agpr_count:     0
    .args:
      - .offset:         0
        .size:           88
        .value_kind:     by_value
    .group_segment_fixed_size: 0
    .kernarg_segment_align: 8
    .kernarg_segment_size: 88
    .language:       OpenCL C
    .language_version:
      - 2
      - 0
    .max_flat_workgroup_size: 512
    .name:           _ZN7rocprim17ROCPRIM_400000_NS6detail17trampoline_kernelINS0_14default_configENS1_35radix_sort_onesweep_config_selectorIxNS0_10empty_typeEEEZZNS1_29radix_sort_onesweep_iterationIS3_Lb1EPxS8_PS5_S9_mNS0_19identity_decomposerENS1_16block_id_wrapperIjLb0EEEEE10hipError_tT1_PNSt15iterator_traitsISE_E10value_typeET2_T3_PNSF_ISK_E10value_typeET4_T5_PSP_SQ_PNS1_23onesweep_lookback_stateEbbT6_jjT7_P12ihipStream_tbENKUlT_T0_SE_SJ_E_clIS8_S8_S9_S9_EEDaSX_SY_SE_SJ_EUlSX_E_NS1_11comp_targetILNS1_3genE5ELNS1_11target_archE942ELNS1_3gpuE9ELNS1_3repE0EEENS1_47radix_sort_onesweep_sort_config_static_selectorELNS0_4arch9wavefront6targetE1EEEvSE_
    .private_segment_fixed_size: 0
    .sgpr_count:     4
    .sgpr_spill_count: 0
    .symbol:         _ZN7rocprim17ROCPRIM_400000_NS6detail17trampoline_kernelINS0_14default_configENS1_35radix_sort_onesweep_config_selectorIxNS0_10empty_typeEEEZZNS1_29radix_sort_onesweep_iterationIS3_Lb1EPxS8_PS5_S9_mNS0_19identity_decomposerENS1_16block_id_wrapperIjLb0EEEEE10hipError_tT1_PNSt15iterator_traitsISE_E10value_typeET2_T3_PNSF_ISK_E10value_typeET4_T5_PSP_SQ_PNS1_23onesweep_lookback_stateEbbT6_jjT7_P12ihipStream_tbENKUlT_T0_SE_SJ_E_clIS8_S8_S9_S9_EEDaSX_SY_SE_SJ_EUlSX_E_NS1_11comp_targetILNS1_3genE5ELNS1_11target_archE942ELNS1_3gpuE9ELNS1_3repE0EEENS1_47radix_sort_onesweep_sort_config_static_selectorELNS0_4arch9wavefront6targetE1EEEvSE_.kd
    .uniform_work_group_size: 1
    .uses_dynamic_stack: false
    .vgpr_count:     0
    .vgpr_spill_count: 0
    .wavefront_size: 64
  - .agpr_count:     0
    .args:
      - .offset:         0
        .size:           88
        .value_kind:     by_value
    .group_segment_fixed_size: 0
    .kernarg_segment_align: 8
    .kernarg_segment_size: 88
    .language:       OpenCL C
    .language_version:
      - 2
      - 0
    .max_flat_workgroup_size: 512
    .name:           _ZN7rocprim17ROCPRIM_400000_NS6detail17trampoline_kernelINS0_14default_configENS1_35radix_sort_onesweep_config_selectorIxNS0_10empty_typeEEEZZNS1_29radix_sort_onesweep_iterationIS3_Lb1EPxS8_PS5_S9_mNS0_19identity_decomposerENS1_16block_id_wrapperIjLb0EEEEE10hipError_tT1_PNSt15iterator_traitsISE_E10value_typeET2_T3_PNSF_ISK_E10value_typeET4_T5_PSP_SQ_PNS1_23onesweep_lookback_stateEbbT6_jjT7_P12ihipStream_tbENKUlT_T0_SE_SJ_E_clIS8_S8_S9_S9_EEDaSX_SY_SE_SJ_EUlSX_E_NS1_11comp_targetILNS1_3genE2ELNS1_11target_archE906ELNS1_3gpuE6ELNS1_3repE0EEENS1_47radix_sort_onesweep_sort_config_static_selectorELNS0_4arch9wavefront6targetE1EEEvSE_
    .private_segment_fixed_size: 0
    .sgpr_count:     4
    .sgpr_spill_count: 0
    .symbol:         _ZN7rocprim17ROCPRIM_400000_NS6detail17trampoline_kernelINS0_14default_configENS1_35radix_sort_onesweep_config_selectorIxNS0_10empty_typeEEEZZNS1_29radix_sort_onesweep_iterationIS3_Lb1EPxS8_PS5_S9_mNS0_19identity_decomposerENS1_16block_id_wrapperIjLb0EEEEE10hipError_tT1_PNSt15iterator_traitsISE_E10value_typeET2_T3_PNSF_ISK_E10value_typeET4_T5_PSP_SQ_PNS1_23onesweep_lookback_stateEbbT6_jjT7_P12ihipStream_tbENKUlT_T0_SE_SJ_E_clIS8_S8_S9_S9_EEDaSX_SY_SE_SJ_EUlSX_E_NS1_11comp_targetILNS1_3genE2ELNS1_11target_archE906ELNS1_3gpuE6ELNS1_3repE0EEENS1_47radix_sort_onesweep_sort_config_static_selectorELNS0_4arch9wavefront6targetE1EEEvSE_.kd
    .uniform_work_group_size: 1
    .uses_dynamic_stack: false
    .vgpr_count:     0
    .vgpr_spill_count: 0
    .wavefront_size: 64
  - .agpr_count:     0
    .args:
      - .offset:         0
        .size:           88
        .value_kind:     by_value
      - .offset:         88
        .size:           4
        .value_kind:     hidden_block_count_x
      - .offset:         92
        .size:           4
        .value_kind:     hidden_block_count_y
      - .offset:         96
        .size:           4
        .value_kind:     hidden_block_count_z
      - .offset:         100
        .size:           2
        .value_kind:     hidden_group_size_x
      - .offset:         102
        .size:           2
        .value_kind:     hidden_group_size_y
      - .offset:         104
        .size:           2
        .value_kind:     hidden_group_size_z
      - .offset:         106
        .size:           2
        .value_kind:     hidden_remainder_x
      - .offset:         108
        .size:           2
        .value_kind:     hidden_remainder_y
      - .offset:         110
        .size:           2
        .value_kind:     hidden_remainder_z
      - .offset:         128
        .size:           8
        .value_kind:     hidden_global_offset_x
      - .offset:         136
        .size:           8
        .value_kind:     hidden_global_offset_y
      - .offset:         144
        .size:           8
        .value_kind:     hidden_global_offset_z
      - .offset:         152
        .size:           2
        .value_kind:     hidden_grid_dims
    .group_segment_fixed_size: 20552
    .kernarg_segment_align: 8
    .kernarg_segment_size: 344
    .language:       OpenCL C
    .language_version:
      - 2
      - 0
    .max_flat_workgroup_size: 1024
    .name:           _ZN7rocprim17ROCPRIM_400000_NS6detail17trampoline_kernelINS0_14default_configENS1_35radix_sort_onesweep_config_selectorIxNS0_10empty_typeEEEZZNS1_29radix_sort_onesweep_iterationIS3_Lb1EPxS8_PS5_S9_mNS0_19identity_decomposerENS1_16block_id_wrapperIjLb0EEEEE10hipError_tT1_PNSt15iterator_traitsISE_E10value_typeET2_T3_PNSF_ISK_E10value_typeET4_T5_PSP_SQ_PNS1_23onesweep_lookback_stateEbbT6_jjT7_P12ihipStream_tbENKUlT_T0_SE_SJ_E_clIS8_S8_S9_S9_EEDaSX_SY_SE_SJ_EUlSX_E_NS1_11comp_targetILNS1_3genE4ELNS1_11target_archE910ELNS1_3gpuE8ELNS1_3repE0EEENS1_47radix_sort_onesweep_sort_config_static_selectorELNS0_4arch9wavefront6targetE1EEEvSE_
    .private_segment_fixed_size: 0
    .sgpr_count:     34
    .sgpr_spill_count: 0
    .symbol:         _ZN7rocprim17ROCPRIM_400000_NS6detail17trampoline_kernelINS0_14default_configENS1_35radix_sort_onesweep_config_selectorIxNS0_10empty_typeEEEZZNS1_29radix_sort_onesweep_iterationIS3_Lb1EPxS8_PS5_S9_mNS0_19identity_decomposerENS1_16block_id_wrapperIjLb0EEEEE10hipError_tT1_PNSt15iterator_traitsISE_E10value_typeET2_T3_PNSF_ISK_E10value_typeET4_T5_PSP_SQ_PNS1_23onesweep_lookback_stateEbbT6_jjT7_P12ihipStream_tbENKUlT_T0_SE_SJ_E_clIS8_S8_S9_S9_EEDaSX_SY_SE_SJ_EUlSX_E_NS1_11comp_targetILNS1_3genE4ELNS1_11target_archE910ELNS1_3gpuE8ELNS1_3repE0EEENS1_47radix_sort_onesweep_sort_config_static_selectorELNS0_4arch9wavefront6targetE1EEEvSE_.kd
    .uniform_work_group_size: 1
    .uses_dynamic_stack: false
    .vgpr_count:     55
    .vgpr_spill_count: 0
    .wavefront_size: 64
  - .agpr_count:     0
    .args:
      - .offset:         0
        .size:           88
        .value_kind:     by_value
    .group_segment_fixed_size: 0
    .kernarg_segment_align: 8
    .kernarg_segment_size: 88
    .language:       OpenCL C
    .language_version:
      - 2
      - 0
    .max_flat_workgroup_size: 512
    .name:           _ZN7rocprim17ROCPRIM_400000_NS6detail17trampoline_kernelINS0_14default_configENS1_35radix_sort_onesweep_config_selectorIxNS0_10empty_typeEEEZZNS1_29radix_sort_onesweep_iterationIS3_Lb1EPxS8_PS5_S9_mNS0_19identity_decomposerENS1_16block_id_wrapperIjLb0EEEEE10hipError_tT1_PNSt15iterator_traitsISE_E10value_typeET2_T3_PNSF_ISK_E10value_typeET4_T5_PSP_SQ_PNS1_23onesweep_lookback_stateEbbT6_jjT7_P12ihipStream_tbENKUlT_T0_SE_SJ_E_clIS8_S8_S9_S9_EEDaSX_SY_SE_SJ_EUlSX_E_NS1_11comp_targetILNS1_3genE3ELNS1_11target_archE908ELNS1_3gpuE7ELNS1_3repE0EEENS1_47radix_sort_onesweep_sort_config_static_selectorELNS0_4arch9wavefront6targetE1EEEvSE_
    .private_segment_fixed_size: 0
    .sgpr_count:     4
    .sgpr_spill_count: 0
    .symbol:         _ZN7rocprim17ROCPRIM_400000_NS6detail17trampoline_kernelINS0_14default_configENS1_35radix_sort_onesweep_config_selectorIxNS0_10empty_typeEEEZZNS1_29radix_sort_onesweep_iterationIS3_Lb1EPxS8_PS5_S9_mNS0_19identity_decomposerENS1_16block_id_wrapperIjLb0EEEEE10hipError_tT1_PNSt15iterator_traitsISE_E10value_typeET2_T3_PNSF_ISK_E10value_typeET4_T5_PSP_SQ_PNS1_23onesweep_lookback_stateEbbT6_jjT7_P12ihipStream_tbENKUlT_T0_SE_SJ_E_clIS8_S8_S9_S9_EEDaSX_SY_SE_SJ_EUlSX_E_NS1_11comp_targetILNS1_3genE3ELNS1_11target_archE908ELNS1_3gpuE7ELNS1_3repE0EEENS1_47radix_sort_onesweep_sort_config_static_selectorELNS0_4arch9wavefront6targetE1EEEvSE_.kd
    .uniform_work_group_size: 1
    .uses_dynamic_stack: false
    .vgpr_count:     0
    .vgpr_spill_count: 0
    .wavefront_size: 64
  - .agpr_count:     0
    .args:
      - .offset:         0
        .size:           88
        .value_kind:     by_value
    .group_segment_fixed_size: 0
    .kernarg_segment_align: 8
    .kernarg_segment_size: 88
    .language:       OpenCL C
    .language_version:
      - 2
      - 0
    .max_flat_workgroup_size: 512
    .name:           _ZN7rocprim17ROCPRIM_400000_NS6detail17trampoline_kernelINS0_14default_configENS1_35radix_sort_onesweep_config_selectorIxNS0_10empty_typeEEEZZNS1_29radix_sort_onesweep_iterationIS3_Lb1EPxS8_PS5_S9_mNS0_19identity_decomposerENS1_16block_id_wrapperIjLb0EEEEE10hipError_tT1_PNSt15iterator_traitsISE_E10value_typeET2_T3_PNSF_ISK_E10value_typeET4_T5_PSP_SQ_PNS1_23onesweep_lookback_stateEbbT6_jjT7_P12ihipStream_tbENKUlT_T0_SE_SJ_E_clIS8_S8_S9_S9_EEDaSX_SY_SE_SJ_EUlSX_E_NS1_11comp_targetILNS1_3genE10ELNS1_11target_archE1201ELNS1_3gpuE5ELNS1_3repE0EEENS1_47radix_sort_onesweep_sort_config_static_selectorELNS0_4arch9wavefront6targetE1EEEvSE_
    .private_segment_fixed_size: 0
    .sgpr_count:     4
    .sgpr_spill_count: 0
    .symbol:         _ZN7rocprim17ROCPRIM_400000_NS6detail17trampoline_kernelINS0_14default_configENS1_35radix_sort_onesweep_config_selectorIxNS0_10empty_typeEEEZZNS1_29radix_sort_onesweep_iterationIS3_Lb1EPxS8_PS5_S9_mNS0_19identity_decomposerENS1_16block_id_wrapperIjLb0EEEEE10hipError_tT1_PNSt15iterator_traitsISE_E10value_typeET2_T3_PNSF_ISK_E10value_typeET4_T5_PSP_SQ_PNS1_23onesweep_lookback_stateEbbT6_jjT7_P12ihipStream_tbENKUlT_T0_SE_SJ_E_clIS8_S8_S9_S9_EEDaSX_SY_SE_SJ_EUlSX_E_NS1_11comp_targetILNS1_3genE10ELNS1_11target_archE1201ELNS1_3gpuE5ELNS1_3repE0EEENS1_47radix_sort_onesweep_sort_config_static_selectorELNS0_4arch9wavefront6targetE1EEEvSE_.kd
    .uniform_work_group_size: 1
    .uses_dynamic_stack: false
    .vgpr_count:     0
    .vgpr_spill_count: 0
    .wavefront_size: 64
  - .agpr_count:     0
    .args:
      - .offset:         0
        .size:           88
        .value_kind:     by_value
    .group_segment_fixed_size: 0
    .kernarg_segment_align: 8
    .kernarg_segment_size: 88
    .language:       OpenCL C
    .language_version:
      - 2
      - 0
    .max_flat_workgroup_size: 1024
    .name:           _ZN7rocprim17ROCPRIM_400000_NS6detail17trampoline_kernelINS0_14default_configENS1_35radix_sort_onesweep_config_selectorIxNS0_10empty_typeEEEZZNS1_29radix_sort_onesweep_iterationIS3_Lb1EPxS8_PS5_S9_mNS0_19identity_decomposerENS1_16block_id_wrapperIjLb0EEEEE10hipError_tT1_PNSt15iterator_traitsISE_E10value_typeET2_T3_PNSF_ISK_E10value_typeET4_T5_PSP_SQ_PNS1_23onesweep_lookback_stateEbbT6_jjT7_P12ihipStream_tbENKUlT_T0_SE_SJ_E_clIS8_S8_S9_S9_EEDaSX_SY_SE_SJ_EUlSX_E_NS1_11comp_targetILNS1_3genE9ELNS1_11target_archE1100ELNS1_3gpuE3ELNS1_3repE0EEENS1_47radix_sort_onesweep_sort_config_static_selectorELNS0_4arch9wavefront6targetE1EEEvSE_
    .private_segment_fixed_size: 0
    .sgpr_count:     4
    .sgpr_spill_count: 0
    .symbol:         _ZN7rocprim17ROCPRIM_400000_NS6detail17trampoline_kernelINS0_14default_configENS1_35radix_sort_onesweep_config_selectorIxNS0_10empty_typeEEEZZNS1_29radix_sort_onesweep_iterationIS3_Lb1EPxS8_PS5_S9_mNS0_19identity_decomposerENS1_16block_id_wrapperIjLb0EEEEE10hipError_tT1_PNSt15iterator_traitsISE_E10value_typeET2_T3_PNSF_ISK_E10value_typeET4_T5_PSP_SQ_PNS1_23onesweep_lookback_stateEbbT6_jjT7_P12ihipStream_tbENKUlT_T0_SE_SJ_E_clIS8_S8_S9_S9_EEDaSX_SY_SE_SJ_EUlSX_E_NS1_11comp_targetILNS1_3genE9ELNS1_11target_archE1100ELNS1_3gpuE3ELNS1_3repE0EEENS1_47radix_sort_onesweep_sort_config_static_selectorELNS0_4arch9wavefront6targetE1EEEvSE_.kd
    .uniform_work_group_size: 1
    .uses_dynamic_stack: false
    .vgpr_count:     0
    .vgpr_spill_count: 0
    .wavefront_size: 64
  - .agpr_count:     0
    .args:
      - .offset:         0
        .size:           88
        .value_kind:     by_value
    .group_segment_fixed_size: 0
    .kernarg_segment_align: 8
    .kernarg_segment_size: 88
    .language:       OpenCL C
    .language_version:
      - 2
      - 0
    .max_flat_workgroup_size: 1024
    .name:           _ZN7rocprim17ROCPRIM_400000_NS6detail17trampoline_kernelINS0_14default_configENS1_35radix_sort_onesweep_config_selectorIxNS0_10empty_typeEEEZZNS1_29radix_sort_onesweep_iterationIS3_Lb1EPxS8_PS5_S9_mNS0_19identity_decomposerENS1_16block_id_wrapperIjLb0EEEEE10hipError_tT1_PNSt15iterator_traitsISE_E10value_typeET2_T3_PNSF_ISK_E10value_typeET4_T5_PSP_SQ_PNS1_23onesweep_lookback_stateEbbT6_jjT7_P12ihipStream_tbENKUlT_T0_SE_SJ_E_clIS8_S8_S9_S9_EEDaSX_SY_SE_SJ_EUlSX_E_NS1_11comp_targetILNS1_3genE8ELNS1_11target_archE1030ELNS1_3gpuE2ELNS1_3repE0EEENS1_47radix_sort_onesweep_sort_config_static_selectorELNS0_4arch9wavefront6targetE1EEEvSE_
    .private_segment_fixed_size: 0
    .sgpr_count:     4
    .sgpr_spill_count: 0
    .symbol:         _ZN7rocprim17ROCPRIM_400000_NS6detail17trampoline_kernelINS0_14default_configENS1_35radix_sort_onesweep_config_selectorIxNS0_10empty_typeEEEZZNS1_29radix_sort_onesweep_iterationIS3_Lb1EPxS8_PS5_S9_mNS0_19identity_decomposerENS1_16block_id_wrapperIjLb0EEEEE10hipError_tT1_PNSt15iterator_traitsISE_E10value_typeET2_T3_PNSF_ISK_E10value_typeET4_T5_PSP_SQ_PNS1_23onesweep_lookback_stateEbbT6_jjT7_P12ihipStream_tbENKUlT_T0_SE_SJ_E_clIS8_S8_S9_S9_EEDaSX_SY_SE_SJ_EUlSX_E_NS1_11comp_targetILNS1_3genE8ELNS1_11target_archE1030ELNS1_3gpuE2ELNS1_3repE0EEENS1_47radix_sort_onesweep_sort_config_static_selectorELNS0_4arch9wavefront6targetE1EEEvSE_.kd
    .uniform_work_group_size: 1
    .uses_dynamic_stack: false
    .vgpr_count:     0
    .vgpr_spill_count: 0
    .wavefront_size: 64
  - .agpr_count:     0
    .args:
      - .offset:         0
        .size:           48
        .value_kind:     by_value
    .group_segment_fixed_size: 0
    .kernarg_segment_align: 8
    .kernarg_segment_size: 48
    .language:       OpenCL C
    .language_version:
      - 2
      - 0
    .max_flat_workgroup_size: 256
    .name:           _ZN7rocprim17ROCPRIM_400000_NS6detail17trampoline_kernelINS0_13kernel_configILj256ELj4ELj4294967295EEENS1_37radix_sort_block_sort_config_selectorIyNS0_10empty_typeEEEZNS1_21radix_sort_block_sortIS4_Lb1EPyS9_PS6_SA_NS0_19identity_decomposerEEE10hipError_tT1_T2_T3_T4_jRjT5_jjP12ihipStream_tbEUlT_E_NS1_11comp_targetILNS1_3genE0ELNS1_11target_archE4294967295ELNS1_3gpuE0ELNS1_3repE0EEENS1_44radix_sort_block_sort_config_static_selectorELNS0_4arch9wavefront6targetE1EEEvSD_
    .private_segment_fixed_size: 0
    .sgpr_count:     4
    .sgpr_spill_count: 0
    .symbol:         _ZN7rocprim17ROCPRIM_400000_NS6detail17trampoline_kernelINS0_13kernel_configILj256ELj4ELj4294967295EEENS1_37radix_sort_block_sort_config_selectorIyNS0_10empty_typeEEEZNS1_21radix_sort_block_sortIS4_Lb1EPyS9_PS6_SA_NS0_19identity_decomposerEEE10hipError_tT1_T2_T3_T4_jRjT5_jjP12ihipStream_tbEUlT_E_NS1_11comp_targetILNS1_3genE0ELNS1_11target_archE4294967295ELNS1_3gpuE0ELNS1_3repE0EEENS1_44radix_sort_block_sort_config_static_selectorELNS0_4arch9wavefront6targetE1EEEvSD_.kd
    .uniform_work_group_size: 1
    .uses_dynamic_stack: false
    .vgpr_count:     0
    .vgpr_spill_count: 0
    .wavefront_size: 64
  - .agpr_count:     0
    .args:
      - .offset:         0
        .size:           48
        .value_kind:     by_value
    .group_segment_fixed_size: 0
    .kernarg_segment_align: 8
    .kernarg_segment_size: 48
    .language:       OpenCL C
    .language_version:
      - 2
      - 0
    .max_flat_workgroup_size: 256
    .name:           _ZN7rocprim17ROCPRIM_400000_NS6detail17trampoline_kernelINS0_13kernel_configILj256ELj4ELj4294967295EEENS1_37radix_sort_block_sort_config_selectorIyNS0_10empty_typeEEEZNS1_21radix_sort_block_sortIS4_Lb1EPyS9_PS6_SA_NS0_19identity_decomposerEEE10hipError_tT1_T2_T3_T4_jRjT5_jjP12ihipStream_tbEUlT_E_NS1_11comp_targetILNS1_3genE5ELNS1_11target_archE942ELNS1_3gpuE9ELNS1_3repE0EEENS1_44radix_sort_block_sort_config_static_selectorELNS0_4arch9wavefront6targetE1EEEvSD_
    .private_segment_fixed_size: 0
    .sgpr_count:     4
    .sgpr_spill_count: 0
    .symbol:         _ZN7rocprim17ROCPRIM_400000_NS6detail17trampoline_kernelINS0_13kernel_configILj256ELj4ELj4294967295EEENS1_37radix_sort_block_sort_config_selectorIyNS0_10empty_typeEEEZNS1_21radix_sort_block_sortIS4_Lb1EPyS9_PS6_SA_NS0_19identity_decomposerEEE10hipError_tT1_T2_T3_T4_jRjT5_jjP12ihipStream_tbEUlT_E_NS1_11comp_targetILNS1_3genE5ELNS1_11target_archE942ELNS1_3gpuE9ELNS1_3repE0EEENS1_44radix_sort_block_sort_config_static_selectorELNS0_4arch9wavefront6targetE1EEEvSD_.kd
    .uniform_work_group_size: 1
    .uses_dynamic_stack: false
    .vgpr_count:     0
    .vgpr_spill_count: 0
    .wavefront_size: 64
  - .agpr_count:     0
    .args:
      - .offset:         0
        .size:           48
        .value_kind:     by_value
      - .offset:         48
        .size:           4
        .value_kind:     hidden_block_count_x
      - .offset:         52
        .size:           4
        .value_kind:     hidden_block_count_y
      - .offset:         56
        .size:           4
        .value_kind:     hidden_block_count_z
      - .offset:         60
        .size:           2
        .value_kind:     hidden_group_size_x
      - .offset:         62
        .size:           2
        .value_kind:     hidden_group_size_y
      - .offset:         64
        .size:           2
        .value_kind:     hidden_group_size_z
      - .offset:         66
        .size:           2
        .value_kind:     hidden_remainder_x
      - .offset:         68
        .size:           2
        .value_kind:     hidden_remainder_y
      - .offset:         70
        .size:           2
        .value_kind:     hidden_remainder_z
      - .offset:         88
        .size:           8
        .value_kind:     hidden_global_offset_x
      - .offset:         96
        .size:           8
        .value_kind:     hidden_global_offset_y
      - .offset:         104
        .size:           8
        .value_kind:     hidden_global_offset_z
      - .offset:         112
        .size:           2
        .value_kind:     hidden_grid_dims
    .group_segment_fixed_size: 8192
    .kernarg_segment_align: 8
    .kernarg_segment_size: 304
    .language:       OpenCL C
    .language_version:
      - 2
      - 0
    .max_flat_workgroup_size: 256
    .name:           _ZN7rocprim17ROCPRIM_400000_NS6detail17trampoline_kernelINS0_13kernel_configILj256ELj4ELj4294967295EEENS1_37radix_sort_block_sort_config_selectorIyNS0_10empty_typeEEEZNS1_21radix_sort_block_sortIS4_Lb1EPyS9_PS6_SA_NS0_19identity_decomposerEEE10hipError_tT1_T2_T3_T4_jRjT5_jjP12ihipStream_tbEUlT_E_NS1_11comp_targetILNS1_3genE4ELNS1_11target_archE910ELNS1_3gpuE8ELNS1_3repE0EEENS1_44radix_sort_block_sort_config_static_selectorELNS0_4arch9wavefront6targetE1EEEvSD_
    .private_segment_fixed_size: 0
    .sgpr_count:     48
    .sgpr_spill_count: 0
    .symbol:         _ZN7rocprim17ROCPRIM_400000_NS6detail17trampoline_kernelINS0_13kernel_configILj256ELj4ELj4294967295EEENS1_37radix_sort_block_sort_config_selectorIyNS0_10empty_typeEEEZNS1_21radix_sort_block_sortIS4_Lb1EPyS9_PS6_SA_NS0_19identity_decomposerEEE10hipError_tT1_T2_T3_T4_jRjT5_jjP12ihipStream_tbEUlT_E_NS1_11comp_targetILNS1_3genE4ELNS1_11target_archE910ELNS1_3gpuE8ELNS1_3repE0EEENS1_44radix_sort_block_sort_config_static_selectorELNS0_4arch9wavefront6targetE1EEEvSD_.kd
    .uniform_work_group_size: 1
    .uses_dynamic_stack: false
    .vgpr_count:     42
    .vgpr_spill_count: 0
    .wavefront_size: 64
  - .agpr_count:     0
    .args:
      - .offset:         0
        .size:           48
        .value_kind:     by_value
    .group_segment_fixed_size: 0
    .kernarg_segment_align: 8
    .kernarg_segment_size: 48
    .language:       OpenCL C
    .language_version:
      - 2
      - 0
    .max_flat_workgroup_size: 256
    .name:           _ZN7rocprim17ROCPRIM_400000_NS6detail17trampoline_kernelINS0_13kernel_configILj256ELj4ELj4294967295EEENS1_37radix_sort_block_sort_config_selectorIyNS0_10empty_typeEEEZNS1_21radix_sort_block_sortIS4_Lb1EPyS9_PS6_SA_NS0_19identity_decomposerEEE10hipError_tT1_T2_T3_T4_jRjT5_jjP12ihipStream_tbEUlT_E_NS1_11comp_targetILNS1_3genE3ELNS1_11target_archE908ELNS1_3gpuE7ELNS1_3repE0EEENS1_44radix_sort_block_sort_config_static_selectorELNS0_4arch9wavefront6targetE1EEEvSD_
    .private_segment_fixed_size: 0
    .sgpr_count:     4
    .sgpr_spill_count: 0
    .symbol:         _ZN7rocprim17ROCPRIM_400000_NS6detail17trampoline_kernelINS0_13kernel_configILj256ELj4ELj4294967295EEENS1_37radix_sort_block_sort_config_selectorIyNS0_10empty_typeEEEZNS1_21radix_sort_block_sortIS4_Lb1EPyS9_PS6_SA_NS0_19identity_decomposerEEE10hipError_tT1_T2_T3_T4_jRjT5_jjP12ihipStream_tbEUlT_E_NS1_11comp_targetILNS1_3genE3ELNS1_11target_archE908ELNS1_3gpuE7ELNS1_3repE0EEENS1_44radix_sort_block_sort_config_static_selectorELNS0_4arch9wavefront6targetE1EEEvSD_.kd
    .uniform_work_group_size: 1
    .uses_dynamic_stack: false
    .vgpr_count:     0
    .vgpr_spill_count: 0
    .wavefront_size: 64
  - .agpr_count:     0
    .args:
      - .offset:         0
        .size:           48
        .value_kind:     by_value
    .group_segment_fixed_size: 0
    .kernarg_segment_align: 8
    .kernarg_segment_size: 48
    .language:       OpenCL C
    .language_version:
      - 2
      - 0
    .max_flat_workgroup_size: 256
    .name:           _ZN7rocprim17ROCPRIM_400000_NS6detail17trampoline_kernelINS0_13kernel_configILj256ELj4ELj4294967295EEENS1_37radix_sort_block_sort_config_selectorIyNS0_10empty_typeEEEZNS1_21radix_sort_block_sortIS4_Lb1EPyS9_PS6_SA_NS0_19identity_decomposerEEE10hipError_tT1_T2_T3_T4_jRjT5_jjP12ihipStream_tbEUlT_E_NS1_11comp_targetILNS1_3genE2ELNS1_11target_archE906ELNS1_3gpuE6ELNS1_3repE0EEENS1_44radix_sort_block_sort_config_static_selectorELNS0_4arch9wavefront6targetE1EEEvSD_
    .private_segment_fixed_size: 0
    .sgpr_count:     4
    .sgpr_spill_count: 0
    .symbol:         _ZN7rocprim17ROCPRIM_400000_NS6detail17trampoline_kernelINS0_13kernel_configILj256ELj4ELj4294967295EEENS1_37radix_sort_block_sort_config_selectorIyNS0_10empty_typeEEEZNS1_21radix_sort_block_sortIS4_Lb1EPyS9_PS6_SA_NS0_19identity_decomposerEEE10hipError_tT1_T2_T3_T4_jRjT5_jjP12ihipStream_tbEUlT_E_NS1_11comp_targetILNS1_3genE2ELNS1_11target_archE906ELNS1_3gpuE6ELNS1_3repE0EEENS1_44radix_sort_block_sort_config_static_selectorELNS0_4arch9wavefront6targetE1EEEvSD_.kd
    .uniform_work_group_size: 1
    .uses_dynamic_stack: false
    .vgpr_count:     0
    .vgpr_spill_count: 0
    .wavefront_size: 64
  - .agpr_count:     0
    .args:
      - .offset:         0
        .size:           48
        .value_kind:     by_value
    .group_segment_fixed_size: 0
    .kernarg_segment_align: 8
    .kernarg_segment_size: 48
    .language:       OpenCL C
    .language_version:
      - 2
      - 0
    .max_flat_workgroup_size: 256
    .name:           _ZN7rocprim17ROCPRIM_400000_NS6detail17trampoline_kernelINS0_13kernel_configILj256ELj4ELj4294967295EEENS1_37radix_sort_block_sort_config_selectorIyNS0_10empty_typeEEEZNS1_21radix_sort_block_sortIS4_Lb1EPyS9_PS6_SA_NS0_19identity_decomposerEEE10hipError_tT1_T2_T3_T4_jRjT5_jjP12ihipStream_tbEUlT_E_NS1_11comp_targetILNS1_3genE10ELNS1_11target_archE1201ELNS1_3gpuE5ELNS1_3repE0EEENS1_44radix_sort_block_sort_config_static_selectorELNS0_4arch9wavefront6targetE1EEEvSD_
    .private_segment_fixed_size: 0
    .sgpr_count:     4
    .sgpr_spill_count: 0
    .symbol:         _ZN7rocprim17ROCPRIM_400000_NS6detail17trampoline_kernelINS0_13kernel_configILj256ELj4ELj4294967295EEENS1_37radix_sort_block_sort_config_selectorIyNS0_10empty_typeEEEZNS1_21radix_sort_block_sortIS4_Lb1EPyS9_PS6_SA_NS0_19identity_decomposerEEE10hipError_tT1_T2_T3_T4_jRjT5_jjP12ihipStream_tbEUlT_E_NS1_11comp_targetILNS1_3genE10ELNS1_11target_archE1201ELNS1_3gpuE5ELNS1_3repE0EEENS1_44radix_sort_block_sort_config_static_selectorELNS0_4arch9wavefront6targetE1EEEvSD_.kd
    .uniform_work_group_size: 1
    .uses_dynamic_stack: false
    .vgpr_count:     0
    .vgpr_spill_count: 0
    .wavefront_size: 64
  - .agpr_count:     0
    .args:
      - .offset:         0
        .size:           48
        .value_kind:     by_value
    .group_segment_fixed_size: 0
    .kernarg_segment_align: 8
    .kernarg_segment_size: 48
    .language:       OpenCL C
    .language_version:
      - 2
      - 0
    .max_flat_workgroup_size: 256
    .name:           _ZN7rocprim17ROCPRIM_400000_NS6detail17trampoline_kernelINS0_13kernel_configILj256ELj4ELj4294967295EEENS1_37radix_sort_block_sort_config_selectorIyNS0_10empty_typeEEEZNS1_21radix_sort_block_sortIS4_Lb1EPyS9_PS6_SA_NS0_19identity_decomposerEEE10hipError_tT1_T2_T3_T4_jRjT5_jjP12ihipStream_tbEUlT_E_NS1_11comp_targetILNS1_3genE10ELNS1_11target_archE1200ELNS1_3gpuE4ELNS1_3repE0EEENS1_44radix_sort_block_sort_config_static_selectorELNS0_4arch9wavefront6targetE1EEEvSD_
    .private_segment_fixed_size: 0
    .sgpr_count:     4
    .sgpr_spill_count: 0
    .symbol:         _ZN7rocprim17ROCPRIM_400000_NS6detail17trampoline_kernelINS0_13kernel_configILj256ELj4ELj4294967295EEENS1_37radix_sort_block_sort_config_selectorIyNS0_10empty_typeEEEZNS1_21radix_sort_block_sortIS4_Lb1EPyS9_PS6_SA_NS0_19identity_decomposerEEE10hipError_tT1_T2_T3_T4_jRjT5_jjP12ihipStream_tbEUlT_E_NS1_11comp_targetILNS1_3genE10ELNS1_11target_archE1200ELNS1_3gpuE4ELNS1_3repE0EEENS1_44radix_sort_block_sort_config_static_selectorELNS0_4arch9wavefront6targetE1EEEvSD_.kd
    .uniform_work_group_size: 1
    .uses_dynamic_stack: false
    .vgpr_count:     0
    .vgpr_spill_count: 0
    .wavefront_size: 64
  - .agpr_count:     0
    .args:
      - .offset:         0
        .size:           48
        .value_kind:     by_value
    .group_segment_fixed_size: 0
    .kernarg_segment_align: 8
    .kernarg_segment_size: 48
    .language:       OpenCL C
    .language_version:
      - 2
      - 0
    .max_flat_workgroup_size: 256
    .name:           _ZN7rocprim17ROCPRIM_400000_NS6detail17trampoline_kernelINS0_13kernel_configILj256ELj4ELj4294967295EEENS1_37radix_sort_block_sort_config_selectorIyNS0_10empty_typeEEEZNS1_21radix_sort_block_sortIS4_Lb1EPyS9_PS6_SA_NS0_19identity_decomposerEEE10hipError_tT1_T2_T3_T4_jRjT5_jjP12ihipStream_tbEUlT_E_NS1_11comp_targetILNS1_3genE9ELNS1_11target_archE1100ELNS1_3gpuE3ELNS1_3repE0EEENS1_44radix_sort_block_sort_config_static_selectorELNS0_4arch9wavefront6targetE1EEEvSD_
    .private_segment_fixed_size: 0
    .sgpr_count:     4
    .sgpr_spill_count: 0
    .symbol:         _ZN7rocprim17ROCPRIM_400000_NS6detail17trampoline_kernelINS0_13kernel_configILj256ELj4ELj4294967295EEENS1_37radix_sort_block_sort_config_selectorIyNS0_10empty_typeEEEZNS1_21radix_sort_block_sortIS4_Lb1EPyS9_PS6_SA_NS0_19identity_decomposerEEE10hipError_tT1_T2_T3_T4_jRjT5_jjP12ihipStream_tbEUlT_E_NS1_11comp_targetILNS1_3genE9ELNS1_11target_archE1100ELNS1_3gpuE3ELNS1_3repE0EEENS1_44radix_sort_block_sort_config_static_selectorELNS0_4arch9wavefront6targetE1EEEvSD_.kd
    .uniform_work_group_size: 1
    .uses_dynamic_stack: false
    .vgpr_count:     0
    .vgpr_spill_count: 0
    .wavefront_size: 64
  - .agpr_count:     0
    .args:
      - .offset:         0
        .size:           48
        .value_kind:     by_value
    .group_segment_fixed_size: 0
    .kernarg_segment_align: 8
    .kernarg_segment_size: 48
    .language:       OpenCL C
    .language_version:
      - 2
      - 0
    .max_flat_workgroup_size: 256
    .name:           _ZN7rocprim17ROCPRIM_400000_NS6detail17trampoline_kernelINS0_13kernel_configILj256ELj4ELj4294967295EEENS1_37radix_sort_block_sort_config_selectorIyNS0_10empty_typeEEEZNS1_21radix_sort_block_sortIS4_Lb1EPyS9_PS6_SA_NS0_19identity_decomposerEEE10hipError_tT1_T2_T3_T4_jRjT5_jjP12ihipStream_tbEUlT_E_NS1_11comp_targetILNS1_3genE8ELNS1_11target_archE1030ELNS1_3gpuE2ELNS1_3repE0EEENS1_44radix_sort_block_sort_config_static_selectorELNS0_4arch9wavefront6targetE1EEEvSD_
    .private_segment_fixed_size: 0
    .sgpr_count:     4
    .sgpr_spill_count: 0
    .symbol:         _ZN7rocprim17ROCPRIM_400000_NS6detail17trampoline_kernelINS0_13kernel_configILj256ELj4ELj4294967295EEENS1_37radix_sort_block_sort_config_selectorIyNS0_10empty_typeEEEZNS1_21radix_sort_block_sortIS4_Lb1EPyS9_PS6_SA_NS0_19identity_decomposerEEE10hipError_tT1_T2_T3_T4_jRjT5_jjP12ihipStream_tbEUlT_E_NS1_11comp_targetILNS1_3genE8ELNS1_11target_archE1030ELNS1_3gpuE2ELNS1_3repE0EEENS1_44radix_sort_block_sort_config_static_selectorELNS0_4arch9wavefront6targetE1EEEvSD_.kd
    .uniform_work_group_size: 1
    .uses_dynamic_stack: false
    .vgpr_count:     0
    .vgpr_spill_count: 0
    .wavefront_size: 64
  - .agpr_count:     0
    .args:
      - .offset:         0
        .size:           40
        .value_kind:     by_value
    .group_segment_fixed_size: 0
    .kernarg_segment_align: 8
    .kernarg_segment_size: 40
    .language:       OpenCL C
    .language_version:
      - 2
      - 0
    .max_flat_workgroup_size: 128
    .name:           _ZN7rocprim17ROCPRIM_400000_NS6detail17trampoline_kernelINS0_14default_configENS1_38merge_sort_block_merge_config_selectorIyNS0_10empty_typeEEEZZNS1_27merge_sort_block_merge_implIS3_PyPS5_jNS1_19radix_merge_compareILb1ELb0EyNS0_19identity_decomposerEEEEE10hipError_tT0_T1_T2_jT3_P12ihipStream_tbPNSt15iterator_traitsISE_E10value_typeEPNSK_ISF_E10value_typeEPSG_NS1_7vsmem_tEENKUlT_SE_SF_SG_E_clIS8_S8_S9_S9_EESD_ST_SE_SF_SG_EUlST_E_NS1_11comp_targetILNS1_3genE0ELNS1_11target_archE4294967295ELNS1_3gpuE0ELNS1_3repE0EEENS1_48merge_mergepath_partition_config_static_selectorELNS0_4arch9wavefront6targetE1EEEvSF_
    .private_segment_fixed_size: 0
    .sgpr_count:     4
    .sgpr_spill_count: 0
    .symbol:         _ZN7rocprim17ROCPRIM_400000_NS6detail17trampoline_kernelINS0_14default_configENS1_38merge_sort_block_merge_config_selectorIyNS0_10empty_typeEEEZZNS1_27merge_sort_block_merge_implIS3_PyPS5_jNS1_19radix_merge_compareILb1ELb0EyNS0_19identity_decomposerEEEEE10hipError_tT0_T1_T2_jT3_P12ihipStream_tbPNSt15iterator_traitsISE_E10value_typeEPNSK_ISF_E10value_typeEPSG_NS1_7vsmem_tEENKUlT_SE_SF_SG_E_clIS8_S8_S9_S9_EESD_ST_SE_SF_SG_EUlST_E_NS1_11comp_targetILNS1_3genE0ELNS1_11target_archE4294967295ELNS1_3gpuE0ELNS1_3repE0EEENS1_48merge_mergepath_partition_config_static_selectorELNS0_4arch9wavefront6targetE1EEEvSF_.kd
    .uniform_work_group_size: 1
    .uses_dynamic_stack: false
    .vgpr_count:     0
    .vgpr_spill_count: 0
    .wavefront_size: 64
  - .agpr_count:     0
    .args:
      - .offset:         0
        .size:           40
        .value_kind:     by_value
    .group_segment_fixed_size: 0
    .kernarg_segment_align: 8
    .kernarg_segment_size: 40
    .language:       OpenCL C
    .language_version:
      - 2
      - 0
    .max_flat_workgroup_size: 128
    .name:           _ZN7rocprim17ROCPRIM_400000_NS6detail17trampoline_kernelINS0_14default_configENS1_38merge_sort_block_merge_config_selectorIyNS0_10empty_typeEEEZZNS1_27merge_sort_block_merge_implIS3_PyPS5_jNS1_19radix_merge_compareILb1ELb0EyNS0_19identity_decomposerEEEEE10hipError_tT0_T1_T2_jT3_P12ihipStream_tbPNSt15iterator_traitsISE_E10value_typeEPNSK_ISF_E10value_typeEPSG_NS1_7vsmem_tEENKUlT_SE_SF_SG_E_clIS8_S8_S9_S9_EESD_ST_SE_SF_SG_EUlST_E_NS1_11comp_targetILNS1_3genE10ELNS1_11target_archE1201ELNS1_3gpuE5ELNS1_3repE0EEENS1_48merge_mergepath_partition_config_static_selectorELNS0_4arch9wavefront6targetE1EEEvSF_
    .private_segment_fixed_size: 0
    .sgpr_count:     4
    .sgpr_spill_count: 0
    .symbol:         _ZN7rocprim17ROCPRIM_400000_NS6detail17trampoline_kernelINS0_14default_configENS1_38merge_sort_block_merge_config_selectorIyNS0_10empty_typeEEEZZNS1_27merge_sort_block_merge_implIS3_PyPS5_jNS1_19radix_merge_compareILb1ELb0EyNS0_19identity_decomposerEEEEE10hipError_tT0_T1_T2_jT3_P12ihipStream_tbPNSt15iterator_traitsISE_E10value_typeEPNSK_ISF_E10value_typeEPSG_NS1_7vsmem_tEENKUlT_SE_SF_SG_E_clIS8_S8_S9_S9_EESD_ST_SE_SF_SG_EUlST_E_NS1_11comp_targetILNS1_3genE10ELNS1_11target_archE1201ELNS1_3gpuE5ELNS1_3repE0EEENS1_48merge_mergepath_partition_config_static_selectorELNS0_4arch9wavefront6targetE1EEEvSF_.kd
    .uniform_work_group_size: 1
    .uses_dynamic_stack: false
    .vgpr_count:     0
    .vgpr_spill_count: 0
    .wavefront_size: 64
  - .agpr_count:     0
    .args:
      - .offset:         0
        .size:           40
        .value_kind:     by_value
    .group_segment_fixed_size: 0
    .kernarg_segment_align: 8
    .kernarg_segment_size: 40
    .language:       OpenCL C
    .language_version:
      - 2
      - 0
    .max_flat_workgroup_size: 128
    .name:           _ZN7rocprim17ROCPRIM_400000_NS6detail17trampoline_kernelINS0_14default_configENS1_38merge_sort_block_merge_config_selectorIyNS0_10empty_typeEEEZZNS1_27merge_sort_block_merge_implIS3_PyPS5_jNS1_19radix_merge_compareILb1ELb0EyNS0_19identity_decomposerEEEEE10hipError_tT0_T1_T2_jT3_P12ihipStream_tbPNSt15iterator_traitsISE_E10value_typeEPNSK_ISF_E10value_typeEPSG_NS1_7vsmem_tEENKUlT_SE_SF_SG_E_clIS8_S8_S9_S9_EESD_ST_SE_SF_SG_EUlST_E_NS1_11comp_targetILNS1_3genE5ELNS1_11target_archE942ELNS1_3gpuE9ELNS1_3repE0EEENS1_48merge_mergepath_partition_config_static_selectorELNS0_4arch9wavefront6targetE1EEEvSF_
    .private_segment_fixed_size: 0
    .sgpr_count:     4
    .sgpr_spill_count: 0
    .symbol:         _ZN7rocprim17ROCPRIM_400000_NS6detail17trampoline_kernelINS0_14default_configENS1_38merge_sort_block_merge_config_selectorIyNS0_10empty_typeEEEZZNS1_27merge_sort_block_merge_implIS3_PyPS5_jNS1_19radix_merge_compareILb1ELb0EyNS0_19identity_decomposerEEEEE10hipError_tT0_T1_T2_jT3_P12ihipStream_tbPNSt15iterator_traitsISE_E10value_typeEPNSK_ISF_E10value_typeEPSG_NS1_7vsmem_tEENKUlT_SE_SF_SG_E_clIS8_S8_S9_S9_EESD_ST_SE_SF_SG_EUlST_E_NS1_11comp_targetILNS1_3genE5ELNS1_11target_archE942ELNS1_3gpuE9ELNS1_3repE0EEENS1_48merge_mergepath_partition_config_static_selectorELNS0_4arch9wavefront6targetE1EEEvSF_.kd
    .uniform_work_group_size: 1
    .uses_dynamic_stack: false
    .vgpr_count:     0
    .vgpr_spill_count: 0
    .wavefront_size: 64
  - .agpr_count:     0
    .args:
      - .offset:         0
        .size:           40
        .value_kind:     by_value
    .group_segment_fixed_size: 0
    .kernarg_segment_align: 8
    .kernarg_segment_size: 40
    .language:       OpenCL C
    .language_version:
      - 2
      - 0
    .max_flat_workgroup_size: 128
    .name:           _ZN7rocprim17ROCPRIM_400000_NS6detail17trampoline_kernelINS0_14default_configENS1_38merge_sort_block_merge_config_selectorIyNS0_10empty_typeEEEZZNS1_27merge_sort_block_merge_implIS3_PyPS5_jNS1_19radix_merge_compareILb1ELb0EyNS0_19identity_decomposerEEEEE10hipError_tT0_T1_T2_jT3_P12ihipStream_tbPNSt15iterator_traitsISE_E10value_typeEPNSK_ISF_E10value_typeEPSG_NS1_7vsmem_tEENKUlT_SE_SF_SG_E_clIS8_S8_S9_S9_EESD_ST_SE_SF_SG_EUlST_E_NS1_11comp_targetILNS1_3genE4ELNS1_11target_archE910ELNS1_3gpuE8ELNS1_3repE0EEENS1_48merge_mergepath_partition_config_static_selectorELNS0_4arch9wavefront6targetE1EEEvSF_
    .private_segment_fixed_size: 0
    .sgpr_count:     12
    .sgpr_spill_count: 0
    .symbol:         _ZN7rocprim17ROCPRIM_400000_NS6detail17trampoline_kernelINS0_14default_configENS1_38merge_sort_block_merge_config_selectorIyNS0_10empty_typeEEEZZNS1_27merge_sort_block_merge_implIS3_PyPS5_jNS1_19radix_merge_compareILb1ELb0EyNS0_19identity_decomposerEEEEE10hipError_tT0_T1_T2_jT3_P12ihipStream_tbPNSt15iterator_traitsISE_E10value_typeEPNSK_ISF_E10value_typeEPSG_NS1_7vsmem_tEENKUlT_SE_SF_SG_E_clIS8_S8_S9_S9_EESD_ST_SE_SF_SG_EUlST_E_NS1_11comp_targetILNS1_3genE4ELNS1_11target_archE910ELNS1_3gpuE8ELNS1_3repE0EEENS1_48merge_mergepath_partition_config_static_selectorELNS0_4arch9wavefront6targetE1EEEvSF_.kd
    .uniform_work_group_size: 1
    .uses_dynamic_stack: false
    .vgpr_count:     20
    .vgpr_spill_count: 0
    .wavefront_size: 64
  - .agpr_count:     0
    .args:
      - .offset:         0
        .size:           40
        .value_kind:     by_value
    .group_segment_fixed_size: 0
    .kernarg_segment_align: 8
    .kernarg_segment_size: 40
    .language:       OpenCL C
    .language_version:
      - 2
      - 0
    .max_flat_workgroup_size: 128
    .name:           _ZN7rocprim17ROCPRIM_400000_NS6detail17trampoline_kernelINS0_14default_configENS1_38merge_sort_block_merge_config_selectorIyNS0_10empty_typeEEEZZNS1_27merge_sort_block_merge_implIS3_PyPS5_jNS1_19radix_merge_compareILb1ELb0EyNS0_19identity_decomposerEEEEE10hipError_tT0_T1_T2_jT3_P12ihipStream_tbPNSt15iterator_traitsISE_E10value_typeEPNSK_ISF_E10value_typeEPSG_NS1_7vsmem_tEENKUlT_SE_SF_SG_E_clIS8_S8_S9_S9_EESD_ST_SE_SF_SG_EUlST_E_NS1_11comp_targetILNS1_3genE3ELNS1_11target_archE908ELNS1_3gpuE7ELNS1_3repE0EEENS1_48merge_mergepath_partition_config_static_selectorELNS0_4arch9wavefront6targetE1EEEvSF_
    .private_segment_fixed_size: 0
    .sgpr_count:     4
    .sgpr_spill_count: 0
    .symbol:         _ZN7rocprim17ROCPRIM_400000_NS6detail17trampoline_kernelINS0_14default_configENS1_38merge_sort_block_merge_config_selectorIyNS0_10empty_typeEEEZZNS1_27merge_sort_block_merge_implIS3_PyPS5_jNS1_19radix_merge_compareILb1ELb0EyNS0_19identity_decomposerEEEEE10hipError_tT0_T1_T2_jT3_P12ihipStream_tbPNSt15iterator_traitsISE_E10value_typeEPNSK_ISF_E10value_typeEPSG_NS1_7vsmem_tEENKUlT_SE_SF_SG_E_clIS8_S8_S9_S9_EESD_ST_SE_SF_SG_EUlST_E_NS1_11comp_targetILNS1_3genE3ELNS1_11target_archE908ELNS1_3gpuE7ELNS1_3repE0EEENS1_48merge_mergepath_partition_config_static_selectorELNS0_4arch9wavefront6targetE1EEEvSF_.kd
    .uniform_work_group_size: 1
    .uses_dynamic_stack: false
    .vgpr_count:     0
    .vgpr_spill_count: 0
    .wavefront_size: 64
  - .agpr_count:     0
    .args:
      - .offset:         0
        .size:           40
        .value_kind:     by_value
    .group_segment_fixed_size: 0
    .kernarg_segment_align: 8
    .kernarg_segment_size: 40
    .language:       OpenCL C
    .language_version:
      - 2
      - 0
    .max_flat_workgroup_size: 128
    .name:           _ZN7rocprim17ROCPRIM_400000_NS6detail17trampoline_kernelINS0_14default_configENS1_38merge_sort_block_merge_config_selectorIyNS0_10empty_typeEEEZZNS1_27merge_sort_block_merge_implIS3_PyPS5_jNS1_19radix_merge_compareILb1ELb0EyNS0_19identity_decomposerEEEEE10hipError_tT0_T1_T2_jT3_P12ihipStream_tbPNSt15iterator_traitsISE_E10value_typeEPNSK_ISF_E10value_typeEPSG_NS1_7vsmem_tEENKUlT_SE_SF_SG_E_clIS8_S8_S9_S9_EESD_ST_SE_SF_SG_EUlST_E_NS1_11comp_targetILNS1_3genE2ELNS1_11target_archE906ELNS1_3gpuE6ELNS1_3repE0EEENS1_48merge_mergepath_partition_config_static_selectorELNS0_4arch9wavefront6targetE1EEEvSF_
    .private_segment_fixed_size: 0
    .sgpr_count:     4
    .sgpr_spill_count: 0
    .symbol:         _ZN7rocprim17ROCPRIM_400000_NS6detail17trampoline_kernelINS0_14default_configENS1_38merge_sort_block_merge_config_selectorIyNS0_10empty_typeEEEZZNS1_27merge_sort_block_merge_implIS3_PyPS5_jNS1_19radix_merge_compareILb1ELb0EyNS0_19identity_decomposerEEEEE10hipError_tT0_T1_T2_jT3_P12ihipStream_tbPNSt15iterator_traitsISE_E10value_typeEPNSK_ISF_E10value_typeEPSG_NS1_7vsmem_tEENKUlT_SE_SF_SG_E_clIS8_S8_S9_S9_EESD_ST_SE_SF_SG_EUlST_E_NS1_11comp_targetILNS1_3genE2ELNS1_11target_archE906ELNS1_3gpuE6ELNS1_3repE0EEENS1_48merge_mergepath_partition_config_static_selectorELNS0_4arch9wavefront6targetE1EEEvSF_.kd
    .uniform_work_group_size: 1
    .uses_dynamic_stack: false
    .vgpr_count:     0
    .vgpr_spill_count: 0
    .wavefront_size: 64
  - .agpr_count:     0
    .args:
      - .offset:         0
        .size:           40
        .value_kind:     by_value
    .group_segment_fixed_size: 0
    .kernarg_segment_align: 8
    .kernarg_segment_size: 40
    .language:       OpenCL C
    .language_version:
      - 2
      - 0
    .max_flat_workgroup_size: 128
    .name:           _ZN7rocprim17ROCPRIM_400000_NS6detail17trampoline_kernelINS0_14default_configENS1_38merge_sort_block_merge_config_selectorIyNS0_10empty_typeEEEZZNS1_27merge_sort_block_merge_implIS3_PyPS5_jNS1_19radix_merge_compareILb1ELb0EyNS0_19identity_decomposerEEEEE10hipError_tT0_T1_T2_jT3_P12ihipStream_tbPNSt15iterator_traitsISE_E10value_typeEPNSK_ISF_E10value_typeEPSG_NS1_7vsmem_tEENKUlT_SE_SF_SG_E_clIS8_S8_S9_S9_EESD_ST_SE_SF_SG_EUlST_E_NS1_11comp_targetILNS1_3genE9ELNS1_11target_archE1100ELNS1_3gpuE3ELNS1_3repE0EEENS1_48merge_mergepath_partition_config_static_selectorELNS0_4arch9wavefront6targetE1EEEvSF_
    .private_segment_fixed_size: 0
    .sgpr_count:     4
    .sgpr_spill_count: 0
    .symbol:         _ZN7rocprim17ROCPRIM_400000_NS6detail17trampoline_kernelINS0_14default_configENS1_38merge_sort_block_merge_config_selectorIyNS0_10empty_typeEEEZZNS1_27merge_sort_block_merge_implIS3_PyPS5_jNS1_19radix_merge_compareILb1ELb0EyNS0_19identity_decomposerEEEEE10hipError_tT0_T1_T2_jT3_P12ihipStream_tbPNSt15iterator_traitsISE_E10value_typeEPNSK_ISF_E10value_typeEPSG_NS1_7vsmem_tEENKUlT_SE_SF_SG_E_clIS8_S8_S9_S9_EESD_ST_SE_SF_SG_EUlST_E_NS1_11comp_targetILNS1_3genE9ELNS1_11target_archE1100ELNS1_3gpuE3ELNS1_3repE0EEENS1_48merge_mergepath_partition_config_static_selectorELNS0_4arch9wavefront6targetE1EEEvSF_.kd
    .uniform_work_group_size: 1
    .uses_dynamic_stack: false
    .vgpr_count:     0
    .vgpr_spill_count: 0
    .wavefront_size: 64
  - .agpr_count:     0
    .args:
      - .offset:         0
        .size:           40
        .value_kind:     by_value
    .group_segment_fixed_size: 0
    .kernarg_segment_align: 8
    .kernarg_segment_size: 40
    .language:       OpenCL C
    .language_version:
      - 2
      - 0
    .max_flat_workgroup_size: 128
    .name:           _ZN7rocprim17ROCPRIM_400000_NS6detail17trampoline_kernelINS0_14default_configENS1_38merge_sort_block_merge_config_selectorIyNS0_10empty_typeEEEZZNS1_27merge_sort_block_merge_implIS3_PyPS5_jNS1_19radix_merge_compareILb1ELb0EyNS0_19identity_decomposerEEEEE10hipError_tT0_T1_T2_jT3_P12ihipStream_tbPNSt15iterator_traitsISE_E10value_typeEPNSK_ISF_E10value_typeEPSG_NS1_7vsmem_tEENKUlT_SE_SF_SG_E_clIS8_S8_S9_S9_EESD_ST_SE_SF_SG_EUlST_E_NS1_11comp_targetILNS1_3genE8ELNS1_11target_archE1030ELNS1_3gpuE2ELNS1_3repE0EEENS1_48merge_mergepath_partition_config_static_selectorELNS0_4arch9wavefront6targetE1EEEvSF_
    .private_segment_fixed_size: 0
    .sgpr_count:     4
    .sgpr_spill_count: 0
    .symbol:         _ZN7rocprim17ROCPRIM_400000_NS6detail17trampoline_kernelINS0_14default_configENS1_38merge_sort_block_merge_config_selectorIyNS0_10empty_typeEEEZZNS1_27merge_sort_block_merge_implIS3_PyPS5_jNS1_19radix_merge_compareILb1ELb0EyNS0_19identity_decomposerEEEEE10hipError_tT0_T1_T2_jT3_P12ihipStream_tbPNSt15iterator_traitsISE_E10value_typeEPNSK_ISF_E10value_typeEPSG_NS1_7vsmem_tEENKUlT_SE_SF_SG_E_clIS8_S8_S9_S9_EESD_ST_SE_SF_SG_EUlST_E_NS1_11comp_targetILNS1_3genE8ELNS1_11target_archE1030ELNS1_3gpuE2ELNS1_3repE0EEENS1_48merge_mergepath_partition_config_static_selectorELNS0_4arch9wavefront6targetE1EEEvSF_.kd
    .uniform_work_group_size: 1
    .uses_dynamic_stack: false
    .vgpr_count:     0
    .vgpr_spill_count: 0
    .wavefront_size: 64
  - .agpr_count:     0
    .args:
      - .offset:         0
        .size:           64
        .value_kind:     by_value
    .group_segment_fixed_size: 0
    .kernarg_segment_align: 8
    .kernarg_segment_size: 64
    .language:       OpenCL C
    .language_version:
      - 2
      - 0
    .max_flat_workgroup_size: 128
    .name:           _ZN7rocprim17ROCPRIM_400000_NS6detail17trampoline_kernelINS0_14default_configENS1_38merge_sort_block_merge_config_selectorIyNS0_10empty_typeEEEZZNS1_27merge_sort_block_merge_implIS3_PyPS5_jNS1_19radix_merge_compareILb1ELb0EyNS0_19identity_decomposerEEEEE10hipError_tT0_T1_T2_jT3_P12ihipStream_tbPNSt15iterator_traitsISE_E10value_typeEPNSK_ISF_E10value_typeEPSG_NS1_7vsmem_tEENKUlT_SE_SF_SG_E_clIS8_S8_S9_S9_EESD_ST_SE_SF_SG_EUlST_E0_NS1_11comp_targetILNS1_3genE0ELNS1_11target_archE4294967295ELNS1_3gpuE0ELNS1_3repE0EEENS1_38merge_mergepath_config_static_selectorELNS0_4arch9wavefront6targetE1EEEvSF_
    .private_segment_fixed_size: 0
    .sgpr_count:     4
    .sgpr_spill_count: 0
    .symbol:         _ZN7rocprim17ROCPRIM_400000_NS6detail17trampoline_kernelINS0_14default_configENS1_38merge_sort_block_merge_config_selectorIyNS0_10empty_typeEEEZZNS1_27merge_sort_block_merge_implIS3_PyPS5_jNS1_19radix_merge_compareILb1ELb0EyNS0_19identity_decomposerEEEEE10hipError_tT0_T1_T2_jT3_P12ihipStream_tbPNSt15iterator_traitsISE_E10value_typeEPNSK_ISF_E10value_typeEPSG_NS1_7vsmem_tEENKUlT_SE_SF_SG_E_clIS8_S8_S9_S9_EESD_ST_SE_SF_SG_EUlST_E0_NS1_11comp_targetILNS1_3genE0ELNS1_11target_archE4294967295ELNS1_3gpuE0ELNS1_3repE0EEENS1_38merge_mergepath_config_static_selectorELNS0_4arch9wavefront6targetE1EEEvSF_.kd
    .uniform_work_group_size: 1
    .uses_dynamic_stack: false
    .vgpr_count:     0
    .vgpr_spill_count: 0
    .wavefront_size: 64
  - .agpr_count:     0
    .args:
      - .offset:         0
        .size:           64
        .value_kind:     by_value
    .group_segment_fixed_size: 0
    .kernarg_segment_align: 8
    .kernarg_segment_size: 64
    .language:       OpenCL C
    .language_version:
      - 2
      - 0
    .max_flat_workgroup_size: 512
    .name:           _ZN7rocprim17ROCPRIM_400000_NS6detail17trampoline_kernelINS0_14default_configENS1_38merge_sort_block_merge_config_selectorIyNS0_10empty_typeEEEZZNS1_27merge_sort_block_merge_implIS3_PyPS5_jNS1_19radix_merge_compareILb1ELb0EyNS0_19identity_decomposerEEEEE10hipError_tT0_T1_T2_jT3_P12ihipStream_tbPNSt15iterator_traitsISE_E10value_typeEPNSK_ISF_E10value_typeEPSG_NS1_7vsmem_tEENKUlT_SE_SF_SG_E_clIS8_S8_S9_S9_EESD_ST_SE_SF_SG_EUlST_E0_NS1_11comp_targetILNS1_3genE10ELNS1_11target_archE1201ELNS1_3gpuE5ELNS1_3repE0EEENS1_38merge_mergepath_config_static_selectorELNS0_4arch9wavefront6targetE1EEEvSF_
    .private_segment_fixed_size: 0
    .sgpr_count:     4
    .sgpr_spill_count: 0
    .symbol:         _ZN7rocprim17ROCPRIM_400000_NS6detail17trampoline_kernelINS0_14default_configENS1_38merge_sort_block_merge_config_selectorIyNS0_10empty_typeEEEZZNS1_27merge_sort_block_merge_implIS3_PyPS5_jNS1_19radix_merge_compareILb1ELb0EyNS0_19identity_decomposerEEEEE10hipError_tT0_T1_T2_jT3_P12ihipStream_tbPNSt15iterator_traitsISE_E10value_typeEPNSK_ISF_E10value_typeEPSG_NS1_7vsmem_tEENKUlT_SE_SF_SG_E_clIS8_S8_S9_S9_EESD_ST_SE_SF_SG_EUlST_E0_NS1_11comp_targetILNS1_3genE10ELNS1_11target_archE1201ELNS1_3gpuE5ELNS1_3repE0EEENS1_38merge_mergepath_config_static_selectorELNS0_4arch9wavefront6targetE1EEEvSF_.kd
    .uniform_work_group_size: 1
    .uses_dynamic_stack: false
    .vgpr_count:     0
    .vgpr_spill_count: 0
    .wavefront_size: 64
  - .agpr_count:     0
    .args:
      - .offset:         0
        .size:           64
        .value_kind:     by_value
    .group_segment_fixed_size: 0
    .kernarg_segment_align: 8
    .kernarg_segment_size: 64
    .language:       OpenCL C
    .language_version:
      - 2
      - 0
    .max_flat_workgroup_size: 128
    .name:           _ZN7rocprim17ROCPRIM_400000_NS6detail17trampoline_kernelINS0_14default_configENS1_38merge_sort_block_merge_config_selectorIyNS0_10empty_typeEEEZZNS1_27merge_sort_block_merge_implIS3_PyPS5_jNS1_19radix_merge_compareILb1ELb0EyNS0_19identity_decomposerEEEEE10hipError_tT0_T1_T2_jT3_P12ihipStream_tbPNSt15iterator_traitsISE_E10value_typeEPNSK_ISF_E10value_typeEPSG_NS1_7vsmem_tEENKUlT_SE_SF_SG_E_clIS8_S8_S9_S9_EESD_ST_SE_SF_SG_EUlST_E0_NS1_11comp_targetILNS1_3genE5ELNS1_11target_archE942ELNS1_3gpuE9ELNS1_3repE0EEENS1_38merge_mergepath_config_static_selectorELNS0_4arch9wavefront6targetE1EEEvSF_
    .private_segment_fixed_size: 0
    .sgpr_count:     4
    .sgpr_spill_count: 0
    .symbol:         _ZN7rocprim17ROCPRIM_400000_NS6detail17trampoline_kernelINS0_14default_configENS1_38merge_sort_block_merge_config_selectorIyNS0_10empty_typeEEEZZNS1_27merge_sort_block_merge_implIS3_PyPS5_jNS1_19radix_merge_compareILb1ELb0EyNS0_19identity_decomposerEEEEE10hipError_tT0_T1_T2_jT3_P12ihipStream_tbPNSt15iterator_traitsISE_E10value_typeEPNSK_ISF_E10value_typeEPSG_NS1_7vsmem_tEENKUlT_SE_SF_SG_E_clIS8_S8_S9_S9_EESD_ST_SE_SF_SG_EUlST_E0_NS1_11comp_targetILNS1_3genE5ELNS1_11target_archE942ELNS1_3gpuE9ELNS1_3repE0EEENS1_38merge_mergepath_config_static_selectorELNS0_4arch9wavefront6targetE1EEEvSF_.kd
    .uniform_work_group_size: 1
    .uses_dynamic_stack: false
    .vgpr_count:     0
    .vgpr_spill_count: 0
    .wavefront_size: 64
  - .agpr_count:     0
    .args:
      - .offset:         0
        .size:           64
        .value_kind:     by_value
      - .offset:         64
        .size:           4
        .value_kind:     hidden_block_count_x
      - .offset:         68
        .size:           4
        .value_kind:     hidden_block_count_y
      - .offset:         72
        .size:           4
        .value_kind:     hidden_block_count_z
      - .offset:         76
        .size:           2
        .value_kind:     hidden_group_size_x
      - .offset:         78
        .size:           2
        .value_kind:     hidden_group_size_y
      - .offset:         80
        .size:           2
        .value_kind:     hidden_group_size_z
      - .offset:         82
        .size:           2
        .value_kind:     hidden_remainder_x
      - .offset:         84
        .size:           2
        .value_kind:     hidden_remainder_y
      - .offset:         86
        .size:           2
        .value_kind:     hidden_remainder_z
      - .offset:         104
        .size:           8
        .value_kind:     hidden_global_offset_x
      - .offset:         112
        .size:           8
        .value_kind:     hidden_global_offset_y
      - .offset:         120
        .size:           8
        .value_kind:     hidden_global_offset_z
      - .offset:         128
        .size:           2
        .value_kind:     hidden_grid_dims
    .group_segment_fixed_size: 8448
    .kernarg_segment_align: 8
    .kernarg_segment_size: 320
    .language:       OpenCL C
    .language_version:
      - 2
      - 0
    .max_flat_workgroup_size: 256
    .name:           _ZN7rocprim17ROCPRIM_400000_NS6detail17trampoline_kernelINS0_14default_configENS1_38merge_sort_block_merge_config_selectorIyNS0_10empty_typeEEEZZNS1_27merge_sort_block_merge_implIS3_PyPS5_jNS1_19radix_merge_compareILb1ELb0EyNS0_19identity_decomposerEEEEE10hipError_tT0_T1_T2_jT3_P12ihipStream_tbPNSt15iterator_traitsISE_E10value_typeEPNSK_ISF_E10value_typeEPSG_NS1_7vsmem_tEENKUlT_SE_SF_SG_E_clIS8_S8_S9_S9_EESD_ST_SE_SF_SG_EUlST_E0_NS1_11comp_targetILNS1_3genE4ELNS1_11target_archE910ELNS1_3gpuE8ELNS1_3repE0EEENS1_38merge_mergepath_config_static_selectorELNS0_4arch9wavefront6targetE1EEEvSF_
    .private_segment_fixed_size: 0
    .sgpr_count:     27
    .sgpr_spill_count: 0
    .symbol:         _ZN7rocprim17ROCPRIM_400000_NS6detail17trampoline_kernelINS0_14default_configENS1_38merge_sort_block_merge_config_selectorIyNS0_10empty_typeEEEZZNS1_27merge_sort_block_merge_implIS3_PyPS5_jNS1_19radix_merge_compareILb1ELb0EyNS0_19identity_decomposerEEEEE10hipError_tT0_T1_T2_jT3_P12ihipStream_tbPNSt15iterator_traitsISE_E10value_typeEPNSK_ISF_E10value_typeEPSG_NS1_7vsmem_tEENKUlT_SE_SF_SG_E_clIS8_S8_S9_S9_EESD_ST_SE_SF_SG_EUlST_E0_NS1_11comp_targetILNS1_3genE4ELNS1_11target_archE910ELNS1_3gpuE8ELNS1_3repE0EEENS1_38merge_mergepath_config_static_selectorELNS0_4arch9wavefront6targetE1EEEvSF_.kd
    .uniform_work_group_size: 1
    .uses_dynamic_stack: false
    .vgpr_count:     21
    .vgpr_spill_count: 0
    .wavefront_size: 64
  - .agpr_count:     0
    .args:
      - .offset:         0
        .size:           64
        .value_kind:     by_value
    .group_segment_fixed_size: 0
    .kernarg_segment_align: 8
    .kernarg_segment_size: 64
    .language:       OpenCL C
    .language_version:
      - 2
      - 0
    .max_flat_workgroup_size: 128
    .name:           _ZN7rocprim17ROCPRIM_400000_NS6detail17trampoline_kernelINS0_14default_configENS1_38merge_sort_block_merge_config_selectorIyNS0_10empty_typeEEEZZNS1_27merge_sort_block_merge_implIS3_PyPS5_jNS1_19radix_merge_compareILb1ELb0EyNS0_19identity_decomposerEEEEE10hipError_tT0_T1_T2_jT3_P12ihipStream_tbPNSt15iterator_traitsISE_E10value_typeEPNSK_ISF_E10value_typeEPSG_NS1_7vsmem_tEENKUlT_SE_SF_SG_E_clIS8_S8_S9_S9_EESD_ST_SE_SF_SG_EUlST_E0_NS1_11comp_targetILNS1_3genE3ELNS1_11target_archE908ELNS1_3gpuE7ELNS1_3repE0EEENS1_38merge_mergepath_config_static_selectorELNS0_4arch9wavefront6targetE1EEEvSF_
    .private_segment_fixed_size: 0
    .sgpr_count:     4
    .sgpr_spill_count: 0
    .symbol:         _ZN7rocprim17ROCPRIM_400000_NS6detail17trampoline_kernelINS0_14default_configENS1_38merge_sort_block_merge_config_selectorIyNS0_10empty_typeEEEZZNS1_27merge_sort_block_merge_implIS3_PyPS5_jNS1_19radix_merge_compareILb1ELb0EyNS0_19identity_decomposerEEEEE10hipError_tT0_T1_T2_jT3_P12ihipStream_tbPNSt15iterator_traitsISE_E10value_typeEPNSK_ISF_E10value_typeEPSG_NS1_7vsmem_tEENKUlT_SE_SF_SG_E_clIS8_S8_S9_S9_EESD_ST_SE_SF_SG_EUlST_E0_NS1_11comp_targetILNS1_3genE3ELNS1_11target_archE908ELNS1_3gpuE7ELNS1_3repE0EEENS1_38merge_mergepath_config_static_selectorELNS0_4arch9wavefront6targetE1EEEvSF_.kd
    .uniform_work_group_size: 1
    .uses_dynamic_stack: false
    .vgpr_count:     0
    .vgpr_spill_count: 0
    .wavefront_size: 64
  - .agpr_count:     0
    .args:
      - .offset:         0
        .size:           64
        .value_kind:     by_value
    .group_segment_fixed_size: 0
    .kernarg_segment_align: 8
    .kernarg_segment_size: 64
    .language:       OpenCL C
    .language_version:
      - 2
      - 0
    .max_flat_workgroup_size: 256
    .name:           _ZN7rocprim17ROCPRIM_400000_NS6detail17trampoline_kernelINS0_14default_configENS1_38merge_sort_block_merge_config_selectorIyNS0_10empty_typeEEEZZNS1_27merge_sort_block_merge_implIS3_PyPS5_jNS1_19radix_merge_compareILb1ELb0EyNS0_19identity_decomposerEEEEE10hipError_tT0_T1_T2_jT3_P12ihipStream_tbPNSt15iterator_traitsISE_E10value_typeEPNSK_ISF_E10value_typeEPSG_NS1_7vsmem_tEENKUlT_SE_SF_SG_E_clIS8_S8_S9_S9_EESD_ST_SE_SF_SG_EUlST_E0_NS1_11comp_targetILNS1_3genE2ELNS1_11target_archE906ELNS1_3gpuE6ELNS1_3repE0EEENS1_38merge_mergepath_config_static_selectorELNS0_4arch9wavefront6targetE1EEEvSF_
    .private_segment_fixed_size: 0
    .sgpr_count:     4
    .sgpr_spill_count: 0
    .symbol:         _ZN7rocprim17ROCPRIM_400000_NS6detail17trampoline_kernelINS0_14default_configENS1_38merge_sort_block_merge_config_selectorIyNS0_10empty_typeEEEZZNS1_27merge_sort_block_merge_implIS3_PyPS5_jNS1_19radix_merge_compareILb1ELb0EyNS0_19identity_decomposerEEEEE10hipError_tT0_T1_T2_jT3_P12ihipStream_tbPNSt15iterator_traitsISE_E10value_typeEPNSK_ISF_E10value_typeEPSG_NS1_7vsmem_tEENKUlT_SE_SF_SG_E_clIS8_S8_S9_S9_EESD_ST_SE_SF_SG_EUlST_E0_NS1_11comp_targetILNS1_3genE2ELNS1_11target_archE906ELNS1_3gpuE6ELNS1_3repE0EEENS1_38merge_mergepath_config_static_selectorELNS0_4arch9wavefront6targetE1EEEvSF_.kd
    .uniform_work_group_size: 1
    .uses_dynamic_stack: false
    .vgpr_count:     0
    .vgpr_spill_count: 0
    .wavefront_size: 64
  - .agpr_count:     0
    .args:
      - .offset:         0
        .size:           64
        .value_kind:     by_value
    .group_segment_fixed_size: 0
    .kernarg_segment_align: 8
    .kernarg_segment_size: 64
    .language:       OpenCL C
    .language_version:
      - 2
      - 0
    .max_flat_workgroup_size: 512
    .name:           _ZN7rocprim17ROCPRIM_400000_NS6detail17trampoline_kernelINS0_14default_configENS1_38merge_sort_block_merge_config_selectorIyNS0_10empty_typeEEEZZNS1_27merge_sort_block_merge_implIS3_PyPS5_jNS1_19radix_merge_compareILb1ELb0EyNS0_19identity_decomposerEEEEE10hipError_tT0_T1_T2_jT3_P12ihipStream_tbPNSt15iterator_traitsISE_E10value_typeEPNSK_ISF_E10value_typeEPSG_NS1_7vsmem_tEENKUlT_SE_SF_SG_E_clIS8_S8_S9_S9_EESD_ST_SE_SF_SG_EUlST_E0_NS1_11comp_targetILNS1_3genE9ELNS1_11target_archE1100ELNS1_3gpuE3ELNS1_3repE0EEENS1_38merge_mergepath_config_static_selectorELNS0_4arch9wavefront6targetE1EEEvSF_
    .private_segment_fixed_size: 0
    .sgpr_count:     4
    .sgpr_spill_count: 0
    .symbol:         _ZN7rocprim17ROCPRIM_400000_NS6detail17trampoline_kernelINS0_14default_configENS1_38merge_sort_block_merge_config_selectorIyNS0_10empty_typeEEEZZNS1_27merge_sort_block_merge_implIS3_PyPS5_jNS1_19radix_merge_compareILb1ELb0EyNS0_19identity_decomposerEEEEE10hipError_tT0_T1_T2_jT3_P12ihipStream_tbPNSt15iterator_traitsISE_E10value_typeEPNSK_ISF_E10value_typeEPSG_NS1_7vsmem_tEENKUlT_SE_SF_SG_E_clIS8_S8_S9_S9_EESD_ST_SE_SF_SG_EUlST_E0_NS1_11comp_targetILNS1_3genE9ELNS1_11target_archE1100ELNS1_3gpuE3ELNS1_3repE0EEENS1_38merge_mergepath_config_static_selectorELNS0_4arch9wavefront6targetE1EEEvSF_.kd
    .uniform_work_group_size: 1
    .uses_dynamic_stack: false
    .vgpr_count:     0
    .vgpr_spill_count: 0
    .wavefront_size: 64
  - .agpr_count:     0
    .args:
      - .offset:         0
        .size:           64
        .value_kind:     by_value
    .group_segment_fixed_size: 0
    .kernarg_segment_align: 8
    .kernarg_segment_size: 64
    .language:       OpenCL C
    .language_version:
      - 2
      - 0
    .max_flat_workgroup_size: 1024
    .name:           _ZN7rocprim17ROCPRIM_400000_NS6detail17trampoline_kernelINS0_14default_configENS1_38merge_sort_block_merge_config_selectorIyNS0_10empty_typeEEEZZNS1_27merge_sort_block_merge_implIS3_PyPS5_jNS1_19radix_merge_compareILb1ELb0EyNS0_19identity_decomposerEEEEE10hipError_tT0_T1_T2_jT3_P12ihipStream_tbPNSt15iterator_traitsISE_E10value_typeEPNSK_ISF_E10value_typeEPSG_NS1_7vsmem_tEENKUlT_SE_SF_SG_E_clIS8_S8_S9_S9_EESD_ST_SE_SF_SG_EUlST_E0_NS1_11comp_targetILNS1_3genE8ELNS1_11target_archE1030ELNS1_3gpuE2ELNS1_3repE0EEENS1_38merge_mergepath_config_static_selectorELNS0_4arch9wavefront6targetE1EEEvSF_
    .private_segment_fixed_size: 0
    .sgpr_count:     4
    .sgpr_spill_count: 0
    .symbol:         _ZN7rocprim17ROCPRIM_400000_NS6detail17trampoline_kernelINS0_14default_configENS1_38merge_sort_block_merge_config_selectorIyNS0_10empty_typeEEEZZNS1_27merge_sort_block_merge_implIS3_PyPS5_jNS1_19radix_merge_compareILb1ELb0EyNS0_19identity_decomposerEEEEE10hipError_tT0_T1_T2_jT3_P12ihipStream_tbPNSt15iterator_traitsISE_E10value_typeEPNSK_ISF_E10value_typeEPSG_NS1_7vsmem_tEENKUlT_SE_SF_SG_E_clIS8_S8_S9_S9_EESD_ST_SE_SF_SG_EUlST_E0_NS1_11comp_targetILNS1_3genE8ELNS1_11target_archE1030ELNS1_3gpuE2ELNS1_3repE0EEENS1_38merge_mergepath_config_static_selectorELNS0_4arch9wavefront6targetE1EEEvSF_.kd
    .uniform_work_group_size: 1
    .uses_dynamic_stack: false
    .vgpr_count:     0
    .vgpr_spill_count: 0
    .wavefront_size: 64
  - .agpr_count:     0
    .args:
      - .offset:         0
        .size:           48
        .value_kind:     by_value
    .group_segment_fixed_size: 0
    .kernarg_segment_align: 8
    .kernarg_segment_size: 48
    .language:       OpenCL C
    .language_version:
      - 2
      - 0
    .max_flat_workgroup_size: 256
    .name:           _ZN7rocprim17ROCPRIM_400000_NS6detail17trampoline_kernelINS0_14default_configENS1_38merge_sort_block_merge_config_selectorIyNS0_10empty_typeEEEZZNS1_27merge_sort_block_merge_implIS3_PyPS5_jNS1_19radix_merge_compareILb1ELb0EyNS0_19identity_decomposerEEEEE10hipError_tT0_T1_T2_jT3_P12ihipStream_tbPNSt15iterator_traitsISE_E10value_typeEPNSK_ISF_E10value_typeEPSG_NS1_7vsmem_tEENKUlT_SE_SF_SG_E_clIS8_S8_S9_S9_EESD_ST_SE_SF_SG_EUlST_E1_NS1_11comp_targetILNS1_3genE0ELNS1_11target_archE4294967295ELNS1_3gpuE0ELNS1_3repE0EEENS1_36merge_oddeven_config_static_selectorELNS0_4arch9wavefront6targetE1EEEvSF_
    .private_segment_fixed_size: 0
    .sgpr_count:     4
    .sgpr_spill_count: 0
    .symbol:         _ZN7rocprim17ROCPRIM_400000_NS6detail17trampoline_kernelINS0_14default_configENS1_38merge_sort_block_merge_config_selectorIyNS0_10empty_typeEEEZZNS1_27merge_sort_block_merge_implIS3_PyPS5_jNS1_19radix_merge_compareILb1ELb0EyNS0_19identity_decomposerEEEEE10hipError_tT0_T1_T2_jT3_P12ihipStream_tbPNSt15iterator_traitsISE_E10value_typeEPNSK_ISF_E10value_typeEPSG_NS1_7vsmem_tEENKUlT_SE_SF_SG_E_clIS8_S8_S9_S9_EESD_ST_SE_SF_SG_EUlST_E1_NS1_11comp_targetILNS1_3genE0ELNS1_11target_archE4294967295ELNS1_3gpuE0ELNS1_3repE0EEENS1_36merge_oddeven_config_static_selectorELNS0_4arch9wavefront6targetE1EEEvSF_.kd
    .uniform_work_group_size: 1
    .uses_dynamic_stack: false
    .vgpr_count:     0
    .vgpr_spill_count: 0
    .wavefront_size: 64
  - .agpr_count:     0
    .args:
      - .offset:         0
        .size:           48
        .value_kind:     by_value
    .group_segment_fixed_size: 0
    .kernarg_segment_align: 8
    .kernarg_segment_size: 48
    .language:       OpenCL C
    .language_version:
      - 2
      - 0
    .max_flat_workgroup_size: 256
    .name:           _ZN7rocprim17ROCPRIM_400000_NS6detail17trampoline_kernelINS0_14default_configENS1_38merge_sort_block_merge_config_selectorIyNS0_10empty_typeEEEZZNS1_27merge_sort_block_merge_implIS3_PyPS5_jNS1_19radix_merge_compareILb1ELb0EyNS0_19identity_decomposerEEEEE10hipError_tT0_T1_T2_jT3_P12ihipStream_tbPNSt15iterator_traitsISE_E10value_typeEPNSK_ISF_E10value_typeEPSG_NS1_7vsmem_tEENKUlT_SE_SF_SG_E_clIS8_S8_S9_S9_EESD_ST_SE_SF_SG_EUlST_E1_NS1_11comp_targetILNS1_3genE10ELNS1_11target_archE1201ELNS1_3gpuE5ELNS1_3repE0EEENS1_36merge_oddeven_config_static_selectorELNS0_4arch9wavefront6targetE1EEEvSF_
    .private_segment_fixed_size: 0
    .sgpr_count:     4
    .sgpr_spill_count: 0
    .symbol:         _ZN7rocprim17ROCPRIM_400000_NS6detail17trampoline_kernelINS0_14default_configENS1_38merge_sort_block_merge_config_selectorIyNS0_10empty_typeEEEZZNS1_27merge_sort_block_merge_implIS3_PyPS5_jNS1_19radix_merge_compareILb1ELb0EyNS0_19identity_decomposerEEEEE10hipError_tT0_T1_T2_jT3_P12ihipStream_tbPNSt15iterator_traitsISE_E10value_typeEPNSK_ISF_E10value_typeEPSG_NS1_7vsmem_tEENKUlT_SE_SF_SG_E_clIS8_S8_S9_S9_EESD_ST_SE_SF_SG_EUlST_E1_NS1_11comp_targetILNS1_3genE10ELNS1_11target_archE1201ELNS1_3gpuE5ELNS1_3repE0EEENS1_36merge_oddeven_config_static_selectorELNS0_4arch9wavefront6targetE1EEEvSF_.kd
    .uniform_work_group_size: 1
    .uses_dynamic_stack: false
    .vgpr_count:     0
    .vgpr_spill_count: 0
    .wavefront_size: 64
  - .agpr_count:     0
    .args:
      - .offset:         0
        .size:           48
        .value_kind:     by_value
    .group_segment_fixed_size: 0
    .kernarg_segment_align: 8
    .kernarg_segment_size: 48
    .language:       OpenCL C
    .language_version:
      - 2
      - 0
    .max_flat_workgroup_size: 256
    .name:           _ZN7rocprim17ROCPRIM_400000_NS6detail17trampoline_kernelINS0_14default_configENS1_38merge_sort_block_merge_config_selectorIyNS0_10empty_typeEEEZZNS1_27merge_sort_block_merge_implIS3_PyPS5_jNS1_19radix_merge_compareILb1ELb0EyNS0_19identity_decomposerEEEEE10hipError_tT0_T1_T2_jT3_P12ihipStream_tbPNSt15iterator_traitsISE_E10value_typeEPNSK_ISF_E10value_typeEPSG_NS1_7vsmem_tEENKUlT_SE_SF_SG_E_clIS8_S8_S9_S9_EESD_ST_SE_SF_SG_EUlST_E1_NS1_11comp_targetILNS1_3genE5ELNS1_11target_archE942ELNS1_3gpuE9ELNS1_3repE0EEENS1_36merge_oddeven_config_static_selectorELNS0_4arch9wavefront6targetE1EEEvSF_
    .private_segment_fixed_size: 0
    .sgpr_count:     4
    .sgpr_spill_count: 0
    .symbol:         _ZN7rocprim17ROCPRIM_400000_NS6detail17trampoline_kernelINS0_14default_configENS1_38merge_sort_block_merge_config_selectorIyNS0_10empty_typeEEEZZNS1_27merge_sort_block_merge_implIS3_PyPS5_jNS1_19radix_merge_compareILb1ELb0EyNS0_19identity_decomposerEEEEE10hipError_tT0_T1_T2_jT3_P12ihipStream_tbPNSt15iterator_traitsISE_E10value_typeEPNSK_ISF_E10value_typeEPSG_NS1_7vsmem_tEENKUlT_SE_SF_SG_E_clIS8_S8_S9_S9_EESD_ST_SE_SF_SG_EUlST_E1_NS1_11comp_targetILNS1_3genE5ELNS1_11target_archE942ELNS1_3gpuE9ELNS1_3repE0EEENS1_36merge_oddeven_config_static_selectorELNS0_4arch9wavefront6targetE1EEEvSF_.kd
    .uniform_work_group_size: 1
    .uses_dynamic_stack: false
    .vgpr_count:     0
    .vgpr_spill_count: 0
    .wavefront_size: 64
  - .agpr_count:     0
    .args:
      - .offset:         0
        .size:           48
        .value_kind:     by_value
    .group_segment_fixed_size: 0
    .kernarg_segment_align: 8
    .kernarg_segment_size: 48
    .language:       OpenCL C
    .language_version:
      - 2
      - 0
    .max_flat_workgroup_size: 256
    .name:           _ZN7rocprim17ROCPRIM_400000_NS6detail17trampoline_kernelINS0_14default_configENS1_38merge_sort_block_merge_config_selectorIyNS0_10empty_typeEEEZZNS1_27merge_sort_block_merge_implIS3_PyPS5_jNS1_19radix_merge_compareILb1ELb0EyNS0_19identity_decomposerEEEEE10hipError_tT0_T1_T2_jT3_P12ihipStream_tbPNSt15iterator_traitsISE_E10value_typeEPNSK_ISF_E10value_typeEPSG_NS1_7vsmem_tEENKUlT_SE_SF_SG_E_clIS8_S8_S9_S9_EESD_ST_SE_SF_SG_EUlST_E1_NS1_11comp_targetILNS1_3genE4ELNS1_11target_archE910ELNS1_3gpuE8ELNS1_3repE0EEENS1_36merge_oddeven_config_static_selectorELNS0_4arch9wavefront6targetE1EEEvSF_
    .private_segment_fixed_size: 0
    .sgpr_count:     25
    .sgpr_spill_count: 0
    .symbol:         _ZN7rocprim17ROCPRIM_400000_NS6detail17trampoline_kernelINS0_14default_configENS1_38merge_sort_block_merge_config_selectorIyNS0_10empty_typeEEEZZNS1_27merge_sort_block_merge_implIS3_PyPS5_jNS1_19radix_merge_compareILb1ELb0EyNS0_19identity_decomposerEEEEE10hipError_tT0_T1_T2_jT3_P12ihipStream_tbPNSt15iterator_traitsISE_E10value_typeEPNSK_ISF_E10value_typeEPSG_NS1_7vsmem_tEENKUlT_SE_SF_SG_E_clIS8_S8_S9_S9_EESD_ST_SE_SF_SG_EUlST_E1_NS1_11comp_targetILNS1_3genE4ELNS1_11target_archE910ELNS1_3gpuE8ELNS1_3repE0EEENS1_36merge_oddeven_config_static_selectorELNS0_4arch9wavefront6targetE1EEEvSF_.kd
    .uniform_work_group_size: 1
    .uses_dynamic_stack: false
    .vgpr_count:     12
    .vgpr_spill_count: 0
    .wavefront_size: 64
  - .agpr_count:     0
    .args:
      - .offset:         0
        .size:           48
        .value_kind:     by_value
    .group_segment_fixed_size: 0
    .kernarg_segment_align: 8
    .kernarg_segment_size: 48
    .language:       OpenCL C
    .language_version:
      - 2
      - 0
    .max_flat_workgroup_size: 256
    .name:           _ZN7rocprim17ROCPRIM_400000_NS6detail17trampoline_kernelINS0_14default_configENS1_38merge_sort_block_merge_config_selectorIyNS0_10empty_typeEEEZZNS1_27merge_sort_block_merge_implIS3_PyPS5_jNS1_19radix_merge_compareILb1ELb0EyNS0_19identity_decomposerEEEEE10hipError_tT0_T1_T2_jT3_P12ihipStream_tbPNSt15iterator_traitsISE_E10value_typeEPNSK_ISF_E10value_typeEPSG_NS1_7vsmem_tEENKUlT_SE_SF_SG_E_clIS8_S8_S9_S9_EESD_ST_SE_SF_SG_EUlST_E1_NS1_11comp_targetILNS1_3genE3ELNS1_11target_archE908ELNS1_3gpuE7ELNS1_3repE0EEENS1_36merge_oddeven_config_static_selectorELNS0_4arch9wavefront6targetE1EEEvSF_
    .private_segment_fixed_size: 0
    .sgpr_count:     4
    .sgpr_spill_count: 0
    .symbol:         _ZN7rocprim17ROCPRIM_400000_NS6detail17trampoline_kernelINS0_14default_configENS1_38merge_sort_block_merge_config_selectorIyNS0_10empty_typeEEEZZNS1_27merge_sort_block_merge_implIS3_PyPS5_jNS1_19radix_merge_compareILb1ELb0EyNS0_19identity_decomposerEEEEE10hipError_tT0_T1_T2_jT3_P12ihipStream_tbPNSt15iterator_traitsISE_E10value_typeEPNSK_ISF_E10value_typeEPSG_NS1_7vsmem_tEENKUlT_SE_SF_SG_E_clIS8_S8_S9_S9_EESD_ST_SE_SF_SG_EUlST_E1_NS1_11comp_targetILNS1_3genE3ELNS1_11target_archE908ELNS1_3gpuE7ELNS1_3repE0EEENS1_36merge_oddeven_config_static_selectorELNS0_4arch9wavefront6targetE1EEEvSF_.kd
    .uniform_work_group_size: 1
    .uses_dynamic_stack: false
    .vgpr_count:     0
    .vgpr_spill_count: 0
    .wavefront_size: 64
  - .agpr_count:     0
    .args:
      - .offset:         0
        .size:           48
        .value_kind:     by_value
    .group_segment_fixed_size: 0
    .kernarg_segment_align: 8
    .kernarg_segment_size: 48
    .language:       OpenCL C
    .language_version:
      - 2
      - 0
    .max_flat_workgroup_size: 256
    .name:           _ZN7rocprim17ROCPRIM_400000_NS6detail17trampoline_kernelINS0_14default_configENS1_38merge_sort_block_merge_config_selectorIyNS0_10empty_typeEEEZZNS1_27merge_sort_block_merge_implIS3_PyPS5_jNS1_19radix_merge_compareILb1ELb0EyNS0_19identity_decomposerEEEEE10hipError_tT0_T1_T2_jT3_P12ihipStream_tbPNSt15iterator_traitsISE_E10value_typeEPNSK_ISF_E10value_typeEPSG_NS1_7vsmem_tEENKUlT_SE_SF_SG_E_clIS8_S8_S9_S9_EESD_ST_SE_SF_SG_EUlST_E1_NS1_11comp_targetILNS1_3genE2ELNS1_11target_archE906ELNS1_3gpuE6ELNS1_3repE0EEENS1_36merge_oddeven_config_static_selectorELNS0_4arch9wavefront6targetE1EEEvSF_
    .private_segment_fixed_size: 0
    .sgpr_count:     4
    .sgpr_spill_count: 0
    .symbol:         _ZN7rocprim17ROCPRIM_400000_NS6detail17trampoline_kernelINS0_14default_configENS1_38merge_sort_block_merge_config_selectorIyNS0_10empty_typeEEEZZNS1_27merge_sort_block_merge_implIS3_PyPS5_jNS1_19radix_merge_compareILb1ELb0EyNS0_19identity_decomposerEEEEE10hipError_tT0_T1_T2_jT3_P12ihipStream_tbPNSt15iterator_traitsISE_E10value_typeEPNSK_ISF_E10value_typeEPSG_NS1_7vsmem_tEENKUlT_SE_SF_SG_E_clIS8_S8_S9_S9_EESD_ST_SE_SF_SG_EUlST_E1_NS1_11comp_targetILNS1_3genE2ELNS1_11target_archE906ELNS1_3gpuE6ELNS1_3repE0EEENS1_36merge_oddeven_config_static_selectorELNS0_4arch9wavefront6targetE1EEEvSF_.kd
    .uniform_work_group_size: 1
    .uses_dynamic_stack: false
    .vgpr_count:     0
    .vgpr_spill_count: 0
    .wavefront_size: 64
  - .agpr_count:     0
    .args:
      - .offset:         0
        .size:           48
        .value_kind:     by_value
    .group_segment_fixed_size: 0
    .kernarg_segment_align: 8
    .kernarg_segment_size: 48
    .language:       OpenCL C
    .language_version:
      - 2
      - 0
    .max_flat_workgroup_size: 256
    .name:           _ZN7rocprim17ROCPRIM_400000_NS6detail17trampoline_kernelINS0_14default_configENS1_38merge_sort_block_merge_config_selectorIyNS0_10empty_typeEEEZZNS1_27merge_sort_block_merge_implIS3_PyPS5_jNS1_19radix_merge_compareILb1ELb0EyNS0_19identity_decomposerEEEEE10hipError_tT0_T1_T2_jT3_P12ihipStream_tbPNSt15iterator_traitsISE_E10value_typeEPNSK_ISF_E10value_typeEPSG_NS1_7vsmem_tEENKUlT_SE_SF_SG_E_clIS8_S8_S9_S9_EESD_ST_SE_SF_SG_EUlST_E1_NS1_11comp_targetILNS1_3genE9ELNS1_11target_archE1100ELNS1_3gpuE3ELNS1_3repE0EEENS1_36merge_oddeven_config_static_selectorELNS0_4arch9wavefront6targetE1EEEvSF_
    .private_segment_fixed_size: 0
    .sgpr_count:     4
    .sgpr_spill_count: 0
    .symbol:         _ZN7rocprim17ROCPRIM_400000_NS6detail17trampoline_kernelINS0_14default_configENS1_38merge_sort_block_merge_config_selectorIyNS0_10empty_typeEEEZZNS1_27merge_sort_block_merge_implIS3_PyPS5_jNS1_19radix_merge_compareILb1ELb0EyNS0_19identity_decomposerEEEEE10hipError_tT0_T1_T2_jT3_P12ihipStream_tbPNSt15iterator_traitsISE_E10value_typeEPNSK_ISF_E10value_typeEPSG_NS1_7vsmem_tEENKUlT_SE_SF_SG_E_clIS8_S8_S9_S9_EESD_ST_SE_SF_SG_EUlST_E1_NS1_11comp_targetILNS1_3genE9ELNS1_11target_archE1100ELNS1_3gpuE3ELNS1_3repE0EEENS1_36merge_oddeven_config_static_selectorELNS0_4arch9wavefront6targetE1EEEvSF_.kd
    .uniform_work_group_size: 1
    .uses_dynamic_stack: false
    .vgpr_count:     0
    .vgpr_spill_count: 0
    .wavefront_size: 64
  - .agpr_count:     0
    .args:
      - .offset:         0
        .size:           48
        .value_kind:     by_value
    .group_segment_fixed_size: 0
    .kernarg_segment_align: 8
    .kernarg_segment_size: 48
    .language:       OpenCL C
    .language_version:
      - 2
      - 0
    .max_flat_workgroup_size: 256
    .name:           _ZN7rocprim17ROCPRIM_400000_NS6detail17trampoline_kernelINS0_14default_configENS1_38merge_sort_block_merge_config_selectorIyNS0_10empty_typeEEEZZNS1_27merge_sort_block_merge_implIS3_PyPS5_jNS1_19radix_merge_compareILb1ELb0EyNS0_19identity_decomposerEEEEE10hipError_tT0_T1_T2_jT3_P12ihipStream_tbPNSt15iterator_traitsISE_E10value_typeEPNSK_ISF_E10value_typeEPSG_NS1_7vsmem_tEENKUlT_SE_SF_SG_E_clIS8_S8_S9_S9_EESD_ST_SE_SF_SG_EUlST_E1_NS1_11comp_targetILNS1_3genE8ELNS1_11target_archE1030ELNS1_3gpuE2ELNS1_3repE0EEENS1_36merge_oddeven_config_static_selectorELNS0_4arch9wavefront6targetE1EEEvSF_
    .private_segment_fixed_size: 0
    .sgpr_count:     4
    .sgpr_spill_count: 0
    .symbol:         _ZN7rocprim17ROCPRIM_400000_NS6detail17trampoline_kernelINS0_14default_configENS1_38merge_sort_block_merge_config_selectorIyNS0_10empty_typeEEEZZNS1_27merge_sort_block_merge_implIS3_PyPS5_jNS1_19radix_merge_compareILb1ELb0EyNS0_19identity_decomposerEEEEE10hipError_tT0_T1_T2_jT3_P12ihipStream_tbPNSt15iterator_traitsISE_E10value_typeEPNSK_ISF_E10value_typeEPSG_NS1_7vsmem_tEENKUlT_SE_SF_SG_E_clIS8_S8_S9_S9_EESD_ST_SE_SF_SG_EUlST_E1_NS1_11comp_targetILNS1_3genE8ELNS1_11target_archE1030ELNS1_3gpuE2ELNS1_3repE0EEENS1_36merge_oddeven_config_static_selectorELNS0_4arch9wavefront6targetE1EEEvSF_.kd
    .uniform_work_group_size: 1
    .uses_dynamic_stack: false
    .vgpr_count:     0
    .vgpr_spill_count: 0
    .wavefront_size: 64
  - .agpr_count:     0
    .args:
      - .offset:         0
        .size:           40
        .value_kind:     by_value
    .group_segment_fixed_size: 0
    .kernarg_segment_align: 8
    .kernarg_segment_size: 40
    .language:       OpenCL C
    .language_version:
      - 2
      - 0
    .max_flat_workgroup_size: 128
    .name:           _ZN7rocprim17ROCPRIM_400000_NS6detail17trampoline_kernelINS0_14default_configENS1_38merge_sort_block_merge_config_selectorIyNS0_10empty_typeEEEZZNS1_27merge_sort_block_merge_implIS3_PyPS5_jNS1_19radix_merge_compareILb1ELb1EyNS0_19identity_decomposerEEEEE10hipError_tT0_T1_T2_jT3_P12ihipStream_tbPNSt15iterator_traitsISE_E10value_typeEPNSK_ISF_E10value_typeEPSG_NS1_7vsmem_tEENKUlT_SE_SF_SG_E_clIS8_S8_S9_S9_EESD_ST_SE_SF_SG_EUlST_E_NS1_11comp_targetILNS1_3genE0ELNS1_11target_archE4294967295ELNS1_3gpuE0ELNS1_3repE0EEENS1_48merge_mergepath_partition_config_static_selectorELNS0_4arch9wavefront6targetE1EEEvSF_
    .private_segment_fixed_size: 0
    .sgpr_count:     4
    .sgpr_spill_count: 0
    .symbol:         _ZN7rocprim17ROCPRIM_400000_NS6detail17trampoline_kernelINS0_14default_configENS1_38merge_sort_block_merge_config_selectorIyNS0_10empty_typeEEEZZNS1_27merge_sort_block_merge_implIS3_PyPS5_jNS1_19radix_merge_compareILb1ELb1EyNS0_19identity_decomposerEEEEE10hipError_tT0_T1_T2_jT3_P12ihipStream_tbPNSt15iterator_traitsISE_E10value_typeEPNSK_ISF_E10value_typeEPSG_NS1_7vsmem_tEENKUlT_SE_SF_SG_E_clIS8_S8_S9_S9_EESD_ST_SE_SF_SG_EUlST_E_NS1_11comp_targetILNS1_3genE0ELNS1_11target_archE4294967295ELNS1_3gpuE0ELNS1_3repE0EEENS1_48merge_mergepath_partition_config_static_selectorELNS0_4arch9wavefront6targetE1EEEvSF_.kd
    .uniform_work_group_size: 1
    .uses_dynamic_stack: false
    .vgpr_count:     0
    .vgpr_spill_count: 0
    .wavefront_size: 64
  - .agpr_count:     0
    .args:
      - .offset:         0
        .size:           40
        .value_kind:     by_value
    .group_segment_fixed_size: 0
    .kernarg_segment_align: 8
    .kernarg_segment_size: 40
    .language:       OpenCL C
    .language_version:
      - 2
      - 0
    .max_flat_workgroup_size: 128
    .name:           _ZN7rocprim17ROCPRIM_400000_NS6detail17trampoline_kernelINS0_14default_configENS1_38merge_sort_block_merge_config_selectorIyNS0_10empty_typeEEEZZNS1_27merge_sort_block_merge_implIS3_PyPS5_jNS1_19radix_merge_compareILb1ELb1EyNS0_19identity_decomposerEEEEE10hipError_tT0_T1_T2_jT3_P12ihipStream_tbPNSt15iterator_traitsISE_E10value_typeEPNSK_ISF_E10value_typeEPSG_NS1_7vsmem_tEENKUlT_SE_SF_SG_E_clIS8_S8_S9_S9_EESD_ST_SE_SF_SG_EUlST_E_NS1_11comp_targetILNS1_3genE10ELNS1_11target_archE1201ELNS1_3gpuE5ELNS1_3repE0EEENS1_48merge_mergepath_partition_config_static_selectorELNS0_4arch9wavefront6targetE1EEEvSF_
    .private_segment_fixed_size: 0
    .sgpr_count:     4
    .sgpr_spill_count: 0
    .symbol:         _ZN7rocprim17ROCPRIM_400000_NS6detail17trampoline_kernelINS0_14default_configENS1_38merge_sort_block_merge_config_selectorIyNS0_10empty_typeEEEZZNS1_27merge_sort_block_merge_implIS3_PyPS5_jNS1_19radix_merge_compareILb1ELb1EyNS0_19identity_decomposerEEEEE10hipError_tT0_T1_T2_jT3_P12ihipStream_tbPNSt15iterator_traitsISE_E10value_typeEPNSK_ISF_E10value_typeEPSG_NS1_7vsmem_tEENKUlT_SE_SF_SG_E_clIS8_S8_S9_S9_EESD_ST_SE_SF_SG_EUlST_E_NS1_11comp_targetILNS1_3genE10ELNS1_11target_archE1201ELNS1_3gpuE5ELNS1_3repE0EEENS1_48merge_mergepath_partition_config_static_selectorELNS0_4arch9wavefront6targetE1EEEvSF_.kd
    .uniform_work_group_size: 1
    .uses_dynamic_stack: false
    .vgpr_count:     0
    .vgpr_spill_count: 0
    .wavefront_size: 64
  - .agpr_count:     0
    .args:
      - .offset:         0
        .size:           40
        .value_kind:     by_value
    .group_segment_fixed_size: 0
    .kernarg_segment_align: 8
    .kernarg_segment_size: 40
    .language:       OpenCL C
    .language_version:
      - 2
      - 0
    .max_flat_workgroup_size: 128
    .name:           _ZN7rocprim17ROCPRIM_400000_NS6detail17trampoline_kernelINS0_14default_configENS1_38merge_sort_block_merge_config_selectorIyNS0_10empty_typeEEEZZNS1_27merge_sort_block_merge_implIS3_PyPS5_jNS1_19radix_merge_compareILb1ELb1EyNS0_19identity_decomposerEEEEE10hipError_tT0_T1_T2_jT3_P12ihipStream_tbPNSt15iterator_traitsISE_E10value_typeEPNSK_ISF_E10value_typeEPSG_NS1_7vsmem_tEENKUlT_SE_SF_SG_E_clIS8_S8_S9_S9_EESD_ST_SE_SF_SG_EUlST_E_NS1_11comp_targetILNS1_3genE5ELNS1_11target_archE942ELNS1_3gpuE9ELNS1_3repE0EEENS1_48merge_mergepath_partition_config_static_selectorELNS0_4arch9wavefront6targetE1EEEvSF_
    .private_segment_fixed_size: 0
    .sgpr_count:     4
    .sgpr_spill_count: 0
    .symbol:         _ZN7rocprim17ROCPRIM_400000_NS6detail17trampoline_kernelINS0_14default_configENS1_38merge_sort_block_merge_config_selectorIyNS0_10empty_typeEEEZZNS1_27merge_sort_block_merge_implIS3_PyPS5_jNS1_19radix_merge_compareILb1ELb1EyNS0_19identity_decomposerEEEEE10hipError_tT0_T1_T2_jT3_P12ihipStream_tbPNSt15iterator_traitsISE_E10value_typeEPNSK_ISF_E10value_typeEPSG_NS1_7vsmem_tEENKUlT_SE_SF_SG_E_clIS8_S8_S9_S9_EESD_ST_SE_SF_SG_EUlST_E_NS1_11comp_targetILNS1_3genE5ELNS1_11target_archE942ELNS1_3gpuE9ELNS1_3repE0EEENS1_48merge_mergepath_partition_config_static_selectorELNS0_4arch9wavefront6targetE1EEEvSF_.kd
    .uniform_work_group_size: 1
    .uses_dynamic_stack: false
    .vgpr_count:     0
    .vgpr_spill_count: 0
    .wavefront_size: 64
  - .agpr_count:     0
    .args:
      - .offset:         0
        .size:           40
        .value_kind:     by_value
    .group_segment_fixed_size: 0
    .kernarg_segment_align: 8
    .kernarg_segment_size: 40
    .language:       OpenCL C
    .language_version:
      - 2
      - 0
    .max_flat_workgroup_size: 128
    .name:           _ZN7rocprim17ROCPRIM_400000_NS6detail17trampoline_kernelINS0_14default_configENS1_38merge_sort_block_merge_config_selectorIyNS0_10empty_typeEEEZZNS1_27merge_sort_block_merge_implIS3_PyPS5_jNS1_19radix_merge_compareILb1ELb1EyNS0_19identity_decomposerEEEEE10hipError_tT0_T1_T2_jT3_P12ihipStream_tbPNSt15iterator_traitsISE_E10value_typeEPNSK_ISF_E10value_typeEPSG_NS1_7vsmem_tEENKUlT_SE_SF_SG_E_clIS8_S8_S9_S9_EESD_ST_SE_SF_SG_EUlST_E_NS1_11comp_targetILNS1_3genE4ELNS1_11target_archE910ELNS1_3gpuE8ELNS1_3repE0EEENS1_48merge_mergepath_partition_config_static_selectorELNS0_4arch9wavefront6targetE1EEEvSF_
    .private_segment_fixed_size: 0
    .sgpr_count:     14
    .sgpr_spill_count: 0
    .symbol:         _ZN7rocprim17ROCPRIM_400000_NS6detail17trampoline_kernelINS0_14default_configENS1_38merge_sort_block_merge_config_selectorIyNS0_10empty_typeEEEZZNS1_27merge_sort_block_merge_implIS3_PyPS5_jNS1_19radix_merge_compareILb1ELb1EyNS0_19identity_decomposerEEEEE10hipError_tT0_T1_T2_jT3_P12ihipStream_tbPNSt15iterator_traitsISE_E10value_typeEPNSK_ISF_E10value_typeEPSG_NS1_7vsmem_tEENKUlT_SE_SF_SG_E_clIS8_S8_S9_S9_EESD_ST_SE_SF_SG_EUlST_E_NS1_11comp_targetILNS1_3genE4ELNS1_11target_archE910ELNS1_3gpuE8ELNS1_3repE0EEENS1_48merge_mergepath_partition_config_static_selectorELNS0_4arch9wavefront6targetE1EEEvSF_.kd
    .uniform_work_group_size: 1
    .uses_dynamic_stack: false
    .vgpr_count:     16
    .vgpr_spill_count: 0
    .wavefront_size: 64
  - .agpr_count:     0
    .args:
      - .offset:         0
        .size:           40
        .value_kind:     by_value
    .group_segment_fixed_size: 0
    .kernarg_segment_align: 8
    .kernarg_segment_size: 40
    .language:       OpenCL C
    .language_version:
      - 2
      - 0
    .max_flat_workgroup_size: 128
    .name:           _ZN7rocprim17ROCPRIM_400000_NS6detail17trampoline_kernelINS0_14default_configENS1_38merge_sort_block_merge_config_selectorIyNS0_10empty_typeEEEZZNS1_27merge_sort_block_merge_implIS3_PyPS5_jNS1_19radix_merge_compareILb1ELb1EyNS0_19identity_decomposerEEEEE10hipError_tT0_T1_T2_jT3_P12ihipStream_tbPNSt15iterator_traitsISE_E10value_typeEPNSK_ISF_E10value_typeEPSG_NS1_7vsmem_tEENKUlT_SE_SF_SG_E_clIS8_S8_S9_S9_EESD_ST_SE_SF_SG_EUlST_E_NS1_11comp_targetILNS1_3genE3ELNS1_11target_archE908ELNS1_3gpuE7ELNS1_3repE0EEENS1_48merge_mergepath_partition_config_static_selectorELNS0_4arch9wavefront6targetE1EEEvSF_
    .private_segment_fixed_size: 0
    .sgpr_count:     4
    .sgpr_spill_count: 0
    .symbol:         _ZN7rocprim17ROCPRIM_400000_NS6detail17trampoline_kernelINS0_14default_configENS1_38merge_sort_block_merge_config_selectorIyNS0_10empty_typeEEEZZNS1_27merge_sort_block_merge_implIS3_PyPS5_jNS1_19radix_merge_compareILb1ELb1EyNS0_19identity_decomposerEEEEE10hipError_tT0_T1_T2_jT3_P12ihipStream_tbPNSt15iterator_traitsISE_E10value_typeEPNSK_ISF_E10value_typeEPSG_NS1_7vsmem_tEENKUlT_SE_SF_SG_E_clIS8_S8_S9_S9_EESD_ST_SE_SF_SG_EUlST_E_NS1_11comp_targetILNS1_3genE3ELNS1_11target_archE908ELNS1_3gpuE7ELNS1_3repE0EEENS1_48merge_mergepath_partition_config_static_selectorELNS0_4arch9wavefront6targetE1EEEvSF_.kd
    .uniform_work_group_size: 1
    .uses_dynamic_stack: false
    .vgpr_count:     0
    .vgpr_spill_count: 0
    .wavefront_size: 64
  - .agpr_count:     0
    .args:
      - .offset:         0
        .size:           40
        .value_kind:     by_value
    .group_segment_fixed_size: 0
    .kernarg_segment_align: 8
    .kernarg_segment_size: 40
    .language:       OpenCL C
    .language_version:
      - 2
      - 0
    .max_flat_workgroup_size: 128
    .name:           _ZN7rocprim17ROCPRIM_400000_NS6detail17trampoline_kernelINS0_14default_configENS1_38merge_sort_block_merge_config_selectorIyNS0_10empty_typeEEEZZNS1_27merge_sort_block_merge_implIS3_PyPS5_jNS1_19radix_merge_compareILb1ELb1EyNS0_19identity_decomposerEEEEE10hipError_tT0_T1_T2_jT3_P12ihipStream_tbPNSt15iterator_traitsISE_E10value_typeEPNSK_ISF_E10value_typeEPSG_NS1_7vsmem_tEENKUlT_SE_SF_SG_E_clIS8_S8_S9_S9_EESD_ST_SE_SF_SG_EUlST_E_NS1_11comp_targetILNS1_3genE2ELNS1_11target_archE906ELNS1_3gpuE6ELNS1_3repE0EEENS1_48merge_mergepath_partition_config_static_selectorELNS0_4arch9wavefront6targetE1EEEvSF_
    .private_segment_fixed_size: 0
    .sgpr_count:     4
    .sgpr_spill_count: 0
    .symbol:         _ZN7rocprim17ROCPRIM_400000_NS6detail17trampoline_kernelINS0_14default_configENS1_38merge_sort_block_merge_config_selectorIyNS0_10empty_typeEEEZZNS1_27merge_sort_block_merge_implIS3_PyPS5_jNS1_19radix_merge_compareILb1ELb1EyNS0_19identity_decomposerEEEEE10hipError_tT0_T1_T2_jT3_P12ihipStream_tbPNSt15iterator_traitsISE_E10value_typeEPNSK_ISF_E10value_typeEPSG_NS1_7vsmem_tEENKUlT_SE_SF_SG_E_clIS8_S8_S9_S9_EESD_ST_SE_SF_SG_EUlST_E_NS1_11comp_targetILNS1_3genE2ELNS1_11target_archE906ELNS1_3gpuE6ELNS1_3repE0EEENS1_48merge_mergepath_partition_config_static_selectorELNS0_4arch9wavefront6targetE1EEEvSF_.kd
    .uniform_work_group_size: 1
    .uses_dynamic_stack: false
    .vgpr_count:     0
    .vgpr_spill_count: 0
    .wavefront_size: 64
  - .agpr_count:     0
    .args:
      - .offset:         0
        .size:           40
        .value_kind:     by_value
    .group_segment_fixed_size: 0
    .kernarg_segment_align: 8
    .kernarg_segment_size: 40
    .language:       OpenCL C
    .language_version:
      - 2
      - 0
    .max_flat_workgroup_size: 128
    .name:           _ZN7rocprim17ROCPRIM_400000_NS6detail17trampoline_kernelINS0_14default_configENS1_38merge_sort_block_merge_config_selectorIyNS0_10empty_typeEEEZZNS1_27merge_sort_block_merge_implIS3_PyPS5_jNS1_19radix_merge_compareILb1ELb1EyNS0_19identity_decomposerEEEEE10hipError_tT0_T1_T2_jT3_P12ihipStream_tbPNSt15iterator_traitsISE_E10value_typeEPNSK_ISF_E10value_typeEPSG_NS1_7vsmem_tEENKUlT_SE_SF_SG_E_clIS8_S8_S9_S9_EESD_ST_SE_SF_SG_EUlST_E_NS1_11comp_targetILNS1_3genE9ELNS1_11target_archE1100ELNS1_3gpuE3ELNS1_3repE0EEENS1_48merge_mergepath_partition_config_static_selectorELNS0_4arch9wavefront6targetE1EEEvSF_
    .private_segment_fixed_size: 0
    .sgpr_count:     4
    .sgpr_spill_count: 0
    .symbol:         _ZN7rocprim17ROCPRIM_400000_NS6detail17trampoline_kernelINS0_14default_configENS1_38merge_sort_block_merge_config_selectorIyNS0_10empty_typeEEEZZNS1_27merge_sort_block_merge_implIS3_PyPS5_jNS1_19radix_merge_compareILb1ELb1EyNS0_19identity_decomposerEEEEE10hipError_tT0_T1_T2_jT3_P12ihipStream_tbPNSt15iterator_traitsISE_E10value_typeEPNSK_ISF_E10value_typeEPSG_NS1_7vsmem_tEENKUlT_SE_SF_SG_E_clIS8_S8_S9_S9_EESD_ST_SE_SF_SG_EUlST_E_NS1_11comp_targetILNS1_3genE9ELNS1_11target_archE1100ELNS1_3gpuE3ELNS1_3repE0EEENS1_48merge_mergepath_partition_config_static_selectorELNS0_4arch9wavefront6targetE1EEEvSF_.kd
    .uniform_work_group_size: 1
    .uses_dynamic_stack: false
    .vgpr_count:     0
    .vgpr_spill_count: 0
    .wavefront_size: 64
  - .agpr_count:     0
    .args:
      - .offset:         0
        .size:           40
        .value_kind:     by_value
    .group_segment_fixed_size: 0
    .kernarg_segment_align: 8
    .kernarg_segment_size: 40
    .language:       OpenCL C
    .language_version:
      - 2
      - 0
    .max_flat_workgroup_size: 128
    .name:           _ZN7rocprim17ROCPRIM_400000_NS6detail17trampoline_kernelINS0_14default_configENS1_38merge_sort_block_merge_config_selectorIyNS0_10empty_typeEEEZZNS1_27merge_sort_block_merge_implIS3_PyPS5_jNS1_19radix_merge_compareILb1ELb1EyNS0_19identity_decomposerEEEEE10hipError_tT0_T1_T2_jT3_P12ihipStream_tbPNSt15iterator_traitsISE_E10value_typeEPNSK_ISF_E10value_typeEPSG_NS1_7vsmem_tEENKUlT_SE_SF_SG_E_clIS8_S8_S9_S9_EESD_ST_SE_SF_SG_EUlST_E_NS1_11comp_targetILNS1_3genE8ELNS1_11target_archE1030ELNS1_3gpuE2ELNS1_3repE0EEENS1_48merge_mergepath_partition_config_static_selectorELNS0_4arch9wavefront6targetE1EEEvSF_
    .private_segment_fixed_size: 0
    .sgpr_count:     4
    .sgpr_spill_count: 0
    .symbol:         _ZN7rocprim17ROCPRIM_400000_NS6detail17trampoline_kernelINS0_14default_configENS1_38merge_sort_block_merge_config_selectorIyNS0_10empty_typeEEEZZNS1_27merge_sort_block_merge_implIS3_PyPS5_jNS1_19radix_merge_compareILb1ELb1EyNS0_19identity_decomposerEEEEE10hipError_tT0_T1_T2_jT3_P12ihipStream_tbPNSt15iterator_traitsISE_E10value_typeEPNSK_ISF_E10value_typeEPSG_NS1_7vsmem_tEENKUlT_SE_SF_SG_E_clIS8_S8_S9_S9_EESD_ST_SE_SF_SG_EUlST_E_NS1_11comp_targetILNS1_3genE8ELNS1_11target_archE1030ELNS1_3gpuE2ELNS1_3repE0EEENS1_48merge_mergepath_partition_config_static_selectorELNS0_4arch9wavefront6targetE1EEEvSF_.kd
    .uniform_work_group_size: 1
    .uses_dynamic_stack: false
    .vgpr_count:     0
    .vgpr_spill_count: 0
    .wavefront_size: 64
  - .agpr_count:     0
    .args:
      - .offset:         0
        .size:           72
        .value_kind:     by_value
    .group_segment_fixed_size: 0
    .kernarg_segment_align: 8
    .kernarg_segment_size: 72
    .language:       OpenCL C
    .language_version:
      - 2
      - 0
    .max_flat_workgroup_size: 128
    .name:           _ZN7rocprim17ROCPRIM_400000_NS6detail17trampoline_kernelINS0_14default_configENS1_38merge_sort_block_merge_config_selectorIyNS0_10empty_typeEEEZZNS1_27merge_sort_block_merge_implIS3_PyPS5_jNS1_19radix_merge_compareILb1ELb1EyNS0_19identity_decomposerEEEEE10hipError_tT0_T1_T2_jT3_P12ihipStream_tbPNSt15iterator_traitsISE_E10value_typeEPNSK_ISF_E10value_typeEPSG_NS1_7vsmem_tEENKUlT_SE_SF_SG_E_clIS8_S8_S9_S9_EESD_ST_SE_SF_SG_EUlST_E0_NS1_11comp_targetILNS1_3genE0ELNS1_11target_archE4294967295ELNS1_3gpuE0ELNS1_3repE0EEENS1_38merge_mergepath_config_static_selectorELNS0_4arch9wavefront6targetE1EEEvSF_
    .private_segment_fixed_size: 0
    .sgpr_count:     4
    .sgpr_spill_count: 0
    .symbol:         _ZN7rocprim17ROCPRIM_400000_NS6detail17trampoline_kernelINS0_14default_configENS1_38merge_sort_block_merge_config_selectorIyNS0_10empty_typeEEEZZNS1_27merge_sort_block_merge_implIS3_PyPS5_jNS1_19radix_merge_compareILb1ELb1EyNS0_19identity_decomposerEEEEE10hipError_tT0_T1_T2_jT3_P12ihipStream_tbPNSt15iterator_traitsISE_E10value_typeEPNSK_ISF_E10value_typeEPSG_NS1_7vsmem_tEENKUlT_SE_SF_SG_E_clIS8_S8_S9_S9_EESD_ST_SE_SF_SG_EUlST_E0_NS1_11comp_targetILNS1_3genE0ELNS1_11target_archE4294967295ELNS1_3gpuE0ELNS1_3repE0EEENS1_38merge_mergepath_config_static_selectorELNS0_4arch9wavefront6targetE1EEEvSF_.kd
    .uniform_work_group_size: 1
    .uses_dynamic_stack: false
    .vgpr_count:     0
    .vgpr_spill_count: 0
    .wavefront_size: 64
  - .agpr_count:     0
    .args:
      - .offset:         0
        .size:           72
        .value_kind:     by_value
    .group_segment_fixed_size: 0
    .kernarg_segment_align: 8
    .kernarg_segment_size: 72
    .language:       OpenCL C
    .language_version:
      - 2
      - 0
    .max_flat_workgroup_size: 512
    .name:           _ZN7rocprim17ROCPRIM_400000_NS6detail17trampoline_kernelINS0_14default_configENS1_38merge_sort_block_merge_config_selectorIyNS0_10empty_typeEEEZZNS1_27merge_sort_block_merge_implIS3_PyPS5_jNS1_19radix_merge_compareILb1ELb1EyNS0_19identity_decomposerEEEEE10hipError_tT0_T1_T2_jT3_P12ihipStream_tbPNSt15iterator_traitsISE_E10value_typeEPNSK_ISF_E10value_typeEPSG_NS1_7vsmem_tEENKUlT_SE_SF_SG_E_clIS8_S8_S9_S9_EESD_ST_SE_SF_SG_EUlST_E0_NS1_11comp_targetILNS1_3genE10ELNS1_11target_archE1201ELNS1_3gpuE5ELNS1_3repE0EEENS1_38merge_mergepath_config_static_selectorELNS0_4arch9wavefront6targetE1EEEvSF_
    .private_segment_fixed_size: 0
    .sgpr_count:     4
    .sgpr_spill_count: 0
    .symbol:         _ZN7rocprim17ROCPRIM_400000_NS6detail17trampoline_kernelINS0_14default_configENS1_38merge_sort_block_merge_config_selectorIyNS0_10empty_typeEEEZZNS1_27merge_sort_block_merge_implIS3_PyPS5_jNS1_19radix_merge_compareILb1ELb1EyNS0_19identity_decomposerEEEEE10hipError_tT0_T1_T2_jT3_P12ihipStream_tbPNSt15iterator_traitsISE_E10value_typeEPNSK_ISF_E10value_typeEPSG_NS1_7vsmem_tEENKUlT_SE_SF_SG_E_clIS8_S8_S9_S9_EESD_ST_SE_SF_SG_EUlST_E0_NS1_11comp_targetILNS1_3genE10ELNS1_11target_archE1201ELNS1_3gpuE5ELNS1_3repE0EEENS1_38merge_mergepath_config_static_selectorELNS0_4arch9wavefront6targetE1EEEvSF_.kd
    .uniform_work_group_size: 1
    .uses_dynamic_stack: false
    .vgpr_count:     0
    .vgpr_spill_count: 0
    .wavefront_size: 64
  - .agpr_count:     0
    .args:
      - .offset:         0
        .size:           72
        .value_kind:     by_value
    .group_segment_fixed_size: 0
    .kernarg_segment_align: 8
    .kernarg_segment_size: 72
    .language:       OpenCL C
    .language_version:
      - 2
      - 0
    .max_flat_workgroup_size: 128
    .name:           _ZN7rocprim17ROCPRIM_400000_NS6detail17trampoline_kernelINS0_14default_configENS1_38merge_sort_block_merge_config_selectorIyNS0_10empty_typeEEEZZNS1_27merge_sort_block_merge_implIS3_PyPS5_jNS1_19radix_merge_compareILb1ELb1EyNS0_19identity_decomposerEEEEE10hipError_tT0_T1_T2_jT3_P12ihipStream_tbPNSt15iterator_traitsISE_E10value_typeEPNSK_ISF_E10value_typeEPSG_NS1_7vsmem_tEENKUlT_SE_SF_SG_E_clIS8_S8_S9_S9_EESD_ST_SE_SF_SG_EUlST_E0_NS1_11comp_targetILNS1_3genE5ELNS1_11target_archE942ELNS1_3gpuE9ELNS1_3repE0EEENS1_38merge_mergepath_config_static_selectorELNS0_4arch9wavefront6targetE1EEEvSF_
    .private_segment_fixed_size: 0
    .sgpr_count:     4
    .sgpr_spill_count: 0
    .symbol:         _ZN7rocprim17ROCPRIM_400000_NS6detail17trampoline_kernelINS0_14default_configENS1_38merge_sort_block_merge_config_selectorIyNS0_10empty_typeEEEZZNS1_27merge_sort_block_merge_implIS3_PyPS5_jNS1_19radix_merge_compareILb1ELb1EyNS0_19identity_decomposerEEEEE10hipError_tT0_T1_T2_jT3_P12ihipStream_tbPNSt15iterator_traitsISE_E10value_typeEPNSK_ISF_E10value_typeEPSG_NS1_7vsmem_tEENKUlT_SE_SF_SG_E_clIS8_S8_S9_S9_EESD_ST_SE_SF_SG_EUlST_E0_NS1_11comp_targetILNS1_3genE5ELNS1_11target_archE942ELNS1_3gpuE9ELNS1_3repE0EEENS1_38merge_mergepath_config_static_selectorELNS0_4arch9wavefront6targetE1EEEvSF_.kd
    .uniform_work_group_size: 1
    .uses_dynamic_stack: false
    .vgpr_count:     0
    .vgpr_spill_count: 0
    .wavefront_size: 64
  - .agpr_count:     0
    .args:
      - .offset:         0
        .size:           72
        .value_kind:     by_value
      - .offset:         72
        .size:           4
        .value_kind:     hidden_block_count_x
      - .offset:         76
        .size:           4
        .value_kind:     hidden_block_count_y
      - .offset:         80
        .size:           4
        .value_kind:     hidden_block_count_z
      - .offset:         84
        .size:           2
        .value_kind:     hidden_group_size_x
      - .offset:         86
        .size:           2
        .value_kind:     hidden_group_size_y
      - .offset:         88
        .size:           2
        .value_kind:     hidden_group_size_z
      - .offset:         90
        .size:           2
        .value_kind:     hidden_remainder_x
      - .offset:         92
        .size:           2
        .value_kind:     hidden_remainder_y
      - .offset:         94
        .size:           2
        .value_kind:     hidden_remainder_z
      - .offset:         112
        .size:           8
        .value_kind:     hidden_global_offset_x
      - .offset:         120
        .size:           8
        .value_kind:     hidden_global_offset_y
      - .offset:         128
        .size:           8
        .value_kind:     hidden_global_offset_z
      - .offset:         136
        .size:           2
        .value_kind:     hidden_grid_dims
    .group_segment_fixed_size: 8448
    .kernarg_segment_align: 8
    .kernarg_segment_size: 328
    .language:       OpenCL C
    .language_version:
      - 2
      - 0
    .max_flat_workgroup_size: 256
    .name:           _ZN7rocprim17ROCPRIM_400000_NS6detail17trampoline_kernelINS0_14default_configENS1_38merge_sort_block_merge_config_selectorIyNS0_10empty_typeEEEZZNS1_27merge_sort_block_merge_implIS3_PyPS5_jNS1_19radix_merge_compareILb1ELb1EyNS0_19identity_decomposerEEEEE10hipError_tT0_T1_T2_jT3_P12ihipStream_tbPNSt15iterator_traitsISE_E10value_typeEPNSK_ISF_E10value_typeEPSG_NS1_7vsmem_tEENKUlT_SE_SF_SG_E_clIS8_S8_S9_S9_EESD_ST_SE_SF_SG_EUlST_E0_NS1_11comp_targetILNS1_3genE4ELNS1_11target_archE910ELNS1_3gpuE8ELNS1_3repE0EEENS1_38merge_mergepath_config_static_selectorELNS0_4arch9wavefront6targetE1EEEvSF_
    .private_segment_fixed_size: 0
    .sgpr_count:     30
    .sgpr_spill_count: 0
    .symbol:         _ZN7rocprim17ROCPRIM_400000_NS6detail17trampoline_kernelINS0_14default_configENS1_38merge_sort_block_merge_config_selectorIyNS0_10empty_typeEEEZZNS1_27merge_sort_block_merge_implIS3_PyPS5_jNS1_19radix_merge_compareILb1ELb1EyNS0_19identity_decomposerEEEEE10hipError_tT0_T1_T2_jT3_P12ihipStream_tbPNSt15iterator_traitsISE_E10value_typeEPNSK_ISF_E10value_typeEPSG_NS1_7vsmem_tEENKUlT_SE_SF_SG_E_clIS8_S8_S9_S9_EESD_ST_SE_SF_SG_EUlST_E0_NS1_11comp_targetILNS1_3genE4ELNS1_11target_archE910ELNS1_3gpuE8ELNS1_3repE0EEENS1_38merge_mergepath_config_static_selectorELNS0_4arch9wavefront6targetE1EEEvSF_.kd
    .uniform_work_group_size: 1
    .uses_dynamic_stack: false
    .vgpr_count:     23
    .vgpr_spill_count: 0
    .wavefront_size: 64
  - .agpr_count:     0
    .args:
      - .offset:         0
        .size:           72
        .value_kind:     by_value
    .group_segment_fixed_size: 0
    .kernarg_segment_align: 8
    .kernarg_segment_size: 72
    .language:       OpenCL C
    .language_version:
      - 2
      - 0
    .max_flat_workgroup_size: 128
    .name:           _ZN7rocprim17ROCPRIM_400000_NS6detail17trampoline_kernelINS0_14default_configENS1_38merge_sort_block_merge_config_selectorIyNS0_10empty_typeEEEZZNS1_27merge_sort_block_merge_implIS3_PyPS5_jNS1_19radix_merge_compareILb1ELb1EyNS0_19identity_decomposerEEEEE10hipError_tT0_T1_T2_jT3_P12ihipStream_tbPNSt15iterator_traitsISE_E10value_typeEPNSK_ISF_E10value_typeEPSG_NS1_7vsmem_tEENKUlT_SE_SF_SG_E_clIS8_S8_S9_S9_EESD_ST_SE_SF_SG_EUlST_E0_NS1_11comp_targetILNS1_3genE3ELNS1_11target_archE908ELNS1_3gpuE7ELNS1_3repE0EEENS1_38merge_mergepath_config_static_selectorELNS0_4arch9wavefront6targetE1EEEvSF_
    .private_segment_fixed_size: 0
    .sgpr_count:     4
    .sgpr_spill_count: 0
    .symbol:         _ZN7rocprim17ROCPRIM_400000_NS6detail17trampoline_kernelINS0_14default_configENS1_38merge_sort_block_merge_config_selectorIyNS0_10empty_typeEEEZZNS1_27merge_sort_block_merge_implIS3_PyPS5_jNS1_19radix_merge_compareILb1ELb1EyNS0_19identity_decomposerEEEEE10hipError_tT0_T1_T2_jT3_P12ihipStream_tbPNSt15iterator_traitsISE_E10value_typeEPNSK_ISF_E10value_typeEPSG_NS1_7vsmem_tEENKUlT_SE_SF_SG_E_clIS8_S8_S9_S9_EESD_ST_SE_SF_SG_EUlST_E0_NS1_11comp_targetILNS1_3genE3ELNS1_11target_archE908ELNS1_3gpuE7ELNS1_3repE0EEENS1_38merge_mergepath_config_static_selectorELNS0_4arch9wavefront6targetE1EEEvSF_.kd
    .uniform_work_group_size: 1
    .uses_dynamic_stack: false
    .vgpr_count:     0
    .vgpr_spill_count: 0
    .wavefront_size: 64
  - .agpr_count:     0
    .args:
      - .offset:         0
        .size:           72
        .value_kind:     by_value
    .group_segment_fixed_size: 0
    .kernarg_segment_align: 8
    .kernarg_segment_size: 72
    .language:       OpenCL C
    .language_version:
      - 2
      - 0
    .max_flat_workgroup_size: 256
    .name:           _ZN7rocprim17ROCPRIM_400000_NS6detail17trampoline_kernelINS0_14default_configENS1_38merge_sort_block_merge_config_selectorIyNS0_10empty_typeEEEZZNS1_27merge_sort_block_merge_implIS3_PyPS5_jNS1_19radix_merge_compareILb1ELb1EyNS0_19identity_decomposerEEEEE10hipError_tT0_T1_T2_jT3_P12ihipStream_tbPNSt15iterator_traitsISE_E10value_typeEPNSK_ISF_E10value_typeEPSG_NS1_7vsmem_tEENKUlT_SE_SF_SG_E_clIS8_S8_S9_S9_EESD_ST_SE_SF_SG_EUlST_E0_NS1_11comp_targetILNS1_3genE2ELNS1_11target_archE906ELNS1_3gpuE6ELNS1_3repE0EEENS1_38merge_mergepath_config_static_selectorELNS0_4arch9wavefront6targetE1EEEvSF_
    .private_segment_fixed_size: 0
    .sgpr_count:     4
    .sgpr_spill_count: 0
    .symbol:         _ZN7rocprim17ROCPRIM_400000_NS6detail17trampoline_kernelINS0_14default_configENS1_38merge_sort_block_merge_config_selectorIyNS0_10empty_typeEEEZZNS1_27merge_sort_block_merge_implIS3_PyPS5_jNS1_19radix_merge_compareILb1ELb1EyNS0_19identity_decomposerEEEEE10hipError_tT0_T1_T2_jT3_P12ihipStream_tbPNSt15iterator_traitsISE_E10value_typeEPNSK_ISF_E10value_typeEPSG_NS1_7vsmem_tEENKUlT_SE_SF_SG_E_clIS8_S8_S9_S9_EESD_ST_SE_SF_SG_EUlST_E0_NS1_11comp_targetILNS1_3genE2ELNS1_11target_archE906ELNS1_3gpuE6ELNS1_3repE0EEENS1_38merge_mergepath_config_static_selectorELNS0_4arch9wavefront6targetE1EEEvSF_.kd
    .uniform_work_group_size: 1
    .uses_dynamic_stack: false
    .vgpr_count:     0
    .vgpr_spill_count: 0
    .wavefront_size: 64
  - .agpr_count:     0
    .args:
      - .offset:         0
        .size:           72
        .value_kind:     by_value
    .group_segment_fixed_size: 0
    .kernarg_segment_align: 8
    .kernarg_segment_size: 72
    .language:       OpenCL C
    .language_version:
      - 2
      - 0
    .max_flat_workgroup_size: 512
    .name:           _ZN7rocprim17ROCPRIM_400000_NS6detail17trampoline_kernelINS0_14default_configENS1_38merge_sort_block_merge_config_selectorIyNS0_10empty_typeEEEZZNS1_27merge_sort_block_merge_implIS3_PyPS5_jNS1_19radix_merge_compareILb1ELb1EyNS0_19identity_decomposerEEEEE10hipError_tT0_T1_T2_jT3_P12ihipStream_tbPNSt15iterator_traitsISE_E10value_typeEPNSK_ISF_E10value_typeEPSG_NS1_7vsmem_tEENKUlT_SE_SF_SG_E_clIS8_S8_S9_S9_EESD_ST_SE_SF_SG_EUlST_E0_NS1_11comp_targetILNS1_3genE9ELNS1_11target_archE1100ELNS1_3gpuE3ELNS1_3repE0EEENS1_38merge_mergepath_config_static_selectorELNS0_4arch9wavefront6targetE1EEEvSF_
    .private_segment_fixed_size: 0
    .sgpr_count:     4
    .sgpr_spill_count: 0
    .symbol:         _ZN7rocprim17ROCPRIM_400000_NS6detail17trampoline_kernelINS0_14default_configENS1_38merge_sort_block_merge_config_selectorIyNS0_10empty_typeEEEZZNS1_27merge_sort_block_merge_implIS3_PyPS5_jNS1_19radix_merge_compareILb1ELb1EyNS0_19identity_decomposerEEEEE10hipError_tT0_T1_T2_jT3_P12ihipStream_tbPNSt15iterator_traitsISE_E10value_typeEPNSK_ISF_E10value_typeEPSG_NS1_7vsmem_tEENKUlT_SE_SF_SG_E_clIS8_S8_S9_S9_EESD_ST_SE_SF_SG_EUlST_E0_NS1_11comp_targetILNS1_3genE9ELNS1_11target_archE1100ELNS1_3gpuE3ELNS1_3repE0EEENS1_38merge_mergepath_config_static_selectorELNS0_4arch9wavefront6targetE1EEEvSF_.kd
    .uniform_work_group_size: 1
    .uses_dynamic_stack: false
    .vgpr_count:     0
    .vgpr_spill_count: 0
    .wavefront_size: 64
  - .agpr_count:     0
    .args:
      - .offset:         0
        .size:           72
        .value_kind:     by_value
    .group_segment_fixed_size: 0
    .kernarg_segment_align: 8
    .kernarg_segment_size: 72
    .language:       OpenCL C
    .language_version:
      - 2
      - 0
    .max_flat_workgroup_size: 1024
    .name:           _ZN7rocprim17ROCPRIM_400000_NS6detail17trampoline_kernelINS0_14default_configENS1_38merge_sort_block_merge_config_selectorIyNS0_10empty_typeEEEZZNS1_27merge_sort_block_merge_implIS3_PyPS5_jNS1_19radix_merge_compareILb1ELb1EyNS0_19identity_decomposerEEEEE10hipError_tT0_T1_T2_jT3_P12ihipStream_tbPNSt15iterator_traitsISE_E10value_typeEPNSK_ISF_E10value_typeEPSG_NS1_7vsmem_tEENKUlT_SE_SF_SG_E_clIS8_S8_S9_S9_EESD_ST_SE_SF_SG_EUlST_E0_NS1_11comp_targetILNS1_3genE8ELNS1_11target_archE1030ELNS1_3gpuE2ELNS1_3repE0EEENS1_38merge_mergepath_config_static_selectorELNS0_4arch9wavefront6targetE1EEEvSF_
    .private_segment_fixed_size: 0
    .sgpr_count:     4
    .sgpr_spill_count: 0
    .symbol:         _ZN7rocprim17ROCPRIM_400000_NS6detail17trampoline_kernelINS0_14default_configENS1_38merge_sort_block_merge_config_selectorIyNS0_10empty_typeEEEZZNS1_27merge_sort_block_merge_implIS3_PyPS5_jNS1_19radix_merge_compareILb1ELb1EyNS0_19identity_decomposerEEEEE10hipError_tT0_T1_T2_jT3_P12ihipStream_tbPNSt15iterator_traitsISE_E10value_typeEPNSK_ISF_E10value_typeEPSG_NS1_7vsmem_tEENKUlT_SE_SF_SG_E_clIS8_S8_S9_S9_EESD_ST_SE_SF_SG_EUlST_E0_NS1_11comp_targetILNS1_3genE8ELNS1_11target_archE1030ELNS1_3gpuE2ELNS1_3repE0EEENS1_38merge_mergepath_config_static_selectorELNS0_4arch9wavefront6targetE1EEEvSF_.kd
    .uniform_work_group_size: 1
    .uses_dynamic_stack: false
    .vgpr_count:     0
    .vgpr_spill_count: 0
    .wavefront_size: 64
  - .agpr_count:     0
    .args:
      - .offset:         0
        .size:           48
        .value_kind:     by_value
    .group_segment_fixed_size: 0
    .kernarg_segment_align: 8
    .kernarg_segment_size: 48
    .language:       OpenCL C
    .language_version:
      - 2
      - 0
    .max_flat_workgroup_size: 256
    .name:           _ZN7rocprim17ROCPRIM_400000_NS6detail17trampoline_kernelINS0_14default_configENS1_38merge_sort_block_merge_config_selectorIyNS0_10empty_typeEEEZZNS1_27merge_sort_block_merge_implIS3_PyPS5_jNS1_19radix_merge_compareILb1ELb1EyNS0_19identity_decomposerEEEEE10hipError_tT0_T1_T2_jT3_P12ihipStream_tbPNSt15iterator_traitsISE_E10value_typeEPNSK_ISF_E10value_typeEPSG_NS1_7vsmem_tEENKUlT_SE_SF_SG_E_clIS8_S8_S9_S9_EESD_ST_SE_SF_SG_EUlST_E1_NS1_11comp_targetILNS1_3genE0ELNS1_11target_archE4294967295ELNS1_3gpuE0ELNS1_3repE0EEENS1_36merge_oddeven_config_static_selectorELNS0_4arch9wavefront6targetE1EEEvSF_
    .private_segment_fixed_size: 0
    .sgpr_count:     4
    .sgpr_spill_count: 0
    .symbol:         _ZN7rocprim17ROCPRIM_400000_NS6detail17trampoline_kernelINS0_14default_configENS1_38merge_sort_block_merge_config_selectorIyNS0_10empty_typeEEEZZNS1_27merge_sort_block_merge_implIS3_PyPS5_jNS1_19radix_merge_compareILb1ELb1EyNS0_19identity_decomposerEEEEE10hipError_tT0_T1_T2_jT3_P12ihipStream_tbPNSt15iterator_traitsISE_E10value_typeEPNSK_ISF_E10value_typeEPSG_NS1_7vsmem_tEENKUlT_SE_SF_SG_E_clIS8_S8_S9_S9_EESD_ST_SE_SF_SG_EUlST_E1_NS1_11comp_targetILNS1_3genE0ELNS1_11target_archE4294967295ELNS1_3gpuE0ELNS1_3repE0EEENS1_36merge_oddeven_config_static_selectorELNS0_4arch9wavefront6targetE1EEEvSF_.kd
    .uniform_work_group_size: 1
    .uses_dynamic_stack: false
    .vgpr_count:     0
    .vgpr_spill_count: 0
    .wavefront_size: 64
  - .agpr_count:     0
    .args:
      - .offset:         0
        .size:           48
        .value_kind:     by_value
    .group_segment_fixed_size: 0
    .kernarg_segment_align: 8
    .kernarg_segment_size: 48
    .language:       OpenCL C
    .language_version:
      - 2
      - 0
    .max_flat_workgroup_size: 256
    .name:           _ZN7rocprim17ROCPRIM_400000_NS6detail17trampoline_kernelINS0_14default_configENS1_38merge_sort_block_merge_config_selectorIyNS0_10empty_typeEEEZZNS1_27merge_sort_block_merge_implIS3_PyPS5_jNS1_19radix_merge_compareILb1ELb1EyNS0_19identity_decomposerEEEEE10hipError_tT0_T1_T2_jT3_P12ihipStream_tbPNSt15iterator_traitsISE_E10value_typeEPNSK_ISF_E10value_typeEPSG_NS1_7vsmem_tEENKUlT_SE_SF_SG_E_clIS8_S8_S9_S9_EESD_ST_SE_SF_SG_EUlST_E1_NS1_11comp_targetILNS1_3genE10ELNS1_11target_archE1201ELNS1_3gpuE5ELNS1_3repE0EEENS1_36merge_oddeven_config_static_selectorELNS0_4arch9wavefront6targetE1EEEvSF_
    .private_segment_fixed_size: 0
    .sgpr_count:     4
    .sgpr_spill_count: 0
    .symbol:         _ZN7rocprim17ROCPRIM_400000_NS6detail17trampoline_kernelINS0_14default_configENS1_38merge_sort_block_merge_config_selectorIyNS0_10empty_typeEEEZZNS1_27merge_sort_block_merge_implIS3_PyPS5_jNS1_19radix_merge_compareILb1ELb1EyNS0_19identity_decomposerEEEEE10hipError_tT0_T1_T2_jT3_P12ihipStream_tbPNSt15iterator_traitsISE_E10value_typeEPNSK_ISF_E10value_typeEPSG_NS1_7vsmem_tEENKUlT_SE_SF_SG_E_clIS8_S8_S9_S9_EESD_ST_SE_SF_SG_EUlST_E1_NS1_11comp_targetILNS1_3genE10ELNS1_11target_archE1201ELNS1_3gpuE5ELNS1_3repE0EEENS1_36merge_oddeven_config_static_selectorELNS0_4arch9wavefront6targetE1EEEvSF_.kd
    .uniform_work_group_size: 1
    .uses_dynamic_stack: false
    .vgpr_count:     0
    .vgpr_spill_count: 0
    .wavefront_size: 64
  - .agpr_count:     0
    .args:
      - .offset:         0
        .size:           48
        .value_kind:     by_value
    .group_segment_fixed_size: 0
    .kernarg_segment_align: 8
    .kernarg_segment_size: 48
    .language:       OpenCL C
    .language_version:
      - 2
      - 0
    .max_flat_workgroup_size: 256
    .name:           _ZN7rocprim17ROCPRIM_400000_NS6detail17trampoline_kernelINS0_14default_configENS1_38merge_sort_block_merge_config_selectorIyNS0_10empty_typeEEEZZNS1_27merge_sort_block_merge_implIS3_PyPS5_jNS1_19radix_merge_compareILb1ELb1EyNS0_19identity_decomposerEEEEE10hipError_tT0_T1_T2_jT3_P12ihipStream_tbPNSt15iterator_traitsISE_E10value_typeEPNSK_ISF_E10value_typeEPSG_NS1_7vsmem_tEENKUlT_SE_SF_SG_E_clIS8_S8_S9_S9_EESD_ST_SE_SF_SG_EUlST_E1_NS1_11comp_targetILNS1_3genE5ELNS1_11target_archE942ELNS1_3gpuE9ELNS1_3repE0EEENS1_36merge_oddeven_config_static_selectorELNS0_4arch9wavefront6targetE1EEEvSF_
    .private_segment_fixed_size: 0
    .sgpr_count:     4
    .sgpr_spill_count: 0
    .symbol:         _ZN7rocprim17ROCPRIM_400000_NS6detail17trampoline_kernelINS0_14default_configENS1_38merge_sort_block_merge_config_selectorIyNS0_10empty_typeEEEZZNS1_27merge_sort_block_merge_implIS3_PyPS5_jNS1_19radix_merge_compareILb1ELb1EyNS0_19identity_decomposerEEEEE10hipError_tT0_T1_T2_jT3_P12ihipStream_tbPNSt15iterator_traitsISE_E10value_typeEPNSK_ISF_E10value_typeEPSG_NS1_7vsmem_tEENKUlT_SE_SF_SG_E_clIS8_S8_S9_S9_EESD_ST_SE_SF_SG_EUlST_E1_NS1_11comp_targetILNS1_3genE5ELNS1_11target_archE942ELNS1_3gpuE9ELNS1_3repE0EEENS1_36merge_oddeven_config_static_selectorELNS0_4arch9wavefront6targetE1EEEvSF_.kd
    .uniform_work_group_size: 1
    .uses_dynamic_stack: false
    .vgpr_count:     0
    .vgpr_spill_count: 0
    .wavefront_size: 64
  - .agpr_count:     0
    .args:
      - .offset:         0
        .size:           48
        .value_kind:     by_value
    .group_segment_fixed_size: 0
    .kernarg_segment_align: 8
    .kernarg_segment_size: 48
    .language:       OpenCL C
    .language_version:
      - 2
      - 0
    .max_flat_workgroup_size: 256
    .name:           _ZN7rocprim17ROCPRIM_400000_NS6detail17trampoline_kernelINS0_14default_configENS1_38merge_sort_block_merge_config_selectorIyNS0_10empty_typeEEEZZNS1_27merge_sort_block_merge_implIS3_PyPS5_jNS1_19radix_merge_compareILb1ELb1EyNS0_19identity_decomposerEEEEE10hipError_tT0_T1_T2_jT3_P12ihipStream_tbPNSt15iterator_traitsISE_E10value_typeEPNSK_ISF_E10value_typeEPSG_NS1_7vsmem_tEENKUlT_SE_SF_SG_E_clIS8_S8_S9_S9_EESD_ST_SE_SF_SG_EUlST_E1_NS1_11comp_targetILNS1_3genE4ELNS1_11target_archE910ELNS1_3gpuE8ELNS1_3repE0EEENS1_36merge_oddeven_config_static_selectorELNS0_4arch9wavefront6targetE1EEEvSF_
    .private_segment_fixed_size: 0
    .sgpr_count:     25
    .sgpr_spill_count: 0
    .symbol:         _ZN7rocprim17ROCPRIM_400000_NS6detail17trampoline_kernelINS0_14default_configENS1_38merge_sort_block_merge_config_selectorIyNS0_10empty_typeEEEZZNS1_27merge_sort_block_merge_implIS3_PyPS5_jNS1_19radix_merge_compareILb1ELb1EyNS0_19identity_decomposerEEEEE10hipError_tT0_T1_T2_jT3_P12ihipStream_tbPNSt15iterator_traitsISE_E10value_typeEPNSK_ISF_E10value_typeEPSG_NS1_7vsmem_tEENKUlT_SE_SF_SG_E_clIS8_S8_S9_S9_EESD_ST_SE_SF_SG_EUlST_E1_NS1_11comp_targetILNS1_3genE4ELNS1_11target_archE910ELNS1_3gpuE8ELNS1_3repE0EEENS1_36merge_oddeven_config_static_selectorELNS0_4arch9wavefront6targetE1EEEvSF_.kd
    .uniform_work_group_size: 1
    .uses_dynamic_stack: false
    .vgpr_count:     14
    .vgpr_spill_count: 0
    .wavefront_size: 64
  - .agpr_count:     0
    .args:
      - .offset:         0
        .size:           48
        .value_kind:     by_value
    .group_segment_fixed_size: 0
    .kernarg_segment_align: 8
    .kernarg_segment_size: 48
    .language:       OpenCL C
    .language_version:
      - 2
      - 0
    .max_flat_workgroup_size: 256
    .name:           _ZN7rocprim17ROCPRIM_400000_NS6detail17trampoline_kernelINS0_14default_configENS1_38merge_sort_block_merge_config_selectorIyNS0_10empty_typeEEEZZNS1_27merge_sort_block_merge_implIS3_PyPS5_jNS1_19radix_merge_compareILb1ELb1EyNS0_19identity_decomposerEEEEE10hipError_tT0_T1_T2_jT3_P12ihipStream_tbPNSt15iterator_traitsISE_E10value_typeEPNSK_ISF_E10value_typeEPSG_NS1_7vsmem_tEENKUlT_SE_SF_SG_E_clIS8_S8_S9_S9_EESD_ST_SE_SF_SG_EUlST_E1_NS1_11comp_targetILNS1_3genE3ELNS1_11target_archE908ELNS1_3gpuE7ELNS1_3repE0EEENS1_36merge_oddeven_config_static_selectorELNS0_4arch9wavefront6targetE1EEEvSF_
    .private_segment_fixed_size: 0
    .sgpr_count:     4
    .sgpr_spill_count: 0
    .symbol:         _ZN7rocprim17ROCPRIM_400000_NS6detail17trampoline_kernelINS0_14default_configENS1_38merge_sort_block_merge_config_selectorIyNS0_10empty_typeEEEZZNS1_27merge_sort_block_merge_implIS3_PyPS5_jNS1_19radix_merge_compareILb1ELb1EyNS0_19identity_decomposerEEEEE10hipError_tT0_T1_T2_jT3_P12ihipStream_tbPNSt15iterator_traitsISE_E10value_typeEPNSK_ISF_E10value_typeEPSG_NS1_7vsmem_tEENKUlT_SE_SF_SG_E_clIS8_S8_S9_S9_EESD_ST_SE_SF_SG_EUlST_E1_NS1_11comp_targetILNS1_3genE3ELNS1_11target_archE908ELNS1_3gpuE7ELNS1_3repE0EEENS1_36merge_oddeven_config_static_selectorELNS0_4arch9wavefront6targetE1EEEvSF_.kd
    .uniform_work_group_size: 1
    .uses_dynamic_stack: false
    .vgpr_count:     0
    .vgpr_spill_count: 0
    .wavefront_size: 64
  - .agpr_count:     0
    .args:
      - .offset:         0
        .size:           48
        .value_kind:     by_value
    .group_segment_fixed_size: 0
    .kernarg_segment_align: 8
    .kernarg_segment_size: 48
    .language:       OpenCL C
    .language_version:
      - 2
      - 0
    .max_flat_workgroup_size: 256
    .name:           _ZN7rocprim17ROCPRIM_400000_NS6detail17trampoline_kernelINS0_14default_configENS1_38merge_sort_block_merge_config_selectorIyNS0_10empty_typeEEEZZNS1_27merge_sort_block_merge_implIS3_PyPS5_jNS1_19radix_merge_compareILb1ELb1EyNS0_19identity_decomposerEEEEE10hipError_tT0_T1_T2_jT3_P12ihipStream_tbPNSt15iterator_traitsISE_E10value_typeEPNSK_ISF_E10value_typeEPSG_NS1_7vsmem_tEENKUlT_SE_SF_SG_E_clIS8_S8_S9_S9_EESD_ST_SE_SF_SG_EUlST_E1_NS1_11comp_targetILNS1_3genE2ELNS1_11target_archE906ELNS1_3gpuE6ELNS1_3repE0EEENS1_36merge_oddeven_config_static_selectorELNS0_4arch9wavefront6targetE1EEEvSF_
    .private_segment_fixed_size: 0
    .sgpr_count:     4
    .sgpr_spill_count: 0
    .symbol:         _ZN7rocprim17ROCPRIM_400000_NS6detail17trampoline_kernelINS0_14default_configENS1_38merge_sort_block_merge_config_selectorIyNS0_10empty_typeEEEZZNS1_27merge_sort_block_merge_implIS3_PyPS5_jNS1_19radix_merge_compareILb1ELb1EyNS0_19identity_decomposerEEEEE10hipError_tT0_T1_T2_jT3_P12ihipStream_tbPNSt15iterator_traitsISE_E10value_typeEPNSK_ISF_E10value_typeEPSG_NS1_7vsmem_tEENKUlT_SE_SF_SG_E_clIS8_S8_S9_S9_EESD_ST_SE_SF_SG_EUlST_E1_NS1_11comp_targetILNS1_3genE2ELNS1_11target_archE906ELNS1_3gpuE6ELNS1_3repE0EEENS1_36merge_oddeven_config_static_selectorELNS0_4arch9wavefront6targetE1EEEvSF_.kd
    .uniform_work_group_size: 1
    .uses_dynamic_stack: false
    .vgpr_count:     0
    .vgpr_spill_count: 0
    .wavefront_size: 64
  - .agpr_count:     0
    .args:
      - .offset:         0
        .size:           48
        .value_kind:     by_value
    .group_segment_fixed_size: 0
    .kernarg_segment_align: 8
    .kernarg_segment_size: 48
    .language:       OpenCL C
    .language_version:
      - 2
      - 0
    .max_flat_workgroup_size: 256
    .name:           _ZN7rocprim17ROCPRIM_400000_NS6detail17trampoline_kernelINS0_14default_configENS1_38merge_sort_block_merge_config_selectorIyNS0_10empty_typeEEEZZNS1_27merge_sort_block_merge_implIS3_PyPS5_jNS1_19radix_merge_compareILb1ELb1EyNS0_19identity_decomposerEEEEE10hipError_tT0_T1_T2_jT3_P12ihipStream_tbPNSt15iterator_traitsISE_E10value_typeEPNSK_ISF_E10value_typeEPSG_NS1_7vsmem_tEENKUlT_SE_SF_SG_E_clIS8_S8_S9_S9_EESD_ST_SE_SF_SG_EUlST_E1_NS1_11comp_targetILNS1_3genE9ELNS1_11target_archE1100ELNS1_3gpuE3ELNS1_3repE0EEENS1_36merge_oddeven_config_static_selectorELNS0_4arch9wavefront6targetE1EEEvSF_
    .private_segment_fixed_size: 0
    .sgpr_count:     4
    .sgpr_spill_count: 0
    .symbol:         _ZN7rocprim17ROCPRIM_400000_NS6detail17trampoline_kernelINS0_14default_configENS1_38merge_sort_block_merge_config_selectorIyNS0_10empty_typeEEEZZNS1_27merge_sort_block_merge_implIS3_PyPS5_jNS1_19radix_merge_compareILb1ELb1EyNS0_19identity_decomposerEEEEE10hipError_tT0_T1_T2_jT3_P12ihipStream_tbPNSt15iterator_traitsISE_E10value_typeEPNSK_ISF_E10value_typeEPSG_NS1_7vsmem_tEENKUlT_SE_SF_SG_E_clIS8_S8_S9_S9_EESD_ST_SE_SF_SG_EUlST_E1_NS1_11comp_targetILNS1_3genE9ELNS1_11target_archE1100ELNS1_3gpuE3ELNS1_3repE0EEENS1_36merge_oddeven_config_static_selectorELNS0_4arch9wavefront6targetE1EEEvSF_.kd
    .uniform_work_group_size: 1
    .uses_dynamic_stack: false
    .vgpr_count:     0
    .vgpr_spill_count: 0
    .wavefront_size: 64
  - .agpr_count:     0
    .args:
      - .offset:         0
        .size:           48
        .value_kind:     by_value
    .group_segment_fixed_size: 0
    .kernarg_segment_align: 8
    .kernarg_segment_size: 48
    .language:       OpenCL C
    .language_version:
      - 2
      - 0
    .max_flat_workgroup_size: 256
    .name:           _ZN7rocprim17ROCPRIM_400000_NS6detail17trampoline_kernelINS0_14default_configENS1_38merge_sort_block_merge_config_selectorIyNS0_10empty_typeEEEZZNS1_27merge_sort_block_merge_implIS3_PyPS5_jNS1_19radix_merge_compareILb1ELb1EyNS0_19identity_decomposerEEEEE10hipError_tT0_T1_T2_jT3_P12ihipStream_tbPNSt15iterator_traitsISE_E10value_typeEPNSK_ISF_E10value_typeEPSG_NS1_7vsmem_tEENKUlT_SE_SF_SG_E_clIS8_S8_S9_S9_EESD_ST_SE_SF_SG_EUlST_E1_NS1_11comp_targetILNS1_3genE8ELNS1_11target_archE1030ELNS1_3gpuE2ELNS1_3repE0EEENS1_36merge_oddeven_config_static_selectorELNS0_4arch9wavefront6targetE1EEEvSF_
    .private_segment_fixed_size: 0
    .sgpr_count:     4
    .sgpr_spill_count: 0
    .symbol:         _ZN7rocprim17ROCPRIM_400000_NS6detail17trampoline_kernelINS0_14default_configENS1_38merge_sort_block_merge_config_selectorIyNS0_10empty_typeEEEZZNS1_27merge_sort_block_merge_implIS3_PyPS5_jNS1_19radix_merge_compareILb1ELb1EyNS0_19identity_decomposerEEEEE10hipError_tT0_T1_T2_jT3_P12ihipStream_tbPNSt15iterator_traitsISE_E10value_typeEPNSK_ISF_E10value_typeEPSG_NS1_7vsmem_tEENKUlT_SE_SF_SG_E_clIS8_S8_S9_S9_EESD_ST_SE_SF_SG_EUlST_E1_NS1_11comp_targetILNS1_3genE8ELNS1_11target_archE1030ELNS1_3gpuE2ELNS1_3repE0EEENS1_36merge_oddeven_config_static_selectorELNS0_4arch9wavefront6targetE1EEEvSF_.kd
    .uniform_work_group_size: 1
    .uses_dynamic_stack: false
    .vgpr_count:     0
    .vgpr_spill_count: 0
    .wavefront_size: 64
  - .agpr_count:     0
    .args:
      - .offset:         0
        .size:           48
        .value_kind:     by_value
    .group_segment_fixed_size: 0
    .kernarg_segment_align: 8
    .kernarg_segment_size: 48
    .language:       OpenCL C
    .language_version:
      - 2
      - 0
    .max_flat_workgroup_size: 512
    .name:           _ZN7rocprim17ROCPRIM_400000_NS6detail17trampoline_kernelINS0_14default_configENS1_35radix_sort_onesweep_config_selectorIyNS0_10empty_typeEEEZNS1_34radix_sort_onesweep_global_offsetsIS3_Lb1EPyPS5_mNS0_19identity_decomposerEEE10hipError_tT1_T2_PT3_SE_jT4_jjP12ihipStream_tbEUlT_E_NS1_11comp_targetILNS1_3genE0ELNS1_11target_archE4294967295ELNS1_3gpuE0ELNS1_3repE0EEENS1_52radix_sort_onesweep_histogram_config_static_selectorELNS0_4arch9wavefront6targetE1EEEvSC_
    .private_segment_fixed_size: 0
    .sgpr_count:     4
    .sgpr_spill_count: 0
    .symbol:         _ZN7rocprim17ROCPRIM_400000_NS6detail17trampoline_kernelINS0_14default_configENS1_35radix_sort_onesweep_config_selectorIyNS0_10empty_typeEEEZNS1_34radix_sort_onesweep_global_offsetsIS3_Lb1EPyPS5_mNS0_19identity_decomposerEEE10hipError_tT1_T2_PT3_SE_jT4_jjP12ihipStream_tbEUlT_E_NS1_11comp_targetILNS1_3genE0ELNS1_11target_archE4294967295ELNS1_3gpuE0ELNS1_3repE0EEENS1_52radix_sort_onesweep_histogram_config_static_selectorELNS0_4arch9wavefront6targetE1EEEvSC_.kd
    .uniform_work_group_size: 1
    .uses_dynamic_stack: false
    .vgpr_count:     0
    .vgpr_spill_count: 0
    .wavefront_size: 64
  - .agpr_count:     0
    .args:
      - .offset:         0
        .size:           48
        .value_kind:     by_value
    .group_segment_fixed_size: 0
    .kernarg_segment_align: 8
    .kernarg_segment_size: 48
    .language:       OpenCL C
    .language_version:
      - 2
      - 0
    .max_flat_workgroup_size: 512
    .name:           _ZN7rocprim17ROCPRIM_400000_NS6detail17trampoline_kernelINS0_14default_configENS1_35radix_sort_onesweep_config_selectorIyNS0_10empty_typeEEEZNS1_34radix_sort_onesweep_global_offsetsIS3_Lb1EPyPS5_mNS0_19identity_decomposerEEE10hipError_tT1_T2_PT3_SE_jT4_jjP12ihipStream_tbEUlT_E_NS1_11comp_targetILNS1_3genE6ELNS1_11target_archE950ELNS1_3gpuE13ELNS1_3repE0EEENS1_52radix_sort_onesweep_histogram_config_static_selectorELNS0_4arch9wavefront6targetE1EEEvSC_
    .private_segment_fixed_size: 0
    .sgpr_count:     4
    .sgpr_spill_count: 0
    .symbol:         _ZN7rocprim17ROCPRIM_400000_NS6detail17trampoline_kernelINS0_14default_configENS1_35radix_sort_onesweep_config_selectorIyNS0_10empty_typeEEEZNS1_34radix_sort_onesweep_global_offsetsIS3_Lb1EPyPS5_mNS0_19identity_decomposerEEE10hipError_tT1_T2_PT3_SE_jT4_jjP12ihipStream_tbEUlT_E_NS1_11comp_targetILNS1_3genE6ELNS1_11target_archE950ELNS1_3gpuE13ELNS1_3repE0EEENS1_52radix_sort_onesweep_histogram_config_static_selectorELNS0_4arch9wavefront6targetE1EEEvSC_.kd
    .uniform_work_group_size: 1
    .uses_dynamic_stack: false
    .vgpr_count:     0
    .vgpr_spill_count: 0
    .wavefront_size: 64
  - .agpr_count:     0
    .args:
      - .offset:         0
        .size:           48
        .value_kind:     by_value
    .group_segment_fixed_size: 0
    .kernarg_segment_align: 8
    .kernarg_segment_size: 48
    .language:       OpenCL C
    .language_version:
      - 2
      - 0
    .max_flat_workgroup_size: 512
    .name:           _ZN7rocprim17ROCPRIM_400000_NS6detail17trampoline_kernelINS0_14default_configENS1_35radix_sort_onesweep_config_selectorIyNS0_10empty_typeEEEZNS1_34radix_sort_onesweep_global_offsetsIS3_Lb1EPyPS5_mNS0_19identity_decomposerEEE10hipError_tT1_T2_PT3_SE_jT4_jjP12ihipStream_tbEUlT_E_NS1_11comp_targetILNS1_3genE5ELNS1_11target_archE942ELNS1_3gpuE9ELNS1_3repE0EEENS1_52radix_sort_onesweep_histogram_config_static_selectorELNS0_4arch9wavefront6targetE1EEEvSC_
    .private_segment_fixed_size: 0
    .sgpr_count:     4
    .sgpr_spill_count: 0
    .symbol:         _ZN7rocprim17ROCPRIM_400000_NS6detail17trampoline_kernelINS0_14default_configENS1_35radix_sort_onesweep_config_selectorIyNS0_10empty_typeEEEZNS1_34radix_sort_onesweep_global_offsetsIS3_Lb1EPyPS5_mNS0_19identity_decomposerEEE10hipError_tT1_T2_PT3_SE_jT4_jjP12ihipStream_tbEUlT_E_NS1_11comp_targetILNS1_3genE5ELNS1_11target_archE942ELNS1_3gpuE9ELNS1_3repE0EEENS1_52radix_sort_onesweep_histogram_config_static_selectorELNS0_4arch9wavefront6targetE1EEEvSC_.kd
    .uniform_work_group_size: 1
    .uses_dynamic_stack: false
    .vgpr_count:     0
    .vgpr_spill_count: 0
    .wavefront_size: 64
  - .agpr_count:     0
    .args:
      - .offset:         0
        .size:           48
        .value_kind:     by_value
    .group_segment_fixed_size: 0
    .kernarg_segment_align: 8
    .kernarg_segment_size: 48
    .language:       OpenCL C
    .language_version:
      - 2
      - 0
    .max_flat_workgroup_size: 512
    .name:           _ZN7rocprim17ROCPRIM_400000_NS6detail17trampoline_kernelINS0_14default_configENS1_35radix_sort_onesweep_config_selectorIyNS0_10empty_typeEEEZNS1_34radix_sort_onesweep_global_offsetsIS3_Lb1EPyPS5_mNS0_19identity_decomposerEEE10hipError_tT1_T2_PT3_SE_jT4_jjP12ihipStream_tbEUlT_E_NS1_11comp_targetILNS1_3genE2ELNS1_11target_archE906ELNS1_3gpuE6ELNS1_3repE0EEENS1_52radix_sort_onesweep_histogram_config_static_selectorELNS0_4arch9wavefront6targetE1EEEvSC_
    .private_segment_fixed_size: 0
    .sgpr_count:     4
    .sgpr_spill_count: 0
    .symbol:         _ZN7rocprim17ROCPRIM_400000_NS6detail17trampoline_kernelINS0_14default_configENS1_35radix_sort_onesweep_config_selectorIyNS0_10empty_typeEEEZNS1_34radix_sort_onesweep_global_offsetsIS3_Lb1EPyPS5_mNS0_19identity_decomposerEEE10hipError_tT1_T2_PT3_SE_jT4_jjP12ihipStream_tbEUlT_E_NS1_11comp_targetILNS1_3genE2ELNS1_11target_archE906ELNS1_3gpuE6ELNS1_3repE0EEENS1_52radix_sort_onesweep_histogram_config_static_selectorELNS0_4arch9wavefront6targetE1EEEvSC_.kd
    .uniform_work_group_size: 1
    .uses_dynamic_stack: false
    .vgpr_count:     0
    .vgpr_spill_count: 0
    .wavefront_size: 64
  - .agpr_count:     0
    .args:
      - .offset:         0
        .size:           48
        .value_kind:     by_value
    .group_segment_fixed_size: 32768
    .kernarg_segment_align: 8
    .kernarg_segment_size: 48
    .language:       OpenCL C
    .language_version:
      - 2
      - 0
    .max_flat_workgroup_size: 1024
    .name:           _ZN7rocprim17ROCPRIM_400000_NS6detail17trampoline_kernelINS0_14default_configENS1_35radix_sort_onesweep_config_selectorIyNS0_10empty_typeEEEZNS1_34radix_sort_onesweep_global_offsetsIS3_Lb1EPyPS5_mNS0_19identity_decomposerEEE10hipError_tT1_T2_PT3_SE_jT4_jjP12ihipStream_tbEUlT_E_NS1_11comp_targetILNS1_3genE4ELNS1_11target_archE910ELNS1_3gpuE8ELNS1_3repE0EEENS1_52radix_sort_onesweep_histogram_config_static_selectorELNS0_4arch9wavefront6targetE1EEEvSC_
    .private_segment_fixed_size: 0
    .sgpr_count:     22
    .sgpr_spill_count: 0
    .symbol:         _ZN7rocprim17ROCPRIM_400000_NS6detail17trampoline_kernelINS0_14default_configENS1_35radix_sort_onesweep_config_selectorIyNS0_10empty_typeEEEZNS1_34radix_sort_onesweep_global_offsetsIS3_Lb1EPyPS5_mNS0_19identity_decomposerEEE10hipError_tT1_T2_PT3_SE_jT4_jjP12ihipStream_tbEUlT_E_NS1_11comp_targetILNS1_3genE4ELNS1_11target_archE910ELNS1_3gpuE8ELNS1_3repE0EEENS1_52radix_sort_onesweep_histogram_config_static_selectorELNS0_4arch9wavefront6targetE1EEEvSC_.kd
    .uniform_work_group_size: 1
    .uses_dynamic_stack: false
    .vgpr_count:     30
    .vgpr_spill_count: 0
    .wavefront_size: 64
  - .agpr_count:     0
    .args:
      - .offset:         0
        .size:           48
        .value_kind:     by_value
    .group_segment_fixed_size: 0
    .kernarg_segment_align: 8
    .kernarg_segment_size: 48
    .language:       OpenCL C
    .language_version:
      - 2
      - 0
    .max_flat_workgroup_size: 512
    .name:           _ZN7rocprim17ROCPRIM_400000_NS6detail17trampoline_kernelINS0_14default_configENS1_35radix_sort_onesweep_config_selectorIyNS0_10empty_typeEEEZNS1_34radix_sort_onesweep_global_offsetsIS3_Lb1EPyPS5_mNS0_19identity_decomposerEEE10hipError_tT1_T2_PT3_SE_jT4_jjP12ihipStream_tbEUlT_E_NS1_11comp_targetILNS1_3genE3ELNS1_11target_archE908ELNS1_3gpuE7ELNS1_3repE0EEENS1_52radix_sort_onesweep_histogram_config_static_selectorELNS0_4arch9wavefront6targetE1EEEvSC_
    .private_segment_fixed_size: 0
    .sgpr_count:     4
    .sgpr_spill_count: 0
    .symbol:         _ZN7rocprim17ROCPRIM_400000_NS6detail17trampoline_kernelINS0_14default_configENS1_35radix_sort_onesweep_config_selectorIyNS0_10empty_typeEEEZNS1_34radix_sort_onesweep_global_offsetsIS3_Lb1EPyPS5_mNS0_19identity_decomposerEEE10hipError_tT1_T2_PT3_SE_jT4_jjP12ihipStream_tbEUlT_E_NS1_11comp_targetILNS1_3genE3ELNS1_11target_archE908ELNS1_3gpuE7ELNS1_3repE0EEENS1_52radix_sort_onesweep_histogram_config_static_selectorELNS0_4arch9wavefront6targetE1EEEvSC_.kd
    .uniform_work_group_size: 1
    .uses_dynamic_stack: false
    .vgpr_count:     0
    .vgpr_spill_count: 0
    .wavefront_size: 64
  - .agpr_count:     0
    .args:
      - .offset:         0
        .size:           48
        .value_kind:     by_value
    .group_segment_fixed_size: 0
    .kernarg_segment_align: 8
    .kernarg_segment_size: 48
    .language:       OpenCL C
    .language_version:
      - 2
      - 0
    .max_flat_workgroup_size: 512
    .name:           _ZN7rocprim17ROCPRIM_400000_NS6detail17trampoline_kernelINS0_14default_configENS1_35radix_sort_onesweep_config_selectorIyNS0_10empty_typeEEEZNS1_34radix_sort_onesweep_global_offsetsIS3_Lb1EPyPS5_mNS0_19identity_decomposerEEE10hipError_tT1_T2_PT3_SE_jT4_jjP12ihipStream_tbEUlT_E_NS1_11comp_targetILNS1_3genE10ELNS1_11target_archE1201ELNS1_3gpuE5ELNS1_3repE0EEENS1_52radix_sort_onesweep_histogram_config_static_selectorELNS0_4arch9wavefront6targetE1EEEvSC_
    .private_segment_fixed_size: 0
    .sgpr_count:     4
    .sgpr_spill_count: 0
    .symbol:         _ZN7rocprim17ROCPRIM_400000_NS6detail17trampoline_kernelINS0_14default_configENS1_35radix_sort_onesweep_config_selectorIyNS0_10empty_typeEEEZNS1_34radix_sort_onesweep_global_offsetsIS3_Lb1EPyPS5_mNS0_19identity_decomposerEEE10hipError_tT1_T2_PT3_SE_jT4_jjP12ihipStream_tbEUlT_E_NS1_11comp_targetILNS1_3genE10ELNS1_11target_archE1201ELNS1_3gpuE5ELNS1_3repE0EEENS1_52radix_sort_onesweep_histogram_config_static_selectorELNS0_4arch9wavefront6targetE1EEEvSC_.kd
    .uniform_work_group_size: 1
    .uses_dynamic_stack: false
    .vgpr_count:     0
    .vgpr_spill_count: 0
    .wavefront_size: 64
  - .agpr_count:     0
    .args:
      - .offset:         0
        .size:           48
        .value_kind:     by_value
    .group_segment_fixed_size: 0
    .kernarg_segment_align: 8
    .kernarg_segment_size: 48
    .language:       OpenCL C
    .language_version:
      - 2
      - 0
    .max_flat_workgroup_size: 1024
    .name:           _ZN7rocprim17ROCPRIM_400000_NS6detail17trampoline_kernelINS0_14default_configENS1_35radix_sort_onesweep_config_selectorIyNS0_10empty_typeEEEZNS1_34radix_sort_onesweep_global_offsetsIS3_Lb1EPyPS5_mNS0_19identity_decomposerEEE10hipError_tT1_T2_PT3_SE_jT4_jjP12ihipStream_tbEUlT_E_NS1_11comp_targetILNS1_3genE9ELNS1_11target_archE1100ELNS1_3gpuE3ELNS1_3repE0EEENS1_52radix_sort_onesweep_histogram_config_static_selectorELNS0_4arch9wavefront6targetE1EEEvSC_
    .private_segment_fixed_size: 0
    .sgpr_count:     4
    .sgpr_spill_count: 0
    .symbol:         _ZN7rocprim17ROCPRIM_400000_NS6detail17trampoline_kernelINS0_14default_configENS1_35radix_sort_onesweep_config_selectorIyNS0_10empty_typeEEEZNS1_34radix_sort_onesweep_global_offsetsIS3_Lb1EPyPS5_mNS0_19identity_decomposerEEE10hipError_tT1_T2_PT3_SE_jT4_jjP12ihipStream_tbEUlT_E_NS1_11comp_targetILNS1_3genE9ELNS1_11target_archE1100ELNS1_3gpuE3ELNS1_3repE0EEENS1_52radix_sort_onesweep_histogram_config_static_selectorELNS0_4arch9wavefront6targetE1EEEvSC_.kd
    .uniform_work_group_size: 1
    .uses_dynamic_stack: false
    .vgpr_count:     0
    .vgpr_spill_count: 0
    .wavefront_size: 64
  - .agpr_count:     0
    .args:
      - .offset:         0
        .size:           48
        .value_kind:     by_value
    .group_segment_fixed_size: 0
    .kernarg_segment_align: 8
    .kernarg_segment_size: 48
    .language:       OpenCL C
    .language_version:
      - 2
      - 0
    .max_flat_workgroup_size: 1024
    .name:           _ZN7rocprim17ROCPRIM_400000_NS6detail17trampoline_kernelINS0_14default_configENS1_35radix_sort_onesweep_config_selectorIyNS0_10empty_typeEEEZNS1_34radix_sort_onesweep_global_offsetsIS3_Lb1EPyPS5_mNS0_19identity_decomposerEEE10hipError_tT1_T2_PT3_SE_jT4_jjP12ihipStream_tbEUlT_E_NS1_11comp_targetILNS1_3genE8ELNS1_11target_archE1030ELNS1_3gpuE2ELNS1_3repE0EEENS1_52radix_sort_onesweep_histogram_config_static_selectorELNS0_4arch9wavefront6targetE1EEEvSC_
    .private_segment_fixed_size: 0
    .sgpr_count:     4
    .sgpr_spill_count: 0
    .symbol:         _ZN7rocprim17ROCPRIM_400000_NS6detail17trampoline_kernelINS0_14default_configENS1_35radix_sort_onesweep_config_selectorIyNS0_10empty_typeEEEZNS1_34radix_sort_onesweep_global_offsetsIS3_Lb1EPyPS5_mNS0_19identity_decomposerEEE10hipError_tT1_T2_PT3_SE_jT4_jjP12ihipStream_tbEUlT_E_NS1_11comp_targetILNS1_3genE8ELNS1_11target_archE1030ELNS1_3gpuE2ELNS1_3repE0EEENS1_52radix_sort_onesweep_histogram_config_static_selectorELNS0_4arch9wavefront6targetE1EEEvSC_.kd
    .uniform_work_group_size: 1
    .uses_dynamic_stack: false
    .vgpr_count:     0
    .vgpr_spill_count: 0
    .wavefront_size: 64
  - .agpr_count:     0
    .args:
      - .address_space:  global
        .offset:         0
        .size:           8
        .value_kind:     global_buffer
    .group_segment_fixed_size: 0
    .kernarg_segment_align: 8
    .kernarg_segment_size: 8
    .language:       OpenCL C
    .language_version:
      - 2
      - 0
    .max_flat_workgroup_size: 512
    .name:           _ZN7rocprim17ROCPRIM_400000_NS6detail17trampoline_kernelINS0_14default_configENS1_35radix_sort_onesweep_config_selectorIyNS0_10empty_typeEEEZNS1_34radix_sort_onesweep_global_offsetsIS3_Lb1EPyPS5_mNS0_19identity_decomposerEEE10hipError_tT1_T2_PT3_SE_jT4_jjP12ihipStream_tbEUlT_E0_NS1_11comp_targetILNS1_3genE0ELNS1_11target_archE4294967295ELNS1_3gpuE0ELNS1_3repE0EEENS1_52radix_sort_onesweep_histogram_config_static_selectorELNS0_4arch9wavefront6targetE1EEEvSC_
    .private_segment_fixed_size: 0
    .sgpr_count:     4
    .sgpr_spill_count: 0
    .symbol:         _ZN7rocprim17ROCPRIM_400000_NS6detail17trampoline_kernelINS0_14default_configENS1_35radix_sort_onesweep_config_selectorIyNS0_10empty_typeEEEZNS1_34radix_sort_onesweep_global_offsetsIS3_Lb1EPyPS5_mNS0_19identity_decomposerEEE10hipError_tT1_T2_PT3_SE_jT4_jjP12ihipStream_tbEUlT_E0_NS1_11comp_targetILNS1_3genE0ELNS1_11target_archE4294967295ELNS1_3gpuE0ELNS1_3repE0EEENS1_52radix_sort_onesweep_histogram_config_static_selectorELNS0_4arch9wavefront6targetE1EEEvSC_.kd
    .uniform_work_group_size: 1
    .uses_dynamic_stack: false
    .vgpr_count:     0
    .vgpr_spill_count: 0
    .wavefront_size: 64
  - .agpr_count:     0
    .args:
      - .address_space:  global
        .offset:         0
        .size:           8
        .value_kind:     global_buffer
    .group_segment_fixed_size: 0
    .kernarg_segment_align: 8
    .kernarg_segment_size: 8
    .language:       OpenCL C
    .language_version:
      - 2
      - 0
    .max_flat_workgroup_size: 512
    .name:           _ZN7rocprim17ROCPRIM_400000_NS6detail17trampoline_kernelINS0_14default_configENS1_35radix_sort_onesweep_config_selectorIyNS0_10empty_typeEEEZNS1_34radix_sort_onesweep_global_offsetsIS3_Lb1EPyPS5_mNS0_19identity_decomposerEEE10hipError_tT1_T2_PT3_SE_jT4_jjP12ihipStream_tbEUlT_E0_NS1_11comp_targetILNS1_3genE6ELNS1_11target_archE950ELNS1_3gpuE13ELNS1_3repE0EEENS1_52radix_sort_onesweep_histogram_config_static_selectorELNS0_4arch9wavefront6targetE1EEEvSC_
    .private_segment_fixed_size: 0
    .sgpr_count:     4
    .sgpr_spill_count: 0
    .symbol:         _ZN7rocprim17ROCPRIM_400000_NS6detail17trampoline_kernelINS0_14default_configENS1_35radix_sort_onesweep_config_selectorIyNS0_10empty_typeEEEZNS1_34radix_sort_onesweep_global_offsetsIS3_Lb1EPyPS5_mNS0_19identity_decomposerEEE10hipError_tT1_T2_PT3_SE_jT4_jjP12ihipStream_tbEUlT_E0_NS1_11comp_targetILNS1_3genE6ELNS1_11target_archE950ELNS1_3gpuE13ELNS1_3repE0EEENS1_52radix_sort_onesweep_histogram_config_static_selectorELNS0_4arch9wavefront6targetE1EEEvSC_.kd
    .uniform_work_group_size: 1
    .uses_dynamic_stack: false
    .vgpr_count:     0
    .vgpr_spill_count: 0
    .wavefront_size: 64
  - .agpr_count:     0
    .args:
      - .address_space:  global
        .offset:         0
        .size:           8
        .value_kind:     global_buffer
    .group_segment_fixed_size: 0
    .kernarg_segment_align: 8
    .kernarg_segment_size: 8
    .language:       OpenCL C
    .language_version:
      - 2
      - 0
    .max_flat_workgroup_size: 512
    .name:           _ZN7rocprim17ROCPRIM_400000_NS6detail17trampoline_kernelINS0_14default_configENS1_35radix_sort_onesweep_config_selectorIyNS0_10empty_typeEEEZNS1_34radix_sort_onesweep_global_offsetsIS3_Lb1EPyPS5_mNS0_19identity_decomposerEEE10hipError_tT1_T2_PT3_SE_jT4_jjP12ihipStream_tbEUlT_E0_NS1_11comp_targetILNS1_3genE5ELNS1_11target_archE942ELNS1_3gpuE9ELNS1_3repE0EEENS1_52radix_sort_onesweep_histogram_config_static_selectorELNS0_4arch9wavefront6targetE1EEEvSC_
    .private_segment_fixed_size: 0
    .sgpr_count:     4
    .sgpr_spill_count: 0
    .symbol:         _ZN7rocprim17ROCPRIM_400000_NS6detail17trampoline_kernelINS0_14default_configENS1_35radix_sort_onesweep_config_selectorIyNS0_10empty_typeEEEZNS1_34radix_sort_onesweep_global_offsetsIS3_Lb1EPyPS5_mNS0_19identity_decomposerEEE10hipError_tT1_T2_PT3_SE_jT4_jjP12ihipStream_tbEUlT_E0_NS1_11comp_targetILNS1_3genE5ELNS1_11target_archE942ELNS1_3gpuE9ELNS1_3repE0EEENS1_52radix_sort_onesweep_histogram_config_static_selectorELNS0_4arch9wavefront6targetE1EEEvSC_.kd
    .uniform_work_group_size: 1
    .uses_dynamic_stack: false
    .vgpr_count:     0
    .vgpr_spill_count: 0
    .wavefront_size: 64
  - .agpr_count:     0
    .args:
      - .address_space:  global
        .offset:         0
        .size:           8
        .value_kind:     global_buffer
    .group_segment_fixed_size: 0
    .kernarg_segment_align: 8
    .kernarg_segment_size: 8
    .language:       OpenCL C
    .language_version:
      - 2
      - 0
    .max_flat_workgroup_size: 512
    .name:           _ZN7rocprim17ROCPRIM_400000_NS6detail17trampoline_kernelINS0_14default_configENS1_35radix_sort_onesweep_config_selectorIyNS0_10empty_typeEEEZNS1_34radix_sort_onesweep_global_offsetsIS3_Lb1EPyPS5_mNS0_19identity_decomposerEEE10hipError_tT1_T2_PT3_SE_jT4_jjP12ihipStream_tbEUlT_E0_NS1_11comp_targetILNS1_3genE2ELNS1_11target_archE906ELNS1_3gpuE6ELNS1_3repE0EEENS1_52radix_sort_onesweep_histogram_config_static_selectorELNS0_4arch9wavefront6targetE1EEEvSC_
    .private_segment_fixed_size: 0
    .sgpr_count:     4
    .sgpr_spill_count: 0
    .symbol:         _ZN7rocprim17ROCPRIM_400000_NS6detail17trampoline_kernelINS0_14default_configENS1_35radix_sort_onesweep_config_selectorIyNS0_10empty_typeEEEZNS1_34radix_sort_onesweep_global_offsetsIS3_Lb1EPyPS5_mNS0_19identity_decomposerEEE10hipError_tT1_T2_PT3_SE_jT4_jjP12ihipStream_tbEUlT_E0_NS1_11comp_targetILNS1_3genE2ELNS1_11target_archE906ELNS1_3gpuE6ELNS1_3repE0EEENS1_52radix_sort_onesweep_histogram_config_static_selectorELNS0_4arch9wavefront6targetE1EEEvSC_.kd
    .uniform_work_group_size: 1
    .uses_dynamic_stack: false
    .vgpr_count:     0
    .vgpr_spill_count: 0
    .wavefront_size: 64
  - .agpr_count:     0
    .args:
      - .address_space:  global
        .offset:         0
        .size:           8
        .value_kind:     global_buffer
    .group_segment_fixed_size: 128
    .kernarg_segment_align: 8
    .kernarg_segment_size: 8
    .language:       OpenCL C
    .language_version:
      - 2
      - 0
    .max_flat_workgroup_size: 1024
    .name:           _ZN7rocprim17ROCPRIM_400000_NS6detail17trampoline_kernelINS0_14default_configENS1_35radix_sort_onesweep_config_selectorIyNS0_10empty_typeEEEZNS1_34radix_sort_onesweep_global_offsetsIS3_Lb1EPyPS5_mNS0_19identity_decomposerEEE10hipError_tT1_T2_PT3_SE_jT4_jjP12ihipStream_tbEUlT_E0_NS1_11comp_targetILNS1_3genE4ELNS1_11target_archE910ELNS1_3gpuE8ELNS1_3repE0EEENS1_52radix_sort_onesweep_histogram_config_static_selectorELNS0_4arch9wavefront6targetE1EEEvSC_
    .private_segment_fixed_size: 0
    .sgpr_count:     22
    .sgpr_spill_count: 0
    .symbol:         _ZN7rocprim17ROCPRIM_400000_NS6detail17trampoline_kernelINS0_14default_configENS1_35radix_sort_onesweep_config_selectorIyNS0_10empty_typeEEEZNS1_34radix_sort_onesweep_global_offsetsIS3_Lb1EPyPS5_mNS0_19identity_decomposerEEE10hipError_tT1_T2_PT3_SE_jT4_jjP12ihipStream_tbEUlT_E0_NS1_11comp_targetILNS1_3genE4ELNS1_11target_archE910ELNS1_3gpuE8ELNS1_3repE0EEENS1_52radix_sort_onesweep_histogram_config_static_selectorELNS0_4arch9wavefront6targetE1EEEvSC_.kd
    .uniform_work_group_size: 1
    .uses_dynamic_stack: false
    .vgpr_count:     13
    .vgpr_spill_count: 0
    .wavefront_size: 64
  - .agpr_count:     0
    .args:
      - .address_space:  global
        .offset:         0
        .size:           8
        .value_kind:     global_buffer
    .group_segment_fixed_size: 0
    .kernarg_segment_align: 8
    .kernarg_segment_size: 8
    .language:       OpenCL C
    .language_version:
      - 2
      - 0
    .max_flat_workgroup_size: 512
    .name:           _ZN7rocprim17ROCPRIM_400000_NS6detail17trampoline_kernelINS0_14default_configENS1_35radix_sort_onesweep_config_selectorIyNS0_10empty_typeEEEZNS1_34radix_sort_onesweep_global_offsetsIS3_Lb1EPyPS5_mNS0_19identity_decomposerEEE10hipError_tT1_T2_PT3_SE_jT4_jjP12ihipStream_tbEUlT_E0_NS1_11comp_targetILNS1_3genE3ELNS1_11target_archE908ELNS1_3gpuE7ELNS1_3repE0EEENS1_52radix_sort_onesweep_histogram_config_static_selectorELNS0_4arch9wavefront6targetE1EEEvSC_
    .private_segment_fixed_size: 0
    .sgpr_count:     4
    .sgpr_spill_count: 0
    .symbol:         _ZN7rocprim17ROCPRIM_400000_NS6detail17trampoline_kernelINS0_14default_configENS1_35radix_sort_onesweep_config_selectorIyNS0_10empty_typeEEEZNS1_34radix_sort_onesweep_global_offsetsIS3_Lb1EPyPS5_mNS0_19identity_decomposerEEE10hipError_tT1_T2_PT3_SE_jT4_jjP12ihipStream_tbEUlT_E0_NS1_11comp_targetILNS1_3genE3ELNS1_11target_archE908ELNS1_3gpuE7ELNS1_3repE0EEENS1_52radix_sort_onesweep_histogram_config_static_selectorELNS0_4arch9wavefront6targetE1EEEvSC_.kd
    .uniform_work_group_size: 1
    .uses_dynamic_stack: false
    .vgpr_count:     0
    .vgpr_spill_count: 0
    .wavefront_size: 64
  - .agpr_count:     0
    .args:
      - .address_space:  global
        .offset:         0
        .size:           8
        .value_kind:     global_buffer
    .group_segment_fixed_size: 0
    .kernarg_segment_align: 8
    .kernarg_segment_size: 8
    .language:       OpenCL C
    .language_version:
      - 2
      - 0
    .max_flat_workgroup_size: 512
    .name:           _ZN7rocprim17ROCPRIM_400000_NS6detail17trampoline_kernelINS0_14default_configENS1_35radix_sort_onesweep_config_selectorIyNS0_10empty_typeEEEZNS1_34radix_sort_onesweep_global_offsetsIS3_Lb1EPyPS5_mNS0_19identity_decomposerEEE10hipError_tT1_T2_PT3_SE_jT4_jjP12ihipStream_tbEUlT_E0_NS1_11comp_targetILNS1_3genE10ELNS1_11target_archE1201ELNS1_3gpuE5ELNS1_3repE0EEENS1_52radix_sort_onesweep_histogram_config_static_selectorELNS0_4arch9wavefront6targetE1EEEvSC_
    .private_segment_fixed_size: 0
    .sgpr_count:     4
    .sgpr_spill_count: 0
    .symbol:         _ZN7rocprim17ROCPRIM_400000_NS6detail17trampoline_kernelINS0_14default_configENS1_35radix_sort_onesweep_config_selectorIyNS0_10empty_typeEEEZNS1_34radix_sort_onesweep_global_offsetsIS3_Lb1EPyPS5_mNS0_19identity_decomposerEEE10hipError_tT1_T2_PT3_SE_jT4_jjP12ihipStream_tbEUlT_E0_NS1_11comp_targetILNS1_3genE10ELNS1_11target_archE1201ELNS1_3gpuE5ELNS1_3repE0EEENS1_52radix_sort_onesweep_histogram_config_static_selectorELNS0_4arch9wavefront6targetE1EEEvSC_.kd
    .uniform_work_group_size: 1
    .uses_dynamic_stack: false
    .vgpr_count:     0
    .vgpr_spill_count: 0
    .wavefront_size: 64
  - .agpr_count:     0
    .args:
      - .address_space:  global
        .offset:         0
        .size:           8
        .value_kind:     global_buffer
    .group_segment_fixed_size: 0
    .kernarg_segment_align: 8
    .kernarg_segment_size: 8
    .language:       OpenCL C
    .language_version:
      - 2
      - 0
    .max_flat_workgroup_size: 1024
    .name:           _ZN7rocprim17ROCPRIM_400000_NS6detail17trampoline_kernelINS0_14default_configENS1_35radix_sort_onesweep_config_selectorIyNS0_10empty_typeEEEZNS1_34radix_sort_onesweep_global_offsetsIS3_Lb1EPyPS5_mNS0_19identity_decomposerEEE10hipError_tT1_T2_PT3_SE_jT4_jjP12ihipStream_tbEUlT_E0_NS1_11comp_targetILNS1_3genE9ELNS1_11target_archE1100ELNS1_3gpuE3ELNS1_3repE0EEENS1_52radix_sort_onesweep_histogram_config_static_selectorELNS0_4arch9wavefront6targetE1EEEvSC_
    .private_segment_fixed_size: 0
    .sgpr_count:     4
    .sgpr_spill_count: 0
    .symbol:         _ZN7rocprim17ROCPRIM_400000_NS6detail17trampoline_kernelINS0_14default_configENS1_35radix_sort_onesweep_config_selectorIyNS0_10empty_typeEEEZNS1_34radix_sort_onesweep_global_offsetsIS3_Lb1EPyPS5_mNS0_19identity_decomposerEEE10hipError_tT1_T2_PT3_SE_jT4_jjP12ihipStream_tbEUlT_E0_NS1_11comp_targetILNS1_3genE9ELNS1_11target_archE1100ELNS1_3gpuE3ELNS1_3repE0EEENS1_52radix_sort_onesweep_histogram_config_static_selectorELNS0_4arch9wavefront6targetE1EEEvSC_.kd
    .uniform_work_group_size: 1
    .uses_dynamic_stack: false
    .vgpr_count:     0
    .vgpr_spill_count: 0
    .wavefront_size: 64
  - .agpr_count:     0
    .args:
      - .address_space:  global
        .offset:         0
        .size:           8
        .value_kind:     global_buffer
    .group_segment_fixed_size: 0
    .kernarg_segment_align: 8
    .kernarg_segment_size: 8
    .language:       OpenCL C
    .language_version:
      - 2
      - 0
    .max_flat_workgroup_size: 1024
    .name:           _ZN7rocprim17ROCPRIM_400000_NS6detail17trampoline_kernelINS0_14default_configENS1_35radix_sort_onesweep_config_selectorIyNS0_10empty_typeEEEZNS1_34radix_sort_onesweep_global_offsetsIS3_Lb1EPyPS5_mNS0_19identity_decomposerEEE10hipError_tT1_T2_PT3_SE_jT4_jjP12ihipStream_tbEUlT_E0_NS1_11comp_targetILNS1_3genE8ELNS1_11target_archE1030ELNS1_3gpuE2ELNS1_3repE0EEENS1_52radix_sort_onesweep_histogram_config_static_selectorELNS0_4arch9wavefront6targetE1EEEvSC_
    .private_segment_fixed_size: 0
    .sgpr_count:     4
    .sgpr_spill_count: 0
    .symbol:         _ZN7rocprim17ROCPRIM_400000_NS6detail17trampoline_kernelINS0_14default_configENS1_35radix_sort_onesweep_config_selectorIyNS0_10empty_typeEEEZNS1_34radix_sort_onesweep_global_offsetsIS3_Lb1EPyPS5_mNS0_19identity_decomposerEEE10hipError_tT1_T2_PT3_SE_jT4_jjP12ihipStream_tbEUlT_E0_NS1_11comp_targetILNS1_3genE8ELNS1_11target_archE1030ELNS1_3gpuE2ELNS1_3repE0EEENS1_52radix_sort_onesweep_histogram_config_static_selectorELNS0_4arch9wavefront6targetE1EEEvSC_.kd
    .uniform_work_group_size: 1
    .uses_dynamic_stack: false
    .vgpr_count:     0
    .vgpr_spill_count: 0
    .wavefront_size: 64
  - .agpr_count:     0
    .args:
      - .offset:         0
        .size:           88
        .value_kind:     by_value
    .group_segment_fixed_size: 0
    .kernarg_segment_align: 8
    .kernarg_segment_size: 88
    .language:       OpenCL C
    .language_version:
      - 2
      - 0
    .max_flat_workgroup_size: 512
    .name:           _ZN7rocprim17ROCPRIM_400000_NS6detail17trampoline_kernelINS0_14default_configENS1_35radix_sort_onesweep_config_selectorIyNS0_10empty_typeEEEZZNS1_29radix_sort_onesweep_iterationIS3_Lb1EPyS8_PS5_S9_mNS0_19identity_decomposerENS1_16block_id_wrapperIjLb1EEEEE10hipError_tT1_PNSt15iterator_traitsISE_E10value_typeET2_T3_PNSF_ISK_E10value_typeET4_T5_PSP_SQ_PNS1_23onesweep_lookback_stateEbbT6_jjT7_P12ihipStream_tbENKUlT_T0_SE_SJ_E_clIS8_S8_S9_S9_EEDaSX_SY_SE_SJ_EUlSX_E_NS1_11comp_targetILNS1_3genE0ELNS1_11target_archE4294967295ELNS1_3gpuE0ELNS1_3repE0EEENS1_47radix_sort_onesweep_sort_config_static_selectorELNS0_4arch9wavefront6targetE1EEEvSE_
    .private_segment_fixed_size: 0
    .sgpr_count:     4
    .sgpr_spill_count: 0
    .symbol:         _ZN7rocprim17ROCPRIM_400000_NS6detail17trampoline_kernelINS0_14default_configENS1_35radix_sort_onesweep_config_selectorIyNS0_10empty_typeEEEZZNS1_29radix_sort_onesweep_iterationIS3_Lb1EPyS8_PS5_S9_mNS0_19identity_decomposerENS1_16block_id_wrapperIjLb1EEEEE10hipError_tT1_PNSt15iterator_traitsISE_E10value_typeET2_T3_PNSF_ISK_E10value_typeET4_T5_PSP_SQ_PNS1_23onesweep_lookback_stateEbbT6_jjT7_P12ihipStream_tbENKUlT_T0_SE_SJ_E_clIS8_S8_S9_S9_EEDaSX_SY_SE_SJ_EUlSX_E_NS1_11comp_targetILNS1_3genE0ELNS1_11target_archE4294967295ELNS1_3gpuE0ELNS1_3repE0EEENS1_47radix_sort_onesweep_sort_config_static_selectorELNS0_4arch9wavefront6targetE1EEEvSE_.kd
    .uniform_work_group_size: 1
    .uses_dynamic_stack: false
    .vgpr_count:     0
    .vgpr_spill_count: 0
    .wavefront_size: 64
  - .agpr_count:     0
    .args:
      - .offset:         0
        .size:           88
        .value_kind:     by_value
    .group_segment_fixed_size: 0
    .kernarg_segment_align: 8
    .kernarg_segment_size: 88
    .language:       OpenCL C
    .language_version:
      - 2
      - 0
    .max_flat_workgroup_size: 512
    .name:           _ZN7rocprim17ROCPRIM_400000_NS6detail17trampoline_kernelINS0_14default_configENS1_35radix_sort_onesweep_config_selectorIyNS0_10empty_typeEEEZZNS1_29radix_sort_onesweep_iterationIS3_Lb1EPyS8_PS5_S9_mNS0_19identity_decomposerENS1_16block_id_wrapperIjLb1EEEEE10hipError_tT1_PNSt15iterator_traitsISE_E10value_typeET2_T3_PNSF_ISK_E10value_typeET4_T5_PSP_SQ_PNS1_23onesweep_lookback_stateEbbT6_jjT7_P12ihipStream_tbENKUlT_T0_SE_SJ_E_clIS8_S8_S9_S9_EEDaSX_SY_SE_SJ_EUlSX_E_NS1_11comp_targetILNS1_3genE6ELNS1_11target_archE950ELNS1_3gpuE13ELNS1_3repE0EEENS1_47radix_sort_onesweep_sort_config_static_selectorELNS0_4arch9wavefront6targetE1EEEvSE_
    .private_segment_fixed_size: 0
    .sgpr_count:     4
    .sgpr_spill_count: 0
    .symbol:         _ZN7rocprim17ROCPRIM_400000_NS6detail17trampoline_kernelINS0_14default_configENS1_35radix_sort_onesweep_config_selectorIyNS0_10empty_typeEEEZZNS1_29radix_sort_onesweep_iterationIS3_Lb1EPyS8_PS5_S9_mNS0_19identity_decomposerENS1_16block_id_wrapperIjLb1EEEEE10hipError_tT1_PNSt15iterator_traitsISE_E10value_typeET2_T3_PNSF_ISK_E10value_typeET4_T5_PSP_SQ_PNS1_23onesweep_lookback_stateEbbT6_jjT7_P12ihipStream_tbENKUlT_T0_SE_SJ_E_clIS8_S8_S9_S9_EEDaSX_SY_SE_SJ_EUlSX_E_NS1_11comp_targetILNS1_3genE6ELNS1_11target_archE950ELNS1_3gpuE13ELNS1_3repE0EEENS1_47radix_sort_onesweep_sort_config_static_selectorELNS0_4arch9wavefront6targetE1EEEvSE_.kd
    .uniform_work_group_size: 1
    .uses_dynamic_stack: false
    .vgpr_count:     0
    .vgpr_spill_count: 0
    .wavefront_size: 64
  - .agpr_count:     0
    .args:
      - .offset:         0
        .size:           88
        .value_kind:     by_value
    .group_segment_fixed_size: 0
    .kernarg_segment_align: 8
    .kernarg_segment_size: 88
    .language:       OpenCL C
    .language_version:
      - 2
      - 0
    .max_flat_workgroup_size: 512
    .name:           _ZN7rocprim17ROCPRIM_400000_NS6detail17trampoline_kernelINS0_14default_configENS1_35radix_sort_onesweep_config_selectorIyNS0_10empty_typeEEEZZNS1_29radix_sort_onesweep_iterationIS3_Lb1EPyS8_PS5_S9_mNS0_19identity_decomposerENS1_16block_id_wrapperIjLb1EEEEE10hipError_tT1_PNSt15iterator_traitsISE_E10value_typeET2_T3_PNSF_ISK_E10value_typeET4_T5_PSP_SQ_PNS1_23onesweep_lookback_stateEbbT6_jjT7_P12ihipStream_tbENKUlT_T0_SE_SJ_E_clIS8_S8_S9_S9_EEDaSX_SY_SE_SJ_EUlSX_E_NS1_11comp_targetILNS1_3genE5ELNS1_11target_archE942ELNS1_3gpuE9ELNS1_3repE0EEENS1_47radix_sort_onesweep_sort_config_static_selectorELNS0_4arch9wavefront6targetE1EEEvSE_
    .private_segment_fixed_size: 0
    .sgpr_count:     4
    .sgpr_spill_count: 0
    .symbol:         _ZN7rocprim17ROCPRIM_400000_NS6detail17trampoline_kernelINS0_14default_configENS1_35radix_sort_onesweep_config_selectorIyNS0_10empty_typeEEEZZNS1_29radix_sort_onesweep_iterationIS3_Lb1EPyS8_PS5_S9_mNS0_19identity_decomposerENS1_16block_id_wrapperIjLb1EEEEE10hipError_tT1_PNSt15iterator_traitsISE_E10value_typeET2_T3_PNSF_ISK_E10value_typeET4_T5_PSP_SQ_PNS1_23onesweep_lookback_stateEbbT6_jjT7_P12ihipStream_tbENKUlT_T0_SE_SJ_E_clIS8_S8_S9_S9_EEDaSX_SY_SE_SJ_EUlSX_E_NS1_11comp_targetILNS1_3genE5ELNS1_11target_archE942ELNS1_3gpuE9ELNS1_3repE0EEENS1_47radix_sort_onesweep_sort_config_static_selectorELNS0_4arch9wavefront6targetE1EEEvSE_.kd
    .uniform_work_group_size: 1
    .uses_dynamic_stack: false
    .vgpr_count:     0
    .vgpr_spill_count: 0
    .wavefront_size: 64
  - .agpr_count:     0
    .args:
      - .offset:         0
        .size:           88
        .value_kind:     by_value
    .group_segment_fixed_size: 0
    .kernarg_segment_align: 8
    .kernarg_segment_size: 88
    .language:       OpenCL C
    .language_version:
      - 2
      - 0
    .max_flat_workgroup_size: 512
    .name:           _ZN7rocprim17ROCPRIM_400000_NS6detail17trampoline_kernelINS0_14default_configENS1_35radix_sort_onesweep_config_selectorIyNS0_10empty_typeEEEZZNS1_29radix_sort_onesweep_iterationIS3_Lb1EPyS8_PS5_S9_mNS0_19identity_decomposerENS1_16block_id_wrapperIjLb1EEEEE10hipError_tT1_PNSt15iterator_traitsISE_E10value_typeET2_T3_PNSF_ISK_E10value_typeET4_T5_PSP_SQ_PNS1_23onesweep_lookback_stateEbbT6_jjT7_P12ihipStream_tbENKUlT_T0_SE_SJ_E_clIS8_S8_S9_S9_EEDaSX_SY_SE_SJ_EUlSX_E_NS1_11comp_targetILNS1_3genE2ELNS1_11target_archE906ELNS1_3gpuE6ELNS1_3repE0EEENS1_47radix_sort_onesweep_sort_config_static_selectorELNS0_4arch9wavefront6targetE1EEEvSE_
    .private_segment_fixed_size: 0
    .sgpr_count:     4
    .sgpr_spill_count: 0
    .symbol:         _ZN7rocprim17ROCPRIM_400000_NS6detail17trampoline_kernelINS0_14default_configENS1_35radix_sort_onesweep_config_selectorIyNS0_10empty_typeEEEZZNS1_29radix_sort_onesweep_iterationIS3_Lb1EPyS8_PS5_S9_mNS0_19identity_decomposerENS1_16block_id_wrapperIjLb1EEEEE10hipError_tT1_PNSt15iterator_traitsISE_E10value_typeET2_T3_PNSF_ISK_E10value_typeET4_T5_PSP_SQ_PNS1_23onesweep_lookback_stateEbbT6_jjT7_P12ihipStream_tbENKUlT_T0_SE_SJ_E_clIS8_S8_S9_S9_EEDaSX_SY_SE_SJ_EUlSX_E_NS1_11comp_targetILNS1_3genE2ELNS1_11target_archE906ELNS1_3gpuE6ELNS1_3repE0EEENS1_47radix_sort_onesweep_sort_config_static_selectorELNS0_4arch9wavefront6targetE1EEEvSE_.kd
    .uniform_work_group_size: 1
    .uses_dynamic_stack: false
    .vgpr_count:     0
    .vgpr_spill_count: 0
    .wavefront_size: 64
  - .agpr_count:     0
    .args:
      - .offset:         0
        .size:           88
        .value_kind:     by_value
      - .offset:         88
        .size:           4
        .value_kind:     hidden_block_count_x
      - .offset:         92
        .size:           4
        .value_kind:     hidden_block_count_y
      - .offset:         96
        .size:           4
        .value_kind:     hidden_block_count_z
      - .offset:         100
        .size:           2
        .value_kind:     hidden_group_size_x
      - .offset:         102
        .size:           2
        .value_kind:     hidden_group_size_y
      - .offset:         104
        .size:           2
        .value_kind:     hidden_group_size_z
      - .offset:         106
        .size:           2
        .value_kind:     hidden_remainder_x
      - .offset:         108
        .size:           2
        .value_kind:     hidden_remainder_y
      - .offset:         110
        .size:           2
        .value_kind:     hidden_remainder_z
      - .offset:         128
        .size:           8
        .value_kind:     hidden_global_offset_x
      - .offset:         136
        .size:           8
        .value_kind:     hidden_global_offset_y
      - .offset:         144
        .size:           8
        .value_kind:     hidden_global_offset_z
      - .offset:         152
        .size:           2
        .value_kind:     hidden_grid_dims
    .group_segment_fixed_size: 20552
    .kernarg_segment_align: 8
    .kernarg_segment_size: 344
    .language:       OpenCL C
    .language_version:
      - 2
      - 0
    .max_flat_workgroup_size: 1024
    .name:           _ZN7rocprim17ROCPRIM_400000_NS6detail17trampoline_kernelINS0_14default_configENS1_35radix_sort_onesweep_config_selectorIyNS0_10empty_typeEEEZZNS1_29radix_sort_onesweep_iterationIS3_Lb1EPyS8_PS5_S9_mNS0_19identity_decomposerENS1_16block_id_wrapperIjLb1EEEEE10hipError_tT1_PNSt15iterator_traitsISE_E10value_typeET2_T3_PNSF_ISK_E10value_typeET4_T5_PSP_SQ_PNS1_23onesweep_lookback_stateEbbT6_jjT7_P12ihipStream_tbENKUlT_T0_SE_SJ_E_clIS8_S8_S9_S9_EEDaSX_SY_SE_SJ_EUlSX_E_NS1_11comp_targetILNS1_3genE4ELNS1_11target_archE910ELNS1_3gpuE8ELNS1_3repE0EEENS1_47radix_sort_onesweep_sort_config_static_selectorELNS0_4arch9wavefront6targetE1EEEvSE_
    .private_segment_fixed_size: 0
    .sgpr_count:     38
    .sgpr_spill_count: 0
    .symbol:         _ZN7rocprim17ROCPRIM_400000_NS6detail17trampoline_kernelINS0_14default_configENS1_35radix_sort_onesweep_config_selectorIyNS0_10empty_typeEEEZZNS1_29radix_sort_onesweep_iterationIS3_Lb1EPyS8_PS5_S9_mNS0_19identity_decomposerENS1_16block_id_wrapperIjLb1EEEEE10hipError_tT1_PNSt15iterator_traitsISE_E10value_typeET2_T3_PNSF_ISK_E10value_typeET4_T5_PSP_SQ_PNS1_23onesweep_lookback_stateEbbT6_jjT7_P12ihipStream_tbENKUlT_T0_SE_SJ_E_clIS8_S8_S9_S9_EEDaSX_SY_SE_SJ_EUlSX_E_NS1_11comp_targetILNS1_3genE4ELNS1_11target_archE910ELNS1_3gpuE8ELNS1_3repE0EEENS1_47radix_sort_onesweep_sort_config_static_selectorELNS0_4arch9wavefront6targetE1EEEvSE_.kd
    .uniform_work_group_size: 1
    .uses_dynamic_stack: false
    .vgpr_count:     55
    .vgpr_spill_count: 0
    .wavefront_size: 64
  - .agpr_count:     0
    .args:
      - .offset:         0
        .size:           88
        .value_kind:     by_value
    .group_segment_fixed_size: 0
    .kernarg_segment_align: 8
    .kernarg_segment_size: 88
    .language:       OpenCL C
    .language_version:
      - 2
      - 0
    .max_flat_workgroup_size: 512
    .name:           _ZN7rocprim17ROCPRIM_400000_NS6detail17trampoline_kernelINS0_14default_configENS1_35radix_sort_onesweep_config_selectorIyNS0_10empty_typeEEEZZNS1_29radix_sort_onesweep_iterationIS3_Lb1EPyS8_PS5_S9_mNS0_19identity_decomposerENS1_16block_id_wrapperIjLb1EEEEE10hipError_tT1_PNSt15iterator_traitsISE_E10value_typeET2_T3_PNSF_ISK_E10value_typeET4_T5_PSP_SQ_PNS1_23onesweep_lookback_stateEbbT6_jjT7_P12ihipStream_tbENKUlT_T0_SE_SJ_E_clIS8_S8_S9_S9_EEDaSX_SY_SE_SJ_EUlSX_E_NS1_11comp_targetILNS1_3genE3ELNS1_11target_archE908ELNS1_3gpuE7ELNS1_3repE0EEENS1_47radix_sort_onesweep_sort_config_static_selectorELNS0_4arch9wavefront6targetE1EEEvSE_
    .private_segment_fixed_size: 0
    .sgpr_count:     4
    .sgpr_spill_count: 0
    .symbol:         _ZN7rocprim17ROCPRIM_400000_NS6detail17trampoline_kernelINS0_14default_configENS1_35radix_sort_onesweep_config_selectorIyNS0_10empty_typeEEEZZNS1_29radix_sort_onesweep_iterationIS3_Lb1EPyS8_PS5_S9_mNS0_19identity_decomposerENS1_16block_id_wrapperIjLb1EEEEE10hipError_tT1_PNSt15iterator_traitsISE_E10value_typeET2_T3_PNSF_ISK_E10value_typeET4_T5_PSP_SQ_PNS1_23onesweep_lookback_stateEbbT6_jjT7_P12ihipStream_tbENKUlT_T0_SE_SJ_E_clIS8_S8_S9_S9_EEDaSX_SY_SE_SJ_EUlSX_E_NS1_11comp_targetILNS1_3genE3ELNS1_11target_archE908ELNS1_3gpuE7ELNS1_3repE0EEENS1_47radix_sort_onesweep_sort_config_static_selectorELNS0_4arch9wavefront6targetE1EEEvSE_.kd
    .uniform_work_group_size: 1
    .uses_dynamic_stack: false
    .vgpr_count:     0
    .vgpr_spill_count: 0
    .wavefront_size: 64
  - .agpr_count:     0
    .args:
      - .offset:         0
        .size:           88
        .value_kind:     by_value
    .group_segment_fixed_size: 0
    .kernarg_segment_align: 8
    .kernarg_segment_size: 88
    .language:       OpenCL C
    .language_version:
      - 2
      - 0
    .max_flat_workgroup_size: 512
    .name:           _ZN7rocprim17ROCPRIM_400000_NS6detail17trampoline_kernelINS0_14default_configENS1_35radix_sort_onesweep_config_selectorIyNS0_10empty_typeEEEZZNS1_29radix_sort_onesweep_iterationIS3_Lb1EPyS8_PS5_S9_mNS0_19identity_decomposerENS1_16block_id_wrapperIjLb1EEEEE10hipError_tT1_PNSt15iterator_traitsISE_E10value_typeET2_T3_PNSF_ISK_E10value_typeET4_T5_PSP_SQ_PNS1_23onesweep_lookback_stateEbbT6_jjT7_P12ihipStream_tbENKUlT_T0_SE_SJ_E_clIS8_S8_S9_S9_EEDaSX_SY_SE_SJ_EUlSX_E_NS1_11comp_targetILNS1_3genE10ELNS1_11target_archE1201ELNS1_3gpuE5ELNS1_3repE0EEENS1_47radix_sort_onesweep_sort_config_static_selectorELNS0_4arch9wavefront6targetE1EEEvSE_
    .private_segment_fixed_size: 0
    .sgpr_count:     4
    .sgpr_spill_count: 0
    .symbol:         _ZN7rocprim17ROCPRIM_400000_NS6detail17trampoline_kernelINS0_14default_configENS1_35radix_sort_onesweep_config_selectorIyNS0_10empty_typeEEEZZNS1_29radix_sort_onesweep_iterationIS3_Lb1EPyS8_PS5_S9_mNS0_19identity_decomposerENS1_16block_id_wrapperIjLb1EEEEE10hipError_tT1_PNSt15iterator_traitsISE_E10value_typeET2_T3_PNSF_ISK_E10value_typeET4_T5_PSP_SQ_PNS1_23onesweep_lookback_stateEbbT6_jjT7_P12ihipStream_tbENKUlT_T0_SE_SJ_E_clIS8_S8_S9_S9_EEDaSX_SY_SE_SJ_EUlSX_E_NS1_11comp_targetILNS1_3genE10ELNS1_11target_archE1201ELNS1_3gpuE5ELNS1_3repE0EEENS1_47radix_sort_onesweep_sort_config_static_selectorELNS0_4arch9wavefront6targetE1EEEvSE_.kd
    .uniform_work_group_size: 1
    .uses_dynamic_stack: false
    .vgpr_count:     0
    .vgpr_spill_count: 0
    .wavefront_size: 64
  - .agpr_count:     0
    .args:
      - .offset:         0
        .size:           88
        .value_kind:     by_value
    .group_segment_fixed_size: 0
    .kernarg_segment_align: 8
    .kernarg_segment_size: 88
    .language:       OpenCL C
    .language_version:
      - 2
      - 0
    .max_flat_workgroup_size: 1024
    .name:           _ZN7rocprim17ROCPRIM_400000_NS6detail17trampoline_kernelINS0_14default_configENS1_35radix_sort_onesweep_config_selectorIyNS0_10empty_typeEEEZZNS1_29radix_sort_onesweep_iterationIS3_Lb1EPyS8_PS5_S9_mNS0_19identity_decomposerENS1_16block_id_wrapperIjLb1EEEEE10hipError_tT1_PNSt15iterator_traitsISE_E10value_typeET2_T3_PNSF_ISK_E10value_typeET4_T5_PSP_SQ_PNS1_23onesweep_lookback_stateEbbT6_jjT7_P12ihipStream_tbENKUlT_T0_SE_SJ_E_clIS8_S8_S9_S9_EEDaSX_SY_SE_SJ_EUlSX_E_NS1_11comp_targetILNS1_3genE9ELNS1_11target_archE1100ELNS1_3gpuE3ELNS1_3repE0EEENS1_47radix_sort_onesweep_sort_config_static_selectorELNS0_4arch9wavefront6targetE1EEEvSE_
    .private_segment_fixed_size: 0
    .sgpr_count:     4
    .sgpr_spill_count: 0
    .symbol:         _ZN7rocprim17ROCPRIM_400000_NS6detail17trampoline_kernelINS0_14default_configENS1_35radix_sort_onesweep_config_selectorIyNS0_10empty_typeEEEZZNS1_29radix_sort_onesweep_iterationIS3_Lb1EPyS8_PS5_S9_mNS0_19identity_decomposerENS1_16block_id_wrapperIjLb1EEEEE10hipError_tT1_PNSt15iterator_traitsISE_E10value_typeET2_T3_PNSF_ISK_E10value_typeET4_T5_PSP_SQ_PNS1_23onesweep_lookback_stateEbbT6_jjT7_P12ihipStream_tbENKUlT_T0_SE_SJ_E_clIS8_S8_S9_S9_EEDaSX_SY_SE_SJ_EUlSX_E_NS1_11comp_targetILNS1_3genE9ELNS1_11target_archE1100ELNS1_3gpuE3ELNS1_3repE0EEENS1_47radix_sort_onesweep_sort_config_static_selectorELNS0_4arch9wavefront6targetE1EEEvSE_.kd
    .uniform_work_group_size: 1
    .uses_dynamic_stack: false
    .vgpr_count:     0
    .vgpr_spill_count: 0
    .wavefront_size: 64
  - .agpr_count:     0
    .args:
      - .offset:         0
        .size:           88
        .value_kind:     by_value
    .group_segment_fixed_size: 0
    .kernarg_segment_align: 8
    .kernarg_segment_size: 88
    .language:       OpenCL C
    .language_version:
      - 2
      - 0
    .max_flat_workgroup_size: 1024
    .name:           _ZN7rocprim17ROCPRIM_400000_NS6detail17trampoline_kernelINS0_14default_configENS1_35radix_sort_onesweep_config_selectorIyNS0_10empty_typeEEEZZNS1_29radix_sort_onesweep_iterationIS3_Lb1EPyS8_PS5_S9_mNS0_19identity_decomposerENS1_16block_id_wrapperIjLb1EEEEE10hipError_tT1_PNSt15iterator_traitsISE_E10value_typeET2_T3_PNSF_ISK_E10value_typeET4_T5_PSP_SQ_PNS1_23onesweep_lookback_stateEbbT6_jjT7_P12ihipStream_tbENKUlT_T0_SE_SJ_E_clIS8_S8_S9_S9_EEDaSX_SY_SE_SJ_EUlSX_E_NS1_11comp_targetILNS1_3genE8ELNS1_11target_archE1030ELNS1_3gpuE2ELNS1_3repE0EEENS1_47radix_sort_onesweep_sort_config_static_selectorELNS0_4arch9wavefront6targetE1EEEvSE_
    .private_segment_fixed_size: 0
    .sgpr_count:     4
    .sgpr_spill_count: 0
    .symbol:         _ZN7rocprim17ROCPRIM_400000_NS6detail17trampoline_kernelINS0_14default_configENS1_35radix_sort_onesweep_config_selectorIyNS0_10empty_typeEEEZZNS1_29radix_sort_onesweep_iterationIS3_Lb1EPyS8_PS5_S9_mNS0_19identity_decomposerENS1_16block_id_wrapperIjLb1EEEEE10hipError_tT1_PNSt15iterator_traitsISE_E10value_typeET2_T3_PNSF_ISK_E10value_typeET4_T5_PSP_SQ_PNS1_23onesweep_lookback_stateEbbT6_jjT7_P12ihipStream_tbENKUlT_T0_SE_SJ_E_clIS8_S8_S9_S9_EEDaSX_SY_SE_SJ_EUlSX_E_NS1_11comp_targetILNS1_3genE8ELNS1_11target_archE1030ELNS1_3gpuE2ELNS1_3repE0EEENS1_47radix_sort_onesweep_sort_config_static_selectorELNS0_4arch9wavefront6targetE1EEEvSE_.kd
    .uniform_work_group_size: 1
    .uses_dynamic_stack: false
    .vgpr_count:     0
    .vgpr_spill_count: 0
    .wavefront_size: 64
  - .agpr_count:     0
    .args:
      - .offset:         0
        .size:           88
        .value_kind:     by_value
    .group_segment_fixed_size: 0
    .kernarg_segment_align: 8
    .kernarg_segment_size: 88
    .language:       OpenCL C
    .language_version:
      - 2
      - 0
    .max_flat_workgroup_size: 512
    .name:           _ZN7rocprim17ROCPRIM_400000_NS6detail17trampoline_kernelINS0_14default_configENS1_35radix_sort_onesweep_config_selectorIyNS0_10empty_typeEEEZZNS1_29radix_sort_onesweep_iterationIS3_Lb1EPyS8_PS5_S9_mNS0_19identity_decomposerENS1_16block_id_wrapperIjLb0EEEEE10hipError_tT1_PNSt15iterator_traitsISE_E10value_typeET2_T3_PNSF_ISK_E10value_typeET4_T5_PSP_SQ_PNS1_23onesweep_lookback_stateEbbT6_jjT7_P12ihipStream_tbENKUlT_T0_SE_SJ_E_clIS8_S8_S9_S9_EEDaSX_SY_SE_SJ_EUlSX_E_NS1_11comp_targetILNS1_3genE0ELNS1_11target_archE4294967295ELNS1_3gpuE0ELNS1_3repE0EEENS1_47radix_sort_onesweep_sort_config_static_selectorELNS0_4arch9wavefront6targetE1EEEvSE_
    .private_segment_fixed_size: 0
    .sgpr_count:     4
    .sgpr_spill_count: 0
    .symbol:         _ZN7rocprim17ROCPRIM_400000_NS6detail17trampoline_kernelINS0_14default_configENS1_35radix_sort_onesweep_config_selectorIyNS0_10empty_typeEEEZZNS1_29radix_sort_onesweep_iterationIS3_Lb1EPyS8_PS5_S9_mNS0_19identity_decomposerENS1_16block_id_wrapperIjLb0EEEEE10hipError_tT1_PNSt15iterator_traitsISE_E10value_typeET2_T3_PNSF_ISK_E10value_typeET4_T5_PSP_SQ_PNS1_23onesweep_lookback_stateEbbT6_jjT7_P12ihipStream_tbENKUlT_T0_SE_SJ_E_clIS8_S8_S9_S9_EEDaSX_SY_SE_SJ_EUlSX_E_NS1_11comp_targetILNS1_3genE0ELNS1_11target_archE4294967295ELNS1_3gpuE0ELNS1_3repE0EEENS1_47radix_sort_onesweep_sort_config_static_selectorELNS0_4arch9wavefront6targetE1EEEvSE_.kd
    .uniform_work_group_size: 1
    .uses_dynamic_stack: false
    .vgpr_count:     0
    .vgpr_spill_count: 0
    .wavefront_size: 64
  - .agpr_count:     0
    .args:
      - .offset:         0
        .size:           88
        .value_kind:     by_value
    .group_segment_fixed_size: 0
    .kernarg_segment_align: 8
    .kernarg_segment_size: 88
    .language:       OpenCL C
    .language_version:
      - 2
      - 0
    .max_flat_workgroup_size: 512
    .name:           _ZN7rocprim17ROCPRIM_400000_NS6detail17trampoline_kernelINS0_14default_configENS1_35radix_sort_onesweep_config_selectorIyNS0_10empty_typeEEEZZNS1_29radix_sort_onesweep_iterationIS3_Lb1EPyS8_PS5_S9_mNS0_19identity_decomposerENS1_16block_id_wrapperIjLb0EEEEE10hipError_tT1_PNSt15iterator_traitsISE_E10value_typeET2_T3_PNSF_ISK_E10value_typeET4_T5_PSP_SQ_PNS1_23onesweep_lookback_stateEbbT6_jjT7_P12ihipStream_tbENKUlT_T0_SE_SJ_E_clIS8_S8_S9_S9_EEDaSX_SY_SE_SJ_EUlSX_E_NS1_11comp_targetILNS1_3genE6ELNS1_11target_archE950ELNS1_3gpuE13ELNS1_3repE0EEENS1_47radix_sort_onesweep_sort_config_static_selectorELNS0_4arch9wavefront6targetE1EEEvSE_
    .private_segment_fixed_size: 0
    .sgpr_count:     4
    .sgpr_spill_count: 0
    .symbol:         _ZN7rocprim17ROCPRIM_400000_NS6detail17trampoline_kernelINS0_14default_configENS1_35radix_sort_onesweep_config_selectorIyNS0_10empty_typeEEEZZNS1_29radix_sort_onesweep_iterationIS3_Lb1EPyS8_PS5_S9_mNS0_19identity_decomposerENS1_16block_id_wrapperIjLb0EEEEE10hipError_tT1_PNSt15iterator_traitsISE_E10value_typeET2_T3_PNSF_ISK_E10value_typeET4_T5_PSP_SQ_PNS1_23onesweep_lookback_stateEbbT6_jjT7_P12ihipStream_tbENKUlT_T0_SE_SJ_E_clIS8_S8_S9_S9_EEDaSX_SY_SE_SJ_EUlSX_E_NS1_11comp_targetILNS1_3genE6ELNS1_11target_archE950ELNS1_3gpuE13ELNS1_3repE0EEENS1_47radix_sort_onesweep_sort_config_static_selectorELNS0_4arch9wavefront6targetE1EEEvSE_.kd
    .uniform_work_group_size: 1
    .uses_dynamic_stack: false
    .vgpr_count:     0
    .vgpr_spill_count: 0
    .wavefront_size: 64
  - .agpr_count:     0
    .args:
      - .offset:         0
        .size:           88
        .value_kind:     by_value
    .group_segment_fixed_size: 0
    .kernarg_segment_align: 8
    .kernarg_segment_size: 88
    .language:       OpenCL C
    .language_version:
      - 2
      - 0
    .max_flat_workgroup_size: 512
    .name:           _ZN7rocprim17ROCPRIM_400000_NS6detail17trampoline_kernelINS0_14default_configENS1_35radix_sort_onesweep_config_selectorIyNS0_10empty_typeEEEZZNS1_29radix_sort_onesweep_iterationIS3_Lb1EPyS8_PS5_S9_mNS0_19identity_decomposerENS1_16block_id_wrapperIjLb0EEEEE10hipError_tT1_PNSt15iterator_traitsISE_E10value_typeET2_T3_PNSF_ISK_E10value_typeET4_T5_PSP_SQ_PNS1_23onesweep_lookback_stateEbbT6_jjT7_P12ihipStream_tbENKUlT_T0_SE_SJ_E_clIS8_S8_S9_S9_EEDaSX_SY_SE_SJ_EUlSX_E_NS1_11comp_targetILNS1_3genE5ELNS1_11target_archE942ELNS1_3gpuE9ELNS1_3repE0EEENS1_47radix_sort_onesweep_sort_config_static_selectorELNS0_4arch9wavefront6targetE1EEEvSE_
    .private_segment_fixed_size: 0
    .sgpr_count:     4
    .sgpr_spill_count: 0
    .symbol:         _ZN7rocprim17ROCPRIM_400000_NS6detail17trampoline_kernelINS0_14default_configENS1_35radix_sort_onesweep_config_selectorIyNS0_10empty_typeEEEZZNS1_29radix_sort_onesweep_iterationIS3_Lb1EPyS8_PS5_S9_mNS0_19identity_decomposerENS1_16block_id_wrapperIjLb0EEEEE10hipError_tT1_PNSt15iterator_traitsISE_E10value_typeET2_T3_PNSF_ISK_E10value_typeET4_T5_PSP_SQ_PNS1_23onesweep_lookback_stateEbbT6_jjT7_P12ihipStream_tbENKUlT_T0_SE_SJ_E_clIS8_S8_S9_S9_EEDaSX_SY_SE_SJ_EUlSX_E_NS1_11comp_targetILNS1_3genE5ELNS1_11target_archE942ELNS1_3gpuE9ELNS1_3repE0EEENS1_47radix_sort_onesweep_sort_config_static_selectorELNS0_4arch9wavefront6targetE1EEEvSE_.kd
    .uniform_work_group_size: 1
    .uses_dynamic_stack: false
    .vgpr_count:     0
    .vgpr_spill_count: 0
    .wavefront_size: 64
  - .agpr_count:     0
    .args:
      - .offset:         0
        .size:           88
        .value_kind:     by_value
    .group_segment_fixed_size: 0
    .kernarg_segment_align: 8
    .kernarg_segment_size: 88
    .language:       OpenCL C
    .language_version:
      - 2
      - 0
    .max_flat_workgroup_size: 512
    .name:           _ZN7rocprim17ROCPRIM_400000_NS6detail17trampoline_kernelINS0_14default_configENS1_35radix_sort_onesweep_config_selectorIyNS0_10empty_typeEEEZZNS1_29radix_sort_onesweep_iterationIS3_Lb1EPyS8_PS5_S9_mNS0_19identity_decomposerENS1_16block_id_wrapperIjLb0EEEEE10hipError_tT1_PNSt15iterator_traitsISE_E10value_typeET2_T3_PNSF_ISK_E10value_typeET4_T5_PSP_SQ_PNS1_23onesweep_lookback_stateEbbT6_jjT7_P12ihipStream_tbENKUlT_T0_SE_SJ_E_clIS8_S8_S9_S9_EEDaSX_SY_SE_SJ_EUlSX_E_NS1_11comp_targetILNS1_3genE2ELNS1_11target_archE906ELNS1_3gpuE6ELNS1_3repE0EEENS1_47radix_sort_onesweep_sort_config_static_selectorELNS0_4arch9wavefront6targetE1EEEvSE_
    .private_segment_fixed_size: 0
    .sgpr_count:     4
    .sgpr_spill_count: 0
    .symbol:         _ZN7rocprim17ROCPRIM_400000_NS6detail17trampoline_kernelINS0_14default_configENS1_35radix_sort_onesweep_config_selectorIyNS0_10empty_typeEEEZZNS1_29radix_sort_onesweep_iterationIS3_Lb1EPyS8_PS5_S9_mNS0_19identity_decomposerENS1_16block_id_wrapperIjLb0EEEEE10hipError_tT1_PNSt15iterator_traitsISE_E10value_typeET2_T3_PNSF_ISK_E10value_typeET4_T5_PSP_SQ_PNS1_23onesweep_lookback_stateEbbT6_jjT7_P12ihipStream_tbENKUlT_T0_SE_SJ_E_clIS8_S8_S9_S9_EEDaSX_SY_SE_SJ_EUlSX_E_NS1_11comp_targetILNS1_3genE2ELNS1_11target_archE906ELNS1_3gpuE6ELNS1_3repE0EEENS1_47radix_sort_onesweep_sort_config_static_selectorELNS0_4arch9wavefront6targetE1EEEvSE_.kd
    .uniform_work_group_size: 1
    .uses_dynamic_stack: false
    .vgpr_count:     0
    .vgpr_spill_count: 0
    .wavefront_size: 64
  - .agpr_count:     0
    .args:
      - .offset:         0
        .size:           88
        .value_kind:     by_value
      - .offset:         88
        .size:           4
        .value_kind:     hidden_block_count_x
      - .offset:         92
        .size:           4
        .value_kind:     hidden_block_count_y
      - .offset:         96
        .size:           4
        .value_kind:     hidden_block_count_z
      - .offset:         100
        .size:           2
        .value_kind:     hidden_group_size_x
      - .offset:         102
        .size:           2
        .value_kind:     hidden_group_size_y
      - .offset:         104
        .size:           2
        .value_kind:     hidden_group_size_z
      - .offset:         106
        .size:           2
        .value_kind:     hidden_remainder_x
      - .offset:         108
        .size:           2
        .value_kind:     hidden_remainder_y
      - .offset:         110
        .size:           2
        .value_kind:     hidden_remainder_z
      - .offset:         128
        .size:           8
        .value_kind:     hidden_global_offset_x
      - .offset:         136
        .size:           8
        .value_kind:     hidden_global_offset_y
      - .offset:         144
        .size:           8
        .value_kind:     hidden_global_offset_z
      - .offset:         152
        .size:           2
        .value_kind:     hidden_grid_dims
    .group_segment_fixed_size: 20552
    .kernarg_segment_align: 8
    .kernarg_segment_size: 344
    .language:       OpenCL C
    .language_version:
      - 2
      - 0
    .max_flat_workgroup_size: 1024
    .name:           _ZN7rocprim17ROCPRIM_400000_NS6detail17trampoline_kernelINS0_14default_configENS1_35radix_sort_onesweep_config_selectorIyNS0_10empty_typeEEEZZNS1_29radix_sort_onesweep_iterationIS3_Lb1EPyS8_PS5_S9_mNS0_19identity_decomposerENS1_16block_id_wrapperIjLb0EEEEE10hipError_tT1_PNSt15iterator_traitsISE_E10value_typeET2_T3_PNSF_ISK_E10value_typeET4_T5_PSP_SQ_PNS1_23onesweep_lookback_stateEbbT6_jjT7_P12ihipStream_tbENKUlT_T0_SE_SJ_E_clIS8_S8_S9_S9_EEDaSX_SY_SE_SJ_EUlSX_E_NS1_11comp_targetILNS1_3genE4ELNS1_11target_archE910ELNS1_3gpuE8ELNS1_3repE0EEENS1_47radix_sort_onesweep_sort_config_static_selectorELNS0_4arch9wavefront6targetE1EEEvSE_
    .private_segment_fixed_size: 0
    .sgpr_count:     34
    .sgpr_spill_count: 0
    .symbol:         _ZN7rocprim17ROCPRIM_400000_NS6detail17trampoline_kernelINS0_14default_configENS1_35radix_sort_onesweep_config_selectorIyNS0_10empty_typeEEEZZNS1_29radix_sort_onesweep_iterationIS3_Lb1EPyS8_PS5_S9_mNS0_19identity_decomposerENS1_16block_id_wrapperIjLb0EEEEE10hipError_tT1_PNSt15iterator_traitsISE_E10value_typeET2_T3_PNSF_ISK_E10value_typeET4_T5_PSP_SQ_PNS1_23onesweep_lookback_stateEbbT6_jjT7_P12ihipStream_tbENKUlT_T0_SE_SJ_E_clIS8_S8_S9_S9_EEDaSX_SY_SE_SJ_EUlSX_E_NS1_11comp_targetILNS1_3genE4ELNS1_11target_archE910ELNS1_3gpuE8ELNS1_3repE0EEENS1_47radix_sort_onesweep_sort_config_static_selectorELNS0_4arch9wavefront6targetE1EEEvSE_.kd
    .uniform_work_group_size: 1
    .uses_dynamic_stack: false
    .vgpr_count:     55
    .vgpr_spill_count: 0
    .wavefront_size: 64
  - .agpr_count:     0
    .args:
      - .offset:         0
        .size:           88
        .value_kind:     by_value
    .group_segment_fixed_size: 0
    .kernarg_segment_align: 8
    .kernarg_segment_size: 88
    .language:       OpenCL C
    .language_version:
      - 2
      - 0
    .max_flat_workgroup_size: 512
    .name:           _ZN7rocprim17ROCPRIM_400000_NS6detail17trampoline_kernelINS0_14default_configENS1_35radix_sort_onesweep_config_selectorIyNS0_10empty_typeEEEZZNS1_29radix_sort_onesweep_iterationIS3_Lb1EPyS8_PS5_S9_mNS0_19identity_decomposerENS1_16block_id_wrapperIjLb0EEEEE10hipError_tT1_PNSt15iterator_traitsISE_E10value_typeET2_T3_PNSF_ISK_E10value_typeET4_T5_PSP_SQ_PNS1_23onesweep_lookback_stateEbbT6_jjT7_P12ihipStream_tbENKUlT_T0_SE_SJ_E_clIS8_S8_S9_S9_EEDaSX_SY_SE_SJ_EUlSX_E_NS1_11comp_targetILNS1_3genE3ELNS1_11target_archE908ELNS1_3gpuE7ELNS1_3repE0EEENS1_47radix_sort_onesweep_sort_config_static_selectorELNS0_4arch9wavefront6targetE1EEEvSE_
    .private_segment_fixed_size: 0
    .sgpr_count:     4
    .sgpr_spill_count: 0
    .symbol:         _ZN7rocprim17ROCPRIM_400000_NS6detail17trampoline_kernelINS0_14default_configENS1_35radix_sort_onesweep_config_selectorIyNS0_10empty_typeEEEZZNS1_29radix_sort_onesweep_iterationIS3_Lb1EPyS8_PS5_S9_mNS0_19identity_decomposerENS1_16block_id_wrapperIjLb0EEEEE10hipError_tT1_PNSt15iterator_traitsISE_E10value_typeET2_T3_PNSF_ISK_E10value_typeET4_T5_PSP_SQ_PNS1_23onesweep_lookback_stateEbbT6_jjT7_P12ihipStream_tbENKUlT_T0_SE_SJ_E_clIS8_S8_S9_S9_EEDaSX_SY_SE_SJ_EUlSX_E_NS1_11comp_targetILNS1_3genE3ELNS1_11target_archE908ELNS1_3gpuE7ELNS1_3repE0EEENS1_47radix_sort_onesweep_sort_config_static_selectorELNS0_4arch9wavefront6targetE1EEEvSE_.kd
    .uniform_work_group_size: 1
    .uses_dynamic_stack: false
    .vgpr_count:     0
    .vgpr_spill_count: 0
    .wavefront_size: 64
  - .agpr_count:     0
    .args:
      - .offset:         0
        .size:           88
        .value_kind:     by_value
    .group_segment_fixed_size: 0
    .kernarg_segment_align: 8
    .kernarg_segment_size: 88
    .language:       OpenCL C
    .language_version:
      - 2
      - 0
    .max_flat_workgroup_size: 512
    .name:           _ZN7rocprim17ROCPRIM_400000_NS6detail17trampoline_kernelINS0_14default_configENS1_35radix_sort_onesweep_config_selectorIyNS0_10empty_typeEEEZZNS1_29radix_sort_onesweep_iterationIS3_Lb1EPyS8_PS5_S9_mNS0_19identity_decomposerENS1_16block_id_wrapperIjLb0EEEEE10hipError_tT1_PNSt15iterator_traitsISE_E10value_typeET2_T3_PNSF_ISK_E10value_typeET4_T5_PSP_SQ_PNS1_23onesweep_lookback_stateEbbT6_jjT7_P12ihipStream_tbENKUlT_T0_SE_SJ_E_clIS8_S8_S9_S9_EEDaSX_SY_SE_SJ_EUlSX_E_NS1_11comp_targetILNS1_3genE10ELNS1_11target_archE1201ELNS1_3gpuE5ELNS1_3repE0EEENS1_47radix_sort_onesweep_sort_config_static_selectorELNS0_4arch9wavefront6targetE1EEEvSE_
    .private_segment_fixed_size: 0
    .sgpr_count:     4
    .sgpr_spill_count: 0
    .symbol:         _ZN7rocprim17ROCPRIM_400000_NS6detail17trampoline_kernelINS0_14default_configENS1_35radix_sort_onesweep_config_selectorIyNS0_10empty_typeEEEZZNS1_29radix_sort_onesweep_iterationIS3_Lb1EPyS8_PS5_S9_mNS0_19identity_decomposerENS1_16block_id_wrapperIjLb0EEEEE10hipError_tT1_PNSt15iterator_traitsISE_E10value_typeET2_T3_PNSF_ISK_E10value_typeET4_T5_PSP_SQ_PNS1_23onesweep_lookback_stateEbbT6_jjT7_P12ihipStream_tbENKUlT_T0_SE_SJ_E_clIS8_S8_S9_S9_EEDaSX_SY_SE_SJ_EUlSX_E_NS1_11comp_targetILNS1_3genE10ELNS1_11target_archE1201ELNS1_3gpuE5ELNS1_3repE0EEENS1_47radix_sort_onesweep_sort_config_static_selectorELNS0_4arch9wavefront6targetE1EEEvSE_.kd
    .uniform_work_group_size: 1
    .uses_dynamic_stack: false
    .vgpr_count:     0
    .vgpr_spill_count: 0
    .wavefront_size: 64
  - .agpr_count:     0
    .args:
      - .offset:         0
        .size:           88
        .value_kind:     by_value
    .group_segment_fixed_size: 0
    .kernarg_segment_align: 8
    .kernarg_segment_size: 88
    .language:       OpenCL C
    .language_version:
      - 2
      - 0
    .max_flat_workgroup_size: 1024
    .name:           _ZN7rocprim17ROCPRIM_400000_NS6detail17trampoline_kernelINS0_14default_configENS1_35radix_sort_onesweep_config_selectorIyNS0_10empty_typeEEEZZNS1_29radix_sort_onesweep_iterationIS3_Lb1EPyS8_PS5_S9_mNS0_19identity_decomposerENS1_16block_id_wrapperIjLb0EEEEE10hipError_tT1_PNSt15iterator_traitsISE_E10value_typeET2_T3_PNSF_ISK_E10value_typeET4_T5_PSP_SQ_PNS1_23onesweep_lookback_stateEbbT6_jjT7_P12ihipStream_tbENKUlT_T0_SE_SJ_E_clIS8_S8_S9_S9_EEDaSX_SY_SE_SJ_EUlSX_E_NS1_11comp_targetILNS1_3genE9ELNS1_11target_archE1100ELNS1_3gpuE3ELNS1_3repE0EEENS1_47radix_sort_onesweep_sort_config_static_selectorELNS0_4arch9wavefront6targetE1EEEvSE_
    .private_segment_fixed_size: 0
    .sgpr_count:     4
    .sgpr_spill_count: 0
    .symbol:         _ZN7rocprim17ROCPRIM_400000_NS6detail17trampoline_kernelINS0_14default_configENS1_35radix_sort_onesweep_config_selectorIyNS0_10empty_typeEEEZZNS1_29radix_sort_onesweep_iterationIS3_Lb1EPyS8_PS5_S9_mNS0_19identity_decomposerENS1_16block_id_wrapperIjLb0EEEEE10hipError_tT1_PNSt15iterator_traitsISE_E10value_typeET2_T3_PNSF_ISK_E10value_typeET4_T5_PSP_SQ_PNS1_23onesweep_lookback_stateEbbT6_jjT7_P12ihipStream_tbENKUlT_T0_SE_SJ_E_clIS8_S8_S9_S9_EEDaSX_SY_SE_SJ_EUlSX_E_NS1_11comp_targetILNS1_3genE9ELNS1_11target_archE1100ELNS1_3gpuE3ELNS1_3repE0EEENS1_47radix_sort_onesweep_sort_config_static_selectorELNS0_4arch9wavefront6targetE1EEEvSE_.kd
    .uniform_work_group_size: 1
    .uses_dynamic_stack: false
    .vgpr_count:     0
    .vgpr_spill_count: 0
    .wavefront_size: 64
  - .agpr_count:     0
    .args:
      - .offset:         0
        .size:           88
        .value_kind:     by_value
    .group_segment_fixed_size: 0
    .kernarg_segment_align: 8
    .kernarg_segment_size: 88
    .language:       OpenCL C
    .language_version:
      - 2
      - 0
    .max_flat_workgroup_size: 1024
    .name:           _ZN7rocprim17ROCPRIM_400000_NS6detail17trampoline_kernelINS0_14default_configENS1_35radix_sort_onesweep_config_selectorIyNS0_10empty_typeEEEZZNS1_29radix_sort_onesweep_iterationIS3_Lb1EPyS8_PS5_S9_mNS0_19identity_decomposerENS1_16block_id_wrapperIjLb0EEEEE10hipError_tT1_PNSt15iterator_traitsISE_E10value_typeET2_T3_PNSF_ISK_E10value_typeET4_T5_PSP_SQ_PNS1_23onesweep_lookback_stateEbbT6_jjT7_P12ihipStream_tbENKUlT_T0_SE_SJ_E_clIS8_S8_S9_S9_EEDaSX_SY_SE_SJ_EUlSX_E_NS1_11comp_targetILNS1_3genE8ELNS1_11target_archE1030ELNS1_3gpuE2ELNS1_3repE0EEENS1_47radix_sort_onesweep_sort_config_static_selectorELNS0_4arch9wavefront6targetE1EEEvSE_
    .private_segment_fixed_size: 0
    .sgpr_count:     4
    .sgpr_spill_count: 0
    .symbol:         _ZN7rocprim17ROCPRIM_400000_NS6detail17trampoline_kernelINS0_14default_configENS1_35radix_sort_onesweep_config_selectorIyNS0_10empty_typeEEEZZNS1_29radix_sort_onesweep_iterationIS3_Lb1EPyS8_PS5_S9_mNS0_19identity_decomposerENS1_16block_id_wrapperIjLb0EEEEE10hipError_tT1_PNSt15iterator_traitsISE_E10value_typeET2_T3_PNSF_ISK_E10value_typeET4_T5_PSP_SQ_PNS1_23onesweep_lookback_stateEbbT6_jjT7_P12ihipStream_tbENKUlT_T0_SE_SJ_E_clIS8_S8_S9_S9_EEDaSX_SY_SE_SJ_EUlSX_E_NS1_11comp_targetILNS1_3genE8ELNS1_11target_archE1030ELNS1_3gpuE2ELNS1_3repE0EEENS1_47radix_sort_onesweep_sort_config_static_selectorELNS0_4arch9wavefront6targetE1EEEvSE_.kd
    .uniform_work_group_size: 1
    .uses_dynamic_stack: false
    .vgpr_count:     0
    .vgpr_spill_count: 0
    .wavefront_size: 64
  - .agpr_count:     0
    .args:
      - .offset:         0
        .size:           48
        .value_kind:     by_value
    .group_segment_fixed_size: 0
    .kernarg_segment_align: 8
    .kernarg_segment_size: 48
    .language:       OpenCL C
    .language_version:
      - 2
      - 0
    .max_flat_workgroup_size: 256
    .name:           _ZN7rocprim17ROCPRIM_400000_NS6detail17trampoline_kernelINS0_13kernel_configILj256ELj4ELj4294967295EEENS1_37radix_sort_block_sort_config_selectorIfNS0_10empty_typeEEEZNS1_21radix_sort_block_sortIS4_Lb1EPfS9_PS6_SA_NS0_19identity_decomposerEEE10hipError_tT1_T2_T3_T4_jRjT5_jjP12ihipStream_tbEUlT_E_NS1_11comp_targetILNS1_3genE0ELNS1_11target_archE4294967295ELNS1_3gpuE0ELNS1_3repE0EEENS1_44radix_sort_block_sort_config_static_selectorELNS0_4arch9wavefront6targetE1EEEvSD_
    .private_segment_fixed_size: 0
    .sgpr_count:     4
    .sgpr_spill_count: 0
    .symbol:         _ZN7rocprim17ROCPRIM_400000_NS6detail17trampoline_kernelINS0_13kernel_configILj256ELj4ELj4294967295EEENS1_37radix_sort_block_sort_config_selectorIfNS0_10empty_typeEEEZNS1_21radix_sort_block_sortIS4_Lb1EPfS9_PS6_SA_NS0_19identity_decomposerEEE10hipError_tT1_T2_T3_T4_jRjT5_jjP12ihipStream_tbEUlT_E_NS1_11comp_targetILNS1_3genE0ELNS1_11target_archE4294967295ELNS1_3gpuE0ELNS1_3repE0EEENS1_44radix_sort_block_sort_config_static_selectorELNS0_4arch9wavefront6targetE1EEEvSD_.kd
    .uniform_work_group_size: 1
    .uses_dynamic_stack: false
    .vgpr_count:     0
    .vgpr_spill_count: 0
    .wavefront_size: 64
  - .agpr_count:     0
    .args:
      - .offset:         0
        .size:           48
        .value_kind:     by_value
    .group_segment_fixed_size: 0
    .kernarg_segment_align: 8
    .kernarg_segment_size: 48
    .language:       OpenCL C
    .language_version:
      - 2
      - 0
    .max_flat_workgroup_size: 256
    .name:           _ZN7rocprim17ROCPRIM_400000_NS6detail17trampoline_kernelINS0_13kernel_configILj256ELj4ELj4294967295EEENS1_37radix_sort_block_sort_config_selectorIfNS0_10empty_typeEEEZNS1_21radix_sort_block_sortIS4_Lb1EPfS9_PS6_SA_NS0_19identity_decomposerEEE10hipError_tT1_T2_T3_T4_jRjT5_jjP12ihipStream_tbEUlT_E_NS1_11comp_targetILNS1_3genE5ELNS1_11target_archE942ELNS1_3gpuE9ELNS1_3repE0EEENS1_44radix_sort_block_sort_config_static_selectorELNS0_4arch9wavefront6targetE1EEEvSD_
    .private_segment_fixed_size: 0
    .sgpr_count:     4
    .sgpr_spill_count: 0
    .symbol:         _ZN7rocprim17ROCPRIM_400000_NS6detail17trampoline_kernelINS0_13kernel_configILj256ELj4ELj4294967295EEENS1_37radix_sort_block_sort_config_selectorIfNS0_10empty_typeEEEZNS1_21radix_sort_block_sortIS4_Lb1EPfS9_PS6_SA_NS0_19identity_decomposerEEE10hipError_tT1_T2_T3_T4_jRjT5_jjP12ihipStream_tbEUlT_E_NS1_11comp_targetILNS1_3genE5ELNS1_11target_archE942ELNS1_3gpuE9ELNS1_3repE0EEENS1_44radix_sort_block_sort_config_static_selectorELNS0_4arch9wavefront6targetE1EEEvSD_.kd
    .uniform_work_group_size: 1
    .uses_dynamic_stack: false
    .vgpr_count:     0
    .vgpr_spill_count: 0
    .wavefront_size: 64
  - .agpr_count:     0
    .args:
      - .offset:         0
        .size:           48
        .value_kind:     by_value
      - .offset:         48
        .size:           4
        .value_kind:     hidden_block_count_x
      - .offset:         52
        .size:           4
        .value_kind:     hidden_block_count_y
      - .offset:         56
        .size:           4
        .value_kind:     hidden_block_count_z
      - .offset:         60
        .size:           2
        .value_kind:     hidden_group_size_x
      - .offset:         62
        .size:           2
        .value_kind:     hidden_group_size_y
      - .offset:         64
        .size:           2
        .value_kind:     hidden_group_size_z
      - .offset:         66
        .size:           2
        .value_kind:     hidden_remainder_x
      - .offset:         68
        .size:           2
        .value_kind:     hidden_remainder_y
      - .offset:         70
        .size:           2
        .value_kind:     hidden_remainder_z
      - .offset:         88
        .size:           8
        .value_kind:     hidden_global_offset_x
      - .offset:         96
        .size:           8
        .value_kind:     hidden_global_offset_y
      - .offset:         104
        .size:           8
        .value_kind:     hidden_global_offset_z
      - .offset:         112
        .size:           2
        .value_kind:     hidden_grid_dims
    .group_segment_fixed_size: 4112
    .kernarg_segment_align: 8
    .kernarg_segment_size: 304
    .language:       OpenCL C
    .language_version:
      - 2
      - 0
    .max_flat_workgroup_size: 256
    .name:           _ZN7rocprim17ROCPRIM_400000_NS6detail17trampoline_kernelINS0_13kernel_configILj256ELj4ELj4294967295EEENS1_37radix_sort_block_sort_config_selectorIfNS0_10empty_typeEEEZNS1_21radix_sort_block_sortIS4_Lb1EPfS9_PS6_SA_NS0_19identity_decomposerEEE10hipError_tT1_T2_T3_T4_jRjT5_jjP12ihipStream_tbEUlT_E_NS1_11comp_targetILNS1_3genE4ELNS1_11target_archE910ELNS1_3gpuE8ELNS1_3repE0EEENS1_44radix_sort_block_sort_config_static_selectorELNS0_4arch9wavefront6targetE1EEEvSD_
    .private_segment_fixed_size: 0
    .sgpr_count:     48
    .sgpr_spill_count: 0
    .symbol:         _ZN7rocprim17ROCPRIM_400000_NS6detail17trampoline_kernelINS0_13kernel_configILj256ELj4ELj4294967295EEENS1_37radix_sort_block_sort_config_selectorIfNS0_10empty_typeEEEZNS1_21radix_sort_block_sortIS4_Lb1EPfS9_PS6_SA_NS0_19identity_decomposerEEE10hipError_tT1_T2_T3_T4_jRjT5_jjP12ihipStream_tbEUlT_E_NS1_11comp_targetILNS1_3genE4ELNS1_11target_archE910ELNS1_3gpuE8ELNS1_3repE0EEENS1_44radix_sort_block_sort_config_static_selectorELNS0_4arch9wavefront6targetE1EEEvSD_.kd
    .uniform_work_group_size: 1
    .uses_dynamic_stack: false
    .vgpr_count:     40
    .vgpr_spill_count: 0
    .wavefront_size: 64
  - .agpr_count:     0
    .args:
      - .offset:         0
        .size:           48
        .value_kind:     by_value
    .group_segment_fixed_size: 0
    .kernarg_segment_align: 8
    .kernarg_segment_size: 48
    .language:       OpenCL C
    .language_version:
      - 2
      - 0
    .max_flat_workgroup_size: 256
    .name:           _ZN7rocprim17ROCPRIM_400000_NS6detail17trampoline_kernelINS0_13kernel_configILj256ELj4ELj4294967295EEENS1_37radix_sort_block_sort_config_selectorIfNS0_10empty_typeEEEZNS1_21radix_sort_block_sortIS4_Lb1EPfS9_PS6_SA_NS0_19identity_decomposerEEE10hipError_tT1_T2_T3_T4_jRjT5_jjP12ihipStream_tbEUlT_E_NS1_11comp_targetILNS1_3genE3ELNS1_11target_archE908ELNS1_3gpuE7ELNS1_3repE0EEENS1_44radix_sort_block_sort_config_static_selectorELNS0_4arch9wavefront6targetE1EEEvSD_
    .private_segment_fixed_size: 0
    .sgpr_count:     4
    .sgpr_spill_count: 0
    .symbol:         _ZN7rocprim17ROCPRIM_400000_NS6detail17trampoline_kernelINS0_13kernel_configILj256ELj4ELj4294967295EEENS1_37radix_sort_block_sort_config_selectorIfNS0_10empty_typeEEEZNS1_21radix_sort_block_sortIS4_Lb1EPfS9_PS6_SA_NS0_19identity_decomposerEEE10hipError_tT1_T2_T3_T4_jRjT5_jjP12ihipStream_tbEUlT_E_NS1_11comp_targetILNS1_3genE3ELNS1_11target_archE908ELNS1_3gpuE7ELNS1_3repE0EEENS1_44radix_sort_block_sort_config_static_selectorELNS0_4arch9wavefront6targetE1EEEvSD_.kd
    .uniform_work_group_size: 1
    .uses_dynamic_stack: false
    .vgpr_count:     0
    .vgpr_spill_count: 0
    .wavefront_size: 64
  - .agpr_count:     0
    .args:
      - .offset:         0
        .size:           48
        .value_kind:     by_value
    .group_segment_fixed_size: 0
    .kernarg_segment_align: 8
    .kernarg_segment_size: 48
    .language:       OpenCL C
    .language_version:
      - 2
      - 0
    .max_flat_workgroup_size: 256
    .name:           _ZN7rocprim17ROCPRIM_400000_NS6detail17trampoline_kernelINS0_13kernel_configILj256ELj4ELj4294967295EEENS1_37radix_sort_block_sort_config_selectorIfNS0_10empty_typeEEEZNS1_21radix_sort_block_sortIS4_Lb1EPfS9_PS6_SA_NS0_19identity_decomposerEEE10hipError_tT1_T2_T3_T4_jRjT5_jjP12ihipStream_tbEUlT_E_NS1_11comp_targetILNS1_3genE2ELNS1_11target_archE906ELNS1_3gpuE6ELNS1_3repE0EEENS1_44radix_sort_block_sort_config_static_selectorELNS0_4arch9wavefront6targetE1EEEvSD_
    .private_segment_fixed_size: 0
    .sgpr_count:     4
    .sgpr_spill_count: 0
    .symbol:         _ZN7rocprim17ROCPRIM_400000_NS6detail17trampoline_kernelINS0_13kernel_configILj256ELj4ELj4294967295EEENS1_37radix_sort_block_sort_config_selectorIfNS0_10empty_typeEEEZNS1_21radix_sort_block_sortIS4_Lb1EPfS9_PS6_SA_NS0_19identity_decomposerEEE10hipError_tT1_T2_T3_T4_jRjT5_jjP12ihipStream_tbEUlT_E_NS1_11comp_targetILNS1_3genE2ELNS1_11target_archE906ELNS1_3gpuE6ELNS1_3repE0EEENS1_44radix_sort_block_sort_config_static_selectorELNS0_4arch9wavefront6targetE1EEEvSD_.kd
    .uniform_work_group_size: 1
    .uses_dynamic_stack: false
    .vgpr_count:     0
    .vgpr_spill_count: 0
    .wavefront_size: 64
  - .agpr_count:     0
    .args:
      - .offset:         0
        .size:           48
        .value_kind:     by_value
    .group_segment_fixed_size: 0
    .kernarg_segment_align: 8
    .kernarg_segment_size: 48
    .language:       OpenCL C
    .language_version:
      - 2
      - 0
    .max_flat_workgroup_size: 256
    .name:           _ZN7rocprim17ROCPRIM_400000_NS6detail17trampoline_kernelINS0_13kernel_configILj256ELj4ELj4294967295EEENS1_37radix_sort_block_sort_config_selectorIfNS0_10empty_typeEEEZNS1_21radix_sort_block_sortIS4_Lb1EPfS9_PS6_SA_NS0_19identity_decomposerEEE10hipError_tT1_T2_T3_T4_jRjT5_jjP12ihipStream_tbEUlT_E_NS1_11comp_targetILNS1_3genE10ELNS1_11target_archE1201ELNS1_3gpuE5ELNS1_3repE0EEENS1_44radix_sort_block_sort_config_static_selectorELNS0_4arch9wavefront6targetE1EEEvSD_
    .private_segment_fixed_size: 0
    .sgpr_count:     4
    .sgpr_spill_count: 0
    .symbol:         _ZN7rocprim17ROCPRIM_400000_NS6detail17trampoline_kernelINS0_13kernel_configILj256ELj4ELj4294967295EEENS1_37radix_sort_block_sort_config_selectorIfNS0_10empty_typeEEEZNS1_21radix_sort_block_sortIS4_Lb1EPfS9_PS6_SA_NS0_19identity_decomposerEEE10hipError_tT1_T2_T3_T4_jRjT5_jjP12ihipStream_tbEUlT_E_NS1_11comp_targetILNS1_3genE10ELNS1_11target_archE1201ELNS1_3gpuE5ELNS1_3repE0EEENS1_44radix_sort_block_sort_config_static_selectorELNS0_4arch9wavefront6targetE1EEEvSD_.kd
    .uniform_work_group_size: 1
    .uses_dynamic_stack: false
    .vgpr_count:     0
    .vgpr_spill_count: 0
    .wavefront_size: 64
  - .agpr_count:     0
    .args:
      - .offset:         0
        .size:           48
        .value_kind:     by_value
    .group_segment_fixed_size: 0
    .kernarg_segment_align: 8
    .kernarg_segment_size: 48
    .language:       OpenCL C
    .language_version:
      - 2
      - 0
    .max_flat_workgroup_size: 256
    .name:           _ZN7rocprim17ROCPRIM_400000_NS6detail17trampoline_kernelINS0_13kernel_configILj256ELj4ELj4294967295EEENS1_37radix_sort_block_sort_config_selectorIfNS0_10empty_typeEEEZNS1_21radix_sort_block_sortIS4_Lb1EPfS9_PS6_SA_NS0_19identity_decomposerEEE10hipError_tT1_T2_T3_T4_jRjT5_jjP12ihipStream_tbEUlT_E_NS1_11comp_targetILNS1_3genE10ELNS1_11target_archE1200ELNS1_3gpuE4ELNS1_3repE0EEENS1_44radix_sort_block_sort_config_static_selectorELNS0_4arch9wavefront6targetE1EEEvSD_
    .private_segment_fixed_size: 0
    .sgpr_count:     4
    .sgpr_spill_count: 0
    .symbol:         _ZN7rocprim17ROCPRIM_400000_NS6detail17trampoline_kernelINS0_13kernel_configILj256ELj4ELj4294967295EEENS1_37radix_sort_block_sort_config_selectorIfNS0_10empty_typeEEEZNS1_21radix_sort_block_sortIS4_Lb1EPfS9_PS6_SA_NS0_19identity_decomposerEEE10hipError_tT1_T2_T3_T4_jRjT5_jjP12ihipStream_tbEUlT_E_NS1_11comp_targetILNS1_3genE10ELNS1_11target_archE1200ELNS1_3gpuE4ELNS1_3repE0EEENS1_44radix_sort_block_sort_config_static_selectorELNS0_4arch9wavefront6targetE1EEEvSD_.kd
    .uniform_work_group_size: 1
    .uses_dynamic_stack: false
    .vgpr_count:     0
    .vgpr_spill_count: 0
    .wavefront_size: 64
  - .agpr_count:     0
    .args:
      - .offset:         0
        .size:           48
        .value_kind:     by_value
    .group_segment_fixed_size: 0
    .kernarg_segment_align: 8
    .kernarg_segment_size: 48
    .language:       OpenCL C
    .language_version:
      - 2
      - 0
    .max_flat_workgroup_size: 256
    .name:           _ZN7rocprim17ROCPRIM_400000_NS6detail17trampoline_kernelINS0_13kernel_configILj256ELj4ELj4294967295EEENS1_37radix_sort_block_sort_config_selectorIfNS0_10empty_typeEEEZNS1_21radix_sort_block_sortIS4_Lb1EPfS9_PS6_SA_NS0_19identity_decomposerEEE10hipError_tT1_T2_T3_T4_jRjT5_jjP12ihipStream_tbEUlT_E_NS1_11comp_targetILNS1_3genE9ELNS1_11target_archE1100ELNS1_3gpuE3ELNS1_3repE0EEENS1_44radix_sort_block_sort_config_static_selectorELNS0_4arch9wavefront6targetE1EEEvSD_
    .private_segment_fixed_size: 0
    .sgpr_count:     4
    .sgpr_spill_count: 0
    .symbol:         _ZN7rocprim17ROCPRIM_400000_NS6detail17trampoline_kernelINS0_13kernel_configILj256ELj4ELj4294967295EEENS1_37radix_sort_block_sort_config_selectorIfNS0_10empty_typeEEEZNS1_21radix_sort_block_sortIS4_Lb1EPfS9_PS6_SA_NS0_19identity_decomposerEEE10hipError_tT1_T2_T3_T4_jRjT5_jjP12ihipStream_tbEUlT_E_NS1_11comp_targetILNS1_3genE9ELNS1_11target_archE1100ELNS1_3gpuE3ELNS1_3repE0EEENS1_44radix_sort_block_sort_config_static_selectorELNS0_4arch9wavefront6targetE1EEEvSD_.kd
    .uniform_work_group_size: 1
    .uses_dynamic_stack: false
    .vgpr_count:     0
    .vgpr_spill_count: 0
    .wavefront_size: 64
  - .agpr_count:     0
    .args:
      - .offset:         0
        .size:           48
        .value_kind:     by_value
    .group_segment_fixed_size: 0
    .kernarg_segment_align: 8
    .kernarg_segment_size: 48
    .language:       OpenCL C
    .language_version:
      - 2
      - 0
    .max_flat_workgroup_size: 256
    .name:           _ZN7rocprim17ROCPRIM_400000_NS6detail17trampoline_kernelINS0_13kernel_configILj256ELj4ELj4294967295EEENS1_37radix_sort_block_sort_config_selectorIfNS0_10empty_typeEEEZNS1_21radix_sort_block_sortIS4_Lb1EPfS9_PS6_SA_NS0_19identity_decomposerEEE10hipError_tT1_T2_T3_T4_jRjT5_jjP12ihipStream_tbEUlT_E_NS1_11comp_targetILNS1_3genE8ELNS1_11target_archE1030ELNS1_3gpuE2ELNS1_3repE0EEENS1_44radix_sort_block_sort_config_static_selectorELNS0_4arch9wavefront6targetE1EEEvSD_
    .private_segment_fixed_size: 0
    .sgpr_count:     4
    .sgpr_spill_count: 0
    .symbol:         _ZN7rocprim17ROCPRIM_400000_NS6detail17trampoline_kernelINS0_13kernel_configILj256ELj4ELj4294967295EEENS1_37radix_sort_block_sort_config_selectorIfNS0_10empty_typeEEEZNS1_21radix_sort_block_sortIS4_Lb1EPfS9_PS6_SA_NS0_19identity_decomposerEEE10hipError_tT1_T2_T3_T4_jRjT5_jjP12ihipStream_tbEUlT_E_NS1_11comp_targetILNS1_3genE8ELNS1_11target_archE1030ELNS1_3gpuE2ELNS1_3repE0EEENS1_44radix_sort_block_sort_config_static_selectorELNS0_4arch9wavefront6targetE1EEEvSD_.kd
    .uniform_work_group_size: 1
    .uses_dynamic_stack: false
    .vgpr_count:     0
    .vgpr_spill_count: 0
    .wavefront_size: 64
  - .agpr_count:     0
    .args:
      - .offset:         0
        .size:           40
        .value_kind:     by_value
    .group_segment_fixed_size: 0
    .kernarg_segment_align: 8
    .kernarg_segment_size: 40
    .language:       OpenCL C
    .language_version:
      - 2
      - 0
    .max_flat_workgroup_size: 128
    .name:           _ZN7rocprim17ROCPRIM_400000_NS6detail17trampoline_kernelINS0_14default_configENS1_38merge_sort_block_merge_config_selectorIfNS0_10empty_typeEEEZZNS1_27merge_sort_block_merge_implIS3_PfPS5_jNS1_19radix_merge_compareILb1ELb0EfNS0_19identity_decomposerEEEEE10hipError_tT0_T1_T2_jT3_P12ihipStream_tbPNSt15iterator_traitsISE_E10value_typeEPNSK_ISF_E10value_typeEPSG_NS1_7vsmem_tEENKUlT_SE_SF_SG_E_clIS8_S8_S9_S9_EESD_ST_SE_SF_SG_EUlST_E_NS1_11comp_targetILNS1_3genE0ELNS1_11target_archE4294967295ELNS1_3gpuE0ELNS1_3repE0EEENS1_48merge_mergepath_partition_config_static_selectorELNS0_4arch9wavefront6targetE1EEEvSF_
    .private_segment_fixed_size: 0
    .sgpr_count:     4
    .sgpr_spill_count: 0
    .symbol:         _ZN7rocprim17ROCPRIM_400000_NS6detail17trampoline_kernelINS0_14default_configENS1_38merge_sort_block_merge_config_selectorIfNS0_10empty_typeEEEZZNS1_27merge_sort_block_merge_implIS3_PfPS5_jNS1_19radix_merge_compareILb1ELb0EfNS0_19identity_decomposerEEEEE10hipError_tT0_T1_T2_jT3_P12ihipStream_tbPNSt15iterator_traitsISE_E10value_typeEPNSK_ISF_E10value_typeEPSG_NS1_7vsmem_tEENKUlT_SE_SF_SG_E_clIS8_S8_S9_S9_EESD_ST_SE_SF_SG_EUlST_E_NS1_11comp_targetILNS1_3genE0ELNS1_11target_archE4294967295ELNS1_3gpuE0ELNS1_3repE0EEENS1_48merge_mergepath_partition_config_static_selectorELNS0_4arch9wavefront6targetE1EEEvSF_.kd
    .uniform_work_group_size: 1
    .uses_dynamic_stack: false
    .vgpr_count:     0
    .vgpr_spill_count: 0
    .wavefront_size: 64
  - .agpr_count:     0
    .args:
      - .offset:         0
        .size:           40
        .value_kind:     by_value
    .group_segment_fixed_size: 0
    .kernarg_segment_align: 8
    .kernarg_segment_size: 40
    .language:       OpenCL C
    .language_version:
      - 2
      - 0
    .max_flat_workgroup_size: 128
    .name:           _ZN7rocprim17ROCPRIM_400000_NS6detail17trampoline_kernelINS0_14default_configENS1_38merge_sort_block_merge_config_selectorIfNS0_10empty_typeEEEZZNS1_27merge_sort_block_merge_implIS3_PfPS5_jNS1_19radix_merge_compareILb1ELb0EfNS0_19identity_decomposerEEEEE10hipError_tT0_T1_T2_jT3_P12ihipStream_tbPNSt15iterator_traitsISE_E10value_typeEPNSK_ISF_E10value_typeEPSG_NS1_7vsmem_tEENKUlT_SE_SF_SG_E_clIS8_S8_S9_S9_EESD_ST_SE_SF_SG_EUlST_E_NS1_11comp_targetILNS1_3genE10ELNS1_11target_archE1201ELNS1_3gpuE5ELNS1_3repE0EEENS1_48merge_mergepath_partition_config_static_selectorELNS0_4arch9wavefront6targetE1EEEvSF_
    .private_segment_fixed_size: 0
    .sgpr_count:     4
    .sgpr_spill_count: 0
    .symbol:         _ZN7rocprim17ROCPRIM_400000_NS6detail17trampoline_kernelINS0_14default_configENS1_38merge_sort_block_merge_config_selectorIfNS0_10empty_typeEEEZZNS1_27merge_sort_block_merge_implIS3_PfPS5_jNS1_19radix_merge_compareILb1ELb0EfNS0_19identity_decomposerEEEEE10hipError_tT0_T1_T2_jT3_P12ihipStream_tbPNSt15iterator_traitsISE_E10value_typeEPNSK_ISF_E10value_typeEPSG_NS1_7vsmem_tEENKUlT_SE_SF_SG_E_clIS8_S8_S9_S9_EESD_ST_SE_SF_SG_EUlST_E_NS1_11comp_targetILNS1_3genE10ELNS1_11target_archE1201ELNS1_3gpuE5ELNS1_3repE0EEENS1_48merge_mergepath_partition_config_static_selectorELNS0_4arch9wavefront6targetE1EEEvSF_.kd
    .uniform_work_group_size: 1
    .uses_dynamic_stack: false
    .vgpr_count:     0
    .vgpr_spill_count: 0
    .wavefront_size: 64
  - .agpr_count:     0
    .args:
      - .offset:         0
        .size:           40
        .value_kind:     by_value
    .group_segment_fixed_size: 0
    .kernarg_segment_align: 8
    .kernarg_segment_size: 40
    .language:       OpenCL C
    .language_version:
      - 2
      - 0
    .max_flat_workgroup_size: 128
    .name:           _ZN7rocprim17ROCPRIM_400000_NS6detail17trampoline_kernelINS0_14default_configENS1_38merge_sort_block_merge_config_selectorIfNS0_10empty_typeEEEZZNS1_27merge_sort_block_merge_implIS3_PfPS5_jNS1_19radix_merge_compareILb1ELb0EfNS0_19identity_decomposerEEEEE10hipError_tT0_T1_T2_jT3_P12ihipStream_tbPNSt15iterator_traitsISE_E10value_typeEPNSK_ISF_E10value_typeEPSG_NS1_7vsmem_tEENKUlT_SE_SF_SG_E_clIS8_S8_S9_S9_EESD_ST_SE_SF_SG_EUlST_E_NS1_11comp_targetILNS1_3genE5ELNS1_11target_archE942ELNS1_3gpuE9ELNS1_3repE0EEENS1_48merge_mergepath_partition_config_static_selectorELNS0_4arch9wavefront6targetE1EEEvSF_
    .private_segment_fixed_size: 0
    .sgpr_count:     4
    .sgpr_spill_count: 0
    .symbol:         _ZN7rocprim17ROCPRIM_400000_NS6detail17trampoline_kernelINS0_14default_configENS1_38merge_sort_block_merge_config_selectorIfNS0_10empty_typeEEEZZNS1_27merge_sort_block_merge_implIS3_PfPS5_jNS1_19radix_merge_compareILb1ELb0EfNS0_19identity_decomposerEEEEE10hipError_tT0_T1_T2_jT3_P12ihipStream_tbPNSt15iterator_traitsISE_E10value_typeEPNSK_ISF_E10value_typeEPSG_NS1_7vsmem_tEENKUlT_SE_SF_SG_E_clIS8_S8_S9_S9_EESD_ST_SE_SF_SG_EUlST_E_NS1_11comp_targetILNS1_3genE5ELNS1_11target_archE942ELNS1_3gpuE9ELNS1_3repE0EEENS1_48merge_mergepath_partition_config_static_selectorELNS0_4arch9wavefront6targetE1EEEvSF_.kd
    .uniform_work_group_size: 1
    .uses_dynamic_stack: false
    .vgpr_count:     0
    .vgpr_spill_count: 0
    .wavefront_size: 64
  - .agpr_count:     0
    .args:
      - .offset:         0
        .size:           40
        .value_kind:     by_value
    .group_segment_fixed_size: 0
    .kernarg_segment_align: 8
    .kernarg_segment_size: 40
    .language:       OpenCL C
    .language_version:
      - 2
      - 0
    .max_flat_workgroup_size: 128
    .name:           _ZN7rocprim17ROCPRIM_400000_NS6detail17trampoline_kernelINS0_14default_configENS1_38merge_sort_block_merge_config_selectorIfNS0_10empty_typeEEEZZNS1_27merge_sort_block_merge_implIS3_PfPS5_jNS1_19radix_merge_compareILb1ELb0EfNS0_19identity_decomposerEEEEE10hipError_tT0_T1_T2_jT3_P12ihipStream_tbPNSt15iterator_traitsISE_E10value_typeEPNSK_ISF_E10value_typeEPSG_NS1_7vsmem_tEENKUlT_SE_SF_SG_E_clIS8_S8_S9_S9_EESD_ST_SE_SF_SG_EUlST_E_NS1_11comp_targetILNS1_3genE4ELNS1_11target_archE910ELNS1_3gpuE8ELNS1_3repE0EEENS1_48merge_mergepath_partition_config_static_selectorELNS0_4arch9wavefront6targetE1EEEvSF_
    .private_segment_fixed_size: 0
    .sgpr_count:     12
    .sgpr_spill_count: 0
    .symbol:         _ZN7rocprim17ROCPRIM_400000_NS6detail17trampoline_kernelINS0_14default_configENS1_38merge_sort_block_merge_config_selectorIfNS0_10empty_typeEEEZZNS1_27merge_sort_block_merge_implIS3_PfPS5_jNS1_19radix_merge_compareILb1ELb0EfNS0_19identity_decomposerEEEEE10hipError_tT0_T1_T2_jT3_P12ihipStream_tbPNSt15iterator_traitsISE_E10value_typeEPNSK_ISF_E10value_typeEPSG_NS1_7vsmem_tEENKUlT_SE_SF_SG_E_clIS8_S8_S9_S9_EESD_ST_SE_SF_SG_EUlST_E_NS1_11comp_targetILNS1_3genE4ELNS1_11target_archE910ELNS1_3gpuE8ELNS1_3repE0EEENS1_48merge_mergepath_partition_config_static_selectorELNS0_4arch9wavefront6targetE1EEEvSF_.kd
    .uniform_work_group_size: 1
    .uses_dynamic_stack: false
    .vgpr_count:     18
    .vgpr_spill_count: 0
    .wavefront_size: 64
  - .agpr_count:     0
    .args:
      - .offset:         0
        .size:           40
        .value_kind:     by_value
    .group_segment_fixed_size: 0
    .kernarg_segment_align: 8
    .kernarg_segment_size: 40
    .language:       OpenCL C
    .language_version:
      - 2
      - 0
    .max_flat_workgroup_size: 128
    .name:           _ZN7rocprim17ROCPRIM_400000_NS6detail17trampoline_kernelINS0_14default_configENS1_38merge_sort_block_merge_config_selectorIfNS0_10empty_typeEEEZZNS1_27merge_sort_block_merge_implIS3_PfPS5_jNS1_19radix_merge_compareILb1ELb0EfNS0_19identity_decomposerEEEEE10hipError_tT0_T1_T2_jT3_P12ihipStream_tbPNSt15iterator_traitsISE_E10value_typeEPNSK_ISF_E10value_typeEPSG_NS1_7vsmem_tEENKUlT_SE_SF_SG_E_clIS8_S8_S9_S9_EESD_ST_SE_SF_SG_EUlST_E_NS1_11comp_targetILNS1_3genE3ELNS1_11target_archE908ELNS1_3gpuE7ELNS1_3repE0EEENS1_48merge_mergepath_partition_config_static_selectorELNS0_4arch9wavefront6targetE1EEEvSF_
    .private_segment_fixed_size: 0
    .sgpr_count:     4
    .sgpr_spill_count: 0
    .symbol:         _ZN7rocprim17ROCPRIM_400000_NS6detail17trampoline_kernelINS0_14default_configENS1_38merge_sort_block_merge_config_selectorIfNS0_10empty_typeEEEZZNS1_27merge_sort_block_merge_implIS3_PfPS5_jNS1_19radix_merge_compareILb1ELb0EfNS0_19identity_decomposerEEEEE10hipError_tT0_T1_T2_jT3_P12ihipStream_tbPNSt15iterator_traitsISE_E10value_typeEPNSK_ISF_E10value_typeEPSG_NS1_7vsmem_tEENKUlT_SE_SF_SG_E_clIS8_S8_S9_S9_EESD_ST_SE_SF_SG_EUlST_E_NS1_11comp_targetILNS1_3genE3ELNS1_11target_archE908ELNS1_3gpuE7ELNS1_3repE0EEENS1_48merge_mergepath_partition_config_static_selectorELNS0_4arch9wavefront6targetE1EEEvSF_.kd
    .uniform_work_group_size: 1
    .uses_dynamic_stack: false
    .vgpr_count:     0
    .vgpr_spill_count: 0
    .wavefront_size: 64
  - .agpr_count:     0
    .args:
      - .offset:         0
        .size:           40
        .value_kind:     by_value
    .group_segment_fixed_size: 0
    .kernarg_segment_align: 8
    .kernarg_segment_size: 40
    .language:       OpenCL C
    .language_version:
      - 2
      - 0
    .max_flat_workgroup_size: 128
    .name:           _ZN7rocprim17ROCPRIM_400000_NS6detail17trampoline_kernelINS0_14default_configENS1_38merge_sort_block_merge_config_selectorIfNS0_10empty_typeEEEZZNS1_27merge_sort_block_merge_implIS3_PfPS5_jNS1_19radix_merge_compareILb1ELb0EfNS0_19identity_decomposerEEEEE10hipError_tT0_T1_T2_jT3_P12ihipStream_tbPNSt15iterator_traitsISE_E10value_typeEPNSK_ISF_E10value_typeEPSG_NS1_7vsmem_tEENKUlT_SE_SF_SG_E_clIS8_S8_S9_S9_EESD_ST_SE_SF_SG_EUlST_E_NS1_11comp_targetILNS1_3genE2ELNS1_11target_archE906ELNS1_3gpuE6ELNS1_3repE0EEENS1_48merge_mergepath_partition_config_static_selectorELNS0_4arch9wavefront6targetE1EEEvSF_
    .private_segment_fixed_size: 0
    .sgpr_count:     4
    .sgpr_spill_count: 0
    .symbol:         _ZN7rocprim17ROCPRIM_400000_NS6detail17trampoline_kernelINS0_14default_configENS1_38merge_sort_block_merge_config_selectorIfNS0_10empty_typeEEEZZNS1_27merge_sort_block_merge_implIS3_PfPS5_jNS1_19radix_merge_compareILb1ELb0EfNS0_19identity_decomposerEEEEE10hipError_tT0_T1_T2_jT3_P12ihipStream_tbPNSt15iterator_traitsISE_E10value_typeEPNSK_ISF_E10value_typeEPSG_NS1_7vsmem_tEENKUlT_SE_SF_SG_E_clIS8_S8_S9_S9_EESD_ST_SE_SF_SG_EUlST_E_NS1_11comp_targetILNS1_3genE2ELNS1_11target_archE906ELNS1_3gpuE6ELNS1_3repE0EEENS1_48merge_mergepath_partition_config_static_selectorELNS0_4arch9wavefront6targetE1EEEvSF_.kd
    .uniform_work_group_size: 1
    .uses_dynamic_stack: false
    .vgpr_count:     0
    .vgpr_spill_count: 0
    .wavefront_size: 64
  - .agpr_count:     0
    .args:
      - .offset:         0
        .size:           40
        .value_kind:     by_value
    .group_segment_fixed_size: 0
    .kernarg_segment_align: 8
    .kernarg_segment_size: 40
    .language:       OpenCL C
    .language_version:
      - 2
      - 0
    .max_flat_workgroup_size: 128
    .name:           _ZN7rocprim17ROCPRIM_400000_NS6detail17trampoline_kernelINS0_14default_configENS1_38merge_sort_block_merge_config_selectorIfNS0_10empty_typeEEEZZNS1_27merge_sort_block_merge_implIS3_PfPS5_jNS1_19radix_merge_compareILb1ELb0EfNS0_19identity_decomposerEEEEE10hipError_tT0_T1_T2_jT3_P12ihipStream_tbPNSt15iterator_traitsISE_E10value_typeEPNSK_ISF_E10value_typeEPSG_NS1_7vsmem_tEENKUlT_SE_SF_SG_E_clIS8_S8_S9_S9_EESD_ST_SE_SF_SG_EUlST_E_NS1_11comp_targetILNS1_3genE9ELNS1_11target_archE1100ELNS1_3gpuE3ELNS1_3repE0EEENS1_48merge_mergepath_partition_config_static_selectorELNS0_4arch9wavefront6targetE1EEEvSF_
    .private_segment_fixed_size: 0
    .sgpr_count:     4
    .sgpr_spill_count: 0
    .symbol:         _ZN7rocprim17ROCPRIM_400000_NS6detail17trampoline_kernelINS0_14default_configENS1_38merge_sort_block_merge_config_selectorIfNS0_10empty_typeEEEZZNS1_27merge_sort_block_merge_implIS3_PfPS5_jNS1_19radix_merge_compareILb1ELb0EfNS0_19identity_decomposerEEEEE10hipError_tT0_T1_T2_jT3_P12ihipStream_tbPNSt15iterator_traitsISE_E10value_typeEPNSK_ISF_E10value_typeEPSG_NS1_7vsmem_tEENKUlT_SE_SF_SG_E_clIS8_S8_S9_S9_EESD_ST_SE_SF_SG_EUlST_E_NS1_11comp_targetILNS1_3genE9ELNS1_11target_archE1100ELNS1_3gpuE3ELNS1_3repE0EEENS1_48merge_mergepath_partition_config_static_selectorELNS0_4arch9wavefront6targetE1EEEvSF_.kd
    .uniform_work_group_size: 1
    .uses_dynamic_stack: false
    .vgpr_count:     0
    .vgpr_spill_count: 0
    .wavefront_size: 64
  - .agpr_count:     0
    .args:
      - .offset:         0
        .size:           40
        .value_kind:     by_value
    .group_segment_fixed_size: 0
    .kernarg_segment_align: 8
    .kernarg_segment_size: 40
    .language:       OpenCL C
    .language_version:
      - 2
      - 0
    .max_flat_workgroup_size: 128
    .name:           _ZN7rocprim17ROCPRIM_400000_NS6detail17trampoline_kernelINS0_14default_configENS1_38merge_sort_block_merge_config_selectorIfNS0_10empty_typeEEEZZNS1_27merge_sort_block_merge_implIS3_PfPS5_jNS1_19radix_merge_compareILb1ELb0EfNS0_19identity_decomposerEEEEE10hipError_tT0_T1_T2_jT3_P12ihipStream_tbPNSt15iterator_traitsISE_E10value_typeEPNSK_ISF_E10value_typeEPSG_NS1_7vsmem_tEENKUlT_SE_SF_SG_E_clIS8_S8_S9_S9_EESD_ST_SE_SF_SG_EUlST_E_NS1_11comp_targetILNS1_3genE8ELNS1_11target_archE1030ELNS1_3gpuE2ELNS1_3repE0EEENS1_48merge_mergepath_partition_config_static_selectorELNS0_4arch9wavefront6targetE1EEEvSF_
    .private_segment_fixed_size: 0
    .sgpr_count:     4
    .sgpr_spill_count: 0
    .symbol:         _ZN7rocprim17ROCPRIM_400000_NS6detail17trampoline_kernelINS0_14default_configENS1_38merge_sort_block_merge_config_selectorIfNS0_10empty_typeEEEZZNS1_27merge_sort_block_merge_implIS3_PfPS5_jNS1_19radix_merge_compareILb1ELb0EfNS0_19identity_decomposerEEEEE10hipError_tT0_T1_T2_jT3_P12ihipStream_tbPNSt15iterator_traitsISE_E10value_typeEPNSK_ISF_E10value_typeEPSG_NS1_7vsmem_tEENKUlT_SE_SF_SG_E_clIS8_S8_S9_S9_EESD_ST_SE_SF_SG_EUlST_E_NS1_11comp_targetILNS1_3genE8ELNS1_11target_archE1030ELNS1_3gpuE2ELNS1_3repE0EEENS1_48merge_mergepath_partition_config_static_selectorELNS0_4arch9wavefront6targetE1EEEvSF_.kd
    .uniform_work_group_size: 1
    .uses_dynamic_stack: false
    .vgpr_count:     0
    .vgpr_spill_count: 0
    .wavefront_size: 64
  - .agpr_count:     0
    .args:
      - .offset:         0
        .size:           64
        .value_kind:     by_value
    .group_segment_fixed_size: 0
    .kernarg_segment_align: 8
    .kernarg_segment_size: 64
    .language:       OpenCL C
    .language_version:
      - 2
      - 0
    .max_flat_workgroup_size: 128
    .name:           _ZN7rocprim17ROCPRIM_400000_NS6detail17trampoline_kernelINS0_14default_configENS1_38merge_sort_block_merge_config_selectorIfNS0_10empty_typeEEEZZNS1_27merge_sort_block_merge_implIS3_PfPS5_jNS1_19radix_merge_compareILb1ELb0EfNS0_19identity_decomposerEEEEE10hipError_tT0_T1_T2_jT3_P12ihipStream_tbPNSt15iterator_traitsISE_E10value_typeEPNSK_ISF_E10value_typeEPSG_NS1_7vsmem_tEENKUlT_SE_SF_SG_E_clIS8_S8_S9_S9_EESD_ST_SE_SF_SG_EUlST_E0_NS1_11comp_targetILNS1_3genE0ELNS1_11target_archE4294967295ELNS1_3gpuE0ELNS1_3repE0EEENS1_38merge_mergepath_config_static_selectorELNS0_4arch9wavefront6targetE1EEEvSF_
    .private_segment_fixed_size: 0
    .sgpr_count:     4
    .sgpr_spill_count: 0
    .symbol:         _ZN7rocprim17ROCPRIM_400000_NS6detail17trampoline_kernelINS0_14default_configENS1_38merge_sort_block_merge_config_selectorIfNS0_10empty_typeEEEZZNS1_27merge_sort_block_merge_implIS3_PfPS5_jNS1_19radix_merge_compareILb1ELb0EfNS0_19identity_decomposerEEEEE10hipError_tT0_T1_T2_jT3_P12ihipStream_tbPNSt15iterator_traitsISE_E10value_typeEPNSK_ISF_E10value_typeEPSG_NS1_7vsmem_tEENKUlT_SE_SF_SG_E_clIS8_S8_S9_S9_EESD_ST_SE_SF_SG_EUlST_E0_NS1_11comp_targetILNS1_3genE0ELNS1_11target_archE4294967295ELNS1_3gpuE0ELNS1_3repE0EEENS1_38merge_mergepath_config_static_selectorELNS0_4arch9wavefront6targetE1EEEvSF_.kd
    .uniform_work_group_size: 1
    .uses_dynamic_stack: false
    .vgpr_count:     0
    .vgpr_spill_count: 0
    .wavefront_size: 64
  - .agpr_count:     0
    .args:
      - .offset:         0
        .size:           64
        .value_kind:     by_value
    .group_segment_fixed_size: 0
    .kernarg_segment_align: 8
    .kernarg_segment_size: 64
    .language:       OpenCL C
    .language_version:
      - 2
      - 0
    .max_flat_workgroup_size: 256
    .name:           _ZN7rocprim17ROCPRIM_400000_NS6detail17trampoline_kernelINS0_14default_configENS1_38merge_sort_block_merge_config_selectorIfNS0_10empty_typeEEEZZNS1_27merge_sort_block_merge_implIS3_PfPS5_jNS1_19radix_merge_compareILb1ELb0EfNS0_19identity_decomposerEEEEE10hipError_tT0_T1_T2_jT3_P12ihipStream_tbPNSt15iterator_traitsISE_E10value_typeEPNSK_ISF_E10value_typeEPSG_NS1_7vsmem_tEENKUlT_SE_SF_SG_E_clIS8_S8_S9_S9_EESD_ST_SE_SF_SG_EUlST_E0_NS1_11comp_targetILNS1_3genE10ELNS1_11target_archE1201ELNS1_3gpuE5ELNS1_3repE0EEENS1_38merge_mergepath_config_static_selectorELNS0_4arch9wavefront6targetE1EEEvSF_
    .private_segment_fixed_size: 0
    .sgpr_count:     4
    .sgpr_spill_count: 0
    .symbol:         _ZN7rocprim17ROCPRIM_400000_NS6detail17trampoline_kernelINS0_14default_configENS1_38merge_sort_block_merge_config_selectorIfNS0_10empty_typeEEEZZNS1_27merge_sort_block_merge_implIS3_PfPS5_jNS1_19radix_merge_compareILb1ELb0EfNS0_19identity_decomposerEEEEE10hipError_tT0_T1_T2_jT3_P12ihipStream_tbPNSt15iterator_traitsISE_E10value_typeEPNSK_ISF_E10value_typeEPSG_NS1_7vsmem_tEENKUlT_SE_SF_SG_E_clIS8_S8_S9_S9_EESD_ST_SE_SF_SG_EUlST_E0_NS1_11comp_targetILNS1_3genE10ELNS1_11target_archE1201ELNS1_3gpuE5ELNS1_3repE0EEENS1_38merge_mergepath_config_static_selectorELNS0_4arch9wavefront6targetE1EEEvSF_.kd
    .uniform_work_group_size: 1
    .uses_dynamic_stack: false
    .vgpr_count:     0
    .vgpr_spill_count: 0
    .wavefront_size: 64
  - .agpr_count:     0
    .args:
      - .offset:         0
        .size:           64
        .value_kind:     by_value
    .group_segment_fixed_size: 0
    .kernarg_segment_align: 8
    .kernarg_segment_size: 64
    .language:       OpenCL C
    .language_version:
      - 2
      - 0
    .max_flat_workgroup_size: 128
    .name:           _ZN7rocprim17ROCPRIM_400000_NS6detail17trampoline_kernelINS0_14default_configENS1_38merge_sort_block_merge_config_selectorIfNS0_10empty_typeEEEZZNS1_27merge_sort_block_merge_implIS3_PfPS5_jNS1_19radix_merge_compareILb1ELb0EfNS0_19identity_decomposerEEEEE10hipError_tT0_T1_T2_jT3_P12ihipStream_tbPNSt15iterator_traitsISE_E10value_typeEPNSK_ISF_E10value_typeEPSG_NS1_7vsmem_tEENKUlT_SE_SF_SG_E_clIS8_S8_S9_S9_EESD_ST_SE_SF_SG_EUlST_E0_NS1_11comp_targetILNS1_3genE5ELNS1_11target_archE942ELNS1_3gpuE9ELNS1_3repE0EEENS1_38merge_mergepath_config_static_selectorELNS0_4arch9wavefront6targetE1EEEvSF_
    .private_segment_fixed_size: 0
    .sgpr_count:     4
    .sgpr_spill_count: 0
    .symbol:         _ZN7rocprim17ROCPRIM_400000_NS6detail17trampoline_kernelINS0_14default_configENS1_38merge_sort_block_merge_config_selectorIfNS0_10empty_typeEEEZZNS1_27merge_sort_block_merge_implIS3_PfPS5_jNS1_19radix_merge_compareILb1ELb0EfNS0_19identity_decomposerEEEEE10hipError_tT0_T1_T2_jT3_P12ihipStream_tbPNSt15iterator_traitsISE_E10value_typeEPNSK_ISF_E10value_typeEPSG_NS1_7vsmem_tEENKUlT_SE_SF_SG_E_clIS8_S8_S9_S9_EESD_ST_SE_SF_SG_EUlST_E0_NS1_11comp_targetILNS1_3genE5ELNS1_11target_archE942ELNS1_3gpuE9ELNS1_3repE0EEENS1_38merge_mergepath_config_static_selectorELNS0_4arch9wavefront6targetE1EEEvSF_.kd
    .uniform_work_group_size: 1
    .uses_dynamic_stack: false
    .vgpr_count:     0
    .vgpr_spill_count: 0
    .wavefront_size: 64
  - .agpr_count:     0
    .args:
      - .offset:         0
        .size:           64
        .value_kind:     by_value
      - .offset:         64
        .size:           4
        .value_kind:     hidden_block_count_x
      - .offset:         68
        .size:           4
        .value_kind:     hidden_block_count_y
      - .offset:         72
        .size:           4
        .value_kind:     hidden_block_count_z
      - .offset:         76
        .size:           2
        .value_kind:     hidden_group_size_x
      - .offset:         78
        .size:           2
        .value_kind:     hidden_group_size_y
      - .offset:         80
        .size:           2
        .value_kind:     hidden_group_size_z
      - .offset:         82
        .size:           2
        .value_kind:     hidden_remainder_x
      - .offset:         84
        .size:           2
        .value_kind:     hidden_remainder_y
      - .offset:         86
        .size:           2
        .value_kind:     hidden_remainder_z
      - .offset:         104
        .size:           8
        .value_kind:     hidden_global_offset_x
      - .offset:         112
        .size:           8
        .value_kind:     hidden_global_offset_y
      - .offset:         120
        .size:           8
        .value_kind:     hidden_global_offset_z
      - .offset:         128
        .size:           2
        .value_kind:     hidden_grid_dims
    .group_segment_fixed_size: 4224
    .kernarg_segment_align: 8
    .kernarg_segment_size: 320
    .language:       OpenCL C
    .language_version:
      - 2
      - 0
    .max_flat_workgroup_size: 128
    .name:           _ZN7rocprim17ROCPRIM_400000_NS6detail17trampoline_kernelINS0_14default_configENS1_38merge_sort_block_merge_config_selectorIfNS0_10empty_typeEEEZZNS1_27merge_sort_block_merge_implIS3_PfPS5_jNS1_19radix_merge_compareILb1ELb0EfNS0_19identity_decomposerEEEEE10hipError_tT0_T1_T2_jT3_P12ihipStream_tbPNSt15iterator_traitsISE_E10value_typeEPNSK_ISF_E10value_typeEPSG_NS1_7vsmem_tEENKUlT_SE_SF_SG_E_clIS8_S8_S9_S9_EESD_ST_SE_SF_SG_EUlST_E0_NS1_11comp_targetILNS1_3genE4ELNS1_11target_archE910ELNS1_3gpuE8ELNS1_3repE0EEENS1_38merge_mergepath_config_static_selectorELNS0_4arch9wavefront6targetE1EEEvSF_
    .private_segment_fixed_size: 0
    .sgpr_count:     32
    .sgpr_spill_count: 0
    .symbol:         _ZN7rocprim17ROCPRIM_400000_NS6detail17trampoline_kernelINS0_14default_configENS1_38merge_sort_block_merge_config_selectorIfNS0_10empty_typeEEEZZNS1_27merge_sort_block_merge_implIS3_PfPS5_jNS1_19radix_merge_compareILb1ELb0EfNS0_19identity_decomposerEEEEE10hipError_tT0_T1_T2_jT3_P12ihipStream_tbPNSt15iterator_traitsISE_E10value_typeEPNSK_ISF_E10value_typeEPSG_NS1_7vsmem_tEENKUlT_SE_SF_SG_E_clIS8_S8_S9_S9_EESD_ST_SE_SF_SG_EUlST_E0_NS1_11comp_targetILNS1_3genE4ELNS1_11target_archE910ELNS1_3gpuE8ELNS1_3repE0EEENS1_38merge_mergepath_config_static_selectorELNS0_4arch9wavefront6targetE1EEEvSF_.kd
    .uniform_work_group_size: 1
    .uses_dynamic_stack: false
    .vgpr_count:     26
    .vgpr_spill_count: 0
    .wavefront_size: 64
  - .agpr_count:     0
    .args:
      - .offset:         0
        .size:           64
        .value_kind:     by_value
    .group_segment_fixed_size: 0
    .kernarg_segment_align: 8
    .kernarg_segment_size: 64
    .language:       OpenCL C
    .language_version:
      - 2
      - 0
    .max_flat_workgroup_size: 128
    .name:           _ZN7rocprim17ROCPRIM_400000_NS6detail17trampoline_kernelINS0_14default_configENS1_38merge_sort_block_merge_config_selectorIfNS0_10empty_typeEEEZZNS1_27merge_sort_block_merge_implIS3_PfPS5_jNS1_19radix_merge_compareILb1ELb0EfNS0_19identity_decomposerEEEEE10hipError_tT0_T1_T2_jT3_P12ihipStream_tbPNSt15iterator_traitsISE_E10value_typeEPNSK_ISF_E10value_typeEPSG_NS1_7vsmem_tEENKUlT_SE_SF_SG_E_clIS8_S8_S9_S9_EESD_ST_SE_SF_SG_EUlST_E0_NS1_11comp_targetILNS1_3genE3ELNS1_11target_archE908ELNS1_3gpuE7ELNS1_3repE0EEENS1_38merge_mergepath_config_static_selectorELNS0_4arch9wavefront6targetE1EEEvSF_
    .private_segment_fixed_size: 0
    .sgpr_count:     4
    .sgpr_spill_count: 0
    .symbol:         _ZN7rocprim17ROCPRIM_400000_NS6detail17trampoline_kernelINS0_14default_configENS1_38merge_sort_block_merge_config_selectorIfNS0_10empty_typeEEEZZNS1_27merge_sort_block_merge_implIS3_PfPS5_jNS1_19radix_merge_compareILb1ELb0EfNS0_19identity_decomposerEEEEE10hipError_tT0_T1_T2_jT3_P12ihipStream_tbPNSt15iterator_traitsISE_E10value_typeEPNSK_ISF_E10value_typeEPSG_NS1_7vsmem_tEENKUlT_SE_SF_SG_E_clIS8_S8_S9_S9_EESD_ST_SE_SF_SG_EUlST_E0_NS1_11comp_targetILNS1_3genE3ELNS1_11target_archE908ELNS1_3gpuE7ELNS1_3repE0EEENS1_38merge_mergepath_config_static_selectorELNS0_4arch9wavefront6targetE1EEEvSF_.kd
    .uniform_work_group_size: 1
    .uses_dynamic_stack: false
    .vgpr_count:     0
    .vgpr_spill_count: 0
    .wavefront_size: 64
  - .agpr_count:     0
    .args:
      - .offset:         0
        .size:           64
        .value_kind:     by_value
    .group_segment_fixed_size: 0
    .kernarg_segment_align: 8
    .kernarg_segment_size: 64
    .language:       OpenCL C
    .language_version:
      - 2
      - 0
    .max_flat_workgroup_size: 128
    .name:           _ZN7rocprim17ROCPRIM_400000_NS6detail17trampoline_kernelINS0_14default_configENS1_38merge_sort_block_merge_config_selectorIfNS0_10empty_typeEEEZZNS1_27merge_sort_block_merge_implIS3_PfPS5_jNS1_19radix_merge_compareILb1ELb0EfNS0_19identity_decomposerEEEEE10hipError_tT0_T1_T2_jT3_P12ihipStream_tbPNSt15iterator_traitsISE_E10value_typeEPNSK_ISF_E10value_typeEPSG_NS1_7vsmem_tEENKUlT_SE_SF_SG_E_clIS8_S8_S9_S9_EESD_ST_SE_SF_SG_EUlST_E0_NS1_11comp_targetILNS1_3genE2ELNS1_11target_archE906ELNS1_3gpuE6ELNS1_3repE0EEENS1_38merge_mergepath_config_static_selectorELNS0_4arch9wavefront6targetE1EEEvSF_
    .private_segment_fixed_size: 0
    .sgpr_count:     4
    .sgpr_spill_count: 0
    .symbol:         _ZN7rocprim17ROCPRIM_400000_NS6detail17trampoline_kernelINS0_14default_configENS1_38merge_sort_block_merge_config_selectorIfNS0_10empty_typeEEEZZNS1_27merge_sort_block_merge_implIS3_PfPS5_jNS1_19radix_merge_compareILb1ELb0EfNS0_19identity_decomposerEEEEE10hipError_tT0_T1_T2_jT3_P12ihipStream_tbPNSt15iterator_traitsISE_E10value_typeEPNSK_ISF_E10value_typeEPSG_NS1_7vsmem_tEENKUlT_SE_SF_SG_E_clIS8_S8_S9_S9_EESD_ST_SE_SF_SG_EUlST_E0_NS1_11comp_targetILNS1_3genE2ELNS1_11target_archE906ELNS1_3gpuE6ELNS1_3repE0EEENS1_38merge_mergepath_config_static_selectorELNS0_4arch9wavefront6targetE1EEEvSF_.kd
    .uniform_work_group_size: 1
    .uses_dynamic_stack: false
    .vgpr_count:     0
    .vgpr_spill_count: 0
    .wavefront_size: 64
  - .agpr_count:     0
    .args:
      - .offset:         0
        .size:           64
        .value_kind:     by_value
    .group_segment_fixed_size: 0
    .kernarg_segment_align: 8
    .kernarg_segment_size: 64
    .language:       OpenCL C
    .language_version:
      - 2
      - 0
    .max_flat_workgroup_size: 256
    .name:           _ZN7rocprim17ROCPRIM_400000_NS6detail17trampoline_kernelINS0_14default_configENS1_38merge_sort_block_merge_config_selectorIfNS0_10empty_typeEEEZZNS1_27merge_sort_block_merge_implIS3_PfPS5_jNS1_19radix_merge_compareILb1ELb0EfNS0_19identity_decomposerEEEEE10hipError_tT0_T1_T2_jT3_P12ihipStream_tbPNSt15iterator_traitsISE_E10value_typeEPNSK_ISF_E10value_typeEPSG_NS1_7vsmem_tEENKUlT_SE_SF_SG_E_clIS8_S8_S9_S9_EESD_ST_SE_SF_SG_EUlST_E0_NS1_11comp_targetILNS1_3genE9ELNS1_11target_archE1100ELNS1_3gpuE3ELNS1_3repE0EEENS1_38merge_mergepath_config_static_selectorELNS0_4arch9wavefront6targetE1EEEvSF_
    .private_segment_fixed_size: 0
    .sgpr_count:     4
    .sgpr_spill_count: 0
    .symbol:         _ZN7rocprim17ROCPRIM_400000_NS6detail17trampoline_kernelINS0_14default_configENS1_38merge_sort_block_merge_config_selectorIfNS0_10empty_typeEEEZZNS1_27merge_sort_block_merge_implIS3_PfPS5_jNS1_19radix_merge_compareILb1ELb0EfNS0_19identity_decomposerEEEEE10hipError_tT0_T1_T2_jT3_P12ihipStream_tbPNSt15iterator_traitsISE_E10value_typeEPNSK_ISF_E10value_typeEPSG_NS1_7vsmem_tEENKUlT_SE_SF_SG_E_clIS8_S8_S9_S9_EESD_ST_SE_SF_SG_EUlST_E0_NS1_11comp_targetILNS1_3genE9ELNS1_11target_archE1100ELNS1_3gpuE3ELNS1_3repE0EEENS1_38merge_mergepath_config_static_selectorELNS0_4arch9wavefront6targetE1EEEvSF_.kd
    .uniform_work_group_size: 1
    .uses_dynamic_stack: false
    .vgpr_count:     0
    .vgpr_spill_count: 0
    .wavefront_size: 64
  - .agpr_count:     0
    .args:
      - .offset:         0
        .size:           64
        .value_kind:     by_value
    .group_segment_fixed_size: 0
    .kernarg_segment_align: 8
    .kernarg_segment_size: 64
    .language:       OpenCL C
    .language_version:
      - 2
      - 0
    .max_flat_workgroup_size: 512
    .name:           _ZN7rocprim17ROCPRIM_400000_NS6detail17trampoline_kernelINS0_14default_configENS1_38merge_sort_block_merge_config_selectorIfNS0_10empty_typeEEEZZNS1_27merge_sort_block_merge_implIS3_PfPS5_jNS1_19radix_merge_compareILb1ELb0EfNS0_19identity_decomposerEEEEE10hipError_tT0_T1_T2_jT3_P12ihipStream_tbPNSt15iterator_traitsISE_E10value_typeEPNSK_ISF_E10value_typeEPSG_NS1_7vsmem_tEENKUlT_SE_SF_SG_E_clIS8_S8_S9_S9_EESD_ST_SE_SF_SG_EUlST_E0_NS1_11comp_targetILNS1_3genE8ELNS1_11target_archE1030ELNS1_3gpuE2ELNS1_3repE0EEENS1_38merge_mergepath_config_static_selectorELNS0_4arch9wavefront6targetE1EEEvSF_
    .private_segment_fixed_size: 0
    .sgpr_count:     4
    .sgpr_spill_count: 0
    .symbol:         _ZN7rocprim17ROCPRIM_400000_NS6detail17trampoline_kernelINS0_14default_configENS1_38merge_sort_block_merge_config_selectorIfNS0_10empty_typeEEEZZNS1_27merge_sort_block_merge_implIS3_PfPS5_jNS1_19radix_merge_compareILb1ELb0EfNS0_19identity_decomposerEEEEE10hipError_tT0_T1_T2_jT3_P12ihipStream_tbPNSt15iterator_traitsISE_E10value_typeEPNSK_ISF_E10value_typeEPSG_NS1_7vsmem_tEENKUlT_SE_SF_SG_E_clIS8_S8_S9_S9_EESD_ST_SE_SF_SG_EUlST_E0_NS1_11comp_targetILNS1_3genE8ELNS1_11target_archE1030ELNS1_3gpuE2ELNS1_3repE0EEENS1_38merge_mergepath_config_static_selectorELNS0_4arch9wavefront6targetE1EEEvSF_.kd
    .uniform_work_group_size: 1
    .uses_dynamic_stack: false
    .vgpr_count:     0
    .vgpr_spill_count: 0
    .wavefront_size: 64
  - .agpr_count:     0
    .args:
      - .offset:         0
        .size:           48
        .value_kind:     by_value
    .group_segment_fixed_size: 0
    .kernarg_segment_align: 8
    .kernarg_segment_size: 48
    .language:       OpenCL C
    .language_version:
      - 2
      - 0
    .max_flat_workgroup_size: 256
    .name:           _ZN7rocprim17ROCPRIM_400000_NS6detail17trampoline_kernelINS0_14default_configENS1_38merge_sort_block_merge_config_selectorIfNS0_10empty_typeEEEZZNS1_27merge_sort_block_merge_implIS3_PfPS5_jNS1_19radix_merge_compareILb1ELb0EfNS0_19identity_decomposerEEEEE10hipError_tT0_T1_T2_jT3_P12ihipStream_tbPNSt15iterator_traitsISE_E10value_typeEPNSK_ISF_E10value_typeEPSG_NS1_7vsmem_tEENKUlT_SE_SF_SG_E_clIS8_S8_S9_S9_EESD_ST_SE_SF_SG_EUlST_E1_NS1_11comp_targetILNS1_3genE0ELNS1_11target_archE4294967295ELNS1_3gpuE0ELNS1_3repE0EEENS1_36merge_oddeven_config_static_selectorELNS0_4arch9wavefront6targetE1EEEvSF_
    .private_segment_fixed_size: 0
    .sgpr_count:     4
    .sgpr_spill_count: 0
    .symbol:         _ZN7rocprim17ROCPRIM_400000_NS6detail17trampoline_kernelINS0_14default_configENS1_38merge_sort_block_merge_config_selectorIfNS0_10empty_typeEEEZZNS1_27merge_sort_block_merge_implIS3_PfPS5_jNS1_19radix_merge_compareILb1ELb0EfNS0_19identity_decomposerEEEEE10hipError_tT0_T1_T2_jT3_P12ihipStream_tbPNSt15iterator_traitsISE_E10value_typeEPNSK_ISF_E10value_typeEPSG_NS1_7vsmem_tEENKUlT_SE_SF_SG_E_clIS8_S8_S9_S9_EESD_ST_SE_SF_SG_EUlST_E1_NS1_11comp_targetILNS1_3genE0ELNS1_11target_archE4294967295ELNS1_3gpuE0ELNS1_3repE0EEENS1_36merge_oddeven_config_static_selectorELNS0_4arch9wavefront6targetE1EEEvSF_.kd
    .uniform_work_group_size: 1
    .uses_dynamic_stack: false
    .vgpr_count:     0
    .vgpr_spill_count: 0
    .wavefront_size: 64
  - .agpr_count:     0
    .args:
      - .offset:         0
        .size:           48
        .value_kind:     by_value
    .group_segment_fixed_size: 0
    .kernarg_segment_align: 8
    .kernarg_segment_size: 48
    .language:       OpenCL C
    .language_version:
      - 2
      - 0
    .max_flat_workgroup_size: 256
    .name:           _ZN7rocprim17ROCPRIM_400000_NS6detail17trampoline_kernelINS0_14default_configENS1_38merge_sort_block_merge_config_selectorIfNS0_10empty_typeEEEZZNS1_27merge_sort_block_merge_implIS3_PfPS5_jNS1_19radix_merge_compareILb1ELb0EfNS0_19identity_decomposerEEEEE10hipError_tT0_T1_T2_jT3_P12ihipStream_tbPNSt15iterator_traitsISE_E10value_typeEPNSK_ISF_E10value_typeEPSG_NS1_7vsmem_tEENKUlT_SE_SF_SG_E_clIS8_S8_S9_S9_EESD_ST_SE_SF_SG_EUlST_E1_NS1_11comp_targetILNS1_3genE10ELNS1_11target_archE1201ELNS1_3gpuE5ELNS1_3repE0EEENS1_36merge_oddeven_config_static_selectorELNS0_4arch9wavefront6targetE1EEEvSF_
    .private_segment_fixed_size: 0
    .sgpr_count:     4
    .sgpr_spill_count: 0
    .symbol:         _ZN7rocprim17ROCPRIM_400000_NS6detail17trampoline_kernelINS0_14default_configENS1_38merge_sort_block_merge_config_selectorIfNS0_10empty_typeEEEZZNS1_27merge_sort_block_merge_implIS3_PfPS5_jNS1_19radix_merge_compareILb1ELb0EfNS0_19identity_decomposerEEEEE10hipError_tT0_T1_T2_jT3_P12ihipStream_tbPNSt15iterator_traitsISE_E10value_typeEPNSK_ISF_E10value_typeEPSG_NS1_7vsmem_tEENKUlT_SE_SF_SG_E_clIS8_S8_S9_S9_EESD_ST_SE_SF_SG_EUlST_E1_NS1_11comp_targetILNS1_3genE10ELNS1_11target_archE1201ELNS1_3gpuE5ELNS1_3repE0EEENS1_36merge_oddeven_config_static_selectorELNS0_4arch9wavefront6targetE1EEEvSF_.kd
    .uniform_work_group_size: 1
    .uses_dynamic_stack: false
    .vgpr_count:     0
    .vgpr_spill_count: 0
    .wavefront_size: 64
  - .agpr_count:     0
    .args:
      - .offset:         0
        .size:           48
        .value_kind:     by_value
    .group_segment_fixed_size: 0
    .kernarg_segment_align: 8
    .kernarg_segment_size: 48
    .language:       OpenCL C
    .language_version:
      - 2
      - 0
    .max_flat_workgroup_size: 256
    .name:           _ZN7rocprim17ROCPRIM_400000_NS6detail17trampoline_kernelINS0_14default_configENS1_38merge_sort_block_merge_config_selectorIfNS0_10empty_typeEEEZZNS1_27merge_sort_block_merge_implIS3_PfPS5_jNS1_19radix_merge_compareILb1ELb0EfNS0_19identity_decomposerEEEEE10hipError_tT0_T1_T2_jT3_P12ihipStream_tbPNSt15iterator_traitsISE_E10value_typeEPNSK_ISF_E10value_typeEPSG_NS1_7vsmem_tEENKUlT_SE_SF_SG_E_clIS8_S8_S9_S9_EESD_ST_SE_SF_SG_EUlST_E1_NS1_11comp_targetILNS1_3genE5ELNS1_11target_archE942ELNS1_3gpuE9ELNS1_3repE0EEENS1_36merge_oddeven_config_static_selectorELNS0_4arch9wavefront6targetE1EEEvSF_
    .private_segment_fixed_size: 0
    .sgpr_count:     4
    .sgpr_spill_count: 0
    .symbol:         _ZN7rocprim17ROCPRIM_400000_NS6detail17trampoline_kernelINS0_14default_configENS1_38merge_sort_block_merge_config_selectorIfNS0_10empty_typeEEEZZNS1_27merge_sort_block_merge_implIS3_PfPS5_jNS1_19radix_merge_compareILb1ELb0EfNS0_19identity_decomposerEEEEE10hipError_tT0_T1_T2_jT3_P12ihipStream_tbPNSt15iterator_traitsISE_E10value_typeEPNSK_ISF_E10value_typeEPSG_NS1_7vsmem_tEENKUlT_SE_SF_SG_E_clIS8_S8_S9_S9_EESD_ST_SE_SF_SG_EUlST_E1_NS1_11comp_targetILNS1_3genE5ELNS1_11target_archE942ELNS1_3gpuE9ELNS1_3repE0EEENS1_36merge_oddeven_config_static_selectorELNS0_4arch9wavefront6targetE1EEEvSF_.kd
    .uniform_work_group_size: 1
    .uses_dynamic_stack: false
    .vgpr_count:     0
    .vgpr_spill_count: 0
    .wavefront_size: 64
  - .agpr_count:     0
    .args:
      - .offset:         0
        .size:           48
        .value_kind:     by_value
    .group_segment_fixed_size: 0
    .kernarg_segment_align: 8
    .kernarg_segment_size: 48
    .language:       OpenCL C
    .language_version:
      - 2
      - 0
    .max_flat_workgroup_size: 256
    .name:           _ZN7rocprim17ROCPRIM_400000_NS6detail17trampoline_kernelINS0_14default_configENS1_38merge_sort_block_merge_config_selectorIfNS0_10empty_typeEEEZZNS1_27merge_sort_block_merge_implIS3_PfPS5_jNS1_19radix_merge_compareILb1ELb0EfNS0_19identity_decomposerEEEEE10hipError_tT0_T1_T2_jT3_P12ihipStream_tbPNSt15iterator_traitsISE_E10value_typeEPNSK_ISF_E10value_typeEPSG_NS1_7vsmem_tEENKUlT_SE_SF_SG_E_clIS8_S8_S9_S9_EESD_ST_SE_SF_SG_EUlST_E1_NS1_11comp_targetILNS1_3genE4ELNS1_11target_archE910ELNS1_3gpuE8ELNS1_3repE0EEENS1_36merge_oddeven_config_static_selectorELNS0_4arch9wavefront6targetE1EEEvSF_
    .private_segment_fixed_size: 0
    .sgpr_count:     25
    .sgpr_spill_count: 0
    .symbol:         _ZN7rocprim17ROCPRIM_400000_NS6detail17trampoline_kernelINS0_14default_configENS1_38merge_sort_block_merge_config_selectorIfNS0_10empty_typeEEEZZNS1_27merge_sort_block_merge_implIS3_PfPS5_jNS1_19radix_merge_compareILb1ELb0EfNS0_19identity_decomposerEEEEE10hipError_tT0_T1_T2_jT3_P12ihipStream_tbPNSt15iterator_traitsISE_E10value_typeEPNSK_ISF_E10value_typeEPSG_NS1_7vsmem_tEENKUlT_SE_SF_SG_E_clIS8_S8_S9_S9_EESD_ST_SE_SF_SG_EUlST_E1_NS1_11comp_targetILNS1_3genE4ELNS1_11target_archE910ELNS1_3gpuE8ELNS1_3repE0EEENS1_36merge_oddeven_config_static_selectorELNS0_4arch9wavefront6targetE1EEEvSF_.kd
    .uniform_work_group_size: 1
    .uses_dynamic_stack: false
    .vgpr_count:     11
    .vgpr_spill_count: 0
    .wavefront_size: 64
  - .agpr_count:     0
    .args:
      - .offset:         0
        .size:           48
        .value_kind:     by_value
    .group_segment_fixed_size: 0
    .kernarg_segment_align: 8
    .kernarg_segment_size: 48
    .language:       OpenCL C
    .language_version:
      - 2
      - 0
    .max_flat_workgroup_size: 256
    .name:           _ZN7rocprim17ROCPRIM_400000_NS6detail17trampoline_kernelINS0_14default_configENS1_38merge_sort_block_merge_config_selectorIfNS0_10empty_typeEEEZZNS1_27merge_sort_block_merge_implIS3_PfPS5_jNS1_19radix_merge_compareILb1ELb0EfNS0_19identity_decomposerEEEEE10hipError_tT0_T1_T2_jT3_P12ihipStream_tbPNSt15iterator_traitsISE_E10value_typeEPNSK_ISF_E10value_typeEPSG_NS1_7vsmem_tEENKUlT_SE_SF_SG_E_clIS8_S8_S9_S9_EESD_ST_SE_SF_SG_EUlST_E1_NS1_11comp_targetILNS1_3genE3ELNS1_11target_archE908ELNS1_3gpuE7ELNS1_3repE0EEENS1_36merge_oddeven_config_static_selectorELNS0_4arch9wavefront6targetE1EEEvSF_
    .private_segment_fixed_size: 0
    .sgpr_count:     4
    .sgpr_spill_count: 0
    .symbol:         _ZN7rocprim17ROCPRIM_400000_NS6detail17trampoline_kernelINS0_14default_configENS1_38merge_sort_block_merge_config_selectorIfNS0_10empty_typeEEEZZNS1_27merge_sort_block_merge_implIS3_PfPS5_jNS1_19radix_merge_compareILb1ELb0EfNS0_19identity_decomposerEEEEE10hipError_tT0_T1_T2_jT3_P12ihipStream_tbPNSt15iterator_traitsISE_E10value_typeEPNSK_ISF_E10value_typeEPSG_NS1_7vsmem_tEENKUlT_SE_SF_SG_E_clIS8_S8_S9_S9_EESD_ST_SE_SF_SG_EUlST_E1_NS1_11comp_targetILNS1_3genE3ELNS1_11target_archE908ELNS1_3gpuE7ELNS1_3repE0EEENS1_36merge_oddeven_config_static_selectorELNS0_4arch9wavefront6targetE1EEEvSF_.kd
    .uniform_work_group_size: 1
    .uses_dynamic_stack: false
    .vgpr_count:     0
    .vgpr_spill_count: 0
    .wavefront_size: 64
  - .agpr_count:     0
    .args:
      - .offset:         0
        .size:           48
        .value_kind:     by_value
    .group_segment_fixed_size: 0
    .kernarg_segment_align: 8
    .kernarg_segment_size: 48
    .language:       OpenCL C
    .language_version:
      - 2
      - 0
    .max_flat_workgroup_size: 256
    .name:           _ZN7rocprim17ROCPRIM_400000_NS6detail17trampoline_kernelINS0_14default_configENS1_38merge_sort_block_merge_config_selectorIfNS0_10empty_typeEEEZZNS1_27merge_sort_block_merge_implIS3_PfPS5_jNS1_19radix_merge_compareILb1ELb0EfNS0_19identity_decomposerEEEEE10hipError_tT0_T1_T2_jT3_P12ihipStream_tbPNSt15iterator_traitsISE_E10value_typeEPNSK_ISF_E10value_typeEPSG_NS1_7vsmem_tEENKUlT_SE_SF_SG_E_clIS8_S8_S9_S9_EESD_ST_SE_SF_SG_EUlST_E1_NS1_11comp_targetILNS1_3genE2ELNS1_11target_archE906ELNS1_3gpuE6ELNS1_3repE0EEENS1_36merge_oddeven_config_static_selectorELNS0_4arch9wavefront6targetE1EEEvSF_
    .private_segment_fixed_size: 0
    .sgpr_count:     4
    .sgpr_spill_count: 0
    .symbol:         _ZN7rocprim17ROCPRIM_400000_NS6detail17trampoline_kernelINS0_14default_configENS1_38merge_sort_block_merge_config_selectorIfNS0_10empty_typeEEEZZNS1_27merge_sort_block_merge_implIS3_PfPS5_jNS1_19radix_merge_compareILb1ELb0EfNS0_19identity_decomposerEEEEE10hipError_tT0_T1_T2_jT3_P12ihipStream_tbPNSt15iterator_traitsISE_E10value_typeEPNSK_ISF_E10value_typeEPSG_NS1_7vsmem_tEENKUlT_SE_SF_SG_E_clIS8_S8_S9_S9_EESD_ST_SE_SF_SG_EUlST_E1_NS1_11comp_targetILNS1_3genE2ELNS1_11target_archE906ELNS1_3gpuE6ELNS1_3repE0EEENS1_36merge_oddeven_config_static_selectorELNS0_4arch9wavefront6targetE1EEEvSF_.kd
    .uniform_work_group_size: 1
    .uses_dynamic_stack: false
    .vgpr_count:     0
    .vgpr_spill_count: 0
    .wavefront_size: 64
  - .agpr_count:     0
    .args:
      - .offset:         0
        .size:           48
        .value_kind:     by_value
    .group_segment_fixed_size: 0
    .kernarg_segment_align: 8
    .kernarg_segment_size: 48
    .language:       OpenCL C
    .language_version:
      - 2
      - 0
    .max_flat_workgroup_size: 256
    .name:           _ZN7rocprim17ROCPRIM_400000_NS6detail17trampoline_kernelINS0_14default_configENS1_38merge_sort_block_merge_config_selectorIfNS0_10empty_typeEEEZZNS1_27merge_sort_block_merge_implIS3_PfPS5_jNS1_19radix_merge_compareILb1ELb0EfNS0_19identity_decomposerEEEEE10hipError_tT0_T1_T2_jT3_P12ihipStream_tbPNSt15iterator_traitsISE_E10value_typeEPNSK_ISF_E10value_typeEPSG_NS1_7vsmem_tEENKUlT_SE_SF_SG_E_clIS8_S8_S9_S9_EESD_ST_SE_SF_SG_EUlST_E1_NS1_11comp_targetILNS1_3genE9ELNS1_11target_archE1100ELNS1_3gpuE3ELNS1_3repE0EEENS1_36merge_oddeven_config_static_selectorELNS0_4arch9wavefront6targetE1EEEvSF_
    .private_segment_fixed_size: 0
    .sgpr_count:     4
    .sgpr_spill_count: 0
    .symbol:         _ZN7rocprim17ROCPRIM_400000_NS6detail17trampoline_kernelINS0_14default_configENS1_38merge_sort_block_merge_config_selectorIfNS0_10empty_typeEEEZZNS1_27merge_sort_block_merge_implIS3_PfPS5_jNS1_19radix_merge_compareILb1ELb0EfNS0_19identity_decomposerEEEEE10hipError_tT0_T1_T2_jT3_P12ihipStream_tbPNSt15iterator_traitsISE_E10value_typeEPNSK_ISF_E10value_typeEPSG_NS1_7vsmem_tEENKUlT_SE_SF_SG_E_clIS8_S8_S9_S9_EESD_ST_SE_SF_SG_EUlST_E1_NS1_11comp_targetILNS1_3genE9ELNS1_11target_archE1100ELNS1_3gpuE3ELNS1_3repE0EEENS1_36merge_oddeven_config_static_selectorELNS0_4arch9wavefront6targetE1EEEvSF_.kd
    .uniform_work_group_size: 1
    .uses_dynamic_stack: false
    .vgpr_count:     0
    .vgpr_spill_count: 0
    .wavefront_size: 64
  - .agpr_count:     0
    .args:
      - .offset:         0
        .size:           48
        .value_kind:     by_value
    .group_segment_fixed_size: 0
    .kernarg_segment_align: 8
    .kernarg_segment_size: 48
    .language:       OpenCL C
    .language_version:
      - 2
      - 0
    .max_flat_workgroup_size: 256
    .name:           _ZN7rocprim17ROCPRIM_400000_NS6detail17trampoline_kernelINS0_14default_configENS1_38merge_sort_block_merge_config_selectorIfNS0_10empty_typeEEEZZNS1_27merge_sort_block_merge_implIS3_PfPS5_jNS1_19radix_merge_compareILb1ELb0EfNS0_19identity_decomposerEEEEE10hipError_tT0_T1_T2_jT3_P12ihipStream_tbPNSt15iterator_traitsISE_E10value_typeEPNSK_ISF_E10value_typeEPSG_NS1_7vsmem_tEENKUlT_SE_SF_SG_E_clIS8_S8_S9_S9_EESD_ST_SE_SF_SG_EUlST_E1_NS1_11comp_targetILNS1_3genE8ELNS1_11target_archE1030ELNS1_3gpuE2ELNS1_3repE0EEENS1_36merge_oddeven_config_static_selectorELNS0_4arch9wavefront6targetE1EEEvSF_
    .private_segment_fixed_size: 0
    .sgpr_count:     4
    .sgpr_spill_count: 0
    .symbol:         _ZN7rocprim17ROCPRIM_400000_NS6detail17trampoline_kernelINS0_14default_configENS1_38merge_sort_block_merge_config_selectorIfNS0_10empty_typeEEEZZNS1_27merge_sort_block_merge_implIS3_PfPS5_jNS1_19radix_merge_compareILb1ELb0EfNS0_19identity_decomposerEEEEE10hipError_tT0_T1_T2_jT3_P12ihipStream_tbPNSt15iterator_traitsISE_E10value_typeEPNSK_ISF_E10value_typeEPSG_NS1_7vsmem_tEENKUlT_SE_SF_SG_E_clIS8_S8_S9_S9_EESD_ST_SE_SF_SG_EUlST_E1_NS1_11comp_targetILNS1_3genE8ELNS1_11target_archE1030ELNS1_3gpuE2ELNS1_3repE0EEENS1_36merge_oddeven_config_static_selectorELNS0_4arch9wavefront6targetE1EEEvSF_.kd
    .uniform_work_group_size: 1
    .uses_dynamic_stack: false
    .vgpr_count:     0
    .vgpr_spill_count: 0
    .wavefront_size: 64
  - .agpr_count:     0
    .args:
      - .offset:         0
        .size:           48
        .value_kind:     by_value
    .group_segment_fixed_size: 0
    .kernarg_segment_align: 8
    .kernarg_segment_size: 48
    .language:       OpenCL C
    .language_version:
      - 2
      - 0
    .max_flat_workgroup_size: 512
    .name:           _ZN7rocprim17ROCPRIM_400000_NS6detail17trampoline_kernelINS0_14default_configENS1_35radix_sort_onesweep_config_selectorIfNS0_10empty_typeEEEZNS1_34radix_sort_onesweep_global_offsetsIS3_Lb1EPfPS5_mNS0_19identity_decomposerEEE10hipError_tT1_T2_PT3_SE_jT4_jjP12ihipStream_tbEUlT_E_NS1_11comp_targetILNS1_3genE0ELNS1_11target_archE4294967295ELNS1_3gpuE0ELNS1_3repE0EEENS1_52radix_sort_onesweep_histogram_config_static_selectorELNS0_4arch9wavefront6targetE1EEEvSC_
    .private_segment_fixed_size: 0
    .sgpr_count:     4
    .sgpr_spill_count: 0
    .symbol:         _ZN7rocprim17ROCPRIM_400000_NS6detail17trampoline_kernelINS0_14default_configENS1_35radix_sort_onesweep_config_selectorIfNS0_10empty_typeEEEZNS1_34radix_sort_onesweep_global_offsetsIS3_Lb1EPfPS5_mNS0_19identity_decomposerEEE10hipError_tT1_T2_PT3_SE_jT4_jjP12ihipStream_tbEUlT_E_NS1_11comp_targetILNS1_3genE0ELNS1_11target_archE4294967295ELNS1_3gpuE0ELNS1_3repE0EEENS1_52radix_sort_onesweep_histogram_config_static_selectorELNS0_4arch9wavefront6targetE1EEEvSC_.kd
    .uniform_work_group_size: 1
    .uses_dynamic_stack: false
    .vgpr_count:     0
    .vgpr_spill_count: 0
    .wavefront_size: 64
  - .agpr_count:     0
    .args:
      - .offset:         0
        .size:           48
        .value_kind:     by_value
    .group_segment_fixed_size: 0
    .kernarg_segment_align: 8
    .kernarg_segment_size: 48
    .language:       OpenCL C
    .language_version:
      - 2
      - 0
    .max_flat_workgroup_size: 1024
    .name:           _ZN7rocprim17ROCPRIM_400000_NS6detail17trampoline_kernelINS0_14default_configENS1_35radix_sort_onesweep_config_selectorIfNS0_10empty_typeEEEZNS1_34radix_sort_onesweep_global_offsetsIS3_Lb1EPfPS5_mNS0_19identity_decomposerEEE10hipError_tT1_T2_PT3_SE_jT4_jjP12ihipStream_tbEUlT_E_NS1_11comp_targetILNS1_3genE6ELNS1_11target_archE950ELNS1_3gpuE13ELNS1_3repE0EEENS1_52radix_sort_onesweep_histogram_config_static_selectorELNS0_4arch9wavefront6targetE1EEEvSC_
    .private_segment_fixed_size: 0
    .sgpr_count:     4
    .sgpr_spill_count: 0
    .symbol:         _ZN7rocprim17ROCPRIM_400000_NS6detail17trampoline_kernelINS0_14default_configENS1_35radix_sort_onesweep_config_selectorIfNS0_10empty_typeEEEZNS1_34radix_sort_onesweep_global_offsetsIS3_Lb1EPfPS5_mNS0_19identity_decomposerEEE10hipError_tT1_T2_PT3_SE_jT4_jjP12ihipStream_tbEUlT_E_NS1_11comp_targetILNS1_3genE6ELNS1_11target_archE950ELNS1_3gpuE13ELNS1_3repE0EEENS1_52radix_sort_onesweep_histogram_config_static_selectorELNS0_4arch9wavefront6targetE1EEEvSC_.kd
    .uniform_work_group_size: 1
    .uses_dynamic_stack: false
    .vgpr_count:     0
    .vgpr_spill_count: 0
    .wavefront_size: 64
  - .agpr_count:     0
    .args:
      - .offset:         0
        .size:           48
        .value_kind:     by_value
    .group_segment_fixed_size: 0
    .kernarg_segment_align: 8
    .kernarg_segment_size: 48
    .language:       OpenCL C
    .language_version:
      - 2
      - 0
    .max_flat_workgroup_size: 1024
    .name:           _ZN7rocprim17ROCPRIM_400000_NS6detail17trampoline_kernelINS0_14default_configENS1_35radix_sort_onesweep_config_selectorIfNS0_10empty_typeEEEZNS1_34radix_sort_onesweep_global_offsetsIS3_Lb1EPfPS5_mNS0_19identity_decomposerEEE10hipError_tT1_T2_PT3_SE_jT4_jjP12ihipStream_tbEUlT_E_NS1_11comp_targetILNS1_3genE5ELNS1_11target_archE942ELNS1_3gpuE9ELNS1_3repE0EEENS1_52radix_sort_onesweep_histogram_config_static_selectorELNS0_4arch9wavefront6targetE1EEEvSC_
    .private_segment_fixed_size: 0
    .sgpr_count:     4
    .sgpr_spill_count: 0
    .symbol:         _ZN7rocprim17ROCPRIM_400000_NS6detail17trampoline_kernelINS0_14default_configENS1_35radix_sort_onesweep_config_selectorIfNS0_10empty_typeEEEZNS1_34radix_sort_onesweep_global_offsetsIS3_Lb1EPfPS5_mNS0_19identity_decomposerEEE10hipError_tT1_T2_PT3_SE_jT4_jjP12ihipStream_tbEUlT_E_NS1_11comp_targetILNS1_3genE5ELNS1_11target_archE942ELNS1_3gpuE9ELNS1_3repE0EEENS1_52radix_sort_onesweep_histogram_config_static_selectorELNS0_4arch9wavefront6targetE1EEEvSC_.kd
    .uniform_work_group_size: 1
    .uses_dynamic_stack: false
    .vgpr_count:     0
    .vgpr_spill_count: 0
    .wavefront_size: 64
  - .agpr_count:     0
    .args:
      - .offset:         0
        .size:           48
        .value_kind:     by_value
    .group_segment_fixed_size: 0
    .kernarg_segment_align: 8
    .kernarg_segment_size: 48
    .language:       OpenCL C
    .language_version:
      - 2
      - 0
    .max_flat_workgroup_size: 512
    .name:           _ZN7rocprim17ROCPRIM_400000_NS6detail17trampoline_kernelINS0_14default_configENS1_35radix_sort_onesweep_config_selectorIfNS0_10empty_typeEEEZNS1_34radix_sort_onesweep_global_offsetsIS3_Lb1EPfPS5_mNS0_19identity_decomposerEEE10hipError_tT1_T2_PT3_SE_jT4_jjP12ihipStream_tbEUlT_E_NS1_11comp_targetILNS1_3genE2ELNS1_11target_archE906ELNS1_3gpuE6ELNS1_3repE0EEENS1_52radix_sort_onesweep_histogram_config_static_selectorELNS0_4arch9wavefront6targetE1EEEvSC_
    .private_segment_fixed_size: 0
    .sgpr_count:     4
    .sgpr_spill_count: 0
    .symbol:         _ZN7rocprim17ROCPRIM_400000_NS6detail17trampoline_kernelINS0_14default_configENS1_35radix_sort_onesweep_config_selectorIfNS0_10empty_typeEEEZNS1_34radix_sort_onesweep_global_offsetsIS3_Lb1EPfPS5_mNS0_19identity_decomposerEEE10hipError_tT1_T2_PT3_SE_jT4_jjP12ihipStream_tbEUlT_E_NS1_11comp_targetILNS1_3genE2ELNS1_11target_archE906ELNS1_3gpuE6ELNS1_3repE0EEENS1_52radix_sort_onesweep_histogram_config_static_selectorELNS0_4arch9wavefront6targetE1EEEvSC_.kd
    .uniform_work_group_size: 1
    .uses_dynamic_stack: false
    .vgpr_count:     0
    .vgpr_spill_count: 0
    .wavefront_size: 64
  - .agpr_count:     0
    .args:
      - .offset:         0
        .size:           48
        .value_kind:     by_value
    .group_segment_fixed_size: 16384
    .kernarg_segment_align: 8
    .kernarg_segment_size: 48
    .language:       OpenCL C
    .language_version:
      - 2
      - 0
    .max_flat_workgroup_size: 1024
    .name:           _ZN7rocprim17ROCPRIM_400000_NS6detail17trampoline_kernelINS0_14default_configENS1_35radix_sort_onesweep_config_selectorIfNS0_10empty_typeEEEZNS1_34radix_sort_onesweep_global_offsetsIS3_Lb1EPfPS5_mNS0_19identity_decomposerEEE10hipError_tT1_T2_PT3_SE_jT4_jjP12ihipStream_tbEUlT_E_NS1_11comp_targetILNS1_3genE4ELNS1_11target_archE910ELNS1_3gpuE8ELNS1_3repE0EEENS1_52radix_sort_onesweep_histogram_config_static_selectorELNS0_4arch9wavefront6targetE1EEEvSC_
    .private_segment_fixed_size: 0
    .sgpr_count:     22
    .sgpr_spill_count: 0
    .symbol:         _ZN7rocprim17ROCPRIM_400000_NS6detail17trampoline_kernelINS0_14default_configENS1_35radix_sort_onesweep_config_selectorIfNS0_10empty_typeEEEZNS1_34radix_sort_onesweep_global_offsetsIS3_Lb1EPfPS5_mNS0_19identity_decomposerEEE10hipError_tT1_T2_PT3_SE_jT4_jjP12ihipStream_tbEUlT_E_NS1_11comp_targetILNS1_3genE4ELNS1_11target_archE910ELNS1_3gpuE8ELNS1_3repE0EEENS1_52radix_sort_onesweep_histogram_config_static_selectorELNS0_4arch9wavefront6targetE1EEEvSC_.kd
    .uniform_work_group_size: 1
    .uses_dynamic_stack: false
    .vgpr_count:     27
    .vgpr_spill_count: 0
    .wavefront_size: 64
  - .agpr_count:     0
    .args:
      - .offset:         0
        .size:           48
        .value_kind:     by_value
    .group_segment_fixed_size: 0
    .kernarg_segment_align: 8
    .kernarg_segment_size: 48
    .language:       OpenCL C
    .language_version:
      - 2
      - 0
    .max_flat_workgroup_size: 512
    .name:           _ZN7rocprim17ROCPRIM_400000_NS6detail17trampoline_kernelINS0_14default_configENS1_35radix_sort_onesweep_config_selectorIfNS0_10empty_typeEEEZNS1_34radix_sort_onesweep_global_offsetsIS3_Lb1EPfPS5_mNS0_19identity_decomposerEEE10hipError_tT1_T2_PT3_SE_jT4_jjP12ihipStream_tbEUlT_E_NS1_11comp_targetILNS1_3genE3ELNS1_11target_archE908ELNS1_3gpuE7ELNS1_3repE0EEENS1_52radix_sort_onesweep_histogram_config_static_selectorELNS0_4arch9wavefront6targetE1EEEvSC_
    .private_segment_fixed_size: 0
    .sgpr_count:     4
    .sgpr_spill_count: 0
    .symbol:         _ZN7rocprim17ROCPRIM_400000_NS6detail17trampoline_kernelINS0_14default_configENS1_35radix_sort_onesweep_config_selectorIfNS0_10empty_typeEEEZNS1_34radix_sort_onesweep_global_offsetsIS3_Lb1EPfPS5_mNS0_19identity_decomposerEEE10hipError_tT1_T2_PT3_SE_jT4_jjP12ihipStream_tbEUlT_E_NS1_11comp_targetILNS1_3genE3ELNS1_11target_archE908ELNS1_3gpuE7ELNS1_3repE0EEENS1_52radix_sort_onesweep_histogram_config_static_selectorELNS0_4arch9wavefront6targetE1EEEvSC_.kd
    .uniform_work_group_size: 1
    .uses_dynamic_stack: false
    .vgpr_count:     0
    .vgpr_spill_count: 0
    .wavefront_size: 64
  - .agpr_count:     0
    .args:
      - .offset:         0
        .size:           48
        .value_kind:     by_value
    .group_segment_fixed_size: 0
    .kernarg_segment_align: 8
    .kernarg_segment_size: 48
    .language:       OpenCL C
    .language_version:
      - 2
      - 0
    .max_flat_workgroup_size: 512
    .name:           _ZN7rocprim17ROCPRIM_400000_NS6detail17trampoline_kernelINS0_14default_configENS1_35radix_sort_onesweep_config_selectorIfNS0_10empty_typeEEEZNS1_34radix_sort_onesweep_global_offsetsIS3_Lb1EPfPS5_mNS0_19identity_decomposerEEE10hipError_tT1_T2_PT3_SE_jT4_jjP12ihipStream_tbEUlT_E_NS1_11comp_targetILNS1_3genE10ELNS1_11target_archE1201ELNS1_3gpuE5ELNS1_3repE0EEENS1_52radix_sort_onesweep_histogram_config_static_selectorELNS0_4arch9wavefront6targetE1EEEvSC_
    .private_segment_fixed_size: 0
    .sgpr_count:     4
    .sgpr_spill_count: 0
    .symbol:         _ZN7rocprim17ROCPRIM_400000_NS6detail17trampoline_kernelINS0_14default_configENS1_35radix_sort_onesweep_config_selectorIfNS0_10empty_typeEEEZNS1_34radix_sort_onesweep_global_offsetsIS3_Lb1EPfPS5_mNS0_19identity_decomposerEEE10hipError_tT1_T2_PT3_SE_jT4_jjP12ihipStream_tbEUlT_E_NS1_11comp_targetILNS1_3genE10ELNS1_11target_archE1201ELNS1_3gpuE5ELNS1_3repE0EEENS1_52radix_sort_onesweep_histogram_config_static_selectorELNS0_4arch9wavefront6targetE1EEEvSC_.kd
    .uniform_work_group_size: 1
    .uses_dynamic_stack: false
    .vgpr_count:     0
    .vgpr_spill_count: 0
    .wavefront_size: 64
  - .agpr_count:     0
    .args:
      - .offset:         0
        .size:           48
        .value_kind:     by_value
    .group_segment_fixed_size: 0
    .kernarg_segment_align: 8
    .kernarg_segment_size: 48
    .language:       OpenCL C
    .language_version:
      - 2
      - 0
    .max_flat_workgroup_size: 1024
    .name:           _ZN7rocprim17ROCPRIM_400000_NS6detail17trampoline_kernelINS0_14default_configENS1_35radix_sort_onesweep_config_selectorIfNS0_10empty_typeEEEZNS1_34radix_sort_onesweep_global_offsetsIS3_Lb1EPfPS5_mNS0_19identity_decomposerEEE10hipError_tT1_T2_PT3_SE_jT4_jjP12ihipStream_tbEUlT_E_NS1_11comp_targetILNS1_3genE9ELNS1_11target_archE1100ELNS1_3gpuE3ELNS1_3repE0EEENS1_52radix_sort_onesweep_histogram_config_static_selectorELNS0_4arch9wavefront6targetE1EEEvSC_
    .private_segment_fixed_size: 0
    .sgpr_count:     4
    .sgpr_spill_count: 0
    .symbol:         _ZN7rocprim17ROCPRIM_400000_NS6detail17trampoline_kernelINS0_14default_configENS1_35radix_sort_onesweep_config_selectorIfNS0_10empty_typeEEEZNS1_34radix_sort_onesweep_global_offsetsIS3_Lb1EPfPS5_mNS0_19identity_decomposerEEE10hipError_tT1_T2_PT3_SE_jT4_jjP12ihipStream_tbEUlT_E_NS1_11comp_targetILNS1_3genE9ELNS1_11target_archE1100ELNS1_3gpuE3ELNS1_3repE0EEENS1_52radix_sort_onesweep_histogram_config_static_selectorELNS0_4arch9wavefront6targetE1EEEvSC_.kd
    .uniform_work_group_size: 1
    .uses_dynamic_stack: false
    .vgpr_count:     0
    .vgpr_spill_count: 0
    .wavefront_size: 64
  - .agpr_count:     0
    .args:
      - .offset:         0
        .size:           48
        .value_kind:     by_value
    .group_segment_fixed_size: 0
    .kernarg_segment_align: 8
    .kernarg_segment_size: 48
    .language:       OpenCL C
    .language_version:
      - 2
      - 0
    .max_flat_workgroup_size: 1024
    .name:           _ZN7rocprim17ROCPRIM_400000_NS6detail17trampoline_kernelINS0_14default_configENS1_35radix_sort_onesweep_config_selectorIfNS0_10empty_typeEEEZNS1_34radix_sort_onesweep_global_offsetsIS3_Lb1EPfPS5_mNS0_19identity_decomposerEEE10hipError_tT1_T2_PT3_SE_jT4_jjP12ihipStream_tbEUlT_E_NS1_11comp_targetILNS1_3genE8ELNS1_11target_archE1030ELNS1_3gpuE2ELNS1_3repE0EEENS1_52radix_sort_onesweep_histogram_config_static_selectorELNS0_4arch9wavefront6targetE1EEEvSC_
    .private_segment_fixed_size: 0
    .sgpr_count:     4
    .sgpr_spill_count: 0
    .symbol:         _ZN7rocprim17ROCPRIM_400000_NS6detail17trampoline_kernelINS0_14default_configENS1_35radix_sort_onesweep_config_selectorIfNS0_10empty_typeEEEZNS1_34radix_sort_onesweep_global_offsetsIS3_Lb1EPfPS5_mNS0_19identity_decomposerEEE10hipError_tT1_T2_PT3_SE_jT4_jjP12ihipStream_tbEUlT_E_NS1_11comp_targetILNS1_3genE8ELNS1_11target_archE1030ELNS1_3gpuE2ELNS1_3repE0EEENS1_52radix_sort_onesweep_histogram_config_static_selectorELNS0_4arch9wavefront6targetE1EEEvSC_.kd
    .uniform_work_group_size: 1
    .uses_dynamic_stack: false
    .vgpr_count:     0
    .vgpr_spill_count: 0
    .wavefront_size: 64
  - .agpr_count:     0
    .args:
      - .address_space:  global
        .offset:         0
        .size:           8
        .value_kind:     global_buffer
    .group_segment_fixed_size: 0
    .kernarg_segment_align: 8
    .kernarg_segment_size: 8
    .language:       OpenCL C
    .language_version:
      - 2
      - 0
    .max_flat_workgroup_size: 512
    .name:           _ZN7rocprim17ROCPRIM_400000_NS6detail17trampoline_kernelINS0_14default_configENS1_35radix_sort_onesweep_config_selectorIfNS0_10empty_typeEEEZNS1_34radix_sort_onesweep_global_offsetsIS3_Lb1EPfPS5_mNS0_19identity_decomposerEEE10hipError_tT1_T2_PT3_SE_jT4_jjP12ihipStream_tbEUlT_E0_NS1_11comp_targetILNS1_3genE0ELNS1_11target_archE4294967295ELNS1_3gpuE0ELNS1_3repE0EEENS1_52radix_sort_onesweep_histogram_config_static_selectorELNS0_4arch9wavefront6targetE1EEEvSC_
    .private_segment_fixed_size: 0
    .sgpr_count:     4
    .sgpr_spill_count: 0
    .symbol:         _ZN7rocprim17ROCPRIM_400000_NS6detail17trampoline_kernelINS0_14default_configENS1_35radix_sort_onesweep_config_selectorIfNS0_10empty_typeEEEZNS1_34radix_sort_onesweep_global_offsetsIS3_Lb1EPfPS5_mNS0_19identity_decomposerEEE10hipError_tT1_T2_PT3_SE_jT4_jjP12ihipStream_tbEUlT_E0_NS1_11comp_targetILNS1_3genE0ELNS1_11target_archE4294967295ELNS1_3gpuE0ELNS1_3repE0EEENS1_52radix_sort_onesweep_histogram_config_static_selectorELNS0_4arch9wavefront6targetE1EEEvSC_.kd
    .uniform_work_group_size: 1
    .uses_dynamic_stack: false
    .vgpr_count:     0
    .vgpr_spill_count: 0
    .wavefront_size: 64
  - .agpr_count:     0
    .args:
      - .address_space:  global
        .offset:         0
        .size:           8
        .value_kind:     global_buffer
    .group_segment_fixed_size: 0
    .kernarg_segment_align: 8
    .kernarg_segment_size: 8
    .language:       OpenCL C
    .language_version:
      - 2
      - 0
    .max_flat_workgroup_size: 1024
    .name:           _ZN7rocprim17ROCPRIM_400000_NS6detail17trampoline_kernelINS0_14default_configENS1_35radix_sort_onesweep_config_selectorIfNS0_10empty_typeEEEZNS1_34radix_sort_onesweep_global_offsetsIS3_Lb1EPfPS5_mNS0_19identity_decomposerEEE10hipError_tT1_T2_PT3_SE_jT4_jjP12ihipStream_tbEUlT_E0_NS1_11comp_targetILNS1_3genE6ELNS1_11target_archE950ELNS1_3gpuE13ELNS1_3repE0EEENS1_52radix_sort_onesweep_histogram_config_static_selectorELNS0_4arch9wavefront6targetE1EEEvSC_
    .private_segment_fixed_size: 0
    .sgpr_count:     4
    .sgpr_spill_count: 0
    .symbol:         _ZN7rocprim17ROCPRIM_400000_NS6detail17trampoline_kernelINS0_14default_configENS1_35radix_sort_onesweep_config_selectorIfNS0_10empty_typeEEEZNS1_34radix_sort_onesweep_global_offsetsIS3_Lb1EPfPS5_mNS0_19identity_decomposerEEE10hipError_tT1_T2_PT3_SE_jT4_jjP12ihipStream_tbEUlT_E0_NS1_11comp_targetILNS1_3genE6ELNS1_11target_archE950ELNS1_3gpuE13ELNS1_3repE0EEENS1_52radix_sort_onesweep_histogram_config_static_selectorELNS0_4arch9wavefront6targetE1EEEvSC_.kd
    .uniform_work_group_size: 1
    .uses_dynamic_stack: false
    .vgpr_count:     0
    .vgpr_spill_count: 0
    .wavefront_size: 64
  - .agpr_count:     0
    .args:
      - .address_space:  global
        .offset:         0
        .size:           8
        .value_kind:     global_buffer
    .group_segment_fixed_size: 0
    .kernarg_segment_align: 8
    .kernarg_segment_size: 8
    .language:       OpenCL C
    .language_version:
      - 2
      - 0
    .max_flat_workgroup_size: 1024
    .name:           _ZN7rocprim17ROCPRIM_400000_NS6detail17trampoline_kernelINS0_14default_configENS1_35radix_sort_onesweep_config_selectorIfNS0_10empty_typeEEEZNS1_34radix_sort_onesweep_global_offsetsIS3_Lb1EPfPS5_mNS0_19identity_decomposerEEE10hipError_tT1_T2_PT3_SE_jT4_jjP12ihipStream_tbEUlT_E0_NS1_11comp_targetILNS1_3genE5ELNS1_11target_archE942ELNS1_3gpuE9ELNS1_3repE0EEENS1_52radix_sort_onesweep_histogram_config_static_selectorELNS0_4arch9wavefront6targetE1EEEvSC_
    .private_segment_fixed_size: 0
    .sgpr_count:     4
    .sgpr_spill_count: 0
    .symbol:         _ZN7rocprim17ROCPRIM_400000_NS6detail17trampoline_kernelINS0_14default_configENS1_35radix_sort_onesweep_config_selectorIfNS0_10empty_typeEEEZNS1_34radix_sort_onesweep_global_offsetsIS3_Lb1EPfPS5_mNS0_19identity_decomposerEEE10hipError_tT1_T2_PT3_SE_jT4_jjP12ihipStream_tbEUlT_E0_NS1_11comp_targetILNS1_3genE5ELNS1_11target_archE942ELNS1_3gpuE9ELNS1_3repE0EEENS1_52radix_sort_onesweep_histogram_config_static_selectorELNS0_4arch9wavefront6targetE1EEEvSC_.kd
    .uniform_work_group_size: 1
    .uses_dynamic_stack: false
    .vgpr_count:     0
    .vgpr_spill_count: 0
    .wavefront_size: 64
  - .agpr_count:     0
    .args:
      - .address_space:  global
        .offset:         0
        .size:           8
        .value_kind:     global_buffer
    .group_segment_fixed_size: 0
    .kernarg_segment_align: 8
    .kernarg_segment_size: 8
    .language:       OpenCL C
    .language_version:
      - 2
      - 0
    .max_flat_workgroup_size: 512
    .name:           _ZN7rocprim17ROCPRIM_400000_NS6detail17trampoline_kernelINS0_14default_configENS1_35radix_sort_onesweep_config_selectorIfNS0_10empty_typeEEEZNS1_34radix_sort_onesweep_global_offsetsIS3_Lb1EPfPS5_mNS0_19identity_decomposerEEE10hipError_tT1_T2_PT3_SE_jT4_jjP12ihipStream_tbEUlT_E0_NS1_11comp_targetILNS1_3genE2ELNS1_11target_archE906ELNS1_3gpuE6ELNS1_3repE0EEENS1_52radix_sort_onesweep_histogram_config_static_selectorELNS0_4arch9wavefront6targetE1EEEvSC_
    .private_segment_fixed_size: 0
    .sgpr_count:     4
    .sgpr_spill_count: 0
    .symbol:         _ZN7rocprim17ROCPRIM_400000_NS6detail17trampoline_kernelINS0_14default_configENS1_35radix_sort_onesweep_config_selectorIfNS0_10empty_typeEEEZNS1_34radix_sort_onesweep_global_offsetsIS3_Lb1EPfPS5_mNS0_19identity_decomposerEEE10hipError_tT1_T2_PT3_SE_jT4_jjP12ihipStream_tbEUlT_E0_NS1_11comp_targetILNS1_3genE2ELNS1_11target_archE906ELNS1_3gpuE6ELNS1_3repE0EEENS1_52radix_sort_onesweep_histogram_config_static_selectorELNS0_4arch9wavefront6targetE1EEEvSC_.kd
    .uniform_work_group_size: 1
    .uses_dynamic_stack: false
    .vgpr_count:     0
    .vgpr_spill_count: 0
    .wavefront_size: 64
  - .agpr_count:     0
    .args:
      - .address_space:  global
        .offset:         0
        .size:           8
        .value_kind:     global_buffer
    .group_segment_fixed_size: 128
    .kernarg_segment_align: 8
    .kernarg_segment_size: 8
    .language:       OpenCL C
    .language_version:
      - 2
      - 0
    .max_flat_workgroup_size: 1024
    .name:           _ZN7rocprim17ROCPRIM_400000_NS6detail17trampoline_kernelINS0_14default_configENS1_35radix_sort_onesweep_config_selectorIfNS0_10empty_typeEEEZNS1_34radix_sort_onesweep_global_offsetsIS3_Lb1EPfPS5_mNS0_19identity_decomposerEEE10hipError_tT1_T2_PT3_SE_jT4_jjP12ihipStream_tbEUlT_E0_NS1_11comp_targetILNS1_3genE4ELNS1_11target_archE910ELNS1_3gpuE8ELNS1_3repE0EEENS1_52radix_sort_onesweep_histogram_config_static_selectorELNS0_4arch9wavefront6targetE1EEEvSC_
    .private_segment_fixed_size: 0
    .sgpr_count:     22
    .sgpr_spill_count: 0
    .symbol:         _ZN7rocprim17ROCPRIM_400000_NS6detail17trampoline_kernelINS0_14default_configENS1_35radix_sort_onesweep_config_selectorIfNS0_10empty_typeEEEZNS1_34radix_sort_onesweep_global_offsetsIS3_Lb1EPfPS5_mNS0_19identity_decomposerEEE10hipError_tT1_T2_PT3_SE_jT4_jjP12ihipStream_tbEUlT_E0_NS1_11comp_targetILNS1_3genE4ELNS1_11target_archE910ELNS1_3gpuE8ELNS1_3repE0EEENS1_52radix_sort_onesweep_histogram_config_static_selectorELNS0_4arch9wavefront6targetE1EEEvSC_.kd
    .uniform_work_group_size: 1
    .uses_dynamic_stack: false
    .vgpr_count:     13
    .vgpr_spill_count: 0
    .wavefront_size: 64
  - .agpr_count:     0
    .args:
      - .address_space:  global
        .offset:         0
        .size:           8
        .value_kind:     global_buffer
    .group_segment_fixed_size: 0
    .kernarg_segment_align: 8
    .kernarg_segment_size: 8
    .language:       OpenCL C
    .language_version:
      - 2
      - 0
    .max_flat_workgroup_size: 512
    .name:           _ZN7rocprim17ROCPRIM_400000_NS6detail17trampoline_kernelINS0_14default_configENS1_35radix_sort_onesweep_config_selectorIfNS0_10empty_typeEEEZNS1_34radix_sort_onesweep_global_offsetsIS3_Lb1EPfPS5_mNS0_19identity_decomposerEEE10hipError_tT1_T2_PT3_SE_jT4_jjP12ihipStream_tbEUlT_E0_NS1_11comp_targetILNS1_3genE3ELNS1_11target_archE908ELNS1_3gpuE7ELNS1_3repE0EEENS1_52radix_sort_onesweep_histogram_config_static_selectorELNS0_4arch9wavefront6targetE1EEEvSC_
    .private_segment_fixed_size: 0
    .sgpr_count:     4
    .sgpr_spill_count: 0
    .symbol:         _ZN7rocprim17ROCPRIM_400000_NS6detail17trampoline_kernelINS0_14default_configENS1_35radix_sort_onesweep_config_selectorIfNS0_10empty_typeEEEZNS1_34radix_sort_onesweep_global_offsetsIS3_Lb1EPfPS5_mNS0_19identity_decomposerEEE10hipError_tT1_T2_PT3_SE_jT4_jjP12ihipStream_tbEUlT_E0_NS1_11comp_targetILNS1_3genE3ELNS1_11target_archE908ELNS1_3gpuE7ELNS1_3repE0EEENS1_52radix_sort_onesweep_histogram_config_static_selectorELNS0_4arch9wavefront6targetE1EEEvSC_.kd
    .uniform_work_group_size: 1
    .uses_dynamic_stack: false
    .vgpr_count:     0
    .vgpr_spill_count: 0
    .wavefront_size: 64
  - .agpr_count:     0
    .args:
      - .address_space:  global
        .offset:         0
        .size:           8
        .value_kind:     global_buffer
    .group_segment_fixed_size: 0
    .kernarg_segment_align: 8
    .kernarg_segment_size: 8
    .language:       OpenCL C
    .language_version:
      - 2
      - 0
    .max_flat_workgroup_size: 512
    .name:           _ZN7rocprim17ROCPRIM_400000_NS6detail17trampoline_kernelINS0_14default_configENS1_35radix_sort_onesweep_config_selectorIfNS0_10empty_typeEEEZNS1_34radix_sort_onesweep_global_offsetsIS3_Lb1EPfPS5_mNS0_19identity_decomposerEEE10hipError_tT1_T2_PT3_SE_jT4_jjP12ihipStream_tbEUlT_E0_NS1_11comp_targetILNS1_3genE10ELNS1_11target_archE1201ELNS1_3gpuE5ELNS1_3repE0EEENS1_52radix_sort_onesweep_histogram_config_static_selectorELNS0_4arch9wavefront6targetE1EEEvSC_
    .private_segment_fixed_size: 0
    .sgpr_count:     4
    .sgpr_spill_count: 0
    .symbol:         _ZN7rocprim17ROCPRIM_400000_NS6detail17trampoline_kernelINS0_14default_configENS1_35radix_sort_onesweep_config_selectorIfNS0_10empty_typeEEEZNS1_34radix_sort_onesweep_global_offsetsIS3_Lb1EPfPS5_mNS0_19identity_decomposerEEE10hipError_tT1_T2_PT3_SE_jT4_jjP12ihipStream_tbEUlT_E0_NS1_11comp_targetILNS1_3genE10ELNS1_11target_archE1201ELNS1_3gpuE5ELNS1_3repE0EEENS1_52radix_sort_onesweep_histogram_config_static_selectorELNS0_4arch9wavefront6targetE1EEEvSC_.kd
    .uniform_work_group_size: 1
    .uses_dynamic_stack: false
    .vgpr_count:     0
    .vgpr_spill_count: 0
    .wavefront_size: 64
  - .agpr_count:     0
    .args:
      - .address_space:  global
        .offset:         0
        .size:           8
        .value_kind:     global_buffer
    .group_segment_fixed_size: 0
    .kernarg_segment_align: 8
    .kernarg_segment_size: 8
    .language:       OpenCL C
    .language_version:
      - 2
      - 0
    .max_flat_workgroup_size: 1024
    .name:           _ZN7rocprim17ROCPRIM_400000_NS6detail17trampoline_kernelINS0_14default_configENS1_35radix_sort_onesweep_config_selectorIfNS0_10empty_typeEEEZNS1_34radix_sort_onesweep_global_offsetsIS3_Lb1EPfPS5_mNS0_19identity_decomposerEEE10hipError_tT1_T2_PT3_SE_jT4_jjP12ihipStream_tbEUlT_E0_NS1_11comp_targetILNS1_3genE9ELNS1_11target_archE1100ELNS1_3gpuE3ELNS1_3repE0EEENS1_52radix_sort_onesweep_histogram_config_static_selectorELNS0_4arch9wavefront6targetE1EEEvSC_
    .private_segment_fixed_size: 0
    .sgpr_count:     4
    .sgpr_spill_count: 0
    .symbol:         _ZN7rocprim17ROCPRIM_400000_NS6detail17trampoline_kernelINS0_14default_configENS1_35radix_sort_onesweep_config_selectorIfNS0_10empty_typeEEEZNS1_34radix_sort_onesweep_global_offsetsIS3_Lb1EPfPS5_mNS0_19identity_decomposerEEE10hipError_tT1_T2_PT3_SE_jT4_jjP12ihipStream_tbEUlT_E0_NS1_11comp_targetILNS1_3genE9ELNS1_11target_archE1100ELNS1_3gpuE3ELNS1_3repE0EEENS1_52radix_sort_onesweep_histogram_config_static_selectorELNS0_4arch9wavefront6targetE1EEEvSC_.kd
    .uniform_work_group_size: 1
    .uses_dynamic_stack: false
    .vgpr_count:     0
    .vgpr_spill_count: 0
    .wavefront_size: 64
  - .agpr_count:     0
    .args:
      - .address_space:  global
        .offset:         0
        .size:           8
        .value_kind:     global_buffer
    .group_segment_fixed_size: 0
    .kernarg_segment_align: 8
    .kernarg_segment_size: 8
    .language:       OpenCL C
    .language_version:
      - 2
      - 0
    .max_flat_workgroup_size: 1024
    .name:           _ZN7rocprim17ROCPRIM_400000_NS6detail17trampoline_kernelINS0_14default_configENS1_35radix_sort_onesweep_config_selectorIfNS0_10empty_typeEEEZNS1_34radix_sort_onesweep_global_offsetsIS3_Lb1EPfPS5_mNS0_19identity_decomposerEEE10hipError_tT1_T2_PT3_SE_jT4_jjP12ihipStream_tbEUlT_E0_NS1_11comp_targetILNS1_3genE8ELNS1_11target_archE1030ELNS1_3gpuE2ELNS1_3repE0EEENS1_52radix_sort_onesweep_histogram_config_static_selectorELNS0_4arch9wavefront6targetE1EEEvSC_
    .private_segment_fixed_size: 0
    .sgpr_count:     4
    .sgpr_spill_count: 0
    .symbol:         _ZN7rocprim17ROCPRIM_400000_NS6detail17trampoline_kernelINS0_14default_configENS1_35radix_sort_onesweep_config_selectorIfNS0_10empty_typeEEEZNS1_34radix_sort_onesweep_global_offsetsIS3_Lb1EPfPS5_mNS0_19identity_decomposerEEE10hipError_tT1_T2_PT3_SE_jT4_jjP12ihipStream_tbEUlT_E0_NS1_11comp_targetILNS1_3genE8ELNS1_11target_archE1030ELNS1_3gpuE2ELNS1_3repE0EEENS1_52radix_sort_onesweep_histogram_config_static_selectorELNS0_4arch9wavefront6targetE1EEEvSC_.kd
    .uniform_work_group_size: 1
    .uses_dynamic_stack: false
    .vgpr_count:     0
    .vgpr_spill_count: 0
    .wavefront_size: 64
  - .agpr_count:     0
    .args:
      - .offset:         0
        .size:           88
        .value_kind:     by_value
    .group_segment_fixed_size: 0
    .kernarg_segment_align: 8
    .kernarg_segment_size: 88
    .language:       OpenCL C
    .language_version:
      - 2
      - 0
    .max_flat_workgroup_size: 512
    .name:           _ZN7rocprim17ROCPRIM_400000_NS6detail17trampoline_kernelINS0_14default_configENS1_35radix_sort_onesweep_config_selectorIfNS0_10empty_typeEEEZZNS1_29radix_sort_onesweep_iterationIS3_Lb1EPfS8_PS5_S9_mNS0_19identity_decomposerENS1_16block_id_wrapperIjLb1EEEEE10hipError_tT1_PNSt15iterator_traitsISE_E10value_typeET2_T3_PNSF_ISK_E10value_typeET4_T5_PSP_SQ_PNS1_23onesweep_lookback_stateEbbT6_jjT7_P12ihipStream_tbENKUlT_T0_SE_SJ_E_clIS8_S8_S9_S9_EEDaSX_SY_SE_SJ_EUlSX_E_NS1_11comp_targetILNS1_3genE0ELNS1_11target_archE4294967295ELNS1_3gpuE0ELNS1_3repE0EEENS1_47radix_sort_onesweep_sort_config_static_selectorELNS0_4arch9wavefront6targetE1EEEvSE_
    .private_segment_fixed_size: 0
    .sgpr_count:     4
    .sgpr_spill_count: 0
    .symbol:         _ZN7rocprim17ROCPRIM_400000_NS6detail17trampoline_kernelINS0_14default_configENS1_35radix_sort_onesweep_config_selectorIfNS0_10empty_typeEEEZZNS1_29radix_sort_onesweep_iterationIS3_Lb1EPfS8_PS5_S9_mNS0_19identity_decomposerENS1_16block_id_wrapperIjLb1EEEEE10hipError_tT1_PNSt15iterator_traitsISE_E10value_typeET2_T3_PNSF_ISK_E10value_typeET4_T5_PSP_SQ_PNS1_23onesweep_lookback_stateEbbT6_jjT7_P12ihipStream_tbENKUlT_T0_SE_SJ_E_clIS8_S8_S9_S9_EEDaSX_SY_SE_SJ_EUlSX_E_NS1_11comp_targetILNS1_3genE0ELNS1_11target_archE4294967295ELNS1_3gpuE0ELNS1_3repE0EEENS1_47radix_sort_onesweep_sort_config_static_selectorELNS0_4arch9wavefront6targetE1EEEvSE_.kd
    .uniform_work_group_size: 1
    .uses_dynamic_stack: false
    .vgpr_count:     0
    .vgpr_spill_count: 0
    .wavefront_size: 64
  - .agpr_count:     0
    .args:
      - .offset:         0
        .size:           88
        .value_kind:     by_value
    .group_segment_fixed_size: 0
    .kernarg_segment_align: 8
    .kernarg_segment_size: 88
    .language:       OpenCL C
    .language_version:
      - 2
      - 0
    .max_flat_workgroup_size: 1024
    .name:           _ZN7rocprim17ROCPRIM_400000_NS6detail17trampoline_kernelINS0_14default_configENS1_35radix_sort_onesweep_config_selectorIfNS0_10empty_typeEEEZZNS1_29radix_sort_onesweep_iterationIS3_Lb1EPfS8_PS5_S9_mNS0_19identity_decomposerENS1_16block_id_wrapperIjLb1EEEEE10hipError_tT1_PNSt15iterator_traitsISE_E10value_typeET2_T3_PNSF_ISK_E10value_typeET4_T5_PSP_SQ_PNS1_23onesweep_lookback_stateEbbT6_jjT7_P12ihipStream_tbENKUlT_T0_SE_SJ_E_clIS8_S8_S9_S9_EEDaSX_SY_SE_SJ_EUlSX_E_NS1_11comp_targetILNS1_3genE6ELNS1_11target_archE950ELNS1_3gpuE13ELNS1_3repE0EEENS1_47radix_sort_onesweep_sort_config_static_selectorELNS0_4arch9wavefront6targetE1EEEvSE_
    .private_segment_fixed_size: 0
    .sgpr_count:     4
    .sgpr_spill_count: 0
    .symbol:         _ZN7rocprim17ROCPRIM_400000_NS6detail17trampoline_kernelINS0_14default_configENS1_35radix_sort_onesweep_config_selectorIfNS0_10empty_typeEEEZZNS1_29radix_sort_onesweep_iterationIS3_Lb1EPfS8_PS5_S9_mNS0_19identity_decomposerENS1_16block_id_wrapperIjLb1EEEEE10hipError_tT1_PNSt15iterator_traitsISE_E10value_typeET2_T3_PNSF_ISK_E10value_typeET4_T5_PSP_SQ_PNS1_23onesweep_lookback_stateEbbT6_jjT7_P12ihipStream_tbENKUlT_T0_SE_SJ_E_clIS8_S8_S9_S9_EEDaSX_SY_SE_SJ_EUlSX_E_NS1_11comp_targetILNS1_3genE6ELNS1_11target_archE950ELNS1_3gpuE13ELNS1_3repE0EEENS1_47radix_sort_onesweep_sort_config_static_selectorELNS0_4arch9wavefront6targetE1EEEvSE_.kd
    .uniform_work_group_size: 1
    .uses_dynamic_stack: false
    .vgpr_count:     0
    .vgpr_spill_count: 0
    .wavefront_size: 64
  - .agpr_count:     0
    .args:
      - .offset:         0
        .size:           88
        .value_kind:     by_value
    .group_segment_fixed_size: 0
    .kernarg_segment_align: 8
    .kernarg_segment_size: 88
    .language:       OpenCL C
    .language_version:
      - 2
      - 0
    .max_flat_workgroup_size: 1024
    .name:           _ZN7rocprim17ROCPRIM_400000_NS6detail17trampoline_kernelINS0_14default_configENS1_35radix_sort_onesweep_config_selectorIfNS0_10empty_typeEEEZZNS1_29radix_sort_onesweep_iterationIS3_Lb1EPfS8_PS5_S9_mNS0_19identity_decomposerENS1_16block_id_wrapperIjLb1EEEEE10hipError_tT1_PNSt15iterator_traitsISE_E10value_typeET2_T3_PNSF_ISK_E10value_typeET4_T5_PSP_SQ_PNS1_23onesweep_lookback_stateEbbT6_jjT7_P12ihipStream_tbENKUlT_T0_SE_SJ_E_clIS8_S8_S9_S9_EEDaSX_SY_SE_SJ_EUlSX_E_NS1_11comp_targetILNS1_3genE5ELNS1_11target_archE942ELNS1_3gpuE9ELNS1_3repE0EEENS1_47radix_sort_onesweep_sort_config_static_selectorELNS0_4arch9wavefront6targetE1EEEvSE_
    .private_segment_fixed_size: 0
    .sgpr_count:     4
    .sgpr_spill_count: 0
    .symbol:         _ZN7rocprim17ROCPRIM_400000_NS6detail17trampoline_kernelINS0_14default_configENS1_35radix_sort_onesweep_config_selectorIfNS0_10empty_typeEEEZZNS1_29radix_sort_onesweep_iterationIS3_Lb1EPfS8_PS5_S9_mNS0_19identity_decomposerENS1_16block_id_wrapperIjLb1EEEEE10hipError_tT1_PNSt15iterator_traitsISE_E10value_typeET2_T3_PNSF_ISK_E10value_typeET4_T5_PSP_SQ_PNS1_23onesweep_lookback_stateEbbT6_jjT7_P12ihipStream_tbENKUlT_T0_SE_SJ_E_clIS8_S8_S9_S9_EEDaSX_SY_SE_SJ_EUlSX_E_NS1_11comp_targetILNS1_3genE5ELNS1_11target_archE942ELNS1_3gpuE9ELNS1_3repE0EEENS1_47radix_sort_onesweep_sort_config_static_selectorELNS0_4arch9wavefront6targetE1EEEvSE_.kd
    .uniform_work_group_size: 1
    .uses_dynamic_stack: false
    .vgpr_count:     0
    .vgpr_spill_count: 0
    .wavefront_size: 64
  - .agpr_count:     0
    .args:
      - .offset:         0
        .size:           88
        .value_kind:     by_value
    .group_segment_fixed_size: 0
    .kernarg_segment_align: 8
    .kernarg_segment_size: 88
    .language:       OpenCL C
    .language_version:
      - 2
      - 0
    .max_flat_workgroup_size: 512
    .name:           _ZN7rocprim17ROCPRIM_400000_NS6detail17trampoline_kernelINS0_14default_configENS1_35radix_sort_onesweep_config_selectorIfNS0_10empty_typeEEEZZNS1_29radix_sort_onesweep_iterationIS3_Lb1EPfS8_PS5_S9_mNS0_19identity_decomposerENS1_16block_id_wrapperIjLb1EEEEE10hipError_tT1_PNSt15iterator_traitsISE_E10value_typeET2_T3_PNSF_ISK_E10value_typeET4_T5_PSP_SQ_PNS1_23onesweep_lookback_stateEbbT6_jjT7_P12ihipStream_tbENKUlT_T0_SE_SJ_E_clIS8_S8_S9_S9_EEDaSX_SY_SE_SJ_EUlSX_E_NS1_11comp_targetILNS1_3genE2ELNS1_11target_archE906ELNS1_3gpuE6ELNS1_3repE0EEENS1_47radix_sort_onesweep_sort_config_static_selectorELNS0_4arch9wavefront6targetE1EEEvSE_
    .private_segment_fixed_size: 0
    .sgpr_count:     4
    .sgpr_spill_count: 0
    .symbol:         _ZN7rocprim17ROCPRIM_400000_NS6detail17trampoline_kernelINS0_14default_configENS1_35radix_sort_onesweep_config_selectorIfNS0_10empty_typeEEEZZNS1_29radix_sort_onesweep_iterationIS3_Lb1EPfS8_PS5_S9_mNS0_19identity_decomposerENS1_16block_id_wrapperIjLb1EEEEE10hipError_tT1_PNSt15iterator_traitsISE_E10value_typeET2_T3_PNSF_ISK_E10value_typeET4_T5_PSP_SQ_PNS1_23onesweep_lookback_stateEbbT6_jjT7_P12ihipStream_tbENKUlT_T0_SE_SJ_E_clIS8_S8_S9_S9_EEDaSX_SY_SE_SJ_EUlSX_E_NS1_11comp_targetILNS1_3genE2ELNS1_11target_archE906ELNS1_3gpuE6ELNS1_3repE0EEENS1_47radix_sort_onesweep_sort_config_static_selectorELNS0_4arch9wavefront6targetE1EEEvSE_.kd
    .uniform_work_group_size: 1
    .uses_dynamic_stack: false
    .vgpr_count:     0
    .vgpr_spill_count: 0
    .wavefront_size: 64
  - .agpr_count:     0
    .args:
      - .offset:         0
        .size:           88
        .value_kind:     by_value
      - .offset:         88
        .size:           4
        .value_kind:     hidden_block_count_x
      - .offset:         92
        .size:           4
        .value_kind:     hidden_block_count_y
      - .offset:         96
        .size:           4
        .value_kind:     hidden_block_count_z
      - .offset:         100
        .size:           2
        .value_kind:     hidden_group_size_x
      - .offset:         102
        .size:           2
        .value_kind:     hidden_group_size_y
      - .offset:         104
        .size:           2
        .value_kind:     hidden_group_size_z
      - .offset:         106
        .size:           2
        .value_kind:     hidden_remainder_x
      - .offset:         108
        .size:           2
        .value_kind:     hidden_remainder_y
      - .offset:         110
        .size:           2
        .value_kind:     hidden_remainder_z
      - .offset:         128
        .size:           8
        .value_kind:     hidden_global_offset_x
      - .offset:         136
        .size:           8
        .value_kind:     hidden_global_offset_y
      - .offset:         144
        .size:           8
        .value_kind:     hidden_global_offset_z
      - .offset:         152
        .size:           2
        .value_kind:     hidden_grid_dims
    .group_segment_fixed_size: 20552
    .kernarg_segment_align: 8
    .kernarg_segment_size: 344
    .language:       OpenCL C
    .language_version:
      - 2
      - 0
    .max_flat_workgroup_size: 1024
    .name:           _ZN7rocprim17ROCPRIM_400000_NS6detail17trampoline_kernelINS0_14default_configENS1_35radix_sort_onesweep_config_selectorIfNS0_10empty_typeEEEZZNS1_29radix_sort_onesweep_iterationIS3_Lb1EPfS8_PS5_S9_mNS0_19identity_decomposerENS1_16block_id_wrapperIjLb1EEEEE10hipError_tT1_PNSt15iterator_traitsISE_E10value_typeET2_T3_PNSF_ISK_E10value_typeET4_T5_PSP_SQ_PNS1_23onesweep_lookback_stateEbbT6_jjT7_P12ihipStream_tbENKUlT_T0_SE_SJ_E_clIS8_S8_S9_S9_EEDaSX_SY_SE_SJ_EUlSX_E_NS1_11comp_targetILNS1_3genE4ELNS1_11target_archE910ELNS1_3gpuE8ELNS1_3repE0EEENS1_47radix_sort_onesweep_sort_config_static_selectorELNS0_4arch9wavefront6targetE1EEEvSE_
    .private_segment_fixed_size: 0
    .sgpr_count:     39
    .sgpr_spill_count: 0
    .symbol:         _ZN7rocprim17ROCPRIM_400000_NS6detail17trampoline_kernelINS0_14default_configENS1_35radix_sort_onesweep_config_selectorIfNS0_10empty_typeEEEZZNS1_29radix_sort_onesweep_iterationIS3_Lb1EPfS8_PS5_S9_mNS0_19identity_decomposerENS1_16block_id_wrapperIjLb1EEEEE10hipError_tT1_PNSt15iterator_traitsISE_E10value_typeET2_T3_PNSF_ISK_E10value_typeET4_T5_PSP_SQ_PNS1_23onesweep_lookback_stateEbbT6_jjT7_P12ihipStream_tbENKUlT_T0_SE_SJ_E_clIS8_S8_S9_S9_EEDaSX_SY_SE_SJ_EUlSX_E_NS1_11comp_targetILNS1_3genE4ELNS1_11target_archE910ELNS1_3gpuE8ELNS1_3repE0EEENS1_47radix_sort_onesweep_sort_config_static_selectorELNS0_4arch9wavefront6targetE1EEEvSE_.kd
    .uniform_work_group_size: 1
    .uses_dynamic_stack: false
    .vgpr_count:     62
    .vgpr_spill_count: 0
    .wavefront_size: 64
  - .agpr_count:     0
    .args:
      - .offset:         0
        .size:           88
        .value_kind:     by_value
    .group_segment_fixed_size: 0
    .kernarg_segment_align: 8
    .kernarg_segment_size: 88
    .language:       OpenCL C
    .language_version:
      - 2
      - 0
    .max_flat_workgroup_size: 512
    .name:           _ZN7rocprim17ROCPRIM_400000_NS6detail17trampoline_kernelINS0_14default_configENS1_35radix_sort_onesweep_config_selectorIfNS0_10empty_typeEEEZZNS1_29radix_sort_onesweep_iterationIS3_Lb1EPfS8_PS5_S9_mNS0_19identity_decomposerENS1_16block_id_wrapperIjLb1EEEEE10hipError_tT1_PNSt15iterator_traitsISE_E10value_typeET2_T3_PNSF_ISK_E10value_typeET4_T5_PSP_SQ_PNS1_23onesweep_lookback_stateEbbT6_jjT7_P12ihipStream_tbENKUlT_T0_SE_SJ_E_clIS8_S8_S9_S9_EEDaSX_SY_SE_SJ_EUlSX_E_NS1_11comp_targetILNS1_3genE3ELNS1_11target_archE908ELNS1_3gpuE7ELNS1_3repE0EEENS1_47radix_sort_onesweep_sort_config_static_selectorELNS0_4arch9wavefront6targetE1EEEvSE_
    .private_segment_fixed_size: 0
    .sgpr_count:     4
    .sgpr_spill_count: 0
    .symbol:         _ZN7rocprim17ROCPRIM_400000_NS6detail17trampoline_kernelINS0_14default_configENS1_35radix_sort_onesweep_config_selectorIfNS0_10empty_typeEEEZZNS1_29radix_sort_onesweep_iterationIS3_Lb1EPfS8_PS5_S9_mNS0_19identity_decomposerENS1_16block_id_wrapperIjLb1EEEEE10hipError_tT1_PNSt15iterator_traitsISE_E10value_typeET2_T3_PNSF_ISK_E10value_typeET4_T5_PSP_SQ_PNS1_23onesweep_lookback_stateEbbT6_jjT7_P12ihipStream_tbENKUlT_T0_SE_SJ_E_clIS8_S8_S9_S9_EEDaSX_SY_SE_SJ_EUlSX_E_NS1_11comp_targetILNS1_3genE3ELNS1_11target_archE908ELNS1_3gpuE7ELNS1_3repE0EEENS1_47radix_sort_onesweep_sort_config_static_selectorELNS0_4arch9wavefront6targetE1EEEvSE_.kd
    .uniform_work_group_size: 1
    .uses_dynamic_stack: false
    .vgpr_count:     0
    .vgpr_spill_count: 0
    .wavefront_size: 64
  - .agpr_count:     0
    .args:
      - .offset:         0
        .size:           88
        .value_kind:     by_value
    .group_segment_fixed_size: 0
    .kernarg_segment_align: 8
    .kernarg_segment_size: 88
    .language:       OpenCL C
    .language_version:
      - 2
      - 0
    .max_flat_workgroup_size: 512
    .name:           _ZN7rocprim17ROCPRIM_400000_NS6detail17trampoline_kernelINS0_14default_configENS1_35radix_sort_onesweep_config_selectorIfNS0_10empty_typeEEEZZNS1_29radix_sort_onesweep_iterationIS3_Lb1EPfS8_PS5_S9_mNS0_19identity_decomposerENS1_16block_id_wrapperIjLb1EEEEE10hipError_tT1_PNSt15iterator_traitsISE_E10value_typeET2_T3_PNSF_ISK_E10value_typeET4_T5_PSP_SQ_PNS1_23onesweep_lookback_stateEbbT6_jjT7_P12ihipStream_tbENKUlT_T0_SE_SJ_E_clIS8_S8_S9_S9_EEDaSX_SY_SE_SJ_EUlSX_E_NS1_11comp_targetILNS1_3genE10ELNS1_11target_archE1201ELNS1_3gpuE5ELNS1_3repE0EEENS1_47radix_sort_onesweep_sort_config_static_selectorELNS0_4arch9wavefront6targetE1EEEvSE_
    .private_segment_fixed_size: 0
    .sgpr_count:     4
    .sgpr_spill_count: 0
    .symbol:         _ZN7rocprim17ROCPRIM_400000_NS6detail17trampoline_kernelINS0_14default_configENS1_35radix_sort_onesweep_config_selectorIfNS0_10empty_typeEEEZZNS1_29radix_sort_onesweep_iterationIS3_Lb1EPfS8_PS5_S9_mNS0_19identity_decomposerENS1_16block_id_wrapperIjLb1EEEEE10hipError_tT1_PNSt15iterator_traitsISE_E10value_typeET2_T3_PNSF_ISK_E10value_typeET4_T5_PSP_SQ_PNS1_23onesweep_lookback_stateEbbT6_jjT7_P12ihipStream_tbENKUlT_T0_SE_SJ_E_clIS8_S8_S9_S9_EEDaSX_SY_SE_SJ_EUlSX_E_NS1_11comp_targetILNS1_3genE10ELNS1_11target_archE1201ELNS1_3gpuE5ELNS1_3repE0EEENS1_47radix_sort_onesweep_sort_config_static_selectorELNS0_4arch9wavefront6targetE1EEEvSE_.kd
    .uniform_work_group_size: 1
    .uses_dynamic_stack: false
    .vgpr_count:     0
    .vgpr_spill_count: 0
    .wavefront_size: 64
  - .agpr_count:     0
    .args:
      - .offset:         0
        .size:           88
        .value_kind:     by_value
    .group_segment_fixed_size: 0
    .kernarg_segment_align: 8
    .kernarg_segment_size: 88
    .language:       OpenCL C
    .language_version:
      - 2
      - 0
    .max_flat_workgroup_size: 1024
    .name:           _ZN7rocprim17ROCPRIM_400000_NS6detail17trampoline_kernelINS0_14default_configENS1_35radix_sort_onesweep_config_selectorIfNS0_10empty_typeEEEZZNS1_29radix_sort_onesweep_iterationIS3_Lb1EPfS8_PS5_S9_mNS0_19identity_decomposerENS1_16block_id_wrapperIjLb1EEEEE10hipError_tT1_PNSt15iterator_traitsISE_E10value_typeET2_T3_PNSF_ISK_E10value_typeET4_T5_PSP_SQ_PNS1_23onesweep_lookback_stateEbbT6_jjT7_P12ihipStream_tbENKUlT_T0_SE_SJ_E_clIS8_S8_S9_S9_EEDaSX_SY_SE_SJ_EUlSX_E_NS1_11comp_targetILNS1_3genE9ELNS1_11target_archE1100ELNS1_3gpuE3ELNS1_3repE0EEENS1_47radix_sort_onesweep_sort_config_static_selectorELNS0_4arch9wavefront6targetE1EEEvSE_
    .private_segment_fixed_size: 0
    .sgpr_count:     4
    .sgpr_spill_count: 0
    .symbol:         _ZN7rocprim17ROCPRIM_400000_NS6detail17trampoline_kernelINS0_14default_configENS1_35radix_sort_onesweep_config_selectorIfNS0_10empty_typeEEEZZNS1_29radix_sort_onesweep_iterationIS3_Lb1EPfS8_PS5_S9_mNS0_19identity_decomposerENS1_16block_id_wrapperIjLb1EEEEE10hipError_tT1_PNSt15iterator_traitsISE_E10value_typeET2_T3_PNSF_ISK_E10value_typeET4_T5_PSP_SQ_PNS1_23onesweep_lookback_stateEbbT6_jjT7_P12ihipStream_tbENKUlT_T0_SE_SJ_E_clIS8_S8_S9_S9_EEDaSX_SY_SE_SJ_EUlSX_E_NS1_11comp_targetILNS1_3genE9ELNS1_11target_archE1100ELNS1_3gpuE3ELNS1_3repE0EEENS1_47radix_sort_onesweep_sort_config_static_selectorELNS0_4arch9wavefront6targetE1EEEvSE_.kd
    .uniform_work_group_size: 1
    .uses_dynamic_stack: false
    .vgpr_count:     0
    .vgpr_spill_count: 0
    .wavefront_size: 64
  - .agpr_count:     0
    .args:
      - .offset:         0
        .size:           88
        .value_kind:     by_value
    .group_segment_fixed_size: 0
    .kernarg_segment_align: 8
    .kernarg_segment_size: 88
    .language:       OpenCL C
    .language_version:
      - 2
      - 0
    .max_flat_workgroup_size: 1024
    .name:           _ZN7rocprim17ROCPRIM_400000_NS6detail17trampoline_kernelINS0_14default_configENS1_35radix_sort_onesweep_config_selectorIfNS0_10empty_typeEEEZZNS1_29radix_sort_onesweep_iterationIS3_Lb1EPfS8_PS5_S9_mNS0_19identity_decomposerENS1_16block_id_wrapperIjLb1EEEEE10hipError_tT1_PNSt15iterator_traitsISE_E10value_typeET2_T3_PNSF_ISK_E10value_typeET4_T5_PSP_SQ_PNS1_23onesweep_lookback_stateEbbT6_jjT7_P12ihipStream_tbENKUlT_T0_SE_SJ_E_clIS8_S8_S9_S9_EEDaSX_SY_SE_SJ_EUlSX_E_NS1_11comp_targetILNS1_3genE8ELNS1_11target_archE1030ELNS1_3gpuE2ELNS1_3repE0EEENS1_47radix_sort_onesweep_sort_config_static_selectorELNS0_4arch9wavefront6targetE1EEEvSE_
    .private_segment_fixed_size: 0
    .sgpr_count:     4
    .sgpr_spill_count: 0
    .symbol:         _ZN7rocprim17ROCPRIM_400000_NS6detail17trampoline_kernelINS0_14default_configENS1_35radix_sort_onesweep_config_selectorIfNS0_10empty_typeEEEZZNS1_29radix_sort_onesweep_iterationIS3_Lb1EPfS8_PS5_S9_mNS0_19identity_decomposerENS1_16block_id_wrapperIjLb1EEEEE10hipError_tT1_PNSt15iterator_traitsISE_E10value_typeET2_T3_PNSF_ISK_E10value_typeET4_T5_PSP_SQ_PNS1_23onesweep_lookback_stateEbbT6_jjT7_P12ihipStream_tbENKUlT_T0_SE_SJ_E_clIS8_S8_S9_S9_EEDaSX_SY_SE_SJ_EUlSX_E_NS1_11comp_targetILNS1_3genE8ELNS1_11target_archE1030ELNS1_3gpuE2ELNS1_3repE0EEENS1_47radix_sort_onesweep_sort_config_static_selectorELNS0_4arch9wavefront6targetE1EEEvSE_.kd
    .uniform_work_group_size: 1
    .uses_dynamic_stack: false
    .vgpr_count:     0
    .vgpr_spill_count: 0
    .wavefront_size: 64
  - .agpr_count:     0
    .args:
      - .offset:         0
        .size:           88
        .value_kind:     by_value
    .group_segment_fixed_size: 0
    .kernarg_segment_align: 8
    .kernarg_segment_size: 88
    .language:       OpenCL C
    .language_version:
      - 2
      - 0
    .max_flat_workgroup_size: 512
    .name:           _ZN7rocprim17ROCPRIM_400000_NS6detail17trampoline_kernelINS0_14default_configENS1_35radix_sort_onesweep_config_selectorIfNS0_10empty_typeEEEZZNS1_29radix_sort_onesweep_iterationIS3_Lb1EPfS8_PS5_S9_mNS0_19identity_decomposerENS1_16block_id_wrapperIjLb0EEEEE10hipError_tT1_PNSt15iterator_traitsISE_E10value_typeET2_T3_PNSF_ISK_E10value_typeET4_T5_PSP_SQ_PNS1_23onesweep_lookback_stateEbbT6_jjT7_P12ihipStream_tbENKUlT_T0_SE_SJ_E_clIS8_S8_S9_S9_EEDaSX_SY_SE_SJ_EUlSX_E_NS1_11comp_targetILNS1_3genE0ELNS1_11target_archE4294967295ELNS1_3gpuE0ELNS1_3repE0EEENS1_47radix_sort_onesweep_sort_config_static_selectorELNS0_4arch9wavefront6targetE1EEEvSE_
    .private_segment_fixed_size: 0
    .sgpr_count:     4
    .sgpr_spill_count: 0
    .symbol:         _ZN7rocprim17ROCPRIM_400000_NS6detail17trampoline_kernelINS0_14default_configENS1_35radix_sort_onesweep_config_selectorIfNS0_10empty_typeEEEZZNS1_29radix_sort_onesweep_iterationIS3_Lb1EPfS8_PS5_S9_mNS0_19identity_decomposerENS1_16block_id_wrapperIjLb0EEEEE10hipError_tT1_PNSt15iterator_traitsISE_E10value_typeET2_T3_PNSF_ISK_E10value_typeET4_T5_PSP_SQ_PNS1_23onesweep_lookback_stateEbbT6_jjT7_P12ihipStream_tbENKUlT_T0_SE_SJ_E_clIS8_S8_S9_S9_EEDaSX_SY_SE_SJ_EUlSX_E_NS1_11comp_targetILNS1_3genE0ELNS1_11target_archE4294967295ELNS1_3gpuE0ELNS1_3repE0EEENS1_47radix_sort_onesweep_sort_config_static_selectorELNS0_4arch9wavefront6targetE1EEEvSE_.kd
    .uniform_work_group_size: 1
    .uses_dynamic_stack: false
    .vgpr_count:     0
    .vgpr_spill_count: 0
    .wavefront_size: 64
  - .agpr_count:     0
    .args:
      - .offset:         0
        .size:           88
        .value_kind:     by_value
    .group_segment_fixed_size: 0
    .kernarg_segment_align: 8
    .kernarg_segment_size: 88
    .language:       OpenCL C
    .language_version:
      - 2
      - 0
    .max_flat_workgroup_size: 1024
    .name:           _ZN7rocprim17ROCPRIM_400000_NS6detail17trampoline_kernelINS0_14default_configENS1_35radix_sort_onesweep_config_selectorIfNS0_10empty_typeEEEZZNS1_29radix_sort_onesweep_iterationIS3_Lb1EPfS8_PS5_S9_mNS0_19identity_decomposerENS1_16block_id_wrapperIjLb0EEEEE10hipError_tT1_PNSt15iterator_traitsISE_E10value_typeET2_T3_PNSF_ISK_E10value_typeET4_T5_PSP_SQ_PNS1_23onesweep_lookback_stateEbbT6_jjT7_P12ihipStream_tbENKUlT_T0_SE_SJ_E_clIS8_S8_S9_S9_EEDaSX_SY_SE_SJ_EUlSX_E_NS1_11comp_targetILNS1_3genE6ELNS1_11target_archE950ELNS1_3gpuE13ELNS1_3repE0EEENS1_47radix_sort_onesweep_sort_config_static_selectorELNS0_4arch9wavefront6targetE1EEEvSE_
    .private_segment_fixed_size: 0
    .sgpr_count:     4
    .sgpr_spill_count: 0
    .symbol:         _ZN7rocprim17ROCPRIM_400000_NS6detail17trampoline_kernelINS0_14default_configENS1_35radix_sort_onesweep_config_selectorIfNS0_10empty_typeEEEZZNS1_29radix_sort_onesweep_iterationIS3_Lb1EPfS8_PS5_S9_mNS0_19identity_decomposerENS1_16block_id_wrapperIjLb0EEEEE10hipError_tT1_PNSt15iterator_traitsISE_E10value_typeET2_T3_PNSF_ISK_E10value_typeET4_T5_PSP_SQ_PNS1_23onesweep_lookback_stateEbbT6_jjT7_P12ihipStream_tbENKUlT_T0_SE_SJ_E_clIS8_S8_S9_S9_EEDaSX_SY_SE_SJ_EUlSX_E_NS1_11comp_targetILNS1_3genE6ELNS1_11target_archE950ELNS1_3gpuE13ELNS1_3repE0EEENS1_47radix_sort_onesweep_sort_config_static_selectorELNS0_4arch9wavefront6targetE1EEEvSE_.kd
    .uniform_work_group_size: 1
    .uses_dynamic_stack: false
    .vgpr_count:     0
    .vgpr_spill_count: 0
    .wavefront_size: 64
  - .agpr_count:     0
    .args:
      - .offset:         0
        .size:           88
        .value_kind:     by_value
    .group_segment_fixed_size: 0
    .kernarg_segment_align: 8
    .kernarg_segment_size: 88
    .language:       OpenCL C
    .language_version:
      - 2
      - 0
    .max_flat_workgroup_size: 1024
    .name:           _ZN7rocprim17ROCPRIM_400000_NS6detail17trampoline_kernelINS0_14default_configENS1_35radix_sort_onesweep_config_selectorIfNS0_10empty_typeEEEZZNS1_29radix_sort_onesweep_iterationIS3_Lb1EPfS8_PS5_S9_mNS0_19identity_decomposerENS1_16block_id_wrapperIjLb0EEEEE10hipError_tT1_PNSt15iterator_traitsISE_E10value_typeET2_T3_PNSF_ISK_E10value_typeET4_T5_PSP_SQ_PNS1_23onesweep_lookback_stateEbbT6_jjT7_P12ihipStream_tbENKUlT_T0_SE_SJ_E_clIS8_S8_S9_S9_EEDaSX_SY_SE_SJ_EUlSX_E_NS1_11comp_targetILNS1_3genE5ELNS1_11target_archE942ELNS1_3gpuE9ELNS1_3repE0EEENS1_47radix_sort_onesweep_sort_config_static_selectorELNS0_4arch9wavefront6targetE1EEEvSE_
    .private_segment_fixed_size: 0
    .sgpr_count:     4
    .sgpr_spill_count: 0
    .symbol:         _ZN7rocprim17ROCPRIM_400000_NS6detail17trampoline_kernelINS0_14default_configENS1_35radix_sort_onesweep_config_selectorIfNS0_10empty_typeEEEZZNS1_29radix_sort_onesweep_iterationIS3_Lb1EPfS8_PS5_S9_mNS0_19identity_decomposerENS1_16block_id_wrapperIjLb0EEEEE10hipError_tT1_PNSt15iterator_traitsISE_E10value_typeET2_T3_PNSF_ISK_E10value_typeET4_T5_PSP_SQ_PNS1_23onesweep_lookback_stateEbbT6_jjT7_P12ihipStream_tbENKUlT_T0_SE_SJ_E_clIS8_S8_S9_S9_EEDaSX_SY_SE_SJ_EUlSX_E_NS1_11comp_targetILNS1_3genE5ELNS1_11target_archE942ELNS1_3gpuE9ELNS1_3repE0EEENS1_47radix_sort_onesweep_sort_config_static_selectorELNS0_4arch9wavefront6targetE1EEEvSE_.kd
    .uniform_work_group_size: 1
    .uses_dynamic_stack: false
    .vgpr_count:     0
    .vgpr_spill_count: 0
    .wavefront_size: 64
  - .agpr_count:     0
    .args:
      - .offset:         0
        .size:           88
        .value_kind:     by_value
    .group_segment_fixed_size: 0
    .kernarg_segment_align: 8
    .kernarg_segment_size: 88
    .language:       OpenCL C
    .language_version:
      - 2
      - 0
    .max_flat_workgroup_size: 512
    .name:           _ZN7rocprim17ROCPRIM_400000_NS6detail17trampoline_kernelINS0_14default_configENS1_35radix_sort_onesweep_config_selectorIfNS0_10empty_typeEEEZZNS1_29radix_sort_onesweep_iterationIS3_Lb1EPfS8_PS5_S9_mNS0_19identity_decomposerENS1_16block_id_wrapperIjLb0EEEEE10hipError_tT1_PNSt15iterator_traitsISE_E10value_typeET2_T3_PNSF_ISK_E10value_typeET4_T5_PSP_SQ_PNS1_23onesweep_lookback_stateEbbT6_jjT7_P12ihipStream_tbENKUlT_T0_SE_SJ_E_clIS8_S8_S9_S9_EEDaSX_SY_SE_SJ_EUlSX_E_NS1_11comp_targetILNS1_3genE2ELNS1_11target_archE906ELNS1_3gpuE6ELNS1_3repE0EEENS1_47radix_sort_onesweep_sort_config_static_selectorELNS0_4arch9wavefront6targetE1EEEvSE_
    .private_segment_fixed_size: 0
    .sgpr_count:     4
    .sgpr_spill_count: 0
    .symbol:         _ZN7rocprim17ROCPRIM_400000_NS6detail17trampoline_kernelINS0_14default_configENS1_35radix_sort_onesweep_config_selectorIfNS0_10empty_typeEEEZZNS1_29radix_sort_onesweep_iterationIS3_Lb1EPfS8_PS5_S9_mNS0_19identity_decomposerENS1_16block_id_wrapperIjLb0EEEEE10hipError_tT1_PNSt15iterator_traitsISE_E10value_typeET2_T3_PNSF_ISK_E10value_typeET4_T5_PSP_SQ_PNS1_23onesweep_lookback_stateEbbT6_jjT7_P12ihipStream_tbENKUlT_T0_SE_SJ_E_clIS8_S8_S9_S9_EEDaSX_SY_SE_SJ_EUlSX_E_NS1_11comp_targetILNS1_3genE2ELNS1_11target_archE906ELNS1_3gpuE6ELNS1_3repE0EEENS1_47radix_sort_onesweep_sort_config_static_selectorELNS0_4arch9wavefront6targetE1EEEvSE_.kd
    .uniform_work_group_size: 1
    .uses_dynamic_stack: false
    .vgpr_count:     0
    .vgpr_spill_count: 0
    .wavefront_size: 64
  - .agpr_count:     0
    .args:
      - .offset:         0
        .size:           88
        .value_kind:     by_value
      - .offset:         88
        .size:           4
        .value_kind:     hidden_block_count_x
      - .offset:         92
        .size:           4
        .value_kind:     hidden_block_count_y
      - .offset:         96
        .size:           4
        .value_kind:     hidden_block_count_z
      - .offset:         100
        .size:           2
        .value_kind:     hidden_group_size_x
      - .offset:         102
        .size:           2
        .value_kind:     hidden_group_size_y
      - .offset:         104
        .size:           2
        .value_kind:     hidden_group_size_z
      - .offset:         106
        .size:           2
        .value_kind:     hidden_remainder_x
      - .offset:         108
        .size:           2
        .value_kind:     hidden_remainder_y
      - .offset:         110
        .size:           2
        .value_kind:     hidden_remainder_z
      - .offset:         128
        .size:           8
        .value_kind:     hidden_global_offset_x
      - .offset:         136
        .size:           8
        .value_kind:     hidden_global_offset_y
      - .offset:         144
        .size:           8
        .value_kind:     hidden_global_offset_z
      - .offset:         152
        .size:           2
        .value_kind:     hidden_grid_dims
    .group_segment_fixed_size: 20552
    .kernarg_segment_align: 8
    .kernarg_segment_size: 344
    .language:       OpenCL C
    .language_version:
      - 2
      - 0
    .max_flat_workgroup_size: 1024
    .name:           _ZN7rocprim17ROCPRIM_400000_NS6detail17trampoline_kernelINS0_14default_configENS1_35radix_sort_onesweep_config_selectorIfNS0_10empty_typeEEEZZNS1_29radix_sort_onesweep_iterationIS3_Lb1EPfS8_PS5_S9_mNS0_19identity_decomposerENS1_16block_id_wrapperIjLb0EEEEE10hipError_tT1_PNSt15iterator_traitsISE_E10value_typeET2_T3_PNSF_ISK_E10value_typeET4_T5_PSP_SQ_PNS1_23onesweep_lookback_stateEbbT6_jjT7_P12ihipStream_tbENKUlT_T0_SE_SJ_E_clIS8_S8_S9_S9_EEDaSX_SY_SE_SJ_EUlSX_E_NS1_11comp_targetILNS1_3genE4ELNS1_11target_archE910ELNS1_3gpuE8ELNS1_3repE0EEENS1_47radix_sort_onesweep_sort_config_static_selectorELNS0_4arch9wavefront6targetE1EEEvSE_
    .private_segment_fixed_size: 0
    .sgpr_count:     35
    .sgpr_spill_count: 0
    .symbol:         _ZN7rocprim17ROCPRIM_400000_NS6detail17trampoline_kernelINS0_14default_configENS1_35radix_sort_onesweep_config_selectorIfNS0_10empty_typeEEEZZNS1_29radix_sort_onesweep_iterationIS3_Lb1EPfS8_PS5_S9_mNS0_19identity_decomposerENS1_16block_id_wrapperIjLb0EEEEE10hipError_tT1_PNSt15iterator_traitsISE_E10value_typeET2_T3_PNSF_ISK_E10value_typeET4_T5_PSP_SQ_PNS1_23onesweep_lookback_stateEbbT6_jjT7_P12ihipStream_tbENKUlT_T0_SE_SJ_E_clIS8_S8_S9_S9_EEDaSX_SY_SE_SJ_EUlSX_E_NS1_11comp_targetILNS1_3genE4ELNS1_11target_archE910ELNS1_3gpuE8ELNS1_3repE0EEENS1_47radix_sort_onesweep_sort_config_static_selectorELNS0_4arch9wavefront6targetE1EEEvSE_.kd
    .uniform_work_group_size: 1
    .uses_dynamic_stack: false
    .vgpr_count:     63
    .vgpr_spill_count: 0
    .wavefront_size: 64
  - .agpr_count:     0
    .args:
      - .offset:         0
        .size:           88
        .value_kind:     by_value
    .group_segment_fixed_size: 0
    .kernarg_segment_align: 8
    .kernarg_segment_size: 88
    .language:       OpenCL C
    .language_version:
      - 2
      - 0
    .max_flat_workgroup_size: 512
    .name:           _ZN7rocprim17ROCPRIM_400000_NS6detail17trampoline_kernelINS0_14default_configENS1_35radix_sort_onesweep_config_selectorIfNS0_10empty_typeEEEZZNS1_29radix_sort_onesweep_iterationIS3_Lb1EPfS8_PS5_S9_mNS0_19identity_decomposerENS1_16block_id_wrapperIjLb0EEEEE10hipError_tT1_PNSt15iterator_traitsISE_E10value_typeET2_T3_PNSF_ISK_E10value_typeET4_T5_PSP_SQ_PNS1_23onesweep_lookback_stateEbbT6_jjT7_P12ihipStream_tbENKUlT_T0_SE_SJ_E_clIS8_S8_S9_S9_EEDaSX_SY_SE_SJ_EUlSX_E_NS1_11comp_targetILNS1_3genE3ELNS1_11target_archE908ELNS1_3gpuE7ELNS1_3repE0EEENS1_47radix_sort_onesweep_sort_config_static_selectorELNS0_4arch9wavefront6targetE1EEEvSE_
    .private_segment_fixed_size: 0
    .sgpr_count:     4
    .sgpr_spill_count: 0
    .symbol:         _ZN7rocprim17ROCPRIM_400000_NS6detail17trampoline_kernelINS0_14default_configENS1_35radix_sort_onesweep_config_selectorIfNS0_10empty_typeEEEZZNS1_29radix_sort_onesweep_iterationIS3_Lb1EPfS8_PS5_S9_mNS0_19identity_decomposerENS1_16block_id_wrapperIjLb0EEEEE10hipError_tT1_PNSt15iterator_traitsISE_E10value_typeET2_T3_PNSF_ISK_E10value_typeET4_T5_PSP_SQ_PNS1_23onesweep_lookback_stateEbbT6_jjT7_P12ihipStream_tbENKUlT_T0_SE_SJ_E_clIS8_S8_S9_S9_EEDaSX_SY_SE_SJ_EUlSX_E_NS1_11comp_targetILNS1_3genE3ELNS1_11target_archE908ELNS1_3gpuE7ELNS1_3repE0EEENS1_47radix_sort_onesweep_sort_config_static_selectorELNS0_4arch9wavefront6targetE1EEEvSE_.kd
    .uniform_work_group_size: 1
    .uses_dynamic_stack: false
    .vgpr_count:     0
    .vgpr_spill_count: 0
    .wavefront_size: 64
  - .agpr_count:     0
    .args:
      - .offset:         0
        .size:           88
        .value_kind:     by_value
    .group_segment_fixed_size: 0
    .kernarg_segment_align: 8
    .kernarg_segment_size: 88
    .language:       OpenCL C
    .language_version:
      - 2
      - 0
    .max_flat_workgroup_size: 512
    .name:           _ZN7rocprim17ROCPRIM_400000_NS6detail17trampoline_kernelINS0_14default_configENS1_35radix_sort_onesweep_config_selectorIfNS0_10empty_typeEEEZZNS1_29radix_sort_onesweep_iterationIS3_Lb1EPfS8_PS5_S9_mNS0_19identity_decomposerENS1_16block_id_wrapperIjLb0EEEEE10hipError_tT1_PNSt15iterator_traitsISE_E10value_typeET2_T3_PNSF_ISK_E10value_typeET4_T5_PSP_SQ_PNS1_23onesweep_lookback_stateEbbT6_jjT7_P12ihipStream_tbENKUlT_T0_SE_SJ_E_clIS8_S8_S9_S9_EEDaSX_SY_SE_SJ_EUlSX_E_NS1_11comp_targetILNS1_3genE10ELNS1_11target_archE1201ELNS1_3gpuE5ELNS1_3repE0EEENS1_47radix_sort_onesweep_sort_config_static_selectorELNS0_4arch9wavefront6targetE1EEEvSE_
    .private_segment_fixed_size: 0
    .sgpr_count:     4
    .sgpr_spill_count: 0
    .symbol:         _ZN7rocprim17ROCPRIM_400000_NS6detail17trampoline_kernelINS0_14default_configENS1_35radix_sort_onesweep_config_selectorIfNS0_10empty_typeEEEZZNS1_29radix_sort_onesweep_iterationIS3_Lb1EPfS8_PS5_S9_mNS0_19identity_decomposerENS1_16block_id_wrapperIjLb0EEEEE10hipError_tT1_PNSt15iterator_traitsISE_E10value_typeET2_T3_PNSF_ISK_E10value_typeET4_T5_PSP_SQ_PNS1_23onesweep_lookback_stateEbbT6_jjT7_P12ihipStream_tbENKUlT_T0_SE_SJ_E_clIS8_S8_S9_S9_EEDaSX_SY_SE_SJ_EUlSX_E_NS1_11comp_targetILNS1_3genE10ELNS1_11target_archE1201ELNS1_3gpuE5ELNS1_3repE0EEENS1_47radix_sort_onesweep_sort_config_static_selectorELNS0_4arch9wavefront6targetE1EEEvSE_.kd
    .uniform_work_group_size: 1
    .uses_dynamic_stack: false
    .vgpr_count:     0
    .vgpr_spill_count: 0
    .wavefront_size: 64
  - .agpr_count:     0
    .args:
      - .offset:         0
        .size:           88
        .value_kind:     by_value
    .group_segment_fixed_size: 0
    .kernarg_segment_align: 8
    .kernarg_segment_size: 88
    .language:       OpenCL C
    .language_version:
      - 2
      - 0
    .max_flat_workgroup_size: 1024
    .name:           _ZN7rocprim17ROCPRIM_400000_NS6detail17trampoline_kernelINS0_14default_configENS1_35radix_sort_onesweep_config_selectorIfNS0_10empty_typeEEEZZNS1_29radix_sort_onesweep_iterationIS3_Lb1EPfS8_PS5_S9_mNS0_19identity_decomposerENS1_16block_id_wrapperIjLb0EEEEE10hipError_tT1_PNSt15iterator_traitsISE_E10value_typeET2_T3_PNSF_ISK_E10value_typeET4_T5_PSP_SQ_PNS1_23onesweep_lookback_stateEbbT6_jjT7_P12ihipStream_tbENKUlT_T0_SE_SJ_E_clIS8_S8_S9_S9_EEDaSX_SY_SE_SJ_EUlSX_E_NS1_11comp_targetILNS1_3genE9ELNS1_11target_archE1100ELNS1_3gpuE3ELNS1_3repE0EEENS1_47radix_sort_onesweep_sort_config_static_selectorELNS0_4arch9wavefront6targetE1EEEvSE_
    .private_segment_fixed_size: 0
    .sgpr_count:     4
    .sgpr_spill_count: 0
    .symbol:         _ZN7rocprim17ROCPRIM_400000_NS6detail17trampoline_kernelINS0_14default_configENS1_35radix_sort_onesweep_config_selectorIfNS0_10empty_typeEEEZZNS1_29radix_sort_onesweep_iterationIS3_Lb1EPfS8_PS5_S9_mNS0_19identity_decomposerENS1_16block_id_wrapperIjLb0EEEEE10hipError_tT1_PNSt15iterator_traitsISE_E10value_typeET2_T3_PNSF_ISK_E10value_typeET4_T5_PSP_SQ_PNS1_23onesweep_lookback_stateEbbT6_jjT7_P12ihipStream_tbENKUlT_T0_SE_SJ_E_clIS8_S8_S9_S9_EEDaSX_SY_SE_SJ_EUlSX_E_NS1_11comp_targetILNS1_3genE9ELNS1_11target_archE1100ELNS1_3gpuE3ELNS1_3repE0EEENS1_47radix_sort_onesweep_sort_config_static_selectorELNS0_4arch9wavefront6targetE1EEEvSE_.kd
    .uniform_work_group_size: 1
    .uses_dynamic_stack: false
    .vgpr_count:     0
    .vgpr_spill_count: 0
    .wavefront_size: 64
  - .agpr_count:     0
    .args:
      - .offset:         0
        .size:           88
        .value_kind:     by_value
    .group_segment_fixed_size: 0
    .kernarg_segment_align: 8
    .kernarg_segment_size: 88
    .language:       OpenCL C
    .language_version:
      - 2
      - 0
    .max_flat_workgroup_size: 1024
    .name:           _ZN7rocprim17ROCPRIM_400000_NS6detail17trampoline_kernelINS0_14default_configENS1_35radix_sort_onesweep_config_selectorIfNS0_10empty_typeEEEZZNS1_29radix_sort_onesweep_iterationIS3_Lb1EPfS8_PS5_S9_mNS0_19identity_decomposerENS1_16block_id_wrapperIjLb0EEEEE10hipError_tT1_PNSt15iterator_traitsISE_E10value_typeET2_T3_PNSF_ISK_E10value_typeET4_T5_PSP_SQ_PNS1_23onesweep_lookback_stateEbbT6_jjT7_P12ihipStream_tbENKUlT_T0_SE_SJ_E_clIS8_S8_S9_S9_EEDaSX_SY_SE_SJ_EUlSX_E_NS1_11comp_targetILNS1_3genE8ELNS1_11target_archE1030ELNS1_3gpuE2ELNS1_3repE0EEENS1_47radix_sort_onesweep_sort_config_static_selectorELNS0_4arch9wavefront6targetE1EEEvSE_
    .private_segment_fixed_size: 0
    .sgpr_count:     4
    .sgpr_spill_count: 0
    .symbol:         _ZN7rocprim17ROCPRIM_400000_NS6detail17trampoline_kernelINS0_14default_configENS1_35radix_sort_onesweep_config_selectorIfNS0_10empty_typeEEEZZNS1_29radix_sort_onesweep_iterationIS3_Lb1EPfS8_PS5_S9_mNS0_19identity_decomposerENS1_16block_id_wrapperIjLb0EEEEE10hipError_tT1_PNSt15iterator_traitsISE_E10value_typeET2_T3_PNSF_ISK_E10value_typeET4_T5_PSP_SQ_PNS1_23onesweep_lookback_stateEbbT6_jjT7_P12ihipStream_tbENKUlT_T0_SE_SJ_E_clIS8_S8_S9_S9_EEDaSX_SY_SE_SJ_EUlSX_E_NS1_11comp_targetILNS1_3genE8ELNS1_11target_archE1030ELNS1_3gpuE2ELNS1_3repE0EEENS1_47radix_sort_onesweep_sort_config_static_selectorELNS0_4arch9wavefront6targetE1EEEvSE_.kd
    .uniform_work_group_size: 1
    .uses_dynamic_stack: false
    .vgpr_count:     0
    .vgpr_spill_count: 0
    .wavefront_size: 64
  - .agpr_count:     0
    .args:
      - .offset:         0
        .size:           48
        .value_kind:     by_value
    .group_segment_fixed_size: 0
    .kernarg_segment_align: 8
    .kernarg_segment_size: 48
    .language:       OpenCL C
    .language_version:
      - 2
      - 0
    .max_flat_workgroup_size: 256
    .name:           _ZN7rocprim17ROCPRIM_400000_NS6detail17trampoline_kernelINS0_13kernel_configILj256ELj4ELj4294967295EEENS1_37radix_sort_block_sort_config_selectorIdNS0_10empty_typeEEEZNS1_21radix_sort_block_sortIS4_Lb1EPdS9_PS6_SA_NS0_19identity_decomposerEEE10hipError_tT1_T2_T3_T4_jRjT5_jjP12ihipStream_tbEUlT_E_NS1_11comp_targetILNS1_3genE0ELNS1_11target_archE4294967295ELNS1_3gpuE0ELNS1_3repE0EEENS1_44radix_sort_block_sort_config_static_selectorELNS0_4arch9wavefront6targetE1EEEvSD_
    .private_segment_fixed_size: 0
    .sgpr_count:     4
    .sgpr_spill_count: 0
    .symbol:         _ZN7rocprim17ROCPRIM_400000_NS6detail17trampoline_kernelINS0_13kernel_configILj256ELj4ELj4294967295EEENS1_37radix_sort_block_sort_config_selectorIdNS0_10empty_typeEEEZNS1_21radix_sort_block_sortIS4_Lb1EPdS9_PS6_SA_NS0_19identity_decomposerEEE10hipError_tT1_T2_T3_T4_jRjT5_jjP12ihipStream_tbEUlT_E_NS1_11comp_targetILNS1_3genE0ELNS1_11target_archE4294967295ELNS1_3gpuE0ELNS1_3repE0EEENS1_44radix_sort_block_sort_config_static_selectorELNS0_4arch9wavefront6targetE1EEEvSD_.kd
    .uniform_work_group_size: 1
    .uses_dynamic_stack: false
    .vgpr_count:     0
    .vgpr_spill_count: 0
    .wavefront_size: 64
  - .agpr_count:     0
    .args:
      - .offset:         0
        .size:           48
        .value_kind:     by_value
    .group_segment_fixed_size: 0
    .kernarg_segment_align: 8
    .kernarg_segment_size: 48
    .language:       OpenCL C
    .language_version:
      - 2
      - 0
    .max_flat_workgroup_size: 256
    .name:           _ZN7rocprim17ROCPRIM_400000_NS6detail17trampoline_kernelINS0_13kernel_configILj256ELj4ELj4294967295EEENS1_37radix_sort_block_sort_config_selectorIdNS0_10empty_typeEEEZNS1_21radix_sort_block_sortIS4_Lb1EPdS9_PS6_SA_NS0_19identity_decomposerEEE10hipError_tT1_T2_T3_T4_jRjT5_jjP12ihipStream_tbEUlT_E_NS1_11comp_targetILNS1_3genE5ELNS1_11target_archE942ELNS1_3gpuE9ELNS1_3repE0EEENS1_44radix_sort_block_sort_config_static_selectorELNS0_4arch9wavefront6targetE1EEEvSD_
    .private_segment_fixed_size: 0
    .sgpr_count:     4
    .sgpr_spill_count: 0
    .symbol:         _ZN7rocprim17ROCPRIM_400000_NS6detail17trampoline_kernelINS0_13kernel_configILj256ELj4ELj4294967295EEENS1_37radix_sort_block_sort_config_selectorIdNS0_10empty_typeEEEZNS1_21radix_sort_block_sortIS4_Lb1EPdS9_PS6_SA_NS0_19identity_decomposerEEE10hipError_tT1_T2_T3_T4_jRjT5_jjP12ihipStream_tbEUlT_E_NS1_11comp_targetILNS1_3genE5ELNS1_11target_archE942ELNS1_3gpuE9ELNS1_3repE0EEENS1_44radix_sort_block_sort_config_static_selectorELNS0_4arch9wavefront6targetE1EEEvSD_.kd
    .uniform_work_group_size: 1
    .uses_dynamic_stack: false
    .vgpr_count:     0
    .vgpr_spill_count: 0
    .wavefront_size: 64
  - .agpr_count:     0
    .args:
      - .offset:         0
        .size:           48
        .value_kind:     by_value
      - .offset:         48
        .size:           4
        .value_kind:     hidden_block_count_x
      - .offset:         52
        .size:           4
        .value_kind:     hidden_block_count_y
      - .offset:         56
        .size:           4
        .value_kind:     hidden_block_count_z
      - .offset:         60
        .size:           2
        .value_kind:     hidden_group_size_x
      - .offset:         62
        .size:           2
        .value_kind:     hidden_group_size_y
      - .offset:         64
        .size:           2
        .value_kind:     hidden_group_size_z
      - .offset:         66
        .size:           2
        .value_kind:     hidden_remainder_x
      - .offset:         68
        .size:           2
        .value_kind:     hidden_remainder_y
      - .offset:         70
        .size:           2
        .value_kind:     hidden_remainder_z
      - .offset:         88
        .size:           8
        .value_kind:     hidden_global_offset_x
      - .offset:         96
        .size:           8
        .value_kind:     hidden_global_offset_y
      - .offset:         104
        .size:           8
        .value_kind:     hidden_global_offset_z
      - .offset:         112
        .size:           2
        .value_kind:     hidden_grid_dims
    .group_segment_fixed_size: 8192
    .kernarg_segment_align: 8
    .kernarg_segment_size: 304
    .language:       OpenCL C
    .language_version:
      - 2
      - 0
    .max_flat_workgroup_size: 256
    .name:           _ZN7rocprim17ROCPRIM_400000_NS6detail17trampoline_kernelINS0_13kernel_configILj256ELj4ELj4294967295EEENS1_37radix_sort_block_sort_config_selectorIdNS0_10empty_typeEEEZNS1_21radix_sort_block_sortIS4_Lb1EPdS9_PS6_SA_NS0_19identity_decomposerEEE10hipError_tT1_T2_T3_T4_jRjT5_jjP12ihipStream_tbEUlT_E_NS1_11comp_targetILNS1_3genE4ELNS1_11target_archE910ELNS1_3gpuE8ELNS1_3repE0EEENS1_44radix_sort_block_sort_config_static_selectorELNS0_4arch9wavefront6targetE1EEEvSD_
    .private_segment_fixed_size: 0
    .sgpr_count:     50
    .sgpr_spill_count: 0
    .symbol:         _ZN7rocprim17ROCPRIM_400000_NS6detail17trampoline_kernelINS0_13kernel_configILj256ELj4ELj4294967295EEENS1_37radix_sort_block_sort_config_selectorIdNS0_10empty_typeEEEZNS1_21radix_sort_block_sortIS4_Lb1EPdS9_PS6_SA_NS0_19identity_decomposerEEE10hipError_tT1_T2_T3_T4_jRjT5_jjP12ihipStream_tbEUlT_E_NS1_11comp_targetILNS1_3genE4ELNS1_11target_archE910ELNS1_3gpuE8ELNS1_3repE0EEENS1_44radix_sort_block_sort_config_static_selectorELNS0_4arch9wavefront6targetE1EEEvSD_.kd
    .uniform_work_group_size: 1
    .uses_dynamic_stack: false
    .vgpr_count:     42
    .vgpr_spill_count: 0
    .wavefront_size: 64
  - .agpr_count:     0
    .args:
      - .offset:         0
        .size:           48
        .value_kind:     by_value
    .group_segment_fixed_size: 0
    .kernarg_segment_align: 8
    .kernarg_segment_size: 48
    .language:       OpenCL C
    .language_version:
      - 2
      - 0
    .max_flat_workgroup_size: 256
    .name:           _ZN7rocprim17ROCPRIM_400000_NS6detail17trampoline_kernelINS0_13kernel_configILj256ELj4ELj4294967295EEENS1_37radix_sort_block_sort_config_selectorIdNS0_10empty_typeEEEZNS1_21radix_sort_block_sortIS4_Lb1EPdS9_PS6_SA_NS0_19identity_decomposerEEE10hipError_tT1_T2_T3_T4_jRjT5_jjP12ihipStream_tbEUlT_E_NS1_11comp_targetILNS1_3genE3ELNS1_11target_archE908ELNS1_3gpuE7ELNS1_3repE0EEENS1_44radix_sort_block_sort_config_static_selectorELNS0_4arch9wavefront6targetE1EEEvSD_
    .private_segment_fixed_size: 0
    .sgpr_count:     4
    .sgpr_spill_count: 0
    .symbol:         _ZN7rocprim17ROCPRIM_400000_NS6detail17trampoline_kernelINS0_13kernel_configILj256ELj4ELj4294967295EEENS1_37radix_sort_block_sort_config_selectorIdNS0_10empty_typeEEEZNS1_21radix_sort_block_sortIS4_Lb1EPdS9_PS6_SA_NS0_19identity_decomposerEEE10hipError_tT1_T2_T3_T4_jRjT5_jjP12ihipStream_tbEUlT_E_NS1_11comp_targetILNS1_3genE3ELNS1_11target_archE908ELNS1_3gpuE7ELNS1_3repE0EEENS1_44radix_sort_block_sort_config_static_selectorELNS0_4arch9wavefront6targetE1EEEvSD_.kd
    .uniform_work_group_size: 1
    .uses_dynamic_stack: false
    .vgpr_count:     0
    .vgpr_spill_count: 0
    .wavefront_size: 64
  - .agpr_count:     0
    .args:
      - .offset:         0
        .size:           48
        .value_kind:     by_value
    .group_segment_fixed_size: 0
    .kernarg_segment_align: 8
    .kernarg_segment_size: 48
    .language:       OpenCL C
    .language_version:
      - 2
      - 0
    .max_flat_workgroup_size: 256
    .name:           _ZN7rocprim17ROCPRIM_400000_NS6detail17trampoline_kernelINS0_13kernel_configILj256ELj4ELj4294967295EEENS1_37radix_sort_block_sort_config_selectorIdNS0_10empty_typeEEEZNS1_21radix_sort_block_sortIS4_Lb1EPdS9_PS6_SA_NS0_19identity_decomposerEEE10hipError_tT1_T2_T3_T4_jRjT5_jjP12ihipStream_tbEUlT_E_NS1_11comp_targetILNS1_3genE2ELNS1_11target_archE906ELNS1_3gpuE6ELNS1_3repE0EEENS1_44radix_sort_block_sort_config_static_selectorELNS0_4arch9wavefront6targetE1EEEvSD_
    .private_segment_fixed_size: 0
    .sgpr_count:     4
    .sgpr_spill_count: 0
    .symbol:         _ZN7rocprim17ROCPRIM_400000_NS6detail17trampoline_kernelINS0_13kernel_configILj256ELj4ELj4294967295EEENS1_37radix_sort_block_sort_config_selectorIdNS0_10empty_typeEEEZNS1_21radix_sort_block_sortIS4_Lb1EPdS9_PS6_SA_NS0_19identity_decomposerEEE10hipError_tT1_T2_T3_T4_jRjT5_jjP12ihipStream_tbEUlT_E_NS1_11comp_targetILNS1_3genE2ELNS1_11target_archE906ELNS1_3gpuE6ELNS1_3repE0EEENS1_44radix_sort_block_sort_config_static_selectorELNS0_4arch9wavefront6targetE1EEEvSD_.kd
    .uniform_work_group_size: 1
    .uses_dynamic_stack: false
    .vgpr_count:     0
    .vgpr_spill_count: 0
    .wavefront_size: 64
  - .agpr_count:     0
    .args:
      - .offset:         0
        .size:           48
        .value_kind:     by_value
    .group_segment_fixed_size: 0
    .kernarg_segment_align: 8
    .kernarg_segment_size: 48
    .language:       OpenCL C
    .language_version:
      - 2
      - 0
    .max_flat_workgroup_size: 256
    .name:           _ZN7rocprim17ROCPRIM_400000_NS6detail17trampoline_kernelINS0_13kernel_configILj256ELj4ELj4294967295EEENS1_37radix_sort_block_sort_config_selectorIdNS0_10empty_typeEEEZNS1_21radix_sort_block_sortIS4_Lb1EPdS9_PS6_SA_NS0_19identity_decomposerEEE10hipError_tT1_T2_T3_T4_jRjT5_jjP12ihipStream_tbEUlT_E_NS1_11comp_targetILNS1_3genE10ELNS1_11target_archE1201ELNS1_3gpuE5ELNS1_3repE0EEENS1_44radix_sort_block_sort_config_static_selectorELNS0_4arch9wavefront6targetE1EEEvSD_
    .private_segment_fixed_size: 0
    .sgpr_count:     4
    .sgpr_spill_count: 0
    .symbol:         _ZN7rocprim17ROCPRIM_400000_NS6detail17trampoline_kernelINS0_13kernel_configILj256ELj4ELj4294967295EEENS1_37radix_sort_block_sort_config_selectorIdNS0_10empty_typeEEEZNS1_21radix_sort_block_sortIS4_Lb1EPdS9_PS6_SA_NS0_19identity_decomposerEEE10hipError_tT1_T2_T3_T4_jRjT5_jjP12ihipStream_tbEUlT_E_NS1_11comp_targetILNS1_3genE10ELNS1_11target_archE1201ELNS1_3gpuE5ELNS1_3repE0EEENS1_44radix_sort_block_sort_config_static_selectorELNS0_4arch9wavefront6targetE1EEEvSD_.kd
    .uniform_work_group_size: 1
    .uses_dynamic_stack: false
    .vgpr_count:     0
    .vgpr_spill_count: 0
    .wavefront_size: 64
  - .agpr_count:     0
    .args:
      - .offset:         0
        .size:           48
        .value_kind:     by_value
    .group_segment_fixed_size: 0
    .kernarg_segment_align: 8
    .kernarg_segment_size: 48
    .language:       OpenCL C
    .language_version:
      - 2
      - 0
    .max_flat_workgroup_size: 256
    .name:           _ZN7rocprim17ROCPRIM_400000_NS6detail17trampoline_kernelINS0_13kernel_configILj256ELj4ELj4294967295EEENS1_37radix_sort_block_sort_config_selectorIdNS0_10empty_typeEEEZNS1_21radix_sort_block_sortIS4_Lb1EPdS9_PS6_SA_NS0_19identity_decomposerEEE10hipError_tT1_T2_T3_T4_jRjT5_jjP12ihipStream_tbEUlT_E_NS1_11comp_targetILNS1_3genE10ELNS1_11target_archE1200ELNS1_3gpuE4ELNS1_3repE0EEENS1_44radix_sort_block_sort_config_static_selectorELNS0_4arch9wavefront6targetE1EEEvSD_
    .private_segment_fixed_size: 0
    .sgpr_count:     4
    .sgpr_spill_count: 0
    .symbol:         _ZN7rocprim17ROCPRIM_400000_NS6detail17trampoline_kernelINS0_13kernel_configILj256ELj4ELj4294967295EEENS1_37radix_sort_block_sort_config_selectorIdNS0_10empty_typeEEEZNS1_21radix_sort_block_sortIS4_Lb1EPdS9_PS6_SA_NS0_19identity_decomposerEEE10hipError_tT1_T2_T3_T4_jRjT5_jjP12ihipStream_tbEUlT_E_NS1_11comp_targetILNS1_3genE10ELNS1_11target_archE1200ELNS1_3gpuE4ELNS1_3repE0EEENS1_44radix_sort_block_sort_config_static_selectorELNS0_4arch9wavefront6targetE1EEEvSD_.kd
    .uniform_work_group_size: 1
    .uses_dynamic_stack: false
    .vgpr_count:     0
    .vgpr_spill_count: 0
    .wavefront_size: 64
  - .agpr_count:     0
    .args:
      - .offset:         0
        .size:           48
        .value_kind:     by_value
    .group_segment_fixed_size: 0
    .kernarg_segment_align: 8
    .kernarg_segment_size: 48
    .language:       OpenCL C
    .language_version:
      - 2
      - 0
    .max_flat_workgroup_size: 256
    .name:           _ZN7rocprim17ROCPRIM_400000_NS6detail17trampoline_kernelINS0_13kernel_configILj256ELj4ELj4294967295EEENS1_37radix_sort_block_sort_config_selectorIdNS0_10empty_typeEEEZNS1_21radix_sort_block_sortIS4_Lb1EPdS9_PS6_SA_NS0_19identity_decomposerEEE10hipError_tT1_T2_T3_T4_jRjT5_jjP12ihipStream_tbEUlT_E_NS1_11comp_targetILNS1_3genE9ELNS1_11target_archE1100ELNS1_3gpuE3ELNS1_3repE0EEENS1_44radix_sort_block_sort_config_static_selectorELNS0_4arch9wavefront6targetE1EEEvSD_
    .private_segment_fixed_size: 0
    .sgpr_count:     4
    .sgpr_spill_count: 0
    .symbol:         _ZN7rocprim17ROCPRIM_400000_NS6detail17trampoline_kernelINS0_13kernel_configILj256ELj4ELj4294967295EEENS1_37radix_sort_block_sort_config_selectorIdNS0_10empty_typeEEEZNS1_21radix_sort_block_sortIS4_Lb1EPdS9_PS6_SA_NS0_19identity_decomposerEEE10hipError_tT1_T2_T3_T4_jRjT5_jjP12ihipStream_tbEUlT_E_NS1_11comp_targetILNS1_3genE9ELNS1_11target_archE1100ELNS1_3gpuE3ELNS1_3repE0EEENS1_44radix_sort_block_sort_config_static_selectorELNS0_4arch9wavefront6targetE1EEEvSD_.kd
    .uniform_work_group_size: 1
    .uses_dynamic_stack: false
    .vgpr_count:     0
    .vgpr_spill_count: 0
    .wavefront_size: 64
  - .agpr_count:     0
    .args:
      - .offset:         0
        .size:           48
        .value_kind:     by_value
    .group_segment_fixed_size: 0
    .kernarg_segment_align: 8
    .kernarg_segment_size: 48
    .language:       OpenCL C
    .language_version:
      - 2
      - 0
    .max_flat_workgroup_size: 256
    .name:           _ZN7rocprim17ROCPRIM_400000_NS6detail17trampoline_kernelINS0_13kernel_configILj256ELj4ELj4294967295EEENS1_37radix_sort_block_sort_config_selectorIdNS0_10empty_typeEEEZNS1_21radix_sort_block_sortIS4_Lb1EPdS9_PS6_SA_NS0_19identity_decomposerEEE10hipError_tT1_T2_T3_T4_jRjT5_jjP12ihipStream_tbEUlT_E_NS1_11comp_targetILNS1_3genE8ELNS1_11target_archE1030ELNS1_3gpuE2ELNS1_3repE0EEENS1_44radix_sort_block_sort_config_static_selectorELNS0_4arch9wavefront6targetE1EEEvSD_
    .private_segment_fixed_size: 0
    .sgpr_count:     4
    .sgpr_spill_count: 0
    .symbol:         _ZN7rocprim17ROCPRIM_400000_NS6detail17trampoline_kernelINS0_13kernel_configILj256ELj4ELj4294967295EEENS1_37radix_sort_block_sort_config_selectorIdNS0_10empty_typeEEEZNS1_21radix_sort_block_sortIS4_Lb1EPdS9_PS6_SA_NS0_19identity_decomposerEEE10hipError_tT1_T2_T3_T4_jRjT5_jjP12ihipStream_tbEUlT_E_NS1_11comp_targetILNS1_3genE8ELNS1_11target_archE1030ELNS1_3gpuE2ELNS1_3repE0EEENS1_44radix_sort_block_sort_config_static_selectorELNS0_4arch9wavefront6targetE1EEEvSD_.kd
    .uniform_work_group_size: 1
    .uses_dynamic_stack: false
    .vgpr_count:     0
    .vgpr_spill_count: 0
    .wavefront_size: 64
  - .agpr_count:     0
    .args:
      - .offset:         0
        .size:           40
        .value_kind:     by_value
    .group_segment_fixed_size: 0
    .kernarg_segment_align: 8
    .kernarg_segment_size: 40
    .language:       OpenCL C
    .language_version:
      - 2
      - 0
    .max_flat_workgroup_size: 128
    .name:           _ZN7rocprim17ROCPRIM_400000_NS6detail17trampoline_kernelINS0_14default_configENS1_38merge_sort_block_merge_config_selectorIdNS0_10empty_typeEEEZZNS1_27merge_sort_block_merge_implIS3_PdPS5_jNS1_19radix_merge_compareILb1ELb0EdNS0_19identity_decomposerEEEEE10hipError_tT0_T1_T2_jT3_P12ihipStream_tbPNSt15iterator_traitsISE_E10value_typeEPNSK_ISF_E10value_typeEPSG_NS1_7vsmem_tEENKUlT_SE_SF_SG_E_clIS8_S8_S9_S9_EESD_ST_SE_SF_SG_EUlST_E_NS1_11comp_targetILNS1_3genE0ELNS1_11target_archE4294967295ELNS1_3gpuE0ELNS1_3repE0EEENS1_48merge_mergepath_partition_config_static_selectorELNS0_4arch9wavefront6targetE1EEEvSF_
    .private_segment_fixed_size: 0
    .sgpr_count:     4
    .sgpr_spill_count: 0
    .symbol:         _ZN7rocprim17ROCPRIM_400000_NS6detail17trampoline_kernelINS0_14default_configENS1_38merge_sort_block_merge_config_selectorIdNS0_10empty_typeEEEZZNS1_27merge_sort_block_merge_implIS3_PdPS5_jNS1_19radix_merge_compareILb1ELb0EdNS0_19identity_decomposerEEEEE10hipError_tT0_T1_T2_jT3_P12ihipStream_tbPNSt15iterator_traitsISE_E10value_typeEPNSK_ISF_E10value_typeEPSG_NS1_7vsmem_tEENKUlT_SE_SF_SG_E_clIS8_S8_S9_S9_EESD_ST_SE_SF_SG_EUlST_E_NS1_11comp_targetILNS1_3genE0ELNS1_11target_archE4294967295ELNS1_3gpuE0ELNS1_3repE0EEENS1_48merge_mergepath_partition_config_static_selectorELNS0_4arch9wavefront6targetE1EEEvSF_.kd
    .uniform_work_group_size: 1
    .uses_dynamic_stack: false
    .vgpr_count:     0
    .vgpr_spill_count: 0
    .wavefront_size: 64
  - .agpr_count:     0
    .args:
      - .offset:         0
        .size:           40
        .value_kind:     by_value
    .group_segment_fixed_size: 0
    .kernarg_segment_align: 8
    .kernarg_segment_size: 40
    .language:       OpenCL C
    .language_version:
      - 2
      - 0
    .max_flat_workgroup_size: 128
    .name:           _ZN7rocprim17ROCPRIM_400000_NS6detail17trampoline_kernelINS0_14default_configENS1_38merge_sort_block_merge_config_selectorIdNS0_10empty_typeEEEZZNS1_27merge_sort_block_merge_implIS3_PdPS5_jNS1_19radix_merge_compareILb1ELb0EdNS0_19identity_decomposerEEEEE10hipError_tT0_T1_T2_jT3_P12ihipStream_tbPNSt15iterator_traitsISE_E10value_typeEPNSK_ISF_E10value_typeEPSG_NS1_7vsmem_tEENKUlT_SE_SF_SG_E_clIS8_S8_S9_S9_EESD_ST_SE_SF_SG_EUlST_E_NS1_11comp_targetILNS1_3genE10ELNS1_11target_archE1201ELNS1_3gpuE5ELNS1_3repE0EEENS1_48merge_mergepath_partition_config_static_selectorELNS0_4arch9wavefront6targetE1EEEvSF_
    .private_segment_fixed_size: 0
    .sgpr_count:     4
    .sgpr_spill_count: 0
    .symbol:         _ZN7rocprim17ROCPRIM_400000_NS6detail17trampoline_kernelINS0_14default_configENS1_38merge_sort_block_merge_config_selectorIdNS0_10empty_typeEEEZZNS1_27merge_sort_block_merge_implIS3_PdPS5_jNS1_19radix_merge_compareILb1ELb0EdNS0_19identity_decomposerEEEEE10hipError_tT0_T1_T2_jT3_P12ihipStream_tbPNSt15iterator_traitsISE_E10value_typeEPNSK_ISF_E10value_typeEPSG_NS1_7vsmem_tEENKUlT_SE_SF_SG_E_clIS8_S8_S9_S9_EESD_ST_SE_SF_SG_EUlST_E_NS1_11comp_targetILNS1_3genE10ELNS1_11target_archE1201ELNS1_3gpuE5ELNS1_3repE0EEENS1_48merge_mergepath_partition_config_static_selectorELNS0_4arch9wavefront6targetE1EEEvSF_.kd
    .uniform_work_group_size: 1
    .uses_dynamic_stack: false
    .vgpr_count:     0
    .vgpr_spill_count: 0
    .wavefront_size: 64
  - .agpr_count:     0
    .args:
      - .offset:         0
        .size:           40
        .value_kind:     by_value
    .group_segment_fixed_size: 0
    .kernarg_segment_align: 8
    .kernarg_segment_size: 40
    .language:       OpenCL C
    .language_version:
      - 2
      - 0
    .max_flat_workgroup_size: 128
    .name:           _ZN7rocprim17ROCPRIM_400000_NS6detail17trampoline_kernelINS0_14default_configENS1_38merge_sort_block_merge_config_selectorIdNS0_10empty_typeEEEZZNS1_27merge_sort_block_merge_implIS3_PdPS5_jNS1_19radix_merge_compareILb1ELb0EdNS0_19identity_decomposerEEEEE10hipError_tT0_T1_T2_jT3_P12ihipStream_tbPNSt15iterator_traitsISE_E10value_typeEPNSK_ISF_E10value_typeEPSG_NS1_7vsmem_tEENKUlT_SE_SF_SG_E_clIS8_S8_S9_S9_EESD_ST_SE_SF_SG_EUlST_E_NS1_11comp_targetILNS1_3genE5ELNS1_11target_archE942ELNS1_3gpuE9ELNS1_3repE0EEENS1_48merge_mergepath_partition_config_static_selectorELNS0_4arch9wavefront6targetE1EEEvSF_
    .private_segment_fixed_size: 0
    .sgpr_count:     4
    .sgpr_spill_count: 0
    .symbol:         _ZN7rocprim17ROCPRIM_400000_NS6detail17trampoline_kernelINS0_14default_configENS1_38merge_sort_block_merge_config_selectorIdNS0_10empty_typeEEEZZNS1_27merge_sort_block_merge_implIS3_PdPS5_jNS1_19radix_merge_compareILb1ELb0EdNS0_19identity_decomposerEEEEE10hipError_tT0_T1_T2_jT3_P12ihipStream_tbPNSt15iterator_traitsISE_E10value_typeEPNSK_ISF_E10value_typeEPSG_NS1_7vsmem_tEENKUlT_SE_SF_SG_E_clIS8_S8_S9_S9_EESD_ST_SE_SF_SG_EUlST_E_NS1_11comp_targetILNS1_3genE5ELNS1_11target_archE942ELNS1_3gpuE9ELNS1_3repE0EEENS1_48merge_mergepath_partition_config_static_selectorELNS0_4arch9wavefront6targetE1EEEvSF_.kd
    .uniform_work_group_size: 1
    .uses_dynamic_stack: false
    .vgpr_count:     0
    .vgpr_spill_count: 0
    .wavefront_size: 64
  - .agpr_count:     0
    .args:
      - .offset:         0
        .size:           40
        .value_kind:     by_value
    .group_segment_fixed_size: 0
    .kernarg_segment_align: 8
    .kernarg_segment_size: 40
    .language:       OpenCL C
    .language_version:
      - 2
      - 0
    .max_flat_workgroup_size: 128
    .name:           _ZN7rocprim17ROCPRIM_400000_NS6detail17trampoline_kernelINS0_14default_configENS1_38merge_sort_block_merge_config_selectorIdNS0_10empty_typeEEEZZNS1_27merge_sort_block_merge_implIS3_PdPS5_jNS1_19radix_merge_compareILb1ELb0EdNS0_19identity_decomposerEEEEE10hipError_tT0_T1_T2_jT3_P12ihipStream_tbPNSt15iterator_traitsISE_E10value_typeEPNSK_ISF_E10value_typeEPSG_NS1_7vsmem_tEENKUlT_SE_SF_SG_E_clIS8_S8_S9_S9_EESD_ST_SE_SF_SG_EUlST_E_NS1_11comp_targetILNS1_3genE4ELNS1_11target_archE910ELNS1_3gpuE8ELNS1_3repE0EEENS1_48merge_mergepath_partition_config_static_selectorELNS0_4arch9wavefront6targetE1EEEvSF_
    .private_segment_fixed_size: 0
    .sgpr_count:     12
    .sgpr_spill_count: 0
    .symbol:         _ZN7rocprim17ROCPRIM_400000_NS6detail17trampoline_kernelINS0_14default_configENS1_38merge_sort_block_merge_config_selectorIdNS0_10empty_typeEEEZZNS1_27merge_sort_block_merge_implIS3_PdPS5_jNS1_19radix_merge_compareILb1ELb0EdNS0_19identity_decomposerEEEEE10hipError_tT0_T1_T2_jT3_P12ihipStream_tbPNSt15iterator_traitsISE_E10value_typeEPNSK_ISF_E10value_typeEPSG_NS1_7vsmem_tEENKUlT_SE_SF_SG_E_clIS8_S8_S9_S9_EESD_ST_SE_SF_SG_EUlST_E_NS1_11comp_targetILNS1_3genE4ELNS1_11target_archE910ELNS1_3gpuE8ELNS1_3repE0EEENS1_48merge_mergepath_partition_config_static_selectorELNS0_4arch9wavefront6targetE1EEEvSF_.kd
    .uniform_work_group_size: 1
    .uses_dynamic_stack: false
    .vgpr_count:     20
    .vgpr_spill_count: 0
    .wavefront_size: 64
  - .agpr_count:     0
    .args:
      - .offset:         0
        .size:           40
        .value_kind:     by_value
    .group_segment_fixed_size: 0
    .kernarg_segment_align: 8
    .kernarg_segment_size: 40
    .language:       OpenCL C
    .language_version:
      - 2
      - 0
    .max_flat_workgroup_size: 128
    .name:           _ZN7rocprim17ROCPRIM_400000_NS6detail17trampoline_kernelINS0_14default_configENS1_38merge_sort_block_merge_config_selectorIdNS0_10empty_typeEEEZZNS1_27merge_sort_block_merge_implIS3_PdPS5_jNS1_19radix_merge_compareILb1ELb0EdNS0_19identity_decomposerEEEEE10hipError_tT0_T1_T2_jT3_P12ihipStream_tbPNSt15iterator_traitsISE_E10value_typeEPNSK_ISF_E10value_typeEPSG_NS1_7vsmem_tEENKUlT_SE_SF_SG_E_clIS8_S8_S9_S9_EESD_ST_SE_SF_SG_EUlST_E_NS1_11comp_targetILNS1_3genE3ELNS1_11target_archE908ELNS1_3gpuE7ELNS1_3repE0EEENS1_48merge_mergepath_partition_config_static_selectorELNS0_4arch9wavefront6targetE1EEEvSF_
    .private_segment_fixed_size: 0
    .sgpr_count:     4
    .sgpr_spill_count: 0
    .symbol:         _ZN7rocprim17ROCPRIM_400000_NS6detail17trampoline_kernelINS0_14default_configENS1_38merge_sort_block_merge_config_selectorIdNS0_10empty_typeEEEZZNS1_27merge_sort_block_merge_implIS3_PdPS5_jNS1_19radix_merge_compareILb1ELb0EdNS0_19identity_decomposerEEEEE10hipError_tT0_T1_T2_jT3_P12ihipStream_tbPNSt15iterator_traitsISE_E10value_typeEPNSK_ISF_E10value_typeEPSG_NS1_7vsmem_tEENKUlT_SE_SF_SG_E_clIS8_S8_S9_S9_EESD_ST_SE_SF_SG_EUlST_E_NS1_11comp_targetILNS1_3genE3ELNS1_11target_archE908ELNS1_3gpuE7ELNS1_3repE0EEENS1_48merge_mergepath_partition_config_static_selectorELNS0_4arch9wavefront6targetE1EEEvSF_.kd
    .uniform_work_group_size: 1
    .uses_dynamic_stack: false
    .vgpr_count:     0
    .vgpr_spill_count: 0
    .wavefront_size: 64
  - .agpr_count:     0
    .args:
      - .offset:         0
        .size:           40
        .value_kind:     by_value
    .group_segment_fixed_size: 0
    .kernarg_segment_align: 8
    .kernarg_segment_size: 40
    .language:       OpenCL C
    .language_version:
      - 2
      - 0
    .max_flat_workgroup_size: 128
    .name:           _ZN7rocprim17ROCPRIM_400000_NS6detail17trampoline_kernelINS0_14default_configENS1_38merge_sort_block_merge_config_selectorIdNS0_10empty_typeEEEZZNS1_27merge_sort_block_merge_implIS3_PdPS5_jNS1_19radix_merge_compareILb1ELb0EdNS0_19identity_decomposerEEEEE10hipError_tT0_T1_T2_jT3_P12ihipStream_tbPNSt15iterator_traitsISE_E10value_typeEPNSK_ISF_E10value_typeEPSG_NS1_7vsmem_tEENKUlT_SE_SF_SG_E_clIS8_S8_S9_S9_EESD_ST_SE_SF_SG_EUlST_E_NS1_11comp_targetILNS1_3genE2ELNS1_11target_archE906ELNS1_3gpuE6ELNS1_3repE0EEENS1_48merge_mergepath_partition_config_static_selectorELNS0_4arch9wavefront6targetE1EEEvSF_
    .private_segment_fixed_size: 0
    .sgpr_count:     4
    .sgpr_spill_count: 0
    .symbol:         _ZN7rocprim17ROCPRIM_400000_NS6detail17trampoline_kernelINS0_14default_configENS1_38merge_sort_block_merge_config_selectorIdNS0_10empty_typeEEEZZNS1_27merge_sort_block_merge_implIS3_PdPS5_jNS1_19radix_merge_compareILb1ELb0EdNS0_19identity_decomposerEEEEE10hipError_tT0_T1_T2_jT3_P12ihipStream_tbPNSt15iterator_traitsISE_E10value_typeEPNSK_ISF_E10value_typeEPSG_NS1_7vsmem_tEENKUlT_SE_SF_SG_E_clIS8_S8_S9_S9_EESD_ST_SE_SF_SG_EUlST_E_NS1_11comp_targetILNS1_3genE2ELNS1_11target_archE906ELNS1_3gpuE6ELNS1_3repE0EEENS1_48merge_mergepath_partition_config_static_selectorELNS0_4arch9wavefront6targetE1EEEvSF_.kd
    .uniform_work_group_size: 1
    .uses_dynamic_stack: false
    .vgpr_count:     0
    .vgpr_spill_count: 0
    .wavefront_size: 64
  - .agpr_count:     0
    .args:
      - .offset:         0
        .size:           40
        .value_kind:     by_value
    .group_segment_fixed_size: 0
    .kernarg_segment_align: 8
    .kernarg_segment_size: 40
    .language:       OpenCL C
    .language_version:
      - 2
      - 0
    .max_flat_workgroup_size: 128
    .name:           _ZN7rocprim17ROCPRIM_400000_NS6detail17trampoline_kernelINS0_14default_configENS1_38merge_sort_block_merge_config_selectorIdNS0_10empty_typeEEEZZNS1_27merge_sort_block_merge_implIS3_PdPS5_jNS1_19radix_merge_compareILb1ELb0EdNS0_19identity_decomposerEEEEE10hipError_tT0_T1_T2_jT3_P12ihipStream_tbPNSt15iterator_traitsISE_E10value_typeEPNSK_ISF_E10value_typeEPSG_NS1_7vsmem_tEENKUlT_SE_SF_SG_E_clIS8_S8_S9_S9_EESD_ST_SE_SF_SG_EUlST_E_NS1_11comp_targetILNS1_3genE9ELNS1_11target_archE1100ELNS1_3gpuE3ELNS1_3repE0EEENS1_48merge_mergepath_partition_config_static_selectorELNS0_4arch9wavefront6targetE1EEEvSF_
    .private_segment_fixed_size: 0
    .sgpr_count:     4
    .sgpr_spill_count: 0
    .symbol:         _ZN7rocprim17ROCPRIM_400000_NS6detail17trampoline_kernelINS0_14default_configENS1_38merge_sort_block_merge_config_selectorIdNS0_10empty_typeEEEZZNS1_27merge_sort_block_merge_implIS3_PdPS5_jNS1_19radix_merge_compareILb1ELb0EdNS0_19identity_decomposerEEEEE10hipError_tT0_T1_T2_jT3_P12ihipStream_tbPNSt15iterator_traitsISE_E10value_typeEPNSK_ISF_E10value_typeEPSG_NS1_7vsmem_tEENKUlT_SE_SF_SG_E_clIS8_S8_S9_S9_EESD_ST_SE_SF_SG_EUlST_E_NS1_11comp_targetILNS1_3genE9ELNS1_11target_archE1100ELNS1_3gpuE3ELNS1_3repE0EEENS1_48merge_mergepath_partition_config_static_selectorELNS0_4arch9wavefront6targetE1EEEvSF_.kd
    .uniform_work_group_size: 1
    .uses_dynamic_stack: false
    .vgpr_count:     0
    .vgpr_spill_count: 0
    .wavefront_size: 64
  - .agpr_count:     0
    .args:
      - .offset:         0
        .size:           40
        .value_kind:     by_value
    .group_segment_fixed_size: 0
    .kernarg_segment_align: 8
    .kernarg_segment_size: 40
    .language:       OpenCL C
    .language_version:
      - 2
      - 0
    .max_flat_workgroup_size: 128
    .name:           _ZN7rocprim17ROCPRIM_400000_NS6detail17trampoline_kernelINS0_14default_configENS1_38merge_sort_block_merge_config_selectorIdNS0_10empty_typeEEEZZNS1_27merge_sort_block_merge_implIS3_PdPS5_jNS1_19radix_merge_compareILb1ELb0EdNS0_19identity_decomposerEEEEE10hipError_tT0_T1_T2_jT3_P12ihipStream_tbPNSt15iterator_traitsISE_E10value_typeEPNSK_ISF_E10value_typeEPSG_NS1_7vsmem_tEENKUlT_SE_SF_SG_E_clIS8_S8_S9_S9_EESD_ST_SE_SF_SG_EUlST_E_NS1_11comp_targetILNS1_3genE8ELNS1_11target_archE1030ELNS1_3gpuE2ELNS1_3repE0EEENS1_48merge_mergepath_partition_config_static_selectorELNS0_4arch9wavefront6targetE1EEEvSF_
    .private_segment_fixed_size: 0
    .sgpr_count:     4
    .sgpr_spill_count: 0
    .symbol:         _ZN7rocprim17ROCPRIM_400000_NS6detail17trampoline_kernelINS0_14default_configENS1_38merge_sort_block_merge_config_selectorIdNS0_10empty_typeEEEZZNS1_27merge_sort_block_merge_implIS3_PdPS5_jNS1_19radix_merge_compareILb1ELb0EdNS0_19identity_decomposerEEEEE10hipError_tT0_T1_T2_jT3_P12ihipStream_tbPNSt15iterator_traitsISE_E10value_typeEPNSK_ISF_E10value_typeEPSG_NS1_7vsmem_tEENKUlT_SE_SF_SG_E_clIS8_S8_S9_S9_EESD_ST_SE_SF_SG_EUlST_E_NS1_11comp_targetILNS1_3genE8ELNS1_11target_archE1030ELNS1_3gpuE2ELNS1_3repE0EEENS1_48merge_mergepath_partition_config_static_selectorELNS0_4arch9wavefront6targetE1EEEvSF_.kd
    .uniform_work_group_size: 1
    .uses_dynamic_stack: false
    .vgpr_count:     0
    .vgpr_spill_count: 0
    .wavefront_size: 64
  - .agpr_count:     0
    .args:
      - .offset:         0
        .size:           64
        .value_kind:     by_value
    .group_segment_fixed_size: 0
    .kernarg_segment_align: 8
    .kernarg_segment_size: 64
    .language:       OpenCL C
    .language_version:
      - 2
      - 0
    .max_flat_workgroup_size: 256
    .name:           _ZN7rocprim17ROCPRIM_400000_NS6detail17trampoline_kernelINS0_14default_configENS1_38merge_sort_block_merge_config_selectorIdNS0_10empty_typeEEEZZNS1_27merge_sort_block_merge_implIS3_PdPS5_jNS1_19radix_merge_compareILb1ELb0EdNS0_19identity_decomposerEEEEE10hipError_tT0_T1_T2_jT3_P12ihipStream_tbPNSt15iterator_traitsISE_E10value_typeEPNSK_ISF_E10value_typeEPSG_NS1_7vsmem_tEENKUlT_SE_SF_SG_E_clIS8_S8_S9_S9_EESD_ST_SE_SF_SG_EUlST_E0_NS1_11comp_targetILNS1_3genE0ELNS1_11target_archE4294967295ELNS1_3gpuE0ELNS1_3repE0EEENS1_38merge_mergepath_config_static_selectorELNS0_4arch9wavefront6targetE1EEEvSF_
    .private_segment_fixed_size: 0
    .sgpr_count:     4
    .sgpr_spill_count: 0
    .symbol:         _ZN7rocprim17ROCPRIM_400000_NS6detail17trampoline_kernelINS0_14default_configENS1_38merge_sort_block_merge_config_selectorIdNS0_10empty_typeEEEZZNS1_27merge_sort_block_merge_implIS3_PdPS5_jNS1_19radix_merge_compareILb1ELb0EdNS0_19identity_decomposerEEEEE10hipError_tT0_T1_T2_jT3_P12ihipStream_tbPNSt15iterator_traitsISE_E10value_typeEPNSK_ISF_E10value_typeEPSG_NS1_7vsmem_tEENKUlT_SE_SF_SG_E_clIS8_S8_S9_S9_EESD_ST_SE_SF_SG_EUlST_E0_NS1_11comp_targetILNS1_3genE0ELNS1_11target_archE4294967295ELNS1_3gpuE0ELNS1_3repE0EEENS1_38merge_mergepath_config_static_selectorELNS0_4arch9wavefront6targetE1EEEvSF_.kd
    .uniform_work_group_size: 1
    .uses_dynamic_stack: false
    .vgpr_count:     0
    .vgpr_spill_count: 0
    .wavefront_size: 64
  - .agpr_count:     0
    .args:
      - .offset:         0
        .size:           64
        .value_kind:     by_value
    .group_segment_fixed_size: 0
    .kernarg_segment_align: 8
    .kernarg_segment_size: 64
    .language:       OpenCL C
    .language_version:
      - 2
      - 0
    .max_flat_workgroup_size: 512
    .name:           _ZN7rocprim17ROCPRIM_400000_NS6detail17trampoline_kernelINS0_14default_configENS1_38merge_sort_block_merge_config_selectorIdNS0_10empty_typeEEEZZNS1_27merge_sort_block_merge_implIS3_PdPS5_jNS1_19radix_merge_compareILb1ELb0EdNS0_19identity_decomposerEEEEE10hipError_tT0_T1_T2_jT3_P12ihipStream_tbPNSt15iterator_traitsISE_E10value_typeEPNSK_ISF_E10value_typeEPSG_NS1_7vsmem_tEENKUlT_SE_SF_SG_E_clIS8_S8_S9_S9_EESD_ST_SE_SF_SG_EUlST_E0_NS1_11comp_targetILNS1_3genE10ELNS1_11target_archE1201ELNS1_3gpuE5ELNS1_3repE0EEENS1_38merge_mergepath_config_static_selectorELNS0_4arch9wavefront6targetE1EEEvSF_
    .private_segment_fixed_size: 0
    .sgpr_count:     4
    .sgpr_spill_count: 0
    .symbol:         _ZN7rocprim17ROCPRIM_400000_NS6detail17trampoline_kernelINS0_14default_configENS1_38merge_sort_block_merge_config_selectorIdNS0_10empty_typeEEEZZNS1_27merge_sort_block_merge_implIS3_PdPS5_jNS1_19radix_merge_compareILb1ELb0EdNS0_19identity_decomposerEEEEE10hipError_tT0_T1_T2_jT3_P12ihipStream_tbPNSt15iterator_traitsISE_E10value_typeEPNSK_ISF_E10value_typeEPSG_NS1_7vsmem_tEENKUlT_SE_SF_SG_E_clIS8_S8_S9_S9_EESD_ST_SE_SF_SG_EUlST_E0_NS1_11comp_targetILNS1_3genE10ELNS1_11target_archE1201ELNS1_3gpuE5ELNS1_3repE0EEENS1_38merge_mergepath_config_static_selectorELNS0_4arch9wavefront6targetE1EEEvSF_.kd
    .uniform_work_group_size: 1
    .uses_dynamic_stack: false
    .vgpr_count:     0
    .vgpr_spill_count: 0
    .wavefront_size: 64
  - .agpr_count:     0
    .args:
      - .offset:         0
        .size:           64
        .value_kind:     by_value
    .group_segment_fixed_size: 0
    .kernarg_segment_align: 8
    .kernarg_segment_size: 64
    .language:       OpenCL C
    .language_version:
      - 2
      - 0
    .max_flat_workgroup_size: 256
    .name:           _ZN7rocprim17ROCPRIM_400000_NS6detail17trampoline_kernelINS0_14default_configENS1_38merge_sort_block_merge_config_selectorIdNS0_10empty_typeEEEZZNS1_27merge_sort_block_merge_implIS3_PdPS5_jNS1_19radix_merge_compareILb1ELb0EdNS0_19identity_decomposerEEEEE10hipError_tT0_T1_T2_jT3_P12ihipStream_tbPNSt15iterator_traitsISE_E10value_typeEPNSK_ISF_E10value_typeEPSG_NS1_7vsmem_tEENKUlT_SE_SF_SG_E_clIS8_S8_S9_S9_EESD_ST_SE_SF_SG_EUlST_E0_NS1_11comp_targetILNS1_3genE5ELNS1_11target_archE942ELNS1_3gpuE9ELNS1_3repE0EEENS1_38merge_mergepath_config_static_selectorELNS0_4arch9wavefront6targetE1EEEvSF_
    .private_segment_fixed_size: 0
    .sgpr_count:     4
    .sgpr_spill_count: 0
    .symbol:         _ZN7rocprim17ROCPRIM_400000_NS6detail17trampoline_kernelINS0_14default_configENS1_38merge_sort_block_merge_config_selectorIdNS0_10empty_typeEEEZZNS1_27merge_sort_block_merge_implIS3_PdPS5_jNS1_19radix_merge_compareILb1ELb0EdNS0_19identity_decomposerEEEEE10hipError_tT0_T1_T2_jT3_P12ihipStream_tbPNSt15iterator_traitsISE_E10value_typeEPNSK_ISF_E10value_typeEPSG_NS1_7vsmem_tEENKUlT_SE_SF_SG_E_clIS8_S8_S9_S9_EESD_ST_SE_SF_SG_EUlST_E0_NS1_11comp_targetILNS1_3genE5ELNS1_11target_archE942ELNS1_3gpuE9ELNS1_3repE0EEENS1_38merge_mergepath_config_static_selectorELNS0_4arch9wavefront6targetE1EEEvSF_.kd
    .uniform_work_group_size: 1
    .uses_dynamic_stack: false
    .vgpr_count:     0
    .vgpr_spill_count: 0
    .wavefront_size: 64
  - .agpr_count:     0
    .args:
      - .offset:         0
        .size:           64
        .value_kind:     by_value
      - .offset:         64
        .size:           4
        .value_kind:     hidden_block_count_x
      - .offset:         68
        .size:           4
        .value_kind:     hidden_block_count_y
      - .offset:         72
        .size:           4
        .value_kind:     hidden_block_count_z
      - .offset:         76
        .size:           2
        .value_kind:     hidden_group_size_x
      - .offset:         78
        .size:           2
        .value_kind:     hidden_group_size_y
      - .offset:         80
        .size:           2
        .value_kind:     hidden_group_size_z
      - .offset:         82
        .size:           2
        .value_kind:     hidden_remainder_x
      - .offset:         84
        .size:           2
        .value_kind:     hidden_remainder_y
      - .offset:         86
        .size:           2
        .value_kind:     hidden_remainder_z
      - .offset:         104
        .size:           8
        .value_kind:     hidden_global_offset_x
      - .offset:         112
        .size:           8
        .value_kind:     hidden_global_offset_y
      - .offset:         120
        .size:           8
        .value_kind:     hidden_global_offset_z
      - .offset:         128
        .size:           2
        .value_kind:     hidden_grid_dims
    .group_segment_fixed_size: 8448
    .kernarg_segment_align: 8
    .kernarg_segment_size: 320
    .language:       OpenCL C
    .language_version:
      - 2
      - 0
    .max_flat_workgroup_size: 256
    .name:           _ZN7rocprim17ROCPRIM_400000_NS6detail17trampoline_kernelINS0_14default_configENS1_38merge_sort_block_merge_config_selectorIdNS0_10empty_typeEEEZZNS1_27merge_sort_block_merge_implIS3_PdPS5_jNS1_19radix_merge_compareILb1ELb0EdNS0_19identity_decomposerEEEEE10hipError_tT0_T1_T2_jT3_P12ihipStream_tbPNSt15iterator_traitsISE_E10value_typeEPNSK_ISF_E10value_typeEPSG_NS1_7vsmem_tEENKUlT_SE_SF_SG_E_clIS8_S8_S9_S9_EESD_ST_SE_SF_SG_EUlST_E0_NS1_11comp_targetILNS1_3genE4ELNS1_11target_archE910ELNS1_3gpuE8ELNS1_3repE0EEENS1_38merge_mergepath_config_static_selectorELNS0_4arch9wavefront6targetE1EEEvSF_
    .private_segment_fixed_size: 0
    .sgpr_count:     28
    .sgpr_spill_count: 0
    .symbol:         _ZN7rocprim17ROCPRIM_400000_NS6detail17trampoline_kernelINS0_14default_configENS1_38merge_sort_block_merge_config_selectorIdNS0_10empty_typeEEEZZNS1_27merge_sort_block_merge_implIS3_PdPS5_jNS1_19radix_merge_compareILb1ELb0EdNS0_19identity_decomposerEEEEE10hipError_tT0_T1_T2_jT3_P12ihipStream_tbPNSt15iterator_traitsISE_E10value_typeEPNSK_ISF_E10value_typeEPSG_NS1_7vsmem_tEENKUlT_SE_SF_SG_E_clIS8_S8_S9_S9_EESD_ST_SE_SF_SG_EUlST_E0_NS1_11comp_targetILNS1_3genE4ELNS1_11target_archE910ELNS1_3gpuE8ELNS1_3repE0EEENS1_38merge_mergepath_config_static_selectorELNS0_4arch9wavefront6targetE1EEEvSF_.kd
    .uniform_work_group_size: 1
    .uses_dynamic_stack: false
    .vgpr_count:     24
    .vgpr_spill_count: 0
    .wavefront_size: 64
  - .agpr_count:     0
    .args:
      - .offset:         0
        .size:           64
        .value_kind:     by_value
    .group_segment_fixed_size: 0
    .kernarg_segment_align: 8
    .kernarg_segment_size: 64
    .language:       OpenCL C
    .language_version:
      - 2
      - 0
    .max_flat_workgroup_size: 256
    .name:           _ZN7rocprim17ROCPRIM_400000_NS6detail17trampoline_kernelINS0_14default_configENS1_38merge_sort_block_merge_config_selectorIdNS0_10empty_typeEEEZZNS1_27merge_sort_block_merge_implIS3_PdPS5_jNS1_19radix_merge_compareILb1ELb0EdNS0_19identity_decomposerEEEEE10hipError_tT0_T1_T2_jT3_P12ihipStream_tbPNSt15iterator_traitsISE_E10value_typeEPNSK_ISF_E10value_typeEPSG_NS1_7vsmem_tEENKUlT_SE_SF_SG_E_clIS8_S8_S9_S9_EESD_ST_SE_SF_SG_EUlST_E0_NS1_11comp_targetILNS1_3genE3ELNS1_11target_archE908ELNS1_3gpuE7ELNS1_3repE0EEENS1_38merge_mergepath_config_static_selectorELNS0_4arch9wavefront6targetE1EEEvSF_
    .private_segment_fixed_size: 0
    .sgpr_count:     4
    .sgpr_spill_count: 0
    .symbol:         _ZN7rocprim17ROCPRIM_400000_NS6detail17trampoline_kernelINS0_14default_configENS1_38merge_sort_block_merge_config_selectorIdNS0_10empty_typeEEEZZNS1_27merge_sort_block_merge_implIS3_PdPS5_jNS1_19radix_merge_compareILb1ELb0EdNS0_19identity_decomposerEEEEE10hipError_tT0_T1_T2_jT3_P12ihipStream_tbPNSt15iterator_traitsISE_E10value_typeEPNSK_ISF_E10value_typeEPSG_NS1_7vsmem_tEENKUlT_SE_SF_SG_E_clIS8_S8_S9_S9_EESD_ST_SE_SF_SG_EUlST_E0_NS1_11comp_targetILNS1_3genE3ELNS1_11target_archE908ELNS1_3gpuE7ELNS1_3repE0EEENS1_38merge_mergepath_config_static_selectorELNS0_4arch9wavefront6targetE1EEEvSF_.kd
    .uniform_work_group_size: 1
    .uses_dynamic_stack: false
    .vgpr_count:     0
    .vgpr_spill_count: 0
    .wavefront_size: 64
  - .agpr_count:     0
    .args:
      - .offset:         0
        .size:           64
        .value_kind:     by_value
    .group_segment_fixed_size: 0
    .kernarg_segment_align: 8
    .kernarg_segment_size: 64
    .language:       OpenCL C
    .language_version:
      - 2
      - 0
    .max_flat_workgroup_size: 256
    .name:           _ZN7rocprim17ROCPRIM_400000_NS6detail17trampoline_kernelINS0_14default_configENS1_38merge_sort_block_merge_config_selectorIdNS0_10empty_typeEEEZZNS1_27merge_sort_block_merge_implIS3_PdPS5_jNS1_19radix_merge_compareILb1ELb0EdNS0_19identity_decomposerEEEEE10hipError_tT0_T1_T2_jT3_P12ihipStream_tbPNSt15iterator_traitsISE_E10value_typeEPNSK_ISF_E10value_typeEPSG_NS1_7vsmem_tEENKUlT_SE_SF_SG_E_clIS8_S8_S9_S9_EESD_ST_SE_SF_SG_EUlST_E0_NS1_11comp_targetILNS1_3genE2ELNS1_11target_archE906ELNS1_3gpuE6ELNS1_3repE0EEENS1_38merge_mergepath_config_static_selectorELNS0_4arch9wavefront6targetE1EEEvSF_
    .private_segment_fixed_size: 0
    .sgpr_count:     4
    .sgpr_spill_count: 0
    .symbol:         _ZN7rocprim17ROCPRIM_400000_NS6detail17trampoline_kernelINS0_14default_configENS1_38merge_sort_block_merge_config_selectorIdNS0_10empty_typeEEEZZNS1_27merge_sort_block_merge_implIS3_PdPS5_jNS1_19radix_merge_compareILb1ELb0EdNS0_19identity_decomposerEEEEE10hipError_tT0_T1_T2_jT3_P12ihipStream_tbPNSt15iterator_traitsISE_E10value_typeEPNSK_ISF_E10value_typeEPSG_NS1_7vsmem_tEENKUlT_SE_SF_SG_E_clIS8_S8_S9_S9_EESD_ST_SE_SF_SG_EUlST_E0_NS1_11comp_targetILNS1_3genE2ELNS1_11target_archE906ELNS1_3gpuE6ELNS1_3repE0EEENS1_38merge_mergepath_config_static_selectorELNS0_4arch9wavefront6targetE1EEEvSF_.kd
    .uniform_work_group_size: 1
    .uses_dynamic_stack: false
    .vgpr_count:     0
    .vgpr_spill_count: 0
    .wavefront_size: 64
  - .agpr_count:     0
    .args:
      - .offset:         0
        .size:           64
        .value_kind:     by_value
    .group_segment_fixed_size: 0
    .kernarg_segment_align: 8
    .kernarg_segment_size: 64
    .language:       OpenCL C
    .language_version:
      - 2
      - 0
    .max_flat_workgroup_size: 512
    .name:           _ZN7rocprim17ROCPRIM_400000_NS6detail17trampoline_kernelINS0_14default_configENS1_38merge_sort_block_merge_config_selectorIdNS0_10empty_typeEEEZZNS1_27merge_sort_block_merge_implIS3_PdPS5_jNS1_19radix_merge_compareILb1ELb0EdNS0_19identity_decomposerEEEEE10hipError_tT0_T1_T2_jT3_P12ihipStream_tbPNSt15iterator_traitsISE_E10value_typeEPNSK_ISF_E10value_typeEPSG_NS1_7vsmem_tEENKUlT_SE_SF_SG_E_clIS8_S8_S9_S9_EESD_ST_SE_SF_SG_EUlST_E0_NS1_11comp_targetILNS1_3genE9ELNS1_11target_archE1100ELNS1_3gpuE3ELNS1_3repE0EEENS1_38merge_mergepath_config_static_selectorELNS0_4arch9wavefront6targetE1EEEvSF_
    .private_segment_fixed_size: 0
    .sgpr_count:     4
    .sgpr_spill_count: 0
    .symbol:         _ZN7rocprim17ROCPRIM_400000_NS6detail17trampoline_kernelINS0_14default_configENS1_38merge_sort_block_merge_config_selectorIdNS0_10empty_typeEEEZZNS1_27merge_sort_block_merge_implIS3_PdPS5_jNS1_19radix_merge_compareILb1ELb0EdNS0_19identity_decomposerEEEEE10hipError_tT0_T1_T2_jT3_P12ihipStream_tbPNSt15iterator_traitsISE_E10value_typeEPNSK_ISF_E10value_typeEPSG_NS1_7vsmem_tEENKUlT_SE_SF_SG_E_clIS8_S8_S9_S9_EESD_ST_SE_SF_SG_EUlST_E0_NS1_11comp_targetILNS1_3genE9ELNS1_11target_archE1100ELNS1_3gpuE3ELNS1_3repE0EEENS1_38merge_mergepath_config_static_selectorELNS0_4arch9wavefront6targetE1EEEvSF_.kd
    .uniform_work_group_size: 1
    .uses_dynamic_stack: false
    .vgpr_count:     0
    .vgpr_spill_count: 0
    .wavefront_size: 64
  - .agpr_count:     0
    .args:
      - .offset:         0
        .size:           64
        .value_kind:     by_value
    .group_segment_fixed_size: 0
    .kernarg_segment_align: 8
    .kernarg_segment_size: 64
    .language:       OpenCL C
    .language_version:
      - 2
      - 0
    .max_flat_workgroup_size: 1024
    .name:           _ZN7rocprim17ROCPRIM_400000_NS6detail17trampoline_kernelINS0_14default_configENS1_38merge_sort_block_merge_config_selectorIdNS0_10empty_typeEEEZZNS1_27merge_sort_block_merge_implIS3_PdPS5_jNS1_19radix_merge_compareILb1ELb0EdNS0_19identity_decomposerEEEEE10hipError_tT0_T1_T2_jT3_P12ihipStream_tbPNSt15iterator_traitsISE_E10value_typeEPNSK_ISF_E10value_typeEPSG_NS1_7vsmem_tEENKUlT_SE_SF_SG_E_clIS8_S8_S9_S9_EESD_ST_SE_SF_SG_EUlST_E0_NS1_11comp_targetILNS1_3genE8ELNS1_11target_archE1030ELNS1_3gpuE2ELNS1_3repE0EEENS1_38merge_mergepath_config_static_selectorELNS0_4arch9wavefront6targetE1EEEvSF_
    .private_segment_fixed_size: 0
    .sgpr_count:     4
    .sgpr_spill_count: 0
    .symbol:         _ZN7rocprim17ROCPRIM_400000_NS6detail17trampoline_kernelINS0_14default_configENS1_38merge_sort_block_merge_config_selectorIdNS0_10empty_typeEEEZZNS1_27merge_sort_block_merge_implIS3_PdPS5_jNS1_19radix_merge_compareILb1ELb0EdNS0_19identity_decomposerEEEEE10hipError_tT0_T1_T2_jT3_P12ihipStream_tbPNSt15iterator_traitsISE_E10value_typeEPNSK_ISF_E10value_typeEPSG_NS1_7vsmem_tEENKUlT_SE_SF_SG_E_clIS8_S8_S9_S9_EESD_ST_SE_SF_SG_EUlST_E0_NS1_11comp_targetILNS1_3genE8ELNS1_11target_archE1030ELNS1_3gpuE2ELNS1_3repE0EEENS1_38merge_mergepath_config_static_selectorELNS0_4arch9wavefront6targetE1EEEvSF_.kd
    .uniform_work_group_size: 1
    .uses_dynamic_stack: false
    .vgpr_count:     0
    .vgpr_spill_count: 0
    .wavefront_size: 64
  - .agpr_count:     0
    .args:
      - .offset:         0
        .size:           48
        .value_kind:     by_value
    .group_segment_fixed_size: 0
    .kernarg_segment_align: 8
    .kernarg_segment_size: 48
    .language:       OpenCL C
    .language_version:
      - 2
      - 0
    .max_flat_workgroup_size: 256
    .name:           _ZN7rocprim17ROCPRIM_400000_NS6detail17trampoline_kernelINS0_14default_configENS1_38merge_sort_block_merge_config_selectorIdNS0_10empty_typeEEEZZNS1_27merge_sort_block_merge_implIS3_PdPS5_jNS1_19radix_merge_compareILb1ELb0EdNS0_19identity_decomposerEEEEE10hipError_tT0_T1_T2_jT3_P12ihipStream_tbPNSt15iterator_traitsISE_E10value_typeEPNSK_ISF_E10value_typeEPSG_NS1_7vsmem_tEENKUlT_SE_SF_SG_E_clIS8_S8_S9_S9_EESD_ST_SE_SF_SG_EUlST_E1_NS1_11comp_targetILNS1_3genE0ELNS1_11target_archE4294967295ELNS1_3gpuE0ELNS1_3repE0EEENS1_36merge_oddeven_config_static_selectorELNS0_4arch9wavefront6targetE1EEEvSF_
    .private_segment_fixed_size: 0
    .sgpr_count:     4
    .sgpr_spill_count: 0
    .symbol:         _ZN7rocprim17ROCPRIM_400000_NS6detail17trampoline_kernelINS0_14default_configENS1_38merge_sort_block_merge_config_selectorIdNS0_10empty_typeEEEZZNS1_27merge_sort_block_merge_implIS3_PdPS5_jNS1_19radix_merge_compareILb1ELb0EdNS0_19identity_decomposerEEEEE10hipError_tT0_T1_T2_jT3_P12ihipStream_tbPNSt15iterator_traitsISE_E10value_typeEPNSK_ISF_E10value_typeEPSG_NS1_7vsmem_tEENKUlT_SE_SF_SG_E_clIS8_S8_S9_S9_EESD_ST_SE_SF_SG_EUlST_E1_NS1_11comp_targetILNS1_3genE0ELNS1_11target_archE4294967295ELNS1_3gpuE0ELNS1_3repE0EEENS1_36merge_oddeven_config_static_selectorELNS0_4arch9wavefront6targetE1EEEvSF_.kd
    .uniform_work_group_size: 1
    .uses_dynamic_stack: false
    .vgpr_count:     0
    .vgpr_spill_count: 0
    .wavefront_size: 64
  - .agpr_count:     0
    .args:
      - .offset:         0
        .size:           48
        .value_kind:     by_value
    .group_segment_fixed_size: 0
    .kernarg_segment_align: 8
    .kernarg_segment_size: 48
    .language:       OpenCL C
    .language_version:
      - 2
      - 0
    .max_flat_workgroup_size: 256
    .name:           _ZN7rocprim17ROCPRIM_400000_NS6detail17trampoline_kernelINS0_14default_configENS1_38merge_sort_block_merge_config_selectorIdNS0_10empty_typeEEEZZNS1_27merge_sort_block_merge_implIS3_PdPS5_jNS1_19radix_merge_compareILb1ELb0EdNS0_19identity_decomposerEEEEE10hipError_tT0_T1_T2_jT3_P12ihipStream_tbPNSt15iterator_traitsISE_E10value_typeEPNSK_ISF_E10value_typeEPSG_NS1_7vsmem_tEENKUlT_SE_SF_SG_E_clIS8_S8_S9_S9_EESD_ST_SE_SF_SG_EUlST_E1_NS1_11comp_targetILNS1_3genE10ELNS1_11target_archE1201ELNS1_3gpuE5ELNS1_3repE0EEENS1_36merge_oddeven_config_static_selectorELNS0_4arch9wavefront6targetE1EEEvSF_
    .private_segment_fixed_size: 0
    .sgpr_count:     4
    .sgpr_spill_count: 0
    .symbol:         _ZN7rocprim17ROCPRIM_400000_NS6detail17trampoline_kernelINS0_14default_configENS1_38merge_sort_block_merge_config_selectorIdNS0_10empty_typeEEEZZNS1_27merge_sort_block_merge_implIS3_PdPS5_jNS1_19radix_merge_compareILb1ELb0EdNS0_19identity_decomposerEEEEE10hipError_tT0_T1_T2_jT3_P12ihipStream_tbPNSt15iterator_traitsISE_E10value_typeEPNSK_ISF_E10value_typeEPSG_NS1_7vsmem_tEENKUlT_SE_SF_SG_E_clIS8_S8_S9_S9_EESD_ST_SE_SF_SG_EUlST_E1_NS1_11comp_targetILNS1_3genE10ELNS1_11target_archE1201ELNS1_3gpuE5ELNS1_3repE0EEENS1_36merge_oddeven_config_static_selectorELNS0_4arch9wavefront6targetE1EEEvSF_.kd
    .uniform_work_group_size: 1
    .uses_dynamic_stack: false
    .vgpr_count:     0
    .vgpr_spill_count: 0
    .wavefront_size: 64
  - .agpr_count:     0
    .args:
      - .offset:         0
        .size:           48
        .value_kind:     by_value
    .group_segment_fixed_size: 0
    .kernarg_segment_align: 8
    .kernarg_segment_size: 48
    .language:       OpenCL C
    .language_version:
      - 2
      - 0
    .max_flat_workgroup_size: 256
    .name:           _ZN7rocprim17ROCPRIM_400000_NS6detail17trampoline_kernelINS0_14default_configENS1_38merge_sort_block_merge_config_selectorIdNS0_10empty_typeEEEZZNS1_27merge_sort_block_merge_implIS3_PdPS5_jNS1_19radix_merge_compareILb1ELb0EdNS0_19identity_decomposerEEEEE10hipError_tT0_T1_T2_jT3_P12ihipStream_tbPNSt15iterator_traitsISE_E10value_typeEPNSK_ISF_E10value_typeEPSG_NS1_7vsmem_tEENKUlT_SE_SF_SG_E_clIS8_S8_S9_S9_EESD_ST_SE_SF_SG_EUlST_E1_NS1_11comp_targetILNS1_3genE5ELNS1_11target_archE942ELNS1_3gpuE9ELNS1_3repE0EEENS1_36merge_oddeven_config_static_selectorELNS0_4arch9wavefront6targetE1EEEvSF_
    .private_segment_fixed_size: 0
    .sgpr_count:     4
    .sgpr_spill_count: 0
    .symbol:         _ZN7rocprim17ROCPRIM_400000_NS6detail17trampoline_kernelINS0_14default_configENS1_38merge_sort_block_merge_config_selectorIdNS0_10empty_typeEEEZZNS1_27merge_sort_block_merge_implIS3_PdPS5_jNS1_19radix_merge_compareILb1ELb0EdNS0_19identity_decomposerEEEEE10hipError_tT0_T1_T2_jT3_P12ihipStream_tbPNSt15iterator_traitsISE_E10value_typeEPNSK_ISF_E10value_typeEPSG_NS1_7vsmem_tEENKUlT_SE_SF_SG_E_clIS8_S8_S9_S9_EESD_ST_SE_SF_SG_EUlST_E1_NS1_11comp_targetILNS1_3genE5ELNS1_11target_archE942ELNS1_3gpuE9ELNS1_3repE0EEENS1_36merge_oddeven_config_static_selectorELNS0_4arch9wavefront6targetE1EEEvSF_.kd
    .uniform_work_group_size: 1
    .uses_dynamic_stack: false
    .vgpr_count:     0
    .vgpr_spill_count: 0
    .wavefront_size: 64
  - .agpr_count:     0
    .args:
      - .offset:         0
        .size:           48
        .value_kind:     by_value
    .group_segment_fixed_size: 0
    .kernarg_segment_align: 8
    .kernarg_segment_size: 48
    .language:       OpenCL C
    .language_version:
      - 2
      - 0
    .max_flat_workgroup_size: 256
    .name:           _ZN7rocprim17ROCPRIM_400000_NS6detail17trampoline_kernelINS0_14default_configENS1_38merge_sort_block_merge_config_selectorIdNS0_10empty_typeEEEZZNS1_27merge_sort_block_merge_implIS3_PdPS5_jNS1_19radix_merge_compareILb1ELb0EdNS0_19identity_decomposerEEEEE10hipError_tT0_T1_T2_jT3_P12ihipStream_tbPNSt15iterator_traitsISE_E10value_typeEPNSK_ISF_E10value_typeEPSG_NS1_7vsmem_tEENKUlT_SE_SF_SG_E_clIS8_S8_S9_S9_EESD_ST_SE_SF_SG_EUlST_E1_NS1_11comp_targetILNS1_3genE4ELNS1_11target_archE910ELNS1_3gpuE8ELNS1_3repE0EEENS1_36merge_oddeven_config_static_selectorELNS0_4arch9wavefront6targetE1EEEvSF_
    .private_segment_fixed_size: 0
    .sgpr_count:     25
    .sgpr_spill_count: 0
    .symbol:         _ZN7rocprim17ROCPRIM_400000_NS6detail17trampoline_kernelINS0_14default_configENS1_38merge_sort_block_merge_config_selectorIdNS0_10empty_typeEEEZZNS1_27merge_sort_block_merge_implIS3_PdPS5_jNS1_19radix_merge_compareILb1ELb0EdNS0_19identity_decomposerEEEEE10hipError_tT0_T1_T2_jT3_P12ihipStream_tbPNSt15iterator_traitsISE_E10value_typeEPNSK_ISF_E10value_typeEPSG_NS1_7vsmem_tEENKUlT_SE_SF_SG_E_clIS8_S8_S9_S9_EESD_ST_SE_SF_SG_EUlST_E1_NS1_11comp_targetILNS1_3genE4ELNS1_11target_archE910ELNS1_3gpuE8ELNS1_3repE0EEENS1_36merge_oddeven_config_static_selectorELNS0_4arch9wavefront6targetE1EEEvSF_.kd
    .uniform_work_group_size: 1
    .uses_dynamic_stack: false
    .vgpr_count:     15
    .vgpr_spill_count: 0
    .wavefront_size: 64
  - .agpr_count:     0
    .args:
      - .offset:         0
        .size:           48
        .value_kind:     by_value
    .group_segment_fixed_size: 0
    .kernarg_segment_align: 8
    .kernarg_segment_size: 48
    .language:       OpenCL C
    .language_version:
      - 2
      - 0
    .max_flat_workgroup_size: 256
    .name:           _ZN7rocprim17ROCPRIM_400000_NS6detail17trampoline_kernelINS0_14default_configENS1_38merge_sort_block_merge_config_selectorIdNS0_10empty_typeEEEZZNS1_27merge_sort_block_merge_implIS3_PdPS5_jNS1_19radix_merge_compareILb1ELb0EdNS0_19identity_decomposerEEEEE10hipError_tT0_T1_T2_jT3_P12ihipStream_tbPNSt15iterator_traitsISE_E10value_typeEPNSK_ISF_E10value_typeEPSG_NS1_7vsmem_tEENKUlT_SE_SF_SG_E_clIS8_S8_S9_S9_EESD_ST_SE_SF_SG_EUlST_E1_NS1_11comp_targetILNS1_3genE3ELNS1_11target_archE908ELNS1_3gpuE7ELNS1_3repE0EEENS1_36merge_oddeven_config_static_selectorELNS0_4arch9wavefront6targetE1EEEvSF_
    .private_segment_fixed_size: 0
    .sgpr_count:     4
    .sgpr_spill_count: 0
    .symbol:         _ZN7rocprim17ROCPRIM_400000_NS6detail17trampoline_kernelINS0_14default_configENS1_38merge_sort_block_merge_config_selectorIdNS0_10empty_typeEEEZZNS1_27merge_sort_block_merge_implIS3_PdPS5_jNS1_19radix_merge_compareILb1ELb0EdNS0_19identity_decomposerEEEEE10hipError_tT0_T1_T2_jT3_P12ihipStream_tbPNSt15iterator_traitsISE_E10value_typeEPNSK_ISF_E10value_typeEPSG_NS1_7vsmem_tEENKUlT_SE_SF_SG_E_clIS8_S8_S9_S9_EESD_ST_SE_SF_SG_EUlST_E1_NS1_11comp_targetILNS1_3genE3ELNS1_11target_archE908ELNS1_3gpuE7ELNS1_3repE0EEENS1_36merge_oddeven_config_static_selectorELNS0_4arch9wavefront6targetE1EEEvSF_.kd
    .uniform_work_group_size: 1
    .uses_dynamic_stack: false
    .vgpr_count:     0
    .vgpr_spill_count: 0
    .wavefront_size: 64
  - .agpr_count:     0
    .args:
      - .offset:         0
        .size:           48
        .value_kind:     by_value
    .group_segment_fixed_size: 0
    .kernarg_segment_align: 8
    .kernarg_segment_size: 48
    .language:       OpenCL C
    .language_version:
      - 2
      - 0
    .max_flat_workgroup_size: 256
    .name:           _ZN7rocprim17ROCPRIM_400000_NS6detail17trampoline_kernelINS0_14default_configENS1_38merge_sort_block_merge_config_selectorIdNS0_10empty_typeEEEZZNS1_27merge_sort_block_merge_implIS3_PdPS5_jNS1_19radix_merge_compareILb1ELb0EdNS0_19identity_decomposerEEEEE10hipError_tT0_T1_T2_jT3_P12ihipStream_tbPNSt15iterator_traitsISE_E10value_typeEPNSK_ISF_E10value_typeEPSG_NS1_7vsmem_tEENKUlT_SE_SF_SG_E_clIS8_S8_S9_S9_EESD_ST_SE_SF_SG_EUlST_E1_NS1_11comp_targetILNS1_3genE2ELNS1_11target_archE906ELNS1_3gpuE6ELNS1_3repE0EEENS1_36merge_oddeven_config_static_selectorELNS0_4arch9wavefront6targetE1EEEvSF_
    .private_segment_fixed_size: 0
    .sgpr_count:     4
    .sgpr_spill_count: 0
    .symbol:         _ZN7rocprim17ROCPRIM_400000_NS6detail17trampoline_kernelINS0_14default_configENS1_38merge_sort_block_merge_config_selectorIdNS0_10empty_typeEEEZZNS1_27merge_sort_block_merge_implIS3_PdPS5_jNS1_19radix_merge_compareILb1ELb0EdNS0_19identity_decomposerEEEEE10hipError_tT0_T1_T2_jT3_P12ihipStream_tbPNSt15iterator_traitsISE_E10value_typeEPNSK_ISF_E10value_typeEPSG_NS1_7vsmem_tEENKUlT_SE_SF_SG_E_clIS8_S8_S9_S9_EESD_ST_SE_SF_SG_EUlST_E1_NS1_11comp_targetILNS1_3genE2ELNS1_11target_archE906ELNS1_3gpuE6ELNS1_3repE0EEENS1_36merge_oddeven_config_static_selectorELNS0_4arch9wavefront6targetE1EEEvSF_.kd
    .uniform_work_group_size: 1
    .uses_dynamic_stack: false
    .vgpr_count:     0
    .vgpr_spill_count: 0
    .wavefront_size: 64
  - .agpr_count:     0
    .args:
      - .offset:         0
        .size:           48
        .value_kind:     by_value
    .group_segment_fixed_size: 0
    .kernarg_segment_align: 8
    .kernarg_segment_size: 48
    .language:       OpenCL C
    .language_version:
      - 2
      - 0
    .max_flat_workgroup_size: 256
    .name:           _ZN7rocprim17ROCPRIM_400000_NS6detail17trampoline_kernelINS0_14default_configENS1_38merge_sort_block_merge_config_selectorIdNS0_10empty_typeEEEZZNS1_27merge_sort_block_merge_implIS3_PdPS5_jNS1_19radix_merge_compareILb1ELb0EdNS0_19identity_decomposerEEEEE10hipError_tT0_T1_T2_jT3_P12ihipStream_tbPNSt15iterator_traitsISE_E10value_typeEPNSK_ISF_E10value_typeEPSG_NS1_7vsmem_tEENKUlT_SE_SF_SG_E_clIS8_S8_S9_S9_EESD_ST_SE_SF_SG_EUlST_E1_NS1_11comp_targetILNS1_3genE9ELNS1_11target_archE1100ELNS1_3gpuE3ELNS1_3repE0EEENS1_36merge_oddeven_config_static_selectorELNS0_4arch9wavefront6targetE1EEEvSF_
    .private_segment_fixed_size: 0
    .sgpr_count:     4
    .sgpr_spill_count: 0
    .symbol:         _ZN7rocprim17ROCPRIM_400000_NS6detail17trampoline_kernelINS0_14default_configENS1_38merge_sort_block_merge_config_selectorIdNS0_10empty_typeEEEZZNS1_27merge_sort_block_merge_implIS3_PdPS5_jNS1_19radix_merge_compareILb1ELb0EdNS0_19identity_decomposerEEEEE10hipError_tT0_T1_T2_jT3_P12ihipStream_tbPNSt15iterator_traitsISE_E10value_typeEPNSK_ISF_E10value_typeEPSG_NS1_7vsmem_tEENKUlT_SE_SF_SG_E_clIS8_S8_S9_S9_EESD_ST_SE_SF_SG_EUlST_E1_NS1_11comp_targetILNS1_3genE9ELNS1_11target_archE1100ELNS1_3gpuE3ELNS1_3repE0EEENS1_36merge_oddeven_config_static_selectorELNS0_4arch9wavefront6targetE1EEEvSF_.kd
    .uniform_work_group_size: 1
    .uses_dynamic_stack: false
    .vgpr_count:     0
    .vgpr_spill_count: 0
    .wavefront_size: 64
  - .agpr_count:     0
    .args:
      - .offset:         0
        .size:           48
        .value_kind:     by_value
    .group_segment_fixed_size: 0
    .kernarg_segment_align: 8
    .kernarg_segment_size: 48
    .language:       OpenCL C
    .language_version:
      - 2
      - 0
    .max_flat_workgroup_size: 256
    .name:           _ZN7rocprim17ROCPRIM_400000_NS6detail17trampoline_kernelINS0_14default_configENS1_38merge_sort_block_merge_config_selectorIdNS0_10empty_typeEEEZZNS1_27merge_sort_block_merge_implIS3_PdPS5_jNS1_19radix_merge_compareILb1ELb0EdNS0_19identity_decomposerEEEEE10hipError_tT0_T1_T2_jT3_P12ihipStream_tbPNSt15iterator_traitsISE_E10value_typeEPNSK_ISF_E10value_typeEPSG_NS1_7vsmem_tEENKUlT_SE_SF_SG_E_clIS8_S8_S9_S9_EESD_ST_SE_SF_SG_EUlST_E1_NS1_11comp_targetILNS1_3genE8ELNS1_11target_archE1030ELNS1_3gpuE2ELNS1_3repE0EEENS1_36merge_oddeven_config_static_selectorELNS0_4arch9wavefront6targetE1EEEvSF_
    .private_segment_fixed_size: 0
    .sgpr_count:     4
    .sgpr_spill_count: 0
    .symbol:         _ZN7rocprim17ROCPRIM_400000_NS6detail17trampoline_kernelINS0_14default_configENS1_38merge_sort_block_merge_config_selectorIdNS0_10empty_typeEEEZZNS1_27merge_sort_block_merge_implIS3_PdPS5_jNS1_19radix_merge_compareILb1ELb0EdNS0_19identity_decomposerEEEEE10hipError_tT0_T1_T2_jT3_P12ihipStream_tbPNSt15iterator_traitsISE_E10value_typeEPNSK_ISF_E10value_typeEPSG_NS1_7vsmem_tEENKUlT_SE_SF_SG_E_clIS8_S8_S9_S9_EESD_ST_SE_SF_SG_EUlST_E1_NS1_11comp_targetILNS1_3genE8ELNS1_11target_archE1030ELNS1_3gpuE2ELNS1_3repE0EEENS1_36merge_oddeven_config_static_selectorELNS0_4arch9wavefront6targetE1EEEvSF_.kd
    .uniform_work_group_size: 1
    .uses_dynamic_stack: false
    .vgpr_count:     0
    .vgpr_spill_count: 0
    .wavefront_size: 64
  - .agpr_count:     0
    .args:
      - .offset:         0
        .size:           48
        .value_kind:     by_value
    .group_segment_fixed_size: 0
    .kernarg_segment_align: 8
    .kernarg_segment_size: 48
    .language:       OpenCL C
    .language_version:
      - 2
      - 0
    .max_flat_workgroup_size: 512
    .name:           _ZN7rocprim17ROCPRIM_400000_NS6detail17trampoline_kernelINS0_14default_configENS1_35radix_sort_onesweep_config_selectorIdNS0_10empty_typeEEEZNS1_34radix_sort_onesweep_global_offsetsIS3_Lb1EPdPS5_mNS0_19identity_decomposerEEE10hipError_tT1_T2_PT3_SE_jT4_jjP12ihipStream_tbEUlT_E_NS1_11comp_targetILNS1_3genE0ELNS1_11target_archE4294967295ELNS1_3gpuE0ELNS1_3repE0EEENS1_52radix_sort_onesweep_histogram_config_static_selectorELNS0_4arch9wavefront6targetE1EEEvSC_
    .private_segment_fixed_size: 0
    .sgpr_count:     4
    .sgpr_spill_count: 0
    .symbol:         _ZN7rocprim17ROCPRIM_400000_NS6detail17trampoline_kernelINS0_14default_configENS1_35radix_sort_onesweep_config_selectorIdNS0_10empty_typeEEEZNS1_34radix_sort_onesweep_global_offsetsIS3_Lb1EPdPS5_mNS0_19identity_decomposerEEE10hipError_tT1_T2_PT3_SE_jT4_jjP12ihipStream_tbEUlT_E_NS1_11comp_targetILNS1_3genE0ELNS1_11target_archE4294967295ELNS1_3gpuE0ELNS1_3repE0EEENS1_52radix_sort_onesweep_histogram_config_static_selectorELNS0_4arch9wavefront6targetE1EEEvSC_.kd
    .uniform_work_group_size: 1
    .uses_dynamic_stack: false
    .vgpr_count:     0
    .vgpr_spill_count: 0
    .wavefront_size: 64
  - .agpr_count:     0
    .args:
      - .offset:         0
        .size:           48
        .value_kind:     by_value
    .group_segment_fixed_size: 0
    .kernarg_segment_align: 8
    .kernarg_segment_size: 48
    .language:       OpenCL C
    .language_version:
      - 2
      - 0
    .max_flat_workgroup_size: 512
    .name:           _ZN7rocprim17ROCPRIM_400000_NS6detail17trampoline_kernelINS0_14default_configENS1_35radix_sort_onesweep_config_selectorIdNS0_10empty_typeEEEZNS1_34radix_sort_onesweep_global_offsetsIS3_Lb1EPdPS5_mNS0_19identity_decomposerEEE10hipError_tT1_T2_PT3_SE_jT4_jjP12ihipStream_tbEUlT_E_NS1_11comp_targetILNS1_3genE6ELNS1_11target_archE950ELNS1_3gpuE13ELNS1_3repE0EEENS1_52radix_sort_onesweep_histogram_config_static_selectorELNS0_4arch9wavefront6targetE1EEEvSC_
    .private_segment_fixed_size: 0
    .sgpr_count:     4
    .sgpr_spill_count: 0
    .symbol:         _ZN7rocprim17ROCPRIM_400000_NS6detail17trampoline_kernelINS0_14default_configENS1_35radix_sort_onesweep_config_selectorIdNS0_10empty_typeEEEZNS1_34radix_sort_onesweep_global_offsetsIS3_Lb1EPdPS5_mNS0_19identity_decomposerEEE10hipError_tT1_T2_PT3_SE_jT4_jjP12ihipStream_tbEUlT_E_NS1_11comp_targetILNS1_3genE6ELNS1_11target_archE950ELNS1_3gpuE13ELNS1_3repE0EEENS1_52radix_sort_onesweep_histogram_config_static_selectorELNS0_4arch9wavefront6targetE1EEEvSC_.kd
    .uniform_work_group_size: 1
    .uses_dynamic_stack: false
    .vgpr_count:     0
    .vgpr_spill_count: 0
    .wavefront_size: 64
  - .agpr_count:     0
    .args:
      - .offset:         0
        .size:           48
        .value_kind:     by_value
    .group_segment_fixed_size: 0
    .kernarg_segment_align: 8
    .kernarg_segment_size: 48
    .language:       OpenCL C
    .language_version:
      - 2
      - 0
    .max_flat_workgroup_size: 512
    .name:           _ZN7rocprim17ROCPRIM_400000_NS6detail17trampoline_kernelINS0_14default_configENS1_35radix_sort_onesweep_config_selectorIdNS0_10empty_typeEEEZNS1_34radix_sort_onesweep_global_offsetsIS3_Lb1EPdPS5_mNS0_19identity_decomposerEEE10hipError_tT1_T2_PT3_SE_jT4_jjP12ihipStream_tbEUlT_E_NS1_11comp_targetILNS1_3genE5ELNS1_11target_archE942ELNS1_3gpuE9ELNS1_3repE0EEENS1_52radix_sort_onesweep_histogram_config_static_selectorELNS0_4arch9wavefront6targetE1EEEvSC_
    .private_segment_fixed_size: 0
    .sgpr_count:     4
    .sgpr_spill_count: 0
    .symbol:         _ZN7rocprim17ROCPRIM_400000_NS6detail17trampoline_kernelINS0_14default_configENS1_35radix_sort_onesweep_config_selectorIdNS0_10empty_typeEEEZNS1_34radix_sort_onesweep_global_offsetsIS3_Lb1EPdPS5_mNS0_19identity_decomposerEEE10hipError_tT1_T2_PT3_SE_jT4_jjP12ihipStream_tbEUlT_E_NS1_11comp_targetILNS1_3genE5ELNS1_11target_archE942ELNS1_3gpuE9ELNS1_3repE0EEENS1_52radix_sort_onesweep_histogram_config_static_selectorELNS0_4arch9wavefront6targetE1EEEvSC_.kd
    .uniform_work_group_size: 1
    .uses_dynamic_stack: false
    .vgpr_count:     0
    .vgpr_spill_count: 0
    .wavefront_size: 64
  - .agpr_count:     0
    .args:
      - .offset:         0
        .size:           48
        .value_kind:     by_value
    .group_segment_fixed_size: 0
    .kernarg_segment_align: 8
    .kernarg_segment_size: 48
    .language:       OpenCL C
    .language_version:
      - 2
      - 0
    .max_flat_workgroup_size: 512
    .name:           _ZN7rocprim17ROCPRIM_400000_NS6detail17trampoline_kernelINS0_14default_configENS1_35radix_sort_onesweep_config_selectorIdNS0_10empty_typeEEEZNS1_34radix_sort_onesweep_global_offsetsIS3_Lb1EPdPS5_mNS0_19identity_decomposerEEE10hipError_tT1_T2_PT3_SE_jT4_jjP12ihipStream_tbEUlT_E_NS1_11comp_targetILNS1_3genE2ELNS1_11target_archE906ELNS1_3gpuE6ELNS1_3repE0EEENS1_52radix_sort_onesweep_histogram_config_static_selectorELNS0_4arch9wavefront6targetE1EEEvSC_
    .private_segment_fixed_size: 0
    .sgpr_count:     4
    .sgpr_spill_count: 0
    .symbol:         _ZN7rocprim17ROCPRIM_400000_NS6detail17trampoline_kernelINS0_14default_configENS1_35radix_sort_onesweep_config_selectorIdNS0_10empty_typeEEEZNS1_34radix_sort_onesweep_global_offsetsIS3_Lb1EPdPS5_mNS0_19identity_decomposerEEE10hipError_tT1_T2_PT3_SE_jT4_jjP12ihipStream_tbEUlT_E_NS1_11comp_targetILNS1_3genE2ELNS1_11target_archE906ELNS1_3gpuE6ELNS1_3repE0EEENS1_52radix_sort_onesweep_histogram_config_static_selectorELNS0_4arch9wavefront6targetE1EEEvSC_.kd
    .uniform_work_group_size: 1
    .uses_dynamic_stack: false
    .vgpr_count:     0
    .vgpr_spill_count: 0
    .wavefront_size: 64
  - .agpr_count:     0
    .args:
      - .offset:         0
        .size:           48
        .value_kind:     by_value
    .group_segment_fixed_size: 32768
    .kernarg_segment_align: 8
    .kernarg_segment_size: 48
    .language:       OpenCL C
    .language_version:
      - 2
      - 0
    .max_flat_workgroup_size: 1024
    .name:           _ZN7rocprim17ROCPRIM_400000_NS6detail17trampoline_kernelINS0_14default_configENS1_35radix_sort_onesweep_config_selectorIdNS0_10empty_typeEEEZNS1_34radix_sort_onesweep_global_offsetsIS3_Lb1EPdPS5_mNS0_19identity_decomposerEEE10hipError_tT1_T2_PT3_SE_jT4_jjP12ihipStream_tbEUlT_E_NS1_11comp_targetILNS1_3genE4ELNS1_11target_archE910ELNS1_3gpuE8ELNS1_3repE0EEENS1_52radix_sort_onesweep_histogram_config_static_selectorELNS0_4arch9wavefront6targetE1EEEvSC_
    .private_segment_fixed_size: 0
    .sgpr_count:     22
    .sgpr_spill_count: 0
    .symbol:         _ZN7rocprim17ROCPRIM_400000_NS6detail17trampoline_kernelINS0_14default_configENS1_35radix_sort_onesweep_config_selectorIdNS0_10empty_typeEEEZNS1_34radix_sort_onesweep_global_offsetsIS3_Lb1EPdPS5_mNS0_19identity_decomposerEEE10hipError_tT1_T2_PT3_SE_jT4_jjP12ihipStream_tbEUlT_E_NS1_11comp_targetILNS1_3genE4ELNS1_11target_archE910ELNS1_3gpuE8ELNS1_3repE0EEENS1_52radix_sort_onesweep_histogram_config_static_selectorELNS0_4arch9wavefront6targetE1EEEvSC_.kd
    .uniform_work_group_size: 1
    .uses_dynamic_stack: false
    .vgpr_count:     25
    .vgpr_spill_count: 0
    .wavefront_size: 64
  - .agpr_count:     0
    .args:
      - .offset:         0
        .size:           48
        .value_kind:     by_value
    .group_segment_fixed_size: 0
    .kernarg_segment_align: 8
    .kernarg_segment_size: 48
    .language:       OpenCL C
    .language_version:
      - 2
      - 0
    .max_flat_workgroup_size: 512
    .name:           _ZN7rocprim17ROCPRIM_400000_NS6detail17trampoline_kernelINS0_14default_configENS1_35radix_sort_onesweep_config_selectorIdNS0_10empty_typeEEEZNS1_34radix_sort_onesweep_global_offsetsIS3_Lb1EPdPS5_mNS0_19identity_decomposerEEE10hipError_tT1_T2_PT3_SE_jT4_jjP12ihipStream_tbEUlT_E_NS1_11comp_targetILNS1_3genE3ELNS1_11target_archE908ELNS1_3gpuE7ELNS1_3repE0EEENS1_52radix_sort_onesweep_histogram_config_static_selectorELNS0_4arch9wavefront6targetE1EEEvSC_
    .private_segment_fixed_size: 0
    .sgpr_count:     4
    .sgpr_spill_count: 0
    .symbol:         _ZN7rocprim17ROCPRIM_400000_NS6detail17trampoline_kernelINS0_14default_configENS1_35radix_sort_onesweep_config_selectorIdNS0_10empty_typeEEEZNS1_34radix_sort_onesweep_global_offsetsIS3_Lb1EPdPS5_mNS0_19identity_decomposerEEE10hipError_tT1_T2_PT3_SE_jT4_jjP12ihipStream_tbEUlT_E_NS1_11comp_targetILNS1_3genE3ELNS1_11target_archE908ELNS1_3gpuE7ELNS1_3repE0EEENS1_52radix_sort_onesweep_histogram_config_static_selectorELNS0_4arch9wavefront6targetE1EEEvSC_.kd
    .uniform_work_group_size: 1
    .uses_dynamic_stack: false
    .vgpr_count:     0
    .vgpr_spill_count: 0
    .wavefront_size: 64
  - .agpr_count:     0
    .args:
      - .offset:         0
        .size:           48
        .value_kind:     by_value
    .group_segment_fixed_size: 0
    .kernarg_segment_align: 8
    .kernarg_segment_size: 48
    .language:       OpenCL C
    .language_version:
      - 2
      - 0
    .max_flat_workgroup_size: 512
    .name:           _ZN7rocprim17ROCPRIM_400000_NS6detail17trampoline_kernelINS0_14default_configENS1_35radix_sort_onesweep_config_selectorIdNS0_10empty_typeEEEZNS1_34radix_sort_onesweep_global_offsetsIS3_Lb1EPdPS5_mNS0_19identity_decomposerEEE10hipError_tT1_T2_PT3_SE_jT4_jjP12ihipStream_tbEUlT_E_NS1_11comp_targetILNS1_3genE10ELNS1_11target_archE1201ELNS1_3gpuE5ELNS1_3repE0EEENS1_52radix_sort_onesweep_histogram_config_static_selectorELNS0_4arch9wavefront6targetE1EEEvSC_
    .private_segment_fixed_size: 0
    .sgpr_count:     4
    .sgpr_spill_count: 0
    .symbol:         _ZN7rocprim17ROCPRIM_400000_NS6detail17trampoline_kernelINS0_14default_configENS1_35radix_sort_onesweep_config_selectorIdNS0_10empty_typeEEEZNS1_34radix_sort_onesweep_global_offsetsIS3_Lb1EPdPS5_mNS0_19identity_decomposerEEE10hipError_tT1_T2_PT3_SE_jT4_jjP12ihipStream_tbEUlT_E_NS1_11comp_targetILNS1_3genE10ELNS1_11target_archE1201ELNS1_3gpuE5ELNS1_3repE0EEENS1_52radix_sort_onesweep_histogram_config_static_selectorELNS0_4arch9wavefront6targetE1EEEvSC_.kd
    .uniform_work_group_size: 1
    .uses_dynamic_stack: false
    .vgpr_count:     0
    .vgpr_spill_count: 0
    .wavefront_size: 64
  - .agpr_count:     0
    .args:
      - .offset:         0
        .size:           48
        .value_kind:     by_value
    .group_segment_fixed_size: 0
    .kernarg_segment_align: 8
    .kernarg_segment_size: 48
    .language:       OpenCL C
    .language_version:
      - 2
      - 0
    .max_flat_workgroup_size: 1024
    .name:           _ZN7rocprim17ROCPRIM_400000_NS6detail17trampoline_kernelINS0_14default_configENS1_35radix_sort_onesweep_config_selectorIdNS0_10empty_typeEEEZNS1_34radix_sort_onesweep_global_offsetsIS3_Lb1EPdPS5_mNS0_19identity_decomposerEEE10hipError_tT1_T2_PT3_SE_jT4_jjP12ihipStream_tbEUlT_E_NS1_11comp_targetILNS1_3genE9ELNS1_11target_archE1100ELNS1_3gpuE3ELNS1_3repE0EEENS1_52radix_sort_onesweep_histogram_config_static_selectorELNS0_4arch9wavefront6targetE1EEEvSC_
    .private_segment_fixed_size: 0
    .sgpr_count:     4
    .sgpr_spill_count: 0
    .symbol:         _ZN7rocprim17ROCPRIM_400000_NS6detail17trampoline_kernelINS0_14default_configENS1_35radix_sort_onesweep_config_selectorIdNS0_10empty_typeEEEZNS1_34radix_sort_onesweep_global_offsetsIS3_Lb1EPdPS5_mNS0_19identity_decomposerEEE10hipError_tT1_T2_PT3_SE_jT4_jjP12ihipStream_tbEUlT_E_NS1_11comp_targetILNS1_3genE9ELNS1_11target_archE1100ELNS1_3gpuE3ELNS1_3repE0EEENS1_52radix_sort_onesweep_histogram_config_static_selectorELNS0_4arch9wavefront6targetE1EEEvSC_.kd
    .uniform_work_group_size: 1
    .uses_dynamic_stack: false
    .vgpr_count:     0
    .vgpr_spill_count: 0
    .wavefront_size: 64
  - .agpr_count:     0
    .args:
      - .offset:         0
        .size:           48
        .value_kind:     by_value
    .group_segment_fixed_size: 0
    .kernarg_segment_align: 8
    .kernarg_segment_size: 48
    .language:       OpenCL C
    .language_version:
      - 2
      - 0
    .max_flat_workgroup_size: 1024
    .name:           _ZN7rocprim17ROCPRIM_400000_NS6detail17trampoline_kernelINS0_14default_configENS1_35radix_sort_onesweep_config_selectorIdNS0_10empty_typeEEEZNS1_34radix_sort_onesweep_global_offsetsIS3_Lb1EPdPS5_mNS0_19identity_decomposerEEE10hipError_tT1_T2_PT3_SE_jT4_jjP12ihipStream_tbEUlT_E_NS1_11comp_targetILNS1_3genE8ELNS1_11target_archE1030ELNS1_3gpuE2ELNS1_3repE0EEENS1_52radix_sort_onesweep_histogram_config_static_selectorELNS0_4arch9wavefront6targetE1EEEvSC_
    .private_segment_fixed_size: 0
    .sgpr_count:     4
    .sgpr_spill_count: 0
    .symbol:         _ZN7rocprim17ROCPRIM_400000_NS6detail17trampoline_kernelINS0_14default_configENS1_35radix_sort_onesweep_config_selectorIdNS0_10empty_typeEEEZNS1_34radix_sort_onesweep_global_offsetsIS3_Lb1EPdPS5_mNS0_19identity_decomposerEEE10hipError_tT1_T2_PT3_SE_jT4_jjP12ihipStream_tbEUlT_E_NS1_11comp_targetILNS1_3genE8ELNS1_11target_archE1030ELNS1_3gpuE2ELNS1_3repE0EEENS1_52radix_sort_onesweep_histogram_config_static_selectorELNS0_4arch9wavefront6targetE1EEEvSC_.kd
    .uniform_work_group_size: 1
    .uses_dynamic_stack: false
    .vgpr_count:     0
    .vgpr_spill_count: 0
    .wavefront_size: 64
  - .agpr_count:     0
    .args:
      - .address_space:  global
        .offset:         0
        .size:           8
        .value_kind:     global_buffer
    .group_segment_fixed_size: 0
    .kernarg_segment_align: 8
    .kernarg_segment_size: 8
    .language:       OpenCL C
    .language_version:
      - 2
      - 0
    .max_flat_workgroup_size: 512
    .name:           _ZN7rocprim17ROCPRIM_400000_NS6detail17trampoline_kernelINS0_14default_configENS1_35radix_sort_onesweep_config_selectorIdNS0_10empty_typeEEEZNS1_34radix_sort_onesweep_global_offsetsIS3_Lb1EPdPS5_mNS0_19identity_decomposerEEE10hipError_tT1_T2_PT3_SE_jT4_jjP12ihipStream_tbEUlT_E0_NS1_11comp_targetILNS1_3genE0ELNS1_11target_archE4294967295ELNS1_3gpuE0ELNS1_3repE0EEENS1_52radix_sort_onesweep_histogram_config_static_selectorELNS0_4arch9wavefront6targetE1EEEvSC_
    .private_segment_fixed_size: 0
    .sgpr_count:     4
    .sgpr_spill_count: 0
    .symbol:         _ZN7rocprim17ROCPRIM_400000_NS6detail17trampoline_kernelINS0_14default_configENS1_35radix_sort_onesweep_config_selectorIdNS0_10empty_typeEEEZNS1_34radix_sort_onesweep_global_offsetsIS3_Lb1EPdPS5_mNS0_19identity_decomposerEEE10hipError_tT1_T2_PT3_SE_jT4_jjP12ihipStream_tbEUlT_E0_NS1_11comp_targetILNS1_3genE0ELNS1_11target_archE4294967295ELNS1_3gpuE0ELNS1_3repE0EEENS1_52radix_sort_onesweep_histogram_config_static_selectorELNS0_4arch9wavefront6targetE1EEEvSC_.kd
    .uniform_work_group_size: 1
    .uses_dynamic_stack: false
    .vgpr_count:     0
    .vgpr_spill_count: 0
    .wavefront_size: 64
  - .agpr_count:     0
    .args:
      - .address_space:  global
        .offset:         0
        .size:           8
        .value_kind:     global_buffer
    .group_segment_fixed_size: 0
    .kernarg_segment_align: 8
    .kernarg_segment_size: 8
    .language:       OpenCL C
    .language_version:
      - 2
      - 0
    .max_flat_workgroup_size: 512
    .name:           _ZN7rocprim17ROCPRIM_400000_NS6detail17trampoline_kernelINS0_14default_configENS1_35radix_sort_onesweep_config_selectorIdNS0_10empty_typeEEEZNS1_34radix_sort_onesweep_global_offsetsIS3_Lb1EPdPS5_mNS0_19identity_decomposerEEE10hipError_tT1_T2_PT3_SE_jT4_jjP12ihipStream_tbEUlT_E0_NS1_11comp_targetILNS1_3genE6ELNS1_11target_archE950ELNS1_3gpuE13ELNS1_3repE0EEENS1_52radix_sort_onesweep_histogram_config_static_selectorELNS0_4arch9wavefront6targetE1EEEvSC_
    .private_segment_fixed_size: 0
    .sgpr_count:     4
    .sgpr_spill_count: 0
    .symbol:         _ZN7rocprim17ROCPRIM_400000_NS6detail17trampoline_kernelINS0_14default_configENS1_35radix_sort_onesweep_config_selectorIdNS0_10empty_typeEEEZNS1_34radix_sort_onesweep_global_offsetsIS3_Lb1EPdPS5_mNS0_19identity_decomposerEEE10hipError_tT1_T2_PT3_SE_jT4_jjP12ihipStream_tbEUlT_E0_NS1_11comp_targetILNS1_3genE6ELNS1_11target_archE950ELNS1_3gpuE13ELNS1_3repE0EEENS1_52radix_sort_onesweep_histogram_config_static_selectorELNS0_4arch9wavefront6targetE1EEEvSC_.kd
    .uniform_work_group_size: 1
    .uses_dynamic_stack: false
    .vgpr_count:     0
    .vgpr_spill_count: 0
    .wavefront_size: 64
  - .agpr_count:     0
    .args:
      - .address_space:  global
        .offset:         0
        .size:           8
        .value_kind:     global_buffer
    .group_segment_fixed_size: 0
    .kernarg_segment_align: 8
    .kernarg_segment_size: 8
    .language:       OpenCL C
    .language_version:
      - 2
      - 0
    .max_flat_workgroup_size: 512
    .name:           _ZN7rocprim17ROCPRIM_400000_NS6detail17trampoline_kernelINS0_14default_configENS1_35radix_sort_onesweep_config_selectorIdNS0_10empty_typeEEEZNS1_34radix_sort_onesweep_global_offsetsIS3_Lb1EPdPS5_mNS0_19identity_decomposerEEE10hipError_tT1_T2_PT3_SE_jT4_jjP12ihipStream_tbEUlT_E0_NS1_11comp_targetILNS1_3genE5ELNS1_11target_archE942ELNS1_3gpuE9ELNS1_3repE0EEENS1_52radix_sort_onesweep_histogram_config_static_selectorELNS0_4arch9wavefront6targetE1EEEvSC_
    .private_segment_fixed_size: 0
    .sgpr_count:     4
    .sgpr_spill_count: 0
    .symbol:         _ZN7rocprim17ROCPRIM_400000_NS6detail17trampoline_kernelINS0_14default_configENS1_35radix_sort_onesweep_config_selectorIdNS0_10empty_typeEEEZNS1_34radix_sort_onesweep_global_offsetsIS3_Lb1EPdPS5_mNS0_19identity_decomposerEEE10hipError_tT1_T2_PT3_SE_jT4_jjP12ihipStream_tbEUlT_E0_NS1_11comp_targetILNS1_3genE5ELNS1_11target_archE942ELNS1_3gpuE9ELNS1_3repE0EEENS1_52radix_sort_onesweep_histogram_config_static_selectorELNS0_4arch9wavefront6targetE1EEEvSC_.kd
    .uniform_work_group_size: 1
    .uses_dynamic_stack: false
    .vgpr_count:     0
    .vgpr_spill_count: 0
    .wavefront_size: 64
  - .agpr_count:     0
    .args:
      - .address_space:  global
        .offset:         0
        .size:           8
        .value_kind:     global_buffer
    .group_segment_fixed_size: 0
    .kernarg_segment_align: 8
    .kernarg_segment_size: 8
    .language:       OpenCL C
    .language_version:
      - 2
      - 0
    .max_flat_workgroup_size: 512
    .name:           _ZN7rocprim17ROCPRIM_400000_NS6detail17trampoline_kernelINS0_14default_configENS1_35radix_sort_onesweep_config_selectorIdNS0_10empty_typeEEEZNS1_34radix_sort_onesweep_global_offsetsIS3_Lb1EPdPS5_mNS0_19identity_decomposerEEE10hipError_tT1_T2_PT3_SE_jT4_jjP12ihipStream_tbEUlT_E0_NS1_11comp_targetILNS1_3genE2ELNS1_11target_archE906ELNS1_3gpuE6ELNS1_3repE0EEENS1_52radix_sort_onesweep_histogram_config_static_selectorELNS0_4arch9wavefront6targetE1EEEvSC_
    .private_segment_fixed_size: 0
    .sgpr_count:     4
    .sgpr_spill_count: 0
    .symbol:         _ZN7rocprim17ROCPRIM_400000_NS6detail17trampoline_kernelINS0_14default_configENS1_35radix_sort_onesweep_config_selectorIdNS0_10empty_typeEEEZNS1_34radix_sort_onesweep_global_offsetsIS3_Lb1EPdPS5_mNS0_19identity_decomposerEEE10hipError_tT1_T2_PT3_SE_jT4_jjP12ihipStream_tbEUlT_E0_NS1_11comp_targetILNS1_3genE2ELNS1_11target_archE906ELNS1_3gpuE6ELNS1_3repE0EEENS1_52radix_sort_onesweep_histogram_config_static_selectorELNS0_4arch9wavefront6targetE1EEEvSC_.kd
    .uniform_work_group_size: 1
    .uses_dynamic_stack: false
    .vgpr_count:     0
    .vgpr_spill_count: 0
    .wavefront_size: 64
  - .agpr_count:     0
    .args:
      - .address_space:  global
        .offset:         0
        .size:           8
        .value_kind:     global_buffer
    .group_segment_fixed_size: 128
    .kernarg_segment_align: 8
    .kernarg_segment_size: 8
    .language:       OpenCL C
    .language_version:
      - 2
      - 0
    .max_flat_workgroup_size: 1024
    .name:           _ZN7rocprim17ROCPRIM_400000_NS6detail17trampoline_kernelINS0_14default_configENS1_35radix_sort_onesweep_config_selectorIdNS0_10empty_typeEEEZNS1_34radix_sort_onesweep_global_offsetsIS3_Lb1EPdPS5_mNS0_19identity_decomposerEEE10hipError_tT1_T2_PT3_SE_jT4_jjP12ihipStream_tbEUlT_E0_NS1_11comp_targetILNS1_3genE4ELNS1_11target_archE910ELNS1_3gpuE8ELNS1_3repE0EEENS1_52radix_sort_onesweep_histogram_config_static_selectorELNS0_4arch9wavefront6targetE1EEEvSC_
    .private_segment_fixed_size: 0
    .sgpr_count:     22
    .sgpr_spill_count: 0
    .symbol:         _ZN7rocprim17ROCPRIM_400000_NS6detail17trampoline_kernelINS0_14default_configENS1_35radix_sort_onesweep_config_selectorIdNS0_10empty_typeEEEZNS1_34radix_sort_onesweep_global_offsetsIS3_Lb1EPdPS5_mNS0_19identity_decomposerEEE10hipError_tT1_T2_PT3_SE_jT4_jjP12ihipStream_tbEUlT_E0_NS1_11comp_targetILNS1_3genE4ELNS1_11target_archE910ELNS1_3gpuE8ELNS1_3repE0EEENS1_52radix_sort_onesweep_histogram_config_static_selectorELNS0_4arch9wavefront6targetE1EEEvSC_.kd
    .uniform_work_group_size: 1
    .uses_dynamic_stack: false
    .vgpr_count:     13
    .vgpr_spill_count: 0
    .wavefront_size: 64
  - .agpr_count:     0
    .args:
      - .address_space:  global
        .offset:         0
        .size:           8
        .value_kind:     global_buffer
    .group_segment_fixed_size: 0
    .kernarg_segment_align: 8
    .kernarg_segment_size: 8
    .language:       OpenCL C
    .language_version:
      - 2
      - 0
    .max_flat_workgroup_size: 512
    .name:           _ZN7rocprim17ROCPRIM_400000_NS6detail17trampoline_kernelINS0_14default_configENS1_35radix_sort_onesweep_config_selectorIdNS0_10empty_typeEEEZNS1_34radix_sort_onesweep_global_offsetsIS3_Lb1EPdPS5_mNS0_19identity_decomposerEEE10hipError_tT1_T2_PT3_SE_jT4_jjP12ihipStream_tbEUlT_E0_NS1_11comp_targetILNS1_3genE3ELNS1_11target_archE908ELNS1_3gpuE7ELNS1_3repE0EEENS1_52radix_sort_onesweep_histogram_config_static_selectorELNS0_4arch9wavefront6targetE1EEEvSC_
    .private_segment_fixed_size: 0
    .sgpr_count:     4
    .sgpr_spill_count: 0
    .symbol:         _ZN7rocprim17ROCPRIM_400000_NS6detail17trampoline_kernelINS0_14default_configENS1_35radix_sort_onesweep_config_selectorIdNS0_10empty_typeEEEZNS1_34radix_sort_onesweep_global_offsetsIS3_Lb1EPdPS5_mNS0_19identity_decomposerEEE10hipError_tT1_T2_PT3_SE_jT4_jjP12ihipStream_tbEUlT_E0_NS1_11comp_targetILNS1_3genE3ELNS1_11target_archE908ELNS1_3gpuE7ELNS1_3repE0EEENS1_52radix_sort_onesweep_histogram_config_static_selectorELNS0_4arch9wavefront6targetE1EEEvSC_.kd
    .uniform_work_group_size: 1
    .uses_dynamic_stack: false
    .vgpr_count:     0
    .vgpr_spill_count: 0
    .wavefront_size: 64
  - .agpr_count:     0
    .args:
      - .address_space:  global
        .offset:         0
        .size:           8
        .value_kind:     global_buffer
    .group_segment_fixed_size: 0
    .kernarg_segment_align: 8
    .kernarg_segment_size: 8
    .language:       OpenCL C
    .language_version:
      - 2
      - 0
    .max_flat_workgroup_size: 512
    .name:           _ZN7rocprim17ROCPRIM_400000_NS6detail17trampoline_kernelINS0_14default_configENS1_35radix_sort_onesweep_config_selectorIdNS0_10empty_typeEEEZNS1_34radix_sort_onesweep_global_offsetsIS3_Lb1EPdPS5_mNS0_19identity_decomposerEEE10hipError_tT1_T2_PT3_SE_jT4_jjP12ihipStream_tbEUlT_E0_NS1_11comp_targetILNS1_3genE10ELNS1_11target_archE1201ELNS1_3gpuE5ELNS1_3repE0EEENS1_52radix_sort_onesweep_histogram_config_static_selectorELNS0_4arch9wavefront6targetE1EEEvSC_
    .private_segment_fixed_size: 0
    .sgpr_count:     4
    .sgpr_spill_count: 0
    .symbol:         _ZN7rocprim17ROCPRIM_400000_NS6detail17trampoline_kernelINS0_14default_configENS1_35radix_sort_onesweep_config_selectorIdNS0_10empty_typeEEEZNS1_34radix_sort_onesweep_global_offsetsIS3_Lb1EPdPS5_mNS0_19identity_decomposerEEE10hipError_tT1_T2_PT3_SE_jT4_jjP12ihipStream_tbEUlT_E0_NS1_11comp_targetILNS1_3genE10ELNS1_11target_archE1201ELNS1_3gpuE5ELNS1_3repE0EEENS1_52radix_sort_onesweep_histogram_config_static_selectorELNS0_4arch9wavefront6targetE1EEEvSC_.kd
    .uniform_work_group_size: 1
    .uses_dynamic_stack: false
    .vgpr_count:     0
    .vgpr_spill_count: 0
    .wavefront_size: 64
  - .agpr_count:     0
    .args:
      - .address_space:  global
        .offset:         0
        .size:           8
        .value_kind:     global_buffer
    .group_segment_fixed_size: 0
    .kernarg_segment_align: 8
    .kernarg_segment_size: 8
    .language:       OpenCL C
    .language_version:
      - 2
      - 0
    .max_flat_workgroup_size: 1024
    .name:           _ZN7rocprim17ROCPRIM_400000_NS6detail17trampoline_kernelINS0_14default_configENS1_35radix_sort_onesweep_config_selectorIdNS0_10empty_typeEEEZNS1_34radix_sort_onesweep_global_offsetsIS3_Lb1EPdPS5_mNS0_19identity_decomposerEEE10hipError_tT1_T2_PT3_SE_jT4_jjP12ihipStream_tbEUlT_E0_NS1_11comp_targetILNS1_3genE9ELNS1_11target_archE1100ELNS1_3gpuE3ELNS1_3repE0EEENS1_52radix_sort_onesweep_histogram_config_static_selectorELNS0_4arch9wavefront6targetE1EEEvSC_
    .private_segment_fixed_size: 0
    .sgpr_count:     4
    .sgpr_spill_count: 0
    .symbol:         _ZN7rocprim17ROCPRIM_400000_NS6detail17trampoline_kernelINS0_14default_configENS1_35radix_sort_onesweep_config_selectorIdNS0_10empty_typeEEEZNS1_34radix_sort_onesweep_global_offsetsIS3_Lb1EPdPS5_mNS0_19identity_decomposerEEE10hipError_tT1_T2_PT3_SE_jT4_jjP12ihipStream_tbEUlT_E0_NS1_11comp_targetILNS1_3genE9ELNS1_11target_archE1100ELNS1_3gpuE3ELNS1_3repE0EEENS1_52radix_sort_onesweep_histogram_config_static_selectorELNS0_4arch9wavefront6targetE1EEEvSC_.kd
    .uniform_work_group_size: 1
    .uses_dynamic_stack: false
    .vgpr_count:     0
    .vgpr_spill_count: 0
    .wavefront_size: 64
  - .agpr_count:     0
    .args:
      - .address_space:  global
        .offset:         0
        .size:           8
        .value_kind:     global_buffer
    .group_segment_fixed_size: 0
    .kernarg_segment_align: 8
    .kernarg_segment_size: 8
    .language:       OpenCL C
    .language_version:
      - 2
      - 0
    .max_flat_workgroup_size: 1024
    .name:           _ZN7rocprim17ROCPRIM_400000_NS6detail17trampoline_kernelINS0_14default_configENS1_35radix_sort_onesweep_config_selectorIdNS0_10empty_typeEEEZNS1_34radix_sort_onesweep_global_offsetsIS3_Lb1EPdPS5_mNS0_19identity_decomposerEEE10hipError_tT1_T2_PT3_SE_jT4_jjP12ihipStream_tbEUlT_E0_NS1_11comp_targetILNS1_3genE8ELNS1_11target_archE1030ELNS1_3gpuE2ELNS1_3repE0EEENS1_52radix_sort_onesweep_histogram_config_static_selectorELNS0_4arch9wavefront6targetE1EEEvSC_
    .private_segment_fixed_size: 0
    .sgpr_count:     4
    .sgpr_spill_count: 0
    .symbol:         _ZN7rocprim17ROCPRIM_400000_NS6detail17trampoline_kernelINS0_14default_configENS1_35radix_sort_onesweep_config_selectorIdNS0_10empty_typeEEEZNS1_34radix_sort_onesweep_global_offsetsIS3_Lb1EPdPS5_mNS0_19identity_decomposerEEE10hipError_tT1_T2_PT3_SE_jT4_jjP12ihipStream_tbEUlT_E0_NS1_11comp_targetILNS1_3genE8ELNS1_11target_archE1030ELNS1_3gpuE2ELNS1_3repE0EEENS1_52radix_sort_onesweep_histogram_config_static_selectorELNS0_4arch9wavefront6targetE1EEEvSC_.kd
    .uniform_work_group_size: 1
    .uses_dynamic_stack: false
    .vgpr_count:     0
    .vgpr_spill_count: 0
    .wavefront_size: 64
  - .agpr_count:     0
    .args:
      - .offset:         0
        .size:           88
        .value_kind:     by_value
    .group_segment_fixed_size: 0
    .kernarg_segment_align: 8
    .kernarg_segment_size: 88
    .language:       OpenCL C
    .language_version:
      - 2
      - 0
    .max_flat_workgroup_size: 512
    .name:           _ZN7rocprim17ROCPRIM_400000_NS6detail17trampoline_kernelINS0_14default_configENS1_35radix_sort_onesweep_config_selectorIdNS0_10empty_typeEEEZZNS1_29radix_sort_onesweep_iterationIS3_Lb1EPdS8_PS5_S9_mNS0_19identity_decomposerENS1_16block_id_wrapperIjLb1EEEEE10hipError_tT1_PNSt15iterator_traitsISE_E10value_typeET2_T3_PNSF_ISK_E10value_typeET4_T5_PSP_SQ_PNS1_23onesweep_lookback_stateEbbT6_jjT7_P12ihipStream_tbENKUlT_T0_SE_SJ_E_clIS8_S8_S9_S9_EEDaSX_SY_SE_SJ_EUlSX_E_NS1_11comp_targetILNS1_3genE0ELNS1_11target_archE4294967295ELNS1_3gpuE0ELNS1_3repE0EEENS1_47radix_sort_onesweep_sort_config_static_selectorELNS0_4arch9wavefront6targetE1EEEvSE_
    .private_segment_fixed_size: 0
    .sgpr_count:     4
    .sgpr_spill_count: 0
    .symbol:         _ZN7rocprim17ROCPRIM_400000_NS6detail17trampoline_kernelINS0_14default_configENS1_35radix_sort_onesweep_config_selectorIdNS0_10empty_typeEEEZZNS1_29radix_sort_onesweep_iterationIS3_Lb1EPdS8_PS5_S9_mNS0_19identity_decomposerENS1_16block_id_wrapperIjLb1EEEEE10hipError_tT1_PNSt15iterator_traitsISE_E10value_typeET2_T3_PNSF_ISK_E10value_typeET4_T5_PSP_SQ_PNS1_23onesweep_lookback_stateEbbT6_jjT7_P12ihipStream_tbENKUlT_T0_SE_SJ_E_clIS8_S8_S9_S9_EEDaSX_SY_SE_SJ_EUlSX_E_NS1_11comp_targetILNS1_3genE0ELNS1_11target_archE4294967295ELNS1_3gpuE0ELNS1_3repE0EEENS1_47radix_sort_onesweep_sort_config_static_selectorELNS0_4arch9wavefront6targetE1EEEvSE_.kd
    .uniform_work_group_size: 1
    .uses_dynamic_stack: false
    .vgpr_count:     0
    .vgpr_spill_count: 0
    .wavefront_size: 64
  - .agpr_count:     0
    .args:
      - .offset:         0
        .size:           88
        .value_kind:     by_value
    .group_segment_fixed_size: 0
    .kernarg_segment_align: 8
    .kernarg_segment_size: 88
    .language:       OpenCL C
    .language_version:
      - 2
      - 0
    .max_flat_workgroup_size: 512
    .name:           _ZN7rocprim17ROCPRIM_400000_NS6detail17trampoline_kernelINS0_14default_configENS1_35radix_sort_onesweep_config_selectorIdNS0_10empty_typeEEEZZNS1_29radix_sort_onesweep_iterationIS3_Lb1EPdS8_PS5_S9_mNS0_19identity_decomposerENS1_16block_id_wrapperIjLb1EEEEE10hipError_tT1_PNSt15iterator_traitsISE_E10value_typeET2_T3_PNSF_ISK_E10value_typeET4_T5_PSP_SQ_PNS1_23onesweep_lookback_stateEbbT6_jjT7_P12ihipStream_tbENKUlT_T0_SE_SJ_E_clIS8_S8_S9_S9_EEDaSX_SY_SE_SJ_EUlSX_E_NS1_11comp_targetILNS1_3genE6ELNS1_11target_archE950ELNS1_3gpuE13ELNS1_3repE0EEENS1_47radix_sort_onesweep_sort_config_static_selectorELNS0_4arch9wavefront6targetE1EEEvSE_
    .private_segment_fixed_size: 0
    .sgpr_count:     4
    .sgpr_spill_count: 0
    .symbol:         _ZN7rocprim17ROCPRIM_400000_NS6detail17trampoline_kernelINS0_14default_configENS1_35radix_sort_onesweep_config_selectorIdNS0_10empty_typeEEEZZNS1_29radix_sort_onesweep_iterationIS3_Lb1EPdS8_PS5_S9_mNS0_19identity_decomposerENS1_16block_id_wrapperIjLb1EEEEE10hipError_tT1_PNSt15iterator_traitsISE_E10value_typeET2_T3_PNSF_ISK_E10value_typeET4_T5_PSP_SQ_PNS1_23onesweep_lookback_stateEbbT6_jjT7_P12ihipStream_tbENKUlT_T0_SE_SJ_E_clIS8_S8_S9_S9_EEDaSX_SY_SE_SJ_EUlSX_E_NS1_11comp_targetILNS1_3genE6ELNS1_11target_archE950ELNS1_3gpuE13ELNS1_3repE0EEENS1_47radix_sort_onesweep_sort_config_static_selectorELNS0_4arch9wavefront6targetE1EEEvSE_.kd
    .uniform_work_group_size: 1
    .uses_dynamic_stack: false
    .vgpr_count:     0
    .vgpr_spill_count: 0
    .wavefront_size: 64
  - .agpr_count:     0
    .args:
      - .offset:         0
        .size:           88
        .value_kind:     by_value
    .group_segment_fixed_size: 0
    .kernarg_segment_align: 8
    .kernarg_segment_size: 88
    .language:       OpenCL C
    .language_version:
      - 2
      - 0
    .max_flat_workgroup_size: 512
    .name:           _ZN7rocprim17ROCPRIM_400000_NS6detail17trampoline_kernelINS0_14default_configENS1_35radix_sort_onesweep_config_selectorIdNS0_10empty_typeEEEZZNS1_29radix_sort_onesweep_iterationIS3_Lb1EPdS8_PS5_S9_mNS0_19identity_decomposerENS1_16block_id_wrapperIjLb1EEEEE10hipError_tT1_PNSt15iterator_traitsISE_E10value_typeET2_T3_PNSF_ISK_E10value_typeET4_T5_PSP_SQ_PNS1_23onesweep_lookback_stateEbbT6_jjT7_P12ihipStream_tbENKUlT_T0_SE_SJ_E_clIS8_S8_S9_S9_EEDaSX_SY_SE_SJ_EUlSX_E_NS1_11comp_targetILNS1_3genE5ELNS1_11target_archE942ELNS1_3gpuE9ELNS1_3repE0EEENS1_47radix_sort_onesweep_sort_config_static_selectorELNS0_4arch9wavefront6targetE1EEEvSE_
    .private_segment_fixed_size: 0
    .sgpr_count:     4
    .sgpr_spill_count: 0
    .symbol:         _ZN7rocprim17ROCPRIM_400000_NS6detail17trampoline_kernelINS0_14default_configENS1_35radix_sort_onesweep_config_selectorIdNS0_10empty_typeEEEZZNS1_29radix_sort_onesweep_iterationIS3_Lb1EPdS8_PS5_S9_mNS0_19identity_decomposerENS1_16block_id_wrapperIjLb1EEEEE10hipError_tT1_PNSt15iterator_traitsISE_E10value_typeET2_T3_PNSF_ISK_E10value_typeET4_T5_PSP_SQ_PNS1_23onesweep_lookback_stateEbbT6_jjT7_P12ihipStream_tbENKUlT_T0_SE_SJ_E_clIS8_S8_S9_S9_EEDaSX_SY_SE_SJ_EUlSX_E_NS1_11comp_targetILNS1_3genE5ELNS1_11target_archE942ELNS1_3gpuE9ELNS1_3repE0EEENS1_47radix_sort_onesweep_sort_config_static_selectorELNS0_4arch9wavefront6targetE1EEEvSE_.kd
    .uniform_work_group_size: 1
    .uses_dynamic_stack: false
    .vgpr_count:     0
    .vgpr_spill_count: 0
    .wavefront_size: 64
  - .agpr_count:     0
    .args:
      - .offset:         0
        .size:           88
        .value_kind:     by_value
    .group_segment_fixed_size: 0
    .kernarg_segment_align: 8
    .kernarg_segment_size: 88
    .language:       OpenCL C
    .language_version:
      - 2
      - 0
    .max_flat_workgroup_size: 512
    .name:           _ZN7rocprim17ROCPRIM_400000_NS6detail17trampoline_kernelINS0_14default_configENS1_35radix_sort_onesweep_config_selectorIdNS0_10empty_typeEEEZZNS1_29radix_sort_onesweep_iterationIS3_Lb1EPdS8_PS5_S9_mNS0_19identity_decomposerENS1_16block_id_wrapperIjLb1EEEEE10hipError_tT1_PNSt15iterator_traitsISE_E10value_typeET2_T3_PNSF_ISK_E10value_typeET4_T5_PSP_SQ_PNS1_23onesweep_lookback_stateEbbT6_jjT7_P12ihipStream_tbENKUlT_T0_SE_SJ_E_clIS8_S8_S9_S9_EEDaSX_SY_SE_SJ_EUlSX_E_NS1_11comp_targetILNS1_3genE2ELNS1_11target_archE906ELNS1_3gpuE6ELNS1_3repE0EEENS1_47radix_sort_onesweep_sort_config_static_selectorELNS0_4arch9wavefront6targetE1EEEvSE_
    .private_segment_fixed_size: 0
    .sgpr_count:     4
    .sgpr_spill_count: 0
    .symbol:         _ZN7rocprim17ROCPRIM_400000_NS6detail17trampoline_kernelINS0_14default_configENS1_35radix_sort_onesweep_config_selectorIdNS0_10empty_typeEEEZZNS1_29radix_sort_onesweep_iterationIS3_Lb1EPdS8_PS5_S9_mNS0_19identity_decomposerENS1_16block_id_wrapperIjLb1EEEEE10hipError_tT1_PNSt15iterator_traitsISE_E10value_typeET2_T3_PNSF_ISK_E10value_typeET4_T5_PSP_SQ_PNS1_23onesweep_lookback_stateEbbT6_jjT7_P12ihipStream_tbENKUlT_T0_SE_SJ_E_clIS8_S8_S9_S9_EEDaSX_SY_SE_SJ_EUlSX_E_NS1_11comp_targetILNS1_3genE2ELNS1_11target_archE906ELNS1_3gpuE6ELNS1_3repE0EEENS1_47radix_sort_onesweep_sort_config_static_selectorELNS0_4arch9wavefront6targetE1EEEvSE_.kd
    .uniform_work_group_size: 1
    .uses_dynamic_stack: false
    .vgpr_count:     0
    .vgpr_spill_count: 0
    .wavefront_size: 64
  - .agpr_count:     0
    .args:
      - .offset:         0
        .size:           88
        .value_kind:     by_value
      - .offset:         88
        .size:           4
        .value_kind:     hidden_block_count_x
      - .offset:         92
        .size:           4
        .value_kind:     hidden_block_count_y
      - .offset:         96
        .size:           4
        .value_kind:     hidden_block_count_z
      - .offset:         100
        .size:           2
        .value_kind:     hidden_group_size_x
      - .offset:         102
        .size:           2
        .value_kind:     hidden_group_size_y
      - .offset:         104
        .size:           2
        .value_kind:     hidden_group_size_z
      - .offset:         106
        .size:           2
        .value_kind:     hidden_remainder_x
      - .offset:         108
        .size:           2
        .value_kind:     hidden_remainder_y
      - .offset:         110
        .size:           2
        .value_kind:     hidden_remainder_z
      - .offset:         128
        .size:           8
        .value_kind:     hidden_global_offset_x
      - .offset:         136
        .size:           8
        .value_kind:     hidden_global_offset_y
      - .offset:         144
        .size:           8
        .value_kind:     hidden_global_offset_z
      - .offset:         152
        .size:           2
        .value_kind:     hidden_grid_dims
    .group_segment_fixed_size: 20552
    .kernarg_segment_align: 8
    .kernarg_segment_size: 344
    .language:       OpenCL C
    .language_version:
      - 2
      - 0
    .max_flat_workgroup_size: 1024
    .name:           _ZN7rocprim17ROCPRIM_400000_NS6detail17trampoline_kernelINS0_14default_configENS1_35radix_sort_onesweep_config_selectorIdNS0_10empty_typeEEEZZNS1_29radix_sort_onesweep_iterationIS3_Lb1EPdS8_PS5_S9_mNS0_19identity_decomposerENS1_16block_id_wrapperIjLb1EEEEE10hipError_tT1_PNSt15iterator_traitsISE_E10value_typeET2_T3_PNSF_ISK_E10value_typeET4_T5_PSP_SQ_PNS1_23onesweep_lookback_stateEbbT6_jjT7_P12ihipStream_tbENKUlT_T0_SE_SJ_E_clIS8_S8_S9_S9_EEDaSX_SY_SE_SJ_EUlSX_E_NS1_11comp_targetILNS1_3genE4ELNS1_11target_archE910ELNS1_3gpuE8ELNS1_3repE0EEENS1_47radix_sort_onesweep_sort_config_static_selectorELNS0_4arch9wavefront6targetE1EEEvSE_
    .private_segment_fixed_size: 0
    .sgpr_count:     39
    .sgpr_spill_count: 0
    .symbol:         _ZN7rocprim17ROCPRIM_400000_NS6detail17trampoline_kernelINS0_14default_configENS1_35radix_sort_onesweep_config_selectorIdNS0_10empty_typeEEEZZNS1_29radix_sort_onesweep_iterationIS3_Lb1EPdS8_PS5_S9_mNS0_19identity_decomposerENS1_16block_id_wrapperIjLb1EEEEE10hipError_tT1_PNSt15iterator_traitsISE_E10value_typeET2_T3_PNSF_ISK_E10value_typeET4_T5_PSP_SQ_PNS1_23onesweep_lookback_stateEbbT6_jjT7_P12ihipStream_tbENKUlT_T0_SE_SJ_E_clIS8_S8_S9_S9_EEDaSX_SY_SE_SJ_EUlSX_E_NS1_11comp_targetILNS1_3genE4ELNS1_11target_archE910ELNS1_3gpuE8ELNS1_3repE0EEENS1_47radix_sort_onesweep_sort_config_static_selectorELNS0_4arch9wavefront6targetE1EEEvSE_.kd
    .uniform_work_group_size: 1
    .uses_dynamic_stack: false
    .vgpr_count:     44
    .vgpr_spill_count: 0
    .wavefront_size: 64
  - .agpr_count:     0
    .args:
      - .offset:         0
        .size:           88
        .value_kind:     by_value
    .group_segment_fixed_size: 0
    .kernarg_segment_align: 8
    .kernarg_segment_size: 88
    .language:       OpenCL C
    .language_version:
      - 2
      - 0
    .max_flat_workgroup_size: 512
    .name:           _ZN7rocprim17ROCPRIM_400000_NS6detail17trampoline_kernelINS0_14default_configENS1_35radix_sort_onesweep_config_selectorIdNS0_10empty_typeEEEZZNS1_29radix_sort_onesweep_iterationIS3_Lb1EPdS8_PS5_S9_mNS0_19identity_decomposerENS1_16block_id_wrapperIjLb1EEEEE10hipError_tT1_PNSt15iterator_traitsISE_E10value_typeET2_T3_PNSF_ISK_E10value_typeET4_T5_PSP_SQ_PNS1_23onesweep_lookback_stateEbbT6_jjT7_P12ihipStream_tbENKUlT_T0_SE_SJ_E_clIS8_S8_S9_S9_EEDaSX_SY_SE_SJ_EUlSX_E_NS1_11comp_targetILNS1_3genE3ELNS1_11target_archE908ELNS1_3gpuE7ELNS1_3repE0EEENS1_47radix_sort_onesweep_sort_config_static_selectorELNS0_4arch9wavefront6targetE1EEEvSE_
    .private_segment_fixed_size: 0
    .sgpr_count:     4
    .sgpr_spill_count: 0
    .symbol:         _ZN7rocprim17ROCPRIM_400000_NS6detail17trampoline_kernelINS0_14default_configENS1_35radix_sort_onesweep_config_selectorIdNS0_10empty_typeEEEZZNS1_29radix_sort_onesweep_iterationIS3_Lb1EPdS8_PS5_S9_mNS0_19identity_decomposerENS1_16block_id_wrapperIjLb1EEEEE10hipError_tT1_PNSt15iterator_traitsISE_E10value_typeET2_T3_PNSF_ISK_E10value_typeET4_T5_PSP_SQ_PNS1_23onesweep_lookback_stateEbbT6_jjT7_P12ihipStream_tbENKUlT_T0_SE_SJ_E_clIS8_S8_S9_S9_EEDaSX_SY_SE_SJ_EUlSX_E_NS1_11comp_targetILNS1_3genE3ELNS1_11target_archE908ELNS1_3gpuE7ELNS1_3repE0EEENS1_47radix_sort_onesweep_sort_config_static_selectorELNS0_4arch9wavefront6targetE1EEEvSE_.kd
    .uniform_work_group_size: 1
    .uses_dynamic_stack: false
    .vgpr_count:     0
    .vgpr_spill_count: 0
    .wavefront_size: 64
  - .agpr_count:     0
    .args:
      - .offset:         0
        .size:           88
        .value_kind:     by_value
    .group_segment_fixed_size: 0
    .kernarg_segment_align: 8
    .kernarg_segment_size: 88
    .language:       OpenCL C
    .language_version:
      - 2
      - 0
    .max_flat_workgroup_size: 512
    .name:           _ZN7rocprim17ROCPRIM_400000_NS6detail17trampoline_kernelINS0_14default_configENS1_35radix_sort_onesweep_config_selectorIdNS0_10empty_typeEEEZZNS1_29radix_sort_onesweep_iterationIS3_Lb1EPdS8_PS5_S9_mNS0_19identity_decomposerENS1_16block_id_wrapperIjLb1EEEEE10hipError_tT1_PNSt15iterator_traitsISE_E10value_typeET2_T3_PNSF_ISK_E10value_typeET4_T5_PSP_SQ_PNS1_23onesweep_lookback_stateEbbT6_jjT7_P12ihipStream_tbENKUlT_T0_SE_SJ_E_clIS8_S8_S9_S9_EEDaSX_SY_SE_SJ_EUlSX_E_NS1_11comp_targetILNS1_3genE10ELNS1_11target_archE1201ELNS1_3gpuE5ELNS1_3repE0EEENS1_47radix_sort_onesweep_sort_config_static_selectorELNS0_4arch9wavefront6targetE1EEEvSE_
    .private_segment_fixed_size: 0
    .sgpr_count:     4
    .sgpr_spill_count: 0
    .symbol:         _ZN7rocprim17ROCPRIM_400000_NS6detail17trampoline_kernelINS0_14default_configENS1_35radix_sort_onesweep_config_selectorIdNS0_10empty_typeEEEZZNS1_29radix_sort_onesweep_iterationIS3_Lb1EPdS8_PS5_S9_mNS0_19identity_decomposerENS1_16block_id_wrapperIjLb1EEEEE10hipError_tT1_PNSt15iterator_traitsISE_E10value_typeET2_T3_PNSF_ISK_E10value_typeET4_T5_PSP_SQ_PNS1_23onesweep_lookback_stateEbbT6_jjT7_P12ihipStream_tbENKUlT_T0_SE_SJ_E_clIS8_S8_S9_S9_EEDaSX_SY_SE_SJ_EUlSX_E_NS1_11comp_targetILNS1_3genE10ELNS1_11target_archE1201ELNS1_3gpuE5ELNS1_3repE0EEENS1_47radix_sort_onesweep_sort_config_static_selectorELNS0_4arch9wavefront6targetE1EEEvSE_.kd
    .uniform_work_group_size: 1
    .uses_dynamic_stack: false
    .vgpr_count:     0
    .vgpr_spill_count: 0
    .wavefront_size: 64
  - .agpr_count:     0
    .args:
      - .offset:         0
        .size:           88
        .value_kind:     by_value
    .group_segment_fixed_size: 0
    .kernarg_segment_align: 8
    .kernarg_segment_size: 88
    .language:       OpenCL C
    .language_version:
      - 2
      - 0
    .max_flat_workgroup_size: 1024
    .name:           _ZN7rocprim17ROCPRIM_400000_NS6detail17trampoline_kernelINS0_14default_configENS1_35radix_sort_onesweep_config_selectorIdNS0_10empty_typeEEEZZNS1_29radix_sort_onesweep_iterationIS3_Lb1EPdS8_PS5_S9_mNS0_19identity_decomposerENS1_16block_id_wrapperIjLb1EEEEE10hipError_tT1_PNSt15iterator_traitsISE_E10value_typeET2_T3_PNSF_ISK_E10value_typeET4_T5_PSP_SQ_PNS1_23onesweep_lookback_stateEbbT6_jjT7_P12ihipStream_tbENKUlT_T0_SE_SJ_E_clIS8_S8_S9_S9_EEDaSX_SY_SE_SJ_EUlSX_E_NS1_11comp_targetILNS1_3genE9ELNS1_11target_archE1100ELNS1_3gpuE3ELNS1_3repE0EEENS1_47radix_sort_onesweep_sort_config_static_selectorELNS0_4arch9wavefront6targetE1EEEvSE_
    .private_segment_fixed_size: 0
    .sgpr_count:     4
    .sgpr_spill_count: 0
    .symbol:         _ZN7rocprim17ROCPRIM_400000_NS6detail17trampoline_kernelINS0_14default_configENS1_35radix_sort_onesweep_config_selectorIdNS0_10empty_typeEEEZZNS1_29radix_sort_onesweep_iterationIS3_Lb1EPdS8_PS5_S9_mNS0_19identity_decomposerENS1_16block_id_wrapperIjLb1EEEEE10hipError_tT1_PNSt15iterator_traitsISE_E10value_typeET2_T3_PNSF_ISK_E10value_typeET4_T5_PSP_SQ_PNS1_23onesweep_lookback_stateEbbT6_jjT7_P12ihipStream_tbENKUlT_T0_SE_SJ_E_clIS8_S8_S9_S9_EEDaSX_SY_SE_SJ_EUlSX_E_NS1_11comp_targetILNS1_3genE9ELNS1_11target_archE1100ELNS1_3gpuE3ELNS1_3repE0EEENS1_47radix_sort_onesweep_sort_config_static_selectorELNS0_4arch9wavefront6targetE1EEEvSE_.kd
    .uniform_work_group_size: 1
    .uses_dynamic_stack: false
    .vgpr_count:     0
    .vgpr_spill_count: 0
    .wavefront_size: 64
  - .agpr_count:     0
    .args:
      - .offset:         0
        .size:           88
        .value_kind:     by_value
    .group_segment_fixed_size: 0
    .kernarg_segment_align: 8
    .kernarg_segment_size: 88
    .language:       OpenCL C
    .language_version:
      - 2
      - 0
    .max_flat_workgroup_size: 1024
    .name:           _ZN7rocprim17ROCPRIM_400000_NS6detail17trampoline_kernelINS0_14default_configENS1_35radix_sort_onesweep_config_selectorIdNS0_10empty_typeEEEZZNS1_29radix_sort_onesweep_iterationIS3_Lb1EPdS8_PS5_S9_mNS0_19identity_decomposerENS1_16block_id_wrapperIjLb1EEEEE10hipError_tT1_PNSt15iterator_traitsISE_E10value_typeET2_T3_PNSF_ISK_E10value_typeET4_T5_PSP_SQ_PNS1_23onesweep_lookback_stateEbbT6_jjT7_P12ihipStream_tbENKUlT_T0_SE_SJ_E_clIS8_S8_S9_S9_EEDaSX_SY_SE_SJ_EUlSX_E_NS1_11comp_targetILNS1_3genE8ELNS1_11target_archE1030ELNS1_3gpuE2ELNS1_3repE0EEENS1_47radix_sort_onesweep_sort_config_static_selectorELNS0_4arch9wavefront6targetE1EEEvSE_
    .private_segment_fixed_size: 0
    .sgpr_count:     4
    .sgpr_spill_count: 0
    .symbol:         _ZN7rocprim17ROCPRIM_400000_NS6detail17trampoline_kernelINS0_14default_configENS1_35radix_sort_onesweep_config_selectorIdNS0_10empty_typeEEEZZNS1_29radix_sort_onesweep_iterationIS3_Lb1EPdS8_PS5_S9_mNS0_19identity_decomposerENS1_16block_id_wrapperIjLb1EEEEE10hipError_tT1_PNSt15iterator_traitsISE_E10value_typeET2_T3_PNSF_ISK_E10value_typeET4_T5_PSP_SQ_PNS1_23onesweep_lookback_stateEbbT6_jjT7_P12ihipStream_tbENKUlT_T0_SE_SJ_E_clIS8_S8_S9_S9_EEDaSX_SY_SE_SJ_EUlSX_E_NS1_11comp_targetILNS1_3genE8ELNS1_11target_archE1030ELNS1_3gpuE2ELNS1_3repE0EEENS1_47radix_sort_onesweep_sort_config_static_selectorELNS0_4arch9wavefront6targetE1EEEvSE_.kd
    .uniform_work_group_size: 1
    .uses_dynamic_stack: false
    .vgpr_count:     0
    .vgpr_spill_count: 0
    .wavefront_size: 64
  - .agpr_count:     0
    .args:
      - .offset:         0
        .size:           88
        .value_kind:     by_value
    .group_segment_fixed_size: 0
    .kernarg_segment_align: 8
    .kernarg_segment_size: 88
    .language:       OpenCL C
    .language_version:
      - 2
      - 0
    .max_flat_workgroup_size: 512
    .name:           _ZN7rocprim17ROCPRIM_400000_NS6detail17trampoline_kernelINS0_14default_configENS1_35radix_sort_onesweep_config_selectorIdNS0_10empty_typeEEEZZNS1_29radix_sort_onesweep_iterationIS3_Lb1EPdS8_PS5_S9_mNS0_19identity_decomposerENS1_16block_id_wrapperIjLb0EEEEE10hipError_tT1_PNSt15iterator_traitsISE_E10value_typeET2_T3_PNSF_ISK_E10value_typeET4_T5_PSP_SQ_PNS1_23onesweep_lookback_stateEbbT6_jjT7_P12ihipStream_tbENKUlT_T0_SE_SJ_E_clIS8_S8_S9_S9_EEDaSX_SY_SE_SJ_EUlSX_E_NS1_11comp_targetILNS1_3genE0ELNS1_11target_archE4294967295ELNS1_3gpuE0ELNS1_3repE0EEENS1_47radix_sort_onesweep_sort_config_static_selectorELNS0_4arch9wavefront6targetE1EEEvSE_
    .private_segment_fixed_size: 0
    .sgpr_count:     4
    .sgpr_spill_count: 0
    .symbol:         _ZN7rocprim17ROCPRIM_400000_NS6detail17trampoline_kernelINS0_14default_configENS1_35radix_sort_onesweep_config_selectorIdNS0_10empty_typeEEEZZNS1_29radix_sort_onesweep_iterationIS3_Lb1EPdS8_PS5_S9_mNS0_19identity_decomposerENS1_16block_id_wrapperIjLb0EEEEE10hipError_tT1_PNSt15iterator_traitsISE_E10value_typeET2_T3_PNSF_ISK_E10value_typeET4_T5_PSP_SQ_PNS1_23onesweep_lookback_stateEbbT6_jjT7_P12ihipStream_tbENKUlT_T0_SE_SJ_E_clIS8_S8_S9_S9_EEDaSX_SY_SE_SJ_EUlSX_E_NS1_11comp_targetILNS1_3genE0ELNS1_11target_archE4294967295ELNS1_3gpuE0ELNS1_3repE0EEENS1_47radix_sort_onesweep_sort_config_static_selectorELNS0_4arch9wavefront6targetE1EEEvSE_.kd
    .uniform_work_group_size: 1
    .uses_dynamic_stack: false
    .vgpr_count:     0
    .vgpr_spill_count: 0
    .wavefront_size: 64
  - .agpr_count:     0
    .args:
      - .offset:         0
        .size:           88
        .value_kind:     by_value
    .group_segment_fixed_size: 0
    .kernarg_segment_align: 8
    .kernarg_segment_size: 88
    .language:       OpenCL C
    .language_version:
      - 2
      - 0
    .max_flat_workgroup_size: 512
    .name:           _ZN7rocprim17ROCPRIM_400000_NS6detail17trampoline_kernelINS0_14default_configENS1_35radix_sort_onesweep_config_selectorIdNS0_10empty_typeEEEZZNS1_29radix_sort_onesweep_iterationIS3_Lb1EPdS8_PS5_S9_mNS0_19identity_decomposerENS1_16block_id_wrapperIjLb0EEEEE10hipError_tT1_PNSt15iterator_traitsISE_E10value_typeET2_T3_PNSF_ISK_E10value_typeET4_T5_PSP_SQ_PNS1_23onesweep_lookback_stateEbbT6_jjT7_P12ihipStream_tbENKUlT_T0_SE_SJ_E_clIS8_S8_S9_S9_EEDaSX_SY_SE_SJ_EUlSX_E_NS1_11comp_targetILNS1_3genE6ELNS1_11target_archE950ELNS1_3gpuE13ELNS1_3repE0EEENS1_47radix_sort_onesweep_sort_config_static_selectorELNS0_4arch9wavefront6targetE1EEEvSE_
    .private_segment_fixed_size: 0
    .sgpr_count:     4
    .sgpr_spill_count: 0
    .symbol:         _ZN7rocprim17ROCPRIM_400000_NS6detail17trampoline_kernelINS0_14default_configENS1_35radix_sort_onesweep_config_selectorIdNS0_10empty_typeEEEZZNS1_29radix_sort_onesweep_iterationIS3_Lb1EPdS8_PS5_S9_mNS0_19identity_decomposerENS1_16block_id_wrapperIjLb0EEEEE10hipError_tT1_PNSt15iterator_traitsISE_E10value_typeET2_T3_PNSF_ISK_E10value_typeET4_T5_PSP_SQ_PNS1_23onesweep_lookback_stateEbbT6_jjT7_P12ihipStream_tbENKUlT_T0_SE_SJ_E_clIS8_S8_S9_S9_EEDaSX_SY_SE_SJ_EUlSX_E_NS1_11comp_targetILNS1_3genE6ELNS1_11target_archE950ELNS1_3gpuE13ELNS1_3repE0EEENS1_47radix_sort_onesweep_sort_config_static_selectorELNS0_4arch9wavefront6targetE1EEEvSE_.kd
    .uniform_work_group_size: 1
    .uses_dynamic_stack: false
    .vgpr_count:     0
    .vgpr_spill_count: 0
    .wavefront_size: 64
  - .agpr_count:     0
    .args:
      - .offset:         0
        .size:           88
        .value_kind:     by_value
    .group_segment_fixed_size: 0
    .kernarg_segment_align: 8
    .kernarg_segment_size: 88
    .language:       OpenCL C
    .language_version:
      - 2
      - 0
    .max_flat_workgroup_size: 512
    .name:           _ZN7rocprim17ROCPRIM_400000_NS6detail17trampoline_kernelINS0_14default_configENS1_35radix_sort_onesweep_config_selectorIdNS0_10empty_typeEEEZZNS1_29radix_sort_onesweep_iterationIS3_Lb1EPdS8_PS5_S9_mNS0_19identity_decomposerENS1_16block_id_wrapperIjLb0EEEEE10hipError_tT1_PNSt15iterator_traitsISE_E10value_typeET2_T3_PNSF_ISK_E10value_typeET4_T5_PSP_SQ_PNS1_23onesweep_lookback_stateEbbT6_jjT7_P12ihipStream_tbENKUlT_T0_SE_SJ_E_clIS8_S8_S9_S9_EEDaSX_SY_SE_SJ_EUlSX_E_NS1_11comp_targetILNS1_3genE5ELNS1_11target_archE942ELNS1_3gpuE9ELNS1_3repE0EEENS1_47radix_sort_onesweep_sort_config_static_selectorELNS0_4arch9wavefront6targetE1EEEvSE_
    .private_segment_fixed_size: 0
    .sgpr_count:     4
    .sgpr_spill_count: 0
    .symbol:         _ZN7rocprim17ROCPRIM_400000_NS6detail17trampoline_kernelINS0_14default_configENS1_35radix_sort_onesweep_config_selectorIdNS0_10empty_typeEEEZZNS1_29radix_sort_onesweep_iterationIS3_Lb1EPdS8_PS5_S9_mNS0_19identity_decomposerENS1_16block_id_wrapperIjLb0EEEEE10hipError_tT1_PNSt15iterator_traitsISE_E10value_typeET2_T3_PNSF_ISK_E10value_typeET4_T5_PSP_SQ_PNS1_23onesweep_lookback_stateEbbT6_jjT7_P12ihipStream_tbENKUlT_T0_SE_SJ_E_clIS8_S8_S9_S9_EEDaSX_SY_SE_SJ_EUlSX_E_NS1_11comp_targetILNS1_3genE5ELNS1_11target_archE942ELNS1_3gpuE9ELNS1_3repE0EEENS1_47radix_sort_onesweep_sort_config_static_selectorELNS0_4arch9wavefront6targetE1EEEvSE_.kd
    .uniform_work_group_size: 1
    .uses_dynamic_stack: false
    .vgpr_count:     0
    .vgpr_spill_count: 0
    .wavefront_size: 64
  - .agpr_count:     0
    .args:
      - .offset:         0
        .size:           88
        .value_kind:     by_value
    .group_segment_fixed_size: 0
    .kernarg_segment_align: 8
    .kernarg_segment_size: 88
    .language:       OpenCL C
    .language_version:
      - 2
      - 0
    .max_flat_workgroup_size: 512
    .name:           _ZN7rocprim17ROCPRIM_400000_NS6detail17trampoline_kernelINS0_14default_configENS1_35radix_sort_onesweep_config_selectorIdNS0_10empty_typeEEEZZNS1_29radix_sort_onesweep_iterationIS3_Lb1EPdS8_PS5_S9_mNS0_19identity_decomposerENS1_16block_id_wrapperIjLb0EEEEE10hipError_tT1_PNSt15iterator_traitsISE_E10value_typeET2_T3_PNSF_ISK_E10value_typeET4_T5_PSP_SQ_PNS1_23onesweep_lookback_stateEbbT6_jjT7_P12ihipStream_tbENKUlT_T0_SE_SJ_E_clIS8_S8_S9_S9_EEDaSX_SY_SE_SJ_EUlSX_E_NS1_11comp_targetILNS1_3genE2ELNS1_11target_archE906ELNS1_3gpuE6ELNS1_3repE0EEENS1_47radix_sort_onesweep_sort_config_static_selectorELNS0_4arch9wavefront6targetE1EEEvSE_
    .private_segment_fixed_size: 0
    .sgpr_count:     4
    .sgpr_spill_count: 0
    .symbol:         _ZN7rocprim17ROCPRIM_400000_NS6detail17trampoline_kernelINS0_14default_configENS1_35radix_sort_onesweep_config_selectorIdNS0_10empty_typeEEEZZNS1_29radix_sort_onesweep_iterationIS3_Lb1EPdS8_PS5_S9_mNS0_19identity_decomposerENS1_16block_id_wrapperIjLb0EEEEE10hipError_tT1_PNSt15iterator_traitsISE_E10value_typeET2_T3_PNSF_ISK_E10value_typeET4_T5_PSP_SQ_PNS1_23onesweep_lookback_stateEbbT6_jjT7_P12ihipStream_tbENKUlT_T0_SE_SJ_E_clIS8_S8_S9_S9_EEDaSX_SY_SE_SJ_EUlSX_E_NS1_11comp_targetILNS1_3genE2ELNS1_11target_archE906ELNS1_3gpuE6ELNS1_3repE0EEENS1_47radix_sort_onesweep_sort_config_static_selectorELNS0_4arch9wavefront6targetE1EEEvSE_.kd
    .uniform_work_group_size: 1
    .uses_dynamic_stack: false
    .vgpr_count:     0
    .vgpr_spill_count: 0
    .wavefront_size: 64
  - .agpr_count:     0
    .args:
      - .offset:         0
        .size:           88
        .value_kind:     by_value
      - .offset:         88
        .size:           4
        .value_kind:     hidden_block_count_x
      - .offset:         92
        .size:           4
        .value_kind:     hidden_block_count_y
      - .offset:         96
        .size:           4
        .value_kind:     hidden_block_count_z
      - .offset:         100
        .size:           2
        .value_kind:     hidden_group_size_x
      - .offset:         102
        .size:           2
        .value_kind:     hidden_group_size_y
      - .offset:         104
        .size:           2
        .value_kind:     hidden_group_size_z
      - .offset:         106
        .size:           2
        .value_kind:     hidden_remainder_x
      - .offset:         108
        .size:           2
        .value_kind:     hidden_remainder_y
      - .offset:         110
        .size:           2
        .value_kind:     hidden_remainder_z
      - .offset:         128
        .size:           8
        .value_kind:     hidden_global_offset_x
      - .offset:         136
        .size:           8
        .value_kind:     hidden_global_offset_y
      - .offset:         144
        .size:           8
        .value_kind:     hidden_global_offset_z
      - .offset:         152
        .size:           2
        .value_kind:     hidden_grid_dims
    .group_segment_fixed_size: 20552
    .kernarg_segment_align: 8
    .kernarg_segment_size: 344
    .language:       OpenCL C
    .language_version:
      - 2
      - 0
    .max_flat_workgroup_size: 1024
    .name:           _ZN7rocprim17ROCPRIM_400000_NS6detail17trampoline_kernelINS0_14default_configENS1_35radix_sort_onesweep_config_selectorIdNS0_10empty_typeEEEZZNS1_29radix_sort_onesweep_iterationIS3_Lb1EPdS8_PS5_S9_mNS0_19identity_decomposerENS1_16block_id_wrapperIjLb0EEEEE10hipError_tT1_PNSt15iterator_traitsISE_E10value_typeET2_T3_PNSF_ISK_E10value_typeET4_T5_PSP_SQ_PNS1_23onesweep_lookback_stateEbbT6_jjT7_P12ihipStream_tbENKUlT_T0_SE_SJ_E_clIS8_S8_S9_S9_EEDaSX_SY_SE_SJ_EUlSX_E_NS1_11comp_targetILNS1_3genE4ELNS1_11target_archE910ELNS1_3gpuE8ELNS1_3repE0EEENS1_47radix_sort_onesweep_sort_config_static_selectorELNS0_4arch9wavefront6targetE1EEEvSE_
    .private_segment_fixed_size: 0
    .sgpr_count:     35
    .sgpr_spill_count: 0
    .symbol:         _ZN7rocprim17ROCPRIM_400000_NS6detail17trampoline_kernelINS0_14default_configENS1_35radix_sort_onesweep_config_selectorIdNS0_10empty_typeEEEZZNS1_29radix_sort_onesweep_iterationIS3_Lb1EPdS8_PS5_S9_mNS0_19identity_decomposerENS1_16block_id_wrapperIjLb0EEEEE10hipError_tT1_PNSt15iterator_traitsISE_E10value_typeET2_T3_PNSF_ISK_E10value_typeET4_T5_PSP_SQ_PNS1_23onesweep_lookback_stateEbbT6_jjT7_P12ihipStream_tbENKUlT_T0_SE_SJ_E_clIS8_S8_S9_S9_EEDaSX_SY_SE_SJ_EUlSX_E_NS1_11comp_targetILNS1_3genE4ELNS1_11target_archE910ELNS1_3gpuE8ELNS1_3repE0EEENS1_47radix_sort_onesweep_sort_config_static_selectorELNS0_4arch9wavefront6targetE1EEEvSE_.kd
    .uniform_work_group_size: 1
    .uses_dynamic_stack: false
    .vgpr_count:     44
    .vgpr_spill_count: 0
    .wavefront_size: 64
  - .agpr_count:     0
    .args:
      - .offset:         0
        .size:           88
        .value_kind:     by_value
    .group_segment_fixed_size: 0
    .kernarg_segment_align: 8
    .kernarg_segment_size: 88
    .language:       OpenCL C
    .language_version:
      - 2
      - 0
    .max_flat_workgroup_size: 512
    .name:           _ZN7rocprim17ROCPRIM_400000_NS6detail17trampoline_kernelINS0_14default_configENS1_35radix_sort_onesweep_config_selectorIdNS0_10empty_typeEEEZZNS1_29radix_sort_onesweep_iterationIS3_Lb1EPdS8_PS5_S9_mNS0_19identity_decomposerENS1_16block_id_wrapperIjLb0EEEEE10hipError_tT1_PNSt15iterator_traitsISE_E10value_typeET2_T3_PNSF_ISK_E10value_typeET4_T5_PSP_SQ_PNS1_23onesweep_lookback_stateEbbT6_jjT7_P12ihipStream_tbENKUlT_T0_SE_SJ_E_clIS8_S8_S9_S9_EEDaSX_SY_SE_SJ_EUlSX_E_NS1_11comp_targetILNS1_3genE3ELNS1_11target_archE908ELNS1_3gpuE7ELNS1_3repE0EEENS1_47radix_sort_onesweep_sort_config_static_selectorELNS0_4arch9wavefront6targetE1EEEvSE_
    .private_segment_fixed_size: 0
    .sgpr_count:     4
    .sgpr_spill_count: 0
    .symbol:         _ZN7rocprim17ROCPRIM_400000_NS6detail17trampoline_kernelINS0_14default_configENS1_35radix_sort_onesweep_config_selectorIdNS0_10empty_typeEEEZZNS1_29radix_sort_onesweep_iterationIS3_Lb1EPdS8_PS5_S9_mNS0_19identity_decomposerENS1_16block_id_wrapperIjLb0EEEEE10hipError_tT1_PNSt15iterator_traitsISE_E10value_typeET2_T3_PNSF_ISK_E10value_typeET4_T5_PSP_SQ_PNS1_23onesweep_lookback_stateEbbT6_jjT7_P12ihipStream_tbENKUlT_T0_SE_SJ_E_clIS8_S8_S9_S9_EEDaSX_SY_SE_SJ_EUlSX_E_NS1_11comp_targetILNS1_3genE3ELNS1_11target_archE908ELNS1_3gpuE7ELNS1_3repE0EEENS1_47radix_sort_onesweep_sort_config_static_selectorELNS0_4arch9wavefront6targetE1EEEvSE_.kd
    .uniform_work_group_size: 1
    .uses_dynamic_stack: false
    .vgpr_count:     0
    .vgpr_spill_count: 0
    .wavefront_size: 64
  - .agpr_count:     0
    .args:
      - .offset:         0
        .size:           88
        .value_kind:     by_value
    .group_segment_fixed_size: 0
    .kernarg_segment_align: 8
    .kernarg_segment_size: 88
    .language:       OpenCL C
    .language_version:
      - 2
      - 0
    .max_flat_workgroup_size: 512
    .name:           _ZN7rocprim17ROCPRIM_400000_NS6detail17trampoline_kernelINS0_14default_configENS1_35radix_sort_onesweep_config_selectorIdNS0_10empty_typeEEEZZNS1_29radix_sort_onesweep_iterationIS3_Lb1EPdS8_PS5_S9_mNS0_19identity_decomposerENS1_16block_id_wrapperIjLb0EEEEE10hipError_tT1_PNSt15iterator_traitsISE_E10value_typeET2_T3_PNSF_ISK_E10value_typeET4_T5_PSP_SQ_PNS1_23onesweep_lookback_stateEbbT6_jjT7_P12ihipStream_tbENKUlT_T0_SE_SJ_E_clIS8_S8_S9_S9_EEDaSX_SY_SE_SJ_EUlSX_E_NS1_11comp_targetILNS1_3genE10ELNS1_11target_archE1201ELNS1_3gpuE5ELNS1_3repE0EEENS1_47radix_sort_onesweep_sort_config_static_selectorELNS0_4arch9wavefront6targetE1EEEvSE_
    .private_segment_fixed_size: 0
    .sgpr_count:     4
    .sgpr_spill_count: 0
    .symbol:         _ZN7rocprim17ROCPRIM_400000_NS6detail17trampoline_kernelINS0_14default_configENS1_35radix_sort_onesweep_config_selectorIdNS0_10empty_typeEEEZZNS1_29radix_sort_onesweep_iterationIS3_Lb1EPdS8_PS5_S9_mNS0_19identity_decomposerENS1_16block_id_wrapperIjLb0EEEEE10hipError_tT1_PNSt15iterator_traitsISE_E10value_typeET2_T3_PNSF_ISK_E10value_typeET4_T5_PSP_SQ_PNS1_23onesweep_lookback_stateEbbT6_jjT7_P12ihipStream_tbENKUlT_T0_SE_SJ_E_clIS8_S8_S9_S9_EEDaSX_SY_SE_SJ_EUlSX_E_NS1_11comp_targetILNS1_3genE10ELNS1_11target_archE1201ELNS1_3gpuE5ELNS1_3repE0EEENS1_47radix_sort_onesweep_sort_config_static_selectorELNS0_4arch9wavefront6targetE1EEEvSE_.kd
    .uniform_work_group_size: 1
    .uses_dynamic_stack: false
    .vgpr_count:     0
    .vgpr_spill_count: 0
    .wavefront_size: 64
  - .agpr_count:     0
    .args:
      - .offset:         0
        .size:           88
        .value_kind:     by_value
    .group_segment_fixed_size: 0
    .kernarg_segment_align: 8
    .kernarg_segment_size: 88
    .language:       OpenCL C
    .language_version:
      - 2
      - 0
    .max_flat_workgroup_size: 1024
    .name:           _ZN7rocprim17ROCPRIM_400000_NS6detail17trampoline_kernelINS0_14default_configENS1_35radix_sort_onesweep_config_selectorIdNS0_10empty_typeEEEZZNS1_29radix_sort_onesweep_iterationIS3_Lb1EPdS8_PS5_S9_mNS0_19identity_decomposerENS1_16block_id_wrapperIjLb0EEEEE10hipError_tT1_PNSt15iterator_traitsISE_E10value_typeET2_T3_PNSF_ISK_E10value_typeET4_T5_PSP_SQ_PNS1_23onesweep_lookback_stateEbbT6_jjT7_P12ihipStream_tbENKUlT_T0_SE_SJ_E_clIS8_S8_S9_S9_EEDaSX_SY_SE_SJ_EUlSX_E_NS1_11comp_targetILNS1_3genE9ELNS1_11target_archE1100ELNS1_3gpuE3ELNS1_3repE0EEENS1_47radix_sort_onesweep_sort_config_static_selectorELNS0_4arch9wavefront6targetE1EEEvSE_
    .private_segment_fixed_size: 0
    .sgpr_count:     4
    .sgpr_spill_count: 0
    .symbol:         _ZN7rocprim17ROCPRIM_400000_NS6detail17trampoline_kernelINS0_14default_configENS1_35radix_sort_onesweep_config_selectorIdNS0_10empty_typeEEEZZNS1_29radix_sort_onesweep_iterationIS3_Lb1EPdS8_PS5_S9_mNS0_19identity_decomposerENS1_16block_id_wrapperIjLb0EEEEE10hipError_tT1_PNSt15iterator_traitsISE_E10value_typeET2_T3_PNSF_ISK_E10value_typeET4_T5_PSP_SQ_PNS1_23onesweep_lookback_stateEbbT6_jjT7_P12ihipStream_tbENKUlT_T0_SE_SJ_E_clIS8_S8_S9_S9_EEDaSX_SY_SE_SJ_EUlSX_E_NS1_11comp_targetILNS1_3genE9ELNS1_11target_archE1100ELNS1_3gpuE3ELNS1_3repE0EEENS1_47radix_sort_onesweep_sort_config_static_selectorELNS0_4arch9wavefront6targetE1EEEvSE_.kd
    .uniform_work_group_size: 1
    .uses_dynamic_stack: false
    .vgpr_count:     0
    .vgpr_spill_count: 0
    .wavefront_size: 64
  - .agpr_count:     0
    .args:
      - .offset:         0
        .size:           88
        .value_kind:     by_value
    .group_segment_fixed_size: 0
    .kernarg_segment_align: 8
    .kernarg_segment_size: 88
    .language:       OpenCL C
    .language_version:
      - 2
      - 0
    .max_flat_workgroup_size: 1024
    .name:           _ZN7rocprim17ROCPRIM_400000_NS6detail17trampoline_kernelINS0_14default_configENS1_35radix_sort_onesweep_config_selectorIdNS0_10empty_typeEEEZZNS1_29radix_sort_onesweep_iterationIS3_Lb1EPdS8_PS5_S9_mNS0_19identity_decomposerENS1_16block_id_wrapperIjLb0EEEEE10hipError_tT1_PNSt15iterator_traitsISE_E10value_typeET2_T3_PNSF_ISK_E10value_typeET4_T5_PSP_SQ_PNS1_23onesweep_lookback_stateEbbT6_jjT7_P12ihipStream_tbENKUlT_T0_SE_SJ_E_clIS8_S8_S9_S9_EEDaSX_SY_SE_SJ_EUlSX_E_NS1_11comp_targetILNS1_3genE8ELNS1_11target_archE1030ELNS1_3gpuE2ELNS1_3repE0EEENS1_47radix_sort_onesweep_sort_config_static_selectorELNS0_4arch9wavefront6targetE1EEEvSE_
    .private_segment_fixed_size: 0
    .sgpr_count:     4
    .sgpr_spill_count: 0
    .symbol:         _ZN7rocprim17ROCPRIM_400000_NS6detail17trampoline_kernelINS0_14default_configENS1_35radix_sort_onesweep_config_selectorIdNS0_10empty_typeEEEZZNS1_29radix_sort_onesweep_iterationIS3_Lb1EPdS8_PS5_S9_mNS0_19identity_decomposerENS1_16block_id_wrapperIjLb0EEEEE10hipError_tT1_PNSt15iterator_traitsISE_E10value_typeET2_T3_PNSF_ISK_E10value_typeET4_T5_PSP_SQ_PNS1_23onesweep_lookback_stateEbbT6_jjT7_P12ihipStream_tbENKUlT_T0_SE_SJ_E_clIS8_S8_S9_S9_EEDaSX_SY_SE_SJ_EUlSX_E_NS1_11comp_targetILNS1_3genE8ELNS1_11target_archE1030ELNS1_3gpuE2ELNS1_3repE0EEENS1_47radix_sort_onesweep_sort_config_static_selectorELNS0_4arch9wavefront6targetE1EEEvSE_.kd
    .uniform_work_group_size: 1
    .uses_dynamic_stack: false
    .vgpr_count:     0
    .vgpr_spill_count: 0
    .wavefront_size: 64
  - .agpr_count:     0
    .args:
      - .offset:         0
        .size:           64
        .value_kind:     by_value
    .group_segment_fixed_size: 0
    .kernarg_segment_align: 8
    .kernarg_segment_size: 64
    .language:       OpenCL C
    .language_version:
      - 2
      - 0
    .max_flat_workgroup_size: 256
    .name:           _ZN7rocprim17ROCPRIM_400000_NS6detail17trampoline_kernelINS0_14default_configENS1_37merge_sort_block_sort_config_selectorI14custom_numericNS0_10empty_typeEEEZNS1_21merge_sort_block_sortIS3_N6thrust23THRUST_200600_302600_NS6detail15normal_iteratorINSA_10device_ptrIS5_EEEESF_PS6_SG_NSA_7greaterIS5_EEEE10hipError_tT0_T1_T2_T3_mRjT4_P12ihipStream_tbNS1_7vsmem_tEEUlT_E_NS1_11comp_targetILNS1_3genE0ELNS1_11target_archE4294967295ELNS1_3gpuE0ELNS1_3repE0EEENS1_30default_config_static_selectorELNS0_4arch9wavefront6targetE1EEEvSL_
    .private_segment_fixed_size: 0
    .sgpr_count:     4
    .sgpr_spill_count: 0
    .symbol:         _ZN7rocprim17ROCPRIM_400000_NS6detail17trampoline_kernelINS0_14default_configENS1_37merge_sort_block_sort_config_selectorI14custom_numericNS0_10empty_typeEEEZNS1_21merge_sort_block_sortIS3_N6thrust23THRUST_200600_302600_NS6detail15normal_iteratorINSA_10device_ptrIS5_EEEESF_PS6_SG_NSA_7greaterIS5_EEEE10hipError_tT0_T1_T2_T3_mRjT4_P12ihipStream_tbNS1_7vsmem_tEEUlT_E_NS1_11comp_targetILNS1_3genE0ELNS1_11target_archE4294967295ELNS1_3gpuE0ELNS1_3repE0EEENS1_30default_config_static_selectorELNS0_4arch9wavefront6targetE1EEEvSL_.kd
    .uniform_work_group_size: 1
    .uses_dynamic_stack: false
    .vgpr_count:     0
    .vgpr_spill_count: 0
    .wavefront_size: 64
  - .agpr_count:     0
    .args:
      - .offset:         0
        .size:           64
        .value_kind:     by_value
    .group_segment_fixed_size: 0
    .kernarg_segment_align: 8
    .kernarg_segment_size: 64
    .language:       OpenCL C
    .language_version:
      - 2
      - 0
    .max_flat_workgroup_size: 256
    .name:           _ZN7rocprim17ROCPRIM_400000_NS6detail17trampoline_kernelINS0_14default_configENS1_37merge_sort_block_sort_config_selectorI14custom_numericNS0_10empty_typeEEEZNS1_21merge_sort_block_sortIS3_N6thrust23THRUST_200600_302600_NS6detail15normal_iteratorINSA_10device_ptrIS5_EEEESF_PS6_SG_NSA_7greaterIS5_EEEE10hipError_tT0_T1_T2_T3_mRjT4_P12ihipStream_tbNS1_7vsmem_tEEUlT_E_NS1_11comp_targetILNS1_3genE5ELNS1_11target_archE942ELNS1_3gpuE9ELNS1_3repE0EEENS1_30default_config_static_selectorELNS0_4arch9wavefront6targetE1EEEvSL_
    .private_segment_fixed_size: 0
    .sgpr_count:     4
    .sgpr_spill_count: 0
    .symbol:         _ZN7rocprim17ROCPRIM_400000_NS6detail17trampoline_kernelINS0_14default_configENS1_37merge_sort_block_sort_config_selectorI14custom_numericNS0_10empty_typeEEEZNS1_21merge_sort_block_sortIS3_N6thrust23THRUST_200600_302600_NS6detail15normal_iteratorINSA_10device_ptrIS5_EEEESF_PS6_SG_NSA_7greaterIS5_EEEE10hipError_tT0_T1_T2_T3_mRjT4_P12ihipStream_tbNS1_7vsmem_tEEUlT_E_NS1_11comp_targetILNS1_3genE5ELNS1_11target_archE942ELNS1_3gpuE9ELNS1_3repE0EEENS1_30default_config_static_selectorELNS0_4arch9wavefront6targetE1EEEvSL_.kd
    .uniform_work_group_size: 1
    .uses_dynamic_stack: false
    .vgpr_count:     0
    .vgpr_spill_count: 0
    .wavefront_size: 64
  - .agpr_count:     0
    .args:
      - .offset:         0
        .size:           64
        .value_kind:     by_value
      - .offset:         64
        .size:           4
        .value_kind:     hidden_block_count_x
      - .offset:         68
        .size:           4
        .value_kind:     hidden_block_count_y
      - .offset:         72
        .size:           4
        .value_kind:     hidden_block_count_z
      - .offset:         76
        .size:           2
        .value_kind:     hidden_group_size_x
      - .offset:         78
        .size:           2
        .value_kind:     hidden_group_size_y
      - .offset:         80
        .size:           2
        .value_kind:     hidden_group_size_z
      - .offset:         82
        .size:           2
        .value_kind:     hidden_remainder_x
      - .offset:         84
        .size:           2
        .value_kind:     hidden_remainder_y
      - .offset:         86
        .size:           2
        .value_kind:     hidden_remainder_z
      - .offset:         104
        .size:           8
        .value_kind:     hidden_global_offset_x
      - .offset:         112
        .size:           8
        .value_kind:     hidden_global_offset_y
      - .offset:         120
        .size:           8
        .value_kind:     hidden_global_offset_z
      - .offset:         128
        .size:           2
        .value_kind:     hidden_grid_dims
    .group_segment_fixed_size: 21120
    .kernarg_segment_align: 8
    .kernarg_segment_size: 320
    .language:       OpenCL C
    .language_version:
      - 2
      - 0
    .max_flat_workgroup_size: 256
    .name:           _ZN7rocprim17ROCPRIM_400000_NS6detail17trampoline_kernelINS0_14default_configENS1_37merge_sort_block_sort_config_selectorI14custom_numericNS0_10empty_typeEEEZNS1_21merge_sort_block_sortIS3_N6thrust23THRUST_200600_302600_NS6detail15normal_iteratorINSA_10device_ptrIS5_EEEESF_PS6_SG_NSA_7greaterIS5_EEEE10hipError_tT0_T1_T2_T3_mRjT4_P12ihipStream_tbNS1_7vsmem_tEEUlT_E_NS1_11comp_targetILNS1_3genE4ELNS1_11target_archE910ELNS1_3gpuE8ELNS1_3repE0EEENS1_30default_config_static_selectorELNS0_4arch9wavefront6targetE1EEEvSL_
    .private_segment_fixed_size: 0
    .sgpr_count:     28
    .sgpr_spill_count: 0
    .symbol:         _ZN7rocprim17ROCPRIM_400000_NS6detail17trampoline_kernelINS0_14default_configENS1_37merge_sort_block_sort_config_selectorI14custom_numericNS0_10empty_typeEEEZNS1_21merge_sort_block_sortIS3_N6thrust23THRUST_200600_302600_NS6detail15normal_iteratorINSA_10device_ptrIS5_EEEESF_PS6_SG_NSA_7greaterIS5_EEEE10hipError_tT0_T1_T2_T3_mRjT4_P12ihipStream_tbNS1_7vsmem_tEEUlT_E_NS1_11comp_targetILNS1_3genE4ELNS1_11target_archE910ELNS1_3gpuE8ELNS1_3repE0EEENS1_30default_config_static_selectorELNS0_4arch9wavefront6targetE1EEEvSL_.kd
    .uniform_work_group_size: 1
    .uses_dynamic_stack: false
    .vgpr_count:     40
    .vgpr_spill_count: 0
    .wavefront_size: 64
  - .agpr_count:     0
    .args:
      - .offset:         0
        .size:           64
        .value_kind:     by_value
    .group_segment_fixed_size: 0
    .kernarg_segment_align: 8
    .kernarg_segment_size: 64
    .language:       OpenCL C
    .language_version:
      - 2
      - 0
    .max_flat_workgroup_size: 256
    .name:           _ZN7rocprim17ROCPRIM_400000_NS6detail17trampoline_kernelINS0_14default_configENS1_37merge_sort_block_sort_config_selectorI14custom_numericNS0_10empty_typeEEEZNS1_21merge_sort_block_sortIS3_N6thrust23THRUST_200600_302600_NS6detail15normal_iteratorINSA_10device_ptrIS5_EEEESF_PS6_SG_NSA_7greaterIS5_EEEE10hipError_tT0_T1_T2_T3_mRjT4_P12ihipStream_tbNS1_7vsmem_tEEUlT_E_NS1_11comp_targetILNS1_3genE3ELNS1_11target_archE908ELNS1_3gpuE7ELNS1_3repE0EEENS1_30default_config_static_selectorELNS0_4arch9wavefront6targetE1EEEvSL_
    .private_segment_fixed_size: 0
    .sgpr_count:     4
    .sgpr_spill_count: 0
    .symbol:         _ZN7rocprim17ROCPRIM_400000_NS6detail17trampoline_kernelINS0_14default_configENS1_37merge_sort_block_sort_config_selectorI14custom_numericNS0_10empty_typeEEEZNS1_21merge_sort_block_sortIS3_N6thrust23THRUST_200600_302600_NS6detail15normal_iteratorINSA_10device_ptrIS5_EEEESF_PS6_SG_NSA_7greaterIS5_EEEE10hipError_tT0_T1_T2_T3_mRjT4_P12ihipStream_tbNS1_7vsmem_tEEUlT_E_NS1_11comp_targetILNS1_3genE3ELNS1_11target_archE908ELNS1_3gpuE7ELNS1_3repE0EEENS1_30default_config_static_selectorELNS0_4arch9wavefront6targetE1EEEvSL_.kd
    .uniform_work_group_size: 1
    .uses_dynamic_stack: false
    .vgpr_count:     0
    .vgpr_spill_count: 0
    .wavefront_size: 64
  - .agpr_count:     0
    .args:
      - .offset:         0
        .size:           64
        .value_kind:     by_value
    .group_segment_fixed_size: 0
    .kernarg_segment_align: 8
    .kernarg_segment_size: 64
    .language:       OpenCL C
    .language_version:
      - 2
      - 0
    .max_flat_workgroup_size: 256
    .name:           _ZN7rocprim17ROCPRIM_400000_NS6detail17trampoline_kernelINS0_14default_configENS1_37merge_sort_block_sort_config_selectorI14custom_numericNS0_10empty_typeEEEZNS1_21merge_sort_block_sortIS3_N6thrust23THRUST_200600_302600_NS6detail15normal_iteratorINSA_10device_ptrIS5_EEEESF_PS6_SG_NSA_7greaterIS5_EEEE10hipError_tT0_T1_T2_T3_mRjT4_P12ihipStream_tbNS1_7vsmem_tEEUlT_E_NS1_11comp_targetILNS1_3genE2ELNS1_11target_archE906ELNS1_3gpuE6ELNS1_3repE0EEENS1_30default_config_static_selectorELNS0_4arch9wavefront6targetE1EEEvSL_
    .private_segment_fixed_size: 0
    .sgpr_count:     4
    .sgpr_spill_count: 0
    .symbol:         _ZN7rocprim17ROCPRIM_400000_NS6detail17trampoline_kernelINS0_14default_configENS1_37merge_sort_block_sort_config_selectorI14custom_numericNS0_10empty_typeEEEZNS1_21merge_sort_block_sortIS3_N6thrust23THRUST_200600_302600_NS6detail15normal_iteratorINSA_10device_ptrIS5_EEEESF_PS6_SG_NSA_7greaterIS5_EEEE10hipError_tT0_T1_T2_T3_mRjT4_P12ihipStream_tbNS1_7vsmem_tEEUlT_E_NS1_11comp_targetILNS1_3genE2ELNS1_11target_archE906ELNS1_3gpuE6ELNS1_3repE0EEENS1_30default_config_static_selectorELNS0_4arch9wavefront6targetE1EEEvSL_.kd
    .uniform_work_group_size: 1
    .uses_dynamic_stack: false
    .vgpr_count:     0
    .vgpr_spill_count: 0
    .wavefront_size: 64
  - .agpr_count:     0
    .args:
      - .offset:         0
        .size:           64
        .value_kind:     by_value
    .group_segment_fixed_size: 0
    .kernarg_segment_align: 8
    .kernarg_segment_size: 64
    .language:       OpenCL C
    .language_version:
      - 2
      - 0
    .max_flat_workgroup_size: 256
    .name:           _ZN7rocprim17ROCPRIM_400000_NS6detail17trampoline_kernelINS0_14default_configENS1_37merge_sort_block_sort_config_selectorI14custom_numericNS0_10empty_typeEEEZNS1_21merge_sort_block_sortIS3_N6thrust23THRUST_200600_302600_NS6detail15normal_iteratorINSA_10device_ptrIS5_EEEESF_PS6_SG_NSA_7greaterIS5_EEEE10hipError_tT0_T1_T2_T3_mRjT4_P12ihipStream_tbNS1_7vsmem_tEEUlT_E_NS1_11comp_targetILNS1_3genE10ELNS1_11target_archE1201ELNS1_3gpuE5ELNS1_3repE0EEENS1_30default_config_static_selectorELNS0_4arch9wavefront6targetE1EEEvSL_
    .private_segment_fixed_size: 0
    .sgpr_count:     4
    .sgpr_spill_count: 0
    .symbol:         _ZN7rocprim17ROCPRIM_400000_NS6detail17trampoline_kernelINS0_14default_configENS1_37merge_sort_block_sort_config_selectorI14custom_numericNS0_10empty_typeEEEZNS1_21merge_sort_block_sortIS3_N6thrust23THRUST_200600_302600_NS6detail15normal_iteratorINSA_10device_ptrIS5_EEEESF_PS6_SG_NSA_7greaterIS5_EEEE10hipError_tT0_T1_T2_T3_mRjT4_P12ihipStream_tbNS1_7vsmem_tEEUlT_E_NS1_11comp_targetILNS1_3genE10ELNS1_11target_archE1201ELNS1_3gpuE5ELNS1_3repE0EEENS1_30default_config_static_selectorELNS0_4arch9wavefront6targetE1EEEvSL_.kd
    .uniform_work_group_size: 1
    .uses_dynamic_stack: false
    .vgpr_count:     0
    .vgpr_spill_count: 0
    .wavefront_size: 64
  - .agpr_count:     0
    .args:
      - .offset:         0
        .size:           64
        .value_kind:     by_value
    .group_segment_fixed_size: 0
    .kernarg_segment_align: 8
    .kernarg_segment_size: 64
    .language:       OpenCL C
    .language_version:
      - 2
      - 0
    .max_flat_workgroup_size: 256
    .name:           _ZN7rocprim17ROCPRIM_400000_NS6detail17trampoline_kernelINS0_14default_configENS1_37merge_sort_block_sort_config_selectorI14custom_numericNS0_10empty_typeEEEZNS1_21merge_sort_block_sortIS3_N6thrust23THRUST_200600_302600_NS6detail15normal_iteratorINSA_10device_ptrIS5_EEEESF_PS6_SG_NSA_7greaterIS5_EEEE10hipError_tT0_T1_T2_T3_mRjT4_P12ihipStream_tbNS1_7vsmem_tEEUlT_E_NS1_11comp_targetILNS1_3genE10ELNS1_11target_archE1200ELNS1_3gpuE4ELNS1_3repE0EEENS1_30default_config_static_selectorELNS0_4arch9wavefront6targetE1EEEvSL_
    .private_segment_fixed_size: 0
    .sgpr_count:     4
    .sgpr_spill_count: 0
    .symbol:         _ZN7rocprim17ROCPRIM_400000_NS6detail17trampoline_kernelINS0_14default_configENS1_37merge_sort_block_sort_config_selectorI14custom_numericNS0_10empty_typeEEEZNS1_21merge_sort_block_sortIS3_N6thrust23THRUST_200600_302600_NS6detail15normal_iteratorINSA_10device_ptrIS5_EEEESF_PS6_SG_NSA_7greaterIS5_EEEE10hipError_tT0_T1_T2_T3_mRjT4_P12ihipStream_tbNS1_7vsmem_tEEUlT_E_NS1_11comp_targetILNS1_3genE10ELNS1_11target_archE1200ELNS1_3gpuE4ELNS1_3repE0EEENS1_30default_config_static_selectorELNS0_4arch9wavefront6targetE1EEEvSL_.kd
    .uniform_work_group_size: 1
    .uses_dynamic_stack: false
    .vgpr_count:     0
    .vgpr_spill_count: 0
    .wavefront_size: 64
  - .agpr_count:     0
    .args:
      - .offset:         0
        .size:           64
        .value_kind:     by_value
    .group_segment_fixed_size: 0
    .kernarg_segment_align: 8
    .kernarg_segment_size: 64
    .language:       OpenCL C
    .language_version:
      - 2
      - 0
    .max_flat_workgroup_size: 256
    .name:           _ZN7rocprim17ROCPRIM_400000_NS6detail17trampoline_kernelINS0_14default_configENS1_37merge_sort_block_sort_config_selectorI14custom_numericNS0_10empty_typeEEEZNS1_21merge_sort_block_sortIS3_N6thrust23THRUST_200600_302600_NS6detail15normal_iteratorINSA_10device_ptrIS5_EEEESF_PS6_SG_NSA_7greaterIS5_EEEE10hipError_tT0_T1_T2_T3_mRjT4_P12ihipStream_tbNS1_7vsmem_tEEUlT_E_NS1_11comp_targetILNS1_3genE9ELNS1_11target_archE1100ELNS1_3gpuE3ELNS1_3repE0EEENS1_30default_config_static_selectorELNS0_4arch9wavefront6targetE1EEEvSL_
    .private_segment_fixed_size: 0
    .sgpr_count:     4
    .sgpr_spill_count: 0
    .symbol:         _ZN7rocprim17ROCPRIM_400000_NS6detail17trampoline_kernelINS0_14default_configENS1_37merge_sort_block_sort_config_selectorI14custom_numericNS0_10empty_typeEEEZNS1_21merge_sort_block_sortIS3_N6thrust23THRUST_200600_302600_NS6detail15normal_iteratorINSA_10device_ptrIS5_EEEESF_PS6_SG_NSA_7greaterIS5_EEEE10hipError_tT0_T1_T2_T3_mRjT4_P12ihipStream_tbNS1_7vsmem_tEEUlT_E_NS1_11comp_targetILNS1_3genE9ELNS1_11target_archE1100ELNS1_3gpuE3ELNS1_3repE0EEENS1_30default_config_static_selectorELNS0_4arch9wavefront6targetE1EEEvSL_.kd
    .uniform_work_group_size: 1
    .uses_dynamic_stack: false
    .vgpr_count:     0
    .vgpr_spill_count: 0
    .wavefront_size: 64
  - .agpr_count:     0
    .args:
      - .offset:         0
        .size:           64
        .value_kind:     by_value
    .group_segment_fixed_size: 0
    .kernarg_segment_align: 8
    .kernarg_segment_size: 64
    .language:       OpenCL C
    .language_version:
      - 2
      - 0
    .max_flat_workgroup_size: 256
    .name:           _ZN7rocprim17ROCPRIM_400000_NS6detail17trampoline_kernelINS0_14default_configENS1_37merge_sort_block_sort_config_selectorI14custom_numericNS0_10empty_typeEEEZNS1_21merge_sort_block_sortIS3_N6thrust23THRUST_200600_302600_NS6detail15normal_iteratorINSA_10device_ptrIS5_EEEESF_PS6_SG_NSA_7greaterIS5_EEEE10hipError_tT0_T1_T2_T3_mRjT4_P12ihipStream_tbNS1_7vsmem_tEEUlT_E_NS1_11comp_targetILNS1_3genE8ELNS1_11target_archE1030ELNS1_3gpuE2ELNS1_3repE0EEENS1_30default_config_static_selectorELNS0_4arch9wavefront6targetE1EEEvSL_
    .private_segment_fixed_size: 0
    .sgpr_count:     4
    .sgpr_spill_count: 0
    .symbol:         _ZN7rocprim17ROCPRIM_400000_NS6detail17trampoline_kernelINS0_14default_configENS1_37merge_sort_block_sort_config_selectorI14custom_numericNS0_10empty_typeEEEZNS1_21merge_sort_block_sortIS3_N6thrust23THRUST_200600_302600_NS6detail15normal_iteratorINSA_10device_ptrIS5_EEEESF_PS6_SG_NSA_7greaterIS5_EEEE10hipError_tT0_T1_T2_T3_mRjT4_P12ihipStream_tbNS1_7vsmem_tEEUlT_E_NS1_11comp_targetILNS1_3genE8ELNS1_11target_archE1030ELNS1_3gpuE2ELNS1_3repE0EEENS1_30default_config_static_selectorELNS0_4arch9wavefront6targetE1EEEvSL_.kd
    .uniform_work_group_size: 1
    .uses_dynamic_stack: false
    .vgpr_count:     0
    .vgpr_spill_count: 0
    .wavefront_size: 64
  - .agpr_count:     0
    .args:
      - .offset:         0
        .size:           48
        .value_kind:     by_value
    .group_segment_fixed_size: 0
    .kernarg_segment_align: 8
    .kernarg_segment_size: 48
    .language:       OpenCL C
    .language_version:
      - 2
      - 0
    .max_flat_workgroup_size: 128
    .name:           _ZN7rocprim17ROCPRIM_400000_NS6detail17trampoline_kernelINS0_14default_configENS1_38merge_sort_block_merge_config_selectorI14custom_numericNS0_10empty_typeEEEZZNS1_27merge_sort_block_merge_implIS3_N6thrust23THRUST_200600_302600_NS6detail15normal_iteratorINSA_10device_ptrIS5_EEEEPS6_mNSA_7greaterIS5_EEEE10hipError_tT0_T1_T2_jT3_P12ihipStream_tbPNSt15iterator_traitsISK_E10value_typeEPNSQ_ISL_E10value_typeEPSM_NS1_7vsmem_tEENKUlT_SK_SL_SM_E_clIPS5_SF_SG_SG_EESJ_SZ_SK_SL_SM_EUlSZ_E_NS1_11comp_targetILNS1_3genE0ELNS1_11target_archE4294967295ELNS1_3gpuE0ELNS1_3repE0EEENS1_48merge_mergepath_partition_config_static_selectorELNS0_4arch9wavefront6targetE1EEEvSL_
    .private_segment_fixed_size: 0
    .sgpr_count:     4
    .sgpr_spill_count: 0
    .symbol:         _ZN7rocprim17ROCPRIM_400000_NS6detail17trampoline_kernelINS0_14default_configENS1_38merge_sort_block_merge_config_selectorI14custom_numericNS0_10empty_typeEEEZZNS1_27merge_sort_block_merge_implIS3_N6thrust23THRUST_200600_302600_NS6detail15normal_iteratorINSA_10device_ptrIS5_EEEEPS6_mNSA_7greaterIS5_EEEE10hipError_tT0_T1_T2_jT3_P12ihipStream_tbPNSt15iterator_traitsISK_E10value_typeEPNSQ_ISL_E10value_typeEPSM_NS1_7vsmem_tEENKUlT_SK_SL_SM_E_clIPS5_SF_SG_SG_EESJ_SZ_SK_SL_SM_EUlSZ_E_NS1_11comp_targetILNS1_3genE0ELNS1_11target_archE4294967295ELNS1_3gpuE0ELNS1_3repE0EEENS1_48merge_mergepath_partition_config_static_selectorELNS0_4arch9wavefront6targetE1EEEvSL_.kd
    .uniform_work_group_size: 1
    .uses_dynamic_stack: false
    .vgpr_count:     0
    .vgpr_spill_count: 0
    .wavefront_size: 64
  - .agpr_count:     0
    .args:
      - .offset:         0
        .size:           48
        .value_kind:     by_value
    .group_segment_fixed_size: 0
    .kernarg_segment_align: 8
    .kernarg_segment_size: 48
    .language:       OpenCL C
    .language_version:
      - 2
      - 0
    .max_flat_workgroup_size: 128
    .name:           _ZN7rocprim17ROCPRIM_400000_NS6detail17trampoline_kernelINS0_14default_configENS1_38merge_sort_block_merge_config_selectorI14custom_numericNS0_10empty_typeEEEZZNS1_27merge_sort_block_merge_implIS3_N6thrust23THRUST_200600_302600_NS6detail15normal_iteratorINSA_10device_ptrIS5_EEEEPS6_mNSA_7greaterIS5_EEEE10hipError_tT0_T1_T2_jT3_P12ihipStream_tbPNSt15iterator_traitsISK_E10value_typeEPNSQ_ISL_E10value_typeEPSM_NS1_7vsmem_tEENKUlT_SK_SL_SM_E_clIPS5_SF_SG_SG_EESJ_SZ_SK_SL_SM_EUlSZ_E_NS1_11comp_targetILNS1_3genE10ELNS1_11target_archE1201ELNS1_3gpuE5ELNS1_3repE0EEENS1_48merge_mergepath_partition_config_static_selectorELNS0_4arch9wavefront6targetE1EEEvSL_
    .private_segment_fixed_size: 0
    .sgpr_count:     4
    .sgpr_spill_count: 0
    .symbol:         _ZN7rocprim17ROCPRIM_400000_NS6detail17trampoline_kernelINS0_14default_configENS1_38merge_sort_block_merge_config_selectorI14custom_numericNS0_10empty_typeEEEZZNS1_27merge_sort_block_merge_implIS3_N6thrust23THRUST_200600_302600_NS6detail15normal_iteratorINSA_10device_ptrIS5_EEEEPS6_mNSA_7greaterIS5_EEEE10hipError_tT0_T1_T2_jT3_P12ihipStream_tbPNSt15iterator_traitsISK_E10value_typeEPNSQ_ISL_E10value_typeEPSM_NS1_7vsmem_tEENKUlT_SK_SL_SM_E_clIPS5_SF_SG_SG_EESJ_SZ_SK_SL_SM_EUlSZ_E_NS1_11comp_targetILNS1_3genE10ELNS1_11target_archE1201ELNS1_3gpuE5ELNS1_3repE0EEENS1_48merge_mergepath_partition_config_static_selectorELNS0_4arch9wavefront6targetE1EEEvSL_.kd
    .uniform_work_group_size: 1
    .uses_dynamic_stack: false
    .vgpr_count:     0
    .vgpr_spill_count: 0
    .wavefront_size: 64
  - .agpr_count:     0
    .args:
      - .offset:         0
        .size:           48
        .value_kind:     by_value
    .group_segment_fixed_size: 0
    .kernarg_segment_align: 8
    .kernarg_segment_size: 48
    .language:       OpenCL C
    .language_version:
      - 2
      - 0
    .max_flat_workgroup_size: 128
    .name:           _ZN7rocprim17ROCPRIM_400000_NS6detail17trampoline_kernelINS0_14default_configENS1_38merge_sort_block_merge_config_selectorI14custom_numericNS0_10empty_typeEEEZZNS1_27merge_sort_block_merge_implIS3_N6thrust23THRUST_200600_302600_NS6detail15normal_iteratorINSA_10device_ptrIS5_EEEEPS6_mNSA_7greaterIS5_EEEE10hipError_tT0_T1_T2_jT3_P12ihipStream_tbPNSt15iterator_traitsISK_E10value_typeEPNSQ_ISL_E10value_typeEPSM_NS1_7vsmem_tEENKUlT_SK_SL_SM_E_clIPS5_SF_SG_SG_EESJ_SZ_SK_SL_SM_EUlSZ_E_NS1_11comp_targetILNS1_3genE5ELNS1_11target_archE942ELNS1_3gpuE9ELNS1_3repE0EEENS1_48merge_mergepath_partition_config_static_selectorELNS0_4arch9wavefront6targetE1EEEvSL_
    .private_segment_fixed_size: 0
    .sgpr_count:     4
    .sgpr_spill_count: 0
    .symbol:         _ZN7rocprim17ROCPRIM_400000_NS6detail17trampoline_kernelINS0_14default_configENS1_38merge_sort_block_merge_config_selectorI14custom_numericNS0_10empty_typeEEEZZNS1_27merge_sort_block_merge_implIS3_N6thrust23THRUST_200600_302600_NS6detail15normal_iteratorINSA_10device_ptrIS5_EEEEPS6_mNSA_7greaterIS5_EEEE10hipError_tT0_T1_T2_jT3_P12ihipStream_tbPNSt15iterator_traitsISK_E10value_typeEPNSQ_ISL_E10value_typeEPSM_NS1_7vsmem_tEENKUlT_SK_SL_SM_E_clIPS5_SF_SG_SG_EESJ_SZ_SK_SL_SM_EUlSZ_E_NS1_11comp_targetILNS1_3genE5ELNS1_11target_archE942ELNS1_3gpuE9ELNS1_3repE0EEENS1_48merge_mergepath_partition_config_static_selectorELNS0_4arch9wavefront6targetE1EEEvSL_.kd
    .uniform_work_group_size: 1
    .uses_dynamic_stack: false
    .vgpr_count:     0
    .vgpr_spill_count: 0
    .wavefront_size: 64
  - .agpr_count:     0
    .args:
      - .offset:         0
        .size:           48
        .value_kind:     by_value
    .group_segment_fixed_size: 0
    .kernarg_segment_align: 8
    .kernarg_segment_size: 48
    .language:       OpenCL C
    .language_version:
      - 2
      - 0
    .max_flat_workgroup_size: 128
    .name:           _ZN7rocprim17ROCPRIM_400000_NS6detail17trampoline_kernelINS0_14default_configENS1_38merge_sort_block_merge_config_selectorI14custom_numericNS0_10empty_typeEEEZZNS1_27merge_sort_block_merge_implIS3_N6thrust23THRUST_200600_302600_NS6detail15normal_iteratorINSA_10device_ptrIS5_EEEEPS6_mNSA_7greaterIS5_EEEE10hipError_tT0_T1_T2_jT3_P12ihipStream_tbPNSt15iterator_traitsISK_E10value_typeEPNSQ_ISL_E10value_typeEPSM_NS1_7vsmem_tEENKUlT_SK_SL_SM_E_clIPS5_SF_SG_SG_EESJ_SZ_SK_SL_SM_EUlSZ_E_NS1_11comp_targetILNS1_3genE4ELNS1_11target_archE910ELNS1_3gpuE8ELNS1_3repE0EEENS1_48merge_mergepath_partition_config_static_selectorELNS0_4arch9wavefront6targetE1EEEvSL_
    .private_segment_fixed_size: 0
    .sgpr_count:     12
    .sgpr_spill_count: 0
    .symbol:         _ZN7rocprim17ROCPRIM_400000_NS6detail17trampoline_kernelINS0_14default_configENS1_38merge_sort_block_merge_config_selectorI14custom_numericNS0_10empty_typeEEEZZNS1_27merge_sort_block_merge_implIS3_N6thrust23THRUST_200600_302600_NS6detail15normal_iteratorINSA_10device_ptrIS5_EEEEPS6_mNSA_7greaterIS5_EEEE10hipError_tT0_T1_T2_jT3_P12ihipStream_tbPNSt15iterator_traitsISK_E10value_typeEPNSQ_ISL_E10value_typeEPSM_NS1_7vsmem_tEENKUlT_SK_SL_SM_E_clIPS5_SF_SG_SG_EESJ_SZ_SK_SL_SM_EUlSZ_E_NS1_11comp_targetILNS1_3genE4ELNS1_11target_archE910ELNS1_3gpuE8ELNS1_3repE0EEENS1_48merge_mergepath_partition_config_static_selectorELNS0_4arch9wavefront6targetE1EEEvSL_.kd
    .uniform_work_group_size: 1
    .uses_dynamic_stack: false
    .vgpr_count:     22
    .vgpr_spill_count: 0
    .wavefront_size: 64
  - .agpr_count:     0
    .args:
      - .offset:         0
        .size:           48
        .value_kind:     by_value
    .group_segment_fixed_size: 0
    .kernarg_segment_align: 8
    .kernarg_segment_size: 48
    .language:       OpenCL C
    .language_version:
      - 2
      - 0
    .max_flat_workgroup_size: 128
    .name:           _ZN7rocprim17ROCPRIM_400000_NS6detail17trampoline_kernelINS0_14default_configENS1_38merge_sort_block_merge_config_selectorI14custom_numericNS0_10empty_typeEEEZZNS1_27merge_sort_block_merge_implIS3_N6thrust23THRUST_200600_302600_NS6detail15normal_iteratorINSA_10device_ptrIS5_EEEEPS6_mNSA_7greaterIS5_EEEE10hipError_tT0_T1_T2_jT3_P12ihipStream_tbPNSt15iterator_traitsISK_E10value_typeEPNSQ_ISL_E10value_typeEPSM_NS1_7vsmem_tEENKUlT_SK_SL_SM_E_clIPS5_SF_SG_SG_EESJ_SZ_SK_SL_SM_EUlSZ_E_NS1_11comp_targetILNS1_3genE3ELNS1_11target_archE908ELNS1_3gpuE7ELNS1_3repE0EEENS1_48merge_mergepath_partition_config_static_selectorELNS0_4arch9wavefront6targetE1EEEvSL_
    .private_segment_fixed_size: 0
    .sgpr_count:     4
    .sgpr_spill_count: 0
    .symbol:         _ZN7rocprim17ROCPRIM_400000_NS6detail17trampoline_kernelINS0_14default_configENS1_38merge_sort_block_merge_config_selectorI14custom_numericNS0_10empty_typeEEEZZNS1_27merge_sort_block_merge_implIS3_N6thrust23THRUST_200600_302600_NS6detail15normal_iteratorINSA_10device_ptrIS5_EEEEPS6_mNSA_7greaterIS5_EEEE10hipError_tT0_T1_T2_jT3_P12ihipStream_tbPNSt15iterator_traitsISK_E10value_typeEPNSQ_ISL_E10value_typeEPSM_NS1_7vsmem_tEENKUlT_SK_SL_SM_E_clIPS5_SF_SG_SG_EESJ_SZ_SK_SL_SM_EUlSZ_E_NS1_11comp_targetILNS1_3genE3ELNS1_11target_archE908ELNS1_3gpuE7ELNS1_3repE0EEENS1_48merge_mergepath_partition_config_static_selectorELNS0_4arch9wavefront6targetE1EEEvSL_.kd
    .uniform_work_group_size: 1
    .uses_dynamic_stack: false
    .vgpr_count:     0
    .vgpr_spill_count: 0
    .wavefront_size: 64
  - .agpr_count:     0
    .args:
      - .offset:         0
        .size:           48
        .value_kind:     by_value
    .group_segment_fixed_size: 0
    .kernarg_segment_align: 8
    .kernarg_segment_size: 48
    .language:       OpenCL C
    .language_version:
      - 2
      - 0
    .max_flat_workgroup_size: 128
    .name:           _ZN7rocprim17ROCPRIM_400000_NS6detail17trampoline_kernelINS0_14default_configENS1_38merge_sort_block_merge_config_selectorI14custom_numericNS0_10empty_typeEEEZZNS1_27merge_sort_block_merge_implIS3_N6thrust23THRUST_200600_302600_NS6detail15normal_iteratorINSA_10device_ptrIS5_EEEEPS6_mNSA_7greaterIS5_EEEE10hipError_tT0_T1_T2_jT3_P12ihipStream_tbPNSt15iterator_traitsISK_E10value_typeEPNSQ_ISL_E10value_typeEPSM_NS1_7vsmem_tEENKUlT_SK_SL_SM_E_clIPS5_SF_SG_SG_EESJ_SZ_SK_SL_SM_EUlSZ_E_NS1_11comp_targetILNS1_3genE2ELNS1_11target_archE906ELNS1_3gpuE6ELNS1_3repE0EEENS1_48merge_mergepath_partition_config_static_selectorELNS0_4arch9wavefront6targetE1EEEvSL_
    .private_segment_fixed_size: 0
    .sgpr_count:     4
    .sgpr_spill_count: 0
    .symbol:         _ZN7rocprim17ROCPRIM_400000_NS6detail17trampoline_kernelINS0_14default_configENS1_38merge_sort_block_merge_config_selectorI14custom_numericNS0_10empty_typeEEEZZNS1_27merge_sort_block_merge_implIS3_N6thrust23THRUST_200600_302600_NS6detail15normal_iteratorINSA_10device_ptrIS5_EEEEPS6_mNSA_7greaterIS5_EEEE10hipError_tT0_T1_T2_jT3_P12ihipStream_tbPNSt15iterator_traitsISK_E10value_typeEPNSQ_ISL_E10value_typeEPSM_NS1_7vsmem_tEENKUlT_SK_SL_SM_E_clIPS5_SF_SG_SG_EESJ_SZ_SK_SL_SM_EUlSZ_E_NS1_11comp_targetILNS1_3genE2ELNS1_11target_archE906ELNS1_3gpuE6ELNS1_3repE0EEENS1_48merge_mergepath_partition_config_static_selectorELNS0_4arch9wavefront6targetE1EEEvSL_.kd
    .uniform_work_group_size: 1
    .uses_dynamic_stack: false
    .vgpr_count:     0
    .vgpr_spill_count: 0
    .wavefront_size: 64
  - .agpr_count:     0
    .args:
      - .offset:         0
        .size:           48
        .value_kind:     by_value
    .group_segment_fixed_size: 0
    .kernarg_segment_align: 8
    .kernarg_segment_size: 48
    .language:       OpenCL C
    .language_version:
      - 2
      - 0
    .max_flat_workgroup_size: 128
    .name:           _ZN7rocprim17ROCPRIM_400000_NS6detail17trampoline_kernelINS0_14default_configENS1_38merge_sort_block_merge_config_selectorI14custom_numericNS0_10empty_typeEEEZZNS1_27merge_sort_block_merge_implIS3_N6thrust23THRUST_200600_302600_NS6detail15normal_iteratorINSA_10device_ptrIS5_EEEEPS6_mNSA_7greaterIS5_EEEE10hipError_tT0_T1_T2_jT3_P12ihipStream_tbPNSt15iterator_traitsISK_E10value_typeEPNSQ_ISL_E10value_typeEPSM_NS1_7vsmem_tEENKUlT_SK_SL_SM_E_clIPS5_SF_SG_SG_EESJ_SZ_SK_SL_SM_EUlSZ_E_NS1_11comp_targetILNS1_3genE9ELNS1_11target_archE1100ELNS1_3gpuE3ELNS1_3repE0EEENS1_48merge_mergepath_partition_config_static_selectorELNS0_4arch9wavefront6targetE1EEEvSL_
    .private_segment_fixed_size: 0
    .sgpr_count:     4
    .sgpr_spill_count: 0
    .symbol:         _ZN7rocprim17ROCPRIM_400000_NS6detail17trampoline_kernelINS0_14default_configENS1_38merge_sort_block_merge_config_selectorI14custom_numericNS0_10empty_typeEEEZZNS1_27merge_sort_block_merge_implIS3_N6thrust23THRUST_200600_302600_NS6detail15normal_iteratorINSA_10device_ptrIS5_EEEEPS6_mNSA_7greaterIS5_EEEE10hipError_tT0_T1_T2_jT3_P12ihipStream_tbPNSt15iterator_traitsISK_E10value_typeEPNSQ_ISL_E10value_typeEPSM_NS1_7vsmem_tEENKUlT_SK_SL_SM_E_clIPS5_SF_SG_SG_EESJ_SZ_SK_SL_SM_EUlSZ_E_NS1_11comp_targetILNS1_3genE9ELNS1_11target_archE1100ELNS1_3gpuE3ELNS1_3repE0EEENS1_48merge_mergepath_partition_config_static_selectorELNS0_4arch9wavefront6targetE1EEEvSL_.kd
    .uniform_work_group_size: 1
    .uses_dynamic_stack: false
    .vgpr_count:     0
    .vgpr_spill_count: 0
    .wavefront_size: 64
  - .agpr_count:     0
    .args:
      - .offset:         0
        .size:           48
        .value_kind:     by_value
    .group_segment_fixed_size: 0
    .kernarg_segment_align: 8
    .kernarg_segment_size: 48
    .language:       OpenCL C
    .language_version:
      - 2
      - 0
    .max_flat_workgroup_size: 128
    .name:           _ZN7rocprim17ROCPRIM_400000_NS6detail17trampoline_kernelINS0_14default_configENS1_38merge_sort_block_merge_config_selectorI14custom_numericNS0_10empty_typeEEEZZNS1_27merge_sort_block_merge_implIS3_N6thrust23THRUST_200600_302600_NS6detail15normal_iteratorINSA_10device_ptrIS5_EEEEPS6_mNSA_7greaterIS5_EEEE10hipError_tT0_T1_T2_jT3_P12ihipStream_tbPNSt15iterator_traitsISK_E10value_typeEPNSQ_ISL_E10value_typeEPSM_NS1_7vsmem_tEENKUlT_SK_SL_SM_E_clIPS5_SF_SG_SG_EESJ_SZ_SK_SL_SM_EUlSZ_E_NS1_11comp_targetILNS1_3genE8ELNS1_11target_archE1030ELNS1_3gpuE2ELNS1_3repE0EEENS1_48merge_mergepath_partition_config_static_selectorELNS0_4arch9wavefront6targetE1EEEvSL_
    .private_segment_fixed_size: 0
    .sgpr_count:     4
    .sgpr_spill_count: 0
    .symbol:         _ZN7rocprim17ROCPRIM_400000_NS6detail17trampoline_kernelINS0_14default_configENS1_38merge_sort_block_merge_config_selectorI14custom_numericNS0_10empty_typeEEEZZNS1_27merge_sort_block_merge_implIS3_N6thrust23THRUST_200600_302600_NS6detail15normal_iteratorINSA_10device_ptrIS5_EEEEPS6_mNSA_7greaterIS5_EEEE10hipError_tT0_T1_T2_jT3_P12ihipStream_tbPNSt15iterator_traitsISK_E10value_typeEPNSQ_ISL_E10value_typeEPSM_NS1_7vsmem_tEENKUlT_SK_SL_SM_E_clIPS5_SF_SG_SG_EESJ_SZ_SK_SL_SM_EUlSZ_E_NS1_11comp_targetILNS1_3genE8ELNS1_11target_archE1030ELNS1_3gpuE2ELNS1_3repE0EEENS1_48merge_mergepath_partition_config_static_selectorELNS0_4arch9wavefront6targetE1EEEvSL_.kd
    .uniform_work_group_size: 1
    .uses_dynamic_stack: false
    .vgpr_count:     0
    .vgpr_spill_count: 0
    .wavefront_size: 64
  - .agpr_count:     0
    .args:
      - .offset:         0
        .size:           72
        .value_kind:     by_value
    .group_segment_fixed_size: 0
    .kernarg_segment_align: 8
    .kernarg_segment_size: 72
    .language:       OpenCL C
    .language_version:
      - 2
      - 0
    .max_flat_workgroup_size: 128
    .name:           _ZN7rocprim17ROCPRIM_400000_NS6detail17trampoline_kernelINS0_14default_configENS1_38merge_sort_block_merge_config_selectorI14custom_numericNS0_10empty_typeEEEZZNS1_27merge_sort_block_merge_implIS3_N6thrust23THRUST_200600_302600_NS6detail15normal_iteratorINSA_10device_ptrIS5_EEEEPS6_mNSA_7greaterIS5_EEEE10hipError_tT0_T1_T2_jT3_P12ihipStream_tbPNSt15iterator_traitsISK_E10value_typeEPNSQ_ISL_E10value_typeEPSM_NS1_7vsmem_tEENKUlT_SK_SL_SM_E_clIPS5_SF_SG_SG_EESJ_SZ_SK_SL_SM_EUlSZ_E0_NS1_11comp_targetILNS1_3genE0ELNS1_11target_archE4294967295ELNS1_3gpuE0ELNS1_3repE0EEENS1_38merge_mergepath_config_static_selectorELNS0_4arch9wavefront6targetE1EEEvSL_
    .private_segment_fixed_size: 0
    .sgpr_count:     4
    .sgpr_spill_count: 0
    .symbol:         _ZN7rocprim17ROCPRIM_400000_NS6detail17trampoline_kernelINS0_14default_configENS1_38merge_sort_block_merge_config_selectorI14custom_numericNS0_10empty_typeEEEZZNS1_27merge_sort_block_merge_implIS3_N6thrust23THRUST_200600_302600_NS6detail15normal_iteratorINSA_10device_ptrIS5_EEEEPS6_mNSA_7greaterIS5_EEEE10hipError_tT0_T1_T2_jT3_P12ihipStream_tbPNSt15iterator_traitsISK_E10value_typeEPNSQ_ISL_E10value_typeEPSM_NS1_7vsmem_tEENKUlT_SK_SL_SM_E_clIPS5_SF_SG_SG_EESJ_SZ_SK_SL_SM_EUlSZ_E0_NS1_11comp_targetILNS1_3genE0ELNS1_11target_archE4294967295ELNS1_3gpuE0ELNS1_3repE0EEENS1_38merge_mergepath_config_static_selectorELNS0_4arch9wavefront6targetE1EEEvSL_.kd
    .uniform_work_group_size: 1
    .uses_dynamic_stack: false
    .vgpr_count:     0
    .vgpr_spill_count: 0
    .wavefront_size: 64
  - .agpr_count:     0
    .args:
      - .offset:         0
        .size:           72
        .value_kind:     by_value
    .group_segment_fixed_size: 0
    .kernarg_segment_align: 8
    .kernarg_segment_size: 72
    .language:       OpenCL C
    .language_version:
      - 2
      - 0
    .max_flat_workgroup_size: 128
    .name:           _ZN7rocprim17ROCPRIM_400000_NS6detail17trampoline_kernelINS0_14default_configENS1_38merge_sort_block_merge_config_selectorI14custom_numericNS0_10empty_typeEEEZZNS1_27merge_sort_block_merge_implIS3_N6thrust23THRUST_200600_302600_NS6detail15normal_iteratorINSA_10device_ptrIS5_EEEEPS6_mNSA_7greaterIS5_EEEE10hipError_tT0_T1_T2_jT3_P12ihipStream_tbPNSt15iterator_traitsISK_E10value_typeEPNSQ_ISL_E10value_typeEPSM_NS1_7vsmem_tEENKUlT_SK_SL_SM_E_clIPS5_SF_SG_SG_EESJ_SZ_SK_SL_SM_EUlSZ_E0_NS1_11comp_targetILNS1_3genE10ELNS1_11target_archE1201ELNS1_3gpuE5ELNS1_3repE0EEENS1_38merge_mergepath_config_static_selectorELNS0_4arch9wavefront6targetE1EEEvSL_
    .private_segment_fixed_size: 0
    .sgpr_count:     4
    .sgpr_spill_count: 0
    .symbol:         _ZN7rocprim17ROCPRIM_400000_NS6detail17trampoline_kernelINS0_14default_configENS1_38merge_sort_block_merge_config_selectorI14custom_numericNS0_10empty_typeEEEZZNS1_27merge_sort_block_merge_implIS3_N6thrust23THRUST_200600_302600_NS6detail15normal_iteratorINSA_10device_ptrIS5_EEEEPS6_mNSA_7greaterIS5_EEEE10hipError_tT0_T1_T2_jT3_P12ihipStream_tbPNSt15iterator_traitsISK_E10value_typeEPNSQ_ISL_E10value_typeEPSM_NS1_7vsmem_tEENKUlT_SK_SL_SM_E_clIPS5_SF_SG_SG_EESJ_SZ_SK_SL_SM_EUlSZ_E0_NS1_11comp_targetILNS1_3genE10ELNS1_11target_archE1201ELNS1_3gpuE5ELNS1_3repE0EEENS1_38merge_mergepath_config_static_selectorELNS0_4arch9wavefront6targetE1EEEvSL_.kd
    .uniform_work_group_size: 1
    .uses_dynamic_stack: false
    .vgpr_count:     0
    .vgpr_spill_count: 0
    .wavefront_size: 64
  - .agpr_count:     0
    .args:
      - .offset:         0
        .size:           72
        .value_kind:     by_value
    .group_segment_fixed_size: 0
    .kernarg_segment_align: 8
    .kernarg_segment_size: 72
    .language:       OpenCL C
    .language_version:
      - 2
      - 0
    .max_flat_workgroup_size: 128
    .name:           _ZN7rocprim17ROCPRIM_400000_NS6detail17trampoline_kernelINS0_14default_configENS1_38merge_sort_block_merge_config_selectorI14custom_numericNS0_10empty_typeEEEZZNS1_27merge_sort_block_merge_implIS3_N6thrust23THRUST_200600_302600_NS6detail15normal_iteratorINSA_10device_ptrIS5_EEEEPS6_mNSA_7greaterIS5_EEEE10hipError_tT0_T1_T2_jT3_P12ihipStream_tbPNSt15iterator_traitsISK_E10value_typeEPNSQ_ISL_E10value_typeEPSM_NS1_7vsmem_tEENKUlT_SK_SL_SM_E_clIPS5_SF_SG_SG_EESJ_SZ_SK_SL_SM_EUlSZ_E0_NS1_11comp_targetILNS1_3genE5ELNS1_11target_archE942ELNS1_3gpuE9ELNS1_3repE0EEENS1_38merge_mergepath_config_static_selectorELNS0_4arch9wavefront6targetE1EEEvSL_
    .private_segment_fixed_size: 0
    .sgpr_count:     4
    .sgpr_spill_count: 0
    .symbol:         _ZN7rocprim17ROCPRIM_400000_NS6detail17trampoline_kernelINS0_14default_configENS1_38merge_sort_block_merge_config_selectorI14custom_numericNS0_10empty_typeEEEZZNS1_27merge_sort_block_merge_implIS3_N6thrust23THRUST_200600_302600_NS6detail15normal_iteratorINSA_10device_ptrIS5_EEEEPS6_mNSA_7greaterIS5_EEEE10hipError_tT0_T1_T2_jT3_P12ihipStream_tbPNSt15iterator_traitsISK_E10value_typeEPNSQ_ISL_E10value_typeEPSM_NS1_7vsmem_tEENKUlT_SK_SL_SM_E_clIPS5_SF_SG_SG_EESJ_SZ_SK_SL_SM_EUlSZ_E0_NS1_11comp_targetILNS1_3genE5ELNS1_11target_archE942ELNS1_3gpuE9ELNS1_3repE0EEENS1_38merge_mergepath_config_static_selectorELNS0_4arch9wavefront6targetE1EEEvSL_.kd
    .uniform_work_group_size: 1
    .uses_dynamic_stack: false
    .vgpr_count:     0
    .vgpr_spill_count: 0
    .wavefront_size: 64
  - .agpr_count:     0
    .args:
      - .offset:         0
        .size:           72
        .value_kind:     by_value
      - .offset:         72
        .size:           4
        .value_kind:     hidden_block_count_x
      - .offset:         76
        .size:           4
        .value_kind:     hidden_block_count_y
      - .offset:         80
        .size:           4
        .value_kind:     hidden_block_count_z
      - .offset:         84
        .size:           2
        .value_kind:     hidden_group_size_x
      - .offset:         86
        .size:           2
        .value_kind:     hidden_group_size_y
      - .offset:         88
        .size:           2
        .value_kind:     hidden_group_size_z
      - .offset:         90
        .size:           2
        .value_kind:     hidden_remainder_x
      - .offset:         92
        .size:           2
        .value_kind:     hidden_remainder_y
      - .offset:         94
        .size:           2
        .value_kind:     hidden_remainder_z
      - .offset:         112
        .size:           8
        .value_kind:     hidden_global_offset_x
      - .offset:         120
        .size:           8
        .value_kind:     hidden_global_offset_y
      - .offset:         128
        .size:           8
        .value_kind:     hidden_global_offset_z
      - .offset:         136
        .size:           2
        .value_kind:     hidden_grid_dims
    .group_segment_fixed_size: 10560
    .kernarg_segment_align: 8
    .kernarg_segment_size: 328
    .language:       OpenCL C
    .language_version:
      - 2
      - 0
    .max_flat_workgroup_size: 128
    .name:           _ZN7rocprim17ROCPRIM_400000_NS6detail17trampoline_kernelINS0_14default_configENS1_38merge_sort_block_merge_config_selectorI14custom_numericNS0_10empty_typeEEEZZNS1_27merge_sort_block_merge_implIS3_N6thrust23THRUST_200600_302600_NS6detail15normal_iteratorINSA_10device_ptrIS5_EEEEPS6_mNSA_7greaterIS5_EEEE10hipError_tT0_T1_T2_jT3_P12ihipStream_tbPNSt15iterator_traitsISK_E10value_typeEPNSQ_ISL_E10value_typeEPSM_NS1_7vsmem_tEENKUlT_SK_SL_SM_E_clIPS5_SF_SG_SG_EESJ_SZ_SK_SL_SM_EUlSZ_E0_NS1_11comp_targetILNS1_3genE4ELNS1_11target_archE910ELNS1_3gpuE8ELNS1_3repE0EEENS1_38merge_mergepath_config_static_selectorELNS0_4arch9wavefront6targetE1EEEvSL_
    .private_segment_fixed_size: 0
    .sgpr_count:     35
    .sgpr_spill_count: 0
    .symbol:         _ZN7rocprim17ROCPRIM_400000_NS6detail17trampoline_kernelINS0_14default_configENS1_38merge_sort_block_merge_config_selectorI14custom_numericNS0_10empty_typeEEEZZNS1_27merge_sort_block_merge_implIS3_N6thrust23THRUST_200600_302600_NS6detail15normal_iteratorINSA_10device_ptrIS5_EEEEPS6_mNSA_7greaterIS5_EEEE10hipError_tT0_T1_T2_jT3_P12ihipStream_tbPNSt15iterator_traitsISK_E10value_typeEPNSQ_ISL_E10value_typeEPSM_NS1_7vsmem_tEENKUlT_SK_SL_SM_E_clIPS5_SF_SG_SG_EESJ_SZ_SK_SL_SM_EUlSZ_E0_NS1_11comp_targetILNS1_3genE4ELNS1_11target_archE910ELNS1_3gpuE8ELNS1_3repE0EEENS1_38merge_mergepath_config_static_selectorELNS0_4arch9wavefront6targetE1EEEvSL_.kd
    .uniform_work_group_size: 1
    .uses_dynamic_stack: false
    .vgpr_count:     24
    .vgpr_spill_count: 0
    .wavefront_size: 64
  - .agpr_count:     0
    .args:
      - .offset:         0
        .size:           72
        .value_kind:     by_value
    .group_segment_fixed_size: 0
    .kernarg_segment_align: 8
    .kernarg_segment_size: 72
    .language:       OpenCL C
    .language_version:
      - 2
      - 0
    .max_flat_workgroup_size: 128
    .name:           _ZN7rocprim17ROCPRIM_400000_NS6detail17trampoline_kernelINS0_14default_configENS1_38merge_sort_block_merge_config_selectorI14custom_numericNS0_10empty_typeEEEZZNS1_27merge_sort_block_merge_implIS3_N6thrust23THRUST_200600_302600_NS6detail15normal_iteratorINSA_10device_ptrIS5_EEEEPS6_mNSA_7greaterIS5_EEEE10hipError_tT0_T1_T2_jT3_P12ihipStream_tbPNSt15iterator_traitsISK_E10value_typeEPNSQ_ISL_E10value_typeEPSM_NS1_7vsmem_tEENKUlT_SK_SL_SM_E_clIPS5_SF_SG_SG_EESJ_SZ_SK_SL_SM_EUlSZ_E0_NS1_11comp_targetILNS1_3genE3ELNS1_11target_archE908ELNS1_3gpuE7ELNS1_3repE0EEENS1_38merge_mergepath_config_static_selectorELNS0_4arch9wavefront6targetE1EEEvSL_
    .private_segment_fixed_size: 0
    .sgpr_count:     4
    .sgpr_spill_count: 0
    .symbol:         _ZN7rocprim17ROCPRIM_400000_NS6detail17trampoline_kernelINS0_14default_configENS1_38merge_sort_block_merge_config_selectorI14custom_numericNS0_10empty_typeEEEZZNS1_27merge_sort_block_merge_implIS3_N6thrust23THRUST_200600_302600_NS6detail15normal_iteratorINSA_10device_ptrIS5_EEEEPS6_mNSA_7greaterIS5_EEEE10hipError_tT0_T1_T2_jT3_P12ihipStream_tbPNSt15iterator_traitsISK_E10value_typeEPNSQ_ISL_E10value_typeEPSM_NS1_7vsmem_tEENKUlT_SK_SL_SM_E_clIPS5_SF_SG_SG_EESJ_SZ_SK_SL_SM_EUlSZ_E0_NS1_11comp_targetILNS1_3genE3ELNS1_11target_archE908ELNS1_3gpuE7ELNS1_3repE0EEENS1_38merge_mergepath_config_static_selectorELNS0_4arch9wavefront6targetE1EEEvSL_.kd
    .uniform_work_group_size: 1
    .uses_dynamic_stack: false
    .vgpr_count:     0
    .vgpr_spill_count: 0
    .wavefront_size: 64
  - .agpr_count:     0
    .args:
      - .offset:         0
        .size:           72
        .value_kind:     by_value
    .group_segment_fixed_size: 0
    .kernarg_segment_align: 8
    .kernarg_segment_size: 72
    .language:       OpenCL C
    .language_version:
      - 2
      - 0
    .max_flat_workgroup_size: 128
    .name:           _ZN7rocprim17ROCPRIM_400000_NS6detail17trampoline_kernelINS0_14default_configENS1_38merge_sort_block_merge_config_selectorI14custom_numericNS0_10empty_typeEEEZZNS1_27merge_sort_block_merge_implIS3_N6thrust23THRUST_200600_302600_NS6detail15normal_iteratorINSA_10device_ptrIS5_EEEEPS6_mNSA_7greaterIS5_EEEE10hipError_tT0_T1_T2_jT3_P12ihipStream_tbPNSt15iterator_traitsISK_E10value_typeEPNSQ_ISL_E10value_typeEPSM_NS1_7vsmem_tEENKUlT_SK_SL_SM_E_clIPS5_SF_SG_SG_EESJ_SZ_SK_SL_SM_EUlSZ_E0_NS1_11comp_targetILNS1_3genE2ELNS1_11target_archE906ELNS1_3gpuE6ELNS1_3repE0EEENS1_38merge_mergepath_config_static_selectorELNS0_4arch9wavefront6targetE1EEEvSL_
    .private_segment_fixed_size: 0
    .sgpr_count:     4
    .sgpr_spill_count: 0
    .symbol:         _ZN7rocprim17ROCPRIM_400000_NS6detail17trampoline_kernelINS0_14default_configENS1_38merge_sort_block_merge_config_selectorI14custom_numericNS0_10empty_typeEEEZZNS1_27merge_sort_block_merge_implIS3_N6thrust23THRUST_200600_302600_NS6detail15normal_iteratorINSA_10device_ptrIS5_EEEEPS6_mNSA_7greaterIS5_EEEE10hipError_tT0_T1_T2_jT3_P12ihipStream_tbPNSt15iterator_traitsISK_E10value_typeEPNSQ_ISL_E10value_typeEPSM_NS1_7vsmem_tEENKUlT_SK_SL_SM_E_clIPS5_SF_SG_SG_EESJ_SZ_SK_SL_SM_EUlSZ_E0_NS1_11comp_targetILNS1_3genE2ELNS1_11target_archE906ELNS1_3gpuE6ELNS1_3repE0EEENS1_38merge_mergepath_config_static_selectorELNS0_4arch9wavefront6targetE1EEEvSL_.kd
    .uniform_work_group_size: 1
    .uses_dynamic_stack: false
    .vgpr_count:     0
    .vgpr_spill_count: 0
    .wavefront_size: 64
  - .agpr_count:     0
    .args:
      - .offset:         0
        .size:           72
        .value_kind:     by_value
    .group_segment_fixed_size: 0
    .kernarg_segment_align: 8
    .kernarg_segment_size: 72
    .language:       OpenCL C
    .language_version:
      - 2
      - 0
    .max_flat_workgroup_size: 128
    .name:           _ZN7rocprim17ROCPRIM_400000_NS6detail17trampoline_kernelINS0_14default_configENS1_38merge_sort_block_merge_config_selectorI14custom_numericNS0_10empty_typeEEEZZNS1_27merge_sort_block_merge_implIS3_N6thrust23THRUST_200600_302600_NS6detail15normal_iteratorINSA_10device_ptrIS5_EEEEPS6_mNSA_7greaterIS5_EEEE10hipError_tT0_T1_T2_jT3_P12ihipStream_tbPNSt15iterator_traitsISK_E10value_typeEPNSQ_ISL_E10value_typeEPSM_NS1_7vsmem_tEENKUlT_SK_SL_SM_E_clIPS5_SF_SG_SG_EESJ_SZ_SK_SL_SM_EUlSZ_E0_NS1_11comp_targetILNS1_3genE9ELNS1_11target_archE1100ELNS1_3gpuE3ELNS1_3repE0EEENS1_38merge_mergepath_config_static_selectorELNS0_4arch9wavefront6targetE1EEEvSL_
    .private_segment_fixed_size: 0
    .sgpr_count:     4
    .sgpr_spill_count: 0
    .symbol:         _ZN7rocprim17ROCPRIM_400000_NS6detail17trampoline_kernelINS0_14default_configENS1_38merge_sort_block_merge_config_selectorI14custom_numericNS0_10empty_typeEEEZZNS1_27merge_sort_block_merge_implIS3_N6thrust23THRUST_200600_302600_NS6detail15normal_iteratorINSA_10device_ptrIS5_EEEEPS6_mNSA_7greaterIS5_EEEE10hipError_tT0_T1_T2_jT3_P12ihipStream_tbPNSt15iterator_traitsISK_E10value_typeEPNSQ_ISL_E10value_typeEPSM_NS1_7vsmem_tEENKUlT_SK_SL_SM_E_clIPS5_SF_SG_SG_EESJ_SZ_SK_SL_SM_EUlSZ_E0_NS1_11comp_targetILNS1_3genE9ELNS1_11target_archE1100ELNS1_3gpuE3ELNS1_3repE0EEENS1_38merge_mergepath_config_static_selectorELNS0_4arch9wavefront6targetE1EEEvSL_.kd
    .uniform_work_group_size: 1
    .uses_dynamic_stack: false
    .vgpr_count:     0
    .vgpr_spill_count: 0
    .wavefront_size: 64
  - .agpr_count:     0
    .args:
      - .offset:         0
        .size:           72
        .value_kind:     by_value
    .group_segment_fixed_size: 0
    .kernarg_segment_align: 8
    .kernarg_segment_size: 72
    .language:       OpenCL C
    .language_version:
      - 2
      - 0
    .max_flat_workgroup_size: 128
    .name:           _ZN7rocprim17ROCPRIM_400000_NS6detail17trampoline_kernelINS0_14default_configENS1_38merge_sort_block_merge_config_selectorI14custom_numericNS0_10empty_typeEEEZZNS1_27merge_sort_block_merge_implIS3_N6thrust23THRUST_200600_302600_NS6detail15normal_iteratorINSA_10device_ptrIS5_EEEEPS6_mNSA_7greaterIS5_EEEE10hipError_tT0_T1_T2_jT3_P12ihipStream_tbPNSt15iterator_traitsISK_E10value_typeEPNSQ_ISL_E10value_typeEPSM_NS1_7vsmem_tEENKUlT_SK_SL_SM_E_clIPS5_SF_SG_SG_EESJ_SZ_SK_SL_SM_EUlSZ_E0_NS1_11comp_targetILNS1_3genE8ELNS1_11target_archE1030ELNS1_3gpuE2ELNS1_3repE0EEENS1_38merge_mergepath_config_static_selectorELNS0_4arch9wavefront6targetE1EEEvSL_
    .private_segment_fixed_size: 0
    .sgpr_count:     4
    .sgpr_spill_count: 0
    .symbol:         _ZN7rocprim17ROCPRIM_400000_NS6detail17trampoline_kernelINS0_14default_configENS1_38merge_sort_block_merge_config_selectorI14custom_numericNS0_10empty_typeEEEZZNS1_27merge_sort_block_merge_implIS3_N6thrust23THRUST_200600_302600_NS6detail15normal_iteratorINSA_10device_ptrIS5_EEEEPS6_mNSA_7greaterIS5_EEEE10hipError_tT0_T1_T2_jT3_P12ihipStream_tbPNSt15iterator_traitsISK_E10value_typeEPNSQ_ISL_E10value_typeEPSM_NS1_7vsmem_tEENKUlT_SK_SL_SM_E_clIPS5_SF_SG_SG_EESJ_SZ_SK_SL_SM_EUlSZ_E0_NS1_11comp_targetILNS1_3genE8ELNS1_11target_archE1030ELNS1_3gpuE2ELNS1_3repE0EEENS1_38merge_mergepath_config_static_selectorELNS0_4arch9wavefront6targetE1EEEvSL_.kd
    .uniform_work_group_size: 1
    .uses_dynamic_stack: false
    .vgpr_count:     0
    .vgpr_spill_count: 0
    .wavefront_size: 64
  - .agpr_count:     0
    .args:
      - .offset:         0
        .size:           56
        .value_kind:     by_value
    .group_segment_fixed_size: 0
    .kernarg_segment_align: 8
    .kernarg_segment_size: 56
    .language:       OpenCL C
    .language_version:
      - 2
      - 0
    .max_flat_workgroup_size: 128
    .name:           _ZN7rocprim17ROCPRIM_400000_NS6detail17trampoline_kernelINS0_14default_configENS1_38merge_sort_block_merge_config_selectorI14custom_numericNS0_10empty_typeEEEZZNS1_27merge_sort_block_merge_implIS3_N6thrust23THRUST_200600_302600_NS6detail15normal_iteratorINSA_10device_ptrIS5_EEEEPS6_mNSA_7greaterIS5_EEEE10hipError_tT0_T1_T2_jT3_P12ihipStream_tbPNSt15iterator_traitsISK_E10value_typeEPNSQ_ISL_E10value_typeEPSM_NS1_7vsmem_tEENKUlT_SK_SL_SM_E_clIPS5_SF_SG_SG_EESJ_SZ_SK_SL_SM_EUlSZ_E1_NS1_11comp_targetILNS1_3genE0ELNS1_11target_archE4294967295ELNS1_3gpuE0ELNS1_3repE0EEENS1_36merge_oddeven_config_static_selectorELNS0_4arch9wavefront6targetE1EEEvSL_
    .private_segment_fixed_size: 0
    .sgpr_count:     4
    .sgpr_spill_count: 0
    .symbol:         _ZN7rocprim17ROCPRIM_400000_NS6detail17trampoline_kernelINS0_14default_configENS1_38merge_sort_block_merge_config_selectorI14custom_numericNS0_10empty_typeEEEZZNS1_27merge_sort_block_merge_implIS3_N6thrust23THRUST_200600_302600_NS6detail15normal_iteratorINSA_10device_ptrIS5_EEEEPS6_mNSA_7greaterIS5_EEEE10hipError_tT0_T1_T2_jT3_P12ihipStream_tbPNSt15iterator_traitsISK_E10value_typeEPNSQ_ISL_E10value_typeEPSM_NS1_7vsmem_tEENKUlT_SK_SL_SM_E_clIPS5_SF_SG_SG_EESJ_SZ_SK_SL_SM_EUlSZ_E1_NS1_11comp_targetILNS1_3genE0ELNS1_11target_archE4294967295ELNS1_3gpuE0ELNS1_3repE0EEENS1_36merge_oddeven_config_static_selectorELNS0_4arch9wavefront6targetE1EEEvSL_.kd
    .uniform_work_group_size: 1
    .uses_dynamic_stack: false
    .vgpr_count:     0
    .vgpr_spill_count: 0
    .wavefront_size: 64
  - .agpr_count:     0
    .args:
      - .offset:         0
        .size:           56
        .value_kind:     by_value
    .group_segment_fixed_size: 0
    .kernarg_segment_align: 8
    .kernarg_segment_size: 56
    .language:       OpenCL C
    .language_version:
      - 2
      - 0
    .max_flat_workgroup_size: 128
    .name:           _ZN7rocprim17ROCPRIM_400000_NS6detail17trampoline_kernelINS0_14default_configENS1_38merge_sort_block_merge_config_selectorI14custom_numericNS0_10empty_typeEEEZZNS1_27merge_sort_block_merge_implIS3_N6thrust23THRUST_200600_302600_NS6detail15normal_iteratorINSA_10device_ptrIS5_EEEEPS6_mNSA_7greaterIS5_EEEE10hipError_tT0_T1_T2_jT3_P12ihipStream_tbPNSt15iterator_traitsISK_E10value_typeEPNSQ_ISL_E10value_typeEPSM_NS1_7vsmem_tEENKUlT_SK_SL_SM_E_clIPS5_SF_SG_SG_EESJ_SZ_SK_SL_SM_EUlSZ_E1_NS1_11comp_targetILNS1_3genE10ELNS1_11target_archE1201ELNS1_3gpuE5ELNS1_3repE0EEENS1_36merge_oddeven_config_static_selectorELNS0_4arch9wavefront6targetE1EEEvSL_
    .private_segment_fixed_size: 0
    .sgpr_count:     4
    .sgpr_spill_count: 0
    .symbol:         _ZN7rocprim17ROCPRIM_400000_NS6detail17trampoline_kernelINS0_14default_configENS1_38merge_sort_block_merge_config_selectorI14custom_numericNS0_10empty_typeEEEZZNS1_27merge_sort_block_merge_implIS3_N6thrust23THRUST_200600_302600_NS6detail15normal_iteratorINSA_10device_ptrIS5_EEEEPS6_mNSA_7greaterIS5_EEEE10hipError_tT0_T1_T2_jT3_P12ihipStream_tbPNSt15iterator_traitsISK_E10value_typeEPNSQ_ISL_E10value_typeEPSM_NS1_7vsmem_tEENKUlT_SK_SL_SM_E_clIPS5_SF_SG_SG_EESJ_SZ_SK_SL_SM_EUlSZ_E1_NS1_11comp_targetILNS1_3genE10ELNS1_11target_archE1201ELNS1_3gpuE5ELNS1_3repE0EEENS1_36merge_oddeven_config_static_selectorELNS0_4arch9wavefront6targetE1EEEvSL_.kd
    .uniform_work_group_size: 1
    .uses_dynamic_stack: false
    .vgpr_count:     0
    .vgpr_spill_count: 0
    .wavefront_size: 64
  - .agpr_count:     0
    .args:
      - .offset:         0
        .size:           56
        .value_kind:     by_value
    .group_segment_fixed_size: 0
    .kernarg_segment_align: 8
    .kernarg_segment_size: 56
    .language:       OpenCL C
    .language_version:
      - 2
      - 0
    .max_flat_workgroup_size: 128
    .name:           _ZN7rocprim17ROCPRIM_400000_NS6detail17trampoline_kernelINS0_14default_configENS1_38merge_sort_block_merge_config_selectorI14custom_numericNS0_10empty_typeEEEZZNS1_27merge_sort_block_merge_implIS3_N6thrust23THRUST_200600_302600_NS6detail15normal_iteratorINSA_10device_ptrIS5_EEEEPS6_mNSA_7greaterIS5_EEEE10hipError_tT0_T1_T2_jT3_P12ihipStream_tbPNSt15iterator_traitsISK_E10value_typeEPNSQ_ISL_E10value_typeEPSM_NS1_7vsmem_tEENKUlT_SK_SL_SM_E_clIPS5_SF_SG_SG_EESJ_SZ_SK_SL_SM_EUlSZ_E1_NS1_11comp_targetILNS1_3genE5ELNS1_11target_archE942ELNS1_3gpuE9ELNS1_3repE0EEENS1_36merge_oddeven_config_static_selectorELNS0_4arch9wavefront6targetE1EEEvSL_
    .private_segment_fixed_size: 0
    .sgpr_count:     4
    .sgpr_spill_count: 0
    .symbol:         _ZN7rocprim17ROCPRIM_400000_NS6detail17trampoline_kernelINS0_14default_configENS1_38merge_sort_block_merge_config_selectorI14custom_numericNS0_10empty_typeEEEZZNS1_27merge_sort_block_merge_implIS3_N6thrust23THRUST_200600_302600_NS6detail15normal_iteratorINSA_10device_ptrIS5_EEEEPS6_mNSA_7greaterIS5_EEEE10hipError_tT0_T1_T2_jT3_P12ihipStream_tbPNSt15iterator_traitsISK_E10value_typeEPNSQ_ISL_E10value_typeEPSM_NS1_7vsmem_tEENKUlT_SK_SL_SM_E_clIPS5_SF_SG_SG_EESJ_SZ_SK_SL_SM_EUlSZ_E1_NS1_11comp_targetILNS1_3genE5ELNS1_11target_archE942ELNS1_3gpuE9ELNS1_3repE0EEENS1_36merge_oddeven_config_static_selectorELNS0_4arch9wavefront6targetE1EEEvSL_.kd
    .uniform_work_group_size: 1
    .uses_dynamic_stack: false
    .vgpr_count:     0
    .vgpr_spill_count: 0
    .wavefront_size: 64
  - .agpr_count:     0
    .args:
      - .offset:         0
        .size:           56
        .value_kind:     by_value
    .group_segment_fixed_size: 0
    .kernarg_segment_align: 8
    .kernarg_segment_size: 56
    .language:       OpenCL C
    .language_version:
      - 2
      - 0
    .max_flat_workgroup_size: 128
    .name:           _ZN7rocprim17ROCPRIM_400000_NS6detail17trampoline_kernelINS0_14default_configENS1_38merge_sort_block_merge_config_selectorI14custom_numericNS0_10empty_typeEEEZZNS1_27merge_sort_block_merge_implIS3_N6thrust23THRUST_200600_302600_NS6detail15normal_iteratorINSA_10device_ptrIS5_EEEEPS6_mNSA_7greaterIS5_EEEE10hipError_tT0_T1_T2_jT3_P12ihipStream_tbPNSt15iterator_traitsISK_E10value_typeEPNSQ_ISL_E10value_typeEPSM_NS1_7vsmem_tEENKUlT_SK_SL_SM_E_clIPS5_SF_SG_SG_EESJ_SZ_SK_SL_SM_EUlSZ_E1_NS1_11comp_targetILNS1_3genE4ELNS1_11target_archE910ELNS1_3gpuE8ELNS1_3repE0EEENS1_36merge_oddeven_config_static_selectorELNS0_4arch9wavefront6targetE1EEEvSL_
    .private_segment_fixed_size: 0
    .sgpr_count:     24
    .sgpr_spill_count: 0
    .symbol:         _ZN7rocprim17ROCPRIM_400000_NS6detail17trampoline_kernelINS0_14default_configENS1_38merge_sort_block_merge_config_selectorI14custom_numericNS0_10empty_typeEEEZZNS1_27merge_sort_block_merge_implIS3_N6thrust23THRUST_200600_302600_NS6detail15normal_iteratorINSA_10device_ptrIS5_EEEEPS6_mNSA_7greaterIS5_EEEE10hipError_tT0_T1_T2_jT3_P12ihipStream_tbPNSt15iterator_traitsISK_E10value_typeEPNSQ_ISL_E10value_typeEPSM_NS1_7vsmem_tEENKUlT_SK_SL_SM_E_clIPS5_SF_SG_SG_EESJ_SZ_SK_SL_SM_EUlSZ_E1_NS1_11comp_targetILNS1_3genE4ELNS1_11target_archE910ELNS1_3gpuE8ELNS1_3repE0EEENS1_36merge_oddeven_config_static_selectorELNS0_4arch9wavefront6targetE1EEEvSL_.kd
    .uniform_work_group_size: 1
    .uses_dynamic_stack: false
    .vgpr_count:     8
    .vgpr_spill_count: 0
    .wavefront_size: 64
  - .agpr_count:     0
    .args:
      - .offset:         0
        .size:           56
        .value_kind:     by_value
    .group_segment_fixed_size: 0
    .kernarg_segment_align: 8
    .kernarg_segment_size: 56
    .language:       OpenCL C
    .language_version:
      - 2
      - 0
    .max_flat_workgroup_size: 128
    .name:           _ZN7rocprim17ROCPRIM_400000_NS6detail17trampoline_kernelINS0_14default_configENS1_38merge_sort_block_merge_config_selectorI14custom_numericNS0_10empty_typeEEEZZNS1_27merge_sort_block_merge_implIS3_N6thrust23THRUST_200600_302600_NS6detail15normal_iteratorINSA_10device_ptrIS5_EEEEPS6_mNSA_7greaterIS5_EEEE10hipError_tT0_T1_T2_jT3_P12ihipStream_tbPNSt15iterator_traitsISK_E10value_typeEPNSQ_ISL_E10value_typeEPSM_NS1_7vsmem_tEENKUlT_SK_SL_SM_E_clIPS5_SF_SG_SG_EESJ_SZ_SK_SL_SM_EUlSZ_E1_NS1_11comp_targetILNS1_3genE3ELNS1_11target_archE908ELNS1_3gpuE7ELNS1_3repE0EEENS1_36merge_oddeven_config_static_selectorELNS0_4arch9wavefront6targetE1EEEvSL_
    .private_segment_fixed_size: 0
    .sgpr_count:     4
    .sgpr_spill_count: 0
    .symbol:         _ZN7rocprim17ROCPRIM_400000_NS6detail17trampoline_kernelINS0_14default_configENS1_38merge_sort_block_merge_config_selectorI14custom_numericNS0_10empty_typeEEEZZNS1_27merge_sort_block_merge_implIS3_N6thrust23THRUST_200600_302600_NS6detail15normal_iteratorINSA_10device_ptrIS5_EEEEPS6_mNSA_7greaterIS5_EEEE10hipError_tT0_T1_T2_jT3_P12ihipStream_tbPNSt15iterator_traitsISK_E10value_typeEPNSQ_ISL_E10value_typeEPSM_NS1_7vsmem_tEENKUlT_SK_SL_SM_E_clIPS5_SF_SG_SG_EESJ_SZ_SK_SL_SM_EUlSZ_E1_NS1_11comp_targetILNS1_3genE3ELNS1_11target_archE908ELNS1_3gpuE7ELNS1_3repE0EEENS1_36merge_oddeven_config_static_selectorELNS0_4arch9wavefront6targetE1EEEvSL_.kd
    .uniform_work_group_size: 1
    .uses_dynamic_stack: false
    .vgpr_count:     0
    .vgpr_spill_count: 0
    .wavefront_size: 64
  - .agpr_count:     0
    .args:
      - .offset:         0
        .size:           56
        .value_kind:     by_value
    .group_segment_fixed_size: 0
    .kernarg_segment_align: 8
    .kernarg_segment_size: 56
    .language:       OpenCL C
    .language_version:
      - 2
      - 0
    .max_flat_workgroup_size: 128
    .name:           _ZN7rocprim17ROCPRIM_400000_NS6detail17trampoline_kernelINS0_14default_configENS1_38merge_sort_block_merge_config_selectorI14custom_numericNS0_10empty_typeEEEZZNS1_27merge_sort_block_merge_implIS3_N6thrust23THRUST_200600_302600_NS6detail15normal_iteratorINSA_10device_ptrIS5_EEEEPS6_mNSA_7greaterIS5_EEEE10hipError_tT0_T1_T2_jT3_P12ihipStream_tbPNSt15iterator_traitsISK_E10value_typeEPNSQ_ISL_E10value_typeEPSM_NS1_7vsmem_tEENKUlT_SK_SL_SM_E_clIPS5_SF_SG_SG_EESJ_SZ_SK_SL_SM_EUlSZ_E1_NS1_11comp_targetILNS1_3genE2ELNS1_11target_archE906ELNS1_3gpuE6ELNS1_3repE0EEENS1_36merge_oddeven_config_static_selectorELNS0_4arch9wavefront6targetE1EEEvSL_
    .private_segment_fixed_size: 0
    .sgpr_count:     4
    .sgpr_spill_count: 0
    .symbol:         _ZN7rocprim17ROCPRIM_400000_NS6detail17trampoline_kernelINS0_14default_configENS1_38merge_sort_block_merge_config_selectorI14custom_numericNS0_10empty_typeEEEZZNS1_27merge_sort_block_merge_implIS3_N6thrust23THRUST_200600_302600_NS6detail15normal_iteratorINSA_10device_ptrIS5_EEEEPS6_mNSA_7greaterIS5_EEEE10hipError_tT0_T1_T2_jT3_P12ihipStream_tbPNSt15iterator_traitsISK_E10value_typeEPNSQ_ISL_E10value_typeEPSM_NS1_7vsmem_tEENKUlT_SK_SL_SM_E_clIPS5_SF_SG_SG_EESJ_SZ_SK_SL_SM_EUlSZ_E1_NS1_11comp_targetILNS1_3genE2ELNS1_11target_archE906ELNS1_3gpuE6ELNS1_3repE0EEENS1_36merge_oddeven_config_static_selectorELNS0_4arch9wavefront6targetE1EEEvSL_.kd
    .uniform_work_group_size: 1
    .uses_dynamic_stack: false
    .vgpr_count:     0
    .vgpr_spill_count: 0
    .wavefront_size: 64
  - .agpr_count:     0
    .args:
      - .offset:         0
        .size:           56
        .value_kind:     by_value
    .group_segment_fixed_size: 0
    .kernarg_segment_align: 8
    .kernarg_segment_size: 56
    .language:       OpenCL C
    .language_version:
      - 2
      - 0
    .max_flat_workgroup_size: 128
    .name:           _ZN7rocprim17ROCPRIM_400000_NS6detail17trampoline_kernelINS0_14default_configENS1_38merge_sort_block_merge_config_selectorI14custom_numericNS0_10empty_typeEEEZZNS1_27merge_sort_block_merge_implIS3_N6thrust23THRUST_200600_302600_NS6detail15normal_iteratorINSA_10device_ptrIS5_EEEEPS6_mNSA_7greaterIS5_EEEE10hipError_tT0_T1_T2_jT3_P12ihipStream_tbPNSt15iterator_traitsISK_E10value_typeEPNSQ_ISL_E10value_typeEPSM_NS1_7vsmem_tEENKUlT_SK_SL_SM_E_clIPS5_SF_SG_SG_EESJ_SZ_SK_SL_SM_EUlSZ_E1_NS1_11comp_targetILNS1_3genE9ELNS1_11target_archE1100ELNS1_3gpuE3ELNS1_3repE0EEENS1_36merge_oddeven_config_static_selectorELNS0_4arch9wavefront6targetE1EEEvSL_
    .private_segment_fixed_size: 0
    .sgpr_count:     4
    .sgpr_spill_count: 0
    .symbol:         _ZN7rocprim17ROCPRIM_400000_NS6detail17trampoline_kernelINS0_14default_configENS1_38merge_sort_block_merge_config_selectorI14custom_numericNS0_10empty_typeEEEZZNS1_27merge_sort_block_merge_implIS3_N6thrust23THRUST_200600_302600_NS6detail15normal_iteratorINSA_10device_ptrIS5_EEEEPS6_mNSA_7greaterIS5_EEEE10hipError_tT0_T1_T2_jT3_P12ihipStream_tbPNSt15iterator_traitsISK_E10value_typeEPNSQ_ISL_E10value_typeEPSM_NS1_7vsmem_tEENKUlT_SK_SL_SM_E_clIPS5_SF_SG_SG_EESJ_SZ_SK_SL_SM_EUlSZ_E1_NS1_11comp_targetILNS1_3genE9ELNS1_11target_archE1100ELNS1_3gpuE3ELNS1_3repE0EEENS1_36merge_oddeven_config_static_selectorELNS0_4arch9wavefront6targetE1EEEvSL_.kd
    .uniform_work_group_size: 1
    .uses_dynamic_stack: false
    .vgpr_count:     0
    .vgpr_spill_count: 0
    .wavefront_size: 64
  - .agpr_count:     0
    .args:
      - .offset:         0
        .size:           56
        .value_kind:     by_value
    .group_segment_fixed_size: 0
    .kernarg_segment_align: 8
    .kernarg_segment_size: 56
    .language:       OpenCL C
    .language_version:
      - 2
      - 0
    .max_flat_workgroup_size: 128
    .name:           _ZN7rocprim17ROCPRIM_400000_NS6detail17trampoline_kernelINS0_14default_configENS1_38merge_sort_block_merge_config_selectorI14custom_numericNS0_10empty_typeEEEZZNS1_27merge_sort_block_merge_implIS3_N6thrust23THRUST_200600_302600_NS6detail15normal_iteratorINSA_10device_ptrIS5_EEEEPS6_mNSA_7greaterIS5_EEEE10hipError_tT0_T1_T2_jT3_P12ihipStream_tbPNSt15iterator_traitsISK_E10value_typeEPNSQ_ISL_E10value_typeEPSM_NS1_7vsmem_tEENKUlT_SK_SL_SM_E_clIPS5_SF_SG_SG_EESJ_SZ_SK_SL_SM_EUlSZ_E1_NS1_11comp_targetILNS1_3genE8ELNS1_11target_archE1030ELNS1_3gpuE2ELNS1_3repE0EEENS1_36merge_oddeven_config_static_selectorELNS0_4arch9wavefront6targetE1EEEvSL_
    .private_segment_fixed_size: 0
    .sgpr_count:     4
    .sgpr_spill_count: 0
    .symbol:         _ZN7rocprim17ROCPRIM_400000_NS6detail17trampoline_kernelINS0_14default_configENS1_38merge_sort_block_merge_config_selectorI14custom_numericNS0_10empty_typeEEEZZNS1_27merge_sort_block_merge_implIS3_N6thrust23THRUST_200600_302600_NS6detail15normal_iteratorINSA_10device_ptrIS5_EEEEPS6_mNSA_7greaterIS5_EEEE10hipError_tT0_T1_T2_jT3_P12ihipStream_tbPNSt15iterator_traitsISK_E10value_typeEPNSQ_ISL_E10value_typeEPSM_NS1_7vsmem_tEENKUlT_SK_SL_SM_E_clIPS5_SF_SG_SG_EESJ_SZ_SK_SL_SM_EUlSZ_E1_NS1_11comp_targetILNS1_3genE8ELNS1_11target_archE1030ELNS1_3gpuE2ELNS1_3repE0EEENS1_36merge_oddeven_config_static_selectorELNS0_4arch9wavefront6targetE1EEEvSL_.kd
    .uniform_work_group_size: 1
    .uses_dynamic_stack: false
    .vgpr_count:     0
    .vgpr_spill_count: 0
    .wavefront_size: 64
  - .agpr_count:     0
    .args:
      - .offset:         0
        .size:           48
        .value_kind:     by_value
    .group_segment_fixed_size: 0
    .kernarg_segment_align: 8
    .kernarg_segment_size: 48
    .language:       OpenCL C
    .language_version:
      - 2
      - 0
    .max_flat_workgroup_size: 128
    .name:           _ZN7rocprim17ROCPRIM_400000_NS6detail17trampoline_kernelINS0_14default_configENS1_38merge_sort_block_merge_config_selectorI14custom_numericNS0_10empty_typeEEEZZNS1_27merge_sort_block_merge_implIS3_N6thrust23THRUST_200600_302600_NS6detail15normal_iteratorINSA_10device_ptrIS5_EEEEPS6_mNSA_7greaterIS5_EEEE10hipError_tT0_T1_T2_jT3_P12ihipStream_tbPNSt15iterator_traitsISK_E10value_typeEPNSQ_ISL_E10value_typeEPSM_NS1_7vsmem_tEENKUlT_SK_SL_SM_E_clISF_PS5_SG_SG_EESJ_SZ_SK_SL_SM_EUlSZ_E_NS1_11comp_targetILNS1_3genE0ELNS1_11target_archE4294967295ELNS1_3gpuE0ELNS1_3repE0EEENS1_48merge_mergepath_partition_config_static_selectorELNS0_4arch9wavefront6targetE1EEEvSL_
    .private_segment_fixed_size: 0
    .sgpr_count:     4
    .sgpr_spill_count: 0
    .symbol:         _ZN7rocprim17ROCPRIM_400000_NS6detail17trampoline_kernelINS0_14default_configENS1_38merge_sort_block_merge_config_selectorI14custom_numericNS0_10empty_typeEEEZZNS1_27merge_sort_block_merge_implIS3_N6thrust23THRUST_200600_302600_NS6detail15normal_iteratorINSA_10device_ptrIS5_EEEEPS6_mNSA_7greaterIS5_EEEE10hipError_tT0_T1_T2_jT3_P12ihipStream_tbPNSt15iterator_traitsISK_E10value_typeEPNSQ_ISL_E10value_typeEPSM_NS1_7vsmem_tEENKUlT_SK_SL_SM_E_clISF_PS5_SG_SG_EESJ_SZ_SK_SL_SM_EUlSZ_E_NS1_11comp_targetILNS1_3genE0ELNS1_11target_archE4294967295ELNS1_3gpuE0ELNS1_3repE0EEENS1_48merge_mergepath_partition_config_static_selectorELNS0_4arch9wavefront6targetE1EEEvSL_.kd
    .uniform_work_group_size: 1
    .uses_dynamic_stack: false
    .vgpr_count:     0
    .vgpr_spill_count: 0
    .wavefront_size: 64
  - .agpr_count:     0
    .args:
      - .offset:         0
        .size:           48
        .value_kind:     by_value
    .group_segment_fixed_size: 0
    .kernarg_segment_align: 8
    .kernarg_segment_size: 48
    .language:       OpenCL C
    .language_version:
      - 2
      - 0
    .max_flat_workgroup_size: 128
    .name:           _ZN7rocprim17ROCPRIM_400000_NS6detail17trampoline_kernelINS0_14default_configENS1_38merge_sort_block_merge_config_selectorI14custom_numericNS0_10empty_typeEEEZZNS1_27merge_sort_block_merge_implIS3_N6thrust23THRUST_200600_302600_NS6detail15normal_iteratorINSA_10device_ptrIS5_EEEEPS6_mNSA_7greaterIS5_EEEE10hipError_tT0_T1_T2_jT3_P12ihipStream_tbPNSt15iterator_traitsISK_E10value_typeEPNSQ_ISL_E10value_typeEPSM_NS1_7vsmem_tEENKUlT_SK_SL_SM_E_clISF_PS5_SG_SG_EESJ_SZ_SK_SL_SM_EUlSZ_E_NS1_11comp_targetILNS1_3genE10ELNS1_11target_archE1201ELNS1_3gpuE5ELNS1_3repE0EEENS1_48merge_mergepath_partition_config_static_selectorELNS0_4arch9wavefront6targetE1EEEvSL_
    .private_segment_fixed_size: 0
    .sgpr_count:     4
    .sgpr_spill_count: 0
    .symbol:         _ZN7rocprim17ROCPRIM_400000_NS6detail17trampoline_kernelINS0_14default_configENS1_38merge_sort_block_merge_config_selectorI14custom_numericNS0_10empty_typeEEEZZNS1_27merge_sort_block_merge_implIS3_N6thrust23THRUST_200600_302600_NS6detail15normal_iteratorINSA_10device_ptrIS5_EEEEPS6_mNSA_7greaterIS5_EEEE10hipError_tT0_T1_T2_jT3_P12ihipStream_tbPNSt15iterator_traitsISK_E10value_typeEPNSQ_ISL_E10value_typeEPSM_NS1_7vsmem_tEENKUlT_SK_SL_SM_E_clISF_PS5_SG_SG_EESJ_SZ_SK_SL_SM_EUlSZ_E_NS1_11comp_targetILNS1_3genE10ELNS1_11target_archE1201ELNS1_3gpuE5ELNS1_3repE0EEENS1_48merge_mergepath_partition_config_static_selectorELNS0_4arch9wavefront6targetE1EEEvSL_.kd
    .uniform_work_group_size: 1
    .uses_dynamic_stack: false
    .vgpr_count:     0
    .vgpr_spill_count: 0
    .wavefront_size: 64
  - .agpr_count:     0
    .args:
      - .offset:         0
        .size:           48
        .value_kind:     by_value
    .group_segment_fixed_size: 0
    .kernarg_segment_align: 8
    .kernarg_segment_size: 48
    .language:       OpenCL C
    .language_version:
      - 2
      - 0
    .max_flat_workgroup_size: 128
    .name:           _ZN7rocprim17ROCPRIM_400000_NS6detail17trampoline_kernelINS0_14default_configENS1_38merge_sort_block_merge_config_selectorI14custom_numericNS0_10empty_typeEEEZZNS1_27merge_sort_block_merge_implIS3_N6thrust23THRUST_200600_302600_NS6detail15normal_iteratorINSA_10device_ptrIS5_EEEEPS6_mNSA_7greaterIS5_EEEE10hipError_tT0_T1_T2_jT3_P12ihipStream_tbPNSt15iterator_traitsISK_E10value_typeEPNSQ_ISL_E10value_typeEPSM_NS1_7vsmem_tEENKUlT_SK_SL_SM_E_clISF_PS5_SG_SG_EESJ_SZ_SK_SL_SM_EUlSZ_E_NS1_11comp_targetILNS1_3genE5ELNS1_11target_archE942ELNS1_3gpuE9ELNS1_3repE0EEENS1_48merge_mergepath_partition_config_static_selectorELNS0_4arch9wavefront6targetE1EEEvSL_
    .private_segment_fixed_size: 0
    .sgpr_count:     4
    .sgpr_spill_count: 0
    .symbol:         _ZN7rocprim17ROCPRIM_400000_NS6detail17trampoline_kernelINS0_14default_configENS1_38merge_sort_block_merge_config_selectorI14custom_numericNS0_10empty_typeEEEZZNS1_27merge_sort_block_merge_implIS3_N6thrust23THRUST_200600_302600_NS6detail15normal_iteratorINSA_10device_ptrIS5_EEEEPS6_mNSA_7greaterIS5_EEEE10hipError_tT0_T1_T2_jT3_P12ihipStream_tbPNSt15iterator_traitsISK_E10value_typeEPNSQ_ISL_E10value_typeEPSM_NS1_7vsmem_tEENKUlT_SK_SL_SM_E_clISF_PS5_SG_SG_EESJ_SZ_SK_SL_SM_EUlSZ_E_NS1_11comp_targetILNS1_3genE5ELNS1_11target_archE942ELNS1_3gpuE9ELNS1_3repE0EEENS1_48merge_mergepath_partition_config_static_selectorELNS0_4arch9wavefront6targetE1EEEvSL_.kd
    .uniform_work_group_size: 1
    .uses_dynamic_stack: false
    .vgpr_count:     0
    .vgpr_spill_count: 0
    .wavefront_size: 64
  - .agpr_count:     0
    .args:
      - .offset:         0
        .size:           48
        .value_kind:     by_value
    .group_segment_fixed_size: 0
    .kernarg_segment_align: 8
    .kernarg_segment_size: 48
    .language:       OpenCL C
    .language_version:
      - 2
      - 0
    .max_flat_workgroup_size: 128
    .name:           _ZN7rocprim17ROCPRIM_400000_NS6detail17trampoline_kernelINS0_14default_configENS1_38merge_sort_block_merge_config_selectorI14custom_numericNS0_10empty_typeEEEZZNS1_27merge_sort_block_merge_implIS3_N6thrust23THRUST_200600_302600_NS6detail15normal_iteratorINSA_10device_ptrIS5_EEEEPS6_mNSA_7greaterIS5_EEEE10hipError_tT0_T1_T2_jT3_P12ihipStream_tbPNSt15iterator_traitsISK_E10value_typeEPNSQ_ISL_E10value_typeEPSM_NS1_7vsmem_tEENKUlT_SK_SL_SM_E_clISF_PS5_SG_SG_EESJ_SZ_SK_SL_SM_EUlSZ_E_NS1_11comp_targetILNS1_3genE4ELNS1_11target_archE910ELNS1_3gpuE8ELNS1_3repE0EEENS1_48merge_mergepath_partition_config_static_selectorELNS0_4arch9wavefront6targetE1EEEvSL_
    .private_segment_fixed_size: 0
    .sgpr_count:     12
    .sgpr_spill_count: 0
    .symbol:         _ZN7rocprim17ROCPRIM_400000_NS6detail17trampoline_kernelINS0_14default_configENS1_38merge_sort_block_merge_config_selectorI14custom_numericNS0_10empty_typeEEEZZNS1_27merge_sort_block_merge_implIS3_N6thrust23THRUST_200600_302600_NS6detail15normal_iteratorINSA_10device_ptrIS5_EEEEPS6_mNSA_7greaterIS5_EEEE10hipError_tT0_T1_T2_jT3_P12ihipStream_tbPNSt15iterator_traitsISK_E10value_typeEPNSQ_ISL_E10value_typeEPSM_NS1_7vsmem_tEENKUlT_SK_SL_SM_E_clISF_PS5_SG_SG_EESJ_SZ_SK_SL_SM_EUlSZ_E_NS1_11comp_targetILNS1_3genE4ELNS1_11target_archE910ELNS1_3gpuE8ELNS1_3repE0EEENS1_48merge_mergepath_partition_config_static_selectorELNS0_4arch9wavefront6targetE1EEEvSL_.kd
    .uniform_work_group_size: 1
    .uses_dynamic_stack: false
    .vgpr_count:     22
    .vgpr_spill_count: 0
    .wavefront_size: 64
  - .agpr_count:     0
    .args:
      - .offset:         0
        .size:           48
        .value_kind:     by_value
    .group_segment_fixed_size: 0
    .kernarg_segment_align: 8
    .kernarg_segment_size: 48
    .language:       OpenCL C
    .language_version:
      - 2
      - 0
    .max_flat_workgroup_size: 128
    .name:           _ZN7rocprim17ROCPRIM_400000_NS6detail17trampoline_kernelINS0_14default_configENS1_38merge_sort_block_merge_config_selectorI14custom_numericNS0_10empty_typeEEEZZNS1_27merge_sort_block_merge_implIS3_N6thrust23THRUST_200600_302600_NS6detail15normal_iteratorINSA_10device_ptrIS5_EEEEPS6_mNSA_7greaterIS5_EEEE10hipError_tT0_T1_T2_jT3_P12ihipStream_tbPNSt15iterator_traitsISK_E10value_typeEPNSQ_ISL_E10value_typeEPSM_NS1_7vsmem_tEENKUlT_SK_SL_SM_E_clISF_PS5_SG_SG_EESJ_SZ_SK_SL_SM_EUlSZ_E_NS1_11comp_targetILNS1_3genE3ELNS1_11target_archE908ELNS1_3gpuE7ELNS1_3repE0EEENS1_48merge_mergepath_partition_config_static_selectorELNS0_4arch9wavefront6targetE1EEEvSL_
    .private_segment_fixed_size: 0
    .sgpr_count:     4
    .sgpr_spill_count: 0
    .symbol:         _ZN7rocprim17ROCPRIM_400000_NS6detail17trampoline_kernelINS0_14default_configENS1_38merge_sort_block_merge_config_selectorI14custom_numericNS0_10empty_typeEEEZZNS1_27merge_sort_block_merge_implIS3_N6thrust23THRUST_200600_302600_NS6detail15normal_iteratorINSA_10device_ptrIS5_EEEEPS6_mNSA_7greaterIS5_EEEE10hipError_tT0_T1_T2_jT3_P12ihipStream_tbPNSt15iterator_traitsISK_E10value_typeEPNSQ_ISL_E10value_typeEPSM_NS1_7vsmem_tEENKUlT_SK_SL_SM_E_clISF_PS5_SG_SG_EESJ_SZ_SK_SL_SM_EUlSZ_E_NS1_11comp_targetILNS1_3genE3ELNS1_11target_archE908ELNS1_3gpuE7ELNS1_3repE0EEENS1_48merge_mergepath_partition_config_static_selectorELNS0_4arch9wavefront6targetE1EEEvSL_.kd
    .uniform_work_group_size: 1
    .uses_dynamic_stack: false
    .vgpr_count:     0
    .vgpr_spill_count: 0
    .wavefront_size: 64
  - .agpr_count:     0
    .args:
      - .offset:         0
        .size:           48
        .value_kind:     by_value
    .group_segment_fixed_size: 0
    .kernarg_segment_align: 8
    .kernarg_segment_size: 48
    .language:       OpenCL C
    .language_version:
      - 2
      - 0
    .max_flat_workgroup_size: 128
    .name:           _ZN7rocprim17ROCPRIM_400000_NS6detail17trampoline_kernelINS0_14default_configENS1_38merge_sort_block_merge_config_selectorI14custom_numericNS0_10empty_typeEEEZZNS1_27merge_sort_block_merge_implIS3_N6thrust23THRUST_200600_302600_NS6detail15normal_iteratorINSA_10device_ptrIS5_EEEEPS6_mNSA_7greaterIS5_EEEE10hipError_tT0_T1_T2_jT3_P12ihipStream_tbPNSt15iterator_traitsISK_E10value_typeEPNSQ_ISL_E10value_typeEPSM_NS1_7vsmem_tEENKUlT_SK_SL_SM_E_clISF_PS5_SG_SG_EESJ_SZ_SK_SL_SM_EUlSZ_E_NS1_11comp_targetILNS1_3genE2ELNS1_11target_archE906ELNS1_3gpuE6ELNS1_3repE0EEENS1_48merge_mergepath_partition_config_static_selectorELNS0_4arch9wavefront6targetE1EEEvSL_
    .private_segment_fixed_size: 0
    .sgpr_count:     4
    .sgpr_spill_count: 0
    .symbol:         _ZN7rocprim17ROCPRIM_400000_NS6detail17trampoline_kernelINS0_14default_configENS1_38merge_sort_block_merge_config_selectorI14custom_numericNS0_10empty_typeEEEZZNS1_27merge_sort_block_merge_implIS3_N6thrust23THRUST_200600_302600_NS6detail15normal_iteratorINSA_10device_ptrIS5_EEEEPS6_mNSA_7greaterIS5_EEEE10hipError_tT0_T1_T2_jT3_P12ihipStream_tbPNSt15iterator_traitsISK_E10value_typeEPNSQ_ISL_E10value_typeEPSM_NS1_7vsmem_tEENKUlT_SK_SL_SM_E_clISF_PS5_SG_SG_EESJ_SZ_SK_SL_SM_EUlSZ_E_NS1_11comp_targetILNS1_3genE2ELNS1_11target_archE906ELNS1_3gpuE6ELNS1_3repE0EEENS1_48merge_mergepath_partition_config_static_selectorELNS0_4arch9wavefront6targetE1EEEvSL_.kd
    .uniform_work_group_size: 1
    .uses_dynamic_stack: false
    .vgpr_count:     0
    .vgpr_spill_count: 0
    .wavefront_size: 64
  - .agpr_count:     0
    .args:
      - .offset:         0
        .size:           48
        .value_kind:     by_value
    .group_segment_fixed_size: 0
    .kernarg_segment_align: 8
    .kernarg_segment_size: 48
    .language:       OpenCL C
    .language_version:
      - 2
      - 0
    .max_flat_workgroup_size: 128
    .name:           _ZN7rocprim17ROCPRIM_400000_NS6detail17trampoline_kernelINS0_14default_configENS1_38merge_sort_block_merge_config_selectorI14custom_numericNS0_10empty_typeEEEZZNS1_27merge_sort_block_merge_implIS3_N6thrust23THRUST_200600_302600_NS6detail15normal_iteratorINSA_10device_ptrIS5_EEEEPS6_mNSA_7greaterIS5_EEEE10hipError_tT0_T1_T2_jT3_P12ihipStream_tbPNSt15iterator_traitsISK_E10value_typeEPNSQ_ISL_E10value_typeEPSM_NS1_7vsmem_tEENKUlT_SK_SL_SM_E_clISF_PS5_SG_SG_EESJ_SZ_SK_SL_SM_EUlSZ_E_NS1_11comp_targetILNS1_3genE9ELNS1_11target_archE1100ELNS1_3gpuE3ELNS1_3repE0EEENS1_48merge_mergepath_partition_config_static_selectorELNS0_4arch9wavefront6targetE1EEEvSL_
    .private_segment_fixed_size: 0
    .sgpr_count:     4
    .sgpr_spill_count: 0
    .symbol:         _ZN7rocprim17ROCPRIM_400000_NS6detail17trampoline_kernelINS0_14default_configENS1_38merge_sort_block_merge_config_selectorI14custom_numericNS0_10empty_typeEEEZZNS1_27merge_sort_block_merge_implIS3_N6thrust23THRUST_200600_302600_NS6detail15normal_iteratorINSA_10device_ptrIS5_EEEEPS6_mNSA_7greaterIS5_EEEE10hipError_tT0_T1_T2_jT3_P12ihipStream_tbPNSt15iterator_traitsISK_E10value_typeEPNSQ_ISL_E10value_typeEPSM_NS1_7vsmem_tEENKUlT_SK_SL_SM_E_clISF_PS5_SG_SG_EESJ_SZ_SK_SL_SM_EUlSZ_E_NS1_11comp_targetILNS1_3genE9ELNS1_11target_archE1100ELNS1_3gpuE3ELNS1_3repE0EEENS1_48merge_mergepath_partition_config_static_selectorELNS0_4arch9wavefront6targetE1EEEvSL_.kd
    .uniform_work_group_size: 1
    .uses_dynamic_stack: false
    .vgpr_count:     0
    .vgpr_spill_count: 0
    .wavefront_size: 64
  - .agpr_count:     0
    .args:
      - .offset:         0
        .size:           48
        .value_kind:     by_value
    .group_segment_fixed_size: 0
    .kernarg_segment_align: 8
    .kernarg_segment_size: 48
    .language:       OpenCL C
    .language_version:
      - 2
      - 0
    .max_flat_workgroup_size: 128
    .name:           _ZN7rocprim17ROCPRIM_400000_NS6detail17trampoline_kernelINS0_14default_configENS1_38merge_sort_block_merge_config_selectorI14custom_numericNS0_10empty_typeEEEZZNS1_27merge_sort_block_merge_implIS3_N6thrust23THRUST_200600_302600_NS6detail15normal_iteratorINSA_10device_ptrIS5_EEEEPS6_mNSA_7greaterIS5_EEEE10hipError_tT0_T1_T2_jT3_P12ihipStream_tbPNSt15iterator_traitsISK_E10value_typeEPNSQ_ISL_E10value_typeEPSM_NS1_7vsmem_tEENKUlT_SK_SL_SM_E_clISF_PS5_SG_SG_EESJ_SZ_SK_SL_SM_EUlSZ_E_NS1_11comp_targetILNS1_3genE8ELNS1_11target_archE1030ELNS1_3gpuE2ELNS1_3repE0EEENS1_48merge_mergepath_partition_config_static_selectorELNS0_4arch9wavefront6targetE1EEEvSL_
    .private_segment_fixed_size: 0
    .sgpr_count:     4
    .sgpr_spill_count: 0
    .symbol:         _ZN7rocprim17ROCPRIM_400000_NS6detail17trampoline_kernelINS0_14default_configENS1_38merge_sort_block_merge_config_selectorI14custom_numericNS0_10empty_typeEEEZZNS1_27merge_sort_block_merge_implIS3_N6thrust23THRUST_200600_302600_NS6detail15normal_iteratorINSA_10device_ptrIS5_EEEEPS6_mNSA_7greaterIS5_EEEE10hipError_tT0_T1_T2_jT3_P12ihipStream_tbPNSt15iterator_traitsISK_E10value_typeEPNSQ_ISL_E10value_typeEPSM_NS1_7vsmem_tEENKUlT_SK_SL_SM_E_clISF_PS5_SG_SG_EESJ_SZ_SK_SL_SM_EUlSZ_E_NS1_11comp_targetILNS1_3genE8ELNS1_11target_archE1030ELNS1_3gpuE2ELNS1_3repE0EEENS1_48merge_mergepath_partition_config_static_selectorELNS0_4arch9wavefront6targetE1EEEvSL_.kd
    .uniform_work_group_size: 1
    .uses_dynamic_stack: false
    .vgpr_count:     0
    .vgpr_spill_count: 0
    .wavefront_size: 64
  - .agpr_count:     0
    .args:
      - .offset:         0
        .size:           72
        .value_kind:     by_value
    .group_segment_fixed_size: 0
    .kernarg_segment_align: 8
    .kernarg_segment_size: 72
    .language:       OpenCL C
    .language_version:
      - 2
      - 0
    .max_flat_workgroup_size: 128
    .name:           _ZN7rocprim17ROCPRIM_400000_NS6detail17trampoline_kernelINS0_14default_configENS1_38merge_sort_block_merge_config_selectorI14custom_numericNS0_10empty_typeEEEZZNS1_27merge_sort_block_merge_implIS3_N6thrust23THRUST_200600_302600_NS6detail15normal_iteratorINSA_10device_ptrIS5_EEEEPS6_mNSA_7greaterIS5_EEEE10hipError_tT0_T1_T2_jT3_P12ihipStream_tbPNSt15iterator_traitsISK_E10value_typeEPNSQ_ISL_E10value_typeEPSM_NS1_7vsmem_tEENKUlT_SK_SL_SM_E_clISF_PS5_SG_SG_EESJ_SZ_SK_SL_SM_EUlSZ_E0_NS1_11comp_targetILNS1_3genE0ELNS1_11target_archE4294967295ELNS1_3gpuE0ELNS1_3repE0EEENS1_38merge_mergepath_config_static_selectorELNS0_4arch9wavefront6targetE1EEEvSL_
    .private_segment_fixed_size: 0
    .sgpr_count:     4
    .sgpr_spill_count: 0
    .symbol:         _ZN7rocprim17ROCPRIM_400000_NS6detail17trampoline_kernelINS0_14default_configENS1_38merge_sort_block_merge_config_selectorI14custom_numericNS0_10empty_typeEEEZZNS1_27merge_sort_block_merge_implIS3_N6thrust23THRUST_200600_302600_NS6detail15normal_iteratorINSA_10device_ptrIS5_EEEEPS6_mNSA_7greaterIS5_EEEE10hipError_tT0_T1_T2_jT3_P12ihipStream_tbPNSt15iterator_traitsISK_E10value_typeEPNSQ_ISL_E10value_typeEPSM_NS1_7vsmem_tEENKUlT_SK_SL_SM_E_clISF_PS5_SG_SG_EESJ_SZ_SK_SL_SM_EUlSZ_E0_NS1_11comp_targetILNS1_3genE0ELNS1_11target_archE4294967295ELNS1_3gpuE0ELNS1_3repE0EEENS1_38merge_mergepath_config_static_selectorELNS0_4arch9wavefront6targetE1EEEvSL_.kd
    .uniform_work_group_size: 1
    .uses_dynamic_stack: false
    .vgpr_count:     0
    .vgpr_spill_count: 0
    .wavefront_size: 64
  - .agpr_count:     0
    .args:
      - .offset:         0
        .size:           72
        .value_kind:     by_value
    .group_segment_fixed_size: 0
    .kernarg_segment_align: 8
    .kernarg_segment_size: 72
    .language:       OpenCL C
    .language_version:
      - 2
      - 0
    .max_flat_workgroup_size: 128
    .name:           _ZN7rocprim17ROCPRIM_400000_NS6detail17trampoline_kernelINS0_14default_configENS1_38merge_sort_block_merge_config_selectorI14custom_numericNS0_10empty_typeEEEZZNS1_27merge_sort_block_merge_implIS3_N6thrust23THRUST_200600_302600_NS6detail15normal_iteratorINSA_10device_ptrIS5_EEEEPS6_mNSA_7greaterIS5_EEEE10hipError_tT0_T1_T2_jT3_P12ihipStream_tbPNSt15iterator_traitsISK_E10value_typeEPNSQ_ISL_E10value_typeEPSM_NS1_7vsmem_tEENKUlT_SK_SL_SM_E_clISF_PS5_SG_SG_EESJ_SZ_SK_SL_SM_EUlSZ_E0_NS1_11comp_targetILNS1_3genE10ELNS1_11target_archE1201ELNS1_3gpuE5ELNS1_3repE0EEENS1_38merge_mergepath_config_static_selectorELNS0_4arch9wavefront6targetE1EEEvSL_
    .private_segment_fixed_size: 0
    .sgpr_count:     4
    .sgpr_spill_count: 0
    .symbol:         _ZN7rocprim17ROCPRIM_400000_NS6detail17trampoline_kernelINS0_14default_configENS1_38merge_sort_block_merge_config_selectorI14custom_numericNS0_10empty_typeEEEZZNS1_27merge_sort_block_merge_implIS3_N6thrust23THRUST_200600_302600_NS6detail15normal_iteratorINSA_10device_ptrIS5_EEEEPS6_mNSA_7greaterIS5_EEEE10hipError_tT0_T1_T2_jT3_P12ihipStream_tbPNSt15iterator_traitsISK_E10value_typeEPNSQ_ISL_E10value_typeEPSM_NS1_7vsmem_tEENKUlT_SK_SL_SM_E_clISF_PS5_SG_SG_EESJ_SZ_SK_SL_SM_EUlSZ_E0_NS1_11comp_targetILNS1_3genE10ELNS1_11target_archE1201ELNS1_3gpuE5ELNS1_3repE0EEENS1_38merge_mergepath_config_static_selectorELNS0_4arch9wavefront6targetE1EEEvSL_.kd
    .uniform_work_group_size: 1
    .uses_dynamic_stack: false
    .vgpr_count:     0
    .vgpr_spill_count: 0
    .wavefront_size: 64
  - .agpr_count:     0
    .args:
      - .offset:         0
        .size:           72
        .value_kind:     by_value
    .group_segment_fixed_size: 0
    .kernarg_segment_align: 8
    .kernarg_segment_size: 72
    .language:       OpenCL C
    .language_version:
      - 2
      - 0
    .max_flat_workgroup_size: 128
    .name:           _ZN7rocprim17ROCPRIM_400000_NS6detail17trampoline_kernelINS0_14default_configENS1_38merge_sort_block_merge_config_selectorI14custom_numericNS0_10empty_typeEEEZZNS1_27merge_sort_block_merge_implIS3_N6thrust23THRUST_200600_302600_NS6detail15normal_iteratorINSA_10device_ptrIS5_EEEEPS6_mNSA_7greaterIS5_EEEE10hipError_tT0_T1_T2_jT3_P12ihipStream_tbPNSt15iterator_traitsISK_E10value_typeEPNSQ_ISL_E10value_typeEPSM_NS1_7vsmem_tEENKUlT_SK_SL_SM_E_clISF_PS5_SG_SG_EESJ_SZ_SK_SL_SM_EUlSZ_E0_NS1_11comp_targetILNS1_3genE5ELNS1_11target_archE942ELNS1_3gpuE9ELNS1_3repE0EEENS1_38merge_mergepath_config_static_selectorELNS0_4arch9wavefront6targetE1EEEvSL_
    .private_segment_fixed_size: 0
    .sgpr_count:     4
    .sgpr_spill_count: 0
    .symbol:         _ZN7rocprim17ROCPRIM_400000_NS6detail17trampoline_kernelINS0_14default_configENS1_38merge_sort_block_merge_config_selectorI14custom_numericNS0_10empty_typeEEEZZNS1_27merge_sort_block_merge_implIS3_N6thrust23THRUST_200600_302600_NS6detail15normal_iteratorINSA_10device_ptrIS5_EEEEPS6_mNSA_7greaterIS5_EEEE10hipError_tT0_T1_T2_jT3_P12ihipStream_tbPNSt15iterator_traitsISK_E10value_typeEPNSQ_ISL_E10value_typeEPSM_NS1_7vsmem_tEENKUlT_SK_SL_SM_E_clISF_PS5_SG_SG_EESJ_SZ_SK_SL_SM_EUlSZ_E0_NS1_11comp_targetILNS1_3genE5ELNS1_11target_archE942ELNS1_3gpuE9ELNS1_3repE0EEENS1_38merge_mergepath_config_static_selectorELNS0_4arch9wavefront6targetE1EEEvSL_.kd
    .uniform_work_group_size: 1
    .uses_dynamic_stack: false
    .vgpr_count:     0
    .vgpr_spill_count: 0
    .wavefront_size: 64
  - .agpr_count:     0
    .args:
      - .offset:         0
        .size:           72
        .value_kind:     by_value
      - .offset:         72
        .size:           4
        .value_kind:     hidden_block_count_x
      - .offset:         76
        .size:           4
        .value_kind:     hidden_block_count_y
      - .offset:         80
        .size:           4
        .value_kind:     hidden_block_count_z
      - .offset:         84
        .size:           2
        .value_kind:     hidden_group_size_x
      - .offset:         86
        .size:           2
        .value_kind:     hidden_group_size_y
      - .offset:         88
        .size:           2
        .value_kind:     hidden_group_size_z
      - .offset:         90
        .size:           2
        .value_kind:     hidden_remainder_x
      - .offset:         92
        .size:           2
        .value_kind:     hidden_remainder_y
      - .offset:         94
        .size:           2
        .value_kind:     hidden_remainder_z
      - .offset:         112
        .size:           8
        .value_kind:     hidden_global_offset_x
      - .offset:         120
        .size:           8
        .value_kind:     hidden_global_offset_y
      - .offset:         128
        .size:           8
        .value_kind:     hidden_global_offset_z
      - .offset:         136
        .size:           2
        .value_kind:     hidden_grid_dims
    .group_segment_fixed_size: 10560
    .kernarg_segment_align: 8
    .kernarg_segment_size: 328
    .language:       OpenCL C
    .language_version:
      - 2
      - 0
    .max_flat_workgroup_size: 128
    .name:           _ZN7rocprim17ROCPRIM_400000_NS6detail17trampoline_kernelINS0_14default_configENS1_38merge_sort_block_merge_config_selectorI14custom_numericNS0_10empty_typeEEEZZNS1_27merge_sort_block_merge_implIS3_N6thrust23THRUST_200600_302600_NS6detail15normal_iteratorINSA_10device_ptrIS5_EEEEPS6_mNSA_7greaterIS5_EEEE10hipError_tT0_T1_T2_jT3_P12ihipStream_tbPNSt15iterator_traitsISK_E10value_typeEPNSQ_ISL_E10value_typeEPSM_NS1_7vsmem_tEENKUlT_SK_SL_SM_E_clISF_PS5_SG_SG_EESJ_SZ_SK_SL_SM_EUlSZ_E0_NS1_11comp_targetILNS1_3genE4ELNS1_11target_archE910ELNS1_3gpuE8ELNS1_3repE0EEENS1_38merge_mergepath_config_static_selectorELNS0_4arch9wavefront6targetE1EEEvSL_
    .private_segment_fixed_size: 0
    .sgpr_count:     35
    .sgpr_spill_count: 0
    .symbol:         _ZN7rocprim17ROCPRIM_400000_NS6detail17trampoline_kernelINS0_14default_configENS1_38merge_sort_block_merge_config_selectorI14custom_numericNS0_10empty_typeEEEZZNS1_27merge_sort_block_merge_implIS3_N6thrust23THRUST_200600_302600_NS6detail15normal_iteratorINSA_10device_ptrIS5_EEEEPS6_mNSA_7greaterIS5_EEEE10hipError_tT0_T1_T2_jT3_P12ihipStream_tbPNSt15iterator_traitsISK_E10value_typeEPNSQ_ISL_E10value_typeEPSM_NS1_7vsmem_tEENKUlT_SK_SL_SM_E_clISF_PS5_SG_SG_EESJ_SZ_SK_SL_SM_EUlSZ_E0_NS1_11comp_targetILNS1_3genE4ELNS1_11target_archE910ELNS1_3gpuE8ELNS1_3repE0EEENS1_38merge_mergepath_config_static_selectorELNS0_4arch9wavefront6targetE1EEEvSL_.kd
    .uniform_work_group_size: 1
    .uses_dynamic_stack: false
    .vgpr_count:     24
    .vgpr_spill_count: 0
    .wavefront_size: 64
  - .agpr_count:     0
    .args:
      - .offset:         0
        .size:           72
        .value_kind:     by_value
    .group_segment_fixed_size: 0
    .kernarg_segment_align: 8
    .kernarg_segment_size: 72
    .language:       OpenCL C
    .language_version:
      - 2
      - 0
    .max_flat_workgroup_size: 128
    .name:           _ZN7rocprim17ROCPRIM_400000_NS6detail17trampoline_kernelINS0_14default_configENS1_38merge_sort_block_merge_config_selectorI14custom_numericNS0_10empty_typeEEEZZNS1_27merge_sort_block_merge_implIS3_N6thrust23THRUST_200600_302600_NS6detail15normal_iteratorINSA_10device_ptrIS5_EEEEPS6_mNSA_7greaterIS5_EEEE10hipError_tT0_T1_T2_jT3_P12ihipStream_tbPNSt15iterator_traitsISK_E10value_typeEPNSQ_ISL_E10value_typeEPSM_NS1_7vsmem_tEENKUlT_SK_SL_SM_E_clISF_PS5_SG_SG_EESJ_SZ_SK_SL_SM_EUlSZ_E0_NS1_11comp_targetILNS1_3genE3ELNS1_11target_archE908ELNS1_3gpuE7ELNS1_3repE0EEENS1_38merge_mergepath_config_static_selectorELNS0_4arch9wavefront6targetE1EEEvSL_
    .private_segment_fixed_size: 0
    .sgpr_count:     4
    .sgpr_spill_count: 0
    .symbol:         _ZN7rocprim17ROCPRIM_400000_NS6detail17trampoline_kernelINS0_14default_configENS1_38merge_sort_block_merge_config_selectorI14custom_numericNS0_10empty_typeEEEZZNS1_27merge_sort_block_merge_implIS3_N6thrust23THRUST_200600_302600_NS6detail15normal_iteratorINSA_10device_ptrIS5_EEEEPS6_mNSA_7greaterIS5_EEEE10hipError_tT0_T1_T2_jT3_P12ihipStream_tbPNSt15iterator_traitsISK_E10value_typeEPNSQ_ISL_E10value_typeEPSM_NS1_7vsmem_tEENKUlT_SK_SL_SM_E_clISF_PS5_SG_SG_EESJ_SZ_SK_SL_SM_EUlSZ_E0_NS1_11comp_targetILNS1_3genE3ELNS1_11target_archE908ELNS1_3gpuE7ELNS1_3repE0EEENS1_38merge_mergepath_config_static_selectorELNS0_4arch9wavefront6targetE1EEEvSL_.kd
    .uniform_work_group_size: 1
    .uses_dynamic_stack: false
    .vgpr_count:     0
    .vgpr_spill_count: 0
    .wavefront_size: 64
  - .agpr_count:     0
    .args:
      - .offset:         0
        .size:           72
        .value_kind:     by_value
    .group_segment_fixed_size: 0
    .kernarg_segment_align: 8
    .kernarg_segment_size: 72
    .language:       OpenCL C
    .language_version:
      - 2
      - 0
    .max_flat_workgroup_size: 128
    .name:           _ZN7rocprim17ROCPRIM_400000_NS6detail17trampoline_kernelINS0_14default_configENS1_38merge_sort_block_merge_config_selectorI14custom_numericNS0_10empty_typeEEEZZNS1_27merge_sort_block_merge_implIS3_N6thrust23THRUST_200600_302600_NS6detail15normal_iteratorINSA_10device_ptrIS5_EEEEPS6_mNSA_7greaterIS5_EEEE10hipError_tT0_T1_T2_jT3_P12ihipStream_tbPNSt15iterator_traitsISK_E10value_typeEPNSQ_ISL_E10value_typeEPSM_NS1_7vsmem_tEENKUlT_SK_SL_SM_E_clISF_PS5_SG_SG_EESJ_SZ_SK_SL_SM_EUlSZ_E0_NS1_11comp_targetILNS1_3genE2ELNS1_11target_archE906ELNS1_3gpuE6ELNS1_3repE0EEENS1_38merge_mergepath_config_static_selectorELNS0_4arch9wavefront6targetE1EEEvSL_
    .private_segment_fixed_size: 0
    .sgpr_count:     4
    .sgpr_spill_count: 0
    .symbol:         _ZN7rocprim17ROCPRIM_400000_NS6detail17trampoline_kernelINS0_14default_configENS1_38merge_sort_block_merge_config_selectorI14custom_numericNS0_10empty_typeEEEZZNS1_27merge_sort_block_merge_implIS3_N6thrust23THRUST_200600_302600_NS6detail15normal_iteratorINSA_10device_ptrIS5_EEEEPS6_mNSA_7greaterIS5_EEEE10hipError_tT0_T1_T2_jT3_P12ihipStream_tbPNSt15iterator_traitsISK_E10value_typeEPNSQ_ISL_E10value_typeEPSM_NS1_7vsmem_tEENKUlT_SK_SL_SM_E_clISF_PS5_SG_SG_EESJ_SZ_SK_SL_SM_EUlSZ_E0_NS1_11comp_targetILNS1_3genE2ELNS1_11target_archE906ELNS1_3gpuE6ELNS1_3repE0EEENS1_38merge_mergepath_config_static_selectorELNS0_4arch9wavefront6targetE1EEEvSL_.kd
    .uniform_work_group_size: 1
    .uses_dynamic_stack: false
    .vgpr_count:     0
    .vgpr_spill_count: 0
    .wavefront_size: 64
  - .agpr_count:     0
    .args:
      - .offset:         0
        .size:           72
        .value_kind:     by_value
    .group_segment_fixed_size: 0
    .kernarg_segment_align: 8
    .kernarg_segment_size: 72
    .language:       OpenCL C
    .language_version:
      - 2
      - 0
    .max_flat_workgroup_size: 128
    .name:           _ZN7rocprim17ROCPRIM_400000_NS6detail17trampoline_kernelINS0_14default_configENS1_38merge_sort_block_merge_config_selectorI14custom_numericNS0_10empty_typeEEEZZNS1_27merge_sort_block_merge_implIS3_N6thrust23THRUST_200600_302600_NS6detail15normal_iteratorINSA_10device_ptrIS5_EEEEPS6_mNSA_7greaterIS5_EEEE10hipError_tT0_T1_T2_jT3_P12ihipStream_tbPNSt15iterator_traitsISK_E10value_typeEPNSQ_ISL_E10value_typeEPSM_NS1_7vsmem_tEENKUlT_SK_SL_SM_E_clISF_PS5_SG_SG_EESJ_SZ_SK_SL_SM_EUlSZ_E0_NS1_11comp_targetILNS1_3genE9ELNS1_11target_archE1100ELNS1_3gpuE3ELNS1_3repE0EEENS1_38merge_mergepath_config_static_selectorELNS0_4arch9wavefront6targetE1EEEvSL_
    .private_segment_fixed_size: 0
    .sgpr_count:     4
    .sgpr_spill_count: 0
    .symbol:         _ZN7rocprim17ROCPRIM_400000_NS6detail17trampoline_kernelINS0_14default_configENS1_38merge_sort_block_merge_config_selectorI14custom_numericNS0_10empty_typeEEEZZNS1_27merge_sort_block_merge_implIS3_N6thrust23THRUST_200600_302600_NS6detail15normal_iteratorINSA_10device_ptrIS5_EEEEPS6_mNSA_7greaterIS5_EEEE10hipError_tT0_T1_T2_jT3_P12ihipStream_tbPNSt15iterator_traitsISK_E10value_typeEPNSQ_ISL_E10value_typeEPSM_NS1_7vsmem_tEENKUlT_SK_SL_SM_E_clISF_PS5_SG_SG_EESJ_SZ_SK_SL_SM_EUlSZ_E0_NS1_11comp_targetILNS1_3genE9ELNS1_11target_archE1100ELNS1_3gpuE3ELNS1_3repE0EEENS1_38merge_mergepath_config_static_selectorELNS0_4arch9wavefront6targetE1EEEvSL_.kd
    .uniform_work_group_size: 1
    .uses_dynamic_stack: false
    .vgpr_count:     0
    .vgpr_spill_count: 0
    .wavefront_size: 64
  - .agpr_count:     0
    .args:
      - .offset:         0
        .size:           72
        .value_kind:     by_value
    .group_segment_fixed_size: 0
    .kernarg_segment_align: 8
    .kernarg_segment_size: 72
    .language:       OpenCL C
    .language_version:
      - 2
      - 0
    .max_flat_workgroup_size: 128
    .name:           _ZN7rocprim17ROCPRIM_400000_NS6detail17trampoline_kernelINS0_14default_configENS1_38merge_sort_block_merge_config_selectorI14custom_numericNS0_10empty_typeEEEZZNS1_27merge_sort_block_merge_implIS3_N6thrust23THRUST_200600_302600_NS6detail15normal_iteratorINSA_10device_ptrIS5_EEEEPS6_mNSA_7greaterIS5_EEEE10hipError_tT0_T1_T2_jT3_P12ihipStream_tbPNSt15iterator_traitsISK_E10value_typeEPNSQ_ISL_E10value_typeEPSM_NS1_7vsmem_tEENKUlT_SK_SL_SM_E_clISF_PS5_SG_SG_EESJ_SZ_SK_SL_SM_EUlSZ_E0_NS1_11comp_targetILNS1_3genE8ELNS1_11target_archE1030ELNS1_3gpuE2ELNS1_3repE0EEENS1_38merge_mergepath_config_static_selectorELNS0_4arch9wavefront6targetE1EEEvSL_
    .private_segment_fixed_size: 0
    .sgpr_count:     4
    .sgpr_spill_count: 0
    .symbol:         _ZN7rocprim17ROCPRIM_400000_NS6detail17trampoline_kernelINS0_14default_configENS1_38merge_sort_block_merge_config_selectorI14custom_numericNS0_10empty_typeEEEZZNS1_27merge_sort_block_merge_implIS3_N6thrust23THRUST_200600_302600_NS6detail15normal_iteratorINSA_10device_ptrIS5_EEEEPS6_mNSA_7greaterIS5_EEEE10hipError_tT0_T1_T2_jT3_P12ihipStream_tbPNSt15iterator_traitsISK_E10value_typeEPNSQ_ISL_E10value_typeEPSM_NS1_7vsmem_tEENKUlT_SK_SL_SM_E_clISF_PS5_SG_SG_EESJ_SZ_SK_SL_SM_EUlSZ_E0_NS1_11comp_targetILNS1_3genE8ELNS1_11target_archE1030ELNS1_3gpuE2ELNS1_3repE0EEENS1_38merge_mergepath_config_static_selectorELNS0_4arch9wavefront6targetE1EEEvSL_.kd
    .uniform_work_group_size: 1
    .uses_dynamic_stack: false
    .vgpr_count:     0
    .vgpr_spill_count: 0
    .wavefront_size: 64
  - .agpr_count:     0
    .args:
      - .offset:         0
        .size:           56
        .value_kind:     by_value
    .group_segment_fixed_size: 0
    .kernarg_segment_align: 8
    .kernarg_segment_size: 56
    .language:       OpenCL C
    .language_version:
      - 2
      - 0
    .max_flat_workgroup_size: 128
    .name:           _ZN7rocprim17ROCPRIM_400000_NS6detail17trampoline_kernelINS0_14default_configENS1_38merge_sort_block_merge_config_selectorI14custom_numericNS0_10empty_typeEEEZZNS1_27merge_sort_block_merge_implIS3_N6thrust23THRUST_200600_302600_NS6detail15normal_iteratorINSA_10device_ptrIS5_EEEEPS6_mNSA_7greaterIS5_EEEE10hipError_tT0_T1_T2_jT3_P12ihipStream_tbPNSt15iterator_traitsISK_E10value_typeEPNSQ_ISL_E10value_typeEPSM_NS1_7vsmem_tEENKUlT_SK_SL_SM_E_clISF_PS5_SG_SG_EESJ_SZ_SK_SL_SM_EUlSZ_E1_NS1_11comp_targetILNS1_3genE0ELNS1_11target_archE4294967295ELNS1_3gpuE0ELNS1_3repE0EEENS1_36merge_oddeven_config_static_selectorELNS0_4arch9wavefront6targetE1EEEvSL_
    .private_segment_fixed_size: 0
    .sgpr_count:     4
    .sgpr_spill_count: 0
    .symbol:         _ZN7rocprim17ROCPRIM_400000_NS6detail17trampoline_kernelINS0_14default_configENS1_38merge_sort_block_merge_config_selectorI14custom_numericNS0_10empty_typeEEEZZNS1_27merge_sort_block_merge_implIS3_N6thrust23THRUST_200600_302600_NS6detail15normal_iteratorINSA_10device_ptrIS5_EEEEPS6_mNSA_7greaterIS5_EEEE10hipError_tT0_T1_T2_jT3_P12ihipStream_tbPNSt15iterator_traitsISK_E10value_typeEPNSQ_ISL_E10value_typeEPSM_NS1_7vsmem_tEENKUlT_SK_SL_SM_E_clISF_PS5_SG_SG_EESJ_SZ_SK_SL_SM_EUlSZ_E1_NS1_11comp_targetILNS1_3genE0ELNS1_11target_archE4294967295ELNS1_3gpuE0ELNS1_3repE0EEENS1_36merge_oddeven_config_static_selectorELNS0_4arch9wavefront6targetE1EEEvSL_.kd
    .uniform_work_group_size: 1
    .uses_dynamic_stack: false
    .vgpr_count:     0
    .vgpr_spill_count: 0
    .wavefront_size: 64
  - .agpr_count:     0
    .args:
      - .offset:         0
        .size:           56
        .value_kind:     by_value
    .group_segment_fixed_size: 0
    .kernarg_segment_align: 8
    .kernarg_segment_size: 56
    .language:       OpenCL C
    .language_version:
      - 2
      - 0
    .max_flat_workgroup_size: 128
    .name:           _ZN7rocprim17ROCPRIM_400000_NS6detail17trampoline_kernelINS0_14default_configENS1_38merge_sort_block_merge_config_selectorI14custom_numericNS0_10empty_typeEEEZZNS1_27merge_sort_block_merge_implIS3_N6thrust23THRUST_200600_302600_NS6detail15normal_iteratorINSA_10device_ptrIS5_EEEEPS6_mNSA_7greaterIS5_EEEE10hipError_tT0_T1_T2_jT3_P12ihipStream_tbPNSt15iterator_traitsISK_E10value_typeEPNSQ_ISL_E10value_typeEPSM_NS1_7vsmem_tEENKUlT_SK_SL_SM_E_clISF_PS5_SG_SG_EESJ_SZ_SK_SL_SM_EUlSZ_E1_NS1_11comp_targetILNS1_3genE10ELNS1_11target_archE1201ELNS1_3gpuE5ELNS1_3repE0EEENS1_36merge_oddeven_config_static_selectorELNS0_4arch9wavefront6targetE1EEEvSL_
    .private_segment_fixed_size: 0
    .sgpr_count:     4
    .sgpr_spill_count: 0
    .symbol:         _ZN7rocprim17ROCPRIM_400000_NS6detail17trampoline_kernelINS0_14default_configENS1_38merge_sort_block_merge_config_selectorI14custom_numericNS0_10empty_typeEEEZZNS1_27merge_sort_block_merge_implIS3_N6thrust23THRUST_200600_302600_NS6detail15normal_iteratorINSA_10device_ptrIS5_EEEEPS6_mNSA_7greaterIS5_EEEE10hipError_tT0_T1_T2_jT3_P12ihipStream_tbPNSt15iterator_traitsISK_E10value_typeEPNSQ_ISL_E10value_typeEPSM_NS1_7vsmem_tEENKUlT_SK_SL_SM_E_clISF_PS5_SG_SG_EESJ_SZ_SK_SL_SM_EUlSZ_E1_NS1_11comp_targetILNS1_3genE10ELNS1_11target_archE1201ELNS1_3gpuE5ELNS1_3repE0EEENS1_36merge_oddeven_config_static_selectorELNS0_4arch9wavefront6targetE1EEEvSL_.kd
    .uniform_work_group_size: 1
    .uses_dynamic_stack: false
    .vgpr_count:     0
    .vgpr_spill_count: 0
    .wavefront_size: 64
  - .agpr_count:     0
    .args:
      - .offset:         0
        .size:           56
        .value_kind:     by_value
    .group_segment_fixed_size: 0
    .kernarg_segment_align: 8
    .kernarg_segment_size: 56
    .language:       OpenCL C
    .language_version:
      - 2
      - 0
    .max_flat_workgroup_size: 128
    .name:           _ZN7rocprim17ROCPRIM_400000_NS6detail17trampoline_kernelINS0_14default_configENS1_38merge_sort_block_merge_config_selectorI14custom_numericNS0_10empty_typeEEEZZNS1_27merge_sort_block_merge_implIS3_N6thrust23THRUST_200600_302600_NS6detail15normal_iteratorINSA_10device_ptrIS5_EEEEPS6_mNSA_7greaterIS5_EEEE10hipError_tT0_T1_T2_jT3_P12ihipStream_tbPNSt15iterator_traitsISK_E10value_typeEPNSQ_ISL_E10value_typeEPSM_NS1_7vsmem_tEENKUlT_SK_SL_SM_E_clISF_PS5_SG_SG_EESJ_SZ_SK_SL_SM_EUlSZ_E1_NS1_11comp_targetILNS1_3genE5ELNS1_11target_archE942ELNS1_3gpuE9ELNS1_3repE0EEENS1_36merge_oddeven_config_static_selectorELNS0_4arch9wavefront6targetE1EEEvSL_
    .private_segment_fixed_size: 0
    .sgpr_count:     4
    .sgpr_spill_count: 0
    .symbol:         _ZN7rocprim17ROCPRIM_400000_NS6detail17trampoline_kernelINS0_14default_configENS1_38merge_sort_block_merge_config_selectorI14custom_numericNS0_10empty_typeEEEZZNS1_27merge_sort_block_merge_implIS3_N6thrust23THRUST_200600_302600_NS6detail15normal_iteratorINSA_10device_ptrIS5_EEEEPS6_mNSA_7greaterIS5_EEEE10hipError_tT0_T1_T2_jT3_P12ihipStream_tbPNSt15iterator_traitsISK_E10value_typeEPNSQ_ISL_E10value_typeEPSM_NS1_7vsmem_tEENKUlT_SK_SL_SM_E_clISF_PS5_SG_SG_EESJ_SZ_SK_SL_SM_EUlSZ_E1_NS1_11comp_targetILNS1_3genE5ELNS1_11target_archE942ELNS1_3gpuE9ELNS1_3repE0EEENS1_36merge_oddeven_config_static_selectorELNS0_4arch9wavefront6targetE1EEEvSL_.kd
    .uniform_work_group_size: 1
    .uses_dynamic_stack: false
    .vgpr_count:     0
    .vgpr_spill_count: 0
    .wavefront_size: 64
  - .agpr_count:     0
    .args:
      - .offset:         0
        .size:           56
        .value_kind:     by_value
    .group_segment_fixed_size: 0
    .kernarg_segment_align: 8
    .kernarg_segment_size: 56
    .language:       OpenCL C
    .language_version:
      - 2
      - 0
    .max_flat_workgroup_size: 128
    .name:           _ZN7rocprim17ROCPRIM_400000_NS6detail17trampoline_kernelINS0_14default_configENS1_38merge_sort_block_merge_config_selectorI14custom_numericNS0_10empty_typeEEEZZNS1_27merge_sort_block_merge_implIS3_N6thrust23THRUST_200600_302600_NS6detail15normal_iteratorINSA_10device_ptrIS5_EEEEPS6_mNSA_7greaterIS5_EEEE10hipError_tT0_T1_T2_jT3_P12ihipStream_tbPNSt15iterator_traitsISK_E10value_typeEPNSQ_ISL_E10value_typeEPSM_NS1_7vsmem_tEENKUlT_SK_SL_SM_E_clISF_PS5_SG_SG_EESJ_SZ_SK_SL_SM_EUlSZ_E1_NS1_11comp_targetILNS1_3genE4ELNS1_11target_archE910ELNS1_3gpuE8ELNS1_3repE0EEENS1_36merge_oddeven_config_static_selectorELNS0_4arch9wavefront6targetE1EEEvSL_
    .private_segment_fixed_size: 0
    .sgpr_count:     24
    .sgpr_spill_count: 0
    .symbol:         _ZN7rocprim17ROCPRIM_400000_NS6detail17trampoline_kernelINS0_14default_configENS1_38merge_sort_block_merge_config_selectorI14custom_numericNS0_10empty_typeEEEZZNS1_27merge_sort_block_merge_implIS3_N6thrust23THRUST_200600_302600_NS6detail15normal_iteratorINSA_10device_ptrIS5_EEEEPS6_mNSA_7greaterIS5_EEEE10hipError_tT0_T1_T2_jT3_P12ihipStream_tbPNSt15iterator_traitsISK_E10value_typeEPNSQ_ISL_E10value_typeEPSM_NS1_7vsmem_tEENKUlT_SK_SL_SM_E_clISF_PS5_SG_SG_EESJ_SZ_SK_SL_SM_EUlSZ_E1_NS1_11comp_targetILNS1_3genE4ELNS1_11target_archE910ELNS1_3gpuE8ELNS1_3repE0EEENS1_36merge_oddeven_config_static_selectorELNS0_4arch9wavefront6targetE1EEEvSL_.kd
    .uniform_work_group_size: 1
    .uses_dynamic_stack: false
    .vgpr_count:     8
    .vgpr_spill_count: 0
    .wavefront_size: 64
  - .agpr_count:     0
    .args:
      - .offset:         0
        .size:           56
        .value_kind:     by_value
    .group_segment_fixed_size: 0
    .kernarg_segment_align: 8
    .kernarg_segment_size: 56
    .language:       OpenCL C
    .language_version:
      - 2
      - 0
    .max_flat_workgroup_size: 128
    .name:           _ZN7rocprim17ROCPRIM_400000_NS6detail17trampoline_kernelINS0_14default_configENS1_38merge_sort_block_merge_config_selectorI14custom_numericNS0_10empty_typeEEEZZNS1_27merge_sort_block_merge_implIS3_N6thrust23THRUST_200600_302600_NS6detail15normal_iteratorINSA_10device_ptrIS5_EEEEPS6_mNSA_7greaterIS5_EEEE10hipError_tT0_T1_T2_jT3_P12ihipStream_tbPNSt15iterator_traitsISK_E10value_typeEPNSQ_ISL_E10value_typeEPSM_NS1_7vsmem_tEENKUlT_SK_SL_SM_E_clISF_PS5_SG_SG_EESJ_SZ_SK_SL_SM_EUlSZ_E1_NS1_11comp_targetILNS1_3genE3ELNS1_11target_archE908ELNS1_3gpuE7ELNS1_3repE0EEENS1_36merge_oddeven_config_static_selectorELNS0_4arch9wavefront6targetE1EEEvSL_
    .private_segment_fixed_size: 0
    .sgpr_count:     4
    .sgpr_spill_count: 0
    .symbol:         _ZN7rocprim17ROCPRIM_400000_NS6detail17trampoline_kernelINS0_14default_configENS1_38merge_sort_block_merge_config_selectorI14custom_numericNS0_10empty_typeEEEZZNS1_27merge_sort_block_merge_implIS3_N6thrust23THRUST_200600_302600_NS6detail15normal_iteratorINSA_10device_ptrIS5_EEEEPS6_mNSA_7greaterIS5_EEEE10hipError_tT0_T1_T2_jT3_P12ihipStream_tbPNSt15iterator_traitsISK_E10value_typeEPNSQ_ISL_E10value_typeEPSM_NS1_7vsmem_tEENKUlT_SK_SL_SM_E_clISF_PS5_SG_SG_EESJ_SZ_SK_SL_SM_EUlSZ_E1_NS1_11comp_targetILNS1_3genE3ELNS1_11target_archE908ELNS1_3gpuE7ELNS1_3repE0EEENS1_36merge_oddeven_config_static_selectorELNS0_4arch9wavefront6targetE1EEEvSL_.kd
    .uniform_work_group_size: 1
    .uses_dynamic_stack: false
    .vgpr_count:     0
    .vgpr_spill_count: 0
    .wavefront_size: 64
  - .agpr_count:     0
    .args:
      - .offset:         0
        .size:           56
        .value_kind:     by_value
    .group_segment_fixed_size: 0
    .kernarg_segment_align: 8
    .kernarg_segment_size: 56
    .language:       OpenCL C
    .language_version:
      - 2
      - 0
    .max_flat_workgroup_size: 128
    .name:           _ZN7rocprim17ROCPRIM_400000_NS6detail17trampoline_kernelINS0_14default_configENS1_38merge_sort_block_merge_config_selectorI14custom_numericNS0_10empty_typeEEEZZNS1_27merge_sort_block_merge_implIS3_N6thrust23THRUST_200600_302600_NS6detail15normal_iteratorINSA_10device_ptrIS5_EEEEPS6_mNSA_7greaterIS5_EEEE10hipError_tT0_T1_T2_jT3_P12ihipStream_tbPNSt15iterator_traitsISK_E10value_typeEPNSQ_ISL_E10value_typeEPSM_NS1_7vsmem_tEENKUlT_SK_SL_SM_E_clISF_PS5_SG_SG_EESJ_SZ_SK_SL_SM_EUlSZ_E1_NS1_11comp_targetILNS1_3genE2ELNS1_11target_archE906ELNS1_3gpuE6ELNS1_3repE0EEENS1_36merge_oddeven_config_static_selectorELNS0_4arch9wavefront6targetE1EEEvSL_
    .private_segment_fixed_size: 0
    .sgpr_count:     4
    .sgpr_spill_count: 0
    .symbol:         _ZN7rocprim17ROCPRIM_400000_NS6detail17trampoline_kernelINS0_14default_configENS1_38merge_sort_block_merge_config_selectorI14custom_numericNS0_10empty_typeEEEZZNS1_27merge_sort_block_merge_implIS3_N6thrust23THRUST_200600_302600_NS6detail15normal_iteratorINSA_10device_ptrIS5_EEEEPS6_mNSA_7greaterIS5_EEEE10hipError_tT0_T1_T2_jT3_P12ihipStream_tbPNSt15iterator_traitsISK_E10value_typeEPNSQ_ISL_E10value_typeEPSM_NS1_7vsmem_tEENKUlT_SK_SL_SM_E_clISF_PS5_SG_SG_EESJ_SZ_SK_SL_SM_EUlSZ_E1_NS1_11comp_targetILNS1_3genE2ELNS1_11target_archE906ELNS1_3gpuE6ELNS1_3repE0EEENS1_36merge_oddeven_config_static_selectorELNS0_4arch9wavefront6targetE1EEEvSL_.kd
    .uniform_work_group_size: 1
    .uses_dynamic_stack: false
    .vgpr_count:     0
    .vgpr_spill_count: 0
    .wavefront_size: 64
  - .agpr_count:     0
    .args:
      - .offset:         0
        .size:           56
        .value_kind:     by_value
    .group_segment_fixed_size: 0
    .kernarg_segment_align: 8
    .kernarg_segment_size: 56
    .language:       OpenCL C
    .language_version:
      - 2
      - 0
    .max_flat_workgroup_size: 128
    .name:           _ZN7rocprim17ROCPRIM_400000_NS6detail17trampoline_kernelINS0_14default_configENS1_38merge_sort_block_merge_config_selectorI14custom_numericNS0_10empty_typeEEEZZNS1_27merge_sort_block_merge_implIS3_N6thrust23THRUST_200600_302600_NS6detail15normal_iteratorINSA_10device_ptrIS5_EEEEPS6_mNSA_7greaterIS5_EEEE10hipError_tT0_T1_T2_jT3_P12ihipStream_tbPNSt15iterator_traitsISK_E10value_typeEPNSQ_ISL_E10value_typeEPSM_NS1_7vsmem_tEENKUlT_SK_SL_SM_E_clISF_PS5_SG_SG_EESJ_SZ_SK_SL_SM_EUlSZ_E1_NS1_11comp_targetILNS1_3genE9ELNS1_11target_archE1100ELNS1_3gpuE3ELNS1_3repE0EEENS1_36merge_oddeven_config_static_selectorELNS0_4arch9wavefront6targetE1EEEvSL_
    .private_segment_fixed_size: 0
    .sgpr_count:     4
    .sgpr_spill_count: 0
    .symbol:         _ZN7rocprim17ROCPRIM_400000_NS6detail17trampoline_kernelINS0_14default_configENS1_38merge_sort_block_merge_config_selectorI14custom_numericNS0_10empty_typeEEEZZNS1_27merge_sort_block_merge_implIS3_N6thrust23THRUST_200600_302600_NS6detail15normal_iteratorINSA_10device_ptrIS5_EEEEPS6_mNSA_7greaterIS5_EEEE10hipError_tT0_T1_T2_jT3_P12ihipStream_tbPNSt15iterator_traitsISK_E10value_typeEPNSQ_ISL_E10value_typeEPSM_NS1_7vsmem_tEENKUlT_SK_SL_SM_E_clISF_PS5_SG_SG_EESJ_SZ_SK_SL_SM_EUlSZ_E1_NS1_11comp_targetILNS1_3genE9ELNS1_11target_archE1100ELNS1_3gpuE3ELNS1_3repE0EEENS1_36merge_oddeven_config_static_selectorELNS0_4arch9wavefront6targetE1EEEvSL_.kd
    .uniform_work_group_size: 1
    .uses_dynamic_stack: false
    .vgpr_count:     0
    .vgpr_spill_count: 0
    .wavefront_size: 64
  - .agpr_count:     0
    .args:
      - .offset:         0
        .size:           56
        .value_kind:     by_value
    .group_segment_fixed_size: 0
    .kernarg_segment_align: 8
    .kernarg_segment_size: 56
    .language:       OpenCL C
    .language_version:
      - 2
      - 0
    .max_flat_workgroup_size: 128
    .name:           _ZN7rocprim17ROCPRIM_400000_NS6detail17trampoline_kernelINS0_14default_configENS1_38merge_sort_block_merge_config_selectorI14custom_numericNS0_10empty_typeEEEZZNS1_27merge_sort_block_merge_implIS3_N6thrust23THRUST_200600_302600_NS6detail15normal_iteratorINSA_10device_ptrIS5_EEEEPS6_mNSA_7greaterIS5_EEEE10hipError_tT0_T1_T2_jT3_P12ihipStream_tbPNSt15iterator_traitsISK_E10value_typeEPNSQ_ISL_E10value_typeEPSM_NS1_7vsmem_tEENKUlT_SK_SL_SM_E_clISF_PS5_SG_SG_EESJ_SZ_SK_SL_SM_EUlSZ_E1_NS1_11comp_targetILNS1_3genE8ELNS1_11target_archE1030ELNS1_3gpuE2ELNS1_3repE0EEENS1_36merge_oddeven_config_static_selectorELNS0_4arch9wavefront6targetE1EEEvSL_
    .private_segment_fixed_size: 0
    .sgpr_count:     4
    .sgpr_spill_count: 0
    .symbol:         _ZN7rocprim17ROCPRIM_400000_NS6detail17trampoline_kernelINS0_14default_configENS1_38merge_sort_block_merge_config_selectorI14custom_numericNS0_10empty_typeEEEZZNS1_27merge_sort_block_merge_implIS3_N6thrust23THRUST_200600_302600_NS6detail15normal_iteratorINSA_10device_ptrIS5_EEEEPS6_mNSA_7greaterIS5_EEEE10hipError_tT0_T1_T2_jT3_P12ihipStream_tbPNSt15iterator_traitsISK_E10value_typeEPNSQ_ISL_E10value_typeEPSM_NS1_7vsmem_tEENKUlT_SK_SL_SM_E_clISF_PS5_SG_SG_EESJ_SZ_SK_SL_SM_EUlSZ_E1_NS1_11comp_targetILNS1_3genE8ELNS1_11target_archE1030ELNS1_3gpuE2ELNS1_3repE0EEENS1_36merge_oddeven_config_static_selectorELNS0_4arch9wavefront6targetE1EEEvSL_.kd
    .uniform_work_group_size: 1
    .uses_dynamic_stack: false
    .vgpr_count:     0
    .vgpr_spill_count: 0
    .wavefront_size: 64
  - .agpr_count:     0
    .args:           []
    .group_segment_fixed_size: 0
    .kernarg_segment_align: 4
    .kernarg_segment_size: 0
    .language:       OpenCL C
    .language_version:
      - 2
      - 0
    .max_flat_workgroup_size: 1024
    .name:           _ZN7rocprim17ROCPRIM_400000_NS6detail44device_merge_sort_compile_time_verifier_archINS1_11comp_targetILNS1_3genE0ELNS1_11target_archE4294967295ELNS1_3gpuE0ELNS1_3repE0EEES8_NS0_14default_configES9_NS1_37merge_sort_block_sort_config_selectorIcNS0_10empty_typeEEENS1_38merge_sort_block_merge_config_selectorIcSB_EEEEvv
    .private_segment_fixed_size: 0
    .sgpr_count:     4
    .sgpr_spill_count: 0
    .symbol:         _ZN7rocprim17ROCPRIM_400000_NS6detail44device_merge_sort_compile_time_verifier_archINS1_11comp_targetILNS1_3genE0ELNS1_11target_archE4294967295ELNS1_3gpuE0ELNS1_3repE0EEES8_NS0_14default_configES9_NS1_37merge_sort_block_sort_config_selectorIcNS0_10empty_typeEEENS1_38merge_sort_block_merge_config_selectorIcSB_EEEEvv.kd
    .uniform_work_group_size: 1
    .uses_dynamic_stack: false
    .vgpr_count:     0
    .vgpr_spill_count: 0
    .wavefront_size: 64
  - .agpr_count:     0
    .args:           []
    .group_segment_fixed_size: 0
    .kernarg_segment_align: 4
    .kernarg_segment_size: 0
    .language:       OpenCL C
    .language_version:
      - 2
      - 0
    .max_flat_workgroup_size: 1024
    .name:           _ZN7rocprim17ROCPRIM_400000_NS6detail44device_merge_sort_compile_time_verifier_archINS1_11comp_targetILNS1_3genE5ELNS1_11target_archE942ELNS1_3gpuE9ELNS1_3repE0EEES8_NS0_14default_configES9_NS1_37merge_sort_block_sort_config_selectorIcNS0_10empty_typeEEENS1_38merge_sort_block_merge_config_selectorIcSB_EEEEvv
    .private_segment_fixed_size: 0
    .sgpr_count:     4
    .sgpr_spill_count: 0
    .symbol:         _ZN7rocprim17ROCPRIM_400000_NS6detail44device_merge_sort_compile_time_verifier_archINS1_11comp_targetILNS1_3genE5ELNS1_11target_archE942ELNS1_3gpuE9ELNS1_3repE0EEES8_NS0_14default_configES9_NS1_37merge_sort_block_sort_config_selectorIcNS0_10empty_typeEEENS1_38merge_sort_block_merge_config_selectorIcSB_EEEEvv.kd
    .uniform_work_group_size: 1
    .uses_dynamic_stack: false
    .vgpr_count:     0
    .vgpr_spill_count: 0
    .wavefront_size: 64
  - .agpr_count:     0
    .args:           []
    .group_segment_fixed_size: 0
    .kernarg_segment_align: 4
    .kernarg_segment_size: 0
    .language:       OpenCL C
    .language_version:
      - 2
      - 0
    .max_flat_workgroup_size: 1024
    .name:           _ZN7rocprim17ROCPRIM_400000_NS6detail44device_merge_sort_compile_time_verifier_archINS1_11comp_targetILNS1_3genE4ELNS1_11target_archE910ELNS1_3gpuE8ELNS1_3repE0EEES8_NS0_14default_configES9_NS1_37merge_sort_block_sort_config_selectorIcNS0_10empty_typeEEENS1_38merge_sort_block_merge_config_selectorIcSB_EEEEvv
    .private_segment_fixed_size: 0
    .sgpr_count:     4
    .sgpr_spill_count: 0
    .symbol:         _ZN7rocprim17ROCPRIM_400000_NS6detail44device_merge_sort_compile_time_verifier_archINS1_11comp_targetILNS1_3genE4ELNS1_11target_archE910ELNS1_3gpuE8ELNS1_3repE0EEES8_NS0_14default_configES9_NS1_37merge_sort_block_sort_config_selectorIcNS0_10empty_typeEEENS1_38merge_sort_block_merge_config_selectorIcSB_EEEEvv.kd
    .uniform_work_group_size: 1
    .uses_dynamic_stack: false
    .vgpr_count:     0
    .vgpr_spill_count: 0
    .wavefront_size: 64
  - .agpr_count:     0
    .args:           []
    .group_segment_fixed_size: 0
    .kernarg_segment_align: 4
    .kernarg_segment_size: 0
    .language:       OpenCL C
    .language_version:
      - 2
      - 0
    .max_flat_workgroup_size: 1024
    .name:           _ZN7rocprim17ROCPRIM_400000_NS6detail44device_merge_sort_compile_time_verifier_archINS1_11comp_targetILNS1_3genE3ELNS1_11target_archE908ELNS1_3gpuE7ELNS1_3repE0EEES8_NS0_14default_configES9_NS1_37merge_sort_block_sort_config_selectorIcNS0_10empty_typeEEENS1_38merge_sort_block_merge_config_selectorIcSB_EEEEvv
    .private_segment_fixed_size: 0
    .sgpr_count:     4
    .sgpr_spill_count: 0
    .symbol:         _ZN7rocprim17ROCPRIM_400000_NS6detail44device_merge_sort_compile_time_verifier_archINS1_11comp_targetILNS1_3genE3ELNS1_11target_archE908ELNS1_3gpuE7ELNS1_3repE0EEES8_NS0_14default_configES9_NS1_37merge_sort_block_sort_config_selectorIcNS0_10empty_typeEEENS1_38merge_sort_block_merge_config_selectorIcSB_EEEEvv.kd
    .uniform_work_group_size: 1
    .uses_dynamic_stack: false
    .vgpr_count:     0
    .vgpr_spill_count: 0
    .wavefront_size: 64
  - .agpr_count:     0
    .args:           []
    .group_segment_fixed_size: 0
    .kernarg_segment_align: 4
    .kernarg_segment_size: 0
    .language:       OpenCL C
    .language_version:
      - 2
      - 0
    .max_flat_workgroup_size: 1024
    .name:           _ZN7rocprim17ROCPRIM_400000_NS6detail44device_merge_sort_compile_time_verifier_archINS1_11comp_targetILNS1_3genE2ELNS1_11target_archE906ELNS1_3gpuE6ELNS1_3repE0EEES8_NS0_14default_configES9_NS1_37merge_sort_block_sort_config_selectorIcNS0_10empty_typeEEENS1_38merge_sort_block_merge_config_selectorIcSB_EEEEvv
    .private_segment_fixed_size: 0
    .sgpr_count:     4
    .sgpr_spill_count: 0
    .symbol:         _ZN7rocprim17ROCPRIM_400000_NS6detail44device_merge_sort_compile_time_verifier_archINS1_11comp_targetILNS1_3genE2ELNS1_11target_archE906ELNS1_3gpuE6ELNS1_3repE0EEES8_NS0_14default_configES9_NS1_37merge_sort_block_sort_config_selectorIcNS0_10empty_typeEEENS1_38merge_sort_block_merge_config_selectorIcSB_EEEEvv.kd
    .uniform_work_group_size: 1
    .uses_dynamic_stack: false
    .vgpr_count:     0
    .vgpr_spill_count: 0
    .wavefront_size: 64
  - .agpr_count:     0
    .args:           []
    .group_segment_fixed_size: 0
    .kernarg_segment_align: 4
    .kernarg_segment_size: 0
    .language:       OpenCL C
    .language_version:
      - 2
      - 0
    .max_flat_workgroup_size: 1024
    .name:           _ZN7rocprim17ROCPRIM_400000_NS6detail44device_merge_sort_compile_time_verifier_archINS1_11comp_targetILNS1_3genE10ELNS1_11target_archE1201ELNS1_3gpuE5ELNS1_3repE0EEES8_NS0_14default_configES9_NS1_37merge_sort_block_sort_config_selectorIcNS0_10empty_typeEEENS1_38merge_sort_block_merge_config_selectorIcSB_EEEEvv
    .private_segment_fixed_size: 0
    .sgpr_count:     4
    .sgpr_spill_count: 0
    .symbol:         _ZN7rocprim17ROCPRIM_400000_NS6detail44device_merge_sort_compile_time_verifier_archINS1_11comp_targetILNS1_3genE10ELNS1_11target_archE1201ELNS1_3gpuE5ELNS1_3repE0EEES8_NS0_14default_configES9_NS1_37merge_sort_block_sort_config_selectorIcNS0_10empty_typeEEENS1_38merge_sort_block_merge_config_selectorIcSB_EEEEvv.kd
    .uniform_work_group_size: 1
    .uses_dynamic_stack: false
    .vgpr_count:     0
    .vgpr_spill_count: 0
    .wavefront_size: 64
  - .agpr_count:     0
    .args:           []
    .group_segment_fixed_size: 0
    .kernarg_segment_align: 4
    .kernarg_segment_size: 0
    .language:       OpenCL C
    .language_version:
      - 2
      - 0
    .max_flat_workgroup_size: 1024
    .name:           _ZN7rocprim17ROCPRIM_400000_NS6detail44device_merge_sort_compile_time_verifier_archINS1_11comp_targetILNS1_3genE10ELNS1_11target_archE1200ELNS1_3gpuE4ELNS1_3repE0EEENS3_ILS4_10ELS5_1201ELS6_5ELS7_0EEENS0_14default_configESA_NS1_37merge_sort_block_sort_config_selectorIcNS0_10empty_typeEEENS1_38merge_sort_block_merge_config_selectorIcSC_EEEEvv
    .private_segment_fixed_size: 0
    .sgpr_count:     4
    .sgpr_spill_count: 0
    .symbol:         _ZN7rocprim17ROCPRIM_400000_NS6detail44device_merge_sort_compile_time_verifier_archINS1_11comp_targetILNS1_3genE10ELNS1_11target_archE1200ELNS1_3gpuE4ELNS1_3repE0EEENS3_ILS4_10ELS5_1201ELS6_5ELS7_0EEENS0_14default_configESA_NS1_37merge_sort_block_sort_config_selectorIcNS0_10empty_typeEEENS1_38merge_sort_block_merge_config_selectorIcSC_EEEEvv.kd
    .uniform_work_group_size: 1
    .uses_dynamic_stack: false
    .vgpr_count:     0
    .vgpr_spill_count: 0
    .wavefront_size: 64
  - .agpr_count:     0
    .args:           []
    .group_segment_fixed_size: 0
    .kernarg_segment_align: 4
    .kernarg_segment_size: 0
    .language:       OpenCL C
    .language_version:
      - 2
      - 0
    .max_flat_workgroup_size: 1024
    .name:           _ZN7rocprim17ROCPRIM_400000_NS6detail44device_merge_sort_compile_time_verifier_archINS1_11comp_targetILNS1_3genE9ELNS1_11target_archE1100ELNS1_3gpuE3ELNS1_3repE0EEES8_NS0_14default_configES9_NS1_37merge_sort_block_sort_config_selectorIcNS0_10empty_typeEEENS1_38merge_sort_block_merge_config_selectorIcSB_EEEEvv
    .private_segment_fixed_size: 0
    .sgpr_count:     4
    .sgpr_spill_count: 0
    .symbol:         _ZN7rocprim17ROCPRIM_400000_NS6detail44device_merge_sort_compile_time_verifier_archINS1_11comp_targetILNS1_3genE9ELNS1_11target_archE1100ELNS1_3gpuE3ELNS1_3repE0EEES8_NS0_14default_configES9_NS1_37merge_sort_block_sort_config_selectorIcNS0_10empty_typeEEENS1_38merge_sort_block_merge_config_selectorIcSB_EEEEvv.kd
    .uniform_work_group_size: 1
    .uses_dynamic_stack: false
    .vgpr_count:     0
    .vgpr_spill_count: 0
    .wavefront_size: 64
  - .agpr_count:     0
    .args:           []
    .group_segment_fixed_size: 0
    .kernarg_segment_align: 4
    .kernarg_segment_size: 0
    .language:       OpenCL C
    .language_version:
      - 2
      - 0
    .max_flat_workgroup_size: 1024
    .name:           _ZN7rocprim17ROCPRIM_400000_NS6detail44device_merge_sort_compile_time_verifier_archINS1_11comp_targetILNS1_3genE8ELNS1_11target_archE1030ELNS1_3gpuE2ELNS1_3repE0EEES8_NS0_14default_configES9_NS1_37merge_sort_block_sort_config_selectorIcNS0_10empty_typeEEENS1_38merge_sort_block_merge_config_selectorIcSB_EEEEvv
    .private_segment_fixed_size: 0
    .sgpr_count:     4
    .sgpr_spill_count: 0
    .symbol:         _ZN7rocprim17ROCPRIM_400000_NS6detail44device_merge_sort_compile_time_verifier_archINS1_11comp_targetILNS1_3genE8ELNS1_11target_archE1030ELNS1_3gpuE2ELNS1_3repE0EEES8_NS0_14default_configES9_NS1_37merge_sort_block_sort_config_selectorIcNS0_10empty_typeEEENS1_38merge_sort_block_merge_config_selectorIcSB_EEEEvv.kd
    .uniform_work_group_size: 1
    .uses_dynamic_stack: false
    .vgpr_count:     0
    .vgpr_spill_count: 0
    .wavefront_size: 64
  - .agpr_count:     0
    .args:
      - .offset:         0
        .size:           64
        .value_kind:     by_value
    .group_segment_fixed_size: 0
    .kernarg_segment_align: 8
    .kernarg_segment_size: 64
    .language:       OpenCL C
    .language_version:
      - 2
      - 0
    .max_flat_workgroup_size: 256
    .name:           _ZN7rocprim17ROCPRIM_400000_NS6detail17trampoline_kernelINS0_14default_configENS1_37merge_sort_block_sort_config_selectorIcNS0_10empty_typeEEEZNS1_21merge_sort_block_sortIS3_N6thrust23THRUST_200600_302600_NS6detail15normal_iteratorINS9_10device_ptrIcEEEESE_PS5_SF_14custom_greaterIcEEE10hipError_tT0_T1_T2_T3_mRjT4_P12ihipStream_tbNS1_7vsmem_tEEUlT_E_NS1_11comp_targetILNS1_3genE0ELNS1_11target_archE4294967295ELNS1_3gpuE0ELNS1_3repE0EEENS1_30default_config_static_selectorELNS0_4arch9wavefront6targetE1EEEvSK_
    .private_segment_fixed_size: 0
    .sgpr_count:     4
    .sgpr_spill_count: 0
    .symbol:         _ZN7rocprim17ROCPRIM_400000_NS6detail17trampoline_kernelINS0_14default_configENS1_37merge_sort_block_sort_config_selectorIcNS0_10empty_typeEEEZNS1_21merge_sort_block_sortIS3_N6thrust23THRUST_200600_302600_NS6detail15normal_iteratorINS9_10device_ptrIcEEEESE_PS5_SF_14custom_greaterIcEEE10hipError_tT0_T1_T2_T3_mRjT4_P12ihipStream_tbNS1_7vsmem_tEEUlT_E_NS1_11comp_targetILNS1_3genE0ELNS1_11target_archE4294967295ELNS1_3gpuE0ELNS1_3repE0EEENS1_30default_config_static_selectorELNS0_4arch9wavefront6targetE1EEEvSK_.kd
    .uniform_work_group_size: 1
    .uses_dynamic_stack: false
    .vgpr_count:     0
    .vgpr_spill_count: 0
    .wavefront_size: 64
  - .agpr_count:     0
    .args:
      - .offset:         0
        .size:           64
        .value_kind:     by_value
    .group_segment_fixed_size: 0
    .kernarg_segment_align: 8
    .kernarg_segment_size: 64
    .language:       OpenCL C
    .language_version:
      - 2
      - 0
    .max_flat_workgroup_size: 256
    .name:           _ZN7rocprim17ROCPRIM_400000_NS6detail17trampoline_kernelINS0_14default_configENS1_37merge_sort_block_sort_config_selectorIcNS0_10empty_typeEEEZNS1_21merge_sort_block_sortIS3_N6thrust23THRUST_200600_302600_NS6detail15normal_iteratorINS9_10device_ptrIcEEEESE_PS5_SF_14custom_greaterIcEEE10hipError_tT0_T1_T2_T3_mRjT4_P12ihipStream_tbNS1_7vsmem_tEEUlT_E_NS1_11comp_targetILNS1_3genE5ELNS1_11target_archE942ELNS1_3gpuE9ELNS1_3repE0EEENS1_30default_config_static_selectorELNS0_4arch9wavefront6targetE1EEEvSK_
    .private_segment_fixed_size: 0
    .sgpr_count:     4
    .sgpr_spill_count: 0
    .symbol:         _ZN7rocprim17ROCPRIM_400000_NS6detail17trampoline_kernelINS0_14default_configENS1_37merge_sort_block_sort_config_selectorIcNS0_10empty_typeEEEZNS1_21merge_sort_block_sortIS3_N6thrust23THRUST_200600_302600_NS6detail15normal_iteratorINS9_10device_ptrIcEEEESE_PS5_SF_14custom_greaterIcEEE10hipError_tT0_T1_T2_T3_mRjT4_P12ihipStream_tbNS1_7vsmem_tEEUlT_E_NS1_11comp_targetILNS1_3genE5ELNS1_11target_archE942ELNS1_3gpuE9ELNS1_3repE0EEENS1_30default_config_static_selectorELNS0_4arch9wavefront6targetE1EEEvSK_.kd
    .uniform_work_group_size: 1
    .uses_dynamic_stack: false
    .vgpr_count:     0
    .vgpr_spill_count: 0
    .wavefront_size: 64
  - .agpr_count:     0
    .args:
      - .offset:         0
        .size:           64
        .value_kind:     by_value
      - .offset:         64
        .size:           4
        .value_kind:     hidden_block_count_x
      - .offset:         68
        .size:           4
        .value_kind:     hidden_block_count_y
      - .offset:         72
        .size:           4
        .value_kind:     hidden_block_count_z
      - .offset:         76
        .size:           2
        .value_kind:     hidden_group_size_x
      - .offset:         78
        .size:           2
        .value_kind:     hidden_group_size_y
      - .offset:         80
        .size:           2
        .value_kind:     hidden_group_size_z
      - .offset:         82
        .size:           2
        .value_kind:     hidden_remainder_x
      - .offset:         84
        .size:           2
        .value_kind:     hidden_remainder_y
      - .offset:         86
        .size:           2
        .value_kind:     hidden_remainder_z
      - .offset:         104
        .size:           8
        .value_kind:     hidden_global_offset_x
      - .offset:         112
        .size:           8
        .value_kind:     hidden_global_offset_y
      - .offset:         120
        .size:           8
        .value_kind:     hidden_global_offset_z
      - .offset:         128
        .size:           2
        .value_kind:     hidden_grid_dims
      - .offset:         144
        .size:           8
        .value_kind:     hidden_hostcall_buffer
      - .offset:         152
        .size:           8
        .value_kind:     hidden_multigrid_sync_arg
      - .offset:         160
        .size:           8
        .value_kind:     hidden_heap_v1
      - .offset:         168
        .size:           8
        .value_kind:     hidden_default_queue
      - .offset:         176
        .size:           8
        .value_kind:     hidden_completion_action
      - .offset:         264
        .size:           8
        .value_kind:     hidden_queue_ptr
    .group_segment_fixed_size: 8448
    .kernarg_segment_align: 8
    .kernarg_segment_size: 320
    .language:       OpenCL C
    .language_version:
      - 2
      - 0
    .max_flat_workgroup_size: 256
    .name:           _ZN7rocprim17ROCPRIM_400000_NS6detail17trampoline_kernelINS0_14default_configENS1_37merge_sort_block_sort_config_selectorIcNS0_10empty_typeEEEZNS1_21merge_sort_block_sortIS3_N6thrust23THRUST_200600_302600_NS6detail15normal_iteratorINS9_10device_ptrIcEEEESE_PS5_SF_14custom_greaterIcEEE10hipError_tT0_T1_T2_T3_mRjT4_P12ihipStream_tbNS1_7vsmem_tEEUlT_E_NS1_11comp_targetILNS1_3genE4ELNS1_11target_archE910ELNS1_3gpuE8ELNS1_3repE0EEENS1_30default_config_static_selectorELNS0_4arch9wavefront6targetE1EEEvSK_
    .private_segment_fixed_size: 16
    .sgpr_count:     106
    .sgpr_spill_count: 0
    .symbol:         _ZN7rocprim17ROCPRIM_400000_NS6detail17trampoline_kernelINS0_14default_configENS1_37merge_sort_block_sort_config_selectorIcNS0_10empty_typeEEEZNS1_21merge_sort_block_sortIS3_N6thrust23THRUST_200600_302600_NS6detail15normal_iteratorINS9_10device_ptrIcEEEESE_PS5_SF_14custom_greaterIcEEE10hipError_tT0_T1_T2_T3_mRjT4_P12ihipStream_tbNS1_7vsmem_tEEUlT_E_NS1_11comp_targetILNS1_3genE4ELNS1_11target_archE910ELNS1_3gpuE8ELNS1_3repE0EEENS1_30default_config_static_selectorELNS0_4arch9wavefront6targetE1EEEvSK_.kd
    .uniform_work_group_size: 1
    .uses_dynamic_stack: false
    .vgpr_count:     152
    .vgpr_spill_count: 0
    .wavefront_size: 64
  - .agpr_count:     0
    .args:
      - .offset:         0
        .size:           64
        .value_kind:     by_value
    .group_segment_fixed_size: 0
    .kernarg_segment_align: 8
    .kernarg_segment_size: 64
    .language:       OpenCL C
    .language_version:
      - 2
      - 0
    .max_flat_workgroup_size: 256
    .name:           _ZN7rocprim17ROCPRIM_400000_NS6detail17trampoline_kernelINS0_14default_configENS1_37merge_sort_block_sort_config_selectorIcNS0_10empty_typeEEEZNS1_21merge_sort_block_sortIS3_N6thrust23THRUST_200600_302600_NS6detail15normal_iteratorINS9_10device_ptrIcEEEESE_PS5_SF_14custom_greaterIcEEE10hipError_tT0_T1_T2_T3_mRjT4_P12ihipStream_tbNS1_7vsmem_tEEUlT_E_NS1_11comp_targetILNS1_3genE3ELNS1_11target_archE908ELNS1_3gpuE7ELNS1_3repE0EEENS1_30default_config_static_selectorELNS0_4arch9wavefront6targetE1EEEvSK_
    .private_segment_fixed_size: 0
    .sgpr_count:     4
    .sgpr_spill_count: 0
    .symbol:         _ZN7rocprim17ROCPRIM_400000_NS6detail17trampoline_kernelINS0_14default_configENS1_37merge_sort_block_sort_config_selectorIcNS0_10empty_typeEEEZNS1_21merge_sort_block_sortIS3_N6thrust23THRUST_200600_302600_NS6detail15normal_iteratorINS9_10device_ptrIcEEEESE_PS5_SF_14custom_greaterIcEEE10hipError_tT0_T1_T2_T3_mRjT4_P12ihipStream_tbNS1_7vsmem_tEEUlT_E_NS1_11comp_targetILNS1_3genE3ELNS1_11target_archE908ELNS1_3gpuE7ELNS1_3repE0EEENS1_30default_config_static_selectorELNS0_4arch9wavefront6targetE1EEEvSK_.kd
    .uniform_work_group_size: 1
    .uses_dynamic_stack: false
    .vgpr_count:     0
    .vgpr_spill_count: 0
    .wavefront_size: 64
  - .agpr_count:     0
    .args:
      - .offset:         0
        .size:           64
        .value_kind:     by_value
    .group_segment_fixed_size: 0
    .kernarg_segment_align: 8
    .kernarg_segment_size: 64
    .language:       OpenCL C
    .language_version:
      - 2
      - 0
    .max_flat_workgroup_size: 256
    .name:           _ZN7rocprim17ROCPRIM_400000_NS6detail17trampoline_kernelINS0_14default_configENS1_37merge_sort_block_sort_config_selectorIcNS0_10empty_typeEEEZNS1_21merge_sort_block_sortIS3_N6thrust23THRUST_200600_302600_NS6detail15normal_iteratorINS9_10device_ptrIcEEEESE_PS5_SF_14custom_greaterIcEEE10hipError_tT0_T1_T2_T3_mRjT4_P12ihipStream_tbNS1_7vsmem_tEEUlT_E_NS1_11comp_targetILNS1_3genE2ELNS1_11target_archE906ELNS1_3gpuE6ELNS1_3repE0EEENS1_30default_config_static_selectorELNS0_4arch9wavefront6targetE1EEEvSK_
    .private_segment_fixed_size: 0
    .sgpr_count:     4
    .sgpr_spill_count: 0
    .symbol:         _ZN7rocprim17ROCPRIM_400000_NS6detail17trampoline_kernelINS0_14default_configENS1_37merge_sort_block_sort_config_selectorIcNS0_10empty_typeEEEZNS1_21merge_sort_block_sortIS3_N6thrust23THRUST_200600_302600_NS6detail15normal_iteratorINS9_10device_ptrIcEEEESE_PS5_SF_14custom_greaterIcEEE10hipError_tT0_T1_T2_T3_mRjT4_P12ihipStream_tbNS1_7vsmem_tEEUlT_E_NS1_11comp_targetILNS1_3genE2ELNS1_11target_archE906ELNS1_3gpuE6ELNS1_3repE0EEENS1_30default_config_static_selectorELNS0_4arch9wavefront6targetE1EEEvSK_.kd
    .uniform_work_group_size: 1
    .uses_dynamic_stack: false
    .vgpr_count:     0
    .vgpr_spill_count: 0
    .wavefront_size: 64
  - .agpr_count:     0
    .args:
      - .offset:         0
        .size:           64
        .value_kind:     by_value
    .group_segment_fixed_size: 0
    .kernarg_segment_align: 8
    .kernarg_segment_size: 64
    .language:       OpenCL C
    .language_version:
      - 2
      - 0
    .max_flat_workgroup_size: 256
    .name:           _ZN7rocprim17ROCPRIM_400000_NS6detail17trampoline_kernelINS0_14default_configENS1_37merge_sort_block_sort_config_selectorIcNS0_10empty_typeEEEZNS1_21merge_sort_block_sortIS3_N6thrust23THRUST_200600_302600_NS6detail15normal_iteratorINS9_10device_ptrIcEEEESE_PS5_SF_14custom_greaterIcEEE10hipError_tT0_T1_T2_T3_mRjT4_P12ihipStream_tbNS1_7vsmem_tEEUlT_E_NS1_11comp_targetILNS1_3genE10ELNS1_11target_archE1201ELNS1_3gpuE5ELNS1_3repE0EEENS1_30default_config_static_selectorELNS0_4arch9wavefront6targetE1EEEvSK_
    .private_segment_fixed_size: 0
    .sgpr_count:     4
    .sgpr_spill_count: 0
    .symbol:         _ZN7rocprim17ROCPRIM_400000_NS6detail17trampoline_kernelINS0_14default_configENS1_37merge_sort_block_sort_config_selectorIcNS0_10empty_typeEEEZNS1_21merge_sort_block_sortIS3_N6thrust23THRUST_200600_302600_NS6detail15normal_iteratorINS9_10device_ptrIcEEEESE_PS5_SF_14custom_greaterIcEEE10hipError_tT0_T1_T2_T3_mRjT4_P12ihipStream_tbNS1_7vsmem_tEEUlT_E_NS1_11comp_targetILNS1_3genE10ELNS1_11target_archE1201ELNS1_3gpuE5ELNS1_3repE0EEENS1_30default_config_static_selectorELNS0_4arch9wavefront6targetE1EEEvSK_.kd
    .uniform_work_group_size: 1
    .uses_dynamic_stack: false
    .vgpr_count:     0
    .vgpr_spill_count: 0
    .wavefront_size: 64
  - .agpr_count:     0
    .args:
      - .offset:         0
        .size:           64
        .value_kind:     by_value
    .group_segment_fixed_size: 0
    .kernarg_segment_align: 8
    .kernarg_segment_size: 64
    .language:       OpenCL C
    .language_version:
      - 2
      - 0
    .max_flat_workgroup_size: 256
    .name:           _ZN7rocprim17ROCPRIM_400000_NS6detail17trampoline_kernelINS0_14default_configENS1_37merge_sort_block_sort_config_selectorIcNS0_10empty_typeEEEZNS1_21merge_sort_block_sortIS3_N6thrust23THRUST_200600_302600_NS6detail15normal_iteratorINS9_10device_ptrIcEEEESE_PS5_SF_14custom_greaterIcEEE10hipError_tT0_T1_T2_T3_mRjT4_P12ihipStream_tbNS1_7vsmem_tEEUlT_E_NS1_11comp_targetILNS1_3genE10ELNS1_11target_archE1200ELNS1_3gpuE4ELNS1_3repE0EEENS1_30default_config_static_selectorELNS0_4arch9wavefront6targetE1EEEvSK_
    .private_segment_fixed_size: 0
    .sgpr_count:     4
    .sgpr_spill_count: 0
    .symbol:         _ZN7rocprim17ROCPRIM_400000_NS6detail17trampoline_kernelINS0_14default_configENS1_37merge_sort_block_sort_config_selectorIcNS0_10empty_typeEEEZNS1_21merge_sort_block_sortIS3_N6thrust23THRUST_200600_302600_NS6detail15normal_iteratorINS9_10device_ptrIcEEEESE_PS5_SF_14custom_greaterIcEEE10hipError_tT0_T1_T2_T3_mRjT4_P12ihipStream_tbNS1_7vsmem_tEEUlT_E_NS1_11comp_targetILNS1_3genE10ELNS1_11target_archE1200ELNS1_3gpuE4ELNS1_3repE0EEENS1_30default_config_static_selectorELNS0_4arch9wavefront6targetE1EEEvSK_.kd
    .uniform_work_group_size: 1
    .uses_dynamic_stack: false
    .vgpr_count:     0
    .vgpr_spill_count: 0
    .wavefront_size: 64
  - .agpr_count:     0
    .args:
      - .offset:         0
        .size:           64
        .value_kind:     by_value
    .group_segment_fixed_size: 0
    .kernarg_segment_align: 8
    .kernarg_segment_size: 64
    .language:       OpenCL C
    .language_version:
      - 2
      - 0
    .max_flat_workgroup_size: 256
    .name:           _ZN7rocprim17ROCPRIM_400000_NS6detail17trampoline_kernelINS0_14default_configENS1_37merge_sort_block_sort_config_selectorIcNS0_10empty_typeEEEZNS1_21merge_sort_block_sortIS3_N6thrust23THRUST_200600_302600_NS6detail15normal_iteratorINS9_10device_ptrIcEEEESE_PS5_SF_14custom_greaterIcEEE10hipError_tT0_T1_T2_T3_mRjT4_P12ihipStream_tbNS1_7vsmem_tEEUlT_E_NS1_11comp_targetILNS1_3genE9ELNS1_11target_archE1100ELNS1_3gpuE3ELNS1_3repE0EEENS1_30default_config_static_selectorELNS0_4arch9wavefront6targetE1EEEvSK_
    .private_segment_fixed_size: 0
    .sgpr_count:     4
    .sgpr_spill_count: 0
    .symbol:         _ZN7rocprim17ROCPRIM_400000_NS6detail17trampoline_kernelINS0_14default_configENS1_37merge_sort_block_sort_config_selectorIcNS0_10empty_typeEEEZNS1_21merge_sort_block_sortIS3_N6thrust23THRUST_200600_302600_NS6detail15normal_iteratorINS9_10device_ptrIcEEEESE_PS5_SF_14custom_greaterIcEEE10hipError_tT0_T1_T2_T3_mRjT4_P12ihipStream_tbNS1_7vsmem_tEEUlT_E_NS1_11comp_targetILNS1_3genE9ELNS1_11target_archE1100ELNS1_3gpuE3ELNS1_3repE0EEENS1_30default_config_static_selectorELNS0_4arch9wavefront6targetE1EEEvSK_.kd
    .uniform_work_group_size: 1
    .uses_dynamic_stack: false
    .vgpr_count:     0
    .vgpr_spill_count: 0
    .wavefront_size: 64
  - .agpr_count:     0
    .args:
      - .offset:         0
        .size:           64
        .value_kind:     by_value
    .group_segment_fixed_size: 0
    .kernarg_segment_align: 8
    .kernarg_segment_size: 64
    .language:       OpenCL C
    .language_version:
      - 2
      - 0
    .max_flat_workgroup_size: 256
    .name:           _ZN7rocprim17ROCPRIM_400000_NS6detail17trampoline_kernelINS0_14default_configENS1_37merge_sort_block_sort_config_selectorIcNS0_10empty_typeEEEZNS1_21merge_sort_block_sortIS3_N6thrust23THRUST_200600_302600_NS6detail15normal_iteratorINS9_10device_ptrIcEEEESE_PS5_SF_14custom_greaterIcEEE10hipError_tT0_T1_T2_T3_mRjT4_P12ihipStream_tbNS1_7vsmem_tEEUlT_E_NS1_11comp_targetILNS1_3genE8ELNS1_11target_archE1030ELNS1_3gpuE2ELNS1_3repE0EEENS1_30default_config_static_selectorELNS0_4arch9wavefront6targetE1EEEvSK_
    .private_segment_fixed_size: 0
    .sgpr_count:     4
    .sgpr_spill_count: 0
    .symbol:         _ZN7rocprim17ROCPRIM_400000_NS6detail17trampoline_kernelINS0_14default_configENS1_37merge_sort_block_sort_config_selectorIcNS0_10empty_typeEEEZNS1_21merge_sort_block_sortIS3_N6thrust23THRUST_200600_302600_NS6detail15normal_iteratorINS9_10device_ptrIcEEEESE_PS5_SF_14custom_greaterIcEEE10hipError_tT0_T1_T2_T3_mRjT4_P12ihipStream_tbNS1_7vsmem_tEEUlT_E_NS1_11comp_targetILNS1_3genE8ELNS1_11target_archE1030ELNS1_3gpuE2ELNS1_3repE0EEENS1_30default_config_static_selectorELNS0_4arch9wavefront6targetE1EEEvSK_.kd
    .uniform_work_group_size: 1
    .uses_dynamic_stack: false
    .vgpr_count:     0
    .vgpr_spill_count: 0
    .wavefront_size: 64
  - .agpr_count:     0
    .args:
      - .offset:         0
        .size:           48
        .value_kind:     by_value
    .group_segment_fixed_size: 0
    .kernarg_segment_align: 8
    .kernarg_segment_size: 48
    .language:       OpenCL C
    .language_version:
      - 2
      - 0
    .max_flat_workgroup_size: 128
    .name:           _ZN7rocprim17ROCPRIM_400000_NS6detail17trampoline_kernelINS0_14default_configENS1_38merge_sort_block_merge_config_selectorIcNS0_10empty_typeEEEZZNS1_27merge_sort_block_merge_implIS3_N6thrust23THRUST_200600_302600_NS6detail15normal_iteratorINS9_10device_ptrIcEEEEPS5_m14custom_greaterIcEEE10hipError_tT0_T1_T2_jT3_P12ihipStream_tbPNSt15iterator_traitsISJ_E10value_typeEPNSP_ISK_E10value_typeEPSL_NS1_7vsmem_tEENKUlT_SJ_SK_SL_E_clIPcSE_SF_SF_EESI_SY_SJ_SK_SL_EUlSY_E_NS1_11comp_targetILNS1_3genE0ELNS1_11target_archE4294967295ELNS1_3gpuE0ELNS1_3repE0EEENS1_48merge_mergepath_partition_config_static_selectorELNS0_4arch9wavefront6targetE1EEEvSK_
    .private_segment_fixed_size: 0
    .sgpr_count:     4
    .sgpr_spill_count: 0
    .symbol:         _ZN7rocprim17ROCPRIM_400000_NS6detail17trampoline_kernelINS0_14default_configENS1_38merge_sort_block_merge_config_selectorIcNS0_10empty_typeEEEZZNS1_27merge_sort_block_merge_implIS3_N6thrust23THRUST_200600_302600_NS6detail15normal_iteratorINS9_10device_ptrIcEEEEPS5_m14custom_greaterIcEEE10hipError_tT0_T1_T2_jT3_P12ihipStream_tbPNSt15iterator_traitsISJ_E10value_typeEPNSP_ISK_E10value_typeEPSL_NS1_7vsmem_tEENKUlT_SJ_SK_SL_E_clIPcSE_SF_SF_EESI_SY_SJ_SK_SL_EUlSY_E_NS1_11comp_targetILNS1_3genE0ELNS1_11target_archE4294967295ELNS1_3gpuE0ELNS1_3repE0EEENS1_48merge_mergepath_partition_config_static_selectorELNS0_4arch9wavefront6targetE1EEEvSK_.kd
    .uniform_work_group_size: 1
    .uses_dynamic_stack: false
    .vgpr_count:     0
    .vgpr_spill_count: 0
    .wavefront_size: 64
  - .agpr_count:     0
    .args:
      - .offset:         0
        .size:           48
        .value_kind:     by_value
    .group_segment_fixed_size: 0
    .kernarg_segment_align: 8
    .kernarg_segment_size: 48
    .language:       OpenCL C
    .language_version:
      - 2
      - 0
    .max_flat_workgroup_size: 128
    .name:           _ZN7rocprim17ROCPRIM_400000_NS6detail17trampoline_kernelINS0_14default_configENS1_38merge_sort_block_merge_config_selectorIcNS0_10empty_typeEEEZZNS1_27merge_sort_block_merge_implIS3_N6thrust23THRUST_200600_302600_NS6detail15normal_iteratorINS9_10device_ptrIcEEEEPS5_m14custom_greaterIcEEE10hipError_tT0_T1_T2_jT3_P12ihipStream_tbPNSt15iterator_traitsISJ_E10value_typeEPNSP_ISK_E10value_typeEPSL_NS1_7vsmem_tEENKUlT_SJ_SK_SL_E_clIPcSE_SF_SF_EESI_SY_SJ_SK_SL_EUlSY_E_NS1_11comp_targetILNS1_3genE10ELNS1_11target_archE1201ELNS1_3gpuE5ELNS1_3repE0EEENS1_48merge_mergepath_partition_config_static_selectorELNS0_4arch9wavefront6targetE1EEEvSK_
    .private_segment_fixed_size: 0
    .sgpr_count:     4
    .sgpr_spill_count: 0
    .symbol:         _ZN7rocprim17ROCPRIM_400000_NS6detail17trampoline_kernelINS0_14default_configENS1_38merge_sort_block_merge_config_selectorIcNS0_10empty_typeEEEZZNS1_27merge_sort_block_merge_implIS3_N6thrust23THRUST_200600_302600_NS6detail15normal_iteratorINS9_10device_ptrIcEEEEPS5_m14custom_greaterIcEEE10hipError_tT0_T1_T2_jT3_P12ihipStream_tbPNSt15iterator_traitsISJ_E10value_typeEPNSP_ISK_E10value_typeEPSL_NS1_7vsmem_tEENKUlT_SJ_SK_SL_E_clIPcSE_SF_SF_EESI_SY_SJ_SK_SL_EUlSY_E_NS1_11comp_targetILNS1_3genE10ELNS1_11target_archE1201ELNS1_3gpuE5ELNS1_3repE0EEENS1_48merge_mergepath_partition_config_static_selectorELNS0_4arch9wavefront6targetE1EEEvSK_.kd
    .uniform_work_group_size: 1
    .uses_dynamic_stack: false
    .vgpr_count:     0
    .vgpr_spill_count: 0
    .wavefront_size: 64
  - .agpr_count:     0
    .args:
      - .offset:         0
        .size:           48
        .value_kind:     by_value
    .group_segment_fixed_size: 0
    .kernarg_segment_align: 8
    .kernarg_segment_size: 48
    .language:       OpenCL C
    .language_version:
      - 2
      - 0
    .max_flat_workgroup_size: 128
    .name:           _ZN7rocprim17ROCPRIM_400000_NS6detail17trampoline_kernelINS0_14default_configENS1_38merge_sort_block_merge_config_selectorIcNS0_10empty_typeEEEZZNS1_27merge_sort_block_merge_implIS3_N6thrust23THRUST_200600_302600_NS6detail15normal_iteratorINS9_10device_ptrIcEEEEPS5_m14custom_greaterIcEEE10hipError_tT0_T1_T2_jT3_P12ihipStream_tbPNSt15iterator_traitsISJ_E10value_typeEPNSP_ISK_E10value_typeEPSL_NS1_7vsmem_tEENKUlT_SJ_SK_SL_E_clIPcSE_SF_SF_EESI_SY_SJ_SK_SL_EUlSY_E_NS1_11comp_targetILNS1_3genE5ELNS1_11target_archE942ELNS1_3gpuE9ELNS1_3repE0EEENS1_48merge_mergepath_partition_config_static_selectorELNS0_4arch9wavefront6targetE1EEEvSK_
    .private_segment_fixed_size: 0
    .sgpr_count:     4
    .sgpr_spill_count: 0
    .symbol:         _ZN7rocprim17ROCPRIM_400000_NS6detail17trampoline_kernelINS0_14default_configENS1_38merge_sort_block_merge_config_selectorIcNS0_10empty_typeEEEZZNS1_27merge_sort_block_merge_implIS3_N6thrust23THRUST_200600_302600_NS6detail15normal_iteratorINS9_10device_ptrIcEEEEPS5_m14custom_greaterIcEEE10hipError_tT0_T1_T2_jT3_P12ihipStream_tbPNSt15iterator_traitsISJ_E10value_typeEPNSP_ISK_E10value_typeEPSL_NS1_7vsmem_tEENKUlT_SJ_SK_SL_E_clIPcSE_SF_SF_EESI_SY_SJ_SK_SL_EUlSY_E_NS1_11comp_targetILNS1_3genE5ELNS1_11target_archE942ELNS1_3gpuE9ELNS1_3repE0EEENS1_48merge_mergepath_partition_config_static_selectorELNS0_4arch9wavefront6targetE1EEEvSK_.kd
    .uniform_work_group_size: 1
    .uses_dynamic_stack: false
    .vgpr_count:     0
    .vgpr_spill_count: 0
    .wavefront_size: 64
  - .agpr_count:     0
    .args:
      - .offset:         0
        .size:           48
        .value_kind:     by_value
    .group_segment_fixed_size: 0
    .kernarg_segment_align: 8
    .kernarg_segment_size: 48
    .language:       OpenCL C
    .language_version:
      - 2
      - 0
    .max_flat_workgroup_size: 128
    .name:           _ZN7rocprim17ROCPRIM_400000_NS6detail17trampoline_kernelINS0_14default_configENS1_38merge_sort_block_merge_config_selectorIcNS0_10empty_typeEEEZZNS1_27merge_sort_block_merge_implIS3_N6thrust23THRUST_200600_302600_NS6detail15normal_iteratorINS9_10device_ptrIcEEEEPS5_m14custom_greaterIcEEE10hipError_tT0_T1_T2_jT3_P12ihipStream_tbPNSt15iterator_traitsISJ_E10value_typeEPNSP_ISK_E10value_typeEPSL_NS1_7vsmem_tEENKUlT_SJ_SK_SL_E_clIPcSE_SF_SF_EESI_SY_SJ_SK_SL_EUlSY_E_NS1_11comp_targetILNS1_3genE4ELNS1_11target_archE910ELNS1_3gpuE8ELNS1_3repE0EEENS1_48merge_mergepath_partition_config_static_selectorELNS0_4arch9wavefront6targetE1EEEvSK_
    .private_segment_fixed_size: 0
    .sgpr_count:     12
    .sgpr_spill_count: 0
    .symbol:         _ZN7rocprim17ROCPRIM_400000_NS6detail17trampoline_kernelINS0_14default_configENS1_38merge_sort_block_merge_config_selectorIcNS0_10empty_typeEEEZZNS1_27merge_sort_block_merge_implIS3_N6thrust23THRUST_200600_302600_NS6detail15normal_iteratorINS9_10device_ptrIcEEEEPS5_m14custom_greaterIcEEE10hipError_tT0_T1_T2_jT3_P12ihipStream_tbPNSt15iterator_traitsISJ_E10value_typeEPNSP_ISK_E10value_typeEPSL_NS1_7vsmem_tEENKUlT_SJ_SK_SL_E_clIPcSE_SF_SF_EESI_SY_SJ_SK_SL_EUlSY_E_NS1_11comp_targetILNS1_3genE4ELNS1_11target_archE910ELNS1_3gpuE8ELNS1_3repE0EEENS1_48merge_mergepath_partition_config_static_selectorELNS0_4arch9wavefront6targetE1EEEvSK_.kd
    .uniform_work_group_size: 1
    .uses_dynamic_stack: false
    .vgpr_count:     19
    .vgpr_spill_count: 0
    .wavefront_size: 64
  - .agpr_count:     0
    .args:
      - .offset:         0
        .size:           48
        .value_kind:     by_value
    .group_segment_fixed_size: 0
    .kernarg_segment_align: 8
    .kernarg_segment_size: 48
    .language:       OpenCL C
    .language_version:
      - 2
      - 0
    .max_flat_workgroup_size: 128
    .name:           _ZN7rocprim17ROCPRIM_400000_NS6detail17trampoline_kernelINS0_14default_configENS1_38merge_sort_block_merge_config_selectorIcNS0_10empty_typeEEEZZNS1_27merge_sort_block_merge_implIS3_N6thrust23THRUST_200600_302600_NS6detail15normal_iteratorINS9_10device_ptrIcEEEEPS5_m14custom_greaterIcEEE10hipError_tT0_T1_T2_jT3_P12ihipStream_tbPNSt15iterator_traitsISJ_E10value_typeEPNSP_ISK_E10value_typeEPSL_NS1_7vsmem_tEENKUlT_SJ_SK_SL_E_clIPcSE_SF_SF_EESI_SY_SJ_SK_SL_EUlSY_E_NS1_11comp_targetILNS1_3genE3ELNS1_11target_archE908ELNS1_3gpuE7ELNS1_3repE0EEENS1_48merge_mergepath_partition_config_static_selectorELNS0_4arch9wavefront6targetE1EEEvSK_
    .private_segment_fixed_size: 0
    .sgpr_count:     4
    .sgpr_spill_count: 0
    .symbol:         _ZN7rocprim17ROCPRIM_400000_NS6detail17trampoline_kernelINS0_14default_configENS1_38merge_sort_block_merge_config_selectorIcNS0_10empty_typeEEEZZNS1_27merge_sort_block_merge_implIS3_N6thrust23THRUST_200600_302600_NS6detail15normal_iteratorINS9_10device_ptrIcEEEEPS5_m14custom_greaterIcEEE10hipError_tT0_T1_T2_jT3_P12ihipStream_tbPNSt15iterator_traitsISJ_E10value_typeEPNSP_ISK_E10value_typeEPSL_NS1_7vsmem_tEENKUlT_SJ_SK_SL_E_clIPcSE_SF_SF_EESI_SY_SJ_SK_SL_EUlSY_E_NS1_11comp_targetILNS1_3genE3ELNS1_11target_archE908ELNS1_3gpuE7ELNS1_3repE0EEENS1_48merge_mergepath_partition_config_static_selectorELNS0_4arch9wavefront6targetE1EEEvSK_.kd
    .uniform_work_group_size: 1
    .uses_dynamic_stack: false
    .vgpr_count:     0
    .vgpr_spill_count: 0
    .wavefront_size: 64
  - .agpr_count:     0
    .args:
      - .offset:         0
        .size:           48
        .value_kind:     by_value
    .group_segment_fixed_size: 0
    .kernarg_segment_align: 8
    .kernarg_segment_size: 48
    .language:       OpenCL C
    .language_version:
      - 2
      - 0
    .max_flat_workgroup_size: 128
    .name:           _ZN7rocprim17ROCPRIM_400000_NS6detail17trampoline_kernelINS0_14default_configENS1_38merge_sort_block_merge_config_selectorIcNS0_10empty_typeEEEZZNS1_27merge_sort_block_merge_implIS3_N6thrust23THRUST_200600_302600_NS6detail15normal_iteratorINS9_10device_ptrIcEEEEPS5_m14custom_greaterIcEEE10hipError_tT0_T1_T2_jT3_P12ihipStream_tbPNSt15iterator_traitsISJ_E10value_typeEPNSP_ISK_E10value_typeEPSL_NS1_7vsmem_tEENKUlT_SJ_SK_SL_E_clIPcSE_SF_SF_EESI_SY_SJ_SK_SL_EUlSY_E_NS1_11comp_targetILNS1_3genE2ELNS1_11target_archE906ELNS1_3gpuE6ELNS1_3repE0EEENS1_48merge_mergepath_partition_config_static_selectorELNS0_4arch9wavefront6targetE1EEEvSK_
    .private_segment_fixed_size: 0
    .sgpr_count:     4
    .sgpr_spill_count: 0
    .symbol:         _ZN7rocprim17ROCPRIM_400000_NS6detail17trampoline_kernelINS0_14default_configENS1_38merge_sort_block_merge_config_selectorIcNS0_10empty_typeEEEZZNS1_27merge_sort_block_merge_implIS3_N6thrust23THRUST_200600_302600_NS6detail15normal_iteratorINS9_10device_ptrIcEEEEPS5_m14custom_greaterIcEEE10hipError_tT0_T1_T2_jT3_P12ihipStream_tbPNSt15iterator_traitsISJ_E10value_typeEPNSP_ISK_E10value_typeEPSL_NS1_7vsmem_tEENKUlT_SJ_SK_SL_E_clIPcSE_SF_SF_EESI_SY_SJ_SK_SL_EUlSY_E_NS1_11comp_targetILNS1_3genE2ELNS1_11target_archE906ELNS1_3gpuE6ELNS1_3repE0EEENS1_48merge_mergepath_partition_config_static_selectorELNS0_4arch9wavefront6targetE1EEEvSK_.kd
    .uniform_work_group_size: 1
    .uses_dynamic_stack: false
    .vgpr_count:     0
    .vgpr_spill_count: 0
    .wavefront_size: 64
  - .agpr_count:     0
    .args:
      - .offset:         0
        .size:           48
        .value_kind:     by_value
    .group_segment_fixed_size: 0
    .kernarg_segment_align: 8
    .kernarg_segment_size: 48
    .language:       OpenCL C
    .language_version:
      - 2
      - 0
    .max_flat_workgroup_size: 128
    .name:           _ZN7rocprim17ROCPRIM_400000_NS6detail17trampoline_kernelINS0_14default_configENS1_38merge_sort_block_merge_config_selectorIcNS0_10empty_typeEEEZZNS1_27merge_sort_block_merge_implIS3_N6thrust23THRUST_200600_302600_NS6detail15normal_iteratorINS9_10device_ptrIcEEEEPS5_m14custom_greaterIcEEE10hipError_tT0_T1_T2_jT3_P12ihipStream_tbPNSt15iterator_traitsISJ_E10value_typeEPNSP_ISK_E10value_typeEPSL_NS1_7vsmem_tEENKUlT_SJ_SK_SL_E_clIPcSE_SF_SF_EESI_SY_SJ_SK_SL_EUlSY_E_NS1_11comp_targetILNS1_3genE9ELNS1_11target_archE1100ELNS1_3gpuE3ELNS1_3repE0EEENS1_48merge_mergepath_partition_config_static_selectorELNS0_4arch9wavefront6targetE1EEEvSK_
    .private_segment_fixed_size: 0
    .sgpr_count:     4
    .sgpr_spill_count: 0
    .symbol:         _ZN7rocprim17ROCPRIM_400000_NS6detail17trampoline_kernelINS0_14default_configENS1_38merge_sort_block_merge_config_selectorIcNS0_10empty_typeEEEZZNS1_27merge_sort_block_merge_implIS3_N6thrust23THRUST_200600_302600_NS6detail15normal_iteratorINS9_10device_ptrIcEEEEPS5_m14custom_greaterIcEEE10hipError_tT0_T1_T2_jT3_P12ihipStream_tbPNSt15iterator_traitsISJ_E10value_typeEPNSP_ISK_E10value_typeEPSL_NS1_7vsmem_tEENKUlT_SJ_SK_SL_E_clIPcSE_SF_SF_EESI_SY_SJ_SK_SL_EUlSY_E_NS1_11comp_targetILNS1_3genE9ELNS1_11target_archE1100ELNS1_3gpuE3ELNS1_3repE0EEENS1_48merge_mergepath_partition_config_static_selectorELNS0_4arch9wavefront6targetE1EEEvSK_.kd
    .uniform_work_group_size: 1
    .uses_dynamic_stack: false
    .vgpr_count:     0
    .vgpr_spill_count: 0
    .wavefront_size: 64
  - .agpr_count:     0
    .args:
      - .offset:         0
        .size:           48
        .value_kind:     by_value
    .group_segment_fixed_size: 0
    .kernarg_segment_align: 8
    .kernarg_segment_size: 48
    .language:       OpenCL C
    .language_version:
      - 2
      - 0
    .max_flat_workgroup_size: 128
    .name:           _ZN7rocprim17ROCPRIM_400000_NS6detail17trampoline_kernelINS0_14default_configENS1_38merge_sort_block_merge_config_selectorIcNS0_10empty_typeEEEZZNS1_27merge_sort_block_merge_implIS3_N6thrust23THRUST_200600_302600_NS6detail15normal_iteratorINS9_10device_ptrIcEEEEPS5_m14custom_greaterIcEEE10hipError_tT0_T1_T2_jT3_P12ihipStream_tbPNSt15iterator_traitsISJ_E10value_typeEPNSP_ISK_E10value_typeEPSL_NS1_7vsmem_tEENKUlT_SJ_SK_SL_E_clIPcSE_SF_SF_EESI_SY_SJ_SK_SL_EUlSY_E_NS1_11comp_targetILNS1_3genE8ELNS1_11target_archE1030ELNS1_3gpuE2ELNS1_3repE0EEENS1_48merge_mergepath_partition_config_static_selectorELNS0_4arch9wavefront6targetE1EEEvSK_
    .private_segment_fixed_size: 0
    .sgpr_count:     4
    .sgpr_spill_count: 0
    .symbol:         _ZN7rocprim17ROCPRIM_400000_NS6detail17trampoline_kernelINS0_14default_configENS1_38merge_sort_block_merge_config_selectorIcNS0_10empty_typeEEEZZNS1_27merge_sort_block_merge_implIS3_N6thrust23THRUST_200600_302600_NS6detail15normal_iteratorINS9_10device_ptrIcEEEEPS5_m14custom_greaterIcEEE10hipError_tT0_T1_T2_jT3_P12ihipStream_tbPNSt15iterator_traitsISJ_E10value_typeEPNSP_ISK_E10value_typeEPSL_NS1_7vsmem_tEENKUlT_SJ_SK_SL_E_clIPcSE_SF_SF_EESI_SY_SJ_SK_SL_EUlSY_E_NS1_11comp_targetILNS1_3genE8ELNS1_11target_archE1030ELNS1_3gpuE2ELNS1_3repE0EEENS1_48merge_mergepath_partition_config_static_selectorELNS0_4arch9wavefront6targetE1EEEvSK_.kd
    .uniform_work_group_size: 1
    .uses_dynamic_stack: false
    .vgpr_count:     0
    .vgpr_spill_count: 0
    .wavefront_size: 64
  - .agpr_count:     0
    .args:
      - .offset:         0
        .size:           72
        .value_kind:     by_value
    .group_segment_fixed_size: 0
    .kernarg_segment_align: 8
    .kernarg_segment_size: 72
    .language:       OpenCL C
    .language_version:
      - 2
      - 0
    .max_flat_workgroup_size: 128
    .name:           _ZN7rocprim17ROCPRIM_400000_NS6detail17trampoline_kernelINS0_14default_configENS1_38merge_sort_block_merge_config_selectorIcNS0_10empty_typeEEEZZNS1_27merge_sort_block_merge_implIS3_N6thrust23THRUST_200600_302600_NS6detail15normal_iteratorINS9_10device_ptrIcEEEEPS5_m14custom_greaterIcEEE10hipError_tT0_T1_T2_jT3_P12ihipStream_tbPNSt15iterator_traitsISJ_E10value_typeEPNSP_ISK_E10value_typeEPSL_NS1_7vsmem_tEENKUlT_SJ_SK_SL_E_clIPcSE_SF_SF_EESI_SY_SJ_SK_SL_EUlSY_E0_NS1_11comp_targetILNS1_3genE0ELNS1_11target_archE4294967295ELNS1_3gpuE0ELNS1_3repE0EEENS1_38merge_mergepath_config_static_selectorELNS0_4arch9wavefront6targetE1EEEvSK_
    .private_segment_fixed_size: 0
    .sgpr_count:     4
    .sgpr_spill_count: 0
    .symbol:         _ZN7rocprim17ROCPRIM_400000_NS6detail17trampoline_kernelINS0_14default_configENS1_38merge_sort_block_merge_config_selectorIcNS0_10empty_typeEEEZZNS1_27merge_sort_block_merge_implIS3_N6thrust23THRUST_200600_302600_NS6detail15normal_iteratorINS9_10device_ptrIcEEEEPS5_m14custom_greaterIcEEE10hipError_tT0_T1_T2_jT3_P12ihipStream_tbPNSt15iterator_traitsISJ_E10value_typeEPNSP_ISK_E10value_typeEPSL_NS1_7vsmem_tEENKUlT_SJ_SK_SL_E_clIPcSE_SF_SF_EESI_SY_SJ_SK_SL_EUlSY_E0_NS1_11comp_targetILNS1_3genE0ELNS1_11target_archE4294967295ELNS1_3gpuE0ELNS1_3repE0EEENS1_38merge_mergepath_config_static_selectorELNS0_4arch9wavefront6targetE1EEEvSK_.kd
    .uniform_work_group_size: 1
    .uses_dynamic_stack: false
    .vgpr_count:     0
    .vgpr_spill_count: 0
    .wavefront_size: 64
  - .agpr_count:     0
    .args:
      - .offset:         0
        .size:           72
        .value_kind:     by_value
    .group_segment_fixed_size: 0
    .kernarg_segment_align: 8
    .kernarg_segment_size: 72
    .language:       OpenCL C
    .language_version:
      - 2
      - 0
    .max_flat_workgroup_size: 128
    .name:           _ZN7rocprim17ROCPRIM_400000_NS6detail17trampoline_kernelINS0_14default_configENS1_38merge_sort_block_merge_config_selectorIcNS0_10empty_typeEEEZZNS1_27merge_sort_block_merge_implIS3_N6thrust23THRUST_200600_302600_NS6detail15normal_iteratorINS9_10device_ptrIcEEEEPS5_m14custom_greaterIcEEE10hipError_tT0_T1_T2_jT3_P12ihipStream_tbPNSt15iterator_traitsISJ_E10value_typeEPNSP_ISK_E10value_typeEPSL_NS1_7vsmem_tEENKUlT_SJ_SK_SL_E_clIPcSE_SF_SF_EESI_SY_SJ_SK_SL_EUlSY_E0_NS1_11comp_targetILNS1_3genE10ELNS1_11target_archE1201ELNS1_3gpuE5ELNS1_3repE0EEENS1_38merge_mergepath_config_static_selectorELNS0_4arch9wavefront6targetE1EEEvSK_
    .private_segment_fixed_size: 0
    .sgpr_count:     4
    .sgpr_spill_count: 0
    .symbol:         _ZN7rocprim17ROCPRIM_400000_NS6detail17trampoline_kernelINS0_14default_configENS1_38merge_sort_block_merge_config_selectorIcNS0_10empty_typeEEEZZNS1_27merge_sort_block_merge_implIS3_N6thrust23THRUST_200600_302600_NS6detail15normal_iteratorINS9_10device_ptrIcEEEEPS5_m14custom_greaterIcEEE10hipError_tT0_T1_T2_jT3_P12ihipStream_tbPNSt15iterator_traitsISJ_E10value_typeEPNSP_ISK_E10value_typeEPSL_NS1_7vsmem_tEENKUlT_SJ_SK_SL_E_clIPcSE_SF_SF_EESI_SY_SJ_SK_SL_EUlSY_E0_NS1_11comp_targetILNS1_3genE10ELNS1_11target_archE1201ELNS1_3gpuE5ELNS1_3repE0EEENS1_38merge_mergepath_config_static_selectorELNS0_4arch9wavefront6targetE1EEEvSK_.kd
    .uniform_work_group_size: 1
    .uses_dynamic_stack: false
    .vgpr_count:     0
    .vgpr_spill_count: 0
    .wavefront_size: 64
  - .agpr_count:     0
    .args:
      - .offset:         0
        .size:           72
        .value_kind:     by_value
    .group_segment_fixed_size: 0
    .kernarg_segment_align: 8
    .kernarg_segment_size: 72
    .language:       OpenCL C
    .language_version:
      - 2
      - 0
    .max_flat_workgroup_size: 128
    .name:           _ZN7rocprim17ROCPRIM_400000_NS6detail17trampoline_kernelINS0_14default_configENS1_38merge_sort_block_merge_config_selectorIcNS0_10empty_typeEEEZZNS1_27merge_sort_block_merge_implIS3_N6thrust23THRUST_200600_302600_NS6detail15normal_iteratorINS9_10device_ptrIcEEEEPS5_m14custom_greaterIcEEE10hipError_tT0_T1_T2_jT3_P12ihipStream_tbPNSt15iterator_traitsISJ_E10value_typeEPNSP_ISK_E10value_typeEPSL_NS1_7vsmem_tEENKUlT_SJ_SK_SL_E_clIPcSE_SF_SF_EESI_SY_SJ_SK_SL_EUlSY_E0_NS1_11comp_targetILNS1_3genE5ELNS1_11target_archE942ELNS1_3gpuE9ELNS1_3repE0EEENS1_38merge_mergepath_config_static_selectorELNS0_4arch9wavefront6targetE1EEEvSK_
    .private_segment_fixed_size: 0
    .sgpr_count:     4
    .sgpr_spill_count: 0
    .symbol:         _ZN7rocprim17ROCPRIM_400000_NS6detail17trampoline_kernelINS0_14default_configENS1_38merge_sort_block_merge_config_selectorIcNS0_10empty_typeEEEZZNS1_27merge_sort_block_merge_implIS3_N6thrust23THRUST_200600_302600_NS6detail15normal_iteratorINS9_10device_ptrIcEEEEPS5_m14custom_greaterIcEEE10hipError_tT0_T1_T2_jT3_P12ihipStream_tbPNSt15iterator_traitsISJ_E10value_typeEPNSP_ISK_E10value_typeEPSL_NS1_7vsmem_tEENKUlT_SJ_SK_SL_E_clIPcSE_SF_SF_EESI_SY_SJ_SK_SL_EUlSY_E0_NS1_11comp_targetILNS1_3genE5ELNS1_11target_archE942ELNS1_3gpuE9ELNS1_3repE0EEENS1_38merge_mergepath_config_static_selectorELNS0_4arch9wavefront6targetE1EEEvSK_.kd
    .uniform_work_group_size: 1
    .uses_dynamic_stack: false
    .vgpr_count:     0
    .vgpr_spill_count: 0
    .wavefront_size: 64
  - .agpr_count:     0
    .args:
      - .offset:         0
        .size:           72
        .value_kind:     by_value
      - .offset:         72
        .size:           4
        .value_kind:     hidden_block_count_x
      - .offset:         76
        .size:           4
        .value_kind:     hidden_block_count_y
      - .offset:         80
        .size:           4
        .value_kind:     hidden_block_count_z
      - .offset:         84
        .size:           2
        .value_kind:     hidden_group_size_x
      - .offset:         86
        .size:           2
        .value_kind:     hidden_group_size_y
      - .offset:         88
        .size:           2
        .value_kind:     hidden_group_size_z
      - .offset:         90
        .size:           2
        .value_kind:     hidden_remainder_x
      - .offset:         92
        .size:           2
        .value_kind:     hidden_remainder_y
      - .offset:         94
        .size:           2
        .value_kind:     hidden_remainder_z
      - .offset:         112
        .size:           8
        .value_kind:     hidden_global_offset_x
      - .offset:         120
        .size:           8
        .value_kind:     hidden_global_offset_y
      - .offset:         128
        .size:           8
        .value_kind:     hidden_global_offset_z
      - .offset:         136
        .size:           2
        .value_kind:     hidden_grid_dims
    .group_segment_fixed_size: 1056
    .kernarg_segment_align: 8
    .kernarg_segment_size: 328
    .language:       OpenCL C
    .language_version:
      - 2
      - 0
    .max_flat_workgroup_size: 128
    .name:           _ZN7rocprim17ROCPRIM_400000_NS6detail17trampoline_kernelINS0_14default_configENS1_38merge_sort_block_merge_config_selectorIcNS0_10empty_typeEEEZZNS1_27merge_sort_block_merge_implIS3_N6thrust23THRUST_200600_302600_NS6detail15normal_iteratorINS9_10device_ptrIcEEEEPS5_m14custom_greaterIcEEE10hipError_tT0_T1_T2_jT3_P12ihipStream_tbPNSt15iterator_traitsISJ_E10value_typeEPNSP_ISK_E10value_typeEPSL_NS1_7vsmem_tEENKUlT_SJ_SK_SL_E_clIPcSE_SF_SF_EESI_SY_SJ_SK_SL_EUlSY_E0_NS1_11comp_targetILNS1_3genE4ELNS1_11target_archE910ELNS1_3gpuE8ELNS1_3repE0EEENS1_38merge_mergepath_config_static_selectorELNS0_4arch9wavefront6targetE1EEEvSK_
    .private_segment_fixed_size: 0
    .sgpr_count:     35
    .sgpr_spill_count: 0
    .symbol:         _ZN7rocprim17ROCPRIM_400000_NS6detail17trampoline_kernelINS0_14default_configENS1_38merge_sort_block_merge_config_selectorIcNS0_10empty_typeEEEZZNS1_27merge_sort_block_merge_implIS3_N6thrust23THRUST_200600_302600_NS6detail15normal_iteratorINS9_10device_ptrIcEEEEPS5_m14custom_greaterIcEEE10hipError_tT0_T1_T2_jT3_P12ihipStream_tbPNSt15iterator_traitsISJ_E10value_typeEPNSP_ISK_E10value_typeEPSL_NS1_7vsmem_tEENKUlT_SJ_SK_SL_E_clIPcSE_SF_SF_EESI_SY_SJ_SK_SL_EUlSY_E0_NS1_11comp_targetILNS1_3genE4ELNS1_11target_archE910ELNS1_3gpuE8ELNS1_3repE0EEENS1_38merge_mergepath_config_static_selectorELNS0_4arch9wavefront6targetE1EEEvSK_.kd
    .uniform_work_group_size: 1
    .uses_dynamic_stack: false
    .vgpr_count:     28
    .vgpr_spill_count: 0
    .wavefront_size: 64
  - .agpr_count:     0
    .args:
      - .offset:         0
        .size:           72
        .value_kind:     by_value
    .group_segment_fixed_size: 0
    .kernarg_segment_align: 8
    .kernarg_segment_size: 72
    .language:       OpenCL C
    .language_version:
      - 2
      - 0
    .max_flat_workgroup_size: 128
    .name:           _ZN7rocprim17ROCPRIM_400000_NS6detail17trampoline_kernelINS0_14default_configENS1_38merge_sort_block_merge_config_selectorIcNS0_10empty_typeEEEZZNS1_27merge_sort_block_merge_implIS3_N6thrust23THRUST_200600_302600_NS6detail15normal_iteratorINS9_10device_ptrIcEEEEPS5_m14custom_greaterIcEEE10hipError_tT0_T1_T2_jT3_P12ihipStream_tbPNSt15iterator_traitsISJ_E10value_typeEPNSP_ISK_E10value_typeEPSL_NS1_7vsmem_tEENKUlT_SJ_SK_SL_E_clIPcSE_SF_SF_EESI_SY_SJ_SK_SL_EUlSY_E0_NS1_11comp_targetILNS1_3genE3ELNS1_11target_archE908ELNS1_3gpuE7ELNS1_3repE0EEENS1_38merge_mergepath_config_static_selectorELNS0_4arch9wavefront6targetE1EEEvSK_
    .private_segment_fixed_size: 0
    .sgpr_count:     4
    .sgpr_spill_count: 0
    .symbol:         _ZN7rocprim17ROCPRIM_400000_NS6detail17trampoline_kernelINS0_14default_configENS1_38merge_sort_block_merge_config_selectorIcNS0_10empty_typeEEEZZNS1_27merge_sort_block_merge_implIS3_N6thrust23THRUST_200600_302600_NS6detail15normal_iteratorINS9_10device_ptrIcEEEEPS5_m14custom_greaterIcEEE10hipError_tT0_T1_T2_jT3_P12ihipStream_tbPNSt15iterator_traitsISJ_E10value_typeEPNSP_ISK_E10value_typeEPSL_NS1_7vsmem_tEENKUlT_SJ_SK_SL_E_clIPcSE_SF_SF_EESI_SY_SJ_SK_SL_EUlSY_E0_NS1_11comp_targetILNS1_3genE3ELNS1_11target_archE908ELNS1_3gpuE7ELNS1_3repE0EEENS1_38merge_mergepath_config_static_selectorELNS0_4arch9wavefront6targetE1EEEvSK_.kd
    .uniform_work_group_size: 1
    .uses_dynamic_stack: false
    .vgpr_count:     0
    .vgpr_spill_count: 0
    .wavefront_size: 64
  - .agpr_count:     0
    .args:
      - .offset:         0
        .size:           72
        .value_kind:     by_value
    .group_segment_fixed_size: 0
    .kernarg_segment_align: 8
    .kernarg_segment_size: 72
    .language:       OpenCL C
    .language_version:
      - 2
      - 0
    .max_flat_workgroup_size: 128
    .name:           _ZN7rocprim17ROCPRIM_400000_NS6detail17trampoline_kernelINS0_14default_configENS1_38merge_sort_block_merge_config_selectorIcNS0_10empty_typeEEEZZNS1_27merge_sort_block_merge_implIS3_N6thrust23THRUST_200600_302600_NS6detail15normal_iteratorINS9_10device_ptrIcEEEEPS5_m14custom_greaterIcEEE10hipError_tT0_T1_T2_jT3_P12ihipStream_tbPNSt15iterator_traitsISJ_E10value_typeEPNSP_ISK_E10value_typeEPSL_NS1_7vsmem_tEENKUlT_SJ_SK_SL_E_clIPcSE_SF_SF_EESI_SY_SJ_SK_SL_EUlSY_E0_NS1_11comp_targetILNS1_3genE2ELNS1_11target_archE906ELNS1_3gpuE6ELNS1_3repE0EEENS1_38merge_mergepath_config_static_selectorELNS0_4arch9wavefront6targetE1EEEvSK_
    .private_segment_fixed_size: 0
    .sgpr_count:     4
    .sgpr_spill_count: 0
    .symbol:         _ZN7rocprim17ROCPRIM_400000_NS6detail17trampoline_kernelINS0_14default_configENS1_38merge_sort_block_merge_config_selectorIcNS0_10empty_typeEEEZZNS1_27merge_sort_block_merge_implIS3_N6thrust23THRUST_200600_302600_NS6detail15normal_iteratorINS9_10device_ptrIcEEEEPS5_m14custom_greaterIcEEE10hipError_tT0_T1_T2_jT3_P12ihipStream_tbPNSt15iterator_traitsISJ_E10value_typeEPNSP_ISK_E10value_typeEPSL_NS1_7vsmem_tEENKUlT_SJ_SK_SL_E_clIPcSE_SF_SF_EESI_SY_SJ_SK_SL_EUlSY_E0_NS1_11comp_targetILNS1_3genE2ELNS1_11target_archE906ELNS1_3gpuE6ELNS1_3repE0EEENS1_38merge_mergepath_config_static_selectorELNS0_4arch9wavefront6targetE1EEEvSK_.kd
    .uniform_work_group_size: 1
    .uses_dynamic_stack: false
    .vgpr_count:     0
    .vgpr_spill_count: 0
    .wavefront_size: 64
  - .agpr_count:     0
    .args:
      - .offset:         0
        .size:           72
        .value_kind:     by_value
    .group_segment_fixed_size: 0
    .kernarg_segment_align: 8
    .kernarg_segment_size: 72
    .language:       OpenCL C
    .language_version:
      - 2
      - 0
    .max_flat_workgroup_size: 128
    .name:           _ZN7rocprim17ROCPRIM_400000_NS6detail17trampoline_kernelINS0_14default_configENS1_38merge_sort_block_merge_config_selectorIcNS0_10empty_typeEEEZZNS1_27merge_sort_block_merge_implIS3_N6thrust23THRUST_200600_302600_NS6detail15normal_iteratorINS9_10device_ptrIcEEEEPS5_m14custom_greaterIcEEE10hipError_tT0_T1_T2_jT3_P12ihipStream_tbPNSt15iterator_traitsISJ_E10value_typeEPNSP_ISK_E10value_typeEPSL_NS1_7vsmem_tEENKUlT_SJ_SK_SL_E_clIPcSE_SF_SF_EESI_SY_SJ_SK_SL_EUlSY_E0_NS1_11comp_targetILNS1_3genE9ELNS1_11target_archE1100ELNS1_3gpuE3ELNS1_3repE0EEENS1_38merge_mergepath_config_static_selectorELNS0_4arch9wavefront6targetE1EEEvSK_
    .private_segment_fixed_size: 0
    .sgpr_count:     4
    .sgpr_spill_count: 0
    .symbol:         _ZN7rocprim17ROCPRIM_400000_NS6detail17trampoline_kernelINS0_14default_configENS1_38merge_sort_block_merge_config_selectorIcNS0_10empty_typeEEEZZNS1_27merge_sort_block_merge_implIS3_N6thrust23THRUST_200600_302600_NS6detail15normal_iteratorINS9_10device_ptrIcEEEEPS5_m14custom_greaterIcEEE10hipError_tT0_T1_T2_jT3_P12ihipStream_tbPNSt15iterator_traitsISJ_E10value_typeEPNSP_ISK_E10value_typeEPSL_NS1_7vsmem_tEENKUlT_SJ_SK_SL_E_clIPcSE_SF_SF_EESI_SY_SJ_SK_SL_EUlSY_E0_NS1_11comp_targetILNS1_3genE9ELNS1_11target_archE1100ELNS1_3gpuE3ELNS1_3repE0EEENS1_38merge_mergepath_config_static_selectorELNS0_4arch9wavefront6targetE1EEEvSK_.kd
    .uniform_work_group_size: 1
    .uses_dynamic_stack: false
    .vgpr_count:     0
    .vgpr_spill_count: 0
    .wavefront_size: 64
  - .agpr_count:     0
    .args:
      - .offset:         0
        .size:           72
        .value_kind:     by_value
    .group_segment_fixed_size: 0
    .kernarg_segment_align: 8
    .kernarg_segment_size: 72
    .language:       OpenCL C
    .language_version:
      - 2
      - 0
    .max_flat_workgroup_size: 128
    .name:           _ZN7rocprim17ROCPRIM_400000_NS6detail17trampoline_kernelINS0_14default_configENS1_38merge_sort_block_merge_config_selectorIcNS0_10empty_typeEEEZZNS1_27merge_sort_block_merge_implIS3_N6thrust23THRUST_200600_302600_NS6detail15normal_iteratorINS9_10device_ptrIcEEEEPS5_m14custom_greaterIcEEE10hipError_tT0_T1_T2_jT3_P12ihipStream_tbPNSt15iterator_traitsISJ_E10value_typeEPNSP_ISK_E10value_typeEPSL_NS1_7vsmem_tEENKUlT_SJ_SK_SL_E_clIPcSE_SF_SF_EESI_SY_SJ_SK_SL_EUlSY_E0_NS1_11comp_targetILNS1_3genE8ELNS1_11target_archE1030ELNS1_3gpuE2ELNS1_3repE0EEENS1_38merge_mergepath_config_static_selectorELNS0_4arch9wavefront6targetE1EEEvSK_
    .private_segment_fixed_size: 0
    .sgpr_count:     4
    .sgpr_spill_count: 0
    .symbol:         _ZN7rocprim17ROCPRIM_400000_NS6detail17trampoline_kernelINS0_14default_configENS1_38merge_sort_block_merge_config_selectorIcNS0_10empty_typeEEEZZNS1_27merge_sort_block_merge_implIS3_N6thrust23THRUST_200600_302600_NS6detail15normal_iteratorINS9_10device_ptrIcEEEEPS5_m14custom_greaterIcEEE10hipError_tT0_T1_T2_jT3_P12ihipStream_tbPNSt15iterator_traitsISJ_E10value_typeEPNSP_ISK_E10value_typeEPSL_NS1_7vsmem_tEENKUlT_SJ_SK_SL_E_clIPcSE_SF_SF_EESI_SY_SJ_SK_SL_EUlSY_E0_NS1_11comp_targetILNS1_3genE8ELNS1_11target_archE1030ELNS1_3gpuE2ELNS1_3repE0EEENS1_38merge_mergepath_config_static_selectorELNS0_4arch9wavefront6targetE1EEEvSK_.kd
    .uniform_work_group_size: 1
    .uses_dynamic_stack: false
    .vgpr_count:     0
    .vgpr_spill_count: 0
    .wavefront_size: 64
  - .agpr_count:     0
    .args:
      - .offset:         0
        .size:           56
        .value_kind:     by_value
    .group_segment_fixed_size: 0
    .kernarg_segment_align: 8
    .kernarg_segment_size: 56
    .language:       OpenCL C
    .language_version:
      - 2
      - 0
    .max_flat_workgroup_size: 256
    .name:           _ZN7rocprim17ROCPRIM_400000_NS6detail17trampoline_kernelINS0_14default_configENS1_38merge_sort_block_merge_config_selectorIcNS0_10empty_typeEEEZZNS1_27merge_sort_block_merge_implIS3_N6thrust23THRUST_200600_302600_NS6detail15normal_iteratorINS9_10device_ptrIcEEEEPS5_m14custom_greaterIcEEE10hipError_tT0_T1_T2_jT3_P12ihipStream_tbPNSt15iterator_traitsISJ_E10value_typeEPNSP_ISK_E10value_typeEPSL_NS1_7vsmem_tEENKUlT_SJ_SK_SL_E_clIPcSE_SF_SF_EESI_SY_SJ_SK_SL_EUlSY_E1_NS1_11comp_targetILNS1_3genE0ELNS1_11target_archE4294967295ELNS1_3gpuE0ELNS1_3repE0EEENS1_36merge_oddeven_config_static_selectorELNS0_4arch9wavefront6targetE1EEEvSK_
    .private_segment_fixed_size: 0
    .sgpr_count:     4
    .sgpr_spill_count: 0
    .symbol:         _ZN7rocprim17ROCPRIM_400000_NS6detail17trampoline_kernelINS0_14default_configENS1_38merge_sort_block_merge_config_selectorIcNS0_10empty_typeEEEZZNS1_27merge_sort_block_merge_implIS3_N6thrust23THRUST_200600_302600_NS6detail15normal_iteratorINS9_10device_ptrIcEEEEPS5_m14custom_greaterIcEEE10hipError_tT0_T1_T2_jT3_P12ihipStream_tbPNSt15iterator_traitsISJ_E10value_typeEPNSP_ISK_E10value_typeEPSL_NS1_7vsmem_tEENKUlT_SJ_SK_SL_E_clIPcSE_SF_SF_EESI_SY_SJ_SK_SL_EUlSY_E1_NS1_11comp_targetILNS1_3genE0ELNS1_11target_archE4294967295ELNS1_3gpuE0ELNS1_3repE0EEENS1_36merge_oddeven_config_static_selectorELNS0_4arch9wavefront6targetE1EEEvSK_.kd
    .uniform_work_group_size: 1
    .uses_dynamic_stack: false
    .vgpr_count:     0
    .vgpr_spill_count: 0
    .wavefront_size: 64
  - .agpr_count:     0
    .args:
      - .offset:         0
        .size:           56
        .value_kind:     by_value
    .group_segment_fixed_size: 0
    .kernarg_segment_align: 8
    .kernarg_segment_size: 56
    .language:       OpenCL C
    .language_version:
      - 2
      - 0
    .max_flat_workgroup_size: 256
    .name:           _ZN7rocprim17ROCPRIM_400000_NS6detail17trampoline_kernelINS0_14default_configENS1_38merge_sort_block_merge_config_selectorIcNS0_10empty_typeEEEZZNS1_27merge_sort_block_merge_implIS3_N6thrust23THRUST_200600_302600_NS6detail15normal_iteratorINS9_10device_ptrIcEEEEPS5_m14custom_greaterIcEEE10hipError_tT0_T1_T2_jT3_P12ihipStream_tbPNSt15iterator_traitsISJ_E10value_typeEPNSP_ISK_E10value_typeEPSL_NS1_7vsmem_tEENKUlT_SJ_SK_SL_E_clIPcSE_SF_SF_EESI_SY_SJ_SK_SL_EUlSY_E1_NS1_11comp_targetILNS1_3genE10ELNS1_11target_archE1201ELNS1_3gpuE5ELNS1_3repE0EEENS1_36merge_oddeven_config_static_selectorELNS0_4arch9wavefront6targetE1EEEvSK_
    .private_segment_fixed_size: 0
    .sgpr_count:     4
    .sgpr_spill_count: 0
    .symbol:         _ZN7rocprim17ROCPRIM_400000_NS6detail17trampoline_kernelINS0_14default_configENS1_38merge_sort_block_merge_config_selectorIcNS0_10empty_typeEEEZZNS1_27merge_sort_block_merge_implIS3_N6thrust23THRUST_200600_302600_NS6detail15normal_iteratorINS9_10device_ptrIcEEEEPS5_m14custom_greaterIcEEE10hipError_tT0_T1_T2_jT3_P12ihipStream_tbPNSt15iterator_traitsISJ_E10value_typeEPNSP_ISK_E10value_typeEPSL_NS1_7vsmem_tEENKUlT_SJ_SK_SL_E_clIPcSE_SF_SF_EESI_SY_SJ_SK_SL_EUlSY_E1_NS1_11comp_targetILNS1_3genE10ELNS1_11target_archE1201ELNS1_3gpuE5ELNS1_3repE0EEENS1_36merge_oddeven_config_static_selectorELNS0_4arch9wavefront6targetE1EEEvSK_.kd
    .uniform_work_group_size: 1
    .uses_dynamic_stack: false
    .vgpr_count:     0
    .vgpr_spill_count: 0
    .wavefront_size: 64
  - .agpr_count:     0
    .args:
      - .offset:         0
        .size:           56
        .value_kind:     by_value
    .group_segment_fixed_size: 0
    .kernarg_segment_align: 8
    .kernarg_segment_size: 56
    .language:       OpenCL C
    .language_version:
      - 2
      - 0
    .max_flat_workgroup_size: 256
    .name:           _ZN7rocprim17ROCPRIM_400000_NS6detail17trampoline_kernelINS0_14default_configENS1_38merge_sort_block_merge_config_selectorIcNS0_10empty_typeEEEZZNS1_27merge_sort_block_merge_implIS3_N6thrust23THRUST_200600_302600_NS6detail15normal_iteratorINS9_10device_ptrIcEEEEPS5_m14custom_greaterIcEEE10hipError_tT0_T1_T2_jT3_P12ihipStream_tbPNSt15iterator_traitsISJ_E10value_typeEPNSP_ISK_E10value_typeEPSL_NS1_7vsmem_tEENKUlT_SJ_SK_SL_E_clIPcSE_SF_SF_EESI_SY_SJ_SK_SL_EUlSY_E1_NS1_11comp_targetILNS1_3genE5ELNS1_11target_archE942ELNS1_3gpuE9ELNS1_3repE0EEENS1_36merge_oddeven_config_static_selectorELNS0_4arch9wavefront6targetE1EEEvSK_
    .private_segment_fixed_size: 0
    .sgpr_count:     4
    .sgpr_spill_count: 0
    .symbol:         _ZN7rocprim17ROCPRIM_400000_NS6detail17trampoline_kernelINS0_14default_configENS1_38merge_sort_block_merge_config_selectorIcNS0_10empty_typeEEEZZNS1_27merge_sort_block_merge_implIS3_N6thrust23THRUST_200600_302600_NS6detail15normal_iteratorINS9_10device_ptrIcEEEEPS5_m14custom_greaterIcEEE10hipError_tT0_T1_T2_jT3_P12ihipStream_tbPNSt15iterator_traitsISJ_E10value_typeEPNSP_ISK_E10value_typeEPSL_NS1_7vsmem_tEENKUlT_SJ_SK_SL_E_clIPcSE_SF_SF_EESI_SY_SJ_SK_SL_EUlSY_E1_NS1_11comp_targetILNS1_3genE5ELNS1_11target_archE942ELNS1_3gpuE9ELNS1_3repE0EEENS1_36merge_oddeven_config_static_selectorELNS0_4arch9wavefront6targetE1EEEvSK_.kd
    .uniform_work_group_size: 1
    .uses_dynamic_stack: false
    .vgpr_count:     0
    .vgpr_spill_count: 0
    .wavefront_size: 64
  - .agpr_count:     0
    .args:
      - .offset:         0
        .size:           56
        .value_kind:     by_value
    .group_segment_fixed_size: 0
    .kernarg_segment_align: 8
    .kernarg_segment_size: 56
    .language:       OpenCL C
    .language_version:
      - 2
      - 0
    .max_flat_workgroup_size: 256
    .name:           _ZN7rocprim17ROCPRIM_400000_NS6detail17trampoline_kernelINS0_14default_configENS1_38merge_sort_block_merge_config_selectorIcNS0_10empty_typeEEEZZNS1_27merge_sort_block_merge_implIS3_N6thrust23THRUST_200600_302600_NS6detail15normal_iteratorINS9_10device_ptrIcEEEEPS5_m14custom_greaterIcEEE10hipError_tT0_T1_T2_jT3_P12ihipStream_tbPNSt15iterator_traitsISJ_E10value_typeEPNSP_ISK_E10value_typeEPSL_NS1_7vsmem_tEENKUlT_SJ_SK_SL_E_clIPcSE_SF_SF_EESI_SY_SJ_SK_SL_EUlSY_E1_NS1_11comp_targetILNS1_3genE4ELNS1_11target_archE910ELNS1_3gpuE8ELNS1_3repE0EEENS1_36merge_oddeven_config_static_selectorELNS0_4arch9wavefront6targetE1EEEvSK_
    .private_segment_fixed_size: 0
    .sgpr_count:     24
    .sgpr_spill_count: 0
    .symbol:         _ZN7rocprim17ROCPRIM_400000_NS6detail17trampoline_kernelINS0_14default_configENS1_38merge_sort_block_merge_config_selectorIcNS0_10empty_typeEEEZZNS1_27merge_sort_block_merge_implIS3_N6thrust23THRUST_200600_302600_NS6detail15normal_iteratorINS9_10device_ptrIcEEEEPS5_m14custom_greaterIcEEE10hipError_tT0_T1_T2_jT3_P12ihipStream_tbPNSt15iterator_traitsISJ_E10value_typeEPNSP_ISK_E10value_typeEPSL_NS1_7vsmem_tEENKUlT_SJ_SK_SL_E_clIPcSE_SF_SF_EESI_SY_SJ_SK_SL_EUlSY_E1_NS1_11comp_targetILNS1_3genE4ELNS1_11target_archE910ELNS1_3gpuE8ELNS1_3repE0EEENS1_36merge_oddeven_config_static_selectorELNS0_4arch9wavefront6targetE1EEEvSK_.kd
    .uniform_work_group_size: 1
    .uses_dynamic_stack: false
    .vgpr_count:     8
    .vgpr_spill_count: 0
    .wavefront_size: 64
  - .agpr_count:     0
    .args:
      - .offset:         0
        .size:           56
        .value_kind:     by_value
    .group_segment_fixed_size: 0
    .kernarg_segment_align: 8
    .kernarg_segment_size: 56
    .language:       OpenCL C
    .language_version:
      - 2
      - 0
    .max_flat_workgroup_size: 256
    .name:           _ZN7rocprim17ROCPRIM_400000_NS6detail17trampoline_kernelINS0_14default_configENS1_38merge_sort_block_merge_config_selectorIcNS0_10empty_typeEEEZZNS1_27merge_sort_block_merge_implIS3_N6thrust23THRUST_200600_302600_NS6detail15normal_iteratorINS9_10device_ptrIcEEEEPS5_m14custom_greaterIcEEE10hipError_tT0_T1_T2_jT3_P12ihipStream_tbPNSt15iterator_traitsISJ_E10value_typeEPNSP_ISK_E10value_typeEPSL_NS1_7vsmem_tEENKUlT_SJ_SK_SL_E_clIPcSE_SF_SF_EESI_SY_SJ_SK_SL_EUlSY_E1_NS1_11comp_targetILNS1_3genE3ELNS1_11target_archE908ELNS1_3gpuE7ELNS1_3repE0EEENS1_36merge_oddeven_config_static_selectorELNS0_4arch9wavefront6targetE1EEEvSK_
    .private_segment_fixed_size: 0
    .sgpr_count:     4
    .sgpr_spill_count: 0
    .symbol:         _ZN7rocprim17ROCPRIM_400000_NS6detail17trampoline_kernelINS0_14default_configENS1_38merge_sort_block_merge_config_selectorIcNS0_10empty_typeEEEZZNS1_27merge_sort_block_merge_implIS3_N6thrust23THRUST_200600_302600_NS6detail15normal_iteratorINS9_10device_ptrIcEEEEPS5_m14custom_greaterIcEEE10hipError_tT0_T1_T2_jT3_P12ihipStream_tbPNSt15iterator_traitsISJ_E10value_typeEPNSP_ISK_E10value_typeEPSL_NS1_7vsmem_tEENKUlT_SJ_SK_SL_E_clIPcSE_SF_SF_EESI_SY_SJ_SK_SL_EUlSY_E1_NS1_11comp_targetILNS1_3genE3ELNS1_11target_archE908ELNS1_3gpuE7ELNS1_3repE0EEENS1_36merge_oddeven_config_static_selectorELNS0_4arch9wavefront6targetE1EEEvSK_.kd
    .uniform_work_group_size: 1
    .uses_dynamic_stack: false
    .vgpr_count:     0
    .vgpr_spill_count: 0
    .wavefront_size: 64
  - .agpr_count:     0
    .args:
      - .offset:         0
        .size:           56
        .value_kind:     by_value
    .group_segment_fixed_size: 0
    .kernarg_segment_align: 8
    .kernarg_segment_size: 56
    .language:       OpenCL C
    .language_version:
      - 2
      - 0
    .max_flat_workgroup_size: 256
    .name:           _ZN7rocprim17ROCPRIM_400000_NS6detail17trampoline_kernelINS0_14default_configENS1_38merge_sort_block_merge_config_selectorIcNS0_10empty_typeEEEZZNS1_27merge_sort_block_merge_implIS3_N6thrust23THRUST_200600_302600_NS6detail15normal_iteratorINS9_10device_ptrIcEEEEPS5_m14custom_greaterIcEEE10hipError_tT0_T1_T2_jT3_P12ihipStream_tbPNSt15iterator_traitsISJ_E10value_typeEPNSP_ISK_E10value_typeEPSL_NS1_7vsmem_tEENKUlT_SJ_SK_SL_E_clIPcSE_SF_SF_EESI_SY_SJ_SK_SL_EUlSY_E1_NS1_11comp_targetILNS1_3genE2ELNS1_11target_archE906ELNS1_3gpuE6ELNS1_3repE0EEENS1_36merge_oddeven_config_static_selectorELNS0_4arch9wavefront6targetE1EEEvSK_
    .private_segment_fixed_size: 0
    .sgpr_count:     4
    .sgpr_spill_count: 0
    .symbol:         _ZN7rocprim17ROCPRIM_400000_NS6detail17trampoline_kernelINS0_14default_configENS1_38merge_sort_block_merge_config_selectorIcNS0_10empty_typeEEEZZNS1_27merge_sort_block_merge_implIS3_N6thrust23THRUST_200600_302600_NS6detail15normal_iteratorINS9_10device_ptrIcEEEEPS5_m14custom_greaterIcEEE10hipError_tT0_T1_T2_jT3_P12ihipStream_tbPNSt15iterator_traitsISJ_E10value_typeEPNSP_ISK_E10value_typeEPSL_NS1_7vsmem_tEENKUlT_SJ_SK_SL_E_clIPcSE_SF_SF_EESI_SY_SJ_SK_SL_EUlSY_E1_NS1_11comp_targetILNS1_3genE2ELNS1_11target_archE906ELNS1_3gpuE6ELNS1_3repE0EEENS1_36merge_oddeven_config_static_selectorELNS0_4arch9wavefront6targetE1EEEvSK_.kd
    .uniform_work_group_size: 1
    .uses_dynamic_stack: false
    .vgpr_count:     0
    .vgpr_spill_count: 0
    .wavefront_size: 64
  - .agpr_count:     0
    .args:
      - .offset:         0
        .size:           56
        .value_kind:     by_value
    .group_segment_fixed_size: 0
    .kernarg_segment_align: 8
    .kernarg_segment_size: 56
    .language:       OpenCL C
    .language_version:
      - 2
      - 0
    .max_flat_workgroup_size: 256
    .name:           _ZN7rocprim17ROCPRIM_400000_NS6detail17trampoline_kernelINS0_14default_configENS1_38merge_sort_block_merge_config_selectorIcNS0_10empty_typeEEEZZNS1_27merge_sort_block_merge_implIS3_N6thrust23THRUST_200600_302600_NS6detail15normal_iteratorINS9_10device_ptrIcEEEEPS5_m14custom_greaterIcEEE10hipError_tT0_T1_T2_jT3_P12ihipStream_tbPNSt15iterator_traitsISJ_E10value_typeEPNSP_ISK_E10value_typeEPSL_NS1_7vsmem_tEENKUlT_SJ_SK_SL_E_clIPcSE_SF_SF_EESI_SY_SJ_SK_SL_EUlSY_E1_NS1_11comp_targetILNS1_3genE9ELNS1_11target_archE1100ELNS1_3gpuE3ELNS1_3repE0EEENS1_36merge_oddeven_config_static_selectorELNS0_4arch9wavefront6targetE1EEEvSK_
    .private_segment_fixed_size: 0
    .sgpr_count:     4
    .sgpr_spill_count: 0
    .symbol:         _ZN7rocprim17ROCPRIM_400000_NS6detail17trampoline_kernelINS0_14default_configENS1_38merge_sort_block_merge_config_selectorIcNS0_10empty_typeEEEZZNS1_27merge_sort_block_merge_implIS3_N6thrust23THRUST_200600_302600_NS6detail15normal_iteratorINS9_10device_ptrIcEEEEPS5_m14custom_greaterIcEEE10hipError_tT0_T1_T2_jT3_P12ihipStream_tbPNSt15iterator_traitsISJ_E10value_typeEPNSP_ISK_E10value_typeEPSL_NS1_7vsmem_tEENKUlT_SJ_SK_SL_E_clIPcSE_SF_SF_EESI_SY_SJ_SK_SL_EUlSY_E1_NS1_11comp_targetILNS1_3genE9ELNS1_11target_archE1100ELNS1_3gpuE3ELNS1_3repE0EEENS1_36merge_oddeven_config_static_selectorELNS0_4arch9wavefront6targetE1EEEvSK_.kd
    .uniform_work_group_size: 1
    .uses_dynamic_stack: false
    .vgpr_count:     0
    .vgpr_spill_count: 0
    .wavefront_size: 64
  - .agpr_count:     0
    .args:
      - .offset:         0
        .size:           56
        .value_kind:     by_value
    .group_segment_fixed_size: 0
    .kernarg_segment_align: 8
    .kernarg_segment_size: 56
    .language:       OpenCL C
    .language_version:
      - 2
      - 0
    .max_flat_workgroup_size: 256
    .name:           _ZN7rocprim17ROCPRIM_400000_NS6detail17trampoline_kernelINS0_14default_configENS1_38merge_sort_block_merge_config_selectorIcNS0_10empty_typeEEEZZNS1_27merge_sort_block_merge_implIS3_N6thrust23THRUST_200600_302600_NS6detail15normal_iteratorINS9_10device_ptrIcEEEEPS5_m14custom_greaterIcEEE10hipError_tT0_T1_T2_jT3_P12ihipStream_tbPNSt15iterator_traitsISJ_E10value_typeEPNSP_ISK_E10value_typeEPSL_NS1_7vsmem_tEENKUlT_SJ_SK_SL_E_clIPcSE_SF_SF_EESI_SY_SJ_SK_SL_EUlSY_E1_NS1_11comp_targetILNS1_3genE8ELNS1_11target_archE1030ELNS1_3gpuE2ELNS1_3repE0EEENS1_36merge_oddeven_config_static_selectorELNS0_4arch9wavefront6targetE1EEEvSK_
    .private_segment_fixed_size: 0
    .sgpr_count:     4
    .sgpr_spill_count: 0
    .symbol:         _ZN7rocprim17ROCPRIM_400000_NS6detail17trampoline_kernelINS0_14default_configENS1_38merge_sort_block_merge_config_selectorIcNS0_10empty_typeEEEZZNS1_27merge_sort_block_merge_implIS3_N6thrust23THRUST_200600_302600_NS6detail15normal_iteratorINS9_10device_ptrIcEEEEPS5_m14custom_greaterIcEEE10hipError_tT0_T1_T2_jT3_P12ihipStream_tbPNSt15iterator_traitsISJ_E10value_typeEPNSP_ISK_E10value_typeEPSL_NS1_7vsmem_tEENKUlT_SJ_SK_SL_E_clIPcSE_SF_SF_EESI_SY_SJ_SK_SL_EUlSY_E1_NS1_11comp_targetILNS1_3genE8ELNS1_11target_archE1030ELNS1_3gpuE2ELNS1_3repE0EEENS1_36merge_oddeven_config_static_selectorELNS0_4arch9wavefront6targetE1EEEvSK_.kd
    .uniform_work_group_size: 1
    .uses_dynamic_stack: false
    .vgpr_count:     0
    .vgpr_spill_count: 0
    .wavefront_size: 64
  - .agpr_count:     0
    .args:
      - .offset:         0
        .size:           48
        .value_kind:     by_value
    .group_segment_fixed_size: 0
    .kernarg_segment_align: 8
    .kernarg_segment_size: 48
    .language:       OpenCL C
    .language_version:
      - 2
      - 0
    .max_flat_workgroup_size: 128
    .name:           _ZN7rocprim17ROCPRIM_400000_NS6detail17trampoline_kernelINS0_14default_configENS1_38merge_sort_block_merge_config_selectorIcNS0_10empty_typeEEEZZNS1_27merge_sort_block_merge_implIS3_N6thrust23THRUST_200600_302600_NS6detail15normal_iteratorINS9_10device_ptrIcEEEEPS5_m14custom_greaterIcEEE10hipError_tT0_T1_T2_jT3_P12ihipStream_tbPNSt15iterator_traitsISJ_E10value_typeEPNSP_ISK_E10value_typeEPSL_NS1_7vsmem_tEENKUlT_SJ_SK_SL_E_clISE_PcSF_SF_EESI_SY_SJ_SK_SL_EUlSY_E_NS1_11comp_targetILNS1_3genE0ELNS1_11target_archE4294967295ELNS1_3gpuE0ELNS1_3repE0EEENS1_48merge_mergepath_partition_config_static_selectorELNS0_4arch9wavefront6targetE1EEEvSK_
    .private_segment_fixed_size: 0
    .sgpr_count:     4
    .sgpr_spill_count: 0
    .symbol:         _ZN7rocprim17ROCPRIM_400000_NS6detail17trampoline_kernelINS0_14default_configENS1_38merge_sort_block_merge_config_selectorIcNS0_10empty_typeEEEZZNS1_27merge_sort_block_merge_implIS3_N6thrust23THRUST_200600_302600_NS6detail15normal_iteratorINS9_10device_ptrIcEEEEPS5_m14custom_greaterIcEEE10hipError_tT0_T1_T2_jT3_P12ihipStream_tbPNSt15iterator_traitsISJ_E10value_typeEPNSP_ISK_E10value_typeEPSL_NS1_7vsmem_tEENKUlT_SJ_SK_SL_E_clISE_PcSF_SF_EESI_SY_SJ_SK_SL_EUlSY_E_NS1_11comp_targetILNS1_3genE0ELNS1_11target_archE4294967295ELNS1_3gpuE0ELNS1_3repE0EEENS1_48merge_mergepath_partition_config_static_selectorELNS0_4arch9wavefront6targetE1EEEvSK_.kd
    .uniform_work_group_size: 1
    .uses_dynamic_stack: false
    .vgpr_count:     0
    .vgpr_spill_count: 0
    .wavefront_size: 64
  - .agpr_count:     0
    .args:
      - .offset:         0
        .size:           48
        .value_kind:     by_value
    .group_segment_fixed_size: 0
    .kernarg_segment_align: 8
    .kernarg_segment_size: 48
    .language:       OpenCL C
    .language_version:
      - 2
      - 0
    .max_flat_workgroup_size: 128
    .name:           _ZN7rocprim17ROCPRIM_400000_NS6detail17trampoline_kernelINS0_14default_configENS1_38merge_sort_block_merge_config_selectorIcNS0_10empty_typeEEEZZNS1_27merge_sort_block_merge_implIS3_N6thrust23THRUST_200600_302600_NS6detail15normal_iteratorINS9_10device_ptrIcEEEEPS5_m14custom_greaterIcEEE10hipError_tT0_T1_T2_jT3_P12ihipStream_tbPNSt15iterator_traitsISJ_E10value_typeEPNSP_ISK_E10value_typeEPSL_NS1_7vsmem_tEENKUlT_SJ_SK_SL_E_clISE_PcSF_SF_EESI_SY_SJ_SK_SL_EUlSY_E_NS1_11comp_targetILNS1_3genE10ELNS1_11target_archE1201ELNS1_3gpuE5ELNS1_3repE0EEENS1_48merge_mergepath_partition_config_static_selectorELNS0_4arch9wavefront6targetE1EEEvSK_
    .private_segment_fixed_size: 0
    .sgpr_count:     4
    .sgpr_spill_count: 0
    .symbol:         _ZN7rocprim17ROCPRIM_400000_NS6detail17trampoline_kernelINS0_14default_configENS1_38merge_sort_block_merge_config_selectorIcNS0_10empty_typeEEEZZNS1_27merge_sort_block_merge_implIS3_N6thrust23THRUST_200600_302600_NS6detail15normal_iteratorINS9_10device_ptrIcEEEEPS5_m14custom_greaterIcEEE10hipError_tT0_T1_T2_jT3_P12ihipStream_tbPNSt15iterator_traitsISJ_E10value_typeEPNSP_ISK_E10value_typeEPSL_NS1_7vsmem_tEENKUlT_SJ_SK_SL_E_clISE_PcSF_SF_EESI_SY_SJ_SK_SL_EUlSY_E_NS1_11comp_targetILNS1_3genE10ELNS1_11target_archE1201ELNS1_3gpuE5ELNS1_3repE0EEENS1_48merge_mergepath_partition_config_static_selectorELNS0_4arch9wavefront6targetE1EEEvSK_.kd
    .uniform_work_group_size: 1
    .uses_dynamic_stack: false
    .vgpr_count:     0
    .vgpr_spill_count: 0
    .wavefront_size: 64
  - .agpr_count:     0
    .args:
      - .offset:         0
        .size:           48
        .value_kind:     by_value
    .group_segment_fixed_size: 0
    .kernarg_segment_align: 8
    .kernarg_segment_size: 48
    .language:       OpenCL C
    .language_version:
      - 2
      - 0
    .max_flat_workgroup_size: 128
    .name:           _ZN7rocprim17ROCPRIM_400000_NS6detail17trampoline_kernelINS0_14default_configENS1_38merge_sort_block_merge_config_selectorIcNS0_10empty_typeEEEZZNS1_27merge_sort_block_merge_implIS3_N6thrust23THRUST_200600_302600_NS6detail15normal_iteratorINS9_10device_ptrIcEEEEPS5_m14custom_greaterIcEEE10hipError_tT0_T1_T2_jT3_P12ihipStream_tbPNSt15iterator_traitsISJ_E10value_typeEPNSP_ISK_E10value_typeEPSL_NS1_7vsmem_tEENKUlT_SJ_SK_SL_E_clISE_PcSF_SF_EESI_SY_SJ_SK_SL_EUlSY_E_NS1_11comp_targetILNS1_3genE5ELNS1_11target_archE942ELNS1_3gpuE9ELNS1_3repE0EEENS1_48merge_mergepath_partition_config_static_selectorELNS0_4arch9wavefront6targetE1EEEvSK_
    .private_segment_fixed_size: 0
    .sgpr_count:     4
    .sgpr_spill_count: 0
    .symbol:         _ZN7rocprim17ROCPRIM_400000_NS6detail17trampoline_kernelINS0_14default_configENS1_38merge_sort_block_merge_config_selectorIcNS0_10empty_typeEEEZZNS1_27merge_sort_block_merge_implIS3_N6thrust23THRUST_200600_302600_NS6detail15normal_iteratorINS9_10device_ptrIcEEEEPS5_m14custom_greaterIcEEE10hipError_tT0_T1_T2_jT3_P12ihipStream_tbPNSt15iterator_traitsISJ_E10value_typeEPNSP_ISK_E10value_typeEPSL_NS1_7vsmem_tEENKUlT_SJ_SK_SL_E_clISE_PcSF_SF_EESI_SY_SJ_SK_SL_EUlSY_E_NS1_11comp_targetILNS1_3genE5ELNS1_11target_archE942ELNS1_3gpuE9ELNS1_3repE0EEENS1_48merge_mergepath_partition_config_static_selectorELNS0_4arch9wavefront6targetE1EEEvSK_.kd
    .uniform_work_group_size: 1
    .uses_dynamic_stack: false
    .vgpr_count:     0
    .vgpr_spill_count: 0
    .wavefront_size: 64
  - .agpr_count:     0
    .args:
      - .offset:         0
        .size:           48
        .value_kind:     by_value
    .group_segment_fixed_size: 0
    .kernarg_segment_align: 8
    .kernarg_segment_size: 48
    .language:       OpenCL C
    .language_version:
      - 2
      - 0
    .max_flat_workgroup_size: 128
    .name:           _ZN7rocprim17ROCPRIM_400000_NS6detail17trampoline_kernelINS0_14default_configENS1_38merge_sort_block_merge_config_selectorIcNS0_10empty_typeEEEZZNS1_27merge_sort_block_merge_implIS3_N6thrust23THRUST_200600_302600_NS6detail15normal_iteratorINS9_10device_ptrIcEEEEPS5_m14custom_greaterIcEEE10hipError_tT0_T1_T2_jT3_P12ihipStream_tbPNSt15iterator_traitsISJ_E10value_typeEPNSP_ISK_E10value_typeEPSL_NS1_7vsmem_tEENKUlT_SJ_SK_SL_E_clISE_PcSF_SF_EESI_SY_SJ_SK_SL_EUlSY_E_NS1_11comp_targetILNS1_3genE4ELNS1_11target_archE910ELNS1_3gpuE8ELNS1_3repE0EEENS1_48merge_mergepath_partition_config_static_selectorELNS0_4arch9wavefront6targetE1EEEvSK_
    .private_segment_fixed_size: 0
    .sgpr_count:     12
    .sgpr_spill_count: 0
    .symbol:         _ZN7rocprim17ROCPRIM_400000_NS6detail17trampoline_kernelINS0_14default_configENS1_38merge_sort_block_merge_config_selectorIcNS0_10empty_typeEEEZZNS1_27merge_sort_block_merge_implIS3_N6thrust23THRUST_200600_302600_NS6detail15normal_iteratorINS9_10device_ptrIcEEEEPS5_m14custom_greaterIcEEE10hipError_tT0_T1_T2_jT3_P12ihipStream_tbPNSt15iterator_traitsISJ_E10value_typeEPNSP_ISK_E10value_typeEPSL_NS1_7vsmem_tEENKUlT_SJ_SK_SL_E_clISE_PcSF_SF_EESI_SY_SJ_SK_SL_EUlSY_E_NS1_11comp_targetILNS1_3genE4ELNS1_11target_archE910ELNS1_3gpuE8ELNS1_3repE0EEENS1_48merge_mergepath_partition_config_static_selectorELNS0_4arch9wavefront6targetE1EEEvSK_.kd
    .uniform_work_group_size: 1
    .uses_dynamic_stack: false
    .vgpr_count:     19
    .vgpr_spill_count: 0
    .wavefront_size: 64
  - .agpr_count:     0
    .args:
      - .offset:         0
        .size:           48
        .value_kind:     by_value
    .group_segment_fixed_size: 0
    .kernarg_segment_align: 8
    .kernarg_segment_size: 48
    .language:       OpenCL C
    .language_version:
      - 2
      - 0
    .max_flat_workgroup_size: 128
    .name:           _ZN7rocprim17ROCPRIM_400000_NS6detail17trampoline_kernelINS0_14default_configENS1_38merge_sort_block_merge_config_selectorIcNS0_10empty_typeEEEZZNS1_27merge_sort_block_merge_implIS3_N6thrust23THRUST_200600_302600_NS6detail15normal_iteratorINS9_10device_ptrIcEEEEPS5_m14custom_greaterIcEEE10hipError_tT0_T1_T2_jT3_P12ihipStream_tbPNSt15iterator_traitsISJ_E10value_typeEPNSP_ISK_E10value_typeEPSL_NS1_7vsmem_tEENKUlT_SJ_SK_SL_E_clISE_PcSF_SF_EESI_SY_SJ_SK_SL_EUlSY_E_NS1_11comp_targetILNS1_3genE3ELNS1_11target_archE908ELNS1_3gpuE7ELNS1_3repE0EEENS1_48merge_mergepath_partition_config_static_selectorELNS0_4arch9wavefront6targetE1EEEvSK_
    .private_segment_fixed_size: 0
    .sgpr_count:     4
    .sgpr_spill_count: 0
    .symbol:         _ZN7rocprim17ROCPRIM_400000_NS6detail17trampoline_kernelINS0_14default_configENS1_38merge_sort_block_merge_config_selectorIcNS0_10empty_typeEEEZZNS1_27merge_sort_block_merge_implIS3_N6thrust23THRUST_200600_302600_NS6detail15normal_iteratorINS9_10device_ptrIcEEEEPS5_m14custom_greaterIcEEE10hipError_tT0_T1_T2_jT3_P12ihipStream_tbPNSt15iterator_traitsISJ_E10value_typeEPNSP_ISK_E10value_typeEPSL_NS1_7vsmem_tEENKUlT_SJ_SK_SL_E_clISE_PcSF_SF_EESI_SY_SJ_SK_SL_EUlSY_E_NS1_11comp_targetILNS1_3genE3ELNS1_11target_archE908ELNS1_3gpuE7ELNS1_3repE0EEENS1_48merge_mergepath_partition_config_static_selectorELNS0_4arch9wavefront6targetE1EEEvSK_.kd
    .uniform_work_group_size: 1
    .uses_dynamic_stack: false
    .vgpr_count:     0
    .vgpr_spill_count: 0
    .wavefront_size: 64
  - .agpr_count:     0
    .args:
      - .offset:         0
        .size:           48
        .value_kind:     by_value
    .group_segment_fixed_size: 0
    .kernarg_segment_align: 8
    .kernarg_segment_size: 48
    .language:       OpenCL C
    .language_version:
      - 2
      - 0
    .max_flat_workgroup_size: 128
    .name:           _ZN7rocprim17ROCPRIM_400000_NS6detail17trampoline_kernelINS0_14default_configENS1_38merge_sort_block_merge_config_selectorIcNS0_10empty_typeEEEZZNS1_27merge_sort_block_merge_implIS3_N6thrust23THRUST_200600_302600_NS6detail15normal_iteratorINS9_10device_ptrIcEEEEPS5_m14custom_greaterIcEEE10hipError_tT0_T1_T2_jT3_P12ihipStream_tbPNSt15iterator_traitsISJ_E10value_typeEPNSP_ISK_E10value_typeEPSL_NS1_7vsmem_tEENKUlT_SJ_SK_SL_E_clISE_PcSF_SF_EESI_SY_SJ_SK_SL_EUlSY_E_NS1_11comp_targetILNS1_3genE2ELNS1_11target_archE906ELNS1_3gpuE6ELNS1_3repE0EEENS1_48merge_mergepath_partition_config_static_selectorELNS0_4arch9wavefront6targetE1EEEvSK_
    .private_segment_fixed_size: 0
    .sgpr_count:     4
    .sgpr_spill_count: 0
    .symbol:         _ZN7rocprim17ROCPRIM_400000_NS6detail17trampoline_kernelINS0_14default_configENS1_38merge_sort_block_merge_config_selectorIcNS0_10empty_typeEEEZZNS1_27merge_sort_block_merge_implIS3_N6thrust23THRUST_200600_302600_NS6detail15normal_iteratorINS9_10device_ptrIcEEEEPS5_m14custom_greaterIcEEE10hipError_tT0_T1_T2_jT3_P12ihipStream_tbPNSt15iterator_traitsISJ_E10value_typeEPNSP_ISK_E10value_typeEPSL_NS1_7vsmem_tEENKUlT_SJ_SK_SL_E_clISE_PcSF_SF_EESI_SY_SJ_SK_SL_EUlSY_E_NS1_11comp_targetILNS1_3genE2ELNS1_11target_archE906ELNS1_3gpuE6ELNS1_3repE0EEENS1_48merge_mergepath_partition_config_static_selectorELNS0_4arch9wavefront6targetE1EEEvSK_.kd
    .uniform_work_group_size: 1
    .uses_dynamic_stack: false
    .vgpr_count:     0
    .vgpr_spill_count: 0
    .wavefront_size: 64
  - .agpr_count:     0
    .args:
      - .offset:         0
        .size:           48
        .value_kind:     by_value
    .group_segment_fixed_size: 0
    .kernarg_segment_align: 8
    .kernarg_segment_size: 48
    .language:       OpenCL C
    .language_version:
      - 2
      - 0
    .max_flat_workgroup_size: 128
    .name:           _ZN7rocprim17ROCPRIM_400000_NS6detail17trampoline_kernelINS0_14default_configENS1_38merge_sort_block_merge_config_selectorIcNS0_10empty_typeEEEZZNS1_27merge_sort_block_merge_implIS3_N6thrust23THRUST_200600_302600_NS6detail15normal_iteratorINS9_10device_ptrIcEEEEPS5_m14custom_greaterIcEEE10hipError_tT0_T1_T2_jT3_P12ihipStream_tbPNSt15iterator_traitsISJ_E10value_typeEPNSP_ISK_E10value_typeEPSL_NS1_7vsmem_tEENKUlT_SJ_SK_SL_E_clISE_PcSF_SF_EESI_SY_SJ_SK_SL_EUlSY_E_NS1_11comp_targetILNS1_3genE9ELNS1_11target_archE1100ELNS1_3gpuE3ELNS1_3repE0EEENS1_48merge_mergepath_partition_config_static_selectorELNS0_4arch9wavefront6targetE1EEEvSK_
    .private_segment_fixed_size: 0
    .sgpr_count:     4
    .sgpr_spill_count: 0
    .symbol:         _ZN7rocprim17ROCPRIM_400000_NS6detail17trampoline_kernelINS0_14default_configENS1_38merge_sort_block_merge_config_selectorIcNS0_10empty_typeEEEZZNS1_27merge_sort_block_merge_implIS3_N6thrust23THRUST_200600_302600_NS6detail15normal_iteratorINS9_10device_ptrIcEEEEPS5_m14custom_greaterIcEEE10hipError_tT0_T1_T2_jT3_P12ihipStream_tbPNSt15iterator_traitsISJ_E10value_typeEPNSP_ISK_E10value_typeEPSL_NS1_7vsmem_tEENKUlT_SJ_SK_SL_E_clISE_PcSF_SF_EESI_SY_SJ_SK_SL_EUlSY_E_NS1_11comp_targetILNS1_3genE9ELNS1_11target_archE1100ELNS1_3gpuE3ELNS1_3repE0EEENS1_48merge_mergepath_partition_config_static_selectorELNS0_4arch9wavefront6targetE1EEEvSK_.kd
    .uniform_work_group_size: 1
    .uses_dynamic_stack: false
    .vgpr_count:     0
    .vgpr_spill_count: 0
    .wavefront_size: 64
  - .agpr_count:     0
    .args:
      - .offset:         0
        .size:           48
        .value_kind:     by_value
    .group_segment_fixed_size: 0
    .kernarg_segment_align: 8
    .kernarg_segment_size: 48
    .language:       OpenCL C
    .language_version:
      - 2
      - 0
    .max_flat_workgroup_size: 128
    .name:           _ZN7rocprim17ROCPRIM_400000_NS6detail17trampoline_kernelINS0_14default_configENS1_38merge_sort_block_merge_config_selectorIcNS0_10empty_typeEEEZZNS1_27merge_sort_block_merge_implIS3_N6thrust23THRUST_200600_302600_NS6detail15normal_iteratorINS9_10device_ptrIcEEEEPS5_m14custom_greaterIcEEE10hipError_tT0_T1_T2_jT3_P12ihipStream_tbPNSt15iterator_traitsISJ_E10value_typeEPNSP_ISK_E10value_typeEPSL_NS1_7vsmem_tEENKUlT_SJ_SK_SL_E_clISE_PcSF_SF_EESI_SY_SJ_SK_SL_EUlSY_E_NS1_11comp_targetILNS1_3genE8ELNS1_11target_archE1030ELNS1_3gpuE2ELNS1_3repE0EEENS1_48merge_mergepath_partition_config_static_selectorELNS0_4arch9wavefront6targetE1EEEvSK_
    .private_segment_fixed_size: 0
    .sgpr_count:     4
    .sgpr_spill_count: 0
    .symbol:         _ZN7rocprim17ROCPRIM_400000_NS6detail17trampoline_kernelINS0_14default_configENS1_38merge_sort_block_merge_config_selectorIcNS0_10empty_typeEEEZZNS1_27merge_sort_block_merge_implIS3_N6thrust23THRUST_200600_302600_NS6detail15normal_iteratorINS9_10device_ptrIcEEEEPS5_m14custom_greaterIcEEE10hipError_tT0_T1_T2_jT3_P12ihipStream_tbPNSt15iterator_traitsISJ_E10value_typeEPNSP_ISK_E10value_typeEPSL_NS1_7vsmem_tEENKUlT_SJ_SK_SL_E_clISE_PcSF_SF_EESI_SY_SJ_SK_SL_EUlSY_E_NS1_11comp_targetILNS1_3genE8ELNS1_11target_archE1030ELNS1_3gpuE2ELNS1_3repE0EEENS1_48merge_mergepath_partition_config_static_selectorELNS0_4arch9wavefront6targetE1EEEvSK_.kd
    .uniform_work_group_size: 1
    .uses_dynamic_stack: false
    .vgpr_count:     0
    .vgpr_spill_count: 0
    .wavefront_size: 64
  - .agpr_count:     0
    .args:
      - .offset:         0
        .size:           72
        .value_kind:     by_value
    .group_segment_fixed_size: 0
    .kernarg_segment_align: 8
    .kernarg_segment_size: 72
    .language:       OpenCL C
    .language_version:
      - 2
      - 0
    .max_flat_workgroup_size: 128
    .name:           _ZN7rocprim17ROCPRIM_400000_NS6detail17trampoline_kernelINS0_14default_configENS1_38merge_sort_block_merge_config_selectorIcNS0_10empty_typeEEEZZNS1_27merge_sort_block_merge_implIS3_N6thrust23THRUST_200600_302600_NS6detail15normal_iteratorINS9_10device_ptrIcEEEEPS5_m14custom_greaterIcEEE10hipError_tT0_T1_T2_jT3_P12ihipStream_tbPNSt15iterator_traitsISJ_E10value_typeEPNSP_ISK_E10value_typeEPSL_NS1_7vsmem_tEENKUlT_SJ_SK_SL_E_clISE_PcSF_SF_EESI_SY_SJ_SK_SL_EUlSY_E0_NS1_11comp_targetILNS1_3genE0ELNS1_11target_archE4294967295ELNS1_3gpuE0ELNS1_3repE0EEENS1_38merge_mergepath_config_static_selectorELNS0_4arch9wavefront6targetE1EEEvSK_
    .private_segment_fixed_size: 0
    .sgpr_count:     4
    .sgpr_spill_count: 0
    .symbol:         _ZN7rocprim17ROCPRIM_400000_NS6detail17trampoline_kernelINS0_14default_configENS1_38merge_sort_block_merge_config_selectorIcNS0_10empty_typeEEEZZNS1_27merge_sort_block_merge_implIS3_N6thrust23THRUST_200600_302600_NS6detail15normal_iteratorINS9_10device_ptrIcEEEEPS5_m14custom_greaterIcEEE10hipError_tT0_T1_T2_jT3_P12ihipStream_tbPNSt15iterator_traitsISJ_E10value_typeEPNSP_ISK_E10value_typeEPSL_NS1_7vsmem_tEENKUlT_SJ_SK_SL_E_clISE_PcSF_SF_EESI_SY_SJ_SK_SL_EUlSY_E0_NS1_11comp_targetILNS1_3genE0ELNS1_11target_archE4294967295ELNS1_3gpuE0ELNS1_3repE0EEENS1_38merge_mergepath_config_static_selectorELNS0_4arch9wavefront6targetE1EEEvSK_.kd
    .uniform_work_group_size: 1
    .uses_dynamic_stack: false
    .vgpr_count:     0
    .vgpr_spill_count: 0
    .wavefront_size: 64
  - .agpr_count:     0
    .args:
      - .offset:         0
        .size:           72
        .value_kind:     by_value
    .group_segment_fixed_size: 0
    .kernarg_segment_align: 8
    .kernarg_segment_size: 72
    .language:       OpenCL C
    .language_version:
      - 2
      - 0
    .max_flat_workgroup_size: 128
    .name:           _ZN7rocprim17ROCPRIM_400000_NS6detail17trampoline_kernelINS0_14default_configENS1_38merge_sort_block_merge_config_selectorIcNS0_10empty_typeEEEZZNS1_27merge_sort_block_merge_implIS3_N6thrust23THRUST_200600_302600_NS6detail15normal_iteratorINS9_10device_ptrIcEEEEPS5_m14custom_greaterIcEEE10hipError_tT0_T1_T2_jT3_P12ihipStream_tbPNSt15iterator_traitsISJ_E10value_typeEPNSP_ISK_E10value_typeEPSL_NS1_7vsmem_tEENKUlT_SJ_SK_SL_E_clISE_PcSF_SF_EESI_SY_SJ_SK_SL_EUlSY_E0_NS1_11comp_targetILNS1_3genE10ELNS1_11target_archE1201ELNS1_3gpuE5ELNS1_3repE0EEENS1_38merge_mergepath_config_static_selectorELNS0_4arch9wavefront6targetE1EEEvSK_
    .private_segment_fixed_size: 0
    .sgpr_count:     4
    .sgpr_spill_count: 0
    .symbol:         _ZN7rocprim17ROCPRIM_400000_NS6detail17trampoline_kernelINS0_14default_configENS1_38merge_sort_block_merge_config_selectorIcNS0_10empty_typeEEEZZNS1_27merge_sort_block_merge_implIS3_N6thrust23THRUST_200600_302600_NS6detail15normal_iteratorINS9_10device_ptrIcEEEEPS5_m14custom_greaterIcEEE10hipError_tT0_T1_T2_jT3_P12ihipStream_tbPNSt15iterator_traitsISJ_E10value_typeEPNSP_ISK_E10value_typeEPSL_NS1_7vsmem_tEENKUlT_SJ_SK_SL_E_clISE_PcSF_SF_EESI_SY_SJ_SK_SL_EUlSY_E0_NS1_11comp_targetILNS1_3genE10ELNS1_11target_archE1201ELNS1_3gpuE5ELNS1_3repE0EEENS1_38merge_mergepath_config_static_selectorELNS0_4arch9wavefront6targetE1EEEvSK_.kd
    .uniform_work_group_size: 1
    .uses_dynamic_stack: false
    .vgpr_count:     0
    .vgpr_spill_count: 0
    .wavefront_size: 64
  - .agpr_count:     0
    .args:
      - .offset:         0
        .size:           72
        .value_kind:     by_value
    .group_segment_fixed_size: 0
    .kernarg_segment_align: 8
    .kernarg_segment_size: 72
    .language:       OpenCL C
    .language_version:
      - 2
      - 0
    .max_flat_workgroup_size: 128
    .name:           _ZN7rocprim17ROCPRIM_400000_NS6detail17trampoline_kernelINS0_14default_configENS1_38merge_sort_block_merge_config_selectorIcNS0_10empty_typeEEEZZNS1_27merge_sort_block_merge_implIS3_N6thrust23THRUST_200600_302600_NS6detail15normal_iteratorINS9_10device_ptrIcEEEEPS5_m14custom_greaterIcEEE10hipError_tT0_T1_T2_jT3_P12ihipStream_tbPNSt15iterator_traitsISJ_E10value_typeEPNSP_ISK_E10value_typeEPSL_NS1_7vsmem_tEENKUlT_SJ_SK_SL_E_clISE_PcSF_SF_EESI_SY_SJ_SK_SL_EUlSY_E0_NS1_11comp_targetILNS1_3genE5ELNS1_11target_archE942ELNS1_3gpuE9ELNS1_3repE0EEENS1_38merge_mergepath_config_static_selectorELNS0_4arch9wavefront6targetE1EEEvSK_
    .private_segment_fixed_size: 0
    .sgpr_count:     4
    .sgpr_spill_count: 0
    .symbol:         _ZN7rocprim17ROCPRIM_400000_NS6detail17trampoline_kernelINS0_14default_configENS1_38merge_sort_block_merge_config_selectorIcNS0_10empty_typeEEEZZNS1_27merge_sort_block_merge_implIS3_N6thrust23THRUST_200600_302600_NS6detail15normal_iteratorINS9_10device_ptrIcEEEEPS5_m14custom_greaterIcEEE10hipError_tT0_T1_T2_jT3_P12ihipStream_tbPNSt15iterator_traitsISJ_E10value_typeEPNSP_ISK_E10value_typeEPSL_NS1_7vsmem_tEENKUlT_SJ_SK_SL_E_clISE_PcSF_SF_EESI_SY_SJ_SK_SL_EUlSY_E0_NS1_11comp_targetILNS1_3genE5ELNS1_11target_archE942ELNS1_3gpuE9ELNS1_3repE0EEENS1_38merge_mergepath_config_static_selectorELNS0_4arch9wavefront6targetE1EEEvSK_.kd
    .uniform_work_group_size: 1
    .uses_dynamic_stack: false
    .vgpr_count:     0
    .vgpr_spill_count: 0
    .wavefront_size: 64
  - .agpr_count:     0
    .args:
      - .offset:         0
        .size:           72
        .value_kind:     by_value
      - .offset:         72
        .size:           4
        .value_kind:     hidden_block_count_x
      - .offset:         76
        .size:           4
        .value_kind:     hidden_block_count_y
      - .offset:         80
        .size:           4
        .value_kind:     hidden_block_count_z
      - .offset:         84
        .size:           2
        .value_kind:     hidden_group_size_x
      - .offset:         86
        .size:           2
        .value_kind:     hidden_group_size_y
      - .offset:         88
        .size:           2
        .value_kind:     hidden_group_size_z
      - .offset:         90
        .size:           2
        .value_kind:     hidden_remainder_x
      - .offset:         92
        .size:           2
        .value_kind:     hidden_remainder_y
      - .offset:         94
        .size:           2
        .value_kind:     hidden_remainder_z
      - .offset:         112
        .size:           8
        .value_kind:     hidden_global_offset_x
      - .offset:         120
        .size:           8
        .value_kind:     hidden_global_offset_y
      - .offset:         128
        .size:           8
        .value_kind:     hidden_global_offset_z
      - .offset:         136
        .size:           2
        .value_kind:     hidden_grid_dims
    .group_segment_fixed_size: 1056
    .kernarg_segment_align: 8
    .kernarg_segment_size: 328
    .language:       OpenCL C
    .language_version:
      - 2
      - 0
    .max_flat_workgroup_size: 128
    .name:           _ZN7rocprim17ROCPRIM_400000_NS6detail17trampoline_kernelINS0_14default_configENS1_38merge_sort_block_merge_config_selectorIcNS0_10empty_typeEEEZZNS1_27merge_sort_block_merge_implIS3_N6thrust23THRUST_200600_302600_NS6detail15normal_iteratorINS9_10device_ptrIcEEEEPS5_m14custom_greaterIcEEE10hipError_tT0_T1_T2_jT3_P12ihipStream_tbPNSt15iterator_traitsISJ_E10value_typeEPNSP_ISK_E10value_typeEPSL_NS1_7vsmem_tEENKUlT_SJ_SK_SL_E_clISE_PcSF_SF_EESI_SY_SJ_SK_SL_EUlSY_E0_NS1_11comp_targetILNS1_3genE4ELNS1_11target_archE910ELNS1_3gpuE8ELNS1_3repE0EEENS1_38merge_mergepath_config_static_selectorELNS0_4arch9wavefront6targetE1EEEvSK_
    .private_segment_fixed_size: 0
    .sgpr_count:     35
    .sgpr_spill_count: 0
    .symbol:         _ZN7rocprim17ROCPRIM_400000_NS6detail17trampoline_kernelINS0_14default_configENS1_38merge_sort_block_merge_config_selectorIcNS0_10empty_typeEEEZZNS1_27merge_sort_block_merge_implIS3_N6thrust23THRUST_200600_302600_NS6detail15normal_iteratorINS9_10device_ptrIcEEEEPS5_m14custom_greaterIcEEE10hipError_tT0_T1_T2_jT3_P12ihipStream_tbPNSt15iterator_traitsISJ_E10value_typeEPNSP_ISK_E10value_typeEPSL_NS1_7vsmem_tEENKUlT_SJ_SK_SL_E_clISE_PcSF_SF_EESI_SY_SJ_SK_SL_EUlSY_E0_NS1_11comp_targetILNS1_3genE4ELNS1_11target_archE910ELNS1_3gpuE8ELNS1_3repE0EEENS1_38merge_mergepath_config_static_selectorELNS0_4arch9wavefront6targetE1EEEvSK_.kd
    .uniform_work_group_size: 1
    .uses_dynamic_stack: false
    .vgpr_count:     26
    .vgpr_spill_count: 0
    .wavefront_size: 64
  - .agpr_count:     0
    .args:
      - .offset:         0
        .size:           72
        .value_kind:     by_value
    .group_segment_fixed_size: 0
    .kernarg_segment_align: 8
    .kernarg_segment_size: 72
    .language:       OpenCL C
    .language_version:
      - 2
      - 0
    .max_flat_workgroup_size: 128
    .name:           _ZN7rocprim17ROCPRIM_400000_NS6detail17trampoline_kernelINS0_14default_configENS1_38merge_sort_block_merge_config_selectorIcNS0_10empty_typeEEEZZNS1_27merge_sort_block_merge_implIS3_N6thrust23THRUST_200600_302600_NS6detail15normal_iteratorINS9_10device_ptrIcEEEEPS5_m14custom_greaterIcEEE10hipError_tT0_T1_T2_jT3_P12ihipStream_tbPNSt15iterator_traitsISJ_E10value_typeEPNSP_ISK_E10value_typeEPSL_NS1_7vsmem_tEENKUlT_SJ_SK_SL_E_clISE_PcSF_SF_EESI_SY_SJ_SK_SL_EUlSY_E0_NS1_11comp_targetILNS1_3genE3ELNS1_11target_archE908ELNS1_3gpuE7ELNS1_3repE0EEENS1_38merge_mergepath_config_static_selectorELNS0_4arch9wavefront6targetE1EEEvSK_
    .private_segment_fixed_size: 0
    .sgpr_count:     4
    .sgpr_spill_count: 0
    .symbol:         _ZN7rocprim17ROCPRIM_400000_NS6detail17trampoline_kernelINS0_14default_configENS1_38merge_sort_block_merge_config_selectorIcNS0_10empty_typeEEEZZNS1_27merge_sort_block_merge_implIS3_N6thrust23THRUST_200600_302600_NS6detail15normal_iteratorINS9_10device_ptrIcEEEEPS5_m14custom_greaterIcEEE10hipError_tT0_T1_T2_jT3_P12ihipStream_tbPNSt15iterator_traitsISJ_E10value_typeEPNSP_ISK_E10value_typeEPSL_NS1_7vsmem_tEENKUlT_SJ_SK_SL_E_clISE_PcSF_SF_EESI_SY_SJ_SK_SL_EUlSY_E0_NS1_11comp_targetILNS1_3genE3ELNS1_11target_archE908ELNS1_3gpuE7ELNS1_3repE0EEENS1_38merge_mergepath_config_static_selectorELNS0_4arch9wavefront6targetE1EEEvSK_.kd
    .uniform_work_group_size: 1
    .uses_dynamic_stack: false
    .vgpr_count:     0
    .vgpr_spill_count: 0
    .wavefront_size: 64
  - .agpr_count:     0
    .args:
      - .offset:         0
        .size:           72
        .value_kind:     by_value
    .group_segment_fixed_size: 0
    .kernarg_segment_align: 8
    .kernarg_segment_size: 72
    .language:       OpenCL C
    .language_version:
      - 2
      - 0
    .max_flat_workgroup_size: 128
    .name:           _ZN7rocprim17ROCPRIM_400000_NS6detail17trampoline_kernelINS0_14default_configENS1_38merge_sort_block_merge_config_selectorIcNS0_10empty_typeEEEZZNS1_27merge_sort_block_merge_implIS3_N6thrust23THRUST_200600_302600_NS6detail15normal_iteratorINS9_10device_ptrIcEEEEPS5_m14custom_greaterIcEEE10hipError_tT0_T1_T2_jT3_P12ihipStream_tbPNSt15iterator_traitsISJ_E10value_typeEPNSP_ISK_E10value_typeEPSL_NS1_7vsmem_tEENKUlT_SJ_SK_SL_E_clISE_PcSF_SF_EESI_SY_SJ_SK_SL_EUlSY_E0_NS1_11comp_targetILNS1_3genE2ELNS1_11target_archE906ELNS1_3gpuE6ELNS1_3repE0EEENS1_38merge_mergepath_config_static_selectorELNS0_4arch9wavefront6targetE1EEEvSK_
    .private_segment_fixed_size: 0
    .sgpr_count:     4
    .sgpr_spill_count: 0
    .symbol:         _ZN7rocprim17ROCPRIM_400000_NS6detail17trampoline_kernelINS0_14default_configENS1_38merge_sort_block_merge_config_selectorIcNS0_10empty_typeEEEZZNS1_27merge_sort_block_merge_implIS3_N6thrust23THRUST_200600_302600_NS6detail15normal_iteratorINS9_10device_ptrIcEEEEPS5_m14custom_greaterIcEEE10hipError_tT0_T1_T2_jT3_P12ihipStream_tbPNSt15iterator_traitsISJ_E10value_typeEPNSP_ISK_E10value_typeEPSL_NS1_7vsmem_tEENKUlT_SJ_SK_SL_E_clISE_PcSF_SF_EESI_SY_SJ_SK_SL_EUlSY_E0_NS1_11comp_targetILNS1_3genE2ELNS1_11target_archE906ELNS1_3gpuE6ELNS1_3repE0EEENS1_38merge_mergepath_config_static_selectorELNS0_4arch9wavefront6targetE1EEEvSK_.kd
    .uniform_work_group_size: 1
    .uses_dynamic_stack: false
    .vgpr_count:     0
    .vgpr_spill_count: 0
    .wavefront_size: 64
  - .agpr_count:     0
    .args:
      - .offset:         0
        .size:           72
        .value_kind:     by_value
    .group_segment_fixed_size: 0
    .kernarg_segment_align: 8
    .kernarg_segment_size: 72
    .language:       OpenCL C
    .language_version:
      - 2
      - 0
    .max_flat_workgroup_size: 128
    .name:           _ZN7rocprim17ROCPRIM_400000_NS6detail17trampoline_kernelINS0_14default_configENS1_38merge_sort_block_merge_config_selectorIcNS0_10empty_typeEEEZZNS1_27merge_sort_block_merge_implIS3_N6thrust23THRUST_200600_302600_NS6detail15normal_iteratorINS9_10device_ptrIcEEEEPS5_m14custom_greaterIcEEE10hipError_tT0_T1_T2_jT3_P12ihipStream_tbPNSt15iterator_traitsISJ_E10value_typeEPNSP_ISK_E10value_typeEPSL_NS1_7vsmem_tEENKUlT_SJ_SK_SL_E_clISE_PcSF_SF_EESI_SY_SJ_SK_SL_EUlSY_E0_NS1_11comp_targetILNS1_3genE9ELNS1_11target_archE1100ELNS1_3gpuE3ELNS1_3repE0EEENS1_38merge_mergepath_config_static_selectorELNS0_4arch9wavefront6targetE1EEEvSK_
    .private_segment_fixed_size: 0
    .sgpr_count:     4
    .sgpr_spill_count: 0
    .symbol:         _ZN7rocprim17ROCPRIM_400000_NS6detail17trampoline_kernelINS0_14default_configENS1_38merge_sort_block_merge_config_selectorIcNS0_10empty_typeEEEZZNS1_27merge_sort_block_merge_implIS3_N6thrust23THRUST_200600_302600_NS6detail15normal_iteratorINS9_10device_ptrIcEEEEPS5_m14custom_greaterIcEEE10hipError_tT0_T1_T2_jT3_P12ihipStream_tbPNSt15iterator_traitsISJ_E10value_typeEPNSP_ISK_E10value_typeEPSL_NS1_7vsmem_tEENKUlT_SJ_SK_SL_E_clISE_PcSF_SF_EESI_SY_SJ_SK_SL_EUlSY_E0_NS1_11comp_targetILNS1_3genE9ELNS1_11target_archE1100ELNS1_3gpuE3ELNS1_3repE0EEENS1_38merge_mergepath_config_static_selectorELNS0_4arch9wavefront6targetE1EEEvSK_.kd
    .uniform_work_group_size: 1
    .uses_dynamic_stack: false
    .vgpr_count:     0
    .vgpr_spill_count: 0
    .wavefront_size: 64
  - .agpr_count:     0
    .args:
      - .offset:         0
        .size:           72
        .value_kind:     by_value
    .group_segment_fixed_size: 0
    .kernarg_segment_align: 8
    .kernarg_segment_size: 72
    .language:       OpenCL C
    .language_version:
      - 2
      - 0
    .max_flat_workgroup_size: 128
    .name:           _ZN7rocprim17ROCPRIM_400000_NS6detail17trampoline_kernelINS0_14default_configENS1_38merge_sort_block_merge_config_selectorIcNS0_10empty_typeEEEZZNS1_27merge_sort_block_merge_implIS3_N6thrust23THRUST_200600_302600_NS6detail15normal_iteratorINS9_10device_ptrIcEEEEPS5_m14custom_greaterIcEEE10hipError_tT0_T1_T2_jT3_P12ihipStream_tbPNSt15iterator_traitsISJ_E10value_typeEPNSP_ISK_E10value_typeEPSL_NS1_7vsmem_tEENKUlT_SJ_SK_SL_E_clISE_PcSF_SF_EESI_SY_SJ_SK_SL_EUlSY_E0_NS1_11comp_targetILNS1_3genE8ELNS1_11target_archE1030ELNS1_3gpuE2ELNS1_3repE0EEENS1_38merge_mergepath_config_static_selectorELNS0_4arch9wavefront6targetE1EEEvSK_
    .private_segment_fixed_size: 0
    .sgpr_count:     4
    .sgpr_spill_count: 0
    .symbol:         _ZN7rocprim17ROCPRIM_400000_NS6detail17trampoline_kernelINS0_14default_configENS1_38merge_sort_block_merge_config_selectorIcNS0_10empty_typeEEEZZNS1_27merge_sort_block_merge_implIS3_N6thrust23THRUST_200600_302600_NS6detail15normal_iteratorINS9_10device_ptrIcEEEEPS5_m14custom_greaterIcEEE10hipError_tT0_T1_T2_jT3_P12ihipStream_tbPNSt15iterator_traitsISJ_E10value_typeEPNSP_ISK_E10value_typeEPSL_NS1_7vsmem_tEENKUlT_SJ_SK_SL_E_clISE_PcSF_SF_EESI_SY_SJ_SK_SL_EUlSY_E0_NS1_11comp_targetILNS1_3genE8ELNS1_11target_archE1030ELNS1_3gpuE2ELNS1_3repE0EEENS1_38merge_mergepath_config_static_selectorELNS0_4arch9wavefront6targetE1EEEvSK_.kd
    .uniform_work_group_size: 1
    .uses_dynamic_stack: false
    .vgpr_count:     0
    .vgpr_spill_count: 0
    .wavefront_size: 64
  - .agpr_count:     0
    .args:
      - .offset:         0
        .size:           56
        .value_kind:     by_value
    .group_segment_fixed_size: 0
    .kernarg_segment_align: 8
    .kernarg_segment_size: 56
    .language:       OpenCL C
    .language_version:
      - 2
      - 0
    .max_flat_workgroup_size: 256
    .name:           _ZN7rocprim17ROCPRIM_400000_NS6detail17trampoline_kernelINS0_14default_configENS1_38merge_sort_block_merge_config_selectorIcNS0_10empty_typeEEEZZNS1_27merge_sort_block_merge_implIS3_N6thrust23THRUST_200600_302600_NS6detail15normal_iteratorINS9_10device_ptrIcEEEEPS5_m14custom_greaterIcEEE10hipError_tT0_T1_T2_jT3_P12ihipStream_tbPNSt15iterator_traitsISJ_E10value_typeEPNSP_ISK_E10value_typeEPSL_NS1_7vsmem_tEENKUlT_SJ_SK_SL_E_clISE_PcSF_SF_EESI_SY_SJ_SK_SL_EUlSY_E1_NS1_11comp_targetILNS1_3genE0ELNS1_11target_archE4294967295ELNS1_3gpuE0ELNS1_3repE0EEENS1_36merge_oddeven_config_static_selectorELNS0_4arch9wavefront6targetE1EEEvSK_
    .private_segment_fixed_size: 0
    .sgpr_count:     4
    .sgpr_spill_count: 0
    .symbol:         _ZN7rocprim17ROCPRIM_400000_NS6detail17trampoline_kernelINS0_14default_configENS1_38merge_sort_block_merge_config_selectorIcNS0_10empty_typeEEEZZNS1_27merge_sort_block_merge_implIS3_N6thrust23THRUST_200600_302600_NS6detail15normal_iteratorINS9_10device_ptrIcEEEEPS5_m14custom_greaterIcEEE10hipError_tT0_T1_T2_jT3_P12ihipStream_tbPNSt15iterator_traitsISJ_E10value_typeEPNSP_ISK_E10value_typeEPSL_NS1_7vsmem_tEENKUlT_SJ_SK_SL_E_clISE_PcSF_SF_EESI_SY_SJ_SK_SL_EUlSY_E1_NS1_11comp_targetILNS1_3genE0ELNS1_11target_archE4294967295ELNS1_3gpuE0ELNS1_3repE0EEENS1_36merge_oddeven_config_static_selectorELNS0_4arch9wavefront6targetE1EEEvSK_.kd
    .uniform_work_group_size: 1
    .uses_dynamic_stack: false
    .vgpr_count:     0
    .vgpr_spill_count: 0
    .wavefront_size: 64
  - .agpr_count:     0
    .args:
      - .offset:         0
        .size:           56
        .value_kind:     by_value
    .group_segment_fixed_size: 0
    .kernarg_segment_align: 8
    .kernarg_segment_size: 56
    .language:       OpenCL C
    .language_version:
      - 2
      - 0
    .max_flat_workgroup_size: 256
    .name:           _ZN7rocprim17ROCPRIM_400000_NS6detail17trampoline_kernelINS0_14default_configENS1_38merge_sort_block_merge_config_selectorIcNS0_10empty_typeEEEZZNS1_27merge_sort_block_merge_implIS3_N6thrust23THRUST_200600_302600_NS6detail15normal_iteratorINS9_10device_ptrIcEEEEPS5_m14custom_greaterIcEEE10hipError_tT0_T1_T2_jT3_P12ihipStream_tbPNSt15iterator_traitsISJ_E10value_typeEPNSP_ISK_E10value_typeEPSL_NS1_7vsmem_tEENKUlT_SJ_SK_SL_E_clISE_PcSF_SF_EESI_SY_SJ_SK_SL_EUlSY_E1_NS1_11comp_targetILNS1_3genE10ELNS1_11target_archE1201ELNS1_3gpuE5ELNS1_3repE0EEENS1_36merge_oddeven_config_static_selectorELNS0_4arch9wavefront6targetE1EEEvSK_
    .private_segment_fixed_size: 0
    .sgpr_count:     4
    .sgpr_spill_count: 0
    .symbol:         _ZN7rocprim17ROCPRIM_400000_NS6detail17trampoline_kernelINS0_14default_configENS1_38merge_sort_block_merge_config_selectorIcNS0_10empty_typeEEEZZNS1_27merge_sort_block_merge_implIS3_N6thrust23THRUST_200600_302600_NS6detail15normal_iteratorINS9_10device_ptrIcEEEEPS5_m14custom_greaterIcEEE10hipError_tT0_T1_T2_jT3_P12ihipStream_tbPNSt15iterator_traitsISJ_E10value_typeEPNSP_ISK_E10value_typeEPSL_NS1_7vsmem_tEENKUlT_SJ_SK_SL_E_clISE_PcSF_SF_EESI_SY_SJ_SK_SL_EUlSY_E1_NS1_11comp_targetILNS1_3genE10ELNS1_11target_archE1201ELNS1_3gpuE5ELNS1_3repE0EEENS1_36merge_oddeven_config_static_selectorELNS0_4arch9wavefront6targetE1EEEvSK_.kd
    .uniform_work_group_size: 1
    .uses_dynamic_stack: false
    .vgpr_count:     0
    .vgpr_spill_count: 0
    .wavefront_size: 64
  - .agpr_count:     0
    .args:
      - .offset:         0
        .size:           56
        .value_kind:     by_value
    .group_segment_fixed_size: 0
    .kernarg_segment_align: 8
    .kernarg_segment_size: 56
    .language:       OpenCL C
    .language_version:
      - 2
      - 0
    .max_flat_workgroup_size: 256
    .name:           _ZN7rocprim17ROCPRIM_400000_NS6detail17trampoline_kernelINS0_14default_configENS1_38merge_sort_block_merge_config_selectorIcNS0_10empty_typeEEEZZNS1_27merge_sort_block_merge_implIS3_N6thrust23THRUST_200600_302600_NS6detail15normal_iteratorINS9_10device_ptrIcEEEEPS5_m14custom_greaterIcEEE10hipError_tT0_T1_T2_jT3_P12ihipStream_tbPNSt15iterator_traitsISJ_E10value_typeEPNSP_ISK_E10value_typeEPSL_NS1_7vsmem_tEENKUlT_SJ_SK_SL_E_clISE_PcSF_SF_EESI_SY_SJ_SK_SL_EUlSY_E1_NS1_11comp_targetILNS1_3genE5ELNS1_11target_archE942ELNS1_3gpuE9ELNS1_3repE0EEENS1_36merge_oddeven_config_static_selectorELNS0_4arch9wavefront6targetE1EEEvSK_
    .private_segment_fixed_size: 0
    .sgpr_count:     4
    .sgpr_spill_count: 0
    .symbol:         _ZN7rocprim17ROCPRIM_400000_NS6detail17trampoline_kernelINS0_14default_configENS1_38merge_sort_block_merge_config_selectorIcNS0_10empty_typeEEEZZNS1_27merge_sort_block_merge_implIS3_N6thrust23THRUST_200600_302600_NS6detail15normal_iteratorINS9_10device_ptrIcEEEEPS5_m14custom_greaterIcEEE10hipError_tT0_T1_T2_jT3_P12ihipStream_tbPNSt15iterator_traitsISJ_E10value_typeEPNSP_ISK_E10value_typeEPSL_NS1_7vsmem_tEENKUlT_SJ_SK_SL_E_clISE_PcSF_SF_EESI_SY_SJ_SK_SL_EUlSY_E1_NS1_11comp_targetILNS1_3genE5ELNS1_11target_archE942ELNS1_3gpuE9ELNS1_3repE0EEENS1_36merge_oddeven_config_static_selectorELNS0_4arch9wavefront6targetE1EEEvSK_.kd
    .uniform_work_group_size: 1
    .uses_dynamic_stack: false
    .vgpr_count:     0
    .vgpr_spill_count: 0
    .wavefront_size: 64
  - .agpr_count:     0
    .args:
      - .offset:         0
        .size:           56
        .value_kind:     by_value
    .group_segment_fixed_size: 0
    .kernarg_segment_align: 8
    .kernarg_segment_size: 56
    .language:       OpenCL C
    .language_version:
      - 2
      - 0
    .max_flat_workgroup_size: 256
    .name:           _ZN7rocprim17ROCPRIM_400000_NS6detail17trampoline_kernelINS0_14default_configENS1_38merge_sort_block_merge_config_selectorIcNS0_10empty_typeEEEZZNS1_27merge_sort_block_merge_implIS3_N6thrust23THRUST_200600_302600_NS6detail15normal_iteratorINS9_10device_ptrIcEEEEPS5_m14custom_greaterIcEEE10hipError_tT0_T1_T2_jT3_P12ihipStream_tbPNSt15iterator_traitsISJ_E10value_typeEPNSP_ISK_E10value_typeEPSL_NS1_7vsmem_tEENKUlT_SJ_SK_SL_E_clISE_PcSF_SF_EESI_SY_SJ_SK_SL_EUlSY_E1_NS1_11comp_targetILNS1_3genE4ELNS1_11target_archE910ELNS1_3gpuE8ELNS1_3repE0EEENS1_36merge_oddeven_config_static_selectorELNS0_4arch9wavefront6targetE1EEEvSK_
    .private_segment_fixed_size: 0
    .sgpr_count:     24
    .sgpr_spill_count: 0
    .symbol:         _ZN7rocprim17ROCPRIM_400000_NS6detail17trampoline_kernelINS0_14default_configENS1_38merge_sort_block_merge_config_selectorIcNS0_10empty_typeEEEZZNS1_27merge_sort_block_merge_implIS3_N6thrust23THRUST_200600_302600_NS6detail15normal_iteratorINS9_10device_ptrIcEEEEPS5_m14custom_greaterIcEEE10hipError_tT0_T1_T2_jT3_P12ihipStream_tbPNSt15iterator_traitsISJ_E10value_typeEPNSP_ISK_E10value_typeEPSL_NS1_7vsmem_tEENKUlT_SJ_SK_SL_E_clISE_PcSF_SF_EESI_SY_SJ_SK_SL_EUlSY_E1_NS1_11comp_targetILNS1_3genE4ELNS1_11target_archE910ELNS1_3gpuE8ELNS1_3repE0EEENS1_36merge_oddeven_config_static_selectorELNS0_4arch9wavefront6targetE1EEEvSK_.kd
    .uniform_work_group_size: 1
    .uses_dynamic_stack: false
    .vgpr_count:     8
    .vgpr_spill_count: 0
    .wavefront_size: 64
  - .agpr_count:     0
    .args:
      - .offset:         0
        .size:           56
        .value_kind:     by_value
    .group_segment_fixed_size: 0
    .kernarg_segment_align: 8
    .kernarg_segment_size: 56
    .language:       OpenCL C
    .language_version:
      - 2
      - 0
    .max_flat_workgroup_size: 256
    .name:           _ZN7rocprim17ROCPRIM_400000_NS6detail17trampoline_kernelINS0_14default_configENS1_38merge_sort_block_merge_config_selectorIcNS0_10empty_typeEEEZZNS1_27merge_sort_block_merge_implIS3_N6thrust23THRUST_200600_302600_NS6detail15normal_iteratorINS9_10device_ptrIcEEEEPS5_m14custom_greaterIcEEE10hipError_tT0_T1_T2_jT3_P12ihipStream_tbPNSt15iterator_traitsISJ_E10value_typeEPNSP_ISK_E10value_typeEPSL_NS1_7vsmem_tEENKUlT_SJ_SK_SL_E_clISE_PcSF_SF_EESI_SY_SJ_SK_SL_EUlSY_E1_NS1_11comp_targetILNS1_3genE3ELNS1_11target_archE908ELNS1_3gpuE7ELNS1_3repE0EEENS1_36merge_oddeven_config_static_selectorELNS0_4arch9wavefront6targetE1EEEvSK_
    .private_segment_fixed_size: 0
    .sgpr_count:     4
    .sgpr_spill_count: 0
    .symbol:         _ZN7rocprim17ROCPRIM_400000_NS6detail17trampoline_kernelINS0_14default_configENS1_38merge_sort_block_merge_config_selectorIcNS0_10empty_typeEEEZZNS1_27merge_sort_block_merge_implIS3_N6thrust23THRUST_200600_302600_NS6detail15normal_iteratorINS9_10device_ptrIcEEEEPS5_m14custom_greaterIcEEE10hipError_tT0_T1_T2_jT3_P12ihipStream_tbPNSt15iterator_traitsISJ_E10value_typeEPNSP_ISK_E10value_typeEPSL_NS1_7vsmem_tEENKUlT_SJ_SK_SL_E_clISE_PcSF_SF_EESI_SY_SJ_SK_SL_EUlSY_E1_NS1_11comp_targetILNS1_3genE3ELNS1_11target_archE908ELNS1_3gpuE7ELNS1_3repE0EEENS1_36merge_oddeven_config_static_selectorELNS0_4arch9wavefront6targetE1EEEvSK_.kd
    .uniform_work_group_size: 1
    .uses_dynamic_stack: false
    .vgpr_count:     0
    .vgpr_spill_count: 0
    .wavefront_size: 64
  - .agpr_count:     0
    .args:
      - .offset:         0
        .size:           56
        .value_kind:     by_value
    .group_segment_fixed_size: 0
    .kernarg_segment_align: 8
    .kernarg_segment_size: 56
    .language:       OpenCL C
    .language_version:
      - 2
      - 0
    .max_flat_workgroup_size: 256
    .name:           _ZN7rocprim17ROCPRIM_400000_NS6detail17trampoline_kernelINS0_14default_configENS1_38merge_sort_block_merge_config_selectorIcNS0_10empty_typeEEEZZNS1_27merge_sort_block_merge_implIS3_N6thrust23THRUST_200600_302600_NS6detail15normal_iteratorINS9_10device_ptrIcEEEEPS5_m14custom_greaterIcEEE10hipError_tT0_T1_T2_jT3_P12ihipStream_tbPNSt15iterator_traitsISJ_E10value_typeEPNSP_ISK_E10value_typeEPSL_NS1_7vsmem_tEENKUlT_SJ_SK_SL_E_clISE_PcSF_SF_EESI_SY_SJ_SK_SL_EUlSY_E1_NS1_11comp_targetILNS1_3genE2ELNS1_11target_archE906ELNS1_3gpuE6ELNS1_3repE0EEENS1_36merge_oddeven_config_static_selectorELNS0_4arch9wavefront6targetE1EEEvSK_
    .private_segment_fixed_size: 0
    .sgpr_count:     4
    .sgpr_spill_count: 0
    .symbol:         _ZN7rocprim17ROCPRIM_400000_NS6detail17trampoline_kernelINS0_14default_configENS1_38merge_sort_block_merge_config_selectorIcNS0_10empty_typeEEEZZNS1_27merge_sort_block_merge_implIS3_N6thrust23THRUST_200600_302600_NS6detail15normal_iteratorINS9_10device_ptrIcEEEEPS5_m14custom_greaterIcEEE10hipError_tT0_T1_T2_jT3_P12ihipStream_tbPNSt15iterator_traitsISJ_E10value_typeEPNSP_ISK_E10value_typeEPSL_NS1_7vsmem_tEENKUlT_SJ_SK_SL_E_clISE_PcSF_SF_EESI_SY_SJ_SK_SL_EUlSY_E1_NS1_11comp_targetILNS1_3genE2ELNS1_11target_archE906ELNS1_3gpuE6ELNS1_3repE0EEENS1_36merge_oddeven_config_static_selectorELNS0_4arch9wavefront6targetE1EEEvSK_.kd
    .uniform_work_group_size: 1
    .uses_dynamic_stack: false
    .vgpr_count:     0
    .vgpr_spill_count: 0
    .wavefront_size: 64
  - .agpr_count:     0
    .args:
      - .offset:         0
        .size:           56
        .value_kind:     by_value
    .group_segment_fixed_size: 0
    .kernarg_segment_align: 8
    .kernarg_segment_size: 56
    .language:       OpenCL C
    .language_version:
      - 2
      - 0
    .max_flat_workgroup_size: 256
    .name:           _ZN7rocprim17ROCPRIM_400000_NS6detail17trampoline_kernelINS0_14default_configENS1_38merge_sort_block_merge_config_selectorIcNS0_10empty_typeEEEZZNS1_27merge_sort_block_merge_implIS3_N6thrust23THRUST_200600_302600_NS6detail15normal_iteratorINS9_10device_ptrIcEEEEPS5_m14custom_greaterIcEEE10hipError_tT0_T1_T2_jT3_P12ihipStream_tbPNSt15iterator_traitsISJ_E10value_typeEPNSP_ISK_E10value_typeEPSL_NS1_7vsmem_tEENKUlT_SJ_SK_SL_E_clISE_PcSF_SF_EESI_SY_SJ_SK_SL_EUlSY_E1_NS1_11comp_targetILNS1_3genE9ELNS1_11target_archE1100ELNS1_3gpuE3ELNS1_3repE0EEENS1_36merge_oddeven_config_static_selectorELNS0_4arch9wavefront6targetE1EEEvSK_
    .private_segment_fixed_size: 0
    .sgpr_count:     4
    .sgpr_spill_count: 0
    .symbol:         _ZN7rocprim17ROCPRIM_400000_NS6detail17trampoline_kernelINS0_14default_configENS1_38merge_sort_block_merge_config_selectorIcNS0_10empty_typeEEEZZNS1_27merge_sort_block_merge_implIS3_N6thrust23THRUST_200600_302600_NS6detail15normal_iteratorINS9_10device_ptrIcEEEEPS5_m14custom_greaterIcEEE10hipError_tT0_T1_T2_jT3_P12ihipStream_tbPNSt15iterator_traitsISJ_E10value_typeEPNSP_ISK_E10value_typeEPSL_NS1_7vsmem_tEENKUlT_SJ_SK_SL_E_clISE_PcSF_SF_EESI_SY_SJ_SK_SL_EUlSY_E1_NS1_11comp_targetILNS1_3genE9ELNS1_11target_archE1100ELNS1_3gpuE3ELNS1_3repE0EEENS1_36merge_oddeven_config_static_selectorELNS0_4arch9wavefront6targetE1EEEvSK_.kd
    .uniform_work_group_size: 1
    .uses_dynamic_stack: false
    .vgpr_count:     0
    .vgpr_spill_count: 0
    .wavefront_size: 64
  - .agpr_count:     0
    .args:
      - .offset:         0
        .size:           56
        .value_kind:     by_value
    .group_segment_fixed_size: 0
    .kernarg_segment_align: 8
    .kernarg_segment_size: 56
    .language:       OpenCL C
    .language_version:
      - 2
      - 0
    .max_flat_workgroup_size: 256
    .name:           _ZN7rocprim17ROCPRIM_400000_NS6detail17trampoline_kernelINS0_14default_configENS1_38merge_sort_block_merge_config_selectorIcNS0_10empty_typeEEEZZNS1_27merge_sort_block_merge_implIS3_N6thrust23THRUST_200600_302600_NS6detail15normal_iteratorINS9_10device_ptrIcEEEEPS5_m14custom_greaterIcEEE10hipError_tT0_T1_T2_jT3_P12ihipStream_tbPNSt15iterator_traitsISJ_E10value_typeEPNSP_ISK_E10value_typeEPSL_NS1_7vsmem_tEENKUlT_SJ_SK_SL_E_clISE_PcSF_SF_EESI_SY_SJ_SK_SL_EUlSY_E1_NS1_11comp_targetILNS1_3genE8ELNS1_11target_archE1030ELNS1_3gpuE2ELNS1_3repE0EEENS1_36merge_oddeven_config_static_selectorELNS0_4arch9wavefront6targetE1EEEvSK_
    .private_segment_fixed_size: 0
    .sgpr_count:     4
    .sgpr_spill_count: 0
    .symbol:         _ZN7rocprim17ROCPRIM_400000_NS6detail17trampoline_kernelINS0_14default_configENS1_38merge_sort_block_merge_config_selectorIcNS0_10empty_typeEEEZZNS1_27merge_sort_block_merge_implIS3_N6thrust23THRUST_200600_302600_NS6detail15normal_iteratorINS9_10device_ptrIcEEEEPS5_m14custom_greaterIcEEE10hipError_tT0_T1_T2_jT3_P12ihipStream_tbPNSt15iterator_traitsISJ_E10value_typeEPNSP_ISK_E10value_typeEPSL_NS1_7vsmem_tEENKUlT_SJ_SK_SL_E_clISE_PcSF_SF_EESI_SY_SJ_SK_SL_EUlSY_E1_NS1_11comp_targetILNS1_3genE8ELNS1_11target_archE1030ELNS1_3gpuE2ELNS1_3repE0EEENS1_36merge_oddeven_config_static_selectorELNS0_4arch9wavefront6targetE1EEEvSK_.kd
    .uniform_work_group_size: 1
    .uses_dynamic_stack: false
    .vgpr_count:     0
    .vgpr_spill_count: 0
    .wavefront_size: 64
  - .agpr_count:     0
    .args:
      - .offset:         0
        .size:           40
        .value_kind:     by_value
    .group_segment_fixed_size: 0
    .kernarg_segment_align: 8
    .kernarg_segment_size: 40
    .language:       OpenCL C
    .language_version:
      - 2
      - 0
    .max_flat_workgroup_size: 128
    .name:           _ZN7rocprim17ROCPRIM_400000_NS6detail17trampoline_kernelINS0_14default_configENS1_25transform_config_selectorIcLb0EEEZNS1_14transform_implILb0ES3_S5_PcN6thrust23THRUST_200600_302600_NS6detail15normal_iteratorINS9_10device_ptrIcEEEENS0_8identityIcEEEE10hipError_tT2_T3_mT4_P12ihipStream_tbEUlT_E_NS1_11comp_targetILNS1_3genE0ELNS1_11target_archE4294967295ELNS1_3gpuE0ELNS1_3repE0EEENS1_30default_config_static_selectorELNS0_4arch9wavefront6targetE1EEEvT1_
    .private_segment_fixed_size: 0
    .sgpr_count:     4
    .sgpr_spill_count: 0
    .symbol:         _ZN7rocprim17ROCPRIM_400000_NS6detail17trampoline_kernelINS0_14default_configENS1_25transform_config_selectorIcLb0EEEZNS1_14transform_implILb0ES3_S5_PcN6thrust23THRUST_200600_302600_NS6detail15normal_iteratorINS9_10device_ptrIcEEEENS0_8identityIcEEEE10hipError_tT2_T3_mT4_P12ihipStream_tbEUlT_E_NS1_11comp_targetILNS1_3genE0ELNS1_11target_archE4294967295ELNS1_3gpuE0ELNS1_3repE0EEENS1_30default_config_static_selectorELNS0_4arch9wavefront6targetE1EEEvT1_.kd
    .uniform_work_group_size: 1
    .uses_dynamic_stack: false
    .vgpr_count:     0
    .vgpr_spill_count: 0
    .wavefront_size: 64
  - .agpr_count:     0
    .args:
      - .offset:         0
        .size:           40
        .value_kind:     by_value
    .group_segment_fixed_size: 0
    .kernarg_segment_align: 8
    .kernarg_segment_size: 40
    .language:       OpenCL C
    .language_version:
      - 2
      - 0
    .max_flat_workgroup_size: 1024
    .name:           _ZN7rocprim17ROCPRIM_400000_NS6detail17trampoline_kernelINS0_14default_configENS1_25transform_config_selectorIcLb0EEEZNS1_14transform_implILb0ES3_S5_PcN6thrust23THRUST_200600_302600_NS6detail15normal_iteratorINS9_10device_ptrIcEEEENS0_8identityIcEEEE10hipError_tT2_T3_mT4_P12ihipStream_tbEUlT_E_NS1_11comp_targetILNS1_3genE5ELNS1_11target_archE942ELNS1_3gpuE9ELNS1_3repE0EEENS1_30default_config_static_selectorELNS0_4arch9wavefront6targetE1EEEvT1_
    .private_segment_fixed_size: 0
    .sgpr_count:     4
    .sgpr_spill_count: 0
    .symbol:         _ZN7rocprim17ROCPRIM_400000_NS6detail17trampoline_kernelINS0_14default_configENS1_25transform_config_selectorIcLb0EEEZNS1_14transform_implILb0ES3_S5_PcN6thrust23THRUST_200600_302600_NS6detail15normal_iteratorINS9_10device_ptrIcEEEENS0_8identityIcEEEE10hipError_tT2_T3_mT4_P12ihipStream_tbEUlT_E_NS1_11comp_targetILNS1_3genE5ELNS1_11target_archE942ELNS1_3gpuE9ELNS1_3repE0EEENS1_30default_config_static_selectorELNS0_4arch9wavefront6targetE1EEEvT1_.kd
    .uniform_work_group_size: 1
    .uses_dynamic_stack: false
    .vgpr_count:     0
    .vgpr_spill_count: 0
    .wavefront_size: 64
  - .agpr_count:     0
    .args:
      - .offset:         0
        .size:           40
        .value_kind:     by_value
      - .offset:         40
        .size:           4
        .value_kind:     hidden_block_count_x
      - .offset:         44
        .size:           4
        .value_kind:     hidden_block_count_y
      - .offset:         48
        .size:           4
        .value_kind:     hidden_block_count_z
      - .offset:         52
        .size:           2
        .value_kind:     hidden_group_size_x
      - .offset:         54
        .size:           2
        .value_kind:     hidden_group_size_y
      - .offset:         56
        .size:           2
        .value_kind:     hidden_group_size_z
      - .offset:         58
        .size:           2
        .value_kind:     hidden_remainder_x
      - .offset:         60
        .size:           2
        .value_kind:     hidden_remainder_y
      - .offset:         62
        .size:           2
        .value_kind:     hidden_remainder_z
      - .offset:         80
        .size:           8
        .value_kind:     hidden_global_offset_x
      - .offset:         88
        .size:           8
        .value_kind:     hidden_global_offset_y
      - .offset:         96
        .size:           8
        .value_kind:     hidden_global_offset_z
      - .offset:         104
        .size:           2
        .value_kind:     hidden_grid_dims
    .group_segment_fixed_size: 0
    .kernarg_segment_align: 8
    .kernarg_segment_size: 296
    .language:       OpenCL C
    .language_version:
      - 2
      - 0
    .max_flat_workgroup_size: 64
    .name:           _ZN7rocprim17ROCPRIM_400000_NS6detail17trampoline_kernelINS0_14default_configENS1_25transform_config_selectorIcLb0EEEZNS1_14transform_implILb0ES3_S5_PcN6thrust23THRUST_200600_302600_NS6detail15normal_iteratorINS9_10device_ptrIcEEEENS0_8identityIcEEEE10hipError_tT2_T3_mT4_P12ihipStream_tbEUlT_E_NS1_11comp_targetILNS1_3genE4ELNS1_11target_archE910ELNS1_3gpuE8ELNS1_3repE0EEENS1_30default_config_static_selectorELNS0_4arch9wavefront6targetE1EEEvT1_
    .private_segment_fixed_size: 0
    .sgpr_count:     46
    .sgpr_spill_count: 0
    .symbol:         _ZN7rocprim17ROCPRIM_400000_NS6detail17trampoline_kernelINS0_14default_configENS1_25transform_config_selectorIcLb0EEEZNS1_14transform_implILb0ES3_S5_PcN6thrust23THRUST_200600_302600_NS6detail15normal_iteratorINS9_10device_ptrIcEEEENS0_8identityIcEEEE10hipError_tT2_T3_mT4_P12ihipStream_tbEUlT_E_NS1_11comp_targetILNS1_3genE4ELNS1_11target_archE910ELNS1_3gpuE8ELNS1_3repE0EEENS1_30default_config_static_selectorELNS0_4arch9wavefront6targetE1EEEvT1_.kd
    .uniform_work_group_size: 1
    .uses_dynamic_stack: false
    .vgpr_count:     19
    .vgpr_spill_count: 0
    .wavefront_size: 64
  - .agpr_count:     0
    .args:
      - .offset:         0
        .size:           40
        .value_kind:     by_value
    .group_segment_fixed_size: 0
    .kernarg_segment_align: 8
    .kernarg_segment_size: 40
    .language:       OpenCL C
    .language_version:
      - 2
      - 0
    .max_flat_workgroup_size: 128
    .name:           _ZN7rocprim17ROCPRIM_400000_NS6detail17trampoline_kernelINS0_14default_configENS1_25transform_config_selectorIcLb0EEEZNS1_14transform_implILb0ES3_S5_PcN6thrust23THRUST_200600_302600_NS6detail15normal_iteratorINS9_10device_ptrIcEEEENS0_8identityIcEEEE10hipError_tT2_T3_mT4_P12ihipStream_tbEUlT_E_NS1_11comp_targetILNS1_3genE3ELNS1_11target_archE908ELNS1_3gpuE7ELNS1_3repE0EEENS1_30default_config_static_selectorELNS0_4arch9wavefront6targetE1EEEvT1_
    .private_segment_fixed_size: 0
    .sgpr_count:     4
    .sgpr_spill_count: 0
    .symbol:         _ZN7rocprim17ROCPRIM_400000_NS6detail17trampoline_kernelINS0_14default_configENS1_25transform_config_selectorIcLb0EEEZNS1_14transform_implILb0ES3_S5_PcN6thrust23THRUST_200600_302600_NS6detail15normal_iteratorINS9_10device_ptrIcEEEENS0_8identityIcEEEE10hipError_tT2_T3_mT4_P12ihipStream_tbEUlT_E_NS1_11comp_targetILNS1_3genE3ELNS1_11target_archE908ELNS1_3gpuE7ELNS1_3repE0EEENS1_30default_config_static_selectorELNS0_4arch9wavefront6targetE1EEEvT1_.kd
    .uniform_work_group_size: 1
    .uses_dynamic_stack: false
    .vgpr_count:     0
    .vgpr_spill_count: 0
    .wavefront_size: 64
  - .agpr_count:     0
    .args:
      - .offset:         0
        .size:           40
        .value_kind:     by_value
    .group_segment_fixed_size: 0
    .kernarg_segment_align: 8
    .kernarg_segment_size: 40
    .language:       OpenCL C
    .language_version:
      - 2
      - 0
    .max_flat_workgroup_size: 64
    .name:           _ZN7rocprim17ROCPRIM_400000_NS6detail17trampoline_kernelINS0_14default_configENS1_25transform_config_selectorIcLb0EEEZNS1_14transform_implILb0ES3_S5_PcN6thrust23THRUST_200600_302600_NS6detail15normal_iteratorINS9_10device_ptrIcEEEENS0_8identityIcEEEE10hipError_tT2_T3_mT4_P12ihipStream_tbEUlT_E_NS1_11comp_targetILNS1_3genE2ELNS1_11target_archE906ELNS1_3gpuE6ELNS1_3repE0EEENS1_30default_config_static_selectorELNS0_4arch9wavefront6targetE1EEEvT1_
    .private_segment_fixed_size: 0
    .sgpr_count:     4
    .sgpr_spill_count: 0
    .symbol:         _ZN7rocprim17ROCPRIM_400000_NS6detail17trampoline_kernelINS0_14default_configENS1_25transform_config_selectorIcLb0EEEZNS1_14transform_implILb0ES3_S5_PcN6thrust23THRUST_200600_302600_NS6detail15normal_iteratorINS9_10device_ptrIcEEEENS0_8identityIcEEEE10hipError_tT2_T3_mT4_P12ihipStream_tbEUlT_E_NS1_11comp_targetILNS1_3genE2ELNS1_11target_archE906ELNS1_3gpuE6ELNS1_3repE0EEENS1_30default_config_static_selectorELNS0_4arch9wavefront6targetE1EEEvT1_.kd
    .uniform_work_group_size: 1
    .uses_dynamic_stack: false
    .vgpr_count:     0
    .vgpr_spill_count: 0
    .wavefront_size: 64
  - .agpr_count:     0
    .args:
      - .offset:         0
        .size:           40
        .value_kind:     by_value
    .group_segment_fixed_size: 0
    .kernarg_segment_align: 8
    .kernarg_segment_size: 40
    .language:       OpenCL C
    .language_version:
      - 2
      - 0
    .max_flat_workgroup_size: 256
    .name:           _ZN7rocprim17ROCPRIM_400000_NS6detail17trampoline_kernelINS0_14default_configENS1_25transform_config_selectorIcLb0EEEZNS1_14transform_implILb0ES3_S5_PcN6thrust23THRUST_200600_302600_NS6detail15normal_iteratorINS9_10device_ptrIcEEEENS0_8identityIcEEEE10hipError_tT2_T3_mT4_P12ihipStream_tbEUlT_E_NS1_11comp_targetILNS1_3genE10ELNS1_11target_archE1201ELNS1_3gpuE5ELNS1_3repE0EEENS1_30default_config_static_selectorELNS0_4arch9wavefront6targetE1EEEvT1_
    .private_segment_fixed_size: 0
    .sgpr_count:     4
    .sgpr_spill_count: 0
    .symbol:         _ZN7rocprim17ROCPRIM_400000_NS6detail17trampoline_kernelINS0_14default_configENS1_25transform_config_selectorIcLb0EEEZNS1_14transform_implILb0ES3_S5_PcN6thrust23THRUST_200600_302600_NS6detail15normal_iteratorINS9_10device_ptrIcEEEENS0_8identityIcEEEE10hipError_tT2_T3_mT4_P12ihipStream_tbEUlT_E_NS1_11comp_targetILNS1_3genE10ELNS1_11target_archE1201ELNS1_3gpuE5ELNS1_3repE0EEENS1_30default_config_static_selectorELNS0_4arch9wavefront6targetE1EEEvT1_.kd
    .uniform_work_group_size: 1
    .uses_dynamic_stack: false
    .vgpr_count:     0
    .vgpr_spill_count: 0
    .wavefront_size: 64
  - .agpr_count:     0
    .args:
      - .offset:         0
        .size:           40
        .value_kind:     by_value
    .group_segment_fixed_size: 0
    .kernarg_segment_align: 8
    .kernarg_segment_size: 40
    .language:       OpenCL C
    .language_version:
      - 2
      - 0
    .max_flat_workgroup_size: 256
    .name:           _ZN7rocprim17ROCPRIM_400000_NS6detail17trampoline_kernelINS0_14default_configENS1_25transform_config_selectorIcLb0EEEZNS1_14transform_implILb0ES3_S5_PcN6thrust23THRUST_200600_302600_NS6detail15normal_iteratorINS9_10device_ptrIcEEEENS0_8identityIcEEEE10hipError_tT2_T3_mT4_P12ihipStream_tbEUlT_E_NS1_11comp_targetILNS1_3genE10ELNS1_11target_archE1200ELNS1_3gpuE4ELNS1_3repE0EEENS1_30default_config_static_selectorELNS0_4arch9wavefront6targetE1EEEvT1_
    .private_segment_fixed_size: 0
    .sgpr_count:     4
    .sgpr_spill_count: 0
    .symbol:         _ZN7rocprim17ROCPRIM_400000_NS6detail17trampoline_kernelINS0_14default_configENS1_25transform_config_selectorIcLb0EEEZNS1_14transform_implILb0ES3_S5_PcN6thrust23THRUST_200600_302600_NS6detail15normal_iteratorINS9_10device_ptrIcEEEENS0_8identityIcEEEE10hipError_tT2_T3_mT4_P12ihipStream_tbEUlT_E_NS1_11comp_targetILNS1_3genE10ELNS1_11target_archE1200ELNS1_3gpuE4ELNS1_3repE0EEENS1_30default_config_static_selectorELNS0_4arch9wavefront6targetE1EEEvT1_.kd
    .uniform_work_group_size: 1
    .uses_dynamic_stack: false
    .vgpr_count:     0
    .vgpr_spill_count: 0
    .wavefront_size: 64
  - .agpr_count:     0
    .args:
      - .offset:         0
        .size:           40
        .value_kind:     by_value
    .group_segment_fixed_size: 0
    .kernarg_segment_align: 8
    .kernarg_segment_size: 40
    .language:       OpenCL C
    .language_version:
      - 2
      - 0
    .max_flat_workgroup_size: 1024
    .name:           _ZN7rocprim17ROCPRIM_400000_NS6detail17trampoline_kernelINS0_14default_configENS1_25transform_config_selectorIcLb0EEEZNS1_14transform_implILb0ES3_S5_PcN6thrust23THRUST_200600_302600_NS6detail15normal_iteratorINS9_10device_ptrIcEEEENS0_8identityIcEEEE10hipError_tT2_T3_mT4_P12ihipStream_tbEUlT_E_NS1_11comp_targetILNS1_3genE9ELNS1_11target_archE1100ELNS1_3gpuE3ELNS1_3repE0EEENS1_30default_config_static_selectorELNS0_4arch9wavefront6targetE1EEEvT1_
    .private_segment_fixed_size: 0
    .sgpr_count:     4
    .sgpr_spill_count: 0
    .symbol:         _ZN7rocprim17ROCPRIM_400000_NS6detail17trampoline_kernelINS0_14default_configENS1_25transform_config_selectorIcLb0EEEZNS1_14transform_implILb0ES3_S5_PcN6thrust23THRUST_200600_302600_NS6detail15normal_iteratorINS9_10device_ptrIcEEEENS0_8identityIcEEEE10hipError_tT2_T3_mT4_P12ihipStream_tbEUlT_E_NS1_11comp_targetILNS1_3genE9ELNS1_11target_archE1100ELNS1_3gpuE3ELNS1_3repE0EEENS1_30default_config_static_selectorELNS0_4arch9wavefront6targetE1EEEvT1_.kd
    .uniform_work_group_size: 1
    .uses_dynamic_stack: false
    .vgpr_count:     0
    .vgpr_spill_count: 0
    .wavefront_size: 64
  - .agpr_count:     0
    .args:
      - .offset:         0
        .size:           40
        .value_kind:     by_value
    .group_segment_fixed_size: 0
    .kernarg_segment_align: 8
    .kernarg_segment_size: 40
    .language:       OpenCL C
    .language_version:
      - 2
      - 0
    .max_flat_workgroup_size: 128
    .name:           _ZN7rocprim17ROCPRIM_400000_NS6detail17trampoline_kernelINS0_14default_configENS1_25transform_config_selectorIcLb0EEEZNS1_14transform_implILb0ES3_S5_PcN6thrust23THRUST_200600_302600_NS6detail15normal_iteratorINS9_10device_ptrIcEEEENS0_8identityIcEEEE10hipError_tT2_T3_mT4_P12ihipStream_tbEUlT_E_NS1_11comp_targetILNS1_3genE8ELNS1_11target_archE1030ELNS1_3gpuE2ELNS1_3repE0EEENS1_30default_config_static_selectorELNS0_4arch9wavefront6targetE1EEEvT1_
    .private_segment_fixed_size: 0
    .sgpr_count:     4
    .sgpr_spill_count: 0
    .symbol:         _ZN7rocprim17ROCPRIM_400000_NS6detail17trampoline_kernelINS0_14default_configENS1_25transform_config_selectorIcLb0EEEZNS1_14transform_implILb0ES3_S5_PcN6thrust23THRUST_200600_302600_NS6detail15normal_iteratorINS9_10device_ptrIcEEEENS0_8identityIcEEEE10hipError_tT2_T3_mT4_P12ihipStream_tbEUlT_E_NS1_11comp_targetILNS1_3genE8ELNS1_11target_archE1030ELNS1_3gpuE2ELNS1_3repE0EEENS1_30default_config_static_selectorELNS0_4arch9wavefront6targetE1EEEvT1_.kd
    .uniform_work_group_size: 1
    .uses_dynamic_stack: false
    .vgpr_count:     0
    .vgpr_spill_count: 0
    .wavefront_size: 64
  - .agpr_count:     0
    .args:           []
    .group_segment_fixed_size: 0
    .kernarg_segment_align: 4
    .kernarg_segment_size: 0
    .language:       OpenCL C
    .language_version:
      - 2
      - 0
    .max_flat_workgroup_size: 1024
    .name:           _ZN7rocprim17ROCPRIM_400000_NS6detail44device_merge_sort_compile_time_verifier_archINS1_11comp_targetILNS1_3genE0ELNS1_11target_archE4294967295ELNS1_3gpuE0ELNS1_3repE0EEES8_NS0_14default_configES9_NS1_37merge_sort_block_sort_config_selectorIaNS0_10empty_typeEEENS1_38merge_sort_block_merge_config_selectorIaSB_EEEEvv
    .private_segment_fixed_size: 0
    .sgpr_count:     4
    .sgpr_spill_count: 0
    .symbol:         _ZN7rocprim17ROCPRIM_400000_NS6detail44device_merge_sort_compile_time_verifier_archINS1_11comp_targetILNS1_3genE0ELNS1_11target_archE4294967295ELNS1_3gpuE0ELNS1_3repE0EEES8_NS0_14default_configES9_NS1_37merge_sort_block_sort_config_selectorIaNS0_10empty_typeEEENS1_38merge_sort_block_merge_config_selectorIaSB_EEEEvv.kd
    .uniform_work_group_size: 1
    .uses_dynamic_stack: false
    .vgpr_count:     0
    .vgpr_spill_count: 0
    .wavefront_size: 64
  - .agpr_count:     0
    .args:           []
    .group_segment_fixed_size: 0
    .kernarg_segment_align: 4
    .kernarg_segment_size: 0
    .language:       OpenCL C
    .language_version:
      - 2
      - 0
    .max_flat_workgroup_size: 1024
    .name:           _ZN7rocprim17ROCPRIM_400000_NS6detail44device_merge_sort_compile_time_verifier_archINS1_11comp_targetILNS1_3genE5ELNS1_11target_archE942ELNS1_3gpuE9ELNS1_3repE0EEES8_NS0_14default_configES9_NS1_37merge_sort_block_sort_config_selectorIaNS0_10empty_typeEEENS1_38merge_sort_block_merge_config_selectorIaSB_EEEEvv
    .private_segment_fixed_size: 0
    .sgpr_count:     4
    .sgpr_spill_count: 0
    .symbol:         _ZN7rocprim17ROCPRIM_400000_NS6detail44device_merge_sort_compile_time_verifier_archINS1_11comp_targetILNS1_3genE5ELNS1_11target_archE942ELNS1_3gpuE9ELNS1_3repE0EEES8_NS0_14default_configES9_NS1_37merge_sort_block_sort_config_selectorIaNS0_10empty_typeEEENS1_38merge_sort_block_merge_config_selectorIaSB_EEEEvv.kd
    .uniform_work_group_size: 1
    .uses_dynamic_stack: false
    .vgpr_count:     0
    .vgpr_spill_count: 0
    .wavefront_size: 64
  - .agpr_count:     0
    .args:           []
    .group_segment_fixed_size: 0
    .kernarg_segment_align: 4
    .kernarg_segment_size: 0
    .language:       OpenCL C
    .language_version:
      - 2
      - 0
    .max_flat_workgroup_size: 1024
    .name:           _ZN7rocprim17ROCPRIM_400000_NS6detail44device_merge_sort_compile_time_verifier_archINS1_11comp_targetILNS1_3genE4ELNS1_11target_archE910ELNS1_3gpuE8ELNS1_3repE0EEES8_NS0_14default_configES9_NS1_37merge_sort_block_sort_config_selectorIaNS0_10empty_typeEEENS1_38merge_sort_block_merge_config_selectorIaSB_EEEEvv
    .private_segment_fixed_size: 0
    .sgpr_count:     4
    .sgpr_spill_count: 0
    .symbol:         _ZN7rocprim17ROCPRIM_400000_NS6detail44device_merge_sort_compile_time_verifier_archINS1_11comp_targetILNS1_3genE4ELNS1_11target_archE910ELNS1_3gpuE8ELNS1_3repE0EEES8_NS0_14default_configES9_NS1_37merge_sort_block_sort_config_selectorIaNS0_10empty_typeEEENS1_38merge_sort_block_merge_config_selectorIaSB_EEEEvv.kd
    .uniform_work_group_size: 1
    .uses_dynamic_stack: false
    .vgpr_count:     0
    .vgpr_spill_count: 0
    .wavefront_size: 64
  - .agpr_count:     0
    .args:           []
    .group_segment_fixed_size: 0
    .kernarg_segment_align: 4
    .kernarg_segment_size: 0
    .language:       OpenCL C
    .language_version:
      - 2
      - 0
    .max_flat_workgroup_size: 1024
    .name:           _ZN7rocprim17ROCPRIM_400000_NS6detail44device_merge_sort_compile_time_verifier_archINS1_11comp_targetILNS1_3genE3ELNS1_11target_archE908ELNS1_3gpuE7ELNS1_3repE0EEES8_NS0_14default_configES9_NS1_37merge_sort_block_sort_config_selectorIaNS0_10empty_typeEEENS1_38merge_sort_block_merge_config_selectorIaSB_EEEEvv
    .private_segment_fixed_size: 0
    .sgpr_count:     4
    .sgpr_spill_count: 0
    .symbol:         _ZN7rocprim17ROCPRIM_400000_NS6detail44device_merge_sort_compile_time_verifier_archINS1_11comp_targetILNS1_3genE3ELNS1_11target_archE908ELNS1_3gpuE7ELNS1_3repE0EEES8_NS0_14default_configES9_NS1_37merge_sort_block_sort_config_selectorIaNS0_10empty_typeEEENS1_38merge_sort_block_merge_config_selectorIaSB_EEEEvv.kd
    .uniform_work_group_size: 1
    .uses_dynamic_stack: false
    .vgpr_count:     0
    .vgpr_spill_count: 0
    .wavefront_size: 64
  - .agpr_count:     0
    .args:           []
    .group_segment_fixed_size: 0
    .kernarg_segment_align: 4
    .kernarg_segment_size: 0
    .language:       OpenCL C
    .language_version:
      - 2
      - 0
    .max_flat_workgroup_size: 1024
    .name:           _ZN7rocprim17ROCPRIM_400000_NS6detail44device_merge_sort_compile_time_verifier_archINS1_11comp_targetILNS1_3genE2ELNS1_11target_archE906ELNS1_3gpuE6ELNS1_3repE0EEES8_NS0_14default_configES9_NS1_37merge_sort_block_sort_config_selectorIaNS0_10empty_typeEEENS1_38merge_sort_block_merge_config_selectorIaSB_EEEEvv
    .private_segment_fixed_size: 0
    .sgpr_count:     4
    .sgpr_spill_count: 0
    .symbol:         _ZN7rocprim17ROCPRIM_400000_NS6detail44device_merge_sort_compile_time_verifier_archINS1_11comp_targetILNS1_3genE2ELNS1_11target_archE906ELNS1_3gpuE6ELNS1_3repE0EEES8_NS0_14default_configES9_NS1_37merge_sort_block_sort_config_selectorIaNS0_10empty_typeEEENS1_38merge_sort_block_merge_config_selectorIaSB_EEEEvv.kd
    .uniform_work_group_size: 1
    .uses_dynamic_stack: false
    .vgpr_count:     0
    .vgpr_spill_count: 0
    .wavefront_size: 64
  - .agpr_count:     0
    .args:           []
    .group_segment_fixed_size: 0
    .kernarg_segment_align: 4
    .kernarg_segment_size: 0
    .language:       OpenCL C
    .language_version:
      - 2
      - 0
    .max_flat_workgroup_size: 1024
    .name:           _ZN7rocprim17ROCPRIM_400000_NS6detail44device_merge_sort_compile_time_verifier_archINS1_11comp_targetILNS1_3genE10ELNS1_11target_archE1201ELNS1_3gpuE5ELNS1_3repE0EEES8_NS0_14default_configES9_NS1_37merge_sort_block_sort_config_selectorIaNS0_10empty_typeEEENS1_38merge_sort_block_merge_config_selectorIaSB_EEEEvv
    .private_segment_fixed_size: 0
    .sgpr_count:     4
    .sgpr_spill_count: 0
    .symbol:         _ZN7rocprim17ROCPRIM_400000_NS6detail44device_merge_sort_compile_time_verifier_archINS1_11comp_targetILNS1_3genE10ELNS1_11target_archE1201ELNS1_3gpuE5ELNS1_3repE0EEES8_NS0_14default_configES9_NS1_37merge_sort_block_sort_config_selectorIaNS0_10empty_typeEEENS1_38merge_sort_block_merge_config_selectorIaSB_EEEEvv.kd
    .uniform_work_group_size: 1
    .uses_dynamic_stack: false
    .vgpr_count:     0
    .vgpr_spill_count: 0
    .wavefront_size: 64
  - .agpr_count:     0
    .args:           []
    .group_segment_fixed_size: 0
    .kernarg_segment_align: 4
    .kernarg_segment_size: 0
    .language:       OpenCL C
    .language_version:
      - 2
      - 0
    .max_flat_workgroup_size: 1024
    .name:           _ZN7rocprim17ROCPRIM_400000_NS6detail44device_merge_sort_compile_time_verifier_archINS1_11comp_targetILNS1_3genE10ELNS1_11target_archE1200ELNS1_3gpuE4ELNS1_3repE0EEENS3_ILS4_10ELS5_1201ELS6_5ELS7_0EEENS0_14default_configESA_NS1_37merge_sort_block_sort_config_selectorIaNS0_10empty_typeEEENS1_38merge_sort_block_merge_config_selectorIaSC_EEEEvv
    .private_segment_fixed_size: 0
    .sgpr_count:     4
    .sgpr_spill_count: 0
    .symbol:         _ZN7rocprim17ROCPRIM_400000_NS6detail44device_merge_sort_compile_time_verifier_archINS1_11comp_targetILNS1_3genE10ELNS1_11target_archE1200ELNS1_3gpuE4ELNS1_3repE0EEENS3_ILS4_10ELS5_1201ELS6_5ELS7_0EEENS0_14default_configESA_NS1_37merge_sort_block_sort_config_selectorIaNS0_10empty_typeEEENS1_38merge_sort_block_merge_config_selectorIaSC_EEEEvv.kd
    .uniform_work_group_size: 1
    .uses_dynamic_stack: false
    .vgpr_count:     0
    .vgpr_spill_count: 0
    .wavefront_size: 64
  - .agpr_count:     0
    .args:           []
    .group_segment_fixed_size: 0
    .kernarg_segment_align: 4
    .kernarg_segment_size: 0
    .language:       OpenCL C
    .language_version:
      - 2
      - 0
    .max_flat_workgroup_size: 1024
    .name:           _ZN7rocprim17ROCPRIM_400000_NS6detail44device_merge_sort_compile_time_verifier_archINS1_11comp_targetILNS1_3genE9ELNS1_11target_archE1100ELNS1_3gpuE3ELNS1_3repE0EEES8_NS0_14default_configES9_NS1_37merge_sort_block_sort_config_selectorIaNS0_10empty_typeEEENS1_38merge_sort_block_merge_config_selectorIaSB_EEEEvv
    .private_segment_fixed_size: 0
    .sgpr_count:     4
    .sgpr_spill_count: 0
    .symbol:         _ZN7rocprim17ROCPRIM_400000_NS6detail44device_merge_sort_compile_time_verifier_archINS1_11comp_targetILNS1_3genE9ELNS1_11target_archE1100ELNS1_3gpuE3ELNS1_3repE0EEES8_NS0_14default_configES9_NS1_37merge_sort_block_sort_config_selectorIaNS0_10empty_typeEEENS1_38merge_sort_block_merge_config_selectorIaSB_EEEEvv.kd
    .uniform_work_group_size: 1
    .uses_dynamic_stack: false
    .vgpr_count:     0
    .vgpr_spill_count: 0
    .wavefront_size: 64
  - .agpr_count:     0
    .args:           []
    .group_segment_fixed_size: 0
    .kernarg_segment_align: 4
    .kernarg_segment_size: 0
    .language:       OpenCL C
    .language_version:
      - 2
      - 0
    .max_flat_workgroup_size: 1024
    .name:           _ZN7rocprim17ROCPRIM_400000_NS6detail44device_merge_sort_compile_time_verifier_archINS1_11comp_targetILNS1_3genE8ELNS1_11target_archE1030ELNS1_3gpuE2ELNS1_3repE0EEES8_NS0_14default_configES9_NS1_37merge_sort_block_sort_config_selectorIaNS0_10empty_typeEEENS1_38merge_sort_block_merge_config_selectorIaSB_EEEEvv
    .private_segment_fixed_size: 0
    .sgpr_count:     4
    .sgpr_spill_count: 0
    .symbol:         _ZN7rocprim17ROCPRIM_400000_NS6detail44device_merge_sort_compile_time_verifier_archINS1_11comp_targetILNS1_3genE8ELNS1_11target_archE1030ELNS1_3gpuE2ELNS1_3repE0EEES8_NS0_14default_configES9_NS1_37merge_sort_block_sort_config_selectorIaNS0_10empty_typeEEENS1_38merge_sort_block_merge_config_selectorIaSB_EEEEvv.kd
    .uniform_work_group_size: 1
    .uses_dynamic_stack: false
    .vgpr_count:     0
    .vgpr_spill_count: 0
    .wavefront_size: 64
  - .agpr_count:     0
    .args:
      - .offset:         0
        .size:           64
        .value_kind:     by_value
    .group_segment_fixed_size: 0
    .kernarg_segment_align: 8
    .kernarg_segment_size: 64
    .language:       OpenCL C
    .language_version:
      - 2
      - 0
    .max_flat_workgroup_size: 256
    .name:           _ZN7rocprim17ROCPRIM_400000_NS6detail17trampoline_kernelINS0_14default_configENS1_37merge_sort_block_sort_config_selectorIaNS0_10empty_typeEEEZNS1_21merge_sort_block_sortIS3_N6thrust23THRUST_200600_302600_NS6detail15normal_iteratorINS9_10device_ptrIaEEEESE_PS5_SF_14custom_greaterIaEEE10hipError_tT0_T1_T2_T3_mRjT4_P12ihipStream_tbNS1_7vsmem_tEEUlT_E_NS1_11comp_targetILNS1_3genE0ELNS1_11target_archE4294967295ELNS1_3gpuE0ELNS1_3repE0EEENS1_30default_config_static_selectorELNS0_4arch9wavefront6targetE1EEEvSK_
    .private_segment_fixed_size: 0
    .sgpr_count:     4
    .sgpr_spill_count: 0
    .symbol:         _ZN7rocprim17ROCPRIM_400000_NS6detail17trampoline_kernelINS0_14default_configENS1_37merge_sort_block_sort_config_selectorIaNS0_10empty_typeEEEZNS1_21merge_sort_block_sortIS3_N6thrust23THRUST_200600_302600_NS6detail15normal_iteratorINS9_10device_ptrIaEEEESE_PS5_SF_14custom_greaterIaEEE10hipError_tT0_T1_T2_T3_mRjT4_P12ihipStream_tbNS1_7vsmem_tEEUlT_E_NS1_11comp_targetILNS1_3genE0ELNS1_11target_archE4294967295ELNS1_3gpuE0ELNS1_3repE0EEENS1_30default_config_static_selectorELNS0_4arch9wavefront6targetE1EEEvSK_.kd
    .uniform_work_group_size: 1
    .uses_dynamic_stack: false
    .vgpr_count:     0
    .vgpr_spill_count: 0
    .wavefront_size: 64
  - .agpr_count:     0
    .args:
      - .offset:         0
        .size:           64
        .value_kind:     by_value
    .group_segment_fixed_size: 0
    .kernarg_segment_align: 8
    .kernarg_segment_size: 64
    .language:       OpenCL C
    .language_version:
      - 2
      - 0
    .max_flat_workgroup_size: 256
    .name:           _ZN7rocprim17ROCPRIM_400000_NS6detail17trampoline_kernelINS0_14default_configENS1_37merge_sort_block_sort_config_selectorIaNS0_10empty_typeEEEZNS1_21merge_sort_block_sortIS3_N6thrust23THRUST_200600_302600_NS6detail15normal_iteratorINS9_10device_ptrIaEEEESE_PS5_SF_14custom_greaterIaEEE10hipError_tT0_T1_T2_T3_mRjT4_P12ihipStream_tbNS1_7vsmem_tEEUlT_E_NS1_11comp_targetILNS1_3genE5ELNS1_11target_archE942ELNS1_3gpuE9ELNS1_3repE0EEENS1_30default_config_static_selectorELNS0_4arch9wavefront6targetE1EEEvSK_
    .private_segment_fixed_size: 0
    .sgpr_count:     4
    .sgpr_spill_count: 0
    .symbol:         _ZN7rocprim17ROCPRIM_400000_NS6detail17trampoline_kernelINS0_14default_configENS1_37merge_sort_block_sort_config_selectorIaNS0_10empty_typeEEEZNS1_21merge_sort_block_sortIS3_N6thrust23THRUST_200600_302600_NS6detail15normal_iteratorINS9_10device_ptrIaEEEESE_PS5_SF_14custom_greaterIaEEE10hipError_tT0_T1_T2_T3_mRjT4_P12ihipStream_tbNS1_7vsmem_tEEUlT_E_NS1_11comp_targetILNS1_3genE5ELNS1_11target_archE942ELNS1_3gpuE9ELNS1_3repE0EEENS1_30default_config_static_selectorELNS0_4arch9wavefront6targetE1EEEvSK_.kd
    .uniform_work_group_size: 1
    .uses_dynamic_stack: false
    .vgpr_count:     0
    .vgpr_spill_count: 0
    .wavefront_size: 64
  - .agpr_count:     0
    .args:
      - .offset:         0
        .size:           64
        .value_kind:     by_value
      - .offset:         64
        .size:           4
        .value_kind:     hidden_block_count_x
      - .offset:         68
        .size:           4
        .value_kind:     hidden_block_count_y
      - .offset:         72
        .size:           4
        .value_kind:     hidden_block_count_z
      - .offset:         76
        .size:           2
        .value_kind:     hidden_group_size_x
      - .offset:         78
        .size:           2
        .value_kind:     hidden_group_size_y
      - .offset:         80
        .size:           2
        .value_kind:     hidden_group_size_z
      - .offset:         82
        .size:           2
        .value_kind:     hidden_remainder_x
      - .offset:         84
        .size:           2
        .value_kind:     hidden_remainder_y
      - .offset:         86
        .size:           2
        .value_kind:     hidden_remainder_z
      - .offset:         104
        .size:           8
        .value_kind:     hidden_global_offset_x
      - .offset:         112
        .size:           8
        .value_kind:     hidden_global_offset_y
      - .offset:         120
        .size:           8
        .value_kind:     hidden_global_offset_z
      - .offset:         128
        .size:           2
        .value_kind:     hidden_grid_dims
      - .offset:         144
        .size:           8
        .value_kind:     hidden_hostcall_buffer
      - .offset:         152
        .size:           8
        .value_kind:     hidden_multigrid_sync_arg
      - .offset:         160
        .size:           8
        .value_kind:     hidden_heap_v1
      - .offset:         168
        .size:           8
        .value_kind:     hidden_default_queue
      - .offset:         176
        .size:           8
        .value_kind:     hidden_completion_action
      - .offset:         264
        .size:           8
        .value_kind:     hidden_queue_ptr
    .group_segment_fixed_size: 8448
    .kernarg_segment_align: 8
    .kernarg_segment_size: 320
    .language:       OpenCL C
    .language_version:
      - 2
      - 0
    .max_flat_workgroup_size: 256
    .name:           _ZN7rocprim17ROCPRIM_400000_NS6detail17trampoline_kernelINS0_14default_configENS1_37merge_sort_block_sort_config_selectorIaNS0_10empty_typeEEEZNS1_21merge_sort_block_sortIS3_N6thrust23THRUST_200600_302600_NS6detail15normal_iteratorINS9_10device_ptrIaEEEESE_PS5_SF_14custom_greaterIaEEE10hipError_tT0_T1_T2_T3_mRjT4_P12ihipStream_tbNS1_7vsmem_tEEUlT_E_NS1_11comp_targetILNS1_3genE4ELNS1_11target_archE910ELNS1_3gpuE8ELNS1_3repE0EEENS1_30default_config_static_selectorELNS0_4arch9wavefront6targetE1EEEvSK_
    .private_segment_fixed_size: 16
    .sgpr_count:     106
    .sgpr_spill_count: 0
    .symbol:         _ZN7rocprim17ROCPRIM_400000_NS6detail17trampoline_kernelINS0_14default_configENS1_37merge_sort_block_sort_config_selectorIaNS0_10empty_typeEEEZNS1_21merge_sort_block_sortIS3_N6thrust23THRUST_200600_302600_NS6detail15normal_iteratorINS9_10device_ptrIaEEEESE_PS5_SF_14custom_greaterIaEEE10hipError_tT0_T1_T2_T3_mRjT4_P12ihipStream_tbNS1_7vsmem_tEEUlT_E_NS1_11comp_targetILNS1_3genE4ELNS1_11target_archE910ELNS1_3gpuE8ELNS1_3repE0EEENS1_30default_config_static_selectorELNS0_4arch9wavefront6targetE1EEEvSK_.kd
    .uniform_work_group_size: 1
    .uses_dynamic_stack: false
    .vgpr_count:     152
    .vgpr_spill_count: 0
    .wavefront_size: 64
  - .agpr_count:     0
    .args:
      - .offset:         0
        .size:           64
        .value_kind:     by_value
    .group_segment_fixed_size: 0
    .kernarg_segment_align: 8
    .kernarg_segment_size: 64
    .language:       OpenCL C
    .language_version:
      - 2
      - 0
    .max_flat_workgroup_size: 256
    .name:           _ZN7rocprim17ROCPRIM_400000_NS6detail17trampoline_kernelINS0_14default_configENS1_37merge_sort_block_sort_config_selectorIaNS0_10empty_typeEEEZNS1_21merge_sort_block_sortIS3_N6thrust23THRUST_200600_302600_NS6detail15normal_iteratorINS9_10device_ptrIaEEEESE_PS5_SF_14custom_greaterIaEEE10hipError_tT0_T1_T2_T3_mRjT4_P12ihipStream_tbNS1_7vsmem_tEEUlT_E_NS1_11comp_targetILNS1_3genE3ELNS1_11target_archE908ELNS1_3gpuE7ELNS1_3repE0EEENS1_30default_config_static_selectorELNS0_4arch9wavefront6targetE1EEEvSK_
    .private_segment_fixed_size: 0
    .sgpr_count:     4
    .sgpr_spill_count: 0
    .symbol:         _ZN7rocprim17ROCPRIM_400000_NS6detail17trampoline_kernelINS0_14default_configENS1_37merge_sort_block_sort_config_selectorIaNS0_10empty_typeEEEZNS1_21merge_sort_block_sortIS3_N6thrust23THRUST_200600_302600_NS6detail15normal_iteratorINS9_10device_ptrIaEEEESE_PS5_SF_14custom_greaterIaEEE10hipError_tT0_T1_T2_T3_mRjT4_P12ihipStream_tbNS1_7vsmem_tEEUlT_E_NS1_11comp_targetILNS1_3genE3ELNS1_11target_archE908ELNS1_3gpuE7ELNS1_3repE0EEENS1_30default_config_static_selectorELNS0_4arch9wavefront6targetE1EEEvSK_.kd
    .uniform_work_group_size: 1
    .uses_dynamic_stack: false
    .vgpr_count:     0
    .vgpr_spill_count: 0
    .wavefront_size: 64
  - .agpr_count:     0
    .args:
      - .offset:         0
        .size:           64
        .value_kind:     by_value
    .group_segment_fixed_size: 0
    .kernarg_segment_align: 8
    .kernarg_segment_size: 64
    .language:       OpenCL C
    .language_version:
      - 2
      - 0
    .max_flat_workgroup_size: 256
    .name:           _ZN7rocprim17ROCPRIM_400000_NS6detail17trampoline_kernelINS0_14default_configENS1_37merge_sort_block_sort_config_selectorIaNS0_10empty_typeEEEZNS1_21merge_sort_block_sortIS3_N6thrust23THRUST_200600_302600_NS6detail15normal_iteratorINS9_10device_ptrIaEEEESE_PS5_SF_14custom_greaterIaEEE10hipError_tT0_T1_T2_T3_mRjT4_P12ihipStream_tbNS1_7vsmem_tEEUlT_E_NS1_11comp_targetILNS1_3genE2ELNS1_11target_archE906ELNS1_3gpuE6ELNS1_3repE0EEENS1_30default_config_static_selectorELNS0_4arch9wavefront6targetE1EEEvSK_
    .private_segment_fixed_size: 0
    .sgpr_count:     4
    .sgpr_spill_count: 0
    .symbol:         _ZN7rocprim17ROCPRIM_400000_NS6detail17trampoline_kernelINS0_14default_configENS1_37merge_sort_block_sort_config_selectorIaNS0_10empty_typeEEEZNS1_21merge_sort_block_sortIS3_N6thrust23THRUST_200600_302600_NS6detail15normal_iteratorINS9_10device_ptrIaEEEESE_PS5_SF_14custom_greaterIaEEE10hipError_tT0_T1_T2_T3_mRjT4_P12ihipStream_tbNS1_7vsmem_tEEUlT_E_NS1_11comp_targetILNS1_3genE2ELNS1_11target_archE906ELNS1_3gpuE6ELNS1_3repE0EEENS1_30default_config_static_selectorELNS0_4arch9wavefront6targetE1EEEvSK_.kd
    .uniform_work_group_size: 1
    .uses_dynamic_stack: false
    .vgpr_count:     0
    .vgpr_spill_count: 0
    .wavefront_size: 64
  - .agpr_count:     0
    .args:
      - .offset:         0
        .size:           64
        .value_kind:     by_value
    .group_segment_fixed_size: 0
    .kernarg_segment_align: 8
    .kernarg_segment_size: 64
    .language:       OpenCL C
    .language_version:
      - 2
      - 0
    .max_flat_workgroup_size: 256
    .name:           _ZN7rocprim17ROCPRIM_400000_NS6detail17trampoline_kernelINS0_14default_configENS1_37merge_sort_block_sort_config_selectorIaNS0_10empty_typeEEEZNS1_21merge_sort_block_sortIS3_N6thrust23THRUST_200600_302600_NS6detail15normal_iteratorINS9_10device_ptrIaEEEESE_PS5_SF_14custom_greaterIaEEE10hipError_tT0_T1_T2_T3_mRjT4_P12ihipStream_tbNS1_7vsmem_tEEUlT_E_NS1_11comp_targetILNS1_3genE10ELNS1_11target_archE1201ELNS1_3gpuE5ELNS1_3repE0EEENS1_30default_config_static_selectorELNS0_4arch9wavefront6targetE1EEEvSK_
    .private_segment_fixed_size: 0
    .sgpr_count:     4
    .sgpr_spill_count: 0
    .symbol:         _ZN7rocprim17ROCPRIM_400000_NS6detail17trampoline_kernelINS0_14default_configENS1_37merge_sort_block_sort_config_selectorIaNS0_10empty_typeEEEZNS1_21merge_sort_block_sortIS3_N6thrust23THRUST_200600_302600_NS6detail15normal_iteratorINS9_10device_ptrIaEEEESE_PS5_SF_14custom_greaterIaEEE10hipError_tT0_T1_T2_T3_mRjT4_P12ihipStream_tbNS1_7vsmem_tEEUlT_E_NS1_11comp_targetILNS1_3genE10ELNS1_11target_archE1201ELNS1_3gpuE5ELNS1_3repE0EEENS1_30default_config_static_selectorELNS0_4arch9wavefront6targetE1EEEvSK_.kd
    .uniform_work_group_size: 1
    .uses_dynamic_stack: false
    .vgpr_count:     0
    .vgpr_spill_count: 0
    .wavefront_size: 64
  - .agpr_count:     0
    .args:
      - .offset:         0
        .size:           64
        .value_kind:     by_value
    .group_segment_fixed_size: 0
    .kernarg_segment_align: 8
    .kernarg_segment_size: 64
    .language:       OpenCL C
    .language_version:
      - 2
      - 0
    .max_flat_workgroup_size: 256
    .name:           _ZN7rocprim17ROCPRIM_400000_NS6detail17trampoline_kernelINS0_14default_configENS1_37merge_sort_block_sort_config_selectorIaNS0_10empty_typeEEEZNS1_21merge_sort_block_sortIS3_N6thrust23THRUST_200600_302600_NS6detail15normal_iteratorINS9_10device_ptrIaEEEESE_PS5_SF_14custom_greaterIaEEE10hipError_tT0_T1_T2_T3_mRjT4_P12ihipStream_tbNS1_7vsmem_tEEUlT_E_NS1_11comp_targetILNS1_3genE10ELNS1_11target_archE1200ELNS1_3gpuE4ELNS1_3repE0EEENS1_30default_config_static_selectorELNS0_4arch9wavefront6targetE1EEEvSK_
    .private_segment_fixed_size: 0
    .sgpr_count:     4
    .sgpr_spill_count: 0
    .symbol:         _ZN7rocprim17ROCPRIM_400000_NS6detail17trampoline_kernelINS0_14default_configENS1_37merge_sort_block_sort_config_selectorIaNS0_10empty_typeEEEZNS1_21merge_sort_block_sortIS3_N6thrust23THRUST_200600_302600_NS6detail15normal_iteratorINS9_10device_ptrIaEEEESE_PS5_SF_14custom_greaterIaEEE10hipError_tT0_T1_T2_T3_mRjT4_P12ihipStream_tbNS1_7vsmem_tEEUlT_E_NS1_11comp_targetILNS1_3genE10ELNS1_11target_archE1200ELNS1_3gpuE4ELNS1_3repE0EEENS1_30default_config_static_selectorELNS0_4arch9wavefront6targetE1EEEvSK_.kd
    .uniform_work_group_size: 1
    .uses_dynamic_stack: false
    .vgpr_count:     0
    .vgpr_spill_count: 0
    .wavefront_size: 64
  - .agpr_count:     0
    .args:
      - .offset:         0
        .size:           64
        .value_kind:     by_value
    .group_segment_fixed_size: 0
    .kernarg_segment_align: 8
    .kernarg_segment_size: 64
    .language:       OpenCL C
    .language_version:
      - 2
      - 0
    .max_flat_workgroup_size: 256
    .name:           _ZN7rocprim17ROCPRIM_400000_NS6detail17trampoline_kernelINS0_14default_configENS1_37merge_sort_block_sort_config_selectorIaNS0_10empty_typeEEEZNS1_21merge_sort_block_sortIS3_N6thrust23THRUST_200600_302600_NS6detail15normal_iteratorINS9_10device_ptrIaEEEESE_PS5_SF_14custom_greaterIaEEE10hipError_tT0_T1_T2_T3_mRjT4_P12ihipStream_tbNS1_7vsmem_tEEUlT_E_NS1_11comp_targetILNS1_3genE9ELNS1_11target_archE1100ELNS1_3gpuE3ELNS1_3repE0EEENS1_30default_config_static_selectorELNS0_4arch9wavefront6targetE1EEEvSK_
    .private_segment_fixed_size: 0
    .sgpr_count:     4
    .sgpr_spill_count: 0
    .symbol:         _ZN7rocprim17ROCPRIM_400000_NS6detail17trampoline_kernelINS0_14default_configENS1_37merge_sort_block_sort_config_selectorIaNS0_10empty_typeEEEZNS1_21merge_sort_block_sortIS3_N6thrust23THRUST_200600_302600_NS6detail15normal_iteratorINS9_10device_ptrIaEEEESE_PS5_SF_14custom_greaterIaEEE10hipError_tT0_T1_T2_T3_mRjT4_P12ihipStream_tbNS1_7vsmem_tEEUlT_E_NS1_11comp_targetILNS1_3genE9ELNS1_11target_archE1100ELNS1_3gpuE3ELNS1_3repE0EEENS1_30default_config_static_selectorELNS0_4arch9wavefront6targetE1EEEvSK_.kd
    .uniform_work_group_size: 1
    .uses_dynamic_stack: false
    .vgpr_count:     0
    .vgpr_spill_count: 0
    .wavefront_size: 64
  - .agpr_count:     0
    .args:
      - .offset:         0
        .size:           64
        .value_kind:     by_value
    .group_segment_fixed_size: 0
    .kernarg_segment_align: 8
    .kernarg_segment_size: 64
    .language:       OpenCL C
    .language_version:
      - 2
      - 0
    .max_flat_workgroup_size: 256
    .name:           _ZN7rocprim17ROCPRIM_400000_NS6detail17trampoline_kernelINS0_14default_configENS1_37merge_sort_block_sort_config_selectorIaNS0_10empty_typeEEEZNS1_21merge_sort_block_sortIS3_N6thrust23THRUST_200600_302600_NS6detail15normal_iteratorINS9_10device_ptrIaEEEESE_PS5_SF_14custom_greaterIaEEE10hipError_tT0_T1_T2_T3_mRjT4_P12ihipStream_tbNS1_7vsmem_tEEUlT_E_NS1_11comp_targetILNS1_3genE8ELNS1_11target_archE1030ELNS1_3gpuE2ELNS1_3repE0EEENS1_30default_config_static_selectorELNS0_4arch9wavefront6targetE1EEEvSK_
    .private_segment_fixed_size: 0
    .sgpr_count:     4
    .sgpr_spill_count: 0
    .symbol:         _ZN7rocprim17ROCPRIM_400000_NS6detail17trampoline_kernelINS0_14default_configENS1_37merge_sort_block_sort_config_selectorIaNS0_10empty_typeEEEZNS1_21merge_sort_block_sortIS3_N6thrust23THRUST_200600_302600_NS6detail15normal_iteratorINS9_10device_ptrIaEEEESE_PS5_SF_14custom_greaterIaEEE10hipError_tT0_T1_T2_T3_mRjT4_P12ihipStream_tbNS1_7vsmem_tEEUlT_E_NS1_11comp_targetILNS1_3genE8ELNS1_11target_archE1030ELNS1_3gpuE2ELNS1_3repE0EEENS1_30default_config_static_selectorELNS0_4arch9wavefront6targetE1EEEvSK_.kd
    .uniform_work_group_size: 1
    .uses_dynamic_stack: false
    .vgpr_count:     0
    .vgpr_spill_count: 0
    .wavefront_size: 64
  - .agpr_count:     0
    .args:
      - .offset:         0
        .size:           48
        .value_kind:     by_value
    .group_segment_fixed_size: 0
    .kernarg_segment_align: 8
    .kernarg_segment_size: 48
    .language:       OpenCL C
    .language_version:
      - 2
      - 0
    .max_flat_workgroup_size: 128
    .name:           _ZN7rocprim17ROCPRIM_400000_NS6detail17trampoline_kernelINS0_14default_configENS1_38merge_sort_block_merge_config_selectorIaNS0_10empty_typeEEEZZNS1_27merge_sort_block_merge_implIS3_N6thrust23THRUST_200600_302600_NS6detail15normal_iteratorINS9_10device_ptrIaEEEEPS5_m14custom_greaterIaEEE10hipError_tT0_T1_T2_jT3_P12ihipStream_tbPNSt15iterator_traitsISJ_E10value_typeEPNSP_ISK_E10value_typeEPSL_NS1_7vsmem_tEENKUlT_SJ_SK_SL_E_clIPaSE_SF_SF_EESI_SY_SJ_SK_SL_EUlSY_E_NS1_11comp_targetILNS1_3genE0ELNS1_11target_archE4294967295ELNS1_3gpuE0ELNS1_3repE0EEENS1_48merge_mergepath_partition_config_static_selectorELNS0_4arch9wavefront6targetE1EEEvSK_
    .private_segment_fixed_size: 0
    .sgpr_count:     4
    .sgpr_spill_count: 0
    .symbol:         _ZN7rocprim17ROCPRIM_400000_NS6detail17trampoline_kernelINS0_14default_configENS1_38merge_sort_block_merge_config_selectorIaNS0_10empty_typeEEEZZNS1_27merge_sort_block_merge_implIS3_N6thrust23THRUST_200600_302600_NS6detail15normal_iteratorINS9_10device_ptrIaEEEEPS5_m14custom_greaterIaEEE10hipError_tT0_T1_T2_jT3_P12ihipStream_tbPNSt15iterator_traitsISJ_E10value_typeEPNSP_ISK_E10value_typeEPSL_NS1_7vsmem_tEENKUlT_SJ_SK_SL_E_clIPaSE_SF_SF_EESI_SY_SJ_SK_SL_EUlSY_E_NS1_11comp_targetILNS1_3genE0ELNS1_11target_archE4294967295ELNS1_3gpuE0ELNS1_3repE0EEENS1_48merge_mergepath_partition_config_static_selectorELNS0_4arch9wavefront6targetE1EEEvSK_.kd
    .uniform_work_group_size: 1
    .uses_dynamic_stack: false
    .vgpr_count:     0
    .vgpr_spill_count: 0
    .wavefront_size: 64
  - .agpr_count:     0
    .args:
      - .offset:         0
        .size:           48
        .value_kind:     by_value
    .group_segment_fixed_size: 0
    .kernarg_segment_align: 8
    .kernarg_segment_size: 48
    .language:       OpenCL C
    .language_version:
      - 2
      - 0
    .max_flat_workgroup_size: 128
    .name:           _ZN7rocprim17ROCPRIM_400000_NS6detail17trampoline_kernelINS0_14default_configENS1_38merge_sort_block_merge_config_selectorIaNS0_10empty_typeEEEZZNS1_27merge_sort_block_merge_implIS3_N6thrust23THRUST_200600_302600_NS6detail15normal_iteratorINS9_10device_ptrIaEEEEPS5_m14custom_greaterIaEEE10hipError_tT0_T1_T2_jT3_P12ihipStream_tbPNSt15iterator_traitsISJ_E10value_typeEPNSP_ISK_E10value_typeEPSL_NS1_7vsmem_tEENKUlT_SJ_SK_SL_E_clIPaSE_SF_SF_EESI_SY_SJ_SK_SL_EUlSY_E_NS1_11comp_targetILNS1_3genE10ELNS1_11target_archE1201ELNS1_3gpuE5ELNS1_3repE0EEENS1_48merge_mergepath_partition_config_static_selectorELNS0_4arch9wavefront6targetE1EEEvSK_
    .private_segment_fixed_size: 0
    .sgpr_count:     4
    .sgpr_spill_count: 0
    .symbol:         _ZN7rocprim17ROCPRIM_400000_NS6detail17trampoline_kernelINS0_14default_configENS1_38merge_sort_block_merge_config_selectorIaNS0_10empty_typeEEEZZNS1_27merge_sort_block_merge_implIS3_N6thrust23THRUST_200600_302600_NS6detail15normal_iteratorINS9_10device_ptrIaEEEEPS5_m14custom_greaterIaEEE10hipError_tT0_T1_T2_jT3_P12ihipStream_tbPNSt15iterator_traitsISJ_E10value_typeEPNSP_ISK_E10value_typeEPSL_NS1_7vsmem_tEENKUlT_SJ_SK_SL_E_clIPaSE_SF_SF_EESI_SY_SJ_SK_SL_EUlSY_E_NS1_11comp_targetILNS1_3genE10ELNS1_11target_archE1201ELNS1_3gpuE5ELNS1_3repE0EEENS1_48merge_mergepath_partition_config_static_selectorELNS0_4arch9wavefront6targetE1EEEvSK_.kd
    .uniform_work_group_size: 1
    .uses_dynamic_stack: false
    .vgpr_count:     0
    .vgpr_spill_count: 0
    .wavefront_size: 64
  - .agpr_count:     0
    .args:
      - .offset:         0
        .size:           48
        .value_kind:     by_value
    .group_segment_fixed_size: 0
    .kernarg_segment_align: 8
    .kernarg_segment_size: 48
    .language:       OpenCL C
    .language_version:
      - 2
      - 0
    .max_flat_workgroup_size: 128
    .name:           _ZN7rocprim17ROCPRIM_400000_NS6detail17trampoline_kernelINS0_14default_configENS1_38merge_sort_block_merge_config_selectorIaNS0_10empty_typeEEEZZNS1_27merge_sort_block_merge_implIS3_N6thrust23THRUST_200600_302600_NS6detail15normal_iteratorINS9_10device_ptrIaEEEEPS5_m14custom_greaterIaEEE10hipError_tT0_T1_T2_jT3_P12ihipStream_tbPNSt15iterator_traitsISJ_E10value_typeEPNSP_ISK_E10value_typeEPSL_NS1_7vsmem_tEENKUlT_SJ_SK_SL_E_clIPaSE_SF_SF_EESI_SY_SJ_SK_SL_EUlSY_E_NS1_11comp_targetILNS1_3genE5ELNS1_11target_archE942ELNS1_3gpuE9ELNS1_3repE0EEENS1_48merge_mergepath_partition_config_static_selectorELNS0_4arch9wavefront6targetE1EEEvSK_
    .private_segment_fixed_size: 0
    .sgpr_count:     4
    .sgpr_spill_count: 0
    .symbol:         _ZN7rocprim17ROCPRIM_400000_NS6detail17trampoline_kernelINS0_14default_configENS1_38merge_sort_block_merge_config_selectorIaNS0_10empty_typeEEEZZNS1_27merge_sort_block_merge_implIS3_N6thrust23THRUST_200600_302600_NS6detail15normal_iteratorINS9_10device_ptrIaEEEEPS5_m14custom_greaterIaEEE10hipError_tT0_T1_T2_jT3_P12ihipStream_tbPNSt15iterator_traitsISJ_E10value_typeEPNSP_ISK_E10value_typeEPSL_NS1_7vsmem_tEENKUlT_SJ_SK_SL_E_clIPaSE_SF_SF_EESI_SY_SJ_SK_SL_EUlSY_E_NS1_11comp_targetILNS1_3genE5ELNS1_11target_archE942ELNS1_3gpuE9ELNS1_3repE0EEENS1_48merge_mergepath_partition_config_static_selectorELNS0_4arch9wavefront6targetE1EEEvSK_.kd
    .uniform_work_group_size: 1
    .uses_dynamic_stack: false
    .vgpr_count:     0
    .vgpr_spill_count: 0
    .wavefront_size: 64
  - .agpr_count:     0
    .args:
      - .offset:         0
        .size:           48
        .value_kind:     by_value
    .group_segment_fixed_size: 0
    .kernarg_segment_align: 8
    .kernarg_segment_size: 48
    .language:       OpenCL C
    .language_version:
      - 2
      - 0
    .max_flat_workgroup_size: 128
    .name:           _ZN7rocprim17ROCPRIM_400000_NS6detail17trampoline_kernelINS0_14default_configENS1_38merge_sort_block_merge_config_selectorIaNS0_10empty_typeEEEZZNS1_27merge_sort_block_merge_implIS3_N6thrust23THRUST_200600_302600_NS6detail15normal_iteratorINS9_10device_ptrIaEEEEPS5_m14custom_greaterIaEEE10hipError_tT0_T1_T2_jT3_P12ihipStream_tbPNSt15iterator_traitsISJ_E10value_typeEPNSP_ISK_E10value_typeEPSL_NS1_7vsmem_tEENKUlT_SJ_SK_SL_E_clIPaSE_SF_SF_EESI_SY_SJ_SK_SL_EUlSY_E_NS1_11comp_targetILNS1_3genE4ELNS1_11target_archE910ELNS1_3gpuE8ELNS1_3repE0EEENS1_48merge_mergepath_partition_config_static_selectorELNS0_4arch9wavefront6targetE1EEEvSK_
    .private_segment_fixed_size: 0
    .sgpr_count:     12
    .sgpr_spill_count: 0
    .symbol:         _ZN7rocprim17ROCPRIM_400000_NS6detail17trampoline_kernelINS0_14default_configENS1_38merge_sort_block_merge_config_selectorIaNS0_10empty_typeEEEZZNS1_27merge_sort_block_merge_implIS3_N6thrust23THRUST_200600_302600_NS6detail15normal_iteratorINS9_10device_ptrIaEEEEPS5_m14custom_greaterIaEEE10hipError_tT0_T1_T2_jT3_P12ihipStream_tbPNSt15iterator_traitsISJ_E10value_typeEPNSP_ISK_E10value_typeEPSL_NS1_7vsmem_tEENKUlT_SJ_SK_SL_E_clIPaSE_SF_SF_EESI_SY_SJ_SK_SL_EUlSY_E_NS1_11comp_targetILNS1_3genE4ELNS1_11target_archE910ELNS1_3gpuE8ELNS1_3repE0EEENS1_48merge_mergepath_partition_config_static_selectorELNS0_4arch9wavefront6targetE1EEEvSK_.kd
    .uniform_work_group_size: 1
    .uses_dynamic_stack: false
    .vgpr_count:     19
    .vgpr_spill_count: 0
    .wavefront_size: 64
  - .agpr_count:     0
    .args:
      - .offset:         0
        .size:           48
        .value_kind:     by_value
    .group_segment_fixed_size: 0
    .kernarg_segment_align: 8
    .kernarg_segment_size: 48
    .language:       OpenCL C
    .language_version:
      - 2
      - 0
    .max_flat_workgroup_size: 128
    .name:           _ZN7rocprim17ROCPRIM_400000_NS6detail17trampoline_kernelINS0_14default_configENS1_38merge_sort_block_merge_config_selectorIaNS0_10empty_typeEEEZZNS1_27merge_sort_block_merge_implIS3_N6thrust23THRUST_200600_302600_NS6detail15normal_iteratorINS9_10device_ptrIaEEEEPS5_m14custom_greaterIaEEE10hipError_tT0_T1_T2_jT3_P12ihipStream_tbPNSt15iterator_traitsISJ_E10value_typeEPNSP_ISK_E10value_typeEPSL_NS1_7vsmem_tEENKUlT_SJ_SK_SL_E_clIPaSE_SF_SF_EESI_SY_SJ_SK_SL_EUlSY_E_NS1_11comp_targetILNS1_3genE3ELNS1_11target_archE908ELNS1_3gpuE7ELNS1_3repE0EEENS1_48merge_mergepath_partition_config_static_selectorELNS0_4arch9wavefront6targetE1EEEvSK_
    .private_segment_fixed_size: 0
    .sgpr_count:     4
    .sgpr_spill_count: 0
    .symbol:         _ZN7rocprim17ROCPRIM_400000_NS6detail17trampoline_kernelINS0_14default_configENS1_38merge_sort_block_merge_config_selectorIaNS0_10empty_typeEEEZZNS1_27merge_sort_block_merge_implIS3_N6thrust23THRUST_200600_302600_NS6detail15normal_iteratorINS9_10device_ptrIaEEEEPS5_m14custom_greaterIaEEE10hipError_tT0_T1_T2_jT3_P12ihipStream_tbPNSt15iterator_traitsISJ_E10value_typeEPNSP_ISK_E10value_typeEPSL_NS1_7vsmem_tEENKUlT_SJ_SK_SL_E_clIPaSE_SF_SF_EESI_SY_SJ_SK_SL_EUlSY_E_NS1_11comp_targetILNS1_3genE3ELNS1_11target_archE908ELNS1_3gpuE7ELNS1_3repE0EEENS1_48merge_mergepath_partition_config_static_selectorELNS0_4arch9wavefront6targetE1EEEvSK_.kd
    .uniform_work_group_size: 1
    .uses_dynamic_stack: false
    .vgpr_count:     0
    .vgpr_spill_count: 0
    .wavefront_size: 64
  - .agpr_count:     0
    .args:
      - .offset:         0
        .size:           48
        .value_kind:     by_value
    .group_segment_fixed_size: 0
    .kernarg_segment_align: 8
    .kernarg_segment_size: 48
    .language:       OpenCL C
    .language_version:
      - 2
      - 0
    .max_flat_workgroup_size: 128
    .name:           _ZN7rocprim17ROCPRIM_400000_NS6detail17trampoline_kernelINS0_14default_configENS1_38merge_sort_block_merge_config_selectorIaNS0_10empty_typeEEEZZNS1_27merge_sort_block_merge_implIS3_N6thrust23THRUST_200600_302600_NS6detail15normal_iteratorINS9_10device_ptrIaEEEEPS5_m14custom_greaterIaEEE10hipError_tT0_T1_T2_jT3_P12ihipStream_tbPNSt15iterator_traitsISJ_E10value_typeEPNSP_ISK_E10value_typeEPSL_NS1_7vsmem_tEENKUlT_SJ_SK_SL_E_clIPaSE_SF_SF_EESI_SY_SJ_SK_SL_EUlSY_E_NS1_11comp_targetILNS1_3genE2ELNS1_11target_archE906ELNS1_3gpuE6ELNS1_3repE0EEENS1_48merge_mergepath_partition_config_static_selectorELNS0_4arch9wavefront6targetE1EEEvSK_
    .private_segment_fixed_size: 0
    .sgpr_count:     4
    .sgpr_spill_count: 0
    .symbol:         _ZN7rocprim17ROCPRIM_400000_NS6detail17trampoline_kernelINS0_14default_configENS1_38merge_sort_block_merge_config_selectorIaNS0_10empty_typeEEEZZNS1_27merge_sort_block_merge_implIS3_N6thrust23THRUST_200600_302600_NS6detail15normal_iteratorINS9_10device_ptrIaEEEEPS5_m14custom_greaterIaEEE10hipError_tT0_T1_T2_jT3_P12ihipStream_tbPNSt15iterator_traitsISJ_E10value_typeEPNSP_ISK_E10value_typeEPSL_NS1_7vsmem_tEENKUlT_SJ_SK_SL_E_clIPaSE_SF_SF_EESI_SY_SJ_SK_SL_EUlSY_E_NS1_11comp_targetILNS1_3genE2ELNS1_11target_archE906ELNS1_3gpuE6ELNS1_3repE0EEENS1_48merge_mergepath_partition_config_static_selectorELNS0_4arch9wavefront6targetE1EEEvSK_.kd
    .uniform_work_group_size: 1
    .uses_dynamic_stack: false
    .vgpr_count:     0
    .vgpr_spill_count: 0
    .wavefront_size: 64
  - .agpr_count:     0
    .args:
      - .offset:         0
        .size:           48
        .value_kind:     by_value
    .group_segment_fixed_size: 0
    .kernarg_segment_align: 8
    .kernarg_segment_size: 48
    .language:       OpenCL C
    .language_version:
      - 2
      - 0
    .max_flat_workgroup_size: 128
    .name:           _ZN7rocprim17ROCPRIM_400000_NS6detail17trampoline_kernelINS0_14default_configENS1_38merge_sort_block_merge_config_selectorIaNS0_10empty_typeEEEZZNS1_27merge_sort_block_merge_implIS3_N6thrust23THRUST_200600_302600_NS6detail15normal_iteratorINS9_10device_ptrIaEEEEPS5_m14custom_greaterIaEEE10hipError_tT0_T1_T2_jT3_P12ihipStream_tbPNSt15iterator_traitsISJ_E10value_typeEPNSP_ISK_E10value_typeEPSL_NS1_7vsmem_tEENKUlT_SJ_SK_SL_E_clIPaSE_SF_SF_EESI_SY_SJ_SK_SL_EUlSY_E_NS1_11comp_targetILNS1_3genE9ELNS1_11target_archE1100ELNS1_3gpuE3ELNS1_3repE0EEENS1_48merge_mergepath_partition_config_static_selectorELNS0_4arch9wavefront6targetE1EEEvSK_
    .private_segment_fixed_size: 0
    .sgpr_count:     4
    .sgpr_spill_count: 0
    .symbol:         _ZN7rocprim17ROCPRIM_400000_NS6detail17trampoline_kernelINS0_14default_configENS1_38merge_sort_block_merge_config_selectorIaNS0_10empty_typeEEEZZNS1_27merge_sort_block_merge_implIS3_N6thrust23THRUST_200600_302600_NS6detail15normal_iteratorINS9_10device_ptrIaEEEEPS5_m14custom_greaterIaEEE10hipError_tT0_T1_T2_jT3_P12ihipStream_tbPNSt15iterator_traitsISJ_E10value_typeEPNSP_ISK_E10value_typeEPSL_NS1_7vsmem_tEENKUlT_SJ_SK_SL_E_clIPaSE_SF_SF_EESI_SY_SJ_SK_SL_EUlSY_E_NS1_11comp_targetILNS1_3genE9ELNS1_11target_archE1100ELNS1_3gpuE3ELNS1_3repE0EEENS1_48merge_mergepath_partition_config_static_selectorELNS0_4arch9wavefront6targetE1EEEvSK_.kd
    .uniform_work_group_size: 1
    .uses_dynamic_stack: false
    .vgpr_count:     0
    .vgpr_spill_count: 0
    .wavefront_size: 64
  - .agpr_count:     0
    .args:
      - .offset:         0
        .size:           48
        .value_kind:     by_value
    .group_segment_fixed_size: 0
    .kernarg_segment_align: 8
    .kernarg_segment_size: 48
    .language:       OpenCL C
    .language_version:
      - 2
      - 0
    .max_flat_workgroup_size: 128
    .name:           _ZN7rocprim17ROCPRIM_400000_NS6detail17trampoline_kernelINS0_14default_configENS1_38merge_sort_block_merge_config_selectorIaNS0_10empty_typeEEEZZNS1_27merge_sort_block_merge_implIS3_N6thrust23THRUST_200600_302600_NS6detail15normal_iteratorINS9_10device_ptrIaEEEEPS5_m14custom_greaterIaEEE10hipError_tT0_T1_T2_jT3_P12ihipStream_tbPNSt15iterator_traitsISJ_E10value_typeEPNSP_ISK_E10value_typeEPSL_NS1_7vsmem_tEENKUlT_SJ_SK_SL_E_clIPaSE_SF_SF_EESI_SY_SJ_SK_SL_EUlSY_E_NS1_11comp_targetILNS1_3genE8ELNS1_11target_archE1030ELNS1_3gpuE2ELNS1_3repE0EEENS1_48merge_mergepath_partition_config_static_selectorELNS0_4arch9wavefront6targetE1EEEvSK_
    .private_segment_fixed_size: 0
    .sgpr_count:     4
    .sgpr_spill_count: 0
    .symbol:         _ZN7rocprim17ROCPRIM_400000_NS6detail17trampoline_kernelINS0_14default_configENS1_38merge_sort_block_merge_config_selectorIaNS0_10empty_typeEEEZZNS1_27merge_sort_block_merge_implIS3_N6thrust23THRUST_200600_302600_NS6detail15normal_iteratorINS9_10device_ptrIaEEEEPS5_m14custom_greaterIaEEE10hipError_tT0_T1_T2_jT3_P12ihipStream_tbPNSt15iterator_traitsISJ_E10value_typeEPNSP_ISK_E10value_typeEPSL_NS1_7vsmem_tEENKUlT_SJ_SK_SL_E_clIPaSE_SF_SF_EESI_SY_SJ_SK_SL_EUlSY_E_NS1_11comp_targetILNS1_3genE8ELNS1_11target_archE1030ELNS1_3gpuE2ELNS1_3repE0EEENS1_48merge_mergepath_partition_config_static_selectorELNS0_4arch9wavefront6targetE1EEEvSK_.kd
    .uniform_work_group_size: 1
    .uses_dynamic_stack: false
    .vgpr_count:     0
    .vgpr_spill_count: 0
    .wavefront_size: 64
  - .agpr_count:     0
    .args:
      - .offset:         0
        .size:           72
        .value_kind:     by_value
    .group_segment_fixed_size: 0
    .kernarg_segment_align: 8
    .kernarg_segment_size: 72
    .language:       OpenCL C
    .language_version:
      - 2
      - 0
    .max_flat_workgroup_size: 128
    .name:           _ZN7rocprim17ROCPRIM_400000_NS6detail17trampoline_kernelINS0_14default_configENS1_38merge_sort_block_merge_config_selectorIaNS0_10empty_typeEEEZZNS1_27merge_sort_block_merge_implIS3_N6thrust23THRUST_200600_302600_NS6detail15normal_iteratorINS9_10device_ptrIaEEEEPS5_m14custom_greaterIaEEE10hipError_tT0_T1_T2_jT3_P12ihipStream_tbPNSt15iterator_traitsISJ_E10value_typeEPNSP_ISK_E10value_typeEPSL_NS1_7vsmem_tEENKUlT_SJ_SK_SL_E_clIPaSE_SF_SF_EESI_SY_SJ_SK_SL_EUlSY_E0_NS1_11comp_targetILNS1_3genE0ELNS1_11target_archE4294967295ELNS1_3gpuE0ELNS1_3repE0EEENS1_38merge_mergepath_config_static_selectorELNS0_4arch9wavefront6targetE1EEEvSK_
    .private_segment_fixed_size: 0
    .sgpr_count:     4
    .sgpr_spill_count: 0
    .symbol:         _ZN7rocprim17ROCPRIM_400000_NS6detail17trampoline_kernelINS0_14default_configENS1_38merge_sort_block_merge_config_selectorIaNS0_10empty_typeEEEZZNS1_27merge_sort_block_merge_implIS3_N6thrust23THRUST_200600_302600_NS6detail15normal_iteratorINS9_10device_ptrIaEEEEPS5_m14custom_greaterIaEEE10hipError_tT0_T1_T2_jT3_P12ihipStream_tbPNSt15iterator_traitsISJ_E10value_typeEPNSP_ISK_E10value_typeEPSL_NS1_7vsmem_tEENKUlT_SJ_SK_SL_E_clIPaSE_SF_SF_EESI_SY_SJ_SK_SL_EUlSY_E0_NS1_11comp_targetILNS1_3genE0ELNS1_11target_archE4294967295ELNS1_3gpuE0ELNS1_3repE0EEENS1_38merge_mergepath_config_static_selectorELNS0_4arch9wavefront6targetE1EEEvSK_.kd
    .uniform_work_group_size: 1
    .uses_dynamic_stack: false
    .vgpr_count:     0
    .vgpr_spill_count: 0
    .wavefront_size: 64
  - .agpr_count:     0
    .args:
      - .offset:         0
        .size:           72
        .value_kind:     by_value
    .group_segment_fixed_size: 0
    .kernarg_segment_align: 8
    .kernarg_segment_size: 72
    .language:       OpenCL C
    .language_version:
      - 2
      - 0
    .max_flat_workgroup_size: 128
    .name:           _ZN7rocprim17ROCPRIM_400000_NS6detail17trampoline_kernelINS0_14default_configENS1_38merge_sort_block_merge_config_selectorIaNS0_10empty_typeEEEZZNS1_27merge_sort_block_merge_implIS3_N6thrust23THRUST_200600_302600_NS6detail15normal_iteratorINS9_10device_ptrIaEEEEPS5_m14custom_greaterIaEEE10hipError_tT0_T1_T2_jT3_P12ihipStream_tbPNSt15iterator_traitsISJ_E10value_typeEPNSP_ISK_E10value_typeEPSL_NS1_7vsmem_tEENKUlT_SJ_SK_SL_E_clIPaSE_SF_SF_EESI_SY_SJ_SK_SL_EUlSY_E0_NS1_11comp_targetILNS1_3genE10ELNS1_11target_archE1201ELNS1_3gpuE5ELNS1_3repE0EEENS1_38merge_mergepath_config_static_selectorELNS0_4arch9wavefront6targetE1EEEvSK_
    .private_segment_fixed_size: 0
    .sgpr_count:     4
    .sgpr_spill_count: 0
    .symbol:         _ZN7rocprim17ROCPRIM_400000_NS6detail17trampoline_kernelINS0_14default_configENS1_38merge_sort_block_merge_config_selectorIaNS0_10empty_typeEEEZZNS1_27merge_sort_block_merge_implIS3_N6thrust23THRUST_200600_302600_NS6detail15normal_iteratorINS9_10device_ptrIaEEEEPS5_m14custom_greaterIaEEE10hipError_tT0_T1_T2_jT3_P12ihipStream_tbPNSt15iterator_traitsISJ_E10value_typeEPNSP_ISK_E10value_typeEPSL_NS1_7vsmem_tEENKUlT_SJ_SK_SL_E_clIPaSE_SF_SF_EESI_SY_SJ_SK_SL_EUlSY_E0_NS1_11comp_targetILNS1_3genE10ELNS1_11target_archE1201ELNS1_3gpuE5ELNS1_3repE0EEENS1_38merge_mergepath_config_static_selectorELNS0_4arch9wavefront6targetE1EEEvSK_.kd
    .uniform_work_group_size: 1
    .uses_dynamic_stack: false
    .vgpr_count:     0
    .vgpr_spill_count: 0
    .wavefront_size: 64
  - .agpr_count:     0
    .args:
      - .offset:         0
        .size:           72
        .value_kind:     by_value
    .group_segment_fixed_size: 0
    .kernarg_segment_align: 8
    .kernarg_segment_size: 72
    .language:       OpenCL C
    .language_version:
      - 2
      - 0
    .max_flat_workgroup_size: 128
    .name:           _ZN7rocprim17ROCPRIM_400000_NS6detail17trampoline_kernelINS0_14default_configENS1_38merge_sort_block_merge_config_selectorIaNS0_10empty_typeEEEZZNS1_27merge_sort_block_merge_implIS3_N6thrust23THRUST_200600_302600_NS6detail15normal_iteratorINS9_10device_ptrIaEEEEPS5_m14custom_greaterIaEEE10hipError_tT0_T1_T2_jT3_P12ihipStream_tbPNSt15iterator_traitsISJ_E10value_typeEPNSP_ISK_E10value_typeEPSL_NS1_7vsmem_tEENKUlT_SJ_SK_SL_E_clIPaSE_SF_SF_EESI_SY_SJ_SK_SL_EUlSY_E0_NS1_11comp_targetILNS1_3genE5ELNS1_11target_archE942ELNS1_3gpuE9ELNS1_3repE0EEENS1_38merge_mergepath_config_static_selectorELNS0_4arch9wavefront6targetE1EEEvSK_
    .private_segment_fixed_size: 0
    .sgpr_count:     4
    .sgpr_spill_count: 0
    .symbol:         _ZN7rocprim17ROCPRIM_400000_NS6detail17trampoline_kernelINS0_14default_configENS1_38merge_sort_block_merge_config_selectorIaNS0_10empty_typeEEEZZNS1_27merge_sort_block_merge_implIS3_N6thrust23THRUST_200600_302600_NS6detail15normal_iteratorINS9_10device_ptrIaEEEEPS5_m14custom_greaterIaEEE10hipError_tT0_T1_T2_jT3_P12ihipStream_tbPNSt15iterator_traitsISJ_E10value_typeEPNSP_ISK_E10value_typeEPSL_NS1_7vsmem_tEENKUlT_SJ_SK_SL_E_clIPaSE_SF_SF_EESI_SY_SJ_SK_SL_EUlSY_E0_NS1_11comp_targetILNS1_3genE5ELNS1_11target_archE942ELNS1_3gpuE9ELNS1_3repE0EEENS1_38merge_mergepath_config_static_selectorELNS0_4arch9wavefront6targetE1EEEvSK_.kd
    .uniform_work_group_size: 1
    .uses_dynamic_stack: false
    .vgpr_count:     0
    .vgpr_spill_count: 0
    .wavefront_size: 64
  - .agpr_count:     0
    .args:
      - .offset:         0
        .size:           72
        .value_kind:     by_value
      - .offset:         72
        .size:           4
        .value_kind:     hidden_block_count_x
      - .offset:         76
        .size:           4
        .value_kind:     hidden_block_count_y
      - .offset:         80
        .size:           4
        .value_kind:     hidden_block_count_z
      - .offset:         84
        .size:           2
        .value_kind:     hidden_group_size_x
      - .offset:         86
        .size:           2
        .value_kind:     hidden_group_size_y
      - .offset:         88
        .size:           2
        .value_kind:     hidden_group_size_z
      - .offset:         90
        .size:           2
        .value_kind:     hidden_remainder_x
      - .offset:         92
        .size:           2
        .value_kind:     hidden_remainder_y
      - .offset:         94
        .size:           2
        .value_kind:     hidden_remainder_z
      - .offset:         112
        .size:           8
        .value_kind:     hidden_global_offset_x
      - .offset:         120
        .size:           8
        .value_kind:     hidden_global_offset_y
      - .offset:         128
        .size:           8
        .value_kind:     hidden_global_offset_z
      - .offset:         136
        .size:           2
        .value_kind:     hidden_grid_dims
    .group_segment_fixed_size: 1056
    .kernarg_segment_align: 8
    .kernarg_segment_size: 328
    .language:       OpenCL C
    .language_version:
      - 2
      - 0
    .max_flat_workgroup_size: 128
    .name:           _ZN7rocprim17ROCPRIM_400000_NS6detail17trampoline_kernelINS0_14default_configENS1_38merge_sort_block_merge_config_selectorIaNS0_10empty_typeEEEZZNS1_27merge_sort_block_merge_implIS3_N6thrust23THRUST_200600_302600_NS6detail15normal_iteratorINS9_10device_ptrIaEEEEPS5_m14custom_greaterIaEEE10hipError_tT0_T1_T2_jT3_P12ihipStream_tbPNSt15iterator_traitsISJ_E10value_typeEPNSP_ISK_E10value_typeEPSL_NS1_7vsmem_tEENKUlT_SJ_SK_SL_E_clIPaSE_SF_SF_EESI_SY_SJ_SK_SL_EUlSY_E0_NS1_11comp_targetILNS1_3genE4ELNS1_11target_archE910ELNS1_3gpuE8ELNS1_3repE0EEENS1_38merge_mergepath_config_static_selectorELNS0_4arch9wavefront6targetE1EEEvSK_
    .private_segment_fixed_size: 0
    .sgpr_count:     35
    .sgpr_spill_count: 0
    .symbol:         _ZN7rocprim17ROCPRIM_400000_NS6detail17trampoline_kernelINS0_14default_configENS1_38merge_sort_block_merge_config_selectorIaNS0_10empty_typeEEEZZNS1_27merge_sort_block_merge_implIS3_N6thrust23THRUST_200600_302600_NS6detail15normal_iteratorINS9_10device_ptrIaEEEEPS5_m14custom_greaterIaEEE10hipError_tT0_T1_T2_jT3_P12ihipStream_tbPNSt15iterator_traitsISJ_E10value_typeEPNSP_ISK_E10value_typeEPSL_NS1_7vsmem_tEENKUlT_SJ_SK_SL_E_clIPaSE_SF_SF_EESI_SY_SJ_SK_SL_EUlSY_E0_NS1_11comp_targetILNS1_3genE4ELNS1_11target_archE910ELNS1_3gpuE8ELNS1_3repE0EEENS1_38merge_mergepath_config_static_selectorELNS0_4arch9wavefront6targetE1EEEvSK_.kd
    .uniform_work_group_size: 1
    .uses_dynamic_stack: false
    .vgpr_count:     28
    .vgpr_spill_count: 0
    .wavefront_size: 64
  - .agpr_count:     0
    .args:
      - .offset:         0
        .size:           72
        .value_kind:     by_value
    .group_segment_fixed_size: 0
    .kernarg_segment_align: 8
    .kernarg_segment_size: 72
    .language:       OpenCL C
    .language_version:
      - 2
      - 0
    .max_flat_workgroup_size: 128
    .name:           _ZN7rocprim17ROCPRIM_400000_NS6detail17trampoline_kernelINS0_14default_configENS1_38merge_sort_block_merge_config_selectorIaNS0_10empty_typeEEEZZNS1_27merge_sort_block_merge_implIS3_N6thrust23THRUST_200600_302600_NS6detail15normal_iteratorINS9_10device_ptrIaEEEEPS5_m14custom_greaterIaEEE10hipError_tT0_T1_T2_jT3_P12ihipStream_tbPNSt15iterator_traitsISJ_E10value_typeEPNSP_ISK_E10value_typeEPSL_NS1_7vsmem_tEENKUlT_SJ_SK_SL_E_clIPaSE_SF_SF_EESI_SY_SJ_SK_SL_EUlSY_E0_NS1_11comp_targetILNS1_3genE3ELNS1_11target_archE908ELNS1_3gpuE7ELNS1_3repE0EEENS1_38merge_mergepath_config_static_selectorELNS0_4arch9wavefront6targetE1EEEvSK_
    .private_segment_fixed_size: 0
    .sgpr_count:     4
    .sgpr_spill_count: 0
    .symbol:         _ZN7rocprim17ROCPRIM_400000_NS6detail17trampoline_kernelINS0_14default_configENS1_38merge_sort_block_merge_config_selectorIaNS0_10empty_typeEEEZZNS1_27merge_sort_block_merge_implIS3_N6thrust23THRUST_200600_302600_NS6detail15normal_iteratorINS9_10device_ptrIaEEEEPS5_m14custom_greaterIaEEE10hipError_tT0_T1_T2_jT3_P12ihipStream_tbPNSt15iterator_traitsISJ_E10value_typeEPNSP_ISK_E10value_typeEPSL_NS1_7vsmem_tEENKUlT_SJ_SK_SL_E_clIPaSE_SF_SF_EESI_SY_SJ_SK_SL_EUlSY_E0_NS1_11comp_targetILNS1_3genE3ELNS1_11target_archE908ELNS1_3gpuE7ELNS1_3repE0EEENS1_38merge_mergepath_config_static_selectorELNS0_4arch9wavefront6targetE1EEEvSK_.kd
    .uniform_work_group_size: 1
    .uses_dynamic_stack: false
    .vgpr_count:     0
    .vgpr_spill_count: 0
    .wavefront_size: 64
  - .agpr_count:     0
    .args:
      - .offset:         0
        .size:           72
        .value_kind:     by_value
    .group_segment_fixed_size: 0
    .kernarg_segment_align: 8
    .kernarg_segment_size: 72
    .language:       OpenCL C
    .language_version:
      - 2
      - 0
    .max_flat_workgroup_size: 128
    .name:           _ZN7rocprim17ROCPRIM_400000_NS6detail17trampoline_kernelINS0_14default_configENS1_38merge_sort_block_merge_config_selectorIaNS0_10empty_typeEEEZZNS1_27merge_sort_block_merge_implIS3_N6thrust23THRUST_200600_302600_NS6detail15normal_iteratorINS9_10device_ptrIaEEEEPS5_m14custom_greaterIaEEE10hipError_tT0_T1_T2_jT3_P12ihipStream_tbPNSt15iterator_traitsISJ_E10value_typeEPNSP_ISK_E10value_typeEPSL_NS1_7vsmem_tEENKUlT_SJ_SK_SL_E_clIPaSE_SF_SF_EESI_SY_SJ_SK_SL_EUlSY_E0_NS1_11comp_targetILNS1_3genE2ELNS1_11target_archE906ELNS1_3gpuE6ELNS1_3repE0EEENS1_38merge_mergepath_config_static_selectorELNS0_4arch9wavefront6targetE1EEEvSK_
    .private_segment_fixed_size: 0
    .sgpr_count:     4
    .sgpr_spill_count: 0
    .symbol:         _ZN7rocprim17ROCPRIM_400000_NS6detail17trampoline_kernelINS0_14default_configENS1_38merge_sort_block_merge_config_selectorIaNS0_10empty_typeEEEZZNS1_27merge_sort_block_merge_implIS3_N6thrust23THRUST_200600_302600_NS6detail15normal_iteratorINS9_10device_ptrIaEEEEPS5_m14custom_greaterIaEEE10hipError_tT0_T1_T2_jT3_P12ihipStream_tbPNSt15iterator_traitsISJ_E10value_typeEPNSP_ISK_E10value_typeEPSL_NS1_7vsmem_tEENKUlT_SJ_SK_SL_E_clIPaSE_SF_SF_EESI_SY_SJ_SK_SL_EUlSY_E0_NS1_11comp_targetILNS1_3genE2ELNS1_11target_archE906ELNS1_3gpuE6ELNS1_3repE0EEENS1_38merge_mergepath_config_static_selectorELNS0_4arch9wavefront6targetE1EEEvSK_.kd
    .uniform_work_group_size: 1
    .uses_dynamic_stack: false
    .vgpr_count:     0
    .vgpr_spill_count: 0
    .wavefront_size: 64
  - .agpr_count:     0
    .args:
      - .offset:         0
        .size:           72
        .value_kind:     by_value
    .group_segment_fixed_size: 0
    .kernarg_segment_align: 8
    .kernarg_segment_size: 72
    .language:       OpenCL C
    .language_version:
      - 2
      - 0
    .max_flat_workgroup_size: 128
    .name:           _ZN7rocprim17ROCPRIM_400000_NS6detail17trampoline_kernelINS0_14default_configENS1_38merge_sort_block_merge_config_selectorIaNS0_10empty_typeEEEZZNS1_27merge_sort_block_merge_implIS3_N6thrust23THRUST_200600_302600_NS6detail15normal_iteratorINS9_10device_ptrIaEEEEPS5_m14custom_greaterIaEEE10hipError_tT0_T1_T2_jT3_P12ihipStream_tbPNSt15iterator_traitsISJ_E10value_typeEPNSP_ISK_E10value_typeEPSL_NS1_7vsmem_tEENKUlT_SJ_SK_SL_E_clIPaSE_SF_SF_EESI_SY_SJ_SK_SL_EUlSY_E0_NS1_11comp_targetILNS1_3genE9ELNS1_11target_archE1100ELNS1_3gpuE3ELNS1_3repE0EEENS1_38merge_mergepath_config_static_selectorELNS0_4arch9wavefront6targetE1EEEvSK_
    .private_segment_fixed_size: 0
    .sgpr_count:     4
    .sgpr_spill_count: 0
    .symbol:         _ZN7rocprim17ROCPRIM_400000_NS6detail17trampoline_kernelINS0_14default_configENS1_38merge_sort_block_merge_config_selectorIaNS0_10empty_typeEEEZZNS1_27merge_sort_block_merge_implIS3_N6thrust23THRUST_200600_302600_NS6detail15normal_iteratorINS9_10device_ptrIaEEEEPS5_m14custom_greaterIaEEE10hipError_tT0_T1_T2_jT3_P12ihipStream_tbPNSt15iterator_traitsISJ_E10value_typeEPNSP_ISK_E10value_typeEPSL_NS1_7vsmem_tEENKUlT_SJ_SK_SL_E_clIPaSE_SF_SF_EESI_SY_SJ_SK_SL_EUlSY_E0_NS1_11comp_targetILNS1_3genE9ELNS1_11target_archE1100ELNS1_3gpuE3ELNS1_3repE0EEENS1_38merge_mergepath_config_static_selectorELNS0_4arch9wavefront6targetE1EEEvSK_.kd
    .uniform_work_group_size: 1
    .uses_dynamic_stack: false
    .vgpr_count:     0
    .vgpr_spill_count: 0
    .wavefront_size: 64
  - .agpr_count:     0
    .args:
      - .offset:         0
        .size:           72
        .value_kind:     by_value
    .group_segment_fixed_size: 0
    .kernarg_segment_align: 8
    .kernarg_segment_size: 72
    .language:       OpenCL C
    .language_version:
      - 2
      - 0
    .max_flat_workgroup_size: 128
    .name:           _ZN7rocprim17ROCPRIM_400000_NS6detail17trampoline_kernelINS0_14default_configENS1_38merge_sort_block_merge_config_selectorIaNS0_10empty_typeEEEZZNS1_27merge_sort_block_merge_implIS3_N6thrust23THRUST_200600_302600_NS6detail15normal_iteratorINS9_10device_ptrIaEEEEPS5_m14custom_greaterIaEEE10hipError_tT0_T1_T2_jT3_P12ihipStream_tbPNSt15iterator_traitsISJ_E10value_typeEPNSP_ISK_E10value_typeEPSL_NS1_7vsmem_tEENKUlT_SJ_SK_SL_E_clIPaSE_SF_SF_EESI_SY_SJ_SK_SL_EUlSY_E0_NS1_11comp_targetILNS1_3genE8ELNS1_11target_archE1030ELNS1_3gpuE2ELNS1_3repE0EEENS1_38merge_mergepath_config_static_selectorELNS0_4arch9wavefront6targetE1EEEvSK_
    .private_segment_fixed_size: 0
    .sgpr_count:     4
    .sgpr_spill_count: 0
    .symbol:         _ZN7rocprim17ROCPRIM_400000_NS6detail17trampoline_kernelINS0_14default_configENS1_38merge_sort_block_merge_config_selectorIaNS0_10empty_typeEEEZZNS1_27merge_sort_block_merge_implIS3_N6thrust23THRUST_200600_302600_NS6detail15normal_iteratorINS9_10device_ptrIaEEEEPS5_m14custom_greaterIaEEE10hipError_tT0_T1_T2_jT3_P12ihipStream_tbPNSt15iterator_traitsISJ_E10value_typeEPNSP_ISK_E10value_typeEPSL_NS1_7vsmem_tEENKUlT_SJ_SK_SL_E_clIPaSE_SF_SF_EESI_SY_SJ_SK_SL_EUlSY_E0_NS1_11comp_targetILNS1_3genE8ELNS1_11target_archE1030ELNS1_3gpuE2ELNS1_3repE0EEENS1_38merge_mergepath_config_static_selectorELNS0_4arch9wavefront6targetE1EEEvSK_.kd
    .uniform_work_group_size: 1
    .uses_dynamic_stack: false
    .vgpr_count:     0
    .vgpr_spill_count: 0
    .wavefront_size: 64
  - .agpr_count:     0
    .args:
      - .offset:         0
        .size:           56
        .value_kind:     by_value
    .group_segment_fixed_size: 0
    .kernarg_segment_align: 8
    .kernarg_segment_size: 56
    .language:       OpenCL C
    .language_version:
      - 2
      - 0
    .max_flat_workgroup_size: 256
    .name:           _ZN7rocprim17ROCPRIM_400000_NS6detail17trampoline_kernelINS0_14default_configENS1_38merge_sort_block_merge_config_selectorIaNS0_10empty_typeEEEZZNS1_27merge_sort_block_merge_implIS3_N6thrust23THRUST_200600_302600_NS6detail15normal_iteratorINS9_10device_ptrIaEEEEPS5_m14custom_greaterIaEEE10hipError_tT0_T1_T2_jT3_P12ihipStream_tbPNSt15iterator_traitsISJ_E10value_typeEPNSP_ISK_E10value_typeEPSL_NS1_7vsmem_tEENKUlT_SJ_SK_SL_E_clIPaSE_SF_SF_EESI_SY_SJ_SK_SL_EUlSY_E1_NS1_11comp_targetILNS1_3genE0ELNS1_11target_archE4294967295ELNS1_3gpuE0ELNS1_3repE0EEENS1_36merge_oddeven_config_static_selectorELNS0_4arch9wavefront6targetE1EEEvSK_
    .private_segment_fixed_size: 0
    .sgpr_count:     4
    .sgpr_spill_count: 0
    .symbol:         _ZN7rocprim17ROCPRIM_400000_NS6detail17trampoline_kernelINS0_14default_configENS1_38merge_sort_block_merge_config_selectorIaNS0_10empty_typeEEEZZNS1_27merge_sort_block_merge_implIS3_N6thrust23THRUST_200600_302600_NS6detail15normal_iteratorINS9_10device_ptrIaEEEEPS5_m14custom_greaterIaEEE10hipError_tT0_T1_T2_jT3_P12ihipStream_tbPNSt15iterator_traitsISJ_E10value_typeEPNSP_ISK_E10value_typeEPSL_NS1_7vsmem_tEENKUlT_SJ_SK_SL_E_clIPaSE_SF_SF_EESI_SY_SJ_SK_SL_EUlSY_E1_NS1_11comp_targetILNS1_3genE0ELNS1_11target_archE4294967295ELNS1_3gpuE0ELNS1_3repE0EEENS1_36merge_oddeven_config_static_selectorELNS0_4arch9wavefront6targetE1EEEvSK_.kd
    .uniform_work_group_size: 1
    .uses_dynamic_stack: false
    .vgpr_count:     0
    .vgpr_spill_count: 0
    .wavefront_size: 64
  - .agpr_count:     0
    .args:
      - .offset:         0
        .size:           56
        .value_kind:     by_value
    .group_segment_fixed_size: 0
    .kernarg_segment_align: 8
    .kernarg_segment_size: 56
    .language:       OpenCL C
    .language_version:
      - 2
      - 0
    .max_flat_workgroup_size: 256
    .name:           _ZN7rocprim17ROCPRIM_400000_NS6detail17trampoline_kernelINS0_14default_configENS1_38merge_sort_block_merge_config_selectorIaNS0_10empty_typeEEEZZNS1_27merge_sort_block_merge_implIS3_N6thrust23THRUST_200600_302600_NS6detail15normal_iteratorINS9_10device_ptrIaEEEEPS5_m14custom_greaterIaEEE10hipError_tT0_T1_T2_jT3_P12ihipStream_tbPNSt15iterator_traitsISJ_E10value_typeEPNSP_ISK_E10value_typeEPSL_NS1_7vsmem_tEENKUlT_SJ_SK_SL_E_clIPaSE_SF_SF_EESI_SY_SJ_SK_SL_EUlSY_E1_NS1_11comp_targetILNS1_3genE10ELNS1_11target_archE1201ELNS1_3gpuE5ELNS1_3repE0EEENS1_36merge_oddeven_config_static_selectorELNS0_4arch9wavefront6targetE1EEEvSK_
    .private_segment_fixed_size: 0
    .sgpr_count:     4
    .sgpr_spill_count: 0
    .symbol:         _ZN7rocprim17ROCPRIM_400000_NS6detail17trampoline_kernelINS0_14default_configENS1_38merge_sort_block_merge_config_selectorIaNS0_10empty_typeEEEZZNS1_27merge_sort_block_merge_implIS3_N6thrust23THRUST_200600_302600_NS6detail15normal_iteratorINS9_10device_ptrIaEEEEPS5_m14custom_greaterIaEEE10hipError_tT0_T1_T2_jT3_P12ihipStream_tbPNSt15iterator_traitsISJ_E10value_typeEPNSP_ISK_E10value_typeEPSL_NS1_7vsmem_tEENKUlT_SJ_SK_SL_E_clIPaSE_SF_SF_EESI_SY_SJ_SK_SL_EUlSY_E1_NS1_11comp_targetILNS1_3genE10ELNS1_11target_archE1201ELNS1_3gpuE5ELNS1_3repE0EEENS1_36merge_oddeven_config_static_selectorELNS0_4arch9wavefront6targetE1EEEvSK_.kd
    .uniform_work_group_size: 1
    .uses_dynamic_stack: false
    .vgpr_count:     0
    .vgpr_spill_count: 0
    .wavefront_size: 64
  - .agpr_count:     0
    .args:
      - .offset:         0
        .size:           56
        .value_kind:     by_value
    .group_segment_fixed_size: 0
    .kernarg_segment_align: 8
    .kernarg_segment_size: 56
    .language:       OpenCL C
    .language_version:
      - 2
      - 0
    .max_flat_workgroup_size: 256
    .name:           _ZN7rocprim17ROCPRIM_400000_NS6detail17trampoline_kernelINS0_14default_configENS1_38merge_sort_block_merge_config_selectorIaNS0_10empty_typeEEEZZNS1_27merge_sort_block_merge_implIS3_N6thrust23THRUST_200600_302600_NS6detail15normal_iteratorINS9_10device_ptrIaEEEEPS5_m14custom_greaterIaEEE10hipError_tT0_T1_T2_jT3_P12ihipStream_tbPNSt15iterator_traitsISJ_E10value_typeEPNSP_ISK_E10value_typeEPSL_NS1_7vsmem_tEENKUlT_SJ_SK_SL_E_clIPaSE_SF_SF_EESI_SY_SJ_SK_SL_EUlSY_E1_NS1_11comp_targetILNS1_3genE5ELNS1_11target_archE942ELNS1_3gpuE9ELNS1_3repE0EEENS1_36merge_oddeven_config_static_selectorELNS0_4arch9wavefront6targetE1EEEvSK_
    .private_segment_fixed_size: 0
    .sgpr_count:     4
    .sgpr_spill_count: 0
    .symbol:         _ZN7rocprim17ROCPRIM_400000_NS6detail17trampoline_kernelINS0_14default_configENS1_38merge_sort_block_merge_config_selectorIaNS0_10empty_typeEEEZZNS1_27merge_sort_block_merge_implIS3_N6thrust23THRUST_200600_302600_NS6detail15normal_iteratorINS9_10device_ptrIaEEEEPS5_m14custom_greaterIaEEE10hipError_tT0_T1_T2_jT3_P12ihipStream_tbPNSt15iterator_traitsISJ_E10value_typeEPNSP_ISK_E10value_typeEPSL_NS1_7vsmem_tEENKUlT_SJ_SK_SL_E_clIPaSE_SF_SF_EESI_SY_SJ_SK_SL_EUlSY_E1_NS1_11comp_targetILNS1_3genE5ELNS1_11target_archE942ELNS1_3gpuE9ELNS1_3repE0EEENS1_36merge_oddeven_config_static_selectorELNS0_4arch9wavefront6targetE1EEEvSK_.kd
    .uniform_work_group_size: 1
    .uses_dynamic_stack: false
    .vgpr_count:     0
    .vgpr_spill_count: 0
    .wavefront_size: 64
  - .agpr_count:     0
    .args:
      - .offset:         0
        .size:           56
        .value_kind:     by_value
    .group_segment_fixed_size: 0
    .kernarg_segment_align: 8
    .kernarg_segment_size: 56
    .language:       OpenCL C
    .language_version:
      - 2
      - 0
    .max_flat_workgroup_size: 256
    .name:           _ZN7rocprim17ROCPRIM_400000_NS6detail17trampoline_kernelINS0_14default_configENS1_38merge_sort_block_merge_config_selectorIaNS0_10empty_typeEEEZZNS1_27merge_sort_block_merge_implIS3_N6thrust23THRUST_200600_302600_NS6detail15normal_iteratorINS9_10device_ptrIaEEEEPS5_m14custom_greaterIaEEE10hipError_tT0_T1_T2_jT3_P12ihipStream_tbPNSt15iterator_traitsISJ_E10value_typeEPNSP_ISK_E10value_typeEPSL_NS1_7vsmem_tEENKUlT_SJ_SK_SL_E_clIPaSE_SF_SF_EESI_SY_SJ_SK_SL_EUlSY_E1_NS1_11comp_targetILNS1_3genE4ELNS1_11target_archE910ELNS1_3gpuE8ELNS1_3repE0EEENS1_36merge_oddeven_config_static_selectorELNS0_4arch9wavefront6targetE1EEEvSK_
    .private_segment_fixed_size: 0
    .sgpr_count:     24
    .sgpr_spill_count: 0
    .symbol:         _ZN7rocprim17ROCPRIM_400000_NS6detail17trampoline_kernelINS0_14default_configENS1_38merge_sort_block_merge_config_selectorIaNS0_10empty_typeEEEZZNS1_27merge_sort_block_merge_implIS3_N6thrust23THRUST_200600_302600_NS6detail15normal_iteratorINS9_10device_ptrIaEEEEPS5_m14custom_greaterIaEEE10hipError_tT0_T1_T2_jT3_P12ihipStream_tbPNSt15iterator_traitsISJ_E10value_typeEPNSP_ISK_E10value_typeEPSL_NS1_7vsmem_tEENKUlT_SJ_SK_SL_E_clIPaSE_SF_SF_EESI_SY_SJ_SK_SL_EUlSY_E1_NS1_11comp_targetILNS1_3genE4ELNS1_11target_archE910ELNS1_3gpuE8ELNS1_3repE0EEENS1_36merge_oddeven_config_static_selectorELNS0_4arch9wavefront6targetE1EEEvSK_.kd
    .uniform_work_group_size: 1
    .uses_dynamic_stack: false
    .vgpr_count:     8
    .vgpr_spill_count: 0
    .wavefront_size: 64
  - .agpr_count:     0
    .args:
      - .offset:         0
        .size:           56
        .value_kind:     by_value
    .group_segment_fixed_size: 0
    .kernarg_segment_align: 8
    .kernarg_segment_size: 56
    .language:       OpenCL C
    .language_version:
      - 2
      - 0
    .max_flat_workgroup_size: 256
    .name:           _ZN7rocprim17ROCPRIM_400000_NS6detail17trampoline_kernelINS0_14default_configENS1_38merge_sort_block_merge_config_selectorIaNS0_10empty_typeEEEZZNS1_27merge_sort_block_merge_implIS3_N6thrust23THRUST_200600_302600_NS6detail15normal_iteratorINS9_10device_ptrIaEEEEPS5_m14custom_greaterIaEEE10hipError_tT0_T1_T2_jT3_P12ihipStream_tbPNSt15iterator_traitsISJ_E10value_typeEPNSP_ISK_E10value_typeEPSL_NS1_7vsmem_tEENKUlT_SJ_SK_SL_E_clIPaSE_SF_SF_EESI_SY_SJ_SK_SL_EUlSY_E1_NS1_11comp_targetILNS1_3genE3ELNS1_11target_archE908ELNS1_3gpuE7ELNS1_3repE0EEENS1_36merge_oddeven_config_static_selectorELNS0_4arch9wavefront6targetE1EEEvSK_
    .private_segment_fixed_size: 0
    .sgpr_count:     4
    .sgpr_spill_count: 0
    .symbol:         _ZN7rocprim17ROCPRIM_400000_NS6detail17trampoline_kernelINS0_14default_configENS1_38merge_sort_block_merge_config_selectorIaNS0_10empty_typeEEEZZNS1_27merge_sort_block_merge_implIS3_N6thrust23THRUST_200600_302600_NS6detail15normal_iteratorINS9_10device_ptrIaEEEEPS5_m14custom_greaterIaEEE10hipError_tT0_T1_T2_jT3_P12ihipStream_tbPNSt15iterator_traitsISJ_E10value_typeEPNSP_ISK_E10value_typeEPSL_NS1_7vsmem_tEENKUlT_SJ_SK_SL_E_clIPaSE_SF_SF_EESI_SY_SJ_SK_SL_EUlSY_E1_NS1_11comp_targetILNS1_3genE3ELNS1_11target_archE908ELNS1_3gpuE7ELNS1_3repE0EEENS1_36merge_oddeven_config_static_selectorELNS0_4arch9wavefront6targetE1EEEvSK_.kd
    .uniform_work_group_size: 1
    .uses_dynamic_stack: false
    .vgpr_count:     0
    .vgpr_spill_count: 0
    .wavefront_size: 64
  - .agpr_count:     0
    .args:
      - .offset:         0
        .size:           56
        .value_kind:     by_value
    .group_segment_fixed_size: 0
    .kernarg_segment_align: 8
    .kernarg_segment_size: 56
    .language:       OpenCL C
    .language_version:
      - 2
      - 0
    .max_flat_workgroup_size: 256
    .name:           _ZN7rocprim17ROCPRIM_400000_NS6detail17trampoline_kernelINS0_14default_configENS1_38merge_sort_block_merge_config_selectorIaNS0_10empty_typeEEEZZNS1_27merge_sort_block_merge_implIS3_N6thrust23THRUST_200600_302600_NS6detail15normal_iteratorINS9_10device_ptrIaEEEEPS5_m14custom_greaterIaEEE10hipError_tT0_T1_T2_jT3_P12ihipStream_tbPNSt15iterator_traitsISJ_E10value_typeEPNSP_ISK_E10value_typeEPSL_NS1_7vsmem_tEENKUlT_SJ_SK_SL_E_clIPaSE_SF_SF_EESI_SY_SJ_SK_SL_EUlSY_E1_NS1_11comp_targetILNS1_3genE2ELNS1_11target_archE906ELNS1_3gpuE6ELNS1_3repE0EEENS1_36merge_oddeven_config_static_selectorELNS0_4arch9wavefront6targetE1EEEvSK_
    .private_segment_fixed_size: 0
    .sgpr_count:     4
    .sgpr_spill_count: 0
    .symbol:         _ZN7rocprim17ROCPRIM_400000_NS6detail17trampoline_kernelINS0_14default_configENS1_38merge_sort_block_merge_config_selectorIaNS0_10empty_typeEEEZZNS1_27merge_sort_block_merge_implIS3_N6thrust23THRUST_200600_302600_NS6detail15normal_iteratorINS9_10device_ptrIaEEEEPS5_m14custom_greaterIaEEE10hipError_tT0_T1_T2_jT3_P12ihipStream_tbPNSt15iterator_traitsISJ_E10value_typeEPNSP_ISK_E10value_typeEPSL_NS1_7vsmem_tEENKUlT_SJ_SK_SL_E_clIPaSE_SF_SF_EESI_SY_SJ_SK_SL_EUlSY_E1_NS1_11comp_targetILNS1_3genE2ELNS1_11target_archE906ELNS1_3gpuE6ELNS1_3repE0EEENS1_36merge_oddeven_config_static_selectorELNS0_4arch9wavefront6targetE1EEEvSK_.kd
    .uniform_work_group_size: 1
    .uses_dynamic_stack: false
    .vgpr_count:     0
    .vgpr_spill_count: 0
    .wavefront_size: 64
  - .agpr_count:     0
    .args:
      - .offset:         0
        .size:           56
        .value_kind:     by_value
    .group_segment_fixed_size: 0
    .kernarg_segment_align: 8
    .kernarg_segment_size: 56
    .language:       OpenCL C
    .language_version:
      - 2
      - 0
    .max_flat_workgroup_size: 256
    .name:           _ZN7rocprim17ROCPRIM_400000_NS6detail17trampoline_kernelINS0_14default_configENS1_38merge_sort_block_merge_config_selectorIaNS0_10empty_typeEEEZZNS1_27merge_sort_block_merge_implIS3_N6thrust23THRUST_200600_302600_NS6detail15normal_iteratorINS9_10device_ptrIaEEEEPS5_m14custom_greaterIaEEE10hipError_tT0_T1_T2_jT3_P12ihipStream_tbPNSt15iterator_traitsISJ_E10value_typeEPNSP_ISK_E10value_typeEPSL_NS1_7vsmem_tEENKUlT_SJ_SK_SL_E_clIPaSE_SF_SF_EESI_SY_SJ_SK_SL_EUlSY_E1_NS1_11comp_targetILNS1_3genE9ELNS1_11target_archE1100ELNS1_3gpuE3ELNS1_3repE0EEENS1_36merge_oddeven_config_static_selectorELNS0_4arch9wavefront6targetE1EEEvSK_
    .private_segment_fixed_size: 0
    .sgpr_count:     4
    .sgpr_spill_count: 0
    .symbol:         _ZN7rocprim17ROCPRIM_400000_NS6detail17trampoline_kernelINS0_14default_configENS1_38merge_sort_block_merge_config_selectorIaNS0_10empty_typeEEEZZNS1_27merge_sort_block_merge_implIS3_N6thrust23THRUST_200600_302600_NS6detail15normal_iteratorINS9_10device_ptrIaEEEEPS5_m14custom_greaterIaEEE10hipError_tT0_T1_T2_jT3_P12ihipStream_tbPNSt15iterator_traitsISJ_E10value_typeEPNSP_ISK_E10value_typeEPSL_NS1_7vsmem_tEENKUlT_SJ_SK_SL_E_clIPaSE_SF_SF_EESI_SY_SJ_SK_SL_EUlSY_E1_NS1_11comp_targetILNS1_3genE9ELNS1_11target_archE1100ELNS1_3gpuE3ELNS1_3repE0EEENS1_36merge_oddeven_config_static_selectorELNS0_4arch9wavefront6targetE1EEEvSK_.kd
    .uniform_work_group_size: 1
    .uses_dynamic_stack: false
    .vgpr_count:     0
    .vgpr_spill_count: 0
    .wavefront_size: 64
  - .agpr_count:     0
    .args:
      - .offset:         0
        .size:           56
        .value_kind:     by_value
    .group_segment_fixed_size: 0
    .kernarg_segment_align: 8
    .kernarg_segment_size: 56
    .language:       OpenCL C
    .language_version:
      - 2
      - 0
    .max_flat_workgroup_size: 256
    .name:           _ZN7rocprim17ROCPRIM_400000_NS6detail17trampoline_kernelINS0_14default_configENS1_38merge_sort_block_merge_config_selectorIaNS0_10empty_typeEEEZZNS1_27merge_sort_block_merge_implIS3_N6thrust23THRUST_200600_302600_NS6detail15normal_iteratorINS9_10device_ptrIaEEEEPS5_m14custom_greaterIaEEE10hipError_tT0_T1_T2_jT3_P12ihipStream_tbPNSt15iterator_traitsISJ_E10value_typeEPNSP_ISK_E10value_typeEPSL_NS1_7vsmem_tEENKUlT_SJ_SK_SL_E_clIPaSE_SF_SF_EESI_SY_SJ_SK_SL_EUlSY_E1_NS1_11comp_targetILNS1_3genE8ELNS1_11target_archE1030ELNS1_3gpuE2ELNS1_3repE0EEENS1_36merge_oddeven_config_static_selectorELNS0_4arch9wavefront6targetE1EEEvSK_
    .private_segment_fixed_size: 0
    .sgpr_count:     4
    .sgpr_spill_count: 0
    .symbol:         _ZN7rocprim17ROCPRIM_400000_NS6detail17trampoline_kernelINS0_14default_configENS1_38merge_sort_block_merge_config_selectorIaNS0_10empty_typeEEEZZNS1_27merge_sort_block_merge_implIS3_N6thrust23THRUST_200600_302600_NS6detail15normal_iteratorINS9_10device_ptrIaEEEEPS5_m14custom_greaterIaEEE10hipError_tT0_T1_T2_jT3_P12ihipStream_tbPNSt15iterator_traitsISJ_E10value_typeEPNSP_ISK_E10value_typeEPSL_NS1_7vsmem_tEENKUlT_SJ_SK_SL_E_clIPaSE_SF_SF_EESI_SY_SJ_SK_SL_EUlSY_E1_NS1_11comp_targetILNS1_3genE8ELNS1_11target_archE1030ELNS1_3gpuE2ELNS1_3repE0EEENS1_36merge_oddeven_config_static_selectorELNS0_4arch9wavefront6targetE1EEEvSK_.kd
    .uniform_work_group_size: 1
    .uses_dynamic_stack: false
    .vgpr_count:     0
    .vgpr_spill_count: 0
    .wavefront_size: 64
  - .agpr_count:     0
    .args:
      - .offset:         0
        .size:           48
        .value_kind:     by_value
    .group_segment_fixed_size: 0
    .kernarg_segment_align: 8
    .kernarg_segment_size: 48
    .language:       OpenCL C
    .language_version:
      - 2
      - 0
    .max_flat_workgroup_size: 128
    .name:           _ZN7rocprim17ROCPRIM_400000_NS6detail17trampoline_kernelINS0_14default_configENS1_38merge_sort_block_merge_config_selectorIaNS0_10empty_typeEEEZZNS1_27merge_sort_block_merge_implIS3_N6thrust23THRUST_200600_302600_NS6detail15normal_iteratorINS9_10device_ptrIaEEEEPS5_m14custom_greaterIaEEE10hipError_tT0_T1_T2_jT3_P12ihipStream_tbPNSt15iterator_traitsISJ_E10value_typeEPNSP_ISK_E10value_typeEPSL_NS1_7vsmem_tEENKUlT_SJ_SK_SL_E_clISE_PaSF_SF_EESI_SY_SJ_SK_SL_EUlSY_E_NS1_11comp_targetILNS1_3genE0ELNS1_11target_archE4294967295ELNS1_3gpuE0ELNS1_3repE0EEENS1_48merge_mergepath_partition_config_static_selectorELNS0_4arch9wavefront6targetE1EEEvSK_
    .private_segment_fixed_size: 0
    .sgpr_count:     4
    .sgpr_spill_count: 0
    .symbol:         _ZN7rocprim17ROCPRIM_400000_NS6detail17trampoline_kernelINS0_14default_configENS1_38merge_sort_block_merge_config_selectorIaNS0_10empty_typeEEEZZNS1_27merge_sort_block_merge_implIS3_N6thrust23THRUST_200600_302600_NS6detail15normal_iteratorINS9_10device_ptrIaEEEEPS5_m14custom_greaterIaEEE10hipError_tT0_T1_T2_jT3_P12ihipStream_tbPNSt15iterator_traitsISJ_E10value_typeEPNSP_ISK_E10value_typeEPSL_NS1_7vsmem_tEENKUlT_SJ_SK_SL_E_clISE_PaSF_SF_EESI_SY_SJ_SK_SL_EUlSY_E_NS1_11comp_targetILNS1_3genE0ELNS1_11target_archE4294967295ELNS1_3gpuE0ELNS1_3repE0EEENS1_48merge_mergepath_partition_config_static_selectorELNS0_4arch9wavefront6targetE1EEEvSK_.kd
    .uniform_work_group_size: 1
    .uses_dynamic_stack: false
    .vgpr_count:     0
    .vgpr_spill_count: 0
    .wavefront_size: 64
  - .agpr_count:     0
    .args:
      - .offset:         0
        .size:           48
        .value_kind:     by_value
    .group_segment_fixed_size: 0
    .kernarg_segment_align: 8
    .kernarg_segment_size: 48
    .language:       OpenCL C
    .language_version:
      - 2
      - 0
    .max_flat_workgroup_size: 128
    .name:           _ZN7rocprim17ROCPRIM_400000_NS6detail17trampoline_kernelINS0_14default_configENS1_38merge_sort_block_merge_config_selectorIaNS0_10empty_typeEEEZZNS1_27merge_sort_block_merge_implIS3_N6thrust23THRUST_200600_302600_NS6detail15normal_iteratorINS9_10device_ptrIaEEEEPS5_m14custom_greaterIaEEE10hipError_tT0_T1_T2_jT3_P12ihipStream_tbPNSt15iterator_traitsISJ_E10value_typeEPNSP_ISK_E10value_typeEPSL_NS1_7vsmem_tEENKUlT_SJ_SK_SL_E_clISE_PaSF_SF_EESI_SY_SJ_SK_SL_EUlSY_E_NS1_11comp_targetILNS1_3genE10ELNS1_11target_archE1201ELNS1_3gpuE5ELNS1_3repE0EEENS1_48merge_mergepath_partition_config_static_selectorELNS0_4arch9wavefront6targetE1EEEvSK_
    .private_segment_fixed_size: 0
    .sgpr_count:     4
    .sgpr_spill_count: 0
    .symbol:         _ZN7rocprim17ROCPRIM_400000_NS6detail17trampoline_kernelINS0_14default_configENS1_38merge_sort_block_merge_config_selectorIaNS0_10empty_typeEEEZZNS1_27merge_sort_block_merge_implIS3_N6thrust23THRUST_200600_302600_NS6detail15normal_iteratorINS9_10device_ptrIaEEEEPS5_m14custom_greaterIaEEE10hipError_tT0_T1_T2_jT3_P12ihipStream_tbPNSt15iterator_traitsISJ_E10value_typeEPNSP_ISK_E10value_typeEPSL_NS1_7vsmem_tEENKUlT_SJ_SK_SL_E_clISE_PaSF_SF_EESI_SY_SJ_SK_SL_EUlSY_E_NS1_11comp_targetILNS1_3genE10ELNS1_11target_archE1201ELNS1_3gpuE5ELNS1_3repE0EEENS1_48merge_mergepath_partition_config_static_selectorELNS0_4arch9wavefront6targetE1EEEvSK_.kd
    .uniform_work_group_size: 1
    .uses_dynamic_stack: false
    .vgpr_count:     0
    .vgpr_spill_count: 0
    .wavefront_size: 64
  - .agpr_count:     0
    .args:
      - .offset:         0
        .size:           48
        .value_kind:     by_value
    .group_segment_fixed_size: 0
    .kernarg_segment_align: 8
    .kernarg_segment_size: 48
    .language:       OpenCL C
    .language_version:
      - 2
      - 0
    .max_flat_workgroup_size: 128
    .name:           _ZN7rocprim17ROCPRIM_400000_NS6detail17trampoline_kernelINS0_14default_configENS1_38merge_sort_block_merge_config_selectorIaNS0_10empty_typeEEEZZNS1_27merge_sort_block_merge_implIS3_N6thrust23THRUST_200600_302600_NS6detail15normal_iteratorINS9_10device_ptrIaEEEEPS5_m14custom_greaterIaEEE10hipError_tT0_T1_T2_jT3_P12ihipStream_tbPNSt15iterator_traitsISJ_E10value_typeEPNSP_ISK_E10value_typeEPSL_NS1_7vsmem_tEENKUlT_SJ_SK_SL_E_clISE_PaSF_SF_EESI_SY_SJ_SK_SL_EUlSY_E_NS1_11comp_targetILNS1_3genE5ELNS1_11target_archE942ELNS1_3gpuE9ELNS1_3repE0EEENS1_48merge_mergepath_partition_config_static_selectorELNS0_4arch9wavefront6targetE1EEEvSK_
    .private_segment_fixed_size: 0
    .sgpr_count:     4
    .sgpr_spill_count: 0
    .symbol:         _ZN7rocprim17ROCPRIM_400000_NS6detail17trampoline_kernelINS0_14default_configENS1_38merge_sort_block_merge_config_selectorIaNS0_10empty_typeEEEZZNS1_27merge_sort_block_merge_implIS3_N6thrust23THRUST_200600_302600_NS6detail15normal_iteratorINS9_10device_ptrIaEEEEPS5_m14custom_greaterIaEEE10hipError_tT0_T1_T2_jT3_P12ihipStream_tbPNSt15iterator_traitsISJ_E10value_typeEPNSP_ISK_E10value_typeEPSL_NS1_7vsmem_tEENKUlT_SJ_SK_SL_E_clISE_PaSF_SF_EESI_SY_SJ_SK_SL_EUlSY_E_NS1_11comp_targetILNS1_3genE5ELNS1_11target_archE942ELNS1_3gpuE9ELNS1_3repE0EEENS1_48merge_mergepath_partition_config_static_selectorELNS0_4arch9wavefront6targetE1EEEvSK_.kd
    .uniform_work_group_size: 1
    .uses_dynamic_stack: false
    .vgpr_count:     0
    .vgpr_spill_count: 0
    .wavefront_size: 64
  - .agpr_count:     0
    .args:
      - .offset:         0
        .size:           48
        .value_kind:     by_value
    .group_segment_fixed_size: 0
    .kernarg_segment_align: 8
    .kernarg_segment_size: 48
    .language:       OpenCL C
    .language_version:
      - 2
      - 0
    .max_flat_workgroup_size: 128
    .name:           _ZN7rocprim17ROCPRIM_400000_NS6detail17trampoline_kernelINS0_14default_configENS1_38merge_sort_block_merge_config_selectorIaNS0_10empty_typeEEEZZNS1_27merge_sort_block_merge_implIS3_N6thrust23THRUST_200600_302600_NS6detail15normal_iteratorINS9_10device_ptrIaEEEEPS5_m14custom_greaterIaEEE10hipError_tT0_T1_T2_jT3_P12ihipStream_tbPNSt15iterator_traitsISJ_E10value_typeEPNSP_ISK_E10value_typeEPSL_NS1_7vsmem_tEENKUlT_SJ_SK_SL_E_clISE_PaSF_SF_EESI_SY_SJ_SK_SL_EUlSY_E_NS1_11comp_targetILNS1_3genE4ELNS1_11target_archE910ELNS1_3gpuE8ELNS1_3repE0EEENS1_48merge_mergepath_partition_config_static_selectorELNS0_4arch9wavefront6targetE1EEEvSK_
    .private_segment_fixed_size: 0
    .sgpr_count:     12
    .sgpr_spill_count: 0
    .symbol:         _ZN7rocprim17ROCPRIM_400000_NS6detail17trampoline_kernelINS0_14default_configENS1_38merge_sort_block_merge_config_selectorIaNS0_10empty_typeEEEZZNS1_27merge_sort_block_merge_implIS3_N6thrust23THRUST_200600_302600_NS6detail15normal_iteratorINS9_10device_ptrIaEEEEPS5_m14custom_greaterIaEEE10hipError_tT0_T1_T2_jT3_P12ihipStream_tbPNSt15iterator_traitsISJ_E10value_typeEPNSP_ISK_E10value_typeEPSL_NS1_7vsmem_tEENKUlT_SJ_SK_SL_E_clISE_PaSF_SF_EESI_SY_SJ_SK_SL_EUlSY_E_NS1_11comp_targetILNS1_3genE4ELNS1_11target_archE910ELNS1_3gpuE8ELNS1_3repE0EEENS1_48merge_mergepath_partition_config_static_selectorELNS0_4arch9wavefront6targetE1EEEvSK_.kd
    .uniform_work_group_size: 1
    .uses_dynamic_stack: false
    .vgpr_count:     19
    .vgpr_spill_count: 0
    .wavefront_size: 64
  - .agpr_count:     0
    .args:
      - .offset:         0
        .size:           48
        .value_kind:     by_value
    .group_segment_fixed_size: 0
    .kernarg_segment_align: 8
    .kernarg_segment_size: 48
    .language:       OpenCL C
    .language_version:
      - 2
      - 0
    .max_flat_workgroup_size: 128
    .name:           _ZN7rocprim17ROCPRIM_400000_NS6detail17trampoline_kernelINS0_14default_configENS1_38merge_sort_block_merge_config_selectorIaNS0_10empty_typeEEEZZNS1_27merge_sort_block_merge_implIS3_N6thrust23THRUST_200600_302600_NS6detail15normal_iteratorINS9_10device_ptrIaEEEEPS5_m14custom_greaterIaEEE10hipError_tT0_T1_T2_jT3_P12ihipStream_tbPNSt15iterator_traitsISJ_E10value_typeEPNSP_ISK_E10value_typeEPSL_NS1_7vsmem_tEENKUlT_SJ_SK_SL_E_clISE_PaSF_SF_EESI_SY_SJ_SK_SL_EUlSY_E_NS1_11comp_targetILNS1_3genE3ELNS1_11target_archE908ELNS1_3gpuE7ELNS1_3repE0EEENS1_48merge_mergepath_partition_config_static_selectorELNS0_4arch9wavefront6targetE1EEEvSK_
    .private_segment_fixed_size: 0
    .sgpr_count:     4
    .sgpr_spill_count: 0
    .symbol:         _ZN7rocprim17ROCPRIM_400000_NS6detail17trampoline_kernelINS0_14default_configENS1_38merge_sort_block_merge_config_selectorIaNS0_10empty_typeEEEZZNS1_27merge_sort_block_merge_implIS3_N6thrust23THRUST_200600_302600_NS6detail15normal_iteratorINS9_10device_ptrIaEEEEPS5_m14custom_greaterIaEEE10hipError_tT0_T1_T2_jT3_P12ihipStream_tbPNSt15iterator_traitsISJ_E10value_typeEPNSP_ISK_E10value_typeEPSL_NS1_7vsmem_tEENKUlT_SJ_SK_SL_E_clISE_PaSF_SF_EESI_SY_SJ_SK_SL_EUlSY_E_NS1_11comp_targetILNS1_3genE3ELNS1_11target_archE908ELNS1_3gpuE7ELNS1_3repE0EEENS1_48merge_mergepath_partition_config_static_selectorELNS0_4arch9wavefront6targetE1EEEvSK_.kd
    .uniform_work_group_size: 1
    .uses_dynamic_stack: false
    .vgpr_count:     0
    .vgpr_spill_count: 0
    .wavefront_size: 64
  - .agpr_count:     0
    .args:
      - .offset:         0
        .size:           48
        .value_kind:     by_value
    .group_segment_fixed_size: 0
    .kernarg_segment_align: 8
    .kernarg_segment_size: 48
    .language:       OpenCL C
    .language_version:
      - 2
      - 0
    .max_flat_workgroup_size: 128
    .name:           _ZN7rocprim17ROCPRIM_400000_NS6detail17trampoline_kernelINS0_14default_configENS1_38merge_sort_block_merge_config_selectorIaNS0_10empty_typeEEEZZNS1_27merge_sort_block_merge_implIS3_N6thrust23THRUST_200600_302600_NS6detail15normal_iteratorINS9_10device_ptrIaEEEEPS5_m14custom_greaterIaEEE10hipError_tT0_T1_T2_jT3_P12ihipStream_tbPNSt15iterator_traitsISJ_E10value_typeEPNSP_ISK_E10value_typeEPSL_NS1_7vsmem_tEENKUlT_SJ_SK_SL_E_clISE_PaSF_SF_EESI_SY_SJ_SK_SL_EUlSY_E_NS1_11comp_targetILNS1_3genE2ELNS1_11target_archE906ELNS1_3gpuE6ELNS1_3repE0EEENS1_48merge_mergepath_partition_config_static_selectorELNS0_4arch9wavefront6targetE1EEEvSK_
    .private_segment_fixed_size: 0
    .sgpr_count:     4
    .sgpr_spill_count: 0
    .symbol:         _ZN7rocprim17ROCPRIM_400000_NS6detail17trampoline_kernelINS0_14default_configENS1_38merge_sort_block_merge_config_selectorIaNS0_10empty_typeEEEZZNS1_27merge_sort_block_merge_implIS3_N6thrust23THRUST_200600_302600_NS6detail15normal_iteratorINS9_10device_ptrIaEEEEPS5_m14custom_greaterIaEEE10hipError_tT0_T1_T2_jT3_P12ihipStream_tbPNSt15iterator_traitsISJ_E10value_typeEPNSP_ISK_E10value_typeEPSL_NS1_7vsmem_tEENKUlT_SJ_SK_SL_E_clISE_PaSF_SF_EESI_SY_SJ_SK_SL_EUlSY_E_NS1_11comp_targetILNS1_3genE2ELNS1_11target_archE906ELNS1_3gpuE6ELNS1_3repE0EEENS1_48merge_mergepath_partition_config_static_selectorELNS0_4arch9wavefront6targetE1EEEvSK_.kd
    .uniform_work_group_size: 1
    .uses_dynamic_stack: false
    .vgpr_count:     0
    .vgpr_spill_count: 0
    .wavefront_size: 64
  - .agpr_count:     0
    .args:
      - .offset:         0
        .size:           48
        .value_kind:     by_value
    .group_segment_fixed_size: 0
    .kernarg_segment_align: 8
    .kernarg_segment_size: 48
    .language:       OpenCL C
    .language_version:
      - 2
      - 0
    .max_flat_workgroup_size: 128
    .name:           _ZN7rocprim17ROCPRIM_400000_NS6detail17trampoline_kernelINS0_14default_configENS1_38merge_sort_block_merge_config_selectorIaNS0_10empty_typeEEEZZNS1_27merge_sort_block_merge_implIS3_N6thrust23THRUST_200600_302600_NS6detail15normal_iteratorINS9_10device_ptrIaEEEEPS5_m14custom_greaterIaEEE10hipError_tT0_T1_T2_jT3_P12ihipStream_tbPNSt15iterator_traitsISJ_E10value_typeEPNSP_ISK_E10value_typeEPSL_NS1_7vsmem_tEENKUlT_SJ_SK_SL_E_clISE_PaSF_SF_EESI_SY_SJ_SK_SL_EUlSY_E_NS1_11comp_targetILNS1_3genE9ELNS1_11target_archE1100ELNS1_3gpuE3ELNS1_3repE0EEENS1_48merge_mergepath_partition_config_static_selectorELNS0_4arch9wavefront6targetE1EEEvSK_
    .private_segment_fixed_size: 0
    .sgpr_count:     4
    .sgpr_spill_count: 0
    .symbol:         _ZN7rocprim17ROCPRIM_400000_NS6detail17trampoline_kernelINS0_14default_configENS1_38merge_sort_block_merge_config_selectorIaNS0_10empty_typeEEEZZNS1_27merge_sort_block_merge_implIS3_N6thrust23THRUST_200600_302600_NS6detail15normal_iteratorINS9_10device_ptrIaEEEEPS5_m14custom_greaterIaEEE10hipError_tT0_T1_T2_jT3_P12ihipStream_tbPNSt15iterator_traitsISJ_E10value_typeEPNSP_ISK_E10value_typeEPSL_NS1_7vsmem_tEENKUlT_SJ_SK_SL_E_clISE_PaSF_SF_EESI_SY_SJ_SK_SL_EUlSY_E_NS1_11comp_targetILNS1_3genE9ELNS1_11target_archE1100ELNS1_3gpuE3ELNS1_3repE0EEENS1_48merge_mergepath_partition_config_static_selectorELNS0_4arch9wavefront6targetE1EEEvSK_.kd
    .uniform_work_group_size: 1
    .uses_dynamic_stack: false
    .vgpr_count:     0
    .vgpr_spill_count: 0
    .wavefront_size: 64
  - .agpr_count:     0
    .args:
      - .offset:         0
        .size:           48
        .value_kind:     by_value
    .group_segment_fixed_size: 0
    .kernarg_segment_align: 8
    .kernarg_segment_size: 48
    .language:       OpenCL C
    .language_version:
      - 2
      - 0
    .max_flat_workgroup_size: 128
    .name:           _ZN7rocprim17ROCPRIM_400000_NS6detail17trampoline_kernelINS0_14default_configENS1_38merge_sort_block_merge_config_selectorIaNS0_10empty_typeEEEZZNS1_27merge_sort_block_merge_implIS3_N6thrust23THRUST_200600_302600_NS6detail15normal_iteratorINS9_10device_ptrIaEEEEPS5_m14custom_greaterIaEEE10hipError_tT0_T1_T2_jT3_P12ihipStream_tbPNSt15iterator_traitsISJ_E10value_typeEPNSP_ISK_E10value_typeEPSL_NS1_7vsmem_tEENKUlT_SJ_SK_SL_E_clISE_PaSF_SF_EESI_SY_SJ_SK_SL_EUlSY_E_NS1_11comp_targetILNS1_3genE8ELNS1_11target_archE1030ELNS1_3gpuE2ELNS1_3repE0EEENS1_48merge_mergepath_partition_config_static_selectorELNS0_4arch9wavefront6targetE1EEEvSK_
    .private_segment_fixed_size: 0
    .sgpr_count:     4
    .sgpr_spill_count: 0
    .symbol:         _ZN7rocprim17ROCPRIM_400000_NS6detail17trampoline_kernelINS0_14default_configENS1_38merge_sort_block_merge_config_selectorIaNS0_10empty_typeEEEZZNS1_27merge_sort_block_merge_implIS3_N6thrust23THRUST_200600_302600_NS6detail15normal_iteratorINS9_10device_ptrIaEEEEPS5_m14custom_greaterIaEEE10hipError_tT0_T1_T2_jT3_P12ihipStream_tbPNSt15iterator_traitsISJ_E10value_typeEPNSP_ISK_E10value_typeEPSL_NS1_7vsmem_tEENKUlT_SJ_SK_SL_E_clISE_PaSF_SF_EESI_SY_SJ_SK_SL_EUlSY_E_NS1_11comp_targetILNS1_3genE8ELNS1_11target_archE1030ELNS1_3gpuE2ELNS1_3repE0EEENS1_48merge_mergepath_partition_config_static_selectorELNS0_4arch9wavefront6targetE1EEEvSK_.kd
    .uniform_work_group_size: 1
    .uses_dynamic_stack: false
    .vgpr_count:     0
    .vgpr_spill_count: 0
    .wavefront_size: 64
  - .agpr_count:     0
    .args:
      - .offset:         0
        .size:           72
        .value_kind:     by_value
    .group_segment_fixed_size: 0
    .kernarg_segment_align: 8
    .kernarg_segment_size: 72
    .language:       OpenCL C
    .language_version:
      - 2
      - 0
    .max_flat_workgroup_size: 128
    .name:           _ZN7rocprim17ROCPRIM_400000_NS6detail17trampoline_kernelINS0_14default_configENS1_38merge_sort_block_merge_config_selectorIaNS0_10empty_typeEEEZZNS1_27merge_sort_block_merge_implIS3_N6thrust23THRUST_200600_302600_NS6detail15normal_iteratorINS9_10device_ptrIaEEEEPS5_m14custom_greaterIaEEE10hipError_tT0_T1_T2_jT3_P12ihipStream_tbPNSt15iterator_traitsISJ_E10value_typeEPNSP_ISK_E10value_typeEPSL_NS1_7vsmem_tEENKUlT_SJ_SK_SL_E_clISE_PaSF_SF_EESI_SY_SJ_SK_SL_EUlSY_E0_NS1_11comp_targetILNS1_3genE0ELNS1_11target_archE4294967295ELNS1_3gpuE0ELNS1_3repE0EEENS1_38merge_mergepath_config_static_selectorELNS0_4arch9wavefront6targetE1EEEvSK_
    .private_segment_fixed_size: 0
    .sgpr_count:     4
    .sgpr_spill_count: 0
    .symbol:         _ZN7rocprim17ROCPRIM_400000_NS6detail17trampoline_kernelINS0_14default_configENS1_38merge_sort_block_merge_config_selectorIaNS0_10empty_typeEEEZZNS1_27merge_sort_block_merge_implIS3_N6thrust23THRUST_200600_302600_NS6detail15normal_iteratorINS9_10device_ptrIaEEEEPS5_m14custom_greaterIaEEE10hipError_tT0_T1_T2_jT3_P12ihipStream_tbPNSt15iterator_traitsISJ_E10value_typeEPNSP_ISK_E10value_typeEPSL_NS1_7vsmem_tEENKUlT_SJ_SK_SL_E_clISE_PaSF_SF_EESI_SY_SJ_SK_SL_EUlSY_E0_NS1_11comp_targetILNS1_3genE0ELNS1_11target_archE4294967295ELNS1_3gpuE0ELNS1_3repE0EEENS1_38merge_mergepath_config_static_selectorELNS0_4arch9wavefront6targetE1EEEvSK_.kd
    .uniform_work_group_size: 1
    .uses_dynamic_stack: false
    .vgpr_count:     0
    .vgpr_spill_count: 0
    .wavefront_size: 64
  - .agpr_count:     0
    .args:
      - .offset:         0
        .size:           72
        .value_kind:     by_value
    .group_segment_fixed_size: 0
    .kernarg_segment_align: 8
    .kernarg_segment_size: 72
    .language:       OpenCL C
    .language_version:
      - 2
      - 0
    .max_flat_workgroup_size: 128
    .name:           _ZN7rocprim17ROCPRIM_400000_NS6detail17trampoline_kernelINS0_14default_configENS1_38merge_sort_block_merge_config_selectorIaNS0_10empty_typeEEEZZNS1_27merge_sort_block_merge_implIS3_N6thrust23THRUST_200600_302600_NS6detail15normal_iteratorINS9_10device_ptrIaEEEEPS5_m14custom_greaterIaEEE10hipError_tT0_T1_T2_jT3_P12ihipStream_tbPNSt15iterator_traitsISJ_E10value_typeEPNSP_ISK_E10value_typeEPSL_NS1_7vsmem_tEENKUlT_SJ_SK_SL_E_clISE_PaSF_SF_EESI_SY_SJ_SK_SL_EUlSY_E0_NS1_11comp_targetILNS1_3genE10ELNS1_11target_archE1201ELNS1_3gpuE5ELNS1_3repE0EEENS1_38merge_mergepath_config_static_selectorELNS0_4arch9wavefront6targetE1EEEvSK_
    .private_segment_fixed_size: 0
    .sgpr_count:     4
    .sgpr_spill_count: 0
    .symbol:         _ZN7rocprim17ROCPRIM_400000_NS6detail17trampoline_kernelINS0_14default_configENS1_38merge_sort_block_merge_config_selectorIaNS0_10empty_typeEEEZZNS1_27merge_sort_block_merge_implIS3_N6thrust23THRUST_200600_302600_NS6detail15normal_iteratorINS9_10device_ptrIaEEEEPS5_m14custom_greaterIaEEE10hipError_tT0_T1_T2_jT3_P12ihipStream_tbPNSt15iterator_traitsISJ_E10value_typeEPNSP_ISK_E10value_typeEPSL_NS1_7vsmem_tEENKUlT_SJ_SK_SL_E_clISE_PaSF_SF_EESI_SY_SJ_SK_SL_EUlSY_E0_NS1_11comp_targetILNS1_3genE10ELNS1_11target_archE1201ELNS1_3gpuE5ELNS1_3repE0EEENS1_38merge_mergepath_config_static_selectorELNS0_4arch9wavefront6targetE1EEEvSK_.kd
    .uniform_work_group_size: 1
    .uses_dynamic_stack: false
    .vgpr_count:     0
    .vgpr_spill_count: 0
    .wavefront_size: 64
  - .agpr_count:     0
    .args:
      - .offset:         0
        .size:           72
        .value_kind:     by_value
    .group_segment_fixed_size: 0
    .kernarg_segment_align: 8
    .kernarg_segment_size: 72
    .language:       OpenCL C
    .language_version:
      - 2
      - 0
    .max_flat_workgroup_size: 128
    .name:           _ZN7rocprim17ROCPRIM_400000_NS6detail17trampoline_kernelINS0_14default_configENS1_38merge_sort_block_merge_config_selectorIaNS0_10empty_typeEEEZZNS1_27merge_sort_block_merge_implIS3_N6thrust23THRUST_200600_302600_NS6detail15normal_iteratorINS9_10device_ptrIaEEEEPS5_m14custom_greaterIaEEE10hipError_tT0_T1_T2_jT3_P12ihipStream_tbPNSt15iterator_traitsISJ_E10value_typeEPNSP_ISK_E10value_typeEPSL_NS1_7vsmem_tEENKUlT_SJ_SK_SL_E_clISE_PaSF_SF_EESI_SY_SJ_SK_SL_EUlSY_E0_NS1_11comp_targetILNS1_3genE5ELNS1_11target_archE942ELNS1_3gpuE9ELNS1_3repE0EEENS1_38merge_mergepath_config_static_selectorELNS0_4arch9wavefront6targetE1EEEvSK_
    .private_segment_fixed_size: 0
    .sgpr_count:     4
    .sgpr_spill_count: 0
    .symbol:         _ZN7rocprim17ROCPRIM_400000_NS6detail17trampoline_kernelINS0_14default_configENS1_38merge_sort_block_merge_config_selectorIaNS0_10empty_typeEEEZZNS1_27merge_sort_block_merge_implIS3_N6thrust23THRUST_200600_302600_NS6detail15normal_iteratorINS9_10device_ptrIaEEEEPS5_m14custom_greaterIaEEE10hipError_tT0_T1_T2_jT3_P12ihipStream_tbPNSt15iterator_traitsISJ_E10value_typeEPNSP_ISK_E10value_typeEPSL_NS1_7vsmem_tEENKUlT_SJ_SK_SL_E_clISE_PaSF_SF_EESI_SY_SJ_SK_SL_EUlSY_E0_NS1_11comp_targetILNS1_3genE5ELNS1_11target_archE942ELNS1_3gpuE9ELNS1_3repE0EEENS1_38merge_mergepath_config_static_selectorELNS0_4arch9wavefront6targetE1EEEvSK_.kd
    .uniform_work_group_size: 1
    .uses_dynamic_stack: false
    .vgpr_count:     0
    .vgpr_spill_count: 0
    .wavefront_size: 64
  - .agpr_count:     0
    .args:
      - .offset:         0
        .size:           72
        .value_kind:     by_value
      - .offset:         72
        .size:           4
        .value_kind:     hidden_block_count_x
      - .offset:         76
        .size:           4
        .value_kind:     hidden_block_count_y
      - .offset:         80
        .size:           4
        .value_kind:     hidden_block_count_z
      - .offset:         84
        .size:           2
        .value_kind:     hidden_group_size_x
      - .offset:         86
        .size:           2
        .value_kind:     hidden_group_size_y
      - .offset:         88
        .size:           2
        .value_kind:     hidden_group_size_z
      - .offset:         90
        .size:           2
        .value_kind:     hidden_remainder_x
      - .offset:         92
        .size:           2
        .value_kind:     hidden_remainder_y
      - .offset:         94
        .size:           2
        .value_kind:     hidden_remainder_z
      - .offset:         112
        .size:           8
        .value_kind:     hidden_global_offset_x
      - .offset:         120
        .size:           8
        .value_kind:     hidden_global_offset_y
      - .offset:         128
        .size:           8
        .value_kind:     hidden_global_offset_z
      - .offset:         136
        .size:           2
        .value_kind:     hidden_grid_dims
    .group_segment_fixed_size: 1056
    .kernarg_segment_align: 8
    .kernarg_segment_size: 328
    .language:       OpenCL C
    .language_version:
      - 2
      - 0
    .max_flat_workgroup_size: 128
    .name:           _ZN7rocprim17ROCPRIM_400000_NS6detail17trampoline_kernelINS0_14default_configENS1_38merge_sort_block_merge_config_selectorIaNS0_10empty_typeEEEZZNS1_27merge_sort_block_merge_implIS3_N6thrust23THRUST_200600_302600_NS6detail15normal_iteratorINS9_10device_ptrIaEEEEPS5_m14custom_greaterIaEEE10hipError_tT0_T1_T2_jT3_P12ihipStream_tbPNSt15iterator_traitsISJ_E10value_typeEPNSP_ISK_E10value_typeEPSL_NS1_7vsmem_tEENKUlT_SJ_SK_SL_E_clISE_PaSF_SF_EESI_SY_SJ_SK_SL_EUlSY_E0_NS1_11comp_targetILNS1_3genE4ELNS1_11target_archE910ELNS1_3gpuE8ELNS1_3repE0EEENS1_38merge_mergepath_config_static_selectorELNS0_4arch9wavefront6targetE1EEEvSK_
    .private_segment_fixed_size: 0
    .sgpr_count:     35
    .sgpr_spill_count: 0
    .symbol:         _ZN7rocprim17ROCPRIM_400000_NS6detail17trampoline_kernelINS0_14default_configENS1_38merge_sort_block_merge_config_selectorIaNS0_10empty_typeEEEZZNS1_27merge_sort_block_merge_implIS3_N6thrust23THRUST_200600_302600_NS6detail15normal_iteratorINS9_10device_ptrIaEEEEPS5_m14custom_greaterIaEEE10hipError_tT0_T1_T2_jT3_P12ihipStream_tbPNSt15iterator_traitsISJ_E10value_typeEPNSP_ISK_E10value_typeEPSL_NS1_7vsmem_tEENKUlT_SJ_SK_SL_E_clISE_PaSF_SF_EESI_SY_SJ_SK_SL_EUlSY_E0_NS1_11comp_targetILNS1_3genE4ELNS1_11target_archE910ELNS1_3gpuE8ELNS1_3repE0EEENS1_38merge_mergepath_config_static_selectorELNS0_4arch9wavefront6targetE1EEEvSK_.kd
    .uniform_work_group_size: 1
    .uses_dynamic_stack: false
    .vgpr_count:     26
    .vgpr_spill_count: 0
    .wavefront_size: 64
  - .agpr_count:     0
    .args:
      - .offset:         0
        .size:           72
        .value_kind:     by_value
    .group_segment_fixed_size: 0
    .kernarg_segment_align: 8
    .kernarg_segment_size: 72
    .language:       OpenCL C
    .language_version:
      - 2
      - 0
    .max_flat_workgroup_size: 128
    .name:           _ZN7rocprim17ROCPRIM_400000_NS6detail17trampoline_kernelINS0_14default_configENS1_38merge_sort_block_merge_config_selectorIaNS0_10empty_typeEEEZZNS1_27merge_sort_block_merge_implIS3_N6thrust23THRUST_200600_302600_NS6detail15normal_iteratorINS9_10device_ptrIaEEEEPS5_m14custom_greaterIaEEE10hipError_tT0_T1_T2_jT3_P12ihipStream_tbPNSt15iterator_traitsISJ_E10value_typeEPNSP_ISK_E10value_typeEPSL_NS1_7vsmem_tEENKUlT_SJ_SK_SL_E_clISE_PaSF_SF_EESI_SY_SJ_SK_SL_EUlSY_E0_NS1_11comp_targetILNS1_3genE3ELNS1_11target_archE908ELNS1_3gpuE7ELNS1_3repE0EEENS1_38merge_mergepath_config_static_selectorELNS0_4arch9wavefront6targetE1EEEvSK_
    .private_segment_fixed_size: 0
    .sgpr_count:     4
    .sgpr_spill_count: 0
    .symbol:         _ZN7rocprim17ROCPRIM_400000_NS6detail17trampoline_kernelINS0_14default_configENS1_38merge_sort_block_merge_config_selectorIaNS0_10empty_typeEEEZZNS1_27merge_sort_block_merge_implIS3_N6thrust23THRUST_200600_302600_NS6detail15normal_iteratorINS9_10device_ptrIaEEEEPS5_m14custom_greaterIaEEE10hipError_tT0_T1_T2_jT3_P12ihipStream_tbPNSt15iterator_traitsISJ_E10value_typeEPNSP_ISK_E10value_typeEPSL_NS1_7vsmem_tEENKUlT_SJ_SK_SL_E_clISE_PaSF_SF_EESI_SY_SJ_SK_SL_EUlSY_E0_NS1_11comp_targetILNS1_3genE3ELNS1_11target_archE908ELNS1_3gpuE7ELNS1_3repE0EEENS1_38merge_mergepath_config_static_selectorELNS0_4arch9wavefront6targetE1EEEvSK_.kd
    .uniform_work_group_size: 1
    .uses_dynamic_stack: false
    .vgpr_count:     0
    .vgpr_spill_count: 0
    .wavefront_size: 64
  - .agpr_count:     0
    .args:
      - .offset:         0
        .size:           72
        .value_kind:     by_value
    .group_segment_fixed_size: 0
    .kernarg_segment_align: 8
    .kernarg_segment_size: 72
    .language:       OpenCL C
    .language_version:
      - 2
      - 0
    .max_flat_workgroup_size: 128
    .name:           _ZN7rocprim17ROCPRIM_400000_NS6detail17trampoline_kernelINS0_14default_configENS1_38merge_sort_block_merge_config_selectorIaNS0_10empty_typeEEEZZNS1_27merge_sort_block_merge_implIS3_N6thrust23THRUST_200600_302600_NS6detail15normal_iteratorINS9_10device_ptrIaEEEEPS5_m14custom_greaterIaEEE10hipError_tT0_T1_T2_jT3_P12ihipStream_tbPNSt15iterator_traitsISJ_E10value_typeEPNSP_ISK_E10value_typeEPSL_NS1_7vsmem_tEENKUlT_SJ_SK_SL_E_clISE_PaSF_SF_EESI_SY_SJ_SK_SL_EUlSY_E0_NS1_11comp_targetILNS1_3genE2ELNS1_11target_archE906ELNS1_3gpuE6ELNS1_3repE0EEENS1_38merge_mergepath_config_static_selectorELNS0_4arch9wavefront6targetE1EEEvSK_
    .private_segment_fixed_size: 0
    .sgpr_count:     4
    .sgpr_spill_count: 0
    .symbol:         _ZN7rocprim17ROCPRIM_400000_NS6detail17trampoline_kernelINS0_14default_configENS1_38merge_sort_block_merge_config_selectorIaNS0_10empty_typeEEEZZNS1_27merge_sort_block_merge_implIS3_N6thrust23THRUST_200600_302600_NS6detail15normal_iteratorINS9_10device_ptrIaEEEEPS5_m14custom_greaterIaEEE10hipError_tT0_T1_T2_jT3_P12ihipStream_tbPNSt15iterator_traitsISJ_E10value_typeEPNSP_ISK_E10value_typeEPSL_NS1_7vsmem_tEENKUlT_SJ_SK_SL_E_clISE_PaSF_SF_EESI_SY_SJ_SK_SL_EUlSY_E0_NS1_11comp_targetILNS1_3genE2ELNS1_11target_archE906ELNS1_3gpuE6ELNS1_3repE0EEENS1_38merge_mergepath_config_static_selectorELNS0_4arch9wavefront6targetE1EEEvSK_.kd
    .uniform_work_group_size: 1
    .uses_dynamic_stack: false
    .vgpr_count:     0
    .vgpr_spill_count: 0
    .wavefront_size: 64
  - .agpr_count:     0
    .args:
      - .offset:         0
        .size:           72
        .value_kind:     by_value
    .group_segment_fixed_size: 0
    .kernarg_segment_align: 8
    .kernarg_segment_size: 72
    .language:       OpenCL C
    .language_version:
      - 2
      - 0
    .max_flat_workgroup_size: 128
    .name:           _ZN7rocprim17ROCPRIM_400000_NS6detail17trampoline_kernelINS0_14default_configENS1_38merge_sort_block_merge_config_selectorIaNS0_10empty_typeEEEZZNS1_27merge_sort_block_merge_implIS3_N6thrust23THRUST_200600_302600_NS6detail15normal_iteratorINS9_10device_ptrIaEEEEPS5_m14custom_greaterIaEEE10hipError_tT0_T1_T2_jT3_P12ihipStream_tbPNSt15iterator_traitsISJ_E10value_typeEPNSP_ISK_E10value_typeEPSL_NS1_7vsmem_tEENKUlT_SJ_SK_SL_E_clISE_PaSF_SF_EESI_SY_SJ_SK_SL_EUlSY_E0_NS1_11comp_targetILNS1_3genE9ELNS1_11target_archE1100ELNS1_3gpuE3ELNS1_3repE0EEENS1_38merge_mergepath_config_static_selectorELNS0_4arch9wavefront6targetE1EEEvSK_
    .private_segment_fixed_size: 0
    .sgpr_count:     4
    .sgpr_spill_count: 0
    .symbol:         _ZN7rocprim17ROCPRIM_400000_NS6detail17trampoline_kernelINS0_14default_configENS1_38merge_sort_block_merge_config_selectorIaNS0_10empty_typeEEEZZNS1_27merge_sort_block_merge_implIS3_N6thrust23THRUST_200600_302600_NS6detail15normal_iteratorINS9_10device_ptrIaEEEEPS5_m14custom_greaterIaEEE10hipError_tT0_T1_T2_jT3_P12ihipStream_tbPNSt15iterator_traitsISJ_E10value_typeEPNSP_ISK_E10value_typeEPSL_NS1_7vsmem_tEENKUlT_SJ_SK_SL_E_clISE_PaSF_SF_EESI_SY_SJ_SK_SL_EUlSY_E0_NS1_11comp_targetILNS1_3genE9ELNS1_11target_archE1100ELNS1_3gpuE3ELNS1_3repE0EEENS1_38merge_mergepath_config_static_selectorELNS0_4arch9wavefront6targetE1EEEvSK_.kd
    .uniform_work_group_size: 1
    .uses_dynamic_stack: false
    .vgpr_count:     0
    .vgpr_spill_count: 0
    .wavefront_size: 64
  - .agpr_count:     0
    .args:
      - .offset:         0
        .size:           72
        .value_kind:     by_value
    .group_segment_fixed_size: 0
    .kernarg_segment_align: 8
    .kernarg_segment_size: 72
    .language:       OpenCL C
    .language_version:
      - 2
      - 0
    .max_flat_workgroup_size: 128
    .name:           _ZN7rocprim17ROCPRIM_400000_NS6detail17trampoline_kernelINS0_14default_configENS1_38merge_sort_block_merge_config_selectorIaNS0_10empty_typeEEEZZNS1_27merge_sort_block_merge_implIS3_N6thrust23THRUST_200600_302600_NS6detail15normal_iteratorINS9_10device_ptrIaEEEEPS5_m14custom_greaterIaEEE10hipError_tT0_T1_T2_jT3_P12ihipStream_tbPNSt15iterator_traitsISJ_E10value_typeEPNSP_ISK_E10value_typeEPSL_NS1_7vsmem_tEENKUlT_SJ_SK_SL_E_clISE_PaSF_SF_EESI_SY_SJ_SK_SL_EUlSY_E0_NS1_11comp_targetILNS1_3genE8ELNS1_11target_archE1030ELNS1_3gpuE2ELNS1_3repE0EEENS1_38merge_mergepath_config_static_selectorELNS0_4arch9wavefront6targetE1EEEvSK_
    .private_segment_fixed_size: 0
    .sgpr_count:     4
    .sgpr_spill_count: 0
    .symbol:         _ZN7rocprim17ROCPRIM_400000_NS6detail17trampoline_kernelINS0_14default_configENS1_38merge_sort_block_merge_config_selectorIaNS0_10empty_typeEEEZZNS1_27merge_sort_block_merge_implIS3_N6thrust23THRUST_200600_302600_NS6detail15normal_iteratorINS9_10device_ptrIaEEEEPS5_m14custom_greaterIaEEE10hipError_tT0_T1_T2_jT3_P12ihipStream_tbPNSt15iterator_traitsISJ_E10value_typeEPNSP_ISK_E10value_typeEPSL_NS1_7vsmem_tEENKUlT_SJ_SK_SL_E_clISE_PaSF_SF_EESI_SY_SJ_SK_SL_EUlSY_E0_NS1_11comp_targetILNS1_3genE8ELNS1_11target_archE1030ELNS1_3gpuE2ELNS1_3repE0EEENS1_38merge_mergepath_config_static_selectorELNS0_4arch9wavefront6targetE1EEEvSK_.kd
    .uniform_work_group_size: 1
    .uses_dynamic_stack: false
    .vgpr_count:     0
    .vgpr_spill_count: 0
    .wavefront_size: 64
  - .agpr_count:     0
    .args:
      - .offset:         0
        .size:           56
        .value_kind:     by_value
    .group_segment_fixed_size: 0
    .kernarg_segment_align: 8
    .kernarg_segment_size: 56
    .language:       OpenCL C
    .language_version:
      - 2
      - 0
    .max_flat_workgroup_size: 256
    .name:           _ZN7rocprim17ROCPRIM_400000_NS6detail17trampoline_kernelINS0_14default_configENS1_38merge_sort_block_merge_config_selectorIaNS0_10empty_typeEEEZZNS1_27merge_sort_block_merge_implIS3_N6thrust23THRUST_200600_302600_NS6detail15normal_iteratorINS9_10device_ptrIaEEEEPS5_m14custom_greaterIaEEE10hipError_tT0_T1_T2_jT3_P12ihipStream_tbPNSt15iterator_traitsISJ_E10value_typeEPNSP_ISK_E10value_typeEPSL_NS1_7vsmem_tEENKUlT_SJ_SK_SL_E_clISE_PaSF_SF_EESI_SY_SJ_SK_SL_EUlSY_E1_NS1_11comp_targetILNS1_3genE0ELNS1_11target_archE4294967295ELNS1_3gpuE0ELNS1_3repE0EEENS1_36merge_oddeven_config_static_selectorELNS0_4arch9wavefront6targetE1EEEvSK_
    .private_segment_fixed_size: 0
    .sgpr_count:     4
    .sgpr_spill_count: 0
    .symbol:         _ZN7rocprim17ROCPRIM_400000_NS6detail17trampoline_kernelINS0_14default_configENS1_38merge_sort_block_merge_config_selectorIaNS0_10empty_typeEEEZZNS1_27merge_sort_block_merge_implIS3_N6thrust23THRUST_200600_302600_NS6detail15normal_iteratorINS9_10device_ptrIaEEEEPS5_m14custom_greaterIaEEE10hipError_tT0_T1_T2_jT3_P12ihipStream_tbPNSt15iterator_traitsISJ_E10value_typeEPNSP_ISK_E10value_typeEPSL_NS1_7vsmem_tEENKUlT_SJ_SK_SL_E_clISE_PaSF_SF_EESI_SY_SJ_SK_SL_EUlSY_E1_NS1_11comp_targetILNS1_3genE0ELNS1_11target_archE4294967295ELNS1_3gpuE0ELNS1_3repE0EEENS1_36merge_oddeven_config_static_selectorELNS0_4arch9wavefront6targetE1EEEvSK_.kd
    .uniform_work_group_size: 1
    .uses_dynamic_stack: false
    .vgpr_count:     0
    .vgpr_spill_count: 0
    .wavefront_size: 64
  - .agpr_count:     0
    .args:
      - .offset:         0
        .size:           56
        .value_kind:     by_value
    .group_segment_fixed_size: 0
    .kernarg_segment_align: 8
    .kernarg_segment_size: 56
    .language:       OpenCL C
    .language_version:
      - 2
      - 0
    .max_flat_workgroup_size: 256
    .name:           _ZN7rocprim17ROCPRIM_400000_NS6detail17trampoline_kernelINS0_14default_configENS1_38merge_sort_block_merge_config_selectorIaNS0_10empty_typeEEEZZNS1_27merge_sort_block_merge_implIS3_N6thrust23THRUST_200600_302600_NS6detail15normal_iteratorINS9_10device_ptrIaEEEEPS5_m14custom_greaterIaEEE10hipError_tT0_T1_T2_jT3_P12ihipStream_tbPNSt15iterator_traitsISJ_E10value_typeEPNSP_ISK_E10value_typeEPSL_NS1_7vsmem_tEENKUlT_SJ_SK_SL_E_clISE_PaSF_SF_EESI_SY_SJ_SK_SL_EUlSY_E1_NS1_11comp_targetILNS1_3genE10ELNS1_11target_archE1201ELNS1_3gpuE5ELNS1_3repE0EEENS1_36merge_oddeven_config_static_selectorELNS0_4arch9wavefront6targetE1EEEvSK_
    .private_segment_fixed_size: 0
    .sgpr_count:     4
    .sgpr_spill_count: 0
    .symbol:         _ZN7rocprim17ROCPRIM_400000_NS6detail17trampoline_kernelINS0_14default_configENS1_38merge_sort_block_merge_config_selectorIaNS0_10empty_typeEEEZZNS1_27merge_sort_block_merge_implIS3_N6thrust23THRUST_200600_302600_NS6detail15normal_iteratorINS9_10device_ptrIaEEEEPS5_m14custom_greaterIaEEE10hipError_tT0_T1_T2_jT3_P12ihipStream_tbPNSt15iterator_traitsISJ_E10value_typeEPNSP_ISK_E10value_typeEPSL_NS1_7vsmem_tEENKUlT_SJ_SK_SL_E_clISE_PaSF_SF_EESI_SY_SJ_SK_SL_EUlSY_E1_NS1_11comp_targetILNS1_3genE10ELNS1_11target_archE1201ELNS1_3gpuE5ELNS1_3repE0EEENS1_36merge_oddeven_config_static_selectorELNS0_4arch9wavefront6targetE1EEEvSK_.kd
    .uniform_work_group_size: 1
    .uses_dynamic_stack: false
    .vgpr_count:     0
    .vgpr_spill_count: 0
    .wavefront_size: 64
  - .agpr_count:     0
    .args:
      - .offset:         0
        .size:           56
        .value_kind:     by_value
    .group_segment_fixed_size: 0
    .kernarg_segment_align: 8
    .kernarg_segment_size: 56
    .language:       OpenCL C
    .language_version:
      - 2
      - 0
    .max_flat_workgroup_size: 256
    .name:           _ZN7rocprim17ROCPRIM_400000_NS6detail17trampoline_kernelINS0_14default_configENS1_38merge_sort_block_merge_config_selectorIaNS0_10empty_typeEEEZZNS1_27merge_sort_block_merge_implIS3_N6thrust23THRUST_200600_302600_NS6detail15normal_iteratorINS9_10device_ptrIaEEEEPS5_m14custom_greaterIaEEE10hipError_tT0_T1_T2_jT3_P12ihipStream_tbPNSt15iterator_traitsISJ_E10value_typeEPNSP_ISK_E10value_typeEPSL_NS1_7vsmem_tEENKUlT_SJ_SK_SL_E_clISE_PaSF_SF_EESI_SY_SJ_SK_SL_EUlSY_E1_NS1_11comp_targetILNS1_3genE5ELNS1_11target_archE942ELNS1_3gpuE9ELNS1_3repE0EEENS1_36merge_oddeven_config_static_selectorELNS0_4arch9wavefront6targetE1EEEvSK_
    .private_segment_fixed_size: 0
    .sgpr_count:     4
    .sgpr_spill_count: 0
    .symbol:         _ZN7rocprim17ROCPRIM_400000_NS6detail17trampoline_kernelINS0_14default_configENS1_38merge_sort_block_merge_config_selectorIaNS0_10empty_typeEEEZZNS1_27merge_sort_block_merge_implIS3_N6thrust23THRUST_200600_302600_NS6detail15normal_iteratorINS9_10device_ptrIaEEEEPS5_m14custom_greaterIaEEE10hipError_tT0_T1_T2_jT3_P12ihipStream_tbPNSt15iterator_traitsISJ_E10value_typeEPNSP_ISK_E10value_typeEPSL_NS1_7vsmem_tEENKUlT_SJ_SK_SL_E_clISE_PaSF_SF_EESI_SY_SJ_SK_SL_EUlSY_E1_NS1_11comp_targetILNS1_3genE5ELNS1_11target_archE942ELNS1_3gpuE9ELNS1_3repE0EEENS1_36merge_oddeven_config_static_selectorELNS0_4arch9wavefront6targetE1EEEvSK_.kd
    .uniform_work_group_size: 1
    .uses_dynamic_stack: false
    .vgpr_count:     0
    .vgpr_spill_count: 0
    .wavefront_size: 64
  - .agpr_count:     0
    .args:
      - .offset:         0
        .size:           56
        .value_kind:     by_value
    .group_segment_fixed_size: 0
    .kernarg_segment_align: 8
    .kernarg_segment_size: 56
    .language:       OpenCL C
    .language_version:
      - 2
      - 0
    .max_flat_workgroup_size: 256
    .name:           _ZN7rocprim17ROCPRIM_400000_NS6detail17trampoline_kernelINS0_14default_configENS1_38merge_sort_block_merge_config_selectorIaNS0_10empty_typeEEEZZNS1_27merge_sort_block_merge_implIS3_N6thrust23THRUST_200600_302600_NS6detail15normal_iteratorINS9_10device_ptrIaEEEEPS5_m14custom_greaterIaEEE10hipError_tT0_T1_T2_jT3_P12ihipStream_tbPNSt15iterator_traitsISJ_E10value_typeEPNSP_ISK_E10value_typeEPSL_NS1_7vsmem_tEENKUlT_SJ_SK_SL_E_clISE_PaSF_SF_EESI_SY_SJ_SK_SL_EUlSY_E1_NS1_11comp_targetILNS1_3genE4ELNS1_11target_archE910ELNS1_3gpuE8ELNS1_3repE0EEENS1_36merge_oddeven_config_static_selectorELNS0_4arch9wavefront6targetE1EEEvSK_
    .private_segment_fixed_size: 0
    .sgpr_count:     24
    .sgpr_spill_count: 0
    .symbol:         _ZN7rocprim17ROCPRIM_400000_NS6detail17trampoline_kernelINS0_14default_configENS1_38merge_sort_block_merge_config_selectorIaNS0_10empty_typeEEEZZNS1_27merge_sort_block_merge_implIS3_N6thrust23THRUST_200600_302600_NS6detail15normal_iteratorINS9_10device_ptrIaEEEEPS5_m14custom_greaterIaEEE10hipError_tT0_T1_T2_jT3_P12ihipStream_tbPNSt15iterator_traitsISJ_E10value_typeEPNSP_ISK_E10value_typeEPSL_NS1_7vsmem_tEENKUlT_SJ_SK_SL_E_clISE_PaSF_SF_EESI_SY_SJ_SK_SL_EUlSY_E1_NS1_11comp_targetILNS1_3genE4ELNS1_11target_archE910ELNS1_3gpuE8ELNS1_3repE0EEENS1_36merge_oddeven_config_static_selectorELNS0_4arch9wavefront6targetE1EEEvSK_.kd
    .uniform_work_group_size: 1
    .uses_dynamic_stack: false
    .vgpr_count:     8
    .vgpr_spill_count: 0
    .wavefront_size: 64
  - .agpr_count:     0
    .args:
      - .offset:         0
        .size:           56
        .value_kind:     by_value
    .group_segment_fixed_size: 0
    .kernarg_segment_align: 8
    .kernarg_segment_size: 56
    .language:       OpenCL C
    .language_version:
      - 2
      - 0
    .max_flat_workgroup_size: 256
    .name:           _ZN7rocprim17ROCPRIM_400000_NS6detail17trampoline_kernelINS0_14default_configENS1_38merge_sort_block_merge_config_selectorIaNS0_10empty_typeEEEZZNS1_27merge_sort_block_merge_implIS3_N6thrust23THRUST_200600_302600_NS6detail15normal_iteratorINS9_10device_ptrIaEEEEPS5_m14custom_greaterIaEEE10hipError_tT0_T1_T2_jT3_P12ihipStream_tbPNSt15iterator_traitsISJ_E10value_typeEPNSP_ISK_E10value_typeEPSL_NS1_7vsmem_tEENKUlT_SJ_SK_SL_E_clISE_PaSF_SF_EESI_SY_SJ_SK_SL_EUlSY_E1_NS1_11comp_targetILNS1_3genE3ELNS1_11target_archE908ELNS1_3gpuE7ELNS1_3repE0EEENS1_36merge_oddeven_config_static_selectorELNS0_4arch9wavefront6targetE1EEEvSK_
    .private_segment_fixed_size: 0
    .sgpr_count:     4
    .sgpr_spill_count: 0
    .symbol:         _ZN7rocprim17ROCPRIM_400000_NS6detail17trampoline_kernelINS0_14default_configENS1_38merge_sort_block_merge_config_selectorIaNS0_10empty_typeEEEZZNS1_27merge_sort_block_merge_implIS3_N6thrust23THRUST_200600_302600_NS6detail15normal_iteratorINS9_10device_ptrIaEEEEPS5_m14custom_greaterIaEEE10hipError_tT0_T1_T2_jT3_P12ihipStream_tbPNSt15iterator_traitsISJ_E10value_typeEPNSP_ISK_E10value_typeEPSL_NS1_7vsmem_tEENKUlT_SJ_SK_SL_E_clISE_PaSF_SF_EESI_SY_SJ_SK_SL_EUlSY_E1_NS1_11comp_targetILNS1_3genE3ELNS1_11target_archE908ELNS1_3gpuE7ELNS1_3repE0EEENS1_36merge_oddeven_config_static_selectorELNS0_4arch9wavefront6targetE1EEEvSK_.kd
    .uniform_work_group_size: 1
    .uses_dynamic_stack: false
    .vgpr_count:     0
    .vgpr_spill_count: 0
    .wavefront_size: 64
  - .agpr_count:     0
    .args:
      - .offset:         0
        .size:           56
        .value_kind:     by_value
    .group_segment_fixed_size: 0
    .kernarg_segment_align: 8
    .kernarg_segment_size: 56
    .language:       OpenCL C
    .language_version:
      - 2
      - 0
    .max_flat_workgroup_size: 256
    .name:           _ZN7rocprim17ROCPRIM_400000_NS6detail17trampoline_kernelINS0_14default_configENS1_38merge_sort_block_merge_config_selectorIaNS0_10empty_typeEEEZZNS1_27merge_sort_block_merge_implIS3_N6thrust23THRUST_200600_302600_NS6detail15normal_iteratorINS9_10device_ptrIaEEEEPS5_m14custom_greaterIaEEE10hipError_tT0_T1_T2_jT3_P12ihipStream_tbPNSt15iterator_traitsISJ_E10value_typeEPNSP_ISK_E10value_typeEPSL_NS1_7vsmem_tEENKUlT_SJ_SK_SL_E_clISE_PaSF_SF_EESI_SY_SJ_SK_SL_EUlSY_E1_NS1_11comp_targetILNS1_3genE2ELNS1_11target_archE906ELNS1_3gpuE6ELNS1_3repE0EEENS1_36merge_oddeven_config_static_selectorELNS0_4arch9wavefront6targetE1EEEvSK_
    .private_segment_fixed_size: 0
    .sgpr_count:     4
    .sgpr_spill_count: 0
    .symbol:         _ZN7rocprim17ROCPRIM_400000_NS6detail17trampoline_kernelINS0_14default_configENS1_38merge_sort_block_merge_config_selectorIaNS0_10empty_typeEEEZZNS1_27merge_sort_block_merge_implIS3_N6thrust23THRUST_200600_302600_NS6detail15normal_iteratorINS9_10device_ptrIaEEEEPS5_m14custom_greaterIaEEE10hipError_tT0_T1_T2_jT3_P12ihipStream_tbPNSt15iterator_traitsISJ_E10value_typeEPNSP_ISK_E10value_typeEPSL_NS1_7vsmem_tEENKUlT_SJ_SK_SL_E_clISE_PaSF_SF_EESI_SY_SJ_SK_SL_EUlSY_E1_NS1_11comp_targetILNS1_3genE2ELNS1_11target_archE906ELNS1_3gpuE6ELNS1_3repE0EEENS1_36merge_oddeven_config_static_selectorELNS0_4arch9wavefront6targetE1EEEvSK_.kd
    .uniform_work_group_size: 1
    .uses_dynamic_stack: false
    .vgpr_count:     0
    .vgpr_spill_count: 0
    .wavefront_size: 64
  - .agpr_count:     0
    .args:
      - .offset:         0
        .size:           56
        .value_kind:     by_value
    .group_segment_fixed_size: 0
    .kernarg_segment_align: 8
    .kernarg_segment_size: 56
    .language:       OpenCL C
    .language_version:
      - 2
      - 0
    .max_flat_workgroup_size: 256
    .name:           _ZN7rocprim17ROCPRIM_400000_NS6detail17trampoline_kernelINS0_14default_configENS1_38merge_sort_block_merge_config_selectorIaNS0_10empty_typeEEEZZNS1_27merge_sort_block_merge_implIS3_N6thrust23THRUST_200600_302600_NS6detail15normal_iteratorINS9_10device_ptrIaEEEEPS5_m14custom_greaterIaEEE10hipError_tT0_T1_T2_jT3_P12ihipStream_tbPNSt15iterator_traitsISJ_E10value_typeEPNSP_ISK_E10value_typeEPSL_NS1_7vsmem_tEENKUlT_SJ_SK_SL_E_clISE_PaSF_SF_EESI_SY_SJ_SK_SL_EUlSY_E1_NS1_11comp_targetILNS1_3genE9ELNS1_11target_archE1100ELNS1_3gpuE3ELNS1_3repE0EEENS1_36merge_oddeven_config_static_selectorELNS0_4arch9wavefront6targetE1EEEvSK_
    .private_segment_fixed_size: 0
    .sgpr_count:     4
    .sgpr_spill_count: 0
    .symbol:         _ZN7rocprim17ROCPRIM_400000_NS6detail17trampoline_kernelINS0_14default_configENS1_38merge_sort_block_merge_config_selectorIaNS0_10empty_typeEEEZZNS1_27merge_sort_block_merge_implIS3_N6thrust23THRUST_200600_302600_NS6detail15normal_iteratorINS9_10device_ptrIaEEEEPS5_m14custom_greaterIaEEE10hipError_tT0_T1_T2_jT3_P12ihipStream_tbPNSt15iterator_traitsISJ_E10value_typeEPNSP_ISK_E10value_typeEPSL_NS1_7vsmem_tEENKUlT_SJ_SK_SL_E_clISE_PaSF_SF_EESI_SY_SJ_SK_SL_EUlSY_E1_NS1_11comp_targetILNS1_3genE9ELNS1_11target_archE1100ELNS1_3gpuE3ELNS1_3repE0EEENS1_36merge_oddeven_config_static_selectorELNS0_4arch9wavefront6targetE1EEEvSK_.kd
    .uniform_work_group_size: 1
    .uses_dynamic_stack: false
    .vgpr_count:     0
    .vgpr_spill_count: 0
    .wavefront_size: 64
  - .agpr_count:     0
    .args:
      - .offset:         0
        .size:           56
        .value_kind:     by_value
    .group_segment_fixed_size: 0
    .kernarg_segment_align: 8
    .kernarg_segment_size: 56
    .language:       OpenCL C
    .language_version:
      - 2
      - 0
    .max_flat_workgroup_size: 256
    .name:           _ZN7rocprim17ROCPRIM_400000_NS6detail17trampoline_kernelINS0_14default_configENS1_38merge_sort_block_merge_config_selectorIaNS0_10empty_typeEEEZZNS1_27merge_sort_block_merge_implIS3_N6thrust23THRUST_200600_302600_NS6detail15normal_iteratorINS9_10device_ptrIaEEEEPS5_m14custom_greaterIaEEE10hipError_tT0_T1_T2_jT3_P12ihipStream_tbPNSt15iterator_traitsISJ_E10value_typeEPNSP_ISK_E10value_typeEPSL_NS1_7vsmem_tEENKUlT_SJ_SK_SL_E_clISE_PaSF_SF_EESI_SY_SJ_SK_SL_EUlSY_E1_NS1_11comp_targetILNS1_3genE8ELNS1_11target_archE1030ELNS1_3gpuE2ELNS1_3repE0EEENS1_36merge_oddeven_config_static_selectorELNS0_4arch9wavefront6targetE1EEEvSK_
    .private_segment_fixed_size: 0
    .sgpr_count:     4
    .sgpr_spill_count: 0
    .symbol:         _ZN7rocprim17ROCPRIM_400000_NS6detail17trampoline_kernelINS0_14default_configENS1_38merge_sort_block_merge_config_selectorIaNS0_10empty_typeEEEZZNS1_27merge_sort_block_merge_implIS3_N6thrust23THRUST_200600_302600_NS6detail15normal_iteratorINS9_10device_ptrIaEEEEPS5_m14custom_greaterIaEEE10hipError_tT0_T1_T2_jT3_P12ihipStream_tbPNSt15iterator_traitsISJ_E10value_typeEPNSP_ISK_E10value_typeEPSL_NS1_7vsmem_tEENKUlT_SJ_SK_SL_E_clISE_PaSF_SF_EESI_SY_SJ_SK_SL_EUlSY_E1_NS1_11comp_targetILNS1_3genE8ELNS1_11target_archE1030ELNS1_3gpuE2ELNS1_3repE0EEENS1_36merge_oddeven_config_static_selectorELNS0_4arch9wavefront6targetE1EEEvSK_.kd
    .uniform_work_group_size: 1
    .uses_dynamic_stack: false
    .vgpr_count:     0
    .vgpr_spill_count: 0
    .wavefront_size: 64
  - .agpr_count:     0
    .args:
      - .offset:         0
        .size:           40
        .value_kind:     by_value
    .group_segment_fixed_size: 0
    .kernarg_segment_align: 8
    .kernarg_segment_size: 40
    .language:       OpenCL C
    .language_version:
      - 2
      - 0
    .max_flat_workgroup_size: 128
    .name:           _ZN7rocprim17ROCPRIM_400000_NS6detail17trampoline_kernelINS0_14default_configENS1_25transform_config_selectorIaLb0EEEZNS1_14transform_implILb0ES3_S5_PaN6thrust23THRUST_200600_302600_NS6detail15normal_iteratorINS9_10device_ptrIaEEEENS0_8identityIaEEEE10hipError_tT2_T3_mT4_P12ihipStream_tbEUlT_E_NS1_11comp_targetILNS1_3genE0ELNS1_11target_archE4294967295ELNS1_3gpuE0ELNS1_3repE0EEENS1_30default_config_static_selectorELNS0_4arch9wavefront6targetE1EEEvT1_
    .private_segment_fixed_size: 0
    .sgpr_count:     4
    .sgpr_spill_count: 0
    .symbol:         _ZN7rocprim17ROCPRIM_400000_NS6detail17trampoline_kernelINS0_14default_configENS1_25transform_config_selectorIaLb0EEEZNS1_14transform_implILb0ES3_S5_PaN6thrust23THRUST_200600_302600_NS6detail15normal_iteratorINS9_10device_ptrIaEEEENS0_8identityIaEEEE10hipError_tT2_T3_mT4_P12ihipStream_tbEUlT_E_NS1_11comp_targetILNS1_3genE0ELNS1_11target_archE4294967295ELNS1_3gpuE0ELNS1_3repE0EEENS1_30default_config_static_selectorELNS0_4arch9wavefront6targetE1EEEvT1_.kd
    .uniform_work_group_size: 1
    .uses_dynamic_stack: false
    .vgpr_count:     0
    .vgpr_spill_count: 0
    .wavefront_size: 64
  - .agpr_count:     0
    .args:
      - .offset:         0
        .size:           40
        .value_kind:     by_value
    .group_segment_fixed_size: 0
    .kernarg_segment_align: 8
    .kernarg_segment_size: 40
    .language:       OpenCL C
    .language_version:
      - 2
      - 0
    .max_flat_workgroup_size: 1024
    .name:           _ZN7rocprim17ROCPRIM_400000_NS6detail17trampoline_kernelINS0_14default_configENS1_25transform_config_selectorIaLb0EEEZNS1_14transform_implILb0ES3_S5_PaN6thrust23THRUST_200600_302600_NS6detail15normal_iteratorINS9_10device_ptrIaEEEENS0_8identityIaEEEE10hipError_tT2_T3_mT4_P12ihipStream_tbEUlT_E_NS1_11comp_targetILNS1_3genE5ELNS1_11target_archE942ELNS1_3gpuE9ELNS1_3repE0EEENS1_30default_config_static_selectorELNS0_4arch9wavefront6targetE1EEEvT1_
    .private_segment_fixed_size: 0
    .sgpr_count:     4
    .sgpr_spill_count: 0
    .symbol:         _ZN7rocprim17ROCPRIM_400000_NS6detail17trampoline_kernelINS0_14default_configENS1_25transform_config_selectorIaLb0EEEZNS1_14transform_implILb0ES3_S5_PaN6thrust23THRUST_200600_302600_NS6detail15normal_iteratorINS9_10device_ptrIaEEEENS0_8identityIaEEEE10hipError_tT2_T3_mT4_P12ihipStream_tbEUlT_E_NS1_11comp_targetILNS1_3genE5ELNS1_11target_archE942ELNS1_3gpuE9ELNS1_3repE0EEENS1_30default_config_static_selectorELNS0_4arch9wavefront6targetE1EEEvT1_.kd
    .uniform_work_group_size: 1
    .uses_dynamic_stack: false
    .vgpr_count:     0
    .vgpr_spill_count: 0
    .wavefront_size: 64
  - .agpr_count:     0
    .args:
      - .offset:         0
        .size:           40
        .value_kind:     by_value
      - .offset:         40
        .size:           4
        .value_kind:     hidden_block_count_x
      - .offset:         44
        .size:           4
        .value_kind:     hidden_block_count_y
      - .offset:         48
        .size:           4
        .value_kind:     hidden_block_count_z
      - .offset:         52
        .size:           2
        .value_kind:     hidden_group_size_x
      - .offset:         54
        .size:           2
        .value_kind:     hidden_group_size_y
      - .offset:         56
        .size:           2
        .value_kind:     hidden_group_size_z
      - .offset:         58
        .size:           2
        .value_kind:     hidden_remainder_x
      - .offset:         60
        .size:           2
        .value_kind:     hidden_remainder_y
      - .offset:         62
        .size:           2
        .value_kind:     hidden_remainder_z
      - .offset:         80
        .size:           8
        .value_kind:     hidden_global_offset_x
      - .offset:         88
        .size:           8
        .value_kind:     hidden_global_offset_y
      - .offset:         96
        .size:           8
        .value_kind:     hidden_global_offset_z
      - .offset:         104
        .size:           2
        .value_kind:     hidden_grid_dims
    .group_segment_fixed_size: 0
    .kernarg_segment_align: 8
    .kernarg_segment_size: 296
    .language:       OpenCL C
    .language_version:
      - 2
      - 0
    .max_flat_workgroup_size: 64
    .name:           _ZN7rocprim17ROCPRIM_400000_NS6detail17trampoline_kernelINS0_14default_configENS1_25transform_config_selectorIaLb0EEEZNS1_14transform_implILb0ES3_S5_PaN6thrust23THRUST_200600_302600_NS6detail15normal_iteratorINS9_10device_ptrIaEEEENS0_8identityIaEEEE10hipError_tT2_T3_mT4_P12ihipStream_tbEUlT_E_NS1_11comp_targetILNS1_3genE4ELNS1_11target_archE910ELNS1_3gpuE8ELNS1_3repE0EEENS1_30default_config_static_selectorELNS0_4arch9wavefront6targetE1EEEvT1_
    .private_segment_fixed_size: 0
    .sgpr_count:     46
    .sgpr_spill_count: 0
    .symbol:         _ZN7rocprim17ROCPRIM_400000_NS6detail17trampoline_kernelINS0_14default_configENS1_25transform_config_selectorIaLb0EEEZNS1_14transform_implILb0ES3_S5_PaN6thrust23THRUST_200600_302600_NS6detail15normal_iteratorINS9_10device_ptrIaEEEENS0_8identityIaEEEE10hipError_tT2_T3_mT4_P12ihipStream_tbEUlT_E_NS1_11comp_targetILNS1_3genE4ELNS1_11target_archE910ELNS1_3gpuE8ELNS1_3repE0EEENS1_30default_config_static_selectorELNS0_4arch9wavefront6targetE1EEEvT1_.kd
    .uniform_work_group_size: 1
    .uses_dynamic_stack: false
    .vgpr_count:     19
    .vgpr_spill_count: 0
    .wavefront_size: 64
  - .agpr_count:     0
    .args:
      - .offset:         0
        .size:           40
        .value_kind:     by_value
    .group_segment_fixed_size: 0
    .kernarg_segment_align: 8
    .kernarg_segment_size: 40
    .language:       OpenCL C
    .language_version:
      - 2
      - 0
    .max_flat_workgroup_size: 128
    .name:           _ZN7rocprim17ROCPRIM_400000_NS6detail17trampoline_kernelINS0_14default_configENS1_25transform_config_selectorIaLb0EEEZNS1_14transform_implILb0ES3_S5_PaN6thrust23THRUST_200600_302600_NS6detail15normal_iteratorINS9_10device_ptrIaEEEENS0_8identityIaEEEE10hipError_tT2_T3_mT4_P12ihipStream_tbEUlT_E_NS1_11comp_targetILNS1_3genE3ELNS1_11target_archE908ELNS1_3gpuE7ELNS1_3repE0EEENS1_30default_config_static_selectorELNS0_4arch9wavefront6targetE1EEEvT1_
    .private_segment_fixed_size: 0
    .sgpr_count:     4
    .sgpr_spill_count: 0
    .symbol:         _ZN7rocprim17ROCPRIM_400000_NS6detail17trampoline_kernelINS0_14default_configENS1_25transform_config_selectorIaLb0EEEZNS1_14transform_implILb0ES3_S5_PaN6thrust23THRUST_200600_302600_NS6detail15normal_iteratorINS9_10device_ptrIaEEEENS0_8identityIaEEEE10hipError_tT2_T3_mT4_P12ihipStream_tbEUlT_E_NS1_11comp_targetILNS1_3genE3ELNS1_11target_archE908ELNS1_3gpuE7ELNS1_3repE0EEENS1_30default_config_static_selectorELNS0_4arch9wavefront6targetE1EEEvT1_.kd
    .uniform_work_group_size: 1
    .uses_dynamic_stack: false
    .vgpr_count:     0
    .vgpr_spill_count: 0
    .wavefront_size: 64
  - .agpr_count:     0
    .args:
      - .offset:         0
        .size:           40
        .value_kind:     by_value
    .group_segment_fixed_size: 0
    .kernarg_segment_align: 8
    .kernarg_segment_size: 40
    .language:       OpenCL C
    .language_version:
      - 2
      - 0
    .max_flat_workgroup_size: 64
    .name:           _ZN7rocprim17ROCPRIM_400000_NS6detail17trampoline_kernelINS0_14default_configENS1_25transform_config_selectorIaLb0EEEZNS1_14transform_implILb0ES3_S5_PaN6thrust23THRUST_200600_302600_NS6detail15normal_iteratorINS9_10device_ptrIaEEEENS0_8identityIaEEEE10hipError_tT2_T3_mT4_P12ihipStream_tbEUlT_E_NS1_11comp_targetILNS1_3genE2ELNS1_11target_archE906ELNS1_3gpuE6ELNS1_3repE0EEENS1_30default_config_static_selectorELNS0_4arch9wavefront6targetE1EEEvT1_
    .private_segment_fixed_size: 0
    .sgpr_count:     4
    .sgpr_spill_count: 0
    .symbol:         _ZN7rocprim17ROCPRIM_400000_NS6detail17trampoline_kernelINS0_14default_configENS1_25transform_config_selectorIaLb0EEEZNS1_14transform_implILb0ES3_S5_PaN6thrust23THRUST_200600_302600_NS6detail15normal_iteratorINS9_10device_ptrIaEEEENS0_8identityIaEEEE10hipError_tT2_T3_mT4_P12ihipStream_tbEUlT_E_NS1_11comp_targetILNS1_3genE2ELNS1_11target_archE906ELNS1_3gpuE6ELNS1_3repE0EEENS1_30default_config_static_selectorELNS0_4arch9wavefront6targetE1EEEvT1_.kd
    .uniform_work_group_size: 1
    .uses_dynamic_stack: false
    .vgpr_count:     0
    .vgpr_spill_count: 0
    .wavefront_size: 64
  - .agpr_count:     0
    .args:
      - .offset:         0
        .size:           40
        .value_kind:     by_value
    .group_segment_fixed_size: 0
    .kernarg_segment_align: 8
    .kernarg_segment_size: 40
    .language:       OpenCL C
    .language_version:
      - 2
      - 0
    .max_flat_workgroup_size: 256
    .name:           _ZN7rocprim17ROCPRIM_400000_NS6detail17trampoline_kernelINS0_14default_configENS1_25transform_config_selectorIaLb0EEEZNS1_14transform_implILb0ES3_S5_PaN6thrust23THRUST_200600_302600_NS6detail15normal_iteratorINS9_10device_ptrIaEEEENS0_8identityIaEEEE10hipError_tT2_T3_mT4_P12ihipStream_tbEUlT_E_NS1_11comp_targetILNS1_3genE10ELNS1_11target_archE1201ELNS1_3gpuE5ELNS1_3repE0EEENS1_30default_config_static_selectorELNS0_4arch9wavefront6targetE1EEEvT1_
    .private_segment_fixed_size: 0
    .sgpr_count:     4
    .sgpr_spill_count: 0
    .symbol:         _ZN7rocprim17ROCPRIM_400000_NS6detail17trampoline_kernelINS0_14default_configENS1_25transform_config_selectorIaLb0EEEZNS1_14transform_implILb0ES3_S5_PaN6thrust23THRUST_200600_302600_NS6detail15normal_iteratorINS9_10device_ptrIaEEEENS0_8identityIaEEEE10hipError_tT2_T3_mT4_P12ihipStream_tbEUlT_E_NS1_11comp_targetILNS1_3genE10ELNS1_11target_archE1201ELNS1_3gpuE5ELNS1_3repE0EEENS1_30default_config_static_selectorELNS0_4arch9wavefront6targetE1EEEvT1_.kd
    .uniform_work_group_size: 1
    .uses_dynamic_stack: false
    .vgpr_count:     0
    .vgpr_spill_count: 0
    .wavefront_size: 64
  - .agpr_count:     0
    .args:
      - .offset:         0
        .size:           40
        .value_kind:     by_value
    .group_segment_fixed_size: 0
    .kernarg_segment_align: 8
    .kernarg_segment_size: 40
    .language:       OpenCL C
    .language_version:
      - 2
      - 0
    .max_flat_workgroup_size: 256
    .name:           _ZN7rocprim17ROCPRIM_400000_NS6detail17trampoline_kernelINS0_14default_configENS1_25transform_config_selectorIaLb0EEEZNS1_14transform_implILb0ES3_S5_PaN6thrust23THRUST_200600_302600_NS6detail15normal_iteratorINS9_10device_ptrIaEEEENS0_8identityIaEEEE10hipError_tT2_T3_mT4_P12ihipStream_tbEUlT_E_NS1_11comp_targetILNS1_3genE10ELNS1_11target_archE1200ELNS1_3gpuE4ELNS1_3repE0EEENS1_30default_config_static_selectorELNS0_4arch9wavefront6targetE1EEEvT1_
    .private_segment_fixed_size: 0
    .sgpr_count:     4
    .sgpr_spill_count: 0
    .symbol:         _ZN7rocprim17ROCPRIM_400000_NS6detail17trampoline_kernelINS0_14default_configENS1_25transform_config_selectorIaLb0EEEZNS1_14transform_implILb0ES3_S5_PaN6thrust23THRUST_200600_302600_NS6detail15normal_iteratorINS9_10device_ptrIaEEEENS0_8identityIaEEEE10hipError_tT2_T3_mT4_P12ihipStream_tbEUlT_E_NS1_11comp_targetILNS1_3genE10ELNS1_11target_archE1200ELNS1_3gpuE4ELNS1_3repE0EEENS1_30default_config_static_selectorELNS0_4arch9wavefront6targetE1EEEvT1_.kd
    .uniform_work_group_size: 1
    .uses_dynamic_stack: false
    .vgpr_count:     0
    .vgpr_spill_count: 0
    .wavefront_size: 64
  - .agpr_count:     0
    .args:
      - .offset:         0
        .size:           40
        .value_kind:     by_value
    .group_segment_fixed_size: 0
    .kernarg_segment_align: 8
    .kernarg_segment_size: 40
    .language:       OpenCL C
    .language_version:
      - 2
      - 0
    .max_flat_workgroup_size: 1024
    .name:           _ZN7rocprim17ROCPRIM_400000_NS6detail17trampoline_kernelINS0_14default_configENS1_25transform_config_selectorIaLb0EEEZNS1_14transform_implILb0ES3_S5_PaN6thrust23THRUST_200600_302600_NS6detail15normal_iteratorINS9_10device_ptrIaEEEENS0_8identityIaEEEE10hipError_tT2_T3_mT4_P12ihipStream_tbEUlT_E_NS1_11comp_targetILNS1_3genE9ELNS1_11target_archE1100ELNS1_3gpuE3ELNS1_3repE0EEENS1_30default_config_static_selectorELNS0_4arch9wavefront6targetE1EEEvT1_
    .private_segment_fixed_size: 0
    .sgpr_count:     4
    .sgpr_spill_count: 0
    .symbol:         _ZN7rocprim17ROCPRIM_400000_NS6detail17trampoline_kernelINS0_14default_configENS1_25transform_config_selectorIaLb0EEEZNS1_14transform_implILb0ES3_S5_PaN6thrust23THRUST_200600_302600_NS6detail15normal_iteratorINS9_10device_ptrIaEEEENS0_8identityIaEEEE10hipError_tT2_T3_mT4_P12ihipStream_tbEUlT_E_NS1_11comp_targetILNS1_3genE9ELNS1_11target_archE1100ELNS1_3gpuE3ELNS1_3repE0EEENS1_30default_config_static_selectorELNS0_4arch9wavefront6targetE1EEEvT1_.kd
    .uniform_work_group_size: 1
    .uses_dynamic_stack: false
    .vgpr_count:     0
    .vgpr_spill_count: 0
    .wavefront_size: 64
  - .agpr_count:     0
    .args:
      - .offset:         0
        .size:           40
        .value_kind:     by_value
    .group_segment_fixed_size: 0
    .kernarg_segment_align: 8
    .kernarg_segment_size: 40
    .language:       OpenCL C
    .language_version:
      - 2
      - 0
    .max_flat_workgroup_size: 128
    .name:           _ZN7rocprim17ROCPRIM_400000_NS6detail17trampoline_kernelINS0_14default_configENS1_25transform_config_selectorIaLb0EEEZNS1_14transform_implILb0ES3_S5_PaN6thrust23THRUST_200600_302600_NS6detail15normal_iteratorINS9_10device_ptrIaEEEENS0_8identityIaEEEE10hipError_tT2_T3_mT4_P12ihipStream_tbEUlT_E_NS1_11comp_targetILNS1_3genE8ELNS1_11target_archE1030ELNS1_3gpuE2ELNS1_3repE0EEENS1_30default_config_static_selectorELNS0_4arch9wavefront6targetE1EEEvT1_
    .private_segment_fixed_size: 0
    .sgpr_count:     4
    .sgpr_spill_count: 0
    .symbol:         _ZN7rocprim17ROCPRIM_400000_NS6detail17trampoline_kernelINS0_14default_configENS1_25transform_config_selectorIaLb0EEEZNS1_14transform_implILb0ES3_S5_PaN6thrust23THRUST_200600_302600_NS6detail15normal_iteratorINS9_10device_ptrIaEEEENS0_8identityIaEEEE10hipError_tT2_T3_mT4_P12ihipStream_tbEUlT_E_NS1_11comp_targetILNS1_3genE8ELNS1_11target_archE1030ELNS1_3gpuE2ELNS1_3repE0EEENS1_30default_config_static_selectorELNS0_4arch9wavefront6targetE1EEEvT1_.kd
    .uniform_work_group_size: 1
    .uses_dynamic_stack: false
    .vgpr_count:     0
    .vgpr_spill_count: 0
    .wavefront_size: 64
  - .agpr_count:     0
    .args:           []
    .group_segment_fixed_size: 0
    .kernarg_segment_align: 4
    .kernarg_segment_size: 0
    .language:       OpenCL C
    .language_version:
      - 2
      - 0
    .max_flat_workgroup_size: 1024
    .name:           _ZN7rocprim17ROCPRIM_400000_NS6detail44device_merge_sort_compile_time_verifier_archINS1_11comp_targetILNS1_3genE0ELNS1_11target_archE4294967295ELNS1_3gpuE0ELNS1_3repE0EEES8_NS0_14default_configES9_NS1_37merge_sort_block_sort_config_selectorIhNS0_10empty_typeEEENS1_38merge_sort_block_merge_config_selectorIhSB_EEEEvv
    .private_segment_fixed_size: 0
    .sgpr_count:     4
    .sgpr_spill_count: 0
    .symbol:         _ZN7rocprim17ROCPRIM_400000_NS6detail44device_merge_sort_compile_time_verifier_archINS1_11comp_targetILNS1_3genE0ELNS1_11target_archE4294967295ELNS1_3gpuE0ELNS1_3repE0EEES8_NS0_14default_configES9_NS1_37merge_sort_block_sort_config_selectorIhNS0_10empty_typeEEENS1_38merge_sort_block_merge_config_selectorIhSB_EEEEvv.kd
    .uniform_work_group_size: 1
    .uses_dynamic_stack: false
    .vgpr_count:     0
    .vgpr_spill_count: 0
    .wavefront_size: 64
  - .agpr_count:     0
    .args:           []
    .group_segment_fixed_size: 0
    .kernarg_segment_align: 4
    .kernarg_segment_size: 0
    .language:       OpenCL C
    .language_version:
      - 2
      - 0
    .max_flat_workgroup_size: 1024
    .name:           _ZN7rocprim17ROCPRIM_400000_NS6detail44device_merge_sort_compile_time_verifier_archINS1_11comp_targetILNS1_3genE5ELNS1_11target_archE942ELNS1_3gpuE9ELNS1_3repE0EEES8_NS0_14default_configES9_NS1_37merge_sort_block_sort_config_selectorIhNS0_10empty_typeEEENS1_38merge_sort_block_merge_config_selectorIhSB_EEEEvv
    .private_segment_fixed_size: 0
    .sgpr_count:     4
    .sgpr_spill_count: 0
    .symbol:         _ZN7rocprim17ROCPRIM_400000_NS6detail44device_merge_sort_compile_time_verifier_archINS1_11comp_targetILNS1_3genE5ELNS1_11target_archE942ELNS1_3gpuE9ELNS1_3repE0EEES8_NS0_14default_configES9_NS1_37merge_sort_block_sort_config_selectorIhNS0_10empty_typeEEENS1_38merge_sort_block_merge_config_selectorIhSB_EEEEvv.kd
    .uniform_work_group_size: 1
    .uses_dynamic_stack: false
    .vgpr_count:     0
    .vgpr_spill_count: 0
    .wavefront_size: 64
  - .agpr_count:     0
    .args:           []
    .group_segment_fixed_size: 0
    .kernarg_segment_align: 4
    .kernarg_segment_size: 0
    .language:       OpenCL C
    .language_version:
      - 2
      - 0
    .max_flat_workgroup_size: 1024
    .name:           _ZN7rocprim17ROCPRIM_400000_NS6detail44device_merge_sort_compile_time_verifier_archINS1_11comp_targetILNS1_3genE4ELNS1_11target_archE910ELNS1_3gpuE8ELNS1_3repE0EEES8_NS0_14default_configES9_NS1_37merge_sort_block_sort_config_selectorIhNS0_10empty_typeEEENS1_38merge_sort_block_merge_config_selectorIhSB_EEEEvv
    .private_segment_fixed_size: 0
    .sgpr_count:     4
    .sgpr_spill_count: 0
    .symbol:         _ZN7rocprim17ROCPRIM_400000_NS6detail44device_merge_sort_compile_time_verifier_archINS1_11comp_targetILNS1_3genE4ELNS1_11target_archE910ELNS1_3gpuE8ELNS1_3repE0EEES8_NS0_14default_configES9_NS1_37merge_sort_block_sort_config_selectorIhNS0_10empty_typeEEENS1_38merge_sort_block_merge_config_selectorIhSB_EEEEvv.kd
    .uniform_work_group_size: 1
    .uses_dynamic_stack: false
    .vgpr_count:     0
    .vgpr_spill_count: 0
    .wavefront_size: 64
  - .agpr_count:     0
    .args:           []
    .group_segment_fixed_size: 0
    .kernarg_segment_align: 4
    .kernarg_segment_size: 0
    .language:       OpenCL C
    .language_version:
      - 2
      - 0
    .max_flat_workgroup_size: 1024
    .name:           _ZN7rocprim17ROCPRIM_400000_NS6detail44device_merge_sort_compile_time_verifier_archINS1_11comp_targetILNS1_3genE3ELNS1_11target_archE908ELNS1_3gpuE7ELNS1_3repE0EEES8_NS0_14default_configES9_NS1_37merge_sort_block_sort_config_selectorIhNS0_10empty_typeEEENS1_38merge_sort_block_merge_config_selectorIhSB_EEEEvv
    .private_segment_fixed_size: 0
    .sgpr_count:     4
    .sgpr_spill_count: 0
    .symbol:         _ZN7rocprim17ROCPRIM_400000_NS6detail44device_merge_sort_compile_time_verifier_archINS1_11comp_targetILNS1_3genE3ELNS1_11target_archE908ELNS1_3gpuE7ELNS1_3repE0EEES8_NS0_14default_configES9_NS1_37merge_sort_block_sort_config_selectorIhNS0_10empty_typeEEENS1_38merge_sort_block_merge_config_selectorIhSB_EEEEvv.kd
    .uniform_work_group_size: 1
    .uses_dynamic_stack: false
    .vgpr_count:     0
    .vgpr_spill_count: 0
    .wavefront_size: 64
  - .agpr_count:     0
    .args:           []
    .group_segment_fixed_size: 0
    .kernarg_segment_align: 4
    .kernarg_segment_size: 0
    .language:       OpenCL C
    .language_version:
      - 2
      - 0
    .max_flat_workgroup_size: 1024
    .name:           _ZN7rocprim17ROCPRIM_400000_NS6detail44device_merge_sort_compile_time_verifier_archINS1_11comp_targetILNS1_3genE2ELNS1_11target_archE906ELNS1_3gpuE6ELNS1_3repE0EEES8_NS0_14default_configES9_NS1_37merge_sort_block_sort_config_selectorIhNS0_10empty_typeEEENS1_38merge_sort_block_merge_config_selectorIhSB_EEEEvv
    .private_segment_fixed_size: 0
    .sgpr_count:     4
    .sgpr_spill_count: 0
    .symbol:         _ZN7rocprim17ROCPRIM_400000_NS6detail44device_merge_sort_compile_time_verifier_archINS1_11comp_targetILNS1_3genE2ELNS1_11target_archE906ELNS1_3gpuE6ELNS1_3repE0EEES8_NS0_14default_configES9_NS1_37merge_sort_block_sort_config_selectorIhNS0_10empty_typeEEENS1_38merge_sort_block_merge_config_selectorIhSB_EEEEvv.kd
    .uniform_work_group_size: 1
    .uses_dynamic_stack: false
    .vgpr_count:     0
    .vgpr_spill_count: 0
    .wavefront_size: 64
  - .agpr_count:     0
    .args:           []
    .group_segment_fixed_size: 0
    .kernarg_segment_align: 4
    .kernarg_segment_size: 0
    .language:       OpenCL C
    .language_version:
      - 2
      - 0
    .max_flat_workgroup_size: 1024
    .name:           _ZN7rocprim17ROCPRIM_400000_NS6detail44device_merge_sort_compile_time_verifier_archINS1_11comp_targetILNS1_3genE10ELNS1_11target_archE1201ELNS1_3gpuE5ELNS1_3repE0EEES8_NS0_14default_configES9_NS1_37merge_sort_block_sort_config_selectorIhNS0_10empty_typeEEENS1_38merge_sort_block_merge_config_selectorIhSB_EEEEvv
    .private_segment_fixed_size: 0
    .sgpr_count:     4
    .sgpr_spill_count: 0
    .symbol:         _ZN7rocprim17ROCPRIM_400000_NS6detail44device_merge_sort_compile_time_verifier_archINS1_11comp_targetILNS1_3genE10ELNS1_11target_archE1201ELNS1_3gpuE5ELNS1_3repE0EEES8_NS0_14default_configES9_NS1_37merge_sort_block_sort_config_selectorIhNS0_10empty_typeEEENS1_38merge_sort_block_merge_config_selectorIhSB_EEEEvv.kd
    .uniform_work_group_size: 1
    .uses_dynamic_stack: false
    .vgpr_count:     0
    .vgpr_spill_count: 0
    .wavefront_size: 64
  - .agpr_count:     0
    .args:           []
    .group_segment_fixed_size: 0
    .kernarg_segment_align: 4
    .kernarg_segment_size: 0
    .language:       OpenCL C
    .language_version:
      - 2
      - 0
    .max_flat_workgroup_size: 1024
    .name:           _ZN7rocprim17ROCPRIM_400000_NS6detail44device_merge_sort_compile_time_verifier_archINS1_11comp_targetILNS1_3genE10ELNS1_11target_archE1200ELNS1_3gpuE4ELNS1_3repE0EEENS3_ILS4_10ELS5_1201ELS6_5ELS7_0EEENS0_14default_configESA_NS1_37merge_sort_block_sort_config_selectorIhNS0_10empty_typeEEENS1_38merge_sort_block_merge_config_selectorIhSC_EEEEvv
    .private_segment_fixed_size: 0
    .sgpr_count:     4
    .sgpr_spill_count: 0
    .symbol:         _ZN7rocprim17ROCPRIM_400000_NS6detail44device_merge_sort_compile_time_verifier_archINS1_11comp_targetILNS1_3genE10ELNS1_11target_archE1200ELNS1_3gpuE4ELNS1_3repE0EEENS3_ILS4_10ELS5_1201ELS6_5ELS7_0EEENS0_14default_configESA_NS1_37merge_sort_block_sort_config_selectorIhNS0_10empty_typeEEENS1_38merge_sort_block_merge_config_selectorIhSC_EEEEvv.kd
    .uniform_work_group_size: 1
    .uses_dynamic_stack: false
    .vgpr_count:     0
    .vgpr_spill_count: 0
    .wavefront_size: 64
  - .agpr_count:     0
    .args:           []
    .group_segment_fixed_size: 0
    .kernarg_segment_align: 4
    .kernarg_segment_size: 0
    .language:       OpenCL C
    .language_version:
      - 2
      - 0
    .max_flat_workgroup_size: 1024
    .name:           _ZN7rocprim17ROCPRIM_400000_NS6detail44device_merge_sort_compile_time_verifier_archINS1_11comp_targetILNS1_3genE9ELNS1_11target_archE1100ELNS1_3gpuE3ELNS1_3repE0EEES8_NS0_14default_configES9_NS1_37merge_sort_block_sort_config_selectorIhNS0_10empty_typeEEENS1_38merge_sort_block_merge_config_selectorIhSB_EEEEvv
    .private_segment_fixed_size: 0
    .sgpr_count:     4
    .sgpr_spill_count: 0
    .symbol:         _ZN7rocprim17ROCPRIM_400000_NS6detail44device_merge_sort_compile_time_verifier_archINS1_11comp_targetILNS1_3genE9ELNS1_11target_archE1100ELNS1_3gpuE3ELNS1_3repE0EEES8_NS0_14default_configES9_NS1_37merge_sort_block_sort_config_selectorIhNS0_10empty_typeEEENS1_38merge_sort_block_merge_config_selectorIhSB_EEEEvv.kd
    .uniform_work_group_size: 1
    .uses_dynamic_stack: false
    .vgpr_count:     0
    .vgpr_spill_count: 0
    .wavefront_size: 64
  - .agpr_count:     0
    .args:           []
    .group_segment_fixed_size: 0
    .kernarg_segment_align: 4
    .kernarg_segment_size: 0
    .language:       OpenCL C
    .language_version:
      - 2
      - 0
    .max_flat_workgroup_size: 1024
    .name:           _ZN7rocprim17ROCPRIM_400000_NS6detail44device_merge_sort_compile_time_verifier_archINS1_11comp_targetILNS1_3genE8ELNS1_11target_archE1030ELNS1_3gpuE2ELNS1_3repE0EEES8_NS0_14default_configES9_NS1_37merge_sort_block_sort_config_selectorIhNS0_10empty_typeEEENS1_38merge_sort_block_merge_config_selectorIhSB_EEEEvv
    .private_segment_fixed_size: 0
    .sgpr_count:     4
    .sgpr_spill_count: 0
    .symbol:         _ZN7rocprim17ROCPRIM_400000_NS6detail44device_merge_sort_compile_time_verifier_archINS1_11comp_targetILNS1_3genE8ELNS1_11target_archE1030ELNS1_3gpuE2ELNS1_3repE0EEES8_NS0_14default_configES9_NS1_37merge_sort_block_sort_config_selectorIhNS0_10empty_typeEEENS1_38merge_sort_block_merge_config_selectorIhSB_EEEEvv.kd
    .uniform_work_group_size: 1
    .uses_dynamic_stack: false
    .vgpr_count:     0
    .vgpr_spill_count: 0
    .wavefront_size: 64
  - .agpr_count:     0
    .args:
      - .offset:         0
        .size:           64
        .value_kind:     by_value
    .group_segment_fixed_size: 0
    .kernarg_segment_align: 8
    .kernarg_segment_size: 64
    .language:       OpenCL C
    .language_version:
      - 2
      - 0
    .max_flat_workgroup_size: 256
    .name:           _ZN7rocprim17ROCPRIM_400000_NS6detail17trampoline_kernelINS0_14default_configENS1_37merge_sort_block_sort_config_selectorIhNS0_10empty_typeEEEZNS1_21merge_sort_block_sortIS3_N6thrust23THRUST_200600_302600_NS6detail15normal_iteratorINS9_10device_ptrIhEEEESE_PS5_SF_14custom_greaterIhEEE10hipError_tT0_T1_T2_T3_mRjT4_P12ihipStream_tbNS1_7vsmem_tEEUlT_E_NS1_11comp_targetILNS1_3genE0ELNS1_11target_archE4294967295ELNS1_3gpuE0ELNS1_3repE0EEENS1_30default_config_static_selectorELNS0_4arch9wavefront6targetE1EEEvSK_
    .private_segment_fixed_size: 0
    .sgpr_count:     4
    .sgpr_spill_count: 0
    .symbol:         _ZN7rocprim17ROCPRIM_400000_NS6detail17trampoline_kernelINS0_14default_configENS1_37merge_sort_block_sort_config_selectorIhNS0_10empty_typeEEEZNS1_21merge_sort_block_sortIS3_N6thrust23THRUST_200600_302600_NS6detail15normal_iteratorINS9_10device_ptrIhEEEESE_PS5_SF_14custom_greaterIhEEE10hipError_tT0_T1_T2_T3_mRjT4_P12ihipStream_tbNS1_7vsmem_tEEUlT_E_NS1_11comp_targetILNS1_3genE0ELNS1_11target_archE4294967295ELNS1_3gpuE0ELNS1_3repE0EEENS1_30default_config_static_selectorELNS0_4arch9wavefront6targetE1EEEvSK_.kd
    .uniform_work_group_size: 1
    .uses_dynamic_stack: false
    .vgpr_count:     0
    .vgpr_spill_count: 0
    .wavefront_size: 64
  - .agpr_count:     0
    .args:
      - .offset:         0
        .size:           64
        .value_kind:     by_value
    .group_segment_fixed_size: 0
    .kernarg_segment_align: 8
    .kernarg_segment_size: 64
    .language:       OpenCL C
    .language_version:
      - 2
      - 0
    .max_flat_workgroup_size: 256
    .name:           _ZN7rocprim17ROCPRIM_400000_NS6detail17trampoline_kernelINS0_14default_configENS1_37merge_sort_block_sort_config_selectorIhNS0_10empty_typeEEEZNS1_21merge_sort_block_sortIS3_N6thrust23THRUST_200600_302600_NS6detail15normal_iteratorINS9_10device_ptrIhEEEESE_PS5_SF_14custom_greaterIhEEE10hipError_tT0_T1_T2_T3_mRjT4_P12ihipStream_tbNS1_7vsmem_tEEUlT_E_NS1_11comp_targetILNS1_3genE5ELNS1_11target_archE942ELNS1_3gpuE9ELNS1_3repE0EEENS1_30default_config_static_selectorELNS0_4arch9wavefront6targetE1EEEvSK_
    .private_segment_fixed_size: 0
    .sgpr_count:     4
    .sgpr_spill_count: 0
    .symbol:         _ZN7rocprim17ROCPRIM_400000_NS6detail17trampoline_kernelINS0_14default_configENS1_37merge_sort_block_sort_config_selectorIhNS0_10empty_typeEEEZNS1_21merge_sort_block_sortIS3_N6thrust23THRUST_200600_302600_NS6detail15normal_iteratorINS9_10device_ptrIhEEEESE_PS5_SF_14custom_greaterIhEEE10hipError_tT0_T1_T2_T3_mRjT4_P12ihipStream_tbNS1_7vsmem_tEEUlT_E_NS1_11comp_targetILNS1_3genE5ELNS1_11target_archE942ELNS1_3gpuE9ELNS1_3repE0EEENS1_30default_config_static_selectorELNS0_4arch9wavefront6targetE1EEEvSK_.kd
    .uniform_work_group_size: 1
    .uses_dynamic_stack: false
    .vgpr_count:     0
    .vgpr_spill_count: 0
    .wavefront_size: 64
  - .agpr_count:     0
    .args:
      - .offset:         0
        .size:           64
        .value_kind:     by_value
      - .offset:         64
        .size:           4
        .value_kind:     hidden_block_count_x
      - .offset:         68
        .size:           4
        .value_kind:     hidden_block_count_y
      - .offset:         72
        .size:           4
        .value_kind:     hidden_block_count_z
      - .offset:         76
        .size:           2
        .value_kind:     hidden_group_size_x
      - .offset:         78
        .size:           2
        .value_kind:     hidden_group_size_y
      - .offset:         80
        .size:           2
        .value_kind:     hidden_group_size_z
      - .offset:         82
        .size:           2
        .value_kind:     hidden_remainder_x
      - .offset:         84
        .size:           2
        .value_kind:     hidden_remainder_y
      - .offset:         86
        .size:           2
        .value_kind:     hidden_remainder_z
      - .offset:         104
        .size:           8
        .value_kind:     hidden_global_offset_x
      - .offset:         112
        .size:           8
        .value_kind:     hidden_global_offset_y
      - .offset:         120
        .size:           8
        .value_kind:     hidden_global_offset_z
      - .offset:         128
        .size:           2
        .value_kind:     hidden_grid_dims
      - .offset:         144
        .size:           8
        .value_kind:     hidden_hostcall_buffer
      - .offset:         152
        .size:           8
        .value_kind:     hidden_multigrid_sync_arg
      - .offset:         160
        .size:           8
        .value_kind:     hidden_heap_v1
      - .offset:         168
        .size:           8
        .value_kind:     hidden_default_queue
      - .offset:         176
        .size:           8
        .value_kind:     hidden_completion_action
      - .offset:         264
        .size:           8
        .value_kind:     hidden_queue_ptr
    .group_segment_fixed_size: 8448
    .kernarg_segment_align: 8
    .kernarg_segment_size: 320
    .language:       OpenCL C
    .language_version:
      - 2
      - 0
    .max_flat_workgroup_size: 256
    .name:           _ZN7rocprim17ROCPRIM_400000_NS6detail17trampoline_kernelINS0_14default_configENS1_37merge_sort_block_sort_config_selectorIhNS0_10empty_typeEEEZNS1_21merge_sort_block_sortIS3_N6thrust23THRUST_200600_302600_NS6detail15normal_iteratorINS9_10device_ptrIhEEEESE_PS5_SF_14custom_greaterIhEEE10hipError_tT0_T1_T2_T3_mRjT4_P12ihipStream_tbNS1_7vsmem_tEEUlT_E_NS1_11comp_targetILNS1_3genE4ELNS1_11target_archE910ELNS1_3gpuE8ELNS1_3repE0EEENS1_30default_config_static_selectorELNS0_4arch9wavefront6targetE1EEEvSK_
    .private_segment_fixed_size: 16
    .sgpr_count:     106
    .sgpr_spill_count: 0
    .symbol:         _ZN7rocprim17ROCPRIM_400000_NS6detail17trampoline_kernelINS0_14default_configENS1_37merge_sort_block_sort_config_selectorIhNS0_10empty_typeEEEZNS1_21merge_sort_block_sortIS3_N6thrust23THRUST_200600_302600_NS6detail15normal_iteratorINS9_10device_ptrIhEEEESE_PS5_SF_14custom_greaterIhEEE10hipError_tT0_T1_T2_T3_mRjT4_P12ihipStream_tbNS1_7vsmem_tEEUlT_E_NS1_11comp_targetILNS1_3genE4ELNS1_11target_archE910ELNS1_3gpuE8ELNS1_3repE0EEENS1_30default_config_static_selectorELNS0_4arch9wavefront6targetE1EEEvSK_.kd
    .uniform_work_group_size: 1
    .uses_dynamic_stack: false
    .vgpr_count:     152
    .vgpr_spill_count: 0
    .wavefront_size: 64
  - .agpr_count:     0
    .args:
      - .offset:         0
        .size:           64
        .value_kind:     by_value
    .group_segment_fixed_size: 0
    .kernarg_segment_align: 8
    .kernarg_segment_size: 64
    .language:       OpenCL C
    .language_version:
      - 2
      - 0
    .max_flat_workgroup_size: 256
    .name:           _ZN7rocprim17ROCPRIM_400000_NS6detail17trampoline_kernelINS0_14default_configENS1_37merge_sort_block_sort_config_selectorIhNS0_10empty_typeEEEZNS1_21merge_sort_block_sortIS3_N6thrust23THRUST_200600_302600_NS6detail15normal_iteratorINS9_10device_ptrIhEEEESE_PS5_SF_14custom_greaterIhEEE10hipError_tT0_T1_T2_T3_mRjT4_P12ihipStream_tbNS1_7vsmem_tEEUlT_E_NS1_11comp_targetILNS1_3genE3ELNS1_11target_archE908ELNS1_3gpuE7ELNS1_3repE0EEENS1_30default_config_static_selectorELNS0_4arch9wavefront6targetE1EEEvSK_
    .private_segment_fixed_size: 0
    .sgpr_count:     4
    .sgpr_spill_count: 0
    .symbol:         _ZN7rocprim17ROCPRIM_400000_NS6detail17trampoline_kernelINS0_14default_configENS1_37merge_sort_block_sort_config_selectorIhNS0_10empty_typeEEEZNS1_21merge_sort_block_sortIS3_N6thrust23THRUST_200600_302600_NS6detail15normal_iteratorINS9_10device_ptrIhEEEESE_PS5_SF_14custom_greaterIhEEE10hipError_tT0_T1_T2_T3_mRjT4_P12ihipStream_tbNS1_7vsmem_tEEUlT_E_NS1_11comp_targetILNS1_3genE3ELNS1_11target_archE908ELNS1_3gpuE7ELNS1_3repE0EEENS1_30default_config_static_selectorELNS0_4arch9wavefront6targetE1EEEvSK_.kd
    .uniform_work_group_size: 1
    .uses_dynamic_stack: false
    .vgpr_count:     0
    .vgpr_spill_count: 0
    .wavefront_size: 64
  - .agpr_count:     0
    .args:
      - .offset:         0
        .size:           64
        .value_kind:     by_value
    .group_segment_fixed_size: 0
    .kernarg_segment_align: 8
    .kernarg_segment_size: 64
    .language:       OpenCL C
    .language_version:
      - 2
      - 0
    .max_flat_workgroup_size: 256
    .name:           _ZN7rocprim17ROCPRIM_400000_NS6detail17trampoline_kernelINS0_14default_configENS1_37merge_sort_block_sort_config_selectorIhNS0_10empty_typeEEEZNS1_21merge_sort_block_sortIS3_N6thrust23THRUST_200600_302600_NS6detail15normal_iteratorINS9_10device_ptrIhEEEESE_PS5_SF_14custom_greaterIhEEE10hipError_tT0_T1_T2_T3_mRjT4_P12ihipStream_tbNS1_7vsmem_tEEUlT_E_NS1_11comp_targetILNS1_3genE2ELNS1_11target_archE906ELNS1_3gpuE6ELNS1_3repE0EEENS1_30default_config_static_selectorELNS0_4arch9wavefront6targetE1EEEvSK_
    .private_segment_fixed_size: 0
    .sgpr_count:     4
    .sgpr_spill_count: 0
    .symbol:         _ZN7rocprim17ROCPRIM_400000_NS6detail17trampoline_kernelINS0_14default_configENS1_37merge_sort_block_sort_config_selectorIhNS0_10empty_typeEEEZNS1_21merge_sort_block_sortIS3_N6thrust23THRUST_200600_302600_NS6detail15normal_iteratorINS9_10device_ptrIhEEEESE_PS5_SF_14custom_greaterIhEEE10hipError_tT0_T1_T2_T3_mRjT4_P12ihipStream_tbNS1_7vsmem_tEEUlT_E_NS1_11comp_targetILNS1_3genE2ELNS1_11target_archE906ELNS1_3gpuE6ELNS1_3repE0EEENS1_30default_config_static_selectorELNS0_4arch9wavefront6targetE1EEEvSK_.kd
    .uniform_work_group_size: 1
    .uses_dynamic_stack: false
    .vgpr_count:     0
    .vgpr_spill_count: 0
    .wavefront_size: 64
  - .agpr_count:     0
    .args:
      - .offset:         0
        .size:           64
        .value_kind:     by_value
    .group_segment_fixed_size: 0
    .kernarg_segment_align: 8
    .kernarg_segment_size: 64
    .language:       OpenCL C
    .language_version:
      - 2
      - 0
    .max_flat_workgroup_size: 256
    .name:           _ZN7rocprim17ROCPRIM_400000_NS6detail17trampoline_kernelINS0_14default_configENS1_37merge_sort_block_sort_config_selectorIhNS0_10empty_typeEEEZNS1_21merge_sort_block_sortIS3_N6thrust23THRUST_200600_302600_NS6detail15normal_iteratorINS9_10device_ptrIhEEEESE_PS5_SF_14custom_greaterIhEEE10hipError_tT0_T1_T2_T3_mRjT4_P12ihipStream_tbNS1_7vsmem_tEEUlT_E_NS1_11comp_targetILNS1_3genE10ELNS1_11target_archE1201ELNS1_3gpuE5ELNS1_3repE0EEENS1_30default_config_static_selectorELNS0_4arch9wavefront6targetE1EEEvSK_
    .private_segment_fixed_size: 0
    .sgpr_count:     4
    .sgpr_spill_count: 0
    .symbol:         _ZN7rocprim17ROCPRIM_400000_NS6detail17trampoline_kernelINS0_14default_configENS1_37merge_sort_block_sort_config_selectorIhNS0_10empty_typeEEEZNS1_21merge_sort_block_sortIS3_N6thrust23THRUST_200600_302600_NS6detail15normal_iteratorINS9_10device_ptrIhEEEESE_PS5_SF_14custom_greaterIhEEE10hipError_tT0_T1_T2_T3_mRjT4_P12ihipStream_tbNS1_7vsmem_tEEUlT_E_NS1_11comp_targetILNS1_3genE10ELNS1_11target_archE1201ELNS1_3gpuE5ELNS1_3repE0EEENS1_30default_config_static_selectorELNS0_4arch9wavefront6targetE1EEEvSK_.kd
    .uniform_work_group_size: 1
    .uses_dynamic_stack: false
    .vgpr_count:     0
    .vgpr_spill_count: 0
    .wavefront_size: 64
  - .agpr_count:     0
    .args:
      - .offset:         0
        .size:           64
        .value_kind:     by_value
    .group_segment_fixed_size: 0
    .kernarg_segment_align: 8
    .kernarg_segment_size: 64
    .language:       OpenCL C
    .language_version:
      - 2
      - 0
    .max_flat_workgroup_size: 256
    .name:           _ZN7rocprim17ROCPRIM_400000_NS6detail17trampoline_kernelINS0_14default_configENS1_37merge_sort_block_sort_config_selectorIhNS0_10empty_typeEEEZNS1_21merge_sort_block_sortIS3_N6thrust23THRUST_200600_302600_NS6detail15normal_iteratorINS9_10device_ptrIhEEEESE_PS5_SF_14custom_greaterIhEEE10hipError_tT0_T1_T2_T3_mRjT4_P12ihipStream_tbNS1_7vsmem_tEEUlT_E_NS1_11comp_targetILNS1_3genE10ELNS1_11target_archE1200ELNS1_3gpuE4ELNS1_3repE0EEENS1_30default_config_static_selectorELNS0_4arch9wavefront6targetE1EEEvSK_
    .private_segment_fixed_size: 0
    .sgpr_count:     4
    .sgpr_spill_count: 0
    .symbol:         _ZN7rocprim17ROCPRIM_400000_NS6detail17trampoline_kernelINS0_14default_configENS1_37merge_sort_block_sort_config_selectorIhNS0_10empty_typeEEEZNS1_21merge_sort_block_sortIS3_N6thrust23THRUST_200600_302600_NS6detail15normal_iteratorINS9_10device_ptrIhEEEESE_PS5_SF_14custom_greaterIhEEE10hipError_tT0_T1_T2_T3_mRjT4_P12ihipStream_tbNS1_7vsmem_tEEUlT_E_NS1_11comp_targetILNS1_3genE10ELNS1_11target_archE1200ELNS1_3gpuE4ELNS1_3repE0EEENS1_30default_config_static_selectorELNS0_4arch9wavefront6targetE1EEEvSK_.kd
    .uniform_work_group_size: 1
    .uses_dynamic_stack: false
    .vgpr_count:     0
    .vgpr_spill_count: 0
    .wavefront_size: 64
  - .agpr_count:     0
    .args:
      - .offset:         0
        .size:           64
        .value_kind:     by_value
    .group_segment_fixed_size: 0
    .kernarg_segment_align: 8
    .kernarg_segment_size: 64
    .language:       OpenCL C
    .language_version:
      - 2
      - 0
    .max_flat_workgroup_size: 256
    .name:           _ZN7rocprim17ROCPRIM_400000_NS6detail17trampoline_kernelINS0_14default_configENS1_37merge_sort_block_sort_config_selectorIhNS0_10empty_typeEEEZNS1_21merge_sort_block_sortIS3_N6thrust23THRUST_200600_302600_NS6detail15normal_iteratorINS9_10device_ptrIhEEEESE_PS5_SF_14custom_greaterIhEEE10hipError_tT0_T1_T2_T3_mRjT4_P12ihipStream_tbNS1_7vsmem_tEEUlT_E_NS1_11comp_targetILNS1_3genE9ELNS1_11target_archE1100ELNS1_3gpuE3ELNS1_3repE0EEENS1_30default_config_static_selectorELNS0_4arch9wavefront6targetE1EEEvSK_
    .private_segment_fixed_size: 0
    .sgpr_count:     4
    .sgpr_spill_count: 0
    .symbol:         _ZN7rocprim17ROCPRIM_400000_NS6detail17trampoline_kernelINS0_14default_configENS1_37merge_sort_block_sort_config_selectorIhNS0_10empty_typeEEEZNS1_21merge_sort_block_sortIS3_N6thrust23THRUST_200600_302600_NS6detail15normal_iteratorINS9_10device_ptrIhEEEESE_PS5_SF_14custom_greaterIhEEE10hipError_tT0_T1_T2_T3_mRjT4_P12ihipStream_tbNS1_7vsmem_tEEUlT_E_NS1_11comp_targetILNS1_3genE9ELNS1_11target_archE1100ELNS1_3gpuE3ELNS1_3repE0EEENS1_30default_config_static_selectorELNS0_4arch9wavefront6targetE1EEEvSK_.kd
    .uniform_work_group_size: 1
    .uses_dynamic_stack: false
    .vgpr_count:     0
    .vgpr_spill_count: 0
    .wavefront_size: 64
  - .agpr_count:     0
    .args:
      - .offset:         0
        .size:           64
        .value_kind:     by_value
    .group_segment_fixed_size: 0
    .kernarg_segment_align: 8
    .kernarg_segment_size: 64
    .language:       OpenCL C
    .language_version:
      - 2
      - 0
    .max_flat_workgroup_size: 256
    .name:           _ZN7rocprim17ROCPRIM_400000_NS6detail17trampoline_kernelINS0_14default_configENS1_37merge_sort_block_sort_config_selectorIhNS0_10empty_typeEEEZNS1_21merge_sort_block_sortIS3_N6thrust23THRUST_200600_302600_NS6detail15normal_iteratorINS9_10device_ptrIhEEEESE_PS5_SF_14custom_greaterIhEEE10hipError_tT0_T1_T2_T3_mRjT4_P12ihipStream_tbNS1_7vsmem_tEEUlT_E_NS1_11comp_targetILNS1_3genE8ELNS1_11target_archE1030ELNS1_3gpuE2ELNS1_3repE0EEENS1_30default_config_static_selectorELNS0_4arch9wavefront6targetE1EEEvSK_
    .private_segment_fixed_size: 0
    .sgpr_count:     4
    .sgpr_spill_count: 0
    .symbol:         _ZN7rocprim17ROCPRIM_400000_NS6detail17trampoline_kernelINS0_14default_configENS1_37merge_sort_block_sort_config_selectorIhNS0_10empty_typeEEEZNS1_21merge_sort_block_sortIS3_N6thrust23THRUST_200600_302600_NS6detail15normal_iteratorINS9_10device_ptrIhEEEESE_PS5_SF_14custom_greaterIhEEE10hipError_tT0_T1_T2_T3_mRjT4_P12ihipStream_tbNS1_7vsmem_tEEUlT_E_NS1_11comp_targetILNS1_3genE8ELNS1_11target_archE1030ELNS1_3gpuE2ELNS1_3repE0EEENS1_30default_config_static_selectorELNS0_4arch9wavefront6targetE1EEEvSK_.kd
    .uniform_work_group_size: 1
    .uses_dynamic_stack: false
    .vgpr_count:     0
    .vgpr_spill_count: 0
    .wavefront_size: 64
  - .agpr_count:     0
    .args:
      - .offset:         0
        .size:           48
        .value_kind:     by_value
    .group_segment_fixed_size: 0
    .kernarg_segment_align: 8
    .kernarg_segment_size: 48
    .language:       OpenCL C
    .language_version:
      - 2
      - 0
    .max_flat_workgroup_size: 128
    .name:           _ZN7rocprim17ROCPRIM_400000_NS6detail17trampoline_kernelINS0_14default_configENS1_38merge_sort_block_merge_config_selectorIhNS0_10empty_typeEEEZZNS1_27merge_sort_block_merge_implIS3_N6thrust23THRUST_200600_302600_NS6detail15normal_iteratorINS9_10device_ptrIhEEEEPS5_m14custom_greaterIhEEE10hipError_tT0_T1_T2_jT3_P12ihipStream_tbPNSt15iterator_traitsISJ_E10value_typeEPNSP_ISK_E10value_typeEPSL_NS1_7vsmem_tEENKUlT_SJ_SK_SL_E_clIPhSE_SF_SF_EESI_SY_SJ_SK_SL_EUlSY_E_NS1_11comp_targetILNS1_3genE0ELNS1_11target_archE4294967295ELNS1_3gpuE0ELNS1_3repE0EEENS1_48merge_mergepath_partition_config_static_selectorELNS0_4arch9wavefront6targetE1EEEvSK_
    .private_segment_fixed_size: 0
    .sgpr_count:     4
    .sgpr_spill_count: 0
    .symbol:         _ZN7rocprim17ROCPRIM_400000_NS6detail17trampoline_kernelINS0_14default_configENS1_38merge_sort_block_merge_config_selectorIhNS0_10empty_typeEEEZZNS1_27merge_sort_block_merge_implIS3_N6thrust23THRUST_200600_302600_NS6detail15normal_iteratorINS9_10device_ptrIhEEEEPS5_m14custom_greaterIhEEE10hipError_tT0_T1_T2_jT3_P12ihipStream_tbPNSt15iterator_traitsISJ_E10value_typeEPNSP_ISK_E10value_typeEPSL_NS1_7vsmem_tEENKUlT_SJ_SK_SL_E_clIPhSE_SF_SF_EESI_SY_SJ_SK_SL_EUlSY_E_NS1_11comp_targetILNS1_3genE0ELNS1_11target_archE4294967295ELNS1_3gpuE0ELNS1_3repE0EEENS1_48merge_mergepath_partition_config_static_selectorELNS0_4arch9wavefront6targetE1EEEvSK_.kd
    .uniform_work_group_size: 1
    .uses_dynamic_stack: false
    .vgpr_count:     0
    .vgpr_spill_count: 0
    .wavefront_size: 64
  - .agpr_count:     0
    .args:
      - .offset:         0
        .size:           48
        .value_kind:     by_value
    .group_segment_fixed_size: 0
    .kernarg_segment_align: 8
    .kernarg_segment_size: 48
    .language:       OpenCL C
    .language_version:
      - 2
      - 0
    .max_flat_workgroup_size: 128
    .name:           _ZN7rocprim17ROCPRIM_400000_NS6detail17trampoline_kernelINS0_14default_configENS1_38merge_sort_block_merge_config_selectorIhNS0_10empty_typeEEEZZNS1_27merge_sort_block_merge_implIS3_N6thrust23THRUST_200600_302600_NS6detail15normal_iteratorINS9_10device_ptrIhEEEEPS5_m14custom_greaterIhEEE10hipError_tT0_T1_T2_jT3_P12ihipStream_tbPNSt15iterator_traitsISJ_E10value_typeEPNSP_ISK_E10value_typeEPSL_NS1_7vsmem_tEENKUlT_SJ_SK_SL_E_clIPhSE_SF_SF_EESI_SY_SJ_SK_SL_EUlSY_E_NS1_11comp_targetILNS1_3genE10ELNS1_11target_archE1201ELNS1_3gpuE5ELNS1_3repE0EEENS1_48merge_mergepath_partition_config_static_selectorELNS0_4arch9wavefront6targetE1EEEvSK_
    .private_segment_fixed_size: 0
    .sgpr_count:     4
    .sgpr_spill_count: 0
    .symbol:         _ZN7rocprim17ROCPRIM_400000_NS6detail17trampoline_kernelINS0_14default_configENS1_38merge_sort_block_merge_config_selectorIhNS0_10empty_typeEEEZZNS1_27merge_sort_block_merge_implIS3_N6thrust23THRUST_200600_302600_NS6detail15normal_iteratorINS9_10device_ptrIhEEEEPS5_m14custom_greaterIhEEE10hipError_tT0_T1_T2_jT3_P12ihipStream_tbPNSt15iterator_traitsISJ_E10value_typeEPNSP_ISK_E10value_typeEPSL_NS1_7vsmem_tEENKUlT_SJ_SK_SL_E_clIPhSE_SF_SF_EESI_SY_SJ_SK_SL_EUlSY_E_NS1_11comp_targetILNS1_3genE10ELNS1_11target_archE1201ELNS1_3gpuE5ELNS1_3repE0EEENS1_48merge_mergepath_partition_config_static_selectorELNS0_4arch9wavefront6targetE1EEEvSK_.kd
    .uniform_work_group_size: 1
    .uses_dynamic_stack: false
    .vgpr_count:     0
    .vgpr_spill_count: 0
    .wavefront_size: 64
  - .agpr_count:     0
    .args:
      - .offset:         0
        .size:           48
        .value_kind:     by_value
    .group_segment_fixed_size: 0
    .kernarg_segment_align: 8
    .kernarg_segment_size: 48
    .language:       OpenCL C
    .language_version:
      - 2
      - 0
    .max_flat_workgroup_size: 128
    .name:           _ZN7rocprim17ROCPRIM_400000_NS6detail17trampoline_kernelINS0_14default_configENS1_38merge_sort_block_merge_config_selectorIhNS0_10empty_typeEEEZZNS1_27merge_sort_block_merge_implIS3_N6thrust23THRUST_200600_302600_NS6detail15normal_iteratorINS9_10device_ptrIhEEEEPS5_m14custom_greaterIhEEE10hipError_tT0_T1_T2_jT3_P12ihipStream_tbPNSt15iterator_traitsISJ_E10value_typeEPNSP_ISK_E10value_typeEPSL_NS1_7vsmem_tEENKUlT_SJ_SK_SL_E_clIPhSE_SF_SF_EESI_SY_SJ_SK_SL_EUlSY_E_NS1_11comp_targetILNS1_3genE5ELNS1_11target_archE942ELNS1_3gpuE9ELNS1_3repE0EEENS1_48merge_mergepath_partition_config_static_selectorELNS0_4arch9wavefront6targetE1EEEvSK_
    .private_segment_fixed_size: 0
    .sgpr_count:     4
    .sgpr_spill_count: 0
    .symbol:         _ZN7rocprim17ROCPRIM_400000_NS6detail17trampoline_kernelINS0_14default_configENS1_38merge_sort_block_merge_config_selectorIhNS0_10empty_typeEEEZZNS1_27merge_sort_block_merge_implIS3_N6thrust23THRUST_200600_302600_NS6detail15normal_iteratorINS9_10device_ptrIhEEEEPS5_m14custom_greaterIhEEE10hipError_tT0_T1_T2_jT3_P12ihipStream_tbPNSt15iterator_traitsISJ_E10value_typeEPNSP_ISK_E10value_typeEPSL_NS1_7vsmem_tEENKUlT_SJ_SK_SL_E_clIPhSE_SF_SF_EESI_SY_SJ_SK_SL_EUlSY_E_NS1_11comp_targetILNS1_3genE5ELNS1_11target_archE942ELNS1_3gpuE9ELNS1_3repE0EEENS1_48merge_mergepath_partition_config_static_selectorELNS0_4arch9wavefront6targetE1EEEvSK_.kd
    .uniform_work_group_size: 1
    .uses_dynamic_stack: false
    .vgpr_count:     0
    .vgpr_spill_count: 0
    .wavefront_size: 64
  - .agpr_count:     0
    .args:
      - .offset:         0
        .size:           48
        .value_kind:     by_value
    .group_segment_fixed_size: 0
    .kernarg_segment_align: 8
    .kernarg_segment_size: 48
    .language:       OpenCL C
    .language_version:
      - 2
      - 0
    .max_flat_workgroup_size: 128
    .name:           _ZN7rocprim17ROCPRIM_400000_NS6detail17trampoline_kernelINS0_14default_configENS1_38merge_sort_block_merge_config_selectorIhNS0_10empty_typeEEEZZNS1_27merge_sort_block_merge_implIS3_N6thrust23THRUST_200600_302600_NS6detail15normal_iteratorINS9_10device_ptrIhEEEEPS5_m14custom_greaterIhEEE10hipError_tT0_T1_T2_jT3_P12ihipStream_tbPNSt15iterator_traitsISJ_E10value_typeEPNSP_ISK_E10value_typeEPSL_NS1_7vsmem_tEENKUlT_SJ_SK_SL_E_clIPhSE_SF_SF_EESI_SY_SJ_SK_SL_EUlSY_E_NS1_11comp_targetILNS1_3genE4ELNS1_11target_archE910ELNS1_3gpuE8ELNS1_3repE0EEENS1_48merge_mergepath_partition_config_static_selectorELNS0_4arch9wavefront6targetE1EEEvSK_
    .private_segment_fixed_size: 0
    .sgpr_count:     12
    .sgpr_spill_count: 0
    .symbol:         _ZN7rocprim17ROCPRIM_400000_NS6detail17trampoline_kernelINS0_14default_configENS1_38merge_sort_block_merge_config_selectorIhNS0_10empty_typeEEEZZNS1_27merge_sort_block_merge_implIS3_N6thrust23THRUST_200600_302600_NS6detail15normal_iteratorINS9_10device_ptrIhEEEEPS5_m14custom_greaterIhEEE10hipError_tT0_T1_T2_jT3_P12ihipStream_tbPNSt15iterator_traitsISJ_E10value_typeEPNSP_ISK_E10value_typeEPSL_NS1_7vsmem_tEENKUlT_SJ_SK_SL_E_clIPhSE_SF_SF_EESI_SY_SJ_SK_SL_EUlSY_E_NS1_11comp_targetILNS1_3genE4ELNS1_11target_archE910ELNS1_3gpuE8ELNS1_3repE0EEENS1_48merge_mergepath_partition_config_static_selectorELNS0_4arch9wavefront6targetE1EEEvSK_.kd
    .uniform_work_group_size: 1
    .uses_dynamic_stack: false
    .vgpr_count:     19
    .vgpr_spill_count: 0
    .wavefront_size: 64
  - .agpr_count:     0
    .args:
      - .offset:         0
        .size:           48
        .value_kind:     by_value
    .group_segment_fixed_size: 0
    .kernarg_segment_align: 8
    .kernarg_segment_size: 48
    .language:       OpenCL C
    .language_version:
      - 2
      - 0
    .max_flat_workgroup_size: 128
    .name:           _ZN7rocprim17ROCPRIM_400000_NS6detail17trampoline_kernelINS0_14default_configENS1_38merge_sort_block_merge_config_selectorIhNS0_10empty_typeEEEZZNS1_27merge_sort_block_merge_implIS3_N6thrust23THRUST_200600_302600_NS6detail15normal_iteratorINS9_10device_ptrIhEEEEPS5_m14custom_greaterIhEEE10hipError_tT0_T1_T2_jT3_P12ihipStream_tbPNSt15iterator_traitsISJ_E10value_typeEPNSP_ISK_E10value_typeEPSL_NS1_7vsmem_tEENKUlT_SJ_SK_SL_E_clIPhSE_SF_SF_EESI_SY_SJ_SK_SL_EUlSY_E_NS1_11comp_targetILNS1_3genE3ELNS1_11target_archE908ELNS1_3gpuE7ELNS1_3repE0EEENS1_48merge_mergepath_partition_config_static_selectorELNS0_4arch9wavefront6targetE1EEEvSK_
    .private_segment_fixed_size: 0
    .sgpr_count:     4
    .sgpr_spill_count: 0
    .symbol:         _ZN7rocprim17ROCPRIM_400000_NS6detail17trampoline_kernelINS0_14default_configENS1_38merge_sort_block_merge_config_selectorIhNS0_10empty_typeEEEZZNS1_27merge_sort_block_merge_implIS3_N6thrust23THRUST_200600_302600_NS6detail15normal_iteratorINS9_10device_ptrIhEEEEPS5_m14custom_greaterIhEEE10hipError_tT0_T1_T2_jT3_P12ihipStream_tbPNSt15iterator_traitsISJ_E10value_typeEPNSP_ISK_E10value_typeEPSL_NS1_7vsmem_tEENKUlT_SJ_SK_SL_E_clIPhSE_SF_SF_EESI_SY_SJ_SK_SL_EUlSY_E_NS1_11comp_targetILNS1_3genE3ELNS1_11target_archE908ELNS1_3gpuE7ELNS1_3repE0EEENS1_48merge_mergepath_partition_config_static_selectorELNS0_4arch9wavefront6targetE1EEEvSK_.kd
    .uniform_work_group_size: 1
    .uses_dynamic_stack: false
    .vgpr_count:     0
    .vgpr_spill_count: 0
    .wavefront_size: 64
  - .agpr_count:     0
    .args:
      - .offset:         0
        .size:           48
        .value_kind:     by_value
    .group_segment_fixed_size: 0
    .kernarg_segment_align: 8
    .kernarg_segment_size: 48
    .language:       OpenCL C
    .language_version:
      - 2
      - 0
    .max_flat_workgroup_size: 128
    .name:           _ZN7rocprim17ROCPRIM_400000_NS6detail17trampoline_kernelINS0_14default_configENS1_38merge_sort_block_merge_config_selectorIhNS0_10empty_typeEEEZZNS1_27merge_sort_block_merge_implIS3_N6thrust23THRUST_200600_302600_NS6detail15normal_iteratorINS9_10device_ptrIhEEEEPS5_m14custom_greaterIhEEE10hipError_tT0_T1_T2_jT3_P12ihipStream_tbPNSt15iterator_traitsISJ_E10value_typeEPNSP_ISK_E10value_typeEPSL_NS1_7vsmem_tEENKUlT_SJ_SK_SL_E_clIPhSE_SF_SF_EESI_SY_SJ_SK_SL_EUlSY_E_NS1_11comp_targetILNS1_3genE2ELNS1_11target_archE906ELNS1_3gpuE6ELNS1_3repE0EEENS1_48merge_mergepath_partition_config_static_selectorELNS0_4arch9wavefront6targetE1EEEvSK_
    .private_segment_fixed_size: 0
    .sgpr_count:     4
    .sgpr_spill_count: 0
    .symbol:         _ZN7rocprim17ROCPRIM_400000_NS6detail17trampoline_kernelINS0_14default_configENS1_38merge_sort_block_merge_config_selectorIhNS0_10empty_typeEEEZZNS1_27merge_sort_block_merge_implIS3_N6thrust23THRUST_200600_302600_NS6detail15normal_iteratorINS9_10device_ptrIhEEEEPS5_m14custom_greaterIhEEE10hipError_tT0_T1_T2_jT3_P12ihipStream_tbPNSt15iterator_traitsISJ_E10value_typeEPNSP_ISK_E10value_typeEPSL_NS1_7vsmem_tEENKUlT_SJ_SK_SL_E_clIPhSE_SF_SF_EESI_SY_SJ_SK_SL_EUlSY_E_NS1_11comp_targetILNS1_3genE2ELNS1_11target_archE906ELNS1_3gpuE6ELNS1_3repE0EEENS1_48merge_mergepath_partition_config_static_selectorELNS0_4arch9wavefront6targetE1EEEvSK_.kd
    .uniform_work_group_size: 1
    .uses_dynamic_stack: false
    .vgpr_count:     0
    .vgpr_spill_count: 0
    .wavefront_size: 64
  - .agpr_count:     0
    .args:
      - .offset:         0
        .size:           48
        .value_kind:     by_value
    .group_segment_fixed_size: 0
    .kernarg_segment_align: 8
    .kernarg_segment_size: 48
    .language:       OpenCL C
    .language_version:
      - 2
      - 0
    .max_flat_workgroup_size: 128
    .name:           _ZN7rocprim17ROCPRIM_400000_NS6detail17trampoline_kernelINS0_14default_configENS1_38merge_sort_block_merge_config_selectorIhNS0_10empty_typeEEEZZNS1_27merge_sort_block_merge_implIS3_N6thrust23THRUST_200600_302600_NS6detail15normal_iteratorINS9_10device_ptrIhEEEEPS5_m14custom_greaterIhEEE10hipError_tT0_T1_T2_jT3_P12ihipStream_tbPNSt15iterator_traitsISJ_E10value_typeEPNSP_ISK_E10value_typeEPSL_NS1_7vsmem_tEENKUlT_SJ_SK_SL_E_clIPhSE_SF_SF_EESI_SY_SJ_SK_SL_EUlSY_E_NS1_11comp_targetILNS1_3genE9ELNS1_11target_archE1100ELNS1_3gpuE3ELNS1_3repE0EEENS1_48merge_mergepath_partition_config_static_selectorELNS0_4arch9wavefront6targetE1EEEvSK_
    .private_segment_fixed_size: 0
    .sgpr_count:     4
    .sgpr_spill_count: 0
    .symbol:         _ZN7rocprim17ROCPRIM_400000_NS6detail17trampoline_kernelINS0_14default_configENS1_38merge_sort_block_merge_config_selectorIhNS0_10empty_typeEEEZZNS1_27merge_sort_block_merge_implIS3_N6thrust23THRUST_200600_302600_NS6detail15normal_iteratorINS9_10device_ptrIhEEEEPS5_m14custom_greaterIhEEE10hipError_tT0_T1_T2_jT3_P12ihipStream_tbPNSt15iterator_traitsISJ_E10value_typeEPNSP_ISK_E10value_typeEPSL_NS1_7vsmem_tEENKUlT_SJ_SK_SL_E_clIPhSE_SF_SF_EESI_SY_SJ_SK_SL_EUlSY_E_NS1_11comp_targetILNS1_3genE9ELNS1_11target_archE1100ELNS1_3gpuE3ELNS1_3repE0EEENS1_48merge_mergepath_partition_config_static_selectorELNS0_4arch9wavefront6targetE1EEEvSK_.kd
    .uniform_work_group_size: 1
    .uses_dynamic_stack: false
    .vgpr_count:     0
    .vgpr_spill_count: 0
    .wavefront_size: 64
  - .agpr_count:     0
    .args:
      - .offset:         0
        .size:           48
        .value_kind:     by_value
    .group_segment_fixed_size: 0
    .kernarg_segment_align: 8
    .kernarg_segment_size: 48
    .language:       OpenCL C
    .language_version:
      - 2
      - 0
    .max_flat_workgroup_size: 128
    .name:           _ZN7rocprim17ROCPRIM_400000_NS6detail17trampoline_kernelINS0_14default_configENS1_38merge_sort_block_merge_config_selectorIhNS0_10empty_typeEEEZZNS1_27merge_sort_block_merge_implIS3_N6thrust23THRUST_200600_302600_NS6detail15normal_iteratorINS9_10device_ptrIhEEEEPS5_m14custom_greaterIhEEE10hipError_tT0_T1_T2_jT3_P12ihipStream_tbPNSt15iterator_traitsISJ_E10value_typeEPNSP_ISK_E10value_typeEPSL_NS1_7vsmem_tEENKUlT_SJ_SK_SL_E_clIPhSE_SF_SF_EESI_SY_SJ_SK_SL_EUlSY_E_NS1_11comp_targetILNS1_3genE8ELNS1_11target_archE1030ELNS1_3gpuE2ELNS1_3repE0EEENS1_48merge_mergepath_partition_config_static_selectorELNS0_4arch9wavefront6targetE1EEEvSK_
    .private_segment_fixed_size: 0
    .sgpr_count:     4
    .sgpr_spill_count: 0
    .symbol:         _ZN7rocprim17ROCPRIM_400000_NS6detail17trampoline_kernelINS0_14default_configENS1_38merge_sort_block_merge_config_selectorIhNS0_10empty_typeEEEZZNS1_27merge_sort_block_merge_implIS3_N6thrust23THRUST_200600_302600_NS6detail15normal_iteratorINS9_10device_ptrIhEEEEPS5_m14custom_greaterIhEEE10hipError_tT0_T1_T2_jT3_P12ihipStream_tbPNSt15iterator_traitsISJ_E10value_typeEPNSP_ISK_E10value_typeEPSL_NS1_7vsmem_tEENKUlT_SJ_SK_SL_E_clIPhSE_SF_SF_EESI_SY_SJ_SK_SL_EUlSY_E_NS1_11comp_targetILNS1_3genE8ELNS1_11target_archE1030ELNS1_3gpuE2ELNS1_3repE0EEENS1_48merge_mergepath_partition_config_static_selectorELNS0_4arch9wavefront6targetE1EEEvSK_.kd
    .uniform_work_group_size: 1
    .uses_dynamic_stack: false
    .vgpr_count:     0
    .vgpr_spill_count: 0
    .wavefront_size: 64
  - .agpr_count:     0
    .args:
      - .offset:         0
        .size:           72
        .value_kind:     by_value
    .group_segment_fixed_size: 0
    .kernarg_segment_align: 8
    .kernarg_segment_size: 72
    .language:       OpenCL C
    .language_version:
      - 2
      - 0
    .max_flat_workgroup_size: 128
    .name:           _ZN7rocprim17ROCPRIM_400000_NS6detail17trampoline_kernelINS0_14default_configENS1_38merge_sort_block_merge_config_selectorIhNS0_10empty_typeEEEZZNS1_27merge_sort_block_merge_implIS3_N6thrust23THRUST_200600_302600_NS6detail15normal_iteratorINS9_10device_ptrIhEEEEPS5_m14custom_greaterIhEEE10hipError_tT0_T1_T2_jT3_P12ihipStream_tbPNSt15iterator_traitsISJ_E10value_typeEPNSP_ISK_E10value_typeEPSL_NS1_7vsmem_tEENKUlT_SJ_SK_SL_E_clIPhSE_SF_SF_EESI_SY_SJ_SK_SL_EUlSY_E0_NS1_11comp_targetILNS1_3genE0ELNS1_11target_archE4294967295ELNS1_3gpuE0ELNS1_3repE0EEENS1_38merge_mergepath_config_static_selectorELNS0_4arch9wavefront6targetE1EEEvSK_
    .private_segment_fixed_size: 0
    .sgpr_count:     4
    .sgpr_spill_count: 0
    .symbol:         _ZN7rocprim17ROCPRIM_400000_NS6detail17trampoline_kernelINS0_14default_configENS1_38merge_sort_block_merge_config_selectorIhNS0_10empty_typeEEEZZNS1_27merge_sort_block_merge_implIS3_N6thrust23THRUST_200600_302600_NS6detail15normal_iteratorINS9_10device_ptrIhEEEEPS5_m14custom_greaterIhEEE10hipError_tT0_T1_T2_jT3_P12ihipStream_tbPNSt15iterator_traitsISJ_E10value_typeEPNSP_ISK_E10value_typeEPSL_NS1_7vsmem_tEENKUlT_SJ_SK_SL_E_clIPhSE_SF_SF_EESI_SY_SJ_SK_SL_EUlSY_E0_NS1_11comp_targetILNS1_3genE0ELNS1_11target_archE4294967295ELNS1_3gpuE0ELNS1_3repE0EEENS1_38merge_mergepath_config_static_selectorELNS0_4arch9wavefront6targetE1EEEvSK_.kd
    .uniform_work_group_size: 1
    .uses_dynamic_stack: false
    .vgpr_count:     0
    .vgpr_spill_count: 0
    .wavefront_size: 64
  - .agpr_count:     0
    .args:
      - .offset:         0
        .size:           72
        .value_kind:     by_value
    .group_segment_fixed_size: 0
    .kernarg_segment_align: 8
    .kernarg_segment_size: 72
    .language:       OpenCL C
    .language_version:
      - 2
      - 0
    .max_flat_workgroup_size: 128
    .name:           _ZN7rocprim17ROCPRIM_400000_NS6detail17trampoline_kernelINS0_14default_configENS1_38merge_sort_block_merge_config_selectorIhNS0_10empty_typeEEEZZNS1_27merge_sort_block_merge_implIS3_N6thrust23THRUST_200600_302600_NS6detail15normal_iteratorINS9_10device_ptrIhEEEEPS5_m14custom_greaterIhEEE10hipError_tT0_T1_T2_jT3_P12ihipStream_tbPNSt15iterator_traitsISJ_E10value_typeEPNSP_ISK_E10value_typeEPSL_NS1_7vsmem_tEENKUlT_SJ_SK_SL_E_clIPhSE_SF_SF_EESI_SY_SJ_SK_SL_EUlSY_E0_NS1_11comp_targetILNS1_3genE10ELNS1_11target_archE1201ELNS1_3gpuE5ELNS1_3repE0EEENS1_38merge_mergepath_config_static_selectorELNS0_4arch9wavefront6targetE1EEEvSK_
    .private_segment_fixed_size: 0
    .sgpr_count:     4
    .sgpr_spill_count: 0
    .symbol:         _ZN7rocprim17ROCPRIM_400000_NS6detail17trampoline_kernelINS0_14default_configENS1_38merge_sort_block_merge_config_selectorIhNS0_10empty_typeEEEZZNS1_27merge_sort_block_merge_implIS3_N6thrust23THRUST_200600_302600_NS6detail15normal_iteratorINS9_10device_ptrIhEEEEPS5_m14custom_greaterIhEEE10hipError_tT0_T1_T2_jT3_P12ihipStream_tbPNSt15iterator_traitsISJ_E10value_typeEPNSP_ISK_E10value_typeEPSL_NS1_7vsmem_tEENKUlT_SJ_SK_SL_E_clIPhSE_SF_SF_EESI_SY_SJ_SK_SL_EUlSY_E0_NS1_11comp_targetILNS1_3genE10ELNS1_11target_archE1201ELNS1_3gpuE5ELNS1_3repE0EEENS1_38merge_mergepath_config_static_selectorELNS0_4arch9wavefront6targetE1EEEvSK_.kd
    .uniform_work_group_size: 1
    .uses_dynamic_stack: false
    .vgpr_count:     0
    .vgpr_spill_count: 0
    .wavefront_size: 64
  - .agpr_count:     0
    .args:
      - .offset:         0
        .size:           72
        .value_kind:     by_value
    .group_segment_fixed_size: 0
    .kernarg_segment_align: 8
    .kernarg_segment_size: 72
    .language:       OpenCL C
    .language_version:
      - 2
      - 0
    .max_flat_workgroup_size: 128
    .name:           _ZN7rocprim17ROCPRIM_400000_NS6detail17trampoline_kernelINS0_14default_configENS1_38merge_sort_block_merge_config_selectorIhNS0_10empty_typeEEEZZNS1_27merge_sort_block_merge_implIS3_N6thrust23THRUST_200600_302600_NS6detail15normal_iteratorINS9_10device_ptrIhEEEEPS5_m14custom_greaterIhEEE10hipError_tT0_T1_T2_jT3_P12ihipStream_tbPNSt15iterator_traitsISJ_E10value_typeEPNSP_ISK_E10value_typeEPSL_NS1_7vsmem_tEENKUlT_SJ_SK_SL_E_clIPhSE_SF_SF_EESI_SY_SJ_SK_SL_EUlSY_E0_NS1_11comp_targetILNS1_3genE5ELNS1_11target_archE942ELNS1_3gpuE9ELNS1_3repE0EEENS1_38merge_mergepath_config_static_selectorELNS0_4arch9wavefront6targetE1EEEvSK_
    .private_segment_fixed_size: 0
    .sgpr_count:     4
    .sgpr_spill_count: 0
    .symbol:         _ZN7rocprim17ROCPRIM_400000_NS6detail17trampoline_kernelINS0_14default_configENS1_38merge_sort_block_merge_config_selectorIhNS0_10empty_typeEEEZZNS1_27merge_sort_block_merge_implIS3_N6thrust23THRUST_200600_302600_NS6detail15normal_iteratorINS9_10device_ptrIhEEEEPS5_m14custom_greaterIhEEE10hipError_tT0_T1_T2_jT3_P12ihipStream_tbPNSt15iterator_traitsISJ_E10value_typeEPNSP_ISK_E10value_typeEPSL_NS1_7vsmem_tEENKUlT_SJ_SK_SL_E_clIPhSE_SF_SF_EESI_SY_SJ_SK_SL_EUlSY_E0_NS1_11comp_targetILNS1_3genE5ELNS1_11target_archE942ELNS1_3gpuE9ELNS1_3repE0EEENS1_38merge_mergepath_config_static_selectorELNS0_4arch9wavefront6targetE1EEEvSK_.kd
    .uniform_work_group_size: 1
    .uses_dynamic_stack: false
    .vgpr_count:     0
    .vgpr_spill_count: 0
    .wavefront_size: 64
  - .agpr_count:     0
    .args:
      - .offset:         0
        .size:           72
        .value_kind:     by_value
      - .offset:         72
        .size:           4
        .value_kind:     hidden_block_count_x
      - .offset:         76
        .size:           4
        .value_kind:     hidden_block_count_y
      - .offset:         80
        .size:           4
        .value_kind:     hidden_block_count_z
      - .offset:         84
        .size:           2
        .value_kind:     hidden_group_size_x
      - .offset:         86
        .size:           2
        .value_kind:     hidden_group_size_y
      - .offset:         88
        .size:           2
        .value_kind:     hidden_group_size_z
      - .offset:         90
        .size:           2
        .value_kind:     hidden_remainder_x
      - .offset:         92
        .size:           2
        .value_kind:     hidden_remainder_y
      - .offset:         94
        .size:           2
        .value_kind:     hidden_remainder_z
      - .offset:         112
        .size:           8
        .value_kind:     hidden_global_offset_x
      - .offset:         120
        .size:           8
        .value_kind:     hidden_global_offset_y
      - .offset:         128
        .size:           8
        .value_kind:     hidden_global_offset_z
      - .offset:         136
        .size:           2
        .value_kind:     hidden_grid_dims
    .group_segment_fixed_size: 1056
    .kernarg_segment_align: 8
    .kernarg_segment_size: 328
    .language:       OpenCL C
    .language_version:
      - 2
      - 0
    .max_flat_workgroup_size: 128
    .name:           _ZN7rocprim17ROCPRIM_400000_NS6detail17trampoline_kernelINS0_14default_configENS1_38merge_sort_block_merge_config_selectorIhNS0_10empty_typeEEEZZNS1_27merge_sort_block_merge_implIS3_N6thrust23THRUST_200600_302600_NS6detail15normal_iteratorINS9_10device_ptrIhEEEEPS5_m14custom_greaterIhEEE10hipError_tT0_T1_T2_jT3_P12ihipStream_tbPNSt15iterator_traitsISJ_E10value_typeEPNSP_ISK_E10value_typeEPSL_NS1_7vsmem_tEENKUlT_SJ_SK_SL_E_clIPhSE_SF_SF_EESI_SY_SJ_SK_SL_EUlSY_E0_NS1_11comp_targetILNS1_3genE4ELNS1_11target_archE910ELNS1_3gpuE8ELNS1_3repE0EEENS1_38merge_mergepath_config_static_selectorELNS0_4arch9wavefront6targetE1EEEvSK_
    .private_segment_fixed_size: 0
    .sgpr_count:     35
    .sgpr_spill_count: 0
    .symbol:         _ZN7rocprim17ROCPRIM_400000_NS6detail17trampoline_kernelINS0_14default_configENS1_38merge_sort_block_merge_config_selectorIhNS0_10empty_typeEEEZZNS1_27merge_sort_block_merge_implIS3_N6thrust23THRUST_200600_302600_NS6detail15normal_iteratorINS9_10device_ptrIhEEEEPS5_m14custom_greaterIhEEE10hipError_tT0_T1_T2_jT3_P12ihipStream_tbPNSt15iterator_traitsISJ_E10value_typeEPNSP_ISK_E10value_typeEPSL_NS1_7vsmem_tEENKUlT_SJ_SK_SL_E_clIPhSE_SF_SF_EESI_SY_SJ_SK_SL_EUlSY_E0_NS1_11comp_targetILNS1_3genE4ELNS1_11target_archE910ELNS1_3gpuE8ELNS1_3repE0EEENS1_38merge_mergepath_config_static_selectorELNS0_4arch9wavefront6targetE1EEEvSK_.kd
    .uniform_work_group_size: 1
    .uses_dynamic_stack: false
    .vgpr_count:     28
    .vgpr_spill_count: 0
    .wavefront_size: 64
  - .agpr_count:     0
    .args:
      - .offset:         0
        .size:           72
        .value_kind:     by_value
    .group_segment_fixed_size: 0
    .kernarg_segment_align: 8
    .kernarg_segment_size: 72
    .language:       OpenCL C
    .language_version:
      - 2
      - 0
    .max_flat_workgroup_size: 128
    .name:           _ZN7rocprim17ROCPRIM_400000_NS6detail17trampoline_kernelINS0_14default_configENS1_38merge_sort_block_merge_config_selectorIhNS0_10empty_typeEEEZZNS1_27merge_sort_block_merge_implIS3_N6thrust23THRUST_200600_302600_NS6detail15normal_iteratorINS9_10device_ptrIhEEEEPS5_m14custom_greaterIhEEE10hipError_tT0_T1_T2_jT3_P12ihipStream_tbPNSt15iterator_traitsISJ_E10value_typeEPNSP_ISK_E10value_typeEPSL_NS1_7vsmem_tEENKUlT_SJ_SK_SL_E_clIPhSE_SF_SF_EESI_SY_SJ_SK_SL_EUlSY_E0_NS1_11comp_targetILNS1_3genE3ELNS1_11target_archE908ELNS1_3gpuE7ELNS1_3repE0EEENS1_38merge_mergepath_config_static_selectorELNS0_4arch9wavefront6targetE1EEEvSK_
    .private_segment_fixed_size: 0
    .sgpr_count:     4
    .sgpr_spill_count: 0
    .symbol:         _ZN7rocprim17ROCPRIM_400000_NS6detail17trampoline_kernelINS0_14default_configENS1_38merge_sort_block_merge_config_selectorIhNS0_10empty_typeEEEZZNS1_27merge_sort_block_merge_implIS3_N6thrust23THRUST_200600_302600_NS6detail15normal_iteratorINS9_10device_ptrIhEEEEPS5_m14custom_greaterIhEEE10hipError_tT0_T1_T2_jT3_P12ihipStream_tbPNSt15iterator_traitsISJ_E10value_typeEPNSP_ISK_E10value_typeEPSL_NS1_7vsmem_tEENKUlT_SJ_SK_SL_E_clIPhSE_SF_SF_EESI_SY_SJ_SK_SL_EUlSY_E0_NS1_11comp_targetILNS1_3genE3ELNS1_11target_archE908ELNS1_3gpuE7ELNS1_3repE0EEENS1_38merge_mergepath_config_static_selectorELNS0_4arch9wavefront6targetE1EEEvSK_.kd
    .uniform_work_group_size: 1
    .uses_dynamic_stack: false
    .vgpr_count:     0
    .vgpr_spill_count: 0
    .wavefront_size: 64
  - .agpr_count:     0
    .args:
      - .offset:         0
        .size:           72
        .value_kind:     by_value
    .group_segment_fixed_size: 0
    .kernarg_segment_align: 8
    .kernarg_segment_size: 72
    .language:       OpenCL C
    .language_version:
      - 2
      - 0
    .max_flat_workgroup_size: 128
    .name:           _ZN7rocprim17ROCPRIM_400000_NS6detail17trampoline_kernelINS0_14default_configENS1_38merge_sort_block_merge_config_selectorIhNS0_10empty_typeEEEZZNS1_27merge_sort_block_merge_implIS3_N6thrust23THRUST_200600_302600_NS6detail15normal_iteratorINS9_10device_ptrIhEEEEPS5_m14custom_greaterIhEEE10hipError_tT0_T1_T2_jT3_P12ihipStream_tbPNSt15iterator_traitsISJ_E10value_typeEPNSP_ISK_E10value_typeEPSL_NS1_7vsmem_tEENKUlT_SJ_SK_SL_E_clIPhSE_SF_SF_EESI_SY_SJ_SK_SL_EUlSY_E0_NS1_11comp_targetILNS1_3genE2ELNS1_11target_archE906ELNS1_3gpuE6ELNS1_3repE0EEENS1_38merge_mergepath_config_static_selectorELNS0_4arch9wavefront6targetE1EEEvSK_
    .private_segment_fixed_size: 0
    .sgpr_count:     4
    .sgpr_spill_count: 0
    .symbol:         _ZN7rocprim17ROCPRIM_400000_NS6detail17trampoline_kernelINS0_14default_configENS1_38merge_sort_block_merge_config_selectorIhNS0_10empty_typeEEEZZNS1_27merge_sort_block_merge_implIS3_N6thrust23THRUST_200600_302600_NS6detail15normal_iteratorINS9_10device_ptrIhEEEEPS5_m14custom_greaterIhEEE10hipError_tT0_T1_T2_jT3_P12ihipStream_tbPNSt15iterator_traitsISJ_E10value_typeEPNSP_ISK_E10value_typeEPSL_NS1_7vsmem_tEENKUlT_SJ_SK_SL_E_clIPhSE_SF_SF_EESI_SY_SJ_SK_SL_EUlSY_E0_NS1_11comp_targetILNS1_3genE2ELNS1_11target_archE906ELNS1_3gpuE6ELNS1_3repE0EEENS1_38merge_mergepath_config_static_selectorELNS0_4arch9wavefront6targetE1EEEvSK_.kd
    .uniform_work_group_size: 1
    .uses_dynamic_stack: false
    .vgpr_count:     0
    .vgpr_spill_count: 0
    .wavefront_size: 64
  - .agpr_count:     0
    .args:
      - .offset:         0
        .size:           72
        .value_kind:     by_value
    .group_segment_fixed_size: 0
    .kernarg_segment_align: 8
    .kernarg_segment_size: 72
    .language:       OpenCL C
    .language_version:
      - 2
      - 0
    .max_flat_workgroup_size: 128
    .name:           _ZN7rocprim17ROCPRIM_400000_NS6detail17trampoline_kernelINS0_14default_configENS1_38merge_sort_block_merge_config_selectorIhNS0_10empty_typeEEEZZNS1_27merge_sort_block_merge_implIS3_N6thrust23THRUST_200600_302600_NS6detail15normal_iteratorINS9_10device_ptrIhEEEEPS5_m14custom_greaterIhEEE10hipError_tT0_T1_T2_jT3_P12ihipStream_tbPNSt15iterator_traitsISJ_E10value_typeEPNSP_ISK_E10value_typeEPSL_NS1_7vsmem_tEENKUlT_SJ_SK_SL_E_clIPhSE_SF_SF_EESI_SY_SJ_SK_SL_EUlSY_E0_NS1_11comp_targetILNS1_3genE9ELNS1_11target_archE1100ELNS1_3gpuE3ELNS1_3repE0EEENS1_38merge_mergepath_config_static_selectorELNS0_4arch9wavefront6targetE1EEEvSK_
    .private_segment_fixed_size: 0
    .sgpr_count:     4
    .sgpr_spill_count: 0
    .symbol:         _ZN7rocprim17ROCPRIM_400000_NS6detail17trampoline_kernelINS0_14default_configENS1_38merge_sort_block_merge_config_selectorIhNS0_10empty_typeEEEZZNS1_27merge_sort_block_merge_implIS3_N6thrust23THRUST_200600_302600_NS6detail15normal_iteratorINS9_10device_ptrIhEEEEPS5_m14custom_greaterIhEEE10hipError_tT0_T1_T2_jT3_P12ihipStream_tbPNSt15iterator_traitsISJ_E10value_typeEPNSP_ISK_E10value_typeEPSL_NS1_7vsmem_tEENKUlT_SJ_SK_SL_E_clIPhSE_SF_SF_EESI_SY_SJ_SK_SL_EUlSY_E0_NS1_11comp_targetILNS1_3genE9ELNS1_11target_archE1100ELNS1_3gpuE3ELNS1_3repE0EEENS1_38merge_mergepath_config_static_selectorELNS0_4arch9wavefront6targetE1EEEvSK_.kd
    .uniform_work_group_size: 1
    .uses_dynamic_stack: false
    .vgpr_count:     0
    .vgpr_spill_count: 0
    .wavefront_size: 64
  - .agpr_count:     0
    .args:
      - .offset:         0
        .size:           72
        .value_kind:     by_value
    .group_segment_fixed_size: 0
    .kernarg_segment_align: 8
    .kernarg_segment_size: 72
    .language:       OpenCL C
    .language_version:
      - 2
      - 0
    .max_flat_workgroup_size: 128
    .name:           _ZN7rocprim17ROCPRIM_400000_NS6detail17trampoline_kernelINS0_14default_configENS1_38merge_sort_block_merge_config_selectorIhNS0_10empty_typeEEEZZNS1_27merge_sort_block_merge_implIS3_N6thrust23THRUST_200600_302600_NS6detail15normal_iteratorINS9_10device_ptrIhEEEEPS5_m14custom_greaterIhEEE10hipError_tT0_T1_T2_jT3_P12ihipStream_tbPNSt15iterator_traitsISJ_E10value_typeEPNSP_ISK_E10value_typeEPSL_NS1_7vsmem_tEENKUlT_SJ_SK_SL_E_clIPhSE_SF_SF_EESI_SY_SJ_SK_SL_EUlSY_E0_NS1_11comp_targetILNS1_3genE8ELNS1_11target_archE1030ELNS1_3gpuE2ELNS1_3repE0EEENS1_38merge_mergepath_config_static_selectorELNS0_4arch9wavefront6targetE1EEEvSK_
    .private_segment_fixed_size: 0
    .sgpr_count:     4
    .sgpr_spill_count: 0
    .symbol:         _ZN7rocprim17ROCPRIM_400000_NS6detail17trampoline_kernelINS0_14default_configENS1_38merge_sort_block_merge_config_selectorIhNS0_10empty_typeEEEZZNS1_27merge_sort_block_merge_implIS3_N6thrust23THRUST_200600_302600_NS6detail15normal_iteratorINS9_10device_ptrIhEEEEPS5_m14custom_greaterIhEEE10hipError_tT0_T1_T2_jT3_P12ihipStream_tbPNSt15iterator_traitsISJ_E10value_typeEPNSP_ISK_E10value_typeEPSL_NS1_7vsmem_tEENKUlT_SJ_SK_SL_E_clIPhSE_SF_SF_EESI_SY_SJ_SK_SL_EUlSY_E0_NS1_11comp_targetILNS1_3genE8ELNS1_11target_archE1030ELNS1_3gpuE2ELNS1_3repE0EEENS1_38merge_mergepath_config_static_selectorELNS0_4arch9wavefront6targetE1EEEvSK_.kd
    .uniform_work_group_size: 1
    .uses_dynamic_stack: false
    .vgpr_count:     0
    .vgpr_spill_count: 0
    .wavefront_size: 64
  - .agpr_count:     0
    .args:
      - .offset:         0
        .size:           56
        .value_kind:     by_value
    .group_segment_fixed_size: 0
    .kernarg_segment_align: 8
    .kernarg_segment_size: 56
    .language:       OpenCL C
    .language_version:
      - 2
      - 0
    .max_flat_workgroup_size: 256
    .name:           _ZN7rocprim17ROCPRIM_400000_NS6detail17trampoline_kernelINS0_14default_configENS1_38merge_sort_block_merge_config_selectorIhNS0_10empty_typeEEEZZNS1_27merge_sort_block_merge_implIS3_N6thrust23THRUST_200600_302600_NS6detail15normal_iteratorINS9_10device_ptrIhEEEEPS5_m14custom_greaterIhEEE10hipError_tT0_T1_T2_jT3_P12ihipStream_tbPNSt15iterator_traitsISJ_E10value_typeEPNSP_ISK_E10value_typeEPSL_NS1_7vsmem_tEENKUlT_SJ_SK_SL_E_clIPhSE_SF_SF_EESI_SY_SJ_SK_SL_EUlSY_E1_NS1_11comp_targetILNS1_3genE0ELNS1_11target_archE4294967295ELNS1_3gpuE0ELNS1_3repE0EEENS1_36merge_oddeven_config_static_selectorELNS0_4arch9wavefront6targetE1EEEvSK_
    .private_segment_fixed_size: 0
    .sgpr_count:     4
    .sgpr_spill_count: 0
    .symbol:         _ZN7rocprim17ROCPRIM_400000_NS6detail17trampoline_kernelINS0_14default_configENS1_38merge_sort_block_merge_config_selectorIhNS0_10empty_typeEEEZZNS1_27merge_sort_block_merge_implIS3_N6thrust23THRUST_200600_302600_NS6detail15normal_iteratorINS9_10device_ptrIhEEEEPS5_m14custom_greaterIhEEE10hipError_tT0_T1_T2_jT3_P12ihipStream_tbPNSt15iterator_traitsISJ_E10value_typeEPNSP_ISK_E10value_typeEPSL_NS1_7vsmem_tEENKUlT_SJ_SK_SL_E_clIPhSE_SF_SF_EESI_SY_SJ_SK_SL_EUlSY_E1_NS1_11comp_targetILNS1_3genE0ELNS1_11target_archE4294967295ELNS1_3gpuE0ELNS1_3repE0EEENS1_36merge_oddeven_config_static_selectorELNS0_4arch9wavefront6targetE1EEEvSK_.kd
    .uniform_work_group_size: 1
    .uses_dynamic_stack: false
    .vgpr_count:     0
    .vgpr_spill_count: 0
    .wavefront_size: 64
  - .agpr_count:     0
    .args:
      - .offset:         0
        .size:           56
        .value_kind:     by_value
    .group_segment_fixed_size: 0
    .kernarg_segment_align: 8
    .kernarg_segment_size: 56
    .language:       OpenCL C
    .language_version:
      - 2
      - 0
    .max_flat_workgroup_size: 256
    .name:           _ZN7rocprim17ROCPRIM_400000_NS6detail17trampoline_kernelINS0_14default_configENS1_38merge_sort_block_merge_config_selectorIhNS0_10empty_typeEEEZZNS1_27merge_sort_block_merge_implIS3_N6thrust23THRUST_200600_302600_NS6detail15normal_iteratorINS9_10device_ptrIhEEEEPS5_m14custom_greaterIhEEE10hipError_tT0_T1_T2_jT3_P12ihipStream_tbPNSt15iterator_traitsISJ_E10value_typeEPNSP_ISK_E10value_typeEPSL_NS1_7vsmem_tEENKUlT_SJ_SK_SL_E_clIPhSE_SF_SF_EESI_SY_SJ_SK_SL_EUlSY_E1_NS1_11comp_targetILNS1_3genE10ELNS1_11target_archE1201ELNS1_3gpuE5ELNS1_3repE0EEENS1_36merge_oddeven_config_static_selectorELNS0_4arch9wavefront6targetE1EEEvSK_
    .private_segment_fixed_size: 0
    .sgpr_count:     4
    .sgpr_spill_count: 0
    .symbol:         _ZN7rocprim17ROCPRIM_400000_NS6detail17trampoline_kernelINS0_14default_configENS1_38merge_sort_block_merge_config_selectorIhNS0_10empty_typeEEEZZNS1_27merge_sort_block_merge_implIS3_N6thrust23THRUST_200600_302600_NS6detail15normal_iteratorINS9_10device_ptrIhEEEEPS5_m14custom_greaterIhEEE10hipError_tT0_T1_T2_jT3_P12ihipStream_tbPNSt15iterator_traitsISJ_E10value_typeEPNSP_ISK_E10value_typeEPSL_NS1_7vsmem_tEENKUlT_SJ_SK_SL_E_clIPhSE_SF_SF_EESI_SY_SJ_SK_SL_EUlSY_E1_NS1_11comp_targetILNS1_3genE10ELNS1_11target_archE1201ELNS1_3gpuE5ELNS1_3repE0EEENS1_36merge_oddeven_config_static_selectorELNS0_4arch9wavefront6targetE1EEEvSK_.kd
    .uniform_work_group_size: 1
    .uses_dynamic_stack: false
    .vgpr_count:     0
    .vgpr_spill_count: 0
    .wavefront_size: 64
  - .agpr_count:     0
    .args:
      - .offset:         0
        .size:           56
        .value_kind:     by_value
    .group_segment_fixed_size: 0
    .kernarg_segment_align: 8
    .kernarg_segment_size: 56
    .language:       OpenCL C
    .language_version:
      - 2
      - 0
    .max_flat_workgroup_size: 256
    .name:           _ZN7rocprim17ROCPRIM_400000_NS6detail17trampoline_kernelINS0_14default_configENS1_38merge_sort_block_merge_config_selectorIhNS0_10empty_typeEEEZZNS1_27merge_sort_block_merge_implIS3_N6thrust23THRUST_200600_302600_NS6detail15normal_iteratorINS9_10device_ptrIhEEEEPS5_m14custom_greaterIhEEE10hipError_tT0_T1_T2_jT3_P12ihipStream_tbPNSt15iterator_traitsISJ_E10value_typeEPNSP_ISK_E10value_typeEPSL_NS1_7vsmem_tEENKUlT_SJ_SK_SL_E_clIPhSE_SF_SF_EESI_SY_SJ_SK_SL_EUlSY_E1_NS1_11comp_targetILNS1_3genE5ELNS1_11target_archE942ELNS1_3gpuE9ELNS1_3repE0EEENS1_36merge_oddeven_config_static_selectorELNS0_4arch9wavefront6targetE1EEEvSK_
    .private_segment_fixed_size: 0
    .sgpr_count:     4
    .sgpr_spill_count: 0
    .symbol:         _ZN7rocprim17ROCPRIM_400000_NS6detail17trampoline_kernelINS0_14default_configENS1_38merge_sort_block_merge_config_selectorIhNS0_10empty_typeEEEZZNS1_27merge_sort_block_merge_implIS3_N6thrust23THRUST_200600_302600_NS6detail15normal_iteratorINS9_10device_ptrIhEEEEPS5_m14custom_greaterIhEEE10hipError_tT0_T1_T2_jT3_P12ihipStream_tbPNSt15iterator_traitsISJ_E10value_typeEPNSP_ISK_E10value_typeEPSL_NS1_7vsmem_tEENKUlT_SJ_SK_SL_E_clIPhSE_SF_SF_EESI_SY_SJ_SK_SL_EUlSY_E1_NS1_11comp_targetILNS1_3genE5ELNS1_11target_archE942ELNS1_3gpuE9ELNS1_3repE0EEENS1_36merge_oddeven_config_static_selectorELNS0_4arch9wavefront6targetE1EEEvSK_.kd
    .uniform_work_group_size: 1
    .uses_dynamic_stack: false
    .vgpr_count:     0
    .vgpr_spill_count: 0
    .wavefront_size: 64
  - .agpr_count:     0
    .args:
      - .offset:         0
        .size:           56
        .value_kind:     by_value
    .group_segment_fixed_size: 0
    .kernarg_segment_align: 8
    .kernarg_segment_size: 56
    .language:       OpenCL C
    .language_version:
      - 2
      - 0
    .max_flat_workgroup_size: 256
    .name:           _ZN7rocprim17ROCPRIM_400000_NS6detail17trampoline_kernelINS0_14default_configENS1_38merge_sort_block_merge_config_selectorIhNS0_10empty_typeEEEZZNS1_27merge_sort_block_merge_implIS3_N6thrust23THRUST_200600_302600_NS6detail15normal_iteratorINS9_10device_ptrIhEEEEPS5_m14custom_greaterIhEEE10hipError_tT0_T1_T2_jT3_P12ihipStream_tbPNSt15iterator_traitsISJ_E10value_typeEPNSP_ISK_E10value_typeEPSL_NS1_7vsmem_tEENKUlT_SJ_SK_SL_E_clIPhSE_SF_SF_EESI_SY_SJ_SK_SL_EUlSY_E1_NS1_11comp_targetILNS1_3genE4ELNS1_11target_archE910ELNS1_3gpuE8ELNS1_3repE0EEENS1_36merge_oddeven_config_static_selectorELNS0_4arch9wavefront6targetE1EEEvSK_
    .private_segment_fixed_size: 0
    .sgpr_count:     24
    .sgpr_spill_count: 0
    .symbol:         _ZN7rocprim17ROCPRIM_400000_NS6detail17trampoline_kernelINS0_14default_configENS1_38merge_sort_block_merge_config_selectorIhNS0_10empty_typeEEEZZNS1_27merge_sort_block_merge_implIS3_N6thrust23THRUST_200600_302600_NS6detail15normal_iteratorINS9_10device_ptrIhEEEEPS5_m14custom_greaterIhEEE10hipError_tT0_T1_T2_jT3_P12ihipStream_tbPNSt15iterator_traitsISJ_E10value_typeEPNSP_ISK_E10value_typeEPSL_NS1_7vsmem_tEENKUlT_SJ_SK_SL_E_clIPhSE_SF_SF_EESI_SY_SJ_SK_SL_EUlSY_E1_NS1_11comp_targetILNS1_3genE4ELNS1_11target_archE910ELNS1_3gpuE8ELNS1_3repE0EEENS1_36merge_oddeven_config_static_selectorELNS0_4arch9wavefront6targetE1EEEvSK_.kd
    .uniform_work_group_size: 1
    .uses_dynamic_stack: false
    .vgpr_count:     8
    .vgpr_spill_count: 0
    .wavefront_size: 64
  - .agpr_count:     0
    .args:
      - .offset:         0
        .size:           56
        .value_kind:     by_value
    .group_segment_fixed_size: 0
    .kernarg_segment_align: 8
    .kernarg_segment_size: 56
    .language:       OpenCL C
    .language_version:
      - 2
      - 0
    .max_flat_workgroup_size: 256
    .name:           _ZN7rocprim17ROCPRIM_400000_NS6detail17trampoline_kernelINS0_14default_configENS1_38merge_sort_block_merge_config_selectorIhNS0_10empty_typeEEEZZNS1_27merge_sort_block_merge_implIS3_N6thrust23THRUST_200600_302600_NS6detail15normal_iteratorINS9_10device_ptrIhEEEEPS5_m14custom_greaterIhEEE10hipError_tT0_T1_T2_jT3_P12ihipStream_tbPNSt15iterator_traitsISJ_E10value_typeEPNSP_ISK_E10value_typeEPSL_NS1_7vsmem_tEENKUlT_SJ_SK_SL_E_clIPhSE_SF_SF_EESI_SY_SJ_SK_SL_EUlSY_E1_NS1_11comp_targetILNS1_3genE3ELNS1_11target_archE908ELNS1_3gpuE7ELNS1_3repE0EEENS1_36merge_oddeven_config_static_selectorELNS0_4arch9wavefront6targetE1EEEvSK_
    .private_segment_fixed_size: 0
    .sgpr_count:     4
    .sgpr_spill_count: 0
    .symbol:         _ZN7rocprim17ROCPRIM_400000_NS6detail17trampoline_kernelINS0_14default_configENS1_38merge_sort_block_merge_config_selectorIhNS0_10empty_typeEEEZZNS1_27merge_sort_block_merge_implIS3_N6thrust23THRUST_200600_302600_NS6detail15normal_iteratorINS9_10device_ptrIhEEEEPS5_m14custom_greaterIhEEE10hipError_tT0_T1_T2_jT3_P12ihipStream_tbPNSt15iterator_traitsISJ_E10value_typeEPNSP_ISK_E10value_typeEPSL_NS1_7vsmem_tEENKUlT_SJ_SK_SL_E_clIPhSE_SF_SF_EESI_SY_SJ_SK_SL_EUlSY_E1_NS1_11comp_targetILNS1_3genE3ELNS1_11target_archE908ELNS1_3gpuE7ELNS1_3repE0EEENS1_36merge_oddeven_config_static_selectorELNS0_4arch9wavefront6targetE1EEEvSK_.kd
    .uniform_work_group_size: 1
    .uses_dynamic_stack: false
    .vgpr_count:     0
    .vgpr_spill_count: 0
    .wavefront_size: 64
  - .agpr_count:     0
    .args:
      - .offset:         0
        .size:           56
        .value_kind:     by_value
    .group_segment_fixed_size: 0
    .kernarg_segment_align: 8
    .kernarg_segment_size: 56
    .language:       OpenCL C
    .language_version:
      - 2
      - 0
    .max_flat_workgroup_size: 256
    .name:           _ZN7rocprim17ROCPRIM_400000_NS6detail17trampoline_kernelINS0_14default_configENS1_38merge_sort_block_merge_config_selectorIhNS0_10empty_typeEEEZZNS1_27merge_sort_block_merge_implIS3_N6thrust23THRUST_200600_302600_NS6detail15normal_iteratorINS9_10device_ptrIhEEEEPS5_m14custom_greaterIhEEE10hipError_tT0_T1_T2_jT3_P12ihipStream_tbPNSt15iterator_traitsISJ_E10value_typeEPNSP_ISK_E10value_typeEPSL_NS1_7vsmem_tEENKUlT_SJ_SK_SL_E_clIPhSE_SF_SF_EESI_SY_SJ_SK_SL_EUlSY_E1_NS1_11comp_targetILNS1_3genE2ELNS1_11target_archE906ELNS1_3gpuE6ELNS1_3repE0EEENS1_36merge_oddeven_config_static_selectorELNS0_4arch9wavefront6targetE1EEEvSK_
    .private_segment_fixed_size: 0
    .sgpr_count:     4
    .sgpr_spill_count: 0
    .symbol:         _ZN7rocprim17ROCPRIM_400000_NS6detail17trampoline_kernelINS0_14default_configENS1_38merge_sort_block_merge_config_selectorIhNS0_10empty_typeEEEZZNS1_27merge_sort_block_merge_implIS3_N6thrust23THRUST_200600_302600_NS6detail15normal_iteratorINS9_10device_ptrIhEEEEPS5_m14custom_greaterIhEEE10hipError_tT0_T1_T2_jT3_P12ihipStream_tbPNSt15iterator_traitsISJ_E10value_typeEPNSP_ISK_E10value_typeEPSL_NS1_7vsmem_tEENKUlT_SJ_SK_SL_E_clIPhSE_SF_SF_EESI_SY_SJ_SK_SL_EUlSY_E1_NS1_11comp_targetILNS1_3genE2ELNS1_11target_archE906ELNS1_3gpuE6ELNS1_3repE0EEENS1_36merge_oddeven_config_static_selectorELNS0_4arch9wavefront6targetE1EEEvSK_.kd
    .uniform_work_group_size: 1
    .uses_dynamic_stack: false
    .vgpr_count:     0
    .vgpr_spill_count: 0
    .wavefront_size: 64
  - .agpr_count:     0
    .args:
      - .offset:         0
        .size:           56
        .value_kind:     by_value
    .group_segment_fixed_size: 0
    .kernarg_segment_align: 8
    .kernarg_segment_size: 56
    .language:       OpenCL C
    .language_version:
      - 2
      - 0
    .max_flat_workgroup_size: 256
    .name:           _ZN7rocprim17ROCPRIM_400000_NS6detail17trampoline_kernelINS0_14default_configENS1_38merge_sort_block_merge_config_selectorIhNS0_10empty_typeEEEZZNS1_27merge_sort_block_merge_implIS3_N6thrust23THRUST_200600_302600_NS6detail15normal_iteratorINS9_10device_ptrIhEEEEPS5_m14custom_greaterIhEEE10hipError_tT0_T1_T2_jT3_P12ihipStream_tbPNSt15iterator_traitsISJ_E10value_typeEPNSP_ISK_E10value_typeEPSL_NS1_7vsmem_tEENKUlT_SJ_SK_SL_E_clIPhSE_SF_SF_EESI_SY_SJ_SK_SL_EUlSY_E1_NS1_11comp_targetILNS1_3genE9ELNS1_11target_archE1100ELNS1_3gpuE3ELNS1_3repE0EEENS1_36merge_oddeven_config_static_selectorELNS0_4arch9wavefront6targetE1EEEvSK_
    .private_segment_fixed_size: 0
    .sgpr_count:     4
    .sgpr_spill_count: 0
    .symbol:         _ZN7rocprim17ROCPRIM_400000_NS6detail17trampoline_kernelINS0_14default_configENS1_38merge_sort_block_merge_config_selectorIhNS0_10empty_typeEEEZZNS1_27merge_sort_block_merge_implIS3_N6thrust23THRUST_200600_302600_NS6detail15normal_iteratorINS9_10device_ptrIhEEEEPS5_m14custom_greaterIhEEE10hipError_tT0_T1_T2_jT3_P12ihipStream_tbPNSt15iterator_traitsISJ_E10value_typeEPNSP_ISK_E10value_typeEPSL_NS1_7vsmem_tEENKUlT_SJ_SK_SL_E_clIPhSE_SF_SF_EESI_SY_SJ_SK_SL_EUlSY_E1_NS1_11comp_targetILNS1_3genE9ELNS1_11target_archE1100ELNS1_3gpuE3ELNS1_3repE0EEENS1_36merge_oddeven_config_static_selectorELNS0_4arch9wavefront6targetE1EEEvSK_.kd
    .uniform_work_group_size: 1
    .uses_dynamic_stack: false
    .vgpr_count:     0
    .vgpr_spill_count: 0
    .wavefront_size: 64
  - .agpr_count:     0
    .args:
      - .offset:         0
        .size:           56
        .value_kind:     by_value
    .group_segment_fixed_size: 0
    .kernarg_segment_align: 8
    .kernarg_segment_size: 56
    .language:       OpenCL C
    .language_version:
      - 2
      - 0
    .max_flat_workgroup_size: 256
    .name:           _ZN7rocprim17ROCPRIM_400000_NS6detail17trampoline_kernelINS0_14default_configENS1_38merge_sort_block_merge_config_selectorIhNS0_10empty_typeEEEZZNS1_27merge_sort_block_merge_implIS3_N6thrust23THRUST_200600_302600_NS6detail15normal_iteratorINS9_10device_ptrIhEEEEPS5_m14custom_greaterIhEEE10hipError_tT0_T1_T2_jT3_P12ihipStream_tbPNSt15iterator_traitsISJ_E10value_typeEPNSP_ISK_E10value_typeEPSL_NS1_7vsmem_tEENKUlT_SJ_SK_SL_E_clIPhSE_SF_SF_EESI_SY_SJ_SK_SL_EUlSY_E1_NS1_11comp_targetILNS1_3genE8ELNS1_11target_archE1030ELNS1_3gpuE2ELNS1_3repE0EEENS1_36merge_oddeven_config_static_selectorELNS0_4arch9wavefront6targetE1EEEvSK_
    .private_segment_fixed_size: 0
    .sgpr_count:     4
    .sgpr_spill_count: 0
    .symbol:         _ZN7rocprim17ROCPRIM_400000_NS6detail17trampoline_kernelINS0_14default_configENS1_38merge_sort_block_merge_config_selectorIhNS0_10empty_typeEEEZZNS1_27merge_sort_block_merge_implIS3_N6thrust23THRUST_200600_302600_NS6detail15normal_iteratorINS9_10device_ptrIhEEEEPS5_m14custom_greaterIhEEE10hipError_tT0_T1_T2_jT3_P12ihipStream_tbPNSt15iterator_traitsISJ_E10value_typeEPNSP_ISK_E10value_typeEPSL_NS1_7vsmem_tEENKUlT_SJ_SK_SL_E_clIPhSE_SF_SF_EESI_SY_SJ_SK_SL_EUlSY_E1_NS1_11comp_targetILNS1_3genE8ELNS1_11target_archE1030ELNS1_3gpuE2ELNS1_3repE0EEENS1_36merge_oddeven_config_static_selectorELNS0_4arch9wavefront6targetE1EEEvSK_.kd
    .uniform_work_group_size: 1
    .uses_dynamic_stack: false
    .vgpr_count:     0
    .vgpr_spill_count: 0
    .wavefront_size: 64
  - .agpr_count:     0
    .args:
      - .offset:         0
        .size:           48
        .value_kind:     by_value
    .group_segment_fixed_size: 0
    .kernarg_segment_align: 8
    .kernarg_segment_size: 48
    .language:       OpenCL C
    .language_version:
      - 2
      - 0
    .max_flat_workgroup_size: 128
    .name:           _ZN7rocprim17ROCPRIM_400000_NS6detail17trampoline_kernelINS0_14default_configENS1_38merge_sort_block_merge_config_selectorIhNS0_10empty_typeEEEZZNS1_27merge_sort_block_merge_implIS3_N6thrust23THRUST_200600_302600_NS6detail15normal_iteratorINS9_10device_ptrIhEEEEPS5_m14custom_greaterIhEEE10hipError_tT0_T1_T2_jT3_P12ihipStream_tbPNSt15iterator_traitsISJ_E10value_typeEPNSP_ISK_E10value_typeEPSL_NS1_7vsmem_tEENKUlT_SJ_SK_SL_E_clISE_PhSF_SF_EESI_SY_SJ_SK_SL_EUlSY_E_NS1_11comp_targetILNS1_3genE0ELNS1_11target_archE4294967295ELNS1_3gpuE0ELNS1_3repE0EEENS1_48merge_mergepath_partition_config_static_selectorELNS0_4arch9wavefront6targetE1EEEvSK_
    .private_segment_fixed_size: 0
    .sgpr_count:     4
    .sgpr_spill_count: 0
    .symbol:         _ZN7rocprim17ROCPRIM_400000_NS6detail17trampoline_kernelINS0_14default_configENS1_38merge_sort_block_merge_config_selectorIhNS0_10empty_typeEEEZZNS1_27merge_sort_block_merge_implIS3_N6thrust23THRUST_200600_302600_NS6detail15normal_iteratorINS9_10device_ptrIhEEEEPS5_m14custom_greaterIhEEE10hipError_tT0_T1_T2_jT3_P12ihipStream_tbPNSt15iterator_traitsISJ_E10value_typeEPNSP_ISK_E10value_typeEPSL_NS1_7vsmem_tEENKUlT_SJ_SK_SL_E_clISE_PhSF_SF_EESI_SY_SJ_SK_SL_EUlSY_E_NS1_11comp_targetILNS1_3genE0ELNS1_11target_archE4294967295ELNS1_3gpuE0ELNS1_3repE0EEENS1_48merge_mergepath_partition_config_static_selectorELNS0_4arch9wavefront6targetE1EEEvSK_.kd
    .uniform_work_group_size: 1
    .uses_dynamic_stack: false
    .vgpr_count:     0
    .vgpr_spill_count: 0
    .wavefront_size: 64
  - .agpr_count:     0
    .args:
      - .offset:         0
        .size:           48
        .value_kind:     by_value
    .group_segment_fixed_size: 0
    .kernarg_segment_align: 8
    .kernarg_segment_size: 48
    .language:       OpenCL C
    .language_version:
      - 2
      - 0
    .max_flat_workgroup_size: 128
    .name:           _ZN7rocprim17ROCPRIM_400000_NS6detail17trampoline_kernelINS0_14default_configENS1_38merge_sort_block_merge_config_selectorIhNS0_10empty_typeEEEZZNS1_27merge_sort_block_merge_implIS3_N6thrust23THRUST_200600_302600_NS6detail15normal_iteratorINS9_10device_ptrIhEEEEPS5_m14custom_greaterIhEEE10hipError_tT0_T1_T2_jT3_P12ihipStream_tbPNSt15iterator_traitsISJ_E10value_typeEPNSP_ISK_E10value_typeEPSL_NS1_7vsmem_tEENKUlT_SJ_SK_SL_E_clISE_PhSF_SF_EESI_SY_SJ_SK_SL_EUlSY_E_NS1_11comp_targetILNS1_3genE10ELNS1_11target_archE1201ELNS1_3gpuE5ELNS1_3repE0EEENS1_48merge_mergepath_partition_config_static_selectorELNS0_4arch9wavefront6targetE1EEEvSK_
    .private_segment_fixed_size: 0
    .sgpr_count:     4
    .sgpr_spill_count: 0
    .symbol:         _ZN7rocprim17ROCPRIM_400000_NS6detail17trampoline_kernelINS0_14default_configENS1_38merge_sort_block_merge_config_selectorIhNS0_10empty_typeEEEZZNS1_27merge_sort_block_merge_implIS3_N6thrust23THRUST_200600_302600_NS6detail15normal_iteratorINS9_10device_ptrIhEEEEPS5_m14custom_greaterIhEEE10hipError_tT0_T1_T2_jT3_P12ihipStream_tbPNSt15iterator_traitsISJ_E10value_typeEPNSP_ISK_E10value_typeEPSL_NS1_7vsmem_tEENKUlT_SJ_SK_SL_E_clISE_PhSF_SF_EESI_SY_SJ_SK_SL_EUlSY_E_NS1_11comp_targetILNS1_3genE10ELNS1_11target_archE1201ELNS1_3gpuE5ELNS1_3repE0EEENS1_48merge_mergepath_partition_config_static_selectorELNS0_4arch9wavefront6targetE1EEEvSK_.kd
    .uniform_work_group_size: 1
    .uses_dynamic_stack: false
    .vgpr_count:     0
    .vgpr_spill_count: 0
    .wavefront_size: 64
  - .agpr_count:     0
    .args:
      - .offset:         0
        .size:           48
        .value_kind:     by_value
    .group_segment_fixed_size: 0
    .kernarg_segment_align: 8
    .kernarg_segment_size: 48
    .language:       OpenCL C
    .language_version:
      - 2
      - 0
    .max_flat_workgroup_size: 128
    .name:           _ZN7rocprim17ROCPRIM_400000_NS6detail17trampoline_kernelINS0_14default_configENS1_38merge_sort_block_merge_config_selectorIhNS0_10empty_typeEEEZZNS1_27merge_sort_block_merge_implIS3_N6thrust23THRUST_200600_302600_NS6detail15normal_iteratorINS9_10device_ptrIhEEEEPS5_m14custom_greaterIhEEE10hipError_tT0_T1_T2_jT3_P12ihipStream_tbPNSt15iterator_traitsISJ_E10value_typeEPNSP_ISK_E10value_typeEPSL_NS1_7vsmem_tEENKUlT_SJ_SK_SL_E_clISE_PhSF_SF_EESI_SY_SJ_SK_SL_EUlSY_E_NS1_11comp_targetILNS1_3genE5ELNS1_11target_archE942ELNS1_3gpuE9ELNS1_3repE0EEENS1_48merge_mergepath_partition_config_static_selectorELNS0_4arch9wavefront6targetE1EEEvSK_
    .private_segment_fixed_size: 0
    .sgpr_count:     4
    .sgpr_spill_count: 0
    .symbol:         _ZN7rocprim17ROCPRIM_400000_NS6detail17trampoline_kernelINS0_14default_configENS1_38merge_sort_block_merge_config_selectorIhNS0_10empty_typeEEEZZNS1_27merge_sort_block_merge_implIS3_N6thrust23THRUST_200600_302600_NS6detail15normal_iteratorINS9_10device_ptrIhEEEEPS5_m14custom_greaterIhEEE10hipError_tT0_T1_T2_jT3_P12ihipStream_tbPNSt15iterator_traitsISJ_E10value_typeEPNSP_ISK_E10value_typeEPSL_NS1_7vsmem_tEENKUlT_SJ_SK_SL_E_clISE_PhSF_SF_EESI_SY_SJ_SK_SL_EUlSY_E_NS1_11comp_targetILNS1_3genE5ELNS1_11target_archE942ELNS1_3gpuE9ELNS1_3repE0EEENS1_48merge_mergepath_partition_config_static_selectorELNS0_4arch9wavefront6targetE1EEEvSK_.kd
    .uniform_work_group_size: 1
    .uses_dynamic_stack: false
    .vgpr_count:     0
    .vgpr_spill_count: 0
    .wavefront_size: 64
  - .agpr_count:     0
    .args:
      - .offset:         0
        .size:           48
        .value_kind:     by_value
    .group_segment_fixed_size: 0
    .kernarg_segment_align: 8
    .kernarg_segment_size: 48
    .language:       OpenCL C
    .language_version:
      - 2
      - 0
    .max_flat_workgroup_size: 128
    .name:           _ZN7rocprim17ROCPRIM_400000_NS6detail17trampoline_kernelINS0_14default_configENS1_38merge_sort_block_merge_config_selectorIhNS0_10empty_typeEEEZZNS1_27merge_sort_block_merge_implIS3_N6thrust23THRUST_200600_302600_NS6detail15normal_iteratorINS9_10device_ptrIhEEEEPS5_m14custom_greaterIhEEE10hipError_tT0_T1_T2_jT3_P12ihipStream_tbPNSt15iterator_traitsISJ_E10value_typeEPNSP_ISK_E10value_typeEPSL_NS1_7vsmem_tEENKUlT_SJ_SK_SL_E_clISE_PhSF_SF_EESI_SY_SJ_SK_SL_EUlSY_E_NS1_11comp_targetILNS1_3genE4ELNS1_11target_archE910ELNS1_3gpuE8ELNS1_3repE0EEENS1_48merge_mergepath_partition_config_static_selectorELNS0_4arch9wavefront6targetE1EEEvSK_
    .private_segment_fixed_size: 0
    .sgpr_count:     12
    .sgpr_spill_count: 0
    .symbol:         _ZN7rocprim17ROCPRIM_400000_NS6detail17trampoline_kernelINS0_14default_configENS1_38merge_sort_block_merge_config_selectorIhNS0_10empty_typeEEEZZNS1_27merge_sort_block_merge_implIS3_N6thrust23THRUST_200600_302600_NS6detail15normal_iteratorINS9_10device_ptrIhEEEEPS5_m14custom_greaterIhEEE10hipError_tT0_T1_T2_jT3_P12ihipStream_tbPNSt15iterator_traitsISJ_E10value_typeEPNSP_ISK_E10value_typeEPSL_NS1_7vsmem_tEENKUlT_SJ_SK_SL_E_clISE_PhSF_SF_EESI_SY_SJ_SK_SL_EUlSY_E_NS1_11comp_targetILNS1_3genE4ELNS1_11target_archE910ELNS1_3gpuE8ELNS1_3repE0EEENS1_48merge_mergepath_partition_config_static_selectorELNS0_4arch9wavefront6targetE1EEEvSK_.kd
    .uniform_work_group_size: 1
    .uses_dynamic_stack: false
    .vgpr_count:     19
    .vgpr_spill_count: 0
    .wavefront_size: 64
  - .agpr_count:     0
    .args:
      - .offset:         0
        .size:           48
        .value_kind:     by_value
    .group_segment_fixed_size: 0
    .kernarg_segment_align: 8
    .kernarg_segment_size: 48
    .language:       OpenCL C
    .language_version:
      - 2
      - 0
    .max_flat_workgroup_size: 128
    .name:           _ZN7rocprim17ROCPRIM_400000_NS6detail17trampoline_kernelINS0_14default_configENS1_38merge_sort_block_merge_config_selectorIhNS0_10empty_typeEEEZZNS1_27merge_sort_block_merge_implIS3_N6thrust23THRUST_200600_302600_NS6detail15normal_iteratorINS9_10device_ptrIhEEEEPS5_m14custom_greaterIhEEE10hipError_tT0_T1_T2_jT3_P12ihipStream_tbPNSt15iterator_traitsISJ_E10value_typeEPNSP_ISK_E10value_typeEPSL_NS1_7vsmem_tEENKUlT_SJ_SK_SL_E_clISE_PhSF_SF_EESI_SY_SJ_SK_SL_EUlSY_E_NS1_11comp_targetILNS1_3genE3ELNS1_11target_archE908ELNS1_3gpuE7ELNS1_3repE0EEENS1_48merge_mergepath_partition_config_static_selectorELNS0_4arch9wavefront6targetE1EEEvSK_
    .private_segment_fixed_size: 0
    .sgpr_count:     4
    .sgpr_spill_count: 0
    .symbol:         _ZN7rocprim17ROCPRIM_400000_NS6detail17trampoline_kernelINS0_14default_configENS1_38merge_sort_block_merge_config_selectorIhNS0_10empty_typeEEEZZNS1_27merge_sort_block_merge_implIS3_N6thrust23THRUST_200600_302600_NS6detail15normal_iteratorINS9_10device_ptrIhEEEEPS5_m14custom_greaterIhEEE10hipError_tT0_T1_T2_jT3_P12ihipStream_tbPNSt15iterator_traitsISJ_E10value_typeEPNSP_ISK_E10value_typeEPSL_NS1_7vsmem_tEENKUlT_SJ_SK_SL_E_clISE_PhSF_SF_EESI_SY_SJ_SK_SL_EUlSY_E_NS1_11comp_targetILNS1_3genE3ELNS1_11target_archE908ELNS1_3gpuE7ELNS1_3repE0EEENS1_48merge_mergepath_partition_config_static_selectorELNS0_4arch9wavefront6targetE1EEEvSK_.kd
    .uniform_work_group_size: 1
    .uses_dynamic_stack: false
    .vgpr_count:     0
    .vgpr_spill_count: 0
    .wavefront_size: 64
  - .agpr_count:     0
    .args:
      - .offset:         0
        .size:           48
        .value_kind:     by_value
    .group_segment_fixed_size: 0
    .kernarg_segment_align: 8
    .kernarg_segment_size: 48
    .language:       OpenCL C
    .language_version:
      - 2
      - 0
    .max_flat_workgroup_size: 128
    .name:           _ZN7rocprim17ROCPRIM_400000_NS6detail17trampoline_kernelINS0_14default_configENS1_38merge_sort_block_merge_config_selectorIhNS0_10empty_typeEEEZZNS1_27merge_sort_block_merge_implIS3_N6thrust23THRUST_200600_302600_NS6detail15normal_iteratorINS9_10device_ptrIhEEEEPS5_m14custom_greaterIhEEE10hipError_tT0_T1_T2_jT3_P12ihipStream_tbPNSt15iterator_traitsISJ_E10value_typeEPNSP_ISK_E10value_typeEPSL_NS1_7vsmem_tEENKUlT_SJ_SK_SL_E_clISE_PhSF_SF_EESI_SY_SJ_SK_SL_EUlSY_E_NS1_11comp_targetILNS1_3genE2ELNS1_11target_archE906ELNS1_3gpuE6ELNS1_3repE0EEENS1_48merge_mergepath_partition_config_static_selectorELNS0_4arch9wavefront6targetE1EEEvSK_
    .private_segment_fixed_size: 0
    .sgpr_count:     4
    .sgpr_spill_count: 0
    .symbol:         _ZN7rocprim17ROCPRIM_400000_NS6detail17trampoline_kernelINS0_14default_configENS1_38merge_sort_block_merge_config_selectorIhNS0_10empty_typeEEEZZNS1_27merge_sort_block_merge_implIS3_N6thrust23THRUST_200600_302600_NS6detail15normal_iteratorINS9_10device_ptrIhEEEEPS5_m14custom_greaterIhEEE10hipError_tT0_T1_T2_jT3_P12ihipStream_tbPNSt15iterator_traitsISJ_E10value_typeEPNSP_ISK_E10value_typeEPSL_NS1_7vsmem_tEENKUlT_SJ_SK_SL_E_clISE_PhSF_SF_EESI_SY_SJ_SK_SL_EUlSY_E_NS1_11comp_targetILNS1_3genE2ELNS1_11target_archE906ELNS1_3gpuE6ELNS1_3repE0EEENS1_48merge_mergepath_partition_config_static_selectorELNS0_4arch9wavefront6targetE1EEEvSK_.kd
    .uniform_work_group_size: 1
    .uses_dynamic_stack: false
    .vgpr_count:     0
    .vgpr_spill_count: 0
    .wavefront_size: 64
  - .agpr_count:     0
    .args:
      - .offset:         0
        .size:           48
        .value_kind:     by_value
    .group_segment_fixed_size: 0
    .kernarg_segment_align: 8
    .kernarg_segment_size: 48
    .language:       OpenCL C
    .language_version:
      - 2
      - 0
    .max_flat_workgroup_size: 128
    .name:           _ZN7rocprim17ROCPRIM_400000_NS6detail17trampoline_kernelINS0_14default_configENS1_38merge_sort_block_merge_config_selectorIhNS0_10empty_typeEEEZZNS1_27merge_sort_block_merge_implIS3_N6thrust23THRUST_200600_302600_NS6detail15normal_iteratorINS9_10device_ptrIhEEEEPS5_m14custom_greaterIhEEE10hipError_tT0_T1_T2_jT3_P12ihipStream_tbPNSt15iterator_traitsISJ_E10value_typeEPNSP_ISK_E10value_typeEPSL_NS1_7vsmem_tEENKUlT_SJ_SK_SL_E_clISE_PhSF_SF_EESI_SY_SJ_SK_SL_EUlSY_E_NS1_11comp_targetILNS1_3genE9ELNS1_11target_archE1100ELNS1_3gpuE3ELNS1_3repE0EEENS1_48merge_mergepath_partition_config_static_selectorELNS0_4arch9wavefront6targetE1EEEvSK_
    .private_segment_fixed_size: 0
    .sgpr_count:     4
    .sgpr_spill_count: 0
    .symbol:         _ZN7rocprim17ROCPRIM_400000_NS6detail17trampoline_kernelINS0_14default_configENS1_38merge_sort_block_merge_config_selectorIhNS0_10empty_typeEEEZZNS1_27merge_sort_block_merge_implIS3_N6thrust23THRUST_200600_302600_NS6detail15normal_iteratorINS9_10device_ptrIhEEEEPS5_m14custom_greaterIhEEE10hipError_tT0_T1_T2_jT3_P12ihipStream_tbPNSt15iterator_traitsISJ_E10value_typeEPNSP_ISK_E10value_typeEPSL_NS1_7vsmem_tEENKUlT_SJ_SK_SL_E_clISE_PhSF_SF_EESI_SY_SJ_SK_SL_EUlSY_E_NS1_11comp_targetILNS1_3genE9ELNS1_11target_archE1100ELNS1_3gpuE3ELNS1_3repE0EEENS1_48merge_mergepath_partition_config_static_selectorELNS0_4arch9wavefront6targetE1EEEvSK_.kd
    .uniform_work_group_size: 1
    .uses_dynamic_stack: false
    .vgpr_count:     0
    .vgpr_spill_count: 0
    .wavefront_size: 64
  - .agpr_count:     0
    .args:
      - .offset:         0
        .size:           48
        .value_kind:     by_value
    .group_segment_fixed_size: 0
    .kernarg_segment_align: 8
    .kernarg_segment_size: 48
    .language:       OpenCL C
    .language_version:
      - 2
      - 0
    .max_flat_workgroup_size: 128
    .name:           _ZN7rocprim17ROCPRIM_400000_NS6detail17trampoline_kernelINS0_14default_configENS1_38merge_sort_block_merge_config_selectorIhNS0_10empty_typeEEEZZNS1_27merge_sort_block_merge_implIS3_N6thrust23THRUST_200600_302600_NS6detail15normal_iteratorINS9_10device_ptrIhEEEEPS5_m14custom_greaterIhEEE10hipError_tT0_T1_T2_jT3_P12ihipStream_tbPNSt15iterator_traitsISJ_E10value_typeEPNSP_ISK_E10value_typeEPSL_NS1_7vsmem_tEENKUlT_SJ_SK_SL_E_clISE_PhSF_SF_EESI_SY_SJ_SK_SL_EUlSY_E_NS1_11comp_targetILNS1_3genE8ELNS1_11target_archE1030ELNS1_3gpuE2ELNS1_3repE0EEENS1_48merge_mergepath_partition_config_static_selectorELNS0_4arch9wavefront6targetE1EEEvSK_
    .private_segment_fixed_size: 0
    .sgpr_count:     4
    .sgpr_spill_count: 0
    .symbol:         _ZN7rocprim17ROCPRIM_400000_NS6detail17trampoline_kernelINS0_14default_configENS1_38merge_sort_block_merge_config_selectorIhNS0_10empty_typeEEEZZNS1_27merge_sort_block_merge_implIS3_N6thrust23THRUST_200600_302600_NS6detail15normal_iteratorINS9_10device_ptrIhEEEEPS5_m14custom_greaterIhEEE10hipError_tT0_T1_T2_jT3_P12ihipStream_tbPNSt15iterator_traitsISJ_E10value_typeEPNSP_ISK_E10value_typeEPSL_NS1_7vsmem_tEENKUlT_SJ_SK_SL_E_clISE_PhSF_SF_EESI_SY_SJ_SK_SL_EUlSY_E_NS1_11comp_targetILNS1_3genE8ELNS1_11target_archE1030ELNS1_3gpuE2ELNS1_3repE0EEENS1_48merge_mergepath_partition_config_static_selectorELNS0_4arch9wavefront6targetE1EEEvSK_.kd
    .uniform_work_group_size: 1
    .uses_dynamic_stack: false
    .vgpr_count:     0
    .vgpr_spill_count: 0
    .wavefront_size: 64
  - .agpr_count:     0
    .args:
      - .offset:         0
        .size:           72
        .value_kind:     by_value
    .group_segment_fixed_size: 0
    .kernarg_segment_align: 8
    .kernarg_segment_size: 72
    .language:       OpenCL C
    .language_version:
      - 2
      - 0
    .max_flat_workgroup_size: 128
    .name:           _ZN7rocprim17ROCPRIM_400000_NS6detail17trampoline_kernelINS0_14default_configENS1_38merge_sort_block_merge_config_selectorIhNS0_10empty_typeEEEZZNS1_27merge_sort_block_merge_implIS3_N6thrust23THRUST_200600_302600_NS6detail15normal_iteratorINS9_10device_ptrIhEEEEPS5_m14custom_greaterIhEEE10hipError_tT0_T1_T2_jT3_P12ihipStream_tbPNSt15iterator_traitsISJ_E10value_typeEPNSP_ISK_E10value_typeEPSL_NS1_7vsmem_tEENKUlT_SJ_SK_SL_E_clISE_PhSF_SF_EESI_SY_SJ_SK_SL_EUlSY_E0_NS1_11comp_targetILNS1_3genE0ELNS1_11target_archE4294967295ELNS1_3gpuE0ELNS1_3repE0EEENS1_38merge_mergepath_config_static_selectorELNS0_4arch9wavefront6targetE1EEEvSK_
    .private_segment_fixed_size: 0
    .sgpr_count:     4
    .sgpr_spill_count: 0
    .symbol:         _ZN7rocprim17ROCPRIM_400000_NS6detail17trampoline_kernelINS0_14default_configENS1_38merge_sort_block_merge_config_selectorIhNS0_10empty_typeEEEZZNS1_27merge_sort_block_merge_implIS3_N6thrust23THRUST_200600_302600_NS6detail15normal_iteratorINS9_10device_ptrIhEEEEPS5_m14custom_greaterIhEEE10hipError_tT0_T1_T2_jT3_P12ihipStream_tbPNSt15iterator_traitsISJ_E10value_typeEPNSP_ISK_E10value_typeEPSL_NS1_7vsmem_tEENKUlT_SJ_SK_SL_E_clISE_PhSF_SF_EESI_SY_SJ_SK_SL_EUlSY_E0_NS1_11comp_targetILNS1_3genE0ELNS1_11target_archE4294967295ELNS1_3gpuE0ELNS1_3repE0EEENS1_38merge_mergepath_config_static_selectorELNS0_4arch9wavefront6targetE1EEEvSK_.kd
    .uniform_work_group_size: 1
    .uses_dynamic_stack: false
    .vgpr_count:     0
    .vgpr_spill_count: 0
    .wavefront_size: 64
  - .agpr_count:     0
    .args:
      - .offset:         0
        .size:           72
        .value_kind:     by_value
    .group_segment_fixed_size: 0
    .kernarg_segment_align: 8
    .kernarg_segment_size: 72
    .language:       OpenCL C
    .language_version:
      - 2
      - 0
    .max_flat_workgroup_size: 128
    .name:           _ZN7rocprim17ROCPRIM_400000_NS6detail17trampoline_kernelINS0_14default_configENS1_38merge_sort_block_merge_config_selectorIhNS0_10empty_typeEEEZZNS1_27merge_sort_block_merge_implIS3_N6thrust23THRUST_200600_302600_NS6detail15normal_iteratorINS9_10device_ptrIhEEEEPS5_m14custom_greaterIhEEE10hipError_tT0_T1_T2_jT3_P12ihipStream_tbPNSt15iterator_traitsISJ_E10value_typeEPNSP_ISK_E10value_typeEPSL_NS1_7vsmem_tEENKUlT_SJ_SK_SL_E_clISE_PhSF_SF_EESI_SY_SJ_SK_SL_EUlSY_E0_NS1_11comp_targetILNS1_3genE10ELNS1_11target_archE1201ELNS1_3gpuE5ELNS1_3repE0EEENS1_38merge_mergepath_config_static_selectorELNS0_4arch9wavefront6targetE1EEEvSK_
    .private_segment_fixed_size: 0
    .sgpr_count:     4
    .sgpr_spill_count: 0
    .symbol:         _ZN7rocprim17ROCPRIM_400000_NS6detail17trampoline_kernelINS0_14default_configENS1_38merge_sort_block_merge_config_selectorIhNS0_10empty_typeEEEZZNS1_27merge_sort_block_merge_implIS3_N6thrust23THRUST_200600_302600_NS6detail15normal_iteratorINS9_10device_ptrIhEEEEPS5_m14custom_greaterIhEEE10hipError_tT0_T1_T2_jT3_P12ihipStream_tbPNSt15iterator_traitsISJ_E10value_typeEPNSP_ISK_E10value_typeEPSL_NS1_7vsmem_tEENKUlT_SJ_SK_SL_E_clISE_PhSF_SF_EESI_SY_SJ_SK_SL_EUlSY_E0_NS1_11comp_targetILNS1_3genE10ELNS1_11target_archE1201ELNS1_3gpuE5ELNS1_3repE0EEENS1_38merge_mergepath_config_static_selectorELNS0_4arch9wavefront6targetE1EEEvSK_.kd
    .uniform_work_group_size: 1
    .uses_dynamic_stack: false
    .vgpr_count:     0
    .vgpr_spill_count: 0
    .wavefront_size: 64
  - .agpr_count:     0
    .args:
      - .offset:         0
        .size:           72
        .value_kind:     by_value
    .group_segment_fixed_size: 0
    .kernarg_segment_align: 8
    .kernarg_segment_size: 72
    .language:       OpenCL C
    .language_version:
      - 2
      - 0
    .max_flat_workgroup_size: 128
    .name:           _ZN7rocprim17ROCPRIM_400000_NS6detail17trampoline_kernelINS0_14default_configENS1_38merge_sort_block_merge_config_selectorIhNS0_10empty_typeEEEZZNS1_27merge_sort_block_merge_implIS3_N6thrust23THRUST_200600_302600_NS6detail15normal_iteratorINS9_10device_ptrIhEEEEPS5_m14custom_greaterIhEEE10hipError_tT0_T1_T2_jT3_P12ihipStream_tbPNSt15iterator_traitsISJ_E10value_typeEPNSP_ISK_E10value_typeEPSL_NS1_7vsmem_tEENKUlT_SJ_SK_SL_E_clISE_PhSF_SF_EESI_SY_SJ_SK_SL_EUlSY_E0_NS1_11comp_targetILNS1_3genE5ELNS1_11target_archE942ELNS1_3gpuE9ELNS1_3repE0EEENS1_38merge_mergepath_config_static_selectorELNS0_4arch9wavefront6targetE1EEEvSK_
    .private_segment_fixed_size: 0
    .sgpr_count:     4
    .sgpr_spill_count: 0
    .symbol:         _ZN7rocprim17ROCPRIM_400000_NS6detail17trampoline_kernelINS0_14default_configENS1_38merge_sort_block_merge_config_selectorIhNS0_10empty_typeEEEZZNS1_27merge_sort_block_merge_implIS3_N6thrust23THRUST_200600_302600_NS6detail15normal_iteratorINS9_10device_ptrIhEEEEPS5_m14custom_greaterIhEEE10hipError_tT0_T1_T2_jT3_P12ihipStream_tbPNSt15iterator_traitsISJ_E10value_typeEPNSP_ISK_E10value_typeEPSL_NS1_7vsmem_tEENKUlT_SJ_SK_SL_E_clISE_PhSF_SF_EESI_SY_SJ_SK_SL_EUlSY_E0_NS1_11comp_targetILNS1_3genE5ELNS1_11target_archE942ELNS1_3gpuE9ELNS1_3repE0EEENS1_38merge_mergepath_config_static_selectorELNS0_4arch9wavefront6targetE1EEEvSK_.kd
    .uniform_work_group_size: 1
    .uses_dynamic_stack: false
    .vgpr_count:     0
    .vgpr_spill_count: 0
    .wavefront_size: 64
  - .agpr_count:     0
    .args:
      - .offset:         0
        .size:           72
        .value_kind:     by_value
      - .offset:         72
        .size:           4
        .value_kind:     hidden_block_count_x
      - .offset:         76
        .size:           4
        .value_kind:     hidden_block_count_y
      - .offset:         80
        .size:           4
        .value_kind:     hidden_block_count_z
      - .offset:         84
        .size:           2
        .value_kind:     hidden_group_size_x
      - .offset:         86
        .size:           2
        .value_kind:     hidden_group_size_y
      - .offset:         88
        .size:           2
        .value_kind:     hidden_group_size_z
      - .offset:         90
        .size:           2
        .value_kind:     hidden_remainder_x
      - .offset:         92
        .size:           2
        .value_kind:     hidden_remainder_y
      - .offset:         94
        .size:           2
        .value_kind:     hidden_remainder_z
      - .offset:         112
        .size:           8
        .value_kind:     hidden_global_offset_x
      - .offset:         120
        .size:           8
        .value_kind:     hidden_global_offset_y
      - .offset:         128
        .size:           8
        .value_kind:     hidden_global_offset_z
      - .offset:         136
        .size:           2
        .value_kind:     hidden_grid_dims
    .group_segment_fixed_size: 1056
    .kernarg_segment_align: 8
    .kernarg_segment_size: 328
    .language:       OpenCL C
    .language_version:
      - 2
      - 0
    .max_flat_workgroup_size: 128
    .name:           _ZN7rocprim17ROCPRIM_400000_NS6detail17trampoline_kernelINS0_14default_configENS1_38merge_sort_block_merge_config_selectorIhNS0_10empty_typeEEEZZNS1_27merge_sort_block_merge_implIS3_N6thrust23THRUST_200600_302600_NS6detail15normal_iteratorINS9_10device_ptrIhEEEEPS5_m14custom_greaterIhEEE10hipError_tT0_T1_T2_jT3_P12ihipStream_tbPNSt15iterator_traitsISJ_E10value_typeEPNSP_ISK_E10value_typeEPSL_NS1_7vsmem_tEENKUlT_SJ_SK_SL_E_clISE_PhSF_SF_EESI_SY_SJ_SK_SL_EUlSY_E0_NS1_11comp_targetILNS1_3genE4ELNS1_11target_archE910ELNS1_3gpuE8ELNS1_3repE0EEENS1_38merge_mergepath_config_static_selectorELNS0_4arch9wavefront6targetE1EEEvSK_
    .private_segment_fixed_size: 0
    .sgpr_count:     35
    .sgpr_spill_count: 0
    .symbol:         _ZN7rocprim17ROCPRIM_400000_NS6detail17trampoline_kernelINS0_14default_configENS1_38merge_sort_block_merge_config_selectorIhNS0_10empty_typeEEEZZNS1_27merge_sort_block_merge_implIS3_N6thrust23THRUST_200600_302600_NS6detail15normal_iteratorINS9_10device_ptrIhEEEEPS5_m14custom_greaterIhEEE10hipError_tT0_T1_T2_jT3_P12ihipStream_tbPNSt15iterator_traitsISJ_E10value_typeEPNSP_ISK_E10value_typeEPSL_NS1_7vsmem_tEENKUlT_SJ_SK_SL_E_clISE_PhSF_SF_EESI_SY_SJ_SK_SL_EUlSY_E0_NS1_11comp_targetILNS1_3genE4ELNS1_11target_archE910ELNS1_3gpuE8ELNS1_3repE0EEENS1_38merge_mergepath_config_static_selectorELNS0_4arch9wavefront6targetE1EEEvSK_.kd
    .uniform_work_group_size: 1
    .uses_dynamic_stack: false
    .vgpr_count:     26
    .vgpr_spill_count: 0
    .wavefront_size: 64
  - .agpr_count:     0
    .args:
      - .offset:         0
        .size:           72
        .value_kind:     by_value
    .group_segment_fixed_size: 0
    .kernarg_segment_align: 8
    .kernarg_segment_size: 72
    .language:       OpenCL C
    .language_version:
      - 2
      - 0
    .max_flat_workgroup_size: 128
    .name:           _ZN7rocprim17ROCPRIM_400000_NS6detail17trampoline_kernelINS0_14default_configENS1_38merge_sort_block_merge_config_selectorIhNS0_10empty_typeEEEZZNS1_27merge_sort_block_merge_implIS3_N6thrust23THRUST_200600_302600_NS6detail15normal_iteratorINS9_10device_ptrIhEEEEPS5_m14custom_greaterIhEEE10hipError_tT0_T1_T2_jT3_P12ihipStream_tbPNSt15iterator_traitsISJ_E10value_typeEPNSP_ISK_E10value_typeEPSL_NS1_7vsmem_tEENKUlT_SJ_SK_SL_E_clISE_PhSF_SF_EESI_SY_SJ_SK_SL_EUlSY_E0_NS1_11comp_targetILNS1_3genE3ELNS1_11target_archE908ELNS1_3gpuE7ELNS1_3repE0EEENS1_38merge_mergepath_config_static_selectorELNS0_4arch9wavefront6targetE1EEEvSK_
    .private_segment_fixed_size: 0
    .sgpr_count:     4
    .sgpr_spill_count: 0
    .symbol:         _ZN7rocprim17ROCPRIM_400000_NS6detail17trampoline_kernelINS0_14default_configENS1_38merge_sort_block_merge_config_selectorIhNS0_10empty_typeEEEZZNS1_27merge_sort_block_merge_implIS3_N6thrust23THRUST_200600_302600_NS6detail15normal_iteratorINS9_10device_ptrIhEEEEPS5_m14custom_greaterIhEEE10hipError_tT0_T1_T2_jT3_P12ihipStream_tbPNSt15iterator_traitsISJ_E10value_typeEPNSP_ISK_E10value_typeEPSL_NS1_7vsmem_tEENKUlT_SJ_SK_SL_E_clISE_PhSF_SF_EESI_SY_SJ_SK_SL_EUlSY_E0_NS1_11comp_targetILNS1_3genE3ELNS1_11target_archE908ELNS1_3gpuE7ELNS1_3repE0EEENS1_38merge_mergepath_config_static_selectorELNS0_4arch9wavefront6targetE1EEEvSK_.kd
    .uniform_work_group_size: 1
    .uses_dynamic_stack: false
    .vgpr_count:     0
    .vgpr_spill_count: 0
    .wavefront_size: 64
  - .agpr_count:     0
    .args:
      - .offset:         0
        .size:           72
        .value_kind:     by_value
    .group_segment_fixed_size: 0
    .kernarg_segment_align: 8
    .kernarg_segment_size: 72
    .language:       OpenCL C
    .language_version:
      - 2
      - 0
    .max_flat_workgroup_size: 128
    .name:           _ZN7rocprim17ROCPRIM_400000_NS6detail17trampoline_kernelINS0_14default_configENS1_38merge_sort_block_merge_config_selectorIhNS0_10empty_typeEEEZZNS1_27merge_sort_block_merge_implIS3_N6thrust23THRUST_200600_302600_NS6detail15normal_iteratorINS9_10device_ptrIhEEEEPS5_m14custom_greaterIhEEE10hipError_tT0_T1_T2_jT3_P12ihipStream_tbPNSt15iterator_traitsISJ_E10value_typeEPNSP_ISK_E10value_typeEPSL_NS1_7vsmem_tEENKUlT_SJ_SK_SL_E_clISE_PhSF_SF_EESI_SY_SJ_SK_SL_EUlSY_E0_NS1_11comp_targetILNS1_3genE2ELNS1_11target_archE906ELNS1_3gpuE6ELNS1_3repE0EEENS1_38merge_mergepath_config_static_selectorELNS0_4arch9wavefront6targetE1EEEvSK_
    .private_segment_fixed_size: 0
    .sgpr_count:     4
    .sgpr_spill_count: 0
    .symbol:         _ZN7rocprim17ROCPRIM_400000_NS6detail17trampoline_kernelINS0_14default_configENS1_38merge_sort_block_merge_config_selectorIhNS0_10empty_typeEEEZZNS1_27merge_sort_block_merge_implIS3_N6thrust23THRUST_200600_302600_NS6detail15normal_iteratorINS9_10device_ptrIhEEEEPS5_m14custom_greaterIhEEE10hipError_tT0_T1_T2_jT3_P12ihipStream_tbPNSt15iterator_traitsISJ_E10value_typeEPNSP_ISK_E10value_typeEPSL_NS1_7vsmem_tEENKUlT_SJ_SK_SL_E_clISE_PhSF_SF_EESI_SY_SJ_SK_SL_EUlSY_E0_NS1_11comp_targetILNS1_3genE2ELNS1_11target_archE906ELNS1_3gpuE6ELNS1_3repE0EEENS1_38merge_mergepath_config_static_selectorELNS0_4arch9wavefront6targetE1EEEvSK_.kd
    .uniform_work_group_size: 1
    .uses_dynamic_stack: false
    .vgpr_count:     0
    .vgpr_spill_count: 0
    .wavefront_size: 64
  - .agpr_count:     0
    .args:
      - .offset:         0
        .size:           72
        .value_kind:     by_value
    .group_segment_fixed_size: 0
    .kernarg_segment_align: 8
    .kernarg_segment_size: 72
    .language:       OpenCL C
    .language_version:
      - 2
      - 0
    .max_flat_workgroup_size: 128
    .name:           _ZN7rocprim17ROCPRIM_400000_NS6detail17trampoline_kernelINS0_14default_configENS1_38merge_sort_block_merge_config_selectorIhNS0_10empty_typeEEEZZNS1_27merge_sort_block_merge_implIS3_N6thrust23THRUST_200600_302600_NS6detail15normal_iteratorINS9_10device_ptrIhEEEEPS5_m14custom_greaterIhEEE10hipError_tT0_T1_T2_jT3_P12ihipStream_tbPNSt15iterator_traitsISJ_E10value_typeEPNSP_ISK_E10value_typeEPSL_NS1_7vsmem_tEENKUlT_SJ_SK_SL_E_clISE_PhSF_SF_EESI_SY_SJ_SK_SL_EUlSY_E0_NS1_11comp_targetILNS1_3genE9ELNS1_11target_archE1100ELNS1_3gpuE3ELNS1_3repE0EEENS1_38merge_mergepath_config_static_selectorELNS0_4arch9wavefront6targetE1EEEvSK_
    .private_segment_fixed_size: 0
    .sgpr_count:     4
    .sgpr_spill_count: 0
    .symbol:         _ZN7rocprim17ROCPRIM_400000_NS6detail17trampoline_kernelINS0_14default_configENS1_38merge_sort_block_merge_config_selectorIhNS0_10empty_typeEEEZZNS1_27merge_sort_block_merge_implIS3_N6thrust23THRUST_200600_302600_NS6detail15normal_iteratorINS9_10device_ptrIhEEEEPS5_m14custom_greaterIhEEE10hipError_tT0_T1_T2_jT3_P12ihipStream_tbPNSt15iterator_traitsISJ_E10value_typeEPNSP_ISK_E10value_typeEPSL_NS1_7vsmem_tEENKUlT_SJ_SK_SL_E_clISE_PhSF_SF_EESI_SY_SJ_SK_SL_EUlSY_E0_NS1_11comp_targetILNS1_3genE9ELNS1_11target_archE1100ELNS1_3gpuE3ELNS1_3repE0EEENS1_38merge_mergepath_config_static_selectorELNS0_4arch9wavefront6targetE1EEEvSK_.kd
    .uniform_work_group_size: 1
    .uses_dynamic_stack: false
    .vgpr_count:     0
    .vgpr_spill_count: 0
    .wavefront_size: 64
  - .agpr_count:     0
    .args:
      - .offset:         0
        .size:           72
        .value_kind:     by_value
    .group_segment_fixed_size: 0
    .kernarg_segment_align: 8
    .kernarg_segment_size: 72
    .language:       OpenCL C
    .language_version:
      - 2
      - 0
    .max_flat_workgroup_size: 128
    .name:           _ZN7rocprim17ROCPRIM_400000_NS6detail17trampoline_kernelINS0_14default_configENS1_38merge_sort_block_merge_config_selectorIhNS0_10empty_typeEEEZZNS1_27merge_sort_block_merge_implIS3_N6thrust23THRUST_200600_302600_NS6detail15normal_iteratorINS9_10device_ptrIhEEEEPS5_m14custom_greaterIhEEE10hipError_tT0_T1_T2_jT3_P12ihipStream_tbPNSt15iterator_traitsISJ_E10value_typeEPNSP_ISK_E10value_typeEPSL_NS1_7vsmem_tEENKUlT_SJ_SK_SL_E_clISE_PhSF_SF_EESI_SY_SJ_SK_SL_EUlSY_E0_NS1_11comp_targetILNS1_3genE8ELNS1_11target_archE1030ELNS1_3gpuE2ELNS1_3repE0EEENS1_38merge_mergepath_config_static_selectorELNS0_4arch9wavefront6targetE1EEEvSK_
    .private_segment_fixed_size: 0
    .sgpr_count:     4
    .sgpr_spill_count: 0
    .symbol:         _ZN7rocprim17ROCPRIM_400000_NS6detail17trampoline_kernelINS0_14default_configENS1_38merge_sort_block_merge_config_selectorIhNS0_10empty_typeEEEZZNS1_27merge_sort_block_merge_implIS3_N6thrust23THRUST_200600_302600_NS6detail15normal_iteratorINS9_10device_ptrIhEEEEPS5_m14custom_greaterIhEEE10hipError_tT0_T1_T2_jT3_P12ihipStream_tbPNSt15iterator_traitsISJ_E10value_typeEPNSP_ISK_E10value_typeEPSL_NS1_7vsmem_tEENKUlT_SJ_SK_SL_E_clISE_PhSF_SF_EESI_SY_SJ_SK_SL_EUlSY_E0_NS1_11comp_targetILNS1_3genE8ELNS1_11target_archE1030ELNS1_3gpuE2ELNS1_3repE0EEENS1_38merge_mergepath_config_static_selectorELNS0_4arch9wavefront6targetE1EEEvSK_.kd
    .uniform_work_group_size: 1
    .uses_dynamic_stack: false
    .vgpr_count:     0
    .vgpr_spill_count: 0
    .wavefront_size: 64
  - .agpr_count:     0
    .args:
      - .offset:         0
        .size:           56
        .value_kind:     by_value
    .group_segment_fixed_size: 0
    .kernarg_segment_align: 8
    .kernarg_segment_size: 56
    .language:       OpenCL C
    .language_version:
      - 2
      - 0
    .max_flat_workgroup_size: 256
    .name:           _ZN7rocprim17ROCPRIM_400000_NS6detail17trampoline_kernelINS0_14default_configENS1_38merge_sort_block_merge_config_selectorIhNS0_10empty_typeEEEZZNS1_27merge_sort_block_merge_implIS3_N6thrust23THRUST_200600_302600_NS6detail15normal_iteratorINS9_10device_ptrIhEEEEPS5_m14custom_greaterIhEEE10hipError_tT0_T1_T2_jT3_P12ihipStream_tbPNSt15iterator_traitsISJ_E10value_typeEPNSP_ISK_E10value_typeEPSL_NS1_7vsmem_tEENKUlT_SJ_SK_SL_E_clISE_PhSF_SF_EESI_SY_SJ_SK_SL_EUlSY_E1_NS1_11comp_targetILNS1_3genE0ELNS1_11target_archE4294967295ELNS1_3gpuE0ELNS1_3repE0EEENS1_36merge_oddeven_config_static_selectorELNS0_4arch9wavefront6targetE1EEEvSK_
    .private_segment_fixed_size: 0
    .sgpr_count:     4
    .sgpr_spill_count: 0
    .symbol:         _ZN7rocprim17ROCPRIM_400000_NS6detail17trampoline_kernelINS0_14default_configENS1_38merge_sort_block_merge_config_selectorIhNS0_10empty_typeEEEZZNS1_27merge_sort_block_merge_implIS3_N6thrust23THRUST_200600_302600_NS6detail15normal_iteratorINS9_10device_ptrIhEEEEPS5_m14custom_greaterIhEEE10hipError_tT0_T1_T2_jT3_P12ihipStream_tbPNSt15iterator_traitsISJ_E10value_typeEPNSP_ISK_E10value_typeEPSL_NS1_7vsmem_tEENKUlT_SJ_SK_SL_E_clISE_PhSF_SF_EESI_SY_SJ_SK_SL_EUlSY_E1_NS1_11comp_targetILNS1_3genE0ELNS1_11target_archE4294967295ELNS1_3gpuE0ELNS1_3repE0EEENS1_36merge_oddeven_config_static_selectorELNS0_4arch9wavefront6targetE1EEEvSK_.kd
    .uniform_work_group_size: 1
    .uses_dynamic_stack: false
    .vgpr_count:     0
    .vgpr_spill_count: 0
    .wavefront_size: 64
  - .agpr_count:     0
    .args:
      - .offset:         0
        .size:           56
        .value_kind:     by_value
    .group_segment_fixed_size: 0
    .kernarg_segment_align: 8
    .kernarg_segment_size: 56
    .language:       OpenCL C
    .language_version:
      - 2
      - 0
    .max_flat_workgroup_size: 256
    .name:           _ZN7rocprim17ROCPRIM_400000_NS6detail17trampoline_kernelINS0_14default_configENS1_38merge_sort_block_merge_config_selectorIhNS0_10empty_typeEEEZZNS1_27merge_sort_block_merge_implIS3_N6thrust23THRUST_200600_302600_NS6detail15normal_iteratorINS9_10device_ptrIhEEEEPS5_m14custom_greaterIhEEE10hipError_tT0_T1_T2_jT3_P12ihipStream_tbPNSt15iterator_traitsISJ_E10value_typeEPNSP_ISK_E10value_typeEPSL_NS1_7vsmem_tEENKUlT_SJ_SK_SL_E_clISE_PhSF_SF_EESI_SY_SJ_SK_SL_EUlSY_E1_NS1_11comp_targetILNS1_3genE10ELNS1_11target_archE1201ELNS1_3gpuE5ELNS1_3repE0EEENS1_36merge_oddeven_config_static_selectorELNS0_4arch9wavefront6targetE1EEEvSK_
    .private_segment_fixed_size: 0
    .sgpr_count:     4
    .sgpr_spill_count: 0
    .symbol:         _ZN7rocprim17ROCPRIM_400000_NS6detail17trampoline_kernelINS0_14default_configENS1_38merge_sort_block_merge_config_selectorIhNS0_10empty_typeEEEZZNS1_27merge_sort_block_merge_implIS3_N6thrust23THRUST_200600_302600_NS6detail15normal_iteratorINS9_10device_ptrIhEEEEPS5_m14custom_greaterIhEEE10hipError_tT0_T1_T2_jT3_P12ihipStream_tbPNSt15iterator_traitsISJ_E10value_typeEPNSP_ISK_E10value_typeEPSL_NS1_7vsmem_tEENKUlT_SJ_SK_SL_E_clISE_PhSF_SF_EESI_SY_SJ_SK_SL_EUlSY_E1_NS1_11comp_targetILNS1_3genE10ELNS1_11target_archE1201ELNS1_3gpuE5ELNS1_3repE0EEENS1_36merge_oddeven_config_static_selectorELNS0_4arch9wavefront6targetE1EEEvSK_.kd
    .uniform_work_group_size: 1
    .uses_dynamic_stack: false
    .vgpr_count:     0
    .vgpr_spill_count: 0
    .wavefront_size: 64
  - .agpr_count:     0
    .args:
      - .offset:         0
        .size:           56
        .value_kind:     by_value
    .group_segment_fixed_size: 0
    .kernarg_segment_align: 8
    .kernarg_segment_size: 56
    .language:       OpenCL C
    .language_version:
      - 2
      - 0
    .max_flat_workgroup_size: 256
    .name:           _ZN7rocprim17ROCPRIM_400000_NS6detail17trampoline_kernelINS0_14default_configENS1_38merge_sort_block_merge_config_selectorIhNS0_10empty_typeEEEZZNS1_27merge_sort_block_merge_implIS3_N6thrust23THRUST_200600_302600_NS6detail15normal_iteratorINS9_10device_ptrIhEEEEPS5_m14custom_greaterIhEEE10hipError_tT0_T1_T2_jT3_P12ihipStream_tbPNSt15iterator_traitsISJ_E10value_typeEPNSP_ISK_E10value_typeEPSL_NS1_7vsmem_tEENKUlT_SJ_SK_SL_E_clISE_PhSF_SF_EESI_SY_SJ_SK_SL_EUlSY_E1_NS1_11comp_targetILNS1_3genE5ELNS1_11target_archE942ELNS1_3gpuE9ELNS1_3repE0EEENS1_36merge_oddeven_config_static_selectorELNS0_4arch9wavefront6targetE1EEEvSK_
    .private_segment_fixed_size: 0
    .sgpr_count:     4
    .sgpr_spill_count: 0
    .symbol:         _ZN7rocprim17ROCPRIM_400000_NS6detail17trampoline_kernelINS0_14default_configENS1_38merge_sort_block_merge_config_selectorIhNS0_10empty_typeEEEZZNS1_27merge_sort_block_merge_implIS3_N6thrust23THRUST_200600_302600_NS6detail15normal_iteratorINS9_10device_ptrIhEEEEPS5_m14custom_greaterIhEEE10hipError_tT0_T1_T2_jT3_P12ihipStream_tbPNSt15iterator_traitsISJ_E10value_typeEPNSP_ISK_E10value_typeEPSL_NS1_7vsmem_tEENKUlT_SJ_SK_SL_E_clISE_PhSF_SF_EESI_SY_SJ_SK_SL_EUlSY_E1_NS1_11comp_targetILNS1_3genE5ELNS1_11target_archE942ELNS1_3gpuE9ELNS1_3repE0EEENS1_36merge_oddeven_config_static_selectorELNS0_4arch9wavefront6targetE1EEEvSK_.kd
    .uniform_work_group_size: 1
    .uses_dynamic_stack: false
    .vgpr_count:     0
    .vgpr_spill_count: 0
    .wavefront_size: 64
  - .agpr_count:     0
    .args:
      - .offset:         0
        .size:           56
        .value_kind:     by_value
    .group_segment_fixed_size: 0
    .kernarg_segment_align: 8
    .kernarg_segment_size: 56
    .language:       OpenCL C
    .language_version:
      - 2
      - 0
    .max_flat_workgroup_size: 256
    .name:           _ZN7rocprim17ROCPRIM_400000_NS6detail17trampoline_kernelINS0_14default_configENS1_38merge_sort_block_merge_config_selectorIhNS0_10empty_typeEEEZZNS1_27merge_sort_block_merge_implIS3_N6thrust23THRUST_200600_302600_NS6detail15normal_iteratorINS9_10device_ptrIhEEEEPS5_m14custom_greaterIhEEE10hipError_tT0_T1_T2_jT3_P12ihipStream_tbPNSt15iterator_traitsISJ_E10value_typeEPNSP_ISK_E10value_typeEPSL_NS1_7vsmem_tEENKUlT_SJ_SK_SL_E_clISE_PhSF_SF_EESI_SY_SJ_SK_SL_EUlSY_E1_NS1_11comp_targetILNS1_3genE4ELNS1_11target_archE910ELNS1_3gpuE8ELNS1_3repE0EEENS1_36merge_oddeven_config_static_selectorELNS0_4arch9wavefront6targetE1EEEvSK_
    .private_segment_fixed_size: 0
    .sgpr_count:     24
    .sgpr_spill_count: 0
    .symbol:         _ZN7rocprim17ROCPRIM_400000_NS6detail17trampoline_kernelINS0_14default_configENS1_38merge_sort_block_merge_config_selectorIhNS0_10empty_typeEEEZZNS1_27merge_sort_block_merge_implIS3_N6thrust23THRUST_200600_302600_NS6detail15normal_iteratorINS9_10device_ptrIhEEEEPS5_m14custom_greaterIhEEE10hipError_tT0_T1_T2_jT3_P12ihipStream_tbPNSt15iterator_traitsISJ_E10value_typeEPNSP_ISK_E10value_typeEPSL_NS1_7vsmem_tEENKUlT_SJ_SK_SL_E_clISE_PhSF_SF_EESI_SY_SJ_SK_SL_EUlSY_E1_NS1_11comp_targetILNS1_3genE4ELNS1_11target_archE910ELNS1_3gpuE8ELNS1_3repE0EEENS1_36merge_oddeven_config_static_selectorELNS0_4arch9wavefront6targetE1EEEvSK_.kd
    .uniform_work_group_size: 1
    .uses_dynamic_stack: false
    .vgpr_count:     8
    .vgpr_spill_count: 0
    .wavefront_size: 64
  - .agpr_count:     0
    .args:
      - .offset:         0
        .size:           56
        .value_kind:     by_value
    .group_segment_fixed_size: 0
    .kernarg_segment_align: 8
    .kernarg_segment_size: 56
    .language:       OpenCL C
    .language_version:
      - 2
      - 0
    .max_flat_workgroup_size: 256
    .name:           _ZN7rocprim17ROCPRIM_400000_NS6detail17trampoline_kernelINS0_14default_configENS1_38merge_sort_block_merge_config_selectorIhNS0_10empty_typeEEEZZNS1_27merge_sort_block_merge_implIS3_N6thrust23THRUST_200600_302600_NS6detail15normal_iteratorINS9_10device_ptrIhEEEEPS5_m14custom_greaterIhEEE10hipError_tT0_T1_T2_jT3_P12ihipStream_tbPNSt15iterator_traitsISJ_E10value_typeEPNSP_ISK_E10value_typeEPSL_NS1_7vsmem_tEENKUlT_SJ_SK_SL_E_clISE_PhSF_SF_EESI_SY_SJ_SK_SL_EUlSY_E1_NS1_11comp_targetILNS1_3genE3ELNS1_11target_archE908ELNS1_3gpuE7ELNS1_3repE0EEENS1_36merge_oddeven_config_static_selectorELNS0_4arch9wavefront6targetE1EEEvSK_
    .private_segment_fixed_size: 0
    .sgpr_count:     4
    .sgpr_spill_count: 0
    .symbol:         _ZN7rocprim17ROCPRIM_400000_NS6detail17trampoline_kernelINS0_14default_configENS1_38merge_sort_block_merge_config_selectorIhNS0_10empty_typeEEEZZNS1_27merge_sort_block_merge_implIS3_N6thrust23THRUST_200600_302600_NS6detail15normal_iteratorINS9_10device_ptrIhEEEEPS5_m14custom_greaterIhEEE10hipError_tT0_T1_T2_jT3_P12ihipStream_tbPNSt15iterator_traitsISJ_E10value_typeEPNSP_ISK_E10value_typeEPSL_NS1_7vsmem_tEENKUlT_SJ_SK_SL_E_clISE_PhSF_SF_EESI_SY_SJ_SK_SL_EUlSY_E1_NS1_11comp_targetILNS1_3genE3ELNS1_11target_archE908ELNS1_3gpuE7ELNS1_3repE0EEENS1_36merge_oddeven_config_static_selectorELNS0_4arch9wavefront6targetE1EEEvSK_.kd
    .uniform_work_group_size: 1
    .uses_dynamic_stack: false
    .vgpr_count:     0
    .vgpr_spill_count: 0
    .wavefront_size: 64
  - .agpr_count:     0
    .args:
      - .offset:         0
        .size:           56
        .value_kind:     by_value
    .group_segment_fixed_size: 0
    .kernarg_segment_align: 8
    .kernarg_segment_size: 56
    .language:       OpenCL C
    .language_version:
      - 2
      - 0
    .max_flat_workgroup_size: 256
    .name:           _ZN7rocprim17ROCPRIM_400000_NS6detail17trampoline_kernelINS0_14default_configENS1_38merge_sort_block_merge_config_selectorIhNS0_10empty_typeEEEZZNS1_27merge_sort_block_merge_implIS3_N6thrust23THRUST_200600_302600_NS6detail15normal_iteratorINS9_10device_ptrIhEEEEPS5_m14custom_greaterIhEEE10hipError_tT0_T1_T2_jT3_P12ihipStream_tbPNSt15iterator_traitsISJ_E10value_typeEPNSP_ISK_E10value_typeEPSL_NS1_7vsmem_tEENKUlT_SJ_SK_SL_E_clISE_PhSF_SF_EESI_SY_SJ_SK_SL_EUlSY_E1_NS1_11comp_targetILNS1_3genE2ELNS1_11target_archE906ELNS1_3gpuE6ELNS1_3repE0EEENS1_36merge_oddeven_config_static_selectorELNS0_4arch9wavefront6targetE1EEEvSK_
    .private_segment_fixed_size: 0
    .sgpr_count:     4
    .sgpr_spill_count: 0
    .symbol:         _ZN7rocprim17ROCPRIM_400000_NS6detail17trampoline_kernelINS0_14default_configENS1_38merge_sort_block_merge_config_selectorIhNS0_10empty_typeEEEZZNS1_27merge_sort_block_merge_implIS3_N6thrust23THRUST_200600_302600_NS6detail15normal_iteratorINS9_10device_ptrIhEEEEPS5_m14custom_greaterIhEEE10hipError_tT0_T1_T2_jT3_P12ihipStream_tbPNSt15iterator_traitsISJ_E10value_typeEPNSP_ISK_E10value_typeEPSL_NS1_7vsmem_tEENKUlT_SJ_SK_SL_E_clISE_PhSF_SF_EESI_SY_SJ_SK_SL_EUlSY_E1_NS1_11comp_targetILNS1_3genE2ELNS1_11target_archE906ELNS1_3gpuE6ELNS1_3repE0EEENS1_36merge_oddeven_config_static_selectorELNS0_4arch9wavefront6targetE1EEEvSK_.kd
    .uniform_work_group_size: 1
    .uses_dynamic_stack: false
    .vgpr_count:     0
    .vgpr_spill_count: 0
    .wavefront_size: 64
  - .agpr_count:     0
    .args:
      - .offset:         0
        .size:           56
        .value_kind:     by_value
    .group_segment_fixed_size: 0
    .kernarg_segment_align: 8
    .kernarg_segment_size: 56
    .language:       OpenCL C
    .language_version:
      - 2
      - 0
    .max_flat_workgroup_size: 256
    .name:           _ZN7rocprim17ROCPRIM_400000_NS6detail17trampoline_kernelINS0_14default_configENS1_38merge_sort_block_merge_config_selectorIhNS0_10empty_typeEEEZZNS1_27merge_sort_block_merge_implIS3_N6thrust23THRUST_200600_302600_NS6detail15normal_iteratorINS9_10device_ptrIhEEEEPS5_m14custom_greaterIhEEE10hipError_tT0_T1_T2_jT3_P12ihipStream_tbPNSt15iterator_traitsISJ_E10value_typeEPNSP_ISK_E10value_typeEPSL_NS1_7vsmem_tEENKUlT_SJ_SK_SL_E_clISE_PhSF_SF_EESI_SY_SJ_SK_SL_EUlSY_E1_NS1_11comp_targetILNS1_3genE9ELNS1_11target_archE1100ELNS1_3gpuE3ELNS1_3repE0EEENS1_36merge_oddeven_config_static_selectorELNS0_4arch9wavefront6targetE1EEEvSK_
    .private_segment_fixed_size: 0
    .sgpr_count:     4
    .sgpr_spill_count: 0
    .symbol:         _ZN7rocprim17ROCPRIM_400000_NS6detail17trampoline_kernelINS0_14default_configENS1_38merge_sort_block_merge_config_selectorIhNS0_10empty_typeEEEZZNS1_27merge_sort_block_merge_implIS3_N6thrust23THRUST_200600_302600_NS6detail15normal_iteratorINS9_10device_ptrIhEEEEPS5_m14custom_greaterIhEEE10hipError_tT0_T1_T2_jT3_P12ihipStream_tbPNSt15iterator_traitsISJ_E10value_typeEPNSP_ISK_E10value_typeEPSL_NS1_7vsmem_tEENKUlT_SJ_SK_SL_E_clISE_PhSF_SF_EESI_SY_SJ_SK_SL_EUlSY_E1_NS1_11comp_targetILNS1_3genE9ELNS1_11target_archE1100ELNS1_3gpuE3ELNS1_3repE0EEENS1_36merge_oddeven_config_static_selectorELNS0_4arch9wavefront6targetE1EEEvSK_.kd
    .uniform_work_group_size: 1
    .uses_dynamic_stack: false
    .vgpr_count:     0
    .vgpr_spill_count: 0
    .wavefront_size: 64
  - .agpr_count:     0
    .args:
      - .offset:         0
        .size:           56
        .value_kind:     by_value
    .group_segment_fixed_size: 0
    .kernarg_segment_align: 8
    .kernarg_segment_size: 56
    .language:       OpenCL C
    .language_version:
      - 2
      - 0
    .max_flat_workgroup_size: 256
    .name:           _ZN7rocprim17ROCPRIM_400000_NS6detail17trampoline_kernelINS0_14default_configENS1_38merge_sort_block_merge_config_selectorIhNS0_10empty_typeEEEZZNS1_27merge_sort_block_merge_implIS3_N6thrust23THRUST_200600_302600_NS6detail15normal_iteratorINS9_10device_ptrIhEEEEPS5_m14custom_greaterIhEEE10hipError_tT0_T1_T2_jT3_P12ihipStream_tbPNSt15iterator_traitsISJ_E10value_typeEPNSP_ISK_E10value_typeEPSL_NS1_7vsmem_tEENKUlT_SJ_SK_SL_E_clISE_PhSF_SF_EESI_SY_SJ_SK_SL_EUlSY_E1_NS1_11comp_targetILNS1_3genE8ELNS1_11target_archE1030ELNS1_3gpuE2ELNS1_3repE0EEENS1_36merge_oddeven_config_static_selectorELNS0_4arch9wavefront6targetE1EEEvSK_
    .private_segment_fixed_size: 0
    .sgpr_count:     4
    .sgpr_spill_count: 0
    .symbol:         _ZN7rocprim17ROCPRIM_400000_NS6detail17trampoline_kernelINS0_14default_configENS1_38merge_sort_block_merge_config_selectorIhNS0_10empty_typeEEEZZNS1_27merge_sort_block_merge_implIS3_N6thrust23THRUST_200600_302600_NS6detail15normal_iteratorINS9_10device_ptrIhEEEEPS5_m14custom_greaterIhEEE10hipError_tT0_T1_T2_jT3_P12ihipStream_tbPNSt15iterator_traitsISJ_E10value_typeEPNSP_ISK_E10value_typeEPSL_NS1_7vsmem_tEENKUlT_SJ_SK_SL_E_clISE_PhSF_SF_EESI_SY_SJ_SK_SL_EUlSY_E1_NS1_11comp_targetILNS1_3genE8ELNS1_11target_archE1030ELNS1_3gpuE2ELNS1_3repE0EEENS1_36merge_oddeven_config_static_selectorELNS0_4arch9wavefront6targetE1EEEvSK_.kd
    .uniform_work_group_size: 1
    .uses_dynamic_stack: false
    .vgpr_count:     0
    .vgpr_spill_count: 0
    .wavefront_size: 64
  - .agpr_count:     0
    .args:
      - .offset:         0
        .size:           40
        .value_kind:     by_value
    .group_segment_fixed_size: 0
    .kernarg_segment_align: 8
    .kernarg_segment_size: 40
    .language:       OpenCL C
    .language_version:
      - 2
      - 0
    .max_flat_workgroup_size: 128
    .name:           _ZN7rocprim17ROCPRIM_400000_NS6detail17trampoline_kernelINS0_14default_configENS1_25transform_config_selectorIhLb0EEEZNS1_14transform_implILb0ES3_S5_PhN6thrust23THRUST_200600_302600_NS6detail15normal_iteratorINS9_10device_ptrIhEEEENS0_8identityIhEEEE10hipError_tT2_T3_mT4_P12ihipStream_tbEUlT_E_NS1_11comp_targetILNS1_3genE0ELNS1_11target_archE4294967295ELNS1_3gpuE0ELNS1_3repE0EEENS1_30default_config_static_selectorELNS0_4arch9wavefront6targetE1EEEvT1_
    .private_segment_fixed_size: 0
    .sgpr_count:     4
    .sgpr_spill_count: 0
    .symbol:         _ZN7rocprim17ROCPRIM_400000_NS6detail17trampoline_kernelINS0_14default_configENS1_25transform_config_selectorIhLb0EEEZNS1_14transform_implILb0ES3_S5_PhN6thrust23THRUST_200600_302600_NS6detail15normal_iteratorINS9_10device_ptrIhEEEENS0_8identityIhEEEE10hipError_tT2_T3_mT4_P12ihipStream_tbEUlT_E_NS1_11comp_targetILNS1_3genE0ELNS1_11target_archE4294967295ELNS1_3gpuE0ELNS1_3repE0EEENS1_30default_config_static_selectorELNS0_4arch9wavefront6targetE1EEEvT1_.kd
    .uniform_work_group_size: 1
    .uses_dynamic_stack: false
    .vgpr_count:     0
    .vgpr_spill_count: 0
    .wavefront_size: 64
  - .agpr_count:     0
    .args:
      - .offset:         0
        .size:           40
        .value_kind:     by_value
    .group_segment_fixed_size: 0
    .kernarg_segment_align: 8
    .kernarg_segment_size: 40
    .language:       OpenCL C
    .language_version:
      - 2
      - 0
    .max_flat_workgroup_size: 1024
    .name:           _ZN7rocprim17ROCPRIM_400000_NS6detail17trampoline_kernelINS0_14default_configENS1_25transform_config_selectorIhLb0EEEZNS1_14transform_implILb0ES3_S5_PhN6thrust23THRUST_200600_302600_NS6detail15normal_iteratorINS9_10device_ptrIhEEEENS0_8identityIhEEEE10hipError_tT2_T3_mT4_P12ihipStream_tbEUlT_E_NS1_11comp_targetILNS1_3genE5ELNS1_11target_archE942ELNS1_3gpuE9ELNS1_3repE0EEENS1_30default_config_static_selectorELNS0_4arch9wavefront6targetE1EEEvT1_
    .private_segment_fixed_size: 0
    .sgpr_count:     4
    .sgpr_spill_count: 0
    .symbol:         _ZN7rocprim17ROCPRIM_400000_NS6detail17trampoline_kernelINS0_14default_configENS1_25transform_config_selectorIhLb0EEEZNS1_14transform_implILb0ES3_S5_PhN6thrust23THRUST_200600_302600_NS6detail15normal_iteratorINS9_10device_ptrIhEEEENS0_8identityIhEEEE10hipError_tT2_T3_mT4_P12ihipStream_tbEUlT_E_NS1_11comp_targetILNS1_3genE5ELNS1_11target_archE942ELNS1_3gpuE9ELNS1_3repE0EEENS1_30default_config_static_selectorELNS0_4arch9wavefront6targetE1EEEvT1_.kd
    .uniform_work_group_size: 1
    .uses_dynamic_stack: false
    .vgpr_count:     0
    .vgpr_spill_count: 0
    .wavefront_size: 64
  - .agpr_count:     0
    .args:
      - .offset:         0
        .size:           40
        .value_kind:     by_value
      - .offset:         40
        .size:           4
        .value_kind:     hidden_block_count_x
      - .offset:         44
        .size:           4
        .value_kind:     hidden_block_count_y
      - .offset:         48
        .size:           4
        .value_kind:     hidden_block_count_z
      - .offset:         52
        .size:           2
        .value_kind:     hidden_group_size_x
      - .offset:         54
        .size:           2
        .value_kind:     hidden_group_size_y
      - .offset:         56
        .size:           2
        .value_kind:     hidden_group_size_z
      - .offset:         58
        .size:           2
        .value_kind:     hidden_remainder_x
      - .offset:         60
        .size:           2
        .value_kind:     hidden_remainder_y
      - .offset:         62
        .size:           2
        .value_kind:     hidden_remainder_z
      - .offset:         80
        .size:           8
        .value_kind:     hidden_global_offset_x
      - .offset:         88
        .size:           8
        .value_kind:     hidden_global_offset_y
      - .offset:         96
        .size:           8
        .value_kind:     hidden_global_offset_z
      - .offset:         104
        .size:           2
        .value_kind:     hidden_grid_dims
    .group_segment_fixed_size: 0
    .kernarg_segment_align: 8
    .kernarg_segment_size: 296
    .language:       OpenCL C
    .language_version:
      - 2
      - 0
    .max_flat_workgroup_size: 64
    .name:           _ZN7rocprim17ROCPRIM_400000_NS6detail17trampoline_kernelINS0_14default_configENS1_25transform_config_selectorIhLb0EEEZNS1_14transform_implILb0ES3_S5_PhN6thrust23THRUST_200600_302600_NS6detail15normal_iteratorINS9_10device_ptrIhEEEENS0_8identityIhEEEE10hipError_tT2_T3_mT4_P12ihipStream_tbEUlT_E_NS1_11comp_targetILNS1_3genE4ELNS1_11target_archE910ELNS1_3gpuE8ELNS1_3repE0EEENS1_30default_config_static_selectorELNS0_4arch9wavefront6targetE1EEEvT1_
    .private_segment_fixed_size: 0
    .sgpr_count:     46
    .sgpr_spill_count: 0
    .symbol:         _ZN7rocprim17ROCPRIM_400000_NS6detail17trampoline_kernelINS0_14default_configENS1_25transform_config_selectorIhLb0EEEZNS1_14transform_implILb0ES3_S5_PhN6thrust23THRUST_200600_302600_NS6detail15normal_iteratorINS9_10device_ptrIhEEEENS0_8identityIhEEEE10hipError_tT2_T3_mT4_P12ihipStream_tbEUlT_E_NS1_11comp_targetILNS1_3genE4ELNS1_11target_archE910ELNS1_3gpuE8ELNS1_3repE0EEENS1_30default_config_static_selectorELNS0_4arch9wavefront6targetE1EEEvT1_.kd
    .uniform_work_group_size: 1
    .uses_dynamic_stack: false
    .vgpr_count:     19
    .vgpr_spill_count: 0
    .wavefront_size: 64
  - .agpr_count:     0
    .args:
      - .offset:         0
        .size:           40
        .value_kind:     by_value
    .group_segment_fixed_size: 0
    .kernarg_segment_align: 8
    .kernarg_segment_size: 40
    .language:       OpenCL C
    .language_version:
      - 2
      - 0
    .max_flat_workgroup_size: 128
    .name:           _ZN7rocprim17ROCPRIM_400000_NS6detail17trampoline_kernelINS0_14default_configENS1_25transform_config_selectorIhLb0EEEZNS1_14transform_implILb0ES3_S5_PhN6thrust23THRUST_200600_302600_NS6detail15normal_iteratorINS9_10device_ptrIhEEEENS0_8identityIhEEEE10hipError_tT2_T3_mT4_P12ihipStream_tbEUlT_E_NS1_11comp_targetILNS1_3genE3ELNS1_11target_archE908ELNS1_3gpuE7ELNS1_3repE0EEENS1_30default_config_static_selectorELNS0_4arch9wavefront6targetE1EEEvT1_
    .private_segment_fixed_size: 0
    .sgpr_count:     4
    .sgpr_spill_count: 0
    .symbol:         _ZN7rocprim17ROCPRIM_400000_NS6detail17trampoline_kernelINS0_14default_configENS1_25transform_config_selectorIhLb0EEEZNS1_14transform_implILb0ES3_S5_PhN6thrust23THRUST_200600_302600_NS6detail15normal_iteratorINS9_10device_ptrIhEEEENS0_8identityIhEEEE10hipError_tT2_T3_mT4_P12ihipStream_tbEUlT_E_NS1_11comp_targetILNS1_3genE3ELNS1_11target_archE908ELNS1_3gpuE7ELNS1_3repE0EEENS1_30default_config_static_selectorELNS0_4arch9wavefront6targetE1EEEvT1_.kd
    .uniform_work_group_size: 1
    .uses_dynamic_stack: false
    .vgpr_count:     0
    .vgpr_spill_count: 0
    .wavefront_size: 64
  - .agpr_count:     0
    .args:
      - .offset:         0
        .size:           40
        .value_kind:     by_value
    .group_segment_fixed_size: 0
    .kernarg_segment_align: 8
    .kernarg_segment_size: 40
    .language:       OpenCL C
    .language_version:
      - 2
      - 0
    .max_flat_workgroup_size: 64
    .name:           _ZN7rocprim17ROCPRIM_400000_NS6detail17trampoline_kernelINS0_14default_configENS1_25transform_config_selectorIhLb0EEEZNS1_14transform_implILb0ES3_S5_PhN6thrust23THRUST_200600_302600_NS6detail15normal_iteratorINS9_10device_ptrIhEEEENS0_8identityIhEEEE10hipError_tT2_T3_mT4_P12ihipStream_tbEUlT_E_NS1_11comp_targetILNS1_3genE2ELNS1_11target_archE906ELNS1_3gpuE6ELNS1_3repE0EEENS1_30default_config_static_selectorELNS0_4arch9wavefront6targetE1EEEvT1_
    .private_segment_fixed_size: 0
    .sgpr_count:     4
    .sgpr_spill_count: 0
    .symbol:         _ZN7rocprim17ROCPRIM_400000_NS6detail17trampoline_kernelINS0_14default_configENS1_25transform_config_selectorIhLb0EEEZNS1_14transform_implILb0ES3_S5_PhN6thrust23THRUST_200600_302600_NS6detail15normal_iteratorINS9_10device_ptrIhEEEENS0_8identityIhEEEE10hipError_tT2_T3_mT4_P12ihipStream_tbEUlT_E_NS1_11comp_targetILNS1_3genE2ELNS1_11target_archE906ELNS1_3gpuE6ELNS1_3repE0EEENS1_30default_config_static_selectorELNS0_4arch9wavefront6targetE1EEEvT1_.kd
    .uniform_work_group_size: 1
    .uses_dynamic_stack: false
    .vgpr_count:     0
    .vgpr_spill_count: 0
    .wavefront_size: 64
  - .agpr_count:     0
    .args:
      - .offset:         0
        .size:           40
        .value_kind:     by_value
    .group_segment_fixed_size: 0
    .kernarg_segment_align: 8
    .kernarg_segment_size: 40
    .language:       OpenCL C
    .language_version:
      - 2
      - 0
    .max_flat_workgroup_size: 256
    .name:           _ZN7rocprim17ROCPRIM_400000_NS6detail17trampoline_kernelINS0_14default_configENS1_25transform_config_selectorIhLb0EEEZNS1_14transform_implILb0ES3_S5_PhN6thrust23THRUST_200600_302600_NS6detail15normal_iteratorINS9_10device_ptrIhEEEENS0_8identityIhEEEE10hipError_tT2_T3_mT4_P12ihipStream_tbEUlT_E_NS1_11comp_targetILNS1_3genE10ELNS1_11target_archE1201ELNS1_3gpuE5ELNS1_3repE0EEENS1_30default_config_static_selectorELNS0_4arch9wavefront6targetE1EEEvT1_
    .private_segment_fixed_size: 0
    .sgpr_count:     4
    .sgpr_spill_count: 0
    .symbol:         _ZN7rocprim17ROCPRIM_400000_NS6detail17trampoline_kernelINS0_14default_configENS1_25transform_config_selectorIhLb0EEEZNS1_14transform_implILb0ES3_S5_PhN6thrust23THRUST_200600_302600_NS6detail15normal_iteratorINS9_10device_ptrIhEEEENS0_8identityIhEEEE10hipError_tT2_T3_mT4_P12ihipStream_tbEUlT_E_NS1_11comp_targetILNS1_3genE10ELNS1_11target_archE1201ELNS1_3gpuE5ELNS1_3repE0EEENS1_30default_config_static_selectorELNS0_4arch9wavefront6targetE1EEEvT1_.kd
    .uniform_work_group_size: 1
    .uses_dynamic_stack: false
    .vgpr_count:     0
    .vgpr_spill_count: 0
    .wavefront_size: 64
  - .agpr_count:     0
    .args:
      - .offset:         0
        .size:           40
        .value_kind:     by_value
    .group_segment_fixed_size: 0
    .kernarg_segment_align: 8
    .kernarg_segment_size: 40
    .language:       OpenCL C
    .language_version:
      - 2
      - 0
    .max_flat_workgroup_size: 256
    .name:           _ZN7rocprim17ROCPRIM_400000_NS6detail17trampoline_kernelINS0_14default_configENS1_25transform_config_selectorIhLb0EEEZNS1_14transform_implILb0ES3_S5_PhN6thrust23THRUST_200600_302600_NS6detail15normal_iteratorINS9_10device_ptrIhEEEENS0_8identityIhEEEE10hipError_tT2_T3_mT4_P12ihipStream_tbEUlT_E_NS1_11comp_targetILNS1_3genE10ELNS1_11target_archE1200ELNS1_3gpuE4ELNS1_3repE0EEENS1_30default_config_static_selectorELNS0_4arch9wavefront6targetE1EEEvT1_
    .private_segment_fixed_size: 0
    .sgpr_count:     4
    .sgpr_spill_count: 0
    .symbol:         _ZN7rocprim17ROCPRIM_400000_NS6detail17trampoline_kernelINS0_14default_configENS1_25transform_config_selectorIhLb0EEEZNS1_14transform_implILb0ES3_S5_PhN6thrust23THRUST_200600_302600_NS6detail15normal_iteratorINS9_10device_ptrIhEEEENS0_8identityIhEEEE10hipError_tT2_T3_mT4_P12ihipStream_tbEUlT_E_NS1_11comp_targetILNS1_3genE10ELNS1_11target_archE1200ELNS1_3gpuE4ELNS1_3repE0EEENS1_30default_config_static_selectorELNS0_4arch9wavefront6targetE1EEEvT1_.kd
    .uniform_work_group_size: 1
    .uses_dynamic_stack: false
    .vgpr_count:     0
    .vgpr_spill_count: 0
    .wavefront_size: 64
  - .agpr_count:     0
    .args:
      - .offset:         0
        .size:           40
        .value_kind:     by_value
    .group_segment_fixed_size: 0
    .kernarg_segment_align: 8
    .kernarg_segment_size: 40
    .language:       OpenCL C
    .language_version:
      - 2
      - 0
    .max_flat_workgroup_size: 1024
    .name:           _ZN7rocprim17ROCPRIM_400000_NS6detail17trampoline_kernelINS0_14default_configENS1_25transform_config_selectorIhLb0EEEZNS1_14transform_implILb0ES3_S5_PhN6thrust23THRUST_200600_302600_NS6detail15normal_iteratorINS9_10device_ptrIhEEEENS0_8identityIhEEEE10hipError_tT2_T3_mT4_P12ihipStream_tbEUlT_E_NS1_11comp_targetILNS1_3genE9ELNS1_11target_archE1100ELNS1_3gpuE3ELNS1_3repE0EEENS1_30default_config_static_selectorELNS0_4arch9wavefront6targetE1EEEvT1_
    .private_segment_fixed_size: 0
    .sgpr_count:     4
    .sgpr_spill_count: 0
    .symbol:         _ZN7rocprim17ROCPRIM_400000_NS6detail17trampoline_kernelINS0_14default_configENS1_25transform_config_selectorIhLb0EEEZNS1_14transform_implILb0ES3_S5_PhN6thrust23THRUST_200600_302600_NS6detail15normal_iteratorINS9_10device_ptrIhEEEENS0_8identityIhEEEE10hipError_tT2_T3_mT4_P12ihipStream_tbEUlT_E_NS1_11comp_targetILNS1_3genE9ELNS1_11target_archE1100ELNS1_3gpuE3ELNS1_3repE0EEENS1_30default_config_static_selectorELNS0_4arch9wavefront6targetE1EEEvT1_.kd
    .uniform_work_group_size: 1
    .uses_dynamic_stack: false
    .vgpr_count:     0
    .vgpr_spill_count: 0
    .wavefront_size: 64
  - .agpr_count:     0
    .args:
      - .offset:         0
        .size:           40
        .value_kind:     by_value
    .group_segment_fixed_size: 0
    .kernarg_segment_align: 8
    .kernarg_segment_size: 40
    .language:       OpenCL C
    .language_version:
      - 2
      - 0
    .max_flat_workgroup_size: 128
    .name:           _ZN7rocprim17ROCPRIM_400000_NS6detail17trampoline_kernelINS0_14default_configENS1_25transform_config_selectorIhLb0EEEZNS1_14transform_implILb0ES3_S5_PhN6thrust23THRUST_200600_302600_NS6detail15normal_iteratorINS9_10device_ptrIhEEEENS0_8identityIhEEEE10hipError_tT2_T3_mT4_P12ihipStream_tbEUlT_E_NS1_11comp_targetILNS1_3genE8ELNS1_11target_archE1030ELNS1_3gpuE2ELNS1_3repE0EEENS1_30default_config_static_selectorELNS0_4arch9wavefront6targetE1EEEvT1_
    .private_segment_fixed_size: 0
    .sgpr_count:     4
    .sgpr_spill_count: 0
    .symbol:         _ZN7rocprim17ROCPRIM_400000_NS6detail17trampoline_kernelINS0_14default_configENS1_25transform_config_selectorIhLb0EEEZNS1_14transform_implILb0ES3_S5_PhN6thrust23THRUST_200600_302600_NS6detail15normal_iteratorINS9_10device_ptrIhEEEENS0_8identityIhEEEE10hipError_tT2_T3_mT4_P12ihipStream_tbEUlT_E_NS1_11comp_targetILNS1_3genE8ELNS1_11target_archE1030ELNS1_3gpuE2ELNS1_3repE0EEENS1_30default_config_static_selectorELNS0_4arch9wavefront6targetE1EEEvT1_.kd
    .uniform_work_group_size: 1
    .uses_dynamic_stack: false
    .vgpr_count:     0
    .vgpr_spill_count: 0
    .wavefront_size: 64
  - .agpr_count:     0
    .args:           []
    .group_segment_fixed_size: 0
    .kernarg_segment_align: 4
    .kernarg_segment_size: 0
    .language:       OpenCL C
    .language_version:
      - 2
      - 0
    .max_flat_workgroup_size: 1024
    .name:           _ZN7rocprim17ROCPRIM_400000_NS6detail44device_merge_sort_compile_time_verifier_archINS1_11comp_targetILNS1_3genE0ELNS1_11target_archE4294967295ELNS1_3gpuE0ELNS1_3repE0EEES8_NS0_14default_configES9_NS1_37merge_sort_block_sort_config_selectorIsNS0_10empty_typeEEENS1_38merge_sort_block_merge_config_selectorIsSB_EEEEvv
    .private_segment_fixed_size: 0
    .sgpr_count:     4
    .sgpr_spill_count: 0
    .symbol:         _ZN7rocprim17ROCPRIM_400000_NS6detail44device_merge_sort_compile_time_verifier_archINS1_11comp_targetILNS1_3genE0ELNS1_11target_archE4294967295ELNS1_3gpuE0ELNS1_3repE0EEES8_NS0_14default_configES9_NS1_37merge_sort_block_sort_config_selectorIsNS0_10empty_typeEEENS1_38merge_sort_block_merge_config_selectorIsSB_EEEEvv.kd
    .uniform_work_group_size: 1
    .uses_dynamic_stack: false
    .vgpr_count:     0
    .vgpr_spill_count: 0
    .wavefront_size: 64
  - .agpr_count:     0
    .args:           []
    .group_segment_fixed_size: 0
    .kernarg_segment_align: 4
    .kernarg_segment_size: 0
    .language:       OpenCL C
    .language_version:
      - 2
      - 0
    .max_flat_workgroup_size: 1024
    .name:           _ZN7rocprim17ROCPRIM_400000_NS6detail44device_merge_sort_compile_time_verifier_archINS1_11comp_targetILNS1_3genE5ELNS1_11target_archE942ELNS1_3gpuE9ELNS1_3repE0EEES8_NS0_14default_configES9_NS1_37merge_sort_block_sort_config_selectorIsNS0_10empty_typeEEENS1_38merge_sort_block_merge_config_selectorIsSB_EEEEvv
    .private_segment_fixed_size: 0
    .sgpr_count:     4
    .sgpr_spill_count: 0
    .symbol:         _ZN7rocprim17ROCPRIM_400000_NS6detail44device_merge_sort_compile_time_verifier_archINS1_11comp_targetILNS1_3genE5ELNS1_11target_archE942ELNS1_3gpuE9ELNS1_3repE0EEES8_NS0_14default_configES9_NS1_37merge_sort_block_sort_config_selectorIsNS0_10empty_typeEEENS1_38merge_sort_block_merge_config_selectorIsSB_EEEEvv.kd
    .uniform_work_group_size: 1
    .uses_dynamic_stack: false
    .vgpr_count:     0
    .vgpr_spill_count: 0
    .wavefront_size: 64
  - .agpr_count:     0
    .args:           []
    .group_segment_fixed_size: 0
    .kernarg_segment_align: 4
    .kernarg_segment_size: 0
    .language:       OpenCL C
    .language_version:
      - 2
      - 0
    .max_flat_workgroup_size: 1024
    .name:           _ZN7rocprim17ROCPRIM_400000_NS6detail44device_merge_sort_compile_time_verifier_archINS1_11comp_targetILNS1_3genE4ELNS1_11target_archE910ELNS1_3gpuE8ELNS1_3repE0EEES8_NS0_14default_configES9_NS1_37merge_sort_block_sort_config_selectorIsNS0_10empty_typeEEENS1_38merge_sort_block_merge_config_selectorIsSB_EEEEvv
    .private_segment_fixed_size: 0
    .sgpr_count:     4
    .sgpr_spill_count: 0
    .symbol:         _ZN7rocprim17ROCPRIM_400000_NS6detail44device_merge_sort_compile_time_verifier_archINS1_11comp_targetILNS1_3genE4ELNS1_11target_archE910ELNS1_3gpuE8ELNS1_3repE0EEES8_NS0_14default_configES9_NS1_37merge_sort_block_sort_config_selectorIsNS0_10empty_typeEEENS1_38merge_sort_block_merge_config_selectorIsSB_EEEEvv.kd
    .uniform_work_group_size: 1
    .uses_dynamic_stack: false
    .vgpr_count:     0
    .vgpr_spill_count: 0
    .wavefront_size: 64
  - .agpr_count:     0
    .args:           []
    .group_segment_fixed_size: 0
    .kernarg_segment_align: 4
    .kernarg_segment_size: 0
    .language:       OpenCL C
    .language_version:
      - 2
      - 0
    .max_flat_workgroup_size: 1024
    .name:           _ZN7rocprim17ROCPRIM_400000_NS6detail44device_merge_sort_compile_time_verifier_archINS1_11comp_targetILNS1_3genE3ELNS1_11target_archE908ELNS1_3gpuE7ELNS1_3repE0EEES8_NS0_14default_configES9_NS1_37merge_sort_block_sort_config_selectorIsNS0_10empty_typeEEENS1_38merge_sort_block_merge_config_selectorIsSB_EEEEvv
    .private_segment_fixed_size: 0
    .sgpr_count:     4
    .sgpr_spill_count: 0
    .symbol:         _ZN7rocprim17ROCPRIM_400000_NS6detail44device_merge_sort_compile_time_verifier_archINS1_11comp_targetILNS1_3genE3ELNS1_11target_archE908ELNS1_3gpuE7ELNS1_3repE0EEES8_NS0_14default_configES9_NS1_37merge_sort_block_sort_config_selectorIsNS0_10empty_typeEEENS1_38merge_sort_block_merge_config_selectorIsSB_EEEEvv.kd
    .uniform_work_group_size: 1
    .uses_dynamic_stack: false
    .vgpr_count:     0
    .vgpr_spill_count: 0
    .wavefront_size: 64
  - .agpr_count:     0
    .args:           []
    .group_segment_fixed_size: 0
    .kernarg_segment_align: 4
    .kernarg_segment_size: 0
    .language:       OpenCL C
    .language_version:
      - 2
      - 0
    .max_flat_workgroup_size: 1024
    .name:           _ZN7rocprim17ROCPRIM_400000_NS6detail44device_merge_sort_compile_time_verifier_archINS1_11comp_targetILNS1_3genE2ELNS1_11target_archE906ELNS1_3gpuE6ELNS1_3repE0EEES8_NS0_14default_configES9_NS1_37merge_sort_block_sort_config_selectorIsNS0_10empty_typeEEENS1_38merge_sort_block_merge_config_selectorIsSB_EEEEvv
    .private_segment_fixed_size: 0
    .sgpr_count:     4
    .sgpr_spill_count: 0
    .symbol:         _ZN7rocprim17ROCPRIM_400000_NS6detail44device_merge_sort_compile_time_verifier_archINS1_11comp_targetILNS1_3genE2ELNS1_11target_archE906ELNS1_3gpuE6ELNS1_3repE0EEES8_NS0_14default_configES9_NS1_37merge_sort_block_sort_config_selectorIsNS0_10empty_typeEEENS1_38merge_sort_block_merge_config_selectorIsSB_EEEEvv.kd
    .uniform_work_group_size: 1
    .uses_dynamic_stack: false
    .vgpr_count:     0
    .vgpr_spill_count: 0
    .wavefront_size: 64
  - .agpr_count:     0
    .args:           []
    .group_segment_fixed_size: 0
    .kernarg_segment_align: 4
    .kernarg_segment_size: 0
    .language:       OpenCL C
    .language_version:
      - 2
      - 0
    .max_flat_workgroup_size: 1024
    .name:           _ZN7rocprim17ROCPRIM_400000_NS6detail44device_merge_sort_compile_time_verifier_archINS1_11comp_targetILNS1_3genE10ELNS1_11target_archE1201ELNS1_3gpuE5ELNS1_3repE0EEES8_NS0_14default_configES9_NS1_37merge_sort_block_sort_config_selectorIsNS0_10empty_typeEEENS1_38merge_sort_block_merge_config_selectorIsSB_EEEEvv
    .private_segment_fixed_size: 0
    .sgpr_count:     4
    .sgpr_spill_count: 0
    .symbol:         _ZN7rocprim17ROCPRIM_400000_NS6detail44device_merge_sort_compile_time_verifier_archINS1_11comp_targetILNS1_3genE10ELNS1_11target_archE1201ELNS1_3gpuE5ELNS1_3repE0EEES8_NS0_14default_configES9_NS1_37merge_sort_block_sort_config_selectorIsNS0_10empty_typeEEENS1_38merge_sort_block_merge_config_selectorIsSB_EEEEvv.kd
    .uniform_work_group_size: 1
    .uses_dynamic_stack: false
    .vgpr_count:     0
    .vgpr_spill_count: 0
    .wavefront_size: 64
  - .agpr_count:     0
    .args:           []
    .group_segment_fixed_size: 0
    .kernarg_segment_align: 4
    .kernarg_segment_size: 0
    .language:       OpenCL C
    .language_version:
      - 2
      - 0
    .max_flat_workgroup_size: 1024
    .name:           _ZN7rocprim17ROCPRIM_400000_NS6detail44device_merge_sort_compile_time_verifier_archINS1_11comp_targetILNS1_3genE10ELNS1_11target_archE1200ELNS1_3gpuE4ELNS1_3repE0EEENS3_ILS4_10ELS5_1201ELS6_5ELS7_0EEENS0_14default_configESA_NS1_37merge_sort_block_sort_config_selectorIsNS0_10empty_typeEEENS1_38merge_sort_block_merge_config_selectorIsSC_EEEEvv
    .private_segment_fixed_size: 0
    .sgpr_count:     4
    .sgpr_spill_count: 0
    .symbol:         _ZN7rocprim17ROCPRIM_400000_NS6detail44device_merge_sort_compile_time_verifier_archINS1_11comp_targetILNS1_3genE10ELNS1_11target_archE1200ELNS1_3gpuE4ELNS1_3repE0EEENS3_ILS4_10ELS5_1201ELS6_5ELS7_0EEENS0_14default_configESA_NS1_37merge_sort_block_sort_config_selectorIsNS0_10empty_typeEEENS1_38merge_sort_block_merge_config_selectorIsSC_EEEEvv.kd
    .uniform_work_group_size: 1
    .uses_dynamic_stack: false
    .vgpr_count:     0
    .vgpr_spill_count: 0
    .wavefront_size: 64
  - .agpr_count:     0
    .args:           []
    .group_segment_fixed_size: 0
    .kernarg_segment_align: 4
    .kernarg_segment_size: 0
    .language:       OpenCL C
    .language_version:
      - 2
      - 0
    .max_flat_workgroup_size: 1024
    .name:           _ZN7rocprim17ROCPRIM_400000_NS6detail44device_merge_sort_compile_time_verifier_archINS1_11comp_targetILNS1_3genE9ELNS1_11target_archE1100ELNS1_3gpuE3ELNS1_3repE0EEES8_NS0_14default_configES9_NS1_37merge_sort_block_sort_config_selectorIsNS0_10empty_typeEEENS1_38merge_sort_block_merge_config_selectorIsSB_EEEEvv
    .private_segment_fixed_size: 0
    .sgpr_count:     4
    .sgpr_spill_count: 0
    .symbol:         _ZN7rocprim17ROCPRIM_400000_NS6detail44device_merge_sort_compile_time_verifier_archINS1_11comp_targetILNS1_3genE9ELNS1_11target_archE1100ELNS1_3gpuE3ELNS1_3repE0EEES8_NS0_14default_configES9_NS1_37merge_sort_block_sort_config_selectorIsNS0_10empty_typeEEENS1_38merge_sort_block_merge_config_selectorIsSB_EEEEvv.kd
    .uniform_work_group_size: 1
    .uses_dynamic_stack: false
    .vgpr_count:     0
    .vgpr_spill_count: 0
    .wavefront_size: 64
  - .agpr_count:     0
    .args:           []
    .group_segment_fixed_size: 0
    .kernarg_segment_align: 4
    .kernarg_segment_size: 0
    .language:       OpenCL C
    .language_version:
      - 2
      - 0
    .max_flat_workgroup_size: 1024
    .name:           _ZN7rocprim17ROCPRIM_400000_NS6detail44device_merge_sort_compile_time_verifier_archINS1_11comp_targetILNS1_3genE8ELNS1_11target_archE1030ELNS1_3gpuE2ELNS1_3repE0EEES8_NS0_14default_configES9_NS1_37merge_sort_block_sort_config_selectorIsNS0_10empty_typeEEENS1_38merge_sort_block_merge_config_selectorIsSB_EEEEvv
    .private_segment_fixed_size: 0
    .sgpr_count:     4
    .sgpr_spill_count: 0
    .symbol:         _ZN7rocprim17ROCPRIM_400000_NS6detail44device_merge_sort_compile_time_verifier_archINS1_11comp_targetILNS1_3genE8ELNS1_11target_archE1030ELNS1_3gpuE2ELNS1_3repE0EEES8_NS0_14default_configES9_NS1_37merge_sort_block_sort_config_selectorIsNS0_10empty_typeEEENS1_38merge_sort_block_merge_config_selectorIsSB_EEEEvv.kd
    .uniform_work_group_size: 1
    .uses_dynamic_stack: false
    .vgpr_count:     0
    .vgpr_spill_count: 0
    .wavefront_size: 64
  - .agpr_count:     0
    .args:
      - .offset:         0
        .size:           64
        .value_kind:     by_value
    .group_segment_fixed_size: 0
    .kernarg_segment_align: 8
    .kernarg_segment_size: 64
    .language:       OpenCL C
    .language_version:
      - 2
      - 0
    .max_flat_workgroup_size: 256
    .name:           _ZN7rocprim17ROCPRIM_400000_NS6detail17trampoline_kernelINS0_14default_configENS1_37merge_sort_block_sort_config_selectorIsNS0_10empty_typeEEEZNS1_21merge_sort_block_sortIS3_N6thrust23THRUST_200600_302600_NS6detail15normal_iteratorINS9_10device_ptrIsEEEESE_PS5_SF_14custom_greaterIsEEE10hipError_tT0_T1_T2_T3_mRjT4_P12ihipStream_tbNS1_7vsmem_tEEUlT_E_NS1_11comp_targetILNS1_3genE0ELNS1_11target_archE4294967295ELNS1_3gpuE0ELNS1_3repE0EEENS1_30default_config_static_selectorELNS0_4arch9wavefront6targetE1EEEvSK_
    .private_segment_fixed_size: 0
    .sgpr_count:     4
    .sgpr_spill_count: 0
    .symbol:         _ZN7rocprim17ROCPRIM_400000_NS6detail17trampoline_kernelINS0_14default_configENS1_37merge_sort_block_sort_config_selectorIsNS0_10empty_typeEEEZNS1_21merge_sort_block_sortIS3_N6thrust23THRUST_200600_302600_NS6detail15normal_iteratorINS9_10device_ptrIsEEEESE_PS5_SF_14custom_greaterIsEEE10hipError_tT0_T1_T2_T3_mRjT4_P12ihipStream_tbNS1_7vsmem_tEEUlT_E_NS1_11comp_targetILNS1_3genE0ELNS1_11target_archE4294967295ELNS1_3gpuE0ELNS1_3repE0EEENS1_30default_config_static_selectorELNS0_4arch9wavefront6targetE1EEEvSK_.kd
    .uniform_work_group_size: 1
    .uses_dynamic_stack: false
    .vgpr_count:     0
    .vgpr_spill_count: 0
    .wavefront_size: 64
  - .agpr_count:     0
    .args:
      - .offset:         0
        .size:           64
        .value_kind:     by_value
    .group_segment_fixed_size: 0
    .kernarg_segment_align: 8
    .kernarg_segment_size: 64
    .language:       OpenCL C
    .language_version:
      - 2
      - 0
    .max_flat_workgroup_size: 256
    .name:           _ZN7rocprim17ROCPRIM_400000_NS6detail17trampoline_kernelINS0_14default_configENS1_37merge_sort_block_sort_config_selectorIsNS0_10empty_typeEEEZNS1_21merge_sort_block_sortIS3_N6thrust23THRUST_200600_302600_NS6detail15normal_iteratorINS9_10device_ptrIsEEEESE_PS5_SF_14custom_greaterIsEEE10hipError_tT0_T1_T2_T3_mRjT4_P12ihipStream_tbNS1_7vsmem_tEEUlT_E_NS1_11comp_targetILNS1_3genE5ELNS1_11target_archE942ELNS1_3gpuE9ELNS1_3repE0EEENS1_30default_config_static_selectorELNS0_4arch9wavefront6targetE1EEEvSK_
    .private_segment_fixed_size: 0
    .sgpr_count:     4
    .sgpr_spill_count: 0
    .symbol:         _ZN7rocprim17ROCPRIM_400000_NS6detail17trampoline_kernelINS0_14default_configENS1_37merge_sort_block_sort_config_selectorIsNS0_10empty_typeEEEZNS1_21merge_sort_block_sortIS3_N6thrust23THRUST_200600_302600_NS6detail15normal_iteratorINS9_10device_ptrIsEEEESE_PS5_SF_14custom_greaterIsEEE10hipError_tT0_T1_T2_T3_mRjT4_P12ihipStream_tbNS1_7vsmem_tEEUlT_E_NS1_11comp_targetILNS1_3genE5ELNS1_11target_archE942ELNS1_3gpuE9ELNS1_3repE0EEENS1_30default_config_static_selectorELNS0_4arch9wavefront6targetE1EEEvSK_.kd
    .uniform_work_group_size: 1
    .uses_dynamic_stack: false
    .vgpr_count:     0
    .vgpr_spill_count: 0
    .wavefront_size: 64
  - .agpr_count:     0
    .args:
      - .offset:         0
        .size:           64
        .value_kind:     by_value
      - .offset:         64
        .size:           4
        .value_kind:     hidden_block_count_x
      - .offset:         68
        .size:           4
        .value_kind:     hidden_block_count_y
      - .offset:         72
        .size:           4
        .value_kind:     hidden_block_count_z
      - .offset:         76
        .size:           2
        .value_kind:     hidden_group_size_x
      - .offset:         78
        .size:           2
        .value_kind:     hidden_group_size_y
      - .offset:         80
        .size:           2
        .value_kind:     hidden_group_size_z
      - .offset:         82
        .size:           2
        .value_kind:     hidden_remainder_x
      - .offset:         84
        .size:           2
        .value_kind:     hidden_remainder_y
      - .offset:         86
        .size:           2
        .value_kind:     hidden_remainder_z
      - .offset:         104
        .size:           8
        .value_kind:     hidden_global_offset_x
      - .offset:         112
        .size:           8
        .value_kind:     hidden_global_offset_y
      - .offset:         120
        .size:           8
        .value_kind:     hidden_global_offset_z
      - .offset:         128
        .size:           2
        .value_kind:     hidden_grid_dims
      - .offset:         144
        .size:           8
        .value_kind:     hidden_hostcall_buffer
      - .offset:         152
        .size:           8
        .value_kind:     hidden_multigrid_sync_arg
      - .offset:         160
        .size:           8
        .value_kind:     hidden_heap_v1
      - .offset:         168
        .size:           8
        .value_kind:     hidden_default_queue
      - .offset:         176
        .size:           8
        .value_kind:     hidden_completion_action
      - .offset:         264
        .size:           8
        .value_kind:     hidden_queue_ptr
    .group_segment_fixed_size: 8448
    .kernarg_segment_align: 8
    .kernarg_segment_size: 320
    .language:       OpenCL C
    .language_version:
      - 2
      - 0
    .max_flat_workgroup_size: 256
    .name:           _ZN7rocprim17ROCPRIM_400000_NS6detail17trampoline_kernelINS0_14default_configENS1_37merge_sort_block_sort_config_selectorIsNS0_10empty_typeEEEZNS1_21merge_sort_block_sortIS3_N6thrust23THRUST_200600_302600_NS6detail15normal_iteratorINS9_10device_ptrIsEEEESE_PS5_SF_14custom_greaterIsEEE10hipError_tT0_T1_T2_T3_mRjT4_P12ihipStream_tbNS1_7vsmem_tEEUlT_E_NS1_11comp_targetILNS1_3genE4ELNS1_11target_archE910ELNS1_3gpuE8ELNS1_3repE0EEENS1_30default_config_static_selectorELNS0_4arch9wavefront6targetE1EEEvSK_
    .private_segment_fixed_size: 8
    .sgpr_count:     82
    .sgpr_spill_count: 0
    .symbol:         _ZN7rocprim17ROCPRIM_400000_NS6detail17trampoline_kernelINS0_14default_configENS1_37merge_sort_block_sort_config_selectorIsNS0_10empty_typeEEEZNS1_21merge_sort_block_sortIS3_N6thrust23THRUST_200600_302600_NS6detail15normal_iteratorINS9_10device_ptrIsEEEESE_PS5_SF_14custom_greaterIsEEE10hipError_tT0_T1_T2_T3_mRjT4_P12ihipStream_tbNS1_7vsmem_tEEUlT_E_NS1_11comp_targetILNS1_3genE4ELNS1_11target_archE910ELNS1_3gpuE8ELNS1_3repE0EEENS1_30default_config_static_selectorELNS0_4arch9wavefront6targetE1EEEvSK_.kd
    .uniform_work_group_size: 1
    .uses_dynamic_stack: false
    .vgpr_count:     87
    .vgpr_spill_count: 0
    .wavefront_size: 64
  - .agpr_count:     0
    .args:
      - .offset:         0
        .size:           64
        .value_kind:     by_value
    .group_segment_fixed_size: 0
    .kernarg_segment_align: 8
    .kernarg_segment_size: 64
    .language:       OpenCL C
    .language_version:
      - 2
      - 0
    .max_flat_workgroup_size: 256
    .name:           _ZN7rocprim17ROCPRIM_400000_NS6detail17trampoline_kernelINS0_14default_configENS1_37merge_sort_block_sort_config_selectorIsNS0_10empty_typeEEEZNS1_21merge_sort_block_sortIS3_N6thrust23THRUST_200600_302600_NS6detail15normal_iteratorINS9_10device_ptrIsEEEESE_PS5_SF_14custom_greaterIsEEE10hipError_tT0_T1_T2_T3_mRjT4_P12ihipStream_tbNS1_7vsmem_tEEUlT_E_NS1_11comp_targetILNS1_3genE3ELNS1_11target_archE908ELNS1_3gpuE7ELNS1_3repE0EEENS1_30default_config_static_selectorELNS0_4arch9wavefront6targetE1EEEvSK_
    .private_segment_fixed_size: 0
    .sgpr_count:     4
    .sgpr_spill_count: 0
    .symbol:         _ZN7rocprim17ROCPRIM_400000_NS6detail17trampoline_kernelINS0_14default_configENS1_37merge_sort_block_sort_config_selectorIsNS0_10empty_typeEEEZNS1_21merge_sort_block_sortIS3_N6thrust23THRUST_200600_302600_NS6detail15normal_iteratorINS9_10device_ptrIsEEEESE_PS5_SF_14custom_greaterIsEEE10hipError_tT0_T1_T2_T3_mRjT4_P12ihipStream_tbNS1_7vsmem_tEEUlT_E_NS1_11comp_targetILNS1_3genE3ELNS1_11target_archE908ELNS1_3gpuE7ELNS1_3repE0EEENS1_30default_config_static_selectorELNS0_4arch9wavefront6targetE1EEEvSK_.kd
    .uniform_work_group_size: 1
    .uses_dynamic_stack: false
    .vgpr_count:     0
    .vgpr_spill_count: 0
    .wavefront_size: 64
  - .agpr_count:     0
    .args:
      - .offset:         0
        .size:           64
        .value_kind:     by_value
    .group_segment_fixed_size: 0
    .kernarg_segment_align: 8
    .kernarg_segment_size: 64
    .language:       OpenCL C
    .language_version:
      - 2
      - 0
    .max_flat_workgroup_size: 256
    .name:           _ZN7rocprim17ROCPRIM_400000_NS6detail17trampoline_kernelINS0_14default_configENS1_37merge_sort_block_sort_config_selectorIsNS0_10empty_typeEEEZNS1_21merge_sort_block_sortIS3_N6thrust23THRUST_200600_302600_NS6detail15normal_iteratorINS9_10device_ptrIsEEEESE_PS5_SF_14custom_greaterIsEEE10hipError_tT0_T1_T2_T3_mRjT4_P12ihipStream_tbNS1_7vsmem_tEEUlT_E_NS1_11comp_targetILNS1_3genE2ELNS1_11target_archE906ELNS1_3gpuE6ELNS1_3repE0EEENS1_30default_config_static_selectorELNS0_4arch9wavefront6targetE1EEEvSK_
    .private_segment_fixed_size: 0
    .sgpr_count:     4
    .sgpr_spill_count: 0
    .symbol:         _ZN7rocprim17ROCPRIM_400000_NS6detail17trampoline_kernelINS0_14default_configENS1_37merge_sort_block_sort_config_selectorIsNS0_10empty_typeEEEZNS1_21merge_sort_block_sortIS3_N6thrust23THRUST_200600_302600_NS6detail15normal_iteratorINS9_10device_ptrIsEEEESE_PS5_SF_14custom_greaterIsEEE10hipError_tT0_T1_T2_T3_mRjT4_P12ihipStream_tbNS1_7vsmem_tEEUlT_E_NS1_11comp_targetILNS1_3genE2ELNS1_11target_archE906ELNS1_3gpuE6ELNS1_3repE0EEENS1_30default_config_static_selectorELNS0_4arch9wavefront6targetE1EEEvSK_.kd
    .uniform_work_group_size: 1
    .uses_dynamic_stack: false
    .vgpr_count:     0
    .vgpr_spill_count: 0
    .wavefront_size: 64
  - .agpr_count:     0
    .args:
      - .offset:         0
        .size:           64
        .value_kind:     by_value
    .group_segment_fixed_size: 0
    .kernarg_segment_align: 8
    .kernarg_segment_size: 64
    .language:       OpenCL C
    .language_version:
      - 2
      - 0
    .max_flat_workgroup_size: 256
    .name:           _ZN7rocprim17ROCPRIM_400000_NS6detail17trampoline_kernelINS0_14default_configENS1_37merge_sort_block_sort_config_selectorIsNS0_10empty_typeEEEZNS1_21merge_sort_block_sortIS3_N6thrust23THRUST_200600_302600_NS6detail15normal_iteratorINS9_10device_ptrIsEEEESE_PS5_SF_14custom_greaterIsEEE10hipError_tT0_T1_T2_T3_mRjT4_P12ihipStream_tbNS1_7vsmem_tEEUlT_E_NS1_11comp_targetILNS1_3genE10ELNS1_11target_archE1201ELNS1_3gpuE5ELNS1_3repE0EEENS1_30default_config_static_selectorELNS0_4arch9wavefront6targetE1EEEvSK_
    .private_segment_fixed_size: 0
    .sgpr_count:     4
    .sgpr_spill_count: 0
    .symbol:         _ZN7rocprim17ROCPRIM_400000_NS6detail17trampoline_kernelINS0_14default_configENS1_37merge_sort_block_sort_config_selectorIsNS0_10empty_typeEEEZNS1_21merge_sort_block_sortIS3_N6thrust23THRUST_200600_302600_NS6detail15normal_iteratorINS9_10device_ptrIsEEEESE_PS5_SF_14custom_greaterIsEEE10hipError_tT0_T1_T2_T3_mRjT4_P12ihipStream_tbNS1_7vsmem_tEEUlT_E_NS1_11comp_targetILNS1_3genE10ELNS1_11target_archE1201ELNS1_3gpuE5ELNS1_3repE0EEENS1_30default_config_static_selectorELNS0_4arch9wavefront6targetE1EEEvSK_.kd
    .uniform_work_group_size: 1
    .uses_dynamic_stack: false
    .vgpr_count:     0
    .vgpr_spill_count: 0
    .wavefront_size: 64
  - .agpr_count:     0
    .args:
      - .offset:         0
        .size:           64
        .value_kind:     by_value
    .group_segment_fixed_size: 0
    .kernarg_segment_align: 8
    .kernarg_segment_size: 64
    .language:       OpenCL C
    .language_version:
      - 2
      - 0
    .max_flat_workgroup_size: 256
    .name:           _ZN7rocprim17ROCPRIM_400000_NS6detail17trampoline_kernelINS0_14default_configENS1_37merge_sort_block_sort_config_selectorIsNS0_10empty_typeEEEZNS1_21merge_sort_block_sortIS3_N6thrust23THRUST_200600_302600_NS6detail15normal_iteratorINS9_10device_ptrIsEEEESE_PS5_SF_14custom_greaterIsEEE10hipError_tT0_T1_T2_T3_mRjT4_P12ihipStream_tbNS1_7vsmem_tEEUlT_E_NS1_11comp_targetILNS1_3genE10ELNS1_11target_archE1200ELNS1_3gpuE4ELNS1_3repE0EEENS1_30default_config_static_selectorELNS0_4arch9wavefront6targetE1EEEvSK_
    .private_segment_fixed_size: 0
    .sgpr_count:     4
    .sgpr_spill_count: 0
    .symbol:         _ZN7rocprim17ROCPRIM_400000_NS6detail17trampoline_kernelINS0_14default_configENS1_37merge_sort_block_sort_config_selectorIsNS0_10empty_typeEEEZNS1_21merge_sort_block_sortIS3_N6thrust23THRUST_200600_302600_NS6detail15normal_iteratorINS9_10device_ptrIsEEEESE_PS5_SF_14custom_greaterIsEEE10hipError_tT0_T1_T2_T3_mRjT4_P12ihipStream_tbNS1_7vsmem_tEEUlT_E_NS1_11comp_targetILNS1_3genE10ELNS1_11target_archE1200ELNS1_3gpuE4ELNS1_3repE0EEENS1_30default_config_static_selectorELNS0_4arch9wavefront6targetE1EEEvSK_.kd
    .uniform_work_group_size: 1
    .uses_dynamic_stack: false
    .vgpr_count:     0
    .vgpr_spill_count: 0
    .wavefront_size: 64
  - .agpr_count:     0
    .args:
      - .offset:         0
        .size:           64
        .value_kind:     by_value
    .group_segment_fixed_size: 0
    .kernarg_segment_align: 8
    .kernarg_segment_size: 64
    .language:       OpenCL C
    .language_version:
      - 2
      - 0
    .max_flat_workgroup_size: 256
    .name:           _ZN7rocprim17ROCPRIM_400000_NS6detail17trampoline_kernelINS0_14default_configENS1_37merge_sort_block_sort_config_selectorIsNS0_10empty_typeEEEZNS1_21merge_sort_block_sortIS3_N6thrust23THRUST_200600_302600_NS6detail15normal_iteratorINS9_10device_ptrIsEEEESE_PS5_SF_14custom_greaterIsEEE10hipError_tT0_T1_T2_T3_mRjT4_P12ihipStream_tbNS1_7vsmem_tEEUlT_E_NS1_11comp_targetILNS1_3genE9ELNS1_11target_archE1100ELNS1_3gpuE3ELNS1_3repE0EEENS1_30default_config_static_selectorELNS0_4arch9wavefront6targetE1EEEvSK_
    .private_segment_fixed_size: 0
    .sgpr_count:     4
    .sgpr_spill_count: 0
    .symbol:         _ZN7rocprim17ROCPRIM_400000_NS6detail17trampoline_kernelINS0_14default_configENS1_37merge_sort_block_sort_config_selectorIsNS0_10empty_typeEEEZNS1_21merge_sort_block_sortIS3_N6thrust23THRUST_200600_302600_NS6detail15normal_iteratorINS9_10device_ptrIsEEEESE_PS5_SF_14custom_greaterIsEEE10hipError_tT0_T1_T2_T3_mRjT4_P12ihipStream_tbNS1_7vsmem_tEEUlT_E_NS1_11comp_targetILNS1_3genE9ELNS1_11target_archE1100ELNS1_3gpuE3ELNS1_3repE0EEENS1_30default_config_static_selectorELNS0_4arch9wavefront6targetE1EEEvSK_.kd
    .uniform_work_group_size: 1
    .uses_dynamic_stack: false
    .vgpr_count:     0
    .vgpr_spill_count: 0
    .wavefront_size: 64
  - .agpr_count:     0
    .args:
      - .offset:         0
        .size:           64
        .value_kind:     by_value
    .group_segment_fixed_size: 0
    .kernarg_segment_align: 8
    .kernarg_segment_size: 64
    .language:       OpenCL C
    .language_version:
      - 2
      - 0
    .max_flat_workgroup_size: 256
    .name:           _ZN7rocprim17ROCPRIM_400000_NS6detail17trampoline_kernelINS0_14default_configENS1_37merge_sort_block_sort_config_selectorIsNS0_10empty_typeEEEZNS1_21merge_sort_block_sortIS3_N6thrust23THRUST_200600_302600_NS6detail15normal_iteratorINS9_10device_ptrIsEEEESE_PS5_SF_14custom_greaterIsEEE10hipError_tT0_T1_T2_T3_mRjT4_P12ihipStream_tbNS1_7vsmem_tEEUlT_E_NS1_11comp_targetILNS1_3genE8ELNS1_11target_archE1030ELNS1_3gpuE2ELNS1_3repE0EEENS1_30default_config_static_selectorELNS0_4arch9wavefront6targetE1EEEvSK_
    .private_segment_fixed_size: 0
    .sgpr_count:     4
    .sgpr_spill_count: 0
    .symbol:         _ZN7rocprim17ROCPRIM_400000_NS6detail17trampoline_kernelINS0_14default_configENS1_37merge_sort_block_sort_config_selectorIsNS0_10empty_typeEEEZNS1_21merge_sort_block_sortIS3_N6thrust23THRUST_200600_302600_NS6detail15normal_iteratorINS9_10device_ptrIsEEEESE_PS5_SF_14custom_greaterIsEEE10hipError_tT0_T1_T2_T3_mRjT4_P12ihipStream_tbNS1_7vsmem_tEEUlT_E_NS1_11comp_targetILNS1_3genE8ELNS1_11target_archE1030ELNS1_3gpuE2ELNS1_3repE0EEENS1_30default_config_static_selectorELNS0_4arch9wavefront6targetE1EEEvSK_.kd
    .uniform_work_group_size: 1
    .uses_dynamic_stack: false
    .vgpr_count:     0
    .vgpr_spill_count: 0
    .wavefront_size: 64
  - .agpr_count:     0
    .args:
      - .offset:         0
        .size:           48
        .value_kind:     by_value
    .group_segment_fixed_size: 0
    .kernarg_segment_align: 8
    .kernarg_segment_size: 48
    .language:       OpenCL C
    .language_version:
      - 2
      - 0
    .max_flat_workgroup_size: 128
    .name:           _ZN7rocprim17ROCPRIM_400000_NS6detail17trampoline_kernelINS0_14default_configENS1_38merge_sort_block_merge_config_selectorIsNS0_10empty_typeEEEZZNS1_27merge_sort_block_merge_implIS3_N6thrust23THRUST_200600_302600_NS6detail15normal_iteratorINS9_10device_ptrIsEEEEPS5_m14custom_greaterIsEEE10hipError_tT0_T1_T2_jT3_P12ihipStream_tbPNSt15iterator_traitsISJ_E10value_typeEPNSP_ISK_E10value_typeEPSL_NS1_7vsmem_tEENKUlT_SJ_SK_SL_E_clIPsSE_SF_SF_EESI_SY_SJ_SK_SL_EUlSY_E_NS1_11comp_targetILNS1_3genE0ELNS1_11target_archE4294967295ELNS1_3gpuE0ELNS1_3repE0EEENS1_48merge_mergepath_partition_config_static_selectorELNS0_4arch9wavefront6targetE1EEEvSK_
    .private_segment_fixed_size: 0
    .sgpr_count:     4
    .sgpr_spill_count: 0
    .symbol:         _ZN7rocprim17ROCPRIM_400000_NS6detail17trampoline_kernelINS0_14default_configENS1_38merge_sort_block_merge_config_selectorIsNS0_10empty_typeEEEZZNS1_27merge_sort_block_merge_implIS3_N6thrust23THRUST_200600_302600_NS6detail15normal_iteratorINS9_10device_ptrIsEEEEPS5_m14custom_greaterIsEEE10hipError_tT0_T1_T2_jT3_P12ihipStream_tbPNSt15iterator_traitsISJ_E10value_typeEPNSP_ISK_E10value_typeEPSL_NS1_7vsmem_tEENKUlT_SJ_SK_SL_E_clIPsSE_SF_SF_EESI_SY_SJ_SK_SL_EUlSY_E_NS1_11comp_targetILNS1_3genE0ELNS1_11target_archE4294967295ELNS1_3gpuE0ELNS1_3repE0EEENS1_48merge_mergepath_partition_config_static_selectorELNS0_4arch9wavefront6targetE1EEEvSK_.kd
    .uniform_work_group_size: 1
    .uses_dynamic_stack: false
    .vgpr_count:     0
    .vgpr_spill_count: 0
    .wavefront_size: 64
  - .agpr_count:     0
    .args:
      - .offset:         0
        .size:           48
        .value_kind:     by_value
    .group_segment_fixed_size: 0
    .kernarg_segment_align: 8
    .kernarg_segment_size: 48
    .language:       OpenCL C
    .language_version:
      - 2
      - 0
    .max_flat_workgroup_size: 128
    .name:           _ZN7rocprim17ROCPRIM_400000_NS6detail17trampoline_kernelINS0_14default_configENS1_38merge_sort_block_merge_config_selectorIsNS0_10empty_typeEEEZZNS1_27merge_sort_block_merge_implIS3_N6thrust23THRUST_200600_302600_NS6detail15normal_iteratorINS9_10device_ptrIsEEEEPS5_m14custom_greaterIsEEE10hipError_tT0_T1_T2_jT3_P12ihipStream_tbPNSt15iterator_traitsISJ_E10value_typeEPNSP_ISK_E10value_typeEPSL_NS1_7vsmem_tEENKUlT_SJ_SK_SL_E_clIPsSE_SF_SF_EESI_SY_SJ_SK_SL_EUlSY_E_NS1_11comp_targetILNS1_3genE10ELNS1_11target_archE1201ELNS1_3gpuE5ELNS1_3repE0EEENS1_48merge_mergepath_partition_config_static_selectorELNS0_4arch9wavefront6targetE1EEEvSK_
    .private_segment_fixed_size: 0
    .sgpr_count:     4
    .sgpr_spill_count: 0
    .symbol:         _ZN7rocprim17ROCPRIM_400000_NS6detail17trampoline_kernelINS0_14default_configENS1_38merge_sort_block_merge_config_selectorIsNS0_10empty_typeEEEZZNS1_27merge_sort_block_merge_implIS3_N6thrust23THRUST_200600_302600_NS6detail15normal_iteratorINS9_10device_ptrIsEEEEPS5_m14custom_greaterIsEEE10hipError_tT0_T1_T2_jT3_P12ihipStream_tbPNSt15iterator_traitsISJ_E10value_typeEPNSP_ISK_E10value_typeEPSL_NS1_7vsmem_tEENKUlT_SJ_SK_SL_E_clIPsSE_SF_SF_EESI_SY_SJ_SK_SL_EUlSY_E_NS1_11comp_targetILNS1_3genE10ELNS1_11target_archE1201ELNS1_3gpuE5ELNS1_3repE0EEENS1_48merge_mergepath_partition_config_static_selectorELNS0_4arch9wavefront6targetE1EEEvSK_.kd
    .uniform_work_group_size: 1
    .uses_dynamic_stack: false
    .vgpr_count:     0
    .vgpr_spill_count: 0
    .wavefront_size: 64
  - .agpr_count:     0
    .args:
      - .offset:         0
        .size:           48
        .value_kind:     by_value
    .group_segment_fixed_size: 0
    .kernarg_segment_align: 8
    .kernarg_segment_size: 48
    .language:       OpenCL C
    .language_version:
      - 2
      - 0
    .max_flat_workgroup_size: 128
    .name:           _ZN7rocprim17ROCPRIM_400000_NS6detail17trampoline_kernelINS0_14default_configENS1_38merge_sort_block_merge_config_selectorIsNS0_10empty_typeEEEZZNS1_27merge_sort_block_merge_implIS3_N6thrust23THRUST_200600_302600_NS6detail15normal_iteratorINS9_10device_ptrIsEEEEPS5_m14custom_greaterIsEEE10hipError_tT0_T1_T2_jT3_P12ihipStream_tbPNSt15iterator_traitsISJ_E10value_typeEPNSP_ISK_E10value_typeEPSL_NS1_7vsmem_tEENKUlT_SJ_SK_SL_E_clIPsSE_SF_SF_EESI_SY_SJ_SK_SL_EUlSY_E_NS1_11comp_targetILNS1_3genE5ELNS1_11target_archE942ELNS1_3gpuE9ELNS1_3repE0EEENS1_48merge_mergepath_partition_config_static_selectorELNS0_4arch9wavefront6targetE1EEEvSK_
    .private_segment_fixed_size: 0
    .sgpr_count:     4
    .sgpr_spill_count: 0
    .symbol:         _ZN7rocprim17ROCPRIM_400000_NS6detail17trampoline_kernelINS0_14default_configENS1_38merge_sort_block_merge_config_selectorIsNS0_10empty_typeEEEZZNS1_27merge_sort_block_merge_implIS3_N6thrust23THRUST_200600_302600_NS6detail15normal_iteratorINS9_10device_ptrIsEEEEPS5_m14custom_greaterIsEEE10hipError_tT0_T1_T2_jT3_P12ihipStream_tbPNSt15iterator_traitsISJ_E10value_typeEPNSP_ISK_E10value_typeEPSL_NS1_7vsmem_tEENKUlT_SJ_SK_SL_E_clIPsSE_SF_SF_EESI_SY_SJ_SK_SL_EUlSY_E_NS1_11comp_targetILNS1_3genE5ELNS1_11target_archE942ELNS1_3gpuE9ELNS1_3repE0EEENS1_48merge_mergepath_partition_config_static_selectorELNS0_4arch9wavefront6targetE1EEEvSK_.kd
    .uniform_work_group_size: 1
    .uses_dynamic_stack: false
    .vgpr_count:     0
    .vgpr_spill_count: 0
    .wavefront_size: 64
  - .agpr_count:     0
    .args:
      - .offset:         0
        .size:           48
        .value_kind:     by_value
    .group_segment_fixed_size: 0
    .kernarg_segment_align: 8
    .kernarg_segment_size: 48
    .language:       OpenCL C
    .language_version:
      - 2
      - 0
    .max_flat_workgroup_size: 128
    .name:           _ZN7rocprim17ROCPRIM_400000_NS6detail17trampoline_kernelINS0_14default_configENS1_38merge_sort_block_merge_config_selectorIsNS0_10empty_typeEEEZZNS1_27merge_sort_block_merge_implIS3_N6thrust23THRUST_200600_302600_NS6detail15normal_iteratorINS9_10device_ptrIsEEEEPS5_m14custom_greaterIsEEE10hipError_tT0_T1_T2_jT3_P12ihipStream_tbPNSt15iterator_traitsISJ_E10value_typeEPNSP_ISK_E10value_typeEPSL_NS1_7vsmem_tEENKUlT_SJ_SK_SL_E_clIPsSE_SF_SF_EESI_SY_SJ_SK_SL_EUlSY_E_NS1_11comp_targetILNS1_3genE4ELNS1_11target_archE910ELNS1_3gpuE8ELNS1_3repE0EEENS1_48merge_mergepath_partition_config_static_selectorELNS0_4arch9wavefront6targetE1EEEvSK_
    .private_segment_fixed_size: 0
    .sgpr_count:     12
    .sgpr_spill_count: 0
    .symbol:         _ZN7rocprim17ROCPRIM_400000_NS6detail17trampoline_kernelINS0_14default_configENS1_38merge_sort_block_merge_config_selectorIsNS0_10empty_typeEEEZZNS1_27merge_sort_block_merge_implIS3_N6thrust23THRUST_200600_302600_NS6detail15normal_iteratorINS9_10device_ptrIsEEEEPS5_m14custom_greaterIsEEE10hipError_tT0_T1_T2_jT3_P12ihipStream_tbPNSt15iterator_traitsISJ_E10value_typeEPNSP_ISK_E10value_typeEPSL_NS1_7vsmem_tEENKUlT_SJ_SK_SL_E_clIPsSE_SF_SF_EESI_SY_SJ_SK_SL_EUlSY_E_NS1_11comp_targetILNS1_3genE4ELNS1_11target_archE910ELNS1_3gpuE8ELNS1_3repE0EEENS1_48merge_mergepath_partition_config_static_selectorELNS0_4arch9wavefront6targetE1EEEvSK_.kd
    .uniform_work_group_size: 1
    .uses_dynamic_stack: false
    .vgpr_count:     18
    .vgpr_spill_count: 0
    .wavefront_size: 64
  - .agpr_count:     0
    .args:
      - .offset:         0
        .size:           48
        .value_kind:     by_value
    .group_segment_fixed_size: 0
    .kernarg_segment_align: 8
    .kernarg_segment_size: 48
    .language:       OpenCL C
    .language_version:
      - 2
      - 0
    .max_flat_workgroup_size: 128
    .name:           _ZN7rocprim17ROCPRIM_400000_NS6detail17trampoline_kernelINS0_14default_configENS1_38merge_sort_block_merge_config_selectorIsNS0_10empty_typeEEEZZNS1_27merge_sort_block_merge_implIS3_N6thrust23THRUST_200600_302600_NS6detail15normal_iteratorINS9_10device_ptrIsEEEEPS5_m14custom_greaterIsEEE10hipError_tT0_T1_T2_jT3_P12ihipStream_tbPNSt15iterator_traitsISJ_E10value_typeEPNSP_ISK_E10value_typeEPSL_NS1_7vsmem_tEENKUlT_SJ_SK_SL_E_clIPsSE_SF_SF_EESI_SY_SJ_SK_SL_EUlSY_E_NS1_11comp_targetILNS1_3genE3ELNS1_11target_archE908ELNS1_3gpuE7ELNS1_3repE0EEENS1_48merge_mergepath_partition_config_static_selectorELNS0_4arch9wavefront6targetE1EEEvSK_
    .private_segment_fixed_size: 0
    .sgpr_count:     4
    .sgpr_spill_count: 0
    .symbol:         _ZN7rocprim17ROCPRIM_400000_NS6detail17trampoline_kernelINS0_14default_configENS1_38merge_sort_block_merge_config_selectorIsNS0_10empty_typeEEEZZNS1_27merge_sort_block_merge_implIS3_N6thrust23THRUST_200600_302600_NS6detail15normal_iteratorINS9_10device_ptrIsEEEEPS5_m14custom_greaterIsEEE10hipError_tT0_T1_T2_jT3_P12ihipStream_tbPNSt15iterator_traitsISJ_E10value_typeEPNSP_ISK_E10value_typeEPSL_NS1_7vsmem_tEENKUlT_SJ_SK_SL_E_clIPsSE_SF_SF_EESI_SY_SJ_SK_SL_EUlSY_E_NS1_11comp_targetILNS1_3genE3ELNS1_11target_archE908ELNS1_3gpuE7ELNS1_3repE0EEENS1_48merge_mergepath_partition_config_static_selectorELNS0_4arch9wavefront6targetE1EEEvSK_.kd
    .uniform_work_group_size: 1
    .uses_dynamic_stack: false
    .vgpr_count:     0
    .vgpr_spill_count: 0
    .wavefront_size: 64
  - .agpr_count:     0
    .args:
      - .offset:         0
        .size:           48
        .value_kind:     by_value
    .group_segment_fixed_size: 0
    .kernarg_segment_align: 8
    .kernarg_segment_size: 48
    .language:       OpenCL C
    .language_version:
      - 2
      - 0
    .max_flat_workgroup_size: 128
    .name:           _ZN7rocprim17ROCPRIM_400000_NS6detail17trampoline_kernelINS0_14default_configENS1_38merge_sort_block_merge_config_selectorIsNS0_10empty_typeEEEZZNS1_27merge_sort_block_merge_implIS3_N6thrust23THRUST_200600_302600_NS6detail15normal_iteratorINS9_10device_ptrIsEEEEPS5_m14custom_greaterIsEEE10hipError_tT0_T1_T2_jT3_P12ihipStream_tbPNSt15iterator_traitsISJ_E10value_typeEPNSP_ISK_E10value_typeEPSL_NS1_7vsmem_tEENKUlT_SJ_SK_SL_E_clIPsSE_SF_SF_EESI_SY_SJ_SK_SL_EUlSY_E_NS1_11comp_targetILNS1_3genE2ELNS1_11target_archE906ELNS1_3gpuE6ELNS1_3repE0EEENS1_48merge_mergepath_partition_config_static_selectorELNS0_4arch9wavefront6targetE1EEEvSK_
    .private_segment_fixed_size: 0
    .sgpr_count:     4
    .sgpr_spill_count: 0
    .symbol:         _ZN7rocprim17ROCPRIM_400000_NS6detail17trampoline_kernelINS0_14default_configENS1_38merge_sort_block_merge_config_selectorIsNS0_10empty_typeEEEZZNS1_27merge_sort_block_merge_implIS3_N6thrust23THRUST_200600_302600_NS6detail15normal_iteratorINS9_10device_ptrIsEEEEPS5_m14custom_greaterIsEEE10hipError_tT0_T1_T2_jT3_P12ihipStream_tbPNSt15iterator_traitsISJ_E10value_typeEPNSP_ISK_E10value_typeEPSL_NS1_7vsmem_tEENKUlT_SJ_SK_SL_E_clIPsSE_SF_SF_EESI_SY_SJ_SK_SL_EUlSY_E_NS1_11comp_targetILNS1_3genE2ELNS1_11target_archE906ELNS1_3gpuE6ELNS1_3repE0EEENS1_48merge_mergepath_partition_config_static_selectorELNS0_4arch9wavefront6targetE1EEEvSK_.kd
    .uniform_work_group_size: 1
    .uses_dynamic_stack: false
    .vgpr_count:     0
    .vgpr_spill_count: 0
    .wavefront_size: 64
  - .agpr_count:     0
    .args:
      - .offset:         0
        .size:           48
        .value_kind:     by_value
    .group_segment_fixed_size: 0
    .kernarg_segment_align: 8
    .kernarg_segment_size: 48
    .language:       OpenCL C
    .language_version:
      - 2
      - 0
    .max_flat_workgroup_size: 128
    .name:           _ZN7rocprim17ROCPRIM_400000_NS6detail17trampoline_kernelINS0_14default_configENS1_38merge_sort_block_merge_config_selectorIsNS0_10empty_typeEEEZZNS1_27merge_sort_block_merge_implIS3_N6thrust23THRUST_200600_302600_NS6detail15normal_iteratorINS9_10device_ptrIsEEEEPS5_m14custom_greaterIsEEE10hipError_tT0_T1_T2_jT3_P12ihipStream_tbPNSt15iterator_traitsISJ_E10value_typeEPNSP_ISK_E10value_typeEPSL_NS1_7vsmem_tEENKUlT_SJ_SK_SL_E_clIPsSE_SF_SF_EESI_SY_SJ_SK_SL_EUlSY_E_NS1_11comp_targetILNS1_3genE9ELNS1_11target_archE1100ELNS1_3gpuE3ELNS1_3repE0EEENS1_48merge_mergepath_partition_config_static_selectorELNS0_4arch9wavefront6targetE1EEEvSK_
    .private_segment_fixed_size: 0
    .sgpr_count:     4
    .sgpr_spill_count: 0
    .symbol:         _ZN7rocprim17ROCPRIM_400000_NS6detail17trampoline_kernelINS0_14default_configENS1_38merge_sort_block_merge_config_selectorIsNS0_10empty_typeEEEZZNS1_27merge_sort_block_merge_implIS3_N6thrust23THRUST_200600_302600_NS6detail15normal_iteratorINS9_10device_ptrIsEEEEPS5_m14custom_greaterIsEEE10hipError_tT0_T1_T2_jT3_P12ihipStream_tbPNSt15iterator_traitsISJ_E10value_typeEPNSP_ISK_E10value_typeEPSL_NS1_7vsmem_tEENKUlT_SJ_SK_SL_E_clIPsSE_SF_SF_EESI_SY_SJ_SK_SL_EUlSY_E_NS1_11comp_targetILNS1_3genE9ELNS1_11target_archE1100ELNS1_3gpuE3ELNS1_3repE0EEENS1_48merge_mergepath_partition_config_static_selectorELNS0_4arch9wavefront6targetE1EEEvSK_.kd
    .uniform_work_group_size: 1
    .uses_dynamic_stack: false
    .vgpr_count:     0
    .vgpr_spill_count: 0
    .wavefront_size: 64
  - .agpr_count:     0
    .args:
      - .offset:         0
        .size:           48
        .value_kind:     by_value
    .group_segment_fixed_size: 0
    .kernarg_segment_align: 8
    .kernarg_segment_size: 48
    .language:       OpenCL C
    .language_version:
      - 2
      - 0
    .max_flat_workgroup_size: 128
    .name:           _ZN7rocprim17ROCPRIM_400000_NS6detail17trampoline_kernelINS0_14default_configENS1_38merge_sort_block_merge_config_selectorIsNS0_10empty_typeEEEZZNS1_27merge_sort_block_merge_implIS3_N6thrust23THRUST_200600_302600_NS6detail15normal_iteratorINS9_10device_ptrIsEEEEPS5_m14custom_greaterIsEEE10hipError_tT0_T1_T2_jT3_P12ihipStream_tbPNSt15iterator_traitsISJ_E10value_typeEPNSP_ISK_E10value_typeEPSL_NS1_7vsmem_tEENKUlT_SJ_SK_SL_E_clIPsSE_SF_SF_EESI_SY_SJ_SK_SL_EUlSY_E_NS1_11comp_targetILNS1_3genE8ELNS1_11target_archE1030ELNS1_3gpuE2ELNS1_3repE0EEENS1_48merge_mergepath_partition_config_static_selectorELNS0_4arch9wavefront6targetE1EEEvSK_
    .private_segment_fixed_size: 0
    .sgpr_count:     4
    .sgpr_spill_count: 0
    .symbol:         _ZN7rocprim17ROCPRIM_400000_NS6detail17trampoline_kernelINS0_14default_configENS1_38merge_sort_block_merge_config_selectorIsNS0_10empty_typeEEEZZNS1_27merge_sort_block_merge_implIS3_N6thrust23THRUST_200600_302600_NS6detail15normal_iteratorINS9_10device_ptrIsEEEEPS5_m14custom_greaterIsEEE10hipError_tT0_T1_T2_jT3_P12ihipStream_tbPNSt15iterator_traitsISJ_E10value_typeEPNSP_ISK_E10value_typeEPSL_NS1_7vsmem_tEENKUlT_SJ_SK_SL_E_clIPsSE_SF_SF_EESI_SY_SJ_SK_SL_EUlSY_E_NS1_11comp_targetILNS1_3genE8ELNS1_11target_archE1030ELNS1_3gpuE2ELNS1_3repE0EEENS1_48merge_mergepath_partition_config_static_selectorELNS0_4arch9wavefront6targetE1EEEvSK_.kd
    .uniform_work_group_size: 1
    .uses_dynamic_stack: false
    .vgpr_count:     0
    .vgpr_spill_count: 0
    .wavefront_size: 64
  - .agpr_count:     0
    .args:
      - .offset:         0
        .size:           72
        .value_kind:     by_value
    .group_segment_fixed_size: 0
    .kernarg_segment_align: 8
    .kernarg_segment_size: 72
    .language:       OpenCL C
    .language_version:
      - 2
      - 0
    .max_flat_workgroup_size: 128
    .name:           _ZN7rocprim17ROCPRIM_400000_NS6detail17trampoline_kernelINS0_14default_configENS1_38merge_sort_block_merge_config_selectorIsNS0_10empty_typeEEEZZNS1_27merge_sort_block_merge_implIS3_N6thrust23THRUST_200600_302600_NS6detail15normal_iteratorINS9_10device_ptrIsEEEEPS5_m14custom_greaterIsEEE10hipError_tT0_T1_T2_jT3_P12ihipStream_tbPNSt15iterator_traitsISJ_E10value_typeEPNSP_ISK_E10value_typeEPSL_NS1_7vsmem_tEENKUlT_SJ_SK_SL_E_clIPsSE_SF_SF_EESI_SY_SJ_SK_SL_EUlSY_E0_NS1_11comp_targetILNS1_3genE0ELNS1_11target_archE4294967295ELNS1_3gpuE0ELNS1_3repE0EEENS1_38merge_mergepath_config_static_selectorELNS0_4arch9wavefront6targetE1EEEvSK_
    .private_segment_fixed_size: 0
    .sgpr_count:     4
    .sgpr_spill_count: 0
    .symbol:         _ZN7rocprim17ROCPRIM_400000_NS6detail17trampoline_kernelINS0_14default_configENS1_38merge_sort_block_merge_config_selectorIsNS0_10empty_typeEEEZZNS1_27merge_sort_block_merge_implIS3_N6thrust23THRUST_200600_302600_NS6detail15normal_iteratorINS9_10device_ptrIsEEEEPS5_m14custom_greaterIsEEE10hipError_tT0_T1_T2_jT3_P12ihipStream_tbPNSt15iterator_traitsISJ_E10value_typeEPNSP_ISK_E10value_typeEPSL_NS1_7vsmem_tEENKUlT_SJ_SK_SL_E_clIPsSE_SF_SF_EESI_SY_SJ_SK_SL_EUlSY_E0_NS1_11comp_targetILNS1_3genE0ELNS1_11target_archE4294967295ELNS1_3gpuE0ELNS1_3repE0EEENS1_38merge_mergepath_config_static_selectorELNS0_4arch9wavefront6targetE1EEEvSK_.kd
    .uniform_work_group_size: 1
    .uses_dynamic_stack: false
    .vgpr_count:     0
    .vgpr_spill_count: 0
    .wavefront_size: 64
  - .agpr_count:     0
    .args:
      - .offset:         0
        .size:           72
        .value_kind:     by_value
    .group_segment_fixed_size: 0
    .kernarg_segment_align: 8
    .kernarg_segment_size: 72
    .language:       OpenCL C
    .language_version:
      - 2
      - 0
    .max_flat_workgroup_size: 128
    .name:           _ZN7rocprim17ROCPRIM_400000_NS6detail17trampoline_kernelINS0_14default_configENS1_38merge_sort_block_merge_config_selectorIsNS0_10empty_typeEEEZZNS1_27merge_sort_block_merge_implIS3_N6thrust23THRUST_200600_302600_NS6detail15normal_iteratorINS9_10device_ptrIsEEEEPS5_m14custom_greaterIsEEE10hipError_tT0_T1_T2_jT3_P12ihipStream_tbPNSt15iterator_traitsISJ_E10value_typeEPNSP_ISK_E10value_typeEPSL_NS1_7vsmem_tEENKUlT_SJ_SK_SL_E_clIPsSE_SF_SF_EESI_SY_SJ_SK_SL_EUlSY_E0_NS1_11comp_targetILNS1_3genE10ELNS1_11target_archE1201ELNS1_3gpuE5ELNS1_3repE0EEENS1_38merge_mergepath_config_static_selectorELNS0_4arch9wavefront6targetE1EEEvSK_
    .private_segment_fixed_size: 0
    .sgpr_count:     4
    .sgpr_spill_count: 0
    .symbol:         _ZN7rocprim17ROCPRIM_400000_NS6detail17trampoline_kernelINS0_14default_configENS1_38merge_sort_block_merge_config_selectorIsNS0_10empty_typeEEEZZNS1_27merge_sort_block_merge_implIS3_N6thrust23THRUST_200600_302600_NS6detail15normal_iteratorINS9_10device_ptrIsEEEEPS5_m14custom_greaterIsEEE10hipError_tT0_T1_T2_jT3_P12ihipStream_tbPNSt15iterator_traitsISJ_E10value_typeEPNSP_ISK_E10value_typeEPSL_NS1_7vsmem_tEENKUlT_SJ_SK_SL_E_clIPsSE_SF_SF_EESI_SY_SJ_SK_SL_EUlSY_E0_NS1_11comp_targetILNS1_3genE10ELNS1_11target_archE1201ELNS1_3gpuE5ELNS1_3repE0EEENS1_38merge_mergepath_config_static_selectorELNS0_4arch9wavefront6targetE1EEEvSK_.kd
    .uniform_work_group_size: 1
    .uses_dynamic_stack: false
    .vgpr_count:     0
    .vgpr_spill_count: 0
    .wavefront_size: 64
  - .agpr_count:     0
    .args:
      - .offset:         0
        .size:           72
        .value_kind:     by_value
    .group_segment_fixed_size: 0
    .kernarg_segment_align: 8
    .kernarg_segment_size: 72
    .language:       OpenCL C
    .language_version:
      - 2
      - 0
    .max_flat_workgroup_size: 128
    .name:           _ZN7rocprim17ROCPRIM_400000_NS6detail17trampoline_kernelINS0_14default_configENS1_38merge_sort_block_merge_config_selectorIsNS0_10empty_typeEEEZZNS1_27merge_sort_block_merge_implIS3_N6thrust23THRUST_200600_302600_NS6detail15normal_iteratorINS9_10device_ptrIsEEEEPS5_m14custom_greaterIsEEE10hipError_tT0_T1_T2_jT3_P12ihipStream_tbPNSt15iterator_traitsISJ_E10value_typeEPNSP_ISK_E10value_typeEPSL_NS1_7vsmem_tEENKUlT_SJ_SK_SL_E_clIPsSE_SF_SF_EESI_SY_SJ_SK_SL_EUlSY_E0_NS1_11comp_targetILNS1_3genE5ELNS1_11target_archE942ELNS1_3gpuE9ELNS1_3repE0EEENS1_38merge_mergepath_config_static_selectorELNS0_4arch9wavefront6targetE1EEEvSK_
    .private_segment_fixed_size: 0
    .sgpr_count:     4
    .sgpr_spill_count: 0
    .symbol:         _ZN7rocprim17ROCPRIM_400000_NS6detail17trampoline_kernelINS0_14default_configENS1_38merge_sort_block_merge_config_selectorIsNS0_10empty_typeEEEZZNS1_27merge_sort_block_merge_implIS3_N6thrust23THRUST_200600_302600_NS6detail15normal_iteratorINS9_10device_ptrIsEEEEPS5_m14custom_greaterIsEEE10hipError_tT0_T1_T2_jT3_P12ihipStream_tbPNSt15iterator_traitsISJ_E10value_typeEPNSP_ISK_E10value_typeEPSL_NS1_7vsmem_tEENKUlT_SJ_SK_SL_E_clIPsSE_SF_SF_EESI_SY_SJ_SK_SL_EUlSY_E0_NS1_11comp_targetILNS1_3genE5ELNS1_11target_archE942ELNS1_3gpuE9ELNS1_3repE0EEENS1_38merge_mergepath_config_static_selectorELNS0_4arch9wavefront6targetE1EEEvSK_.kd
    .uniform_work_group_size: 1
    .uses_dynamic_stack: false
    .vgpr_count:     0
    .vgpr_spill_count: 0
    .wavefront_size: 64
  - .agpr_count:     0
    .args:
      - .offset:         0
        .size:           72
        .value_kind:     by_value
      - .offset:         72
        .size:           4
        .value_kind:     hidden_block_count_x
      - .offset:         76
        .size:           4
        .value_kind:     hidden_block_count_y
      - .offset:         80
        .size:           4
        .value_kind:     hidden_block_count_z
      - .offset:         84
        .size:           2
        .value_kind:     hidden_group_size_x
      - .offset:         86
        .size:           2
        .value_kind:     hidden_group_size_y
      - .offset:         88
        .size:           2
        .value_kind:     hidden_group_size_z
      - .offset:         90
        .size:           2
        .value_kind:     hidden_remainder_x
      - .offset:         92
        .size:           2
        .value_kind:     hidden_remainder_y
      - .offset:         94
        .size:           2
        .value_kind:     hidden_remainder_z
      - .offset:         112
        .size:           8
        .value_kind:     hidden_global_offset_x
      - .offset:         120
        .size:           8
        .value_kind:     hidden_global_offset_y
      - .offset:         128
        .size:           8
        .value_kind:     hidden_global_offset_z
      - .offset:         136
        .size:           2
        .value_kind:     hidden_grid_dims
    .group_segment_fixed_size: 2112
    .kernarg_segment_align: 8
    .kernarg_segment_size: 328
    .language:       OpenCL C
    .language_version:
      - 2
      - 0
    .max_flat_workgroup_size: 128
    .name:           _ZN7rocprim17ROCPRIM_400000_NS6detail17trampoline_kernelINS0_14default_configENS1_38merge_sort_block_merge_config_selectorIsNS0_10empty_typeEEEZZNS1_27merge_sort_block_merge_implIS3_N6thrust23THRUST_200600_302600_NS6detail15normal_iteratorINS9_10device_ptrIsEEEEPS5_m14custom_greaterIsEEE10hipError_tT0_T1_T2_jT3_P12ihipStream_tbPNSt15iterator_traitsISJ_E10value_typeEPNSP_ISK_E10value_typeEPSL_NS1_7vsmem_tEENKUlT_SJ_SK_SL_E_clIPsSE_SF_SF_EESI_SY_SJ_SK_SL_EUlSY_E0_NS1_11comp_targetILNS1_3genE4ELNS1_11target_archE910ELNS1_3gpuE8ELNS1_3repE0EEENS1_38merge_mergepath_config_static_selectorELNS0_4arch9wavefront6targetE1EEEvSK_
    .private_segment_fixed_size: 0
    .sgpr_count:     35
    .sgpr_spill_count: 0
    .symbol:         _ZN7rocprim17ROCPRIM_400000_NS6detail17trampoline_kernelINS0_14default_configENS1_38merge_sort_block_merge_config_selectorIsNS0_10empty_typeEEEZZNS1_27merge_sort_block_merge_implIS3_N6thrust23THRUST_200600_302600_NS6detail15normal_iteratorINS9_10device_ptrIsEEEEPS5_m14custom_greaterIsEEE10hipError_tT0_T1_T2_jT3_P12ihipStream_tbPNSt15iterator_traitsISJ_E10value_typeEPNSP_ISK_E10value_typeEPSL_NS1_7vsmem_tEENKUlT_SJ_SK_SL_E_clIPsSE_SF_SF_EESI_SY_SJ_SK_SL_EUlSY_E0_NS1_11comp_targetILNS1_3genE4ELNS1_11target_archE910ELNS1_3gpuE8ELNS1_3repE0EEENS1_38merge_mergepath_config_static_selectorELNS0_4arch9wavefront6targetE1EEEvSK_.kd
    .uniform_work_group_size: 1
    .uses_dynamic_stack: false
    .vgpr_count:     26
    .vgpr_spill_count: 0
    .wavefront_size: 64
  - .agpr_count:     0
    .args:
      - .offset:         0
        .size:           72
        .value_kind:     by_value
    .group_segment_fixed_size: 0
    .kernarg_segment_align: 8
    .kernarg_segment_size: 72
    .language:       OpenCL C
    .language_version:
      - 2
      - 0
    .max_flat_workgroup_size: 128
    .name:           _ZN7rocprim17ROCPRIM_400000_NS6detail17trampoline_kernelINS0_14default_configENS1_38merge_sort_block_merge_config_selectorIsNS0_10empty_typeEEEZZNS1_27merge_sort_block_merge_implIS3_N6thrust23THRUST_200600_302600_NS6detail15normal_iteratorINS9_10device_ptrIsEEEEPS5_m14custom_greaterIsEEE10hipError_tT0_T1_T2_jT3_P12ihipStream_tbPNSt15iterator_traitsISJ_E10value_typeEPNSP_ISK_E10value_typeEPSL_NS1_7vsmem_tEENKUlT_SJ_SK_SL_E_clIPsSE_SF_SF_EESI_SY_SJ_SK_SL_EUlSY_E0_NS1_11comp_targetILNS1_3genE3ELNS1_11target_archE908ELNS1_3gpuE7ELNS1_3repE0EEENS1_38merge_mergepath_config_static_selectorELNS0_4arch9wavefront6targetE1EEEvSK_
    .private_segment_fixed_size: 0
    .sgpr_count:     4
    .sgpr_spill_count: 0
    .symbol:         _ZN7rocprim17ROCPRIM_400000_NS6detail17trampoline_kernelINS0_14default_configENS1_38merge_sort_block_merge_config_selectorIsNS0_10empty_typeEEEZZNS1_27merge_sort_block_merge_implIS3_N6thrust23THRUST_200600_302600_NS6detail15normal_iteratorINS9_10device_ptrIsEEEEPS5_m14custom_greaterIsEEE10hipError_tT0_T1_T2_jT3_P12ihipStream_tbPNSt15iterator_traitsISJ_E10value_typeEPNSP_ISK_E10value_typeEPSL_NS1_7vsmem_tEENKUlT_SJ_SK_SL_E_clIPsSE_SF_SF_EESI_SY_SJ_SK_SL_EUlSY_E0_NS1_11comp_targetILNS1_3genE3ELNS1_11target_archE908ELNS1_3gpuE7ELNS1_3repE0EEENS1_38merge_mergepath_config_static_selectorELNS0_4arch9wavefront6targetE1EEEvSK_.kd
    .uniform_work_group_size: 1
    .uses_dynamic_stack: false
    .vgpr_count:     0
    .vgpr_spill_count: 0
    .wavefront_size: 64
  - .agpr_count:     0
    .args:
      - .offset:         0
        .size:           72
        .value_kind:     by_value
    .group_segment_fixed_size: 0
    .kernarg_segment_align: 8
    .kernarg_segment_size: 72
    .language:       OpenCL C
    .language_version:
      - 2
      - 0
    .max_flat_workgroup_size: 128
    .name:           _ZN7rocprim17ROCPRIM_400000_NS6detail17trampoline_kernelINS0_14default_configENS1_38merge_sort_block_merge_config_selectorIsNS0_10empty_typeEEEZZNS1_27merge_sort_block_merge_implIS3_N6thrust23THRUST_200600_302600_NS6detail15normal_iteratorINS9_10device_ptrIsEEEEPS5_m14custom_greaterIsEEE10hipError_tT0_T1_T2_jT3_P12ihipStream_tbPNSt15iterator_traitsISJ_E10value_typeEPNSP_ISK_E10value_typeEPSL_NS1_7vsmem_tEENKUlT_SJ_SK_SL_E_clIPsSE_SF_SF_EESI_SY_SJ_SK_SL_EUlSY_E0_NS1_11comp_targetILNS1_3genE2ELNS1_11target_archE906ELNS1_3gpuE6ELNS1_3repE0EEENS1_38merge_mergepath_config_static_selectorELNS0_4arch9wavefront6targetE1EEEvSK_
    .private_segment_fixed_size: 0
    .sgpr_count:     4
    .sgpr_spill_count: 0
    .symbol:         _ZN7rocprim17ROCPRIM_400000_NS6detail17trampoline_kernelINS0_14default_configENS1_38merge_sort_block_merge_config_selectorIsNS0_10empty_typeEEEZZNS1_27merge_sort_block_merge_implIS3_N6thrust23THRUST_200600_302600_NS6detail15normal_iteratorINS9_10device_ptrIsEEEEPS5_m14custom_greaterIsEEE10hipError_tT0_T1_T2_jT3_P12ihipStream_tbPNSt15iterator_traitsISJ_E10value_typeEPNSP_ISK_E10value_typeEPSL_NS1_7vsmem_tEENKUlT_SJ_SK_SL_E_clIPsSE_SF_SF_EESI_SY_SJ_SK_SL_EUlSY_E0_NS1_11comp_targetILNS1_3genE2ELNS1_11target_archE906ELNS1_3gpuE6ELNS1_3repE0EEENS1_38merge_mergepath_config_static_selectorELNS0_4arch9wavefront6targetE1EEEvSK_.kd
    .uniform_work_group_size: 1
    .uses_dynamic_stack: false
    .vgpr_count:     0
    .vgpr_spill_count: 0
    .wavefront_size: 64
  - .agpr_count:     0
    .args:
      - .offset:         0
        .size:           72
        .value_kind:     by_value
    .group_segment_fixed_size: 0
    .kernarg_segment_align: 8
    .kernarg_segment_size: 72
    .language:       OpenCL C
    .language_version:
      - 2
      - 0
    .max_flat_workgroup_size: 128
    .name:           _ZN7rocprim17ROCPRIM_400000_NS6detail17trampoline_kernelINS0_14default_configENS1_38merge_sort_block_merge_config_selectorIsNS0_10empty_typeEEEZZNS1_27merge_sort_block_merge_implIS3_N6thrust23THRUST_200600_302600_NS6detail15normal_iteratorINS9_10device_ptrIsEEEEPS5_m14custom_greaterIsEEE10hipError_tT0_T1_T2_jT3_P12ihipStream_tbPNSt15iterator_traitsISJ_E10value_typeEPNSP_ISK_E10value_typeEPSL_NS1_7vsmem_tEENKUlT_SJ_SK_SL_E_clIPsSE_SF_SF_EESI_SY_SJ_SK_SL_EUlSY_E0_NS1_11comp_targetILNS1_3genE9ELNS1_11target_archE1100ELNS1_3gpuE3ELNS1_3repE0EEENS1_38merge_mergepath_config_static_selectorELNS0_4arch9wavefront6targetE1EEEvSK_
    .private_segment_fixed_size: 0
    .sgpr_count:     4
    .sgpr_spill_count: 0
    .symbol:         _ZN7rocprim17ROCPRIM_400000_NS6detail17trampoline_kernelINS0_14default_configENS1_38merge_sort_block_merge_config_selectorIsNS0_10empty_typeEEEZZNS1_27merge_sort_block_merge_implIS3_N6thrust23THRUST_200600_302600_NS6detail15normal_iteratorINS9_10device_ptrIsEEEEPS5_m14custom_greaterIsEEE10hipError_tT0_T1_T2_jT3_P12ihipStream_tbPNSt15iterator_traitsISJ_E10value_typeEPNSP_ISK_E10value_typeEPSL_NS1_7vsmem_tEENKUlT_SJ_SK_SL_E_clIPsSE_SF_SF_EESI_SY_SJ_SK_SL_EUlSY_E0_NS1_11comp_targetILNS1_3genE9ELNS1_11target_archE1100ELNS1_3gpuE3ELNS1_3repE0EEENS1_38merge_mergepath_config_static_selectorELNS0_4arch9wavefront6targetE1EEEvSK_.kd
    .uniform_work_group_size: 1
    .uses_dynamic_stack: false
    .vgpr_count:     0
    .vgpr_spill_count: 0
    .wavefront_size: 64
  - .agpr_count:     0
    .args:
      - .offset:         0
        .size:           72
        .value_kind:     by_value
    .group_segment_fixed_size: 0
    .kernarg_segment_align: 8
    .kernarg_segment_size: 72
    .language:       OpenCL C
    .language_version:
      - 2
      - 0
    .max_flat_workgroup_size: 128
    .name:           _ZN7rocprim17ROCPRIM_400000_NS6detail17trampoline_kernelINS0_14default_configENS1_38merge_sort_block_merge_config_selectorIsNS0_10empty_typeEEEZZNS1_27merge_sort_block_merge_implIS3_N6thrust23THRUST_200600_302600_NS6detail15normal_iteratorINS9_10device_ptrIsEEEEPS5_m14custom_greaterIsEEE10hipError_tT0_T1_T2_jT3_P12ihipStream_tbPNSt15iterator_traitsISJ_E10value_typeEPNSP_ISK_E10value_typeEPSL_NS1_7vsmem_tEENKUlT_SJ_SK_SL_E_clIPsSE_SF_SF_EESI_SY_SJ_SK_SL_EUlSY_E0_NS1_11comp_targetILNS1_3genE8ELNS1_11target_archE1030ELNS1_3gpuE2ELNS1_3repE0EEENS1_38merge_mergepath_config_static_selectorELNS0_4arch9wavefront6targetE1EEEvSK_
    .private_segment_fixed_size: 0
    .sgpr_count:     4
    .sgpr_spill_count: 0
    .symbol:         _ZN7rocprim17ROCPRIM_400000_NS6detail17trampoline_kernelINS0_14default_configENS1_38merge_sort_block_merge_config_selectorIsNS0_10empty_typeEEEZZNS1_27merge_sort_block_merge_implIS3_N6thrust23THRUST_200600_302600_NS6detail15normal_iteratorINS9_10device_ptrIsEEEEPS5_m14custom_greaterIsEEE10hipError_tT0_T1_T2_jT3_P12ihipStream_tbPNSt15iterator_traitsISJ_E10value_typeEPNSP_ISK_E10value_typeEPSL_NS1_7vsmem_tEENKUlT_SJ_SK_SL_E_clIPsSE_SF_SF_EESI_SY_SJ_SK_SL_EUlSY_E0_NS1_11comp_targetILNS1_3genE8ELNS1_11target_archE1030ELNS1_3gpuE2ELNS1_3repE0EEENS1_38merge_mergepath_config_static_selectorELNS0_4arch9wavefront6targetE1EEEvSK_.kd
    .uniform_work_group_size: 1
    .uses_dynamic_stack: false
    .vgpr_count:     0
    .vgpr_spill_count: 0
    .wavefront_size: 64
  - .agpr_count:     0
    .args:
      - .offset:         0
        .size:           56
        .value_kind:     by_value
    .group_segment_fixed_size: 0
    .kernarg_segment_align: 8
    .kernarg_segment_size: 56
    .language:       OpenCL C
    .language_version:
      - 2
      - 0
    .max_flat_workgroup_size: 256
    .name:           _ZN7rocprim17ROCPRIM_400000_NS6detail17trampoline_kernelINS0_14default_configENS1_38merge_sort_block_merge_config_selectorIsNS0_10empty_typeEEEZZNS1_27merge_sort_block_merge_implIS3_N6thrust23THRUST_200600_302600_NS6detail15normal_iteratorINS9_10device_ptrIsEEEEPS5_m14custom_greaterIsEEE10hipError_tT0_T1_T2_jT3_P12ihipStream_tbPNSt15iterator_traitsISJ_E10value_typeEPNSP_ISK_E10value_typeEPSL_NS1_7vsmem_tEENKUlT_SJ_SK_SL_E_clIPsSE_SF_SF_EESI_SY_SJ_SK_SL_EUlSY_E1_NS1_11comp_targetILNS1_3genE0ELNS1_11target_archE4294967295ELNS1_3gpuE0ELNS1_3repE0EEENS1_36merge_oddeven_config_static_selectorELNS0_4arch9wavefront6targetE1EEEvSK_
    .private_segment_fixed_size: 0
    .sgpr_count:     4
    .sgpr_spill_count: 0
    .symbol:         _ZN7rocprim17ROCPRIM_400000_NS6detail17trampoline_kernelINS0_14default_configENS1_38merge_sort_block_merge_config_selectorIsNS0_10empty_typeEEEZZNS1_27merge_sort_block_merge_implIS3_N6thrust23THRUST_200600_302600_NS6detail15normal_iteratorINS9_10device_ptrIsEEEEPS5_m14custom_greaterIsEEE10hipError_tT0_T1_T2_jT3_P12ihipStream_tbPNSt15iterator_traitsISJ_E10value_typeEPNSP_ISK_E10value_typeEPSL_NS1_7vsmem_tEENKUlT_SJ_SK_SL_E_clIPsSE_SF_SF_EESI_SY_SJ_SK_SL_EUlSY_E1_NS1_11comp_targetILNS1_3genE0ELNS1_11target_archE4294967295ELNS1_3gpuE0ELNS1_3repE0EEENS1_36merge_oddeven_config_static_selectorELNS0_4arch9wavefront6targetE1EEEvSK_.kd
    .uniform_work_group_size: 1
    .uses_dynamic_stack: false
    .vgpr_count:     0
    .vgpr_spill_count: 0
    .wavefront_size: 64
  - .agpr_count:     0
    .args:
      - .offset:         0
        .size:           56
        .value_kind:     by_value
    .group_segment_fixed_size: 0
    .kernarg_segment_align: 8
    .kernarg_segment_size: 56
    .language:       OpenCL C
    .language_version:
      - 2
      - 0
    .max_flat_workgroup_size: 256
    .name:           _ZN7rocprim17ROCPRIM_400000_NS6detail17trampoline_kernelINS0_14default_configENS1_38merge_sort_block_merge_config_selectorIsNS0_10empty_typeEEEZZNS1_27merge_sort_block_merge_implIS3_N6thrust23THRUST_200600_302600_NS6detail15normal_iteratorINS9_10device_ptrIsEEEEPS5_m14custom_greaterIsEEE10hipError_tT0_T1_T2_jT3_P12ihipStream_tbPNSt15iterator_traitsISJ_E10value_typeEPNSP_ISK_E10value_typeEPSL_NS1_7vsmem_tEENKUlT_SJ_SK_SL_E_clIPsSE_SF_SF_EESI_SY_SJ_SK_SL_EUlSY_E1_NS1_11comp_targetILNS1_3genE10ELNS1_11target_archE1201ELNS1_3gpuE5ELNS1_3repE0EEENS1_36merge_oddeven_config_static_selectorELNS0_4arch9wavefront6targetE1EEEvSK_
    .private_segment_fixed_size: 0
    .sgpr_count:     4
    .sgpr_spill_count: 0
    .symbol:         _ZN7rocprim17ROCPRIM_400000_NS6detail17trampoline_kernelINS0_14default_configENS1_38merge_sort_block_merge_config_selectorIsNS0_10empty_typeEEEZZNS1_27merge_sort_block_merge_implIS3_N6thrust23THRUST_200600_302600_NS6detail15normal_iteratorINS9_10device_ptrIsEEEEPS5_m14custom_greaterIsEEE10hipError_tT0_T1_T2_jT3_P12ihipStream_tbPNSt15iterator_traitsISJ_E10value_typeEPNSP_ISK_E10value_typeEPSL_NS1_7vsmem_tEENKUlT_SJ_SK_SL_E_clIPsSE_SF_SF_EESI_SY_SJ_SK_SL_EUlSY_E1_NS1_11comp_targetILNS1_3genE10ELNS1_11target_archE1201ELNS1_3gpuE5ELNS1_3repE0EEENS1_36merge_oddeven_config_static_selectorELNS0_4arch9wavefront6targetE1EEEvSK_.kd
    .uniform_work_group_size: 1
    .uses_dynamic_stack: false
    .vgpr_count:     0
    .vgpr_spill_count: 0
    .wavefront_size: 64
  - .agpr_count:     0
    .args:
      - .offset:         0
        .size:           56
        .value_kind:     by_value
    .group_segment_fixed_size: 0
    .kernarg_segment_align: 8
    .kernarg_segment_size: 56
    .language:       OpenCL C
    .language_version:
      - 2
      - 0
    .max_flat_workgroup_size: 256
    .name:           _ZN7rocprim17ROCPRIM_400000_NS6detail17trampoline_kernelINS0_14default_configENS1_38merge_sort_block_merge_config_selectorIsNS0_10empty_typeEEEZZNS1_27merge_sort_block_merge_implIS3_N6thrust23THRUST_200600_302600_NS6detail15normal_iteratorINS9_10device_ptrIsEEEEPS5_m14custom_greaterIsEEE10hipError_tT0_T1_T2_jT3_P12ihipStream_tbPNSt15iterator_traitsISJ_E10value_typeEPNSP_ISK_E10value_typeEPSL_NS1_7vsmem_tEENKUlT_SJ_SK_SL_E_clIPsSE_SF_SF_EESI_SY_SJ_SK_SL_EUlSY_E1_NS1_11comp_targetILNS1_3genE5ELNS1_11target_archE942ELNS1_3gpuE9ELNS1_3repE0EEENS1_36merge_oddeven_config_static_selectorELNS0_4arch9wavefront6targetE1EEEvSK_
    .private_segment_fixed_size: 0
    .sgpr_count:     4
    .sgpr_spill_count: 0
    .symbol:         _ZN7rocprim17ROCPRIM_400000_NS6detail17trampoline_kernelINS0_14default_configENS1_38merge_sort_block_merge_config_selectorIsNS0_10empty_typeEEEZZNS1_27merge_sort_block_merge_implIS3_N6thrust23THRUST_200600_302600_NS6detail15normal_iteratorINS9_10device_ptrIsEEEEPS5_m14custom_greaterIsEEE10hipError_tT0_T1_T2_jT3_P12ihipStream_tbPNSt15iterator_traitsISJ_E10value_typeEPNSP_ISK_E10value_typeEPSL_NS1_7vsmem_tEENKUlT_SJ_SK_SL_E_clIPsSE_SF_SF_EESI_SY_SJ_SK_SL_EUlSY_E1_NS1_11comp_targetILNS1_3genE5ELNS1_11target_archE942ELNS1_3gpuE9ELNS1_3repE0EEENS1_36merge_oddeven_config_static_selectorELNS0_4arch9wavefront6targetE1EEEvSK_.kd
    .uniform_work_group_size: 1
    .uses_dynamic_stack: false
    .vgpr_count:     0
    .vgpr_spill_count: 0
    .wavefront_size: 64
  - .agpr_count:     0
    .args:
      - .offset:         0
        .size:           56
        .value_kind:     by_value
    .group_segment_fixed_size: 0
    .kernarg_segment_align: 8
    .kernarg_segment_size: 56
    .language:       OpenCL C
    .language_version:
      - 2
      - 0
    .max_flat_workgroup_size: 256
    .name:           _ZN7rocprim17ROCPRIM_400000_NS6detail17trampoline_kernelINS0_14default_configENS1_38merge_sort_block_merge_config_selectorIsNS0_10empty_typeEEEZZNS1_27merge_sort_block_merge_implIS3_N6thrust23THRUST_200600_302600_NS6detail15normal_iteratorINS9_10device_ptrIsEEEEPS5_m14custom_greaterIsEEE10hipError_tT0_T1_T2_jT3_P12ihipStream_tbPNSt15iterator_traitsISJ_E10value_typeEPNSP_ISK_E10value_typeEPSL_NS1_7vsmem_tEENKUlT_SJ_SK_SL_E_clIPsSE_SF_SF_EESI_SY_SJ_SK_SL_EUlSY_E1_NS1_11comp_targetILNS1_3genE4ELNS1_11target_archE910ELNS1_3gpuE8ELNS1_3repE0EEENS1_36merge_oddeven_config_static_selectorELNS0_4arch9wavefront6targetE1EEEvSK_
    .private_segment_fixed_size: 0
    .sgpr_count:     25
    .sgpr_spill_count: 0
    .symbol:         _ZN7rocprim17ROCPRIM_400000_NS6detail17trampoline_kernelINS0_14default_configENS1_38merge_sort_block_merge_config_selectorIsNS0_10empty_typeEEEZZNS1_27merge_sort_block_merge_implIS3_N6thrust23THRUST_200600_302600_NS6detail15normal_iteratorINS9_10device_ptrIsEEEEPS5_m14custom_greaterIsEEE10hipError_tT0_T1_T2_jT3_P12ihipStream_tbPNSt15iterator_traitsISJ_E10value_typeEPNSP_ISK_E10value_typeEPSL_NS1_7vsmem_tEENKUlT_SJ_SK_SL_E_clIPsSE_SF_SF_EESI_SY_SJ_SK_SL_EUlSY_E1_NS1_11comp_targetILNS1_3genE4ELNS1_11target_archE910ELNS1_3gpuE8ELNS1_3repE0EEENS1_36merge_oddeven_config_static_selectorELNS0_4arch9wavefront6targetE1EEEvSK_.kd
    .uniform_work_group_size: 1
    .uses_dynamic_stack: false
    .vgpr_count:     8
    .vgpr_spill_count: 0
    .wavefront_size: 64
  - .agpr_count:     0
    .args:
      - .offset:         0
        .size:           56
        .value_kind:     by_value
    .group_segment_fixed_size: 0
    .kernarg_segment_align: 8
    .kernarg_segment_size: 56
    .language:       OpenCL C
    .language_version:
      - 2
      - 0
    .max_flat_workgroup_size: 256
    .name:           _ZN7rocprim17ROCPRIM_400000_NS6detail17trampoline_kernelINS0_14default_configENS1_38merge_sort_block_merge_config_selectorIsNS0_10empty_typeEEEZZNS1_27merge_sort_block_merge_implIS3_N6thrust23THRUST_200600_302600_NS6detail15normal_iteratorINS9_10device_ptrIsEEEEPS5_m14custom_greaterIsEEE10hipError_tT0_T1_T2_jT3_P12ihipStream_tbPNSt15iterator_traitsISJ_E10value_typeEPNSP_ISK_E10value_typeEPSL_NS1_7vsmem_tEENKUlT_SJ_SK_SL_E_clIPsSE_SF_SF_EESI_SY_SJ_SK_SL_EUlSY_E1_NS1_11comp_targetILNS1_3genE3ELNS1_11target_archE908ELNS1_3gpuE7ELNS1_3repE0EEENS1_36merge_oddeven_config_static_selectorELNS0_4arch9wavefront6targetE1EEEvSK_
    .private_segment_fixed_size: 0
    .sgpr_count:     4
    .sgpr_spill_count: 0
    .symbol:         _ZN7rocprim17ROCPRIM_400000_NS6detail17trampoline_kernelINS0_14default_configENS1_38merge_sort_block_merge_config_selectorIsNS0_10empty_typeEEEZZNS1_27merge_sort_block_merge_implIS3_N6thrust23THRUST_200600_302600_NS6detail15normal_iteratorINS9_10device_ptrIsEEEEPS5_m14custom_greaterIsEEE10hipError_tT0_T1_T2_jT3_P12ihipStream_tbPNSt15iterator_traitsISJ_E10value_typeEPNSP_ISK_E10value_typeEPSL_NS1_7vsmem_tEENKUlT_SJ_SK_SL_E_clIPsSE_SF_SF_EESI_SY_SJ_SK_SL_EUlSY_E1_NS1_11comp_targetILNS1_3genE3ELNS1_11target_archE908ELNS1_3gpuE7ELNS1_3repE0EEENS1_36merge_oddeven_config_static_selectorELNS0_4arch9wavefront6targetE1EEEvSK_.kd
    .uniform_work_group_size: 1
    .uses_dynamic_stack: false
    .vgpr_count:     0
    .vgpr_spill_count: 0
    .wavefront_size: 64
  - .agpr_count:     0
    .args:
      - .offset:         0
        .size:           56
        .value_kind:     by_value
    .group_segment_fixed_size: 0
    .kernarg_segment_align: 8
    .kernarg_segment_size: 56
    .language:       OpenCL C
    .language_version:
      - 2
      - 0
    .max_flat_workgroup_size: 256
    .name:           _ZN7rocprim17ROCPRIM_400000_NS6detail17trampoline_kernelINS0_14default_configENS1_38merge_sort_block_merge_config_selectorIsNS0_10empty_typeEEEZZNS1_27merge_sort_block_merge_implIS3_N6thrust23THRUST_200600_302600_NS6detail15normal_iteratorINS9_10device_ptrIsEEEEPS5_m14custom_greaterIsEEE10hipError_tT0_T1_T2_jT3_P12ihipStream_tbPNSt15iterator_traitsISJ_E10value_typeEPNSP_ISK_E10value_typeEPSL_NS1_7vsmem_tEENKUlT_SJ_SK_SL_E_clIPsSE_SF_SF_EESI_SY_SJ_SK_SL_EUlSY_E1_NS1_11comp_targetILNS1_3genE2ELNS1_11target_archE906ELNS1_3gpuE6ELNS1_3repE0EEENS1_36merge_oddeven_config_static_selectorELNS0_4arch9wavefront6targetE1EEEvSK_
    .private_segment_fixed_size: 0
    .sgpr_count:     4
    .sgpr_spill_count: 0
    .symbol:         _ZN7rocprim17ROCPRIM_400000_NS6detail17trampoline_kernelINS0_14default_configENS1_38merge_sort_block_merge_config_selectorIsNS0_10empty_typeEEEZZNS1_27merge_sort_block_merge_implIS3_N6thrust23THRUST_200600_302600_NS6detail15normal_iteratorINS9_10device_ptrIsEEEEPS5_m14custom_greaterIsEEE10hipError_tT0_T1_T2_jT3_P12ihipStream_tbPNSt15iterator_traitsISJ_E10value_typeEPNSP_ISK_E10value_typeEPSL_NS1_7vsmem_tEENKUlT_SJ_SK_SL_E_clIPsSE_SF_SF_EESI_SY_SJ_SK_SL_EUlSY_E1_NS1_11comp_targetILNS1_3genE2ELNS1_11target_archE906ELNS1_3gpuE6ELNS1_3repE0EEENS1_36merge_oddeven_config_static_selectorELNS0_4arch9wavefront6targetE1EEEvSK_.kd
    .uniform_work_group_size: 1
    .uses_dynamic_stack: false
    .vgpr_count:     0
    .vgpr_spill_count: 0
    .wavefront_size: 64
  - .agpr_count:     0
    .args:
      - .offset:         0
        .size:           56
        .value_kind:     by_value
    .group_segment_fixed_size: 0
    .kernarg_segment_align: 8
    .kernarg_segment_size: 56
    .language:       OpenCL C
    .language_version:
      - 2
      - 0
    .max_flat_workgroup_size: 256
    .name:           _ZN7rocprim17ROCPRIM_400000_NS6detail17trampoline_kernelINS0_14default_configENS1_38merge_sort_block_merge_config_selectorIsNS0_10empty_typeEEEZZNS1_27merge_sort_block_merge_implIS3_N6thrust23THRUST_200600_302600_NS6detail15normal_iteratorINS9_10device_ptrIsEEEEPS5_m14custom_greaterIsEEE10hipError_tT0_T1_T2_jT3_P12ihipStream_tbPNSt15iterator_traitsISJ_E10value_typeEPNSP_ISK_E10value_typeEPSL_NS1_7vsmem_tEENKUlT_SJ_SK_SL_E_clIPsSE_SF_SF_EESI_SY_SJ_SK_SL_EUlSY_E1_NS1_11comp_targetILNS1_3genE9ELNS1_11target_archE1100ELNS1_3gpuE3ELNS1_3repE0EEENS1_36merge_oddeven_config_static_selectorELNS0_4arch9wavefront6targetE1EEEvSK_
    .private_segment_fixed_size: 0
    .sgpr_count:     4
    .sgpr_spill_count: 0
    .symbol:         _ZN7rocprim17ROCPRIM_400000_NS6detail17trampoline_kernelINS0_14default_configENS1_38merge_sort_block_merge_config_selectorIsNS0_10empty_typeEEEZZNS1_27merge_sort_block_merge_implIS3_N6thrust23THRUST_200600_302600_NS6detail15normal_iteratorINS9_10device_ptrIsEEEEPS5_m14custom_greaterIsEEE10hipError_tT0_T1_T2_jT3_P12ihipStream_tbPNSt15iterator_traitsISJ_E10value_typeEPNSP_ISK_E10value_typeEPSL_NS1_7vsmem_tEENKUlT_SJ_SK_SL_E_clIPsSE_SF_SF_EESI_SY_SJ_SK_SL_EUlSY_E1_NS1_11comp_targetILNS1_3genE9ELNS1_11target_archE1100ELNS1_3gpuE3ELNS1_3repE0EEENS1_36merge_oddeven_config_static_selectorELNS0_4arch9wavefront6targetE1EEEvSK_.kd
    .uniform_work_group_size: 1
    .uses_dynamic_stack: false
    .vgpr_count:     0
    .vgpr_spill_count: 0
    .wavefront_size: 64
  - .agpr_count:     0
    .args:
      - .offset:         0
        .size:           56
        .value_kind:     by_value
    .group_segment_fixed_size: 0
    .kernarg_segment_align: 8
    .kernarg_segment_size: 56
    .language:       OpenCL C
    .language_version:
      - 2
      - 0
    .max_flat_workgroup_size: 256
    .name:           _ZN7rocprim17ROCPRIM_400000_NS6detail17trampoline_kernelINS0_14default_configENS1_38merge_sort_block_merge_config_selectorIsNS0_10empty_typeEEEZZNS1_27merge_sort_block_merge_implIS3_N6thrust23THRUST_200600_302600_NS6detail15normal_iteratorINS9_10device_ptrIsEEEEPS5_m14custom_greaterIsEEE10hipError_tT0_T1_T2_jT3_P12ihipStream_tbPNSt15iterator_traitsISJ_E10value_typeEPNSP_ISK_E10value_typeEPSL_NS1_7vsmem_tEENKUlT_SJ_SK_SL_E_clIPsSE_SF_SF_EESI_SY_SJ_SK_SL_EUlSY_E1_NS1_11comp_targetILNS1_3genE8ELNS1_11target_archE1030ELNS1_3gpuE2ELNS1_3repE0EEENS1_36merge_oddeven_config_static_selectorELNS0_4arch9wavefront6targetE1EEEvSK_
    .private_segment_fixed_size: 0
    .sgpr_count:     4
    .sgpr_spill_count: 0
    .symbol:         _ZN7rocprim17ROCPRIM_400000_NS6detail17trampoline_kernelINS0_14default_configENS1_38merge_sort_block_merge_config_selectorIsNS0_10empty_typeEEEZZNS1_27merge_sort_block_merge_implIS3_N6thrust23THRUST_200600_302600_NS6detail15normal_iteratorINS9_10device_ptrIsEEEEPS5_m14custom_greaterIsEEE10hipError_tT0_T1_T2_jT3_P12ihipStream_tbPNSt15iterator_traitsISJ_E10value_typeEPNSP_ISK_E10value_typeEPSL_NS1_7vsmem_tEENKUlT_SJ_SK_SL_E_clIPsSE_SF_SF_EESI_SY_SJ_SK_SL_EUlSY_E1_NS1_11comp_targetILNS1_3genE8ELNS1_11target_archE1030ELNS1_3gpuE2ELNS1_3repE0EEENS1_36merge_oddeven_config_static_selectorELNS0_4arch9wavefront6targetE1EEEvSK_.kd
    .uniform_work_group_size: 1
    .uses_dynamic_stack: false
    .vgpr_count:     0
    .vgpr_spill_count: 0
    .wavefront_size: 64
  - .agpr_count:     0
    .args:
      - .offset:         0
        .size:           48
        .value_kind:     by_value
    .group_segment_fixed_size: 0
    .kernarg_segment_align: 8
    .kernarg_segment_size: 48
    .language:       OpenCL C
    .language_version:
      - 2
      - 0
    .max_flat_workgroup_size: 128
    .name:           _ZN7rocprim17ROCPRIM_400000_NS6detail17trampoline_kernelINS0_14default_configENS1_38merge_sort_block_merge_config_selectorIsNS0_10empty_typeEEEZZNS1_27merge_sort_block_merge_implIS3_N6thrust23THRUST_200600_302600_NS6detail15normal_iteratorINS9_10device_ptrIsEEEEPS5_m14custom_greaterIsEEE10hipError_tT0_T1_T2_jT3_P12ihipStream_tbPNSt15iterator_traitsISJ_E10value_typeEPNSP_ISK_E10value_typeEPSL_NS1_7vsmem_tEENKUlT_SJ_SK_SL_E_clISE_PsSF_SF_EESI_SY_SJ_SK_SL_EUlSY_E_NS1_11comp_targetILNS1_3genE0ELNS1_11target_archE4294967295ELNS1_3gpuE0ELNS1_3repE0EEENS1_48merge_mergepath_partition_config_static_selectorELNS0_4arch9wavefront6targetE1EEEvSK_
    .private_segment_fixed_size: 0
    .sgpr_count:     4
    .sgpr_spill_count: 0
    .symbol:         _ZN7rocprim17ROCPRIM_400000_NS6detail17trampoline_kernelINS0_14default_configENS1_38merge_sort_block_merge_config_selectorIsNS0_10empty_typeEEEZZNS1_27merge_sort_block_merge_implIS3_N6thrust23THRUST_200600_302600_NS6detail15normal_iteratorINS9_10device_ptrIsEEEEPS5_m14custom_greaterIsEEE10hipError_tT0_T1_T2_jT3_P12ihipStream_tbPNSt15iterator_traitsISJ_E10value_typeEPNSP_ISK_E10value_typeEPSL_NS1_7vsmem_tEENKUlT_SJ_SK_SL_E_clISE_PsSF_SF_EESI_SY_SJ_SK_SL_EUlSY_E_NS1_11comp_targetILNS1_3genE0ELNS1_11target_archE4294967295ELNS1_3gpuE0ELNS1_3repE0EEENS1_48merge_mergepath_partition_config_static_selectorELNS0_4arch9wavefront6targetE1EEEvSK_.kd
    .uniform_work_group_size: 1
    .uses_dynamic_stack: false
    .vgpr_count:     0
    .vgpr_spill_count: 0
    .wavefront_size: 64
  - .agpr_count:     0
    .args:
      - .offset:         0
        .size:           48
        .value_kind:     by_value
    .group_segment_fixed_size: 0
    .kernarg_segment_align: 8
    .kernarg_segment_size: 48
    .language:       OpenCL C
    .language_version:
      - 2
      - 0
    .max_flat_workgroup_size: 128
    .name:           _ZN7rocprim17ROCPRIM_400000_NS6detail17trampoline_kernelINS0_14default_configENS1_38merge_sort_block_merge_config_selectorIsNS0_10empty_typeEEEZZNS1_27merge_sort_block_merge_implIS3_N6thrust23THRUST_200600_302600_NS6detail15normal_iteratorINS9_10device_ptrIsEEEEPS5_m14custom_greaterIsEEE10hipError_tT0_T1_T2_jT3_P12ihipStream_tbPNSt15iterator_traitsISJ_E10value_typeEPNSP_ISK_E10value_typeEPSL_NS1_7vsmem_tEENKUlT_SJ_SK_SL_E_clISE_PsSF_SF_EESI_SY_SJ_SK_SL_EUlSY_E_NS1_11comp_targetILNS1_3genE10ELNS1_11target_archE1201ELNS1_3gpuE5ELNS1_3repE0EEENS1_48merge_mergepath_partition_config_static_selectorELNS0_4arch9wavefront6targetE1EEEvSK_
    .private_segment_fixed_size: 0
    .sgpr_count:     4
    .sgpr_spill_count: 0
    .symbol:         _ZN7rocprim17ROCPRIM_400000_NS6detail17trampoline_kernelINS0_14default_configENS1_38merge_sort_block_merge_config_selectorIsNS0_10empty_typeEEEZZNS1_27merge_sort_block_merge_implIS3_N6thrust23THRUST_200600_302600_NS6detail15normal_iteratorINS9_10device_ptrIsEEEEPS5_m14custom_greaterIsEEE10hipError_tT0_T1_T2_jT3_P12ihipStream_tbPNSt15iterator_traitsISJ_E10value_typeEPNSP_ISK_E10value_typeEPSL_NS1_7vsmem_tEENKUlT_SJ_SK_SL_E_clISE_PsSF_SF_EESI_SY_SJ_SK_SL_EUlSY_E_NS1_11comp_targetILNS1_3genE10ELNS1_11target_archE1201ELNS1_3gpuE5ELNS1_3repE0EEENS1_48merge_mergepath_partition_config_static_selectorELNS0_4arch9wavefront6targetE1EEEvSK_.kd
    .uniform_work_group_size: 1
    .uses_dynamic_stack: false
    .vgpr_count:     0
    .vgpr_spill_count: 0
    .wavefront_size: 64
  - .agpr_count:     0
    .args:
      - .offset:         0
        .size:           48
        .value_kind:     by_value
    .group_segment_fixed_size: 0
    .kernarg_segment_align: 8
    .kernarg_segment_size: 48
    .language:       OpenCL C
    .language_version:
      - 2
      - 0
    .max_flat_workgroup_size: 128
    .name:           _ZN7rocprim17ROCPRIM_400000_NS6detail17trampoline_kernelINS0_14default_configENS1_38merge_sort_block_merge_config_selectorIsNS0_10empty_typeEEEZZNS1_27merge_sort_block_merge_implIS3_N6thrust23THRUST_200600_302600_NS6detail15normal_iteratorINS9_10device_ptrIsEEEEPS5_m14custom_greaterIsEEE10hipError_tT0_T1_T2_jT3_P12ihipStream_tbPNSt15iterator_traitsISJ_E10value_typeEPNSP_ISK_E10value_typeEPSL_NS1_7vsmem_tEENKUlT_SJ_SK_SL_E_clISE_PsSF_SF_EESI_SY_SJ_SK_SL_EUlSY_E_NS1_11comp_targetILNS1_3genE5ELNS1_11target_archE942ELNS1_3gpuE9ELNS1_3repE0EEENS1_48merge_mergepath_partition_config_static_selectorELNS0_4arch9wavefront6targetE1EEEvSK_
    .private_segment_fixed_size: 0
    .sgpr_count:     4
    .sgpr_spill_count: 0
    .symbol:         _ZN7rocprim17ROCPRIM_400000_NS6detail17trampoline_kernelINS0_14default_configENS1_38merge_sort_block_merge_config_selectorIsNS0_10empty_typeEEEZZNS1_27merge_sort_block_merge_implIS3_N6thrust23THRUST_200600_302600_NS6detail15normal_iteratorINS9_10device_ptrIsEEEEPS5_m14custom_greaterIsEEE10hipError_tT0_T1_T2_jT3_P12ihipStream_tbPNSt15iterator_traitsISJ_E10value_typeEPNSP_ISK_E10value_typeEPSL_NS1_7vsmem_tEENKUlT_SJ_SK_SL_E_clISE_PsSF_SF_EESI_SY_SJ_SK_SL_EUlSY_E_NS1_11comp_targetILNS1_3genE5ELNS1_11target_archE942ELNS1_3gpuE9ELNS1_3repE0EEENS1_48merge_mergepath_partition_config_static_selectorELNS0_4arch9wavefront6targetE1EEEvSK_.kd
    .uniform_work_group_size: 1
    .uses_dynamic_stack: false
    .vgpr_count:     0
    .vgpr_spill_count: 0
    .wavefront_size: 64
  - .agpr_count:     0
    .args:
      - .offset:         0
        .size:           48
        .value_kind:     by_value
    .group_segment_fixed_size: 0
    .kernarg_segment_align: 8
    .kernarg_segment_size: 48
    .language:       OpenCL C
    .language_version:
      - 2
      - 0
    .max_flat_workgroup_size: 128
    .name:           _ZN7rocprim17ROCPRIM_400000_NS6detail17trampoline_kernelINS0_14default_configENS1_38merge_sort_block_merge_config_selectorIsNS0_10empty_typeEEEZZNS1_27merge_sort_block_merge_implIS3_N6thrust23THRUST_200600_302600_NS6detail15normal_iteratorINS9_10device_ptrIsEEEEPS5_m14custom_greaterIsEEE10hipError_tT0_T1_T2_jT3_P12ihipStream_tbPNSt15iterator_traitsISJ_E10value_typeEPNSP_ISK_E10value_typeEPSL_NS1_7vsmem_tEENKUlT_SJ_SK_SL_E_clISE_PsSF_SF_EESI_SY_SJ_SK_SL_EUlSY_E_NS1_11comp_targetILNS1_3genE4ELNS1_11target_archE910ELNS1_3gpuE8ELNS1_3repE0EEENS1_48merge_mergepath_partition_config_static_selectorELNS0_4arch9wavefront6targetE1EEEvSK_
    .private_segment_fixed_size: 0
    .sgpr_count:     12
    .sgpr_spill_count: 0
    .symbol:         _ZN7rocprim17ROCPRIM_400000_NS6detail17trampoline_kernelINS0_14default_configENS1_38merge_sort_block_merge_config_selectorIsNS0_10empty_typeEEEZZNS1_27merge_sort_block_merge_implIS3_N6thrust23THRUST_200600_302600_NS6detail15normal_iteratorINS9_10device_ptrIsEEEEPS5_m14custom_greaterIsEEE10hipError_tT0_T1_T2_jT3_P12ihipStream_tbPNSt15iterator_traitsISJ_E10value_typeEPNSP_ISK_E10value_typeEPSL_NS1_7vsmem_tEENKUlT_SJ_SK_SL_E_clISE_PsSF_SF_EESI_SY_SJ_SK_SL_EUlSY_E_NS1_11comp_targetILNS1_3genE4ELNS1_11target_archE910ELNS1_3gpuE8ELNS1_3repE0EEENS1_48merge_mergepath_partition_config_static_selectorELNS0_4arch9wavefront6targetE1EEEvSK_.kd
    .uniform_work_group_size: 1
    .uses_dynamic_stack: false
    .vgpr_count:     18
    .vgpr_spill_count: 0
    .wavefront_size: 64
  - .agpr_count:     0
    .args:
      - .offset:         0
        .size:           48
        .value_kind:     by_value
    .group_segment_fixed_size: 0
    .kernarg_segment_align: 8
    .kernarg_segment_size: 48
    .language:       OpenCL C
    .language_version:
      - 2
      - 0
    .max_flat_workgroup_size: 128
    .name:           _ZN7rocprim17ROCPRIM_400000_NS6detail17trampoline_kernelINS0_14default_configENS1_38merge_sort_block_merge_config_selectorIsNS0_10empty_typeEEEZZNS1_27merge_sort_block_merge_implIS3_N6thrust23THRUST_200600_302600_NS6detail15normal_iteratorINS9_10device_ptrIsEEEEPS5_m14custom_greaterIsEEE10hipError_tT0_T1_T2_jT3_P12ihipStream_tbPNSt15iterator_traitsISJ_E10value_typeEPNSP_ISK_E10value_typeEPSL_NS1_7vsmem_tEENKUlT_SJ_SK_SL_E_clISE_PsSF_SF_EESI_SY_SJ_SK_SL_EUlSY_E_NS1_11comp_targetILNS1_3genE3ELNS1_11target_archE908ELNS1_3gpuE7ELNS1_3repE0EEENS1_48merge_mergepath_partition_config_static_selectorELNS0_4arch9wavefront6targetE1EEEvSK_
    .private_segment_fixed_size: 0
    .sgpr_count:     4
    .sgpr_spill_count: 0
    .symbol:         _ZN7rocprim17ROCPRIM_400000_NS6detail17trampoline_kernelINS0_14default_configENS1_38merge_sort_block_merge_config_selectorIsNS0_10empty_typeEEEZZNS1_27merge_sort_block_merge_implIS3_N6thrust23THRUST_200600_302600_NS6detail15normal_iteratorINS9_10device_ptrIsEEEEPS5_m14custom_greaterIsEEE10hipError_tT0_T1_T2_jT3_P12ihipStream_tbPNSt15iterator_traitsISJ_E10value_typeEPNSP_ISK_E10value_typeEPSL_NS1_7vsmem_tEENKUlT_SJ_SK_SL_E_clISE_PsSF_SF_EESI_SY_SJ_SK_SL_EUlSY_E_NS1_11comp_targetILNS1_3genE3ELNS1_11target_archE908ELNS1_3gpuE7ELNS1_3repE0EEENS1_48merge_mergepath_partition_config_static_selectorELNS0_4arch9wavefront6targetE1EEEvSK_.kd
    .uniform_work_group_size: 1
    .uses_dynamic_stack: false
    .vgpr_count:     0
    .vgpr_spill_count: 0
    .wavefront_size: 64
  - .agpr_count:     0
    .args:
      - .offset:         0
        .size:           48
        .value_kind:     by_value
    .group_segment_fixed_size: 0
    .kernarg_segment_align: 8
    .kernarg_segment_size: 48
    .language:       OpenCL C
    .language_version:
      - 2
      - 0
    .max_flat_workgroup_size: 128
    .name:           _ZN7rocprim17ROCPRIM_400000_NS6detail17trampoline_kernelINS0_14default_configENS1_38merge_sort_block_merge_config_selectorIsNS0_10empty_typeEEEZZNS1_27merge_sort_block_merge_implIS3_N6thrust23THRUST_200600_302600_NS6detail15normal_iteratorINS9_10device_ptrIsEEEEPS5_m14custom_greaterIsEEE10hipError_tT0_T1_T2_jT3_P12ihipStream_tbPNSt15iterator_traitsISJ_E10value_typeEPNSP_ISK_E10value_typeEPSL_NS1_7vsmem_tEENKUlT_SJ_SK_SL_E_clISE_PsSF_SF_EESI_SY_SJ_SK_SL_EUlSY_E_NS1_11comp_targetILNS1_3genE2ELNS1_11target_archE906ELNS1_3gpuE6ELNS1_3repE0EEENS1_48merge_mergepath_partition_config_static_selectorELNS0_4arch9wavefront6targetE1EEEvSK_
    .private_segment_fixed_size: 0
    .sgpr_count:     4
    .sgpr_spill_count: 0
    .symbol:         _ZN7rocprim17ROCPRIM_400000_NS6detail17trampoline_kernelINS0_14default_configENS1_38merge_sort_block_merge_config_selectorIsNS0_10empty_typeEEEZZNS1_27merge_sort_block_merge_implIS3_N6thrust23THRUST_200600_302600_NS6detail15normal_iteratorINS9_10device_ptrIsEEEEPS5_m14custom_greaterIsEEE10hipError_tT0_T1_T2_jT3_P12ihipStream_tbPNSt15iterator_traitsISJ_E10value_typeEPNSP_ISK_E10value_typeEPSL_NS1_7vsmem_tEENKUlT_SJ_SK_SL_E_clISE_PsSF_SF_EESI_SY_SJ_SK_SL_EUlSY_E_NS1_11comp_targetILNS1_3genE2ELNS1_11target_archE906ELNS1_3gpuE6ELNS1_3repE0EEENS1_48merge_mergepath_partition_config_static_selectorELNS0_4arch9wavefront6targetE1EEEvSK_.kd
    .uniform_work_group_size: 1
    .uses_dynamic_stack: false
    .vgpr_count:     0
    .vgpr_spill_count: 0
    .wavefront_size: 64
  - .agpr_count:     0
    .args:
      - .offset:         0
        .size:           48
        .value_kind:     by_value
    .group_segment_fixed_size: 0
    .kernarg_segment_align: 8
    .kernarg_segment_size: 48
    .language:       OpenCL C
    .language_version:
      - 2
      - 0
    .max_flat_workgroup_size: 128
    .name:           _ZN7rocprim17ROCPRIM_400000_NS6detail17trampoline_kernelINS0_14default_configENS1_38merge_sort_block_merge_config_selectorIsNS0_10empty_typeEEEZZNS1_27merge_sort_block_merge_implIS3_N6thrust23THRUST_200600_302600_NS6detail15normal_iteratorINS9_10device_ptrIsEEEEPS5_m14custom_greaterIsEEE10hipError_tT0_T1_T2_jT3_P12ihipStream_tbPNSt15iterator_traitsISJ_E10value_typeEPNSP_ISK_E10value_typeEPSL_NS1_7vsmem_tEENKUlT_SJ_SK_SL_E_clISE_PsSF_SF_EESI_SY_SJ_SK_SL_EUlSY_E_NS1_11comp_targetILNS1_3genE9ELNS1_11target_archE1100ELNS1_3gpuE3ELNS1_3repE0EEENS1_48merge_mergepath_partition_config_static_selectorELNS0_4arch9wavefront6targetE1EEEvSK_
    .private_segment_fixed_size: 0
    .sgpr_count:     4
    .sgpr_spill_count: 0
    .symbol:         _ZN7rocprim17ROCPRIM_400000_NS6detail17trampoline_kernelINS0_14default_configENS1_38merge_sort_block_merge_config_selectorIsNS0_10empty_typeEEEZZNS1_27merge_sort_block_merge_implIS3_N6thrust23THRUST_200600_302600_NS6detail15normal_iteratorINS9_10device_ptrIsEEEEPS5_m14custom_greaterIsEEE10hipError_tT0_T1_T2_jT3_P12ihipStream_tbPNSt15iterator_traitsISJ_E10value_typeEPNSP_ISK_E10value_typeEPSL_NS1_7vsmem_tEENKUlT_SJ_SK_SL_E_clISE_PsSF_SF_EESI_SY_SJ_SK_SL_EUlSY_E_NS1_11comp_targetILNS1_3genE9ELNS1_11target_archE1100ELNS1_3gpuE3ELNS1_3repE0EEENS1_48merge_mergepath_partition_config_static_selectorELNS0_4arch9wavefront6targetE1EEEvSK_.kd
    .uniform_work_group_size: 1
    .uses_dynamic_stack: false
    .vgpr_count:     0
    .vgpr_spill_count: 0
    .wavefront_size: 64
  - .agpr_count:     0
    .args:
      - .offset:         0
        .size:           48
        .value_kind:     by_value
    .group_segment_fixed_size: 0
    .kernarg_segment_align: 8
    .kernarg_segment_size: 48
    .language:       OpenCL C
    .language_version:
      - 2
      - 0
    .max_flat_workgroup_size: 128
    .name:           _ZN7rocprim17ROCPRIM_400000_NS6detail17trampoline_kernelINS0_14default_configENS1_38merge_sort_block_merge_config_selectorIsNS0_10empty_typeEEEZZNS1_27merge_sort_block_merge_implIS3_N6thrust23THRUST_200600_302600_NS6detail15normal_iteratorINS9_10device_ptrIsEEEEPS5_m14custom_greaterIsEEE10hipError_tT0_T1_T2_jT3_P12ihipStream_tbPNSt15iterator_traitsISJ_E10value_typeEPNSP_ISK_E10value_typeEPSL_NS1_7vsmem_tEENKUlT_SJ_SK_SL_E_clISE_PsSF_SF_EESI_SY_SJ_SK_SL_EUlSY_E_NS1_11comp_targetILNS1_3genE8ELNS1_11target_archE1030ELNS1_3gpuE2ELNS1_3repE0EEENS1_48merge_mergepath_partition_config_static_selectorELNS0_4arch9wavefront6targetE1EEEvSK_
    .private_segment_fixed_size: 0
    .sgpr_count:     4
    .sgpr_spill_count: 0
    .symbol:         _ZN7rocprim17ROCPRIM_400000_NS6detail17trampoline_kernelINS0_14default_configENS1_38merge_sort_block_merge_config_selectorIsNS0_10empty_typeEEEZZNS1_27merge_sort_block_merge_implIS3_N6thrust23THRUST_200600_302600_NS6detail15normal_iteratorINS9_10device_ptrIsEEEEPS5_m14custom_greaterIsEEE10hipError_tT0_T1_T2_jT3_P12ihipStream_tbPNSt15iterator_traitsISJ_E10value_typeEPNSP_ISK_E10value_typeEPSL_NS1_7vsmem_tEENKUlT_SJ_SK_SL_E_clISE_PsSF_SF_EESI_SY_SJ_SK_SL_EUlSY_E_NS1_11comp_targetILNS1_3genE8ELNS1_11target_archE1030ELNS1_3gpuE2ELNS1_3repE0EEENS1_48merge_mergepath_partition_config_static_selectorELNS0_4arch9wavefront6targetE1EEEvSK_.kd
    .uniform_work_group_size: 1
    .uses_dynamic_stack: false
    .vgpr_count:     0
    .vgpr_spill_count: 0
    .wavefront_size: 64
  - .agpr_count:     0
    .args:
      - .offset:         0
        .size:           72
        .value_kind:     by_value
    .group_segment_fixed_size: 0
    .kernarg_segment_align: 8
    .kernarg_segment_size: 72
    .language:       OpenCL C
    .language_version:
      - 2
      - 0
    .max_flat_workgroup_size: 128
    .name:           _ZN7rocprim17ROCPRIM_400000_NS6detail17trampoline_kernelINS0_14default_configENS1_38merge_sort_block_merge_config_selectorIsNS0_10empty_typeEEEZZNS1_27merge_sort_block_merge_implIS3_N6thrust23THRUST_200600_302600_NS6detail15normal_iteratorINS9_10device_ptrIsEEEEPS5_m14custom_greaterIsEEE10hipError_tT0_T1_T2_jT3_P12ihipStream_tbPNSt15iterator_traitsISJ_E10value_typeEPNSP_ISK_E10value_typeEPSL_NS1_7vsmem_tEENKUlT_SJ_SK_SL_E_clISE_PsSF_SF_EESI_SY_SJ_SK_SL_EUlSY_E0_NS1_11comp_targetILNS1_3genE0ELNS1_11target_archE4294967295ELNS1_3gpuE0ELNS1_3repE0EEENS1_38merge_mergepath_config_static_selectorELNS0_4arch9wavefront6targetE1EEEvSK_
    .private_segment_fixed_size: 0
    .sgpr_count:     4
    .sgpr_spill_count: 0
    .symbol:         _ZN7rocprim17ROCPRIM_400000_NS6detail17trampoline_kernelINS0_14default_configENS1_38merge_sort_block_merge_config_selectorIsNS0_10empty_typeEEEZZNS1_27merge_sort_block_merge_implIS3_N6thrust23THRUST_200600_302600_NS6detail15normal_iteratorINS9_10device_ptrIsEEEEPS5_m14custom_greaterIsEEE10hipError_tT0_T1_T2_jT3_P12ihipStream_tbPNSt15iterator_traitsISJ_E10value_typeEPNSP_ISK_E10value_typeEPSL_NS1_7vsmem_tEENKUlT_SJ_SK_SL_E_clISE_PsSF_SF_EESI_SY_SJ_SK_SL_EUlSY_E0_NS1_11comp_targetILNS1_3genE0ELNS1_11target_archE4294967295ELNS1_3gpuE0ELNS1_3repE0EEENS1_38merge_mergepath_config_static_selectorELNS0_4arch9wavefront6targetE1EEEvSK_.kd
    .uniform_work_group_size: 1
    .uses_dynamic_stack: false
    .vgpr_count:     0
    .vgpr_spill_count: 0
    .wavefront_size: 64
  - .agpr_count:     0
    .args:
      - .offset:         0
        .size:           72
        .value_kind:     by_value
    .group_segment_fixed_size: 0
    .kernarg_segment_align: 8
    .kernarg_segment_size: 72
    .language:       OpenCL C
    .language_version:
      - 2
      - 0
    .max_flat_workgroup_size: 128
    .name:           _ZN7rocprim17ROCPRIM_400000_NS6detail17trampoline_kernelINS0_14default_configENS1_38merge_sort_block_merge_config_selectorIsNS0_10empty_typeEEEZZNS1_27merge_sort_block_merge_implIS3_N6thrust23THRUST_200600_302600_NS6detail15normal_iteratorINS9_10device_ptrIsEEEEPS5_m14custom_greaterIsEEE10hipError_tT0_T1_T2_jT3_P12ihipStream_tbPNSt15iterator_traitsISJ_E10value_typeEPNSP_ISK_E10value_typeEPSL_NS1_7vsmem_tEENKUlT_SJ_SK_SL_E_clISE_PsSF_SF_EESI_SY_SJ_SK_SL_EUlSY_E0_NS1_11comp_targetILNS1_3genE10ELNS1_11target_archE1201ELNS1_3gpuE5ELNS1_3repE0EEENS1_38merge_mergepath_config_static_selectorELNS0_4arch9wavefront6targetE1EEEvSK_
    .private_segment_fixed_size: 0
    .sgpr_count:     4
    .sgpr_spill_count: 0
    .symbol:         _ZN7rocprim17ROCPRIM_400000_NS6detail17trampoline_kernelINS0_14default_configENS1_38merge_sort_block_merge_config_selectorIsNS0_10empty_typeEEEZZNS1_27merge_sort_block_merge_implIS3_N6thrust23THRUST_200600_302600_NS6detail15normal_iteratorINS9_10device_ptrIsEEEEPS5_m14custom_greaterIsEEE10hipError_tT0_T1_T2_jT3_P12ihipStream_tbPNSt15iterator_traitsISJ_E10value_typeEPNSP_ISK_E10value_typeEPSL_NS1_7vsmem_tEENKUlT_SJ_SK_SL_E_clISE_PsSF_SF_EESI_SY_SJ_SK_SL_EUlSY_E0_NS1_11comp_targetILNS1_3genE10ELNS1_11target_archE1201ELNS1_3gpuE5ELNS1_3repE0EEENS1_38merge_mergepath_config_static_selectorELNS0_4arch9wavefront6targetE1EEEvSK_.kd
    .uniform_work_group_size: 1
    .uses_dynamic_stack: false
    .vgpr_count:     0
    .vgpr_spill_count: 0
    .wavefront_size: 64
  - .agpr_count:     0
    .args:
      - .offset:         0
        .size:           72
        .value_kind:     by_value
    .group_segment_fixed_size: 0
    .kernarg_segment_align: 8
    .kernarg_segment_size: 72
    .language:       OpenCL C
    .language_version:
      - 2
      - 0
    .max_flat_workgroup_size: 128
    .name:           _ZN7rocprim17ROCPRIM_400000_NS6detail17trampoline_kernelINS0_14default_configENS1_38merge_sort_block_merge_config_selectorIsNS0_10empty_typeEEEZZNS1_27merge_sort_block_merge_implIS3_N6thrust23THRUST_200600_302600_NS6detail15normal_iteratorINS9_10device_ptrIsEEEEPS5_m14custom_greaterIsEEE10hipError_tT0_T1_T2_jT3_P12ihipStream_tbPNSt15iterator_traitsISJ_E10value_typeEPNSP_ISK_E10value_typeEPSL_NS1_7vsmem_tEENKUlT_SJ_SK_SL_E_clISE_PsSF_SF_EESI_SY_SJ_SK_SL_EUlSY_E0_NS1_11comp_targetILNS1_3genE5ELNS1_11target_archE942ELNS1_3gpuE9ELNS1_3repE0EEENS1_38merge_mergepath_config_static_selectorELNS0_4arch9wavefront6targetE1EEEvSK_
    .private_segment_fixed_size: 0
    .sgpr_count:     4
    .sgpr_spill_count: 0
    .symbol:         _ZN7rocprim17ROCPRIM_400000_NS6detail17trampoline_kernelINS0_14default_configENS1_38merge_sort_block_merge_config_selectorIsNS0_10empty_typeEEEZZNS1_27merge_sort_block_merge_implIS3_N6thrust23THRUST_200600_302600_NS6detail15normal_iteratorINS9_10device_ptrIsEEEEPS5_m14custom_greaterIsEEE10hipError_tT0_T1_T2_jT3_P12ihipStream_tbPNSt15iterator_traitsISJ_E10value_typeEPNSP_ISK_E10value_typeEPSL_NS1_7vsmem_tEENKUlT_SJ_SK_SL_E_clISE_PsSF_SF_EESI_SY_SJ_SK_SL_EUlSY_E0_NS1_11comp_targetILNS1_3genE5ELNS1_11target_archE942ELNS1_3gpuE9ELNS1_3repE0EEENS1_38merge_mergepath_config_static_selectorELNS0_4arch9wavefront6targetE1EEEvSK_.kd
    .uniform_work_group_size: 1
    .uses_dynamic_stack: false
    .vgpr_count:     0
    .vgpr_spill_count: 0
    .wavefront_size: 64
  - .agpr_count:     0
    .args:
      - .offset:         0
        .size:           72
        .value_kind:     by_value
      - .offset:         72
        .size:           4
        .value_kind:     hidden_block_count_x
      - .offset:         76
        .size:           4
        .value_kind:     hidden_block_count_y
      - .offset:         80
        .size:           4
        .value_kind:     hidden_block_count_z
      - .offset:         84
        .size:           2
        .value_kind:     hidden_group_size_x
      - .offset:         86
        .size:           2
        .value_kind:     hidden_group_size_y
      - .offset:         88
        .size:           2
        .value_kind:     hidden_group_size_z
      - .offset:         90
        .size:           2
        .value_kind:     hidden_remainder_x
      - .offset:         92
        .size:           2
        .value_kind:     hidden_remainder_y
      - .offset:         94
        .size:           2
        .value_kind:     hidden_remainder_z
      - .offset:         112
        .size:           8
        .value_kind:     hidden_global_offset_x
      - .offset:         120
        .size:           8
        .value_kind:     hidden_global_offset_y
      - .offset:         128
        .size:           8
        .value_kind:     hidden_global_offset_z
      - .offset:         136
        .size:           2
        .value_kind:     hidden_grid_dims
    .group_segment_fixed_size: 2112
    .kernarg_segment_align: 8
    .kernarg_segment_size: 328
    .language:       OpenCL C
    .language_version:
      - 2
      - 0
    .max_flat_workgroup_size: 128
    .name:           _ZN7rocprim17ROCPRIM_400000_NS6detail17trampoline_kernelINS0_14default_configENS1_38merge_sort_block_merge_config_selectorIsNS0_10empty_typeEEEZZNS1_27merge_sort_block_merge_implIS3_N6thrust23THRUST_200600_302600_NS6detail15normal_iteratorINS9_10device_ptrIsEEEEPS5_m14custom_greaterIsEEE10hipError_tT0_T1_T2_jT3_P12ihipStream_tbPNSt15iterator_traitsISJ_E10value_typeEPNSP_ISK_E10value_typeEPSL_NS1_7vsmem_tEENKUlT_SJ_SK_SL_E_clISE_PsSF_SF_EESI_SY_SJ_SK_SL_EUlSY_E0_NS1_11comp_targetILNS1_3genE4ELNS1_11target_archE910ELNS1_3gpuE8ELNS1_3repE0EEENS1_38merge_mergepath_config_static_selectorELNS0_4arch9wavefront6targetE1EEEvSK_
    .private_segment_fixed_size: 0
    .sgpr_count:     35
    .sgpr_spill_count: 0
    .symbol:         _ZN7rocprim17ROCPRIM_400000_NS6detail17trampoline_kernelINS0_14default_configENS1_38merge_sort_block_merge_config_selectorIsNS0_10empty_typeEEEZZNS1_27merge_sort_block_merge_implIS3_N6thrust23THRUST_200600_302600_NS6detail15normal_iteratorINS9_10device_ptrIsEEEEPS5_m14custom_greaterIsEEE10hipError_tT0_T1_T2_jT3_P12ihipStream_tbPNSt15iterator_traitsISJ_E10value_typeEPNSP_ISK_E10value_typeEPSL_NS1_7vsmem_tEENKUlT_SJ_SK_SL_E_clISE_PsSF_SF_EESI_SY_SJ_SK_SL_EUlSY_E0_NS1_11comp_targetILNS1_3genE4ELNS1_11target_archE910ELNS1_3gpuE8ELNS1_3repE0EEENS1_38merge_mergepath_config_static_selectorELNS0_4arch9wavefront6targetE1EEEvSK_.kd
    .uniform_work_group_size: 1
    .uses_dynamic_stack: false
    .vgpr_count:     26
    .vgpr_spill_count: 0
    .wavefront_size: 64
  - .agpr_count:     0
    .args:
      - .offset:         0
        .size:           72
        .value_kind:     by_value
    .group_segment_fixed_size: 0
    .kernarg_segment_align: 8
    .kernarg_segment_size: 72
    .language:       OpenCL C
    .language_version:
      - 2
      - 0
    .max_flat_workgroup_size: 128
    .name:           _ZN7rocprim17ROCPRIM_400000_NS6detail17trampoline_kernelINS0_14default_configENS1_38merge_sort_block_merge_config_selectorIsNS0_10empty_typeEEEZZNS1_27merge_sort_block_merge_implIS3_N6thrust23THRUST_200600_302600_NS6detail15normal_iteratorINS9_10device_ptrIsEEEEPS5_m14custom_greaterIsEEE10hipError_tT0_T1_T2_jT3_P12ihipStream_tbPNSt15iterator_traitsISJ_E10value_typeEPNSP_ISK_E10value_typeEPSL_NS1_7vsmem_tEENKUlT_SJ_SK_SL_E_clISE_PsSF_SF_EESI_SY_SJ_SK_SL_EUlSY_E0_NS1_11comp_targetILNS1_3genE3ELNS1_11target_archE908ELNS1_3gpuE7ELNS1_3repE0EEENS1_38merge_mergepath_config_static_selectorELNS0_4arch9wavefront6targetE1EEEvSK_
    .private_segment_fixed_size: 0
    .sgpr_count:     4
    .sgpr_spill_count: 0
    .symbol:         _ZN7rocprim17ROCPRIM_400000_NS6detail17trampoline_kernelINS0_14default_configENS1_38merge_sort_block_merge_config_selectorIsNS0_10empty_typeEEEZZNS1_27merge_sort_block_merge_implIS3_N6thrust23THRUST_200600_302600_NS6detail15normal_iteratorINS9_10device_ptrIsEEEEPS5_m14custom_greaterIsEEE10hipError_tT0_T1_T2_jT3_P12ihipStream_tbPNSt15iterator_traitsISJ_E10value_typeEPNSP_ISK_E10value_typeEPSL_NS1_7vsmem_tEENKUlT_SJ_SK_SL_E_clISE_PsSF_SF_EESI_SY_SJ_SK_SL_EUlSY_E0_NS1_11comp_targetILNS1_3genE3ELNS1_11target_archE908ELNS1_3gpuE7ELNS1_3repE0EEENS1_38merge_mergepath_config_static_selectorELNS0_4arch9wavefront6targetE1EEEvSK_.kd
    .uniform_work_group_size: 1
    .uses_dynamic_stack: false
    .vgpr_count:     0
    .vgpr_spill_count: 0
    .wavefront_size: 64
  - .agpr_count:     0
    .args:
      - .offset:         0
        .size:           72
        .value_kind:     by_value
    .group_segment_fixed_size: 0
    .kernarg_segment_align: 8
    .kernarg_segment_size: 72
    .language:       OpenCL C
    .language_version:
      - 2
      - 0
    .max_flat_workgroup_size: 128
    .name:           _ZN7rocprim17ROCPRIM_400000_NS6detail17trampoline_kernelINS0_14default_configENS1_38merge_sort_block_merge_config_selectorIsNS0_10empty_typeEEEZZNS1_27merge_sort_block_merge_implIS3_N6thrust23THRUST_200600_302600_NS6detail15normal_iteratorINS9_10device_ptrIsEEEEPS5_m14custom_greaterIsEEE10hipError_tT0_T1_T2_jT3_P12ihipStream_tbPNSt15iterator_traitsISJ_E10value_typeEPNSP_ISK_E10value_typeEPSL_NS1_7vsmem_tEENKUlT_SJ_SK_SL_E_clISE_PsSF_SF_EESI_SY_SJ_SK_SL_EUlSY_E0_NS1_11comp_targetILNS1_3genE2ELNS1_11target_archE906ELNS1_3gpuE6ELNS1_3repE0EEENS1_38merge_mergepath_config_static_selectorELNS0_4arch9wavefront6targetE1EEEvSK_
    .private_segment_fixed_size: 0
    .sgpr_count:     4
    .sgpr_spill_count: 0
    .symbol:         _ZN7rocprim17ROCPRIM_400000_NS6detail17trampoline_kernelINS0_14default_configENS1_38merge_sort_block_merge_config_selectorIsNS0_10empty_typeEEEZZNS1_27merge_sort_block_merge_implIS3_N6thrust23THRUST_200600_302600_NS6detail15normal_iteratorINS9_10device_ptrIsEEEEPS5_m14custom_greaterIsEEE10hipError_tT0_T1_T2_jT3_P12ihipStream_tbPNSt15iterator_traitsISJ_E10value_typeEPNSP_ISK_E10value_typeEPSL_NS1_7vsmem_tEENKUlT_SJ_SK_SL_E_clISE_PsSF_SF_EESI_SY_SJ_SK_SL_EUlSY_E0_NS1_11comp_targetILNS1_3genE2ELNS1_11target_archE906ELNS1_3gpuE6ELNS1_3repE0EEENS1_38merge_mergepath_config_static_selectorELNS0_4arch9wavefront6targetE1EEEvSK_.kd
    .uniform_work_group_size: 1
    .uses_dynamic_stack: false
    .vgpr_count:     0
    .vgpr_spill_count: 0
    .wavefront_size: 64
  - .agpr_count:     0
    .args:
      - .offset:         0
        .size:           72
        .value_kind:     by_value
    .group_segment_fixed_size: 0
    .kernarg_segment_align: 8
    .kernarg_segment_size: 72
    .language:       OpenCL C
    .language_version:
      - 2
      - 0
    .max_flat_workgroup_size: 128
    .name:           _ZN7rocprim17ROCPRIM_400000_NS6detail17trampoline_kernelINS0_14default_configENS1_38merge_sort_block_merge_config_selectorIsNS0_10empty_typeEEEZZNS1_27merge_sort_block_merge_implIS3_N6thrust23THRUST_200600_302600_NS6detail15normal_iteratorINS9_10device_ptrIsEEEEPS5_m14custom_greaterIsEEE10hipError_tT0_T1_T2_jT3_P12ihipStream_tbPNSt15iterator_traitsISJ_E10value_typeEPNSP_ISK_E10value_typeEPSL_NS1_7vsmem_tEENKUlT_SJ_SK_SL_E_clISE_PsSF_SF_EESI_SY_SJ_SK_SL_EUlSY_E0_NS1_11comp_targetILNS1_3genE9ELNS1_11target_archE1100ELNS1_3gpuE3ELNS1_3repE0EEENS1_38merge_mergepath_config_static_selectorELNS0_4arch9wavefront6targetE1EEEvSK_
    .private_segment_fixed_size: 0
    .sgpr_count:     4
    .sgpr_spill_count: 0
    .symbol:         _ZN7rocprim17ROCPRIM_400000_NS6detail17trampoline_kernelINS0_14default_configENS1_38merge_sort_block_merge_config_selectorIsNS0_10empty_typeEEEZZNS1_27merge_sort_block_merge_implIS3_N6thrust23THRUST_200600_302600_NS6detail15normal_iteratorINS9_10device_ptrIsEEEEPS5_m14custom_greaterIsEEE10hipError_tT0_T1_T2_jT3_P12ihipStream_tbPNSt15iterator_traitsISJ_E10value_typeEPNSP_ISK_E10value_typeEPSL_NS1_7vsmem_tEENKUlT_SJ_SK_SL_E_clISE_PsSF_SF_EESI_SY_SJ_SK_SL_EUlSY_E0_NS1_11comp_targetILNS1_3genE9ELNS1_11target_archE1100ELNS1_3gpuE3ELNS1_3repE0EEENS1_38merge_mergepath_config_static_selectorELNS0_4arch9wavefront6targetE1EEEvSK_.kd
    .uniform_work_group_size: 1
    .uses_dynamic_stack: false
    .vgpr_count:     0
    .vgpr_spill_count: 0
    .wavefront_size: 64
  - .agpr_count:     0
    .args:
      - .offset:         0
        .size:           72
        .value_kind:     by_value
    .group_segment_fixed_size: 0
    .kernarg_segment_align: 8
    .kernarg_segment_size: 72
    .language:       OpenCL C
    .language_version:
      - 2
      - 0
    .max_flat_workgroup_size: 128
    .name:           _ZN7rocprim17ROCPRIM_400000_NS6detail17trampoline_kernelINS0_14default_configENS1_38merge_sort_block_merge_config_selectorIsNS0_10empty_typeEEEZZNS1_27merge_sort_block_merge_implIS3_N6thrust23THRUST_200600_302600_NS6detail15normal_iteratorINS9_10device_ptrIsEEEEPS5_m14custom_greaterIsEEE10hipError_tT0_T1_T2_jT3_P12ihipStream_tbPNSt15iterator_traitsISJ_E10value_typeEPNSP_ISK_E10value_typeEPSL_NS1_7vsmem_tEENKUlT_SJ_SK_SL_E_clISE_PsSF_SF_EESI_SY_SJ_SK_SL_EUlSY_E0_NS1_11comp_targetILNS1_3genE8ELNS1_11target_archE1030ELNS1_3gpuE2ELNS1_3repE0EEENS1_38merge_mergepath_config_static_selectorELNS0_4arch9wavefront6targetE1EEEvSK_
    .private_segment_fixed_size: 0
    .sgpr_count:     4
    .sgpr_spill_count: 0
    .symbol:         _ZN7rocprim17ROCPRIM_400000_NS6detail17trampoline_kernelINS0_14default_configENS1_38merge_sort_block_merge_config_selectorIsNS0_10empty_typeEEEZZNS1_27merge_sort_block_merge_implIS3_N6thrust23THRUST_200600_302600_NS6detail15normal_iteratorINS9_10device_ptrIsEEEEPS5_m14custom_greaterIsEEE10hipError_tT0_T1_T2_jT3_P12ihipStream_tbPNSt15iterator_traitsISJ_E10value_typeEPNSP_ISK_E10value_typeEPSL_NS1_7vsmem_tEENKUlT_SJ_SK_SL_E_clISE_PsSF_SF_EESI_SY_SJ_SK_SL_EUlSY_E0_NS1_11comp_targetILNS1_3genE8ELNS1_11target_archE1030ELNS1_3gpuE2ELNS1_3repE0EEENS1_38merge_mergepath_config_static_selectorELNS0_4arch9wavefront6targetE1EEEvSK_.kd
    .uniform_work_group_size: 1
    .uses_dynamic_stack: false
    .vgpr_count:     0
    .vgpr_spill_count: 0
    .wavefront_size: 64
  - .agpr_count:     0
    .args:
      - .offset:         0
        .size:           56
        .value_kind:     by_value
    .group_segment_fixed_size: 0
    .kernarg_segment_align: 8
    .kernarg_segment_size: 56
    .language:       OpenCL C
    .language_version:
      - 2
      - 0
    .max_flat_workgroup_size: 256
    .name:           _ZN7rocprim17ROCPRIM_400000_NS6detail17trampoline_kernelINS0_14default_configENS1_38merge_sort_block_merge_config_selectorIsNS0_10empty_typeEEEZZNS1_27merge_sort_block_merge_implIS3_N6thrust23THRUST_200600_302600_NS6detail15normal_iteratorINS9_10device_ptrIsEEEEPS5_m14custom_greaterIsEEE10hipError_tT0_T1_T2_jT3_P12ihipStream_tbPNSt15iterator_traitsISJ_E10value_typeEPNSP_ISK_E10value_typeEPSL_NS1_7vsmem_tEENKUlT_SJ_SK_SL_E_clISE_PsSF_SF_EESI_SY_SJ_SK_SL_EUlSY_E1_NS1_11comp_targetILNS1_3genE0ELNS1_11target_archE4294967295ELNS1_3gpuE0ELNS1_3repE0EEENS1_36merge_oddeven_config_static_selectorELNS0_4arch9wavefront6targetE1EEEvSK_
    .private_segment_fixed_size: 0
    .sgpr_count:     4
    .sgpr_spill_count: 0
    .symbol:         _ZN7rocprim17ROCPRIM_400000_NS6detail17trampoline_kernelINS0_14default_configENS1_38merge_sort_block_merge_config_selectorIsNS0_10empty_typeEEEZZNS1_27merge_sort_block_merge_implIS3_N6thrust23THRUST_200600_302600_NS6detail15normal_iteratorINS9_10device_ptrIsEEEEPS5_m14custom_greaterIsEEE10hipError_tT0_T1_T2_jT3_P12ihipStream_tbPNSt15iterator_traitsISJ_E10value_typeEPNSP_ISK_E10value_typeEPSL_NS1_7vsmem_tEENKUlT_SJ_SK_SL_E_clISE_PsSF_SF_EESI_SY_SJ_SK_SL_EUlSY_E1_NS1_11comp_targetILNS1_3genE0ELNS1_11target_archE4294967295ELNS1_3gpuE0ELNS1_3repE0EEENS1_36merge_oddeven_config_static_selectorELNS0_4arch9wavefront6targetE1EEEvSK_.kd
    .uniform_work_group_size: 1
    .uses_dynamic_stack: false
    .vgpr_count:     0
    .vgpr_spill_count: 0
    .wavefront_size: 64
  - .agpr_count:     0
    .args:
      - .offset:         0
        .size:           56
        .value_kind:     by_value
    .group_segment_fixed_size: 0
    .kernarg_segment_align: 8
    .kernarg_segment_size: 56
    .language:       OpenCL C
    .language_version:
      - 2
      - 0
    .max_flat_workgroup_size: 256
    .name:           _ZN7rocprim17ROCPRIM_400000_NS6detail17trampoline_kernelINS0_14default_configENS1_38merge_sort_block_merge_config_selectorIsNS0_10empty_typeEEEZZNS1_27merge_sort_block_merge_implIS3_N6thrust23THRUST_200600_302600_NS6detail15normal_iteratorINS9_10device_ptrIsEEEEPS5_m14custom_greaterIsEEE10hipError_tT0_T1_T2_jT3_P12ihipStream_tbPNSt15iterator_traitsISJ_E10value_typeEPNSP_ISK_E10value_typeEPSL_NS1_7vsmem_tEENKUlT_SJ_SK_SL_E_clISE_PsSF_SF_EESI_SY_SJ_SK_SL_EUlSY_E1_NS1_11comp_targetILNS1_3genE10ELNS1_11target_archE1201ELNS1_3gpuE5ELNS1_3repE0EEENS1_36merge_oddeven_config_static_selectorELNS0_4arch9wavefront6targetE1EEEvSK_
    .private_segment_fixed_size: 0
    .sgpr_count:     4
    .sgpr_spill_count: 0
    .symbol:         _ZN7rocprim17ROCPRIM_400000_NS6detail17trampoline_kernelINS0_14default_configENS1_38merge_sort_block_merge_config_selectorIsNS0_10empty_typeEEEZZNS1_27merge_sort_block_merge_implIS3_N6thrust23THRUST_200600_302600_NS6detail15normal_iteratorINS9_10device_ptrIsEEEEPS5_m14custom_greaterIsEEE10hipError_tT0_T1_T2_jT3_P12ihipStream_tbPNSt15iterator_traitsISJ_E10value_typeEPNSP_ISK_E10value_typeEPSL_NS1_7vsmem_tEENKUlT_SJ_SK_SL_E_clISE_PsSF_SF_EESI_SY_SJ_SK_SL_EUlSY_E1_NS1_11comp_targetILNS1_3genE10ELNS1_11target_archE1201ELNS1_3gpuE5ELNS1_3repE0EEENS1_36merge_oddeven_config_static_selectorELNS0_4arch9wavefront6targetE1EEEvSK_.kd
    .uniform_work_group_size: 1
    .uses_dynamic_stack: false
    .vgpr_count:     0
    .vgpr_spill_count: 0
    .wavefront_size: 64
  - .agpr_count:     0
    .args:
      - .offset:         0
        .size:           56
        .value_kind:     by_value
    .group_segment_fixed_size: 0
    .kernarg_segment_align: 8
    .kernarg_segment_size: 56
    .language:       OpenCL C
    .language_version:
      - 2
      - 0
    .max_flat_workgroup_size: 256
    .name:           _ZN7rocprim17ROCPRIM_400000_NS6detail17trampoline_kernelINS0_14default_configENS1_38merge_sort_block_merge_config_selectorIsNS0_10empty_typeEEEZZNS1_27merge_sort_block_merge_implIS3_N6thrust23THRUST_200600_302600_NS6detail15normal_iteratorINS9_10device_ptrIsEEEEPS5_m14custom_greaterIsEEE10hipError_tT0_T1_T2_jT3_P12ihipStream_tbPNSt15iterator_traitsISJ_E10value_typeEPNSP_ISK_E10value_typeEPSL_NS1_7vsmem_tEENKUlT_SJ_SK_SL_E_clISE_PsSF_SF_EESI_SY_SJ_SK_SL_EUlSY_E1_NS1_11comp_targetILNS1_3genE5ELNS1_11target_archE942ELNS1_3gpuE9ELNS1_3repE0EEENS1_36merge_oddeven_config_static_selectorELNS0_4arch9wavefront6targetE1EEEvSK_
    .private_segment_fixed_size: 0
    .sgpr_count:     4
    .sgpr_spill_count: 0
    .symbol:         _ZN7rocprim17ROCPRIM_400000_NS6detail17trampoline_kernelINS0_14default_configENS1_38merge_sort_block_merge_config_selectorIsNS0_10empty_typeEEEZZNS1_27merge_sort_block_merge_implIS3_N6thrust23THRUST_200600_302600_NS6detail15normal_iteratorINS9_10device_ptrIsEEEEPS5_m14custom_greaterIsEEE10hipError_tT0_T1_T2_jT3_P12ihipStream_tbPNSt15iterator_traitsISJ_E10value_typeEPNSP_ISK_E10value_typeEPSL_NS1_7vsmem_tEENKUlT_SJ_SK_SL_E_clISE_PsSF_SF_EESI_SY_SJ_SK_SL_EUlSY_E1_NS1_11comp_targetILNS1_3genE5ELNS1_11target_archE942ELNS1_3gpuE9ELNS1_3repE0EEENS1_36merge_oddeven_config_static_selectorELNS0_4arch9wavefront6targetE1EEEvSK_.kd
    .uniform_work_group_size: 1
    .uses_dynamic_stack: false
    .vgpr_count:     0
    .vgpr_spill_count: 0
    .wavefront_size: 64
  - .agpr_count:     0
    .args:
      - .offset:         0
        .size:           56
        .value_kind:     by_value
    .group_segment_fixed_size: 0
    .kernarg_segment_align: 8
    .kernarg_segment_size: 56
    .language:       OpenCL C
    .language_version:
      - 2
      - 0
    .max_flat_workgroup_size: 256
    .name:           _ZN7rocprim17ROCPRIM_400000_NS6detail17trampoline_kernelINS0_14default_configENS1_38merge_sort_block_merge_config_selectorIsNS0_10empty_typeEEEZZNS1_27merge_sort_block_merge_implIS3_N6thrust23THRUST_200600_302600_NS6detail15normal_iteratorINS9_10device_ptrIsEEEEPS5_m14custom_greaterIsEEE10hipError_tT0_T1_T2_jT3_P12ihipStream_tbPNSt15iterator_traitsISJ_E10value_typeEPNSP_ISK_E10value_typeEPSL_NS1_7vsmem_tEENKUlT_SJ_SK_SL_E_clISE_PsSF_SF_EESI_SY_SJ_SK_SL_EUlSY_E1_NS1_11comp_targetILNS1_3genE4ELNS1_11target_archE910ELNS1_3gpuE8ELNS1_3repE0EEENS1_36merge_oddeven_config_static_selectorELNS0_4arch9wavefront6targetE1EEEvSK_
    .private_segment_fixed_size: 0
    .sgpr_count:     25
    .sgpr_spill_count: 0
    .symbol:         _ZN7rocprim17ROCPRIM_400000_NS6detail17trampoline_kernelINS0_14default_configENS1_38merge_sort_block_merge_config_selectorIsNS0_10empty_typeEEEZZNS1_27merge_sort_block_merge_implIS3_N6thrust23THRUST_200600_302600_NS6detail15normal_iteratorINS9_10device_ptrIsEEEEPS5_m14custom_greaterIsEEE10hipError_tT0_T1_T2_jT3_P12ihipStream_tbPNSt15iterator_traitsISJ_E10value_typeEPNSP_ISK_E10value_typeEPSL_NS1_7vsmem_tEENKUlT_SJ_SK_SL_E_clISE_PsSF_SF_EESI_SY_SJ_SK_SL_EUlSY_E1_NS1_11comp_targetILNS1_3genE4ELNS1_11target_archE910ELNS1_3gpuE8ELNS1_3repE0EEENS1_36merge_oddeven_config_static_selectorELNS0_4arch9wavefront6targetE1EEEvSK_.kd
    .uniform_work_group_size: 1
    .uses_dynamic_stack: false
    .vgpr_count:     8
    .vgpr_spill_count: 0
    .wavefront_size: 64
  - .agpr_count:     0
    .args:
      - .offset:         0
        .size:           56
        .value_kind:     by_value
    .group_segment_fixed_size: 0
    .kernarg_segment_align: 8
    .kernarg_segment_size: 56
    .language:       OpenCL C
    .language_version:
      - 2
      - 0
    .max_flat_workgroup_size: 256
    .name:           _ZN7rocprim17ROCPRIM_400000_NS6detail17trampoline_kernelINS0_14default_configENS1_38merge_sort_block_merge_config_selectorIsNS0_10empty_typeEEEZZNS1_27merge_sort_block_merge_implIS3_N6thrust23THRUST_200600_302600_NS6detail15normal_iteratorINS9_10device_ptrIsEEEEPS5_m14custom_greaterIsEEE10hipError_tT0_T1_T2_jT3_P12ihipStream_tbPNSt15iterator_traitsISJ_E10value_typeEPNSP_ISK_E10value_typeEPSL_NS1_7vsmem_tEENKUlT_SJ_SK_SL_E_clISE_PsSF_SF_EESI_SY_SJ_SK_SL_EUlSY_E1_NS1_11comp_targetILNS1_3genE3ELNS1_11target_archE908ELNS1_3gpuE7ELNS1_3repE0EEENS1_36merge_oddeven_config_static_selectorELNS0_4arch9wavefront6targetE1EEEvSK_
    .private_segment_fixed_size: 0
    .sgpr_count:     4
    .sgpr_spill_count: 0
    .symbol:         _ZN7rocprim17ROCPRIM_400000_NS6detail17trampoline_kernelINS0_14default_configENS1_38merge_sort_block_merge_config_selectorIsNS0_10empty_typeEEEZZNS1_27merge_sort_block_merge_implIS3_N6thrust23THRUST_200600_302600_NS6detail15normal_iteratorINS9_10device_ptrIsEEEEPS5_m14custom_greaterIsEEE10hipError_tT0_T1_T2_jT3_P12ihipStream_tbPNSt15iterator_traitsISJ_E10value_typeEPNSP_ISK_E10value_typeEPSL_NS1_7vsmem_tEENKUlT_SJ_SK_SL_E_clISE_PsSF_SF_EESI_SY_SJ_SK_SL_EUlSY_E1_NS1_11comp_targetILNS1_3genE3ELNS1_11target_archE908ELNS1_3gpuE7ELNS1_3repE0EEENS1_36merge_oddeven_config_static_selectorELNS0_4arch9wavefront6targetE1EEEvSK_.kd
    .uniform_work_group_size: 1
    .uses_dynamic_stack: false
    .vgpr_count:     0
    .vgpr_spill_count: 0
    .wavefront_size: 64
  - .agpr_count:     0
    .args:
      - .offset:         0
        .size:           56
        .value_kind:     by_value
    .group_segment_fixed_size: 0
    .kernarg_segment_align: 8
    .kernarg_segment_size: 56
    .language:       OpenCL C
    .language_version:
      - 2
      - 0
    .max_flat_workgroup_size: 256
    .name:           _ZN7rocprim17ROCPRIM_400000_NS6detail17trampoline_kernelINS0_14default_configENS1_38merge_sort_block_merge_config_selectorIsNS0_10empty_typeEEEZZNS1_27merge_sort_block_merge_implIS3_N6thrust23THRUST_200600_302600_NS6detail15normal_iteratorINS9_10device_ptrIsEEEEPS5_m14custom_greaterIsEEE10hipError_tT0_T1_T2_jT3_P12ihipStream_tbPNSt15iterator_traitsISJ_E10value_typeEPNSP_ISK_E10value_typeEPSL_NS1_7vsmem_tEENKUlT_SJ_SK_SL_E_clISE_PsSF_SF_EESI_SY_SJ_SK_SL_EUlSY_E1_NS1_11comp_targetILNS1_3genE2ELNS1_11target_archE906ELNS1_3gpuE6ELNS1_3repE0EEENS1_36merge_oddeven_config_static_selectorELNS0_4arch9wavefront6targetE1EEEvSK_
    .private_segment_fixed_size: 0
    .sgpr_count:     4
    .sgpr_spill_count: 0
    .symbol:         _ZN7rocprim17ROCPRIM_400000_NS6detail17trampoline_kernelINS0_14default_configENS1_38merge_sort_block_merge_config_selectorIsNS0_10empty_typeEEEZZNS1_27merge_sort_block_merge_implIS3_N6thrust23THRUST_200600_302600_NS6detail15normal_iteratorINS9_10device_ptrIsEEEEPS5_m14custom_greaterIsEEE10hipError_tT0_T1_T2_jT3_P12ihipStream_tbPNSt15iterator_traitsISJ_E10value_typeEPNSP_ISK_E10value_typeEPSL_NS1_7vsmem_tEENKUlT_SJ_SK_SL_E_clISE_PsSF_SF_EESI_SY_SJ_SK_SL_EUlSY_E1_NS1_11comp_targetILNS1_3genE2ELNS1_11target_archE906ELNS1_3gpuE6ELNS1_3repE0EEENS1_36merge_oddeven_config_static_selectorELNS0_4arch9wavefront6targetE1EEEvSK_.kd
    .uniform_work_group_size: 1
    .uses_dynamic_stack: false
    .vgpr_count:     0
    .vgpr_spill_count: 0
    .wavefront_size: 64
  - .agpr_count:     0
    .args:
      - .offset:         0
        .size:           56
        .value_kind:     by_value
    .group_segment_fixed_size: 0
    .kernarg_segment_align: 8
    .kernarg_segment_size: 56
    .language:       OpenCL C
    .language_version:
      - 2
      - 0
    .max_flat_workgroup_size: 256
    .name:           _ZN7rocprim17ROCPRIM_400000_NS6detail17trampoline_kernelINS0_14default_configENS1_38merge_sort_block_merge_config_selectorIsNS0_10empty_typeEEEZZNS1_27merge_sort_block_merge_implIS3_N6thrust23THRUST_200600_302600_NS6detail15normal_iteratorINS9_10device_ptrIsEEEEPS5_m14custom_greaterIsEEE10hipError_tT0_T1_T2_jT3_P12ihipStream_tbPNSt15iterator_traitsISJ_E10value_typeEPNSP_ISK_E10value_typeEPSL_NS1_7vsmem_tEENKUlT_SJ_SK_SL_E_clISE_PsSF_SF_EESI_SY_SJ_SK_SL_EUlSY_E1_NS1_11comp_targetILNS1_3genE9ELNS1_11target_archE1100ELNS1_3gpuE3ELNS1_3repE0EEENS1_36merge_oddeven_config_static_selectorELNS0_4arch9wavefront6targetE1EEEvSK_
    .private_segment_fixed_size: 0
    .sgpr_count:     4
    .sgpr_spill_count: 0
    .symbol:         _ZN7rocprim17ROCPRIM_400000_NS6detail17trampoline_kernelINS0_14default_configENS1_38merge_sort_block_merge_config_selectorIsNS0_10empty_typeEEEZZNS1_27merge_sort_block_merge_implIS3_N6thrust23THRUST_200600_302600_NS6detail15normal_iteratorINS9_10device_ptrIsEEEEPS5_m14custom_greaterIsEEE10hipError_tT0_T1_T2_jT3_P12ihipStream_tbPNSt15iterator_traitsISJ_E10value_typeEPNSP_ISK_E10value_typeEPSL_NS1_7vsmem_tEENKUlT_SJ_SK_SL_E_clISE_PsSF_SF_EESI_SY_SJ_SK_SL_EUlSY_E1_NS1_11comp_targetILNS1_3genE9ELNS1_11target_archE1100ELNS1_3gpuE3ELNS1_3repE0EEENS1_36merge_oddeven_config_static_selectorELNS0_4arch9wavefront6targetE1EEEvSK_.kd
    .uniform_work_group_size: 1
    .uses_dynamic_stack: false
    .vgpr_count:     0
    .vgpr_spill_count: 0
    .wavefront_size: 64
  - .agpr_count:     0
    .args:
      - .offset:         0
        .size:           56
        .value_kind:     by_value
    .group_segment_fixed_size: 0
    .kernarg_segment_align: 8
    .kernarg_segment_size: 56
    .language:       OpenCL C
    .language_version:
      - 2
      - 0
    .max_flat_workgroup_size: 256
    .name:           _ZN7rocprim17ROCPRIM_400000_NS6detail17trampoline_kernelINS0_14default_configENS1_38merge_sort_block_merge_config_selectorIsNS0_10empty_typeEEEZZNS1_27merge_sort_block_merge_implIS3_N6thrust23THRUST_200600_302600_NS6detail15normal_iteratorINS9_10device_ptrIsEEEEPS5_m14custom_greaterIsEEE10hipError_tT0_T1_T2_jT3_P12ihipStream_tbPNSt15iterator_traitsISJ_E10value_typeEPNSP_ISK_E10value_typeEPSL_NS1_7vsmem_tEENKUlT_SJ_SK_SL_E_clISE_PsSF_SF_EESI_SY_SJ_SK_SL_EUlSY_E1_NS1_11comp_targetILNS1_3genE8ELNS1_11target_archE1030ELNS1_3gpuE2ELNS1_3repE0EEENS1_36merge_oddeven_config_static_selectorELNS0_4arch9wavefront6targetE1EEEvSK_
    .private_segment_fixed_size: 0
    .sgpr_count:     4
    .sgpr_spill_count: 0
    .symbol:         _ZN7rocprim17ROCPRIM_400000_NS6detail17trampoline_kernelINS0_14default_configENS1_38merge_sort_block_merge_config_selectorIsNS0_10empty_typeEEEZZNS1_27merge_sort_block_merge_implIS3_N6thrust23THRUST_200600_302600_NS6detail15normal_iteratorINS9_10device_ptrIsEEEEPS5_m14custom_greaterIsEEE10hipError_tT0_T1_T2_jT3_P12ihipStream_tbPNSt15iterator_traitsISJ_E10value_typeEPNSP_ISK_E10value_typeEPSL_NS1_7vsmem_tEENKUlT_SJ_SK_SL_E_clISE_PsSF_SF_EESI_SY_SJ_SK_SL_EUlSY_E1_NS1_11comp_targetILNS1_3genE8ELNS1_11target_archE1030ELNS1_3gpuE2ELNS1_3repE0EEENS1_36merge_oddeven_config_static_selectorELNS0_4arch9wavefront6targetE1EEEvSK_.kd
    .uniform_work_group_size: 1
    .uses_dynamic_stack: false
    .vgpr_count:     0
    .vgpr_spill_count: 0
    .wavefront_size: 64
  - .agpr_count:     0
    .args:
      - .offset:         0
        .size:           40
        .value_kind:     by_value
    .group_segment_fixed_size: 0
    .kernarg_segment_align: 8
    .kernarg_segment_size: 40
    .language:       OpenCL C
    .language_version:
      - 2
      - 0
    .max_flat_workgroup_size: 128
    .name:           _ZN7rocprim17ROCPRIM_400000_NS6detail17trampoline_kernelINS0_14default_configENS1_25transform_config_selectorIsLb0EEEZNS1_14transform_implILb0ES3_S5_PsN6thrust23THRUST_200600_302600_NS6detail15normal_iteratorINS9_10device_ptrIsEEEENS0_8identityIsEEEE10hipError_tT2_T3_mT4_P12ihipStream_tbEUlT_E_NS1_11comp_targetILNS1_3genE0ELNS1_11target_archE4294967295ELNS1_3gpuE0ELNS1_3repE0EEENS1_30default_config_static_selectorELNS0_4arch9wavefront6targetE1EEEvT1_
    .private_segment_fixed_size: 0
    .sgpr_count:     4
    .sgpr_spill_count: 0
    .symbol:         _ZN7rocprim17ROCPRIM_400000_NS6detail17trampoline_kernelINS0_14default_configENS1_25transform_config_selectorIsLb0EEEZNS1_14transform_implILb0ES3_S5_PsN6thrust23THRUST_200600_302600_NS6detail15normal_iteratorINS9_10device_ptrIsEEEENS0_8identityIsEEEE10hipError_tT2_T3_mT4_P12ihipStream_tbEUlT_E_NS1_11comp_targetILNS1_3genE0ELNS1_11target_archE4294967295ELNS1_3gpuE0ELNS1_3repE0EEENS1_30default_config_static_selectorELNS0_4arch9wavefront6targetE1EEEvT1_.kd
    .uniform_work_group_size: 1
    .uses_dynamic_stack: false
    .vgpr_count:     0
    .vgpr_spill_count: 0
    .wavefront_size: 64
  - .agpr_count:     0
    .args:
      - .offset:         0
        .size:           40
        .value_kind:     by_value
    .group_segment_fixed_size: 0
    .kernarg_segment_align: 8
    .kernarg_segment_size: 40
    .language:       OpenCL C
    .language_version:
      - 2
      - 0
    .max_flat_workgroup_size: 256
    .name:           _ZN7rocprim17ROCPRIM_400000_NS6detail17trampoline_kernelINS0_14default_configENS1_25transform_config_selectorIsLb0EEEZNS1_14transform_implILb0ES3_S5_PsN6thrust23THRUST_200600_302600_NS6detail15normal_iteratorINS9_10device_ptrIsEEEENS0_8identityIsEEEE10hipError_tT2_T3_mT4_P12ihipStream_tbEUlT_E_NS1_11comp_targetILNS1_3genE5ELNS1_11target_archE942ELNS1_3gpuE9ELNS1_3repE0EEENS1_30default_config_static_selectorELNS0_4arch9wavefront6targetE1EEEvT1_
    .private_segment_fixed_size: 0
    .sgpr_count:     4
    .sgpr_spill_count: 0
    .symbol:         _ZN7rocprim17ROCPRIM_400000_NS6detail17trampoline_kernelINS0_14default_configENS1_25transform_config_selectorIsLb0EEEZNS1_14transform_implILb0ES3_S5_PsN6thrust23THRUST_200600_302600_NS6detail15normal_iteratorINS9_10device_ptrIsEEEENS0_8identityIsEEEE10hipError_tT2_T3_mT4_P12ihipStream_tbEUlT_E_NS1_11comp_targetILNS1_3genE5ELNS1_11target_archE942ELNS1_3gpuE9ELNS1_3repE0EEENS1_30default_config_static_selectorELNS0_4arch9wavefront6targetE1EEEvT1_.kd
    .uniform_work_group_size: 1
    .uses_dynamic_stack: false
    .vgpr_count:     0
    .vgpr_spill_count: 0
    .wavefront_size: 64
  - .agpr_count:     0
    .args:
      - .offset:         0
        .size:           40
        .value_kind:     by_value
      - .offset:         40
        .size:           4
        .value_kind:     hidden_block_count_x
      - .offset:         44
        .size:           4
        .value_kind:     hidden_block_count_y
      - .offset:         48
        .size:           4
        .value_kind:     hidden_block_count_z
      - .offset:         52
        .size:           2
        .value_kind:     hidden_group_size_x
      - .offset:         54
        .size:           2
        .value_kind:     hidden_group_size_y
      - .offset:         56
        .size:           2
        .value_kind:     hidden_group_size_z
      - .offset:         58
        .size:           2
        .value_kind:     hidden_remainder_x
      - .offset:         60
        .size:           2
        .value_kind:     hidden_remainder_y
      - .offset:         62
        .size:           2
        .value_kind:     hidden_remainder_z
      - .offset:         80
        .size:           8
        .value_kind:     hidden_global_offset_x
      - .offset:         88
        .size:           8
        .value_kind:     hidden_global_offset_y
      - .offset:         96
        .size:           8
        .value_kind:     hidden_global_offset_z
      - .offset:         104
        .size:           2
        .value_kind:     hidden_grid_dims
    .group_segment_fixed_size: 0
    .kernarg_segment_align: 8
    .kernarg_segment_size: 296
    .language:       OpenCL C
    .language_version:
      - 2
      - 0
    .max_flat_workgroup_size: 64
    .name:           _ZN7rocprim17ROCPRIM_400000_NS6detail17trampoline_kernelINS0_14default_configENS1_25transform_config_selectorIsLb0EEEZNS1_14transform_implILb0ES3_S5_PsN6thrust23THRUST_200600_302600_NS6detail15normal_iteratorINS9_10device_ptrIsEEEENS0_8identityIsEEEE10hipError_tT2_T3_mT4_P12ihipStream_tbEUlT_E_NS1_11comp_targetILNS1_3genE4ELNS1_11target_archE910ELNS1_3gpuE8ELNS1_3repE0EEENS1_30default_config_static_selectorELNS0_4arch9wavefront6targetE1EEEvT1_
    .private_segment_fixed_size: 0
    .sgpr_count:     30
    .sgpr_spill_count: 0
    .symbol:         _ZN7rocprim17ROCPRIM_400000_NS6detail17trampoline_kernelINS0_14default_configENS1_25transform_config_selectorIsLb0EEEZNS1_14transform_implILb0ES3_S5_PsN6thrust23THRUST_200600_302600_NS6detail15normal_iteratorINS9_10device_ptrIsEEEENS0_8identityIsEEEE10hipError_tT2_T3_mT4_P12ihipStream_tbEUlT_E_NS1_11comp_targetILNS1_3genE4ELNS1_11target_archE910ELNS1_3gpuE8ELNS1_3repE0EEENS1_30default_config_static_selectorELNS0_4arch9wavefront6targetE1EEEvT1_.kd
    .uniform_work_group_size: 1
    .uses_dynamic_stack: false
    .vgpr_count:     12
    .vgpr_spill_count: 0
    .wavefront_size: 64
  - .agpr_count:     0
    .args:
      - .offset:         0
        .size:           40
        .value_kind:     by_value
    .group_segment_fixed_size: 0
    .kernarg_segment_align: 8
    .kernarg_segment_size: 40
    .language:       OpenCL C
    .language_version:
      - 2
      - 0
    .max_flat_workgroup_size: 128
    .name:           _ZN7rocprim17ROCPRIM_400000_NS6detail17trampoline_kernelINS0_14default_configENS1_25transform_config_selectorIsLb0EEEZNS1_14transform_implILb0ES3_S5_PsN6thrust23THRUST_200600_302600_NS6detail15normal_iteratorINS9_10device_ptrIsEEEENS0_8identityIsEEEE10hipError_tT2_T3_mT4_P12ihipStream_tbEUlT_E_NS1_11comp_targetILNS1_3genE3ELNS1_11target_archE908ELNS1_3gpuE7ELNS1_3repE0EEENS1_30default_config_static_selectorELNS0_4arch9wavefront6targetE1EEEvT1_
    .private_segment_fixed_size: 0
    .sgpr_count:     4
    .sgpr_spill_count: 0
    .symbol:         _ZN7rocprim17ROCPRIM_400000_NS6detail17trampoline_kernelINS0_14default_configENS1_25transform_config_selectorIsLb0EEEZNS1_14transform_implILb0ES3_S5_PsN6thrust23THRUST_200600_302600_NS6detail15normal_iteratorINS9_10device_ptrIsEEEENS0_8identityIsEEEE10hipError_tT2_T3_mT4_P12ihipStream_tbEUlT_E_NS1_11comp_targetILNS1_3genE3ELNS1_11target_archE908ELNS1_3gpuE7ELNS1_3repE0EEENS1_30default_config_static_selectorELNS0_4arch9wavefront6targetE1EEEvT1_.kd
    .uniform_work_group_size: 1
    .uses_dynamic_stack: false
    .vgpr_count:     0
    .vgpr_spill_count: 0
    .wavefront_size: 64
  - .agpr_count:     0
    .args:
      - .offset:         0
        .size:           40
        .value_kind:     by_value
    .group_segment_fixed_size: 0
    .kernarg_segment_align: 8
    .kernarg_segment_size: 40
    .language:       OpenCL C
    .language_version:
      - 2
      - 0
    .max_flat_workgroup_size: 512
    .name:           _ZN7rocprim17ROCPRIM_400000_NS6detail17trampoline_kernelINS0_14default_configENS1_25transform_config_selectorIsLb0EEEZNS1_14transform_implILb0ES3_S5_PsN6thrust23THRUST_200600_302600_NS6detail15normal_iteratorINS9_10device_ptrIsEEEENS0_8identityIsEEEE10hipError_tT2_T3_mT4_P12ihipStream_tbEUlT_E_NS1_11comp_targetILNS1_3genE2ELNS1_11target_archE906ELNS1_3gpuE6ELNS1_3repE0EEENS1_30default_config_static_selectorELNS0_4arch9wavefront6targetE1EEEvT1_
    .private_segment_fixed_size: 0
    .sgpr_count:     4
    .sgpr_spill_count: 0
    .symbol:         _ZN7rocprim17ROCPRIM_400000_NS6detail17trampoline_kernelINS0_14default_configENS1_25transform_config_selectorIsLb0EEEZNS1_14transform_implILb0ES3_S5_PsN6thrust23THRUST_200600_302600_NS6detail15normal_iteratorINS9_10device_ptrIsEEEENS0_8identityIsEEEE10hipError_tT2_T3_mT4_P12ihipStream_tbEUlT_E_NS1_11comp_targetILNS1_3genE2ELNS1_11target_archE906ELNS1_3gpuE6ELNS1_3repE0EEENS1_30default_config_static_selectorELNS0_4arch9wavefront6targetE1EEEvT1_.kd
    .uniform_work_group_size: 1
    .uses_dynamic_stack: false
    .vgpr_count:     0
    .vgpr_spill_count: 0
    .wavefront_size: 64
  - .agpr_count:     0
    .args:
      - .offset:         0
        .size:           40
        .value_kind:     by_value
    .group_segment_fixed_size: 0
    .kernarg_segment_align: 8
    .kernarg_segment_size: 40
    .language:       OpenCL C
    .language_version:
      - 2
      - 0
    .max_flat_workgroup_size: 1024
    .name:           _ZN7rocprim17ROCPRIM_400000_NS6detail17trampoline_kernelINS0_14default_configENS1_25transform_config_selectorIsLb0EEEZNS1_14transform_implILb0ES3_S5_PsN6thrust23THRUST_200600_302600_NS6detail15normal_iteratorINS9_10device_ptrIsEEEENS0_8identityIsEEEE10hipError_tT2_T3_mT4_P12ihipStream_tbEUlT_E_NS1_11comp_targetILNS1_3genE10ELNS1_11target_archE1201ELNS1_3gpuE5ELNS1_3repE0EEENS1_30default_config_static_selectorELNS0_4arch9wavefront6targetE1EEEvT1_
    .private_segment_fixed_size: 0
    .sgpr_count:     4
    .sgpr_spill_count: 0
    .symbol:         _ZN7rocprim17ROCPRIM_400000_NS6detail17trampoline_kernelINS0_14default_configENS1_25transform_config_selectorIsLb0EEEZNS1_14transform_implILb0ES3_S5_PsN6thrust23THRUST_200600_302600_NS6detail15normal_iteratorINS9_10device_ptrIsEEEENS0_8identityIsEEEE10hipError_tT2_T3_mT4_P12ihipStream_tbEUlT_E_NS1_11comp_targetILNS1_3genE10ELNS1_11target_archE1201ELNS1_3gpuE5ELNS1_3repE0EEENS1_30default_config_static_selectorELNS0_4arch9wavefront6targetE1EEEvT1_.kd
    .uniform_work_group_size: 1
    .uses_dynamic_stack: false
    .vgpr_count:     0
    .vgpr_spill_count: 0
    .wavefront_size: 64
  - .agpr_count:     0
    .args:
      - .offset:         0
        .size:           40
        .value_kind:     by_value
    .group_segment_fixed_size: 0
    .kernarg_segment_align: 8
    .kernarg_segment_size: 40
    .language:       OpenCL C
    .language_version:
      - 2
      - 0
    .max_flat_workgroup_size: 512
    .name:           _ZN7rocprim17ROCPRIM_400000_NS6detail17trampoline_kernelINS0_14default_configENS1_25transform_config_selectorIsLb0EEEZNS1_14transform_implILb0ES3_S5_PsN6thrust23THRUST_200600_302600_NS6detail15normal_iteratorINS9_10device_ptrIsEEEENS0_8identityIsEEEE10hipError_tT2_T3_mT4_P12ihipStream_tbEUlT_E_NS1_11comp_targetILNS1_3genE10ELNS1_11target_archE1200ELNS1_3gpuE4ELNS1_3repE0EEENS1_30default_config_static_selectorELNS0_4arch9wavefront6targetE1EEEvT1_
    .private_segment_fixed_size: 0
    .sgpr_count:     4
    .sgpr_spill_count: 0
    .symbol:         _ZN7rocprim17ROCPRIM_400000_NS6detail17trampoline_kernelINS0_14default_configENS1_25transform_config_selectorIsLb0EEEZNS1_14transform_implILb0ES3_S5_PsN6thrust23THRUST_200600_302600_NS6detail15normal_iteratorINS9_10device_ptrIsEEEENS0_8identityIsEEEE10hipError_tT2_T3_mT4_P12ihipStream_tbEUlT_E_NS1_11comp_targetILNS1_3genE10ELNS1_11target_archE1200ELNS1_3gpuE4ELNS1_3repE0EEENS1_30default_config_static_selectorELNS0_4arch9wavefront6targetE1EEEvT1_.kd
    .uniform_work_group_size: 1
    .uses_dynamic_stack: false
    .vgpr_count:     0
    .vgpr_spill_count: 0
    .wavefront_size: 64
  - .agpr_count:     0
    .args:
      - .offset:         0
        .size:           40
        .value_kind:     by_value
    .group_segment_fixed_size: 0
    .kernarg_segment_align: 8
    .kernarg_segment_size: 40
    .language:       OpenCL C
    .language_version:
      - 2
      - 0
    .max_flat_workgroup_size: 1024
    .name:           _ZN7rocprim17ROCPRIM_400000_NS6detail17trampoline_kernelINS0_14default_configENS1_25transform_config_selectorIsLb0EEEZNS1_14transform_implILb0ES3_S5_PsN6thrust23THRUST_200600_302600_NS6detail15normal_iteratorINS9_10device_ptrIsEEEENS0_8identityIsEEEE10hipError_tT2_T3_mT4_P12ihipStream_tbEUlT_E_NS1_11comp_targetILNS1_3genE9ELNS1_11target_archE1100ELNS1_3gpuE3ELNS1_3repE0EEENS1_30default_config_static_selectorELNS0_4arch9wavefront6targetE1EEEvT1_
    .private_segment_fixed_size: 0
    .sgpr_count:     4
    .sgpr_spill_count: 0
    .symbol:         _ZN7rocprim17ROCPRIM_400000_NS6detail17trampoline_kernelINS0_14default_configENS1_25transform_config_selectorIsLb0EEEZNS1_14transform_implILb0ES3_S5_PsN6thrust23THRUST_200600_302600_NS6detail15normal_iteratorINS9_10device_ptrIsEEEENS0_8identityIsEEEE10hipError_tT2_T3_mT4_P12ihipStream_tbEUlT_E_NS1_11comp_targetILNS1_3genE9ELNS1_11target_archE1100ELNS1_3gpuE3ELNS1_3repE0EEENS1_30default_config_static_selectorELNS0_4arch9wavefront6targetE1EEEvT1_.kd
    .uniform_work_group_size: 1
    .uses_dynamic_stack: false
    .vgpr_count:     0
    .vgpr_spill_count: 0
    .wavefront_size: 64
  - .agpr_count:     0
    .args:
      - .offset:         0
        .size:           40
        .value_kind:     by_value
    .group_segment_fixed_size: 0
    .kernarg_segment_align: 8
    .kernarg_segment_size: 40
    .language:       OpenCL C
    .language_version:
      - 2
      - 0
    .max_flat_workgroup_size: 1024
    .name:           _ZN7rocprim17ROCPRIM_400000_NS6detail17trampoline_kernelINS0_14default_configENS1_25transform_config_selectorIsLb0EEEZNS1_14transform_implILb0ES3_S5_PsN6thrust23THRUST_200600_302600_NS6detail15normal_iteratorINS9_10device_ptrIsEEEENS0_8identityIsEEEE10hipError_tT2_T3_mT4_P12ihipStream_tbEUlT_E_NS1_11comp_targetILNS1_3genE8ELNS1_11target_archE1030ELNS1_3gpuE2ELNS1_3repE0EEENS1_30default_config_static_selectorELNS0_4arch9wavefront6targetE1EEEvT1_
    .private_segment_fixed_size: 0
    .sgpr_count:     4
    .sgpr_spill_count: 0
    .symbol:         _ZN7rocprim17ROCPRIM_400000_NS6detail17trampoline_kernelINS0_14default_configENS1_25transform_config_selectorIsLb0EEEZNS1_14transform_implILb0ES3_S5_PsN6thrust23THRUST_200600_302600_NS6detail15normal_iteratorINS9_10device_ptrIsEEEENS0_8identityIsEEEE10hipError_tT2_T3_mT4_P12ihipStream_tbEUlT_E_NS1_11comp_targetILNS1_3genE8ELNS1_11target_archE1030ELNS1_3gpuE2ELNS1_3repE0EEENS1_30default_config_static_selectorELNS0_4arch9wavefront6targetE1EEEvT1_.kd
    .uniform_work_group_size: 1
    .uses_dynamic_stack: false
    .vgpr_count:     0
    .vgpr_spill_count: 0
    .wavefront_size: 64
  - .agpr_count:     0
    .args:           []
    .group_segment_fixed_size: 0
    .kernarg_segment_align: 4
    .kernarg_segment_size: 0
    .language:       OpenCL C
    .language_version:
      - 2
      - 0
    .max_flat_workgroup_size: 1024
    .name:           _ZN7rocprim17ROCPRIM_400000_NS6detail44device_merge_sort_compile_time_verifier_archINS1_11comp_targetILNS1_3genE0ELNS1_11target_archE4294967295ELNS1_3gpuE0ELNS1_3repE0EEES8_NS0_14default_configES9_NS1_37merge_sort_block_sort_config_selectorItNS0_10empty_typeEEENS1_38merge_sort_block_merge_config_selectorItSB_EEEEvv
    .private_segment_fixed_size: 0
    .sgpr_count:     4
    .sgpr_spill_count: 0
    .symbol:         _ZN7rocprim17ROCPRIM_400000_NS6detail44device_merge_sort_compile_time_verifier_archINS1_11comp_targetILNS1_3genE0ELNS1_11target_archE4294967295ELNS1_3gpuE0ELNS1_3repE0EEES8_NS0_14default_configES9_NS1_37merge_sort_block_sort_config_selectorItNS0_10empty_typeEEENS1_38merge_sort_block_merge_config_selectorItSB_EEEEvv.kd
    .uniform_work_group_size: 1
    .uses_dynamic_stack: false
    .vgpr_count:     0
    .vgpr_spill_count: 0
    .wavefront_size: 64
  - .agpr_count:     0
    .args:           []
    .group_segment_fixed_size: 0
    .kernarg_segment_align: 4
    .kernarg_segment_size: 0
    .language:       OpenCL C
    .language_version:
      - 2
      - 0
    .max_flat_workgroup_size: 1024
    .name:           _ZN7rocprim17ROCPRIM_400000_NS6detail44device_merge_sort_compile_time_verifier_archINS1_11comp_targetILNS1_3genE5ELNS1_11target_archE942ELNS1_3gpuE9ELNS1_3repE0EEES8_NS0_14default_configES9_NS1_37merge_sort_block_sort_config_selectorItNS0_10empty_typeEEENS1_38merge_sort_block_merge_config_selectorItSB_EEEEvv
    .private_segment_fixed_size: 0
    .sgpr_count:     4
    .sgpr_spill_count: 0
    .symbol:         _ZN7rocprim17ROCPRIM_400000_NS6detail44device_merge_sort_compile_time_verifier_archINS1_11comp_targetILNS1_3genE5ELNS1_11target_archE942ELNS1_3gpuE9ELNS1_3repE0EEES8_NS0_14default_configES9_NS1_37merge_sort_block_sort_config_selectorItNS0_10empty_typeEEENS1_38merge_sort_block_merge_config_selectorItSB_EEEEvv.kd
    .uniform_work_group_size: 1
    .uses_dynamic_stack: false
    .vgpr_count:     0
    .vgpr_spill_count: 0
    .wavefront_size: 64
  - .agpr_count:     0
    .args:           []
    .group_segment_fixed_size: 0
    .kernarg_segment_align: 4
    .kernarg_segment_size: 0
    .language:       OpenCL C
    .language_version:
      - 2
      - 0
    .max_flat_workgroup_size: 1024
    .name:           _ZN7rocprim17ROCPRIM_400000_NS6detail44device_merge_sort_compile_time_verifier_archINS1_11comp_targetILNS1_3genE4ELNS1_11target_archE910ELNS1_3gpuE8ELNS1_3repE0EEES8_NS0_14default_configES9_NS1_37merge_sort_block_sort_config_selectorItNS0_10empty_typeEEENS1_38merge_sort_block_merge_config_selectorItSB_EEEEvv
    .private_segment_fixed_size: 0
    .sgpr_count:     4
    .sgpr_spill_count: 0
    .symbol:         _ZN7rocprim17ROCPRIM_400000_NS6detail44device_merge_sort_compile_time_verifier_archINS1_11comp_targetILNS1_3genE4ELNS1_11target_archE910ELNS1_3gpuE8ELNS1_3repE0EEES8_NS0_14default_configES9_NS1_37merge_sort_block_sort_config_selectorItNS0_10empty_typeEEENS1_38merge_sort_block_merge_config_selectorItSB_EEEEvv.kd
    .uniform_work_group_size: 1
    .uses_dynamic_stack: false
    .vgpr_count:     0
    .vgpr_spill_count: 0
    .wavefront_size: 64
  - .agpr_count:     0
    .args:           []
    .group_segment_fixed_size: 0
    .kernarg_segment_align: 4
    .kernarg_segment_size: 0
    .language:       OpenCL C
    .language_version:
      - 2
      - 0
    .max_flat_workgroup_size: 1024
    .name:           _ZN7rocprim17ROCPRIM_400000_NS6detail44device_merge_sort_compile_time_verifier_archINS1_11comp_targetILNS1_3genE3ELNS1_11target_archE908ELNS1_3gpuE7ELNS1_3repE0EEES8_NS0_14default_configES9_NS1_37merge_sort_block_sort_config_selectorItNS0_10empty_typeEEENS1_38merge_sort_block_merge_config_selectorItSB_EEEEvv
    .private_segment_fixed_size: 0
    .sgpr_count:     4
    .sgpr_spill_count: 0
    .symbol:         _ZN7rocprim17ROCPRIM_400000_NS6detail44device_merge_sort_compile_time_verifier_archINS1_11comp_targetILNS1_3genE3ELNS1_11target_archE908ELNS1_3gpuE7ELNS1_3repE0EEES8_NS0_14default_configES9_NS1_37merge_sort_block_sort_config_selectorItNS0_10empty_typeEEENS1_38merge_sort_block_merge_config_selectorItSB_EEEEvv.kd
    .uniform_work_group_size: 1
    .uses_dynamic_stack: false
    .vgpr_count:     0
    .vgpr_spill_count: 0
    .wavefront_size: 64
  - .agpr_count:     0
    .args:           []
    .group_segment_fixed_size: 0
    .kernarg_segment_align: 4
    .kernarg_segment_size: 0
    .language:       OpenCL C
    .language_version:
      - 2
      - 0
    .max_flat_workgroup_size: 1024
    .name:           _ZN7rocprim17ROCPRIM_400000_NS6detail44device_merge_sort_compile_time_verifier_archINS1_11comp_targetILNS1_3genE2ELNS1_11target_archE906ELNS1_3gpuE6ELNS1_3repE0EEES8_NS0_14default_configES9_NS1_37merge_sort_block_sort_config_selectorItNS0_10empty_typeEEENS1_38merge_sort_block_merge_config_selectorItSB_EEEEvv
    .private_segment_fixed_size: 0
    .sgpr_count:     4
    .sgpr_spill_count: 0
    .symbol:         _ZN7rocprim17ROCPRIM_400000_NS6detail44device_merge_sort_compile_time_verifier_archINS1_11comp_targetILNS1_3genE2ELNS1_11target_archE906ELNS1_3gpuE6ELNS1_3repE0EEES8_NS0_14default_configES9_NS1_37merge_sort_block_sort_config_selectorItNS0_10empty_typeEEENS1_38merge_sort_block_merge_config_selectorItSB_EEEEvv.kd
    .uniform_work_group_size: 1
    .uses_dynamic_stack: false
    .vgpr_count:     0
    .vgpr_spill_count: 0
    .wavefront_size: 64
  - .agpr_count:     0
    .args:           []
    .group_segment_fixed_size: 0
    .kernarg_segment_align: 4
    .kernarg_segment_size: 0
    .language:       OpenCL C
    .language_version:
      - 2
      - 0
    .max_flat_workgroup_size: 1024
    .name:           _ZN7rocprim17ROCPRIM_400000_NS6detail44device_merge_sort_compile_time_verifier_archINS1_11comp_targetILNS1_3genE10ELNS1_11target_archE1201ELNS1_3gpuE5ELNS1_3repE0EEES8_NS0_14default_configES9_NS1_37merge_sort_block_sort_config_selectorItNS0_10empty_typeEEENS1_38merge_sort_block_merge_config_selectorItSB_EEEEvv
    .private_segment_fixed_size: 0
    .sgpr_count:     4
    .sgpr_spill_count: 0
    .symbol:         _ZN7rocprim17ROCPRIM_400000_NS6detail44device_merge_sort_compile_time_verifier_archINS1_11comp_targetILNS1_3genE10ELNS1_11target_archE1201ELNS1_3gpuE5ELNS1_3repE0EEES8_NS0_14default_configES9_NS1_37merge_sort_block_sort_config_selectorItNS0_10empty_typeEEENS1_38merge_sort_block_merge_config_selectorItSB_EEEEvv.kd
    .uniform_work_group_size: 1
    .uses_dynamic_stack: false
    .vgpr_count:     0
    .vgpr_spill_count: 0
    .wavefront_size: 64
  - .agpr_count:     0
    .args:           []
    .group_segment_fixed_size: 0
    .kernarg_segment_align: 4
    .kernarg_segment_size: 0
    .language:       OpenCL C
    .language_version:
      - 2
      - 0
    .max_flat_workgroup_size: 1024
    .name:           _ZN7rocprim17ROCPRIM_400000_NS6detail44device_merge_sort_compile_time_verifier_archINS1_11comp_targetILNS1_3genE10ELNS1_11target_archE1200ELNS1_3gpuE4ELNS1_3repE0EEENS3_ILS4_10ELS5_1201ELS6_5ELS7_0EEENS0_14default_configESA_NS1_37merge_sort_block_sort_config_selectorItNS0_10empty_typeEEENS1_38merge_sort_block_merge_config_selectorItSC_EEEEvv
    .private_segment_fixed_size: 0
    .sgpr_count:     4
    .sgpr_spill_count: 0
    .symbol:         _ZN7rocprim17ROCPRIM_400000_NS6detail44device_merge_sort_compile_time_verifier_archINS1_11comp_targetILNS1_3genE10ELNS1_11target_archE1200ELNS1_3gpuE4ELNS1_3repE0EEENS3_ILS4_10ELS5_1201ELS6_5ELS7_0EEENS0_14default_configESA_NS1_37merge_sort_block_sort_config_selectorItNS0_10empty_typeEEENS1_38merge_sort_block_merge_config_selectorItSC_EEEEvv.kd
    .uniform_work_group_size: 1
    .uses_dynamic_stack: false
    .vgpr_count:     0
    .vgpr_spill_count: 0
    .wavefront_size: 64
  - .agpr_count:     0
    .args:           []
    .group_segment_fixed_size: 0
    .kernarg_segment_align: 4
    .kernarg_segment_size: 0
    .language:       OpenCL C
    .language_version:
      - 2
      - 0
    .max_flat_workgroup_size: 1024
    .name:           _ZN7rocprim17ROCPRIM_400000_NS6detail44device_merge_sort_compile_time_verifier_archINS1_11comp_targetILNS1_3genE9ELNS1_11target_archE1100ELNS1_3gpuE3ELNS1_3repE0EEES8_NS0_14default_configES9_NS1_37merge_sort_block_sort_config_selectorItNS0_10empty_typeEEENS1_38merge_sort_block_merge_config_selectorItSB_EEEEvv
    .private_segment_fixed_size: 0
    .sgpr_count:     4
    .sgpr_spill_count: 0
    .symbol:         _ZN7rocprim17ROCPRIM_400000_NS6detail44device_merge_sort_compile_time_verifier_archINS1_11comp_targetILNS1_3genE9ELNS1_11target_archE1100ELNS1_3gpuE3ELNS1_3repE0EEES8_NS0_14default_configES9_NS1_37merge_sort_block_sort_config_selectorItNS0_10empty_typeEEENS1_38merge_sort_block_merge_config_selectorItSB_EEEEvv.kd
    .uniform_work_group_size: 1
    .uses_dynamic_stack: false
    .vgpr_count:     0
    .vgpr_spill_count: 0
    .wavefront_size: 64
  - .agpr_count:     0
    .args:           []
    .group_segment_fixed_size: 0
    .kernarg_segment_align: 4
    .kernarg_segment_size: 0
    .language:       OpenCL C
    .language_version:
      - 2
      - 0
    .max_flat_workgroup_size: 1024
    .name:           _ZN7rocprim17ROCPRIM_400000_NS6detail44device_merge_sort_compile_time_verifier_archINS1_11comp_targetILNS1_3genE8ELNS1_11target_archE1030ELNS1_3gpuE2ELNS1_3repE0EEES8_NS0_14default_configES9_NS1_37merge_sort_block_sort_config_selectorItNS0_10empty_typeEEENS1_38merge_sort_block_merge_config_selectorItSB_EEEEvv
    .private_segment_fixed_size: 0
    .sgpr_count:     4
    .sgpr_spill_count: 0
    .symbol:         _ZN7rocprim17ROCPRIM_400000_NS6detail44device_merge_sort_compile_time_verifier_archINS1_11comp_targetILNS1_3genE8ELNS1_11target_archE1030ELNS1_3gpuE2ELNS1_3repE0EEES8_NS0_14default_configES9_NS1_37merge_sort_block_sort_config_selectorItNS0_10empty_typeEEENS1_38merge_sort_block_merge_config_selectorItSB_EEEEvv.kd
    .uniform_work_group_size: 1
    .uses_dynamic_stack: false
    .vgpr_count:     0
    .vgpr_spill_count: 0
    .wavefront_size: 64
  - .agpr_count:     0
    .args:
      - .offset:         0
        .size:           64
        .value_kind:     by_value
    .group_segment_fixed_size: 0
    .kernarg_segment_align: 8
    .kernarg_segment_size: 64
    .language:       OpenCL C
    .language_version:
      - 2
      - 0
    .max_flat_workgroup_size: 256
    .name:           _ZN7rocprim17ROCPRIM_400000_NS6detail17trampoline_kernelINS0_14default_configENS1_37merge_sort_block_sort_config_selectorItNS0_10empty_typeEEEZNS1_21merge_sort_block_sortIS3_N6thrust23THRUST_200600_302600_NS6detail15normal_iteratorINS9_10device_ptrItEEEESE_PS5_SF_14custom_greaterItEEE10hipError_tT0_T1_T2_T3_mRjT4_P12ihipStream_tbNS1_7vsmem_tEEUlT_E_NS1_11comp_targetILNS1_3genE0ELNS1_11target_archE4294967295ELNS1_3gpuE0ELNS1_3repE0EEENS1_30default_config_static_selectorELNS0_4arch9wavefront6targetE1EEEvSK_
    .private_segment_fixed_size: 0
    .sgpr_count:     4
    .sgpr_spill_count: 0
    .symbol:         _ZN7rocprim17ROCPRIM_400000_NS6detail17trampoline_kernelINS0_14default_configENS1_37merge_sort_block_sort_config_selectorItNS0_10empty_typeEEEZNS1_21merge_sort_block_sortIS3_N6thrust23THRUST_200600_302600_NS6detail15normal_iteratorINS9_10device_ptrItEEEESE_PS5_SF_14custom_greaterItEEE10hipError_tT0_T1_T2_T3_mRjT4_P12ihipStream_tbNS1_7vsmem_tEEUlT_E_NS1_11comp_targetILNS1_3genE0ELNS1_11target_archE4294967295ELNS1_3gpuE0ELNS1_3repE0EEENS1_30default_config_static_selectorELNS0_4arch9wavefront6targetE1EEEvSK_.kd
    .uniform_work_group_size: 1
    .uses_dynamic_stack: false
    .vgpr_count:     0
    .vgpr_spill_count: 0
    .wavefront_size: 64
  - .agpr_count:     0
    .args:
      - .offset:         0
        .size:           64
        .value_kind:     by_value
    .group_segment_fixed_size: 0
    .kernarg_segment_align: 8
    .kernarg_segment_size: 64
    .language:       OpenCL C
    .language_version:
      - 2
      - 0
    .max_flat_workgroup_size: 256
    .name:           _ZN7rocprim17ROCPRIM_400000_NS6detail17trampoline_kernelINS0_14default_configENS1_37merge_sort_block_sort_config_selectorItNS0_10empty_typeEEEZNS1_21merge_sort_block_sortIS3_N6thrust23THRUST_200600_302600_NS6detail15normal_iteratorINS9_10device_ptrItEEEESE_PS5_SF_14custom_greaterItEEE10hipError_tT0_T1_T2_T3_mRjT4_P12ihipStream_tbNS1_7vsmem_tEEUlT_E_NS1_11comp_targetILNS1_3genE5ELNS1_11target_archE942ELNS1_3gpuE9ELNS1_3repE0EEENS1_30default_config_static_selectorELNS0_4arch9wavefront6targetE1EEEvSK_
    .private_segment_fixed_size: 0
    .sgpr_count:     4
    .sgpr_spill_count: 0
    .symbol:         _ZN7rocprim17ROCPRIM_400000_NS6detail17trampoline_kernelINS0_14default_configENS1_37merge_sort_block_sort_config_selectorItNS0_10empty_typeEEEZNS1_21merge_sort_block_sortIS3_N6thrust23THRUST_200600_302600_NS6detail15normal_iteratorINS9_10device_ptrItEEEESE_PS5_SF_14custom_greaterItEEE10hipError_tT0_T1_T2_T3_mRjT4_P12ihipStream_tbNS1_7vsmem_tEEUlT_E_NS1_11comp_targetILNS1_3genE5ELNS1_11target_archE942ELNS1_3gpuE9ELNS1_3repE0EEENS1_30default_config_static_selectorELNS0_4arch9wavefront6targetE1EEEvSK_.kd
    .uniform_work_group_size: 1
    .uses_dynamic_stack: false
    .vgpr_count:     0
    .vgpr_spill_count: 0
    .wavefront_size: 64
  - .agpr_count:     0
    .args:
      - .offset:         0
        .size:           64
        .value_kind:     by_value
      - .offset:         64
        .size:           4
        .value_kind:     hidden_block_count_x
      - .offset:         68
        .size:           4
        .value_kind:     hidden_block_count_y
      - .offset:         72
        .size:           4
        .value_kind:     hidden_block_count_z
      - .offset:         76
        .size:           2
        .value_kind:     hidden_group_size_x
      - .offset:         78
        .size:           2
        .value_kind:     hidden_group_size_y
      - .offset:         80
        .size:           2
        .value_kind:     hidden_group_size_z
      - .offset:         82
        .size:           2
        .value_kind:     hidden_remainder_x
      - .offset:         84
        .size:           2
        .value_kind:     hidden_remainder_y
      - .offset:         86
        .size:           2
        .value_kind:     hidden_remainder_z
      - .offset:         104
        .size:           8
        .value_kind:     hidden_global_offset_x
      - .offset:         112
        .size:           8
        .value_kind:     hidden_global_offset_y
      - .offset:         120
        .size:           8
        .value_kind:     hidden_global_offset_z
      - .offset:         128
        .size:           2
        .value_kind:     hidden_grid_dims
      - .offset:         144
        .size:           8
        .value_kind:     hidden_hostcall_buffer
      - .offset:         152
        .size:           8
        .value_kind:     hidden_multigrid_sync_arg
      - .offset:         160
        .size:           8
        .value_kind:     hidden_heap_v1
      - .offset:         168
        .size:           8
        .value_kind:     hidden_default_queue
      - .offset:         176
        .size:           8
        .value_kind:     hidden_completion_action
      - .offset:         264
        .size:           8
        .value_kind:     hidden_queue_ptr
    .group_segment_fixed_size: 8448
    .kernarg_segment_align: 8
    .kernarg_segment_size: 320
    .language:       OpenCL C
    .language_version:
      - 2
      - 0
    .max_flat_workgroup_size: 256
    .name:           _ZN7rocprim17ROCPRIM_400000_NS6detail17trampoline_kernelINS0_14default_configENS1_37merge_sort_block_sort_config_selectorItNS0_10empty_typeEEEZNS1_21merge_sort_block_sortIS3_N6thrust23THRUST_200600_302600_NS6detail15normal_iteratorINS9_10device_ptrItEEEESE_PS5_SF_14custom_greaterItEEE10hipError_tT0_T1_T2_T3_mRjT4_P12ihipStream_tbNS1_7vsmem_tEEUlT_E_NS1_11comp_targetILNS1_3genE4ELNS1_11target_archE910ELNS1_3gpuE8ELNS1_3repE0EEENS1_30default_config_static_selectorELNS0_4arch9wavefront6targetE1EEEvSK_
    .private_segment_fixed_size: 8
    .sgpr_count:     82
    .sgpr_spill_count: 0
    .symbol:         _ZN7rocprim17ROCPRIM_400000_NS6detail17trampoline_kernelINS0_14default_configENS1_37merge_sort_block_sort_config_selectorItNS0_10empty_typeEEEZNS1_21merge_sort_block_sortIS3_N6thrust23THRUST_200600_302600_NS6detail15normal_iteratorINS9_10device_ptrItEEEESE_PS5_SF_14custom_greaterItEEE10hipError_tT0_T1_T2_T3_mRjT4_P12ihipStream_tbNS1_7vsmem_tEEUlT_E_NS1_11comp_targetILNS1_3genE4ELNS1_11target_archE910ELNS1_3gpuE8ELNS1_3repE0EEENS1_30default_config_static_selectorELNS0_4arch9wavefront6targetE1EEEvSK_.kd
    .uniform_work_group_size: 1
    .uses_dynamic_stack: false
    .vgpr_count:     87
    .vgpr_spill_count: 0
    .wavefront_size: 64
  - .agpr_count:     0
    .args:
      - .offset:         0
        .size:           64
        .value_kind:     by_value
    .group_segment_fixed_size: 0
    .kernarg_segment_align: 8
    .kernarg_segment_size: 64
    .language:       OpenCL C
    .language_version:
      - 2
      - 0
    .max_flat_workgroup_size: 256
    .name:           _ZN7rocprim17ROCPRIM_400000_NS6detail17trampoline_kernelINS0_14default_configENS1_37merge_sort_block_sort_config_selectorItNS0_10empty_typeEEEZNS1_21merge_sort_block_sortIS3_N6thrust23THRUST_200600_302600_NS6detail15normal_iteratorINS9_10device_ptrItEEEESE_PS5_SF_14custom_greaterItEEE10hipError_tT0_T1_T2_T3_mRjT4_P12ihipStream_tbNS1_7vsmem_tEEUlT_E_NS1_11comp_targetILNS1_3genE3ELNS1_11target_archE908ELNS1_3gpuE7ELNS1_3repE0EEENS1_30default_config_static_selectorELNS0_4arch9wavefront6targetE1EEEvSK_
    .private_segment_fixed_size: 0
    .sgpr_count:     4
    .sgpr_spill_count: 0
    .symbol:         _ZN7rocprim17ROCPRIM_400000_NS6detail17trampoline_kernelINS0_14default_configENS1_37merge_sort_block_sort_config_selectorItNS0_10empty_typeEEEZNS1_21merge_sort_block_sortIS3_N6thrust23THRUST_200600_302600_NS6detail15normal_iteratorINS9_10device_ptrItEEEESE_PS5_SF_14custom_greaterItEEE10hipError_tT0_T1_T2_T3_mRjT4_P12ihipStream_tbNS1_7vsmem_tEEUlT_E_NS1_11comp_targetILNS1_3genE3ELNS1_11target_archE908ELNS1_3gpuE7ELNS1_3repE0EEENS1_30default_config_static_selectorELNS0_4arch9wavefront6targetE1EEEvSK_.kd
    .uniform_work_group_size: 1
    .uses_dynamic_stack: false
    .vgpr_count:     0
    .vgpr_spill_count: 0
    .wavefront_size: 64
  - .agpr_count:     0
    .args:
      - .offset:         0
        .size:           64
        .value_kind:     by_value
    .group_segment_fixed_size: 0
    .kernarg_segment_align: 8
    .kernarg_segment_size: 64
    .language:       OpenCL C
    .language_version:
      - 2
      - 0
    .max_flat_workgroup_size: 256
    .name:           _ZN7rocprim17ROCPRIM_400000_NS6detail17trampoline_kernelINS0_14default_configENS1_37merge_sort_block_sort_config_selectorItNS0_10empty_typeEEEZNS1_21merge_sort_block_sortIS3_N6thrust23THRUST_200600_302600_NS6detail15normal_iteratorINS9_10device_ptrItEEEESE_PS5_SF_14custom_greaterItEEE10hipError_tT0_T1_T2_T3_mRjT4_P12ihipStream_tbNS1_7vsmem_tEEUlT_E_NS1_11comp_targetILNS1_3genE2ELNS1_11target_archE906ELNS1_3gpuE6ELNS1_3repE0EEENS1_30default_config_static_selectorELNS0_4arch9wavefront6targetE1EEEvSK_
    .private_segment_fixed_size: 0
    .sgpr_count:     4
    .sgpr_spill_count: 0
    .symbol:         _ZN7rocprim17ROCPRIM_400000_NS6detail17trampoline_kernelINS0_14default_configENS1_37merge_sort_block_sort_config_selectorItNS0_10empty_typeEEEZNS1_21merge_sort_block_sortIS3_N6thrust23THRUST_200600_302600_NS6detail15normal_iteratorINS9_10device_ptrItEEEESE_PS5_SF_14custom_greaterItEEE10hipError_tT0_T1_T2_T3_mRjT4_P12ihipStream_tbNS1_7vsmem_tEEUlT_E_NS1_11comp_targetILNS1_3genE2ELNS1_11target_archE906ELNS1_3gpuE6ELNS1_3repE0EEENS1_30default_config_static_selectorELNS0_4arch9wavefront6targetE1EEEvSK_.kd
    .uniform_work_group_size: 1
    .uses_dynamic_stack: false
    .vgpr_count:     0
    .vgpr_spill_count: 0
    .wavefront_size: 64
  - .agpr_count:     0
    .args:
      - .offset:         0
        .size:           64
        .value_kind:     by_value
    .group_segment_fixed_size: 0
    .kernarg_segment_align: 8
    .kernarg_segment_size: 64
    .language:       OpenCL C
    .language_version:
      - 2
      - 0
    .max_flat_workgroup_size: 256
    .name:           _ZN7rocprim17ROCPRIM_400000_NS6detail17trampoline_kernelINS0_14default_configENS1_37merge_sort_block_sort_config_selectorItNS0_10empty_typeEEEZNS1_21merge_sort_block_sortIS3_N6thrust23THRUST_200600_302600_NS6detail15normal_iteratorINS9_10device_ptrItEEEESE_PS5_SF_14custom_greaterItEEE10hipError_tT0_T1_T2_T3_mRjT4_P12ihipStream_tbNS1_7vsmem_tEEUlT_E_NS1_11comp_targetILNS1_3genE10ELNS1_11target_archE1201ELNS1_3gpuE5ELNS1_3repE0EEENS1_30default_config_static_selectorELNS0_4arch9wavefront6targetE1EEEvSK_
    .private_segment_fixed_size: 0
    .sgpr_count:     4
    .sgpr_spill_count: 0
    .symbol:         _ZN7rocprim17ROCPRIM_400000_NS6detail17trampoline_kernelINS0_14default_configENS1_37merge_sort_block_sort_config_selectorItNS0_10empty_typeEEEZNS1_21merge_sort_block_sortIS3_N6thrust23THRUST_200600_302600_NS6detail15normal_iteratorINS9_10device_ptrItEEEESE_PS5_SF_14custom_greaterItEEE10hipError_tT0_T1_T2_T3_mRjT4_P12ihipStream_tbNS1_7vsmem_tEEUlT_E_NS1_11comp_targetILNS1_3genE10ELNS1_11target_archE1201ELNS1_3gpuE5ELNS1_3repE0EEENS1_30default_config_static_selectorELNS0_4arch9wavefront6targetE1EEEvSK_.kd
    .uniform_work_group_size: 1
    .uses_dynamic_stack: false
    .vgpr_count:     0
    .vgpr_spill_count: 0
    .wavefront_size: 64
  - .agpr_count:     0
    .args:
      - .offset:         0
        .size:           64
        .value_kind:     by_value
    .group_segment_fixed_size: 0
    .kernarg_segment_align: 8
    .kernarg_segment_size: 64
    .language:       OpenCL C
    .language_version:
      - 2
      - 0
    .max_flat_workgroup_size: 256
    .name:           _ZN7rocprim17ROCPRIM_400000_NS6detail17trampoline_kernelINS0_14default_configENS1_37merge_sort_block_sort_config_selectorItNS0_10empty_typeEEEZNS1_21merge_sort_block_sortIS3_N6thrust23THRUST_200600_302600_NS6detail15normal_iteratorINS9_10device_ptrItEEEESE_PS5_SF_14custom_greaterItEEE10hipError_tT0_T1_T2_T3_mRjT4_P12ihipStream_tbNS1_7vsmem_tEEUlT_E_NS1_11comp_targetILNS1_3genE10ELNS1_11target_archE1200ELNS1_3gpuE4ELNS1_3repE0EEENS1_30default_config_static_selectorELNS0_4arch9wavefront6targetE1EEEvSK_
    .private_segment_fixed_size: 0
    .sgpr_count:     4
    .sgpr_spill_count: 0
    .symbol:         _ZN7rocprim17ROCPRIM_400000_NS6detail17trampoline_kernelINS0_14default_configENS1_37merge_sort_block_sort_config_selectorItNS0_10empty_typeEEEZNS1_21merge_sort_block_sortIS3_N6thrust23THRUST_200600_302600_NS6detail15normal_iteratorINS9_10device_ptrItEEEESE_PS5_SF_14custom_greaterItEEE10hipError_tT0_T1_T2_T3_mRjT4_P12ihipStream_tbNS1_7vsmem_tEEUlT_E_NS1_11comp_targetILNS1_3genE10ELNS1_11target_archE1200ELNS1_3gpuE4ELNS1_3repE0EEENS1_30default_config_static_selectorELNS0_4arch9wavefront6targetE1EEEvSK_.kd
    .uniform_work_group_size: 1
    .uses_dynamic_stack: false
    .vgpr_count:     0
    .vgpr_spill_count: 0
    .wavefront_size: 64
  - .agpr_count:     0
    .args:
      - .offset:         0
        .size:           64
        .value_kind:     by_value
    .group_segment_fixed_size: 0
    .kernarg_segment_align: 8
    .kernarg_segment_size: 64
    .language:       OpenCL C
    .language_version:
      - 2
      - 0
    .max_flat_workgroup_size: 256
    .name:           _ZN7rocprim17ROCPRIM_400000_NS6detail17trampoline_kernelINS0_14default_configENS1_37merge_sort_block_sort_config_selectorItNS0_10empty_typeEEEZNS1_21merge_sort_block_sortIS3_N6thrust23THRUST_200600_302600_NS6detail15normal_iteratorINS9_10device_ptrItEEEESE_PS5_SF_14custom_greaterItEEE10hipError_tT0_T1_T2_T3_mRjT4_P12ihipStream_tbNS1_7vsmem_tEEUlT_E_NS1_11comp_targetILNS1_3genE9ELNS1_11target_archE1100ELNS1_3gpuE3ELNS1_3repE0EEENS1_30default_config_static_selectorELNS0_4arch9wavefront6targetE1EEEvSK_
    .private_segment_fixed_size: 0
    .sgpr_count:     4
    .sgpr_spill_count: 0
    .symbol:         _ZN7rocprim17ROCPRIM_400000_NS6detail17trampoline_kernelINS0_14default_configENS1_37merge_sort_block_sort_config_selectorItNS0_10empty_typeEEEZNS1_21merge_sort_block_sortIS3_N6thrust23THRUST_200600_302600_NS6detail15normal_iteratorINS9_10device_ptrItEEEESE_PS5_SF_14custom_greaterItEEE10hipError_tT0_T1_T2_T3_mRjT4_P12ihipStream_tbNS1_7vsmem_tEEUlT_E_NS1_11comp_targetILNS1_3genE9ELNS1_11target_archE1100ELNS1_3gpuE3ELNS1_3repE0EEENS1_30default_config_static_selectorELNS0_4arch9wavefront6targetE1EEEvSK_.kd
    .uniform_work_group_size: 1
    .uses_dynamic_stack: false
    .vgpr_count:     0
    .vgpr_spill_count: 0
    .wavefront_size: 64
  - .agpr_count:     0
    .args:
      - .offset:         0
        .size:           64
        .value_kind:     by_value
    .group_segment_fixed_size: 0
    .kernarg_segment_align: 8
    .kernarg_segment_size: 64
    .language:       OpenCL C
    .language_version:
      - 2
      - 0
    .max_flat_workgroup_size: 256
    .name:           _ZN7rocprim17ROCPRIM_400000_NS6detail17trampoline_kernelINS0_14default_configENS1_37merge_sort_block_sort_config_selectorItNS0_10empty_typeEEEZNS1_21merge_sort_block_sortIS3_N6thrust23THRUST_200600_302600_NS6detail15normal_iteratorINS9_10device_ptrItEEEESE_PS5_SF_14custom_greaterItEEE10hipError_tT0_T1_T2_T3_mRjT4_P12ihipStream_tbNS1_7vsmem_tEEUlT_E_NS1_11comp_targetILNS1_3genE8ELNS1_11target_archE1030ELNS1_3gpuE2ELNS1_3repE0EEENS1_30default_config_static_selectorELNS0_4arch9wavefront6targetE1EEEvSK_
    .private_segment_fixed_size: 0
    .sgpr_count:     4
    .sgpr_spill_count: 0
    .symbol:         _ZN7rocprim17ROCPRIM_400000_NS6detail17trampoline_kernelINS0_14default_configENS1_37merge_sort_block_sort_config_selectorItNS0_10empty_typeEEEZNS1_21merge_sort_block_sortIS3_N6thrust23THRUST_200600_302600_NS6detail15normal_iteratorINS9_10device_ptrItEEEESE_PS5_SF_14custom_greaterItEEE10hipError_tT0_T1_T2_T3_mRjT4_P12ihipStream_tbNS1_7vsmem_tEEUlT_E_NS1_11comp_targetILNS1_3genE8ELNS1_11target_archE1030ELNS1_3gpuE2ELNS1_3repE0EEENS1_30default_config_static_selectorELNS0_4arch9wavefront6targetE1EEEvSK_.kd
    .uniform_work_group_size: 1
    .uses_dynamic_stack: false
    .vgpr_count:     0
    .vgpr_spill_count: 0
    .wavefront_size: 64
  - .agpr_count:     0
    .args:
      - .offset:         0
        .size:           48
        .value_kind:     by_value
    .group_segment_fixed_size: 0
    .kernarg_segment_align: 8
    .kernarg_segment_size: 48
    .language:       OpenCL C
    .language_version:
      - 2
      - 0
    .max_flat_workgroup_size: 128
    .name:           _ZN7rocprim17ROCPRIM_400000_NS6detail17trampoline_kernelINS0_14default_configENS1_38merge_sort_block_merge_config_selectorItNS0_10empty_typeEEEZZNS1_27merge_sort_block_merge_implIS3_N6thrust23THRUST_200600_302600_NS6detail15normal_iteratorINS9_10device_ptrItEEEEPS5_m14custom_greaterItEEE10hipError_tT0_T1_T2_jT3_P12ihipStream_tbPNSt15iterator_traitsISJ_E10value_typeEPNSP_ISK_E10value_typeEPSL_NS1_7vsmem_tEENKUlT_SJ_SK_SL_E_clIPtSE_SF_SF_EESI_SY_SJ_SK_SL_EUlSY_E_NS1_11comp_targetILNS1_3genE0ELNS1_11target_archE4294967295ELNS1_3gpuE0ELNS1_3repE0EEENS1_48merge_mergepath_partition_config_static_selectorELNS0_4arch9wavefront6targetE1EEEvSK_
    .private_segment_fixed_size: 0
    .sgpr_count:     4
    .sgpr_spill_count: 0
    .symbol:         _ZN7rocprim17ROCPRIM_400000_NS6detail17trampoline_kernelINS0_14default_configENS1_38merge_sort_block_merge_config_selectorItNS0_10empty_typeEEEZZNS1_27merge_sort_block_merge_implIS3_N6thrust23THRUST_200600_302600_NS6detail15normal_iteratorINS9_10device_ptrItEEEEPS5_m14custom_greaterItEEE10hipError_tT0_T1_T2_jT3_P12ihipStream_tbPNSt15iterator_traitsISJ_E10value_typeEPNSP_ISK_E10value_typeEPSL_NS1_7vsmem_tEENKUlT_SJ_SK_SL_E_clIPtSE_SF_SF_EESI_SY_SJ_SK_SL_EUlSY_E_NS1_11comp_targetILNS1_3genE0ELNS1_11target_archE4294967295ELNS1_3gpuE0ELNS1_3repE0EEENS1_48merge_mergepath_partition_config_static_selectorELNS0_4arch9wavefront6targetE1EEEvSK_.kd
    .uniform_work_group_size: 1
    .uses_dynamic_stack: false
    .vgpr_count:     0
    .vgpr_spill_count: 0
    .wavefront_size: 64
  - .agpr_count:     0
    .args:
      - .offset:         0
        .size:           48
        .value_kind:     by_value
    .group_segment_fixed_size: 0
    .kernarg_segment_align: 8
    .kernarg_segment_size: 48
    .language:       OpenCL C
    .language_version:
      - 2
      - 0
    .max_flat_workgroup_size: 128
    .name:           _ZN7rocprim17ROCPRIM_400000_NS6detail17trampoline_kernelINS0_14default_configENS1_38merge_sort_block_merge_config_selectorItNS0_10empty_typeEEEZZNS1_27merge_sort_block_merge_implIS3_N6thrust23THRUST_200600_302600_NS6detail15normal_iteratorINS9_10device_ptrItEEEEPS5_m14custom_greaterItEEE10hipError_tT0_T1_T2_jT3_P12ihipStream_tbPNSt15iterator_traitsISJ_E10value_typeEPNSP_ISK_E10value_typeEPSL_NS1_7vsmem_tEENKUlT_SJ_SK_SL_E_clIPtSE_SF_SF_EESI_SY_SJ_SK_SL_EUlSY_E_NS1_11comp_targetILNS1_3genE10ELNS1_11target_archE1201ELNS1_3gpuE5ELNS1_3repE0EEENS1_48merge_mergepath_partition_config_static_selectorELNS0_4arch9wavefront6targetE1EEEvSK_
    .private_segment_fixed_size: 0
    .sgpr_count:     4
    .sgpr_spill_count: 0
    .symbol:         _ZN7rocprim17ROCPRIM_400000_NS6detail17trampoline_kernelINS0_14default_configENS1_38merge_sort_block_merge_config_selectorItNS0_10empty_typeEEEZZNS1_27merge_sort_block_merge_implIS3_N6thrust23THRUST_200600_302600_NS6detail15normal_iteratorINS9_10device_ptrItEEEEPS5_m14custom_greaterItEEE10hipError_tT0_T1_T2_jT3_P12ihipStream_tbPNSt15iterator_traitsISJ_E10value_typeEPNSP_ISK_E10value_typeEPSL_NS1_7vsmem_tEENKUlT_SJ_SK_SL_E_clIPtSE_SF_SF_EESI_SY_SJ_SK_SL_EUlSY_E_NS1_11comp_targetILNS1_3genE10ELNS1_11target_archE1201ELNS1_3gpuE5ELNS1_3repE0EEENS1_48merge_mergepath_partition_config_static_selectorELNS0_4arch9wavefront6targetE1EEEvSK_.kd
    .uniform_work_group_size: 1
    .uses_dynamic_stack: false
    .vgpr_count:     0
    .vgpr_spill_count: 0
    .wavefront_size: 64
  - .agpr_count:     0
    .args:
      - .offset:         0
        .size:           48
        .value_kind:     by_value
    .group_segment_fixed_size: 0
    .kernarg_segment_align: 8
    .kernarg_segment_size: 48
    .language:       OpenCL C
    .language_version:
      - 2
      - 0
    .max_flat_workgroup_size: 128
    .name:           _ZN7rocprim17ROCPRIM_400000_NS6detail17trampoline_kernelINS0_14default_configENS1_38merge_sort_block_merge_config_selectorItNS0_10empty_typeEEEZZNS1_27merge_sort_block_merge_implIS3_N6thrust23THRUST_200600_302600_NS6detail15normal_iteratorINS9_10device_ptrItEEEEPS5_m14custom_greaterItEEE10hipError_tT0_T1_T2_jT3_P12ihipStream_tbPNSt15iterator_traitsISJ_E10value_typeEPNSP_ISK_E10value_typeEPSL_NS1_7vsmem_tEENKUlT_SJ_SK_SL_E_clIPtSE_SF_SF_EESI_SY_SJ_SK_SL_EUlSY_E_NS1_11comp_targetILNS1_3genE5ELNS1_11target_archE942ELNS1_3gpuE9ELNS1_3repE0EEENS1_48merge_mergepath_partition_config_static_selectorELNS0_4arch9wavefront6targetE1EEEvSK_
    .private_segment_fixed_size: 0
    .sgpr_count:     4
    .sgpr_spill_count: 0
    .symbol:         _ZN7rocprim17ROCPRIM_400000_NS6detail17trampoline_kernelINS0_14default_configENS1_38merge_sort_block_merge_config_selectorItNS0_10empty_typeEEEZZNS1_27merge_sort_block_merge_implIS3_N6thrust23THRUST_200600_302600_NS6detail15normal_iteratorINS9_10device_ptrItEEEEPS5_m14custom_greaterItEEE10hipError_tT0_T1_T2_jT3_P12ihipStream_tbPNSt15iterator_traitsISJ_E10value_typeEPNSP_ISK_E10value_typeEPSL_NS1_7vsmem_tEENKUlT_SJ_SK_SL_E_clIPtSE_SF_SF_EESI_SY_SJ_SK_SL_EUlSY_E_NS1_11comp_targetILNS1_3genE5ELNS1_11target_archE942ELNS1_3gpuE9ELNS1_3repE0EEENS1_48merge_mergepath_partition_config_static_selectorELNS0_4arch9wavefront6targetE1EEEvSK_.kd
    .uniform_work_group_size: 1
    .uses_dynamic_stack: false
    .vgpr_count:     0
    .vgpr_spill_count: 0
    .wavefront_size: 64
  - .agpr_count:     0
    .args:
      - .offset:         0
        .size:           48
        .value_kind:     by_value
    .group_segment_fixed_size: 0
    .kernarg_segment_align: 8
    .kernarg_segment_size: 48
    .language:       OpenCL C
    .language_version:
      - 2
      - 0
    .max_flat_workgroup_size: 128
    .name:           _ZN7rocprim17ROCPRIM_400000_NS6detail17trampoline_kernelINS0_14default_configENS1_38merge_sort_block_merge_config_selectorItNS0_10empty_typeEEEZZNS1_27merge_sort_block_merge_implIS3_N6thrust23THRUST_200600_302600_NS6detail15normal_iteratorINS9_10device_ptrItEEEEPS5_m14custom_greaterItEEE10hipError_tT0_T1_T2_jT3_P12ihipStream_tbPNSt15iterator_traitsISJ_E10value_typeEPNSP_ISK_E10value_typeEPSL_NS1_7vsmem_tEENKUlT_SJ_SK_SL_E_clIPtSE_SF_SF_EESI_SY_SJ_SK_SL_EUlSY_E_NS1_11comp_targetILNS1_3genE4ELNS1_11target_archE910ELNS1_3gpuE8ELNS1_3repE0EEENS1_48merge_mergepath_partition_config_static_selectorELNS0_4arch9wavefront6targetE1EEEvSK_
    .private_segment_fixed_size: 0
    .sgpr_count:     12
    .sgpr_spill_count: 0
    .symbol:         _ZN7rocprim17ROCPRIM_400000_NS6detail17trampoline_kernelINS0_14default_configENS1_38merge_sort_block_merge_config_selectorItNS0_10empty_typeEEEZZNS1_27merge_sort_block_merge_implIS3_N6thrust23THRUST_200600_302600_NS6detail15normal_iteratorINS9_10device_ptrItEEEEPS5_m14custom_greaterItEEE10hipError_tT0_T1_T2_jT3_P12ihipStream_tbPNSt15iterator_traitsISJ_E10value_typeEPNSP_ISK_E10value_typeEPSL_NS1_7vsmem_tEENKUlT_SJ_SK_SL_E_clIPtSE_SF_SF_EESI_SY_SJ_SK_SL_EUlSY_E_NS1_11comp_targetILNS1_3genE4ELNS1_11target_archE910ELNS1_3gpuE8ELNS1_3repE0EEENS1_48merge_mergepath_partition_config_static_selectorELNS0_4arch9wavefront6targetE1EEEvSK_.kd
    .uniform_work_group_size: 1
    .uses_dynamic_stack: false
    .vgpr_count:     18
    .vgpr_spill_count: 0
    .wavefront_size: 64
  - .agpr_count:     0
    .args:
      - .offset:         0
        .size:           48
        .value_kind:     by_value
    .group_segment_fixed_size: 0
    .kernarg_segment_align: 8
    .kernarg_segment_size: 48
    .language:       OpenCL C
    .language_version:
      - 2
      - 0
    .max_flat_workgroup_size: 128
    .name:           _ZN7rocprim17ROCPRIM_400000_NS6detail17trampoline_kernelINS0_14default_configENS1_38merge_sort_block_merge_config_selectorItNS0_10empty_typeEEEZZNS1_27merge_sort_block_merge_implIS3_N6thrust23THRUST_200600_302600_NS6detail15normal_iteratorINS9_10device_ptrItEEEEPS5_m14custom_greaterItEEE10hipError_tT0_T1_T2_jT3_P12ihipStream_tbPNSt15iterator_traitsISJ_E10value_typeEPNSP_ISK_E10value_typeEPSL_NS1_7vsmem_tEENKUlT_SJ_SK_SL_E_clIPtSE_SF_SF_EESI_SY_SJ_SK_SL_EUlSY_E_NS1_11comp_targetILNS1_3genE3ELNS1_11target_archE908ELNS1_3gpuE7ELNS1_3repE0EEENS1_48merge_mergepath_partition_config_static_selectorELNS0_4arch9wavefront6targetE1EEEvSK_
    .private_segment_fixed_size: 0
    .sgpr_count:     4
    .sgpr_spill_count: 0
    .symbol:         _ZN7rocprim17ROCPRIM_400000_NS6detail17trampoline_kernelINS0_14default_configENS1_38merge_sort_block_merge_config_selectorItNS0_10empty_typeEEEZZNS1_27merge_sort_block_merge_implIS3_N6thrust23THRUST_200600_302600_NS6detail15normal_iteratorINS9_10device_ptrItEEEEPS5_m14custom_greaterItEEE10hipError_tT0_T1_T2_jT3_P12ihipStream_tbPNSt15iterator_traitsISJ_E10value_typeEPNSP_ISK_E10value_typeEPSL_NS1_7vsmem_tEENKUlT_SJ_SK_SL_E_clIPtSE_SF_SF_EESI_SY_SJ_SK_SL_EUlSY_E_NS1_11comp_targetILNS1_3genE3ELNS1_11target_archE908ELNS1_3gpuE7ELNS1_3repE0EEENS1_48merge_mergepath_partition_config_static_selectorELNS0_4arch9wavefront6targetE1EEEvSK_.kd
    .uniform_work_group_size: 1
    .uses_dynamic_stack: false
    .vgpr_count:     0
    .vgpr_spill_count: 0
    .wavefront_size: 64
  - .agpr_count:     0
    .args:
      - .offset:         0
        .size:           48
        .value_kind:     by_value
    .group_segment_fixed_size: 0
    .kernarg_segment_align: 8
    .kernarg_segment_size: 48
    .language:       OpenCL C
    .language_version:
      - 2
      - 0
    .max_flat_workgroup_size: 128
    .name:           _ZN7rocprim17ROCPRIM_400000_NS6detail17trampoline_kernelINS0_14default_configENS1_38merge_sort_block_merge_config_selectorItNS0_10empty_typeEEEZZNS1_27merge_sort_block_merge_implIS3_N6thrust23THRUST_200600_302600_NS6detail15normal_iteratorINS9_10device_ptrItEEEEPS5_m14custom_greaterItEEE10hipError_tT0_T1_T2_jT3_P12ihipStream_tbPNSt15iterator_traitsISJ_E10value_typeEPNSP_ISK_E10value_typeEPSL_NS1_7vsmem_tEENKUlT_SJ_SK_SL_E_clIPtSE_SF_SF_EESI_SY_SJ_SK_SL_EUlSY_E_NS1_11comp_targetILNS1_3genE2ELNS1_11target_archE906ELNS1_3gpuE6ELNS1_3repE0EEENS1_48merge_mergepath_partition_config_static_selectorELNS0_4arch9wavefront6targetE1EEEvSK_
    .private_segment_fixed_size: 0
    .sgpr_count:     4
    .sgpr_spill_count: 0
    .symbol:         _ZN7rocprim17ROCPRIM_400000_NS6detail17trampoline_kernelINS0_14default_configENS1_38merge_sort_block_merge_config_selectorItNS0_10empty_typeEEEZZNS1_27merge_sort_block_merge_implIS3_N6thrust23THRUST_200600_302600_NS6detail15normal_iteratorINS9_10device_ptrItEEEEPS5_m14custom_greaterItEEE10hipError_tT0_T1_T2_jT3_P12ihipStream_tbPNSt15iterator_traitsISJ_E10value_typeEPNSP_ISK_E10value_typeEPSL_NS1_7vsmem_tEENKUlT_SJ_SK_SL_E_clIPtSE_SF_SF_EESI_SY_SJ_SK_SL_EUlSY_E_NS1_11comp_targetILNS1_3genE2ELNS1_11target_archE906ELNS1_3gpuE6ELNS1_3repE0EEENS1_48merge_mergepath_partition_config_static_selectorELNS0_4arch9wavefront6targetE1EEEvSK_.kd
    .uniform_work_group_size: 1
    .uses_dynamic_stack: false
    .vgpr_count:     0
    .vgpr_spill_count: 0
    .wavefront_size: 64
  - .agpr_count:     0
    .args:
      - .offset:         0
        .size:           48
        .value_kind:     by_value
    .group_segment_fixed_size: 0
    .kernarg_segment_align: 8
    .kernarg_segment_size: 48
    .language:       OpenCL C
    .language_version:
      - 2
      - 0
    .max_flat_workgroup_size: 128
    .name:           _ZN7rocprim17ROCPRIM_400000_NS6detail17trampoline_kernelINS0_14default_configENS1_38merge_sort_block_merge_config_selectorItNS0_10empty_typeEEEZZNS1_27merge_sort_block_merge_implIS3_N6thrust23THRUST_200600_302600_NS6detail15normal_iteratorINS9_10device_ptrItEEEEPS5_m14custom_greaterItEEE10hipError_tT0_T1_T2_jT3_P12ihipStream_tbPNSt15iterator_traitsISJ_E10value_typeEPNSP_ISK_E10value_typeEPSL_NS1_7vsmem_tEENKUlT_SJ_SK_SL_E_clIPtSE_SF_SF_EESI_SY_SJ_SK_SL_EUlSY_E_NS1_11comp_targetILNS1_3genE9ELNS1_11target_archE1100ELNS1_3gpuE3ELNS1_3repE0EEENS1_48merge_mergepath_partition_config_static_selectorELNS0_4arch9wavefront6targetE1EEEvSK_
    .private_segment_fixed_size: 0
    .sgpr_count:     4
    .sgpr_spill_count: 0
    .symbol:         _ZN7rocprim17ROCPRIM_400000_NS6detail17trampoline_kernelINS0_14default_configENS1_38merge_sort_block_merge_config_selectorItNS0_10empty_typeEEEZZNS1_27merge_sort_block_merge_implIS3_N6thrust23THRUST_200600_302600_NS6detail15normal_iteratorINS9_10device_ptrItEEEEPS5_m14custom_greaterItEEE10hipError_tT0_T1_T2_jT3_P12ihipStream_tbPNSt15iterator_traitsISJ_E10value_typeEPNSP_ISK_E10value_typeEPSL_NS1_7vsmem_tEENKUlT_SJ_SK_SL_E_clIPtSE_SF_SF_EESI_SY_SJ_SK_SL_EUlSY_E_NS1_11comp_targetILNS1_3genE9ELNS1_11target_archE1100ELNS1_3gpuE3ELNS1_3repE0EEENS1_48merge_mergepath_partition_config_static_selectorELNS0_4arch9wavefront6targetE1EEEvSK_.kd
    .uniform_work_group_size: 1
    .uses_dynamic_stack: false
    .vgpr_count:     0
    .vgpr_spill_count: 0
    .wavefront_size: 64
  - .agpr_count:     0
    .args:
      - .offset:         0
        .size:           48
        .value_kind:     by_value
    .group_segment_fixed_size: 0
    .kernarg_segment_align: 8
    .kernarg_segment_size: 48
    .language:       OpenCL C
    .language_version:
      - 2
      - 0
    .max_flat_workgroup_size: 128
    .name:           _ZN7rocprim17ROCPRIM_400000_NS6detail17trampoline_kernelINS0_14default_configENS1_38merge_sort_block_merge_config_selectorItNS0_10empty_typeEEEZZNS1_27merge_sort_block_merge_implIS3_N6thrust23THRUST_200600_302600_NS6detail15normal_iteratorINS9_10device_ptrItEEEEPS5_m14custom_greaterItEEE10hipError_tT0_T1_T2_jT3_P12ihipStream_tbPNSt15iterator_traitsISJ_E10value_typeEPNSP_ISK_E10value_typeEPSL_NS1_7vsmem_tEENKUlT_SJ_SK_SL_E_clIPtSE_SF_SF_EESI_SY_SJ_SK_SL_EUlSY_E_NS1_11comp_targetILNS1_3genE8ELNS1_11target_archE1030ELNS1_3gpuE2ELNS1_3repE0EEENS1_48merge_mergepath_partition_config_static_selectorELNS0_4arch9wavefront6targetE1EEEvSK_
    .private_segment_fixed_size: 0
    .sgpr_count:     4
    .sgpr_spill_count: 0
    .symbol:         _ZN7rocprim17ROCPRIM_400000_NS6detail17trampoline_kernelINS0_14default_configENS1_38merge_sort_block_merge_config_selectorItNS0_10empty_typeEEEZZNS1_27merge_sort_block_merge_implIS3_N6thrust23THRUST_200600_302600_NS6detail15normal_iteratorINS9_10device_ptrItEEEEPS5_m14custom_greaterItEEE10hipError_tT0_T1_T2_jT3_P12ihipStream_tbPNSt15iterator_traitsISJ_E10value_typeEPNSP_ISK_E10value_typeEPSL_NS1_7vsmem_tEENKUlT_SJ_SK_SL_E_clIPtSE_SF_SF_EESI_SY_SJ_SK_SL_EUlSY_E_NS1_11comp_targetILNS1_3genE8ELNS1_11target_archE1030ELNS1_3gpuE2ELNS1_3repE0EEENS1_48merge_mergepath_partition_config_static_selectorELNS0_4arch9wavefront6targetE1EEEvSK_.kd
    .uniform_work_group_size: 1
    .uses_dynamic_stack: false
    .vgpr_count:     0
    .vgpr_spill_count: 0
    .wavefront_size: 64
  - .agpr_count:     0
    .args:
      - .offset:         0
        .size:           72
        .value_kind:     by_value
    .group_segment_fixed_size: 0
    .kernarg_segment_align: 8
    .kernarg_segment_size: 72
    .language:       OpenCL C
    .language_version:
      - 2
      - 0
    .max_flat_workgroup_size: 128
    .name:           _ZN7rocprim17ROCPRIM_400000_NS6detail17trampoline_kernelINS0_14default_configENS1_38merge_sort_block_merge_config_selectorItNS0_10empty_typeEEEZZNS1_27merge_sort_block_merge_implIS3_N6thrust23THRUST_200600_302600_NS6detail15normal_iteratorINS9_10device_ptrItEEEEPS5_m14custom_greaterItEEE10hipError_tT0_T1_T2_jT3_P12ihipStream_tbPNSt15iterator_traitsISJ_E10value_typeEPNSP_ISK_E10value_typeEPSL_NS1_7vsmem_tEENKUlT_SJ_SK_SL_E_clIPtSE_SF_SF_EESI_SY_SJ_SK_SL_EUlSY_E0_NS1_11comp_targetILNS1_3genE0ELNS1_11target_archE4294967295ELNS1_3gpuE0ELNS1_3repE0EEENS1_38merge_mergepath_config_static_selectorELNS0_4arch9wavefront6targetE1EEEvSK_
    .private_segment_fixed_size: 0
    .sgpr_count:     4
    .sgpr_spill_count: 0
    .symbol:         _ZN7rocprim17ROCPRIM_400000_NS6detail17trampoline_kernelINS0_14default_configENS1_38merge_sort_block_merge_config_selectorItNS0_10empty_typeEEEZZNS1_27merge_sort_block_merge_implIS3_N6thrust23THRUST_200600_302600_NS6detail15normal_iteratorINS9_10device_ptrItEEEEPS5_m14custom_greaterItEEE10hipError_tT0_T1_T2_jT3_P12ihipStream_tbPNSt15iterator_traitsISJ_E10value_typeEPNSP_ISK_E10value_typeEPSL_NS1_7vsmem_tEENKUlT_SJ_SK_SL_E_clIPtSE_SF_SF_EESI_SY_SJ_SK_SL_EUlSY_E0_NS1_11comp_targetILNS1_3genE0ELNS1_11target_archE4294967295ELNS1_3gpuE0ELNS1_3repE0EEENS1_38merge_mergepath_config_static_selectorELNS0_4arch9wavefront6targetE1EEEvSK_.kd
    .uniform_work_group_size: 1
    .uses_dynamic_stack: false
    .vgpr_count:     0
    .vgpr_spill_count: 0
    .wavefront_size: 64
  - .agpr_count:     0
    .args:
      - .offset:         0
        .size:           72
        .value_kind:     by_value
    .group_segment_fixed_size: 0
    .kernarg_segment_align: 8
    .kernarg_segment_size: 72
    .language:       OpenCL C
    .language_version:
      - 2
      - 0
    .max_flat_workgroup_size: 128
    .name:           _ZN7rocprim17ROCPRIM_400000_NS6detail17trampoline_kernelINS0_14default_configENS1_38merge_sort_block_merge_config_selectorItNS0_10empty_typeEEEZZNS1_27merge_sort_block_merge_implIS3_N6thrust23THRUST_200600_302600_NS6detail15normal_iteratorINS9_10device_ptrItEEEEPS5_m14custom_greaterItEEE10hipError_tT0_T1_T2_jT3_P12ihipStream_tbPNSt15iterator_traitsISJ_E10value_typeEPNSP_ISK_E10value_typeEPSL_NS1_7vsmem_tEENKUlT_SJ_SK_SL_E_clIPtSE_SF_SF_EESI_SY_SJ_SK_SL_EUlSY_E0_NS1_11comp_targetILNS1_3genE10ELNS1_11target_archE1201ELNS1_3gpuE5ELNS1_3repE0EEENS1_38merge_mergepath_config_static_selectorELNS0_4arch9wavefront6targetE1EEEvSK_
    .private_segment_fixed_size: 0
    .sgpr_count:     4
    .sgpr_spill_count: 0
    .symbol:         _ZN7rocprim17ROCPRIM_400000_NS6detail17trampoline_kernelINS0_14default_configENS1_38merge_sort_block_merge_config_selectorItNS0_10empty_typeEEEZZNS1_27merge_sort_block_merge_implIS3_N6thrust23THRUST_200600_302600_NS6detail15normal_iteratorINS9_10device_ptrItEEEEPS5_m14custom_greaterItEEE10hipError_tT0_T1_T2_jT3_P12ihipStream_tbPNSt15iterator_traitsISJ_E10value_typeEPNSP_ISK_E10value_typeEPSL_NS1_7vsmem_tEENKUlT_SJ_SK_SL_E_clIPtSE_SF_SF_EESI_SY_SJ_SK_SL_EUlSY_E0_NS1_11comp_targetILNS1_3genE10ELNS1_11target_archE1201ELNS1_3gpuE5ELNS1_3repE0EEENS1_38merge_mergepath_config_static_selectorELNS0_4arch9wavefront6targetE1EEEvSK_.kd
    .uniform_work_group_size: 1
    .uses_dynamic_stack: false
    .vgpr_count:     0
    .vgpr_spill_count: 0
    .wavefront_size: 64
  - .agpr_count:     0
    .args:
      - .offset:         0
        .size:           72
        .value_kind:     by_value
    .group_segment_fixed_size: 0
    .kernarg_segment_align: 8
    .kernarg_segment_size: 72
    .language:       OpenCL C
    .language_version:
      - 2
      - 0
    .max_flat_workgroup_size: 128
    .name:           _ZN7rocprim17ROCPRIM_400000_NS6detail17trampoline_kernelINS0_14default_configENS1_38merge_sort_block_merge_config_selectorItNS0_10empty_typeEEEZZNS1_27merge_sort_block_merge_implIS3_N6thrust23THRUST_200600_302600_NS6detail15normal_iteratorINS9_10device_ptrItEEEEPS5_m14custom_greaterItEEE10hipError_tT0_T1_T2_jT3_P12ihipStream_tbPNSt15iterator_traitsISJ_E10value_typeEPNSP_ISK_E10value_typeEPSL_NS1_7vsmem_tEENKUlT_SJ_SK_SL_E_clIPtSE_SF_SF_EESI_SY_SJ_SK_SL_EUlSY_E0_NS1_11comp_targetILNS1_3genE5ELNS1_11target_archE942ELNS1_3gpuE9ELNS1_3repE0EEENS1_38merge_mergepath_config_static_selectorELNS0_4arch9wavefront6targetE1EEEvSK_
    .private_segment_fixed_size: 0
    .sgpr_count:     4
    .sgpr_spill_count: 0
    .symbol:         _ZN7rocprim17ROCPRIM_400000_NS6detail17trampoline_kernelINS0_14default_configENS1_38merge_sort_block_merge_config_selectorItNS0_10empty_typeEEEZZNS1_27merge_sort_block_merge_implIS3_N6thrust23THRUST_200600_302600_NS6detail15normal_iteratorINS9_10device_ptrItEEEEPS5_m14custom_greaterItEEE10hipError_tT0_T1_T2_jT3_P12ihipStream_tbPNSt15iterator_traitsISJ_E10value_typeEPNSP_ISK_E10value_typeEPSL_NS1_7vsmem_tEENKUlT_SJ_SK_SL_E_clIPtSE_SF_SF_EESI_SY_SJ_SK_SL_EUlSY_E0_NS1_11comp_targetILNS1_3genE5ELNS1_11target_archE942ELNS1_3gpuE9ELNS1_3repE0EEENS1_38merge_mergepath_config_static_selectorELNS0_4arch9wavefront6targetE1EEEvSK_.kd
    .uniform_work_group_size: 1
    .uses_dynamic_stack: false
    .vgpr_count:     0
    .vgpr_spill_count: 0
    .wavefront_size: 64
  - .agpr_count:     0
    .args:
      - .offset:         0
        .size:           72
        .value_kind:     by_value
      - .offset:         72
        .size:           4
        .value_kind:     hidden_block_count_x
      - .offset:         76
        .size:           4
        .value_kind:     hidden_block_count_y
      - .offset:         80
        .size:           4
        .value_kind:     hidden_block_count_z
      - .offset:         84
        .size:           2
        .value_kind:     hidden_group_size_x
      - .offset:         86
        .size:           2
        .value_kind:     hidden_group_size_y
      - .offset:         88
        .size:           2
        .value_kind:     hidden_group_size_z
      - .offset:         90
        .size:           2
        .value_kind:     hidden_remainder_x
      - .offset:         92
        .size:           2
        .value_kind:     hidden_remainder_y
      - .offset:         94
        .size:           2
        .value_kind:     hidden_remainder_z
      - .offset:         112
        .size:           8
        .value_kind:     hidden_global_offset_x
      - .offset:         120
        .size:           8
        .value_kind:     hidden_global_offset_y
      - .offset:         128
        .size:           8
        .value_kind:     hidden_global_offset_z
      - .offset:         136
        .size:           2
        .value_kind:     hidden_grid_dims
    .group_segment_fixed_size: 2112
    .kernarg_segment_align: 8
    .kernarg_segment_size: 328
    .language:       OpenCL C
    .language_version:
      - 2
      - 0
    .max_flat_workgroup_size: 128
    .name:           _ZN7rocprim17ROCPRIM_400000_NS6detail17trampoline_kernelINS0_14default_configENS1_38merge_sort_block_merge_config_selectorItNS0_10empty_typeEEEZZNS1_27merge_sort_block_merge_implIS3_N6thrust23THRUST_200600_302600_NS6detail15normal_iteratorINS9_10device_ptrItEEEEPS5_m14custom_greaterItEEE10hipError_tT0_T1_T2_jT3_P12ihipStream_tbPNSt15iterator_traitsISJ_E10value_typeEPNSP_ISK_E10value_typeEPSL_NS1_7vsmem_tEENKUlT_SJ_SK_SL_E_clIPtSE_SF_SF_EESI_SY_SJ_SK_SL_EUlSY_E0_NS1_11comp_targetILNS1_3genE4ELNS1_11target_archE910ELNS1_3gpuE8ELNS1_3repE0EEENS1_38merge_mergepath_config_static_selectorELNS0_4arch9wavefront6targetE1EEEvSK_
    .private_segment_fixed_size: 0
    .sgpr_count:     35
    .sgpr_spill_count: 0
    .symbol:         _ZN7rocprim17ROCPRIM_400000_NS6detail17trampoline_kernelINS0_14default_configENS1_38merge_sort_block_merge_config_selectorItNS0_10empty_typeEEEZZNS1_27merge_sort_block_merge_implIS3_N6thrust23THRUST_200600_302600_NS6detail15normal_iteratorINS9_10device_ptrItEEEEPS5_m14custom_greaterItEEE10hipError_tT0_T1_T2_jT3_P12ihipStream_tbPNSt15iterator_traitsISJ_E10value_typeEPNSP_ISK_E10value_typeEPSL_NS1_7vsmem_tEENKUlT_SJ_SK_SL_E_clIPtSE_SF_SF_EESI_SY_SJ_SK_SL_EUlSY_E0_NS1_11comp_targetILNS1_3genE4ELNS1_11target_archE910ELNS1_3gpuE8ELNS1_3repE0EEENS1_38merge_mergepath_config_static_selectorELNS0_4arch9wavefront6targetE1EEEvSK_.kd
    .uniform_work_group_size: 1
    .uses_dynamic_stack: false
    .vgpr_count:     26
    .vgpr_spill_count: 0
    .wavefront_size: 64
  - .agpr_count:     0
    .args:
      - .offset:         0
        .size:           72
        .value_kind:     by_value
    .group_segment_fixed_size: 0
    .kernarg_segment_align: 8
    .kernarg_segment_size: 72
    .language:       OpenCL C
    .language_version:
      - 2
      - 0
    .max_flat_workgroup_size: 128
    .name:           _ZN7rocprim17ROCPRIM_400000_NS6detail17trampoline_kernelINS0_14default_configENS1_38merge_sort_block_merge_config_selectorItNS0_10empty_typeEEEZZNS1_27merge_sort_block_merge_implIS3_N6thrust23THRUST_200600_302600_NS6detail15normal_iteratorINS9_10device_ptrItEEEEPS5_m14custom_greaterItEEE10hipError_tT0_T1_T2_jT3_P12ihipStream_tbPNSt15iterator_traitsISJ_E10value_typeEPNSP_ISK_E10value_typeEPSL_NS1_7vsmem_tEENKUlT_SJ_SK_SL_E_clIPtSE_SF_SF_EESI_SY_SJ_SK_SL_EUlSY_E0_NS1_11comp_targetILNS1_3genE3ELNS1_11target_archE908ELNS1_3gpuE7ELNS1_3repE0EEENS1_38merge_mergepath_config_static_selectorELNS0_4arch9wavefront6targetE1EEEvSK_
    .private_segment_fixed_size: 0
    .sgpr_count:     4
    .sgpr_spill_count: 0
    .symbol:         _ZN7rocprim17ROCPRIM_400000_NS6detail17trampoline_kernelINS0_14default_configENS1_38merge_sort_block_merge_config_selectorItNS0_10empty_typeEEEZZNS1_27merge_sort_block_merge_implIS3_N6thrust23THRUST_200600_302600_NS6detail15normal_iteratorINS9_10device_ptrItEEEEPS5_m14custom_greaterItEEE10hipError_tT0_T1_T2_jT3_P12ihipStream_tbPNSt15iterator_traitsISJ_E10value_typeEPNSP_ISK_E10value_typeEPSL_NS1_7vsmem_tEENKUlT_SJ_SK_SL_E_clIPtSE_SF_SF_EESI_SY_SJ_SK_SL_EUlSY_E0_NS1_11comp_targetILNS1_3genE3ELNS1_11target_archE908ELNS1_3gpuE7ELNS1_3repE0EEENS1_38merge_mergepath_config_static_selectorELNS0_4arch9wavefront6targetE1EEEvSK_.kd
    .uniform_work_group_size: 1
    .uses_dynamic_stack: false
    .vgpr_count:     0
    .vgpr_spill_count: 0
    .wavefront_size: 64
  - .agpr_count:     0
    .args:
      - .offset:         0
        .size:           72
        .value_kind:     by_value
    .group_segment_fixed_size: 0
    .kernarg_segment_align: 8
    .kernarg_segment_size: 72
    .language:       OpenCL C
    .language_version:
      - 2
      - 0
    .max_flat_workgroup_size: 128
    .name:           _ZN7rocprim17ROCPRIM_400000_NS6detail17trampoline_kernelINS0_14default_configENS1_38merge_sort_block_merge_config_selectorItNS0_10empty_typeEEEZZNS1_27merge_sort_block_merge_implIS3_N6thrust23THRUST_200600_302600_NS6detail15normal_iteratorINS9_10device_ptrItEEEEPS5_m14custom_greaterItEEE10hipError_tT0_T1_T2_jT3_P12ihipStream_tbPNSt15iterator_traitsISJ_E10value_typeEPNSP_ISK_E10value_typeEPSL_NS1_7vsmem_tEENKUlT_SJ_SK_SL_E_clIPtSE_SF_SF_EESI_SY_SJ_SK_SL_EUlSY_E0_NS1_11comp_targetILNS1_3genE2ELNS1_11target_archE906ELNS1_3gpuE6ELNS1_3repE0EEENS1_38merge_mergepath_config_static_selectorELNS0_4arch9wavefront6targetE1EEEvSK_
    .private_segment_fixed_size: 0
    .sgpr_count:     4
    .sgpr_spill_count: 0
    .symbol:         _ZN7rocprim17ROCPRIM_400000_NS6detail17trampoline_kernelINS0_14default_configENS1_38merge_sort_block_merge_config_selectorItNS0_10empty_typeEEEZZNS1_27merge_sort_block_merge_implIS3_N6thrust23THRUST_200600_302600_NS6detail15normal_iteratorINS9_10device_ptrItEEEEPS5_m14custom_greaterItEEE10hipError_tT0_T1_T2_jT3_P12ihipStream_tbPNSt15iterator_traitsISJ_E10value_typeEPNSP_ISK_E10value_typeEPSL_NS1_7vsmem_tEENKUlT_SJ_SK_SL_E_clIPtSE_SF_SF_EESI_SY_SJ_SK_SL_EUlSY_E0_NS1_11comp_targetILNS1_3genE2ELNS1_11target_archE906ELNS1_3gpuE6ELNS1_3repE0EEENS1_38merge_mergepath_config_static_selectorELNS0_4arch9wavefront6targetE1EEEvSK_.kd
    .uniform_work_group_size: 1
    .uses_dynamic_stack: false
    .vgpr_count:     0
    .vgpr_spill_count: 0
    .wavefront_size: 64
  - .agpr_count:     0
    .args:
      - .offset:         0
        .size:           72
        .value_kind:     by_value
    .group_segment_fixed_size: 0
    .kernarg_segment_align: 8
    .kernarg_segment_size: 72
    .language:       OpenCL C
    .language_version:
      - 2
      - 0
    .max_flat_workgroup_size: 128
    .name:           _ZN7rocprim17ROCPRIM_400000_NS6detail17trampoline_kernelINS0_14default_configENS1_38merge_sort_block_merge_config_selectorItNS0_10empty_typeEEEZZNS1_27merge_sort_block_merge_implIS3_N6thrust23THRUST_200600_302600_NS6detail15normal_iteratorINS9_10device_ptrItEEEEPS5_m14custom_greaterItEEE10hipError_tT0_T1_T2_jT3_P12ihipStream_tbPNSt15iterator_traitsISJ_E10value_typeEPNSP_ISK_E10value_typeEPSL_NS1_7vsmem_tEENKUlT_SJ_SK_SL_E_clIPtSE_SF_SF_EESI_SY_SJ_SK_SL_EUlSY_E0_NS1_11comp_targetILNS1_3genE9ELNS1_11target_archE1100ELNS1_3gpuE3ELNS1_3repE0EEENS1_38merge_mergepath_config_static_selectorELNS0_4arch9wavefront6targetE1EEEvSK_
    .private_segment_fixed_size: 0
    .sgpr_count:     4
    .sgpr_spill_count: 0
    .symbol:         _ZN7rocprim17ROCPRIM_400000_NS6detail17trampoline_kernelINS0_14default_configENS1_38merge_sort_block_merge_config_selectorItNS0_10empty_typeEEEZZNS1_27merge_sort_block_merge_implIS3_N6thrust23THRUST_200600_302600_NS6detail15normal_iteratorINS9_10device_ptrItEEEEPS5_m14custom_greaterItEEE10hipError_tT0_T1_T2_jT3_P12ihipStream_tbPNSt15iterator_traitsISJ_E10value_typeEPNSP_ISK_E10value_typeEPSL_NS1_7vsmem_tEENKUlT_SJ_SK_SL_E_clIPtSE_SF_SF_EESI_SY_SJ_SK_SL_EUlSY_E0_NS1_11comp_targetILNS1_3genE9ELNS1_11target_archE1100ELNS1_3gpuE3ELNS1_3repE0EEENS1_38merge_mergepath_config_static_selectorELNS0_4arch9wavefront6targetE1EEEvSK_.kd
    .uniform_work_group_size: 1
    .uses_dynamic_stack: false
    .vgpr_count:     0
    .vgpr_spill_count: 0
    .wavefront_size: 64
  - .agpr_count:     0
    .args:
      - .offset:         0
        .size:           72
        .value_kind:     by_value
    .group_segment_fixed_size: 0
    .kernarg_segment_align: 8
    .kernarg_segment_size: 72
    .language:       OpenCL C
    .language_version:
      - 2
      - 0
    .max_flat_workgroup_size: 128
    .name:           _ZN7rocprim17ROCPRIM_400000_NS6detail17trampoline_kernelINS0_14default_configENS1_38merge_sort_block_merge_config_selectorItNS0_10empty_typeEEEZZNS1_27merge_sort_block_merge_implIS3_N6thrust23THRUST_200600_302600_NS6detail15normal_iteratorINS9_10device_ptrItEEEEPS5_m14custom_greaterItEEE10hipError_tT0_T1_T2_jT3_P12ihipStream_tbPNSt15iterator_traitsISJ_E10value_typeEPNSP_ISK_E10value_typeEPSL_NS1_7vsmem_tEENKUlT_SJ_SK_SL_E_clIPtSE_SF_SF_EESI_SY_SJ_SK_SL_EUlSY_E0_NS1_11comp_targetILNS1_3genE8ELNS1_11target_archE1030ELNS1_3gpuE2ELNS1_3repE0EEENS1_38merge_mergepath_config_static_selectorELNS0_4arch9wavefront6targetE1EEEvSK_
    .private_segment_fixed_size: 0
    .sgpr_count:     4
    .sgpr_spill_count: 0
    .symbol:         _ZN7rocprim17ROCPRIM_400000_NS6detail17trampoline_kernelINS0_14default_configENS1_38merge_sort_block_merge_config_selectorItNS0_10empty_typeEEEZZNS1_27merge_sort_block_merge_implIS3_N6thrust23THRUST_200600_302600_NS6detail15normal_iteratorINS9_10device_ptrItEEEEPS5_m14custom_greaterItEEE10hipError_tT0_T1_T2_jT3_P12ihipStream_tbPNSt15iterator_traitsISJ_E10value_typeEPNSP_ISK_E10value_typeEPSL_NS1_7vsmem_tEENKUlT_SJ_SK_SL_E_clIPtSE_SF_SF_EESI_SY_SJ_SK_SL_EUlSY_E0_NS1_11comp_targetILNS1_3genE8ELNS1_11target_archE1030ELNS1_3gpuE2ELNS1_3repE0EEENS1_38merge_mergepath_config_static_selectorELNS0_4arch9wavefront6targetE1EEEvSK_.kd
    .uniform_work_group_size: 1
    .uses_dynamic_stack: false
    .vgpr_count:     0
    .vgpr_spill_count: 0
    .wavefront_size: 64
  - .agpr_count:     0
    .args:
      - .offset:         0
        .size:           56
        .value_kind:     by_value
    .group_segment_fixed_size: 0
    .kernarg_segment_align: 8
    .kernarg_segment_size: 56
    .language:       OpenCL C
    .language_version:
      - 2
      - 0
    .max_flat_workgroup_size: 256
    .name:           _ZN7rocprim17ROCPRIM_400000_NS6detail17trampoline_kernelINS0_14default_configENS1_38merge_sort_block_merge_config_selectorItNS0_10empty_typeEEEZZNS1_27merge_sort_block_merge_implIS3_N6thrust23THRUST_200600_302600_NS6detail15normal_iteratorINS9_10device_ptrItEEEEPS5_m14custom_greaterItEEE10hipError_tT0_T1_T2_jT3_P12ihipStream_tbPNSt15iterator_traitsISJ_E10value_typeEPNSP_ISK_E10value_typeEPSL_NS1_7vsmem_tEENKUlT_SJ_SK_SL_E_clIPtSE_SF_SF_EESI_SY_SJ_SK_SL_EUlSY_E1_NS1_11comp_targetILNS1_3genE0ELNS1_11target_archE4294967295ELNS1_3gpuE0ELNS1_3repE0EEENS1_36merge_oddeven_config_static_selectorELNS0_4arch9wavefront6targetE1EEEvSK_
    .private_segment_fixed_size: 0
    .sgpr_count:     4
    .sgpr_spill_count: 0
    .symbol:         _ZN7rocprim17ROCPRIM_400000_NS6detail17trampoline_kernelINS0_14default_configENS1_38merge_sort_block_merge_config_selectorItNS0_10empty_typeEEEZZNS1_27merge_sort_block_merge_implIS3_N6thrust23THRUST_200600_302600_NS6detail15normal_iteratorINS9_10device_ptrItEEEEPS5_m14custom_greaterItEEE10hipError_tT0_T1_T2_jT3_P12ihipStream_tbPNSt15iterator_traitsISJ_E10value_typeEPNSP_ISK_E10value_typeEPSL_NS1_7vsmem_tEENKUlT_SJ_SK_SL_E_clIPtSE_SF_SF_EESI_SY_SJ_SK_SL_EUlSY_E1_NS1_11comp_targetILNS1_3genE0ELNS1_11target_archE4294967295ELNS1_3gpuE0ELNS1_3repE0EEENS1_36merge_oddeven_config_static_selectorELNS0_4arch9wavefront6targetE1EEEvSK_.kd
    .uniform_work_group_size: 1
    .uses_dynamic_stack: false
    .vgpr_count:     0
    .vgpr_spill_count: 0
    .wavefront_size: 64
  - .agpr_count:     0
    .args:
      - .offset:         0
        .size:           56
        .value_kind:     by_value
    .group_segment_fixed_size: 0
    .kernarg_segment_align: 8
    .kernarg_segment_size: 56
    .language:       OpenCL C
    .language_version:
      - 2
      - 0
    .max_flat_workgroup_size: 256
    .name:           _ZN7rocprim17ROCPRIM_400000_NS6detail17trampoline_kernelINS0_14default_configENS1_38merge_sort_block_merge_config_selectorItNS0_10empty_typeEEEZZNS1_27merge_sort_block_merge_implIS3_N6thrust23THRUST_200600_302600_NS6detail15normal_iteratorINS9_10device_ptrItEEEEPS5_m14custom_greaterItEEE10hipError_tT0_T1_T2_jT3_P12ihipStream_tbPNSt15iterator_traitsISJ_E10value_typeEPNSP_ISK_E10value_typeEPSL_NS1_7vsmem_tEENKUlT_SJ_SK_SL_E_clIPtSE_SF_SF_EESI_SY_SJ_SK_SL_EUlSY_E1_NS1_11comp_targetILNS1_3genE10ELNS1_11target_archE1201ELNS1_3gpuE5ELNS1_3repE0EEENS1_36merge_oddeven_config_static_selectorELNS0_4arch9wavefront6targetE1EEEvSK_
    .private_segment_fixed_size: 0
    .sgpr_count:     4
    .sgpr_spill_count: 0
    .symbol:         _ZN7rocprim17ROCPRIM_400000_NS6detail17trampoline_kernelINS0_14default_configENS1_38merge_sort_block_merge_config_selectorItNS0_10empty_typeEEEZZNS1_27merge_sort_block_merge_implIS3_N6thrust23THRUST_200600_302600_NS6detail15normal_iteratorINS9_10device_ptrItEEEEPS5_m14custom_greaterItEEE10hipError_tT0_T1_T2_jT3_P12ihipStream_tbPNSt15iterator_traitsISJ_E10value_typeEPNSP_ISK_E10value_typeEPSL_NS1_7vsmem_tEENKUlT_SJ_SK_SL_E_clIPtSE_SF_SF_EESI_SY_SJ_SK_SL_EUlSY_E1_NS1_11comp_targetILNS1_3genE10ELNS1_11target_archE1201ELNS1_3gpuE5ELNS1_3repE0EEENS1_36merge_oddeven_config_static_selectorELNS0_4arch9wavefront6targetE1EEEvSK_.kd
    .uniform_work_group_size: 1
    .uses_dynamic_stack: false
    .vgpr_count:     0
    .vgpr_spill_count: 0
    .wavefront_size: 64
  - .agpr_count:     0
    .args:
      - .offset:         0
        .size:           56
        .value_kind:     by_value
    .group_segment_fixed_size: 0
    .kernarg_segment_align: 8
    .kernarg_segment_size: 56
    .language:       OpenCL C
    .language_version:
      - 2
      - 0
    .max_flat_workgroup_size: 256
    .name:           _ZN7rocprim17ROCPRIM_400000_NS6detail17trampoline_kernelINS0_14default_configENS1_38merge_sort_block_merge_config_selectorItNS0_10empty_typeEEEZZNS1_27merge_sort_block_merge_implIS3_N6thrust23THRUST_200600_302600_NS6detail15normal_iteratorINS9_10device_ptrItEEEEPS5_m14custom_greaterItEEE10hipError_tT0_T1_T2_jT3_P12ihipStream_tbPNSt15iterator_traitsISJ_E10value_typeEPNSP_ISK_E10value_typeEPSL_NS1_7vsmem_tEENKUlT_SJ_SK_SL_E_clIPtSE_SF_SF_EESI_SY_SJ_SK_SL_EUlSY_E1_NS1_11comp_targetILNS1_3genE5ELNS1_11target_archE942ELNS1_3gpuE9ELNS1_3repE0EEENS1_36merge_oddeven_config_static_selectorELNS0_4arch9wavefront6targetE1EEEvSK_
    .private_segment_fixed_size: 0
    .sgpr_count:     4
    .sgpr_spill_count: 0
    .symbol:         _ZN7rocprim17ROCPRIM_400000_NS6detail17trampoline_kernelINS0_14default_configENS1_38merge_sort_block_merge_config_selectorItNS0_10empty_typeEEEZZNS1_27merge_sort_block_merge_implIS3_N6thrust23THRUST_200600_302600_NS6detail15normal_iteratorINS9_10device_ptrItEEEEPS5_m14custom_greaterItEEE10hipError_tT0_T1_T2_jT3_P12ihipStream_tbPNSt15iterator_traitsISJ_E10value_typeEPNSP_ISK_E10value_typeEPSL_NS1_7vsmem_tEENKUlT_SJ_SK_SL_E_clIPtSE_SF_SF_EESI_SY_SJ_SK_SL_EUlSY_E1_NS1_11comp_targetILNS1_3genE5ELNS1_11target_archE942ELNS1_3gpuE9ELNS1_3repE0EEENS1_36merge_oddeven_config_static_selectorELNS0_4arch9wavefront6targetE1EEEvSK_.kd
    .uniform_work_group_size: 1
    .uses_dynamic_stack: false
    .vgpr_count:     0
    .vgpr_spill_count: 0
    .wavefront_size: 64
  - .agpr_count:     0
    .args:
      - .offset:         0
        .size:           56
        .value_kind:     by_value
    .group_segment_fixed_size: 0
    .kernarg_segment_align: 8
    .kernarg_segment_size: 56
    .language:       OpenCL C
    .language_version:
      - 2
      - 0
    .max_flat_workgroup_size: 256
    .name:           _ZN7rocprim17ROCPRIM_400000_NS6detail17trampoline_kernelINS0_14default_configENS1_38merge_sort_block_merge_config_selectorItNS0_10empty_typeEEEZZNS1_27merge_sort_block_merge_implIS3_N6thrust23THRUST_200600_302600_NS6detail15normal_iteratorINS9_10device_ptrItEEEEPS5_m14custom_greaterItEEE10hipError_tT0_T1_T2_jT3_P12ihipStream_tbPNSt15iterator_traitsISJ_E10value_typeEPNSP_ISK_E10value_typeEPSL_NS1_7vsmem_tEENKUlT_SJ_SK_SL_E_clIPtSE_SF_SF_EESI_SY_SJ_SK_SL_EUlSY_E1_NS1_11comp_targetILNS1_3genE4ELNS1_11target_archE910ELNS1_3gpuE8ELNS1_3repE0EEENS1_36merge_oddeven_config_static_selectorELNS0_4arch9wavefront6targetE1EEEvSK_
    .private_segment_fixed_size: 0
    .sgpr_count:     25
    .sgpr_spill_count: 0
    .symbol:         _ZN7rocprim17ROCPRIM_400000_NS6detail17trampoline_kernelINS0_14default_configENS1_38merge_sort_block_merge_config_selectorItNS0_10empty_typeEEEZZNS1_27merge_sort_block_merge_implIS3_N6thrust23THRUST_200600_302600_NS6detail15normal_iteratorINS9_10device_ptrItEEEEPS5_m14custom_greaterItEEE10hipError_tT0_T1_T2_jT3_P12ihipStream_tbPNSt15iterator_traitsISJ_E10value_typeEPNSP_ISK_E10value_typeEPSL_NS1_7vsmem_tEENKUlT_SJ_SK_SL_E_clIPtSE_SF_SF_EESI_SY_SJ_SK_SL_EUlSY_E1_NS1_11comp_targetILNS1_3genE4ELNS1_11target_archE910ELNS1_3gpuE8ELNS1_3repE0EEENS1_36merge_oddeven_config_static_selectorELNS0_4arch9wavefront6targetE1EEEvSK_.kd
    .uniform_work_group_size: 1
    .uses_dynamic_stack: false
    .vgpr_count:     8
    .vgpr_spill_count: 0
    .wavefront_size: 64
  - .agpr_count:     0
    .args:
      - .offset:         0
        .size:           56
        .value_kind:     by_value
    .group_segment_fixed_size: 0
    .kernarg_segment_align: 8
    .kernarg_segment_size: 56
    .language:       OpenCL C
    .language_version:
      - 2
      - 0
    .max_flat_workgroup_size: 256
    .name:           _ZN7rocprim17ROCPRIM_400000_NS6detail17trampoline_kernelINS0_14default_configENS1_38merge_sort_block_merge_config_selectorItNS0_10empty_typeEEEZZNS1_27merge_sort_block_merge_implIS3_N6thrust23THRUST_200600_302600_NS6detail15normal_iteratorINS9_10device_ptrItEEEEPS5_m14custom_greaterItEEE10hipError_tT0_T1_T2_jT3_P12ihipStream_tbPNSt15iterator_traitsISJ_E10value_typeEPNSP_ISK_E10value_typeEPSL_NS1_7vsmem_tEENKUlT_SJ_SK_SL_E_clIPtSE_SF_SF_EESI_SY_SJ_SK_SL_EUlSY_E1_NS1_11comp_targetILNS1_3genE3ELNS1_11target_archE908ELNS1_3gpuE7ELNS1_3repE0EEENS1_36merge_oddeven_config_static_selectorELNS0_4arch9wavefront6targetE1EEEvSK_
    .private_segment_fixed_size: 0
    .sgpr_count:     4
    .sgpr_spill_count: 0
    .symbol:         _ZN7rocprim17ROCPRIM_400000_NS6detail17trampoline_kernelINS0_14default_configENS1_38merge_sort_block_merge_config_selectorItNS0_10empty_typeEEEZZNS1_27merge_sort_block_merge_implIS3_N6thrust23THRUST_200600_302600_NS6detail15normal_iteratorINS9_10device_ptrItEEEEPS5_m14custom_greaterItEEE10hipError_tT0_T1_T2_jT3_P12ihipStream_tbPNSt15iterator_traitsISJ_E10value_typeEPNSP_ISK_E10value_typeEPSL_NS1_7vsmem_tEENKUlT_SJ_SK_SL_E_clIPtSE_SF_SF_EESI_SY_SJ_SK_SL_EUlSY_E1_NS1_11comp_targetILNS1_3genE3ELNS1_11target_archE908ELNS1_3gpuE7ELNS1_3repE0EEENS1_36merge_oddeven_config_static_selectorELNS0_4arch9wavefront6targetE1EEEvSK_.kd
    .uniform_work_group_size: 1
    .uses_dynamic_stack: false
    .vgpr_count:     0
    .vgpr_spill_count: 0
    .wavefront_size: 64
  - .agpr_count:     0
    .args:
      - .offset:         0
        .size:           56
        .value_kind:     by_value
    .group_segment_fixed_size: 0
    .kernarg_segment_align: 8
    .kernarg_segment_size: 56
    .language:       OpenCL C
    .language_version:
      - 2
      - 0
    .max_flat_workgroup_size: 256
    .name:           _ZN7rocprim17ROCPRIM_400000_NS6detail17trampoline_kernelINS0_14default_configENS1_38merge_sort_block_merge_config_selectorItNS0_10empty_typeEEEZZNS1_27merge_sort_block_merge_implIS3_N6thrust23THRUST_200600_302600_NS6detail15normal_iteratorINS9_10device_ptrItEEEEPS5_m14custom_greaterItEEE10hipError_tT0_T1_T2_jT3_P12ihipStream_tbPNSt15iterator_traitsISJ_E10value_typeEPNSP_ISK_E10value_typeEPSL_NS1_7vsmem_tEENKUlT_SJ_SK_SL_E_clIPtSE_SF_SF_EESI_SY_SJ_SK_SL_EUlSY_E1_NS1_11comp_targetILNS1_3genE2ELNS1_11target_archE906ELNS1_3gpuE6ELNS1_3repE0EEENS1_36merge_oddeven_config_static_selectorELNS0_4arch9wavefront6targetE1EEEvSK_
    .private_segment_fixed_size: 0
    .sgpr_count:     4
    .sgpr_spill_count: 0
    .symbol:         _ZN7rocprim17ROCPRIM_400000_NS6detail17trampoline_kernelINS0_14default_configENS1_38merge_sort_block_merge_config_selectorItNS0_10empty_typeEEEZZNS1_27merge_sort_block_merge_implIS3_N6thrust23THRUST_200600_302600_NS6detail15normal_iteratorINS9_10device_ptrItEEEEPS5_m14custom_greaterItEEE10hipError_tT0_T1_T2_jT3_P12ihipStream_tbPNSt15iterator_traitsISJ_E10value_typeEPNSP_ISK_E10value_typeEPSL_NS1_7vsmem_tEENKUlT_SJ_SK_SL_E_clIPtSE_SF_SF_EESI_SY_SJ_SK_SL_EUlSY_E1_NS1_11comp_targetILNS1_3genE2ELNS1_11target_archE906ELNS1_3gpuE6ELNS1_3repE0EEENS1_36merge_oddeven_config_static_selectorELNS0_4arch9wavefront6targetE1EEEvSK_.kd
    .uniform_work_group_size: 1
    .uses_dynamic_stack: false
    .vgpr_count:     0
    .vgpr_spill_count: 0
    .wavefront_size: 64
  - .agpr_count:     0
    .args:
      - .offset:         0
        .size:           56
        .value_kind:     by_value
    .group_segment_fixed_size: 0
    .kernarg_segment_align: 8
    .kernarg_segment_size: 56
    .language:       OpenCL C
    .language_version:
      - 2
      - 0
    .max_flat_workgroup_size: 256
    .name:           _ZN7rocprim17ROCPRIM_400000_NS6detail17trampoline_kernelINS0_14default_configENS1_38merge_sort_block_merge_config_selectorItNS0_10empty_typeEEEZZNS1_27merge_sort_block_merge_implIS3_N6thrust23THRUST_200600_302600_NS6detail15normal_iteratorINS9_10device_ptrItEEEEPS5_m14custom_greaterItEEE10hipError_tT0_T1_T2_jT3_P12ihipStream_tbPNSt15iterator_traitsISJ_E10value_typeEPNSP_ISK_E10value_typeEPSL_NS1_7vsmem_tEENKUlT_SJ_SK_SL_E_clIPtSE_SF_SF_EESI_SY_SJ_SK_SL_EUlSY_E1_NS1_11comp_targetILNS1_3genE9ELNS1_11target_archE1100ELNS1_3gpuE3ELNS1_3repE0EEENS1_36merge_oddeven_config_static_selectorELNS0_4arch9wavefront6targetE1EEEvSK_
    .private_segment_fixed_size: 0
    .sgpr_count:     4
    .sgpr_spill_count: 0
    .symbol:         _ZN7rocprim17ROCPRIM_400000_NS6detail17trampoline_kernelINS0_14default_configENS1_38merge_sort_block_merge_config_selectorItNS0_10empty_typeEEEZZNS1_27merge_sort_block_merge_implIS3_N6thrust23THRUST_200600_302600_NS6detail15normal_iteratorINS9_10device_ptrItEEEEPS5_m14custom_greaterItEEE10hipError_tT0_T1_T2_jT3_P12ihipStream_tbPNSt15iterator_traitsISJ_E10value_typeEPNSP_ISK_E10value_typeEPSL_NS1_7vsmem_tEENKUlT_SJ_SK_SL_E_clIPtSE_SF_SF_EESI_SY_SJ_SK_SL_EUlSY_E1_NS1_11comp_targetILNS1_3genE9ELNS1_11target_archE1100ELNS1_3gpuE3ELNS1_3repE0EEENS1_36merge_oddeven_config_static_selectorELNS0_4arch9wavefront6targetE1EEEvSK_.kd
    .uniform_work_group_size: 1
    .uses_dynamic_stack: false
    .vgpr_count:     0
    .vgpr_spill_count: 0
    .wavefront_size: 64
  - .agpr_count:     0
    .args:
      - .offset:         0
        .size:           56
        .value_kind:     by_value
    .group_segment_fixed_size: 0
    .kernarg_segment_align: 8
    .kernarg_segment_size: 56
    .language:       OpenCL C
    .language_version:
      - 2
      - 0
    .max_flat_workgroup_size: 256
    .name:           _ZN7rocprim17ROCPRIM_400000_NS6detail17trampoline_kernelINS0_14default_configENS1_38merge_sort_block_merge_config_selectorItNS0_10empty_typeEEEZZNS1_27merge_sort_block_merge_implIS3_N6thrust23THRUST_200600_302600_NS6detail15normal_iteratorINS9_10device_ptrItEEEEPS5_m14custom_greaterItEEE10hipError_tT0_T1_T2_jT3_P12ihipStream_tbPNSt15iterator_traitsISJ_E10value_typeEPNSP_ISK_E10value_typeEPSL_NS1_7vsmem_tEENKUlT_SJ_SK_SL_E_clIPtSE_SF_SF_EESI_SY_SJ_SK_SL_EUlSY_E1_NS1_11comp_targetILNS1_3genE8ELNS1_11target_archE1030ELNS1_3gpuE2ELNS1_3repE0EEENS1_36merge_oddeven_config_static_selectorELNS0_4arch9wavefront6targetE1EEEvSK_
    .private_segment_fixed_size: 0
    .sgpr_count:     4
    .sgpr_spill_count: 0
    .symbol:         _ZN7rocprim17ROCPRIM_400000_NS6detail17trampoline_kernelINS0_14default_configENS1_38merge_sort_block_merge_config_selectorItNS0_10empty_typeEEEZZNS1_27merge_sort_block_merge_implIS3_N6thrust23THRUST_200600_302600_NS6detail15normal_iteratorINS9_10device_ptrItEEEEPS5_m14custom_greaterItEEE10hipError_tT0_T1_T2_jT3_P12ihipStream_tbPNSt15iterator_traitsISJ_E10value_typeEPNSP_ISK_E10value_typeEPSL_NS1_7vsmem_tEENKUlT_SJ_SK_SL_E_clIPtSE_SF_SF_EESI_SY_SJ_SK_SL_EUlSY_E1_NS1_11comp_targetILNS1_3genE8ELNS1_11target_archE1030ELNS1_3gpuE2ELNS1_3repE0EEENS1_36merge_oddeven_config_static_selectorELNS0_4arch9wavefront6targetE1EEEvSK_.kd
    .uniform_work_group_size: 1
    .uses_dynamic_stack: false
    .vgpr_count:     0
    .vgpr_spill_count: 0
    .wavefront_size: 64
  - .agpr_count:     0
    .args:
      - .offset:         0
        .size:           48
        .value_kind:     by_value
    .group_segment_fixed_size: 0
    .kernarg_segment_align: 8
    .kernarg_segment_size: 48
    .language:       OpenCL C
    .language_version:
      - 2
      - 0
    .max_flat_workgroup_size: 128
    .name:           _ZN7rocprim17ROCPRIM_400000_NS6detail17trampoline_kernelINS0_14default_configENS1_38merge_sort_block_merge_config_selectorItNS0_10empty_typeEEEZZNS1_27merge_sort_block_merge_implIS3_N6thrust23THRUST_200600_302600_NS6detail15normal_iteratorINS9_10device_ptrItEEEEPS5_m14custom_greaterItEEE10hipError_tT0_T1_T2_jT3_P12ihipStream_tbPNSt15iterator_traitsISJ_E10value_typeEPNSP_ISK_E10value_typeEPSL_NS1_7vsmem_tEENKUlT_SJ_SK_SL_E_clISE_PtSF_SF_EESI_SY_SJ_SK_SL_EUlSY_E_NS1_11comp_targetILNS1_3genE0ELNS1_11target_archE4294967295ELNS1_3gpuE0ELNS1_3repE0EEENS1_48merge_mergepath_partition_config_static_selectorELNS0_4arch9wavefront6targetE1EEEvSK_
    .private_segment_fixed_size: 0
    .sgpr_count:     4
    .sgpr_spill_count: 0
    .symbol:         _ZN7rocprim17ROCPRIM_400000_NS6detail17trampoline_kernelINS0_14default_configENS1_38merge_sort_block_merge_config_selectorItNS0_10empty_typeEEEZZNS1_27merge_sort_block_merge_implIS3_N6thrust23THRUST_200600_302600_NS6detail15normal_iteratorINS9_10device_ptrItEEEEPS5_m14custom_greaterItEEE10hipError_tT0_T1_T2_jT3_P12ihipStream_tbPNSt15iterator_traitsISJ_E10value_typeEPNSP_ISK_E10value_typeEPSL_NS1_7vsmem_tEENKUlT_SJ_SK_SL_E_clISE_PtSF_SF_EESI_SY_SJ_SK_SL_EUlSY_E_NS1_11comp_targetILNS1_3genE0ELNS1_11target_archE4294967295ELNS1_3gpuE0ELNS1_3repE0EEENS1_48merge_mergepath_partition_config_static_selectorELNS0_4arch9wavefront6targetE1EEEvSK_.kd
    .uniform_work_group_size: 1
    .uses_dynamic_stack: false
    .vgpr_count:     0
    .vgpr_spill_count: 0
    .wavefront_size: 64
  - .agpr_count:     0
    .args:
      - .offset:         0
        .size:           48
        .value_kind:     by_value
    .group_segment_fixed_size: 0
    .kernarg_segment_align: 8
    .kernarg_segment_size: 48
    .language:       OpenCL C
    .language_version:
      - 2
      - 0
    .max_flat_workgroup_size: 128
    .name:           _ZN7rocprim17ROCPRIM_400000_NS6detail17trampoline_kernelINS0_14default_configENS1_38merge_sort_block_merge_config_selectorItNS0_10empty_typeEEEZZNS1_27merge_sort_block_merge_implIS3_N6thrust23THRUST_200600_302600_NS6detail15normal_iteratorINS9_10device_ptrItEEEEPS5_m14custom_greaterItEEE10hipError_tT0_T1_T2_jT3_P12ihipStream_tbPNSt15iterator_traitsISJ_E10value_typeEPNSP_ISK_E10value_typeEPSL_NS1_7vsmem_tEENKUlT_SJ_SK_SL_E_clISE_PtSF_SF_EESI_SY_SJ_SK_SL_EUlSY_E_NS1_11comp_targetILNS1_3genE10ELNS1_11target_archE1201ELNS1_3gpuE5ELNS1_3repE0EEENS1_48merge_mergepath_partition_config_static_selectorELNS0_4arch9wavefront6targetE1EEEvSK_
    .private_segment_fixed_size: 0
    .sgpr_count:     4
    .sgpr_spill_count: 0
    .symbol:         _ZN7rocprim17ROCPRIM_400000_NS6detail17trampoline_kernelINS0_14default_configENS1_38merge_sort_block_merge_config_selectorItNS0_10empty_typeEEEZZNS1_27merge_sort_block_merge_implIS3_N6thrust23THRUST_200600_302600_NS6detail15normal_iteratorINS9_10device_ptrItEEEEPS5_m14custom_greaterItEEE10hipError_tT0_T1_T2_jT3_P12ihipStream_tbPNSt15iterator_traitsISJ_E10value_typeEPNSP_ISK_E10value_typeEPSL_NS1_7vsmem_tEENKUlT_SJ_SK_SL_E_clISE_PtSF_SF_EESI_SY_SJ_SK_SL_EUlSY_E_NS1_11comp_targetILNS1_3genE10ELNS1_11target_archE1201ELNS1_3gpuE5ELNS1_3repE0EEENS1_48merge_mergepath_partition_config_static_selectorELNS0_4arch9wavefront6targetE1EEEvSK_.kd
    .uniform_work_group_size: 1
    .uses_dynamic_stack: false
    .vgpr_count:     0
    .vgpr_spill_count: 0
    .wavefront_size: 64
  - .agpr_count:     0
    .args:
      - .offset:         0
        .size:           48
        .value_kind:     by_value
    .group_segment_fixed_size: 0
    .kernarg_segment_align: 8
    .kernarg_segment_size: 48
    .language:       OpenCL C
    .language_version:
      - 2
      - 0
    .max_flat_workgroup_size: 128
    .name:           _ZN7rocprim17ROCPRIM_400000_NS6detail17trampoline_kernelINS0_14default_configENS1_38merge_sort_block_merge_config_selectorItNS0_10empty_typeEEEZZNS1_27merge_sort_block_merge_implIS3_N6thrust23THRUST_200600_302600_NS6detail15normal_iteratorINS9_10device_ptrItEEEEPS5_m14custom_greaterItEEE10hipError_tT0_T1_T2_jT3_P12ihipStream_tbPNSt15iterator_traitsISJ_E10value_typeEPNSP_ISK_E10value_typeEPSL_NS1_7vsmem_tEENKUlT_SJ_SK_SL_E_clISE_PtSF_SF_EESI_SY_SJ_SK_SL_EUlSY_E_NS1_11comp_targetILNS1_3genE5ELNS1_11target_archE942ELNS1_3gpuE9ELNS1_3repE0EEENS1_48merge_mergepath_partition_config_static_selectorELNS0_4arch9wavefront6targetE1EEEvSK_
    .private_segment_fixed_size: 0
    .sgpr_count:     4
    .sgpr_spill_count: 0
    .symbol:         _ZN7rocprim17ROCPRIM_400000_NS6detail17trampoline_kernelINS0_14default_configENS1_38merge_sort_block_merge_config_selectorItNS0_10empty_typeEEEZZNS1_27merge_sort_block_merge_implIS3_N6thrust23THRUST_200600_302600_NS6detail15normal_iteratorINS9_10device_ptrItEEEEPS5_m14custom_greaterItEEE10hipError_tT0_T1_T2_jT3_P12ihipStream_tbPNSt15iterator_traitsISJ_E10value_typeEPNSP_ISK_E10value_typeEPSL_NS1_7vsmem_tEENKUlT_SJ_SK_SL_E_clISE_PtSF_SF_EESI_SY_SJ_SK_SL_EUlSY_E_NS1_11comp_targetILNS1_3genE5ELNS1_11target_archE942ELNS1_3gpuE9ELNS1_3repE0EEENS1_48merge_mergepath_partition_config_static_selectorELNS0_4arch9wavefront6targetE1EEEvSK_.kd
    .uniform_work_group_size: 1
    .uses_dynamic_stack: false
    .vgpr_count:     0
    .vgpr_spill_count: 0
    .wavefront_size: 64
  - .agpr_count:     0
    .args:
      - .offset:         0
        .size:           48
        .value_kind:     by_value
    .group_segment_fixed_size: 0
    .kernarg_segment_align: 8
    .kernarg_segment_size: 48
    .language:       OpenCL C
    .language_version:
      - 2
      - 0
    .max_flat_workgroup_size: 128
    .name:           _ZN7rocprim17ROCPRIM_400000_NS6detail17trampoline_kernelINS0_14default_configENS1_38merge_sort_block_merge_config_selectorItNS0_10empty_typeEEEZZNS1_27merge_sort_block_merge_implIS3_N6thrust23THRUST_200600_302600_NS6detail15normal_iteratorINS9_10device_ptrItEEEEPS5_m14custom_greaterItEEE10hipError_tT0_T1_T2_jT3_P12ihipStream_tbPNSt15iterator_traitsISJ_E10value_typeEPNSP_ISK_E10value_typeEPSL_NS1_7vsmem_tEENKUlT_SJ_SK_SL_E_clISE_PtSF_SF_EESI_SY_SJ_SK_SL_EUlSY_E_NS1_11comp_targetILNS1_3genE4ELNS1_11target_archE910ELNS1_3gpuE8ELNS1_3repE0EEENS1_48merge_mergepath_partition_config_static_selectorELNS0_4arch9wavefront6targetE1EEEvSK_
    .private_segment_fixed_size: 0
    .sgpr_count:     12
    .sgpr_spill_count: 0
    .symbol:         _ZN7rocprim17ROCPRIM_400000_NS6detail17trampoline_kernelINS0_14default_configENS1_38merge_sort_block_merge_config_selectorItNS0_10empty_typeEEEZZNS1_27merge_sort_block_merge_implIS3_N6thrust23THRUST_200600_302600_NS6detail15normal_iteratorINS9_10device_ptrItEEEEPS5_m14custom_greaterItEEE10hipError_tT0_T1_T2_jT3_P12ihipStream_tbPNSt15iterator_traitsISJ_E10value_typeEPNSP_ISK_E10value_typeEPSL_NS1_7vsmem_tEENKUlT_SJ_SK_SL_E_clISE_PtSF_SF_EESI_SY_SJ_SK_SL_EUlSY_E_NS1_11comp_targetILNS1_3genE4ELNS1_11target_archE910ELNS1_3gpuE8ELNS1_3repE0EEENS1_48merge_mergepath_partition_config_static_selectorELNS0_4arch9wavefront6targetE1EEEvSK_.kd
    .uniform_work_group_size: 1
    .uses_dynamic_stack: false
    .vgpr_count:     18
    .vgpr_spill_count: 0
    .wavefront_size: 64
  - .agpr_count:     0
    .args:
      - .offset:         0
        .size:           48
        .value_kind:     by_value
    .group_segment_fixed_size: 0
    .kernarg_segment_align: 8
    .kernarg_segment_size: 48
    .language:       OpenCL C
    .language_version:
      - 2
      - 0
    .max_flat_workgroup_size: 128
    .name:           _ZN7rocprim17ROCPRIM_400000_NS6detail17trampoline_kernelINS0_14default_configENS1_38merge_sort_block_merge_config_selectorItNS0_10empty_typeEEEZZNS1_27merge_sort_block_merge_implIS3_N6thrust23THRUST_200600_302600_NS6detail15normal_iteratorINS9_10device_ptrItEEEEPS5_m14custom_greaterItEEE10hipError_tT0_T1_T2_jT3_P12ihipStream_tbPNSt15iterator_traitsISJ_E10value_typeEPNSP_ISK_E10value_typeEPSL_NS1_7vsmem_tEENKUlT_SJ_SK_SL_E_clISE_PtSF_SF_EESI_SY_SJ_SK_SL_EUlSY_E_NS1_11comp_targetILNS1_3genE3ELNS1_11target_archE908ELNS1_3gpuE7ELNS1_3repE0EEENS1_48merge_mergepath_partition_config_static_selectorELNS0_4arch9wavefront6targetE1EEEvSK_
    .private_segment_fixed_size: 0
    .sgpr_count:     4
    .sgpr_spill_count: 0
    .symbol:         _ZN7rocprim17ROCPRIM_400000_NS6detail17trampoline_kernelINS0_14default_configENS1_38merge_sort_block_merge_config_selectorItNS0_10empty_typeEEEZZNS1_27merge_sort_block_merge_implIS3_N6thrust23THRUST_200600_302600_NS6detail15normal_iteratorINS9_10device_ptrItEEEEPS5_m14custom_greaterItEEE10hipError_tT0_T1_T2_jT3_P12ihipStream_tbPNSt15iterator_traitsISJ_E10value_typeEPNSP_ISK_E10value_typeEPSL_NS1_7vsmem_tEENKUlT_SJ_SK_SL_E_clISE_PtSF_SF_EESI_SY_SJ_SK_SL_EUlSY_E_NS1_11comp_targetILNS1_3genE3ELNS1_11target_archE908ELNS1_3gpuE7ELNS1_3repE0EEENS1_48merge_mergepath_partition_config_static_selectorELNS0_4arch9wavefront6targetE1EEEvSK_.kd
    .uniform_work_group_size: 1
    .uses_dynamic_stack: false
    .vgpr_count:     0
    .vgpr_spill_count: 0
    .wavefront_size: 64
  - .agpr_count:     0
    .args:
      - .offset:         0
        .size:           48
        .value_kind:     by_value
    .group_segment_fixed_size: 0
    .kernarg_segment_align: 8
    .kernarg_segment_size: 48
    .language:       OpenCL C
    .language_version:
      - 2
      - 0
    .max_flat_workgroup_size: 128
    .name:           _ZN7rocprim17ROCPRIM_400000_NS6detail17trampoline_kernelINS0_14default_configENS1_38merge_sort_block_merge_config_selectorItNS0_10empty_typeEEEZZNS1_27merge_sort_block_merge_implIS3_N6thrust23THRUST_200600_302600_NS6detail15normal_iteratorINS9_10device_ptrItEEEEPS5_m14custom_greaterItEEE10hipError_tT0_T1_T2_jT3_P12ihipStream_tbPNSt15iterator_traitsISJ_E10value_typeEPNSP_ISK_E10value_typeEPSL_NS1_7vsmem_tEENKUlT_SJ_SK_SL_E_clISE_PtSF_SF_EESI_SY_SJ_SK_SL_EUlSY_E_NS1_11comp_targetILNS1_3genE2ELNS1_11target_archE906ELNS1_3gpuE6ELNS1_3repE0EEENS1_48merge_mergepath_partition_config_static_selectorELNS0_4arch9wavefront6targetE1EEEvSK_
    .private_segment_fixed_size: 0
    .sgpr_count:     4
    .sgpr_spill_count: 0
    .symbol:         _ZN7rocprim17ROCPRIM_400000_NS6detail17trampoline_kernelINS0_14default_configENS1_38merge_sort_block_merge_config_selectorItNS0_10empty_typeEEEZZNS1_27merge_sort_block_merge_implIS3_N6thrust23THRUST_200600_302600_NS6detail15normal_iteratorINS9_10device_ptrItEEEEPS5_m14custom_greaterItEEE10hipError_tT0_T1_T2_jT3_P12ihipStream_tbPNSt15iterator_traitsISJ_E10value_typeEPNSP_ISK_E10value_typeEPSL_NS1_7vsmem_tEENKUlT_SJ_SK_SL_E_clISE_PtSF_SF_EESI_SY_SJ_SK_SL_EUlSY_E_NS1_11comp_targetILNS1_3genE2ELNS1_11target_archE906ELNS1_3gpuE6ELNS1_3repE0EEENS1_48merge_mergepath_partition_config_static_selectorELNS0_4arch9wavefront6targetE1EEEvSK_.kd
    .uniform_work_group_size: 1
    .uses_dynamic_stack: false
    .vgpr_count:     0
    .vgpr_spill_count: 0
    .wavefront_size: 64
  - .agpr_count:     0
    .args:
      - .offset:         0
        .size:           48
        .value_kind:     by_value
    .group_segment_fixed_size: 0
    .kernarg_segment_align: 8
    .kernarg_segment_size: 48
    .language:       OpenCL C
    .language_version:
      - 2
      - 0
    .max_flat_workgroup_size: 128
    .name:           _ZN7rocprim17ROCPRIM_400000_NS6detail17trampoline_kernelINS0_14default_configENS1_38merge_sort_block_merge_config_selectorItNS0_10empty_typeEEEZZNS1_27merge_sort_block_merge_implIS3_N6thrust23THRUST_200600_302600_NS6detail15normal_iteratorINS9_10device_ptrItEEEEPS5_m14custom_greaterItEEE10hipError_tT0_T1_T2_jT3_P12ihipStream_tbPNSt15iterator_traitsISJ_E10value_typeEPNSP_ISK_E10value_typeEPSL_NS1_7vsmem_tEENKUlT_SJ_SK_SL_E_clISE_PtSF_SF_EESI_SY_SJ_SK_SL_EUlSY_E_NS1_11comp_targetILNS1_3genE9ELNS1_11target_archE1100ELNS1_3gpuE3ELNS1_3repE0EEENS1_48merge_mergepath_partition_config_static_selectorELNS0_4arch9wavefront6targetE1EEEvSK_
    .private_segment_fixed_size: 0
    .sgpr_count:     4
    .sgpr_spill_count: 0
    .symbol:         _ZN7rocprim17ROCPRIM_400000_NS6detail17trampoline_kernelINS0_14default_configENS1_38merge_sort_block_merge_config_selectorItNS0_10empty_typeEEEZZNS1_27merge_sort_block_merge_implIS3_N6thrust23THRUST_200600_302600_NS6detail15normal_iteratorINS9_10device_ptrItEEEEPS5_m14custom_greaterItEEE10hipError_tT0_T1_T2_jT3_P12ihipStream_tbPNSt15iterator_traitsISJ_E10value_typeEPNSP_ISK_E10value_typeEPSL_NS1_7vsmem_tEENKUlT_SJ_SK_SL_E_clISE_PtSF_SF_EESI_SY_SJ_SK_SL_EUlSY_E_NS1_11comp_targetILNS1_3genE9ELNS1_11target_archE1100ELNS1_3gpuE3ELNS1_3repE0EEENS1_48merge_mergepath_partition_config_static_selectorELNS0_4arch9wavefront6targetE1EEEvSK_.kd
    .uniform_work_group_size: 1
    .uses_dynamic_stack: false
    .vgpr_count:     0
    .vgpr_spill_count: 0
    .wavefront_size: 64
  - .agpr_count:     0
    .args:
      - .offset:         0
        .size:           48
        .value_kind:     by_value
    .group_segment_fixed_size: 0
    .kernarg_segment_align: 8
    .kernarg_segment_size: 48
    .language:       OpenCL C
    .language_version:
      - 2
      - 0
    .max_flat_workgroup_size: 128
    .name:           _ZN7rocprim17ROCPRIM_400000_NS6detail17trampoline_kernelINS0_14default_configENS1_38merge_sort_block_merge_config_selectorItNS0_10empty_typeEEEZZNS1_27merge_sort_block_merge_implIS3_N6thrust23THRUST_200600_302600_NS6detail15normal_iteratorINS9_10device_ptrItEEEEPS5_m14custom_greaterItEEE10hipError_tT0_T1_T2_jT3_P12ihipStream_tbPNSt15iterator_traitsISJ_E10value_typeEPNSP_ISK_E10value_typeEPSL_NS1_7vsmem_tEENKUlT_SJ_SK_SL_E_clISE_PtSF_SF_EESI_SY_SJ_SK_SL_EUlSY_E_NS1_11comp_targetILNS1_3genE8ELNS1_11target_archE1030ELNS1_3gpuE2ELNS1_3repE0EEENS1_48merge_mergepath_partition_config_static_selectorELNS0_4arch9wavefront6targetE1EEEvSK_
    .private_segment_fixed_size: 0
    .sgpr_count:     4
    .sgpr_spill_count: 0
    .symbol:         _ZN7rocprim17ROCPRIM_400000_NS6detail17trampoline_kernelINS0_14default_configENS1_38merge_sort_block_merge_config_selectorItNS0_10empty_typeEEEZZNS1_27merge_sort_block_merge_implIS3_N6thrust23THRUST_200600_302600_NS6detail15normal_iteratorINS9_10device_ptrItEEEEPS5_m14custom_greaterItEEE10hipError_tT0_T1_T2_jT3_P12ihipStream_tbPNSt15iterator_traitsISJ_E10value_typeEPNSP_ISK_E10value_typeEPSL_NS1_7vsmem_tEENKUlT_SJ_SK_SL_E_clISE_PtSF_SF_EESI_SY_SJ_SK_SL_EUlSY_E_NS1_11comp_targetILNS1_3genE8ELNS1_11target_archE1030ELNS1_3gpuE2ELNS1_3repE0EEENS1_48merge_mergepath_partition_config_static_selectorELNS0_4arch9wavefront6targetE1EEEvSK_.kd
    .uniform_work_group_size: 1
    .uses_dynamic_stack: false
    .vgpr_count:     0
    .vgpr_spill_count: 0
    .wavefront_size: 64
  - .agpr_count:     0
    .args:
      - .offset:         0
        .size:           72
        .value_kind:     by_value
    .group_segment_fixed_size: 0
    .kernarg_segment_align: 8
    .kernarg_segment_size: 72
    .language:       OpenCL C
    .language_version:
      - 2
      - 0
    .max_flat_workgroup_size: 128
    .name:           _ZN7rocprim17ROCPRIM_400000_NS6detail17trampoline_kernelINS0_14default_configENS1_38merge_sort_block_merge_config_selectorItNS0_10empty_typeEEEZZNS1_27merge_sort_block_merge_implIS3_N6thrust23THRUST_200600_302600_NS6detail15normal_iteratorINS9_10device_ptrItEEEEPS5_m14custom_greaterItEEE10hipError_tT0_T1_T2_jT3_P12ihipStream_tbPNSt15iterator_traitsISJ_E10value_typeEPNSP_ISK_E10value_typeEPSL_NS1_7vsmem_tEENKUlT_SJ_SK_SL_E_clISE_PtSF_SF_EESI_SY_SJ_SK_SL_EUlSY_E0_NS1_11comp_targetILNS1_3genE0ELNS1_11target_archE4294967295ELNS1_3gpuE0ELNS1_3repE0EEENS1_38merge_mergepath_config_static_selectorELNS0_4arch9wavefront6targetE1EEEvSK_
    .private_segment_fixed_size: 0
    .sgpr_count:     4
    .sgpr_spill_count: 0
    .symbol:         _ZN7rocprim17ROCPRIM_400000_NS6detail17trampoline_kernelINS0_14default_configENS1_38merge_sort_block_merge_config_selectorItNS0_10empty_typeEEEZZNS1_27merge_sort_block_merge_implIS3_N6thrust23THRUST_200600_302600_NS6detail15normal_iteratorINS9_10device_ptrItEEEEPS5_m14custom_greaterItEEE10hipError_tT0_T1_T2_jT3_P12ihipStream_tbPNSt15iterator_traitsISJ_E10value_typeEPNSP_ISK_E10value_typeEPSL_NS1_7vsmem_tEENKUlT_SJ_SK_SL_E_clISE_PtSF_SF_EESI_SY_SJ_SK_SL_EUlSY_E0_NS1_11comp_targetILNS1_3genE0ELNS1_11target_archE4294967295ELNS1_3gpuE0ELNS1_3repE0EEENS1_38merge_mergepath_config_static_selectorELNS0_4arch9wavefront6targetE1EEEvSK_.kd
    .uniform_work_group_size: 1
    .uses_dynamic_stack: false
    .vgpr_count:     0
    .vgpr_spill_count: 0
    .wavefront_size: 64
  - .agpr_count:     0
    .args:
      - .offset:         0
        .size:           72
        .value_kind:     by_value
    .group_segment_fixed_size: 0
    .kernarg_segment_align: 8
    .kernarg_segment_size: 72
    .language:       OpenCL C
    .language_version:
      - 2
      - 0
    .max_flat_workgroup_size: 128
    .name:           _ZN7rocprim17ROCPRIM_400000_NS6detail17trampoline_kernelINS0_14default_configENS1_38merge_sort_block_merge_config_selectorItNS0_10empty_typeEEEZZNS1_27merge_sort_block_merge_implIS3_N6thrust23THRUST_200600_302600_NS6detail15normal_iteratorINS9_10device_ptrItEEEEPS5_m14custom_greaterItEEE10hipError_tT0_T1_T2_jT3_P12ihipStream_tbPNSt15iterator_traitsISJ_E10value_typeEPNSP_ISK_E10value_typeEPSL_NS1_7vsmem_tEENKUlT_SJ_SK_SL_E_clISE_PtSF_SF_EESI_SY_SJ_SK_SL_EUlSY_E0_NS1_11comp_targetILNS1_3genE10ELNS1_11target_archE1201ELNS1_3gpuE5ELNS1_3repE0EEENS1_38merge_mergepath_config_static_selectorELNS0_4arch9wavefront6targetE1EEEvSK_
    .private_segment_fixed_size: 0
    .sgpr_count:     4
    .sgpr_spill_count: 0
    .symbol:         _ZN7rocprim17ROCPRIM_400000_NS6detail17trampoline_kernelINS0_14default_configENS1_38merge_sort_block_merge_config_selectorItNS0_10empty_typeEEEZZNS1_27merge_sort_block_merge_implIS3_N6thrust23THRUST_200600_302600_NS6detail15normal_iteratorINS9_10device_ptrItEEEEPS5_m14custom_greaterItEEE10hipError_tT0_T1_T2_jT3_P12ihipStream_tbPNSt15iterator_traitsISJ_E10value_typeEPNSP_ISK_E10value_typeEPSL_NS1_7vsmem_tEENKUlT_SJ_SK_SL_E_clISE_PtSF_SF_EESI_SY_SJ_SK_SL_EUlSY_E0_NS1_11comp_targetILNS1_3genE10ELNS1_11target_archE1201ELNS1_3gpuE5ELNS1_3repE0EEENS1_38merge_mergepath_config_static_selectorELNS0_4arch9wavefront6targetE1EEEvSK_.kd
    .uniform_work_group_size: 1
    .uses_dynamic_stack: false
    .vgpr_count:     0
    .vgpr_spill_count: 0
    .wavefront_size: 64
  - .agpr_count:     0
    .args:
      - .offset:         0
        .size:           72
        .value_kind:     by_value
    .group_segment_fixed_size: 0
    .kernarg_segment_align: 8
    .kernarg_segment_size: 72
    .language:       OpenCL C
    .language_version:
      - 2
      - 0
    .max_flat_workgroup_size: 128
    .name:           _ZN7rocprim17ROCPRIM_400000_NS6detail17trampoline_kernelINS0_14default_configENS1_38merge_sort_block_merge_config_selectorItNS0_10empty_typeEEEZZNS1_27merge_sort_block_merge_implIS3_N6thrust23THRUST_200600_302600_NS6detail15normal_iteratorINS9_10device_ptrItEEEEPS5_m14custom_greaterItEEE10hipError_tT0_T1_T2_jT3_P12ihipStream_tbPNSt15iterator_traitsISJ_E10value_typeEPNSP_ISK_E10value_typeEPSL_NS1_7vsmem_tEENKUlT_SJ_SK_SL_E_clISE_PtSF_SF_EESI_SY_SJ_SK_SL_EUlSY_E0_NS1_11comp_targetILNS1_3genE5ELNS1_11target_archE942ELNS1_3gpuE9ELNS1_3repE0EEENS1_38merge_mergepath_config_static_selectorELNS0_4arch9wavefront6targetE1EEEvSK_
    .private_segment_fixed_size: 0
    .sgpr_count:     4
    .sgpr_spill_count: 0
    .symbol:         _ZN7rocprim17ROCPRIM_400000_NS6detail17trampoline_kernelINS0_14default_configENS1_38merge_sort_block_merge_config_selectorItNS0_10empty_typeEEEZZNS1_27merge_sort_block_merge_implIS3_N6thrust23THRUST_200600_302600_NS6detail15normal_iteratorINS9_10device_ptrItEEEEPS5_m14custom_greaterItEEE10hipError_tT0_T1_T2_jT3_P12ihipStream_tbPNSt15iterator_traitsISJ_E10value_typeEPNSP_ISK_E10value_typeEPSL_NS1_7vsmem_tEENKUlT_SJ_SK_SL_E_clISE_PtSF_SF_EESI_SY_SJ_SK_SL_EUlSY_E0_NS1_11comp_targetILNS1_3genE5ELNS1_11target_archE942ELNS1_3gpuE9ELNS1_3repE0EEENS1_38merge_mergepath_config_static_selectorELNS0_4arch9wavefront6targetE1EEEvSK_.kd
    .uniform_work_group_size: 1
    .uses_dynamic_stack: false
    .vgpr_count:     0
    .vgpr_spill_count: 0
    .wavefront_size: 64
  - .agpr_count:     0
    .args:
      - .offset:         0
        .size:           72
        .value_kind:     by_value
      - .offset:         72
        .size:           4
        .value_kind:     hidden_block_count_x
      - .offset:         76
        .size:           4
        .value_kind:     hidden_block_count_y
      - .offset:         80
        .size:           4
        .value_kind:     hidden_block_count_z
      - .offset:         84
        .size:           2
        .value_kind:     hidden_group_size_x
      - .offset:         86
        .size:           2
        .value_kind:     hidden_group_size_y
      - .offset:         88
        .size:           2
        .value_kind:     hidden_group_size_z
      - .offset:         90
        .size:           2
        .value_kind:     hidden_remainder_x
      - .offset:         92
        .size:           2
        .value_kind:     hidden_remainder_y
      - .offset:         94
        .size:           2
        .value_kind:     hidden_remainder_z
      - .offset:         112
        .size:           8
        .value_kind:     hidden_global_offset_x
      - .offset:         120
        .size:           8
        .value_kind:     hidden_global_offset_y
      - .offset:         128
        .size:           8
        .value_kind:     hidden_global_offset_z
      - .offset:         136
        .size:           2
        .value_kind:     hidden_grid_dims
    .group_segment_fixed_size: 2112
    .kernarg_segment_align: 8
    .kernarg_segment_size: 328
    .language:       OpenCL C
    .language_version:
      - 2
      - 0
    .max_flat_workgroup_size: 128
    .name:           _ZN7rocprim17ROCPRIM_400000_NS6detail17trampoline_kernelINS0_14default_configENS1_38merge_sort_block_merge_config_selectorItNS0_10empty_typeEEEZZNS1_27merge_sort_block_merge_implIS3_N6thrust23THRUST_200600_302600_NS6detail15normal_iteratorINS9_10device_ptrItEEEEPS5_m14custom_greaterItEEE10hipError_tT0_T1_T2_jT3_P12ihipStream_tbPNSt15iterator_traitsISJ_E10value_typeEPNSP_ISK_E10value_typeEPSL_NS1_7vsmem_tEENKUlT_SJ_SK_SL_E_clISE_PtSF_SF_EESI_SY_SJ_SK_SL_EUlSY_E0_NS1_11comp_targetILNS1_3genE4ELNS1_11target_archE910ELNS1_3gpuE8ELNS1_3repE0EEENS1_38merge_mergepath_config_static_selectorELNS0_4arch9wavefront6targetE1EEEvSK_
    .private_segment_fixed_size: 0
    .sgpr_count:     35
    .sgpr_spill_count: 0
    .symbol:         _ZN7rocprim17ROCPRIM_400000_NS6detail17trampoline_kernelINS0_14default_configENS1_38merge_sort_block_merge_config_selectorItNS0_10empty_typeEEEZZNS1_27merge_sort_block_merge_implIS3_N6thrust23THRUST_200600_302600_NS6detail15normal_iteratorINS9_10device_ptrItEEEEPS5_m14custom_greaterItEEE10hipError_tT0_T1_T2_jT3_P12ihipStream_tbPNSt15iterator_traitsISJ_E10value_typeEPNSP_ISK_E10value_typeEPSL_NS1_7vsmem_tEENKUlT_SJ_SK_SL_E_clISE_PtSF_SF_EESI_SY_SJ_SK_SL_EUlSY_E0_NS1_11comp_targetILNS1_3genE4ELNS1_11target_archE910ELNS1_3gpuE8ELNS1_3repE0EEENS1_38merge_mergepath_config_static_selectorELNS0_4arch9wavefront6targetE1EEEvSK_.kd
    .uniform_work_group_size: 1
    .uses_dynamic_stack: false
    .vgpr_count:     26
    .vgpr_spill_count: 0
    .wavefront_size: 64
  - .agpr_count:     0
    .args:
      - .offset:         0
        .size:           72
        .value_kind:     by_value
    .group_segment_fixed_size: 0
    .kernarg_segment_align: 8
    .kernarg_segment_size: 72
    .language:       OpenCL C
    .language_version:
      - 2
      - 0
    .max_flat_workgroup_size: 128
    .name:           _ZN7rocprim17ROCPRIM_400000_NS6detail17trampoline_kernelINS0_14default_configENS1_38merge_sort_block_merge_config_selectorItNS0_10empty_typeEEEZZNS1_27merge_sort_block_merge_implIS3_N6thrust23THRUST_200600_302600_NS6detail15normal_iteratorINS9_10device_ptrItEEEEPS5_m14custom_greaterItEEE10hipError_tT0_T1_T2_jT3_P12ihipStream_tbPNSt15iterator_traitsISJ_E10value_typeEPNSP_ISK_E10value_typeEPSL_NS1_7vsmem_tEENKUlT_SJ_SK_SL_E_clISE_PtSF_SF_EESI_SY_SJ_SK_SL_EUlSY_E0_NS1_11comp_targetILNS1_3genE3ELNS1_11target_archE908ELNS1_3gpuE7ELNS1_3repE0EEENS1_38merge_mergepath_config_static_selectorELNS0_4arch9wavefront6targetE1EEEvSK_
    .private_segment_fixed_size: 0
    .sgpr_count:     4
    .sgpr_spill_count: 0
    .symbol:         _ZN7rocprim17ROCPRIM_400000_NS6detail17trampoline_kernelINS0_14default_configENS1_38merge_sort_block_merge_config_selectorItNS0_10empty_typeEEEZZNS1_27merge_sort_block_merge_implIS3_N6thrust23THRUST_200600_302600_NS6detail15normal_iteratorINS9_10device_ptrItEEEEPS5_m14custom_greaterItEEE10hipError_tT0_T1_T2_jT3_P12ihipStream_tbPNSt15iterator_traitsISJ_E10value_typeEPNSP_ISK_E10value_typeEPSL_NS1_7vsmem_tEENKUlT_SJ_SK_SL_E_clISE_PtSF_SF_EESI_SY_SJ_SK_SL_EUlSY_E0_NS1_11comp_targetILNS1_3genE3ELNS1_11target_archE908ELNS1_3gpuE7ELNS1_3repE0EEENS1_38merge_mergepath_config_static_selectorELNS0_4arch9wavefront6targetE1EEEvSK_.kd
    .uniform_work_group_size: 1
    .uses_dynamic_stack: false
    .vgpr_count:     0
    .vgpr_spill_count: 0
    .wavefront_size: 64
  - .agpr_count:     0
    .args:
      - .offset:         0
        .size:           72
        .value_kind:     by_value
    .group_segment_fixed_size: 0
    .kernarg_segment_align: 8
    .kernarg_segment_size: 72
    .language:       OpenCL C
    .language_version:
      - 2
      - 0
    .max_flat_workgroup_size: 128
    .name:           _ZN7rocprim17ROCPRIM_400000_NS6detail17trampoline_kernelINS0_14default_configENS1_38merge_sort_block_merge_config_selectorItNS0_10empty_typeEEEZZNS1_27merge_sort_block_merge_implIS3_N6thrust23THRUST_200600_302600_NS6detail15normal_iteratorINS9_10device_ptrItEEEEPS5_m14custom_greaterItEEE10hipError_tT0_T1_T2_jT3_P12ihipStream_tbPNSt15iterator_traitsISJ_E10value_typeEPNSP_ISK_E10value_typeEPSL_NS1_7vsmem_tEENKUlT_SJ_SK_SL_E_clISE_PtSF_SF_EESI_SY_SJ_SK_SL_EUlSY_E0_NS1_11comp_targetILNS1_3genE2ELNS1_11target_archE906ELNS1_3gpuE6ELNS1_3repE0EEENS1_38merge_mergepath_config_static_selectorELNS0_4arch9wavefront6targetE1EEEvSK_
    .private_segment_fixed_size: 0
    .sgpr_count:     4
    .sgpr_spill_count: 0
    .symbol:         _ZN7rocprim17ROCPRIM_400000_NS6detail17trampoline_kernelINS0_14default_configENS1_38merge_sort_block_merge_config_selectorItNS0_10empty_typeEEEZZNS1_27merge_sort_block_merge_implIS3_N6thrust23THRUST_200600_302600_NS6detail15normal_iteratorINS9_10device_ptrItEEEEPS5_m14custom_greaterItEEE10hipError_tT0_T1_T2_jT3_P12ihipStream_tbPNSt15iterator_traitsISJ_E10value_typeEPNSP_ISK_E10value_typeEPSL_NS1_7vsmem_tEENKUlT_SJ_SK_SL_E_clISE_PtSF_SF_EESI_SY_SJ_SK_SL_EUlSY_E0_NS1_11comp_targetILNS1_3genE2ELNS1_11target_archE906ELNS1_3gpuE6ELNS1_3repE0EEENS1_38merge_mergepath_config_static_selectorELNS0_4arch9wavefront6targetE1EEEvSK_.kd
    .uniform_work_group_size: 1
    .uses_dynamic_stack: false
    .vgpr_count:     0
    .vgpr_spill_count: 0
    .wavefront_size: 64
  - .agpr_count:     0
    .args:
      - .offset:         0
        .size:           72
        .value_kind:     by_value
    .group_segment_fixed_size: 0
    .kernarg_segment_align: 8
    .kernarg_segment_size: 72
    .language:       OpenCL C
    .language_version:
      - 2
      - 0
    .max_flat_workgroup_size: 128
    .name:           _ZN7rocprim17ROCPRIM_400000_NS6detail17trampoline_kernelINS0_14default_configENS1_38merge_sort_block_merge_config_selectorItNS0_10empty_typeEEEZZNS1_27merge_sort_block_merge_implIS3_N6thrust23THRUST_200600_302600_NS6detail15normal_iteratorINS9_10device_ptrItEEEEPS5_m14custom_greaterItEEE10hipError_tT0_T1_T2_jT3_P12ihipStream_tbPNSt15iterator_traitsISJ_E10value_typeEPNSP_ISK_E10value_typeEPSL_NS1_7vsmem_tEENKUlT_SJ_SK_SL_E_clISE_PtSF_SF_EESI_SY_SJ_SK_SL_EUlSY_E0_NS1_11comp_targetILNS1_3genE9ELNS1_11target_archE1100ELNS1_3gpuE3ELNS1_3repE0EEENS1_38merge_mergepath_config_static_selectorELNS0_4arch9wavefront6targetE1EEEvSK_
    .private_segment_fixed_size: 0
    .sgpr_count:     4
    .sgpr_spill_count: 0
    .symbol:         _ZN7rocprim17ROCPRIM_400000_NS6detail17trampoline_kernelINS0_14default_configENS1_38merge_sort_block_merge_config_selectorItNS0_10empty_typeEEEZZNS1_27merge_sort_block_merge_implIS3_N6thrust23THRUST_200600_302600_NS6detail15normal_iteratorINS9_10device_ptrItEEEEPS5_m14custom_greaterItEEE10hipError_tT0_T1_T2_jT3_P12ihipStream_tbPNSt15iterator_traitsISJ_E10value_typeEPNSP_ISK_E10value_typeEPSL_NS1_7vsmem_tEENKUlT_SJ_SK_SL_E_clISE_PtSF_SF_EESI_SY_SJ_SK_SL_EUlSY_E0_NS1_11comp_targetILNS1_3genE9ELNS1_11target_archE1100ELNS1_3gpuE3ELNS1_3repE0EEENS1_38merge_mergepath_config_static_selectorELNS0_4arch9wavefront6targetE1EEEvSK_.kd
    .uniform_work_group_size: 1
    .uses_dynamic_stack: false
    .vgpr_count:     0
    .vgpr_spill_count: 0
    .wavefront_size: 64
  - .agpr_count:     0
    .args:
      - .offset:         0
        .size:           72
        .value_kind:     by_value
    .group_segment_fixed_size: 0
    .kernarg_segment_align: 8
    .kernarg_segment_size: 72
    .language:       OpenCL C
    .language_version:
      - 2
      - 0
    .max_flat_workgroup_size: 128
    .name:           _ZN7rocprim17ROCPRIM_400000_NS6detail17trampoline_kernelINS0_14default_configENS1_38merge_sort_block_merge_config_selectorItNS0_10empty_typeEEEZZNS1_27merge_sort_block_merge_implIS3_N6thrust23THRUST_200600_302600_NS6detail15normal_iteratorINS9_10device_ptrItEEEEPS5_m14custom_greaterItEEE10hipError_tT0_T1_T2_jT3_P12ihipStream_tbPNSt15iterator_traitsISJ_E10value_typeEPNSP_ISK_E10value_typeEPSL_NS1_7vsmem_tEENKUlT_SJ_SK_SL_E_clISE_PtSF_SF_EESI_SY_SJ_SK_SL_EUlSY_E0_NS1_11comp_targetILNS1_3genE8ELNS1_11target_archE1030ELNS1_3gpuE2ELNS1_3repE0EEENS1_38merge_mergepath_config_static_selectorELNS0_4arch9wavefront6targetE1EEEvSK_
    .private_segment_fixed_size: 0
    .sgpr_count:     4
    .sgpr_spill_count: 0
    .symbol:         _ZN7rocprim17ROCPRIM_400000_NS6detail17trampoline_kernelINS0_14default_configENS1_38merge_sort_block_merge_config_selectorItNS0_10empty_typeEEEZZNS1_27merge_sort_block_merge_implIS3_N6thrust23THRUST_200600_302600_NS6detail15normal_iteratorINS9_10device_ptrItEEEEPS5_m14custom_greaterItEEE10hipError_tT0_T1_T2_jT3_P12ihipStream_tbPNSt15iterator_traitsISJ_E10value_typeEPNSP_ISK_E10value_typeEPSL_NS1_7vsmem_tEENKUlT_SJ_SK_SL_E_clISE_PtSF_SF_EESI_SY_SJ_SK_SL_EUlSY_E0_NS1_11comp_targetILNS1_3genE8ELNS1_11target_archE1030ELNS1_3gpuE2ELNS1_3repE0EEENS1_38merge_mergepath_config_static_selectorELNS0_4arch9wavefront6targetE1EEEvSK_.kd
    .uniform_work_group_size: 1
    .uses_dynamic_stack: false
    .vgpr_count:     0
    .vgpr_spill_count: 0
    .wavefront_size: 64
  - .agpr_count:     0
    .args:
      - .offset:         0
        .size:           56
        .value_kind:     by_value
    .group_segment_fixed_size: 0
    .kernarg_segment_align: 8
    .kernarg_segment_size: 56
    .language:       OpenCL C
    .language_version:
      - 2
      - 0
    .max_flat_workgroup_size: 256
    .name:           _ZN7rocprim17ROCPRIM_400000_NS6detail17trampoline_kernelINS0_14default_configENS1_38merge_sort_block_merge_config_selectorItNS0_10empty_typeEEEZZNS1_27merge_sort_block_merge_implIS3_N6thrust23THRUST_200600_302600_NS6detail15normal_iteratorINS9_10device_ptrItEEEEPS5_m14custom_greaterItEEE10hipError_tT0_T1_T2_jT3_P12ihipStream_tbPNSt15iterator_traitsISJ_E10value_typeEPNSP_ISK_E10value_typeEPSL_NS1_7vsmem_tEENKUlT_SJ_SK_SL_E_clISE_PtSF_SF_EESI_SY_SJ_SK_SL_EUlSY_E1_NS1_11comp_targetILNS1_3genE0ELNS1_11target_archE4294967295ELNS1_3gpuE0ELNS1_3repE0EEENS1_36merge_oddeven_config_static_selectorELNS0_4arch9wavefront6targetE1EEEvSK_
    .private_segment_fixed_size: 0
    .sgpr_count:     4
    .sgpr_spill_count: 0
    .symbol:         _ZN7rocprim17ROCPRIM_400000_NS6detail17trampoline_kernelINS0_14default_configENS1_38merge_sort_block_merge_config_selectorItNS0_10empty_typeEEEZZNS1_27merge_sort_block_merge_implIS3_N6thrust23THRUST_200600_302600_NS6detail15normal_iteratorINS9_10device_ptrItEEEEPS5_m14custom_greaterItEEE10hipError_tT0_T1_T2_jT3_P12ihipStream_tbPNSt15iterator_traitsISJ_E10value_typeEPNSP_ISK_E10value_typeEPSL_NS1_7vsmem_tEENKUlT_SJ_SK_SL_E_clISE_PtSF_SF_EESI_SY_SJ_SK_SL_EUlSY_E1_NS1_11comp_targetILNS1_3genE0ELNS1_11target_archE4294967295ELNS1_3gpuE0ELNS1_3repE0EEENS1_36merge_oddeven_config_static_selectorELNS0_4arch9wavefront6targetE1EEEvSK_.kd
    .uniform_work_group_size: 1
    .uses_dynamic_stack: false
    .vgpr_count:     0
    .vgpr_spill_count: 0
    .wavefront_size: 64
  - .agpr_count:     0
    .args:
      - .offset:         0
        .size:           56
        .value_kind:     by_value
    .group_segment_fixed_size: 0
    .kernarg_segment_align: 8
    .kernarg_segment_size: 56
    .language:       OpenCL C
    .language_version:
      - 2
      - 0
    .max_flat_workgroup_size: 256
    .name:           _ZN7rocprim17ROCPRIM_400000_NS6detail17trampoline_kernelINS0_14default_configENS1_38merge_sort_block_merge_config_selectorItNS0_10empty_typeEEEZZNS1_27merge_sort_block_merge_implIS3_N6thrust23THRUST_200600_302600_NS6detail15normal_iteratorINS9_10device_ptrItEEEEPS5_m14custom_greaterItEEE10hipError_tT0_T1_T2_jT3_P12ihipStream_tbPNSt15iterator_traitsISJ_E10value_typeEPNSP_ISK_E10value_typeEPSL_NS1_7vsmem_tEENKUlT_SJ_SK_SL_E_clISE_PtSF_SF_EESI_SY_SJ_SK_SL_EUlSY_E1_NS1_11comp_targetILNS1_3genE10ELNS1_11target_archE1201ELNS1_3gpuE5ELNS1_3repE0EEENS1_36merge_oddeven_config_static_selectorELNS0_4arch9wavefront6targetE1EEEvSK_
    .private_segment_fixed_size: 0
    .sgpr_count:     4
    .sgpr_spill_count: 0
    .symbol:         _ZN7rocprim17ROCPRIM_400000_NS6detail17trampoline_kernelINS0_14default_configENS1_38merge_sort_block_merge_config_selectorItNS0_10empty_typeEEEZZNS1_27merge_sort_block_merge_implIS3_N6thrust23THRUST_200600_302600_NS6detail15normal_iteratorINS9_10device_ptrItEEEEPS5_m14custom_greaterItEEE10hipError_tT0_T1_T2_jT3_P12ihipStream_tbPNSt15iterator_traitsISJ_E10value_typeEPNSP_ISK_E10value_typeEPSL_NS1_7vsmem_tEENKUlT_SJ_SK_SL_E_clISE_PtSF_SF_EESI_SY_SJ_SK_SL_EUlSY_E1_NS1_11comp_targetILNS1_3genE10ELNS1_11target_archE1201ELNS1_3gpuE5ELNS1_3repE0EEENS1_36merge_oddeven_config_static_selectorELNS0_4arch9wavefront6targetE1EEEvSK_.kd
    .uniform_work_group_size: 1
    .uses_dynamic_stack: false
    .vgpr_count:     0
    .vgpr_spill_count: 0
    .wavefront_size: 64
  - .agpr_count:     0
    .args:
      - .offset:         0
        .size:           56
        .value_kind:     by_value
    .group_segment_fixed_size: 0
    .kernarg_segment_align: 8
    .kernarg_segment_size: 56
    .language:       OpenCL C
    .language_version:
      - 2
      - 0
    .max_flat_workgroup_size: 256
    .name:           _ZN7rocprim17ROCPRIM_400000_NS6detail17trampoline_kernelINS0_14default_configENS1_38merge_sort_block_merge_config_selectorItNS0_10empty_typeEEEZZNS1_27merge_sort_block_merge_implIS3_N6thrust23THRUST_200600_302600_NS6detail15normal_iteratorINS9_10device_ptrItEEEEPS5_m14custom_greaterItEEE10hipError_tT0_T1_T2_jT3_P12ihipStream_tbPNSt15iterator_traitsISJ_E10value_typeEPNSP_ISK_E10value_typeEPSL_NS1_7vsmem_tEENKUlT_SJ_SK_SL_E_clISE_PtSF_SF_EESI_SY_SJ_SK_SL_EUlSY_E1_NS1_11comp_targetILNS1_3genE5ELNS1_11target_archE942ELNS1_3gpuE9ELNS1_3repE0EEENS1_36merge_oddeven_config_static_selectorELNS0_4arch9wavefront6targetE1EEEvSK_
    .private_segment_fixed_size: 0
    .sgpr_count:     4
    .sgpr_spill_count: 0
    .symbol:         _ZN7rocprim17ROCPRIM_400000_NS6detail17trampoline_kernelINS0_14default_configENS1_38merge_sort_block_merge_config_selectorItNS0_10empty_typeEEEZZNS1_27merge_sort_block_merge_implIS3_N6thrust23THRUST_200600_302600_NS6detail15normal_iteratorINS9_10device_ptrItEEEEPS5_m14custom_greaterItEEE10hipError_tT0_T1_T2_jT3_P12ihipStream_tbPNSt15iterator_traitsISJ_E10value_typeEPNSP_ISK_E10value_typeEPSL_NS1_7vsmem_tEENKUlT_SJ_SK_SL_E_clISE_PtSF_SF_EESI_SY_SJ_SK_SL_EUlSY_E1_NS1_11comp_targetILNS1_3genE5ELNS1_11target_archE942ELNS1_3gpuE9ELNS1_3repE0EEENS1_36merge_oddeven_config_static_selectorELNS0_4arch9wavefront6targetE1EEEvSK_.kd
    .uniform_work_group_size: 1
    .uses_dynamic_stack: false
    .vgpr_count:     0
    .vgpr_spill_count: 0
    .wavefront_size: 64
  - .agpr_count:     0
    .args:
      - .offset:         0
        .size:           56
        .value_kind:     by_value
    .group_segment_fixed_size: 0
    .kernarg_segment_align: 8
    .kernarg_segment_size: 56
    .language:       OpenCL C
    .language_version:
      - 2
      - 0
    .max_flat_workgroup_size: 256
    .name:           _ZN7rocprim17ROCPRIM_400000_NS6detail17trampoline_kernelINS0_14default_configENS1_38merge_sort_block_merge_config_selectorItNS0_10empty_typeEEEZZNS1_27merge_sort_block_merge_implIS3_N6thrust23THRUST_200600_302600_NS6detail15normal_iteratorINS9_10device_ptrItEEEEPS5_m14custom_greaterItEEE10hipError_tT0_T1_T2_jT3_P12ihipStream_tbPNSt15iterator_traitsISJ_E10value_typeEPNSP_ISK_E10value_typeEPSL_NS1_7vsmem_tEENKUlT_SJ_SK_SL_E_clISE_PtSF_SF_EESI_SY_SJ_SK_SL_EUlSY_E1_NS1_11comp_targetILNS1_3genE4ELNS1_11target_archE910ELNS1_3gpuE8ELNS1_3repE0EEENS1_36merge_oddeven_config_static_selectorELNS0_4arch9wavefront6targetE1EEEvSK_
    .private_segment_fixed_size: 0
    .sgpr_count:     25
    .sgpr_spill_count: 0
    .symbol:         _ZN7rocprim17ROCPRIM_400000_NS6detail17trampoline_kernelINS0_14default_configENS1_38merge_sort_block_merge_config_selectorItNS0_10empty_typeEEEZZNS1_27merge_sort_block_merge_implIS3_N6thrust23THRUST_200600_302600_NS6detail15normal_iteratorINS9_10device_ptrItEEEEPS5_m14custom_greaterItEEE10hipError_tT0_T1_T2_jT3_P12ihipStream_tbPNSt15iterator_traitsISJ_E10value_typeEPNSP_ISK_E10value_typeEPSL_NS1_7vsmem_tEENKUlT_SJ_SK_SL_E_clISE_PtSF_SF_EESI_SY_SJ_SK_SL_EUlSY_E1_NS1_11comp_targetILNS1_3genE4ELNS1_11target_archE910ELNS1_3gpuE8ELNS1_3repE0EEENS1_36merge_oddeven_config_static_selectorELNS0_4arch9wavefront6targetE1EEEvSK_.kd
    .uniform_work_group_size: 1
    .uses_dynamic_stack: false
    .vgpr_count:     8
    .vgpr_spill_count: 0
    .wavefront_size: 64
  - .agpr_count:     0
    .args:
      - .offset:         0
        .size:           56
        .value_kind:     by_value
    .group_segment_fixed_size: 0
    .kernarg_segment_align: 8
    .kernarg_segment_size: 56
    .language:       OpenCL C
    .language_version:
      - 2
      - 0
    .max_flat_workgroup_size: 256
    .name:           _ZN7rocprim17ROCPRIM_400000_NS6detail17trampoline_kernelINS0_14default_configENS1_38merge_sort_block_merge_config_selectorItNS0_10empty_typeEEEZZNS1_27merge_sort_block_merge_implIS3_N6thrust23THRUST_200600_302600_NS6detail15normal_iteratorINS9_10device_ptrItEEEEPS5_m14custom_greaterItEEE10hipError_tT0_T1_T2_jT3_P12ihipStream_tbPNSt15iterator_traitsISJ_E10value_typeEPNSP_ISK_E10value_typeEPSL_NS1_7vsmem_tEENKUlT_SJ_SK_SL_E_clISE_PtSF_SF_EESI_SY_SJ_SK_SL_EUlSY_E1_NS1_11comp_targetILNS1_3genE3ELNS1_11target_archE908ELNS1_3gpuE7ELNS1_3repE0EEENS1_36merge_oddeven_config_static_selectorELNS0_4arch9wavefront6targetE1EEEvSK_
    .private_segment_fixed_size: 0
    .sgpr_count:     4
    .sgpr_spill_count: 0
    .symbol:         _ZN7rocprim17ROCPRIM_400000_NS6detail17trampoline_kernelINS0_14default_configENS1_38merge_sort_block_merge_config_selectorItNS0_10empty_typeEEEZZNS1_27merge_sort_block_merge_implIS3_N6thrust23THRUST_200600_302600_NS6detail15normal_iteratorINS9_10device_ptrItEEEEPS5_m14custom_greaterItEEE10hipError_tT0_T1_T2_jT3_P12ihipStream_tbPNSt15iterator_traitsISJ_E10value_typeEPNSP_ISK_E10value_typeEPSL_NS1_7vsmem_tEENKUlT_SJ_SK_SL_E_clISE_PtSF_SF_EESI_SY_SJ_SK_SL_EUlSY_E1_NS1_11comp_targetILNS1_3genE3ELNS1_11target_archE908ELNS1_3gpuE7ELNS1_3repE0EEENS1_36merge_oddeven_config_static_selectorELNS0_4arch9wavefront6targetE1EEEvSK_.kd
    .uniform_work_group_size: 1
    .uses_dynamic_stack: false
    .vgpr_count:     0
    .vgpr_spill_count: 0
    .wavefront_size: 64
  - .agpr_count:     0
    .args:
      - .offset:         0
        .size:           56
        .value_kind:     by_value
    .group_segment_fixed_size: 0
    .kernarg_segment_align: 8
    .kernarg_segment_size: 56
    .language:       OpenCL C
    .language_version:
      - 2
      - 0
    .max_flat_workgroup_size: 256
    .name:           _ZN7rocprim17ROCPRIM_400000_NS6detail17trampoline_kernelINS0_14default_configENS1_38merge_sort_block_merge_config_selectorItNS0_10empty_typeEEEZZNS1_27merge_sort_block_merge_implIS3_N6thrust23THRUST_200600_302600_NS6detail15normal_iteratorINS9_10device_ptrItEEEEPS5_m14custom_greaterItEEE10hipError_tT0_T1_T2_jT3_P12ihipStream_tbPNSt15iterator_traitsISJ_E10value_typeEPNSP_ISK_E10value_typeEPSL_NS1_7vsmem_tEENKUlT_SJ_SK_SL_E_clISE_PtSF_SF_EESI_SY_SJ_SK_SL_EUlSY_E1_NS1_11comp_targetILNS1_3genE2ELNS1_11target_archE906ELNS1_3gpuE6ELNS1_3repE0EEENS1_36merge_oddeven_config_static_selectorELNS0_4arch9wavefront6targetE1EEEvSK_
    .private_segment_fixed_size: 0
    .sgpr_count:     4
    .sgpr_spill_count: 0
    .symbol:         _ZN7rocprim17ROCPRIM_400000_NS6detail17trampoline_kernelINS0_14default_configENS1_38merge_sort_block_merge_config_selectorItNS0_10empty_typeEEEZZNS1_27merge_sort_block_merge_implIS3_N6thrust23THRUST_200600_302600_NS6detail15normal_iteratorINS9_10device_ptrItEEEEPS5_m14custom_greaterItEEE10hipError_tT0_T1_T2_jT3_P12ihipStream_tbPNSt15iterator_traitsISJ_E10value_typeEPNSP_ISK_E10value_typeEPSL_NS1_7vsmem_tEENKUlT_SJ_SK_SL_E_clISE_PtSF_SF_EESI_SY_SJ_SK_SL_EUlSY_E1_NS1_11comp_targetILNS1_3genE2ELNS1_11target_archE906ELNS1_3gpuE6ELNS1_3repE0EEENS1_36merge_oddeven_config_static_selectorELNS0_4arch9wavefront6targetE1EEEvSK_.kd
    .uniform_work_group_size: 1
    .uses_dynamic_stack: false
    .vgpr_count:     0
    .vgpr_spill_count: 0
    .wavefront_size: 64
  - .agpr_count:     0
    .args:
      - .offset:         0
        .size:           56
        .value_kind:     by_value
    .group_segment_fixed_size: 0
    .kernarg_segment_align: 8
    .kernarg_segment_size: 56
    .language:       OpenCL C
    .language_version:
      - 2
      - 0
    .max_flat_workgroup_size: 256
    .name:           _ZN7rocprim17ROCPRIM_400000_NS6detail17trampoline_kernelINS0_14default_configENS1_38merge_sort_block_merge_config_selectorItNS0_10empty_typeEEEZZNS1_27merge_sort_block_merge_implIS3_N6thrust23THRUST_200600_302600_NS6detail15normal_iteratorINS9_10device_ptrItEEEEPS5_m14custom_greaterItEEE10hipError_tT0_T1_T2_jT3_P12ihipStream_tbPNSt15iterator_traitsISJ_E10value_typeEPNSP_ISK_E10value_typeEPSL_NS1_7vsmem_tEENKUlT_SJ_SK_SL_E_clISE_PtSF_SF_EESI_SY_SJ_SK_SL_EUlSY_E1_NS1_11comp_targetILNS1_3genE9ELNS1_11target_archE1100ELNS1_3gpuE3ELNS1_3repE0EEENS1_36merge_oddeven_config_static_selectorELNS0_4arch9wavefront6targetE1EEEvSK_
    .private_segment_fixed_size: 0
    .sgpr_count:     4
    .sgpr_spill_count: 0
    .symbol:         _ZN7rocprim17ROCPRIM_400000_NS6detail17trampoline_kernelINS0_14default_configENS1_38merge_sort_block_merge_config_selectorItNS0_10empty_typeEEEZZNS1_27merge_sort_block_merge_implIS3_N6thrust23THRUST_200600_302600_NS6detail15normal_iteratorINS9_10device_ptrItEEEEPS5_m14custom_greaterItEEE10hipError_tT0_T1_T2_jT3_P12ihipStream_tbPNSt15iterator_traitsISJ_E10value_typeEPNSP_ISK_E10value_typeEPSL_NS1_7vsmem_tEENKUlT_SJ_SK_SL_E_clISE_PtSF_SF_EESI_SY_SJ_SK_SL_EUlSY_E1_NS1_11comp_targetILNS1_3genE9ELNS1_11target_archE1100ELNS1_3gpuE3ELNS1_3repE0EEENS1_36merge_oddeven_config_static_selectorELNS0_4arch9wavefront6targetE1EEEvSK_.kd
    .uniform_work_group_size: 1
    .uses_dynamic_stack: false
    .vgpr_count:     0
    .vgpr_spill_count: 0
    .wavefront_size: 64
  - .agpr_count:     0
    .args:
      - .offset:         0
        .size:           56
        .value_kind:     by_value
    .group_segment_fixed_size: 0
    .kernarg_segment_align: 8
    .kernarg_segment_size: 56
    .language:       OpenCL C
    .language_version:
      - 2
      - 0
    .max_flat_workgroup_size: 256
    .name:           _ZN7rocprim17ROCPRIM_400000_NS6detail17trampoline_kernelINS0_14default_configENS1_38merge_sort_block_merge_config_selectorItNS0_10empty_typeEEEZZNS1_27merge_sort_block_merge_implIS3_N6thrust23THRUST_200600_302600_NS6detail15normal_iteratorINS9_10device_ptrItEEEEPS5_m14custom_greaterItEEE10hipError_tT0_T1_T2_jT3_P12ihipStream_tbPNSt15iterator_traitsISJ_E10value_typeEPNSP_ISK_E10value_typeEPSL_NS1_7vsmem_tEENKUlT_SJ_SK_SL_E_clISE_PtSF_SF_EESI_SY_SJ_SK_SL_EUlSY_E1_NS1_11comp_targetILNS1_3genE8ELNS1_11target_archE1030ELNS1_3gpuE2ELNS1_3repE0EEENS1_36merge_oddeven_config_static_selectorELNS0_4arch9wavefront6targetE1EEEvSK_
    .private_segment_fixed_size: 0
    .sgpr_count:     4
    .sgpr_spill_count: 0
    .symbol:         _ZN7rocprim17ROCPRIM_400000_NS6detail17trampoline_kernelINS0_14default_configENS1_38merge_sort_block_merge_config_selectorItNS0_10empty_typeEEEZZNS1_27merge_sort_block_merge_implIS3_N6thrust23THRUST_200600_302600_NS6detail15normal_iteratorINS9_10device_ptrItEEEEPS5_m14custom_greaterItEEE10hipError_tT0_T1_T2_jT3_P12ihipStream_tbPNSt15iterator_traitsISJ_E10value_typeEPNSP_ISK_E10value_typeEPSL_NS1_7vsmem_tEENKUlT_SJ_SK_SL_E_clISE_PtSF_SF_EESI_SY_SJ_SK_SL_EUlSY_E1_NS1_11comp_targetILNS1_3genE8ELNS1_11target_archE1030ELNS1_3gpuE2ELNS1_3repE0EEENS1_36merge_oddeven_config_static_selectorELNS0_4arch9wavefront6targetE1EEEvSK_.kd
    .uniform_work_group_size: 1
    .uses_dynamic_stack: false
    .vgpr_count:     0
    .vgpr_spill_count: 0
    .wavefront_size: 64
  - .agpr_count:     0
    .args:
      - .offset:         0
        .size:           40
        .value_kind:     by_value
    .group_segment_fixed_size: 0
    .kernarg_segment_align: 8
    .kernarg_segment_size: 40
    .language:       OpenCL C
    .language_version:
      - 2
      - 0
    .max_flat_workgroup_size: 128
    .name:           _ZN7rocprim17ROCPRIM_400000_NS6detail17trampoline_kernelINS0_14default_configENS1_25transform_config_selectorItLb0EEEZNS1_14transform_implILb0ES3_S5_PtN6thrust23THRUST_200600_302600_NS6detail15normal_iteratorINS9_10device_ptrItEEEENS0_8identityItEEEE10hipError_tT2_T3_mT4_P12ihipStream_tbEUlT_E_NS1_11comp_targetILNS1_3genE0ELNS1_11target_archE4294967295ELNS1_3gpuE0ELNS1_3repE0EEENS1_30default_config_static_selectorELNS0_4arch9wavefront6targetE1EEEvT1_
    .private_segment_fixed_size: 0
    .sgpr_count:     4
    .sgpr_spill_count: 0
    .symbol:         _ZN7rocprim17ROCPRIM_400000_NS6detail17trampoline_kernelINS0_14default_configENS1_25transform_config_selectorItLb0EEEZNS1_14transform_implILb0ES3_S5_PtN6thrust23THRUST_200600_302600_NS6detail15normal_iteratorINS9_10device_ptrItEEEENS0_8identityItEEEE10hipError_tT2_T3_mT4_P12ihipStream_tbEUlT_E_NS1_11comp_targetILNS1_3genE0ELNS1_11target_archE4294967295ELNS1_3gpuE0ELNS1_3repE0EEENS1_30default_config_static_selectorELNS0_4arch9wavefront6targetE1EEEvT1_.kd
    .uniform_work_group_size: 1
    .uses_dynamic_stack: false
    .vgpr_count:     0
    .vgpr_spill_count: 0
    .wavefront_size: 64
  - .agpr_count:     0
    .args:
      - .offset:         0
        .size:           40
        .value_kind:     by_value
    .group_segment_fixed_size: 0
    .kernarg_segment_align: 8
    .kernarg_segment_size: 40
    .language:       OpenCL C
    .language_version:
      - 2
      - 0
    .max_flat_workgroup_size: 256
    .name:           _ZN7rocprim17ROCPRIM_400000_NS6detail17trampoline_kernelINS0_14default_configENS1_25transform_config_selectorItLb0EEEZNS1_14transform_implILb0ES3_S5_PtN6thrust23THRUST_200600_302600_NS6detail15normal_iteratorINS9_10device_ptrItEEEENS0_8identityItEEEE10hipError_tT2_T3_mT4_P12ihipStream_tbEUlT_E_NS1_11comp_targetILNS1_3genE5ELNS1_11target_archE942ELNS1_3gpuE9ELNS1_3repE0EEENS1_30default_config_static_selectorELNS0_4arch9wavefront6targetE1EEEvT1_
    .private_segment_fixed_size: 0
    .sgpr_count:     4
    .sgpr_spill_count: 0
    .symbol:         _ZN7rocprim17ROCPRIM_400000_NS6detail17trampoline_kernelINS0_14default_configENS1_25transform_config_selectorItLb0EEEZNS1_14transform_implILb0ES3_S5_PtN6thrust23THRUST_200600_302600_NS6detail15normal_iteratorINS9_10device_ptrItEEEENS0_8identityItEEEE10hipError_tT2_T3_mT4_P12ihipStream_tbEUlT_E_NS1_11comp_targetILNS1_3genE5ELNS1_11target_archE942ELNS1_3gpuE9ELNS1_3repE0EEENS1_30default_config_static_selectorELNS0_4arch9wavefront6targetE1EEEvT1_.kd
    .uniform_work_group_size: 1
    .uses_dynamic_stack: false
    .vgpr_count:     0
    .vgpr_spill_count: 0
    .wavefront_size: 64
  - .agpr_count:     0
    .args:
      - .offset:         0
        .size:           40
        .value_kind:     by_value
      - .offset:         40
        .size:           4
        .value_kind:     hidden_block_count_x
      - .offset:         44
        .size:           4
        .value_kind:     hidden_block_count_y
      - .offset:         48
        .size:           4
        .value_kind:     hidden_block_count_z
      - .offset:         52
        .size:           2
        .value_kind:     hidden_group_size_x
      - .offset:         54
        .size:           2
        .value_kind:     hidden_group_size_y
      - .offset:         56
        .size:           2
        .value_kind:     hidden_group_size_z
      - .offset:         58
        .size:           2
        .value_kind:     hidden_remainder_x
      - .offset:         60
        .size:           2
        .value_kind:     hidden_remainder_y
      - .offset:         62
        .size:           2
        .value_kind:     hidden_remainder_z
      - .offset:         80
        .size:           8
        .value_kind:     hidden_global_offset_x
      - .offset:         88
        .size:           8
        .value_kind:     hidden_global_offset_y
      - .offset:         96
        .size:           8
        .value_kind:     hidden_global_offset_z
      - .offset:         104
        .size:           2
        .value_kind:     hidden_grid_dims
    .group_segment_fixed_size: 0
    .kernarg_segment_align: 8
    .kernarg_segment_size: 296
    .language:       OpenCL C
    .language_version:
      - 2
      - 0
    .max_flat_workgroup_size: 64
    .name:           _ZN7rocprim17ROCPRIM_400000_NS6detail17trampoline_kernelINS0_14default_configENS1_25transform_config_selectorItLb0EEEZNS1_14transform_implILb0ES3_S5_PtN6thrust23THRUST_200600_302600_NS6detail15normal_iteratorINS9_10device_ptrItEEEENS0_8identityItEEEE10hipError_tT2_T3_mT4_P12ihipStream_tbEUlT_E_NS1_11comp_targetILNS1_3genE4ELNS1_11target_archE910ELNS1_3gpuE8ELNS1_3repE0EEENS1_30default_config_static_selectorELNS0_4arch9wavefront6targetE1EEEvT1_
    .private_segment_fixed_size: 0
    .sgpr_count:     30
    .sgpr_spill_count: 0
    .symbol:         _ZN7rocprim17ROCPRIM_400000_NS6detail17trampoline_kernelINS0_14default_configENS1_25transform_config_selectorItLb0EEEZNS1_14transform_implILb0ES3_S5_PtN6thrust23THRUST_200600_302600_NS6detail15normal_iteratorINS9_10device_ptrItEEEENS0_8identityItEEEE10hipError_tT2_T3_mT4_P12ihipStream_tbEUlT_E_NS1_11comp_targetILNS1_3genE4ELNS1_11target_archE910ELNS1_3gpuE8ELNS1_3repE0EEENS1_30default_config_static_selectorELNS0_4arch9wavefront6targetE1EEEvT1_.kd
    .uniform_work_group_size: 1
    .uses_dynamic_stack: false
    .vgpr_count:     12
    .vgpr_spill_count: 0
    .wavefront_size: 64
  - .agpr_count:     0
    .args:
      - .offset:         0
        .size:           40
        .value_kind:     by_value
    .group_segment_fixed_size: 0
    .kernarg_segment_align: 8
    .kernarg_segment_size: 40
    .language:       OpenCL C
    .language_version:
      - 2
      - 0
    .max_flat_workgroup_size: 128
    .name:           _ZN7rocprim17ROCPRIM_400000_NS6detail17trampoline_kernelINS0_14default_configENS1_25transform_config_selectorItLb0EEEZNS1_14transform_implILb0ES3_S5_PtN6thrust23THRUST_200600_302600_NS6detail15normal_iteratorINS9_10device_ptrItEEEENS0_8identityItEEEE10hipError_tT2_T3_mT4_P12ihipStream_tbEUlT_E_NS1_11comp_targetILNS1_3genE3ELNS1_11target_archE908ELNS1_3gpuE7ELNS1_3repE0EEENS1_30default_config_static_selectorELNS0_4arch9wavefront6targetE1EEEvT1_
    .private_segment_fixed_size: 0
    .sgpr_count:     4
    .sgpr_spill_count: 0
    .symbol:         _ZN7rocprim17ROCPRIM_400000_NS6detail17trampoline_kernelINS0_14default_configENS1_25transform_config_selectorItLb0EEEZNS1_14transform_implILb0ES3_S5_PtN6thrust23THRUST_200600_302600_NS6detail15normal_iteratorINS9_10device_ptrItEEEENS0_8identityItEEEE10hipError_tT2_T3_mT4_P12ihipStream_tbEUlT_E_NS1_11comp_targetILNS1_3genE3ELNS1_11target_archE908ELNS1_3gpuE7ELNS1_3repE0EEENS1_30default_config_static_selectorELNS0_4arch9wavefront6targetE1EEEvT1_.kd
    .uniform_work_group_size: 1
    .uses_dynamic_stack: false
    .vgpr_count:     0
    .vgpr_spill_count: 0
    .wavefront_size: 64
  - .agpr_count:     0
    .args:
      - .offset:         0
        .size:           40
        .value_kind:     by_value
    .group_segment_fixed_size: 0
    .kernarg_segment_align: 8
    .kernarg_segment_size: 40
    .language:       OpenCL C
    .language_version:
      - 2
      - 0
    .max_flat_workgroup_size: 512
    .name:           _ZN7rocprim17ROCPRIM_400000_NS6detail17trampoline_kernelINS0_14default_configENS1_25transform_config_selectorItLb0EEEZNS1_14transform_implILb0ES3_S5_PtN6thrust23THRUST_200600_302600_NS6detail15normal_iteratorINS9_10device_ptrItEEEENS0_8identityItEEEE10hipError_tT2_T3_mT4_P12ihipStream_tbEUlT_E_NS1_11comp_targetILNS1_3genE2ELNS1_11target_archE906ELNS1_3gpuE6ELNS1_3repE0EEENS1_30default_config_static_selectorELNS0_4arch9wavefront6targetE1EEEvT1_
    .private_segment_fixed_size: 0
    .sgpr_count:     4
    .sgpr_spill_count: 0
    .symbol:         _ZN7rocprim17ROCPRIM_400000_NS6detail17trampoline_kernelINS0_14default_configENS1_25transform_config_selectorItLb0EEEZNS1_14transform_implILb0ES3_S5_PtN6thrust23THRUST_200600_302600_NS6detail15normal_iteratorINS9_10device_ptrItEEEENS0_8identityItEEEE10hipError_tT2_T3_mT4_P12ihipStream_tbEUlT_E_NS1_11comp_targetILNS1_3genE2ELNS1_11target_archE906ELNS1_3gpuE6ELNS1_3repE0EEENS1_30default_config_static_selectorELNS0_4arch9wavefront6targetE1EEEvT1_.kd
    .uniform_work_group_size: 1
    .uses_dynamic_stack: false
    .vgpr_count:     0
    .vgpr_spill_count: 0
    .wavefront_size: 64
  - .agpr_count:     0
    .args:
      - .offset:         0
        .size:           40
        .value_kind:     by_value
    .group_segment_fixed_size: 0
    .kernarg_segment_align: 8
    .kernarg_segment_size: 40
    .language:       OpenCL C
    .language_version:
      - 2
      - 0
    .max_flat_workgroup_size: 1024
    .name:           _ZN7rocprim17ROCPRIM_400000_NS6detail17trampoline_kernelINS0_14default_configENS1_25transform_config_selectorItLb0EEEZNS1_14transform_implILb0ES3_S5_PtN6thrust23THRUST_200600_302600_NS6detail15normal_iteratorINS9_10device_ptrItEEEENS0_8identityItEEEE10hipError_tT2_T3_mT4_P12ihipStream_tbEUlT_E_NS1_11comp_targetILNS1_3genE10ELNS1_11target_archE1201ELNS1_3gpuE5ELNS1_3repE0EEENS1_30default_config_static_selectorELNS0_4arch9wavefront6targetE1EEEvT1_
    .private_segment_fixed_size: 0
    .sgpr_count:     4
    .sgpr_spill_count: 0
    .symbol:         _ZN7rocprim17ROCPRIM_400000_NS6detail17trampoline_kernelINS0_14default_configENS1_25transform_config_selectorItLb0EEEZNS1_14transform_implILb0ES3_S5_PtN6thrust23THRUST_200600_302600_NS6detail15normal_iteratorINS9_10device_ptrItEEEENS0_8identityItEEEE10hipError_tT2_T3_mT4_P12ihipStream_tbEUlT_E_NS1_11comp_targetILNS1_3genE10ELNS1_11target_archE1201ELNS1_3gpuE5ELNS1_3repE0EEENS1_30default_config_static_selectorELNS0_4arch9wavefront6targetE1EEEvT1_.kd
    .uniform_work_group_size: 1
    .uses_dynamic_stack: false
    .vgpr_count:     0
    .vgpr_spill_count: 0
    .wavefront_size: 64
  - .agpr_count:     0
    .args:
      - .offset:         0
        .size:           40
        .value_kind:     by_value
    .group_segment_fixed_size: 0
    .kernarg_segment_align: 8
    .kernarg_segment_size: 40
    .language:       OpenCL C
    .language_version:
      - 2
      - 0
    .max_flat_workgroup_size: 512
    .name:           _ZN7rocprim17ROCPRIM_400000_NS6detail17trampoline_kernelINS0_14default_configENS1_25transform_config_selectorItLb0EEEZNS1_14transform_implILb0ES3_S5_PtN6thrust23THRUST_200600_302600_NS6detail15normal_iteratorINS9_10device_ptrItEEEENS0_8identityItEEEE10hipError_tT2_T3_mT4_P12ihipStream_tbEUlT_E_NS1_11comp_targetILNS1_3genE10ELNS1_11target_archE1200ELNS1_3gpuE4ELNS1_3repE0EEENS1_30default_config_static_selectorELNS0_4arch9wavefront6targetE1EEEvT1_
    .private_segment_fixed_size: 0
    .sgpr_count:     4
    .sgpr_spill_count: 0
    .symbol:         _ZN7rocprim17ROCPRIM_400000_NS6detail17trampoline_kernelINS0_14default_configENS1_25transform_config_selectorItLb0EEEZNS1_14transform_implILb0ES3_S5_PtN6thrust23THRUST_200600_302600_NS6detail15normal_iteratorINS9_10device_ptrItEEEENS0_8identityItEEEE10hipError_tT2_T3_mT4_P12ihipStream_tbEUlT_E_NS1_11comp_targetILNS1_3genE10ELNS1_11target_archE1200ELNS1_3gpuE4ELNS1_3repE0EEENS1_30default_config_static_selectorELNS0_4arch9wavefront6targetE1EEEvT1_.kd
    .uniform_work_group_size: 1
    .uses_dynamic_stack: false
    .vgpr_count:     0
    .vgpr_spill_count: 0
    .wavefront_size: 64
  - .agpr_count:     0
    .args:
      - .offset:         0
        .size:           40
        .value_kind:     by_value
    .group_segment_fixed_size: 0
    .kernarg_segment_align: 8
    .kernarg_segment_size: 40
    .language:       OpenCL C
    .language_version:
      - 2
      - 0
    .max_flat_workgroup_size: 1024
    .name:           _ZN7rocprim17ROCPRIM_400000_NS6detail17trampoline_kernelINS0_14default_configENS1_25transform_config_selectorItLb0EEEZNS1_14transform_implILb0ES3_S5_PtN6thrust23THRUST_200600_302600_NS6detail15normal_iteratorINS9_10device_ptrItEEEENS0_8identityItEEEE10hipError_tT2_T3_mT4_P12ihipStream_tbEUlT_E_NS1_11comp_targetILNS1_3genE9ELNS1_11target_archE1100ELNS1_3gpuE3ELNS1_3repE0EEENS1_30default_config_static_selectorELNS0_4arch9wavefront6targetE1EEEvT1_
    .private_segment_fixed_size: 0
    .sgpr_count:     4
    .sgpr_spill_count: 0
    .symbol:         _ZN7rocprim17ROCPRIM_400000_NS6detail17trampoline_kernelINS0_14default_configENS1_25transform_config_selectorItLb0EEEZNS1_14transform_implILb0ES3_S5_PtN6thrust23THRUST_200600_302600_NS6detail15normal_iteratorINS9_10device_ptrItEEEENS0_8identityItEEEE10hipError_tT2_T3_mT4_P12ihipStream_tbEUlT_E_NS1_11comp_targetILNS1_3genE9ELNS1_11target_archE1100ELNS1_3gpuE3ELNS1_3repE0EEENS1_30default_config_static_selectorELNS0_4arch9wavefront6targetE1EEEvT1_.kd
    .uniform_work_group_size: 1
    .uses_dynamic_stack: false
    .vgpr_count:     0
    .vgpr_spill_count: 0
    .wavefront_size: 64
  - .agpr_count:     0
    .args:
      - .offset:         0
        .size:           40
        .value_kind:     by_value
    .group_segment_fixed_size: 0
    .kernarg_segment_align: 8
    .kernarg_segment_size: 40
    .language:       OpenCL C
    .language_version:
      - 2
      - 0
    .max_flat_workgroup_size: 1024
    .name:           _ZN7rocprim17ROCPRIM_400000_NS6detail17trampoline_kernelINS0_14default_configENS1_25transform_config_selectorItLb0EEEZNS1_14transform_implILb0ES3_S5_PtN6thrust23THRUST_200600_302600_NS6detail15normal_iteratorINS9_10device_ptrItEEEENS0_8identityItEEEE10hipError_tT2_T3_mT4_P12ihipStream_tbEUlT_E_NS1_11comp_targetILNS1_3genE8ELNS1_11target_archE1030ELNS1_3gpuE2ELNS1_3repE0EEENS1_30default_config_static_selectorELNS0_4arch9wavefront6targetE1EEEvT1_
    .private_segment_fixed_size: 0
    .sgpr_count:     4
    .sgpr_spill_count: 0
    .symbol:         _ZN7rocprim17ROCPRIM_400000_NS6detail17trampoline_kernelINS0_14default_configENS1_25transform_config_selectorItLb0EEEZNS1_14transform_implILb0ES3_S5_PtN6thrust23THRUST_200600_302600_NS6detail15normal_iteratorINS9_10device_ptrItEEEENS0_8identityItEEEE10hipError_tT2_T3_mT4_P12ihipStream_tbEUlT_E_NS1_11comp_targetILNS1_3genE8ELNS1_11target_archE1030ELNS1_3gpuE2ELNS1_3repE0EEENS1_30default_config_static_selectorELNS0_4arch9wavefront6targetE1EEEvT1_.kd
    .uniform_work_group_size: 1
    .uses_dynamic_stack: false
    .vgpr_count:     0
    .vgpr_spill_count: 0
    .wavefront_size: 64
  - .agpr_count:     0
    .args:           []
    .group_segment_fixed_size: 0
    .kernarg_segment_align: 4
    .kernarg_segment_size: 0
    .language:       OpenCL C
    .language_version:
      - 2
      - 0
    .max_flat_workgroup_size: 1024
    .name:           _ZN7rocprim17ROCPRIM_400000_NS6detail44device_merge_sort_compile_time_verifier_archINS1_11comp_targetILNS1_3genE0ELNS1_11target_archE4294967295ELNS1_3gpuE0ELNS1_3repE0EEES8_NS0_14default_configES9_NS1_37merge_sort_block_sort_config_selectorIiNS0_10empty_typeEEENS1_38merge_sort_block_merge_config_selectorIiSB_EEEEvv
    .private_segment_fixed_size: 0
    .sgpr_count:     4
    .sgpr_spill_count: 0
    .symbol:         _ZN7rocprim17ROCPRIM_400000_NS6detail44device_merge_sort_compile_time_verifier_archINS1_11comp_targetILNS1_3genE0ELNS1_11target_archE4294967295ELNS1_3gpuE0ELNS1_3repE0EEES8_NS0_14default_configES9_NS1_37merge_sort_block_sort_config_selectorIiNS0_10empty_typeEEENS1_38merge_sort_block_merge_config_selectorIiSB_EEEEvv.kd
    .uniform_work_group_size: 1
    .uses_dynamic_stack: false
    .vgpr_count:     0
    .vgpr_spill_count: 0
    .wavefront_size: 64
  - .agpr_count:     0
    .args:           []
    .group_segment_fixed_size: 0
    .kernarg_segment_align: 4
    .kernarg_segment_size: 0
    .language:       OpenCL C
    .language_version:
      - 2
      - 0
    .max_flat_workgroup_size: 1024
    .name:           _ZN7rocprim17ROCPRIM_400000_NS6detail44device_merge_sort_compile_time_verifier_archINS1_11comp_targetILNS1_3genE5ELNS1_11target_archE942ELNS1_3gpuE9ELNS1_3repE0EEES8_NS0_14default_configES9_NS1_37merge_sort_block_sort_config_selectorIiNS0_10empty_typeEEENS1_38merge_sort_block_merge_config_selectorIiSB_EEEEvv
    .private_segment_fixed_size: 0
    .sgpr_count:     4
    .sgpr_spill_count: 0
    .symbol:         _ZN7rocprim17ROCPRIM_400000_NS6detail44device_merge_sort_compile_time_verifier_archINS1_11comp_targetILNS1_3genE5ELNS1_11target_archE942ELNS1_3gpuE9ELNS1_3repE0EEES8_NS0_14default_configES9_NS1_37merge_sort_block_sort_config_selectorIiNS0_10empty_typeEEENS1_38merge_sort_block_merge_config_selectorIiSB_EEEEvv.kd
    .uniform_work_group_size: 1
    .uses_dynamic_stack: false
    .vgpr_count:     0
    .vgpr_spill_count: 0
    .wavefront_size: 64
  - .agpr_count:     0
    .args:           []
    .group_segment_fixed_size: 0
    .kernarg_segment_align: 4
    .kernarg_segment_size: 0
    .language:       OpenCL C
    .language_version:
      - 2
      - 0
    .max_flat_workgroup_size: 1024
    .name:           _ZN7rocprim17ROCPRIM_400000_NS6detail44device_merge_sort_compile_time_verifier_archINS1_11comp_targetILNS1_3genE4ELNS1_11target_archE910ELNS1_3gpuE8ELNS1_3repE0EEES8_NS0_14default_configES9_NS1_37merge_sort_block_sort_config_selectorIiNS0_10empty_typeEEENS1_38merge_sort_block_merge_config_selectorIiSB_EEEEvv
    .private_segment_fixed_size: 0
    .sgpr_count:     4
    .sgpr_spill_count: 0
    .symbol:         _ZN7rocprim17ROCPRIM_400000_NS6detail44device_merge_sort_compile_time_verifier_archINS1_11comp_targetILNS1_3genE4ELNS1_11target_archE910ELNS1_3gpuE8ELNS1_3repE0EEES8_NS0_14default_configES9_NS1_37merge_sort_block_sort_config_selectorIiNS0_10empty_typeEEENS1_38merge_sort_block_merge_config_selectorIiSB_EEEEvv.kd
    .uniform_work_group_size: 1
    .uses_dynamic_stack: false
    .vgpr_count:     0
    .vgpr_spill_count: 0
    .wavefront_size: 64
  - .agpr_count:     0
    .args:           []
    .group_segment_fixed_size: 0
    .kernarg_segment_align: 4
    .kernarg_segment_size: 0
    .language:       OpenCL C
    .language_version:
      - 2
      - 0
    .max_flat_workgroup_size: 1024
    .name:           _ZN7rocprim17ROCPRIM_400000_NS6detail44device_merge_sort_compile_time_verifier_archINS1_11comp_targetILNS1_3genE3ELNS1_11target_archE908ELNS1_3gpuE7ELNS1_3repE0EEES8_NS0_14default_configES9_NS1_37merge_sort_block_sort_config_selectorIiNS0_10empty_typeEEENS1_38merge_sort_block_merge_config_selectorIiSB_EEEEvv
    .private_segment_fixed_size: 0
    .sgpr_count:     4
    .sgpr_spill_count: 0
    .symbol:         _ZN7rocprim17ROCPRIM_400000_NS6detail44device_merge_sort_compile_time_verifier_archINS1_11comp_targetILNS1_3genE3ELNS1_11target_archE908ELNS1_3gpuE7ELNS1_3repE0EEES8_NS0_14default_configES9_NS1_37merge_sort_block_sort_config_selectorIiNS0_10empty_typeEEENS1_38merge_sort_block_merge_config_selectorIiSB_EEEEvv.kd
    .uniform_work_group_size: 1
    .uses_dynamic_stack: false
    .vgpr_count:     0
    .vgpr_spill_count: 0
    .wavefront_size: 64
  - .agpr_count:     0
    .args:           []
    .group_segment_fixed_size: 0
    .kernarg_segment_align: 4
    .kernarg_segment_size: 0
    .language:       OpenCL C
    .language_version:
      - 2
      - 0
    .max_flat_workgroup_size: 1024
    .name:           _ZN7rocprim17ROCPRIM_400000_NS6detail44device_merge_sort_compile_time_verifier_archINS1_11comp_targetILNS1_3genE2ELNS1_11target_archE906ELNS1_3gpuE6ELNS1_3repE0EEES8_NS0_14default_configES9_NS1_37merge_sort_block_sort_config_selectorIiNS0_10empty_typeEEENS1_38merge_sort_block_merge_config_selectorIiSB_EEEEvv
    .private_segment_fixed_size: 0
    .sgpr_count:     4
    .sgpr_spill_count: 0
    .symbol:         _ZN7rocprim17ROCPRIM_400000_NS6detail44device_merge_sort_compile_time_verifier_archINS1_11comp_targetILNS1_3genE2ELNS1_11target_archE906ELNS1_3gpuE6ELNS1_3repE0EEES8_NS0_14default_configES9_NS1_37merge_sort_block_sort_config_selectorIiNS0_10empty_typeEEENS1_38merge_sort_block_merge_config_selectorIiSB_EEEEvv.kd
    .uniform_work_group_size: 1
    .uses_dynamic_stack: false
    .vgpr_count:     0
    .vgpr_spill_count: 0
    .wavefront_size: 64
  - .agpr_count:     0
    .args:           []
    .group_segment_fixed_size: 0
    .kernarg_segment_align: 4
    .kernarg_segment_size: 0
    .language:       OpenCL C
    .language_version:
      - 2
      - 0
    .max_flat_workgroup_size: 1024
    .name:           _ZN7rocprim17ROCPRIM_400000_NS6detail44device_merge_sort_compile_time_verifier_archINS1_11comp_targetILNS1_3genE10ELNS1_11target_archE1201ELNS1_3gpuE5ELNS1_3repE0EEES8_NS0_14default_configES9_NS1_37merge_sort_block_sort_config_selectorIiNS0_10empty_typeEEENS1_38merge_sort_block_merge_config_selectorIiSB_EEEEvv
    .private_segment_fixed_size: 0
    .sgpr_count:     4
    .sgpr_spill_count: 0
    .symbol:         _ZN7rocprim17ROCPRIM_400000_NS6detail44device_merge_sort_compile_time_verifier_archINS1_11comp_targetILNS1_3genE10ELNS1_11target_archE1201ELNS1_3gpuE5ELNS1_3repE0EEES8_NS0_14default_configES9_NS1_37merge_sort_block_sort_config_selectorIiNS0_10empty_typeEEENS1_38merge_sort_block_merge_config_selectorIiSB_EEEEvv.kd
    .uniform_work_group_size: 1
    .uses_dynamic_stack: false
    .vgpr_count:     0
    .vgpr_spill_count: 0
    .wavefront_size: 64
  - .agpr_count:     0
    .args:           []
    .group_segment_fixed_size: 0
    .kernarg_segment_align: 4
    .kernarg_segment_size: 0
    .language:       OpenCL C
    .language_version:
      - 2
      - 0
    .max_flat_workgroup_size: 1024
    .name:           _ZN7rocprim17ROCPRIM_400000_NS6detail44device_merge_sort_compile_time_verifier_archINS1_11comp_targetILNS1_3genE10ELNS1_11target_archE1200ELNS1_3gpuE4ELNS1_3repE0EEENS3_ILS4_10ELS5_1201ELS6_5ELS7_0EEENS0_14default_configESA_NS1_37merge_sort_block_sort_config_selectorIiNS0_10empty_typeEEENS1_38merge_sort_block_merge_config_selectorIiSC_EEEEvv
    .private_segment_fixed_size: 0
    .sgpr_count:     4
    .sgpr_spill_count: 0
    .symbol:         _ZN7rocprim17ROCPRIM_400000_NS6detail44device_merge_sort_compile_time_verifier_archINS1_11comp_targetILNS1_3genE10ELNS1_11target_archE1200ELNS1_3gpuE4ELNS1_3repE0EEENS3_ILS4_10ELS5_1201ELS6_5ELS7_0EEENS0_14default_configESA_NS1_37merge_sort_block_sort_config_selectorIiNS0_10empty_typeEEENS1_38merge_sort_block_merge_config_selectorIiSC_EEEEvv.kd
    .uniform_work_group_size: 1
    .uses_dynamic_stack: false
    .vgpr_count:     0
    .vgpr_spill_count: 0
    .wavefront_size: 64
  - .agpr_count:     0
    .args:           []
    .group_segment_fixed_size: 0
    .kernarg_segment_align: 4
    .kernarg_segment_size: 0
    .language:       OpenCL C
    .language_version:
      - 2
      - 0
    .max_flat_workgroup_size: 1024
    .name:           _ZN7rocprim17ROCPRIM_400000_NS6detail44device_merge_sort_compile_time_verifier_archINS1_11comp_targetILNS1_3genE9ELNS1_11target_archE1100ELNS1_3gpuE3ELNS1_3repE0EEES8_NS0_14default_configES9_NS1_37merge_sort_block_sort_config_selectorIiNS0_10empty_typeEEENS1_38merge_sort_block_merge_config_selectorIiSB_EEEEvv
    .private_segment_fixed_size: 0
    .sgpr_count:     4
    .sgpr_spill_count: 0
    .symbol:         _ZN7rocprim17ROCPRIM_400000_NS6detail44device_merge_sort_compile_time_verifier_archINS1_11comp_targetILNS1_3genE9ELNS1_11target_archE1100ELNS1_3gpuE3ELNS1_3repE0EEES8_NS0_14default_configES9_NS1_37merge_sort_block_sort_config_selectorIiNS0_10empty_typeEEENS1_38merge_sort_block_merge_config_selectorIiSB_EEEEvv.kd
    .uniform_work_group_size: 1
    .uses_dynamic_stack: false
    .vgpr_count:     0
    .vgpr_spill_count: 0
    .wavefront_size: 64
  - .agpr_count:     0
    .args:           []
    .group_segment_fixed_size: 0
    .kernarg_segment_align: 4
    .kernarg_segment_size: 0
    .language:       OpenCL C
    .language_version:
      - 2
      - 0
    .max_flat_workgroup_size: 1024
    .name:           _ZN7rocprim17ROCPRIM_400000_NS6detail44device_merge_sort_compile_time_verifier_archINS1_11comp_targetILNS1_3genE8ELNS1_11target_archE1030ELNS1_3gpuE2ELNS1_3repE0EEES8_NS0_14default_configES9_NS1_37merge_sort_block_sort_config_selectorIiNS0_10empty_typeEEENS1_38merge_sort_block_merge_config_selectorIiSB_EEEEvv
    .private_segment_fixed_size: 0
    .sgpr_count:     4
    .sgpr_spill_count: 0
    .symbol:         _ZN7rocprim17ROCPRIM_400000_NS6detail44device_merge_sort_compile_time_verifier_archINS1_11comp_targetILNS1_3genE8ELNS1_11target_archE1030ELNS1_3gpuE2ELNS1_3repE0EEES8_NS0_14default_configES9_NS1_37merge_sort_block_sort_config_selectorIiNS0_10empty_typeEEENS1_38merge_sort_block_merge_config_selectorIiSB_EEEEvv.kd
    .uniform_work_group_size: 1
    .uses_dynamic_stack: false
    .vgpr_count:     0
    .vgpr_spill_count: 0
    .wavefront_size: 64
  - .agpr_count:     0
    .args:
      - .offset:         0
        .size:           64
        .value_kind:     by_value
    .group_segment_fixed_size: 0
    .kernarg_segment_align: 8
    .kernarg_segment_size: 64
    .language:       OpenCL C
    .language_version:
      - 2
      - 0
    .max_flat_workgroup_size: 256
    .name:           _ZN7rocprim17ROCPRIM_400000_NS6detail17trampoline_kernelINS0_14default_configENS1_37merge_sort_block_sort_config_selectorIiNS0_10empty_typeEEEZNS1_21merge_sort_block_sortIS3_N6thrust23THRUST_200600_302600_NS6detail15normal_iteratorINS9_10device_ptrIiEEEESE_PS5_SF_14custom_greaterIiEEE10hipError_tT0_T1_T2_T3_mRjT4_P12ihipStream_tbNS1_7vsmem_tEEUlT_E_NS1_11comp_targetILNS1_3genE0ELNS1_11target_archE4294967295ELNS1_3gpuE0ELNS1_3repE0EEENS1_30default_config_static_selectorELNS0_4arch9wavefront6targetE1EEEvSK_
    .private_segment_fixed_size: 0
    .sgpr_count:     4
    .sgpr_spill_count: 0
    .symbol:         _ZN7rocprim17ROCPRIM_400000_NS6detail17trampoline_kernelINS0_14default_configENS1_37merge_sort_block_sort_config_selectorIiNS0_10empty_typeEEEZNS1_21merge_sort_block_sortIS3_N6thrust23THRUST_200600_302600_NS6detail15normal_iteratorINS9_10device_ptrIiEEEESE_PS5_SF_14custom_greaterIiEEE10hipError_tT0_T1_T2_T3_mRjT4_P12ihipStream_tbNS1_7vsmem_tEEUlT_E_NS1_11comp_targetILNS1_3genE0ELNS1_11target_archE4294967295ELNS1_3gpuE0ELNS1_3repE0EEENS1_30default_config_static_selectorELNS0_4arch9wavefront6targetE1EEEvSK_.kd
    .uniform_work_group_size: 1
    .uses_dynamic_stack: false
    .vgpr_count:     0
    .vgpr_spill_count: 0
    .wavefront_size: 64
  - .agpr_count:     0
    .args:
      - .offset:         0
        .size:           64
        .value_kind:     by_value
    .group_segment_fixed_size: 0
    .kernarg_segment_align: 8
    .kernarg_segment_size: 64
    .language:       OpenCL C
    .language_version:
      - 2
      - 0
    .max_flat_workgroup_size: 256
    .name:           _ZN7rocprim17ROCPRIM_400000_NS6detail17trampoline_kernelINS0_14default_configENS1_37merge_sort_block_sort_config_selectorIiNS0_10empty_typeEEEZNS1_21merge_sort_block_sortIS3_N6thrust23THRUST_200600_302600_NS6detail15normal_iteratorINS9_10device_ptrIiEEEESE_PS5_SF_14custom_greaterIiEEE10hipError_tT0_T1_T2_T3_mRjT4_P12ihipStream_tbNS1_7vsmem_tEEUlT_E_NS1_11comp_targetILNS1_3genE5ELNS1_11target_archE942ELNS1_3gpuE9ELNS1_3repE0EEENS1_30default_config_static_selectorELNS0_4arch9wavefront6targetE1EEEvSK_
    .private_segment_fixed_size: 0
    .sgpr_count:     4
    .sgpr_spill_count: 0
    .symbol:         _ZN7rocprim17ROCPRIM_400000_NS6detail17trampoline_kernelINS0_14default_configENS1_37merge_sort_block_sort_config_selectorIiNS0_10empty_typeEEEZNS1_21merge_sort_block_sortIS3_N6thrust23THRUST_200600_302600_NS6detail15normal_iteratorINS9_10device_ptrIiEEEESE_PS5_SF_14custom_greaterIiEEE10hipError_tT0_T1_T2_T3_mRjT4_P12ihipStream_tbNS1_7vsmem_tEEUlT_E_NS1_11comp_targetILNS1_3genE5ELNS1_11target_archE942ELNS1_3gpuE9ELNS1_3repE0EEENS1_30default_config_static_selectorELNS0_4arch9wavefront6targetE1EEEvSK_.kd
    .uniform_work_group_size: 1
    .uses_dynamic_stack: false
    .vgpr_count:     0
    .vgpr_spill_count: 0
    .wavefront_size: 64
  - .agpr_count:     0
    .args:
      - .offset:         0
        .size:           64
        .value_kind:     by_value
      - .offset:         64
        .size:           4
        .value_kind:     hidden_block_count_x
      - .offset:         68
        .size:           4
        .value_kind:     hidden_block_count_y
      - .offset:         72
        .size:           4
        .value_kind:     hidden_block_count_z
      - .offset:         76
        .size:           2
        .value_kind:     hidden_group_size_x
      - .offset:         78
        .size:           2
        .value_kind:     hidden_group_size_y
      - .offset:         80
        .size:           2
        .value_kind:     hidden_group_size_z
      - .offset:         82
        .size:           2
        .value_kind:     hidden_remainder_x
      - .offset:         84
        .size:           2
        .value_kind:     hidden_remainder_y
      - .offset:         86
        .size:           2
        .value_kind:     hidden_remainder_z
      - .offset:         104
        .size:           8
        .value_kind:     hidden_global_offset_x
      - .offset:         112
        .size:           8
        .value_kind:     hidden_global_offset_y
      - .offset:         120
        .size:           8
        .value_kind:     hidden_global_offset_z
      - .offset:         128
        .size:           2
        .value_kind:     hidden_grid_dims
    .group_segment_fixed_size: 8448
    .kernarg_segment_align: 8
    .kernarg_segment_size: 320
    .language:       OpenCL C
    .language_version:
      - 2
      - 0
    .max_flat_workgroup_size: 256
    .name:           _ZN7rocprim17ROCPRIM_400000_NS6detail17trampoline_kernelINS0_14default_configENS1_37merge_sort_block_sort_config_selectorIiNS0_10empty_typeEEEZNS1_21merge_sort_block_sortIS3_N6thrust23THRUST_200600_302600_NS6detail15normal_iteratorINS9_10device_ptrIiEEEESE_PS5_SF_14custom_greaterIiEEE10hipError_tT0_T1_T2_T3_mRjT4_P12ihipStream_tbNS1_7vsmem_tEEUlT_E_NS1_11comp_targetILNS1_3genE4ELNS1_11target_archE910ELNS1_3gpuE8ELNS1_3repE0EEENS1_30default_config_static_selectorELNS0_4arch9wavefront6targetE1EEEvSK_
    .private_segment_fixed_size: 0
    .sgpr_count:     44
    .sgpr_spill_count: 0
    .symbol:         _ZN7rocprim17ROCPRIM_400000_NS6detail17trampoline_kernelINS0_14default_configENS1_37merge_sort_block_sort_config_selectorIiNS0_10empty_typeEEEZNS1_21merge_sort_block_sortIS3_N6thrust23THRUST_200600_302600_NS6detail15normal_iteratorINS9_10device_ptrIiEEEESE_PS5_SF_14custom_greaterIiEEE10hipError_tT0_T1_T2_T3_mRjT4_P12ihipStream_tbNS1_7vsmem_tEEUlT_E_NS1_11comp_targetILNS1_3genE4ELNS1_11target_archE910ELNS1_3gpuE8ELNS1_3repE0EEENS1_30default_config_static_selectorELNS0_4arch9wavefront6targetE1EEEvSK_.kd
    .uniform_work_group_size: 1
    .uses_dynamic_stack: false
    .vgpr_count:     41
    .vgpr_spill_count: 0
    .wavefront_size: 64
  - .agpr_count:     0
    .args:
      - .offset:         0
        .size:           64
        .value_kind:     by_value
    .group_segment_fixed_size: 0
    .kernarg_segment_align: 8
    .kernarg_segment_size: 64
    .language:       OpenCL C
    .language_version:
      - 2
      - 0
    .max_flat_workgroup_size: 256
    .name:           _ZN7rocprim17ROCPRIM_400000_NS6detail17trampoline_kernelINS0_14default_configENS1_37merge_sort_block_sort_config_selectorIiNS0_10empty_typeEEEZNS1_21merge_sort_block_sortIS3_N6thrust23THRUST_200600_302600_NS6detail15normal_iteratorINS9_10device_ptrIiEEEESE_PS5_SF_14custom_greaterIiEEE10hipError_tT0_T1_T2_T3_mRjT4_P12ihipStream_tbNS1_7vsmem_tEEUlT_E_NS1_11comp_targetILNS1_3genE3ELNS1_11target_archE908ELNS1_3gpuE7ELNS1_3repE0EEENS1_30default_config_static_selectorELNS0_4arch9wavefront6targetE1EEEvSK_
    .private_segment_fixed_size: 0
    .sgpr_count:     4
    .sgpr_spill_count: 0
    .symbol:         _ZN7rocprim17ROCPRIM_400000_NS6detail17trampoline_kernelINS0_14default_configENS1_37merge_sort_block_sort_config_selectorIiNS0_10empty_typeEEEZNS1_21merge_sort_block_sortIS3_N6thrust23THRUST_200600_302600_NS6detail15normal_iteratorINS9_10device_ptrIiEEEESE_PS5_SF_14custom_greaterIiEEE10hipError_tT0_T1_T2_T3_mRjT4_P12ihipStream_tbNS1_7vsmem_tEEUlT_E_NS1_11comp_targetILNS1_3genE3ELNS1_11target_archE908ELNS1_3gpuE7ELNS1_3repE0EEENS1_30default_config_static_selectorELNS0_4arch9wavefront6targetE1EEEvSK_.kd
    .uniform_work_group_size: 1
    .uses_dynamic_stack: false
    .vgpr_count:     0
    .vgpr_spill_count: 0
    .wavefront_size: 64
  - .agpr_count:     0
    .args:
      - .offset:         0
        .size:           64
        .value_kind:     by_value
    .group_segment_fixed_size: 0
    .kernarg_segment_align: 8
    .kernarg_segment_size: 64
    .language:       OpenCL C
    .language_version:
      - 2
      - 0
    .max_flat_workgroup_size: 256
    .name:           _ZN7rocprim17ROCPRIM_400000_NS6detail17trampoline_kernelINS0_14default_configENS1_37merge_sort_block_sort_config_selectorIiNS0_10empty_typeEEEZNS1_21merge_sort_block_sortIS3_N6thrust23THRUST_200600_302600_NS6detail15normal_iteratorINS9_10device_ptrIiEEEESE_PS5_SF_14custom_greaterIiEEE10hipError_tT0_T1_T2_T3_mRjT4_P12ihipStream_tbNS1_7vsmem_tEEUlT_E_NS1_11comp_targetILNS1_3genE2ELNS1_11target_archE906ELNS1_3gpuE6ELNS1_3repE0EEENS1_30default_config_static_selectorELNS0_4arch9wavefront6targetE1EEEvSK_
    .private_segment_fixed_size: 0
    .sgpr_count:     4
    .sgpr_spill_count: 0
    .symbol:         _ZN7rocprim17ROCPRIM_400000_NS6detail17trampoline_kernelINS0_14default_configENS1_37merge_sort_block_sort_config_selectorIiNS0_10empty_typeEEEZNS1_21merge_sort_block_sortIS3_N6thrust23THRUST_200600_302600_NS6detail15normal_iteratorINS9_10device_ptrIiEEEESE_PS5_SF_14custom_greaterIiEEE10hipError_tT0_T1_T2_T3_mRjT4_P12ihipStream_tbNS1_7vsmem_tEEUlT_E_NS1_11comp_targetILNS1_3genE2ELNS1_11target_archE906ELNS1_3gpuE6ELNS1_3repE0EEENS1_30default_config_static_selectorELNS0_4arch9wavefront6targetE1EEEvSK_.kd
    .uniform_work_group_size: 1
    .uses_dynamic_stack: false
    .vgpr_count:     0
    .vgpr_spill_count: 0
    .wavefront_size: 64
  - .agpr_count:     0
    .args:
      - .offset:         0
        .size:           64
        .value_kind:     by_value
    .group_segment_fixed_size: 0
    .kernarg_segment_align: 8
    .kernarg_segment_size: 64
    .language:       OpenCL C
    .language_version:
      - 2
      - 0
    .max_flat_workgroup_size: 256
    .name:           _ZN7rocprim17ROCPRIM_400000_NS6detail17trampoline_kernelINS0_14default_configENS1_37merge_sort_block_sort_config_selectorIiNS0_10empty_typeEEEZNS1_21merge_sort_block_sortIS3_N6thrust23THRUST_200600_302600_NS6detail15normal_iteratorINS9_10device_ptrIiEEEESE_PS5_SF_14custom_greaterIiEEE10hipError_tT0_T1_T2_T3_mRjT4_P12ihipStream_tbNS1_7vsmem_tEEUlT_E_NS1_11comp_targetILNS1_3genE10ELNS1_11target_archE1201ELNS1_3gpuE5ELNS1_3repE0EEENS1_30default_config_static_selectorELNS0_4arch9wavefront6targetE1EEEvSK_
    .private_segment_fixed_size: 0
    .sgpr_count:     4
    .sgpr_spill_count: 0
    .symbol:         _ZN7rocprim17ROCPRIM_400000_NS6detail17trampoline_kernelINS0_14default_configENS1_37merge_sort_block_sort_config_selectorIiNS0_10empty_typeEEEZNS1_21merge_sort_block_sortIS3_N6thrust23THRUST_200600_302600_NS6detail15normal_iteratorINS9_10device_ptrIiEEEESE_PS5_SF_14custom_greaterIiEEE10hipError_tT0_T1_T2_T3_mRjT4_P12ihipStream_tbNS1_7vsmem_tEEUlT_E_NS1_11comp_targetILNS1_3genE10ELNS1_11target_archE1201ELNS1_3gpuE5ELNS1_3repE0EEENS1_30default_config_static_selectorELNS0_4arch9wavefront6targetE1EEEvSK_.kd
    .uniform_work_group_size: 1
    .uses_dynamic_stack: false
    .vgpr_count:     0
    .vgpr_spill_count: 0
    .wavefront_size: 64
  - .agpr_count:     0
    .args:
      - .offset:         0
        .size:           64
        .value_kind:     by_value
    .group_segment_fixed_size: 0
    .kernarg_segment_align: 8
    .kernarg_segment_size: 64
    .language:       OpenCL C
    .language_version:
      - 2
      - 0
    .max_flat_workgroup_size: 256
    .name:           _ZN7rocprim17ROCPRIM_400000_NS6detail17trampoline_kernelINS0_14default_configENS1_37merge_sort_block_sort_config_selectorIiNS0_10empty_typeEEEZNS1_21merge_sort_block_sortIS3_N6thrust23THRUST_200600_302600_NS6detail15normal_iteratorINS9_10device_ptrIiEEEESE_PS5_SF_14custom_greaterIiEEE10hipError_tT0_T1_T2_T3_mRjT4_P12ihipStream_tbNS1_7vsmem_tEEUlT_E_NS1_11comp_targetILNS1_3genE10ELNS1_11target_archE1200ELNS1_3gpuE4ELNS1_3repE0EEENS1_30default_config_static_selectorELNS0_4arch9wavefront6targetE1EEEvSK_
    .private_segment_fixed_size: 0
    .sgpr_count:     4
    .sgpr_spill_count: 0
    .symbol:         _ZN7rocprim17ROCPRIM_400000_NS6detail17trampoline_kernelINS0_14default_configENS1_37merge_sort_block_sort_config_selectorIiNS0_10empty_typeEEEZNS1_21merge_sort_block_sortIS3_N6thrust23THRUST_200600_302600_NS6detail15normal_iteratorINS9_10device_ptrIiEEEESE_PS5_SF_14custom_greaterIiEEE10hipError_tT0_T1_T2_T3_mRjT4_P12ihipStream_tbNS1_7vsmem_tEEUlT_E_NS1_11comp_targetILNS1_3genE10ELNS1_11target_archE1200ELNS1_3gpuE4ELNS1_3repE0EEENS1_30default_config_static_selectorELNS0_4arch9wavefront6targetE1EEEvSK_.kd
    .uniform_work_group_size: 1
    .uses_dynamic_stack: false
    .vgpr_count:     0
    .vgpr_spill_count: 0
    .wavefront_size: 64
  - .agpr_count:     0
    .args:
      - .offset:         0
        .size:           64
        .value_kind:     by_value
    .group_segment_fixed_size: 0
    .kernarg_segment_align: 8
    .kernarg_segment_size: 64
    .language:       OpenCL C
    .language_version:
      - 2
      - 0
    .max_flat_workgroup_size: 256
    .name:           _ZN7rocprim17ROCPRIM_400000_NS6detail17trampoline_kernelINS0_14default_configENS1_37merge_sort_block_sort_config_selectorIiNS0_10empty_typeEEEZNS1_21merge_sort_block_sortIS3_N6thrust23THRUST_200600_302600_NS6detail15normal_iteratorINS9_10device_ptrIiEEEESE_PS5_SF_14custom_greaterIiEEE10hipError_tT0_T1_T2_T3_mRjT4_P12ihipStream_tbNS1_7vsmem_tEEUlT_E_NS1_11comp_targetILNS1_3genE9ELNS1_11target_archE1100ELNS1_3gpuE3ELNS1_3repE0EEENS1_30default_config_static_selectorELNS0_4arch9wavefront6targetE1EEEvSK_
    .private_segment_fixed_size: 0
    .sgpr_count:     4
    .sgpr_spill_count: 0
    .symbol:         _ZN7rocprim17ROCPRIM_400000_NS6detail17trampoline_kernelINS0_14default_configENS1_37merge_sort_block_sort_config_selectorIiNS0_10empty_typeEEEZNS1_21merge_sort_block_sortIS3_N6thrust23THRUST_200600_302600_NS6detail15normal_iteratorINS9_10device_ptrIiEEEESE_PS5_SF_14custom_greaterIiEEE10hipError_tT0_T1_T2_T3_mRjT4_P12ihipStream_tbNS1_7vsmem_tEEUlT_E_NS1_11comp_targetILNS1_3genE9ELNS1_11target_archE1100ELNS1_3gpuE3ELNS1_3repE0EEENS1_30default_config_static_selectorELNS0_4arch9wavefront6targetE1EEEvSK_.kd
    .uniform_work_group_size: 1
    .uses_dynamic_stack: false
    .vgpr_count:     0
    .vgpr_spill_count: 0
    .wavefront_size: 64
  - .agpr_count:     0
    .args:
      - .offset:         0
        .size:           64
        .value_kind:     by_value
    .group_segment_fixed_size: 0
    .kernarg_segment_align: 8
    .kernarg_segment_size: 64
    .language:       OpenCL C
    .language_version:
      - 2
      - 0
    .max_flat_workgroup_size: 256
    .name:           _ZN7rocprim17ROCPRIM_400000_NS6detail17trampoline_kernelINS0_14default_configENS1_37merge_sort_block_sort_config_selectorIiNS0_10empty_typeEEEZNS1_21merge_sort_block_sortIS3_N6thrust23THRUST_200600_302600_NS6detail15normal_iteratorINS9_10device_ptrIiEEEESE_PS5_SF_14custom_greaterIiEEE10hipError_tT0_T1_T2_T3_mRjT4_P12ihipStream_tbNS1_7vsmem_tEEUlT_E_NS1_11comp_targetILNS1_3genE8ELNS1_11target_archE1030ELNS1_3gpuE2ELNS1_3repE0EEENS1_30default_config_static_selectorELNS0_4arch9wavefront6targetE1EEEvSK_
    .private_segment_fixed_size: 0
    .sgpr_count:     4
    .sgpr_spill_count: 0
    .symbol:         _ZN7rocprim17ROCPRIM_400000_NS6detail17trampoline_kernelINS0_14default_configENS1_37merge_sort_block_sort_config_selectorIiNS0_10empty_typeEEEZNS1_21merge_sort_block_sortIS3_N6thrust23THRUST_200600_302600_NS6detail15normal_iteratorINS9_10device_ptrIiEEEESE_PS5_SF_14custom_greaterIiEEE10hipError_tT0_T1_T2_T3_mRjT4_P12ihipStream_tbNS1_7vsmem_tEEUlT_E_NS1_11comp_targetILNS1_3genE8ELNS1_11target_archE1030ELNS1_3gpuE2ELNS1_3repE0EEENS1_30default_config_static_selectorELNS0_4arch9wavefront6targetE1EEEvSK_.kd
    .uniform_work_group_size: 1
    .uses_dynamic_stack: false
    .vgpr_count:     0
    .vgpr_spill_count: 0
    .wavefront_size: 64
  - .agpr_count:     0
    .args:
      - .offset:         0
        .size:           48
        .value_kind:     by_value
    .group_segment_fixed_size: 0
    .kernarg_segment_align: 8
    .kernarg_segment_size: 48
    .language:       OpenCL C
    .language_version:
      - 2
      - 0
    .max_flat_workgroup_size: 128
    .name:           _ZN7rocprim17ROCPRIM_400000_NS6detail17trampoline_kernelINS0_14default_configENS1_38merge_sort_block_merge_config_selectorIiNS0_10empty_typeEEEZZNS1_27merge_sort_block_merge_implIS3_N6thrust23THRUST_200600_302600_NS6detail15normal_iteratorINS9_10device_ptrIiEEEEPS5_m14custom_greaterIiEEE10hipError_tT0_T1_T2_jT3_P12ihipStream_tbPNSt15iterator_traitsISJ_E10value_typeEPNSP_ISK_E10value_typeEPSL_NS1_7vsmem_tEENKUlT_SJ_SK_SL_E_clIPiSE_SF_SF_EESI_SY_SJ_SK_SL_EUlSY_E_NS1_11comp_targetILNS1_3genE0ELNS1_11target_archE4294967295ELNS1_3gpuE0ELNS1_3repE0EEENS1_48merge_mergepath_partition_config_static_selectorELNS0_4arch9wavefront6targetE1EEEvSK_
    .private_segment_fixed_size: 0
    .sgpr_count:     4
    .sgpr_spill_count: 0
    .symbol:         _ZN7rocprim17ROCPRIM_400000_NS6detail17trampoline_kernelINS0_14default_configENS1_38merge_sort_block_merge_config_selectorIiNS0_10empty_typeEEEZZNS1_27merge_sort_block_merge_implIS3_N6thrust23THRUST_200600_302600_NS6detail15normal_iteratorINS9_10device_ptrIiEEEEPS5_m14custom_greaterIiEEE10hipError_tT0_T1_T2_jT3_P12ihipStream_tbPNSt15iterator_traitsISJ_E10value_typeEPNSP_ISK_E10value_typeEPSL_NS1_7vsmem_tEENKUlT_SJ_SK_SL_E_clIPiSE_SF_SF_EESI_SY_SJ_SK_SL_EUlSY_E_NS1_11comp_targetILNS1_3genE0ELNS1_11target_archE4294967295ELNS1_3gpuE0ELNS1_3repE0EEENS1_48merge_mergepath_partition_config_static_selectorELNS0_4arch9wavefront6targetE1EEEvSK_.kd
    .uniform_work_group_size: 1
    .uses_dynamic_stack: false
    .vgpr_count:     0
    .vgpr_spill_count: 0
    .wavefront_size: 64
  - .agpr_count:     0
    .args:
      - .offset:         0
        .size:           48
        .value_kind:     by_value
    .group_segment_fixed_size: 0
    .kernarg_segment_align: 8
    .kernarg_segment_size: 48
    .language:       OpenCL C
    .language_version:
      - 2
      - 0
    .max_flat_workgroup_size: 128
    .name:           _ZN7rocprim17ROCPRIM_400000_NS6detail17trampoline_kernelINS0_14default_configENS1_38merge_sort_block_merge_config_selectorIiNS0_10empty_typeEEEZZNS1_27merge_sort_block_merge_implIS3_N6thrust23THRUST_200600_302600_NS6detail15normal_iteratorINS9_10device_ptrIiEEEEPS5_m14custom_greaterIiEEE10hipError_tT0_T1_T2_jT3_P12ihipStream_tbPNSt15iterator_traitsISJ_E10value_typeEPNSP_ISK_E10value_typeEPSL_NS1_7vsmem_tEENKUlT_SJ_SK_SL_E_clIPiSE_SF_SF_EESI_SY_SJ_SK_SL_EUlSY_E_NS1_11comp_targetILNS1_3genE10ELNS1_11target_archE1201ELNS1_3gpuE5ELNS1_3repE0EEENS1_48merge_mergepath_partition_config_static_selectorELNS0_4arch9wavefront6targetE1EEEvSK_
    .private_segment_fixed_size: 0
    .sgpr_count:     4
    .sgpr_spill_count: 0
    .symbol:         _ZN7rocprim17ROCPRIM_400000_NS6detail17trampoline_kernelINS0_14default_configENS1_38merge_sort_block_merge_config_selectorIiNS0_10empty_typeEEEZZNS1_27merge_sort_block_merge_implIS3_N6thrust23THRUST_200600_302600_NS6detail15normal_iteratorINS9_10device_ptrIiEEEEPS5_m14custom_greaterIiEEE10hipError_tT0_T1_T2_jT3_P12ihipStream_tbPNSt15iterator_traitsISJ_E10value_typeEPNSP_ISK_E10value_typeEPSL_NS1_7vsmem_tEENKUlT_SJ_SK_SL_E_clIPiSE_SF_SF_EESI_SY_SJ_SK_SL_EUlSY_E_NS1_11comp_targetILNS1_3genE10ELNS1_11target_archE1201ELNS1_3gpuE5ELNS1_3repE0EEENS1_48merge_mergepath_partition_config_static_selectorELNS0_4arch9wavefront6targetE1EEEvSK_.kd
    .uniform_work_group_size: 1
    .uses_dynamic_stack: false
    .vgpr_count:     0
    .vgpr_spill_count: 0
    .wavefront_size: 64
  - .agpr_count:     0
    .args:
      - .offset:         0
        .size:           48
        .value_kind:     by_value
    .group_segment_fixed_size: 0
    .kernarg_segment_align: 8
    .kernarg_segment_size: 48
    .language:       OpenCL C
    .language_version:
      - 2
      - 0
    .max_flat_workgroup_size: 128
    .name:           _ZN7rocprim17ROCPRIM_400000_NS6detail17trampoline_kernelINS0_14default_configENS1_38merge_sort_block_merge_config_selectorIiNS0_10empty_typeEEEZZNS1_27merge_sort_block_merge_implIS3_N6thrust23THRUST_200600_302600_NS6detail15normal_iteratorINS9_10device_ptrIiEEEEPS5_m14custom_greaterIiEEE10hipError_tT0_T1_T2_jT3_P12ihipStream_tbPNSt15iterator_traitsISJ_E10value_typeEPNSP_ISK_E10value_typeEPSL_NS1_7vsmem_tEENKUlT_SJ_SK_SL_E_clIPiSE_SF_SF_EESI_SY_SJ_SK_SL_EUlSY_E_NS1_11comp_targetILNS1_3genE5ELNS1_11target_archE942ELNS1_3gpuE9ELNS1_3repE0EEENS1_48merge_mergepath_partition_config_static_selectorELNS0_4arch9wavefront6targetE1EEEvSK_
    .private_segment_fixed_size: 0
    .sgpr_count:     4
    .sgpr_spill_count: 0
    .symbol:         _ZN7rocprim17ROCPRIM_400000_NS6detail17trampoline_kernelINS0_14default_configENS1_38merge_sort_block_merge_config_selectorIiNS0_10empty_typeEEEZZNS1_27merge_sort_block_merge_implIS3_N6thrust23THRUST_200600_302600_NS6detail15normal_iteratorINS9_10device_ptrIiEEEEPS5_m14custom_greaterIiEEE10hipError_tT0_T1_T2_jT3_P12ihipStream_tbPNSt15iterator_traitsISJ_E10value_typeEPNSP_ISK_E10value_typeEPSL_NS1_7vsmem_tEENKUlT_SJ_SK_SL_E_clIPiSE_SF_SF_EESI_SY_SJ_SK_SL_EUlSY_E_NS1_11comp_targetILNS1_3genE5ELNS1_11target_archE942ELNS1_3gpuE9ELNS1_3repE0EEENS1_48merge_mergepath_partition_config_static_selectorELNS0_4arch9wavefront6targetE1EEEvSK_.kd
    .uniform_work_group_size: 1
    .uses_dynamic_stack: false
    .vgpr_count:     0
    .vgpr_spill_count: 0
    .wavefront_size: 64
  - .agpr_count:     0
    .args:
      - .offset:         0
        .size:           48
        .value_kind:     by_value
    .group_segment_fixed_size: 0
    .kernarg_segment_align: 8
    .kernarg_segment_size: 48
    .language:       OpenCL C
    .language_version:
      - 2
      - 0
    .max_flat_workgroup_size: 128
    .name:           _ZN7rocprim17ROCPRIM_400000_NS6detail17trampoline_kernelINS0_14default_configENS1_38merge_sort_block_merge_config_selectorIiNS0_10empty_typeEEEZZNS1_27merge_sort_block_merge_implIS3_N6thrust23THRUST_200600_302600_NS6detail15normal_iteratorINS9_10device_ptrIiEEEEPS5_m14custom_greaterIiEEE10hipError_tT0_T1_T2_jT3_P12ihipStream_tbPNSt15iterator_traitsISJ_E10value_typeEPNSP_ISK_E10value_typeEPSL_NS1_7vsmem_tEENKUlT_SJ_SK_SL_E_clIPiSE_SF_SF_EESI_SY_SJ_SK_SL_EUlSY_E_NS1_11comp_targetILNS1_3genE4ELNS1_11target_archE910ELNS1_3gpuE8ELNS1_3repE0EEENS1_48merge_mergepath_partition_config_static_selectorELNS0_4arch9wavefront6targetE1EEEvSK_
    .private_segment_fixed_size: 0
    .sgpr_count:     12
    .sgpr_spill_count: 0
    .symbol:         _ZN7rocprim17ROCPRIM_400000_NS6detail17trampoline_kernelINS0_14default_configENS1_38merge_sort_block_merge_config_selectorIiNS0_10empty_typeEEEZZNS1_27merge_sort_block_merge_implIS3_N6thrust23THRUST_200600_302600_NS6detail15normal_iteratorINS9_10device_ptrIiEEEEPS5_m14custom_greaterIiEEE10hipError_tT0_T1_T2_jT3_P12ihipStream_tbPNSt15iterator_traitsISJ_E10value_typeEPNSP_ISK_E10value_typeEPSL_NS1_7vsmem_tEENKUlT_SJ_SK_SL_E_clIPiSE_SF_SF_EESI_SY_SJ_SK_SL_EUlSY_E_NS1_11comp_targetILNS1_3genE4ELNS1_11target_archE910ELNS1_3gpuE8ELNS1_3repE0EEENS1_48merge_mergepath_partition_config_static_selectorELNS0_4arch9wavefront6targetE1EEEvSK_.kd
    .uniform_work_group_size: 1
    .uses_dynamic_stack: false
    .vgpr_count:     19
    .vgpr_spill_count: 0
    .wavefront_size: 64
  - .agpr_count:     0
    .args:
      - .offset:         0
        .size:           48
        .value_kind:     by_value
    .group_segment_fixed_size: 0
    .kernarg_segment_align: 8
    .kernarg_segment_size: 48
    .language:       OpenCL C
    .language_version:
      - 2
      - 0
    .max_flat_workgroup_size: 128
    .name:           _ZN7rocprim17ROCPRIM_400000_NS6detail17trampoline_kernelINS0_14default_configENS1_38merge_sort_block_merge_config_selectorIiNS0_10empty_typeEEEZZNS1_27merge_sort_block_merge_implIS3_N6thrust23THRUST_200600_302600_NS6detail15normal_iteratorINS9_10device_ptrIiEEEEPS5_m14custom_greaterIiEEE10hipError_tT0_T1_T2_jT3_P12ihipStream_tbPNSt15iterator_traitsISJ_E10value_typeEPNSP_ISK_E10value_typeEPSL_NS1_7vsmem_tEENKUlT_SJ_SK_SL_E_clIPiSE_SF_SF_EESI_SY_SJ_SK_SL_EUlSY_E_NS1_11comp_targetILNS1_3genE3ELNS1_11target_archE908ELNS1_3gpuE7ELNS1_3repE0EEENS1_48merge_mergepath_partition_config_static_selectorELNS0_4arch9wavefront6targetE1EEEvSK_
    .private_segment_fixed_size: 0
    .sgpr_count:     4
    .sgpr_spill_count: 0
    .symbol:         _ZN7rocprim17ROCPRIM_400000_NS6detail17trampoline_kernelINS0_14default_configENS1_38merge_sort_block_merge_config_selectorIiNS0_10empty_typeEEEZZNS1_27merge_sort_block_merge_implIS3_N6thrust23THRUST_200600_302600_NS6detail15normal_iteratorINS9_10device_ptrIiEEEEPS5_m14custom_greaterIiEEE10hipError_tT0_T1_T2_jT3_P12ihipStream_tbPNSt15iterator_traitsISJ_E10value_typeEPNSP_ISK_E10value_typeEPSL_NS1_7vsmem_tEENKUlT_SJ_SK_SL_E_clIPiSE_SF_SF_EESI_SY_SJ_SK_SL_EUlSY_E_NS1_11comp_targetILNS1_3genE3ELNS1_11target_archE908ELNS1_3gpuE7ELNS1_3repE0EEENS1_48merge_mergepath_partition_config_static_selectorELNS0_4arch9wavefront6targetE1EEEvSK_.kd
    .uniform_work_group_size: 1
    .uses_dynamic_stack: false
    .vgpr_count:     0
    .vgpr_spill_count: 0
    .wavefront_size: 64
  - .agpr_count:     0
    .args:
      - .offset:         0
        .size:           48
        .value_kind:     by_value
    .group_segment_fixed_size: 0
    .kernarg_segment_align: 8
    .kernarg_segment_size: 48
    .language:       OpenCL C
    .language_version:
      - 2
      - 0
    .max_flat_workgroup_size: 128
    .name:           _ZN7rocprim17ROCPRIM_400000_NS6detail17trampoline_kernelINS0_14default_configENS1_38merge_sort_block_merge_config_selectorIiNS0_10empty_typeEEEZZNS1_27merge_sort_block_merge_implIS3_N6thrust23THRUST_200600_302600_NS6detail15normal_iteratorINS9_10device_ptrIiEEEEPS5_m14custom_greaterIiEEE10hipError_tT0_T1_T2_jT3_P12ihipStream_tbPNSt15iterator_traitsISJ_E10value_typeEPNSP_ISK_E10value_typeEPSL_NS1_7vsmem_tEENKUlT_SJ_SK_SL_E_clIPiSE_SF_SF_EESI_SY_SJ_SK_SL_EUlSY_E_NS1_11comp_targetILNS1_3genE2ELNS1_11target_archE906ELNS1_3gpuE6ELNS1_3repE0EEENS1_48merge_mergepath_partition_config_static_selectorELNS0_4arch9wavefront6targetE1EEEvSK_
    .private_segment_fixed_size: 0
    .sgpr_count:     4
    .sgpr_spill_count: 0
    .symbol:         _ZN7rocprim17ROCPRIM_400000_NS6detail17trampoline_kernelINS0_14default_configENS1_38merge_sort_block_merge_config_selectorIiNS0_10empty_typeEEEZZNS1_27merge_sort_block_merge_implIS3_N6thrust23THRUST_200600_302600_NS6detail15normal_iteratorINS9_10device_ptrIiEEEEPS5_m14custom_greaterIiEEE10hipError_tT0_T1_T2_jT3_P12ihipStream_tbPNSt15iterator_traitsISJ_E10value_typeEPNSP_ISK_E10value_typeEPSL_NS1_7vsmem_tEENKUlT_SJ_SK_SL_E_clIPiSE_SF_SF_EESI_SY_SJ_SK_SL_EUlSY_E_NS1_11comp_targetILNS1_3genE2ELNS1_11target_archE906ELNS1_3gpuE6ELNS1_3repE0EEENS1_48merge_mergepath_partition_config_static_selectorELNS0_4arch9wavefront6targetE1EEEvSK_.kd
    .uniform_work_group_size: 1
    .uses_dynamic_stack: false
    .vgpr_count:     0
    .vgpr_spill_count: 0
    .wavefront_size: 64
  - .agpr_count:     0
    .args:
      - .offset:         0
        .size:           48
        .value_kind:     by_value
    .group_segment_fixed_size: 0
    .kernarg_segment_align: 8
    .kernarg_segment_size: 48
    .language:       OpenCL C
    .language_version:
      - 2
      - 0
    .max_flat_workgroup_size: 128
    .name:           _ZN7rocprim17ROCPRIM_400000_NS6detail17trampoline_kernelINS0_14default_configENS1_38merge_sort_block_merge_config_selectorIiNS0_10empty_typeEEEZZNS1_27merge_sort_block_merge_implIS3_N6thrust23THRUST_200600_302600_NS6detail15normal_iteratorINS9_10device_ptrIiEEEEPS5_m14custom_greaterIiEEE10hipError_tT0_T1_T2_jT3_P12ihipStream_tbPNSt15iterator_traitsISJ_E10value_typeEPNSP_ISK_E10value_typeEPSL_NS1_7vsmem_tEENKUlT_SJ_SK_SL_E_clIPiSE_SF_SF_EESI_SY_SJ_SK_SL_EUlSY_E_NS1_11comp_targetILNS1_3genE9ELNS1_11target_archE1100ELNS1_3gpuE3ELNS1_3repE0EEENS1_48merge_mergepath_partition_config_static_selectorELNS0_4arch9wavefront6targetE1EEEvSK_
    .private_segment_fixed_size: 0
    .sgpr_count:     4
    .sgpr_spill_count: 0
    .symbol:         _ZN7rocprim17ROCPRIM_400000_NS6detail17trampoline_kernelINS0_14default_configENS1_38merge_sort_block_merge_config_selectorIiNS0_10empty_typeEEEZZNS1_27merge_sort_block_merge_implIS3_N6thrust23THRUST_200600_302600_NS6detail15normal_iteratorINS9_10device_ptrIiEEEEPS5_m14custom_greaterIiEEE10hipError_tT0_T1_T2_jT3_P12ihipStream_tbPNSt15iterator_traitsISJ_E10value_typeEPNSP_ISK_E10value_typeEPSL_NS1_7vsmem_tEENKUlT_SJ_SK_SL_E_clIPiSE_SF_SF_EESI_SY_SJ_SK_SL_EUlSY_E_NS1_11comp_targetILNS1_3genE9ELNS1_11target_archE1100ELNS1_3gpuE3ELNS1_3repE0EEENS1_48merge_mergepath_partition_config_static_selectorELNS0_4arch9wavefront6targetE1EEEvSK_.kd
    .uniform_work_group_size: 1
    .uses_dynamic_stack: false
    .vgpr_count:     0
    .vgpr_spill_count: 0
    .wavefront_size: 64
  - .agpr_count:     0
    .args:
      - .offset:         0
        .size:           48
        .value_kind:     by_value
    .group_segment_fixed_size: 0
    .kernarg_segment_align: 8
    .kernarg_segment_size: 48
    .language:       OpenCL C
    .language_version:
      - 2
      - 0
    .max_flat_workgroup_size: 128
    .name:           _ZN7rocprim17ROCPRIM_400000_NS6detail17trampoline_kernelINS0_14default_configENS1_38merge_sort_block_merge_config_selectorIiNS0_10empty_typeEEEZZNS1_27merge_sort_block_merge_implIS3_N6thrust23THRUST_200600_302600_NS6detail15normal_iteratorINS9_10device_ptrIiEEEEPS5_m14custom_greaterIiEEE10hipError_tT0_T1_T2_jT3_P12ihipStream_tbPNSt15iterator_traitsISJ_E10value_typeEPNSP_ISK_E10value_typeEPSL_NS1_7vsmem_tEENKUlT_SJ_SK_SL_E_clIPiSE_SF_SF_EESI_SY_SJ_SK_SL_EUlSY_E_NS1_11comp_targetILNS1_3genE8ELNS1_11target_archE1030ELNS1_3gpuE2ELNS1_3repE0EEENS1_48merge_mergepath_partition_config_static_selectorELNS0_4arch9wavefront6targetE1EEEvSK_
    .private_segment_fixed_size: 0
    .sgpr_count:     4
    .sgpr_spill_count: 0
    .symbol:         _ZN7rocprim17ROCPRIM_400000_NS6detail17trampoline_kernelINS0_14default_configENS1_38merge_sort_block_merge_config_selectorIiNS0_10empty_typeEEEZZNS1_27merge_sort_block_merge_implIS3_N6thrust23THRUST_200600_302600_NS6detail15normal_iteratorINS9_10device_ptrIiEEEEPS5_m14custom_greaterIiEEE10hipError_tT0_T1_T2_jT3_P12ihipStream_tbPNSt15iterator_traitsISJ_E10value_typeEPNSP_ISK_E10value_typeEPSL_NS1_7vsmem_tEENKUlT_SJ_SK_SL_E_clIPiSE_SF_SF_EESI_SY_SJ_SK_SL_EUlSY_E_NS1_11comp_targetILNS1_3genE8ELNS1_11target_archE1030ELNS1_3gpuE2ELNS1_3repE0EEENS1_48merge_mergepath_partition_config_static_selectorELNS0_4arch9wavefront6targetE1EEEvSK_.kd
    .uniform_work_group_size: 1
    .uses_dynamic_stack: false
    .vgpr_count:     0
    .vgpr_spill_count: 0
    .wavefront_size: 64
  - .agpr_count:     0
    .args:
      - .offset:         0
        .size:           72
        .value_kind:     by_value
    .group_segment_fixed_size: 0
    .kernarg_segment_align: 8
    .kernarg_segment_size: 72
    .language:       OpenCL C
    .language_version:
      - 2
      - 0
    .max_flat_workgroup_size: 128
    .name:           _ZN7rocprim17ROCPRIM_400000_NS6detail17trampoline_kernelINS0_14default_configENS1_38merge_sort_block_merge_config_selectorIiNS0_10empty_typeEEEZZNS1_27merge_sort_block_merge_implIS3_N6thrust23THRUST_200600_302600_NS6detail15normal_iteratorINS9_10device_ptrIiEEEEPS5_m14custom_greaterIiEEE10hipError_tT0_T1_T2_jT3_P12ihipStream_tbPNSt15iterator_traitsISJ_E10value_typeEPNSP_ISK_E10value_typeEPSL_NS1_7vsmem_tEENKUlT_SJ_SK_SL_E_clIPiSE_SF_SF_EESI_SY_SJ_SK_SL_EUlSY_E0_NS1_11comp_targetILNS1_3genE0ELNS1_11target_archE4294967295ELNS1_3gpuE0ELNS1_3repE0EEENS1_38merge_mergepath_config_static_selectorELNS0_4arch9wavefront6targetE1EEEvSK_
    .private_segment_fixed_size: 0
    .sgpr_count:     4
    .sgpr_spill_count: 0
    .symbol:         _ZN7rocprim17ROCPRIM_400000_NS6detail17trampoline_kernelINS0_14default_configENS1_38merge_sort_block_merge_config_selectorIiNS0_10empty_typeEEEZZNS1_27merge_sort_block_merge_implIS3_N6thrust23THRUST_200600_302600_NS6detail15normal_iteratorINS9_10device_ptrIiEEEEPS5_m14custom_greaterIiEEE10hipError_tT0_T1_T2_jT3_P12ihipStream_tbPNSt15iterator_traitsISJ_E10value_typeEPNSP_ISK_E10value_typeEPSL_NS1_7vsmem_tEENKUlT_SJ_SK_SL_E_clIPiSE_SF_SF_EESI_SY_SJ_SK_SL_EUlSY_E0_NS1_11comp_targetILNS1_3genE0ELNS1_11target_archE4294967295ELNS1_3gpuE0ELNS1_3repE0EEENS1_38merge_mergepath_config_static_selectorELNS0_4arch9wavefront6targetE1EEEvSK_.kd
    .uniform_work_group_size: 1
    .uses_dynamic_stack: false
    .vgpr_count:     0
    .vgpr_spill_count: 0
    .wavefront_size: 64
  - .agpr_count:     0
    .args:
      - .offset:         0
        .size:           72
        .value_kind:     by_value
    .group_segment_fixed_size: 0
    .kernarg_segment_align: 8
    .kernarg_segment_size: 72
    .language:       OpenCL C
    .language_version:
      - 2
      - 0
    .max_flat_workgroup_size: 256
    .name:           _ZN7rocprim17ROCPRIM_400000_NS6detail17trampoline_kernelINS0_14default_configENS1_38merge_sort_block_merge_config_selectorIiNS0_10empty_typeEEEZZNS1_27merge_sort_block_merge_implIS3_N6thrust23THRUST_200600_302600_NS6detail15normal_iteratorINS9_10device_ptrIiEEEEPS5_m14custom_greaterIiEEE10hipError_tT0_T1_T2_jT3_P12ihipStream_tbPNSt15iterator_traitsISJ_E10value_typeEPNSP_ISK_E10value_typeEPSL_NS1_7vsmem_tEENKUlT_SJ_SK_SL_E_clIPiSE_SF_SF_EESI_SY_SJ_SK_SL_EUlSY_E0_NS1_11comp_targetILNS1_3genE10ELNS1_11target_archE1201ELNS1_3gpuE5ELNS1_3repE0EEENS1_38merge_mergepath_config_static_selectorELNS0_4arch9wavefront6targetE1EEEvSK_
    .private_segment_fixed_size: 0
    .sgpr_count:     4
    .sgpr_spill_count: 0
    .symbol:         _ZN7rocprim17ROCPRIM_400000_NS6detail17trampoline_kernelINS0_14default_configENS1_38merge_sort_block_merge_config_selectorIiNS0_10empty_typeEEEZZNS1_27merge_sort_block_merge_implIS3_N6thrust23THRUST_200600_302600_NS6detail15normal_iteratorINS9_10device_ptrIiEEEEPS5_m14custom_greaterIiEEE10hipError_tT0_T1_T2_jT3_P12ihipStream_tbPNSt15iterator_traitsISJ_E10value_typeEPNSP_ISK_E10value_typeEPSL_NS1_7vsmem_tEENKUlT_SJ_SK_SL_E_clIPiSE_SF_SF_EESI_SY_SJ_SK_SL_EUlSY_E0_NS1_11comp_targetILNS1_3genE10ELNS1_11target_archE1201ELNS1_3gpuE5ELNS1_3repE0EEENS1_38merge_mergepath_config_static_selectorELNS0_4arch9wavefront6targetE1EEEvSK_.kd
    .uniform_work_group_size: 1
    .uses_dynamic_stack: false
    .vgpr_count:     0
    .vgpr_spill_count: 0
    .wavefront_size: 64
  - .agpr_count:     0
    .args:
      - .offset:         0
        .size:           72
        .value_kind:     by_value
    .group_segment_fixed_size: 0
    .kernarg_segment_align: 8
    .kernarg_segment_size: 72
    .language:       OpenCL C
    .language_version:
      - 2
      - 0
    .max_flat_workgroup_size: 128
    .name:           _ZN7rocprim17ROCPRIM_400000_NS6detail17trampoline_kernelINS0_14default_configENS1_38merge_sort_block_merge_config_selectorIiNS0_10empty_typeEEEZZNS1_27merge_sort_block_merge_implIS3_N6thrust23THRUST_200600_302600_NS6detail15normal_iteratorINS9_10device_ptrIiEEEEPS5_m14custom_greaterIiEEE10hipError_tT0_T1_T2_jT3_P12ihipStream_tbPNSt15iterator_traitsISJ_E10value_typeEPNSP_ISK_E10value_typeEPSL_NS1_7vsmem_tEENKUlT_SJ_SK_SL_E_clIPiSE_SF_SF_EESI_SY_SJ_SK_SL_EUlSY_E0_NS1_11comp_targetILNS1_3genE5ELNS1_11target_archE942ELNS1_3gpuE9ELNS1_3repE0EEENS1_38merge_mergepath_config_static_selectorELNS0_4arch9wavefront6targetE1EEEvSK_
    .private_segment_fixed_size: 0
    .sgpr_count:     4
    .sgpr_spill_count: 0
    .symbol:         _ZN7rocprim17ROCPRIM_400000_NS6detail17trampoline_kernelINS0_14default_configENS1_38merge_sort_block_merge_config_selectorIiNS0_10empty_typeEEEZZNS1_27merge_sort_block_merge_implIS3_N6thrust23THRUST_200600_302600_NS6detail15normal_iteratorINS9_10device_ptrIiEEEEPS5_m14custom_greaterIiEEE10hipError_tT0_T1_T2_jT3_P12ihipStream_tbPNSt15iterator_traitsISJ_E10value_typeEPNSP_ISK_E10value_typeEPSL_NS1_7vsmem_tEENKUlT_SJ_SK_SL_E_clIPiSE_SF_SF_EESI_SY_SJ_SK_SL_EUlSY_E0_NS1_11comp_targetILNS1_3genE5ELNS1_11target_archE942ELNS1_3gpuE9ELNS1_3repE0EEENS1_38merge_mergepath_config_static_selectorELNS0_4arch9wavefront6targetE1EEEvSK_.kd
    .uniform_work_group_size: 1
    .uses_dynamic_stack: false
    .vgpr_count:     0
    .vgpr_spill_count: 0
    .wavefront_size: 64
  - .agpr_count:     0
    .args:
      - .offset:         0
        .size:           72
        .value_kind:     by_value
      - .offset:         72
        .size:           4
        .value_kind:     hidden_block_count_x
      - .offset:         76
        .size:           4
        .value_kind:     hidden_block_count_y
      - .offset:         80
        .size:           4
        .value_kind:     hidden_block_count_z
      - .offset:         84
        .size:           2
        .value_kind:     hidden_group_size_x
      - .offset:         86
        .size:           2
        .value_kind:     hidden_group_size_y
      - .offset:         88
        .size:           2
        .value_kind:     hidden_group_size_z
      - .offset:         90
        .size:           2
        .value_kind:     hidden_remainder_x
      - .offset:         92
        .size:           2
        .value_kind:     hidden_remainder_y
      - .offset:         94
        .size:           2
        .value_kind:     hidden_remainder_z
      - .offset:         112
        .size:           8
        .value_kind:     hidden_global_offset_x
      - .offset:         120
        .size:           8
        .value_kind:     hidden_global_offset_y
      - .offset:         128
        .size:           8
        .value_kind:     hidden_global_offset_z
      - .offset:         136
        .size:           2
        .value_kind:     hidden_grid_dims
    .group_segment_fixed_size: 4224
    .kernarg_segment_align: 8
    .kernarg_segment_size: 328
    .language:       OpenCL C
    .language_version:
      - 2
      - 0
    .max_flat_workgroup_size: 128
    .name:           _ZN7rocprim17ROCPRIM_400000_NS6detail17trampoline_kernelINS0_14default_configENS1_38merge_sort_block_merge_config_selectorIiNS0_10empty_typeEEEZZNS1_27merge_sort_block_merge_implIS3_N6thrust23THRUST_200600_302600_NS6detail15normal_iteratorINS9_10device_ptrIiEEEEPS5_m14custom_greaterIiEEE10hipError_tT0_T1_T2_jT3_P12ihipStream_tbPNSt15iterator_traitsISJ_E10value_typeEPNSP_ISK_E10value_typeEPSL_NS1_7vsmem_tEENKUlT_SJ_SK_SL_E_clIPiSE_SF_SF_EESI_SY_SJ_SK_SL_EUlSY_E0_NS1_11comp_targetILNS1_3genE4ELNS1_11target_archE910ELNS1_3gpuE8ELNS1_3repE0EEENS1_38merge_mergepath_config_static_selectorELNS0_4arch9wavefront6targetE1EEEvSK_
    .private_segment_fixed_size: 0
    .sgpr_count:     35
    .sgpr_spill_count: 0
    .symbol:         _ZN7rocprim17ROCPRIM_400000_NS6detail17trampoline_kernelINS0_14default_configENS1_38merge_sort_block_merge_config_selectorIiNS0_10empty_typeEEEZZNS1_27merge_sort_block_merge_implIS3_N6thrust23THRUST_200600_302600_NS6detail15normal_iteratorINS9_10device_ptrIiEEEEPS5_m14custom_greaterIiEEE10hipError_tT0_T1_T2_jT3_P12ihipStream_tbPNSt15iterator_traitsISJ_E10value_typeEPNSP_ISK_E10value_typeEPSL_NS1_7vsmem_tEENKUlT_SJ_SK_SL_E_clIPiSE_SF_SF_EESI_SY_SJ_SK_SL_EUlSY_E0_NS1_11comp_targetILNS1_3genE4ELNS1_11target_archE910ELNS1_3gpuE8ELNS1_3repE0EEENS1_38merge_mergepath_config_static_selectorELNS0_4arch9wavefront6targetE1EEEvSK_.kd
    .uniform_work_group_size: 1
    .uses_dynamic_stack: false
    .vgpr_count:     26
    .vgpr_spill_count: 0
    .wavefront_size: 64
  - .agpr_count:     0
    .args:
      - .offset:         0
        .size:           72
        .value_kind:     by_value
    .group_segment_fixed_size: 0
    .kernarg_segment_align: 8
    .kernarg_segment_size: 72
    .language:       OpenCL C
    .language_version:
      - 2
      - 0
    .max_flat_workgroup_size: 128
    .name:           _ZN7rocprim17ROCPRIM_400000_NS6detail17trampoline_kernelINS0_14default_configENS1_38merge_sort_block_merge_config_selectorIiNS0_10empty_typeEEEZZNS1_27merge_sort_block_merge_implIS3_N6thrust23THRUST_200600_302600_NS6detail15normal_iteratorINS9_10device_ptrIiEEEEPS5_m14custom_greaterIiEEE10hipError_tT0_T1_T2_jT3_P12ihipStream_tbPNSt15iterator_traitsISJ_E10value_typeEPNSP_ISK_E10value_typeEPSL_NS1_7vsmem_tEENKUlT_SJ_SK_SL_E_clIPiSE_SF_SF_EESI_SY_SJ_SK_SL_EUlSY_E0_NS1_11comp_targetILNS1_3genE3ELNS1_11target_archE908ELNS1_3gpuE7ELNS1_3repE0EEENS1_38merge_mergepath_config_static_selectorELNS0_4arch9wavefront6targetE1EEEvSK_
    .private_segment_fixed_size: 0
    .sgpr_count:     4
    .sgpr_spill_count: 0
    .symbol:         _ZN7rocprim17ROCPRIM_400000_NS6detail17trampoline_kernelINS0_14default_configENS1_38merge_sort_block_merge_config_selectorIiNS0_10empty_typeEEEZZNS1_27merge_sort_block_merge_implIS3_N6thrust23THRUST_200600_302600_NS6detail15normal_iteratorINS9_10device_ptrIiEEEEPS5_m14custom_greaterIiEEE10hipError_tT0_T1_T2_jT3_P12ihipStream_tbPNSt15iterator_traitsISJ_E10value_typeEPNSP_ISK_E10value_typeEPSL_NS1_7vsmem_tEENKUlT_SJ_SK_SL_E_clIPiSE_SF_SF_EESI_SY_SJ_SK_SL_EUlSY_E0_NS1_11comp_targetILNS1_3genE3ELNS1_11target_archE908ELNS1_3gpuE7ELNS1_3repE0EEENS1_38merge_mergepath_config_static_selectorELNS0_4arch9wavefront6targetE1EEEvSK_.kd
    .uniform_work_group_size: 1
    .uses_dynamic_stack: false
    .vgpr_count:     0
    .vgpr_spill_count: 0
    .wavefront_size: 64
  - .agpr_count:     0
    .args:
      - .offset:         0
        .size:           72
        .value_kind:     by_value
    .group_segment_fixed_size: 0
    .kernarg_segment_align: 8
    .kernarg_segment_size: 72
    .language:       OpenCL C
    .language_version:
      - 2
      - 0
    .max_flat_workgroup_size: 128
    .name:           _ZN7rocprim17ROCPRIM_400000_NS6detail17trampoline_kernelINS0_14default_configENS1_38merge_sort_block_merge_config_selectorIiNS0_10empty_typeEEEZZNS1_27merge_sort_block_merge_implIS3_N6thrust23THRUST_200600_302600_NS6detail15normal_iteratorINS9_10device_ptrIiEEEEPS5_m14custom_greaterIiEEE10hipError_tT0_T1_T2_jT3_P12ihipStream_tbPNSt15iterator_traitsISJ_E10value_typeEPNSP_ISK_E10value_typeEPSL_NS1_7vsmem_tEENKUlT_SJ_SK_SL_E_clIPiSE_SF_SF_EESI_SY_SJ_SK_SL_EUlSY_E0_NS1_11comp_targetILNS1_3genE2ELNS1_11target_archE906ELNS1_3gpuE6ELNS1_3repE0EEENS1_38merge_mergepath_config_static_selectorELNS0_4arch9wavefront6targetE1EEEvSK_
    .private_segment_fixed_size: 0
    .sgpr_count:     4
    .sgpr_spill_count: 0
    .symbol:         _ZN7rocprim17ROCPRIM_400000_NS6detail17trampoline_kernelINS0_14default_configENS1_38merge_sort_block_merge_config_selectorIiNS0_10empty_typeEEEZZNS1_27merge_sort_block_merge_implIS3_N6thrust23THRUST_200600_302600_NS6detail15normal_iteratorINS9_10device_ptrIiEEEEPS5_m14custom_greaterIiEEE10hipError_tT0_T1_T2_jT3_P12ihipStream_tbPNSt15iterator_traitsISJ_E10value_typeEPNSP_ISK_E10value_typeEPSL_NS1_7vsmem_tEENKUlT_SJ_SK_SL_E_clIPiSE_SF_SF_EESI_SY_SJ_SK_SL_EUlSY_E0_NS1_11comp_targetILNS1_3genE2ELNS1_11target_archE906ELNS1_3gpuE6ELNS1_3repE0EEENS1_38merge_mergepath_config_static_selectorELNS0_4arch9wavefront6targetE1EEEvSK_.kd
    .uniform_work_group_size: 1
    .uses_dynamic_stack: false
    .vgpr_count:     0
    .vgpr_spill_count: 0
    .wavefront_size: 64
  - .agpr_count:     0
    .args:
      - .offset:         0
        .size:           72
        .value_kind:     by_value
    .group_segment_fixed_size: 0
    .kernarg_segment_align: 8
    .kernarg_segment_size: 72
    .language:       OpenCL C
    .language_version:
      - 2
      - 0
    .max_flat_workgroup_size: 256
    .name:           _ZN7rocprim17ROCPRIM_400000_NS6detail17trampoline_kernelINS0_14default_configENS1_38merge_sort_block_merge_config_selectorIiNS0_10empty_typeEEEZZNS1_27merge_sort_block_merge_implIS3_N6thrust23THRUST_200600_302600_NS6detail15normal_iteratorINS9_10device_ptrIiEEEEPS5_m14custom_greaterIiEEE10hipError_tT0_T1_T2_jT3_P12ihipStream_tbPNSt15iterator_traitsISJ_E10value_typeEPNSP_ISK_E10value_typeEPSL_NS1_7vsmem_tEENKUlT_SJ_SK_SL_E_clIPiSE_SF_SF_EESI_SY_SJ_SK_SL_EUlSY_E0_NS1_11comp_targetILNS1_3genE9ELNS1_11target_archE1100ELNS1_3gpuE3ELNS1_3repE0EEENS1_38merge_mergepath_config_static_selectorELNS0_4arch9wavefront6targetE1EEEvSK_
    .private_segment_fixed_size: 0
    .sgpr_count:     4
    .sgpr_spill_count: 0
    .symbol:         _ZN7rocprim17ROCPRIM_400000_NS6detail17trampoline_kernelINS0_14default_configENS1_38merge_sort_block_merge_config_selectorIiNS0_10empty_typeEEEZZNS1_27merge_sort_block_merge_implIS3_N6thrust23THRUST_200600_302600_NS6detail15normal_iteratorINS9_10device_ptrIiEEEEPS5_m14custom_greaterIiEEE10hipError_tT0_T1_T2_jT3_P12ihipStream_tbPNSt15iterator_traitsISJ_E10value_typeEPNSP_ISK_E10value_typeEPSL_NS1_7vsmem_tEENKUlT_SJ_SK_SL_E_clIPiSE_SF_SF_EESI_SY_SJ_SK_SL_EUlSY_E0_NS1_11comp_targetILNS1_3genE9ELNS1_11target_archE1100ELNS1_3gpuE3ELNS1_3repE0EEENS1_38merge_mergepath_config_static_selectorELNS0_4arch9wavefront6targetE1EEEvSK_.kd
    .uniform_work_group_size: 1
    .uses_dynamic_stack: false
    .vgpr_count:     0
    .vgpr_spill_count: 0
    .wavefront_size: 64
  - .agpr_count:     0
    .args:
      - .offset:         0
        .size:           72
        .value_kind:     by_value
    .group_segment_fixed_size: 0
    .kernarg_segment_align: 8
    .kernarg_segment_size: 72
    .language:       OpenCL C
    .language_version:
      - 2
      - 0
    .max_flat_workgroup_size: 512
    .name:           _ZN7rocprim17ROCPRIM_400000_NS6detail17trampoline_kernelINS0_14default_configENS1_38merge_sort_block_merge_config_selectorIiNS0_10empty_typeEEEZZNS1_27merge_sort_block_merge_implIS3_N6thrust23THRUST_200600_302600_NS6detail15normal_iteratorINS9_10device_ptrIiEEEEPS5_m14custom_greaterIiEEE10hipError_tT0_T1_T2_jT3_P12ihipStream_tbPNSt15iterator_traitsISJ_E10value_typeEPNSP_ISK_E10value_typeEPSL_NS1_7vsmem_tEENKUlT_SJ_SK_SL_E_clIPiSE_SF_SF_EESI_SY_SJ_SK_SL_EUlSY_E0_NS1_11comp_targetILNS1_3genE8ELNS1_11target_archE1030ELNS1_3gpuE2ELNS1_3repE0EEENS1_38merge_mergepath_config_static_selectorELNS0_4arch9wavefront6targetE1EEEvSK_
    .private_segment_fixed_size: 0
    .sgpr_count:     4
    .sgpr_spill_count: 0
    .symbol:         _ZN7rocprim17ROCPRIM_400000_NS6detail17trampoline_kernelINS0_14default_configENS1_38merge_sort_block_merge_config_selectorIiNS0_10empty_typeEEEZZNS1_27merge_sort_block_merge_implIS3_N6thrust23THRUST_200600_302600_NS6detail15normal_iteratorINS9_10device_ptrIiEEEEPS5_m14custom_greaterIiEEE10hipError_tT0_T1_T2_jT3_P12ihipStream_tbPNSt15iterator_traitsISJ_E10value_typeEPNSP_ISK_E10value_typeEPSL_NS1_7vsmem_tEENKUlT_SJ_SK_SL_E_clIPiSE_SF_SF_EESI_SY_SJ_SK_SL_EUlSY_E0_NS1_11comp_targetILNS1_3genE8ELNS1_11target_archE1030ELNS1_3gpuE2ELNS1_3repE0EEENS1_38merge_mergepath_config_static_selectorELNS0_4arch9wavefront6targetE1EEEvSK_.kd
    .uniform_work_group_size: 1
    .uses_dynamic_stack: false
    .vgpr_count:     0
    .vgpr_spill_count: 0
    .wavefront_size: 64
  - .agpr_count:     0
    .args:
      - .offset:         0
        .size:           56
        .value_kind:     by_value
    .group_segment_fixed_size: 0
    .kernarg_segment_align: 8
    .kernarg_segment_size: 56
    .language:       OpenCL C
    .language_version:
      - 2
      - 0
    .max_flat_workgroup_size: 256
    .name:           _ZN7rocprim17ROCPRIM_400000_NS6detail17trampoline_kernelINS0_14default_configENS1_38merge_sort_block_merge_config_selectorIiNS0_10empty_typeEEEZZNS1_27merge_sort_block_merge_implIS3_N6thrust23THRUST_200600_302600_NS6detail15normal_iteratorINS9_10device_ptrIiEEEEPS5_m14custom_greaterIiEEE10hipError_tT0_T1_T2_jT3_P12ihipStream_tbPNSt15iterator_traitsISJ_E10value_typeEPNSP_ISK_E10value_typeEPSL_NS1_7vsmem_tEENKUlT_SJ_SK_SL_E_clIPiSE_SF_SF_EESI_SY_SJ_SK_SL_EUlSY_E1_NS1_11comp_targetILNS1_3genE0ELNS1_11target_archE4294967295ELNS1_3gpuE0ELNS1_3repE0EEENS1_36merge_oddeven_config_static_selectorELNS0_4arch9wavefront6targetE1EEEvSK_
    .private_segment_fixed_size: 0
    .sgpr_count:     4
    .sgpr_spill_count: 0
    .symbol:         _ZN7rocprim17ROCPRIM_400000_NS6detail17trampoline_kernelINS0_14default_configENS1_38merge_sort_block_merge_config_selectorIiNS0_10empty_typeEEEZZNS1_27merge_sort_block_merge_implIS3_N6thrust23THRUST_200600_302600_NS6detail15normal_iteratorINS9_10device_ptrIiEEEEPS5_m14custom_greaterIiEEE10hipError_tT0_T1_T2_jT3_P12ihipStream_tbPNSt15iterator_traitsISJ_E10value_typeEPNSP_ISK_E10value_typeEPSL_NS1_7vsmem_tEENKUlT_SJ_SK_SL_E_clIPiSE_SF_SF_EESI_SY_SJ_SK_SL_EUlSY_E1_NS1_11comp_targetILNS1_3genE0ELNS1_11target_archE4294967295ELNS1_3gpuE0ELNS1_3repE0EEENS1_36merge_oddeven_config_static_selectorELNS0_4arch9wavefront6targetE1EEEvSK_.kd
    .uniform_work_group_size: 1
    .uses_dynamic_stack: false
    .vgpr_count:     0
    .vgpr_spill_count: 0
    .wavefront_size: 64
  - .agpr_count:     0
    .args:
      - .offset:         0
        .size:           56
        .value_kind:     by_value
    .group_segment_fixed_size: 0
    .kernarg_segment_align: 8
    .kernarg_segment_size: 56
    .language:       OpenCL C
    .language_version:
      - 2
      - 0
    .max_flat_workgroup_size: 256
    .name:           _ZN7rocprim17ROCPRIM_400000_NS6detail17trampoline_kernelINS0_14default_configENS1_38merge_sort_block_merge_config_selectorIiNS0_10empty_typeEEEZZNS1_27merge_sort_block_merge_implIS3_N6thrust23THRUST_200600_302600_NS6detail15normal_iteratorINS9_10device_ptrIiEEEEPS5_m14custom_greaterIiEEE10hipError_tT0_T1_T2_jT3_P12ihipStream_tbPNSt15iterator_traitsISJ_E10value_typeEPNSP_ISK_E10value_typeEPSL_NS1_7vsmem_tEENKUlT_SJ_SK_SL_E_clIPiSE_SF_SF_EESI_SY_SJ_SK_SL_EUlSY_E1_NS1_11comp_targetILNS1_3genE10ELNS1_11target_archE1201ELNS1_3gpuE5ELNS1_3repE0EEENS1_36merge_oddeven_config_static_selectorELNS0_4arch9wavefront6targetE1EEEvSK_
    .private_segment_fixed_size: 0
    .sgpr_count:     4
    .sgpr_spill_count: 0
    .symbol:         _ZN7rocprim17ROCPRIM_400000_NS6detail17trampoline_kernelINS0_14default_configENS1_38merge_sort_block_merge_config_selectorIiNS0_10empty_typeEEEZZNS1_27merge_sort_block_merge_implIS3_N6thrust23THRUST_200600_302600_NS6detail15normal_iteratorINS9_10device_ptrIiEEEEPS5_m14custom_greaterIiEEE10hipError_tT0_T1_T2_jT3_P12ihipStream_tbPNSt15iterator_traitsISJ_E10value_typeEPNSP_ISK_E10value_typeEPSL_NS1_7vsmem_tEENKUlT_SJ_SK_SL_E_clIPiSE_SF_SF_EESI_SY_SJ_SK_SL_EUlSY_E1_NS1_11comp_targetILNS1_3genE10ELNS1_11target_archE1201ELNS1_3gpuE5ELNS1_3repE0EEENS1_36merge_oddeven_config_static_selectorELNS0_4arch9wavefront6targetE1EEEvSK_.kd
    .uniform_work_group_size: 1
    .uses_dynamic_stack: false
    .vgpr_count:     0
    .vgpr_spill_count: 0
    .wavefront_size: 64
  - .agpr_count:     0
    .args:
      - .offset:         0
        .size:           56
        .value_kind:     by_value
    .group_segment_fixed_size: 0
    .kernarg_segment_align: 8
    .kernarg_segment_size: 56
    .language:       OpenCL C
    .language_version:
      - 2
      - 0
    .max_flat_workgroup_size: 256
    .name:           _ZN7rocprim17ROCPRIM_400000_NS6detail17trampoline_kernelINS0_14default_configENS1_38merge_sort_block_merge_config_selectorIiNS0_10empty_typeEEEZZNS1_27merge_sort_block_merge_implIS3_N6thrust23THRUST_200600_302600_NS6detail15normal_iteratorINS9_10device_ptrIiEEEEPS5_m14custom_greaterIiEEE10hipError_tT0_T1_T2_jT3_P12ihipStream_tbPNSt15iterator_traitsISJ_E10value_typeEPNSP_ISK_E10value_typeEPSL_NS1_7vsmem_tEENKUlT_SJ_SK_SL_E_clIPiSE_SF_SF_EESI_SY_SJ_SK_SL_EUlSY_E1_NS1_11comp_targetILNS1_3genE5ELNS1_11target_archE942ELNS1_3gpuE9ELNS1_3repE0EEENS1_36merge_oddeven_config_static_selectorELNS0_4arch9wavefront6targetE1EEEvSK_
    .private_segment_fixed_size: 0
    .sgpr_count:     4
    .sgpr_spill_count: 0
    .symbol:         _ZN7rocprim17ROCPRIM_400000_NS6detail17trampoline_kernelINS0_14default_configENS1_38merge_sort_block_merge_config_selectorIiNS0_10empty_typeEEEZZNS1_27merge_sort_block_merge_implIS3_N6thrust23THRUST_200600_302600_NS6detail15normal_iteratorINS9_10device_ptrIiEEEEPS5_m14custom_greaterIiEEE10hipError_tT0_T1_T2_jT3_P12ihipStream_tbPNSt15iterator_traitsISJ_E10value_typeEPNSP_ISK_E10value_typeEPSL_NS1_7vsmem_tEENKUlT_SJ_SK_SL_E_clIPiSE_SF_SF_EESI_SY_SJ_SK_SL_EUlSY_E1_NS1_11comp_targetILNS1_3genE5ELNS1_11target_archE942ELNS1_3gpuE9ELNS1_3repE0EEENS1_36merge_oddeven_config_static_selectorELNS0_4arch9wavefront6targetE1EEEvSK_.kd
    .uniform_work_group_size: 1
    .uses_dynamic_stack: false
    .vgpr_count:     0
    .vgpr_spill_count: 0
    .wavefront_size: 64
  - .agpr_count:     0
    .args:
      - .offset:         0
        .size:           56
        .value_kind:     by_value
    .group_segment_fixed_size: 0
    .kernarg_segment_align: 8
    .kernarg_segment_size: 56
    .language:       OpenCL C
    .language_version:
      - 2
      - 0
    .max_flat_workgroup_size: 256
    .name:           _ZN7rocprim17ROCPRIM_400000_NS6detail17trampoline_kernelINS0_14default_configENS1_38merge_sort_block_merge_config_selectorIiNS0_10empty_typeEEEZZNS1_27merge_sort_block_merge_implIS3_N6thrust23THRUST_200600_302600_NS6detail15normal_iteratorINS9_10device_ptrIiEEEEPS5_m14custom_greaterIiEEE10hipError_tT0_T1_T2_jT3_P12ihipStream_tbPNSt15iterator_traitsISJ_E10value_typeEPNSP_ISK_E10value_typeEPSL_NS1_7vsmem_tEENKUlT_SJ_SK_SL_E_clIPiSE_SF_SF_EESI_SY_SJ_SK_SL_EUlSY_E1_NS1_11comp_targetILNS1_3genE4ELNS1_11target_archE910ELNS1_3gpuE8ELNS1_3repE0EEENS1_36merge_oddeven_config_static_selectorELNS0_4arch9wavefront6targetE1EEEvSK_
    .private_segment_fixed_size: 0
    .sgpr_count:     25
    .sgpr_spill_count: 0
    .symbol:         _ZN7rocprim17ROCPRIM_400000_NS6detail17trampoline_kernelINS0_14default_configENS1_38merge_sort_block_merge_config_selectorIiNS0_10empty_typeEEEZZNS1_27merge_sort_block_merge_implIS3_N6thrust23THRUST_200600_302600_NS6detail15normal_iteratorINS9_10device_ptrIiEEEEPS5_m14custom_greaterIiEEE10hipError_tT0_T1_T2_jT3_P12ihipStream_tbPNSt15iterator_traitsISJ_E10value_typeEPNSP_ISK_E10value_typeEPSL_NS1_7vsmem_tEENKUlT_SJ_SK_SL_E_clIPiSE_SF_SF_EESI_SY_SJ_SK_SL_EUlSY_E1_NS1_11comp_targetILNS1_3genE4ELNS1_11target_archE910ELNS1_3gpuE8ELNS1_3repE0EEENS1_36merge_oddeven_config_static_selectorELNS0_4arch9wavefront6targetE1EEEvSK_.kd
    .uniform_work_group_size: 1
    .uses_dynamic_stack: false
    .vgpr_count:     10
    .vgpr_spill_count: 0
    .wavefront_size: 64
  - .agpr_count:     0
    .args:
      - .offset:         0
        .size:           56
        .value_kind:     by_value
    .group_segment_fixed_size: 0
    .kernarg_segment_align: 8
    .kernarg_segment_size: 56
    .language:       OpenCL C
    .language_version:
      - 2
      - 0
    .max_flat_workgroup_size: 256
    .name:           _ZN7rocprim17ROCPRIM_400000_NS6detail17trampoline_kernelINS0_14default_configENS1_38merge_sort_block_merge_config_selectorIiNS0_10empty_typeEEEZZNS1_27merge_sort_block_merge_implIS3_N6thrust23THRUST_200600_302600_NS6detail15normal_iteratorINS9_10device_ptrIiEEEEPS5_m14custom_greaterIiEEE10hipError_tT0_T1_T2_jT3_P12ihipStream_tbPNSt15iterator_traitsISJ_E10value_typeEPNSP_ISK_E10value_typeEPSL_NS1_7vsmem_tEENKUlT_SJ_SK_SL_E_clIPiSE_SF_SF_EESI_SY_SJ_SK_SL_EUlSY_E1_NS1_11comp_targetILNS1_3genE3ELNS1_11target_archE908ELNS1_3gpuE7ELNS1_3repE0EEENS1_36merge_oddeven_config_static_selectorELNS0_4arch9wavefront6targetE1EEEvSK_
    .private_segment_fixed_size: 0
    .sgpr_count:     4
    .sgpr_spill_count: 0
    .symbol:         _ZN7rocprim17ROCPRIM_400000_NS6detail17trampoline_kernelINS0_14default_configENS1_38merge_sort_block_merge_config_selectorIiNS0_10empty_typeEEEZZNS1_27merge_sort_block_merge_implIS3_N6thrust23THRUST_200600_302600_NS6detail15normal_iteratorINS9_10device_ptrIiEEEEPS5_m14custom_greaterIiEEE10hipError_tT0_T1_T2_jT3_P12ihipStream_tbPNSt15iterator_traitsISJ_E10value_typeEPNSP_ISK_E10value_typeEPSL_NS1_7vsmem_tEENKUlT_SJ_SK_SL_E_clIPiSE_SF_SF_EESI_SY_SJ_SK_SL_EUlSY_E1_NS1_11comp_targetILNS1_3genE3ELNS1_11target_archE908ELNS1_3gpuE7ELNS1_3repE0EEENS1_36merge_oddeven_config_static_selectorELNS0_4arch9wavefront6targetE1EEEvSK_.kd
    .uniform_work_group_size: 1
    .uses_dynamic_stack: false
    .vgpr_count:     0
    .vgpr_spill_count: 0
    .wavefront_size: 64
  - .agpr_count:     0
    .args:
      - .offset:         0
        .size:           56
        .value_kind:     by_value
    .group_segment_fixed_size: 0
    .kernarg_segment_align: 8
    .kernarg_segment_size: 56
    .language:       OpenCL C
    .language_version:
      - 2
      - 0
    .max_flat_workgroup_size: 256
    .name:           _ZN7rocprim17ROCPRIM_400000_NS6detail17trampoline_kernelINS0_14default_configENS1_38merge_sort_block_merge_config_selectorIiNS0_10empty_typeEEEZZNS1_27merge_sort_block_merge_implIS3_N6thrust23THRUST_200600_302600_NS6detail15normal_iteratorINS9_10device_ptrIiEEEEPS5_m14custom_greaterIiEEE10hipError_tT0_T1_T2_jT3_P12ihipStream_tbPNSt15iterator_traitsISJ_E10value_typeEPNSP_ISK_E10value_typeEPSL_NS1_7vsmem_tEENKUlT_SJ_SK_SL_E_clIPiSE_SF_SF_EESI_SY_SJ_SK_SL_EUlSY_E1_NS1_11comp_targetILNS1_3genE2ELNS1_11target_archE906ELNS1_3gpuE6ELNS1_3repE0EEENS1_36merge_oddeven_config_static_selectorELNS0_4arch9wavefront6targetE1EEEvSK_
    .private_segment_fixed_size: 0
    .sgpr_count:     4
    .sgpr_spill_count: 0
    .symbol:         _ZN7rocprim17ROCPRIM_400000_NS6detail17trampoline_kernelINS0_14default_configENS1_38merge_sort_block_merge_config_selectorIiNS0_10empty_typeEEEZZNS1_27merge_sort_block_merge_implIS3_N6thrust23THRUST_200600_302600_NS6detail15normal_iteratorINS9_10device_ptrIiEEEEPS5_m14custom_greaterIiEEE10hipError_tT0_T1_T2_jT3_P12ihipStream_tbPNSt15iterator_traitsISJ_E10value_typeEPNSP_ISK_E10value_typeEPSL_NS1_7vsmem_tEENKUlT_SJ_SK_SL_E_clIPiSE_SF_SF_EESI_SY_SJ_SK_SL_EUlSY_E1_NS1_11comp_targetILNS1_3genE2ELNS1_11target_archE906ELNS1_3gpuE6ELNS1_3repE0EEENS1_36merge_oddeven_config_static_selectorELNS0_4arch9wavefront6targetE1EEEvSK_.kd
    .uniform_work_group_size: 1
    .uses_dynamic_stack: false
    .vgpr_count:     0
    .vgpr_spill_count: 0
    .wavefront_size: 64
  - .agpr_count:     0
    .args:
      - .offset:         0
        .size:           56
        .value_kind:     by_value
    .group_segment_fixed_size: 0
    .kernarg_segment_align: 8
    .kernarg_segment_size: 56
    .language:       OpenCL C
    .language_version:
      - 2
      - 0
    .max_flat_workgroup_size: 256
    .name:           _ZN7rocprim17ROCPRIM_400000_NS6detail17trampoline_kernelINS0_14default_configENS1_38merge_sort_block_merge_config_selectorIiNS0_10empty_typeEEEZZNS1_27merge_sort_block_merge_implIS3_N6thrust23THRUST_200600_302600_NS6detail15normal_iteratorINS9_10device_ptrIiEEEEPS5_m14custom_greaterIiEEE10hipError_tT0_T1_T2_jT3_P12ihipStream_tbPNSt15iterator_traitsISJ_E10value_typeEPNSP_ISK_E10value_typeEPSL_NS1_7vsmem_tEENKUlT_SJ_SK_SL_E_clIPiSE_SF_SF_EESI_SY_SJ_SK_SL_EUlSY_E1_NS1_11comp_targetILNS1_3genE9ELNS1_11target_archE1100ELNS1_3gpuE3ELNS1_3repE0EEENS1_36merge_oddeven_config_static_selectorELNS0_4arch9wavefront6targetE1EEEvSK_
    .private_segment_fixed_size: 0
    .sgpr_count:     4
    .sgpr_spill_count: 0
    .symbol:         _ZN7rocprim17ROCPRIM_400000_NS6detail17trampoline_kernelINS0_14default_configENS1_38merge_sort_block_merge_config_selectorIiNS0_10empty_typeEEEZZNS1_27merge_sort_block_merge_implIS3_N6thrust23THRUST_200600_302600_NS6detail15normal_iteratorINS9_10device_ptrIiEEEEPS5_m14custom_greaterIiEEE10hipError_tT0_T1_T2_jT3_P12ihipStream_tbPNSt15iterator_traitsISJ_E10value_typeEPNSP_ISK_E10value_typeEPSL_NS1_7vsmem_tEENKUlT_SJ_SK_SL_E_clIPiSE_SF_SF_EESI_SY_SJ_SK_SL_EUlSY_E1_NS1_11comp_targetILNS1_3genE9ELNS1_11target_archE1100ELNS1_3gpuE3ELNS1_3repE0EEENS1_36merge_oddeven_config_static_selectorELNS0_4arch9wavefront6targetE1EEEvSK_.kd
    .uniform_work_group_size: 1
    .uses_dynamic_stack: false
    .vgpr_count:     0
    .vgpr_spill_count: 0
    .wavefront_size: 64
  - .agpr_count:     0
    .args:
      - .offset:         0
        .size:           56
        .value_kind:     by_value
    .group_segment_fixed_size: 0
    .kernarg_segment_align: 8
    .kernarg_segment_size: 56
    .language:       OpenCL C
    .language_version:
      - 2
      - 0
    .max_flat_workgroup_size: 256
    .name:           _ZN7rocprim17ROCPRIM_400000_NS6detail17trampoline_kernelINS0_14default_configENS1_38merge_sort_block_merge_config_selectorIiNS0_10empty_typeEEEZZNS1_27merge_sort_block_merge_implIS3_N6thrust23THRUST_200600_302600_NS6detail15normal_iteratorINS9_10device_ptrIiEEEEPS5_m14custom_greaterIiEEE10hipError_tT0_T1_T2_jT3_P12ihipStream_tbPNSt15iterator_traitsISJ_E10value_typeEPNSP_ISK_E10value_typeEPSL_NS1_7vsmem_tEENKUlT_SJ_SK_SL_E_clIPiSE_SF_SF_EESI_SY_SJ_SK_SL_EUlSY_E1_NS1_11comp_targetILNS1_3genE8ELNS1_11target_archE1030ELNS1_3gpuE2ELNS1_3repE0EEENS1_36merge_oddeven_config_static_selectorELNS0_4arch9wavefront6targetE1EEEvSK_
    .private_segment_fixed_size: 0
    .sgpr_count:     4
    .sgpr_spill_count: 0
    .symbol:         _ZN7rocprim17ROCPRIM_400000_NS6detail17trampoline_kernelINS0_14default_configENS1_38merge_sort_block_merge_config_selectorIiNS0_10empty_typeEEEZZNS1_27merge_sort_block_merge_implIS3_N6thrust23THRUST_200600_302600_NS6detail15normal_iteratorINS9_10device_ptrIiEEEEPS5_m14custom_greaterIiEEE10hipError_tT0_T1_T2_jT3_P12ihipStream_tbPNSt15iterator_traitsISJ_E10value_typeEPNSP_ISK_E10value_typeEPSL_NS1_7vsmem_tEENKUlT_SJ_SK_SL_E_clIPiSE_SF_SF_EESI_SY_SJ_SK_SL_EUlSY_E1_NS1_11comp_targetILNS1_3genE8ELNS1_11target_archE1030ELNS1_3gpuE2ELNS1_3repE0EEENS1_36merge_oddeven_config_static_selectorELNS0_4arch9wavefront6targetE1EEEvSK_.kd
    .uniform_work_group_size: 1
    .uses_dynamic_stack: false
    .vgpr_count:     0
    .vgpr_spill_count: 0
    .wavefront_size: 64
  - .agpr_count:     0
    .args:
      - .offset:         0
        .size:           48
        .value_kind:     by_value
    .group_segment_fixed_size: 0
    .kernarg_segment_align: 8
    .kernarg_segment_size: 48
    .language:       OpenCL C
    .language_version:
      - 2
      - 0
    .max_flat_workgroup_size: 128
    .name:           _ZN7rocprim17ROCPRIM_400000_NS6detail17trampoline_kernelINS0_14default_configENS1_38merge_sort_block_merge_config_selectorIiNS0_10empty_typeEEEZZNS1_27merge_sort_block_merge_implIS3_N6thrust23THRUST_200600_302600_NS6detail15normal_iteratorINS9_10device_ptrIiEEEEPS5_m14custom_greaterIiEEE10hipError_tT0_T1_T2_jT3_P12ihipStream_tbPNSt15iterator_traitsISJ_E10value_typeEPNSP_ISK_E10value_typeEPSL_NS1_7vsmem_tEENKUlT_SJ_SK_SL_E_clISE_PiSF_SF_EESI_SY_SJ_SK_SL_EUlSY_E_NS1_11comp_targetILNS1_3genE0ELNS1_11target_archE4294967295ELNS1_3gpuE0ELNS1_3repE0EEENS1_48merge_mergepath_partition_config_static_selectorELNS0_4arch9wavefront6targetE1EEEvSK_
    .private_segment_fixed_size: 0
    .sgpr_count:     4
    .sgpr_spill_count: 0
    .symbol:         _ZN7rocprim17ROCPRIM_400000_NS6detail17trampoline_kernelINS0_14default_configENS1_38merge_sort_block_merge_config_selectorIiNS0_10empty_typeEEEZZNS1_27merge_sort_block_merge_implIS3_N6thrust23THRUST_200600_302600_NS6detail15normal_iteratorINS9_10device_ptrIiEEEEPS5_m14custom_greaterIiEEE10hipError_tT0_T1_T2_jT3_P12ihipStream_tbPNSt15iterator_traitsISJ_E10value_typeEPNSP_ISK_E10value_typeEPSL_NS1_7vsmem_tEENKUlT_SJ_SK_SL_E_clISE_PiSF_SF_EESI_SY_SJ_SK_SL_EUlSY_E_NS1_11comp_targetILNS1_3genE0ELNS1_11target_archE4294967295ELNS1_3gpuE0ELNS1_3repE0EEENS1_48merge_mergepath_partition_config_static_selectorELNS0_4arch9wavefront6targetE1EEEvSK_.kd
    .uniform_work_group_size: 1
    .uses_dynamic_stack: false
    .vgpr_count:     0
    .vgpr_spill_count: 0
    .wavefront_size: 64
  - .agpr_count:     0
    .args:
      - .offset:         0
        .size:           48
        .value_kind:     by_value
    .group_segment_fixed_size: 0
    .kernarg_segment_align: 8
    .kernarg_segment_size: 48
    .language:       OpenCL C
    .language_version:
      - 2
      - 0
    .max_flat_workgroup_size: 128
    .name:           _ZN7rocprim17ROCPRIM_400000_NS6detail17trampoline_kernelINS0_14default_configENS1_38merge_sort_block_merge_config_selectorIiNS0_10empty_typeEEEZZNS1_27merge_sort_block_merge_implIS3_N6thrust23THRUST_200600_302600_NS6detail15normal_iteratorINS9_10device_ptrIiEEEEPS5_m14custom_greaterIiEEE10hipError_tT0_T1_T2_jT3_P12ihipStream_tbPNSt15iterator_traitsISJ_E10value_typeEPNSP_ISK_E10value_typeEPSL_NS1_7vsmem_tEENKUlT_SJ_SK_SL_E_clISE_PiSF_SF_EESI_SY_SJ_SK_SL_EUlSY_E_NS1_11comp_targetILNS1_3genE10ELNS1_11target_archE1201ELNS1_3gpuE5ELNS1_3repE0EEENS1_48merge_mergepath_partition_config_static_selectorELNS0_4arch9wavefront6targetE1EEEvSK_
    .private_segment_fixed_size: 0
    .sgpr_count:     4
    .sgpr_spill_count: 0
    .symbol:         _ZN7rocprim17ROCPRIM_400000_NS6detail17trampoline_kernelINS0_14default_configENS1_38merge_sort_block_merge_config_selectorIiNS0_10empty_typeEEEZZNS1_27merge_sort_block_merge_implIS3_N6thrust23THRUST_200600_302600_NS6detail15normal_iteratorINS9_10device_ptrIiEEEEPS5_m14custom_greaterIiEEE10hipError_tT0_T1_T2_jT3_P12ihipStream_tbPNSt15iterator_traitsISJ_E10value_typeEPNSP_ISK_E10value_typeEPSL_NS1_7vsmem_tEENKUlT_SJ_SK_SL_E_clISE_PiSF_SF_EESI_SY_SJ_SK_SL_EUlSY_E_NS1_11comp_targetILNS1_3genE10ELNS1_11target_archE1201ELNS1_3gpuE5ELNS1_3repE0EEENS1_48merge_mergepath_partition_config_static_selectorELNS0_4arch9wavefront6targetE1EEEvSK_.kd
    .uniform_work_group_size: 1
    .uses_dynamic_stack: false
    .vgpr_count:     0
    .vgpr_spill_count: 0
    .wavefront_size: 64
  - .agpr_count:     0
    .args:
      - .offset:         0
        .size:           48
        .value_kind:     by_value
    .group_segment_fixed_size: 0
    .kernarg_segment_align: 8
    .kernarg_segment_size: 48
    .language:       OpenCL C
    .language_version:
      - 2
      - 0
    .max_flat_workgroup_size: 128
    .name:           _ZN7rocprim17ROCPRIM_400000_NS6detail17trampoline_kernelINS0_14default_configENS1_38merge_sort_block_merge_config_selectorIiNS0_10empty_typeEEEZZNS1_27merge_sort_block_merge_implIS3_N6thrust23THRUST_200600_302600_NS6detail15normal_iteratorINS9_10device_ptrIiEEEEPS5_m14custom_greaterIiEEE10hipError_tT0_T1_T2_jT3_P12ihipStream_tbPNSt15iterator_traitsISJ_E10value_typeEPNSP_ISK_E10value_typeEPSL_NS1_7vsmem_tEENKUlT_SJ_SK_SL_E_clISE_PiSF_SF_EESI_SY_SJ_SK_SL_EUlSY_E_NS1_11comp_targetILNS1_3genE5ELNS1_11target_archE942ELNS1_3gpuE9ELNS1_3repE0EEENS1_48merge_mergepath_partition_config_static_selectorELNS0_4arch9wavefront6targetE1EEEvSK_
    .private_segment_fixed_size: 0
    .sgpr_count:     4
    .sgpr_spill_count: 0
    .symbol:         _ZN7rocprim17ROCPRIM_400000_NS6detail17trampoline_kernelINS0_14default_configENS1_38merge_sort_block_merge_config_selectorIiNS0_10empty_typeEEEZZNS1_27merge_sort_block_merge_implIS3_N6thrust23THRUST_200600_302600_NS6detail15normal_iteratorINS9_10device_ptrIiEEEEPS5_m14custom_greaterIiEEE10hipError_tT0_T1_T2_jT3_P12ihipStream_tbPNSt15iterator_traitsISJ_E10value_typeEPNSP_ISK_E10value_typeEPSL_NS1_7vsmem_tEENKUlT_SJ_SK_SL_E_clISE_PiSF_SF_EESI_SY_SJ_SK_SL_EUlSY_E_NS1_11comp_targetILNS1_3genE5ELNS1_11target_archE942ELNS1_3gpuE9ELNS1_3repE0EEENS1_48merge_mergepath_partition_config_static_selectorELNS0_4arch9wavefront6targetE1EEEvSK_.kd
    .uniform_work_group_size: 1
    .uses_dynamic_stack: false
    .vgpr_count:     0
    .vgpr_spill_count: 0
    .wavefront_size: 64
  - .agpr_count:     0
    .args:
      - .offset:         0
        .size:           48
        .value_kind:     by_value
    .group_segment_fixed_size: 0
    .kernarg_segment_align: 8
    .kernarg_segment_size: 48
    .language:       OpenCL C
    .language_version:
      - 2
      - 0
    .max_flat_workgroup_size: 128
    .name:           _ZN7rocprim17ROCPRIM_400000_NS6detail17trampoline_kernelINS0_14default_configENS1_38merge_sort_block_merge_config_selectorIiNS0_10empty_typeEEEZZNS1_27merge_sort_block_merge_implIS3_N6thrust23THRUST_200600_302600_NS6detail15normal_iteratorINS9_10device_ptrIiEEEEPS5_m14custom_greaterIiEEE10hipError_tT0_T1_T2_jT3_P12ihipStream_tbPNSt15iterator_traitsISJ_E10value_typeEPNSP_ISK_E10value_typeEPSL_NS1_7vsmem_tEENKUlT_SJ_SK_SL_E_clISE_PiSF_SF_EESI_SY_SJ_SK_SL_EUlSY_E_NS1_11comp_targetILNS1_3genE4ELNS1_11target_archE910ELNS1_3gpuE8ELNS1_3repE0EEENS1_48merge_mergepath_partition_config_static_selectorELNS0_4arch9wavefront6targetE1EEEvSK_
    .private_segment_fixed_size: 0
    .sgpr_count:     12
    .sgpr_spill_count: 0
    .symbol:         _ZN7rocprim17ROCPRIM_400000_NS6detail17trampoline_kernelINS0_14default_configENS1_38merge_sort_block_merge_config_selectorIiNS0_10empty_typeEEEZZNS1_27merge_sort_block_merge_implIS3_N6thrust23THRUST_200600_302600_NS6detail15normal_iteratorINS9_10device_ptrIiEEEEPS5_m14custom_greaterIiEEE10hipError_tT0_T1_T2_jT3_P12ihipStream_tbPNSt15iterator_traitsISJ_E10value_typeEPNSP_ISK_E10value_typeEPSL_NS1_7vsmem_tEENKUlT_SJ_SK_SL_E_clISE_PiSF_SF_EESI_SY_SJ_SK_SL_EUlSY_E_NS1_11comp_targetILNS1_3genE4ELNS1_11target_archE910ELNS1_3gpuE8ELNS1_3repE0EEENS1_48merge_mergepath_partition_config_static_selectorELNS0_4arch9wavefront6targetE1EEEvSK_.kd
    .uniform_work_group_size: 1
    .uses_dynamic_stack: false
    .vgpr_count:     19
    .vgpr_spill_count: 0
    .wavefront_size: 64
  - .agpr_count:     0
    .args:
      - .offset:         0
        .size:           48
        .value_kind:     by_value
    .group_segment_fixed_size: 0
    .kernarg_segment_align: 8
    .kernarg_segment_size: 48
    .language:       OpenCL C
    .language_version:
      - 2
      - 0
    .max_flat_workgroup_size: 128
    .name:           _ZN7rocprim17ROCPRIM_400000_NS6detail17trampoline_kernelINS0_14default_configENS1_38merge_sort_block_merge_config_selectorIiNS0_10empty_typeEEEZZNS1_27merge_sort_block_merge_implIS3_N6thrust23THRUST_200600_302600_NS6detail15normal_iteratorINS9_10device_ptrIiEEEEPS5_m14custom_greaterIiEEE10hipError_tT0_T1_T2_jT3_P12ihipStream_tbPNSt15iterator_traitsISJ_E10value_typeEPNSP_ISK_E10value_typeEPSL_NS1_7vsmem_tEENKUlT_SJ_SK_SL_E_clISE_PiSF_SF_EESI_SY_SJ_SK_SL_EUlSY_E_NS1_11comp_targetILNS1_3genE3ELNS1_11target_archE908ELNS1_3gpuE7ELNS1_3repE0EEENS1_48merge_mergepath_partition_config_static_selectorELNS0_4arch9wavefront6targetE1EEEvSK_
    .private_segment_fixed_size: 0
    .sgpr_count:     4
    .sgpr_spill_count: 0
    .symbol:         _ZN7rocprim17ROCPRIM_400000_NS6detail17trampoline_kernelINS0_14default_configENS1_38merge_sort_block_merge_config_selectorIiNS0_10empty_typeEEEZZNS1_27merge_sort_block_merge_implIS3_N6thrust23THRUST_200600_302600_NS6detail15normal_iteratorINS9_10device_ptrIiEEEEPS5_m14custom_greaterIiEEE10hipError_tT0_T1_T2_jT3_P12ihipStream_tbPNSt15iterator_traitsISJ_E10value_typeEPNSP_ISK_E10value_typeEPSL_NS1_7vsmem_tEENKUlT_SJ_SK_SL_E_clISE_PiSF_SF_EESI_SY_SJ_SK_SL_EUlSY_E_NS1_11comp_targetILNS1_3genE3ELNS1_11target_archE908ELNS1_3gpuE7ELNS1_3repE0EEENS1_48merge_mergepath_partition_config_static_selectorELNS0_4arch9wavefront6targetE1EEEvSK_.kd
    .uniform_work_group_size: 1
    .uses_dynamic_stack: false
    .vgpr_count:     0
    .vgpr_spill_count: 0
    .wavefront_size: 64
  - .agpr_count:     0
    .args:
      - .offset:         0
        .size:           48
        .value_kind:     by_value
    .group_segment_fixed_size: 0
    .kernarg_segment_align: 8
    .kernarg_segment_size: 48
    .language:       OpenCL C
    .language_version:
      - 2
      - 0
    .max_flat_workgroup_size: 128
    .name:           _ZN7rocprim17ROCPRIM_400000_NS6detail17trampoline_kernelINS0_14default_configENS1_38merge_sort_block_merge_config_selectorIiNS0_10empty_typeEEEZZNS1_27merge_sort_block_merge_implIS3_N6thrust23THRUST_200600_302600_NS6detail15normal_iteratorINS9_10device_ptrIiEEEEPS5_m14custom_greaterIiEEE10hipError_tT0_T1_T2_jT3_P12ihipStream_tbPNSt15iterator_traitsISJ_E10value_typeEPNSP_ISK_E10value_typeEPSL_NS1_7vsmem_tEENKUlT_SJ_SK_SL_E_clISE_PiSF_SF_EESI_SY_SJ_SK_SL_EUlSY_E_NS1_11comp_targetILNS1_3genE2ELNS1_11target_archE906ELNS1_3gpuE6ELNS1_3repE0EEENS1_48merge_mergepath_partition_config_static_selectorELNS0_4arch9wavefront6targetE1EEEvSK_
    .private_segment_fixed_size: 0
    .sgpr_count:     4
    .sgpr_spill_count: 0
    .symbol:         _ZN7rocprim17ROCPRIM_400000_NS6detail17trampoline_kernelINS0_14default_configENS1_38merge_sort_block_merge_config_selectorIiNS0_10empty_typeEEEZZNS1_27merge_sort_block_merge_implIS3_N6thrust23THRUST_200600_302600_NS6detail15normal_iteratorINS9_10device_ptrIiEEEEPS5_m14custom_greaterIiEEE10hipError_tT0_T1_T2_jT3_P12ihipStream_tbPNSt15iterator_traitsISJ_E10value_typeEPNSP_ISK_E10value_typeEPSL_NS1_7vsmem_tEENKUlT_SJ_SK_SL_E_clISE_PiSF_SF_EESI_SY_SJ_SK_SL_EUlSY_E_NS1_11comp_targetILNS1_3genE2ELNS1_11target_archE906ELNS1_3gpuE6ELNS1_3repE0EEENS1_48merge_mergepath_partition_config_static_selectorELNS0_4arch9wavefront6targetE1EEEvSK_.kd
    .uniform_work_group_size: 1
    .uses_dynamic_stack: false
    .vgpr_count:     0
    .vgpr_spill_count: 0
    .wavefront_size: 64
  - .agpr_count:     0
    .args:
      - .offset:         0
        .size:           48
        .value_kind:     by_value
    .group_segment_fixed_size: 0
    .kernarg_segment_align: 8
    .kernarg_segment_size: 48
    .language:       OpenCL C
    .language_version:
      - 2
      - 0
    .max_flat_workgroup_size: 128
    .name:           _ZN7rocprim17ROCPRIM_400000_NS6detail17trampoline_kernelINS0_14default_configENS1_38merge_sort_block_merge_config_selectorIiNS0_10empty_typeEEEZZNS1_27merge_sort_block_merge_implIS3_N6thrust23THRUST_200600_302600_NS6detail15normal_iteratorINS9_10device_ptrIiEEEEPS5_m14custom_greaterIiEEE10hipError_tT0_T1_T2_jT3_P12ihipStream_tbPNSt15iterator_traitsISJ_E10value_typeEPNSP_ISK_E10value_typeEPSL_NS1_7vsmem_tEENKUlT_SJ_SK_SL_E_clISE_PiSF_SF_EESI_SY_SJ_SK_SL_EUlSY_E_NS1_11comp_targetILNS1_3genE9ELNS1_11target_archE1100ELNS1_3gpuE3ELNS1_3repE0EEENS1_48merge_mergepath_partition_config_static_selectorELNS0_4arch9wavefront6targetE1EEEvSK_
    .private_segment_fixed_size: 0
    .sgpr_count:     4
    .sgpr_spill_count: 0
    .symbol:         _ZN7rocprim17ROCPRIM_400000_NS6detail17trampoline_kernelINS0_14default_configENS1_38merge_sort_block_merge_config_selectorIiNS0_10empty_typeEEEZZNS1_27merge_sort_block_merge_implIS3_N6thrust23THRUST_200600_302600_NS6detail15normal_iteratorINS9_10device_ptrIiEEEEPS5_m14custom_greaterIiEEE10hipError_tT0_T1_T2_jT3_P12ihipStream_tbPNSt15iterator_traitsISJ_E10value_typeEPNSP_ISK_E10value_typeEPSL_NS1_7vsmem_tEENKUlT_SJ_SK_SL_E_clISE_PiSF_SF_EESI_SY_SJ_SK_SL_EUlSY_E_NS1_11comp_targetILNS1_3genE9ELNS1_11target_archE1100ELNS1_3gpuE3ELNS1_3repE0EEENS1_48merge_mergepath_partition_config_static_selectorELNS0_4arch9wavefront6targetE1EEEvSK_.kd
    .uniform_work_group_size: 1
    .uses_dynamic_stack: false
    .vgpr_count:     0
    .vgpr_spill_count: 0
    .wavefront_size: 64
  - .agpr_count:     0
    .args:
      - .offset:         0
        .size:           48
        .value_kind:     by_value
    .group_segment_fixed_size: 0
    .kernarg_segment_align: 8
    .kernarg_segment_size: 48
    .language:       OpenCL C
    .language_version:
      - 2
      - 0
    .max_flat_workgroup_size: 128
    .name:           _ZN7rocprim17ROCPRIM_400000_NS6detail17trampoline_kernelINS0_14default_configENS1_38merge_sort_block_merge_config_selectorIiNS0_10empty_typeEEEZZNS1_27merge_sort_block_merge_implIS3_N6thrust23THRUST_200600_302600_NS6detail15normal_iteratorINS9_10device_ptrIiEEEEPS5_m14custom_greaterIiEEE10hipError_tT0_T1_T2_jT3_P12ihipStream_tbPNSt15iterator_traitsISJ_E10value_typeEPNSP_ISK_E10value_typeEPSL_NS1_7vsmem_tEENKUlT_SJ_SK_SL_E_clISE_PiSF_SF_EESI_SY_SJ_SK_SL_EUlSY_E_NS1_11comp_targetILNS1_3genE8ELNS1_11target_archE1030ELNS1_3gpuE2ELNS1_3repE0EEENS1_48merge_mergepath_partition_config_static_selectorELNS0_4arch9wavefront6targetE1EEEvSK_
    .private_segment_fixed_size: 0
    .sgpr_count:     4
    .sgpr_spill_count: 0
    .symbol:         _ZN7rocprim17ROCPRIM_400000_NS6detail17trampoline_kernelINS0_14default_configENS1_38merge_sort_block_merge_config_selectorIiNS0_10empty_typeEEEZZNS1_27merge_sort_block_merge_implIS3_N6thrust23THRUST_200600_302600_NS6detail15normal_iteratorINS9_10device_ptrIiEEEEPS5_m14custom_greaterIiEEE10hipError_tT0_T1_T2_jT3_P12ihipStream_tbPNSt15iterator_traitsISJ_E10value_typeEPNSP_ISK_E10value_typeEPSL_NS1_7vsmem_tEENKUlT_SJ_SK_SL_E_clISE_PiSF_SF_EESI_SY_SJ_SK_SL_EUlSY_E_NS1_11comp_targetILNS1_3genE8ELNS1_11target_archE1030ELNS1_3gpuE2ELNS1_3repE0EEENS1_48merge_mergepath_partition_config_static_selectorELNS0_4arch9wavefront6targetE1EEEvSK_.kd
    .uniform_work_group_size: 1
    .uses_dynamic_stack: false
    .vgpr_count:     0
    .vgpr_spill_count: 0
    .wavefront_size: 64
  - .agpr_count:     0
    .args:
      - .offset:         0
        .size:           72
        .value_kind:     by_value
    .group_segment_fixed_size: 0
    .kernarg_segment_align: 8
    .kernarg_segment_size: 72
    .language:       OpenCL C
    .language_version:
      - 2
      - 0
    .max_flat_workgroup_size: 128
    .name:           _ZN7rocprim17ROCPRIM_400000_NS6detail17trampoline_kernelINS0_14default_configENS1_38merge_sort_block_merge_config_selectorIiNS0_10empty_typeEEEZZNS1_27merge_sort_block_merge_implIS3_N6thrust23THRUST_200600_302600_NS6detail15normal_iteratorINS9_10device_ptrIiEEEEPS5_m14custom_greaterIiEEE10hipError_tT0_T1_T2_jT3_P12ihipStream_tbPNSt15iterator_traitsISJ_E10value_typeEPNSP_ISK_E10value_typeEPSL_NS1_7vsmem_tEENKUlT_SJ_SK_SL_E_clISE_PiSF_SF_EESI_SY_SJ_SK_SL_EUlSY_E0_NS1_11comp_targetILNS1_3genE0ELNS1_11target_archE4294967295ELNS1_3gpuE0ELNS1_3repE0EEENS1_38merge_mergepath_config_static_selectorELNS0_4arch9wavefront6targetE1EEEvSK_
    .private_segment_fixed_size: 0
    .sgpr_count:     4
    .sgpr_spill_count: 0
    .symbol:         _ZN7rocprim17ROCPRIM_400000_NS6detail17trampoline_kernelINS0_14default_configENS1_38merge_sort_block_merge_config_selectorIiNS0_10empty_typeEEEZZNS1_27merge_sort_block_merge_implIS3_N6thrust23THRUST_200600_302600_NS6detail15normal_iteratorINS9_10device_ptrIiEEEEPS5_m14custom_greaterIiEEE10hipError_tT0_T1_T2_jT3_P12ihipStream_tbPNSt15iterator_traitsISJ_E10value_typeEPNSP_ISK_E10value_typeEPSL_NS1_7vsmem_tEENKUlT_SJ_SK_SL_E_clISE_PiSF_SF_EESI_SY_SJ_SK_SL_EUlSY_E0_NS1_11comp_targetILNS1_3genE0ELNS1_11target_archE4294967295ELNS1_3gpuE0ELNS1_3repE0EEENS1_38merge_mergepath_config_static_selectorELNS0_4arch9wavefront6targetE1EEEvSK_.kd
    .uniform_work_group_size: 1
    .uses_dynamic_stack: false
    .vgpr_count:     0
    .vgpr_spill_count: 0
    .wavefront_size: 64
  - .agpr_count:     0
    .args:
      - .offset:         0
        .size:           72
        .value_kind:     by_value
    .group_segment_fixed_size: 0
    .kernarg_segment_align: 8
    .kernarg_segment_size: 72
    .language:       OpenCL C
    .language_version:
      - 2
      - 0
    .max_flat_workgroup_size: 256
    .name:           _ZN7rocprim17ROCPRIM_400000_NS6detail17trampoline_kernelINS0_14default_configENS1_38merge_sort_block_merge_config_selectorIiNS0_10empty_typeEEEZZNS1_27merge_sort_block_merge_implIS3_N6thrust23THRUST_200600_302600_NS6detail15normal_iteratorINS9_10device_ptrIiEEEEPS5_m14custom_greaterIiEEE10hipError_tT0_T1_T2_jT3_P12ihipStream_tbPNSt15iterator_traitsISJ_E10value_typeEPNSP_ISK_E10value_typeEPSL_NS1_7vsmem_tEENKUlT_SJ_SK_SL_E_clISE_PiSF_SF_EESI_SY_SJ_SK_SL_EUlSY_E0_NS1_11comp_targetILNS1_3genE10ELNS1_11target_archE1201ELNS1_3gpuE5ELNS1_3repE0EEENS1_38merge_mergepath_config_static_selectorELNS0_4arch9wavefront6targetE1EEEvSK_
    .private_segment_fixed_size: 0
    .sgpr_count:     4
    .sgpr_spill_count: 0
    .symbol:         _ZN7rocprim17ROCPRIM_400000_NS6detail17trampoline_kernelINS0_14default_configENS1_38merge_sort_block_merge_config_selectorIiNS0_10empty_typeEEEZZNS1_27merge_sort_block_merge_implIS3_N6thrust23THRUST_200600_302600_NS6detail15normal_iteratorINS9_10device_ptrIiEEEEPS5_m14custom_greaterIiEEE10hipError_tT0_T1_T2_jT3_P12ihipStream_tbPNSt15iterator_traitsISJ_E10value_typeEPNSP_ISK_E10value_typeEPSL_NS1_7vsmem_tEENKUlT_SJ_SK_SL_E_clISE_PiSF_SF_EESI_SY_SJ_SK_SL_EUlSY_E0_NS1_11comp_targetILNS1_3genE10ELNS1_11target_archE1201ELNS1_3gpuE5ELNS1_3repE0EEENS1_38merge_mergepath_config_static_selectorELNS0_4arch9wavefront6targetE1EEEvSK_.kd
    .uniform_work_group_size: 1
    .uses_dynamic_stack: false
    .vgpr_count:     0
    .vgpr_spill_count: 0
    .wavefront_size: 64
  - .agpr_count:     0
    .args:
      - .offset:         0
        .size:           72
        .value_kind:     by_value
    .group_segment_fixed_size: 0
    .kernarg_segment_align: 8
    .kernarg_segment_size: 72
    .language:       OpenCL C
    .language_version:
      - 2
      - 0
    .max_flat_workgroup_size: 128
    .name:           _ZN7rocprim17ROCPRIM_400000_NS6detail17trampoline_kernelINS0_14default_configENS1_38merge_sort_block_merge_config_selectorIiNS0_10empty_typeEEEZZNS1_27merge_sort_block_merge_implIS3_N6thrust23THRUST_200600_302600_NS6detail15normal_iteratorINS9_10device_ptrIiEEEEPS5_m14custom_greaterIiEEE10hipError_tT0_T1_T2_jT3_P12ihipStream_tbPNSt15iterator_traitsISJ_E10value_typeEPNSP_ISK_E10value_typeEPSL_NS1_7vsmem_tEENKUlT_SJ_SK_SL_E_clISE_PiSF_SF_EESI_SY_SJ_SK_SL_EUlSY_E0_NS1_11comp_targetILNS1_3genE5ELNS1_11target_archE942ELNS1_3gpuE9ELNS1_3repE0EEENS1_38merge_mergepath_config_static_selectorELNS0_4arch9wavefront6targetE1EEEvSK_
    .private_segment_fixed_size: 0
    .sgpr_count:     4
    .sgpr_spill_count: 0
    .symbol:         _ZN7rocprim17ROCPRIM_400000_NS6detail17trampoline_kernelINS0_14default_configENS1_38merge_sort_block_merge_config_selectorIiNS0_10empty_typeEEEZZNS1_27merge_sort_block_merge_implIS3_N6thrust23THRUST_200600_302600_NS6detail15normal_iteratorINS9_10device_ptrIiEEEEPS5_m14custom_greaterIiEEE10hipError_tT0_T1_T2_jT3_P12ihipStream_tbPNSt15iterator_traitsISJ_E10value_typeEPNSP_ISK_E10value_typeEPSL_NS1_7vsmem_tEENKUlT_SJ_SK_SL_E_clISE_PiSF_SF_EESI_SY_SJ_SK_SL_EUlSY_E0_NS1_11comp_targetILNS1_3genE5ELNS1_11target_archE942ELNS1_3gpuE9ELNS1_3repE0EEENS1_38merge_mergepath_config_static_selectorELNS0_4arch9wavefront6targetE1EEEvSK_.kd
    .uniform_work_group_size: 1
    .uses_dynamic_stack: false
    .vgpr_count:     0
    .vgpr_spill_count: 0
    .wavefront_size: 64
  - .agpr_count:     0
    .args:
      - .offset:         0
        .size:           72
        .value_kind:     by_value
      - .offset:         72
        .size:           4
        .value_kind:     hidden_block_count_x
      - .offset:         76
        .size:           4
        .value_kind:     hidden_block_count_y
      - .offset:         80
        .size:           4
        .value_kind:     hidden_block_count_z
      - .offset:         84
        .size:           2
        .value_kind:     hidden_group_size_x
      - .offset:         86
        .size:           2
        .value_kind:     hidden_group_size_y
      - .offset:         88
        .size:           2
        .value_kind:     hidden_group_size_z
      - .offset:         90
        .size:           2
        .value_kind:     hidden_remainder_x
      - .offset:         92
        .size:           2
        .value_kind:     hidden_remainder_y
      - .offset:         94
        .size:           2
        .value_kind:     hidden_remainder_z
      - .offset:         112
        .size:           8
        .value_kind:     hidden_global_offset_x
      - .offset:         120
        .size:           8
        .value_kind:     hidden_global_offset_y
      - .offset:         128
        .size:           8
        .value_kind:     hidden_global_offset_z
      - .offset:         136
        .size:           2
        .value_kind:     hidden_grid_dims
    .group_segment_fixed_size: 4224
    .kernarg_segment_align: 8
    .kernarg_segment_size: 328
    .language:       OpenCL C
    .language_version:
      - 2
      - 0
    .max_flat_workgroup_size: 128
    .name:           _ZN7rocprim17ROCPRIM_400000_NS6detail17trampoline_kernelINS0_14default_configENS1_38merge_sort_block_merge_config_selectorIiNS0_10empty_typeEEEZZNS1_27merge_sort_block_merge_implIS3_N6thrust23THRUST_200600_302600_NS6detail15normal_iteratorINS9_10device_ptrIiEEEEPS5_m14custom_greaterIiEEE10hipError_tT0_T1_T2_jT3_P12ihipStream_tbPNSt15iterator_traitsISJ_E10value_typeEPNSP_ISK_E10value_typeEPSL_NS1_7vsmem_tEENKUlT_SJ_SK_SL_E_clISE_PiSF_SF_EESI_SY_SJ_SK_SL_EUlSY_E0_NS1_11comp_targetILNS1_3genE4ELNS1_11target_archE910ELNS1_3gpuE8ELNS1_3repE0EEENS1_38merge_mergepath_config_static_selectorELNS0_4arch9wavefront6targetE1EEEvSK_
    .private_segment_fixed_size: 0
    .sgpr_count:     35
    .sgpr_spill_count: 0
    .symbol:         _ZN7rocprim17ROCPRIM_400000_NS6detail17trampoline_kernelINS0_14default_configENS1_38merge_sort_block_merge_config_selectorIiNS0_10empty_typeEEEZZNS1_27merge_sort_block_merge_implIS3_N6thrust23THRUST_200600_302600_NS6detail15normal_iteratorINS9_10device_ptrIiEEEEPS5_m14custom_greaterIiEEE10hipError_tT0_T1_T2_jT3_P12ihipStream_tbPNSt15iterator_traitsISJ_E10value_typeEPNSP_ISK_E10value_typeEPSL_NS1_7vsmem_tEENKUlT_SJ_SK_SL_E_clISE_PiSF_SF_EESI_SY_SJ_SK_SL_EUlSY_E0_NS1_11comp_targetILNS1_3genE4ELNS1_11target_archE910ELNS1_3gpuE8ELNS1_3repE0EEENS1_38merge_mergepath_config_static_selectorELNS0_4arch9wavefront6targetE1EEEvSK_.kd
    .uniform_work_group_size: 1
    .uses_dynamic_stack: false
    .vgpr_count:     26
    .vgpr_spill_count: 0
    .wavefront_size: 64
  - .agpr_count:     0
    .args:
      - .offset:         0
        .size:           72
        .value_kind:     by_value
    .group_segment_fixed_size: 0
    .kernarg_segment_align: 8
    .kernarg_segment_size: 72
    .language:       OpenCL C
    .language_version:
      - 2
      - 0
    .max_flat_workgroup_size: 128
    .name:           _ZN7rocprim17ROCPRIM_400000_NS6detail17trampoline_kernelINS0_14default_configENS1_38merge_sort_block_merge_config_selectorIiNS0_10empty_typeEEEZZNS1_27merge_sort_block_merge_implIS3_N6thrust23THRUST_200600_302600_NS6detail15normal_iteratorINS9_10device_ptrIiEEEEPS5_m14custom_greaterIiEEE10hipError_tT0_T1_T2_jT3_P12ihipStream_tbPNSt15iterator_traitsISJ_E10value_typeEPNSP_ISK_E10value_typeEPSL_NS1_7vsmem_tEENKUlT_SJ_SK_SL_E_clISE_PiSF_SF_EESI_SY_SJ_SK_SL_EUlSY_E0_NS1_11comp_targetILNS1_3genE3ELNS1_11target_archE908ELNS1_3gpuE7ELNS1_3repE0EEENS1_38merge_mergepath_config_static_selectorELNS0_4arch9wavefront6targetE1EEEvSK_
    .private_segment_fixed_size: 0
    .sgpr_count:     4
    .sgpr_spill_count: 0
    .symbol:         _ZN7rocprim17ROCPRIM_400000_NS6detail17trampoline_kernelINS0_14default_configENS1_38merge_sort_block_merge_config_selectorIiNS0_10empty_typeEEEZZNS1_27merge_sort_block_merge_implIS3_N6thrust23THRUST_200600_302600_NS6detail15normal_iteratorINS9_10device_ptrIiEEEEPS5_m14custom_greaterIiEEE10hipError_tT0_T1_T2_jT3_P12ihipStream_tbPNSt15iterator_traitsISJ_E10value_typeEPNSP_ISK_E10value_typeEPSL_NS1_7vsmem_tEENKUlT_SJ_SK_SL_E_clISE_PiSF_SF_EESI_SY_SJ_SK_SL_EUlSY_E0_NS1_11comp_targetILNS1_3genE3ELNS1_11target_archE908ELNS1_3gpuE7ELNS1_3repE0EEENS1_38merge_mergepath_config_static_selectorELNS0_4arch9wavefront6targetE1EEEvSK_.kd
    .uniform_work_group_size: 1
    .uses_dynamic_stack: false
    .vgpr_count:     0
    .vgpr_spill_count: 0
    .wavefront_size: 64
  - .agpr_count:     0
    .args:
      - .offset:         0
        .size:           72
        .value_kind:     by_value
    .group_segment_fixed_size: 0
    .kernarg_segment_align: 8
    .kernarg_segment_size: 72
    .language:       OpenCL C
    .language_version:
      - 2
      - 0
    .max_flat_workgroup_size: 128
    .name:           _ZN7rocprim17ROCPRIM_400000_NS6detail17trampoline_kernelINS0_14default_configENS1_38merge_sort_block_merge_config_selectorIiNS0_10empty_typeEEEZZNS1_27merge_sort_block_merge_implIS3_N6thrust23THRUST_200600_302600_NS6detail15normal_iteratorINS9_10device_ptrIiEEEEPS5_m14custom_greaterIiEEE10hipError_tT0_T1_T2_jT3_P12ihipStream_tbPNSt15iterator_traitsISJ_E10value_typeEPNSP_ISK_E10value_typeEPSL_NS1_7vsmem_tEENKUlT_SJ_SK_SL_E_clISE_PiSF_SF_EESI_SY_SJ_SK_SL_EUlSY_E0_NS1_11comp_targetILNS1_3genE2ELNS1_11target_archE906ELNS1_3gpuE6ELNS1_3repE0EEENS1_38merge_mergepath_config_static_selectorELNS0_4arch9wavefront6targetE1EEEvSK_
    .private_segment_fixed_size: 0
    .sgpr_count:     4
    .sgpr_spill_count: 0
    .symbol:         _ZN7rocprim17ROCPRIM_400000_NS6detail17trampoline_kernelINS0_14default_configENS1_38merge_sort_block_merge_config_selectorIiNS0_10empty_typeEEEZZNS1_27merge_sort_block_merge_implIS3_N6thrust23THRUST_200600_302600_NS6detail15normal_iteratorINS9_10device_ptrIiEEEEPS5_m14custom_greaterIiEEE10hipError_tT0_T1_T2_jT3_P12ihipStream_tbPNSt15iterator_traitsISJ_E10value_typeEPNSP_ISK_E10value_typeEPSL_NS1_7vsmem_tEENKUlT_SJ_SK_SL_E_clISE_PiSF_SF_EESI_SY_SJ_SK_SL_EUlSY_E0_NS1_11comp_targetILNS1_3genE2ELNS1_11target_archE906ELNS1_3gpuE6ELNS1_3repE0EEENS1_38merge_mergepath_config_static_selectorELNS0_4arch9wavefront6targetE1EEEvSK_.kd
    .uniform_work_group_size: 1
    .uses_dynamic_stack: false
    .vgpr_count:     0
    .vgpr_spill_count: 0
    .wavefront_size: 64
  - .agpr_count:     0
    .args:
      - .offset:         0
        .size:           72
        .value_kind:     by_value
    .group_segment_fixed_size: 0
    .kernarg_segment_align: 8
    .kernarg_segment_size: 72
    .language:       OpenCL C
    .language_version:
      - 2
      - 0
    .max_flat_workgroup_size: 256
    .name:           _ZN7rocprim17ROCPRIM_400000_NS6detail17trampoline_kernelINS0_14default_configENS1_38merge_sort_block_merge_config_selectorIiNS0_10empty_typeEEEZZNS1_27merge_sort_block_merge_implIS3_N6thrust23THRUST_200600_302600_NS6detail15normal_iteratorINS9_10device_ptrIiEEEEPS5_m14custom_greaterIiEEE10hipError_tT0_T1_T2_jT3_P12ihipStream_tbPNSt15iterator_traitsISJ_E10value_typeEPNSP_ISK_E10value_typeEPSL_NS1_7vsmem_tEENKUlT_SJ_SK_SL_E_clISE_PiSF_SF_EESI_SY_SJ_SK_SL_EUlSY_E0_NS1_11comp_targetILNS1_3genE9ELNS1_11target_archE1100ELNS1_3gpuE3ELNS1_3repE0EEENS1_38merge_mergepath_config_static_selectorELNS0_4arch9wavefront6targetE1EEEvSK_
    .private_segment_fixed_size: 0
    .sgpr_count:     4
    .sgpr_spill_count: 0
    .symbol:         _ZN7rocprim17ROCPRIM_400000_NS6detail17trampoline_kernelINS0_14default_configENS1_38merge_sort_block_merge_config_selectorIiNS0_10empty_typeEEEZZNS1_27merge_sort_block_merge_implIS3_N6thrust23THRUST_200600_302600_NS6detail15normal_iteratorINS9_10device_ptrIiEEEEPS5_m14custom_greaterIiEEE10hipError_tT0_T1_T2_jT3_P12ihipStream_tbPNSt15iterator_traitsISJ_E10value_typeEPNSP_ISK_E10value_typeEPSL_NS1_7vsmem_tEENKUlT_SJ_SK_SL_E_clISE_PiSF_SF_EESI_SY_SJ_SK_SL_EUlSY_E0_NS1_11comp_targetILNS1_3genE9ELNS1_11target_archE1100ELNS1_3gpuE3ELNS1_3repE0EEENS1_38merge_mergepath_config_static_selectorELNS0_4arch9wavefront6targetE1EEEvSK_.kd
    .uniform_work_group_size: 1
    .uses_dynamic_stack: false
    .vgpr_count:     0
    .vgpr_spill_count: 0
    .wavefront_size: 64
  - .agpr_count:     0
    .args:
      - .offset:         0
        .size:           72
        .value_kind:     by_value
    .group_segment_fixed_size: 0
    .kernarg_segment_align: 8
    .kernarg_segment_size: 72
    .language:       OpenCL C
    .language_version:
      - 2
      - 0
    .max_flat_workgroup_size: 512
    .name:           _ZN7rocprim17ROCPRIM_400000_NS6detail17trampoline_kernelINS0_14default_configENS1_38merge_sort_block_merge_config_selectorIiNS0_10empty_typeEEEZZNS1_27merge_sort_block_merge_implIS3_N6thrust23THRUST_200600_302600_NS6detail15normal_iteratorINS9_10device_ptrIiEEEEPS5_m14custom_greaterIiEEE10hipError_tT0_T1_T2_jT3_P12ihipStream_tbPNSt15iterator_traitsISJ_E10value_typeEPNSP_ISK_E10value_typeEPSL_NS1_7vsmem_tEENKUlT_SJ_SK_SL_E_clISE_PiSF_SF_EESI_SY_SJ_SK_SL_EUlSY_E0_NS1_11comp_targetILNS1_3genE8ELNS1_11target_archE1030ELNS1_3gpuE2ELNS1_3repE0EEENS1_38merge_mergepath_config_static_selectorELNS0_4arch9wavefront6targetE1EEEvSK_
    .private_segment_fixed_size: 0
    .sgpr_count:     4
    .sgpr_spill_count: 0
    .symbol:         _ZN7rocprim17ROCPRIM_400000_NS6detail17trampoline_kernelINS0_14default_configENS1_38merge_sort_block_merge_config_selectorIiNS0_10empty_typeEEEZZNS1_27merge_sort_block_merge_implIS3_N6thrust23THRUST_200600_302600_NS6detail15normal_iteratorINS9_10device_ptrIiEEEEPS5_m14custom_greaterIiEEE10hipError_tT0_T1_T2_jT3_P12ihipStream_tbPNSt15iterator_traitsISJ_E10value_typeEPNSP_ISK_E10value_typeEPSL_NS1_7vsmem_tEENKUlT_SJ_SK_SL_E_clISE_PiSF_SF_EESI_SY_SJ_SK_SL_EUlSY_E0_NS1_11comp_targetILNS1_3genE8ELNS1_11target_archE1030ELNS1_3gpuE2ELNS1_3repE0EEENS1_38merge_mergepath_config_static_selectorELNS0_4arch9wavefront6targetE1EEEvSK_.kd
    .uniform_work_group_size: 1
    .uses_dynamic_stack: false
    .vgpr_count:     0
    .vgpr_spill_count: 0
    .wavefront_size: 64
  - .agpr_count:     0
    .args:
      - .offset:         0
        .size:           56
        .value_kind:     by_value
    .group_segment_fixed_size: 0
    .kernarg_segment_align: 8
    .kernarg_segment_size: 56
    .language:       OpenCL C
    .language_version:
      - 2
      - 0
    .max_flat_workgroup_size: 256
    .name:           _ZN7rocprim17ROCPRIM_400000_NS6detail17trampoline_kernelINS0_14default_configENS1_38merge_sort_block_merge_config_selectorIiNS0_10empty_typeEEEZZNS1_27merge_sort_block_merge_implIS3_N6thrust23THRUST_200600_302600_NS6detail15normal_iteratorINS9_10device_ptrIiEEEEPS5_m14custom_greaterIiEEE10hipError_tT0_T1_T2_jT3_P12ihipStream_tbPNSt15iterator_traitsISJ_E10value_typeEPNSP_ISK_E10value_typeEPSL_NS1_7vsmem_tEENKUlT_SJ_SK_SL_E_clISE_PiSF_SF_EESI_SY_SJ_SK_SL_EUlSY_E1_NS1_11comp_targetILNS1_3genE0ELNS1_11target_archE4294967295ELNS1_3gpuE0ELNS1_3repE0EEENS1_36merge_oddeven_config_static_selectorELNS0_4arch9wavefront6targetE1EEEvSK_
    .private_segment_fixed_size: 0
    .sgpr_count:     4
    .sgpr_spill_count: 0
    .symbol:         _ZN7rocprim17ROCPRIM_400000_NS6detail17trampoline_kernelINS0_14default_configENS1_38merge_sort_block_merge_config_selectorIiNS0_10empty_typeEEEZZNS1_27merge_sort_block_merge_implIS3_N6thrust23THRUST_200600_302600_NS6detail15normal_iteratorINS9_10device_ptrIiEEEEPS5_m14custom_greaterIiEEE10hipError_tT0_T1_T2_jT3_P12ihipStream_tbPNSt15iterator_traitsISJ_E10value_typeEPNSP_ISK_E10value_typeEPSL_NS1_7vsmem_tEENKUlT_SJ_SK_SL_E_clISE_PiSF_SF_EESI_SY_SJ_SK_SL_EUlSY_E1_NS1_11comp_targetILNS1_3genE0ELNS1_11target_archE4294967295ELNS1_3gpuE0ELNS1_3repE0EEENS1_36merge_oddeven_config_static_selectorELNS0_4arch9wavefront6targetE1EEEvSK_.kd
    .uniform_work_group_size: 1
    .uses_dynamic_stack: false
    .vgpr_count:     0
    .vgpr_spill_count: 0
    .wavefront_size: 64
  - .agpr_count:     0
    .args:
      - .offset:         0
        .size:           56
        .value_kind:     by_value
    .group_segment_fixed_size: 0
    .kernarg_segment_align: 8
    .kernarg_segment_size: 56
    .language:       OpenCL C
    .language_version:
      - 2
      - 0
    .max_flat_workgroup_size: 256
    .name:           _ZN7rocprim17ROCPRIM_400000_NS6detail17trampoline_kernelINS0_14default_configENS1_38merge_sort_block_merge_config_selectorIiNS0_10empty_typeEEEZZNS1_27merge_sort_block_merge_implIS3_N6thrust23THRUST_200600_302600_NS6detail15normal_iteratorINS9_10device_ptrIiEEEEPS5_m14custom_greaterIiEEE10hipError_tT0_T1_T2_jT3_P12ihipStream_tbPNSt15iterator_traitsISJ_E10value_typeEPNSP_ISK_E10value_typeEPSL_NS1_7vsmem_tEENKUlT_SJ_SK_SL_E_clISE_PiSF_SF_EESI_SY_SJ_SK_SL_EUlSY_E1_NS1_11comp_targetILNS1_3genE10ELNS1_11target_archE1201ELNS1_3gpuE5ELNS1_3repE0EEENS1_36merge_oddeven_config_static_selectorELNS0_4arch9wavefront6targetE1EEEvSK_
    .private_segment_fixed_size: 0
    .sgpr_count:     4
    .sgpr_spill_count: 0
    .symbol:         _ZN7rocprim17ROCPRIM_400000_NS6detail17trampoline_kernelINS0_14default_configENS1_38merge_sort_block_merge_config_selectorIiNS0_10empty_typeEEEZZNS1_27merge_sort_block_merge_implIS3_N6thrust23THRUST_200600_302600_NS6detail15normal_iteratorINS9_10device_ptrIiEEEEPS5_m14custom_greaterIiEEE10hipError_tT0_T1_T2_jT3_P12ihipStream_tbPNSt15iterator_traitsISJ_E10value_typeEPNSP_ISK_E10value_typeEPSL_NS1_7vsmem_tEENKUlT_SJ_SK_SL_E_clISE_PiSF_SF_EESI_SY_SJ_SK_SL_EUlSY_E1_NS1_11comp_targetILNS1_3genE10ELNS1_11target_archE1201ELNS1_3gpuE5ELNS1_3repE0EEENS1_36merge_oddeven_config_static_selectorELNS0_4arch9wavefront6targetE1EEEvSK_.kd
    .uniform_work_group_size: 1
    .uses_dynamic_stack: false
    .vgpr_count:     0
    .vgpr_spill_count: 0
    .wavefront_size: 64
  - .agpr_count:     0
    .args:
      - .offset:         0
        .size:           56
        .value_kind:     by_value
    .group_segment_fixed_size: 0
    .kernarg_segment_align: 8
    .kernarg_segment_size: 56
    .language:       OpenCL C
    .language_version:
      - 2
      - 0
    .max_flat_workgroup_size: 256
    .name:           _ZN7rocprim17ROCPRIM_400000_NS6detail17trampoline_kernelINS0_14default_configENS1_38merge_sort_block_merge_config_selectorIiNS0_10empty_typeEEEZZNS1_27merge_sort_block_merge_implIS3_N6thrust23THRUST_200600_302600_NS6detail15normal_iteratorINS9_10device_ptrIiEEEEPS5_m14custom_greaterIiEEE10hipError_tT0_T1_T2_jT3_P12ihipStream_tbPNSt15iterator_traitsISJ_E10value_typeEPNSP_ISK_E10value_typeEPSL_NS1_7vsmem_tEENKUlT_SJ_SK_SL_E_clISE_PiSF_SF_EESI_SY_SJ_SK_SL_EUlSY_E1_NS1_11comp_targetILNS1_3genE5ELNS1_11target_archE942ELNS1_3gpuE9ELNS1_3repE0EEENS1_36merge_oddeven_config_static_selectorELNS0_4arch9wavefront6targetE1EEEvSK_
    .private_segment_fixed_size: 0
    .sgpr_count:     4
    .sgpr_spill_count: 0
    .symbol:         _ZN7rocprim17ROCPRIM_400000_NS6detail17trampoline_kernelINS0_14default_configENS1_38merge_sort_block_merge_config_selectorIiNS0_10empty_typeEEEZZNS1_27merge_sort_block_merge_implIS3_N6thrust23THRUST_200600_302600_NS6detail15normal_iteratorINS9_10device_ptrIiEEEEPS5_m14custom_greaterIiEEE10hipError_tT0_T1_T2_jT3_P12ihipStream_tbPNSt15iterator_traitsISJ_E10value_typeEPNSP_ISK_E10value_typeEPSL_NS1_7vsmem_tEENKUlT_SJ_SK_SL_E_clISE_PiSF_SF_EESI_SY_SJ_SK_SL_EUlSY_E1_NS1_11comp_targetILNS1_3genE5ELNS1_11target_archE942ELNS1_3gpuE9ELNS1_3repE0EEENS1_36merge_oddeven_config_static_selectorELNS0_4arch9wavefront6targetE1EEEvSK_.kd
    .uniform_work_group_size: 1
    .uses_dynamic_stack: false
    .vgpr_count:     0
    .vgpr_spill_count: 0
    .wavefront_size: 64
  - .agpr_count:     0
    .args:
      - .offset:         0
        .size:           56
        .value_kind:     by_value
    .group_segment_fixed_size: 0
    .kernarg_segment_align: 8
    .kernarg_segment_size: 56
    .language:       OpenCL C
    .language_version:
      - 2
      - 0
    .max_flat_workgroup_size: 256
    .name:           _ZN7rocprim17ROCPRIM_400000_NS6detail17trampoline_kernelINS0_14default_configENS1_38merge_sort_block_merge_config_selectorIiNS0_10empty_typeEEEZZNS1_27merge_sort_block_merge_implIS3_N6thrust23THRUST_200600_302600_NS6detail15normal_iteratorINS9_10device_ptrIiEEEEPS5_m14custom_greaterIiEEE10hipError_tT0_T1_T2_jT3_P12ihipStream_tbPNSt15iterator_traitsISJ_E10value_typeEPNSP_ISK_E10value_typeEPSL_NS1_7vsmem_tEENKUlT_SJ_SK_SL_E_clISE_PiSF_SF_EESI_SY_SJ_SK_SL_EUlSY_E1_NS1_11comp_targetILNS1_3genE4ELNS1_11target_archE910ELNS1_3gpuE8ELNS1_3repE0EEENS1_36merge_oddeven_config_static_selectorELNS0_4arch9wavefront6targetE1EEEvSK_
    .private_segment_fixed_size: 0
    .sgpr_count:     25
    .sgpr_spill_count: 0
    .symbol:         _ZN7rocprim17ROCPRIM_400000_NS6detail17trampoline_kernelINS0_14default_configENS1_38merge_sort_block_merge_config_selectorIiNS0_10empty_typeEEEZZNS1_27merge_sort_block_merge_implIS3_N6thrust23THRUST_200600_302600_NS6detail15normal_iteratorINS9_10device_ptrIiEEEEPS5_m14custom_greaterIiEEE10hipError_tT0_T1_T2_jT3_P12ihipStream_tbPNSt15iterator_traitsISJ_E10value_typeEPNSP_ISK_E10value_typeEPSL_NS1_7vsmem_tEENKUlT_SJ_SK_SL_E_clISE_PiSF_SF_EESI_SY_SJ_SK_SL_EUlSY_E1_NS1_11comp_targetILNS1_3genE4ELNS1_11target_archE910ELNS1_3gpuE8ELNS1_3repE0EEENS1_36merge_oddeven_config_static_selectorELNS0_4arch9wavefront6targetE1EEEvSK_.kd
    .uniform_work_group_size: 1
    .uses_dynamic_stack: false
    .vgpr_count:     10
    .vgpr_spill_count: 0
    .wavefront_size: 64
  - .agpr_count:     0
    .args:
      - .offset:         0
        .size:           56
        .value_kind:     by_value
    .group_segment_fixed_size: 0
    .kernarg_segment_align: 8
    .kernarg_segment_size: 56
    .language:       OpenCL C
    .language_version:
      - 2
      - 0
    .max_flat_workgroup_size: 256
    .name:           _ZN7rocprim17ROCPRIM_400000_NS6detail17trampoline_kernelINS0_14default_configENS1_38merge_sort_block_merge_config_selectorIiNS0_10empty_typeEEEZZNS1_27merge_sort_block_merge_implIS3_N6thrust23THRUST_200600_302600_NS6detail15normal_iteratorINS9_10device_ptrIiEEEEPS5_m14custom_greaterIiEEE10hipError_tT0_T1_T2_jT3_P12ihipStream_tbPNSt15iterator_traitsISJ_E10value_typeEPNSP_ISK_E10value_typeEPSL_NS1_7vsmem_tEENKUlT_SJ_SK_SL_E_clISE_PiSF_SF_EESI_SY_SJ_SK_SL_EUlSY_E1_NS1_11comp_targetILNS1_3genE3ELNS1_11target_archE908ELNS1_3gpuE7ELNS1_3repE0EEENS1_36merge_oddeven_config_static_selectorELNS0_4arch9wavefront6targetE1EEEvSK_
    .private_segment_fixed_size: 0
    .sgpr_count:     4
    .sgpr_spill_count: 0
    .symbol:         _ZN7rocprim17ROCPRIM_400000_NS6detail17trampoline_kernelINS0_14default_configENS1_38merge_sort_block_merge_config_selectorIiNS0_10empty_typeEEEZZNS1_27merge_sort_block_merge_implIS3_N6thrust23THRUST_200600_302600_NS6detail15normal_iteratorINS9_10device_ptrIiEEEEPS5_m14custom_greaterIiEEE10hipError_tT0_T1_T2_jT3_P12ihipStream_tbPNSt15iterator_traitsISJ_E10value_typeEPNSP_ISK_E10value_typeEPSL_NS1_7vsmem_tEENKUlT_SJ_SK_SL_E_clISE_PiSF_SF_EESI_SY_SJ_SK_SL_EUlSY_E1_NS1_11comp_targetILNS1_3genE3ELNS1_11target_archE908ELNS1_3gpuE7ELNS1_3repE0EEENS1_36merge_oddeven_config_static_selectorELNS0_4arch9wavefront6targetE1EEEvSK_.kd
    .uniform_work_group_size: 1
    .uses_dynamic_stack: false
    .vgpr_count:     0
    .vgpr_spill_count: 0
    .wavefront_size: 64
  - .agpr_count:     0
    .args:
      - .offset:         0
        .size:           56
        .value_kind:     by_value
    .group_segment_fixed_size: 0
    .kernarg_segment_align: 8
    .kernarg_segment_size: 56
    .language:       OpenCL C
    .language_version:
      - 2
      - 0
    .max_flat_workgroup_size: 256
    .name:           _ZN7rocprim17ROCPRIM_400000_NS6detail17trampoline_kernelINS0_14default_configENS1_38merge_sort_block_merge_config_selectorIiNS0_10empty_typeEEEZZNS1_27merge_sort_block_merge_implIS3_N6thrust23THRUST_200600_302600_NS6detail15normal_iteratorINS9_10device_ptrIiEEEEPS5_m14custom_greaterIiEEE10hipError_tT0_T1_T2_jT3_P12ihipStream_tbPNSt15iterator_traitsISJ_E10value_typeEPNSP_ISK_E10value_typeEPSL_NS1_7vsmem_tEENKUlT_SJ_SK_SL_E_clISE_PiSF_SF_EESI_SY_SJ_SK_SL_EUlSY_E1_NS1_11comp_targetILNS1_3genE2ELNS1_11target_archE906ELNS1_3gpuE6ELNS1_3repE0EEENS1_36merge_oddeven_config_static_selectorELNS0_4arch9wavefront6targetE1EEEvSK_
    .private_segment_fixed_size: 0
    .sgpr_count:     4
    .sgpr_spill_count: 0
    .symbol:         _ZN7rocprim17ROCPRIM_400000_NS6detail17trampoline_kernelINS0_14default_configENS1_38merge_sort_block_merge_config_selectorIiNS0_10empty_typeEEEZZNS1_27merge_sort_block_merge_implIS3_N6thrust23THRUST_200600_302600_NS6detail15normal_iteratorINS9_10device_ptrIiEEEEPS5_m14custom_greaterIiEEE10hipError_tT0_T1_T2_jT3_P12ihipStream_tbPNSt15iterator_traitsISJ_E10value_typeEPNSP_ISK_E10value_typeEPSL_NS1_7vsmem_tEENKUlT_SJ_SK_SL_E_clISE_PiSF_SF_EESI_SY_SJ_SK_SL_EUlSY_E1_NS1_11comp_targetILNS1_3genE2ELNS1_11target_archE906ELNS1_3gpuE6ELNS1_3repE0EEENS1_36merge_oddeven_config_static_selectorELNS0_4arch9wavefront6targetE1EEEvSK_.kd
    .uniform_work_group_size: 1
    .uses_dynamic_stack: false
    .vgpr_count:     0
    .vgpr_spill_count: 0
    .wavefront_size: 64
  - .agpr_count:     0
    .args:
      - .offset:         0
        .size:           56
        .value_kind:     by_value
    .group_segment_fixed_size: 0
    .kernarg_segment_align: 8
    .kernarg_segment_size: 56
    .language:       OpenCL C
    .language_version:
      - 2
      - 0
    .max_flat_workgroup_size: 256
    .name:           _ZN7rocprim17ROCPRIM_400000_NS6detail17trampoline_kernelINS0_14default_configENS1_38merge_sort_block_merge_config_selectorIiNS0_10empty_typeEEEZZNS1_27merge_sort_block_merge_implIS3_N6thrust23THRUST_200600_302600_NS6detail15normal_iteratorINS9_10device_ptrIiEEEEPS5_m14custom_greaterIiEEE10hipError_tT0_T1_T2_jT3_P12ihipStream_tbPNSt15iterator_traitsISJ_E10value_typeEPNSP_ISK_E10value_typeEPSL_NS1_7vsmem_tEENKUlT_SJ_SK_SL_E_clISE_PiSF_SF_EESI_SY_SJ_SK_SL_EUlSY_E1_NS1_11comp_targetILNS1_3genE9ELNS1_11target_archE1100ELNS1_3gpuE3ELNS1_3repE0EEENS1_36merge_oddeven_config_static_selectorELNS0_4arch9wavefront6targetE1EEEvSK_
    .private_segment_fixed_size: 0
    .sgpr_count:     4
    .sgpr_spill_count: 0
    .symbol:         _ZN7rocprim17ROCPRIM_400000_NS6detail17trampoline_kernelINS0_14default_configENS1_38merge_sort_block_merge_config_selectorIiNS0_10empty_typeEEEZZNS1_27merge_sort_block_merge_implIS3_N6thrust23THRUST_200600_302600_NS6detail15normal_iteratorINS9_10device_ptrIiEEEEPS5_m14custom_greaterIiEEE10hipError_tT0_T1_T2_jT3_P12ihipStream_tbPNSt15iterator_traitsISJ_E10value_typeEPNSP_ISK_E10value_typeEPSL_NS1_7vsmem_tEENKUlT_SJ_SK_SL_E_clISE_PiSF_SF_EESI_SY_SJ_SK_SL_EUlSY_E1_NS1_11comp_targetILNS1_3genE9ELNS1_11target_archE1100ELNS1_3gpuE3ELNS1_3repE0EEENS1_36merge_oddeven_config_static_selectorELNS0_4arch9wavefront6targetE1EEEvSK_.kd
    .uniform_work_group_size: 1
    .uses_dynamic_stack: false
    .vgpr_count:     0
    .vgpr_spill_count: 0
    .wavefront_size: 64
  - .agpr_count:     0
    .args:
      - .offset:         0
        .size:           56
        .value_kind:     by_value
    .group_segment_fixed_size: 0
    .kernarg_segment_align: 8
    .kernarg_segment_size: 56
    .language:       OpenCL C
    .language_version:
      - 2
      - 0
    .max_flat_workgroup_size: 256
    .name:           _ZN7rocprim17ROCPRIM_400000_NS6detail17trampoline_kernelINS0_14default_configENS1_38merge_sort_block_merge_config_selectorIiNS0_10empty_typeEEEZZNS1_27merge_sort_block_merge_implIS3_N6thrust23THRUST_200600_302600_NS6detail15normal_iteratorINS9_10device_ptrIiEEEEPS5_m14custom_greaterIiEEE10hipError_tT0_T1_T2_jT3_P12ihipStream_tbPNSt15iterator_traitsISJ_E10value_typeEPNSP_ISK_E10value_typeEPSL_NS1_7vsmem_tEENKUlT_SJ_SK_SL_E_clISE_PiSF_SF_EESI_SY_SJ_SK_SL_EUlSY_E1_NS1_11comp_targetILNS1_3genE8ELNS1_11target_archE1030ELNS1_3gpuE2ELNS1_3repE0EEENS1_36merge_oddeven_config_static_selectorELNS0_4arch9wavefront6targetE1EEEvSK_
    .private_segment_fixed_size: 0
    .sgpr_count:     4
    .sgpr_spill_count: 0
    .symbol:         _ZN7rocprim17ROCPRIM_400000_NS6detail17trampoline_kernelINS0_14default_configENS1_38merge_sort_block_merge_config_selectorIiNS0_10empty_typeEEEZZNS1_27merge_sort_block_merge_implIS3_N6thrust23THRUST_200600_302600_NS6detail15normal_iteratorINS9_10device_ptrIiEEEEPS5_m14custom_greaterIiEEE10hipError_tT0_T1_T2_jT3_P12ihipStream_tbPNSt15iterator_traitsISJ_E10value_typeEPNSP_ISK_E10value_typeEPSL_NS1_7vsmem_tEENKUlT_SJ_SK_SL_E_clISE_PiSF_SF_EESI_SY_SJ_SK_SL_EUlSY_E1_NS1_11comp_targetILNS1_3genE8ELNS1_11target_archE1030ELNS1_3gpuE2ELNS1_3repE0EEENS1_36merge_oddeven_config_static_selectorELNS0_4arch9wavefront6targetE1EEEvSK_.kd
    .uniform_work_group_size: 1
    .uses_dynamic_stack: false
    .vgpr_count:     0
    .vgpr_spill_count: 0
    .wavefront_size: 64
  - .agpr_count:     0
    .args:
      - .offset:         0
        .size:           40
        .value_kind:     by_value
    .group_segment_fixed_size: 0
    .kernarg_segment_align: 8
    .kernarg_segment_size: 40
    .language:       OpenCL C
    .language_version:
      - 2
      - 0
    .max_flat_workgroup_size: 128
    .name:           _ZN7rocprim17ROCPRIM_400000_NS6detail17trampoline_kernelINS0_14default_configENS1_25transform_config_selectorIiLb0EEEZNS1_14transform_implILb0ES3_S5_PiN6thrust23THRUST_200600_302600_NS6detail15normal_iteratorINS9_10device_ptrIiEEEENS0_8identityIiEEEE10hipError_tT2_T3_mT4_P12ihipStream_tbEUlT_E_NS1_11comp_targetILNS1_3genE0ELNS1_11target_archE4294967295ELNS1_3gpuE0ELNS1_3repE0EEENS1_30default_config_static_selectorELNS0_4arch9wavefront6targetE1EEEvT1_
    .private_segment_fixed_size: 0
    .sgpr_count:     4
    .sgpr_spill_count: 0
    .symbol:         _ZN7rocprim17ROCPRIM_400000_NS6detail17trampoline_kernelINS0_14default_configENS1_25transform_config_selectorIiLb0EEEZNS1_14transform_implILb0ES3_S5_PiN6thrust23THRUST_200600_302600_NS6detail15normal_iteratorINS9_10device_ptrIiEEEENS0_8identityIiEEEE10hipError_tT2_T3_mT4_P12ihipStream_tbEUlT_E_NS1_11comp_targetILNS1_3genE0ELNS1_11target_archE4294967295ELNS1_3gpuE0ELNS1_3repE0EEENS1_30default_config_static_selectorELNS0_4arch9wavefront6targetE1EEEvT1_.kd
    .uniform_work_group_size: 1
    .uses_dynamic_stack: false
    .vgpr_count:     0
    .vgpr_spill_count: 0
    .wavefront_size: 64
  - .agpr_count:     0
    .args:
      - .offset:         0
        .size:           40
        .value_kind:     by_value
    .group_segment_fixed_size: 0
    .kernarg_segment_align: 8
    .kernarg_segment_size: 40
    .language:       OpenCL C
    .language_version:
      - 2
      - 0
    .max_flat_workgroup_size: 512
    .name:           _ZN7rocprim17ROCPRIM_400000_NS6detail17trampoline_kernelINS0_14default_configENS1_25transform_config_selectorIiLb0EEEZNS1_14transform_implILb0ES3_S5_PiN6thrust23THRUST_200600_302600_NS6detail15normal_iteratorINS9_10device_ptrIiEEEENS0_8identityIiEEEE10hipError_tT2_T3_mT4_P12ihipStream_tbEUlT_E_NS1_11comp_targetILNS1_3genE5ELNS1_11target_archE942ELNS1_3gpuE9ELNS1_3repE0EEENS1_30default_config_static_selectorELNS0_4arch9wavefront6targetE1EEEvT1_
    .private_segment_fixed_size: 0
    .sgpr_count:     4
    .sgpr_spill_count: 0
    .symbol:         _ZN7rocprim17ROCPRIM_400000_NS6detail17trampoline_kernelINS0_14default_configENS1_25transform_config_selectorIiLb0EEEZNS1_14transform_implILb0ES3_S5_PiN6thrust23THRUST_200600_302600_NS6detail15normal_iteratorINS9_10device_ptrIiEEEENS0_8identityIiEEEE10hipError_tT2_T3_mT4_P12ihipStream_tbEUlT_E_NS1_11comp_targetILNS1_3genE5ELNS1_11target_archE942ELNS1_3gpuE9ELNS1_3repE0EEENS1_30default_config_static_selectorELNS0_4arch9wavefront6targetE1EEEvT1_.kd
    .uniform_work_group_size: 1
    .uses_dynamic_stack: false
    .vgpr_count:     0
    .vgpr_spill_count: 0
    .wavefront_size: 64
  - .agpr_count:     0
    .args:
      - .offset:         0
        .size:           40
        .value_kind:     by_value
      - .offset:         40
        .size:           4
        .value_kind:     hidden_block_count_x
      - .offset:         44
        .size:           4
        .value_kind:     hidden_block_count_y
      - .offset:         48
        .size:           4
        .value_kind:     hidden_block_count_z
      - .offset:         52
        .size:           2
        .value_kind:     hidden_group_size_x
      - .offset:         54
        .size:           2
        .value_kind:     hidden_group_size_y
      - .offset:         56
        .size:           2
        .value_kind:     hidden_group_size_z
      - .offset:         58
        .size:           2
        .value_kind:     hidden_remainder_x
      - .offset:         60
        .size:           2
        .value_kind:     hidden_remainder_y
      - .offset:         62
        .size:           2
        .value_kind:     hidden_remainder_z
      - .offset:         80
        .size:           8
        .value_kind:     hidden_global_offset_x
      - .offset:         88
        .size:           8
        .value_kind:     hidden_global_offset_y
      - .offset:         96
        .size:           8
        .value_kind:     hidden_global_offset_z
      - .offset:         104
        .size:           2
        .value_kind:     hidden_grid_dims
    .group_segment_fixed_size: 0
    .kernarg_segment_align: 8
    .kernarg_segment_size: 296
    .language:       OpenCL C
    .language_version:
      - 2
      - 0
    .max_flat_workgroup_size: 1024
    .name:           _ZN7rocprim17ROCPRIM_400000_NS6detail17trampoline_kernelINS0_14default_configENS1_25transform_config_selectorIiLb0EEEZNS1_14transform_implILb0ES3_S5_PiN6thrust23THRUST_200600_302600_NS6detail15normal_iteratorINS9_10device_ptrIiEEEENS0_8identityIiEEEE10hipError_tT2_T3_mT4_P12ihipStream_tbEUlT_E_NS1_11comp_targetILNS1_3genE4ELNS1_11target_archE910ELNS1_3gpuE8ELNS1_3repE0EEENS1_30default_config_static_selectorELNS0_4arch9wavefront6targetE1EEEvT1_
    .private_segment_fixed_size: 0
    .sgpr_count:     20
    .sgpr_spill_count: 0
    .symbol:         _ZN7rocprim17ROCPRIM_400000_NS6detail17trampoline_kernelINS0_14default_configENS1_25transform_config_selectorIiLb0EEEZNS1_14transform_implILb0ES3_S5_PiN6thrust23THRUST_200600_302600_NS6detail15normal_iteratorINS9_10device_ptrIiEEEENS0_8identityIiEEEE10hipError_tT2_T3_mT4_P12ihipStream_tbEUlT_E_NS1_11comp_targetILNS1_3genE4ELNS1_11target_archE910ELNS1_3gpuE8ELNS1_3repE0EEENS1_30default_config_static_selectorELNS0_4arch9wavefront6targetE1EEEvT1_.kd
    .uniform_work_group_size: 1
    .uses_dynamic_stack: false
    .vgpr_count:     7
    .vgpr_spill_count: 0
    .wavefront_size: 64
  - .agpr_count:     0
    .args:
      - .offset:         0
        .size:           40
        .value_kind:     by_value
    .group_segment_fixed_size: 0
    .kernarg_segment_align: 8
    .kernarg_segment_size: 40
    .language:       OpenCL C
    .language_version:
      - 2
      - 0
    .max_flat_workgroup_size: 128
    .name:           _ZN7rocprim17ROCPRIM_400000_NS6detail17trampoline_kernelINS0_14default_configENS1_25transform_config_selectorIiLb0EEEZNS1_14transform_implILb0ES3_S5_PiN6thrust23THRUST_200600_302600_NS6detail15normal_iteratorINS9_10device_ptrIiEEEENS0_8identityIiEEEE10hipError_tT2_T3_mT4_P12ihipStream_tbEUlT_E_NS1_11comp_targetILNS1_3genE3ELNS1_11target_archE908ELNS1_3gpuE7ELNS1_3repE0EEENS1_30default_config_static_selectorELNS0_4arch9wavefront6targetE1EEEvT1_
    .private_segment_fixed_size: 0
    .sgpr_count:     4
    .sgpr_spill_count: 0
    .symbol:         _ZN7rocprim17ROCPRIM_400000_NS6detail17trampoline_kernelINS0_14default_configENS1_25transform_config_selectorIiLb0EEEZNS1_14transform_implILb0ES3_S5_PiN6thrust23THRUST_200600_302600_NS6detail15normal_iteratorINS9_10device_ptrIiEEEENS0_8identityIiEEEE10hipError_tT2_T3_mT4_P12ihipStream_tbEUlT_E_NS1_11comp_targetILNS1_3genE3ELNS1_11target_archE908ELNS1_3gpuE7ELNS1_3repE0EEENS1_30default_config_static_selectorELNS0_4arch9wavefront6targetE1EEEvT1_.kd
    .uniform_work_group_size: 1
    .uses_dynamic_stack: false
    .vgpr_count:     0
    .vgpr_spill_count: 0
    .wavefront_size: 64
  - .agpr_count:     0
    .args:
      - .offset:         0
        .size:           40
        .value_kind:     by_value
    .group_segment_fixed_size: 0
    .kernarg_segment_align: 8
    .kernarg_segment_size: 40
    .language:       OpenCL C
    .language_version:
      - 2
      - 0
    .max_flat_workgroup_size: 1024
    .name:           _ZN7rocprim17ROCPRIM_400000_NS6detail17trampoline_kernelINS0_14default_configENS1_25transform_config_selectorIiLb0EEEZNS1_14transform_implILb0ES3_S5_PiN6thrust23THRUST_200600_302600_NS6detail15normal_iteratorINS9_10device_ptrIiEEEENS0_8identityIiEEEE10hipError_tT2_T3_mT4_P12ihipStream_tbEUlT_E_NS1_11comp_targetILNS1_3genE2ELNS1_11target_archE906ELNS1_3gpuE6ELNS1_3repE0EEENS1_30default_config_static_selectorELNS0_4arch9wavefront6targetE1EEEvT1_
    .private_segment_fixed_size: 0
    .sgpr_count:     4
    .sgpr_spill_count: 0
    .symbol:         _ZN7rocprim17ROCPRIM_400000_NS6detail17trampoline_kernelINS0_14default_configENS1_25transform_config_selectorIiLb0EEEZNS1_14transform_implILb0ES3_S5_PiN6thrust23THRUST_200600_302600_NS6detail15normal_iteratorINS9_10device_ptrIiEEEENS0_8identityIiEEEE10hipError_tT2_T3_mT4_P12ihipStream_tbEUlT_E_NS1_11comp_targetILNS1_3genE2ELNS1_11target_archE906ELNS1_3gpuE6ELNS1_3repE0EEENS1_30default_config_static_selectorELNS0_4arch9wavefront6targetE1EEEvT1_.kd
    .uniform_work_group_size: 1
    .uses_dynamic_stack: false
    .vgpr_count:     0
    .vgpr_spill_count: 0
    .wavefront_size: 64
  - .agpr_count:     0
    .args:
      - .offset:         0
        .size:           40
        .value_kind:     by_value
    .group_segment_fixed_size: 0
    .kernarg_segment_align: 8
    .kernarg_segment_size: 40
    .language:       OpenCL C
    .language_version:
      - 2
      - 0
    .max_flat_workgroup_size: 1024
    .name:           _ZN7rocprim17ROCPRIM_400000_NS6detail17trampoline_kernelINS0_14default_configENS1_25transform_config_selectorIiLb0EEEZNS1_14transform_implILb0ES3_S5_PiN6thrust23THRUST_200600_302600_NS6detail15normal_iteratorINS9_10device_ptrIiEEEENS0_8identityIiEEEE10hipError_tT2_T3_mT4_P12ihipStream_tbEUlT_E_NS1_11comp_targetILNS1_3genE10ELNS1_11target_archE1201ELNS1_3gpuE5ELNS1_3repE0EEENS1_30default_config_static_selectorELNS0_4arch9wavefront6targetE1EEEvT1_
    .private_segment_fixed_size: 0
    .sgpr_count:     4
    .sgpr_spill_count: 0
    .symbol:         _ZN7rocprim17ROCPRIM_400000_NS6detail17trampoline_kernelINS0_14default_configENS1_25transform_config_selectorIiLb0EEEZNS1_14transform_implILb0ES3_S5_PiN6thrust23THRUST_200600_302600_NS6detail15normal_iteratorINS9_10device_ptrIiEEEENS0_8identityIiEEEE10hipError_tT2_T3_mT4_P12ihipStream_tbEUlT_E_NS1_11comp_targetILNS1_3genE10ELNS1_11target_archE1201ELNS1_3gpuE5ELNS1_3repE0EEENS1_30default_config_static_selectorELNS0_4arch9wavefront6targetE1EEEvT1_.kd
    .uniform_work_group_size: 1
    .uses_dynamic_stack: false
    .vgpr_count:     0
    .vgpr_spill_count: 0
    .wavefront_size: 64
  - .agpr_count:     0
    .args:
      - .offset:         0
        .size:           40
        .value_kind:     by_value
    .group_segment_fixed_size: 0
    .kernarg_segment_align: 8
    .kernarg_segment_size: 40
    .language:       OpenCL C
    .language_version:
      - 2
      - 0
    .max_flat_workgroup_size: 512
    .name:           _ZN7rocprim17ROCPRIM_400000_NS6detail17trampoline_kernelINS0_14default_configENS1_25transform_config_selectorIiLb0EEEZNS1_14transform_implILb0ES3_S5_PiN6thrust23THRUST_200600_302600_NS6detail15normal_iteratorINS9_10device_ptrIiEEEENS0_8identityIiEEEE10hipError_tT2_T3_mT4_P12ihipStream_tbEUlT_E_NS1_11comp_targetILNS1_3genE10ELNS1_11target_archE1200ELNS1_3gpuE4ELNS1_3repE0EEENS1_30default_config_static_selectorELNS0_4arch9wavefront6targetE1EEEvT1_
    .private_segment_fixed_size: 0
    .sgpr_count:     4
    .sgpr_spill_count: 0
    .symbol:         _ZN7rocprim17ROCPRIM_400000_NS6detail17trampoline_kernelINS0_14default_configENS1_25transform_config_selectorIiLb0EEEZNS1_14transform_implILb0ES3_S5_PiN6thrust23THRUST_200600_302600_NS6detail15normal_iteratorINS9_10device_ptrIiEEEENS0_8identityIiEEEE10hipError_tT2_T3_mT4_P12ihipStream_tbEUlT_E_NS1_11comp_targetILNS1_3genE10ELNS1_11target_archE1200ELNS1_3gpuE4ELNS1_3repE0EEENS1_30default_config_static_selectorELNS0_4arch9wavefront6targetE1EEEvT1_.kd
    .uniform_work_group_size: 1
    .uses_dynamic_stack: false
    .vgpr_count:     0
    .vgpr_spill_count: 0
    .wavefront_size: 64
  - .agpr_count:     0
    .args:
      - .offset:         0
        .size:           40
        .value_kind:     by_value
    .group_segment_fixed_size: 0
    .kernarg_segment_align: 8
    .kernarg_segment_size: 40
    .language:       OpenCL C
    .language_version:
      - 2
      - 0
    .max_flat_workgroup_size: 64
    .name:           _ZN7rocprim17ROCPRIM_400000_NS6detail17trampoline_kernelINS0_14default_configENS1_25transform_config_selectorIiLb0EEEZNS1_14transform_implILb0ES3_S5_PiN6thrust23THRUST_200600_302600_NS6detail15normal_iteratorINS9_10device_ptrIiEEEENS0_8identityIiEEEE10hipError_tT2_T3_mT4_P12ihipStream_tbEUlT_E_NS1_11comp_targetILNS1_3genE9ELNS1_11target_archE1100ELNS1_3gpuE3ELNS1_3repE0EEENS1_30default_config_static_selectorELNS0_4arch9wavefront6targetE1EEEvT1_
    .private_segment_fixed_size: 0
    .sgpr_count:     4
    .sgpr_spill_count: 0
    .symbol:         _ZN7rocprim17ROCPRIM_400000_NS6detail17trampoline_kernelINS0_14default_configENS1_25transform_config_selectorIiLb0EEEZNS1_14transform_implILb0ES3_S5_PiN6thrust23THRUST_200600_302600_NS6detail15normal_iteratorINS9_10device_ptrIiEEEENS0_8identityIiEEEE10hipError_tT2_T3_mT4_P12ihipStream_tbEUlT_E_NS1_11comp_targetILNS1_3genE9ELNS1_11target_archE1100ELNS1_3gpuE3ELNS1_3repE0EEENS1_30default_config_static_selectorELNS0_4arch9wavefront6targetE1EEEvT1_.kd
    .uniform_work_group_size: 1
    .uses_dynamic_stack: false
    .vgpr_count:     0
    .vgpr_spill_count: 0
    .wavefront_size: 64
  - .agpr_count:     0
    .args:
      - .offset:         0
        .size:           40
        .value_kind:     by_value
    .group_segment_fixed_size: 0
    .kernarg_segment_align: 8
    .kernarg_segment_size: 40
    .language:       OpenCL C
    .language_version:
      - 2
      - 0
    .max_flat_workgroup_size: 256
    .name:           _ZN7rocprim17ROCPRIM_400000_NS6detail17trampoline_kernelINS0_14default_configENS1_25transform_config_selectorIiLb0EEEZNS1_14transform_implILb0ES3_S5_PiN6thrust23THRUST_200600_302600_NS6detail15normal_iteratorINS9_10device_ptrIiEEEENS0_8identityIiEEEE10hipError_tT2_T3_mT4_P12ihipStream_tbEUlT_E_NS1_11comp_targetILNS1_3genE8ELNS1_11target_archE1030ELNS1_3gpuE2ELNS1_3repE0EEENS1_30default_config_static_selectorELNS0_4arch9wavefront6targetE1EEEvT1_
    .private_segment_fixed_size: 0
    .sgpr_count:     4
    .sgpr_spill_count: 0
    .symbol:         _ZN7rocprim17ROCPRIM_400000_NS6detail17trampoline_kernelINS0_14default_configENS1_25transform_config_selectorIiLb0EEEZNS1_14transform_implILb0ES3_S5_PiN6thrust23THRUST_200600_302600_NS6detail15normal_iteratorINS9_10device_ptrIiEEEENS0_8identityIiEEEE10hipError_tT2_T3_mT4_P12ihipStream_tbEUlT_E_NS1_11comp_targetILNS1_3genE8ELNS1_11target_archE1030ELNS1_3gpuE2ELNS1_3repE0EEENS1_30default_config_static_selectorELNS0_4arch9wavefront6targetE1EEEvT1_.kd
    .uniform_work_group_size: 1
    .uses_dynamic_stack: false
    .vgpr_count:     0
    .vgpr_spill_count: 0
    .wavefront_size: 64
  - .agpr_count:     0
    .args:           []
    .group_segment_fixed_size: 0
    .kernarg_segment_align: 4
    .kernarg_segment_size: 0
    .language:       OpenCL C
    .language_version:
      - 2
      - 0
    .max_flat_workgroup_size: 1024
    .name:           _ZN7rocprim17ROCPRIM_400000_NS6detail44device_merge_sort_compile_time_verifier_archINS1_11comp_targetILNS1_3genE0ELNS1_11target_archE4294967295ELNS1_3gpuE0ELNS1_3repE0EEES8_NS0_14default_configES9_NS1_37merge_sort_block_sort_config_selectorIjNS0_10empty_typeEEENS1_38merge_sort_block_merge_config_selectorIjSB_EEEEvv
    .private_segment_fixed_size: 0
    .sgpr_count:     4
    .sgpr_spill_count: 0
    .symbol:         _ZN7rocprim17ROCPRIM_400000_NS6detail44device_merge_sort_compile_time_verifier_archINS1_11comp_targetILNS1_3genE0ELNS1_11target_archE4294967295ELNS1_3gpuE0ELNS1_3repE0EEES8_NS0_14default_configES9_NS1_37merge_sort_block_sort_config_selectorIjNS0_10empty_typeEEENS1_38merge_sort_block_merge_config_selectorIjSB_EEEEvv.kd
    .uniform_work_group_size: 1
    .uses_dynamic_stack: false
    .vgpr_count:     0
    .vgpr_spill_count: 0
    .wavefront_size: 64
  - .agpr_count:     0
    .args:           []
    .group_segment_fixed_size: 0
    .kernarg_segment_align: 4
    .kernarg_segment_size: 0
    .language:       OpenCL C
    .language_version:
      - 2
      - 0
    .max_flat_workgroup_size: 1024
    .name:           _ZN7rocprim17ROCPRIM_400000_NS6detail44device_merge_sort_compile_time_verifier_archINS1_11comp_targetILNS1_3genE5ELNS1_11target_archE942ELNS1_3gpuE9ELNS1_3repE0EEES8_NS0_14default_configES9_NS1_37merge_sort_block_sort_config_selectorIjNS0_10empty_typeEEENS1_38merge_sort_block_merge_config_selectorIjSB_EEEEvv
    .private_segment_fixed_size: 0
    .sgpr_count:     4
    .sgpr_spill_count: 0
    .symbol:         _ZN7rocprim17ROCPRIM_400000_NS6detail44device_merge_sort_compile_time_verifier_archINS1_11comp_targetILNS1_3genE5ELNS1_11target_archE942ELNS1_3gpuE9ELNS1_3repE0EEES8_NS0_14default_configES9_NS1_37merge_sort_block_sort_config_selectorIjNS0_10empty_typeEEENS1_38merge_sort_block_merge_config_selectorIjSB_EEEEvv.kd
    .uniform_work_group_size: 1
    .uses_dynamic_stack: false
    .vgpr_count:     0
    .vgpr_spill_count: 0
    .wavefront_size: 64
  - .agpr_count:     0
    .args:           []
    .group_segment_fixed_size: 0
    .kernarg_segment_align: 4
    .kernarg_segment_size: 0
    .language:       OpenCL C
    .language_version:
      - 2
      - 0
    .max_flat_workgroup_size: 1024
    .name:           _ZN7rocprim17ROCPRIM_400000_NS6detail44device_merge_sort_compile_time_verifier_archINS1_11comp_targetILNS1_3genE4ELNS1_11target_archE910ELNS1_3gpuE8ELNS1_3repE0EEES8_NS0_14default_configES9_NS1_37merge_sort_block_sort_config_selectorIjNS0_10empty_typeEEENS1_38merge_sort_block_merge_config_selectorIjSB_EEEEvv
    .private_segment_fixed_size: 0
    .sgpr_count:     4
    .sgpr_spill_count: 0
    .symbol:         _ZN7rocprim17ROCPRIM_400000_NS6detail44device_merge_sort_compile_time_verifier_archINS1_11comp_targetILNS1_3genE4ELNS1_11target_archE910ELNS1_3gpuE8ELNS1_3repE0EEES8_NS0_14default_configES9_NS1_37merge_sort_block_sort_config_selectorIjNS0_10empty_typeEEENS1_38merge_sort_block_merge_config_selectorIjSB_EEEEvv.kd
    .uniform_work_group_size: 1
    .uses_dynamic_stack: false
    .vgpr_count:     0
    .vgpr_spill_count: 0
    .wavefront_size: 64
  - .agpr_count:     0
    .args:           []
    .group_segment_fixed_size: 0
    .kernarg_segment_align: 4
    .kernarg_segment_size: 0
    .language:       OpenCL C
    .language_version:
      - 2
      - 0
    .max_flat_workgroup_size: 1024
    .name:           _ZN7rocprim17ROCPRIM_400000_NS6detail44device_merge_sort_compile_time_verifier_archINS1_11comp_targetILNS1_3genE3ELNS1_11target_archE908ELNS1_3gpuE7ELNS1_3repE0EEES8_NS0_14default_configES9_NS1_37merge_sort_block_sort_config_selectorIjNS0_10empty_typeEEENS1_38merge_sort_block_merge_config_selectorIjSB_EEEEvv
    .private_segment_fixed_size: 0
    .sgpr_count:     4
    .sgpr_spill_count: 0
    .symbol:         _ZN7rocprim17ROCPRIM_400000_NS6detail44device_merge_sort_compile_time_verifier_archINS1_11comp_targetILNS1_3genE3ELNS1_11target_archE908ELNS1_3gpuE7ELNS1_3repE0EEES8_NS0_14default_configES9_NS1_37merge_sort_block_sort_config_selectorIjNS0_10empty_typeEEENS1_38merge_sort_block_merge_config_selectorIjSB_EEEEvv.kd
    .uniform_work_group_size: 1
    .uses_dynamic_stack: false
    .vgpr_count:     0
    .vgpr_spill_count: 0
    .wavefront_size: 64
  - .agpr_count:     0
    .args:           []
    .group_segment_fixed_size: 0
    .kernarg_segment_align: 4
    .kernarg_segment_size: 0
    .language:       OpenCL C
    .language_version:
      - 2
      - 0
    .max_flat_workgroup_size: 1024
    .name:           _ZN7rocprim17ROCPRIM_400000_NS6detail44device_merge_sort_compile_time_verifier_archINS1_11comp_targetILNS1_3genE2ELNS1_11target_archE906ELNS1_3gpuE6ELNS1_3repE0EEES8_NS0_14default_configES9_NS1_37merge_sort_block_sort_config_selectorIjNS0_10empty_typeEEENS1_38merge_sort_block_merge_config_selectorIjSB_EEEEvv
    .private_segment_fixed_size: 0
    .sgpr_count:     4
    .sgpr_spill_count: 0
    .symbol:         _ZN7rocprim17ROCPRIM_400000_NS6detail44device_merge_sort_compile_time_verifier_archINS1_11comp_targetILNS1_3genE2ELNS1_11target_archE906ELNS1_3gpuE6ELNS1_3repE0EEES8_NS0_14default_configES9_NS1_37merge_sort_block_sort_config_selectorIjNS0_10empty_typeEEENS1_38merge_sort_block_merge_config_selectorIjSB_EEEEvv.kd
    .uniform_work_group_size: 1
    .uses_dynamic_stack: false
    .vgpr_count:     0
    .vgpr_spill_count: 0
    .wavefront_size: 64
  - .agpr_count:     0
    .args:           []
    .group_segment_fixed_size: 0
    .kernarg_segment_align: 4
    .kernarg_segment_size: 0
    .language:       OpenCL C
    .language_version:
      - 2
      - 0
    .max_flat_workgroup_size: 1024
    .name:           _ZN7rocprim17ROCPRIM_400000_NS6detail44device_merge_sort_compile_time_verifier_archINS1_11comp_targetILNS1_3genE10ELNS1_11target_archE1201ELNS1_3gpuE5ELNS1_3repE0EEES8_NS0_14default_configES9_NS1_37merge_sort_block_sort_config_selectorIjNS0_10empty_typeEEENS1_38merge_sort_block_merge_config_selectorIjSB_EEEEvv
    .private_segment_fixed_size: 0
    .sgpr_count:     4
    .sgpr_spill_count: 0
    .symbol:         _ZN7rocprim17ROCPRIM_400000_NS6detail44device_merge_sort_compile_time_verifier_archINS1_11comp_targetILNS1_3genE10ELNS1_11target_archE1201ELNS1_3gpuE5ELNS1_3repE0EEES8_NS0_14default_configES9_NS1_37merge_sort_block_sort_config_selectorIjNS0_10empty_typeEEENS1_38merge_sort_block_merge_config_selectorIjSB_EEEEvv.kd
    .uniform_work_group_size: 1
    .uses_dynamic_stack: false
    .vgpr_count:     0
    .vgpr_spill_count: 0
    .wavefront_size: 64
  - .agpr_count:     0
    .args:           []
    .group_segment_fixed_size: 0
    .kernarg_segment_align: 4
    .kernarg_segment_size: 0
    .language:       OpenCL C
    .language_version:
      - 2
      - 0
    .max_flat_workgroup_size: 1024
    .name:           _ZN7rocprim17ROCPRIM_400000_NS6detail44device_merge_sort_compile_time_verifier_archINS1_11comp_targetILNS1_3genE10ELNS1_11target_archE1200ELNS1_3gpuE4ELNS1_3repE0EEENS3_ILS4_10ELS5_1201ELS6_5ELS7_0EEENS0_14default_configESA_NS1_37merge_sort_block_sort_config_selectorIjNS0_10empty_typeEEENS1_38merge_sort_block_merge_config_selectorIjSC_EEEEvv
    .private_segment_fixed_size: 0
    .sgpr_count:     4
    .sgpr_spill_count: 0
    .symbol:         _ZN7rocprim17ROCPRIM_400000_NS6detail44device_merge_sort_compile_time_verifier_archINS1_11comp_targetILNS1_3genE10ELNS1_11target_archE1200ELNS1_3gpuE4ELNS1_3repE0EEENS3_ILS4_10ELS5_1201ELS6_5ELS7_0EEENS0_14default_configESA_NS1_37merge_sort_block_sort_config_selectorIjNS0_10empty_typeEEENS1_38merge_sort_block_merge_config_selectorIjSC_EEEEvv.kd
    .uniform_work_group_size: 1
    .uses_dynamic_stack: false
    .vgpr_count:     0
    .vgpr_spill_count: 0
    .wavefront_size: 64
  - .agpr_count:     0
    .args:           []
    .group_segment_fixed_size: 0
    .kernarg_segment_align: 4
    .kernarg_segment_size: 0
    .language:       OpenCL C
    .language_version:
      - 2
      - 0
    .max_flat_workgroup_size: 1024
    .name:           _ZN7rocprim17ROCPRIM_400000_NS6detail44device_merge_sort_compile_time_verifier_archINS1_11comp_targetILNS1_3genE9ELNS1_11target_archE1100ELNS1_3gpuE3ELNS1_3repE0EEES8_NS0_14default_configES9_NS1_37merge_sort_block_sort_config_selectorIjNS0_10empty_typeEEENS1_38merge_sort_block_merge_config_selectorIjSB_EEEEvv
    .private_segment_fixed_size: 0
    .sgpr_count:     4
    .sgpr_spill_count: 0
    .symbol:         _ZN7rocprim17ROCPRIM_400000_NS6detail44device_merge_sort_compile_time_verifier_archINS1_11comp_targetILNS1_3genE9ELNS1_11target_archE1100ELNS1_3gpuE3ELNS1_3repE0EEES8_NS0_14default_configES9_NS1_37merge_sort_block_sort_config_selectorIjNS0_10empty_typeEEENS1_38merge_sort_block_merge_config_selectorIjSB_EEEEvv.kd
    .uniform_work_group_size: 1
    .uses_dynamic_stack: false
    .vgpr_count:     0
    .vgpr_spill_count: 0
    .wavefront_size: 64
  - .agpr_count:     0
    .args:           []
    .group_segment_fixed_size: 0
    .kernarg_segment_align: 4
    .kernarg_segment_size: 0
    .language:       OpenCL C
    .language_version:
      - 2
      - 0
    .max_flat_workgroup_size: 1024
    .name:           _ZN7rocprim17ROCPRIM_400000_NS6detail44device_merge_sort_compile_time_verifier_archINS1_11comp_targetILNS1_3genE8ELNS1_11target_archE1030ELNS1_3gpuE2ELNS1_3repE0EEES8_NS0_14default_configES9_NS1_37merge_sort_block_sort_config_selectorIjNS0_10empty_typeEEENS1_38merge_sort_block_merge_config_selectorIjSB_EEEEvv
    .private_segment_fixed_size: 0
    .sgpr_count:     4
    .sgpr_spill_count: 0
    .symbol:         _ZN7rocprim17ROCPRIM_400000_NS6detail44device_merge_sort_compile_time_verifier_archINS1_11comp_targetILNS1_3genE8ELNS1_11target_archE1030ELNS1_3gpuE2ELNS1_3repE0EEES8_NS0_14default_configES9_NS1_37merge_sort_block_sort_config_selectorIjNS0_10empty_typeEEENS1_38merge_sort_block_merge_config_selectorIjSB_EEEEvv.kd
    .uniform_work_group_size: 1
    .uses_dynamic_stack: false
    .vgpr_count:     0
    .vgpr_spill_count: 0
    .wavefront_size: 64
  - .agpr_count:     0
    .args:
      - .offset:         0
        .size:           64
        .value_kind:     by_value
    .group_segment_fixed_size: 0
    .kernarg_segment_align: 8
    .kernarg_segment_size: 64
    .language:       OpenCL C
    .language_version:
      - 2
      - 0
    .max_flat_workgroup_size: 256
    .name:           _ZN7rocprim17ROCPRIM_400000_NS6detail17trampoline_kernelINS0_14default_configENS1_37merge_sort_block_sort_config_selectorIjNS0_10empty_typeEEEZNS1_21merge_sort_block_sortIS3_N6thrust23THRUST_200600_302600_NS6detail15normal_iteratorINS9_10device_ptrIjEEEESE_PS5_SF_14custom_greaterIjEEE10hipError_tT0_T1_T2_T3_mRjT4_P12ihipStream_tbNS1_7vsmem_tEEUlT_E_NS1_11comp_targetILNS1_3genE0ELNS1_11target_archE4294967295ELNS1_3gpuE0ELNS1_3repE0EEENS1_30default_config_static_selectorELNS0_4arch9wavefront6targetE1EEEvSK_
    .private_segment_fixed_size: 0
    .sgpr_count:     4
    .sgpr_spill_count: 0
    .symbol:         _ZN7rocprim17ROCPRIM_400000_NS6detail17trampoline_kernelINS0_14default_configENS1_37merge_sort_block_sort_config_selectorIjNS0_10empty_typeEEEZNS1_21merge_sort_block_sortIS3_N6thrust23THRUST_200600_302600_NS6detail15normal_iteratorINS9_10device_ptrIjEEEESE_PS5_SF_14custom_greaterIjEEE10hipError_tT0_T1_T2_T3_mRjT4_P12ihipStream_tbNS1_7vsmem_tEEUlT_E_NS1_11comp_targetILNS1_3genE0ELNS1_11target_archE4294967295ELNS1_3gpuE0ELNS1_3repE0EEENS1_30default_config_static_selectorELNS0_4arch9wavefront6targetE1EEEvSK_.kd
    .uniform_work_group_size: 1
    .uses_dynamic_stack: false
    .vgpr_count:     0
    .vgpr_spill_count: 0
    .wavefront_size: 64
  - .agpr_count:     0
    .args:
      - .offset:         0
        .size:           64
        .value_kind:     by_value
    .group_segment_fixed_size: 0
    .kernarg_segment_align: 8
    .kernarg_segment_size: 64
    .language:       OpenCL C
    .language_version:
      - 2
      - 0
    .max_flat_workgroup_size: 256
    .name:           _ZN7rocprim17ROCPRIM_400000_NS6detail17trampoline_kernelINS0_14default_configENS1_37merge_sort_block_sort_config_selectorIjNS0_10empty_typeEEEZNS1_21merge_sort_block_sortIS3_N6thrust23THRUST_200600_302600_NS6detail15normal_iteratorINS9_10device_ptrIjEEEESE_PS5_SF_14custom_greaterIjEEE10hipError_tT0_T1_T2_T3_mRjT4_P12ihipStream_tbNS1_7vsmem_tEEUlT_E_NS1_11comp_targetILNS1_3genE5ELNS1_11target_archE942ELNS1_3gpuE9ELNS1_3repE0EEENS1_30default_config_static_selectorELNS0_4arch9wavefront6targetE1EEEvSK_
    .private_segment_fixed_size: 0
    .sgpr_count:     4
    .sgpr_spill_count: 0
    .symbol:         _ZN7rocprim17ROCPRIM_400000_NS6detail17trampoline_kernelINS0_14default_configENS1_37merge_sort_block_sort_config_selectorIjNS0_10empty_typeEEEZNS1_21merge_sort_block_sortIS3_N6thrust23THRUST_200600_302600_NS6detail15normal_iteratorINS9_10device_ptrIjEEEESE_PS5_SF_14custom_greaterIjEEE10hipError_tT0_T1_T2_T3_mRjT4_P12ihipStream_tbNS1_7vsmem_tEEUlT_E_NS1_11comp_targetILNS1_3genE5ELNS1_11target_archE942ELNS1_3gpuE9ELNS1_3repE0EEENS1_30default_config_static_selectorELNS0_4arch9wavefront6targetE1EEEvSK_.kd
    .uniform_work_group_size: 1
    .uses_dynamic_stack: false
    .vgpr_count:     0
    .vgpr_spill_count: 0
    .wavefront_size: 64
  - .agpr_count:     0
    .args:
      - .offset:         0
        .size:           64
        .value_kind:     by_value
      - .offset:         64
        .size:           4
        .value_kind:     hidden_block_count_x
      - .offset:         68
        .size:           4
        .value_kind:     hidden_block_count_y
      - .offset:         72
        .size:           4
        .value_kind:     hidden_block_count_z
      - .offset:         76
        .size:           2
        .value_kind:     hidden_group_size_x
      - .offset:         78
        .size:           2
        .value_kind:     hidden_group_size_y
      - .offset:         80
        .size:           2
        .value_kind:     hidden_group_size_z
      - .offset:         82
        .size:           2
        .value_kind:     hidden_remainder_x
      - .offset:         84
        .size:           2
        .value_kind:     hidden_remainder_y
      - .offset:         86
        .size:           2
        .value_kind:     hidden_remainder_z
      - .offset:         104
        .size:           8
        .value_kind:     hidden_global_offset_x
      - .offset:         112
        .size:           8
        .value_kind:     hidden_global_offset_y
      - .offset:         120
        .size:           8
        .value_kind:     hidden_global_offset_z
      - .offset:         128
        .size:           2
        .value_kind:     hidden_grid_dims
    .group_segment_fixed_size: 8448
    .kernarg_segment_align: 8
    .kernarg_segment_size: 320
    .language:       OpenCL C
    .language_version:
      - 2
      - 0
    .max_flat_workgroup_size: 256
    .name:           _ZN7rocprim17ROCPRIM_400000_NS6detail17trampoline_kernelINS0_14default_configENS1_37merge_sort_block_sort_config_selectorIjNS0_10empty_typeEEEZNS1_21merge_sort_block_sortIS3_N6thrust23THRUST_200600_302600_NS6detail15normal_iteratorINS9_10device_ptrIjEEEESE_PS5_SF_14custom_greaterIjEEE10hipError_tT0_T1_T2_T3_mRjT4_P12ihipStream_tbNS1_7vsmem_tEEUlT_E_NS1_11comp_targetILNS1_3genE4ELNS1_11target_archE910ELNS1_3gpuE8ELNS1_3repE0EEENS1_30default_config_static_selectorELNS0_4arch9wavefront6targetE1EEEvSK_
    .private_segment_fixed_size: 0
    .sgpr_count:     44
    .sgpr_spill_count: 0
    .symbol:         _ZN7rocprim17ROCPRIM_400000_NS6detail17trampoline_kernelINS0_14default_configENS1_37merge_sort_block_sort_config_selectorIjNS0_10empty_typeEEEZNS1_21merge_sort_block_sortIS3_N6thrust23THRUST_200600_302600_NS6detail15normal_iteratorINS9_10device_ptrIjEEEESE_PS5_SF_14custom_greaterIjEEE10hipError_tT0_T1_T2_T3_mRjT4_P12ihipStream_tbNS1_7vsmem_tEEUlT_E_NS1_11comp_targetILNS1_3genE4ELNS1_11target_archE910ELNS1_3gpuE8ELNS1_3repE0EEENS1_30default_config_static_selectorELNS0_4arch9wavefront6targetE1EEEvSK_.kd
    .uniform_work_group_size: 1
    .uses_dynamic_stack: false
    .vgpr_count:     41
    .vgpr_spill_count: 0
    .wavefront_size: 64
  - .agpr_count:     0
    .args:
      - .offset:         0
        .size:           64
        .value_kind:     by_value
    .group_segment_fixed_size: 0
    .kernarg_segment_align: 8
    .kernarg_segment_size: 64
    .language:       OpenCL C
    .language_version:
      - 2
      - 0
    .max_flat_workgroup_size: 256
    .name:           _ZN7rocprim17ROCPRIM_400000_NS6detail17trampoline_kernelINS0_14default_configENS1_37merge_sort_block_sort_config_selectorIjNS0_10empty_typeEEEZNS1_21merge_sort_block_sortIS3_N6thrust23THRUST_200600_302600_NS6detail15normal_iteratorINS9_10device_ptrIjEEEESE_PS5_SF_14custom_greaterIjEEE10hipError_tT0_T1_T2_T3_mRjT4_P12ihipStream_tbNS1_7vsmem_tEEUlT_E_NS1_11comp_targetILNS1_3genE3ELNS1_11target_archE908ELNS1_3gpuE7ELNS1_3repE0EEENS1_30default_config_static_selectorELNS0_4arch9wavefront6targetE1EEEvSK_
    .private_segment_fixed_size: 0
    .sgpr_count:     4
    .sgpr_spill_count: 0
    .symbol:         _ZN7rocprim17ROCPRIM_400000_NS6detail17trampoline_kernelINS0_14default_configENS1_37merge_sort_block_sort_config_selectorIjNS0_10empty_typeEEEZNS1_21merge_sort_block_sortIS3_N6thrust23THRUST_200600_302600_NS6detail15normal_iteratorINS9_10device_ptrIjEEEESE_PS5_SF_14custom_greaterIjEEE10hipError_tT0_T1_T2_T3_mRjT4_P12ihipStream_tbNS1_7vsmem_tEEUlT_E_NS1_11comp_targetILNS1_3genE3ELNS1_11target_archE908ELNS1_3gpuE7ELNS1_3repE0EEENS1_30default_config_static_selectorELNS0_4arch9wavefront6targetE1EEEvSK_.kd
    .uniform_work_group_size: 1
    .uses_dynamic_stack: false
    .vgpr_count:     0
    .vgpr_spill_count: 0
    .wavefront_size: 64
  - .agpr_count:     0
    .args:
      - .offset:         0
        .size:           64
        .value_kind:     by_value
    .group_segment_fixed_size: 0
    .kernarg_segment_align: 8
    .kernarg_segment_size: 64
    .language:       OpenCL C
    .language_version:
      - 2
      - 0
    .max_flat_workgroup_size: 256
    .name:           _ZN7rocprim17ROCPRIM_400000_NS6detail17trampoline_kernelINS0_14default_configENS1_37merge_sort_block_sort_config_selectorIjNS0_10empty_typeEEEZNS1_21merge_sort_block_sortIS3_N6thrust23THRUST_200600_302600_NS6detail15normal_iteratorINS9_10device_ptrIjEEEESE_PS5_SF_14custom_greaterIjEEE10hipError_tT0_T1_T2_T3_mRjT4_P12ihipStream_tbNS1_7vsmem_tEEUlT_E_NS1_11comp_targetILNS1_3genE2ELNS1_11target_archE906ELNS1_3gpuE6ELNS1_3repE0EEENS1_30default_config_static_selectorELNS0_4arch9wavefront6targetE1EEEvSK_
    .private_segment_fixed_size: 0
    .sgpr_count:     4
    .sgpr_spill_count: 0
    .symbol:         _ZN7rocprim17ROCPRIM_400000_NS6detail17trampoline_kernelINS0_14default_configENS1_37merge_sort_block_sort_config_selectorIjNS0_10empty_typeEEEZNS1_21merge_sort_block_sortIS3_N6thrust23THRUST_200600_302600_NS6detail15normal_iteratorINS9_10device_ptrIjEEEESE_PS5_SF_14custom_greaterIjEEE10hipError_tT0_T1_T2_T3_mRjT4_P12ihipStream_tbNS1_7vsmem_tEEUlT_E_NS1_11comp_targetILNS1_3genE2ELNS1_11target_archE906ELNS1_3gpuE6ELNS1_3repE0EEENS1_30default_config_static_selectorELNS0_4arch9wavefront6targetE1EEEvSK_.kd
    .uniform_work_group_size: 1
    .uses_dynamic_stack: false
    .vgpr_count:     0
    .vgpr_spill_count: 0
    .wavefront_size: 64
  - .agpr_count:     0
    .args:
      - .offset:         0
        .size:           64
        .value_kind:     by_value
    .group_segment_fixed_size: 0
    .kernarg_segment_align: 8
    .kernarg_segment_size: 64
    .language:       OpenCL C
    .language_version:
      - 2
      - 0
    .max_flat_workgroup_size: 256
    .name:           _ZN7rocprim17ROCPRIM_400000_NS6detail17trampoline_kernelINS0_14default_configENS1_37merge_sort_block_sort_config_selectorIjNS0_10empty_typeEEEZNS1_21merge_sort_block_sortIS3_N6thrust23THRUST_200600_302600_NS6detail15normal_iteratorINS9_10device_ptrIjEEEESE_PS5_SF_14custom_greaterIjEEE10hipError_tT0_T1_T2_T3_mRjT4_P12ihipStream_tbNS1_7vsmem_tEEUlT_E_NS1_11comp_targetILNS1_3genE10ELNS1_11target_archE1201ELNS1_3gpuE5ELNS1_3repE0EEENS1_30default_config_static_selectorELNS0_4arch9wavefront6targetE1EEEvSK_
    .private_segment_fixed_size: 0
    .sgpr_count:     4
    .sgpr_spill_count: 0
    .symbol:         _ZN7rocprim17ROCPRIM_400000_NS6detail17trampoline_kernelINS0_14default_configENS1_37merge_sort_block_sort_config_selectorIjNS0_10empty_typeEEEZNS1_21merge_sort_block_sortIS3_N6thrust23THRUST_200600_302600_NS6detail15normal_iteratorINS9_10device_ptrIjEEEESE_PS5_SF_14custom_greaterIjEEE10hipError_tT0_T1_T2_T3_mRjT4_P12ihipStream_tbNS1_7vsmem_tEEUlT_E_NS1_11comp_targetILNS1_3genE10ELNS1_11target_archE1201ELNS1_3gpuE5ELNS1_3repE0EEENS1_30default_config_static_selectorELNS0_4arch9wavefront6targetE1EEEvSK_.kd
    .uniform_work_group_size: 1
    .uses_dynamic_stack: false
    .vgpr_count:     0
    .vgpr_spill_count: 0
    .wavefront_size: 64
  - .agpr_count:     0
    .args:
      - .offset:         0
        .size:           64
        .value_kind:     by_value
    .group_segment_fixed_size: 0
    .kernarg_segment_align: 8
    .kernarg_segment_size: 64
    .language:       OpenCL C
    .language_version:
      - 2
      - 0
    .max_flat_workgroup_size: 256
    .name:           _ZN7rocprim17ROCPRIM_400000_NS6detail17trampoline_kernelINS0_14default_configENS1_37merge_sort_block_sort_config_selectorIjNS0_10empty_typeEEEZNS1_21merge_sort_block_sortIS3_N6thrust23THRUST_200600_302600_NS6detail15normal_iteratorINS9_10device_ptrIjEEEESE_PS5_SF_14custom_greaterIjEEE10hipError_tT0_T1_T2_T3_mRjT4_P12ihipStream_tbNS1_7vsmem_tEEUlT_E_NS1_11comp_targetILNS1_3genE10ELNS1_11target_archE1200ELNS1_3gpuE4ELNS1_3repE0EEENS1_30default_config_static_selectorELNS0_4arch9wavefront6targetE1EEEvSK_
    .private_segment_fixed_size: 0
    .sgpr_count:     4
    .sgpr_spill_count: 0
    .symbol:         _ZN7rocprim17ROCPRIM_400000_NS6detail17trampoline_kernelINS0_14default_configENS1_37merge_sort_block_sort_config_selectorIjNS0_10empty_typeEEEZNS1_21merge_sort_block_sortIS3_N6thrust23THRUST_200600_302600_NS6detail15normal_iteratorINS9_10device_ptrIjEEEESE_PS5_SF_14custom_greaterIjEEE10hipError_tT0_T1_T2_T3_mRjT4_P12ihipStream_tbNS1_7vsmem_tEEUlT_E_NS1_11comp_targetILNS1_3genE10ELNS1_11target_archE1200ELNS1_3gpuE4ELNS1_3repE0EEENS1_30default_config_static_selectorELNS0_4arch9wavefront6targetE1EEEvSK_.kd
    .uniform_work_group_size: 1
    .uses_dynamic_stack: false
    .vgpr_count:     0
    .vgpr_spill_count: 0
    .wavefront_size: 64
  - .agpr_count:     0
    .args:
      - .offset:         0
        .size:           64
        .value_kind:     by_value
    .group_segment_fixed_size: 0
    .kernarg_segment_align: 8
    .kernarg_segment_size: 64
    .language:       OpenCL C
    .language_version:
      - 2
      - 0
    .max_flat_workgroup_size: 256
    .name:           _ZN7rocprim17ROCPRIM_400000_NS6detail17trampoline_kernelINS0_14default_configENS1_37merge_sort_block_sort_config_selectorIjNS0_10empty_typeEEEZNS1_21merge_sort_block_sortIS3_N6thrust23THRUST_200600_302600_NS6detail15normal_iteratorINS9_10device_ptrIjEEEESE_PS5_SF_14custom_greaterIjEEE10hipError_tT0_T1_T2_T3_mRjT4_P12ihipStream_tbNS1_7vsmem_tEEUlT_E_NS1_11comp_targetILNS1_3genE9ELNS1_11target_archE1100ELNS1_3gpuE3ELNS1_3repE0EEENS1_30default_config_static_selectorELNS0_4arch9wavefront6targetE1EEEvSK_
    .private_segment_fixed_size: 0
    .sgpr_count:     4
    .sgpr_spill_count: 0
    .symbol:         _ZN7rocprim17ROCPRIM_400000_NS6detail17trampoline_kernelINS0_14default_configENS1_37merge_sort_block_sort_config_selectorIjNS0_10empty_typeEEEZNS1_21merge_sort_block_sortIS3_N6thrust23THRUST_200600_302600_NS6detail15normal_iteratorINS9_10device_ptrIjEEEESE_PS5_SF_14custom_greaterIjEEE10hipError_tT0_T1_T2_T3_mRjT4_P12ihipStream_tbNS1_7vsmem_tEEUlT_E_NS1_11comp_targetILNS1_3genE9ELNS1_11target_archE1100ELNS1_3gpuE3ELNS1_3repE0EEENS1_30default_config_static_selectorELNS0_4arch9wavefront6targetE1EEEvSK_.kd
    .uniform_work_group_size: 1
    .uses_dynamic_stack: false
    .vgpr_count:     0
    .vgpr_spill_count: 0
    .wavefront_size: 64
  - .agpr_count:     0
    .args:
      - .offset:         0
        .size:           64
        .value_kind:     by_value
    .group_segment_fixed_size: 0
    .kernarg_segment_align: 8
    .kernarg_segment_size: 64
    .language:       OpenCL C
    .language_version:
      - 2
      - 0
    .max_flat_workgroup_size: 256
    .name:           _ZN7rocprim17ROCPRIM_400000_NS6detail17trampoline_kernelINS0_14default_configENS1_37merge_sort_block_sort_config_selectorIjNS0_10empty_typeEEEZNS1_21merge_sort_block_sortIS3_N6thrust23THRUST_200600_302600_NS6detail15normal_iteratorINS9_10device_ptrIjEEEESE_PS5_SF_14custom_greaterIjEEE10hipError_tT0_T1_T2_T3_mRjT4_P12ihipStream_tbNS1_7vsmem_tEEUlT_E_NS1_11comp_targetILNS1_3genE8ELNS1_11target_archE1030ELNS1_3gpuE2ELNS1_3repE0EEENS1_30default_config_static_selectorELNS0_4arch9wavefront6targetE1EEEvSK_
    .private_segment_fixed_size: 0
    .sgpr_count:     4
    .sgpr_spill_count: 0
    .symbol:         _ZN7rocprim17ROCPRIM_400000_NS6detail17trampoline_kernelINS0_14default_configENS1_37merge_sort_block_sort_config_selectorIjNS0_10empty_typeEEEZNS1_21merge_sort_block_sortIS3_N6thrust23THRUST_200600_302600_NS6detail15normal_iteratorINS9_10device_ptrIjEEEESE_PS5_SF_14custom_greaterIjEEE10hipError_tT0_T1_T2_T3_mRjT4_P12ihipStream_tbNS1_7vsmem_tEEUlT_E_NS1_11comp_targetILNS1_3genE8ELNS1_11target_archE1030ELNS1_3gpuE2ELNS1_3repE0EEENS1_30default_config_static_selectorELNS0_4arch9wavefront6targetE1EEEvSK_.kd
    .uniform_work_group_size: 1
    .uses_dynamic_stack: false
    .vgpr_count:     0
    .vgpr_spill_count: 0
    .wavefront_size: 64
  - .agpr_count:     0
    .args:
      - .offset:         0
        .size:           48
        .value_kind:     by_value
    .group_segment_fixed_size: 0
    .kernarg_segment_align: 8
    .kernarg_segment_size: 48
    .language:       OpenCL C
    .language_version:
      - 2
      - 0
    .max_flat_workgroup_size: 128
    .name:           _ZN7rocprim17ROCPRIM_400000_NS6detail17trampoline_kernelINS0_14default_configENS1_38merge_sort_block_merge_config_selectorIjNS0_10empty_typeEEEZZNS1_27merge_sort_block_merge_implIS3_N6thrust23THRUST_200600_302600_NS6detail15normal_iteratorINS9_10device_ptrIjEEEEPS5_m14custom_greaterIjEEE10hipError_tT0_T1_T2_jT3_P12ihipStream_tbPNSt15iterator_traitsISJ_E10value_typeEPNSP_ISK_E10value_typeEPSL_NS1_7vsmem_tEENKUlT_SJ_SK_SL_E_clIPjSE_SF_SF_EESI_SY_SJ_SK_SL_EUlSY_E_NS1_11comp_targetILNS1_3genE0ELNS1_11target_archE4294967295ELNS1_3gpuE0ELNS1_3repE0EEENS1_48merge_mergepath_partition_config_static_selectorELNS0_4arch9wavefront6targetE1EEEvSK_
    .private_segment_fixed_size: 0
    .sgpr_count:     4
    .sgpr_spill_count: 0
    .symbol:         _ZN7rocprim17ROCPRIM_400000_NS6detail17trampoline_kernelINS0_14default_configENS1_38merge_sort_block_merge_config_selectorIjNS0_10empty_typeEEEZZNS1_27merge_sort_block_merge_implIS3_N6thrust23THRUST_200600_302600_NS6detail15normal_iteratorINS9_10device_ptrIjEEEEPS5_m14custom_greaterIjEEE10hipError_tT0_T1_T2_jT3_P12ihipStream_tbPNSt15iterator_traitsISJ_E10value_typeEPNSP_ISK_E10value_typeEPSL_NS1_7vsmem_tEENKUlT_SJ_SK_SL_E_clIPjSE_SF_SF_EESI_SY_SJ_SK_SL_EUlSY_E_NS1_11comp_targetILNS1_3genE0ELNS1_11target_archE4294967295ELNS1_3gpuE0ELNS1_3repE0EEENS1_48merge_mergepath_partition_config_static_selectorELNS0_4arch9wavefront6targetE1EEEvSK_.kd
    .uniform_work_group_size: 1
    .uses_dynamic_stack: false
    .vgpr_count:     0
    .vgpr_spill_count: 0
    .wavefront_size: 64
  - .agpr_count:     0
    .args:
      - .offset:         0
        .size:           48
        .value_kind:     by_value
    .group_segment_fixed_size: 0
    .kernarg_segment_align: 8
    .kernarg_segment_size: 48
    .language:       OpenCL C
    .language_version:
      - 2
      - 0
    .max_flat_workgroup_size: 128
    .name:           _ZN7rocprim17ROCPRIM_400000_NS6detail17trampoline_kernelINS0_14default_configENS1_38merge_sort_block_merge_config_selectorIjNS0_10empty_typeEEEZZNS1_27merge_sort_block_merge_implIS3_N6thrust23THRUST_200600_302600_NS6detail15normal_iteratorINS9_10device_ptrIjEEEEPS5_m14custom_greaterIjEEE10hipError_tT0_T1_T2_jT3_P12ihipStream_tbPNSt15iterator_traitsISJ_E10value_typeEPNSP_ISK_E10value_typeEPSL_NS1_7vsmem_tEENKUlT_SJ_SK_SL_E_clIPjSE_SF_SF_EESI_SY_SJ_SK_SL_EUlSY_E_NS1_11comp_targetILNS1_3genE10ELNS1_11target_archE1201ELNS1_3gpuE5ELNS1_3repE0EEENS1_48merge_mergepath_partition_config_static_selectorELNS0_4arch9wavefront6targetE1EEEvSK_
    .private_segment_fixed_size: 0
    .sgpr_count:     4
    .sgpr_spill_count: 0
    .symbol:         _ZN7rocprim17ROCPRIM_400000_NS6detail17trampoline_kernelINS0_14default_configENS1_38merge_sort_block_merge_config_selectorIjNS0_10empty_typeEEEZZNS1_27merge_sort_block_merge_implIS3_N6thrust23THRUST_200600_302600_NS6detail15normal_iteratorINS9_10device_ptrIjEEEEPS5_m14custom_greaterIjEEE10hipError_tT0_T1_T2_jT3_P12ihipStream_tbPNSt15iterator_traitsISJ_E10value_typeEPNSP_ISK_E10value_typeEPSL_NS1_7vsmem_tEENKUlT_SJ_SK_SL_E_clIPjSE_SF_SF_EESI_SY_SJ_SK_SL_EUlSY_E_NS1_11comp_targetILNS1_3genE10ELNS1_11target_archE1201ELNS1_3gpuE5ELNS1_3repE0EEENS1_48merge_mergepath_partition_config_static_selectorELNS0_4arch9wavefront6targetE1EEEvSK_.kd
    .uniform_work_group_size: 1
    .uses_dynamic_stack: false
    .vgpr_count:     0
    .vgpr_spill_count: 0
    .wavefront_size: 64
  - .agpr_count:     0
    .args:
      - .offset:         0
        .size:           48
        .value_kind:     by_value
    .group_segment_fixed_size: 0
    .kernarg_segment_align: 8
    .kernarg_segment_size: 48
    .language:       OpenCL C
    .language_version:
      - 2
      - 0
    .max_flat_workgroup_size: 128
    .name:           _ZN7rocprim17ROCPRIM_400000_NS6detail17trampoline_kernelINS0_14default_configENS1_38merge_sort_block_merge_config_selectorIjNS0_10empty_typeEEEZZNS1_27merge_sort_block_merge_implIS3_N6thrust23THRUST_200600_302600_NS6detail15normal_iteratorINS9_10device_ptrIjEEEEPS5_m14custom_greaterIjEEE10hipError_tT0_T1_T2_jT3_P12ihipStream_tbPNSt15iterator_traitsISJ_E10value_typeEPNSP_ISK_E10value_typeEPSL_NS1_7vsmem_tEENKUlT_SJ_SK_SL_E_clIPjSE_SF_SF_EESI_SY_SJ_SK_SL_EUlSY_E_NS1_11comp_targetILNS1_3genE5ELNS1_11target_archE942ELNS1_3gpuE9ELNS1_3repE0EEENS1_48merge_mergepath_partition_config_static_selectorELNS0_4arch9wavefront6targetE1EEEvSK_
    .private_segment_fixed_size: 0
    .sgpr_count:     4
    .sgpr_spill_count: 0
    .symbol:         _ZN7rocprim17ROCPRIM_400000_NS6detail17trampoline_kernelINS0_14default_configENS1_38merge_sort_block_merge_config_selectorIjNS0_10empty_typeEEEZZNS1_27merge_sort_block_merge_implIS3_N6thrust23THRUST_200600_302600_NS6detail15normal_iteratorINS9_10device_ptrIjEEEEPS5_m14custom_greaterIjEEE10hipError_tT0_T1_T2_jT3_P12ihipStream_tbPNSt15iterator_traitsISJ_E10value_typeEPNSP_ISK_E10value_typeEPSL_NS1_7vsmem_tEENKUlT_SJ_SK_SL_E_clIPjSE_SF_SF_EESI_SY_SJ_SK_SL_EUlSY_E_NS1_11comp_targetILNS1_3genE5ELNS1_11target_archE942ELNS1_3gpuE9ELNS1_3repE0EEENS1_48merge_mergepath_partition_config_static_selectorELNS0_4arch9wavefront6targetE1EEEvSK_.kd
    .uniform_work_group_size: 1
    .uses_dynamic_stack: false
    .vgpr_count:     0
    .vgpr_spill_count: 0
    .wavefront_size: 64
  - .agpr_count:     0
    .args:
      - .offset:         0
        .size:           48
        .value_kind:     by_value
    .group_segment_fixed_size: 0
    .kernarg_segment_align: 8
    .kernarg_segment_size: 48
    .language:       OpenCL C
    .language_version:
      - 2
      - 0
    .max_flat_workgroup_size: 128
    .name:           _ZN7rocprim17ROCPRIM_400000_NS6detail17trampoline_kernelINS0_14default_configENS1_38merge_sort_block_merge_config_selectorIjNS0_10empty_typeEEEZZNS1_27merge_sort_block_merge_implIS3_N6thrust23THRUST_200600_302600_NS6detail15normal_iteratorINS9_10device_ptrIjEEEEPS5_m14custom_greaterIjEEE10hipError_tT0_T1_T2_jT3_P12ihipStream_tbPNSt15iterator_traitsISJ_E10value_typeEPNSP_ISK_E10value_typeEPSL_NS1_7vsmem_tEENKUlT_SJ_SK_SL_E_clIPjSE_SF_SF_EESI_SY_SJ_SK_SL_EUlSY_E_NS1_11comp_targetILNS1_3genE4ELNS1_11target_archE910ELNS1_3gpuE8ELNS1_3repE0EEENS1_48merge_mergepath_partition_config_static_selectorELNS0_4arch9wavefront6targetE1EEEvSK_
    .private_segment_fixed_size: 0
    .sgpr_count:     12
    .sgpr_spill_count: 0
    .symbol:         _ZN7rocprim17ROCPRIM_400000_NS6detail17trampoline_kernelINS0_14default_configENS1_38merge_sort_block_merge_config_selectorIjNS0_10empty_typeEEEZZNS1_27merge_sort_block_merge_implIS3_N6thrust23THRUST_200600_302600_NS6detail15normal_iteratorINS9_10device_ptrIjEEEEPS5_m14custom_greaterIjEEE10hipError_tT0_T1_T2_jT3_P12ihipStream_tbPNSt15iterator_traitsISJ_E10value_typeEPNSP_ISK_E10value_typeEPSL_NS1_7vsmem_tEENKUlT_SJ_SK_SL_E_clIPjSE_SF_SF_EESI_SY_SJ_SK_SL_EUlSY_E_NS1_11comp_targetILNS1_3genE4ELNS1_11target_archE910ELNS1_3gpuE8ELNS1_3repE0EEENS1_48merge_mergepath_partition_config_static_selectorELNS0_4arch9wavefront6targetE1EEEvSK_.kd
    .uniform_work_group_size: 1
    .uses_dynamic_stack: false
    .vgpr_count:     19
    .vgpr_spill_count: 0
    .wavefront_size: 64
  - .agpr_count:     0
    .args:
      - .offset:         0
        .size:           48
        .value_kind:     by_value
    .group_segment_fixed_size: 0
    .kernarg_segment_align: 8
    .kernarg_segment_size: 48
    .language:       OpenCL C
    .language_version:
      - 2
      - 0
    .max_flat_workgroup_size: 128
    .name:           _ZN7rocprim17ROCPRIM_400000_NS6detail17trampoline_kernelINS0_14default_configENS1_38merge_sort_block_merge_config_selectorIjNS0_10empty_typeEEEZZNS1_27merge_sort_block_merge_implIS3_N6thrust23THRUST_200600_302600_NS6detail15normal_iteratorINS9_10device_ptrIjEEEEPS5_m14custom_greaterIjEEE10hipError_tT0_T1_T2_jT3_P12ihipStream_tbPNSt15iterator_traitsISJ_E10value_typeEPNSP_ISK_E10value_typeEPSL_NS1_7vsmem_tEENKUlT_SJ_SK_SL_E_clIPjSE_SF_SF_EESI_SY_SJ_SK_SL_EUlSY_E_NS1_11comp_targetILNS1_3genE3ELNS1_11target_archE908ELNS1_3gpuE7ELNS1_3repE0EEENS1_48merge_mergepath_partition_config_static_selectorELNS0_4arch9wavefront6targetE1EEEvSK_
    .private_segment_fixed_size: 0
    .sgpr_count:     4
    .sgpr_spill_count: 0
    .symbol:         _ZN7rocprim17ROCPRIM_400000_NS6detail17trampoline_kernelINS0_14default_configENS1_38merge_sort_block_merge_config_selectorIjNS0_10empty_typeEEEZZNS1_27merge_sort_block_merge_implIS3_N6thrust23THRUST_200600_302600_NS6detail15normal_iteratorINS9_10device_ptrIjEEEEPS5_m14custom_greaterIjEEE10hipError_tT0_T1_T2_jT3_P12ihipStream_tbPNSt15iterator_traitsISJ_E10value_typeEPNSP_ISK_E10value_typeEPSL_NS1_7vsmem_tEENKUlT_SJ_SK_SL_E_clIPjSE_SF_SF_EESI_SY_SJ_SK_SL_EUlSY_E_NS1_11comp_targetILNS1_3genE3ELNS1_11target_archE908ELNS1_3gpuE7ELNS1_3repE0EEENS1_48merge_mergepath_partition_config_static_selectorELNS0_4arch9wavefront6targetE1EEEvSK_.kd
    .uniform_work_group_size: 1
    .uses_dynamic_stack: false
    .vgpr_count:     0
    .vgpr_spill_count: 0
    .wavefront_size: 64
  - .agpr_count:     0
    .args:
      - .offset:         0
        .size:           48
        .value_kind:     by_value
    .group_segment_fixed_size: 0
    .kernarg_segment_align: 8
    .kernarg_segment_size: 48
    .language:       OpenCL C
    .language_version:
      - 2
      - 0
    .max_flat_workgroup_size: 128
    .name:           _ZN7rocprim17ROCPRIM_400000_NS6detail17trampoline_kernelINS0_14default_configENS1_38merge_sort_block_merge_config_selectorIjNS0_10empty_typeEEEZZNS1_27merge_sort_block_merge_implIS3_N6thrust23THRUST_200600_302600_NS6detail15normal_iteratorINS9_10device_ptrIjEEEEPS5_m14custom_greaterIjEEE10hipError_tT0_T1_T2_jT3_P12ihipStream_tbPNSt15iterator_traitsISJ_E10value_typeEPNSP_ISK_E10value_typeEPSL_NS1_7vsmem_tEENKUlT_SJ_SK_SL_E_clIPjSE_SF_SF_EESI_SY_SJ_SK_SL_EUlSY_E_NS1_11comp_targetILNS1_3genE2ELNS1_11target_archE906ELNS1_3gpuE6ELNS1_3repE0EEENS1_48merge_mergepath_partition_config_static_selectorELNS0_4arch9wavefront6targetE1EEEvSK_
    .private_segment_fixed_size: 0
    .sgpr_count:     4
    .sgpr_spill_count: 0
    .symbol:         _ZN7rocprim17ROCPRIM_400000_NS6detail17trampoline_kernelINS0_14default_configENS1_38merge_sort_block_merge_config_selectorIjNS0_10empty_typeEEEZZNS1_27merge_sort_block_merge_implIS3_N6thrust23THRUST_200600_302600_NS6detail15normal_iteratorINS9_10device_ptrIjEEEEPS5_m14custom_greaterIjEEE10hipError_tT0_T1_T2_jT3_P12ihipStream_tbPNSt15iterator_traitsISJ_E10value_typeEPNSP_ISK_E10value_typeEPSL_NS1_7vsmem_tEENKUlT_SJ_SK_SL_E_clIPjSE_SF_SF_EESI_SY_SJ_SK_SL_EUlSY_E_NS1_11comp_targetILNS1_3genE2ELNS1_11target_archE906ELNS1_3gpuE6ELNS1_3repE0EEENS1_48merge_mergepath_partition_config_static_selectorELNS0_4arch9wavefront6targetE1EEEvSK_.kd
    .uniform_work_group_size: 1
    .uses_dynamic_stack: false
    .vgpr_count:     0
    .vgpr_spill_count: 0
    .wavefront_size: 64
  - .agpr_count:     0
    .args:
      - .offset:         0
        .size:           48
        .value_kind:     by_value
    .group_segment_fixed_size: 0
    .kernarg_segment_align: 8
    .kernarg_segment_size: 48
    .language:       OpenCL C
    .language_version:
      - 2
      - 0
    .max_flat_workgroup_size: 128
    .name:           _ZN7rocprim17ROCPRIM_400000_NS6detail17trampoline_kernelINS0_14default_configENS1_38merge_sort_block_merge_config_selectorIjNS0_10empty_typeEEEZZNS1_27merge_sort_block_merge_implIS3_N6thrust23THRUST_200600_302600_NS6detail15normal_iteratorINS9_10device_ptrIjEEEEPS5_m14custom_greaterIjEEE10hipError_tT0_T1_T2_jT3_P12ihipStream_tbPNSt15iterator_traitsISJ_E10value_typeEPNSP_ISK_E10value_typeEPSL_NS1_7vsmem_tEENKUlT_SJ_SK_SL_E_clIPjSE_SF_SF_EESI_SY_SJ_SK_SL_EUlSY_E_NS1_11comp_targetILNS1_3genE9ELNS1_11target_archE1100ELNS1_3gpuE3ELNS1_3repE0EEENS1_48merge_mergepath_partition_config_static_selectorELNS0_4arch9wavefront6targetE1EEEvSK_
    .private_segment_fixed_size: 0
    .sgpr_count:     4
    .sgpr_spill_count: 0
    .symbol:         _ZN7rocprim17ROCPRIM_400000_NS6detail17trampoline_kernelINS0_14default_configENS1_38merge_sort_block_merge_config_selectorIjNS0_10empty_typeEEEZZNS1_27merge_sort_block_merge_implIS3_N6thrust23THRUST_200600_302600_NS6detail15normal_iteratorINS9_10device_ptrIjEEEEPS5_m14custom_greaterIjEEE10hipError_tT0_T1_T2_jT3_P12ihipStream_tbPNSt15iterator_traitsISJ_E10value_typeEPNSP_ISK_E10value_typeEPSL_NS1_7vsmem_tEENKUlT_SJ_SK_SL_E_clIPjSE_SF_SF_EESI_SY_SJ_SK_SL_EUlSY_E_NS1_11comp_targetILNS1_3genE9ELNS1_11target_archE1100ELNS1_3gpuE3ELNS1_3repE0EEENS1_48merge_mergepath_partition_config_static_selectorELNS0_4arch9wavefront6targetE1EEEvSK_.kd
    .uniform_work_group_size: 1
    .uses_dynamic_stack: false
    .vgpr_count:     0
    .vgpr_spill_count: 0
    .wavefront_size: 64
  - .agpr_count:     0
    .args:
      - .offset:         0
        .size:           48
        .value_kind:     by_value
    .group_segment_fixed_size: 0
    .kernarg_segment_align: 8
    .kernarg_segment_size: 48
    .language:       OpenCL C
    .language_version:
      - 2
      - 0
    .max_flat_workgroup_size: 128
    .name:           _ZN7rocprim17ROCPRIM_400000_NS6detail17trampoline_kernelINS0_14default_configENS1_38merge_sort_block_merge_config_selectorIjNS0_10empty_typeEEEZZNS1_27merge_sort_block_merge_implIS3_N6thrust23THRUST_200600_302600_NS6detail15normal_iteratorINS9_10device_ptrIjEEEEPS5_m14custom_greaterIjEEE10hipError_tT0_T1_T2_jT3_P12ihipStream_tbPNSt15iterator_traitsISJ_E10value_typeEPNSP_ISK_E10value_typeEPSL_NS1_7vsmem_tEENKUlT_SJ_SK_SL_E_clIPjSE_SF_SF_EESI_SY_SJ_SK_SL_EUlSY_E_NS1_11comp_targetILNS1_3genE8ELNS1_11target_archE1030ELNS1_3gpuE2ELNS1_3repE0EEENS1_48merge_mergepath_partition_config_static_selectorELNS0_4arch9wavefront6targetE1EEEvSK_
    .private_segment_fixed_size: 0
    .sgpr_count:     4
    .sgpr_spill_count: 0
    .symbol:         _ZN7rocprim17ROCPRIM_400000_NS6detail17trampoline_kernelINS0_14default_configENS1_38merge_sort_block_merge_config_selectorIjNS0_10empty_typeEEEZZNS1_27merge_sort_block_merge_implIS3_N6thrust23THRUST_200600_302600_NS6detail15normal_iteratorINS9_10device_ptrIjEEEEPS5_m14custom_greaterIjEEE10hipError_tT0_T1_T2_jT3_P12ihipStream_tbPNSt15iterator_traitsISJ_E10value_typeEPNSP_ISK_E10value_typeEPSL_NS1_7vsmem_tEENKUlT_SJ_SK_SL_E_clIPjSE_SF_SF_EESI_SY_SJ_SK_SL_EUlSY_E_NS1_11comp_targetILNS1_3genE8ELNS1_11target_archE1030ELNS1_3gpuE2ELNS1_3repE0EEENS1_48merge_mergepath_partition_config_static_selectorELNS0_4arch9wavefront6targetE1EEEvSK_.kd
    .uniform_work_group_size: 1
    .uses_dynamic_stack: false
    .vgpr_count:     0
    .vgpr_spill_count: 0
    .wavefront_size: 64
  - .agpr_count:     0
    .args:
      - .offset:         0
        .size:           72
        .value_kind:     by_value
    .group_segment_fixed_size: 0
    .kernarg_segment_align: 8
    .kernarg_segment_size: 72
    .language:       OpenCL C
    .language_version:
      - 2
      - 0
    .max_flat_workgroup_size: 128
    .name:           _ZN7rocprim17ROCPRIM_400000_NS6detail17trampoline_kernelINS0_14default_configENS1_38merge_sort_block_merge_config_selectorIjNS0_10empty_typeEEEZZNS1_27merge_sort_block_merge_implIS3_N6thrust23THRUST_200600_302600_NS6detail15normal_iteratorINS9_10device_ptrIjEEEEPS5_m14custom_greaterIjEEE10hipError_tT0_T1_T2_jT3_P12ihipStream_tbPNSt15iterator_traitsISJ_E10value_typeEPNSP_ISK_E10value_typeEPSL_NS1_7vsmem_tEENKUlT_SJ_SK_SL_E_clIPjSE_SF_SF_EESI_SY_SJ_SK_SL_EUlSY_E0_NS1_11comp_targetILNS1_3genE0ELNS1_11target_archE4294967295ELNS1_3gpuE0ELNS1_3repE0EEENS1_38merge_mergepath_config_static_selectorELNS0_4arch9wavefront6targetE1EEEvSK_
    .private_segment_fixed_size: 0
    .sgpr_count:     4
    .sgpr_spill_count: 0
    .symbol:         _ZN7rocprim17ROCPRIM_400000_NS6detail17trampoline_kernelINS0_14default_configENS1_38merge_sort_block_merge_config_selectorIjNS0_10empty_typeEEEZZNS1_27merge_sort_block_merge_implIS3_N6thrust23THRUST_200600_302600_NS6detail15normal_iteratorINS9_10device_ptrIjEEEEPS5_m14custom_greaterIjEEE10hipError_tT0_T1_T2_jT3_P12ihipStream_tbPNSt15iterator_traitsISJ_E10value_typeEPNSP_ISK_E10value_typeEPSL_NS1_7vsmem_tEENKUlT_SJ_SK_SL_E_clIPjSE_SF_SF_EESI_SY_SJ_SK_SL_EUlSY_E0_NS1_11comp_targetILNS1_3genE0ELNS1_11target_archE4294967295ELNS1_3gpuE0ELNS1_3repE0EEENS1_38merge_mergepath_config_static_selectorELNS0_4arch9wavefront6targetE1EEEvSK_.kd
    .uniform_work_group_size: 1
    .uses_dynamic_stack: false
    .vgpr_count:     0
    .vgpr_spill_count: 0
    .wavefront_size: 64
  - .agpr_count:     0
    .args:
      - .offset:         0
        .size:           72
        .value_kind:     by_value
    .group_segment_fixed_size: 0
    .kernarg_segment_align: 8
    .kernarg_segment_size: 72
    .language:       OpenCL C
    .language_version:
      - 2
      - 0
    .max_flat_workgroup_size: 256
    .name:           _ZN7rocprim17ROCPRIM_400000_NS6detail17trampoline_kernelINS0_14default_configENS1_38merge_sort_block_merge_config_selectorIjNS0_10empty_typeEEEZZNS1_27merge_sort_block_merge_implIS3_N6thrust23THRUST_200600_302600_NS6detail15normal_iteratorINS9_10device_ptrIjEEEEPS5_m14custom_greaterIjEEE10hipError_tT0_T1_T2_jT3_P12ihipStream_tbPNSt15iterator_traitsISJ_E10value_typeEPNSP_ISK_E10value_typeEPSL_NS1_7vsmem_tEENKUlT_SJ_SK_SL_E_clIPjSE_SF_SF_EESI_SY_SJ_SK_SL_EUlSY_E0_NS1_11comp_targetILNS1_3genE10ELNS1_11target_archE1201ELNS1_3gpuE5ELNS1_3repE0EEENS1_38merge_mergepath_config_static_selectorELNS0_4arch9wavefront6targetE1EEEvSK_
    .private_segment_fixed_size: 0
    .sgpr_count:     4
    .sgpr_spill_count: 0
    .symbol:         _ZN7rocprim17ROCPRIM_400000_NS6detail17trampoline_kernelINS0_14default_configENS1_38merge_sort_block_merge_config_selectorIjNS0_10empty_typeEEEZZNS1_27merge_sort_block_merge_implIS3_N6thrust23THRUST_200600_302600_NS6detail15normal_iteratorINS9_10device_ptrIjEEEEPS5_m14custom_greaterIjEEE10hipError_tT0_T1_T2_jT3_P12ihipStream_tbPNSt15iterator_traitsISJ_E10value_typeEPNSP_ISK_E10value_typeEPSL_NS1_7vsmem_tEENKUlT_SJ_SK_SL_E_clIPjSE_SF_SF_EESI_SY_SJ_SK_SL_EUlSY_E0_NS1_11comp_targetILNS1_3genE10ELNS1_11target_archE1201ELNS1_3gpuE5ELNS1_3repE0EEENS1_38merge_mergepath_config_static_selectorELNS0_4arch9wavefront6targetE1EEEvSK_.kd
    .uniform_work_group_size: 1
    .uses_dynamic_stack: false
    .vgpr_count:     0
    .vgpr_spill_count: 0
    .wavefront_size: 64
  - .agpr_count:     0
    .args:
      - .offset:         0
        .size:           72
        .value_kind:     by_value
    .group_segment_fixed_size: 0
    .kernarg_segment_align: 8
    .kernarg_segment_size: 72
    .language:       OpenCL C
    .language_version:
      - 2
      - 0
    .max_flat_workgroup_size: 128
    .name:           _ZN7rocprim17ROCPRIM_400000_NS6detail17trampoline_kernelINS0_14default_configENS1_38merge_sort_block_merge_config_selectorIjNS0_10empty_typeEEEZZNS1_27merge_sort_block_merge_implIS3_N6thrust23THRUST_200600_302600_NS6detail15normal_iteratorINS9_10device_ptrIjEEEEPS5_m14custom_greaterIjEEE10hipError_tT0_T1_T2_jT3_P12ihipStream_tbPNSt15iterator_traitsISJ_E10value_typeEPNSP_ISK_E10value_typeEPSL_NS1_7vsmem_tEENKUlT_SJ_SK_SL_E_clIPjSE_SF_SF_EESI_SY_SJ_SK_SL_EUlSY_E0_NS1_11comp_targetILNS1_3genE5ELNS1_11target_archE942ELNS1_3gpuE9ELNS1_3repE0EEENS1_38merge_mergepath_config_static_selectorELNS0_4arch9wavefront6targetE1EEEvSK_
    .private_segment_fixed_size: 0
    .sgpr_count:     4
    .sgpr_spill_count: 0
    .symbol:         _ZN7rocprim17ROCPRIM_400000_NS6detail17trampoline_kernelINS0_14default_configENS1_38merge_sort_block_merge_config_selectorIjNS0_10empty_typeEEEZZNS1_27merge_sort_block_merge_implIS3_N6thrust23THRUST_200600_302600_NS6detail15normal_iteratorINS9_10device_ptrIjEEEEPS5_m14custom_greaterIjEEE10hipError_tT0_T1_T2_jT3_P12ihipStream_tbPNSt15iterator_traitsISJ_E10value_typeEPNSP_ISK_E10value_typeEPSL_NS1_7vsmem_tEENKUlT_SJ_SK_SL_E_clIPjSE_SF_SF_EESI_SY_SJ_SK_SL_EUlSY_E0_NS1_11comp_targetILNS1_3genE5ELNS1_11target_archE942ELNS1_3gpuE9ELNS1_3repE0EEENS1_38merge_mergepath_config_static_selectorELNS0_4arch9wavefront6targetE1EEEvSK_.kd
    .uniform_work_group_size: 1
    .uses_dynamic_stack: false
    .vgpr_count:     0
    .vgpr_spill_count: 0
    .wavefront_size: 64
  - .agpr_count:     0
    .args:
      - .offset:         0
        .size:           72
        .value_kind:     by_value
      - .offset:         72
        .size:           4
        .value_kind:     hidden_block_count_x
      - .offset:         76
        .size:           4
        .value_kind:     hidden_block_count_y
      - .offset:         80
        .size:           4
        .value_kind:     hidden_block_count_z
      - .offset:         84
        .size:           2
        .value_kind:     hidden_group_size_x
      - .offset:         86
        .size:           2
        .value_kind:     hidden_group_size_y
      - .offset:         88
        .size:           2
        .value_kind:     hidden_group_size_z
      - .offset:         90
        .size:           2
        .value_kind:     hidden_remainder_x
      - .offset:         92
        .size:           2
        .value_kind:     hidden_remainder_y
      - .offset:         94
        .size:           2
        .value_kind:     hidden_remainder_z
      - .offset:         112
        .size:           8
        .value_kind:     hidden_global_offset_x
      - .offset:         120
        .size:           8
        .value_kind:     hidden_global_offset_y
      - .offset:         128
        .size:           8
        .value_kind:     hidden_global_offset_z
      - .offset:         136
        .size:           2
        .value_kind:     hidden_grid_dims
    .group_segment_fixed_size: 4224
    .kernarg_segment_align: 8
    .kernarg_segment_size: 328
    .language:       OpenCL C
    .language_version:
      - 2
      - 0
    .max_flat_workgroup_size: 128
    .name:           _ZN7rocprim17ROCPRIM_400000_NS6detail17trampoline_kernelINS0_14default_configENS1_38merge_sort_block_merge_config_selectorIjNS0_10empty_typeEEEZZNS1_27merge_sort_block_merge_implIS3_N6thrust23THRUST_200600_302600_NS6detail15normal_iteratorINS9_10device_ptrIjEEEEPS5_m14custom_greaterIjEEE10hipError_tT0_T1_T2_jT3_P12ihipStream_tbPNSt15iterator_traitsISJ_E10value_typeEPNSP_ISK_E10value_typeEPSL_NS1_7vsmem_tEENKUlT_SJ_SK_SL_E_clIPjSE_SF_SF_EESI_SY_SJ_SK_SL_EUlSY_E0_NS1_11comp_targetILNS1_3genE4ELNS1_11target_archE910ELNS1_3gpuE8ELNS1_3repE0EEENS1_38merge_mergepath_config_static_selectorELNS0_4arch9wavefront6targetE1EEEvSK_
    .private_segment_fixed_size: 0
    .sgpr_count:     35
    .sgpr_spill_count: 0
    .symbol:         _ZN7rocprim17ROCPRIM_400000_NS6detail17trampoline_kernelINS0_14default_configENS1_38merge_sort_block_merge_config_selectorIjNS0_10empty_typeEEEZZNS1_27merge_sort_block_merge_implIS3_N6thrust23THRUST_200600_302600_NS6detail15normal_iteratorINS9_10device_ptrIjEEEEPS5_m14custom_greaterIjEEE10hipError_tT0_T1_T2_jT3_P12ihipStream_tbPNSt15iterator_traitsISJ_E10value_typeEPNSP_ISK_E10value_typeEPSL_NS1_7vsmem_tEENKUlT_SJ_SK_SL_E_clIPjSE_SF_SF_EESI_SY_SJ_SK_SL_EUlSY_E0_NS1_11comp_targetILNS1_3genE4ELNS1_11target_archE910ELNS1_3gpuE8ELNS1_3repE0EEENS1_38merge_mergepath_config_static_selectorELNS0_4arch9wavefront6targetE1EEEvSK_.kd
    .uniform_work_group_size: 1
    .uses_dynamic_stack: false
    .vgpr_count:     26
    .vgpr_spill_count: 0
    .wavefront_size: 64
  - .agpr_count:     0
    .args:
      - .offset:         0
        .size:           72
        .value_kind:     by_value
    .group_segment_fixed_size: 0
    .kernarg_segment_align: 8
    .kernarg_segment_size: 72
    .language:       OpenCL C
    .language_version:
      - 2
      - 0
    .max_flat_workgroup_size: 128
    .name:           _ZN7rocprim17ROCPRIM_400000_NS6detail17trampoline_kernelINS0_14default_configENS1_38merge_sort_block_merge_config_selectorIjNS0_10empty_typeEEEZZNS1_27merge_sort_block_merge_implIS3_N6thrust23THRUST_200600_302600_NS6detail15normal_iteratorINS9_10device_ptrIjEEEEPS5_m14custom_greaterIjEEE10hipError_tT0_T1_T2_jT3_P12ihipStream_tbPNSt15iterator_traitsISJ_E10value_typeEPNSP_ISK_E10value_typeEPSL_NS1_7vsmem_tEENKUlT_SJ_SK_SL_E_clIPjSE_SF_SF_EESI_SY_SJ_SK_SL_EUlSY_E0_NS1_11comp_targetILNS1_3genE3ELNS1_11target_archE908ELNS1_3gpuE7ELNS1_3repE0EEENS1_38merge_mergepath_config_static_selectorELNS0_4arch9wavefront6targetE1EEEvSK_
    .private_segment_fixed_size: 0
    .sgpr_count:     4
    .sgpr_spill_count: 0
    .symbol:         _ZN7rocprim17ROCPRIM_400000_NS6detail17trampoline_kernelINS0_14default_configENS1_38merge_sort_block_merge_config_selectorIjNS0_10empty_typeEEEZZNS1_27merge_sort_block_merge_implIS3_N6thrust23THRUST_200600_302600_NS6detail15normal_iteratorINS9_10device_ptrIjEEEEPS5_m14custom_greaterIjEEE10hipError_tT0_T1_T2_jT3_P12ihipStream_tbPNSt15iterator_traitsISJ_E10value_typeEPNSP_ISK_E10value_typeEPSL_NS1_7vsmem_tEENKUlT_SJ_SK_SL_E_clIPjSE_SF_SF_EESI_SY_SJ_SK_SL_EUlSY_E0_NS1_11comp_targetILNS1_3genE3ELNS1_11target_archE908ELNS1_3gpuE7ELNS1_3repE0EEENS1_38merge_mergepath_config_static_selectorELNS0_4arch9wavefront6targetE1EEEvSK_.kd
    .uniform_work_group_size: 1
    .uses_dynamic_stack: false
    .vgpr_count:     0
    .vgpr_spill_count: 0
    .wavefront_size: 64
  - .agpr_count:     0
    .args:
      - .offset:         0
        .size:           72
        .value_kind:     by_value
    .group_segment_fixed_size: 0
    .kernarg_segment_align: 8
    .kernarg_segment_size: 72
    .language:       OpenCL C
    .language_version:
      - 2
      - 0
    .max_flat_workgroup_size: 128
    .name:           _ZN7rocprim17ROCPRIM_400000_NS6detail17trampoline_kernelINS0_14default_configENS1_38merge_sort_block_merge_config_selectorIjNS0_10empty_typeEEEZZNS1_27merge_sort_block_merge_implIS3_N6thrust23THRUST_200600_302600_NS6detail15normal_iteratorINS9_10device_ptrIjEEEEPS5_m14custom_greaterIjEEE10hipError_tT0_T1_T2_jT3_P12ihipStream_tbPNSt15iterator_traitsISJ_E10value_typeEPNSP_ISK_E10value_typeEPSL_NS1_7vsmem_tEENKUlT_SJ_SK_SL_E_clIPjSE_SF_SF_EESI_SY_SJ_SK_SL_EUlSY_E0_NS1_11comp_targetILNS1_3genE2ELNS1_11target_archE906ELNS1_3gpuE6ELNS1_3repE0EEENS1_38merge_mergepath_config_static_selectorELNS0_4arch9wavefront6targetE1EEEvSK_
    .private_segment_fixed_size: 0
    .sgpr_count:     4
    .sgpr_spill_count: 0
    .symbol:         _ZN7rocprim17ROCPRIM_400000_NS6detail17trampoline_kernelINS0_14default_configENS1_38merge_sort_block_merge_config_selectorIjNS0_10empty_typeEEEZZNS1_27merge_sort_block_merge_implIS3_N6thrust23THRUST_200600_302600_NS6detail15normal_iteratorINS9_10device_ptrIjEEEEPS5_m14custom_greaterIjEEE10hipError_tT0_T1_T2_jT3_P12ihipStream_tbPNSt15iterator_traitsISJ_E10value_typeEPNSP_ISK_E10value_typeEPSL_NS1_7vsmem_tEENKUlT_SJ_SK_SL_E_clIPjSE_SF_SF_EESI_SY_SJ_SK_SL_EUlSY_E0_NS1_11comp_targetILNS1_3genE2ELNS1_11target_archE906ELNS1_3gpuE6ELNS1_3repE0EEENS1_38merge_mergepath_config_static_selectorELNS0_4arch9wavefront6targetE1EEEvSK_.kd
    .uniform_work_group_size: 1
    .uses_dynamic_stack: false
    .vgpr_count:     0
    .vgpr_spill_count: 0
    .wavefront_size: 64
  - .agpr_count:     0
    .args:
      - .offset:         0
        .size:           72
        .value_kind:     by_value
    .group_segment_fixed_size: 0
    .kernarg_segment_align: 8
    .kernarg_segment_size: 72
    .language:       OpenCL C
    .language_version:
      - 2
      - 0
    .max_flat_workgroup_size: 256
    .name:           _ZN7rocprim17ROCPRIM_400000_NS6detail17trampoline_kernelINS0_14default_configENS1_38merge_sort_block_merge_config_selectorIjNS0_10empty_typeEEEZZNS1_27merge_sort_block_merge_implIS3_N6thrust23THRUST_200600_302600_NS6detail15normal_iteratorINS9_10device_ptrIjEEEEPS5_m14custom_greaterIjEEE10hipError_tT0_T1_T2_jT3_P12ihipStream_tbPNSt15iterator_traitsISJ_E10value_typeEPNSP_ISK_E10value_typeEPSL_NS1_7vsmem_tEENKUlT_SJ_SK_SL_E_clIPjSE_SF_SF_EESI_SY_SJ_SK_SL_EUlSY_E0_NS1_11comp_targetILNS1_3genE9ELNS1_11target_archE1100ELNS1_3gpuE3ELNS1_3repE0EEENS1_38merge_mergepath_config_static_selectorELNS0_4arch9wavefront6targetE1EEEvSK_
    .private_segment_fixed_size: 0
    .sgpr_count:     4
    .sgpr_spill_count: 0
    .symbol:         _ZN7rocprim17ROCPRIM_400000_NS6detail17trampoline_kernelINS0_14default_configENS1_38merge_sort_block_merge_config_selectorIjNS0_10empty_typeEEEZZNS1_27merge_sort_block_merge_implIS3_N6thrust23THRUST_200600_302600_NS6detail15normal_iteratorINS9_10device_ptrIjEEEEPS5_m14custom_greaterIjEEE10hipError_tT0_T1_T2_jT3_P12ihipStream_tbPNSt15iterator_traitsISJ_E10value_typeEPNSP_ISK_E10value_typeEPSL_NS1_7vsmem_tEENKUlT_SJ_SK_SL_E_clIPjSE_SF_SF_EESI_SY_SJ_SK_SL_EUlSY_E0_NS1_11comp_targetILNS1_3genE9ELNS1_11target_archE1100ELNS1_3gpuE3ELNS1_3repE0EEENS1_38merge_mergepath_config_static_selectorELNS0_4arch9wavefront6targetE1EEEvSK_.kd
    .uniform_work_group_size: 1
    .uses_dynamic_stack: false
    .vgpr_count:     0
    .vgpr_spill_count: 0
    .wavefront_size: 64
  - .agpr_count:     0
    .args:
      - .offset:         0
        .size:           72
        .value_kind:     by_value
    .group_segment_fixed_size: 0
    .kernarg_segment_align: 8
    .kernarg_segment_size: 72
    .language:       OpenCL C
    .language_version:
      - 2
      - 0
    .max_flat_workgroup_size: 512
    .name:           _ZN7rocprim17ROCPRIM_400000_NS6detail17trampoline_kernelINS0_14default_configENS1_38merge_sort_block_merge_config_selectorIjNS0_10empty_typeEEEZZNS1_27merge_sort_block_merge_implIS3_N6thrust23THRUST_200600_302600_NS6detail15normal_iteratorINS9_10device_ptrIjEEEEPS5_m14custom_greaterIjEEE10hipError_tT0_T1_T2_jT3_P12ihipStream_tbPNSt15iterator_traitsISJ_E10value_typeEPNSP_ISK_E10value_typeEPSL_NS1_7vsmem_tEENKUlT_SJ_SK_SL_E_clIPjSE_SF_SF_EESI_SY_SJ_SK_SL_EUlSY_E0_NS1_11comp_targetILNS1_3genE8ELNS1_11target_archE1030ELNS1_3gpuE2ELNS1_3repE0EEENS1_38merge_mergepath_config_static_selectorELNS0_4arch9wavefront6targetE1EEEvSK_
    .private_segment_fixed_size: 0
    .sgpr_count:     4
    .sgpr_spill_count: 0
    .symbol:         _ZN7rocprim17ROCPRIM_400000_NS6detail17trampoline_kernelINS0_14default_configENS1_38merge_sort_block_merge_config_selectorIjNS0_10empty_typeEEEZZNS1_27merge_sort_block_merge_implIS3_N6thrust23THRUST_200600_302600_NS6detail15normal_iteratorINS9_10device_ptrIjEEEEPS5_m14custom_greaterIjEEE10hipError_tT0_T1_T2_jT3_P12ihipStream_tbPNSt15iterator_traitsISJ_E10value_typeEPNSP_ISK_E10value_typeEPSL_NS1_7vsmem_tEENKUlT_SJ_SK_SL_E_clIPjSE_SF_SF_EESI_SY_SJ_SK_SL_EUlSY_E0_NS1_11comp_targetILNS1_3genE8ELNS1_11target_archE1030ELNS1_3gpuE2ELNS1_3repE0EEENS1_38merge_mergepath_config_static_selectorELNS0_4arch9wavefront6targetE1EEEvSK_.kd
    .uniform_work_group_size: 1
    .uses_dynamic_stack: false
    .vgpr_count:     0
    .vgpr_spill_count: 0
    .wavefront_size: 64
  - .agpr_count:     0
    .args:
      - .offset:         0
        .size:           56
        .value_kind:     by_value
    .group_segment_fixed_size: 0
    .kernarg_segment_align: 8
    .kernarg_segment_size: 56
    .language:       OpenCL C
    .language_version:
      - 2
      - 0
    .max_flat_workgroup_size: 256
    .name:           _ZN7rocprim17ROCPRIM_400000_NS6detail17trampoline_kernelINS0_14default_configENS1_38merge_sort_block_merge_config_selectorIjNS0_10empty_typeEEEZZNS1_27merge_sort_block_merge_implIS3_N6thrust23THRUST_200600_302600_NS6detail15normal_iteratorINS9_10device_ptrIjEEEEPS5_m14custom_greaterIjEEE10hipError_tT0_T1_T2_jT3_P12ihipStream_tbPNSt15iterator_traitsISJ_E10value_typeEPNSP_ISK_E10value_typeEPSL_NS1_7vsmem_tEENKUlT_SJ_SK_SL_E_clIPjSE_SF_SF_EESI_SY_SJ_SK_SL_EUlSY_E1_NS1_11comp_targetILNS1_3genE0ELNS1_11target_archE4294967295ELNS1_3gpuE0ELNS1_3repE0EEENS1_36merge_oddeven_config_static_selectorELNS0_4arch9wavefront6targetE1EEEvSK_
    .private_segment_fixed_size: 0
    .sgpr_count:     4
    .sgpr_spill_count: 0
    .symbol:         _ZN7rocprim17ROCPRIM_400000_NS6detail17trampoline_kernelINS0_14default_configENS1_38merge_sort_block_merge_config_selectorIjNS0_10empty_typeEEEZZNS1_27merge_sort_block_merge_implIS3_N6thrust23THRUST_200600_302600_NS6detail15normal_iteratorINS9_10device_ptrIjEEEEPS5_m14custom_greaterIjEEE10hipError_tT0_T1_T2_jT3_P12ihipStream_tbPNSt15iterator_traitsISJ_E10value_typeEPNSP_ISK_E10value_typeEPSL_NS1_7vsmem_tEENKUlT_SJ_SK_SL_E_clIPjSE_SF_SF_EESI_SY_SJ_SK_SL_EUlSY_E1_NS1_11comp_targetILNS1_3genE0ELNS1_11target_archE4294967295ELNS1_3gpuE0ELNS1_3repE0EEENS1_36merge_oddeven_config_static_selectorELNS0_4arch9wavefront6targetE1EEEvSK_.kd
    .uniform_work_group_size: 1
    .uses_dynamic_stack: false
    .vgpr_count:     0
    .vgpr_spill_count: 0
    .wavefront_size: 64
  - .agpr_count:     0
    .args:
      - .offset:         0
        .size:           56
        .value_kind:     by_value
    .group_segment_fixed_size: 0
    .kernarg_segment_align: 8
    .kernarg_segment_size: 56
    .language:       OpenCL C
    .language_version:
      - 2
      - 0
    .max_flat_workgroup_size: 256
    .name:           _ZN7rocprim17ROCPRIM_400000_NS6detail17trampoline_kernelINS0_14default_configENS1_38merge_sort_block_merge_config_selectorIjNS0_10empty_typeEEEZZNS1_27merge_sort_block_merge_implIS3_N6thrust23THRUST_200600_302600_NS6detail15normal_iteratorINS9_10device_ptrIjEEEEPS5_m14custom_greaterIjEEE10hipError_tT0_T1_T2_jT3_P12ihipStream_tbPNSt15iterator_traitsISJ_E10value_typeEPNSP_ISK_E10value_typeEPSL_NS1_7vsmem_tEENKUlT_SJ_SK_SL_E_clIPjSE_SF_SF_EESI_SY_SJ_SK_SL_EUlSY_E1_NS1_11comp_targetILNS1_3genE10ELNS1_11target_archE1201ELNS1_3gpuE5ELNS1_3repE0EEENS1_36merge_oddeven_config_static_selectorELNS0_4arch9wavefront6targetE1EEEvSK_
    .private_segment_fixed_size: 0
    .sgpr_count:     4
    .sgpr_spill_count: 0
    .symbol:         _ZN7rocprim17ROCPRIM_400000_NS6detail17trampoline_kernelINS0_14default_configENS1_38merge_sort_block_merge_config_selectorIjNS0_10empty_typeEEEZZNS1_27merge_sort_block_merge_implIS3_N6thrust23THRUST_200600_302600_NS6detail15normal_iteratorINS9_10device_ptrIjEEEEPS5_m14custom_greaterIjEEE10hipError_tT0_T1_T2_jT3_P12ihipStream_tbPNSt15iterator_traitsISJ_E10value_typeEPNSP_ISK_E10value_typeEPSL_NS1_7vsmem_tEENKUlT_SJ_SK_SL_E_clIPjSE_SF_SF_EESI_SY_SJ_SK_SL_EUlSY_E1_NS1_11comp_targetILNS1_3genE10ELNS1_11target_archE1201ELNS1_3gpuE5ELNS1_3repE0EEENS1_36merge_oddeven_config_static_selectorELNS0_4arch9wavefront6targetE1EEEvSK_.kd
    .uniform_work_group_size: 1
    .uses_dynamic_stack: false
    .vgpr_count:     0
    .vgpr_spill_count: 0
    .wavefront_size: 64
  - .agpr_count:     0
    .args:
      - .offset:         0
        .size:           56
        .value_kind:     by_value
    .group_segment_fixed_size: 0
    .kernarg_segment_align: 8
    .kernarg_segment_size: 56
    .language:       OpenCL C
    .language_version:
      - 2
      - 0
    .max_flat_workgroup_size: 256
    .name:           _ZN7rocprim17ROCPRIM_400000_NS6detail17trampoline_kernelINS0_14default_configENS1_38merge_sort_block_merge_config_selectorIjNS0_10empty_typeEEEZZNS1_27merge_sort_block_merge_implIS3_N6thrust23THRUST_200600_302600_NS6detail15normal_iteratorINS9_10device_ptrIjEEEEPS5_m14custom_greaterIjEEE10hipError_tT0_T1_T2_jT3_P12ihipStream_tbPNSt15iterator_traitsISJ_E10value_typeEPNSP_ISK_E10value_typeEPSL_NS1_7vsmem_tEENKUlT_SJ_SK_SL_E_clIPjSE_SF_SF_EESI_SY_SJ_SK_SL_EUlSY_E1_NS1_11comp_targetILNS1_3genE5ELNS1_11target_archE942ELNS1_3gpuE9ELNS1_3repE0EEENS1_36merge_oddeven_config_static_selectorELNS0_4arch9wavefront6targetE1EEEvSK_
    .private_segment_fixed_size: 0
    .sgpr_count:     4
    .sgpr_spill_count: 0
    .symbol:         _ZN7rocprim17ROCPRIM_400000_NS6detail17trampoline_kernelINS0_14default_configENS1_38merge_sort_block_merge_config_selectorIjNS0_10empty_typeEEEZZNS1_27merge_sort_block_merge_implIS3_N6thrust23THRUST_200600_302600_NS6detail15normal_iteratorINS9_10device_ptrIjEEEEPS5_m14custom_greaterIjEEE10hipError_tT0_T1_T2_jT3_P12ihipStream_tbPNSt15iterator_traitsISJ_E10value_typeEPNSP_ISK_E10value_typeEPSL_NS1_7vsmem_tEENKUlT_SJ_SK_SL_E_clIPjSE_SF_SF_EESI_SY_SJ_SK_SL_EUlSY_E1_NS1_11comp_targetILNS1_3genE5ELNS1_11target_archE942ELNS1_3gpuE9ELNS1_3repE0EEENS1_36merge_oddeven_config_static_selectorELNS0_4arch9wavefront6targetE1EEEvSK_.kd
    .uniform_work_group_size: 1
    .uses_dynamic_stack: false
    .vgpr_count:     0
    .vgpr_spill_count: 0
    .wavefront_size: 64
  - .agpr_count:     0
    .args:
      - .offset:         0
        .size:           56
        .value_kind:     by_value
    .group_segment_fixed_size: 0
    .kernarg_segment_align: 8
    .kernarg_segment_size: 56
    .language:       OpenCL C
    .language_version:
      - 2
      - 0
    .max_flat_workgroup_size: 256
    .name:           _ZN7rocprim17ROCPRIM_400000_NS6detail17trampoline_kernelINS0_14default_configENS1_38merge_sort_block_merge_config_selectorIjNS0_10empty_typeEEEZZNS1_27merge_sort_block_merge_implIS3_N6thrust23THRUST_200600_302600_NS6detail15normal_iteratorINS9_10device_ptrIjEEEEPS5_m14custom_greaterIjEEE10hipError_tT0_T1_T2_jT3_P12ihipStream_tbPNSt15iterator_traitsISJ_E10value_typeEPNSP_ISK_E10value_typeEPSL_NS1_7vsmem_tEENKUlT_SJ_SK_SL_E_clIPjSE_SF_SF_EESI_SY_SJ_SK_SL_EUlSY_E1_NS1_11comp_targetILNS1_3genE4ELNS1_11target_archE910ELNS1_3gpuE8ELNS1_3repE0EEENS1_36merge_oddeven_config_static_selectorELNS0_4arch9wavefront6targetE1EEEvSK_
    .private_segment_fixed_size: 0
    .sgpr_count:     25
    .sgpr_spill_count: 0
    .symbol:         _ZN7rocprim17ROCPRIM_400000_NS6detail17trampoline_kernelINS0_14default_configENS1_38merge_sort_block_merge_config_selectorIjNS0_10empty_typeEEEZZNS1_27merge_sort_block_merge_implIS3_N6thrust23THRUST_200600_302600_NS6detail15normal_iteratorINS9_10device_ptrIjEEEEPS5_m14custom_greaterIjEEE10hipError_tT0_T1_T2_jT3_P12ihipStream_tbPNSt15iterator_traitsISJ_E10value_typeEPNSP_ISK_E10value_typeEPSL_NS1_7vsmem_tEENKUlT_SJ_SK_SL_E_clIPjSE_SF_SF_EESI_SY_SJ_SK_SL_EUlSY_E1_NS1_11comp_targetILNS1_3genE4ELNS1_11target_archE910ELNS1_3gpuE8ELNS1_3repE0EEENS1_36merge_oddeven_config_static_selectorELNS0_4arch9wavefront6targetE1EEEvSK_.kd
    .uniform_work_group_size: 1
    .uses_dynamic_stack: false
    .vgpr_count:     10
    .vgpr_spill_count: 0
    .wavefront_size: 64
  - .agpr_count:     0
    .args:
      - .offset:         0
        .size:           56
        .value_kind:     by_value
    .group_segment_fixed_size: 0
    .kernarg_segment_align: 8
    .kernarg_segment_size: 56
    .language:       OpenCL C
    .language_version:
      - 2
      - 0
    .max_flat_workgroup_size: 256
    .name:           _ZN7rocprim17ROCPRIM_400000_NS6detail17trampoline_kernelINS0_14default_configENS1_38merge_sort_block_merge_config_selectorIjNS0_10empty_typeEEEZZNS1_27merge_sort_block_merge_implIS3_N6thrust23THRUST_200600_302600_NS6detail15normal_iteratorINS9_10device_ptrIjEEEEPS5_m14custom_greaterIjEEE10hipError_tT0_T1_T2_jT3_P12ihipStream_tbPNSt15iterator_traitsISJ_E10value_typeEPNSP_ISK_E10value_typeEPSL_NS1_7vsmem_tEENKUlT_SJ_SK_SL_E_clIPjSE_SF_SF_EESI_SY_SJ_SK_SL_EUlSY_E1_NS1_11comp_targetILNS1_3genE3ELNS1_11target_archE908ELNS1_3gpuE7ELNS1_3repE0EEENS1_36merge_oddeven_config_static_selectorELNS0_4arch9wavefront6targetE1EEEvSK_
    .private_segment_fixed_size: 0
    .sgpr_count:     4
    .sgpr_spill_count: 0
    .symbol:         _ZN7rocprim17ROCPRIM_400000_NS6detail17trampoline_kernelINS0_14default_configENS1_38merge_sort_block_merge_config_selectorIjNS0_10empty_typeEEEZZNS1_27merge_sort_block_merge_implIS3_N6thrust23THRUST_200600_302600_NS6detail15normal_iteratorINS9_10device_ptrIjEEEEPS5_m14custom_greaterIjEEE10hipError_tT0_T1_T2_jT3_P12ihipStream_tbPNSt15iterator_traitsISJ_E10value_typeEPNSP_ISK_E10value_typeEPSL_NS1_7vsmem_tEENKUlT_SJ_SK_SL_E_clIPjSE_SF_SF_EESI_SY_SJ_SK_SL_EUlSY_E1_NS1_11comp_targetILNS1_3genE3ELNS1_11target_archE908ELNS1_3gpuE7ELNS1_3repE0EEENS1_36merge_oddeven_config_static_selectorELNS0_4arch9wavefront6targetE1EEEvSK_.kd
    .uniform_work_group_size: 1
    .uses_dynamic_stack: false
    .vgpr_count:     0
    .vgpr_spill_count: 0
    .wavefront_size: 64
  - .agpr_count:     0
    .args:
      - .offset:         0
        .size:           56
        .value_kind:     by_value
    .group_segment_fixed_size: 0
    .kernarg_segment_align: 8
    .kernarg_segment_size: 56
    .language:       OpenCL C
    .language_version:
      - 2
      - 0
    .max_flat_workgroup_size: 256
    .name:           _ZN7rocprim17ROCPRIM_400000_NS6detail17trampoline_kernelINS0_14default_configENS1_38merge_sort_block_merge_config_selectorIjNS0_10empty_typeEEEZZNS1_27merge_sort_block_merge_implIS3_N6thrust23THRUST_200600_302600_NS6detail15normal_iteratorINS9_10device_ptrIjEEEEPS5_m14custom_greaterIjEEE10hipError_tT0_T1_T2_jT3_P12ihipStream_tbPNSt15iterator_traitsISJ_E10value_typeEPNSP_ISK_E10value_typeEPSL_NS1_7vsmem_tEENKUlT_SJ_SK_SL_E_clIPjSE_SF_SF_EESI_SY_SJ_SK_SL_EUlSY_E1_NS1_11comp_targetILNS1_3genE2ELNS1_11target_archE906ELNS1_3gpuE6ELNS1_3repE0EEENS1_36merge_oddeven_config_static_selectorELNS0_4arch9wavefront6targetE1EEEvSK_
    .private_segment_fixed_size: 0
    .sgpr_count:     4
    .sgpr_spill_count: 0
    .symbol:         _ZN7rocprim17ROCPRIM_400000_NS6detail17trampoline_kernelINS0_14default_configENS1_38merge_sort_block_merge_config_selectorIjNS0_10empty_typeEEEZZNS1_27merge_sort_block_merge_implIS3_N6thrust23THRUST_200600_302600_NS6detail15normal_iteratorINS9_10device_ptrIjEEEEPS5_m14custom_greaterIjEEE10hipError_tT0_T1_T2_jT3_P12ihipStream_tbPNSt15iterator_traitsISJ_E10value_typeEPNSP_ISK_E10value_typeEPSL_NS1_7vsmem_tEENKUlT_SJ_SK_SL_E_clIPjSE_SF_SF_EESI_SY_SJ_SK_SL_EUlSY_E1_NS1_11comp_targetILNS1_3genE2ELNS1_11target_archE906ELNS1_3gpuE6ELNS1_3repE0EEENS1_36merge_oddeven_config_static_selectorELNS0_4arch9wavefront6targetE1EEEvSK_.kd
    .uniform_work_group_size: 1
    .uses_dynamic_stack: false
    .vgpr_count:     0
    .vgpr_spill_count: 0
    .wavefront_size: 64
  - .agpr_count:     0
    .args:
      - .offset:         0
        .size:           56
        .value_kind:     by_value
    .group_segment_fixed_size: 0
    .kernarg_segment_align: 8
    .kernarg_segment_size: 56
    .language:       OpenCL C
    .language_version:
      - 2
      - 0
    .max_flat_workgroup_size: 256
    .name:           _ZN7rocprim17ROCPRIM_400000_NS6detail17trampoline_kernelINS0_14default_configENS1_38merge_sort_block_merge_config_selectorIjNS0_10empty_typeEEEZZNS1_27merge_sort_block_merge_implIS3_N6thrust23THRUST_200600_302600_NS6detail15normal_iteratorINS9_10device_ptrIjEEEEPS5_m14custom_greaterIjEEE10hipError_tT0_T1_T2_jT3_P12ihipStream_tbPNSt15iterator_traitsISJ_E10value_typeEPNSP_ISK_E10value_typeEPSL_NS1_7vsmem_tEENKUlT_SJ_SK_SL_E_clIPjSE_SF_SF_EESI_SY_SJ_SK_SL_EUlSY_E1_NS1_11comp_targetILNS1_3genE9ELNS1_11target_archE1100ELNS1_3gpuE3ELNS1_3repE0EEENS1_36merge_oddeven_config_static_selectorELNS0_4arch9wavefront6targetE1EEEvSK_
    .private_segment_fixed_size: 0
    .sgpr_count:     4
    .sgpr_spill_count: 0
    .symbol:         _ZN7rocprim17ROCPRIM_400000_NS6detail17trampoline_kernelINS0_14default_configENS1_38merge_sort_block_merge_config_selectorIjNS0_10empty_typeEEEZZNS1_27merge_sort_block_merge_implIS3_N6thrust23THRUST_200600_302600_NS6detail15normal_iteratorINS9_10device_ptrIjEEEEPS5_m14custom_greaterIjEEE10hipError_tT0_T1_T2_jT3_P12ihipStream_tbPNSt15iterator_traitsISJ_E10value_typeEPNSP_ISK_E10value_typeEPSL_NS1_7vsmem_tEENKUlT_SJ_SK_SL_E_clIPjSE_SF_SF_EESI_SY_SJ_SK_SL_EUlSY_E1_NS1_11comp_targetILNS1_3genE9ELNS1_11target_archE1100ELNS1_3gpuE3ELNS1_3repE0EEENS1_36merge_oddeven_config_static_selectorELNS0_4arch9wavefront6targetE1EEEvSK_.kd
    .uniform_work_group_size: 1
    .uses_dynamic_stack: false
    .vgpr_count:     0
    .vgpr_spill_count: 0
    .wavefront_size: 64
  - .agpr_count:     0
    .args:
      - .offset:         0
        .size:           56
        .value_kind:     by_value
    .group_segment_fixed_size: 0
    .kernarg_segment_align: 8
    .kernarg_segment_size: 56
    .language:       OpenCL C
    .language_version:
      - 2
      - 0
    .max_flat_workgroup_size: 256
    .name:           _ZN7rocprim17ROCPRIM_400000_NS6detail17trampoline_kernelINS0_14default_configENS1_38merge_sort_block_merge_config_selectorIjNS0_10empty_typeEEEZZNS1_27merge_sort_block_merge_implIS3_N6thrust23THRUST_200600_302600_NS6detail15normal_iteratorINS9_10device_ptrIjEEEEPS5_m14custom_greaterIjEEE10hipError_tT0_T1_T2_jT3_P12ihipStream_tbPNSt15iterator_traitsISJ_E10value_typeEPNSP_ISK_E10value_typeEPSL_NS1_7vsmem_tEENKUlT_SJ_SK_SL_E_clIPjSE_SF_SF_EESI_SY_SJ_SK_SL_EUlSY_E1_NS1_11comp_targetILNS1_3genE8ELNS1_11target_archE1030ELNS1_3gpuE2ELNS1_3repE0EEENS1_36merge_oddeven_config_static_selectorELNS0_4arch9wavefront6targetE1EEEvSK_
    .private_segment_fixed_size: 0
    .sgpr_count:     4
    .sgpr_spill_count: 0
    .symbol:         _ZN7rocprim17ROCPRIM_400000_NS6detail17trampoline_kernelINS0_14default_configENS1_38merge_sort_block_merge_config_selectorIjNS0_10empty_typeEEEZZNS1_27merge_sort_block_merge_implIS3_N6thrust23THRUST_200600_302600_NS6detail15normal_iteratorINS9_10device_ptrIjEEEEPS5_m14custom_greaterIjEEE10hipError_tT0_T1_T2_jT3_P12ihipStream_tbPNSt15iterator_traitsISJ_E10value_typeEPNSP_ISK_E10value_typeEPSL_NS1_7vsmem_tEENKUlT_SJ_SK_SL_E_clIPjSE_SF_SF_EESI_SY_SJ_SK_SL_EUlSY_E1_NS1_11comp_targetILNS1_3genE8ELNS1_11target_archE1030ELNS1_3gpuE2ELNS1_3repE0EEENS1_36merge_oddeven_config_static_selectorELNS0_4arch9wavefront6targetE1EEEvSK_.kd
    .uniform_work_group_size: 1
    .uses_dynamic_stack: false
    .vgpr_count:     0
    .vgpr_spill_count: 0
    .wavefront_size: 64
  - .agpr_count:     0
    .args:
      - .offset:         0
        .size:           48
        .value_kind:     by_value
    .group_segment_fixed_size: 0
    .kernarg_segment_align: 8
    .kernarg_segment_size: 48
    .language:       OpenCL C
    .language_version:
      - 2
      - 0
    .max_flat_workgroup_size: 128
    .name:           _ZN7rocprim17ROCPRIM_400000_NS6detail17trampoline_kernelINS0_14default_configENS1_38merge_sort_block_merge_config_selectorIjNS0_10empty_typeEEEZZNS1_27merge_sort_block_merge_implIS3_N6thrust23THRUST_200600_302600_NS6detail15normal_iteratorINS9_10device_ptrIjEEEEPS5_m14custom_greaterIjEEE10hipError_tT0_T1_T2_jT3_P12ihipStream_tbPNSt15iterator_traitsISJ_E10value_typeEPNSP_ISK_E10value_typeEPSL_NS1_7vsmem_tEENKUlT_SJ_SK_SL_E_clISE_PjSF_SF_EESI_SY_SJ_SK_SL_EUlSY_E_NS1_11comp_targetILNS1_3genE0ELNS1_11target_archE4294967295ELNS1_3gpuE0ELNS1_3repE0EEENS1_48merge_mergepath_partition_config_static_selectorELNS0_4arch9wavefront6targetE1EEEvSK_
    .private_segment_fixed_size: 0
    .sgpr_count:     4
    .sgpr_spill_count: 0
    .symbol:         _ZN7rocprim17ROCPRIM_400000_NS6detail17trampoline_kernelINS0_14default_configENS1_38merge_sort_block_merge_config_selectorIjNS0_10empty_typeEEEZZNS1_27merge_sort_block_merge_implIS3_N6thrust23THRUST_200600_302600_NS6detail15normal_iteratorINS9_10device_ptrIjEEEEPS5_m14custom_greaterIjEEE10hipError_tT0_T1_T2_jT3_P12ihipStream_tbPNSt15iterator_traitsISJ_E10value_typeEPNSP_ISK_E10value_typeEPSL_NS1_7vsmem_tEENKUlT_SJ_SK_SL_E_clISE_PjSF_SF_EESI_SY_SJ_SK_SL_EUlSY_E_NS1_11comp_targetILNS1_3genE0ELNS1_11target_archE4294967295ELNS1_3gpuE0ELNS1_3repE0EEENS1_48merge_mergepath_partition_config_static_selectorELNS0_4arch9wavefront6targetE1EEEvSK_.kd
    .uniform_work_group_size: 1
    .uses_dynamic_stack: false
    .vgpr_count:     0
    .vgpr_spill_count: 0
    .wavefront_size: 64
  - .agpr_count:     0
    .args:
      - .offset:         0
        .size:           48
        .value_kind:     by_value
    .group_segment_fixed_size: 0
    .kernarg_segment_align: 8
    .kernarg_segment_size: 48
    .language:       OpenCL C
    .language_version:
      - 2
      - 0
    .max_flat_workgroup_size: 128
    .name:           _ZN7rocprim17ROCPRIM_400000_NS6detail17trampoline_kernelINS0_14default_configENS1_38merge_sort_block_merge_config_selectorIjNS0_10empty_typeEEEZZNS1_27merge_sort_block_merge_implIS3_N6thrust23THRUST_200600_302600_NS6detail15normal_iteratorINS9_10device_ptrIjEEEEPS5_m14custom_greaterIjEEE10hipError_tT0_T1_T2_jT3_P12ihipStream_tbPNSt15iterator_traitsISJ_E10value_typeEPNSP_ISK_E10value_typeEPSL_NS1_7vsmem_tEENKUlT_SJ_SK_SL_E_clISE_PjSF_SF_EESI_SY_SJ_SK_SL_EUlSY_E_NS1_11comp_targetILNS1_3genE10ELNS1_11target_archE1201ELNS1_3gpuE5ELNS1_3repE0EEENS1_48merge_mergepath_partition_config_static_selectorELNS0_4arch9wavefront6targetE1EEEvSK_
    .private_segment_fixed_size: 0
    .sgpr_count:     4
    .sgpr_spill_count: 0
    .symbol:         _ZN7rocprim17ROCPRIM_400000_NS6detail17trampoline_kernelINS0_14default_configENS1_38merge_sort_block_merge_config_selectorIjNS0_10empty_typeEEEZZNS1_27merge_sort_block_merge_implIS3_N6thrust23THRUST_200600_302600_NS6detail15normal_iteratorINS9_10device_ptrIjEEEEPS5_m14custom_greaterIjEEE10hipError_tT0_T1_T2_jT3_P12ihipStream_tbPNSt15iterator_traitsISJ_E10value_typeEPNSP_ISK_E10value_typeEPSL_NS1_7vsmem_tEENKUlT_SJ_SK_SL_E_clISE_PjSF_SF_EESI_SY_SJ_SK_SL_EUlSY_E_NS1_11comp_targetILNS1_3genE10ELNS1_11target_archE1201ELNS1_3gpuE5ELNS1_3repE0EEENS1_48merge_mergepath_partition_config_static_selectorELNS0_4arch9wavefront6targetE1EEEvSK_.kd
    .uniform_work_group_size: 1
    .uses_dynamic_stack: false
    .vgpr_count:     0
    .vgpr_spill_count: 0
    .wavefront_size: 64
  - .agpr_count:     0
    .args:
      - .offset:         0
        .size:           48
        .value_kind:     by_value
    .group_segment_fixed_size: 0
    .kernarg_segment_align: 8
    .kernarg_segment_size: 48
    .language:       OpenCL C
    .language_version:
      - 2
      - 0
    .max_flat_workgroup_size: 128
    .name:           _ZN7rocprim17ROCPRIM_400000_NS6detail17trampoline_kernelINS0_14default_configENS1_38merge_sort_block_merge_config_selectorIjNS0_10empty_typeEEEZZNS1_27merge_sort_block_merge_implIS3_N6thrust23THRUST_200600_302600_NS6detail15normal_iteratorINS9_10device_ptrIjEEEEPS5_m14custom_greaterIjEEE10hipError_tT0_T1_T2_jT3_P12ihipStream_tbPNSt15iterator_traitsISJ_E10value_typeEPNSP_ISK_E10value_typeEPSL_NS1_7vsmem_tEENKUlT_SJ_SK_SL_E_clISE_PjSF_SF_EESI_SY_SJ_SK_SL_EUlSY_E_NS1_11comp_targetILNS1_3genE5ELNS1_11target_archE942ELNS1_3gpuE9ELNS1_3repE0EEENS1_48merge_mergepath_partition_config_static_selectorELNS0_4arch9wavefront6targetE1EEEvSK_
    .private_segment_fixed_size: 0
    .sgpr_count:     4
    .sgpr_spill_count: 0
    .symbol:         _ZN7rocprim17ROCPRIM_400000_NS6detail17trampoline_kernelINS0_14default_configENS1_38merge_sort_block_merge_config_selectorIjNS0_10empty_typeEEEZZNS1_27merge_sort_block_merge_implIS3_N6thrust23THRUST_200600_302600_NS6detail15normal_iteratorINS9_10device_ptrIjEEEEPS5_m14custom_greaterIjEEE10hipError_tT0_T1_T2_jT3_P12ihipStream_tbPNSt15iterator_traitsISJ_E10value_typeEPNSP_ISK_E10value_typeEPSL_NS1_7vsmem_tEENKUlT_SJ_SK_SL_E_clISE_PjSF_SF_EESI_SY_SJ_SK_SL_EUlSY_E_NS1_11comp_targetILNS1_3genE5ELNS1_11target_archE942ELNS1_3gpuE9ELNS1_3repE0EEENS1_48merge_mergepath_partition_config_static_selectorELNS0_4arch9wavefront6targetE1EEEvSK_.kd
    .uniform_work_group_size: 1
    .uses_dynamic_stack: false
    .vgpr_count:     0
    .vgpr_spill_count: 0
    .wavefront_size: 64
  - .agpr_count:     0
    .args:
      - .offset:         0
        .size:           48
        .value_kind:     by_value
    .group_segment_fixed_size: 0
    .kernarg_segment_align: 8
    .kernarg_segment_size: 48
    .language:       OpenCL C
    .language_version:
      - 2
      - 0
    .max_flat_workgroup_size: 128
    .name:           _ZN7rocprim17ROCPRIM_400000_NS6detail17trampoline_kernelINS0_14default_configENS1_38merge_sort_block_merge_config_selectorIjNS0_10empty_typeEEEZZNS1_27merge_sort_block_merge_implIS3_N6thrust23THRUST_200600_302600_NS6detail15normal_iteratorINS9_10device_ptrIjEEEEPS5_m14custom_greaterIjEEE10hipError_tT0_T1_T2_jT3_P12ihipStream_tbPNSt15iterator_traitsISJ_E10value_typeEPNSP_ISK_E10value_typeEPSL_NS1_7vsmem_tEENKUlT_SJ_SK_SL_E_clISE_PjSF_SF_EESI_SY_SJ_SK_SL_EUlSY_E_NS1_11comp_targetILNS1_3genE4ELNS1_11target_archE910ELNS1_3gpuE8ELNS1_3repE0EEENS1_48merge_mergepath_partition_config_static_selectorELNS0_4arch9wavefront6targetE1EEEvSK_
    .private_segment_fixed_size: 0
    .sgpr_count:     12
    .sgpr_spill_count: 0
    .symbol:         _ZN7rocprim17ROCPRIM_400000_NS6detail17trampoline_kernelINS0_14default_configENS1_38merge_sort_block_merge_config_selectorIjNS0_10empty_typeEEEZZNS1_27merge_sort_block_merge_implIS3_N6thrust23THRUST_200600_302600_NS6detail15normal_iteratorINS9_10device_ptrIjEEEEPS5_m14custom_greaterIjEEE10hipError_tT0_T1_T2_jT3_P12ihipStream_tbPNSt15iterator_traitsISJ_E10value_typeEPNSP_ISK_E10value_typeEPSL_NS1_7vsmem_tEENKUlT_SJ_SK_SL_E_clISE_PjSF_SF_EESI_SY_SJ_SK_SL_EUlSY_E_NS1_11comp_targetILNS1_3genE4ELNS1_11target_archE910ELNS1_3gpuE8ELNS1_3repE0EEENS1_48merge_mergepath_partition_config_static_selectorELNS0_4arch9wavefront6targetE1EEEvSK_.kd
    .uniform_work_group_size: 1
    .uses_dynamic_stack: false
    .vgpr_count:     19
    .vgpr_spill_count: 0
    .wavefront_size: 64
  - .agpr_count:     0
    .args:
      - .offset:         0
        .size:           48
        .value_kind:     by_value
    .group_segment_fixed_size: 0
    .kernarg_segment_align: 8
    .kernarg_segment_size: 48
    .language:       OpenCL C
    .language_version:
      - 2
      - 0
    .max_flat_workgroup_size: 128
    .name:           _ZN7rocprim17ROCPRIM_400000_NS6detail17trampoline_kernelINS0_14default_configENS1_38merge_sort_block_merge_config_selectorIjNS0_10empty_typeEEEZZNS1_27merge_sort_block_merge_implIS3_N6thrust23THRUST_200600_302600_NS6detail15normal_iteratorINS9_10device_ptrIjEEEEPS5_m14custom_greaterIjEEE10hipError_tT0_T1_T2_jT3_P12ihipStream_tbPNSt15iterator_traitsISJ_E10value_typeEPNSP_ISK_E10value_typeEPSL_NS1_7vsmem_tEENKUlT_SJ_SK_SL_E_clISE_PjSF_SF_EESI_SY_SJ_SK_SL_EUlSY_E_NS1_11comp_targetILNS1_3genE3ELNS1_11target_archE908ELNS1_3gpuE7ELNS1_3repE0EEENS1_48merge_mergepath_partition_config_static_selectorELNS0_4arch9wavefront6targetE1EEEvSK_
    .private_segment_fixed_size: 0
    .sgpr_count:     4
    .sgpr_spill_count: 0
    .symbol:         _ZN7rocprim17ROCPRIM_400000_NS6detail17trampoline_kernelINS0_14default_configENS1_38merge_sort_block_merge_config_selectorIjNS0_10empty_typeEEEZZNS1_27merge_sort_block_merge_implIS3_N6thrust23THRUST_200600_302600_NS6detail15normal_iteratorINS9_10device_ptrIjEEEEPS5_m14custom_greaterIjEEE10hipError_tT0_T1_T2_jT3_P12ihipStream_tbPNSt15iterator_traitsISJ_E10value_typeEPNSP_ISK_E10value_typeEPSL_NS1_7vsmem_tEENKUlT_SJ_SK_SL_E_clISE_PjSF_SF_EESI_SY_SJ_SK_SL_EUlSY_E_NS1_11comp_targetILNS1_3genE3ELNS1_11target_archE908ELNS1_3gpuE7ELNS1_3repE0EEENS1_48merge_mergepath_partition_config_static_selectorELNS0_4arch9wavefront6targetE1EEEvSK_.kd
    .uniform_work_group_size: 1
    .uses_dynamic_stack: false
    .vgpr_count:     0
    .vgpr_spill_count: 0
    .wavefront_size: 64
  - .agpr_count:     0
    .args:
      - .offset:         0
        .size:           48
        .value_kind:     by_value
    .group_segment_fixed_size: 0
    .kernarg_segment_align: 8
    .kernarg_segment_size: 48
    .language:       OpenCL C
    .language_version:
      - 2
      - 0
    .max_flat_workgroup_size: 128
    .name:           _ZN7rocprim17ROCPRIM_400000_NS6detail17trampoline_kernelINS0_14default_configENS1_38merge_sort_block_merge_config_selectorIjNS0_10empty_typeEEEZZNS1_27merge_sort_block_merge_implIS3_N6thrust23THRUST_200600_302600_NS6detail15normal_iteratorINS9_10device_ptrIjEEEEPS5_m14custom_greaterIjEEE10hipError_tT0_T1_T2_jT3_P12ihipStream_tbPNSt15iterator_traitsISJ_E10value_typeEPNSP_ISK_E10value_typeEPSL_NS1_7vsmem_tEENKUlT_SJ_SK_SL_E_clISE_PjSF_SF_EESI_SY_SJ_SK_SL_EUlSY_E_NS1_11comp_targetILNS1_3genE2ELNS1_11target_archE906ELNS1_3gpuE6ELNS1_3repE0EEENS1_48merge_mergepath_partition_config_static_selectorELNS0_4arch9wavefront6targetE1EEEvSK_
    .private_segment_fixed_size: 0
    .sgpr_count:     4
    .sgpr_spill_count: 0
    .symbol:         _ZN7rocprim17ROCPRIM_400000_NS6detail17trampoline_kernelINS0_14default_configENS1_38merge_sort_block_merge_config_selectorIjNS0_10empty_typeEEEZZNS1_27merge_sort_block_merge_implIS3_N6thrust23THRUST_200600_302600_NS6detail15normal_iteratorINS9_10device_ptrIjEEEEPS5_m14custom_greaterIjEEE10hipError_tT0_T1_T2_jT3_P12ihipStream_tbPNSt15iterator_traitsISJ_E10value_typeEPNSP_ISK_E10value_typeEPSL_NS1_7vsmem_tEENKUlT_SJ_SK_SL_E_clISE_PjSF_SF_EESI_SY_SJ_SK_SL_EUlSY_E_NS1_11comp_targetILNS1_3genE2ELNS1_11target_archE906ELNS1_3gpuE6ELNS1_3repE0EEENS1_48merge_mergepath_partition_config_static_selectorELNS0_4arch9wavefront6targetE1EEEvSK_.kd
    .uniform_work_group_size: 1
    .uses_dynamic_stack: false
    .vgpr_count:     0
    .vgpr_spill_count: 0
    .wavefront_size: 64
  - .agpr_count:     0
    .args:
      - .offset:         0
        .size:           48
        .value_kind:     by_value
    .group_segment_fixed_size: 0
    .kernarg_segment_align: 8
    .kernarg_segment_size: 48
    .language:       OpenCL C
    .language_version:
      - 2
      - 0
    .max_flat_workgroup_size: 128
    .name:           _ZN7rocprim17ROCPRIM_400000_NS6detail17trampoline_kernelINS0_14default_configENS1_38merge_sort_block_merge_config_selectorIjNS0_10empty_typeEEEZZNS1_27merge_sort_block_merge_implIS3_N6thrust23THRUST_200600_302600_NS6detail15normal_iteratorINS9_10device_ptrIjEEEEPS5_m14custom_greaterIjEEE10hipError_tT0_T1_T2_jT3_P12ihipStream_tbPNSt15iterator_traitsISJ_E10value_typeEPNSP_ISK_E10value_typeEPSL_NS1_7vsmem_tEENKUlT_SJ_SK_SL_E_clISE_PjSF_SF_EESI_SY_SJ_SK_SL_EUlSY_E_NS1_11comp_targetILNS1_3genE9ELNS1_11target_archE1100ELNS1_3gpuE3ELNS1_3repE0EEENS1_48merge_mergepath_partition_config_static_selectorELNS0_4arch9wavefront6targetE1EEEvSK_
    .private_segment_fixed_size: 0
    .sgpr_count:     4
    .sgpr_spill_count: 0
    .symbol:         _ZN7rocprim17ROCPRIM_400000_NS6detail17trampoline_kernelINS0_14default_configENS1_38merge_sort_block_merge_config_selectorIjNS0_10empty_typeEEEZZNS1_27merge_sort_block_merge_implIS3_N6thrust23THRUST_200600_302600_NS6detail15normal_iteratorINS9_10device_ptrIjEEEEPS5_m14custom_greaterIjEEE10hipError_tT0_T1_T2_jT3_P12ihipStream_tbPNSt15iterator_traitsISJ_E10value_typeEPNSP_ISK_E10value_typeEPSL_NS1_7vsmem_tEENKUlT_SJ_SK_SL_E_clISE_PjSF_SF_EESI_SY_SJ_SK_SL_EUlSY_E_NS1_11comp_targetILNS1_3genE9ELNS1_11target_archE1100ELNS1_3gpuE3ELNS1_3repE0EEENS1_48merge_mergepath_partition_config_static_selectorELNS0_4arch9wavefront6targetE1EEEvSK_.kd
    .uniform_work_group_size: 1
    .uses_dynamic_stack: false
    .vgpr_count:     0
    .vgpr_spill_count: 0
    .wavefront_size: 64
  - .agpr_count:     0
    .args:
      - .offset:         0
        .size:           48
        .value_kind:     by_value
    .group_segment_fixed_size: 0
    .kernarg_segment_align: 8
    .kernarg_segment_size: 48
    .language:       OpenCL C
    .language_version:
      - 2
      - 0
    .max_flat_workgroup_size: 128
    .name:           _ZN7rocprim17ROCPRIM_400000_NS6detail17trampoline_kernelINS0_14default_configENS1_38merge_sort_block_merge_config_selectorIjNS0_10empty_typeEEEZZNS1_27merge_sort_block_merge_implIS3_N6thrust23THRUST_200600_302600_NS6detail15normal_iteratorINS9_10device_ptrIjEEEEPS5_m14custom_greaterIjEEE10hipError_tT0_T1_T2_jT3_P12ihipStream_tbPNSt15iterator_traitsISJ_E10value_typeEPNSP_ISK_E10value_typeEPSL_NS1_7vsmem_tEENKUlT_SJ_SK_SL_E_clISE_PjSF_SF_EESI_SY_SJ_SK_SL_EUlSY_E_NS1_11comp_targetILNS1_3genE8ELNS1_11target_archE1030ELNS1_3gpuE2ELNS1_3repE0EEENS1_48merge_mergepath_partition_config_static_selectorELNS0_4arch9wavefront6targetE1EEEvSK_
    .private_segment_fixed_size: 0
    .sgpr_count:     4
    .sgpr_spill_count: 0
    .symbol:         _ZN7rocprim17ROCPRIM_400000_NS6detail17trampoline_kernelINS0_14default_configENS1_38merge_sort_block_merge_config_selectorIjNS0_10empty_typeEEEZZNS1_27merge_sort_block_merge_implIS3_N6thrust23THRUST_200600_302600_NS6detail15normal_iteratorINS9_10device_ptrIjEEEEPS5_m14custom_greaterIjEEE10hipError_tT0_T1_T2_jT3_P12ihipStream_tbPNSt15iterator_traitsISJ_E10value_typeEPNSP_ISK_E10value_typeEPSL_NS1_7vsmem_tEENKUlT_SJ_SK_SL_E_clISE_PjSF_SF_EESI_SY_SJ_SK_SL_EUlSY_E_NS1_11comp_targetILNS1_3genE8ELNS1_11target_archE1030ELNS1_3gpuE2ELNS1_3repE0EEENS1_48merge_mergepath_partition_config_static_selectorELNS0_4arch9wavefront6targetE1EEEvSK_.kd
    .uniform_work_group_size: 1
    .uses_dynamic_stack: false
    .vgpr_count:     0
    .vgpr_spill_count: 0
    .wavefront_size: 64
  - .agpr_count:     0
    .args:
      - .offset:         0
        .size:           72
        .value_kind:     by_value
    .group_segment_fixed_size: 0
    .kernarg_segment_align: 8
    .kernarg_segment_size: 72
    .language:       OpenCL C
    .language_version:
      - 2
      - 0
    .max_flat_workgroup_size: 128
    .name:           _ZN7rocprim17ROCPRIM_400000_NS6detail17trampoline_kernelINS0_14default_configENS1_38merge_sort_block_merge_config_selectorIjNS0_10empty_typeEEEZZNS1_27merge_sort_block_merge_implIS3_N6thrust23THRUST_200600_302600_NS6detail15normal_iteratorINS9_10device_ptrIjEEEEPS5_m14custom_greaterIjEEE10hipError_tT0_T1_T2_jT3_P12ihipStream_tbPNSt15iterator_traitsISJ_E10value_typeEPNSP_ISK_E10value_typeEPSL_NS1_7vsmem_tEENKUlT_SJ_SK_SL_E_clISE_PjSF_SF_EESI_SY_SJ_SK_SL_EUlSY_E0_NS1_11comp_targetILNS1_3genE0ELNS1_11target_archE4294967295ELNS1_3gpuE0ELNS1_3repE0EEENS1_38merge_mergepath_config_static_selectorELNS0_4arch9wavefront6targetE1EEEvSK_
    .private_segment_fixed_size: 0
    .sgpr_count:     4
    .sgpr_spill_count: 0
    .symbol:         _ZN7rocprim17ROCPRIM_400000_NS6detail17trampoline_kernelINS0_14default_configENS1_38merge_sort_block_merge_config_selectorIjNS0_10empty_typeEEEZZNS1_27merge_sort_block_merge_implIS3_N6thrust23THRUST_200600_302600_NS6detail15normal_iteratorINS9_10device_ptrIjEEEEPS5_m14custom_greaterIjEEE10hipError_tT0_T1_T2_jT3_P12ihipStream_tbPNSt15iterator_traitsISJ_E10value_typeEPNSP_ISK_E10value_typeEPSL_NS1_7vsmem_tEENKUlT_SJ_SK_SL_E_clISE_PjSF_SF_EESI_SY_SJ_SK_SL_EUlSY_E0_NS1_11comp_targetILNS1_3genE0ELNS1_11target_archE4294967295ELNS1_3gpuE0ELNS1_3repE0EEENS1_38merge_mergepath_config_static_selectorELNS0_4arch9wavefront6targetE1EEEvSK_.kd
    .uniform_work_group_size: 1
    .uses_dynamic_stack: false
    .vgpr_count:     0
    .vgpr_spill_count: 0
    .wavefront_size: 64
  - .agpr_count:     0
    .args:
      - .offset:         0
        .size:           72
        .value_kind:     by_value
    .group_segment_fixed_size: 0
    .kernarg_segment_align: 8
    .kernarg_segment_size: 72
    .language:       OpenCL C
    .language_version:
      - 2
      - 0
    .max_flat_workgroup_size: 256
    .name:           _ZN7rocprim17ROCPRIM_400000_NS6detail17trampoline_kernelINS0_14default_configENS1_38merge_sort_block_merge_config_selectorIjNS0_10empty_typeEEEZZNS1_27merge_sort_block_merge_implIS3_N6thrust23THRUST_200600_302600_NS6detail15normal_iteratorINS9_10device_ptrIjEEEEPS5_m14custom_greaterIjEEE10hipError_tT0_T1_T2_jT3_P12ihipStream_tbPNSt15iterator_traitsISJ_E10value_typeEPNSP_ISK_E10value_typeEPSL_NS1_7vsmem_tEENKUlT_SJ_SK_SL_E_clISE_PjSF_SF_EESI_SY_SJ_SK_SL_EUlSY_E0_NS1_11comp_targetILNS1_3genE10ELNS1_11target_archE1201ELNS1_3gpuE5ELNS1_3repE0EEENS1_38merge_mergepath_config_static_selectorELNS0_4arch9wavefront6targetE1EEEvSK_
    .private_segment_fixed_size: 0
    .sgpr_count:     4
    .sgpr_spill_count: 0
    .symbol:         _ZN7rocprim17ROCPRIM_400000_NS6detail17trampoline_kernelINS0_14default_configENS1_38merge_sort_block_merge_config_selectorIjNS0_10empty_typeEEEZZNS1_27merge_sort_block_merge_implIS3_N6thrust23THRUST_200600_302600_NS6detail15normal_iteratorINS9_10device_ptrIjEEEEPS5_m14custom_greaterIjEEE10hipError_tT0_T1_T2_jT3_P12ihipStream_tbPNSt15iterator_traitsISJ_E10value_typeEPNSP_ISK_E10value_typeEPSL_NS1_7vsmem_tEENKUlT_SJ_SK_SL_E_clISE_PjSF_SF_EESI_SY_SJ_SK_SL_EUlSY_E0_NS1_11comp_targetILNS1_3genE10ELNS1_11target_archE1201ELNS1_3gpuE5ELNS1_3repE0EEENS1_38merge_mergepath_config_static_selectorELNS0_4arch9wavefront6targetE1EEEvSK_.kd
    .uniform_work_group_size: 1
    .uses_dynamic_stack: false
    .vgpr_count:     0
    .vgpr_spill_count: 0
    .wavefront_size: 64
  - .agpr_count:     0
    .args:
      - .offset:         0
        .size:           72
        .value_kind:     by_value
    .group_segment_fixed_size: 0
    .kernarg_segment_align: 8
    .kernarg_segment_size: 72
    .language:       OpenCL C
    .language_version:
      - 2
      - 0
    .max_flat_workgroup_size: 128
    .name:           _ZN7rocprim17ROCPRIM_400000_NS6detail17trampoline_kernelINS0_14default_configENS1_38merge_sort_block_merge_config_selectorIjNS0_10empty_typeEEEZZNS1_27merge_sort_block_merge_implIS3_N6thrust23THRUST_200600_302600_NS6detail15normal_iteratorINS9_10device_ptrIjEEEEPS5_m14custom_greaterIjEEE10hipError_tT0_T1_T2_jT3_P12ihipStream_tbPNSt15iterator_traitsISJ_E10value_typeEPNSP_ISK_E10value_typeEPSL_NS1_7vsmem_tEENKUlT_SJ_SK_SL_E_clISE_PjSF_SF_EESI_SY_SJ_SK_SL_EUlSY_E0_NS1_11comp_targetILNS1_3genE5ELNS1_11target_archE942ELNS1_3gpuE9ELNS1_3repE0EEENS1_38merge_mergepath_config_static_selectorELNS0_4arch9wavefront6targetE1EEEvSK_
    .private_segment_fixed_size: 0
    .sgpr_count:     4
    .sgpr_spill_count: 0
    .symbol:         _ZN7rocprim17ROCPRIM_400000_NS6detail17trampoline_kernelINS0_14default_configENS1_38merge_sort_block_merge_config_selectorIjNS0_10empty_typeEEEZZNS1_27merge_sort_block_merge_implIS3_N6thrust23THRUST_200600_302600_NS6detail15normal_iteratorINS9_10device_ptrIjEEEEPS5_m14custom_greaterIjEEE10hipError_tT0_T1_T2_jT3_P12ihipStream_tbPNSt15iterator_traitsISJ_E10value_typeEPNSP_ISK_E10value_typeEPSL_NS1_7vsmem_tEENKUlT_SJ_SK_SL_E_clISE_PjSF_SF_EESI_SY_SJ_SK_SL_EUlSY_E0_NS1_11comp_targetILNS1_3genE5ELNS1_11target_archE942ELNS1_3gpuE9ELNS1_3repE0EEENS1_38merge_mergepath_config_static_selectorELNS0_4arch9wavefront6targetE1EEEvSK_.kd
    .uniform_work_group_size: 1
    .uses_dynamic_stack: false
    .vgpr_count:     0
    .vgpr_spill_count: 0
    .wavefront_size: 64
  - .agpr_count:     0
    .args:
      - .offset:         0
        .size:           72
        .value_kind:     by_value
      - .offset:         72
        .size:           4
        .value_kind:     hidden_block_count_x
      - .offset:         76
        .size:           4
        .value_kind:     hidden_block_count_y
      - .offset:         80
        .size:           4
        .value_kind:     hidden_block_count_z
      - .offset:         84
        .size:           2
        .value_kind:     hidden_group_size_x
      - .offset:         86
        .size:           2
        .value_kind:     hidden_group_size_y
      - .offset:         88
        .size:           2
        .value_kind:     hidden_group_size_z
      - .offset:         90
        .size:           2
        .value_kind:     hidden_remainder_x
      - .offset:         92
        .size:           2
        .value_kind:     hidden_remainder_y
      - .offset:         94
        .size:           2
        .value_kind:     hidden_remainder_z
      - .offset:         112
        .size:           8
        .value_kind:     hidden_global_offset_x
      - .offset:         120
        .size:           8
        .value_kind:     hidden_global_offset_y
      - .offset:         128
        .size:           8
        .value_kind:     hidden_global_offset_z
      - .offset:         136
        .size:           2
        .value_kind:     hidden_grid_dims
    .group_segment_fixed_size: 4224
    .kernarg_segment_align: 8
    .kernarg_segment_size: 328
    .language:       OpenCL C
    .language_version:
      - 2
      - 0
    .max_flat_workgroup_size: 128
    .name:           _ZN7rocprim17ROCPRIM_400000_NS6detail17trampoline_kernelINS0_14default_configENS1_38merge_sort_block_merge_config_selectorIjNS0_10empty_typeEEEZZNS1_27merge_sort_block_merge_implIS3_N6thrust23THRUST_200600_302600_NS6detail15normal_iteratorINS9_10device_ptrIjEEEEPS5_m14custom_greaterIjEEE10hipError_tT0_T1_T2_jT3_P12ihipStream_tbPNSt15iterator_traitsISJ_E10value_typeEPNSP_ISK_E10value_typeEPSL_NS1_7vsmem_tEENKUlT_SJ_SK_SL_E_clISE_PjSF_SF_EESI_SY_SJ_SK_SL_EUlSY_E0_NS1_11comp_targetILNS1_3genE4ELNS1_11target_archE910ELNS1_3gpuE8ELNS1_3repE0EEENS1_38merge_mergepath_config_static_selectorELNS0_4arch9wavefront6targetE1EEEvSK_
    .private_segment_fixed_size: 0
    .sgpr_count:     35
    .sgpr_spill_count: 0
    .symbol:         _ZN7rocprim17ROCPRIM_400000_NS6detail17trampoline_kernelINS0_14default_configENS1_38merge_sort_block_merge_config_selectorIjNS0_10empty_typeEEEZZNS1_27merge_sort_block_merge_implIS3_N6thrust23THRUST_200600_302600_NS6detail15normal_iteratorINS9_10device_ptrIjEEEEPS5_m14custom_greaterIjEEE10hipError_tT0_T1_T2_jT3_P12ihipStream_tbPNSt15iterator_traitsISJ_E10value_typeEPNSP_ISK_E10value_typeEPSL_NS1_7vsmem_tEENKUlT_SJ_SK_SL_E_clISE_PjSF_SF_EESI_SY_SJ_SK_SL_EUlSY_E0_NS1_11comp_targetILNS1_3genE4ELNS1_11target_archE910ELNS1_3gpuE8ELNS1_3repE0EEENS1_38merge_mergepath_config_static_selectorELNS0_4arch9wavefront6targetE1EEEvSK_.kd
    .uniform_work_group_size: 1
    .uses_dynamic_stack: false
    .vgpr_count:     26
    .vgpr_spill_count: 0
    .wavefront_size: 64
  - .agpr_count:     0
    .args:
      - .offset:         0
        .size:           72
        .value_kind:     by_value
    .group_segment_fixed_size: 0
    .kernarg_segment_align: 8
    .kernarg_segment_size: 72
    .language:       OpenCL C
    .language_version:
      - 2
      - 0
    .max_flat_workgroup_size: 128
    .name:           _ZN7rocprim17ROCPRIM_400000_NS6detail17trampoline_kernelINS0_14default_configENS1_38merge_sort_block_merge_config_selectorIjNS0_10empty_typeEEEZZNS1_27merge_sort_block_merge_implIS3_N6thrust23THRUST_200600_302600_NS6detail15normal_iteratorINS9_10device_ptrIjEEEEPS5_m14custom_greaterIjEEE10hipError_tT0_T1_T2_jT3_P12ihipStream_tbPNSt15iterator_traitsISJ_E10value_typeEPNSP_ISK_E10value_typeEPSL_NS1_7vsmem_tEENKUlT_SJ_SK_SL_E_clISE_PjSF_SF_EESI_SY_SJ_SK_SL_EUlSY_E0_NS1_11comp_targetILNS1_3genE3ELNS1_11target_archE908ELNS1_3gpuE7ELNS1_3repE0EEENS1_38merge_mergepath_config_static_selectorELNS0_4arch9wavefront6targetE1EEEvSK_
    .private_segment_fixed_size: 0
    .sgpr_count:     4
    .sgpr_spill_count: 0
    .symbol:         _ZN7rocprim17ROCPRIM_400000_NS6detail17trampoline_kernelINS0_14default_configENS1_38merge_sort_block_merge_config_selectorIjNS0_10empty_typeEEEZZNS1_27merge_sort_block_merge_implIS3_N6thrust23THRUST_200600_302600_NS6detail15normal_iteratorINS9_10device_ptrIjEEEEPS5_m14custom_greaterIjEEE10hipError_tT0_T1_T2_jT3_P12ihipStream_tbPNSt15iterator_traitsISJ_E10value_typeEPNSP_ISK_E10value_typeEPSL_NS1_7vsmem_tEENKUlT_SJ_SK_SL_E_clISE_PjSF_SF_EESI_SY_SJ_SK_SL_EUlSY_E0_NS1_11comp_targetILNS1_3genE3ELNS1_11target_archE908ELNS1_3gpuE7ELNS1_3repE0EEENS1_38merge_mergepath_config_static_selectorELNS0_4arch9wavefront6targetE1EEEvSK_.kd
    .uniform_work_group_size: 1
    .uses_dynamic_stack: false
    .vgpr_count:     0
    .vgpr_spill_count: 0
    .wavefront_size: 64
  - .agpr_count:     0
    .args:
      - .offset:         0
        .size:           72
        .value_kind:     by_value
    .group_segment_fixed_size: 0
    .kernarg_segment_align: 8
    .kernarg_segment_size: 72
    .language:       OpenCL C
    .language_version:
      - 2
      - 0
    .max_flat_workgroup_size: 128
    .name:           _ZN7rocprim17ROCPRIM_400000_NS6detail17trampoline_kernelINS0_14default_configENS1_38merge_sort_block_merge_config_selectorIjNS0_10empty_typeEEEZZNS1_27merge_sort_block_merge_implIS3_N6thrust23THRUST_200600_302600_NS6detail15normal_iteratorINS9_10device_ptrIjEEEEPS5_m14custom_greaterIjEEE10hipError_tT0_T1_T2_jT3_P12ihipStream_tbPNSt15iterator_traitsISJ_E10value_typeEPNSP_ISK_E10value_typeEPSL_NS1_7vsmem_tEENKUlT_SJ_SK_SL_E_clISE_PjSF_SF_EESI_SY_SJ_SK_SL_EUlSY_E0_NS1_11comp_targetILNS1_3genE2ELNS1_11target_archE906ELNS1_3gpuE6ELNS1_3repE0EEENS1_38merge_mergepath_config_static_selectorELNS0_4arch9wavefront6targetE1EEEvSK_
    .private_segment_fixed_size: 0
    .sgpr_count:     4
    .sgpr_spill_count: 0
    .symbol:         _ZN7rocprim17ROCPRIM_400000_NS6detail17trampoline_kernelINS0_14default_configENS1_38merge_sort_block_merge_config_selectorIjNS0_10empty_typeEEEZZNS1_27merge_sort_block_merge_implIS3_N6thrust23THRUST_200600_302600_NS6detail15normal_iteratorINS9_10device_ptrIjEEEEPS5_m14custom_greaterIjEEE10hipError_tT0_T1_T2_jT3_P12ihipStream_tbPNSt15iterator_traitsISJ_E10value_typeEPNSP_ISK_E10value_typeEPSL_NS1_7vsmem_tEENKUlT_SJ_SK_SL_E_clISE_PjSF_SF_EESI_SY_SJ_SK_SL_EUlSY_E0_NS1_11comp_targetILNS1_3genE2ELNS1_11target_archE906ELNS1_3gpuE6ELNS1_3repE0EEENS1_38merge_mergepath_config_static_selectorELNS0_4arch9wavefront6targetE1EEEvSK_.kd
    .uniform_work_group_size: 1
    .uses_dynamic_stack: false
    .vgpr_count:     0
    .vgpr_spill_count: 0
    .wavefront_size: 64
  - .agpr_count:     0
    .args:
      - .offset:         0
        .size:           72
        .value_kind:     by_value
    .group_segment_fixed_size: 0
    .kernarg_segment_align: 8
    .kernarg_segment_size: 72
    .language:       OpenCL C
    .language_version:
      - 2
      - 0
    .max_flat_workgroup_size: 256
    .name:           _ZN7rocprim17ROCPRIM_400000_NS6detail17trampoline_kernelINS0_14default_configENS1_38merge_sort_block_merge_config_selectorIjNS0_10empty_typeEEEZZNS1_27merge_sort_block_merge_implIS3_N6thrust23THRUST_200600_302600_NS6detail15normal_iteratorINS9_10device_ptrIjEEEEPS5_m14custom_greaterIjEEE10hipError_tT0_T1_T2_jT3_P12ihipStream_tbPNSt15iterator_traitsISJ_E10value_typeEPNSP_ISK_E10value_typeEPSL_NS1_7vsmem_tEENKUlT_SJ_SK_SL_E_clISE_PjSF_SF_EESI_SY_SJ_SK_SL_EUlSY_E0_NS1_11comp_targetILNS1_3genE9ELNS1_11target_archE1100ELNS1_3gpuE3ELNS1_3repE0EEENS1_38merge_mergepath_config_static_selectorELNS0_4arch9wavefront6targetE1EEEvSK_
    .private_segment_fixed_size: 0
    .sgpr_count:     4
    .sgpr_spill_count: 0
    .symbol:         _ZN7rocprim17ROCPRIM_400000_NS6detail17trampoline_kernelINS0_14default_configENS1_38merge_sort_block_merge_config_selectorIjNS0_10empty_typeEEEZZNS1_27merge_sort_block_merge_implIS3_N6thrust23THRUST_200600_302600_NS6detail15normal_iteratorINS9_10device_ptrIjEEEEPS5_m14custom_greaterIjEEE10hipError_tT0_T1_T2_jT3_P12ihipStream_tbPNSt15iterator_traitsISJ_E10value_typeEPNSP_ISK_E10value_typeEPSL_NS1_7vsmem_tEENKUlT_SJ_SK_SL_E_clISE_PjSF_SF_EESI_SY_SJ_SK_SL_EUlSY_E0_NS1_11comp_targetILNS1_3genE9ELNS1_11target_archE1100ELNS1_3gpuE3ELNS1_3repE0EEENS1_38merge_mergepath_config_static_selectorELNS0_4arch9wavefront6targetE1EEEvSK_.kd
    .uniform_work_group_size: 1
    .uses_dynamic_stack: false
    .vgpr_count:     0
    .vgpr_spill_count: 0
    .wavefront_size: 64
  - .agpr_count:     0
    .args:
      - .offset:         0
        .size:           72
        .value_kind:     by_value
    .group_segment_fixed_size: 0
    .kernarg_segment_align: 8
    .kernarg_segment_size: 72
    .language:       OpenCL C
    .language_version:
      - 2
      - 0
    .max_flat_workgroup_size: 512
    .name:           _ZN7rocprim17ROCPRIM_400000_NS6detail17trampoline_kernelINS0_14default_configENS1_38merge_sort_block_merge_config_selectorIjNS0_10empty_typeEEEZZNS1_27merge_sort_block_merge_implIS3_N6thrust23THRUST_200600_302600_NS6detail15normal_iteratorINS9_10device_ptrIjEEEEPS5_m14custom_greaterIjEEE10hipError_tT0_T1_T2_jT3_P12ihipStream_tbPNSt15iterator_traitsISJ_E10value_typeEPNSP_ISK_E10value_typeEPSL_NS1_7vsmem_tEENKUlT_SJ_SK_SL_E_clISE_PjSF_SF_EESI_SY_SJ_SK_SL_EUlSY_E0_NS1_11comp_targetILNS1_3genE8ELNS1_11target_archE1030ELNS1_3gpuE2ELNS1_3repE0EEENS1_38merge_mergepath_config_static_selectorELNS0_4arch9wavefront6targetE1EEEvSK_
    .private_segment_fixed_size: 0
    .sgpr_count:     4
    .sgpr_spill_count: 0
    .symbol:         _ZN7rocprim17ROCPRIM_400000_NS6detail17trampoline_kernelINS0_14default_configENS1_38merge_sort_block_merge_config_selectorIjNS0_10empty_typeEEEZZNS1_27merge_sort_block_merge_implIS3_N6thrust23THRUST_200600_302600_NS6detail15normal_iteratorINS9_10device_ptrIjEEEEPS5_m14custom_greaterIjEEE10hipError_tT0_T1_T2_jT3_P12ihipStream_tbPNSt15iterator_traitsISJ_E10value_typeEPNSP_ISK_E10value_typeEPSL_NS1_7vsmem_tEENKUlT_SJ_SK_SL_E_clISE_PjSF_SF_EESI_SY_SJ_SK_SL_EUlSY_E0_NS1_11comp_targetILNS1_3genE8ELNS1_11target_archE1030ELNS1_3gpuE2ELNS1_3repE0EEENS1_38merge_mergepath_config_static_selectorELNS0_4arch9wavefront6targetE1EEEvSK_.kd
    .uniform_work_group_size: 1
    .uses_dynamic_stack: false
    .vgpr_count:     0
    .vgpr_spill_count: 0
    .wavefront_size: 64
  - .agpr_count:     0
    .args:
      - .offset:         0
        .size:           56
        .value_kind:     by_value
    .group_segment_fixed_size: 0
    .kernarg_segment_align: 8
    .kernarg_segment_size: 56
    .language:       OpenCL C
    .language_version:
      - 2
      - 0
    .max_flat_workgroup_size: 256
    .name:           _ZN7rocprim17ROCPRIM_400000_NS6detail17trampoline_kernelINS0_14default_configENS1_38merge_sort_block_merge_config_selectorIjNS0_10empty_typeEEEZZNS1_27merge_sort_block_merge_implIS3_N6thrust23THRUST_200600_302600_NS6detail15normal_iteratorINS9_10device_ptrIjEEEEPS5_m14custom_greaterIjEEE10hipError_tT0_T1_T2_jT3_P12ihipStream_tbPNSt15iterator_traitsISJ_E10value_typeEPNSP_ISK_E10value_typeEPSL_NS1_7vsmem_tEENKUlT_SJ_SK_SL_E_clISE_PjSF_SF_EESI_SY_SJ_SK_SL_EUlSY_E1_NS1_11comp_targetILNS1_3genE0ELNS1_11target_archE4294967295ELNS1_3gpuE0ELNS1_3repE0EEENS1_36merge_oddeven_config_static_selectorELNS0_4arch9wavefront6targetE1EEEvSK_
    .private_segment_fixed_size: 0
    .sgpr_count:     4
    .sgpr_spill_count: 0
    .symbol:         _ZN7rocprim17ROCPRIM_400000_NS6detail17trampoline_kernelINS0_14default_configENS1_38merge_sort_block_merge_config_selectorIjNS0_10empty_typeEEEZZNS1_27merge_sort_block_merge_implIS3_N6thrust23THRUST_200600_302600_NS6detail15normal_iteratorINS9_10device_ptrIjEEEEPS5_m14custom_greaterIjEEE10hipError_tT0_T1_T2_jT3_P12ihipStream_tbPNSt15iterator_traitsISJ_E10value_typeEPNSP_ISK_E10value_typeEPSL_NS1_7vsmem_tEENKUlT_SJ_SK_SL_E_clISE_PjSF_SF_EESI_SY_SJ_SK_SL_EUlSY_E1_NS1_11comp_targetILNS1_3genE0ELNS1_11target_archE4294967295ELNS1_3gpuE0ELNS1_3repE0EEENS1_36merge_oddeven_config_static_selectorELNS0_4arch9wavefront6targetE1EEEvSK_.kd
    .uniform_work_group_size: 1
    .uses_dynamic_stack: false
    .vgpr_count:     0
    .vgpr_spill_count: 0
    .wavefront_size: 64
  - .agpr_count:     0
    .args:
      - .offset:         0
        .size:           56
        .value_kind:     by_value
    .group_segment_fixed_size: 0
    .kernarg_segment_align: 8
    .kernarg_segment_size: 56
    .language:       OpenCL C
    .language_version:
      - 2
      - 0
    .max_flat_workgroup_size: 256
    .name:           _ZN7rocprim17ROCPRIM_400000_NS6detail17trampoline_kernelINS0_14default_configENS1_38merge_sort_block_merge_config_selectorIjNS0_10empty_typeEEEZZNS1_27merge_sort_block_merge_implIS3_N6thrust23THRUST_200600_302600_NS6detail15normal_iteratorINS9_10device_ptrIjEEEEPS5_m14custom_greaterIjEEE10hipError_tT0_T1_T2_jT3_P12ihipStream_tbPNSt15iterator_traitsISJ_E10value_typeEPNSP_ISK_E10value_typeEPSL_NS1_7vsmem_tEENKUlT_SJ_SK_SL_E_clISE_PjSF_SF_EESI_SY_SJ_SK_SL_EUlSY_E1_NS1_11comp_targetILNS1_3genE10ELNS1_11target_archE1201ELNS1_3gpuE5ELNS1_3repE0EEENS1_36merge_oddeven_config_static_selectorELNS0_4arch9wavefront6targetE1EEEvSK_
    .private_segment_fixed_size: 0
    .sgpr_count:     4
    .sgpr_spill_count: 0
    .symbol:         _ZN7rocprim17ROCPRIM_400000_NS6detail17trampoline_kernelINS0_14default_configENS1_38merge_sort_block_merge_config_selectorIjNS0_10empty_typeEEEZZNS1_27merge_sort_block_merge_implIS3_N6thrust23THRUST_200600_302600_NS6detail15normal_iteratorINS9_10device_ptrIjEEEEPS5_m14custom_greaterIjEEE10hipError_tT0_T1_T2_jT3_P12ihipStream_tbPNSt15iterator_traitsISJ_E10value_typeEPNSP_ISK_E10value_typeEPSL_NS1_7vsmem_tEENKUlT_SJ_SK_SL_E_clISE_PjSF_SF_EESI_SY_SJ_SK_SL_EUlSY_E1_NS1_11comp_targetILNS1_3genE10ELNS1_11target_archE1201ELNS1_3gpuE5ELNS1_3repE0EEENS1_36merge_oddeven_config_static_selectorELNS0_4arch9wavefront6targetE1EEEvSK_.kd
    .uniform_work_group_size: 1
    .uses_dynamic_stack: false
    .vgpr_count:     0
    .vgpr_spill_count: 0
    .wavefront_size: 64
  - .agpr_count:     0
    .args:
      - .offset:         0
        .size:           56
        .value_kind:     by_value
    .group_segment_fixed_size: 0
    .kernarg_segment_align: 8
    .kernarg_segment_size: 56
    .language:       OpenCL C
    .language_version:
      - 2
      - 0
    .max_flat_workgroup_size: 256
    .name:           _ZN7rocprim17ROCPRIM_400000_NS6detail17trampoline_kernelINS0_14default_configENS1_38merge_sort_block_merge_config_selectorIjNS0_10empty_typeEEEZZNS1_27merge_sort_block_merge_implIS3_N6thrust23THRUST_200600_302600_NS6detail15normal_iteratorINS9_10device_ptrIjEEEEPS5_m14custom_greaterIjEEE10hipError_tT0_T1_T2_jT3_P12ihipStream_tbPNSt15iterator_traitsISJ_E10value_typeEPNSP_ISK_E10value_typeEPSL_NS1_7vsmem_tEENKUlT_SJ_SK_SL_E_clISE_PjSF_SF_EESI_SY_SJ_SK_SL_EUlSY_E1_NS1_11comp_targetILNS1_3genE5ELNS1_11target_archE942ELNS1_3gpuE9ELNS1_3repE0EEENS1_36merge_oddeven_config_static_selectorELNS0_4arch9wavefront6targetE1EEEvSK_
    .private_segment_fixed_size: 0
    .sgpr_count:     4
    .sgpr_spill_count: 0
    .symbol:         _ZN7rocprim17ROCPRIM_400000_NS6detail17trampoline_kernelINS0_14default_configENS1_38merge_sort_block_merge_config_selectorIjNS0_10empty_typeEEEZZNS1_27merge_sort_block_merge_implIS3_N6thrust23THRUST_200600_302600_NS6detail15normal_iteratorINS9_10device_ptrIjEEEEPS5_m14custom_greaterIjEEE10hipError_tT0_T1_T2_jT3_P12ihipStream_tbPNSt15iterator_traitsISJ_E10value_typeEPNSP_ISK_E10value_typeEPSL_NS1_7vsmem_tEENKUlT_SJ_SK_SL_E_clISE_PjSF_SF_EESI_SY_SJ_SK_SL_EUlSY_E1_NS1_11comp_targetILNS1_3genE5ELNS1_11target_archE942ELNS1_3gpuE9ELNS1_3repE0EEENS1_36merge_oddeven_config_static_selectorELNS0_4arch9wavefront6targetE1EEEvSK_.kd
    .uniform_work_group_size: 1
    .uses_dynamic_stack: false
    .vgpr_count:     0
    .vgpr_spill_count: 0
    .wavefront_size: 64
  - .agpr_count:     0
    .args:
      - .offset:         0
        .size:           56
        .value_kind:     by_value
    .group_segment_fixed_size: 0
    .kernarg_segment_align: 8
    .kernarg_segment_size: 56
    .language:       OpenCL C
    .language_version:
      - 2
      - 0
    .max_flat_workgroup_size: 256
    .name:           _ZN7rocprim17ROCPRIM_400000_NS6detail17trampoline_kernelINS0_14default_configENS1_38merge_sort_block_merge_config_selectorIjNS0_10empty_typeEEEZZNS1_27merge_sort_block_merge_implIS3_N6thrust23THRUST_200600_302600_NS6detail15normal_iteratorINS9_10device_ptrIjEEEEPS5_m14custom_greaterIjEEE10hipError_tT0_T1_T2_jT3_P12ihipStream_tbPNSt15iterator_traitsISJ_E10value_typeEPNSP_ISK_E10value_typeEPSL_NS1_7vsmem_tEENKUlT_SJ_SK_SL_E_clISE_PjSF_SF_EESI_SY_SJ_SK_SL_EUlSY_E1_NS1_11comp_targetILNS1_3genE4ELNS1_11target_archE910ELNS1_3gpuE8ELNS1_3repE0EEENS1_36merge_oddeven_config_static_selectorELNS0_4arch9wavefront6targetE1EEEvSK_
    .private_segment_fixed_size: 0
    .sgpr_count:     25
    .sgpr_spill_count: 0
    .symbol:         _ZN7rocprim17ROCPRIM_400000_NS6detail17trampoline_kernelINS0_14default_configENS1_38merge_sort_block_merge_config_selectorIjNS0_10empty_typeEEEZZNS1_27merge_sort_block_merge_implIS3_N6thrust23THRUST_200600_302600_NS6detail15normal_iteratorINS9_10device_ptrIjEEEEPS5_m14custom_greaterIjEEE10hipError_tT0_T1_T2_jT3_P12ihipStream_tbPNSt15iterator_traitsISJ_E10value_typeEPNSP_ISK_E10value_typeEPSL_NS1_7vsmem_tEENKUlT_SJ_SK_SL_E_clISE_PjSF_SF_EESI_SY_SJ_SK_SL_EUlSY_E1_NS1_11comp_targetILNS1_3genE4ELNS1_11target_archE910ELNS1_3gpuE8ELNS1_3repE0EEENS1_36merge_oddeven_config_static_selectorELNS0_4arch9wavefront6targetE1EEEvSK_.kd
    .uniform_work_group_size: 1
    .uses_dynamic_stack: false
    .vgpr_count:     10
    .vgpr_spill_count: 0
    .wavefront_size: 64
  - .agpr_count:     0
    .args:
      - .offset:         0
        .size:           56
        .value_kind:     by_value
    .group_segment_fixed_size: 0
    .kernarg_segment_align: 8
    .kernarg_segment_size: 56
    .language:       OpenCL C
    .language_version:
      - 2
      - 0
    .max_flat_workgroup_size: 256
    .name:           _ZN7rocprim17ROCPRIM_400000_NS6detail17trampoline_kernelINS0_14default_configENS1_38merge_sort_block_merge_config_selectorIjNS0_10empty_typeEEEZZNS1_27merge_sort_block_merge_implIS3_N6thrust23THRUST_200600_302600_NS6detail15normal_iteratorINS9_10device_ptrIjEEEEPS5_m14custom_greaterIjEEE10hipError_tT0_T1_T2_jT3_P12ihipStream_tbPNSt15iterator_traitsISJ_E10value_typeEPNSP_ISK_E10value_typeEPSL_NS1_7vsmem_tEENKUlT_SJ_SK_SL_E_clISE_PjSF_SF_EESI_SY_SJ_SK_SL_EUlSY_E1_NS1_11comp_targetILNS1_3genE3ELNS1_11target_archE908ELNS1_3gpuE7ELNS1_3repE0EEENS1_36merge_oddeven_config_static_selectorELNS0_4arch9wavefront6targetE1EEEvSK_
    .private_segment_fixed_size: 0
    .sgpr_count:     4
    .sgpr_spill_count: 0
    .symbol:         _ZN7rocprim17ROCPRIM_400000_NS6detail17trampoline_kernelINS0_14default_configENS1_38merge_sort_block_merge_config_selectorIjNS0_10empty_typeEEEZZNS1_27merge_sort_block_merge_implIS3_N6thrust23THRUST_200600_302600_NS6detail15normal_iteratorINS9_10device_ptrIjEEEEPS5_m14custom_greaterIjEEE10hipError_tT0_T1_T2_jT3_P12ihipStream_tbPNSt15iterator_traitsISJ_E10value_typeEPNSP_ISK_E10value_typeEPSL_NS1_7vsmem_tEENKUlT_SJ_SK_SL_E_clISE_PjSF_SF_EESI_SY_SJ_SK_SL_EUlSY_E1_NS1_11comp_targetILNS1_3genE3ELNS1_11target_archE908ELNS1_3gpuE7ELNS1_3repE0EEENS1_36merge_oddeven_config_static_selectorELNS0_4arch9wavefront6targetE1EEEvSK_.kd
    .uniform_work_group_size: 1
    .uses_dynamic_stack: false
    .vgpr_count:     0
    .vgpr_spill_count: 0
    .wavefront_size: 64
  - .agpr_count:     0
    .args:
      - .offset:         0
        .size:           56
        .value_kind:     by_value
    .group_segment_fixed_size: 0
    .kernarg_segment_align: 8
    .kernarg_segment_size: 56
    .language:       OpenCL C
    .language_version:
      - 2
      - 0
    .max_flat_workgroup_size: 256
    .name:           _ZN7rocprim17ROCPRIM_400000_NS6detail17trampoline_kernelINS0_14default_configENS1_38merge_sort_block_merge_config_selectorIjNS0_10empty_typeEEEZZNS1_27merge_sort_block_merge_implIS3_N6thrust23THRUST_200600_302600_NS6detail15normal_iteratorINS9_10device_ptrIjEEEEPS5_m14custom_greaterIjEEE10hipError_tT0_T1_T2_jT3_P12ihipStream_tbPNSt15iterator_traitsISJ_E10value_typeEPNSP_ISK_E10value_typeEPSL_NS1_7vsmem_tEENKUlT_SJ_SK_SL_E_clISE_PjSF_SF_EESI_SY_SJ_SK_SL_EUlSY_E1_NS1_11comp_targetILNS1_3genE2ELNS1_11target_archE906ELNS1_3gpuE6ELNS1_3repE0EEENS1_36merge_oddeven_config_static_selectorELNS0_4arch9wavefront6targetE1EEEvSK_
    .private_segment_fixed_size: 0
    .sgpr_count:     4
    .sgpr_spill_count: 0
    .symbol:         _ZN7rocprim17ROCPRIM_400000_NS6detail17trampoline_kernelINS0_14default_configENS1_38merge_sort_block_merge_config_selectorIjNS0_10empty_typeEEEZZNS1_27merge_sort_block_merge_implIS3_N6thrust23THRUST_200600_302600_NS6detail15normal_iteratorINS9_10device_ptrIjEEEEPS5_m14custom_greaterIjEEE10hipError_tT0_T1_T2_jT3_P12ihipStream_tbPNSt15iterator_traitsISJ_E10value_typeEPNSP_ISK_E10value_typeEPSL_NS1_7vsmem_tEENKUlT_SJ_SK_SL_E_clISE_PjSF_SF_EESI_SY_SJ_SK_SL_EUlSY_E1_NS1_11comp_targetILNS1_3genE2ELNS1_11target_archE906ELNS1_3gpuE6ELNS1_3repE0EEENS1_36merge_oddeven_config_static_selectorELNS0_4arch9wavefront6targetE1EEEvSK_.kd
    .uniform_work_group_size: 1
    .uses_dynamic_stack: false
    .vgpr_count:     0
    .vgpr_spill_count: 0
    .wavefront_size: 64
  - .agpr_count:     0
    .args:
      - .offset:         0
        .size:           56
        .value_kind:     by_value
    .group_segment_fixed_size: 0
    .kernarg_segment_align: 8
    .kernarg_segment_size: 56
    .language:       OpenCL C
    .language_version:
      - 2
      - 0
    .max_flat_workgroup_size: 256
    .name:           _ZN7rocprim17ROCPRIM_400000_NS6detail17trampoline_kernelINS0_14default_configENS1_38merge_sort_block_merge_config_selectorIjNS0_10empty_typeEEEZZNS1_27merge_sort_block_merge_implIS3_N6thrust23THRUST_200600_302600_NS6detail15normal_iteratorINS9_10device_ptrIjEEEEPS5_m14custom_greaterIjEEE10hipError_tT0_T1_T2_jT3_P12ihipStream_tbPNSt15iterator_traitsISJ_E10value_typeEPNSP_ISK_E10value_typeEPSL_NS1_7vsmem_tEENKUlT_SJ_SK_SL_E_clISE_PjSF_SF_EESI_SY_SJ_SK_SL_EUlSY_E1_NS1_11comp_targetILNS1_3genE9ELNS1_11target_archE1100ELNS1_3gpuE3ELNS1_3repE0EEENS1_36merge_oddeven_config_static_selectorELNS0_4arch9wavefront6targetE1EEEvSK_
    .private_segment_fixed_size: 0
    .sgpr_count:     4
    .sgpr_spill_count: 0
    .symbol:         _ZN7rocprim17ROCPRIM_400000_NS6detail17trampoline_kernelINS0_14default_configENS1_38merge_sort_block_merge_config_selectorIjNS0_10empty_typeEEEZZNS1_27merge_sort_block_merge_implIS3_N6thrust23THRUST_200600_302600_NS6detail15normal_iteratorINS9_10device_ptrIjEEEEPS5_m14custom_greaterIjEEE10hipError_tT0_T1_T2_jT3_P12ihipStream_tbPNSt15iterator_traitsISJ_E10value_typeEPNSP_ISK_E10value_typeEPSL_NS1_7vsmem_tEENKUlT_SJ_SK_SL_E_clISE_PjSF_SF_EESI_SY_SJ_SK_SL_EUlSY_E1_NS1_11comp_targetILNS1_3genE9ELNS1_11target_archE1100ELNS1_3gpuE3ELNS1_3repE0EEENS1_36merge_oddeven_config_static_selectorELNS0_4arch9wavefront6targetE1EEEvSK_.kd
    .uniform_work_group_size: 1
    .uses_dynamic_stack: false
    .vgpr_count:     0
    .vgpr_spill_count: 0
    .wavefront_size: 64
  - .agpr_count:     0
    .args:
      - .offset:         0
        .size:           56
        .value_kind:     by_value
    .group_segment_fixed_size: 0
    .kernarg_segment_align: 8
    .kernarg_segment_size: 56
    .language:       OpenCL C
    .language_version:
      - 2
      - 0
    .max_flat_workgroup_size: 256
    .name:           _ZN7rocprim17ROCPRIM_400000_NS6detail17trampoline_kernelINS0_14default_configENS1_38merge_sort_block_merge_config_selectorIjNS0_10empty_typeEEEZZNS1_27merge_sort_block_merge_implIS3_N6thrust23THRUST_200600_302600_NS6detail15normal_iteratorINS9_10device_ptrIjEEEEPS5_m14custom_greaterIjEEE10hipError_tT0_T1_T2_jT3_P12ihipStream_tbPNSt15iterator_traitsISJ_E10value_typeEPNSP_ISK_E10value_typeEPSL_NS1_7vsmem_tEENKUlT_SJ_SK_SL_E_clISE_PjSF_SF_EESI_SY_SJ_SK_SL_EUlSY_E1_NS1_11comp_targetILNS1_3genE8ELNS1_11target_archE1030ELNS1_3gpuE2ELNS1_3repE0EEENS1_36merge_oddeven_config_static_selectorELNS0_4arch9wavefront6targetE1EEEvSK_
    .private_segment_fixed_size: 0
    .sgpr_count:     4
    .sgpr_spill_count: 0
    .symbol:         _ZN7rocprim17ROCPRIM_400000_NS6detail17trampoline_kernelINS0_14default_configENS1_38merge_sort_block_merge_config_selectorIjNS0_10empty_typeEEEZZNS1_27merge_sort_block_merge_implIS3_N6thrust23THRUST_200600_302600_NS6detail15normal_iteratorINS9_10device_ptrIjEEEEPS5_m14custom_greaterIjEEE10hipError_tT0_T1_T2_jT3_P12ihipStream_tbPNSt15iterator_traitsISJ_E10value_typeEPNSP_ISK_E10value_typeEPSL_NS1_7vsmem_tEENKUlT_SJ_SK_SL_E_clISE_PjSF_SF_EESI_SY_SJ_SK_SL_EUlSY_E1_NS1_11comp_targetILNS1_3genE8ELNS1_11target_archE1030ELNS1_3gpuE2ELNS1_3repE0EEENS1_36merge_oddeven_config_static_selectorELNS0_4arch9wavefront6targetE1EEEvSK_.kd
    .uniform_work_group_size: 1
    .uses_dynamic_stack: false
    .vgpr_count:     0
    .vgpr_spill_count: 0
    .wavefront_size: 64
  - .agpr_count:     0
    .args:
      - .offset:         0
        .size:           40
        .value_kind:     by_value
    .group_segment_fixed_size: 0
    .kernarg_segment_align: 8
    .kernarg_segment_size: 40
    .language:       OpenCL C
    .language_version:
      - 2
      - 0
    .max_flat_workgroup_size: 128
    .name:           _ZN7rocprim17ROCPRIM_400000_NS6detail17trampoline_kernelINS0_14default_configENS1_25transform_config_selectorIjLb0EEEZNS1_14transform_implILb0ES3_S5_PjN6thrust23THRUST_200600_302600_NS6detail15normal_iteratorINS9_10device_ptrIjEEEENS0_8identityIjEEEE10hipError_tT2_T3_mT4_P12ihipStream_tbEUlT_E_NS1_11comp_targetILNS1_3genE0ELNS1_11target_archE4294967295ELNS1_3gpuE0ELNS1_3repE0EEENS1_30default_config_static_selectorELNS0_4arch9wavefront6targetE1EEEvT1_
    .private_segment_fixed_size: 0
    .sgpr_count:     4
    .sgpr_spill_count: 0
    .symbol:         _ZN7rocprim17ROCPRIM_400000_NS6detail17trampoline_kernelINS0_14default_configENS1_25transform_config_selectorIjLb0EEEZNS1_14transform_implILb0ES3_S5_PjN6thrust23THRUST_200600_302600_NS6detail15normal_iteratorINS9_10device_ptrIjEEEENS0_8identityIjEEEE10hipError_tT2_T3_mT4_P12ihipStream_tbEUlT_E_NS1_11comp_targetILNS1_3genE0ELNS1_11target_archE4294967295ELNS1_3gpuE0ELNS1_3repE0EEENS1_30default_config_static_selectorELNS0_4arch9wavefront6targetE1EEEvT1_.kd
    .uniform_work_group_size: 1
    .uses_dynamic_stack: false
    .vgpr_count:     0
    .vgpr_spill_count: 0
    .wavefront_size: 64
  - .agpr_count:     0
    .args:
      - .offset:         0
        .size:           40
        .value_kind:     by_value
    .group_segment_fixed_size: 0
    .kernarg_segment_align: 8
    .kernarg_segment_size: 40
    .language:       OpenCL C
    .language_version:
      - 2
      - 0
    .max_flat_workgroup_size: 512
    .name:           _ZN7rocprim17ROCPRIM_400000_NS6detail17trampoline_kernelINS0_14default_configENS1_25transform_config_selectorIjLb0EEEZNS1_14transform_implILb0ES3_S5_PjN6thrust23THRUST_200600_302600_NS6detail15normal_iteratorINS9_10device_ptrIjEEEENS0_8identityIjEEEE10hipError_tT2_T3_mT4_P12ihipStream_tbEUlT_E_NS1_11comp_targetILNS1_3genE5ELNS1_11target_archE942ELNS1_3gpuE9ELNS1_3repE0EEENS1_30default_config_static_selectorELNS0_4arch9wavefront6targetE1EEEvT1_
    .private_segment_fixed_size: 0
    .sgpr_count:     4
    .sgpr_spill_count: 0
    .symbol:         _ZN7rocprim17ROCPRIM_400000_NS6detail17trampoline_kernelINS0_14default_configENS1_25transform_config_selectorIjLb0EEEZNS1_14transform_implILb0ES3_S5_PjN6thrust23THRUST_200600_302600_NS6detail15normal_iteratorINS9_10device_ptrIjEEEENS0_8identityIjEEEE10hipError_tT2_T3_mT4_P12ihipStream_tbEUlT_E_NS1_11comp_targetILNS1_3genE5ELNS1_11target_archE942ELNS1_3gpuE9ELNS1_3repE0EEENS1_30default_config_static_selectorELNS0_4arch9wavefront6targetE1EEEvT1_.kd
    .uniform_work_group_size: 1
    .uses_dynamic_stack: false
    .vgpr_count:     0
    .vgpr_spill_count: 0
    .wavefront_size: 64
  - .agpr_count:     0
    .args:
      - .offset:         0
        .size:           40
        .value_kind:     by_value
      - .offset:         40
        .size:           4
        .value_kind:     hidden_block_count_x
      - .offset:         44
        .size:           4
        .value_kind:     hidden_block_count_y
      - .offset:         48
        .size:           4
        .value_kind:     hidden_block_count_z
      - .offset:         52
        .size:           2
        .value_kind:     hidden_group_size_x
      - .offset:         54
        .size:           2
        .value_kind:     hidden_group_size_y
      - .offset:         56
        .size:           2
        .value_kind:     hidden_group_size_z
      - .offset:         58
        .size:           2
        .value_kind:     hidden_remainder_x
      - .offset:         60
        .size:           2
        .value_kind:     hidden_remainder_y
      - .offset:         62
        .size:           2
        .value_kind:     hidden_remainder_z
      - .offset:         80
        .size:           8
        .value_kind:     hidden_global_offset_x
      - .offset:         88
        .size:           8
        .value_kind:     hidden_global_offset_y
      - .offset:         96
        .size:           8
        .value_kind:     hidden_global_offset_z
      - .offset:         104
        .size:           2
        .value_kind:     hidden_grid_dims
    .group_segment_fixed_size: 0
    .kernarg_segment_align: 8
    .kernarg_segment_size: 296
    .language:       OpenCL C
    .language_version:
      - 2
      - 0
    .max_flat_workgroup_size: 1024
    .name:           _ZN7rocprim17ROCPRIM_400000_NS6detail17trampoline_kernelINS0_14default_configENS1_25transform_config_selectorIjLb0EEEZNS1_14transform_implILb0ES3_S5_PjN6thrust23THRUST_200600_302600_NS6detail15normal_iteratorINS9_10device_ptrIjEEEENS0_8identityIjEEEE10hipError_tT2_T3_mT4_P12ihipStream_tbEUlT_E_NS1_11comp_targetILNS1_3genE4ELNS1_11target_archE910ELNS1_3gpuE8ELNS1_3repE0EEENS1_30default_config_static_selectorELNS0_4arch9wavefront6targetE1EEEvT1_
    .private_segment_fixed_size: 0
    .sgpr_count:     20
    .sgpr_spill_count: 0
    .symbol:         _ZN7rocprim17ROCPRIM_400000_NS6detail17trampoline_kernelINS0_14default_configENS1_25transform_config_selectorIjLb0EEEZNS1_14transform_implILb0ES3_S5_PjN6thrust23THRUST_200600_302600_NS6detail15normal_iteratorINS9_10device_ptrIjEEEENS0_8identityIjEEEE10hipError_tT2_T3_mT4_P12ihipStream_tbEUlT_E_NS1_11comp_targetILNS1_3genE4ELNS1_11target_archE910ELNS1_3gpuE8ELNS1_3repE0EEENS1_30default_config_static_selectorELNS0_4arch9wavefront6targetE1EEEvT1_.kd
    .uniform_work_group_size: 1
    .uses_dynamic_stack: false
    .vgpr_count:     7
    .vgpr_spill_count: 0
    .wavefront_size: 64
  - .agpr_count:     0
    .args:
      - .offset:         0
        .size:           40
        .value_kind:     by_value
    .group_segment_fixed_size: 0
    .kernarg_segment_align: 8
    .kernarg_segment_size: 40
    .language:       OpenCL C
    .language_version:
      - 2
      - 0
    .max_flat_workgroup_size: 128
    .name:           _ZN7rocprim17ROCPRIM_400000_NS6detail17trampoline_kernelINS0_14default_configENS1_25transform_config_selectorIjLb0EEEZNS1_14transform_implILb0ES3_S5_PjN6thrust23THRUST_200600_302600_NS6detail15normal_iteratorINS9_10device_ptrIjEEEENS0_8identityIjEEEE10hipError_tT2_T3_mT4_P12ihipStream_tbEUlT_E_NS1_11comp_targetILNS1_3genE3ELNS1_11target_archE908ELNS1_3gpuE7ELNS1_3repE0EEENS1_30default_config_static_selectorELNS0_4arch9wavefront6targetE1EEEvT1_
    .private_segment_fixed_size: 0
    .sgpr_count:     4
    .sgpr_spill_count: 0
    .symbol:         _ZN7rocprim17ROCPRIM_400000_NS6detail17trampoline_kernelINS0_14default_configENS1_25transform_config_selectorIjLb0EEEZNS1_14transform_implILb0ES3_S5_PjN6thrust23THRUST_200600_302600_NS6detail15normal_iteratorINS9_10device_ptrIjEEEENS0_8identityIjEEEE10hipError_tT2_T3_mT4_P12ihipStream_tbEUlT_E_NS1_11comp_targetILNS1_3genE3ELNS1_11target_archE908ELNS1_3gpuE7ELNS1_3repE0EEENS1_30default_config_static_selectorELNS0_4arch9wavefront6targetE1EEEvT1_.kd
    .uniform_work_group_size: 1
    .uses_dynamic_stack: false
    .vgpr_count:     0
    .vgpr_spill_count: 0
    .wavefront_size: 64
  - .agpr_count:     0
    .args:
      - .offset:         0
        .size:           40
        .value_kind:     by_value
    .group_segment_fixed_size: 0
    .kernarg_segment_align: 8
    .kernarg_segment_size: 40
    .language:       OpenCL C
    .language_version:
      - 2
      - 0
    .max_flat_workgroup_size: 1024
    .name:           _ZN7rocprim17ROCPRIM_400000_NS6detail17trampoline_kernelINS0_14default_configENS1_25transform_config_selectorIjLb0EEEZNS1_14transform_implILb0ES3_S5_PjN6thrust23THRUST_200600_302600_NS6detail15normal_iteratorINS9_10device_ptrIjEEEENS0_8identityIjEEEE10hipError_tT2_T3_mT4_P12ihipStream_tbEUlT_E_NS1_11comp_targetILNS1_3genE2ELNS1_11target_archE906ELNS1_3gpuE6ELNS1_3repE0EEENS1_30default_config_static_selectorELNS0_4arch9wavefront6targetE1EEEvT1_
    .private_segment_fixed_size: 0
    .sgpr_count:     4
    .sgpr_spill_count: 0
    .symbol:         _ZN7rocprim17ROCPRIM_400000_NS6detail17trampoline_kernelINS0_14default_configENS1_25transform_config_selectorIjLb0EEEZNS1_14transform_implILb0ES3_S5_PjN6thrust23THRUST_200600_302600_NS6detail15normal_iteratorINS9_10device_ptrIjEEEENS0_8identityIjEEEE10hipError_tT2_T3_mT4_P12ihipStream_tbEUlT_E_NS1_11comp_targetILNS1_3genE2ELNS1_11target_archE906ELNS1_3gpuE6ELNS1_3repE0EEENS1_30default_config_static_selectorELNS0_4arch9wavefront6targetE1EEEvT1_.kd
    .uniform_work_group_size: 1
    .uses_dynamic_stack: false
    .vgpr_count:     0
    .vgpr_spill_count: 0
    .wavefront_size: 64
  - .agpr_count:     0
    .args:
      - .offset:         0
        .size:           40
        .value_kind:     by_value
    .group_segment_fixed_size: 0
    .kernarg_segment_align: 8
    .kernarg_segment_size: 40
    .language:       OpenCL C
    .language_version:
      - 2
      - 0
    .max_flat_workgroup_size: 1024
    .name:           _ZN7rocprim17ROCPRIM_400000_NS6detail17trampoline_kernelINS0_14default_configENS1_25transform_config_selectorIjLb0EEEZNS1_14transform_implILb0ES3_S5_PjN6thrust23THRUST_200600_302600_NS6detail15normal_iteratorINS9_10device_ptrIjEEEENS0_8identityIjEEEE10hipError_tT2_T3_mT4_P12ihipStream_tbEUlT_E_NS1_11comp_targetILNS1_3genE10ELNS1_11target_archE1201ELNS1_3gpuE5ELNS1_3repE0EEENS1_30default_config_static_selectorELNS0_4arch9wavefront6targetE1EEEvT1_
    .private_segment_fixed_size: 0
    .sgpr_count:     4
    .sgpr_spill_count: 0
    .symbol:         _ZN7rocprim17ROCPRIM_400000_NS6detail17trampoline_kernelINS0_14default_configENS1_25transform_config_selectorIjLb0EEEZNS1_14transform_implILb0ES3_S5_PjN6thrust23THRUST_200600_302600_NS6detail15normal_iteratorINS9_10device_ptrIjEEEENS0_8identityIjEEEE10hipError_tT2_T3_mT4_P12ihipStream_tbEUlT_E_NS1_11comp_targetILNS1_3genE10ELNS1_11target_archE1201ELNS1_3gpuE5ELNS1_3repE0EEENS1_30default_config_static_selectorELNS0_4arch9wavefront6targetE1EEEvT1_.kd
    .uniform_work_group_size: 1
    .uses_dynamic_stack: false
    .vgpr_count:     0
    .vgpr_spill_count: 0
    .wavefront_size: 64
  - .agpr_count:     0
    .args:
      - .offset:         0
        .size:           40
        .value_kind:     by_value
    .group_segment_fixed_size: 0
    .kernarg_segment_align: 8
    .kernarg_segment_size: 40
    .language:       OpenCL C
    .language_version:
      - 2
      - 0
    .max_flat_workgroup_size: 512
    .name:           _ZN7rocprim17ROCPRIM_400000_NS6detail17trampoline_kernelINS0_14default_configENS1_25transform_config_selectorIjLb0EEEZNS1_14transform_implILb0ES3_S5_PjN6thrust23THRUST_200600_302600_NS6detail15normal_iteratorINS9_10device_ptrIjEEEENS0_8identityIjEEEE10hipError_tT2_T3_mT4_P12ihipStream_tbEUlT_E_NS1_11comp_targetILNS1_3genE10ELNS1_11target_archE1200ELNS1_3gpuE4ELNS1_3repE0EEENS1_30default_config_static_selectorELNS0_4arch9wavefront6targetE1EEEvT1_
    .private_segment_fixed_size: 0
    .sgpr_count:     4
    .sgpr_spill_count: 0
    .symbol:         _ZN7rocprim17ROCPRIM_400000_NS6detail17trampoline_kernelINS0_14default_configENS1_25transform_config_selectorIjLb0EEEZNS1_14transform_implILb0ES3_S5_PjN6thrust23THRUST_200600_302600_NS6detail15normal_iteratorINS9_10device_ptrIjEEEENS0_8identityIjEEEE10hipError_tT2_T3_mT4_P12ihipStream_tbEUlT_E_NS1_11comp_targetILNS1_3genE10ELNS1_11target_archE1200ELNS1_3gpuE4ELNS1_3repE0EEENS1_30default_config_static_selectorELNS0_4arch9wavefront6targetE1EEEvT1_.kd
    .uniform_work_group_size: 1
    .uses_dynamic_stack: false
    .vgpr_count:     0
    .vgpr_spill_count: 0
    .wavefront_size: 64
  - .agpr_count:     0
    .args:
      - .offset:         0
        .size:           40
        .value_kind:     by_value
    .group_segment_fixed_size: 0
    .kernarg_segment_align: 8
    .kernarg_segment_size: 40
    .language:       OpenCL C
    .language_version:
      - 2
      - 0
    .max_flat_workgroup_size: 64
    .name:           _ZN7rocprim17ROCPRIM_400000_NS6detail17trampoline_kernelINS0_14default_configENS1_25transform_config_selectorIjLb0EEEZNS1_14transform_implILb0ES3_S5_PjN6thrust23THRUST_200600_302600_NS6detail15normal_iteratorINS9_10device_ptrIjEEEENS0_8identityIjEEEE10hipError_tT2_T3_mT4_P12ihipStream_tbEUlT_E_NS1_11comp_targetILNS1_3genE9ELNS1_11target_archE1100ELNS1_3gpuE3ELNS1_3repE0EEENS1_30default_config_static_selectorELNS0_4arch9wavefront6targetE1EEEvT1_
    .private_segment_fixed_size: 0
    .sgpr_count:     4
    .sgpr_spill_count: 0
    .symbol:         _ZN7rocprim17ROCPRIM_400000_NS6detail17trampoline_kernelINS0_14default_configENS1_25transform_config_selectorIjLb0EEEZNS1_14transform_implILb0ES3_S5_PjN6thrust23THRUST_200600_302600_NS6detail15normal_iteratorINS9_10device_ptrIjEEEENS0_8identityIjEEEE10hipError_tT2_T3_mT4_P12ihipStream_tbEUlT_E_NS1_11comp_targetILNS1_3genE9ELNS1_11target_archE1100ELNS1_3gpuE3ELNS1_3repE0EEENS1_30default_config_static_selectorELNS0_4arch9wavefront6targetE1EEEvT1_.kd
    .uniform_work_group_size: 1
    .uses_dynamic_stack: false
    .vgpr_count:     0
    .vgpr_spill_count: 0
    .wavefront_size: 64
  - .agpr_count:     0
    .args:
      - .offset:         0
        .size:           40
        .value_kind:     by_value
    .group_segment_fixed_size: 0
    .kernarg_segment_align: 8
    .kernarg_segment_size: 40
    .language:       OpenCL C
    .language_version:
      - 2
      - 0
    .max_flat_workgroup_size: 256
    .name:           _ZN7rocprim17ROCPRIM_400000_NS6detail17trampoline_kernelINS0_14default_configENS1_25transform_config_selectorIjLb0EEEZNS1_14transform_implILb0ES3_S5_PjN6thrust23THRUST_200600_302600_NS6detail15normal_iteratorINS9_10device_ptrIjEEEENS0_8identityIjEEEE10hipError_tT2_T3_mT4_P12ihipStream_tbEUlT_E_NS1_11comp_targetILNS1_3genE8ELNS1_11target_archE1030ELNS1_3gpuE2ELNS1_3repE0EEENS1_30default_config_static_selectorELNS0_4arch9wavefront6targetE1EEEvT1_
    .private_segment_fixed_size: 0
    .sgpr_count:     4
    .sgpr_spill_count: 0
    .symbol:         _ZN7rocprim17ROCPRIM_400000_NS6detail17trampoline_kernelINS0_14default_configENS1_25transform_config_selectorIjLb0EEEZNS1_14transform_implILb0ES3_S5_PjN6thrust23THRUST_200600_302600_NS6detail15normal_iteratorINS9_10device_ptrIjEEEENS0_8identityIjEEEE10hipError_tT2_T3_mT4_P12ihipStream_tbEUlT_E_NS1_11comp_targetILNS1_3genE8ELNS1_11target_archE1030ELNS1_3gpuE2ELNS1_3repE0EEENS1_30default_config_static_selectorELNS0_4arch9wavefront6targetE1EEEvT1_.kd
    .uniform_work_group_size: 1
    .uses_dynamic_stack: false
    .vgpr_count:     0
    .vgpr_spill_count: 0
    .wavefront_size: 64
  - .agpr_count:     0
    .args:           []
    .group_segment_fixed_size: 0
    .kernarg_segment_align: 4
    .kernarg_segment_size: 0
    .language:       OpenCL C
    .language_version:
      - 2
      - 0
    .max_flat_workgroup_size: 1024
    .name:           _ZN7rocprim17ROCPRIM_400000_NS6detail44device_merge_sort_compile_time_verifier_archINS1_11comp_targetILNS1_3genE0ELNS1_11target_archE4294967295ELNS1_3gpuE0ELNS1_3repE0EEES8_NS0_14default_configES9_NS1_37merge_sort_block_sort_config_selectorIlNS0_10empty_typeEEENS1_38merge_sort_block_merge_config_selectorIlSB_EEEEvv
    .private_segment_fixed_size: 0
    .sgpr_count:     4
    .sgpr_spill_count: 0
    .symbol:         _ZN7rocprim17ROCPRIM_400000_NS6detail44device_merge_sort_compile_time_verifier_archINS1_11comp_targetILNS1_3genE0ELNS1_11target_archE4294967295ELNS1_3gpuE0ELNS1_3repE0EEES8_NS0_14default_configES9_NS1_37merge_sort_block_sort_config_selectorIlNS0_10empty_typeEEENS1_38merge_sort_block_merge_config_selectorIlSB_EEEEvv.kd
    .uniform_work_group_size: 1
    .uses_dynamic_stack: false
    .vgpr_count:     0
    .vgpr_spill_count: 0
    .wavefront_size: 64
  - .agpr_count:     0
    .args:           []
    .group_segment_fixed_size: 0
    .kernarg_segment_align: 4
    .kernarg_segment_size: 0
    .language:       OpenCL C
    .language_version:
      - 2
      - 0
    .max_flat_workgroup_size: 1024
    .name:           _ZN7rocprim17ROCPRIM_400000_NS6detail44device_merge_sort_compile_time_verifier_archINS1_11comp_targetILNS1_3genE5ELNS1_11target_archE942ELNS1_3gpuE9ELNS1_3repE0EEES8_NS0_14default_configES9_NS1_37merge_sort_block_sort_config_selectorIlNS0_10empty_typeEEENS1_38merge_sort_block_merge_config_selectorIlSB_EEEEvv
    .private_segment_fixed_size: 0
    .sgpr_count:     4
    .sgpr_spill_count: 0
    .symbol:         _ZN7rocprim17ROCPRIM_400000_NS6detail44device_merge_sort_compile_time_verifier_archINS1_11comp_targetILNS1_3genE5ELNS1_11target_archE942ELNS1_3gpuE9ELNS1_3repE0EEES8_NS0_14default_configES9_NS1_37merge_sort_block_sort_config_selectorIlNS0_10empty_typeEEENS1_38merge_sort_block_merge_config_selectorIlSB_EEEEvv.kd
    .uniform_work_group_size: 1
    .uses_dynamic_stack: false
    .vgpr_count:     0
    .vgpr_spill_count: 0
    .wavefront_size: 64
  - .agpr_count:     0
    .args:           []
    .group_segment_fixed_size: 0
    .kernarg_segment_align: 4
    .kernarg_segment_size: 0
    .language:       OpenCL C
    .language_version:
      - 2
      - 0
    .max_flat_workgroup_size: 1024
    .name:           _ZN7rocprim17ROCPRIM_400000_NS6detail44device_merge_sort_compile_time_verifier_archINS1_11comp_targetILNS1_3genE4ELNS1_11target_archE910ELNS1_3gpuE8ELNS1_3repE0EEES8_NS0_14default_configES9_NS1_37merge_sort_block_sort_config_selectorIlNS0_10empty_typeEEENS1_38merge_sort_block_merge_config_selectorIlSB_EEEEvv
    .private_segment_fixed_size: 0
    .sgpr_count:     4
    .sgpr_spill_count: 0
    .symbol:         _ZN7rocprim17ROCPRIM_400000_NS6detail44device_merge_sort_compile_time_verifier_archINS1_11comp_targetILNS1_3genE4ELNS1_11target_archE910ELNS1_3gpuE8ELNS1_3repE0EEES8_NS0_14default_configES9_NS1_37merge_sort_block_sort_config_selectorIlNS0_10empty_typeEEENS1_38merge_sort_block_merge_config_selectorIlSB_EEEEvv.kd
    .uniform_work_group_size: 1
    .uses_dynamic_stack: false
    .vgpr_count:     0
    .vgpr_spill_count: 0
    .wavefront_size: 64
  - .agpr_count:     0
    .args:           []
    .group_segment_fixed_size: 0
    .kernarg_segment_align: 4
    .kernarg_segment_size: 0
    .language:       OpenCL C
    .language_version:
      - 2
      - 0
    .max_flat_workgroup_size: 1024
    .name:           _ZN7rocprim17ROCPRIM_400000_NS6detail44device_merge_sort_compile_time_verifier_archINS1_11comp_targetILNS1_3genE3ELNS1_11target_archE908ELNS1_3gpuE7ELNS1_3repE0EEES8_NS0_14default_configES9_NS1_37merge_sort_block_sort_config_selectorIlNS0_10empty_typeEEENS1_38merge_sort_block_merge_config_selectorIlSB_EEEEvv
    .private_segment_fixed_size: 0
    .sgpr_count:     4
    .sgpr_spill_count: 0
    .symbol:         _ZN7rocprim17ROCPRIM_400000_NS6detail44device_merge_sort_compile_time_verifier_archINS1_11comp_targetILNS1_3genE3ELNS1_11target_archE908ELNS1_3gpuE7ELNS1_3repE0EEES8_NS0_14default_configES9_NS1_37merge_sort_block_sort_config_selectorIlNS0_10empty_typeEEENS1_38merge_sort_block_merge_config_selectorIlSB_EEEEvv.kd
    .uniform_work_group_size: 1
    .uses_dynamic_stack: false
    .vgpr_count:     0
    .vgpr_spill_count: 0
    .wavefront_size: 64
  - .agpr_count:     0
    .args:           []
    .group_segment_fixed_size: 0
    .kernarg_segment_align: 4
    .kernarg_segment_size: 0
    .language:       OpenCL C
    .language_version:
      - 2
      - 0
    .max_flat_workgroup_size: 1024
    .name:           _ZN7rocprim17ROCPRIM_400000_NS6detail44device_merge_sort_compile_time_verifier_archINS1_11comp_targetILNS1_3genE2ELNS1_11target_archE906ELNS1_3gpuE6ELNS1_3repE0EEES8_NS0_14default_configES9_NS1_37merge_sort_block_sort_config_selectorIlNS0_10empty_typeEEENS1_38merge_sort_block_merge_config_selectorIlSB_EEEEvv
    .private_segment_fixed_size: 0
    .sgpr_count:     4
    .sgpr_spill_count: 0
    .symbol:         _ZN7rocprim17ROCPRIM_400000_NS6detail44device_merge_sort_compile_time_verifier_archINS1_11comp_targetILNS1_3genE2ELNS1_11target_archE906ELNS1_3gpuE6ELNS1_3repE0EEES8_NS0_14default_configES9_NS1_37merge_sort_block_sort_config_selectorIlNS0_10empty_typeEEENS1_38merge_sort_block_merge_config_selectorIlSB_EEEEvv.kd
    .uniform_work_group_size: 1
    .uses_dynamic_stack: false
    .vgpr_count:     0
    .vgpr_spill_count: 0
    .wavefront_size: 64
  - .agpr_count:     0
    .args:           []
    .group_segment_fixed_size: 0
    .kernarg_segment_align: 4
    .kernarg_segment_size: 0
    .language:       OpenCL C
    .language_version:
      - 2
      - 0
    .max_flat_workgroup_size: 1024
    .name:           _ZN7rocprim17ROCPRIM_400000_NS6detail44device_merge_sort_compile_time_verifier_archINS1_11comp_targetILNS1_3genE10ELNS1_11target_archE1201ELNS1_3gpuE5ELNS1_3repE0EEES8_NS0_14default_configES9_NS1_37merge_sort_block_sort_config_selectorIlNS0_10empty_typeEEENS1_38merge_sort_block_merge_config_selectorIlSB_EEEEvv
    .private_segment_fixed_size: 0
    .sgpr_count:     4
    .sgpr_spill_count: 0
    .symbol:         _ZN7rocprim17ROCPRIM_400000_NS6detail44device_merge_sort_compile_time_verifier_archINS1_11comp_targetILNS1_3genE10ELNS1_11target_archE1201ELNS1_3gpuE5ELNS1_3repE0EEES8_NS0_14default_configES9_NS1_37merge_sort_block_sort_config_selectorIlNS0_10empty_typeEEENS1_38merge_sort_block_merge_config_selectorIlSB_EEEEvv.kd
    .uniform_work_group_size: 1
    .uses_dynamic_stack: false
    .vgpr_count:     0
    .vgpr_spill_count: 0
    .wavefront_size: 64
  - .agpr_count:     0
    .args:           []
    .group_segment_fixed_size: 0
    .kernarg_segment_align: 4
    .kernarg_segment_size: 0
    .language:       OpenCL C
    .language_version:
      - 2
      - 0
    .max_flat_workgroup_size: 1024
    .name:           _ZN7rocprim17ROCPRIM_400000_NS6detail44device_merge_sort_compile_time_verifier_archINS1_11comp_targetILNS1_3genE10ELNS1_11target_archE1200ELNS1_3gpuE4ELNS1_3repE0EEENS3_ILS4_10ELS5_1201ELS6_5ELS7_0EEENS0_14default_configESA_NS1_37merge_sort_block_sort_config_selectorIlNS0_10empty_typeEEENS1_38merge_sort_block_merge_config_selectorIlSC_EEEEvv
    .private_segment_fixed_size: 0
    .sgpr_count:     4
    .sgpr_spill_count: 0
    .symbol:         _ZN7rocprim17ROCPRIM_400000_NS6detail44device_merge_sort_compile_time_verifier_archINS1_11comp_targetILNS1_3genE10ELNS1_11target_archE1200ELNS1_3gpuE4ELNS1_3repE0EEENS3_ILS4_10ELS5_1201ELS6_5ELS7_0EEENS0_14default_configESA_NS1_37merge_sort_block_sort_config_selectorIlNS0_10empty_typeEEENS1_38merge_sort_block_merge_config_selectorIlSC_EEEEvv.kd
    .uniform_work_group_size: 1
    .uses_dynamic_stack: false
    .vgpr_count:     0
    .vgpr_spill_count: 0
    .wavefront_size: 64
  - .agpr_count:     0
    .args:           []
    .group_segment_fixed_size: 0
    .kernarg_segment_align: 4
    .kernarg_segment_size: 0
    .language:       OpenCL C
    .language_version:
      - 2
      - 0
    .max_flat_workgroup_size: 1024
    .name:           _ZN7rocprim17ROCPRIM_400000_NS6detail44device_merge_sort_compile_time_verifier_archINS1_11comp_targetILNS1_3genE9ELNS1_11target_archE1100ELNS1_3gpuE3ELNS1_3repE0EEES8_NS0_14default_configES9_NS1_37merge_sort_block_sort_config_selectorIlNS0_10empty_typeEEENS1_38merge_sort_block_merge_config_selectorIlSB_EEEEvv
    .private_segment_fixed_size: 0
    .sgpr_count:     4
    .sgpr_spill_count: 0
    .symbol:         _ZN7rocprim17ROCPRIM_400000_NS6detail44device_merge_sort_compile_time_verifier_archINS1_11comp_targetILNS1_3genE9ELNS1_11target_archE1100ELNS1_3gpuE3ELNS1_3repE0EEES8_NS0_14default_configES9_NS1_37merge_sort_block_sort_config_selectorIlNS0_10empty_typeEEENS1_38merge_sort_block_merge_config_selectorIlSB_EEEEvv.kd
    .uniform_work_group_size: 1
    .uses_dynamic_stack: false
    .vgpr_count:     0
    .vgpr_spill_count: 0
    .wavefront_size: 64
  - .agpr_count:     0
    .args:           []
    .group_segment_fixed_size: 0
    .kernarg_segment_align: 4
    .kernarg_segment_size: 0
    .language:       OpenCL C
    .language_version:
      - 2
      - 0
    .max_flat_workgroup_size: 1024
    .name:           _ZN7rocprim17ROCPRIM_400000_NS6detail44device_merge_sort_compile_time_verifier_archINS1_11comp_targetILNS1_3genE8ELNS1_11target_archE1030ELNS1_3gpuE2ELNS1_3repE0EEES8_NS0_14default_configES9_NS1_37merge_sort_block_sort_config_selectorIlNS0_10empty_typeEEENS1_38merge_sort_block_merge_config_selectorIlSB_EEEEvv
    .private_segment_fixed_size: 0
    .sgpr_count:     4
    .sgpr_spill_count: 0
    .symbol:         _ZN7rocprim17ROCPRIM_400000_NS6detail44device_merge_sort_compile_time_verifier_archINS1_11comp_targetILNS1_3genE8ELNS1_11target_archE1030ELNS1_3gpuE2ELNS1_3repE0EEES8_NS0_14default_configES9_NS1_37merge_sort_block_sort_config_selectorIlNS0_10empty_typeEEENS1_38merge_sort_block_merge_config_selectorIlSB_EEEEvv.kd
    .uniform_work_group_size: 1
    .uses_dynamic_stack: false
    .vgpr_count:     0
    .vgpr_spill_count: 0
    .wavefront_size: 64
  - .agpr_count:     0
    .args:
      - .offset:         0
        .size:           64
        .value_kind:     by_value
    .group_segment_fixed_size: 0
    .kernarg_segment_align: 8
    .kernarg_segment_size: 64
    .language:       OpenCL C
    .language_version:
      - 2
      - 0
    .max_flat_workgroup_size: 256
    .name:           _ZN7rocprim17ROCPRIM_400000_NS6detail17trampoline_kernelINS0_14default_configENS1_37merge_sort_block_sort_config_selectorIlNS0_10empty_typeEEEZNS1_21merge_sort_block_sortIS3_N6thrust23THRUST_200600_302600_NS6detail15normal_iteratorINS9_10device_ptrIlEEEESE_PS5_SF_14custom_greaterIlEEE10hipError_tT0_T1_T2_T3_mRjT4_P12ihipStream_tbNS1_7vsmem_tEEUlT_E_NS1_11comp_targetILNS1_3genE0ELNS1_11target_archE4294967295ELNS1_3gpuE0ELNS1_3repE0EEENS1_30default_config_static_selectorELNS0_4arch9wavefront6targetE1EEEvSK_
    .private_segment_fixed_size: 0
    .sgpr_count:     4
    .sgpr_spill_count: 0
    .symbol:         _ZN7rocprim17ROCPRIM_400000_NS6detail17trampoline_kernelINS0_14default_configENS1_37merge_sort_block_sort_config_selectorIlNS0_10empty_typeEEEZNS1_21merge_sort_block_sortIS3_N6thrust23THRUST_200600_302600_NS6detail15normal_iteratorINS9_10device_ptrIlEEEESE_PS5_SF_14custom_greaterIlEEE10hipError_tT0_T1_T2_T3_mRjT4_P12ihipStream_tbNS1_7vsmem_tEEUlT_E_NS1_11comp_targetILNS1_3genE0ELNS1_11target_archE4294967295ELNS1_3gpuE0ELNS1_3repE0EEENS1_30default_config_static_selectorELNS0_4arch9wavefront6targetE1EEEvSK_.kd
    .uniform_work_group_size: 1
    .uses_dynamic_stack: false
    .vgpr_count:     0
    .vgpr_spill_count: 0
    .wavefront_size: 64
  - .agpr_count:     0
    .args:
      - .offset:         0
        .size:           64
        .value_kind:     by_value
    .group_segment_fixed_size: 0
    .kernarg_segment_align: 8
    .kernarg_segment_size: 64
    .language:       OpenCL C
    .language_version:
      - 2
      - 0
    .max_flat_workgroup_size: 256
    .name:           _ZN7rocprim17ROCPRIM_400000_NS6detail17trampoline_kernelINS0_14default_configENS1_37merge_sort_block_sort_config_selectorIlNS0_10empty_typeEEEZNS1_21merge_sort_block_sortIS3_N6thrust23THRUST_200600_302600_NS6detail15normal_iteratorINS9_10device_ptrIlEEEESE_PS5_SF_14custom_greaterIlEEE10hipError_tT0_T1_T2_T3_mRjT4_P12ihipStream_tbNS1_7vsmem_tEEUlT_E_NS1_11comp_targetILNS1_3genE5ELNS1_11target_archE942ELNS1_3gpuE9ELNS1_3repE0EEENS1_30default_config_static_selectorELNS0_4arch9wavefront6targetE1EEEvSK_
    .private_segment_fixed_size: 0
    .sgpr_count:     4
    .sgpr_spill_count: 0
    .symbol:         _ZN7rocprim17ROCPRIM_400000_NS6detail17trampoline_kernelINS0_14default_configENS1_37merge_sort_block_sort_config_selectorIlNS0_10empty_typeEEEZNS1_21merge_sort_block_sortIS3_N6thrust23THRUST_200600_302600_NS6detail15normal_iteratorINS9_10device_ptrIlEEEESE_PS5_SF_14custom_greaterIlEEE10hipError_tT0_T1_T2_T3_mRjT4_P12ihipStream_tbNS1_7vsmem_tEEUlT_E_NS1_11comp_targetILNS1_3genE5ELNS1_11target_archE942ELNS1_3gpuE9ELNS1_3repE0EEENS1_30default_config_static_selectorELNS0_4arch9wavefront6targetE1EEEvSK_.kd
    .uniform_work_group_size: 1
    .uses_dynamic_stack: false
    .vgpr_count:     0
    .vgpr_spill_count: 0
    .wavefront_size: 64
  - .agpr_count:     0
    .args:
      - .offset:         0
        .size:           64
        .value_kind:     by_value
      - .offset:         64
        .size:           4
        .value_kind:     hidden_block_count_x
      - .offset:         68
        .size:           4
        .value_kind:     hidden_block_count_y
      - .offset:         72
        .size:           4
        .value_kind:     hidden_block_count_z
      - .offset:         76
        .size:           2
        .value_kind:     hidden_group_size_x
      - .offset:         78
        .size:           2
        .value_kind:     hidden_group_size_y
      - .offset:         80
        .size:           2
        .value_kind:     hidden_group_size_z
      - .offset:         82
        .size:           2
        .value_kind:     hidden_remainder_x
      - .offset:         84
        .size:           2
        .value_kind:     hidden_remainder_y
      - .offset:         86
        .size:           2
        .value_kind:     hidden_remainder_z
      - .offset:         104
        .size:           8
        .value_kind:     hidden_global_offset_x
      - .offset:         112
        .size:           8
        .value_kind:     hidden_global_offset_y
      - .offset:         120
        .size:           8
        .value_kind:     hidden_global_offset_z
      - .offset:         128
        .size:           2
        .value_kind:     hidden_grid_dims
    .group_segment_fixed_size: 8448
    .kernarg_segment_align: 8
    .kernarg_segment_size: 320
    .language:       OpenCL C
    .language_version:
      - 2
      - 0
    .max_flat_workgroup_size: 256
    .name:           _ZN7rocprim17ROCPRIM_400000_NS6detail17trampoline_kernelINS0_14default_configENS1_37merge_sort_block_sort_config_selectorIlNS0_10empty_typeEEEZNS1_21merge_sort_block_sortIS3_N6thrust23THRUST_200600_302600_NS6detail15normal_iteratorINS9_10device_ptrIlEEEESE_PS5_SF_14custom_greaterIlEEE10hipError_tT0_T1_T2_T3_mRjT4_P12ihipStream_tbNS1_7vsmem_tEEUlT_E_NS1_11comp_targetILNS1_3genE4ELNS1_11target_archE910ELNS1_3gpuE8ELNS1_3repE0EEENS1_30default_config_static_selectorELNS0_4arch9wavefront6targetE1EEEvSK_
    .private_segment_fixed_size: 0
    .sgpr_count:     25
    .sgpr_spill_count: 0
    .symbol:         _ZN7rocprim17ROCPRIM_400000_NS6detail17trampoline_kernelINS0_14default_configENS1_37merge_sort_block_sort_config_selectorIlNS0_10empty_typeEEEZNS1_21merge_sort_block_sortIS3_N6thrust23THRUST_200600_302600_NS6detail15normal_iteratorINS9_10device_ptrIlEEEESE_PS5_SF_14custom_greaterIlEEE10hipError_tT0_T1_T2_T3_mRjT4_P12ihipStream_tbNS1_7vsmem_tEEUlT_E_NS1_11comp_targetILNS1_3genE4ELNS1_11target_archE910ELNS1_3gpuE8ELNS1_3repE0EEENS1_30default_config_static_selectorELNS0_4arch9wavefront6targetE1EEEvSK_.kd
    .uniform_work_group_size: 1
    .uses_dynamic_stack: false
    .vgpr_count:     39
    .vgpr_spill_count: 0
    .wavefront_size: 64
  - .agpr_count:     0
    .args:
      - .offset:         0
        .size:           64
        .value_kind:     by_value
    .group_segment_fixed_size: 0
    .kernarg_segment_align: 8
    .kernarg_segment_size: 64
    .language:       OpenCL C
    .language_version:
      - 2
      - 0
    .max_flat_workgroup_size: 256
    .name:           _ZN7rocprim17ROCPRIM_400000_NS6detail17trampoline_kernelINS0_14default_configENS1_37merge_sort_block_sort_config_selectorIlNS0_10empty_typeEEEZNS1_21merge_sort_block_sortIS3_N6thrust23THRUST_200600_302600_NS6detail15normal_iteratorINS9_10device_ptrIlEEEESE_PS5_SF_14custom_greaterIlEEE10hipError_tT0_T1_T2_T3_mRjT4_P12ihipStream_tbNS1_7vsmem_tEEUlT_E_NS1_11comp_targetILNS1_3genE3ELNS1_11target_archE908ELNS1_3gpuE7ELNS1_3repE0EEENS1_30default_config_static_selectorELNS0_4arch9wavefront6targetE1EEEvSK_
    .private_segment_fixed_size: 0
    .sgpr_count:     4
    .sgpr_spill_count: 0
    .symbol:         _ZN7rocprim17ROCPRIM_400000_NS6detail17trampoline_kernelINS0_14default_configENS1_37merge_sort_block_sort_config_selectorIlNS0_10empty_typeEEEZNS1_21merge_sort_block_sortIS3_N6thrust23THRUST_200600_302600_NS6detail15normal_iteratorINS9_10device_ptrIlEEEESE_PS5_SF_14custom_greaterIlEEE10hipError_tT0_T1_T2_T3_mRjT4_P12ihipStream_tbNS1_7vsmem_tEEUlT_E_NS1_11comp_targetILNS1_3genE3ELNS1_11target_archE908ELNS1_3gpuE7ELNS1_3repE0EEENS1_30default_config_static_selectorELNS0_4arch9wavefront6targetE1EEEvSK_.kd
    .uniform_work_group_size: 1
    .uses_dynamic_stack: false
    .vgpr_count:     0
    .vgpr_spill_count: 0
    .wavefront_size: 64
  - .agpr_count:     0
    .args:
      - .offset:         0
        .size:           64
        .value_kind:     by_value
    .group_segment_fixed_size: 0
    .kernarg_segment_align: 8
    .kernarg_segment_size: 64
    .language:       OpenCL C
    .language_version:
      - 2
      - 0
    .max_flat_workgroup_size: 256
    .name:           _ZN7rocprim17ROCPRIM_400000_NS6detail17trampoline_kernelINS0_14default_configENS1_37merge_sort_block_sort_config_selectorIlNS0_10empty_typeEEEZNS1_21merge_sort_block_sortIS3_N6thrust23THRUST_200600_302600_NS6detail15normal_iteratorINS9_10device_ptrIlEEEESE_PS5_SF_14custom_greaterIlEEE10hipError_tT0_T1_T2_T3_mRjT4_P12ihipStream_tbNS1_7vsmem_tEEUlT_E_NS1_11comp_targetILNS1_3genE2ELNS1_11target_archE906ELNS1_3gpuE6ELNS1_3repE0EEENS1_30default_config_static_selectorELNS0_4arch9wavefront6targetE1EEEvSK_
    .private_segment_fixed_size: 0
    .sgpr_count:     4
    .sgpr_spill_count: 0
    .symbol:         _ZN7rocprim17ROCPRIM_400000_NS6detail17trampoline_kernelINS0_14default_configENS1_37merge_sort_block_sort_config_selectorIlNS0_10empty_typeEEEZNS1_21merge_sort_block_sortIS3_N6thrust23THRUST_200600_302600_NS6detail15normal_iteratorINS9_10device_ptrIlEEEESE_PS5_SF_14custom_greaterIlEEE10hipError_tT0_T1_T2_T3_mRjT4_P12ihipStream_tbNS1_7vsmem_tEEUlT_E_NS1_11comp_targetILNS1_3genE2ELNS1_11target_archE906ELNS1_3gpuE6ELNS1_3repE0EEENS1_30default_config_static_selectorELNS0_4arch9wavefront6targetE1EEEvSK_.kd
    .uniform_work_group_size: 1
    .uses_dynamic_stack: false
    .vgpr_count:     0
    .vgpr_spill_count: 0
    .wavefront_size: 64
  - .agpr_count:     0
    .args:
      - .offset:         0
        .size:           64
        .value_kind:     by_value
    .group_segment_fixed_size: 0
    .kernarg_segment_align: 8
    .kernarg_segment_size: 64
    .language:       OpenCL C
    .language_version:
      - 2
      - 0
    .max_flat_workgroup_size: 256
    .name:           _ZN7rocprim17ROCPRIM_400000_NS6detail17trampoline_kernelINS0_14default_configENS1_37merge_sort_block_sort_config_selectorIlNS0_10empty_typeEEEZNS1_21merge_sort_block_sortIS3_N6thrust23THRUST_200600_302600_NS6detail15normal_iteratorINS9_10device_ptrIlEEEESE_PS5_SF_14custom_greaterIlEEE10hipError_tT0_T1_T2_T3_mRjT4_P12ihipStream_tbNS1_7vsmem_tEEUlT_E_NS1_11comp_targetILNS1_3genE10ELNS1_11target_archE1201ELNS1_3gpuE5ELNS1_3repE0EEENS1_30default_config_static_selectorELNS0_4arch9wavefront6targetE1EEEvSK_
    .private_segment_fixed_size: 0
    .sgpr_count:     4
    .sgpr_spill_count: 0
    .symbol:         _ZN7rocprim17ROCPRIM_400000_NS6detail17trampoline_kernelINS0_14default_configENS1_37merge_sort_block_sort_config_selectorIlNS0_10empty_typeEEEZNS1_21merge_sort_block_sortIS3_N6thrust23THRUST_200600_302600_NS6detail15normal_iteratorINS9_10device_ptrIlEEEESE_PS5_SF_14custom_greaterIlEEE10hipError_tT0_T1_T2_T3_mRjT4_P12ihipStream_tbNS1_7vsmem_tEEUlT_E_NS1_11comp_targetILNS1_3genE10ELNS1_11target_archE1201ELNS1_3gpuE5ELNS1_3repE0EEENS1_30default_config_static_selectorELNS0_4arch9wavefront6targetE1EEEvSK_.kd
    .uniform_work_group_size: 1
    .uses_dynamic_stack: false
    .vgpr_count:     0
    .vgpr_spill_count: 0
    .wavefront_size: 64
  - .agpr_count:     0
    .args:
      - .offset:         0
        .size:           64
        .value_kind:     by_value
    .group_segment_fixed_size: 0
    .kernarg_segment_align: 8
    .kernarg_segment_size: 64
    .language:       OpenCL C
    .language_version:
      - 2
      - 0
    .max_flat_workgroup_size: 512
    .name:           _ZN7rocprim17ROCPRIM_400000_NS6detail17trampoline_kernelINS0_14default_configENS1_37merge_sort_block_sort_config_selectorIlNS0_10empty_typeEEEZNS1_21merge_sort_block_sortIS3_N6thrust23THRUST_200600_302600_NS6detail15normal_iteratorINS9_10device_ptrIlEEEESE_PS5_SF_14custom_greaterIlEEE10hipError_tT0_T1_T2_T3_mRjT4_P12ihipStream_tbNS1_7vsmem_tEEUlT_E_NS1_11comp_targetILNS1_3genE10ELNS1_11target_archE1200ELNS1_3gpuE4ELNS1_3repE0EEENS1_30default_config_static_selectorELNS0_4arch9wavefront6targetE1EEEvSK_
    .private_segment_fixed_size: 0
    .sgpr_count:     4
    .sgpr_spill_count: 0
    .symbol:         _ZN7rocprim17ROCPRIM_400000_NS6detail17trampoline_kernelINS0_14default_configENS1_37merge_sort_block_sort_config_selectorIlNS0_10empty_typeEEEZNS1_21merge_sort_block_sortIS3_N6thrust23THRUST_200600_302600_NS6detail15normal_iteratorINS9_10device_ptrIlEEEESE_PS5_SF_14custom_greaterIlEEE10hipError_tT0_T1_T2_T3_mRjT4_P12ihipStream_tbNS1_7vsmem_tEEUlT_E_NS1_11comp_targetILNS1_3genE10ELNS1_11target_archE1200ELNS1_3gpuE4ELNS1_3repE0EEENS1_30default_config_static_selectorELNS0_4arch9wavefront6targetE1EEEvSK_.kd
    .uniform_work_group_size: 1
    .uses_dynamic_stack: false
    .vgpr_count:     0
    .vgpr_spill_count: 0
    .wavefront_size: 64
  - .agpr_count:     0
    .args:
      - .offset:         0
        .size:           64
        .value_kind:     by_value
    .group_segment_fixed_size: 0
    .kernarg_segment_align: 8
    .kernarg_segment_size: 64
    .language:       OpenCL C
    .language_version:
      - 2
      - 0
    .max_flat_workgroup_size: 256
    .name:           _ZN7rocprim17ROCPRIM_400000_NS6detail17trampoline_kernelINS0_14default_configENS1_37merge_sort_block_sort_config_selectorIlNS0_10empty_typeEEEZNS1_21merge_sort_block_sortIS3_N6thrust23THRUST_200600_302600_NS6detail15normal_iteratorINS9_10device_ptrIlEEEESE_PS5_SF_14custom_greaterIlEEE10hipError_tT0_T1_T2_T3_mRjT4_P12ihipStream_tbNS1_7vsmem_tEEUlT_E_NS1_11comp_targetILNS1_3genE9ELNS1_11target_archE1100ELNS1_3gpuE3ELNS1_3repE0EEENS1_30default_config_static_selectorELNS0_4arch9wavefront6targetE1EEEvSK_
    .private_segment_fixed_size: 0
    .sgpr_count:     4
    .sgpr_spill_count: 0
    .symbol:         _ZN7rocprim17ROCPRIM_400000_NS6detail17trampoline_kernelINS0_14default_configENS1_37merge_sort_block_sort_config_selectorIlNS0_10empty_typeEEEZNS1_21merge_sort_block_sortIS3_N6thrust23THRUST_200600_302600_NS6detail15normal_iteratorINS9_10device_ptrIlEEEESE_PS5_SF_14custom_greaterIlEEE10hipError_tT0_T1_T2_T3_mRjT4_P12ihipStream_tbNS1_7vsmem_tEEUlT_E_NS1_11comp_targetILNS1_3genE9ELNS1_11target_archE1100ELNS1_3gpuE3ELNS1_3repE0EEENS1_30default_config_static_selectorELNS0_4arch9wavefront6targetE1EEEvSK_.kd
    .uniform_work_group_size: 1
    .uses_dynamic_stack: false
    .vgpr_count:     0
    .vgpr_spill_count: 0
    .wavefront_size: 64
  - .agpr_count:     0
    .args:
      - .offset:         0
        .size:           64
        .value_kind:     by_value
    .group_segment_fixed_size: 0
    .kernarg_segment_align: 8
    .kernarg_segment_size: 64
    .language:       OpenCL C
    .language_version:
      - 2
      - 0
    .max_flat_workgroup_size: 256
    .name:           _ZN7rocprim17ROCPRIM_400000_NS6detail17trampoline_kernelINS0_14default_configENS1_37merge_sort_block_sort_config_selectorIlNS0_10empty_typeEEEZNS1_21merge_sort_block_sortIS3_N6thrust23THRUST_200600_302600_NS6detail15normal_iteratorINS9_10device_ptrIlEEEESE_PS5_SF_14custom_greaterIlEEE10hipError_tT0_T1_T2_T3_mRjT4_P12ihipStream_tbNS1_7vsmem_tEEUlT_E_NS1_11comp_targetILNS1_3genE8ELNS1_11target_archE1030ELNS1_3gpuE2ELNS1_3repE0EEENS1_30default_config_static_selectorELNS0_4arch9wavefront6targetE1EEEvSK_
    .private_segment_fixed_size: 0
    .sgpr_count:     4
    .sgpr_spill_count: 0
    .symbol:         _ZN7rocprim17ROCPRIM_400000_NS6detail17trampoline_kernelINS0_14default_configENS1_37merge_sort_block_sort_config_selectorIlNS0_10empty_typeEEEZNS1_21merge_sort_block_sortIS3_N6thrust23THRUST_200600_302600_NS6detail15normal_iteratorINS9_10device_ptrIlEEEESE_PS5_SF_14custom_greaterIlEEE10hipError_tT0_T1_T2_T3_mRjT4_P12ihipStream_tbNS1_7vsmem_tEEUlT_E_NS1_11comp_targetILNS1_3genE8ELNS1_11target_archE1030ELNS1_3gpuE2ELNS1_3repE0EEENS1_30default_config_static_selectorELNS0_4arch9wavefront6targetE1EEEvSK_.kd
    .uniform_work_group_size: 1
    .uses_dynamic_stack: false
    .vgpr_count:     0
    .vgpr_spill_count: 0
    .wavefront_size: 64
  - .agpr_count:     0
    .args:
      - .offset:         0
        .size:           48
        .value_kind:     by_value
    .group_segment_fixed_size: 0
    .kernarg_segment_align: 8
    .kernarg_segment_size: 48
    .language:       OpenCL C
    .language_version:
      - 2
      - 0
    .max_flat_workgroup_size: 128
    .name:           _ZN7rocprim17ROCPRIM_400000_NS6detail17trampoline_kernelINS0_14default_configENS1_38merge_sort_block_merge_config_selectorIlNS0_10empty_typeEEEZZNS1_27merge_sort_block_merge_implIS3_N6thrust23THRUST_200600_302600_NS6detail15normal_iteratorINS9_10device_ptrIlEEEEPS5_m14custom_greaterIlEEE10hipError_tT0_T1_T2_jT3_P12ihipStream_tbPNSt15iterator_traitsISJ_E10value_typeEPNSP_ISK_E10value_typeEPSL_NS1_7vsmem_tEENKUlT_SJ_SK_SL_E_clIPlSE_SF_SF_EESI_SY_SJ_SK_SL_EUlSY_E_NS1_11comp_targetILNS1_3genE0ELNS1_11target_archE4294967295ELNS1_3gpuE0ELNS1_3repE0EEENS1_48merge_mergepath_partition_config_static_selectorELNS0_4arch9wavefront6targetE1EEEvSK_
    .private_segment_fixed_size: 0
    .sgpr_count:     4
    .sgpr_spill_count: 0
    .symbol:         _ZN7rocprim17ROCPRIM_400000_NS6detail17trampoline_kernelINS0_14default_configENS1_38merge_sort_block_merge_config_selectorIlNS0_10empty_typeEEEZZNS1_27merge_sort_block_merge_implIS3_N6thrust23THRUST_200600_302600_NS6detail15normal_iteratorINS9_10device_ptrIlEEEEPS5_m14custom_greaterIlEEE10hipError_tT0_T1_T2_jT3_P12ihipStream_tbPNSt15iterator_traitsISJ_E10value_typeEPNSP_ISK_E10value_typeEPSL_NS1_7vsmem_tEENKUlT_SJ_SK_SL_E_clIPlSE_SF_SF_EESI_SY_SJ_SK_SL_EUlSY_E_NS1_11comp_targetILNS1_3genE0ELNS1_11target_archE4294967295ELNS1_3gpuE0ELNS1_3repE0EEENS1_48merge_mergepath_partition_config_static_selectorELNS0_4arch9wavefront6targetE1EEEvSK_.kd
    .uniform_work_group_size: 1
    .uses_dynamic_stack: false
    .vgpr_count:     0
    .vgpr_spill_count: 0
    .wavefront_size: 64
  - .agpr_count:     0
    .args:
      - .offset:         0
        .size:           48
        .value_kind:     by_value
    .group_segment_fixed_size: 0
    .kernarg_segment_align: 8
    .kernarg_segment_size: 48
    .language:       OpenCL C
    .language_version:
      - 2
      - 0
    .max_flat_workgroup_size: 128
    .name:           _ZN7rocprim17ROCPRIM_400000_NS6detail17trampoline_kernelINS0_14default_configENS1_38merge_sort_block_merge_config_selectorIlNS0_10empty_typeEEEZZNS1_27merge_sort_block_merge_implIS3_N6thrust23THRUST_200600_302600_NS6detail15normal_iteratorINS9_10device_ptrIlEEEEPS5_m14custom_greaterIlEEE10hipError_tT0_T1_T2_jT3_P12ihipStream_tbPNSt15iterator_traitsISJ_E10value_typeEPNSP_ISK_E10value_typeEPSL_NS1_7vsmem_tEENKUlT_SJ_SK_SL_E_clIPlSE_SF_SF_EESI_SY_SJ_SK_SL_EUlSY_E_NS1_11comp_targetILNS1_3genE10ELNS1_11target_archE1201ELNS1_3gpuE5ELNS1_3repE0EEENS1_48merge_mergepath_partition_config_static_selectorELNS0_4arch9wavefront6targetE1EEEvSK_
    .private_segment_fixed_size: 0
    .sgpr_count:     4
    .sgpr_spill_count: 0
    .symbol:         _ZN7rocprim17ROCPRIM_400000_NS6detail17trampoline_kernelINS0_14default_configENS1_38merge_sort_block_merge_config_selectorIlNS0_10empty_typeEEEZZNS1_27merge_sort_block_merge_implIS3_N6thrust23THRUST_200600_302600_NS6detail15normal_iteratorINS9_10device_ptrIlEEEEPS5_m14custom_greaterIlEEE10hipError_tT0_T1_T2_jT3_P12ihipStream_tbPNSt15iterator_traitsISJ_E10value_typeEPNSP_ISK_E10value_typeEPSL_NS1_7vsmem_tEENKUlT_SJ_SK_SL_E_clIPlSE_SF_SF_EESI_SY_SJ_SK_SL_EUlSY_E_NS1_11comp_targetILNS1_3genE10ELNS1_11target_archE1201ELNS1_3gpuE5ELNS1_3repE0EEENS1_48merge_mergepath_partition_config_static_selectorELNS0_4arch9wavefront6targetE1EEEvSK_.kd
    .uniform_work_group_size: 1
    .uses_dynamic_stack: false
    .vgpr_count:     0
    .vgpr_spill_count: 0
    .wavefront_size: 64
  - .agpr_count:     0
    .args:
      - .offset:         0
        .size:           48
        .value_kind:     by_value
    .group_segment_fixed_size: 0
    .kernarg_segment_align: 8
    .kernarg_segment_size: 48
    .language:       OpenCL C
    .language_version:
      - 2
      - 0
    .max_flat_workgroup_size: 128
    .name:           _ZN7rocprim17ROCPRIM_400000_NS6detail17trampoline_kernelINS0_14default_configENS1_38merge_sort_block_merge_config_selectorIlNS0_10empty_typeEEEZZNS1_27merge_sort_block_merge_implIS3_N6thrust23THRUST_200600_302600_NS6detail15normal_iteratorINS9_10device_ptrIlEEEEPS5_m14custom_greaterIlEEE10hipError_tT0_T1_T2_jT3_P12ihipStream_tbPNSt15iterator_traitsISJ_E10value_typeEPNSP_ISK_E10value_typeEPSL_NS1_7vsmem_tEENKUlT_SJ_SK_SL_E_clIPlSE_SF_SF_EESI_SY_SJ_SK_SL_EUlSY_E_NS1_11comp_targetILNS1_3genE5ELNS1_11target_archE942ELNS1_3gpuE9ELNS1_3repE0EEENS1_48merge_mergepath_partition_config_static_selectorELNS0_4arch9wavefront6targetE1EEEvSK_
    .private_segment_fixed_size: 0
    .sgpr_count:     4
    .sgpr_spill_count: 0
    .symbol:         _ZN7rocprim17ROCPRIM_400000_NS6detail17trampoline_kernelINS0_14default_configENS1_38merge_sort_block_merge_config_selectorIlNS0_10empty_typeEEEZZNS1_27merge_sort_block_merge_implIS3_N6thrust23THRUST_200600_302600_NS6detail15normal_iteratorINS9_10device_ptrIlEEEEPS5_m14custom_greaterIlEEE10hipError_tT0_T1_T2_jT3_P12ihipStream_tbPNSt15iterator_traitsISJ_E10value_typeEPNSP_ISK_E10value_typeEPSL_NS1_7vsmem_tEENKUlT_SJ_SK_SL_E_clIPlSE_SF_SF_EESI_SY_SJ_SK_SL_EUlSY_E_NS1_11comp_targetILNS1_3genE5ELNS1_11target_archE942ELNS1_3gpuE9ELNS1_3repE0EEENS1_48merge_mergepath_partition_config_static_selectorELNS0_4arch9wavefront6targetE1EEEvSK_.kd
    .uniform_work_group_size: 1
    .uses_dynamic_stack: false
    .vgpr_count:     0
    .vgpr_spill_count: 0
    .wavefront_size: 64
  - .agpr_count:     0
    .args:
      - .offset:         0
        .size:           48
        .value_kind:     by_value
    .group_segment_fixed_size: 0
    .kernarg_segment_align: 8
    .kernarg_segment_size: 48
    .language:       OpenCL C
    .language_version:
      - 2
      - 0
    .max_flat_workgroup_size: 128
    .name:           _ZN7rocprim17ROCPRIM_400000_NS6detail17trampoline_kernelINS0_14default_configENS1_38merge_sort_block_merge_config_selectorIlNS0_10empty_typeEEEZZNS1_27merge_sort_block_merge_implIS3_N6thrust23THRUST_200600_302600_NS6detail15normal_iteratorINS9_10device_ptrIlEEEEPS5_m14custom_greaterIlEEE10hipError_tT0_T1_T2_jT3_P12ihipStream_tbPNSt15iterator_traitsISJ_E10value_typeEPNSP_ISK_E10value_typeEPSL_NS1_7vsmem_tEENKUlT_SJ_SK_SL_E_clIPlSE_SF_SF_EESI_SY_SJ_SK_SL_EUlSY_E_NS1_11comp_targetILNS1_3genE4ELNS1_11target_archE910ELNS1_3gpuE8ELNS1_3repE0EEENS1_48merge_mergepath_partition_config_static_selectorELNS0_4arch9wavefront6targetE1EEEvSK_
    .private_segment_fixed_size: 0
    .sgpr_count:     12
    .sgpr_spill_count: 0
    .symbol:         _ZN7rocprim17ROCPRIM_400000_NS6detail17trampoline_kernelINS0_14default_configENS1_38merge_sort_block_merge_config_selectorIlNS0_10empty_typeEEEZZNS1_27merge_sort_block_merge_implIS3_N6thrust23THRUST_200600_302600_NS6detail15normal_iteratorINS9_10device_ptrIlEEEEPS5_m14custom_greaterIlEEE10hipError_tT0_T1_T2_jT3_P12ihipStream_tbPNSt15iterator_traitsISJ_E10value_typeEPNSP_ISK_E10value_typeEPSL_NS1_7vsmem_tEENKUlT_SJ_SK_SL_E_clIPlSE_SF_SF_EESI_SY_SJ_SK_SL_EUlSY_E_NS1_11comp_targetILNS1_3genE4ELNS1_11target_archE910ELNS1_3gpuE8ELNS1_3repE0EEENS1_48merge_mergepath_partition_config_static_selectorELNS0_4arch9wavefront6targetE1EEEvSK_.kd
    .uniform_work_group_size: 1
    .uses_dynamic_stack: false
    .vgpr_count:     22
    .vgpr_spill_count: 0
    .wavefront_size: 64
  - .agpr_count:     0
    .args:
      - .offset:         0
        .size:           48
        .value_kind:     by_value
    .group_segment_fixed_size: 0
    .kernarg_segment_align: 8
    .kernarg_segment_size: 48
    .language:       OpenCL C
    .language_version:
      - 2
      - 0
    .max_flat_workgroup_size: 128
    .name:           _ZN7rocprim17ROCPRIM_400000_NS6detail17trampoline_kernelINS0_14default_configENS1_38merge_sort_block_merge_config_selectorIlNS0_10empty_typeEEEZZNS1_27merge_sort_block_merge_implIS3_N6thrust23THRUST_200600_302600_NS6detail15normal_iteratorINS9_10device_ptrIlEEEEPS5_m14custom_greaterIlEEE10hipError_tT0_T1_T2_jT3_P12ihipStream_tbPNSt15iterator_traitsISJ_E10value_typeEPNSP_ISK_E10value_typeEPSL_NS1_7vsmem_tEENKUlT_SJ_SK_SL_E_clIPlSE_SF_SF_EESI_SY_SJ_SK_SL_EUlSY_E_NS1_11comp_targetILNS1_3genE3ELNS1_11target_archE908ELNS1_3gpuE7ELNS1_3repE0EEENS1_48merge_mergepath_partition_config_static_selectorELNS0_4arch9wavefront6targetE1EEEvSK_
    .private_segment_fixed_size: 0
    .sgpr_count:     4
    .sgpr_spill_count: 0
    .symbol:         _ZN7rocprim17ROCPRIM_400000_NS6detail17trampoline_kernelINS0_14default_configENS1_38merge_sort_block_merge_config_selectorIlNS0_10empty_typeEEEZZNS1_27merge_sort_block_merge_implIS3_N6thrust23THRUST_200600_302600_NS6detail15normal_iteratorINS9_10device_ptrIlEEEEPS5_m14custom_greaterIlEEE10hipError_tT0_T1_T2_jT3_P12ihipStream_tbPNSt15iterator_traitsISJ_E10value_typeEPNSP_ISK_E10value_typeEPSL_NS1_7vsmem_tEENKUlT_SJ_SK_SL_E_clIPlSE_SF_SF_EESI_SY_SJ_SK_SL_EUlSY_E_NS1_11comp_targetILNS1_3genE3ELNS1_11target_archE908ELNS1_3gpuE7ELNS1_3repE0EEENS1_48merge_mergepath_partition_config_static_selectorELNS0_4arch9wavefront6targetE1EEEvSK_.kd
    .uniform_work_group_size: 1
    .uses_dynamic_stack: false
    .vgpr_count:     0
    .vgpr_spill_count: 0
    .wavefront_size: 64
  - .agpr_count:     0
    .args:
      - .offset:         0
        .size:           48
        .value_kind:     by_value
    .group_segment_fixed_size: 0
    .kernarg_segment_align: 8
    .kernarg_segment_size: 48
    .language:       OpenCL C
    .language_version:
      - 2
      - 0
    .max_flat_workgroup_size: 128
    .name:           _ZN7rocprim17ROCPRIM_400000_NS6detail17trampoline_kernelINS0_14default_configENS1_38merge_sort_block_merge_config_selectorIlNS0_10empty_typeEEEZZNS1_27merge_sort_block_merge_implIS3_N6thrust23THRUST_200600_302600_NS6detail15normal_iteratorINS9_10device_ptrIlEEEEPS5_m14custom_greaterIlEEE10hipError_tT0_T1_T2_jT3_P12ihipStream_tbPNSt15iterator_traitsISJ_E10value_typeEPNSP_ISK_E10value_typeEPSL_NS1_7vsmem_tEENKUlT_SJ_SK_SL_E_clIPlSE_SF_SF_EESI_SY_SJ_SK_SL_EUlSY_E_NS1_11comp_targetILNS1_3genE2ELNS1_11target_archE906ELNS1_3gpuE6ELNS1_3repE0EEENS1_48merge_mergepath_partition_config_static_selectorELNS0_4arch9wavefront6targetE1EEEvSK_
    .private_segment_fixed_size: 0
    .sgpr_count:     4
    .sgpr_spill_count: 0
    .symbol:         _ZN7rocprim17ROCPRIM_400000_NS6detail17trampoline_kernelINS0_14default_configENS1_38merge_sort_block_merge_config_selectorIlNS0_10empty_typeEEEZZNS1_27merge_sort_block_merge_implIS3_N6thrust23THRUST_200600_302600_NS6detail15normal_iteratorINS9_10device_ptrIlEEEEPS5_m14custom_greaterIlEEE10hipError_tT0_T1_T2_jT3_P12ihipStream_tbPNSt15iterator_traitsISJ_E10value_typeEPNSP_ISK_E10value_typeEPSL_NS1_7vsmem_tEENKUlT_SJ_SK_SL_E_clIPlSE_SF_SF_EESI_SY_SJ_SK_SL_EUlSY_E_NS1_11comp_targetILNS1_3genE2ELNS1_11target_archE906ELNS1_3gpuE6ELNS1_3repE0EEENS1_48merge_mergepath_partition_config_static_selectorELNS0_4arch9wavefront6targetE1EEEvSK_.kd
    .uniform_work_group_size: 1
    .uses_dynamic_stack: false
    .vgpr_count:     0
    .vgpr_spill_count: 0
    .wavefront_size: 64
  - .agpr_count:     0
    .args:
      - .offset:         0
        .size:           48
        .value_kind:     by_value
    .group_segment_fixed_size: 0
    .kernarg_segment_align: 8
    .kernarg_segment_size: 48
    .language:       OpenCL C
    .language_version:
      - 2
      - 0
    .max_flat_workgroup_size: 128
    .name:           _ZN7rocprim17ROCPRIM_400000_NS6detail17trampoline_kernelINS0_14default_configENS1_38merge_sort_block_merge_config_selectorIlNS0_10empty_typeEEEZZNS1_27merge_sort_block_merge_implIS3_N6thrust23THRUST_200600_302600_NS6detail15normal_iteratorINS9_10device_ptrIlEEEEPS5_m14custom_greaterIlEEE10hipError_tT0_T1_T2_jT3_P12ihipStream_tbPNSt15iterator_traitsISJ_E10value_typeEPNSP_ISK_E10value_typeEPSL_NS1_7vsmem_tEENKUlT_SJ_SK_SL_E_clIPlSE_SF_SF_EESI_SY_SJ_SK_SL_EUlSY_E_NS1_11comp_targetILNS1_3genE9ELNS1_11target_archE1100ELNS1_3gpuE3ELNS1_3repE0EEENS1_48merge_mergepath_partition_config_static_selectorELNS0_4arch9wavefront6targetE1EEEvSK_
    .private_segment_fixed_size: 0
    .sgpr_count:     4
    .sgpr_spill_count: 0
    .symbol:         _ZN7rocprim17ROCPRIM_400000_NS6detail17trampoline_kernelINS0_14default_configENS1_38merge_sort_block_merge_config_selectorIlNS0_10empty_typeEEEZZNS1_27merge_sort_block_merge_implIS3_N6thrust23THRUST_200600_302600_NS6detail15normal_iteratorINS9_10device_ptrIlEEEEPS5_m14custom_greaterIlEEE10hipError_tT0_T1_T2_jT3_P12ihipStream_tbPNSt15iterator_traitsISJ_E10value_typeEPNSP_ISK_E10value_typeEPSL_NS1_7vsmem_tEENKUlT_SJ_SK_SL_E_clIPlSE_SF_SF_EESI_SY_SJ_SK_SL_EUlSY_E_NS1_11comp_targetILNS1_3genE9ELNS1_11target_archE1100ELNS1_3gpuE3ELNS1_3repE0EEENS1_48merge_mergepath_partition_config_static_selectorELNS0_4arch9wavefront6targetE1EEEvSK_.kd
    .uniform_work_group_size: 1
    .uses_dynamic_stack: false
    .vgpr_count:     0
    .vgpr_spill_count: 0
    .wavefront_size: 64
  - .agpr_count:     0
    .args:
      - .offset:         0
        .size:           48
        .value_kind:     by_value
    .group_segment_fixed_size: 0
    .kernarg_segment_align: 8
    .kernarg_segment_size: 48
    .language:       OpenCL C
    .language_version:
      - 2
      - 0
    .max_flat_workgroup_size: 128
    .name:           _ZN7rocprim17ROCPRIM_400000_NS6detail17trampoline_kernelINS0_14default_configENS1_38merge_sort_block_merge_config_selectorIlNS0_10empty_typeEEEZZNS1_27merge_sort_block_merge_implIS3_N6thrust23THRUST_200600_302600_NS6detail15normal_iteratorINS9_10device_ptrIlEEEEPS5_m14custom_greaterIlEEE10hipError_tT0_T1_T2_jT3_P12ihipStream_tbPNSt15iterator_traitsISJ_E10value_typeEPNSP_ISK_E10value_typeEPSL_NS1_7vsmem_tEENKUlT_SJ_SK_SL_E_clIPlSE_SF_SF_EESI_SY_SJ_SK_SL_EUlSY_E_NS1_11comp_targetILNS1_3genE8ELNS1_11target_archE1030ELNS1_3gpuE2ELNS1_3repE0EEENS1_48merge_mergepath_partition_config_static_selectorELNS0_4arch9wavefront6targetE1EEEvSK_
    .private_segment_fixed_size: 0
    .sgpr_count:     4
    .sgpr_spill_count: 0
    .symbol:         _ZN7rocprim17ROCPRIM_400000_NS6detail17trampoline_kernelINS0_14default_configENS1_38merge_sort_block_merge_config_selectorIlNS0_10empty_typeEEEZZNS1_27merge_sort_block_merge_implIS3_N6thrust23THRUST_200600_302600_NS6detail15normal_iteratorINS9_10device_ptrIlEEEEPS5_m14custom_greaterIlEEE10hipError_tT0_T1_T2_jT3_P12ihipStream_tbPNSt15iterator_traitsISJ_E10value_typeEPNSP_ISK_E10value_typeEPSL_NS1_7vsmem_tEENKUlT_SJ_SK_SL_E_clIPlSE_SF_SF_EESI_SY_SJ_SK_SL_EUlSY_E_NS1_11comp_targetILNS1_3genE8ELNS1_11target_archE1030ELNS1_3gpuE2ELNS1_3repE0EEENS1_48merge_mergepath_partition_config_static_selectorELNS0_4arch9wavefront6targetE1EEEvSK_.kd
    .uniform_work_group_size: 1
    .uses_dynamic_stack: false
    .vgpr_count:     0
    .vgpr_spill_count: 0
    .wavefront_size: 64
  - .agpr_count:     0
    .args:
      - .offset:         0
        .size:           72
        .value_kind:     by_value
    .group_segment_fixed_size: 0
    .kernarg_segment_align: 8
    .kernarg_segment_size: 72
    .language:       OpenCL C
    .language_version:
      - 2
      - 0
    .max_flat_workgroup_size: 128
    .name:           _ZN7rocprim17ROCPRIM_400000_NS6detail17trampoline_kernelINS0_14default_configENS1_38merge_sort_block_merge_config_selectorIlNS0_10empty_typeEEEZZNS1_27merge_sort_block_merge_implIS3_N6thrust23THRUST_200600_302600_NS6detail15normal_iteratorINS9_10device_ptrIlEEEEPS5_m14custom_greaterIlEEE10hipError_tT0_T1_T2_jT3_P12ihipStream_tbPNSt15iterator_traitsISJ_E10value_typeEPNSP_ISK_E10value_typeEPSL_NS1_7vsmem_tEENKUlT_SJ_SK_SL_E_clIPlSE_SF_SF_EESI_SY_SJ_SK_SL_EUlSY_E0_NS1_11comp_targetILNS1_3genE0ELNS1_11target_archE4294967295ELNS1_3gpuE0ELNS1_3repE0EEENS1_38merge_mergepath_config_static_selectorELNS0_4arch9wavefront6targetE1EEEvSK_
    .private_segment_fixed_size: 0
    .sgpr_count:     4
    .sgpr_spill_count: 0
    .symbol:         _ZN7rocprim17ROCPRIM_400000_NS6detail17trampoline_kernelINS0_14default_configENS1_38merge_sort_block_merge_config_selectorIlNS0_10empty_typeEEEZZNS1_27merge_sort_block_merge_implIS3_N6thrust23THRUST_200600_302600_NS6detail15normal_iteratorINS9_10device_ptrIlEEEEPS5_m14custom_greaterIlEEE10hipError_tT0_T1_T2_jT3_P12ihipStream_tbPNSt15iterator_traitsISJ_E10value_typeEPNSP_ISK_E10value_typeEPSL_NS1_7vsmem_tEENKUlT_SJ_SK_SL_E_clIPlSE_SF_SF_EESI_SY_SJ_SK_SL_EUlSY_E0_NS1_11comp_targetILNS1_3genE0ELNS1_11target_archE4294967295ELNS1_3gpuE0ELNS1_3repE0EEENS1_38merge_mergepath_config_static_selectorELNS0_4arch9wavefront6targetE1EEEvSK_.kd
    .uniform_work_group_size: 1
    .uses_dynamic_stack: false
    .vgpr_count:     0
    .vgpr_spill_count: 0
    .wavefront_size: 64
  - .agpr_count:     0
    .args:
      - .offset:         0
        .size:           72
        .value_kind:     by_value
    .group_segment_fixed_size: 0
    .kernarg_segment_align: 8
    .kernarg_segment_size: 72
    .language:       OpenCL C
    .language_version:
      - 2
      - 0
    .max_flat_workgroup_size: 512
    .name:           _ZN7rocprim17ROCPRIM_400000_NS6detail17trampoline_kernelINS0_14default_configENS1_38merge_sort_block_merge_config_selectorIlNS0_10empty_typeEEEZZNS1_27merge_sort_block_merge_implIS3_N6thrust23THRUST_200600_302600_NS6detail15normal_iteratorINS9_10device_ptrIlEEEEPS5_m14custom_greaterIlEEE10hipError_tT0_T1_T2_jT3_P12ihipStream_tbPNSt15iterator_traitsISJ_E10value_typeEPNSP_ISK_E10value_typeEPSL_NS1_7vsmem_tEENKUlT_SJ_SK_SL_E_clIPlSE_SF_SF_EESI_SY_SJ_SK_SL_EUlSY_E0_NS1_11comp_targetILNS1_3genE10ELNS1_11target_archE1201ELNS1_3gpuE5ELNS1_3repE0EEENS1_38merge_mergepath_config_static_selectorELNS0_4arch9wavefront6targetE1EEEvSK_
    .private_segment_fixed_size: 0
    .sgpr_count:     4
    .sgpr_spill_count: 0
    .symbol:         _ZN7rocprim17ROCPRIM_400000_NS6detail17trampoline_kernelINS0_14default_configENS1_38merge_sort_block_merge_config_selectorIlNS0_10empty_typeEEEZZNS1_27merge_sort_block_merge_implIS3_N6thrust23THRUST_200600_302600_NS6detail15normal_iteratorINS9_10device_ptrIlEEEEPS5_m14custom_greaterIlEEE10hipError_tT0_T1_T2_jT3_P12ihipStream_tbPNSt15iterator_traitsISJ_E10value_typeEPNSP_ISK_E10value_typeEPSL_NS1_7vsmem_tEENKUlT_SJ_SK_SL_E_clIPlSE_SF_SF_EESI_SY_SJ_SK_SL_EUlSY_E0_NS1_11comp_targetILNS1_3genE10ELNS1_11target_archE1201ELNS1_3gpuE5ELNS1_3repE0EEENS1_38merge_mergepath_config_static_selectorELNS0_4arch9wavefront6targetE1EEEvSK_.kd
    .uniform_work_group_size: 1
    .uses_dynamic_stack: false
    .vgpr_count:     0
    .vgpr_spill_count: 0
    .wavefront_size: 64
  - .agpr_count:     0
    .args:
      - .offset:         0
        .size:           72
        .value_kind:     by_value
    .group_segment_fixed_size: 0
    .kernarg_segment_align: 8
    .kernarg_segment_size: 72
    .language:       OpenCL C
    .language_version:
      - 2
      - 0
    .max_flat_workgroup_size: 128
    .name:           _ZN7rocprim17ROCPRIM_400000_NS6detail17trampoline_kernelINS0_14default_configENS1_38merge_sort_block_merge_config_selectorIlNS0_10empty_typeEEEZZNS1_27merge_sort_block_merge_implIS3_N6thrust23THRUST_200600_302600_NS6detail15normal_iteratorINS9_10device_ptrIlEEEEPS5_m14custom_greaterIlEEE10hipError_tT0_T1_T2_jT3_P12ihipStream_tbPNSt15iterator_traitsISJ_E10value_typeEPNSP_ISK_E10value_typeEPSL_NS1_7vsmem_tEENKUlT_SJ_SK_SL_E_clIPlSE_SF_SF_EESI_SY_SJ_SK_SL_EUlSY_E0_NS1_11comp_targetILNS1_3genE5ELNS1_11target_archE942ELNS1_3gpuE9ELNS1_3repE0EEENS1_38merge_mergepath_config_static_selectorELNS0_4arch9wavefront6targetE1EEEvSK_
    .private_segment_fixed_size: 0
    .sgpr_count:     4
    .sgpr_spill_count: 0
    .symbol:         _ZN7rocprim17ROCPRIM_400000_NS6detail17trampoline_kernelINS0_14default_configENS1_38merge_sort_block_merge_config_selectorIlNS0_10empty_typeEEEZZNS1_27merge_sort_block_merge_implIS3_N6thrust23THRUST_200600_302600_NS6detail15normal_iteratorINS9_10device_ptrIlEEEEPS5_m14custom_greaterIlEEE10hipError_tT0_T1_T2_jT3_P12ihipStream_tbPNSt15iterator_traitsISJ_E10value_typeEPNSP_ISK_E10value_typeEPSL_NS1_7vsmem_tEENKUlT_SJ_SK_SL_E_clIPlSE_SF_SF_EESI_SY_SJ_SK_SL_EUlSY_E0_NS1_11comp_targetILNS1_3genE5ELNS1_11target_archE942ELNS1_3gpuE9ELNS1_3repE0EEENS1_38merge_mergepath_config_static_selectorELNS0_4arch9wavefront6targetE1EEEvSK_.kd
    .uniform_work_group_size: 1
    .uses_dynamic_stack: false
    .vgpr_count:     0
    .vgpr_spill_count: 0
    .wavefront_size: 64
  - .agpr_count:     0
    .args:
      - .offset:         0
        .size:           72
        .value_kind:     by_value
      - .offset:         72
        .size:           4
        .value_kind:     hidden_block_count_x
      - .offset:         76
        .size:           4
        .value_kind:     hidden_block_count_y
      - .offset:         80
        .size:           4
        .value_kind:     hidden_block_count_z
      - .offset:         84
        .size:           2
        .value_kind:     hidden_group_size_x
      - .offset:         86
        .size:           2
        .value_kind:     hidden_group_size_y
      - .offset:         88
        .size:           2
        .value_kind:     hidden_group_size_z
      - .offset:         90
        .size:           2
        .value_kind:     hidden_remainder_x
      - .offset:         92
        .size:           2
        .value_kind:     hidden_remainder_y
      - .offset:         94
        .size:           2
        .value_kind:     hidden_remainder_z
      - .offset:         112
        .size:           8
        .value_kind:     hidden_global_offset_x
      - .offset:         120
        .size:           8
        .value_kind:     hidden_global_offset_y
      - .offset:         128
        .size:           8
        .value_kind:     hidden_global_offset_z
      - .offset:         136
        .size:           2
        .value_kind:     hidden_grid_dims
    .group_segment_fixed_size: 8448
    .kernarg_segment_align: 8
    .kernarg_segment_size: 328
    .language:       OpenCL C
    .language_version:
      - 2
      - 0
    .max_flat_workgroup_size: 256
    .name:           _ZN7rocprim17ROCPRIM_400000_NS6detail17trampoline_kernelINS0_14default_configENS1_38merge_sort_block_merge_config_selectorIlNS0_10empty_typeEEEZZNS1_27merge_sort_block_merge_implIS3_N6thrust23THRUST_200600_302600_NS6detail15normal_iteratorINS9_10device_ptrIlEEEEPS5_m14custom_greaterIlEEE10hipError_tT0_T1_T2_jT3_P12ihipStream_tbPNSt15iterator_traitsISJ_E10value_typeEPNSP_ISK_E10value_typeEPSL_NS1_7vsmem_tEENKUlT_SJ_SK_SL_E_clIPlSE_SF_SF_EESI_SY_SJ_SK_SL_EUlSY_E0_NS1_11comp_targetILNS1_3genE4ELNS1_11target_archE910ELNS1_3gpuE8ELNS1_3repE0EEENS1_38merge_mergepath_config_static_selectorELNS0_4arch9wavefront6targetE1EEEvSK_
    .private_segment_fixed_size: 0
    .sgpr_count:     35
    .sgpr_spill_count: 0
    .symbol:         _ZN7rocprim17ROCPRIM_400000_NS6detail17trampoline_kernelINS0_14default_configENS1_38merge_sort_block_merge_config_selectorIlNS0_10empty_typeEEEZZNS1_27merge_sort_block_merge_implIS3_N6thrust23THRUST_200600_302600_NS6detail15normal_iteratorINS9_10device_ptrIlEEEEPS5_m14custom_greaterIlEEE10hipError_tT0_T1_T2_jT3_P12ihipStream_tbPNSt15iterator_traitsISJ_E10value_typeEPNSP_ISK_E10value_typeEPSL_NS1_7vsmem_tEENKUlT_SJ_SK_SL_E_clIPlSE_SF_SF_EESI_SY_SJ_SK_SL_EUlSY_E0_NS1_11comp_targetILNS1_3genE4ELNS1_11target_archE910ELNS1_3gpuE8ELNS1_3repE0EEENS1_38merge_mergepath_config_static_selectorELNS0_4arch9wavefront6targetE1EEEvSK_.kd
    .uniform_work_group_size: 1
    .uses_dynamic_stack: false
    .vgpr_count:     21
    .vgpr_spill_count: 0
    .wavefront_size: 64
  - .agpr_count:     0
    .args:
      - .offset:         0
        .size:           72
        .value_kind:     by_value
    .group_segment_fixed_size: 0
    .kernarg_segment_align: 8
    .kernarg_segment_size: 72
    .language:       OpenCL C
    .language_version:
      - 2
      - 0
    .max_flat_workgroup_size: 128
    .name:           _ZN7rocprim17ROCPRIM_400000_NS6detail17trampoline_kernelINS0_14default_configENS1_38merge_sort_block_merge_config_selectorIlNS0_10empty_typeEEEZZNS1_27merge_sort_block_merge_implIS3_N6thrust23THRUST_200600_302600_NS6detail15normal_iteratorINS9_10device_ptrIlEEEEPS5_m14custom_greaterIlEEE10hipError_tT0_T1_T2_jT3_P12ihipStream_tbPNSt15iterator_traitsISJ_E10value_typeEPNSP_ISK_E10value_typeEPSL_NS1_7vsmem_tEENKUlT_SJ_SK_SL_E_clIPlSE_SF_SF_EESI_SY_SJ_SK_SL_EUlSY_E0_NS1_11comp_targetILNS1_3genE3ELNS1_11target_archE908ELNS1_3gpuE7ELNS1_3repE0EEENS1_38merge_mergepath_config_static_selectorELNS0_4arch9wavefront6targetE1EEEvSK_
    .private_segment_fixed_size: 0
    .sgpr_count:     4
    .sgpr_spill_count: 0
    .symbol:         _ZN7rocprim17ROCPRIM_400000_NS6detail17trampoline_kernelINS0_14default_configENS1_38merge_sort_block_merge_config_selectorIlNS0_10empty_typeEEEZZNS1_27merge_sort_block_merge_implIS3_N6thrust23THRUST_200600_302600_NS6detail15normal_iteratorINS9_10device_ptrIlEEEEPS5_m14custom_greaterIlEEE10hipError_tT0_T1_T2_jT3_P12ihipStream_tbPNSt15iterator_traitsISJ_E10value_typeEPNSP_ISK_E10value_typeEPSL_NS1_7vsmem_tEENKUlT_SJ_SK_SL_E_clIPlSE_SF_SF_EESI_SY_SJ_SK_SL_EUlSY_E0_NS1_11comp_targetILNS1_3genE3ELNS1_11target_archE908ELNS1_3gpuE7ELNS1_3repE0EEENS1_38merge_mergepath_config_static_selectorELNS0_4arch9wavefront6targetE1EEEvSK_.kd
    .uniform_work_group_size: 1
    .uses_dynamic_stack: false
    .vgpr_count:     0
    .vgpr_spill_count: 0
    .wavefront_size: 64
  - .agpr_count:     0
    .args:
      - .offset:         0
        .size:           72
        .value_kind:     by_value
    .group_segment_fixed_size: 0
    .kernarg_segment_align: 8
    .kernarg_segment_size: 72
    .language:       OpenCL C
    .language_version:
      - 2
      - 0
    .max_flat_workgroup_size: 256
    .name:           _ZN7rocprim17ROCPRIM_400000_NS6detail17trampoline_kernelINS0_14default_configENS1_38merge_sort_block_merge_config_selectorIlNS0_10empty_typeEEEZZNS1_27merge_sort_block_merge_implIS3_N6thrust23THRUST_200600_302600_NS6detail15normal_iteratorINS9_10device_ptrIlEEEEPS5_m14custom_greaterIlEEE10hipError_tT0_T1_T2_jT3_P12ihipStream_tbPNSt15iterator_traitsISJ_E10value_typeEPNSP_ISK_E10value_typeEPSL_NS1_7vsmem_tEENKUlT_SJ_SK_SL_E_clIPlSE_SF_SF_EESI_SY_SJ_SK_SL_EUlSY_E0_NS1_11comp_targetILNS1_3genE2ELNS1_11target_archE906ELNS1_3gpuE6ELNS1_3repE0EEENS1_38merge_mergepath_config_static_selectorELNS0_4arch9wavefront6targetE1EEEvSK_
    .private_segment_fixed_size: 0
    .sgpr_count:     4
    .sgpr_spill_count: 0
    .symbol:         _ZN7rocprim17ROCPRIM_400000_NS6detail17trampoline_kernelINS0_14default_configENS1_38merge_sort_block_merge_config_selectorIlNS0_10empty_typeEEEZZNS1_27merge_sort_block_merge_implIS3_N6thrust23THRUST_200600_302600_NS6detail15normal_iteratorINS9_10device_ptrIlEEEEPS5_m14custom_greaterIlEEE10hipError_tT0_T1_T2_jT3_P12ihipStream_tbPNSt15iterator_traitsISJ_E10value_typeEPNSP_ISK_E10value_typeEPSL_NS1_7vsmem_tEENKUlT_SJ_SK_SL_E_clIPlSE_SF_SF_EESI_SY_SJ_SK_SL_EUlSY_E0_NS1_11comp_targetILNS1_3genE2ELNS1_11target_archE906ELNS1_3gpuE6ELNS1_3repE0EEENS1_38merge_mergepath_config_static_selectorELNS0_4arch9wavefront6targetE1EEEvSK_.kd
    .uniform_work_group_size: 1
    .uses_dynamic_stack: false
    .vgpr_count:     0
    .vgpr_spill_count: 0
    .wavefront_size: 64
  - .agpr_count:     0
    .args:
      - .offset:         0
        .size:           72
        .value_kind:     by_value
    .group_segment_fixed_size: 0
    .kernarg_segment_align: 8
    .kernarg_segment_size: 72
    .language:       OpenCL C
    .language_version:
      - 2
      - 0
    .max_flat_workgroup_size: 512
    .name:           _ZN7rocprim17ROCPRIM_400000_NS6detail17trampoline_kernelINS0_14default_configENS1_38merge_sort_block_merge_config_selectorIlNS0_10empty_typeEEEZZNS1_27merge_sort_block_merge_implIS3_N6thrust23THRUST_200600_302600_NS6detail15normal_iteratorINS9_10device_ptrIlEEEEPS5_m14custom_greaterIlEEE10hipError_tT0_T1_T2_jT3_P12ihipStream_tbPNSt15iterator_traitsISJ_E10value_typeEPNSP_ISK_E10value_typeEPSL_NS1_7vsmem_tEENKUlT_SJ_SK_SL_E_clIPlSE_SF_SF_EESI_SY_SJ_SK_SL_EUlSY_E0_NS1_11comp_targetILNS1_3genE9ELNS1_11target_archE1100ELNS1_3gpuE3ELNS1_3repE0EEENS1_38merge_mergepath_config_static_selectorELNS0_4arch9wavefront6targetE1EEEvSK_
    .private_segment_fixed_size: 0
    .sgpr_count:     4
    .sgpr_spill_count: 0
    .symbol:         _ZN7rocprim17ROCPRIM_400000_NS6detail17trampoline_kernelINS0_14default_configENS1_38merge_sort_block_merge_config_selectorIlNS0_10empty_typeEEEZZNS1_27merge_sort_block_merge_implIS3_N6thrust23THRUST_200600_302600_NS6detail15normal_iteratorINS9_10device_ptrIlEEEEPS5_m14custom_greaterIlEEE10hipError_tT0_T1_T2_jT3_P12ihipStream_tbPNSt15iterator_traitsISJ_E10value_typeEPNSP_ISK_E10value_typeEPSL_NS1_7vsmem_tEENKUlT_SJ_SK_SL_E_clIPlSE_SF_SF_EESI_SY_SJ_SK_SL_EUlSY_E0_NS1_11comp_targetILNS1_3genE9ELNS1_11target_archE1100ELNS1_3gpuE3ELNS1_3repE0EEENS1_38merge_mergepath_config_static_selectorELNS0_4arch9wavefront6targetE1EEEvSK_.kd
    .uniform_work_group_size: 1
    .uses_dynamic_stack: false
    .vgpr_count:     0
    .vgpr_spill_count: 0
    .wavefront_size: 64
  - .agpr_count:     0
    .args:
      - .offset:         0
        .size:           72
        .value_kind:     by_value
    .group_segment_fixed_size: 0
    .kernarg_segment_align: 8
    .kernarg_segment_size: 72
    .language:       OpenCL C
    .language_version:
      - 2
      - 0
    .max_flat_workgroup_size: 1024
    .name:           _ZN7rocprim17ROCPRIM_400000_NS6detail17trampoline_kernelINS0_14default_configENS1_38merge_sort_block_merge_config_selectorIlNS0_10empty_typeEEEZZNS1_27merge_sort_block_merge_implIS3_N6thrust23THRUST_200600_302600_NS6detail15normal_iteratorINS9_10device_ptrIlEEEEPS5_m14custom_greaterIlEEE10hipError_tT0_T1_T2_jT3_P12ihipStream_tbPNSt15iterator_traitsISJ_E10value_typeEPNSP_ISK_E10value_typeEPSL_NS1_7vsmem_tEENKUlT_SJ_SK_SL_E_clIPlSE_SF_SF_EESI_SY_SJ_SK_SL_EUlSY_E0_NS1_11comp_targetILNS1_3genE8ELNS1_11target_archE1030ELNS1_3gpuE2ELNS1_3repE0EEENS1_38merge_mergepath_config_static_selectorELNS0_4arch9wavefront6targetE1EEEvSK_
    .private_segment_fixed_size: 0
    .sgpr_count:     4
    .sgpr_spill_count: 0
    .symbol:         _ZN7rocprim17ROCPRIM_400000_NS6detail17trampoline_kernelINS0_14default_configENS1_38merge_sort_block_merge_config_selectorIlNS0_10empty_typeEEEZZNS1_27merge_sort_block_merge_implIS3_N6thrust23THRUST_200600_302600_NS6detail15normal_iteratorINS9_10device_ptrIlEEEEPS5_m14custom_greaterIlEEE10hipError_tT0_T1_T2_jT3_P12ihipStream_tbPNSt15iterator_traitsISJ_E10value_typeEPNSP_ISK_E10value_typeEPSL_NS1_7vsmem_tEENKUlT_SJ_SK_SL_E_clIPlSE_SF_SF_EESI_SY_SJ_SK_SL_EUlSY_E0_NS1_11comp_targetILNS1_3genE8ELNS1_11target_archE1030ELNS1_3gpuE2ELNS1_3repE0EEENS1_38merge_mergepath_config_static_selectorELNS0_4arch9wavefront6targetE1EEEvSK_.kd
    .uniform_work_group_size: 1
    .uses_dynamic_stack: false
    .vgpr_count:     0
    .vgpr_spill_count: 0
    .wavefront_size: 64
  - .agpr_count:     0
    .args:
      - .offset:         0
        .size:           56
        .value_kind:     by_value
    .group_segment_fixed_size: 0
    .kernarg_segment_align: 8
    .kernarg_segment_size: 56
    .language:       OpenCL C
    .language_version:
      - 2
      - 0
    .max_flat_workgroup_size: 256
    .name:           _ZN7rocprim17ROCPRIM_400000_NS6detail17trampoline_kernelINS0_14default_configENS1_38merge_sort_block_merge_config_selectorIlNS0_10empty_typeEEEZZNS1_27merge_sort_block_merge_implIS3_N6thrust23THRUST_200600_302600_NS6detail15normal_iteratorINS9_10device_ptrIlEEEEPS5_m14custom_greaterIlEEE10hipError_tT0_T1_T2_jT3_P12ihipStream_tbPNSt15iterator_traitsISJ_E10value_typeEPNSP_ISK_E10value_typeEPSL_NS1_7vsmem_tEENKUlT_SJ_SK_SL_E_clIPlSE_SF_SF_EESI_SY_SJ_SK_SL_EUlSY_E1_NS1_11comp_targetILNS1_3genE0ELNS1_11target_archE4294967295ELNS1_3gpuE0ELNS1_3repE0EEENS1_36merge_oddeven_config_static_selectorELNS0_4arch9wavefront6targetE1EEEvSK_
    .private_segment_fixed_size: 0
    .sgpr_count:     4
    .sgpr_spill_count: 0
    .symbol:         _ZN7rocprim17ROCPRIM_400000_NS6detail17trampoline_kernelINS0_14default_configENS1_38merge_sort_block_merge_config_selectorIlNS0_10empty_typeEEEZZNS1_27merge_sort_block_merge_implIS3_N6thrust23THRUST_200600_302600_NS6detail15normal_iteratorINS9_10device_ptrIlEEEEPS5_m14custom_greaterIlEEE10hipError_tT0_T1_T2_jT3_P12ihipStream_tbPNSt15iterator_traitsISJ_E10value_typeEPNSP_ISK_E10value_typeEPSL_NS1_7vsmem_tEENKUlT_SJ_SK_SL_E_clIPlSE_SF_SF_EESI_SY_SJ_SK_SL_EUlSY_E1_NS1_11comp_targetILNS1_3genE0ELNS1_11target_archE4294967295ELNS1_3gpuE0ELNS1_3repE0EEENS1_36merge_oddeven_config_static_selectorELNS0_4arch9wavefront6targetE1EEEvSK_.kd
    .uniform_work_group_size: 1
    .uses_dynamic_stack: false
    .vgpr_count:     0
    .vgpr_spill_count: 0
    .wavefront_size: 64
  - .agpr_count:     0
    .args:
      - .offset:         0
        .size:           56
        .value_kind:     by_value
    .group_segment_fixed_size: 0
    .kernarg_segment_align: 8
    .kernarg_segment_size: 56
    .language:       OpenCL C
    .language_version:
      - 2
      - 0
    .max_flat_workgroup_size: 256
    .name:           _ZN7rocprim17ROCPRIM_400000_NS6detail17trampoline_kernelINS0_14default_configENS1_38merge_sort_block_merge_config_selectorIlNS0_10empty_typeEEEZZNS1_27merge_sort_block_merge_implIS3_N6thrust23THRUST_200600_302600_NS6detail15normal_iteratorINS9_10device_ptrIlEEEEPS5_m14custom_greaterIlEEE10hipError_tT0_T1_T2_jT3_P12ihipStream_tbPNSt15iterator_traitsISJ_E10value_typeEPNSP_ISK_E10value_typeEPSL_NS1_7vsmem_tEENKUlT_SJ_SK_SL_E_clIPlSE_SF_SF_EESI_SY_SJ_SK_SL_EUlSY_E1_NS1_11comp_targetILNS1_3genE10ELNS1_11target_archE1201ELNS1_3gpuE5ELNS1_3repE0EEENS1_36merge_oddeven_config_static_selectorELNS0_4arch9wavefront6targetE1EEEvSK_
    .private_segment_fixed_size: 0
    .sgpr_count:     4
    .sgpr_spill_count: 0
    .symbol:         _ZN7rocprim17ROCPRIM_400000_NS6detail17trampoline_kernelINS0_14default_configENS1_38merge_sort_block_merge_config_selectorIlNS0_10empty_typeEEEZZNS1_27merge_sort_block_merge_implIS3_N6thrust23THRUST_200600_302600_NS6detail15normal_iteratorINS9_10device_ptrIlEEEEPS5_m14custom_greaterIlEEE10hipError_tT0_T1_T2_jT3_P12ihipStream_tbPNSt15iterator_traitsISJ_E10value_typeEPNSP_ISK_E10value_typeEPSL_NS1_7vsmem_tEENKUlT_SJ_SK_SL_E_clIPlSE_SF_SF_EESI_SY_SJ_SK_SL_EUlSY_E1_NS1_11comp_targetILNS1_3genE10ELNS1_11target_archE1201ELNS1_3gpuE5ELNS1_3repE0EEENS1_36merge_oddeven_config_static_selectorELNS0_4arch9wavefront6targetE1EEEvSK_.kd
    .uniform_work_group_size: 1
    .uses_dynamic_stack: false
    .vgpr_count:     0
    .vgpr_spill_count: 0
    .wavefront_size: 64
  - .agpr_count:     0
    .args:
      - .offset:         0
        .size:           56
        .value_kind:     by_value
    .group_segment_fixed_size: 0
    .kernarg_segment_align: 8
    .kernarg_segment_size: 56
    .language:       OpenCL C
    .language_version:
      - 2
      - 0
    .max_flat_workgroup_size: 256
    .name:           _ZN7rocprim17ROCPRIM_400000_NS6detail17trampoline_kernelINS0_14default_configENS1_38merge_sort_block_merge_config_selectorIlNS0_10empty_typeEEEZZNS1_27merge_sort_block_merge_implIS3_N6thrust23THRUST_200600_302600_NS6detail15normal_iteratorINS9_10device_ptrIlEEEEPS5_m14custom_greaterIlEEE10hipError_tT0_T1_T2_jT3_P12ihipStream_tbPNSt15iterator_traitsISJ_E10value_typeEPNSP_ISK_E10value_typeEPSL_NS1_7vsmem_tEENKUlT_SJ_SK_SL_E_clIPlSE_SF_SF_EESI_SY_SJ_SK_SL_EUlSY_E1_NS1_11comp_targetILNS1_3genE5ELNS1_11target_archE942ELNS1_3gpuE9ELNS1_3repE0EEENS1_36merge_oddeven_config_static_selectorELNS0_4arch9wavefront6targetE1EEEvSK_
    .private_segment_fixed_size: 0
    .sgpr_count:     4
    .sgpr_spill_count: 0
    .symbol:         _ZN7rocprim17ROCPRIM_400000_NS6detail17trampoline_kernelINS0_14default_configENS1_38merge_sort_block_merge_config_selectorIlNS0_10empty_typeEEEZZNS1_27merge_sort_block_merge_implIS3_N6thrust23THRUST_200600_302600_NS6detail15normal_iteratorINS9_10device_ptrIlEEEEPS5_m14custom_greaterIlEEE10hipError_tT0_T1_T2_jT3_P12ihipStream_tbPNSt15iterator_traitsISJ_E10value_typeEPNSP_ISK_E10value_typeEPSL_NS1_7vsmem_tEENKUlT_SJ_SK_SL_E_clIPlSE_SF_SF_EESI_SY_SJ_SK_SL_EUlSY_E1_NS1_11comp_targetILNS1_3genE5ELNS1_11target_archE942ELNS1_3gpuE9ELNS1_3repE0EEENS1_36merge_oddeven_config_static_selectorELNS0_4arch9wavefront6targetE1EEEvSK_.kd
    .uniform_work_group_size: 1
    .uses_dynamic_stack: false
    .vgpr_count:     0
    .vgpr_spill_count: 0
    .wavefront_size: 64
  - .agpr_count:     0
    .args:
      - .offset:         0
        .size:           56
        .value_kind:     by_value
    .group_segment_fixed_size: 0
    .kernarg_segment_align: 8
    .kernarg_segment_size: 56
    .language:       OpenCL C
    .language_version:
      - 2
      - 0
    .max_flat_workgroup_size: 256
    .name:           _ZN7rocprim17ROCPRIM_400000_NS6detail17trampoline_kernelINS0_14default_configENS1_38merge_sort_block_merge_config_selectorIlNS0_10empty_typeEEEZZNS1_27merge_sort_block_merge_implIS3_N6thrust23THRUST_200600_302600_NS6detail15normal_iteratorINS9_10device_ptrIlEEEEPS5_m14custom_greaterIlEEE10hipError_tT0_T1_T2_jT3_P12ihipStream_tbPNSt15iterator_traitsISJ_E10value_typeEPNSP_ISK_E10value_typeEPSL_NS1_7vsmem_tEENKUlT_SJ_SK_SL_E_clIPlSE_SF_SF_EESI_SY_SJ_SK_SL_EUlSY_E1_NS1_11comp_targetILNS1_3genE4ELNS1_11target_archE910ELNS1_3gpuE8ELNS1_3repE0EEENS1_36merge_oddeven_config_static_selectorELNS0_4arch9wavefront6targetE1EEEvSK_
    .private_segment_fixed_size: 0
    .sgpr_count:     25
    .sgpr_spill_count: 0
    .symbol:         _ZN7rocprim17ROCPRIM_400000_NS6detail17trampoline_kernelINS0_14default_configENS1_38merge_sort_block_merge_config_selectorIlNS0_10empty_typeEEEZZNS1_27merge_sort_block_merge_implIS3_N6thrust23THRUST_200600_302600_NS6detail15normal_iteratorINS9_10device_ptrIlEEEEPS5_m14custom_greaterIlEEE10hipError_tT0_T1_T2_jT3_P12ihipStream_tbPNSt15iterator_traitsISJ_E10value_typeEPNSP_ISK_E10value_typeEPSL_NS1_7vsmem_tEENKUlT_SJ_SK_SL_E_clIPlSE_SF_SF_EESI_SY_SJ_SK_SL_EUlSY_E1_NS1_11comp_targetILNS1_3genE4ELNS1_11target_archE910ELNS1_3gpuE8ELNS1_3repE0EEENS1_36merge_oddeven_config_static_selectorELNS0_4arch9wavefront6targetE1EEEvSK_.kd
    .uniform_work_group_size: 1
    .uses_dynamic_stack: false
    .vgpr_count:     12
    .vgpr_spill_count: 0
    .wavefront_size: 64
  - .agpr_count:     0
    .args:
      - .offset:         0
        .size:           56
        .value_kind:     by_value
    .group_segment_fixed_size: 0
    .kernarg_segment_align: 8
    .kernarg_segment_size: 56
    .language:       OpenCL C
    .language_version:
      - 2
      - 0
    .max_flat_workgroup_size: 256
    .name:           _ZN7rocprim17ROCPRIM_400000_NS6detail17trampoline_kernelINS0_14default_configENS1_38merge_sort_block_merge_config_selectorIlNS0_10empty_typeEEEZZNS1_27merge_sort_block_merge_implIS3_N6thrust23THRUST_200600_302600_NS6detail15normal_iteratorINS9_10device_ptrIlEEEEPS5_m14custom_greaterIlEEE10hipError_tT0_T1_T2_jT3_P12ihipStream_tbPNSt15iterator_traitsISJ_E10value_typeEPNSP_ISK_E10value_typeEPSL_NS1_7vsmem_tEENKUlT_SJ_SK_SL_E_clIPlSE_SF_SF_EESI_SY_SJ_SK_SL_EUlSY_E1_NS1_11comp_targetILNS1_3genE3ELNS1_11target_archE908ELNS1_3gpuE7ELNS1_3repE0EEENS1_36merge_oddeven_config_static_selectorELNS0_4arch9wavefront6targetE1EEEvSK_
    .private_segment_fixed_size: 0
    .sgpr_count:     4
    .sgpr_spill_count: 0
    .symbol:         _ZN7rocprim17ROCPRIM_400000_NS6detail17trampoline_kernelINS0_14default_configENS1_38merge_sort_block_merge_config_selectorIlNS0_10empty_typeEEEZZNS1_27merge_sort_block_merge_implIS3_N6thrust23THRUST_200600_302600_NS6detail15normal_iteratorINS9_10device_ptrIlEEEEPS5_m14custom_greaterIlEEE10hipError_tT0_T1_T2_jT3_P12ihipStream_tbPNSt15iterator_traitsISJ_E10value_typeEPNSP_ISK_E10value_typeEPSL_NS1_7vsmem_tEENKUlT_SJ_SK_SL_E_clIPlSE_SF_SF_EESI_SY_SJ_SK_SL_EUlSY_E1_NS1_11comp_targetILNS1_3genE3ELNS1_11target_archE908ELNS1_3gpuE7ELNS1_3repE0EEENS1_36merge_oddeven_config_static_selectorELNS0_4arch9wavefront6targetE1EEEvSK_.kd
    .uniform_work_group_size: 1
    .uses_dynamic_stack: false
    .vgpr_count:     0
    .vgpr_spill_count: 0
    .wavefront_size: 64
  - .agpr_count:     0
    .args:
      - .offset:         0
        .size:           56
        .value_kind:     by_value
    .group_segment_fixed_size: 0
    .kernarg_segment_align: 8
    .kernarg_segment_size: 56
    .language:       OpenCL C
    .language_version:
      - 2
      - 0
    .max_flat_workgroup_size: 256
    .name:           _ZN7rocprim17ROCPRIM_400000_NS6detail17trampoline_kernelINS0_14default_configENS1_38merge_sort_block_merge_config_selectorIlNS0_10empty_typeEEEZZNS1_27merge_sort_block_merge_implIS3_N6thrust23THRUST_200600_302600_NS6detail15normal_iteratorINS9_10device_ptrIlEEEEPS5_m14custom_greaterIlEEE10hipError_tT0_T1_T2_jT3_P12ihipStream_tbPNSt15iterator_traitsISJ_E10value_typeEPNSP_ISK_E10value_typeEPSL_NS1_7vsmem_tEENKUlT_SJ_SK_SL_E_clIPlSE_SF_SF_EESI_SY_SJ_SK_SL_EUlSY_E1_NS1_11comp_targetILNS1_3genE2ELNS1_11target_archE906ELNS1_3gpuE6ELNS1_3repE0EEENS1_36merge_oddeven_config_static_selectorELNS0_4arch9wavefront6targetE1EEEvSK_
    .private_segment_fixed_size: 0
    .sgpr_count:     4
    .sgpr_spill_count: 0
    .symbol:         _ZN7rocprim17ROCPRIM_400000_NS6detail17trampoline_kernelINS0_14default_configENS1_38merge_sort_block_merge_config_selectorIlNS0_10empty_typeEEEZZNS1_27merge_sort_block_merge_implIS3_N6thrust23THRUST_200600_302600_NS6detail15normal_iteratorINS9_10device_ptrIlEEEEPS5_m14custom_greaterIlEEE10hipError_tT0_T1_T2_jT3_P12ihipStream_tbPNSt15iterator_traitsISJ_E10value_typeEPNSP_ISK_E10value_typeEPSL_NS1_7vsmem_tEENKUlT_SJ_SK_SL_E_clIPlSE_SF_SF_EESI_SY_SJ_SK_SL_EUlSY_E1_NS1_11comp_targetILNS1_3genE2ELNS1_11target_archE906ELNS1_3gpuE6ELNS1_3repE0EEENS1_36merge_oddeven_config_static_selectorELNS0_4arch9wavefront6targetE1EEEvSK_.kd
    .uniform_work_group_size: 1
    .uses_dynamic_stack: false
    .vgpr_count:     0
    .vgpr_spill_count: 0
    .wavefront_size: 64
  - .agpr_count:     0
    .args:
      - .offset:         0
        .size:           56
        .value_kind:     by_value
    .group_segment_fixed_size: 0
    .kernarg_segment_align: 8
    .kernarg_segment_size: 56
    .language:       OpenCL C
    .language_version:
      - 2
      - 0
    .max_flat_workgroup_size: 256
    .name:           _ZN7rocprim17ROCPRIM_400000_NS6detail17trampoline_kernelINS0_14default_configENS1_38merge_sort_block_merge_config_selectorIlNS0_10empty_typeEEEZZNS1_27merge_sort_block_merge_implIS3_N6thrust23THRUST_200600_302600_NS6detail15normal_iteratorINS9_10device_ptrIlEEEEPS5_m14custom_greaterIlEEE10hipError_tT0_T1_T2_jT3_P12ihipStream_tbPNSt15iterator_traitsISJ_E10value_typeEPNSP_ISK_E10value_typeEPSL_NS1_7vsmem_tEENKUlT_SJ_SK_SL_E_clIPlSE_SF_SF_EESI_SY_SJ_SK_SL_EUlSY_E1_NS1_11comp_targetILNS1_3genE9ELNS1_11target_archE1100ELNS1_3gpuE3ELNS1_3repE0EEENS1_36merge_oddeven_config_static_selectorELNS0_4arch9wavefront6targetE1EEEvSK_
    .private_segment_fixed_size: 0
    .sgpr_count:     4
    .sgpr_spill_count: 0
    .symbol:         _ZN7rocprim17ROCPRIM_400000_NS6detail17trampoline_kernelINS0_14default_configENS1_38merge_sort_block_merge_config_selectorIlNS0_10empty_typeEEEZZNS1_27merge_sort_block_merge_implIS3_N6thrust23THRUST_200600_302600_NS6detail15normal_iteratorINS9_10device_ptrIlEEEEPS5_m14custom_greaterIlEEE10hipError_tT0_T1_T2_jT3_P12ihipStream_tbPNSt15iterator_traitsISJ_E10value_typeEPNSP_ISK_E10value_typeEPSL_NS1_7vsmem_tEENKUlT_SJ_SK_SL_E_clIPlSE_SF_SF_EESI_SY_SJ_SK_SL_EUlSY_E1_NS1_11comp_targetILNS1_3genE9ELNS1_11target_archE1100ELNS1_3gpuE3ELNS1_3repE0EEENS1_36merge_oddeven_config_static_selectorELNS0_4arch9wavefront6targetE1EEEvSK_.kd
    .uniform_work_group_size: 1
    .uses_dynamic_stack: false
    .vgpr_count:     0
    .vgpr_spill_count: 0
    .wavefront_size: 64
  - .agpr_count:     0
    .args:
      - .offset:         0
        .size:           56
        .value_kind:     by_value
    .group_segment_fixed_size: 0
    .kernarg_segment_align: 8
    .kernarg_segment_size: 56
    .language:       OpenCL C
    .language_version:
      - 2
      - 0
    .max_flat_workgroup_size: 256
    .name:           _ZN7rocprim17ROCPRIM_400000_NS6detail17trampoline_kernelINS0_14default_configENS1_38merge_sort_block_merge_config_selectorIlNS0_10empty_typeEEEZZNS1_27merge_sort_block_merge_implIS3_N6thrust23THRUST_200600_302600_NS6detail15normal_iteratorINS9_10device_ptrIlEEEEPS5_m14custom_greaterIlEEE10hipError_tT0_T1_T2_jT3_P12ihipStream_tbPNSt15iterator_traitsISJ_E10value_typeEPNSP_ISK_E10value_typeEPSL_NS1_7vsmem_tEENKUlT_SJ_SK_SL_E_clIPlSE_SF_SF_EESI_SY_SJ_SK_SL_EUlSY_E1_NS1_11comp_targetILNS1_3genE8ELNS1_11target_archE1030ELNS1_3gpuE2ELNS1_3repE0EEENS1_36merge_oddeven_config_static_selectorELNS0_4arch9wavefront6targetE1EEEvSK_
    .private_segment_fixed_size: 0
    .sgpr_count:     4
    .sgpr_spill_count: 0
    .symbol:         _ZN7rocprim17ROCPRIM_400000_NS6detail17trampoline_kernelINS0_14default_configENS1_38merge_sort_block_merge_config_selectorIlNS0_10empty_typeEEEZZNS1_27merge_sort_block_merge_implIS3_N6thrust23THRUST_200600_302600_NS6detail15normal_iteratorINS9_10device_ptrIlEEEEPS5_m14custom_greaterIlEEE10hipError_tT0_T1_T2_jT3_P12ihipStream_tbPNSt15iterator_traitsISJ_E10value_typeEPNSP_ISK_E10value_typeEPSL_NS1_7vsmem_tEENKUlT_SJ_SK_SL_E_clIPlSE_SF_SF_EESI_SY_SJ_SK_SL_EUlSY_E1_NS1_11comp_targetILNS1_3genE8ELNS1_11target_archE1030ELNS1_3gpuE2ELNS1_3repE0EEENS1_36merge_oddeven_config_static_selectorELNS0_4arch9wavefront6targetE1EEEvSK_.kd
    .uniform_work_group_size: 1
    .uses_dynamic_stack: false
    .vgpr_count:     0
    .vgpr_spill_count: 0
    .wavefront_size: 64
  - .agpr_count:     0
    .args:
      - .offset:         0
        .size:           48
        .value_kind:     by_value
    .group_segment_fixed_size: 0
    .kernarg_segment_align: 8
    .kernarg_segment_size: 48
    .language:       OpenCL C
    .language_version:
      - 2
      - 0
    .max_flat_workgroup_size: 128
    .name:           _ZN7rocprim17ROCPRIM_400000_NS6detail17trampoline_kernelINS0_14default_configENS1_38merge_sort_block_merge_config_selectorIlNS0_10empty_typeEEEZZNS1_27merge_sort_block_merge_implIS3_N6thrust23THRUST_200600_302600_NS6detail15normal_iteratorINS9_10device_ptrIlEEEEPS5_m14custom_greaterIlEEE10hipError_tT0_T1_T2_jT3_P12ihipStream_tbPNSt15iterator_traitsISJ_E10value_typeEPNSP_ISK_E10value_typeEPSL_NS1_7vsmem_tEENKUlT_SJ_SK_SL_E_clISE_PlSF_SF_EESI_SY_SJ_SK_SL_EUlSY_E_NS1_11comp_targetILNS1_3genE0ELNS1_11target_archE4294967295ELNS1_3gpuE0ELNS1_3repE0EEENS1_48merge_mergepath_partition_config_static_selectorELNS0_4arch9wavefront6targetE1EEEvSK_
    .private_segment_fixed_size: 0
    .sgpr_count:     4
    .sgpr_spill_count: 0
    .symbol:         _ZN7rocprim17ROCPRIM_400000_NS6detail17trampoline_kernelINS0_14default_configENS1_38merge_sort_block_merge_config_selectorIlNS0_10empty_typeEEEZZNS1_27merge_sort_block_merge_implIS3_N6thrust23THRUST_200600_302600_NS6detail15normal_iteratorINS9_10device_ptrIlEEEEPS5_m14custom_greaterIlEEE10hipError_tT0_T1_T2_jT3_P12ihipStream_tbPNSt15iterator_traitsISJ_E10value_typeEPNSP_ISK_E10value_typeEPSL_NS1_7vsmem_tEENKUlT_SJ_SK_SL_E_clISE_PlSF_SF_EESI_SY_SJ_SK_SL_EUlSY_E_NS1_11comp_targetILNS1_3genE0ELNS1_11target_archE4294967295ELNS1_3gpuE0ELNS1_3repE0EEENS1_48merge_mergepath_partition_config_static_selectorELNS0_4arch9wavefront6targetE1EEEvSK_.kd
    .uniform_work_group_size: 1
    .uses_dynamic_stack: false
    .vgpr_count:     0
    .vgpr_spill_count: 0
    .wavefront_size: 64
  - .agpr_count:     0
    .args:
      - .offset:         0
        .size:           48
        .value_kind:     by_value
    .group_segment_fixed_size: 0
    .kernarg_segment_align: 8
    .kernarg_segment_size: 48
    .language:       OpenCL C
    .language_version:
      - 2
      - 0
    .max_flat_workgroup_size: 128
    .name:           _ZN7rocprim17ROCPRIM_400000_NS6detail17trampoline_kernelINS0_14default_configENS1_38merge_sort_block_merge_config_selectorIlNS0_10empty_typeEEEZZNS1_27merge_sort_block_merge_implIS3_N6thrust23THRUST_200600_302600_NS6detail15normal_iteratorINS9_10device_ptrIlEEEEPS5_m14custom_greaterIlEEE10hipError_tT0_T1_T2_jT3_P12ihipStream_tbPNSt15iterator_traitsISJ_E10value_typeEPNSP_ISK_E10value_typeEPSL_NS1_7vsmem_tEENKUlT_SJ_SK_SL_E_clISE_PlSF_SF_EESI_SY_SJ_SK_SL_EUlSY_E_NS1_11comp_targetILNS1_3genE10ELNS1_11target_archE1201ELNS1_3gpuE5ELNS1_3repE0EEENS1_48merge_mergepath_partition_config_static_selectorELNS0_4arch9wavefront6targetE1EEEvSK_
    .private_segment_fixed_size: 0
    .sgpr_count:     4
    .sgpr_spill_count: 0
    .symbol:         _ZN7rocprim17ROCPRIM_400000_NS6detail17trampoline_kernelINS0_14default_configENS1_38merge_sort_block_merge_config_selectorIlNS0_10empty_typeEEEZZNS1_27merge_sort_block_merge_implIS3_N6thrust23THRUST_200600_302600_NS6detail15normal_iteratorINS9_10device_ptrIlEEEEPS5_m14custom_greaterIlEEE10hipError_tT0_T1_T2_jT3_P12ihipStream_tbPNSt15iterator_traitsISJ_E10value_typeEPNSP_ISK_E10value_typeEPSL_NS1_7vsmem_tEENKUlT_SJ_SK_SL_E_clISE_PlSF_SF_EESI_SY_SJ_SK_SL_EUlSY_E_NS1_11comp_targetILNS1_3genE10ELNS1_11target_archE1201ELNS1_3gpuE5ELNS1_3repE0EEENS1_48merge_mergepath_partition_config_static_selectorELNS0_4arch9wavefront6targetE1EEEvSK_.kd
    .uniform_work_group_size: 1
    .uses_dynamic_stack: false
    .vgpr_count:     0
    .vgpr_spill_count: 0
    .wavefront_size: 64
  - .agpr_count:     0
    .args:
      - .offset:         0
        .size:           48
        .value_kind:     by_value
    .group_segment_fixed_size: 0
    .kernarg_segment_align: 8
    .kernarg_segment_size: 48
    .language:       OpenCL C
    .language_version:
      - 2
      - 0
    .max_flat_workgroup_size: 128
    .name:           _ZN7rocprim17ROCPRIM_400000_NS6detail17trampoline_kernelINS0_14default_configENS1_38merge_sort_block_merge_config_selectorIlNS0_10empty_typeEEEZZNS1_27merge_sort_block_merge_implIS3_N6thrust23THRUST_200600_302600_NS6detail15normal_iteratorINS9_10device_ptrIlEEEEPS5_m14custom_greaterIlEEE10hipError_tT0_T1_T2_jT3_P12ihipStream_tbPNSt15iterator_traitsISJ_E10value_typeEPNSP_ISK_E10value_typeEPSL_NS1_7vsmem_tEENKUlT_SJ_SK_SL_E_clISE_PlSF_SF_EESI_SY_SJ_SK_SL_EUlSY_E_NS1_11comp_targetILNS1_3genE5ELNS1_11target_archE942ELNS1_3gpuE9ELNS1_3repE0EEENS1_48merge_mergepath_partition_config_static_selectorELNS0_4arch9wavefront6targetE1EEEvSK_
    .private_segment_fixed_size: 0
    .sgpr_count:     4
    .sgpr_spill_count: 0
    .symbol:         _ZN7rocprim17ROCPRIM_400000_NS6detail17trampoline_kernelINS0_14default_configENS1_38merge_sort_block_merge_config_selectorIlNS0_10empty_typeEEEZZNS1_27merge_sort_block_merge_implIS3_N6thrust23THRUST_200600_302600_NS6detail15normal_iteratorINS9_10device_ptrIlEEEEPS5_m14custom_greaterIlEEE10hipError_tT0_T1_T2_jT3_P12ihipStream_tbPNSt15iterator_traitsISJ_E10value_typeEPNSP_ISK_E10value_typeEPSL_NS1_7vsmem_tEENKUlT_SJ_SK_SL_E_clISE_PlSF_SF_EESI_SY_SJ_SK_SL_EUlSY_E_NS1_11comp_targetILNS1_3genE5ELNS1_11target_archE942ELNS1_3gpuE9ELNS1_3repE0EEENS1_48merge_mergepath_partition_config_static_selectorELNS0_4arch9wavefront6targetE1EEEvSK_.kd
    .uniform_work_group_size: 1
    .uses_dynamic_stack: false
    .vgpr_count:     0
    .vgpr_spill_count: 0
    .wavefront_size: 64
  - .agpr_count:     0
    .args:
      - .offset:         0
        .size:           48
        .value_kind:     by_value
    .group_segment_fixed_size: 0
    .kernarg_segment_align: 8
    .kernarg_segment_size: 48
    .language:       OpenCL C
    .language_version:
      - 2
      - 0
    .max_flat_workgroup_size: 128
    .name:           _ZN7rocprim17ROCPRIM_400000_NS6detail17trampoline_kernelINS0_14default_configENS1_38merge_sort_block_merge_config_selectorIlNS0_10empty_typeEEEZZNS1_27merge_sort_block_merge_implIS3_N6thrust23THRUST_200600_302600_NS6detail15normal_iteratorINS9_10device_ptrIlEEEEPS5_m14custom_greaterIlEEE10hipError_tT0_T1_T2_jT3_P12ihipStream_tbPNSt15iterator_traitsISJ_E10value_typeEPNSP_ISK_E10value_typeEPSL_NS1_7vsmem_tEENKUlT_SJ_SK_SL_E_clISE_PlSF_SF_EESI_SY_SJ_SK_SL_EUlSY_E_NS1_11comp_targetILNS1_3genE4ELNS1_11target_archE910ELNS1_3gpuE8ELNS1_3repE0EEENS1_48merge_mergepath_partition_config_static_selectorELNS0_4arch9wavefront6targetE1EEEvSK_
    .private_segment_fixed_size: 0
    .sgpr_count:     12
    .sgpr_spill_count: 0
    .symbol:         _ZN7rocprim17ROCPRIM_400000_NS6detail17trampoline_kernelINS0_14default_configENS1_38merge_sort_block_merge_config_selectorIlNS0_10empty_typeEEEZZNS1_27merge_sort_block_merge_implIS3_N6thrust23THRUST_200600_302600_NS6detail15normal_iteratorINS9_10device_ptrIlEEEEPS5_m14custom_greaterIlEEE10hipError_tT0_T1_T2_jT3_P12ihipStream_tbPNSt15iterator_traitsISJ_E10value_typeEPNSP_ISK_E10value_typeEPSL_NS1_7vsmem_tEENKUlT_SJ_SK_SL_E_clISE_PlSF_SF_EESI_SY_SJ_SK_SL_EUlSY_E_NS1_11comp_targetILNS1_3genE4ELNS1_11target_archE910ELNS1_3gpuE8ELNS1_3repE0EEENS1_48merge_mergepath_partition_config_static_selectorELNS0_4arch9wavefront6targetE1EEEvSK_.kd
    .uniform_work_group_size: 1
    .uses_dynamic_stack: false
    .vgpr_count:     22
    .vgpr_spill_count: 0
    .wavefront_size: 64
  - .agpr_count:     0
    .args:
      - .offset:         0
        .size:           48
        .value_kind:     by_value
    .group_segment_fixed_size: 0
    .kernarg_segment_align: 8
    .kernarg_segment_size: 48
    .language:       OpenCL C
    .language_version:
      - 2
      - 0
    .max_flat_workgroup_size: 128
    .name:           _ZN7rocprim17ROCPRIM_400000_NS6detail17trampoline_kernelINS0_14default_configENS1_38merge_sort_block_merge_config_selectorIlNS0_10empty_typeEEEZZNS1_27merge_sort_block_merge_implIS3_N6thrust23THRUST_200600_302600_NS6detail15normal_iteratorINS9_10device_ptrIlEEEEPS5_m14custom_greaterIlEEE10hipError_tT0_T1_T2_jT3_P12ihipStream_tbPNSt15iterator_traitsISJ_E10value_typeEPNSP_ISK_E10value_typeEPSL_NS1_7vsmem_tEENKUlT_SJ_SK_SL_E_clISE_PlSF_SF_EESI_SY_SJ_SK_SL_EUlSY_E_NS1_11comp_targetILNS1_3genE3ELNS1_11target_archE908ELNS1_3gpuE7ELNS1_3repE0EEENS1_48merge_mergepath_partition_config_static_selectorELNS0_4arch9wavefront6targetE1EEEvSK_
    .private_segment_fixed_size: 0
    .sgpr_count:     4
    .sgpr_spill_count: 0
    .symbol:         _ZN7rocprim17ROCPRIM_400000_NS6detail17trampoline_kernelINS0_14default_configENS1_38merge_sort_block_merge_config_selectorIlNS0_10empty_typeEEEZZNS1_27merge_sort_block_merge_implIS3_N6thrust23THRUST_200600_302600_NS6detail15normal_iteratorINS9_10device_ptrIlEEEEPS5_m14custom_greaterIlEEE10hipError_tT0_T1_T2_jT3_P12ihipStream_tbPNSt15iterator_traitsISJ_E10value_typeEPNSP_ISK_E10value_typeEPSL_NS1_7vsmem_tEENKUlT_SJ_SK_SL_E_clISE_PlSF_SF_EESI_SY_SJ_SK_SL_EUlSY_E_NS1_11comp_targetILNS1_3genE3ELNS1_11target_archE908ELNS1_3gpuE7ELNS1_3repE0EEENS1_48merge_mergepath_partition_config_static_selectorELNS0_4arch9wavefront6targetE1EEEvSK_.kd
    .uniform_work_group_size: 1
    .uses_dynamic_stack: false
    .vgpr_count:     0
    .vgpr_spill_count: 0
    .wavefront_size: 64
  - .agpr_count:     0
    .args:
      - .offset:         0
        .size:           48
        .value_kind:     by_value
    .group_segment_fixed_size: 0
    .kernarg_segment_align: 8
    .kernarg_segment_size: 48
    .language:       OpenCL C
    .language_version:
      - 2
      - 0
    .max_flat_workgroup_size: 128
    .name:           _ZN7rocprim17ROCPRIM_400000_NS6detail17trampoline_kernelINS0_14default_configENS1_38merge_sort_block_merge_config_selectorIlNS0_10empty_typeEEEZZNS1_27merge_sort_block_merge_implIS3_N6thrust23THRUST_200600_302600_NS6detail15normal_iteratorINS9_10device_ptrIlEEEEPS5_m14custom_greaterIlEEE10hipError_tT0_T1_T2_jT3_P12ihipStream_tbPNSt15iterator_traitsISJ_E10value_typeEPNSP_ISK_E10value_typeEPSL_NS1_7vsmem_tEENKUlT_SJ_SK_SL_E_clISE_PlSF_SF_EESI_SY_SJ_SK_SL_EUlSY_E_NS1_11comp_targetILNS1_3genE2ELNS1_11target_archE906ELNS1_3gpuE6ELNS1_3repE0EEENS1_48merge_mergepath_partition_config_static_selectorELNS0_4arch9wavefront6targetE1EEEvSK_
    .private_segment_fixed_size: 0
    .sgpr_count:     4
    .sgpr_spill_count: 0
    .symbol:         _ZN7rocprim17ROCPRIM_400000_NS6detail17trampoline_kernelINS0_14default_configENS1_38merge_sort_block_merge_config_selectorIlNS0_10empty_typeEEEZZNS1_27merge_sort_block_merge_implIS3_N6thrust23THRUST_200600_302600_NS6detail15normal_iteratorINS9_10device_ptrIlEEEEPS5_m14custom_greaterIlEEE10hipError_tT0_T1_T2_jT3_P12ihipStream_tbPNSt15iterator_traitsISJ_E10value_typeEPNSP_ISK_E10value_typeEPSL_NS1_7vsmem_tEENKUlT_SJ_SK_SL_E_clISE_PlSF_SF_EESI_SY_SJ_SK_SL_EUlSY_E_NS1_11comp_targetILNS1_3genE2ELNS1_11target_archE906ELNS1_3gpuE6ELNS1_3repE0EEENS1_48merge_mergepath_partition_config_static_selectorELNS0_4arch9wavefront6targetE1EEEvSK_.kd
    .uniform_work_group_size: 1
    .uses_dynamic_stack: false
    .vgpr_count:     0
    .vgpr_spill_count: 0
    .wavefront_size: 64
  - .agpr_count:     0
    .args:
      - .offset:         0
        .size:           48
        .value_kind:     by_value
    .group_segment_fixed_size: 0
    .kernarg_segment_align: 8
    .kernarg_segment_size: 48
    .language:       OpenCL C
    .language_version:
      - 2
      - 0
    .max_flat_workgroup_size: 128
    .name:           _ZN7rocprim17ROCPRIM_400000_NS6detail17trampoline_kernelINS0_14default_configENS1_38merge_sort_block_merge_config_selectorIlNS0_10empty_typeEEEZZNS1_27merge_sort_block_merge_implIS3_N6thrust23THRUST_200600_302600_NS6detail15normal_iteratorINS9_10device_ptrIlEEEEPS5_m14custom_greaterIlEEE10hipError_tT0_T1_T2_jT3_P12ihipStream_tbPNSt15iterator_traitsISJ_E10value_typeEPNSP_ISK_E10value_typeEPSL_NS1_7vsmem_tEENKUlT_SJ_SK_SL_E_clISE_PlSF_SF_EESI_SY_SJ_SK_SL_EUlSY_E_NS1_11comp_targetILNS1_3genE9ELNS1_11target_archE1100ELNS1_3gpuE3ELNS1_3repE0EEENS1_48merge_mergepath_partition_config_static_selectorELNS0_4arch9wavefront6targetE1EEEvSK_
    .private_segment_fixed_size: 0
    .sgpr_count:     4
    .sgpr_spill_count: 0
    .symbol:         _ZN7rocprim17ROCPRIM_400000_NS6detail17trampoline_kernelINS0_14default_configENS1_38merge_sort_block_merge_config_selectorIlNS0_10empty_typeEEEZZNS1_27merge_sort_block_merge_implIS3_N6thrust23THRUST_200600_302600_NS6detail15normal_iteratorINS9_10device_ptrIlEEEEPS5_m14custom_greaterIlEEE10hipError_tT0_T1_T2_jT3_P12ihipStream_tbPNSt15iterator_traitsISJ_E10value_typeEPNSP_ISK_E10value_typeEPSL_NS1_7vsmem_tEENKUlT_SJ_SK_SL_E_clISE_PlSF_SF_EESI_SY_SJ_SK_SL_EUlSY_E_NS1_11comp_targetILNS1_3genE9ELNS1_11target_archE1100ELNS1_3gpuE3ELNS1_3repE0EEENS1_48merge_mergepath_partition_config_static_selectorELNS0_4arch9wavefront6targetE1EEEvSK_.kd
    .uniform_work_group_size: 1
    .uses_dynamic_stack: false
    .vgpr_count:     0
    .vgpr_spill_count: 0
    .wavefront_size: 64
  - .agpr_count:     0
    .args:
      - .offset:         0
        .size:           48
        .value_kind:     by_value
    .group_segment_fixed_size: 0
    .kernarg_segment_align: 8
    .kernarg_segment_size: 48
    .language:       OpenCL C
    .language_version:
      - 2
      - 0
    .max_flat_workgroup_size: 128
    .name:           _ZN7rocprim17ROCPRIM_400000_NS6detail17trampoline_kernelINS0_14default_configENS1_38merge_sort_block_merge_config_selectorIlNS0_10empty_typeEEEZZNS1_27merge_sort_block_merge_implIS3_N6thrust23THRUST_200600_302600_NS6detail15normal_iteratorINS9_10device_ptrIlEEEEPS5_m14custom_greaterIlEEE10hipError_tT0_T1_T2_jT3_P12ihipStream_tbPNSt15iterator_traitsISJ_E10value_typeEPNSP_ISK_E10value_typeEPSL_NS1_7vsmem_tEENKUlT_SJ_SK_SL_E_clISE_PlSF_SF_EESI_SY_SJ_SK_SL_EUlSY_E_NS1_11comp_targetILNS1_3genE8ELNS1_11target_archE1030ELNS1_3gpuE2ELNS1_3repE0EEENS1_48merge_mergepath_partition_config_static_selectorELNS0_4arch9wavefront6targetE1EEEvSK_
    .private_segment_fixed_size: 0
    .sgpr_count:     4
    .sgpr_spill_count: 0
    .symbol:         _ZN7rocprim17ROCPRIM_400000_NS6detail17trampoline_kernelINS0_14default_configENS1_38merge_sort_block_merge_config_selectorIlNS0_10empty_typeEEEZZNS1_27merge_sort_block_merge_implIS3_N6thrust23THRUST_200600_302600_NS6detail15normal_iteratorINS9_10device_ptrIlEEEEPS5_m14custom_greaterIlEEE10hipError_tT0_T1_T2_jT3_P12ihipStream_tbPNSt15iterator_traitsISJ_E10value_typeEPNSP_ISK_E10value_typeEPSL_NS1_7vsmem_tEENKUlT_SJ_SK_SL_E_clISE_PlSF_SF_EESI_SY_SJ_SK_SL_EUlSY_E_NS1_11comp_targetILNS1_3genE8ELNS1_11target_archE1030ELNS1_3gpuE2ELNS1_3repE0EEENS1_48merge_mergepath_partition_config_static_selectorELNS0_4arch9wavefront6targetE1EEEvSK_.kd
    .uniform_work_group_size: 1
    .uses_dynamic_stack: false
    .vgpr_count:     0
    .vgpr_spill_count: 0
    .wavefront_size: 64
  - .agpr_count:     0
    .args:
      - .offset:         0
        .size:           72
        .value_kind:     by_value
    .group_segment_fixed_size: 0
    .kernarg_segment_align: 8
    .kernarg_segment_size: 72
    .language:       OpenCL C
    .language_version:
      - 2
      - 0
    .max_flat_workgroup_size: 128
    .name:           _ZN7rocprim17ROCPRIM_400000_NS6detail17trampoline_kernelINS0_14default_configENS1_38merge_sort_block_merge_config_selectorIlNS0_10empty_typeEEEZZNS1_27merge_sort_block_merge_implIS3_N6thrust23THRUST_200600_302600_NS6detail15normal_iteratorINS9_10device_ptrIlEEEEPS5_m14custom_greaterIlEEE10hipError_tT0_T1_T2_jT3_P12ihipStream_tbPNSt15iterator_traitsISJ_E10value_typeEPNSP_ISK_E10value_typeEPSL_NS1_7vsmem_tEENKUlT_SJ_SK_SL_E_clISE_PlSF_SF_EESI_SY_SJ_SK_SL_EUlSY_E0_NS1_11comp_targetILNS1_3genE0ELNS1_11target_archE4294967295ELNS1_3gpuE0ELNS1_3repE0EEENS1_38merge_mergepath_config_static_selectorELNS0_4arch9wavefront6targetE1EEEvSK_
    .private_segment_fixed_size: 0
    .sgpr_count:     4
    .sgpr_spill_count: 0
    .symbol:         _ZN7rocprim17ROCPRIM_400000_NS6detail17trampoline_kernelINS0_14default_configENS1_38merge_sort_block_merge_config_selectorIlNS0_10empty_typeEEEZZNS1_27merge_sort_block_merge_implIS3_N6thrust23THRUST_200600_302600_NS6detail15normal_iteratorINS9_10device_ptrIlEEEEPS5_m14custom_greaterIlEEE10hipError_tT0_T1_T2_jT3_P12ihipStream_tbPNSt15iterator_traitsISJ_E10value_typeEPNSP_ISK_E10value_typeEPSL_NS1_7vsmem_tEENKUlT_SJ_SK_SL_E_clISE_PlSF_SF_EESI_SY_SJ_SK_SL_EUlSY_E0_NS1_11comp_targetILNS1_3genE0ELNS1_11target_archE4294967295ELNS1_3gpuE0ELNS1_3repE0EEENS1_38merge_mergepath_config_static_selectorELNS0_4arch9wavefront6targetE1EEEvSK_.kd
    .uniform_work_group_size: 1
    .uses_dynamic_stack: false
    .vgpr_count:     0
    .vgpr_spill_count: 0
    .wavefront_size: 64
  - .agpr_count:     0
    .args:
      - .offset:         0
        .size:           72
        .value_kind:     by_value
    .group_segment_fixed_size: 0
    .kernarg_segment_align: 8
    .kernarg_segment_size: 72
    .language:       OpenCL C
    .language_version:
      - 2
      - 0
    .max_flat_workgroup_size: 512
    .name:           _ZN7rocprim17ROCPRIM_400000_NS6detail17trampoline_kernelINS0_14default_configENS1_38merge_sort_block_merge_config_selectorIlNS0_10empty_typeEEEZZNS1_27merge_sort_block_merge_implIS3_N6thrust23THRUST_200600_302600_NS6detail15normal_iteratorINS9_10device_ptrIlEEEEPS5_m14custom_greaterIlEEE10hipError_tT0_T1_T2_jT3_P12ihipStream_tbPNSt15iterator_traitsISJ_E10value_typeEPNSP_ISK_E10value_typeEPSL_NS1_7vsmem_tEENKUlT_SJ_SK_SL_E_clISE_PlSF_SF_EESI_SY_SJ_SK_SL_EUlSY_E0_NS1_11comp_targetILNS1_3genE10ELNS1_11target_archE1201ELNS1_3gpuE5ELNS1_3repE0EEENS1_38merge_mergepath_config_static_selectorELNS0_4arch9wavefront6targetE1EEEvSK_
    .private_segment_fixed_size: 0
    .sgpr_count:     4
    .sgpr_spill_count: 0
    .symbol:         _ZN7rocprim17ROCPRIM_400000_NS6detail17trampoline_kernelINS0_14default_configENS1_38merge_sort_block_merge_config_selectorIlNS0_10empty_typeEEEZZNS1_27merge_sort_block_merge_implIS3_N6thrust23THRUST_200600_302600_NS6detail15normal_iteratorINS9_10device_ptrIlEEEEPS5_m14custom_greaterIlEEE10hipError_tT0_T1_T2_jT3_P12ihipStream_tbPNSt15iterator_traitsISJ_E10value_typeEPNSP_ISK_E10value_typeEPSL_NS1_7vsmem_tEENKUlT_SJ_SK_SL_E_clISE_PlSF_SF_EESI_SY_SJ_SK_SL_EUlSY_E0_NS1_11comp_targetILNS1_3genE10ELNS1_11target_archE1201ELNS1_3gpuE5ELNS1_3repE0EEENS1_38merge_mergepath_config_static_selectorELNS0_4arch9wavefront6targetE1EEEvSK_.kd
    .uniform_work_group_size: 1
    .uses_dynamic_stack: false
    .vgpr_count:     0
    .vgpr_spill_count: 0
    .wavefront_size: 64
  - .agpr_count:     0
    .args:
      - .offset:         0
        .size:           72
        .value_kind:     by_value
    .group_segment_fixed_size: 0
    .kernarg_segment_align: 8
    .kernarg_segment_size: 72
    .language:       OpenCL C
    .language_version:
      - 2
      - 0
    .max_flat_workgroup_size: 128
    .name:           _ZN7rocprim17ROCPRIM_400000_NS6detail17trampoline_kernelINS0_14default_configENS1_38merge_sort_block_merge_config_selectorIlNS0_10empty_typeEEEZZNS1_27merge_sort_block_merge_implIS3_N6thrust23THRUST_200600_302600_NS6detail15normal_iteratorINS9_10device_ptrIlEEEEPS5_m14custom_greaterIlEEE10hipError_tT0_T1_T2_jT3_P12ihipStream_tbPNSt15iterator_traitsISJ_E10value_typeEPNSP_ISK_E10value_typeEPSL_NS1_7vsmem_tEENKUlT_SJ_SK_SL_E_clISE_PlSF_SF_EESI_SY_SJ_SK_SL_EUlSY_E0_NS1_11comp_targetILNS1_3genE5ELNS1_11target_archE942ELNS1_3gpuE9ELNS1_3repE0EEENS1_38merge_mergepath_config_static_selectorELNS0_4arch9wavefront6targetE1EEEvSK_
    .private_segment_fixed_size: 0
    .sgpr_count:     4
    .sgpr_spill_count: 0
    .symbol:         _ZN7rocprim17ROCPRIM_400000_NS6detail17trampoline_kernelINS0_14default_configENS1_38merge_sort_block_merge_config_selectorIlNS0_10empty_typeEEEZZNS1_27merge_sort_block_merge_implIS3_N6thrust23THRUST_200600_302600_NS6detail15normal_iteratorINS9_10device_ptrIlEEEEPS5_m14custom_greaterIlEEE10hipError_tT0_T1_T2_jT3_P12ihipStream_tbPNSt15iterator_traitsISJ_E10value_typeEPNSP_ISK_E10value_typeEPSL_NS1_7vsmem_tEENKUlT_SJ_SK_SL_E_clISE_PlSF_SF_EESI_SY_SJ_SK_SL_EUlSY_E0_NS1_11comp_targetILNS1_3genE5ELNS1_11target_archE942ELNS1_3gpuE9ELNS1_3repE0EEENS1_38merge_mergepath_config_static_selectorELNS0_4arch9wavefront6targetE1EEEvSK_.kd
    .uniform_work_group_size: 1
    .uses_dynamic_stack: false
    .vgpr_count:     0
    .vgpr_spill_count: 0
    .wavefront_size: 64
  - .agpr_count:     0
    .args:
      - .offset:         0
        .size:           72
        .value_kind:     by_value
      - .offset:         72
        .size:           4
        .value_kind:     hidden_block_count_x
      - .offset:         76
        .size:           4
        .value_kind:     hidden_block_count_y
      - .offset:         80
        .size:           4
        .value_kind:     hidden_block_count_z
      - .offset:         84
        .size:           2
        .value_kind:     hidden_group_size_x
      - .offset:         86
        .size:           2
        .value_kind:     hidden_group_size_y
      - .offset:         88
        .size:           2
        .value_kind:     hidden_group_size_z
      - .offset:         90
        .size:           2
        .value_kind:     hidden_remainder_x
      - .offset:         92
        .size:           2
        .value_kind:     hidden_remainder_y
      - .offset:         94
        .size:           2
        .value_kind:     hidden_remainder_z
      - .offset:         112
        .size:           8
        .value_kind:     hidden_global_offset_x
      - .offset:         120
        .size:           8
        .value_kind:     hidden_global_offset_y
      - .offset:         128
        .size:           8
        .value_kind:     hidden_global_offset_z
      - .offset:         136
        .size:           2
        .value_kind:     hidden_grid_dims
    .group_segment_fixed_size: 8448
    .kernarg_segment_align: 8
    .kernarg_segment_size: 328
    .language:       OpenCL C
    .language_version:
      - 2
      - 0
    .max_flat_workgroup_size: 256
    .name:           _ZN7rocprim17ROCPRIM_400000_NS6detail17trampoline_kernelINS0_14default_configENS1_38merge_sort_block_merge_config_selectorIlNS0_10empty_typeEEEZZNS1_27merge_sort_block_merge_implIS3_N6thrust23THRUST_200600_302600_NS6detail15normal_iteratorINS9_10device_ptrIlEEEEPS5_m14custom_greaterIlEEE10hipError_tT0_T1_T2_jT3_P12ihipStream_tbPNSt15iterator_traitsISJ_E10value_typeEPNSP_ISK_E10value_typeEPSL_NS1_7vsmem_tEENKUlT_SJ_SK_SL_E_clISE_PlSF_SF_EESI_SY_SJ_SK_SL_EUlSY_E0_NS1_11comp_targetILNS1_3genE4ELNS1_11target_archE910ELNS1_3gpuE8ELNS1_3repE0EEENS1_38merge_mergepath_config_static_selectorELNS0_4arch9wavefront6targetE1EEEvSK_
    .private_segment_fixed_size: 0
    .sgpr_count:     35
    .sgpr_spill_count: 0
    .symbol:         _ZN7rocprim17ROCPRIM_400000_NS6detail17trampoline_kernelINS0_14default_configENS1_38merge_sort_block_merge_config_selectorIlNS0_10empty_typeEEEZZNS1_27merge_sort_block_merge_implIS3_N6thrust23THRUST_200600_302600_NS6detail15normal_iteratorINS9_10device_ptrIlEEEEPS5_m14custom_greaterIlEEE10hipError_tT0_T1_T2_jT3_P12ihipStream_tbPNSt15iterator_traitsISJ_E10value_typeEPNSP_ISK_E10value_typeEPSL_NS1_7vsmem_tEENKUlT_SJ_SK_SL_E_clISE_PlSF_SF_EESI_SY_SJ_SK_SL_EUlSY_E0_NS1_11comp_targetILNS1_3genE4ELNS1_11target_archE910ELNS1_3gpuE8ELNS1_3repE0EEENS1_38merge_mergepath_config_static_selectorELNS0_4arch9wavefront6targetE1EEEvSK_.kd
    .uniform_work_group_size: 1
    .uses_dynamic_stack: false
    .vgpr_count:     22
    .vgpr_spill_count: 0
    .wavefront_size: 64
  - .agpr_count:     0
    .args:
      - .offset:         0
        .size:           72
        .value_kind:     by_value
    .group_segment_fixed_size: 0
    .kernarg_segment_align: 8
    .kernarg_segment_size: 72
    .language:       OpenCL C
    .language_version:
      - 2
      - 0
    .max_flat_workgroup_size: 128
    .name:           _ZN7rocprim17ROCPRIM_400000_NS6detail17trampoline_kernelINS0_14default_configENS1_38merge_sort_block_merge_config_selectorIlNS0_10empty_typeEEEZZNS1_27merge_sort_block_merge_implIS3_N6thrust23THRUST_200600_302600_NS6detail15normal_iteratorINS9_10device_ptrIlEEEEPS5_m14custom_greaterIlEEE10hipError_tT0_T1_T2_jT3_P12ihipStream_tbPNSt15iterator_traitsISJ_E10value_typeEPNSP_ISK_E10value_typeEPSL_NS1_7vsmem_tEENKUlT_SJ_SK_SL_E_clISE_PlSF_SF_EESI_SY_SJ_SK_SL_EUlSY_E0_NS1_11comp_targetILNS1_3genE3ELNS1_11target_archE908ELNS1_3gpuE7ELNS1_3repE0EEENS1_38merge_mergepath_config_static_selectorELNS0_4arch9wavefront6targetE1EEEvSK_
    .private_segment_fixed_size: 0
    .sgpr_count:     4
    .sgpr_spill_count: 0
    .symbol:         _ZN7rocprim17ROCPRIM_400000_NS6detail17trampoline_kernelINS0_14default_configENS1_38merge_sort_block_merge_config_selectorIlNS0_10empty_typeEEEZZNS1_27merge_sort_block_merge_implIS3_N6thrust23THRUST_200600_302600_NS6detail15normal_iteratorINS9_10device_ptrIlEEEEPS5_m14custom_greaterIlEEE10hipError_tT0_T1_T2_jT3_P12ihipStream_tbPNSt15iterator_traitsISJ_E10value_typeEPNSP_ISK_E10value_typeEPSL_NS1_7vsmem_tEENKUlT_SJ_SK_SL_E_clISE_PlSF_SF_EESI_SY_SJ_SK_SL_EUlSY_E0_NS1_11comp_targetILNS1_3genE3ELNS1_11target_archE908ELNS1_3gpuE7ELNS1_3repE0EEENS1_38merge_mergepath_config_static_selectorELNS0_4arch9wavefront6targetE1EEEvSK_.kd
    .uniform_work_group_size: 1
    .uses_dynamic_stack: false
    .vgpr_count:     0
    .vgpr_spill_count: 0
    .wavefront_size: 64
  - .agpr_count:     0
    .args:
      - .offset:         0
        .size:           72
        .value_kind:     by_value
    .group_segment_fixed_size: 0
    .kernarg_segment_align: 8
    .kernarg_segment_size: 72
    .language:       OpenCL C
    .language_version:
      - 2
      - 0
    .max_flat_workgroup_size: 256
    .name:           _ZN7rocprim17ROCPRIM_400000_NS6detail17trampoline_kernelINS0_14default_configENS1_38merge_sort_block_merge_config_selectorIlNS0_10empty_typeEEEZZNS1_27merge_sort_block_merge_implIS3_N6thrust23THRUST_200600_302600_NS6detail15normal_iteratorINS9_10device_ptrIlEEEEPS5_m14custom_greaterIlEEE10hipError_tT0_T1_T2_jT3_P12ihipStream_tbPNSt15iterator_traitsISJ_E10value_typeEPNSP_ISK_E10value_typeEPSL_NS1_7vsmem_tEENKUlT_SJ_SK_SL_E_clISE_PlSF_SF_EESI_SY_SJ_SK_SL_EUlSY_E0_NS1_11comp_targetILNS1_3genE2ELNS1_11target_archE906ELNS1_3gpuE6ELNS1_3repE0EEENS1_38merge_mergepath_config_static_selectorELNS0_4arch9wavefront6targetE1EEEvSK_
    .private_segment_fixed_size: 0
    .sgpr_count:     4
    .sgpr_spill_count: 0
    .symbol:         _ZN7rocprim17ROCPRIM_400000_NS6detail17trampoline_kernelINS0_14default_configENS1_38merge_sort_block_merge_config_selectorIlNS0_10empty_typeEEEZZNS1_27merge_sort_block_merge_implIS3_N6thrust23THRUST_200600_302600_NS6detail15normal_iteratorINS9_10device_ptrIlEEEEPS5_m14custom_greaterIlEEE10hipError_tT0_T1_T2_jT3_P12ihipStream_tbPNSt15iterator_traitsISJ_E10value_typeEPNSP_ISK_E10value_typeEPSL_NS1_7vsmem_tEENKUlT_SJ_SK_SL_E_clISE_PlSF_SF_EESI_SY_SJ_SK_SL_EUlSY_E0_NS1_11comp_targetILNS1_3genE2ELNS1_11target_archE906ELNS1_3gpuE6ELNS1_3repE0EEENS1_38merge_mergepath_config_static_selectorELNS0_4arch9wavefront6targetE1EEEvSK_.kd
    .uniform_work_group_size: 1
    .uses_dynamic_stack: false
    .vgpr_count:     0
    .vgpr_spill_count: 0
    .wavefront_size: 64
  - .agpr_count:     0
    .args:
      - .offset:         0
        .size:           72
        .value_kind:     by_value
    .group_segment_fixed_size: 0
    .kernarg_segment_align: 8
    .kernarg_segment_size: 72
    .language:       OpenCL C
    .language_version:
      - 2
      - 0
    .max_flat_workgroup_size: 512
    .name:           _ZN7rocprim17ROCPRIM_400000_NS6detail17trampoline_kernelINS0_14default_configENS1_38merge_sort_block_merge_config_selectorIlNS0_10empty_typeEEEZZNS1_27merge_sort_block_merge_implIS3_N6thrust23THRUST_200600_302600_NS6detail15normal_iteratorINS9_10device_ptrIlEEEEPS5_m14custom_greaterIlEEE10hipError_tT0_T1_T2_jT3_P12ihipStream_tbPNSt15iterator_traitsISJ_E10value_typeEPNSP_ISK_E10value_typeEPSL_NS1_7vsmem_tEENKUlT_SJ_SK_SL_E_clISE_PlSF_SF_EESI_SY_SJ_SK_SL_EUlSY_E0_NS1_11comp_targetILNS1_3genE9ELNS1_11target_archE1100ELNS1_3gpuE3ELNS1_3repE0EEENS1_38merge_mergepath_config_static_selectorELNS0_4arch9wavefront6targetE1EEEvSK_
    .private_segment_fixed_size: 0
    .sgpr_count:     4
    .sgpr_spill_count: 0
    .symbol:         _ZN7rocprim17ROCPRIM_400000_NS6detail17trampoline_kernelINS0_14default_configENS1_38merge_sort_block_merge_config_selectorIlNS0_10empty_typeEEEZZNS1_27merge_sort_block_merge_implIS3_N6thrust23THRUST_200600_302600_NS6detail15normal_iteratorINS9_10device_ptrIlEEEEPS5_m14custom_greaterIlEEE10hipError_tT0_T1_T2_jT3_P12ihipStream_tbPNSt15iterator_traitsISJ_E10value_typeEPNSP_ISK_E10value_typeEPSL_NS1_7vsmem_tEENKUlT_SJ_SK_SL_E_clISE_PlSF_SF_EESI_SY_SJ_SK_SL_EUlSY_E0_NS1_11comp_targetILNS1_3genE9ELNS1_11target_archE1100ELNS1_3gpuE3ELNS1_3repE0EEENS1_38merge_mergepath_config_static_selectorELNS0_4arch9wavefront6targetE1EEEvSK_.kd
    .uniform_work_group_size: 1
    .uses_dynamic_stack: false
    .vgpr_count:     0
    .vgpr_spill_count: 0
    .wavefront_size: 64
  - .agpr_count:     0
    .args:
      - .offset:         0
        .size:           72
        .value_kind:     by_value
    .group_segment_fixed_size: 0
    .kernarg_segment_align: 8
    .kernarg_segment_size: 72
    .language:       OpenCL C
    .language_version:
      - 2
      - 0
    .max_flat_workgroup_size: 1024
    .name:           _ZN7rocprim17ROCPRIM_400000_NS6detail17trampoline_kernelINS0_14default_configENS1_38merge_sort_block_merge_config_selectorIlNS0_10empty_typeEEEZZNS1_27merge_sort_block_merge_implIS3_N6thrust23THRUST_200600_302600_NS6detail15normal_iteratorINS9_10device_ptrIlEEEEPS5_m14custom_greaterIlEEE10hipError_tT0_T1_T2_jT3_P12ihipStream_tbPNSt15iterator_traitsISJ_E10value_typeEPNSP_ISK_E10value_typeEPSL_NS1_7vsmem_tEENKUlT_SJ_SK_SL_E_clISE_PlSF_SF_EESI_SY_SJ_SK_SL_EUlSY_E0_NS1_11comp_targetILNS1_3genE8ELNS1_11target_archE1030ELNS1_3gpuE2ELNS1_3repE0EEENS1_38merge_mergepath_config_static_selectorELNS0_4arch9wavefront6targetE1EEEvSK_
    .private_segment_fixed_size: 0
    .sgpr_count:     4
    .sgpr_spill_count: 0
    .symbol:         _ZN7rocprim17ROCPRIM_400000_NS6detail17trampoline_kernelINS0_14default_configENS1_38merge_sort_block_merge_config_selectorIlNS0_10empty_typeEEEZZNS1_27merge_sort_block_merge_implIS3_N6thrust23THRUST_200600_302600_NS6detail15normal_iteratorINS9_10device_ptrIlEEEEPS5_m14custom_greaterIlEEE10hipError_tT0_T1_T2_jT3_P12ihipStream_tbPNSt15iterator_traitsISJ_E10value_typeEPNSP_ISK_E10value_typeEPSL_NS1_7vsmem_tEENKUlT_SJ_SK_SL_E_clISE_PlSF_SF_EESI_SY_SJ_SK_SL_EUlSY_E0_NS1_11comp_targetILNS1_3genE8ELNS1_11target_archE1030ELNS1_3gpuE2ELNS1_3repE0EEENS1_38merge_mergepath_config_static_selectorELNS0_4arch9wavefront6targetE1EEEvSK_.kd
    .uniform_work_group_size: 1
    .uses_dynamic_stack: false
    .vgpr_count:     0
    .vgpr_spill_count: 0
    .wavefront_size: 64
  - .agpr_count:     0
    .args:
      - .offset:         0
        .size:           56
        .value_kind:     by_value
    .group_segment_fixed_size: 0
    .kernarg_segment_align: 8
    .kernarg_segment_size: 56
    .language:       OpenCL C
    .language_version:
      - 2
      - 0
    .max_flat_workgroup_size: 256
    .name:           _ZN7rocprim17ROCPRIM_400000_NS6detail17trampoline_kernelINS0_14default_configENS1_38merge_sort_block_merge_config_selectorIlNS0_10empty_typeEEEZZNS1_27merge_sort_block_merge_implIS3_N6thrust23THRUST_200600_302600_NS6detail15normal_iteratorINS9_10device_ptrIlEEEEPS5_m14custom_greaterIlEEE10hipError_tT0_T1_T2_jT3_P12ihipStream_tbPNSt15iterator_traitsISJ_E10value_typeEPNSP_ISK_E10value_typeEPSL_NS1_7vsmem_tEENKUlT_SJ_SK_SL_E_clISE_PlSF_SF_EESI_SY_SJ_SK_SL_EUlSY_E1_NS1_11comp_targetILNS1_3genE0ELNS1_11target_archE4294967295ELNS1_3gpuE0ELNS1_3repE0EEENS1_36merge_oddeven_config_static_selectorELNS0_4arch9wavefront6targetE1EEEvSK_
    .private_segment_fixed_size: 0
    .sgpr_count:     4
    .sgpr_spill_count: 0
    .symbol:         _ZN7rocprim17ROCPRIM_400000_NS6detail17trampoline_kernelINS0_14default_configENS1_38merge_sort_block_merge_config_selectorIlNS0_10empty_typeEEEZZNS1_27merge_sort_block_merge_implIS3_N6thrust23THRUST_200600_302600_NS6detail15normal_iteratorINS9_10device_ptrIlEEEEPS5_m14custom_greaterIlEEE10hipError_tT0_T1_T2_jT3_P12ihipStream_tbPNSt15iterator_traitsISJ_E10value_typeEPNSP_ISK_E10value_typeEPSL_NS1_7vsmem_tEENKUlT_SJ_SK_SL_E_clISE_PlSF_SF_EESI_SY_SJ_SK_SL_EUlSY_E1_NS1_11comp_targetILNS1_3genE0ELNS1_11target_archE4294967295ELNS1_3gpuE0ELNS1_3repE0EEENS1_36merge_oddeven_config_static_selectorELNS0_4arch9wavefront6targetE1EEEvSK_.kd
    .uniform_work_group_size: 1
    .uses_dynamic_stack: false
    .vgpr_count:     0
    .vgpr_spill_count: 0
    .wavefront_size: 64
  - .agpr_count:     0
    .args:
      - .offset:         0
        .size:           56
        .value_kind:     by_value
    .group_segment_fixed_size: 0
    .kernarg_segment_align: 8
    .kernarg_segment_size: 56
    .language:       OpenCL C
    .language_version:
      - 2
      - 0
    .max_flat_workgroup_size: 256
    .name:           _ZN7rocprim17ROCPRIM_400000_NS6detail17trampoline_kernelINS0_14default_configENS1_38merge_sort_block_merge_config_selectorIlNS0_10empty_typeEEEZZNS1_27merge_sort_block_merge_implIS3_N6thrust23THRUST_200600_302600_NS6detail15normal_iteratorINS9_10device_ptrIlEEEEPS5_m14custom_greaterIlEEE10hipError_tT0_T1_T2_jT3_P12ihipStream_tbPNSt15iterator_traitsISJ_E10value_typeEPNSP_ISK_E10value_typeEPSL_NS1_7vsmem_tEENKUlT_SJ_SK_SL_E_clISE_PlSF_SF_EESI_SY_SJ_SK_SL_EUlSY_E1_NS1_11comp_targetILNS1_3genE10ELNS1_11target_archE1201ELNS1_3gpuE5ELNS1_3repE0EEENS1_36merge_oddeven_config_static_selectorELNS0_4arch9wavefront6targetE1EEEvSK_
    .private_segment_fixed_size: 0
    .sgpr_count:     4
    .sgpr_spill_count: 0
    .symbol:         _ZN7rocprim17ROCPRIM_400000_NS6detail17trampoline_kernelINS0_14default_configENS1_38merge_sort_block_merge_config_selectorIlNS0_10empty_typeEEEZZNS1_27merge_sort_block_merge_implIS3_N6thrust23THRUST_200600_302600_NS6detail15normal_iteratorINS9_10device_ptrIlEEEEPS5_m14custom_greaterIlEEE10hipError_tT0_T1_T2_jT3_P12ihipStream_tbPNSt15iterator_traitsISJ_E10value_typeEPNSP_ISK_E10value_typeEPSL_NS1_7vsmem_tEENKUlT_SJ_SK_SL_E_clISE_PlSF_SF_EESI_SY_SJ_SK_SL_EUlSY_E1_NS1_11comp_targetILNS1_3genE10ELNS1_11target_archE1201ELNS1_3gpuE5ELNS1_3repE0EEENS1_36merge_oddeven_config_static_selectorELNS0_4arch9wavefront6targetE1EEEvSK_.kd
    .uniform_work_group_size: 1
    .uses_dynamic_stack: false
    .vgpr_count:     0
    .vgpr_spill_count: 0
    .wavefront_size: 64
  - .agpr_count:     0
    .args:
      - .offset:         0
        .size:           56
        .value_kind:     by_value
    .group_segment_fixed_size: 0
    .kernarg_segment_align: 8
    .kernarg_segment_size: 56
    .language:       OpenCL C
    .language_version:
      - 2
      - 0
    .max_flat_workgroup_size: 256
    .name:           _ZN7rocprim17ROCPRIM_400000_NS6detail17trampoline_kernelINS0_14default_configENS1_38merge_sort_block_merge_config_selectorIlNS0_10empty_typeEEEZZNS1_27merge_sort_block_merge_implIS3_N6thrust23THRUST_200600_302600_NS6detail15normal_iteratorINS9_10device_ptrIlEEEEPS5_m14custom_greaterIlEEE10hipError_tT0_T1_T2_jT3_P12ihipStream_tbPNSt15iterator_traitsISJ_E10value_typeEPNSP_ISK_E10value_typeEPSL_NS1_7vsmem_tEENKUlT_SJ_SK_SL_E_clISE_PlSF_SF_EESI_SY_SJ_SK_SL_EUlSY_E1_NS1_11comp_targetILNS1_3genE5ELNS1_11target_archE942ELNS1_3gpuE9ELNS1_3repE0EEENS1_36merge_oddeven_config_static_selectorELNS0_4arch9wavefront6targetE1EEEvSK_
    .private_segment_fixed_size: 0
    .sgpr_count:     4
    .sgpr_spill_count: 0
    .symbol:         _ZN7rocprim17ROCPRIM_400000_NS6detail17trampoline_kernelINS0_14default_configENS1_38merge_sort_block_merge_config_selectorIlNS0_10empty_typeEEEZZNS1_27merge_sort_block_merge_implIS3_N6thrust23THRUST_200600_302600_NS6detail15normal_iteratorINS9_10device_ptrIlEEEEPS5_m14custom_greaterIlEEE10hipError_tT0_T1_T2_jT3_P12ihipStream_tbPNSt15iterator_traitsISJ_E10value_typeEPNSP_ISK_E10value_typeEPSL_NS1_7vsmem_tEENKUlT_SJ_SK_SL_E_clISE_PlSF_SF_EESI_SY_SJ_SK_SL_EUlSY_E1_NS1_11comp_targetILNS1_3genE5ELNS1_11target_archE942ELNS1_3gpuE9ELNS1_3repE0EEENS1_36merge_oddeven_config_static_selectorELNS0_4arch9wavefront6targetE1EEEvSK_.kd
    .uniform_work_group_size: 1
    .uses_dynamic_stack: false
    .vgpr_count:     0
    .vgpr_spill_count: 0
    .wavefront_size: 64
  - .agpr_count:     0
    .args:
      - .offset:         0
        .size:           56
        .value_kind:     by_value
    .group_segment_fixed_size: 0
    .kernarg_segment_align: 8
    .kernarg_segment_size: 56
    .language:       OpenCL C
    .language_version:
      - 2
      - 0
    .max_flat_workgroup_size: 256
    .name:           _ZN7rocprim17ROCPRIM_400000_NS6detail17trampoline_kernelINS0_14default_configENS1_38merge_sort_block_merge_config_selectorIlNS0_10empty_typeEEEZZNS1_27merge_sort_block_merge_implIS3_N6thrust23THRUST_200600_302600_NS6detail15normal_iteratorINS9_10device_ptrIlEEEEPS5_m14custom_greaterIlEEE10hipError_tT0_T1_T2_jT3_P12ihipStream_tbPNSt15iterator_traitsISJ_E10value_typeEPNSP_ISK_E10value_typeEPSL_NS1_7vsmem_tEENKUlT_SJ_SK_SL_E_clISE_PlSF_SF_EESI_SY_SJ_SK_SL_EUlSY_E1_NS1_11comp_targetILNS1_3genE4ELNS1_11target_archE910ELNS1_3gpuE8ELNS1_3repE0EEENS1_36merge_oddeven_config_static_selectorELNS0_4arch9wavefront6targetE1EEEvSK_
    .private_segment_fixed_size: 0
    .sgpr_count:     25
    .sgpr_spill_count: 0
    .symbol:         _ZN7rocprim17ROCPRIM_400000_NS6detail17trampoline_kernelINS0_14default_configENS1_38merge_sort_block_merge_config_selectorIlNS0_10empty_typeEEEZZNS1_27merge_sort_block_merge_implIS3_N6thrust23THRUST_200600_302600_NS6detail15normal_iteratorINS9_10device_ptrIlEEEEPS5_m14custom_greaterIlEEE10hipError_tT0_T1_T2_jT3_P12ihipStream_tbPNSt15iterator_traitsISJ_E10value_typeEPNSP_ISK_E10value_typeEPSL_NS1_7vsmem_tEENKUlT_SJ_SK_SL_E_clISE_PlSF_SF_EESI_SY_SJ_SK_SL_EUlSY_E1_NS1_11comp_targetILNS1_3genE4ELNS1_11target_archE910ELNS1_3gpuE8ELNS1_3repE0EEENS1_36merge_oddeven_config_static_selectorELNS0_4arch9wavefront6targetE1EEEvSK_.kd
    .uniform_work_group_size: 1
    .uses_dynamic_stack: false
    .vgpr_count:     12
    .vgpr_spill_count: 0
    .wavefront_size: 64
  - .agpr_count:     0
    .args:
      - .offset:         0
        .size:           56
        .value_kind:     by_value
    .group_segment_fixed_size: 0
    .kernarg_segment_align: 8
    .kernarg_segment_size: 56
    .language:       OpenCL C
    .language_version:
      - 2
      - 0
    .max_flat_workgroup_size: 256
    .name:           _ZN7rocprim17ROCPRIM_400000_NS6detail17trampoline_kernelINS0_14default_configENS1_38merge_sort_block_merge_config_selectorIlNS0_10empty_typeEEEZZNS1_27merge_sort_block_merge_implIS3_N6thrust23THRUST_200600_302600_NS6detail15normal_iteratorINS9_10device_ptrIlEEEEPS5_m14custom_greaterIlEEE10hipError_tT0_T1_T2_jT3_P12ihipStream_tbPNSt15iterator_traitsISJ_E10value_typeEPNSP_ISK_E10value_typeEPSL_NS1_7vsmem_tEENKUlT_SJ_SK_SL_E_clISE_PlSF_SF_EESI_SY_SJ_SK_SL_EUlSY_E1_NS1_11comp_targetILNS1_3genE3ELNS1_11target_archE908ELNS1_3gpuE7ELNS1_3repE0EEENS1_36merge_oddeven_config_static_selectorELNS0_4arch9wavefront6targetE1EEEvSK_
    .private_segment_fixed_size: 0
    .sgpr_count:     4
    .sgpr_spill_count: 0
    .symbol:         _ZN7rocprim17ROCPRIM_400000_NS6detail17trampoline_kernelINS0_14default_configENS1_38merge_sort_block_merge_config_selectorIlNS0_10empty_typeEEEZZNS1_27merge_sort_block_merge_implIS3_N6thrust23THRUST_200600_302600_NS6detail15normal_iteratorINS9_10device_ptrIlEEEEPS5_m14custom_greaterIlEEE10hipError_tT0_T1_T2_jT3_P12ihipStream_tbPNSt15iterator_traitsISJ_E10value_typeEPNSP_ISK_E10value_typeEPSL_NS1_7vsmem_tEENKUlT_SJ_SK_SL_E_clISE_PlSF_SF_EESI_SY_SJ_SK_SL_EUlSY_E1_NS1_11comp_targetILNS1_3genE3ELNS1_11target_archE908ELNS1_3gpuE7ELNS1_3repE0EEENS1_36merge_oddeven_config_static_selectorELNS0_4arch9wavefront6targetE1EEEvSK_.kd
    .uniform_work_group_size: 1
    .uses_dynamic_stack: false
    .vgpr_count:     0
    .vgpr_spill_count: 0
    .wavefront_size: 64
  - .agpr_count:     0
    .args:
      - .offset:         0
        .size:           56
        .value_kind:     by_value
    .group_segment_fixed_size: 0
    .kernarg_segment_align: 8
    .kernarg_segment_size: 56
    .language:       OpenCL C
    .language_version:
      - 2
      - 0
    .max_flat_workgroup_size: 256
    .name:           _ZN7rocprim17ROCPRIM_400000_NS6detail17trampoline_kernelINS0_14default_configENS1_38merge_sort_block_merge_config_selectorIlNS0_10empty_typeEEEZZNS1_27merge_sort_block_merge_implIS3_N6thrust23THRUST_200600_302600_NS6detail15normal_iteratorINS9_10device_ptrIlEEEEPS5_m14custom_greaterIlEEE10hipError_tT0_T1_T2_jT3_P12ihipStream_tbPNSt15iterator_traitsISJ_E10value_typeEPNSP_ISK_E10value_typeEPSL_NS1_7vsmem_tEENKUlT_SJ_SK_SL_E_clISE_PlSF_SF_EESI_SY_SJ_SK_SL_EUlSY_E1_NS1_11comp_targetILNS1_3genE2ELNS1_11target_archE906ELNS1_3gpuE6ELNS1_3repE0EEENS1_36merge_oddeven_config_static_selectorELNS0_4arch9wavefront6targetE1EEEvSK_
    .private_segment_fixed_size: 0
    .sgpr_count:     4
    .sgpr_spill_count: 0
    .symbol:         _ZN7rocprim17ROCPRIM_400000_NS6detail17trampoline_kernelINS0_14default_configENS1_38merge_sort_block_merge_config_selectorIlNS0_10empty_typeEEEZZNS1_27merge_sort_block_merge_implIS3_N6thrust23THRUST_200600_302600_NS6detail15normal_iteratorINS9_10device_ptrIlEEEEPS5_m14custom_greaterIlEEE10hipError_tT0_T1_T2_jT3_P12ihipStream_tbPNSt15iterator_traitsISJ_E10value_typeEPNSP_ISK_E10value_typeEPSL_NS1_7vsmem_tEENKUlT_SJ_SK_SL_E_clISE_PlSF_SF_EESI_SY_SJ_SK_SL_EUlSY_E1_NS1_11comp_targetILNS1_3genE2ELNS1_11target_archE906ELNS1_3gpuE6ELNS1_3repE0EEENS1_36merge_oddeven_config_static_selectorELNS0_4arch9wavefront6targetE1EEEvSK_.kd
    .uniform_work_group_size: 1
    .uses_dynamic_stack: false
    .vgpr_count:     0
    .vgpr_spill_count: 0
    .wavefront_size: 64
  - .agpr_count:     0
    .args:
      - .offset:         0
        .size:           56
        .value_kind:     by_value
    .group_segment_fixed_size: 0
    .kernarg_segment_align: 8
    .kernarg_segment_size: 56
    .language:       OpenCL C
    .language_version:
      - 2
      - 0
    .max_flat_workgroup_size: 256
    .name:           _ZN7rocprim17ROCPRIM_400000_NS6detail17trampoline_kernelINS0_14default_configENS1_38merge_sort_block_merge_config_selectorIlNS0_10empty_typeEEEZZNS1_27merge_sort_block_merge_implIS3_N6thrust23THRUST_200600_302600_NS6detail15normal_iteratorINS9_10device_ptrIlEEEEPS5_m14custom_greaterIlEEE10hipError_tT0_T1_T2_jT3_P12ihipStream_tbPNSt15iterator_traitsISJ_E10value_typeEPNSP_ISK_E10value_typeEPSL_NS1_7vsmem_tEENKUlT_SJ_SK_SL_E_clISE_PlSF_SF_EESI_SY_SJ_SK_SL_EUlSY_E1_NS1_11comp_targetILNS1_3genE9ELNS1_11target_archE1100ELNS1_3gpuE3ELNS1_3repE0EEENS1_36merge_oddeven_config_static_selectorELNS0_4arch9wavefront6targetE1EEEvSK_
    .private_segment_fixed_size: 0
    .sgpr_count:     4
    .sgpr_spill_count: 0
    .symbol:         _ZN7rocprim17ROCPRIM_400000_NS6detail17trampoline_kernelINS0_14default_configENS1_38merge_sort_block_merge_config_selectorIlNS0_10empty_typeEEEZZNS1_27merge_sort_block_merge_implIS3_N6thrust23THRUST_200600_302600_NS6detail15normal_iteratorINS9_10device_ptrIlEEEEPS5_m14custom_greaterIlEEE10hipError_tT0_T1_T2_jT3_P12ihipStream_tbPNSt15iterator_traitsISJ_E10value_typeEPNSP_ISK_E10value_typeEPSL_NS1_7vsmem_tEENKUlT_SJ_SK_SL_E_clISE_PlSF_SF_EESI_SY_SJ_SK_SL_EUlSY_E1_NS1_11comp_targetILNS1_3genE9ELNS1_11target_archE1100ELNS1_3gpuE3ELNS1_3repE0EEENS1_36merge_oddeven_config_static_selectorELNS0_4arch9wavefront6targetE1EEEvSK_.kd
    .uniform_work_group_size: 1
    .uses_dynamic_stack: false
    .vgpr_count:     0
    .vgpr_spill_count: 0
    .wavefront_size: 64
  - .agpr_count:     0
    .args:
      - .offset:         0
        .size:           56
        .value_kind:     by_value
    .group_segment_fixed_size: 0
    .kernarg_segment_align: 8
    .kernarg_segment_size: 56
    .language:       OpenCL C
    .language_version:
      - 2
      - 0
    .max_flat_workgroup_size: 256
    .name:           _ZN7rocprim17ROCPRIM_400000_NS6detail17trampoline_kernelINS0_14default_configENS1_38merge_sort_block_merge_config_selectorIlNS0_10empty_typeEEEZZNS1_27merge_sort_block_merge_implIS3_N6thrust23THRUST_200600_302600_NS6detail15normal_iteratorINS9_10device_ptrIlEEEEPS5_m14custom_greaterIlEEE10hipError_tT0_T1_T2_jT3_P12ihipStream_tbPNSt15iterator_traitsISJ_E10value_typeEPNSP_ISK_E10value_typeEPSL_NS1_7vsmem_tEENKUlT_SJ_SK_SL_E_clISE_PlSF_SF_EESI_SY_SJ_SK_SL_EUlSY_E1_NS1_11comp_targetILNS1_3genE8ELNS1_11target_archE1030ELNS1_3gpuE2ELNS1_3repE0EEENS1_36merge_oddeven_config_static_selectorELNS0_4arch9wavefront6targetE1EEEvSK_
    .private_segment_fixed_size: 0
    .sgpr_count:     4
    .sgpr_spill_count: 0
    .symbol:         _ZN7rocprim17ROCPRIM_400000_NS6detail17trampoline_kernelINS0_14default_configENS1_38merge_sort_block_merge_config_selectorIlNS0_10empty_typeEEEZZNS1_27merge_sort_block_merge_implIS3_N6thrust23THRUST_200600_302600_NS6detail15normal_iteratorINS9_10device_ptrIlEEEEPS5_m14custom_greaterIlEEE10hipError_tT0_T1_T2_jT3_P12ihipStream_tbPNSt15iterator_traitsISJ_E10value_typeEPNSP_ISK_E10value_typeEPSL_NS1_7vsmem_tEENKUlT_SJ_SK_SL_E_clISE_PlSF_SF_EESI_SY_SJ_SK_SL_EUlSY_E1_NS1_11comp_targetILNS1_3genE8ELNS1_11target_archE1030ELNS1_3gpuE2ELNS1_3repE0EEENS1_36merge_oddeven_config_static_selectorELNS0_4arch9wavefront6targetE1EEEvSK_.kd
    .uniform_work_group_size: 1
    .uses_dynamic_stack: false
    .vgpr_count:     0
    .vgpr_spill_count: 0
    .wavefront_size: 64
  - .agpr_count:     0
    .args:
      - .offset:         0
        .size:           40
        .value_kind:     by_value
    .group_segment_fixed_size: 0
    .kernarg_segment_align: 8
    .kernarg_segment_size: 40
    .language:       OpenCL C
    .language_version:
      - 2
      - 0
    .max_flat_workgroup_size: 128
    .name:           _ZN7rocprim17ROCPRIM_400000_NS6detail17trampoline_kernelINS0_14default_configENS1_25transform_config_selectorIlLb0EEEZNS1_14transform_implILb0ES3_S5_PlN6thrust23THRUST_200600_302600_NS6detail15normal_iteratorINS9_10device_ptrIlEEEENS0_8identityIlEEEE10hipError_tT2_T3_mT4_P12ihipStream_tbEUlT_E_NS1_11comp_targetILNS1_3genE0ELNS1_11target_archE4294967295ELNS1_3gpuE0ELNS1_3repE0EEENS1_30default_config_static_selectorELNS0_4arch9wavefront6targetE1EEEvT1_
    .private_segment_fixed_size: 0
    .sgpr_count:     4
    .sgpr_spill_count: 0
    .symbol:         _ZN7rocprim17ROCPRIM_400000_NS6detail17trampoline_kernelINS0_14default_configENS1_25transform_config_selectorIlLb0EEEZNS1_14transform_implILb0ES3_S5_PlN6thrust23THRUST_200600_302600_NS6detail15normal_iteratorINS9_10device_ptrIlEEEENS0_8identityIlEEEE10hipError_tT2_T3_mT4_P12ihipStream_tbEUlT_E_NS1_11comp_targetILNS1_3genE0ELNS1_11target_archE4294967295ELNS1_3gpuE0ELNS1_3repE0EEENS1_30default_config_static_selectorELNS0_4arch9wavefront6targetE1EEEvT1_.kd
    .uniform_work_group_size: 1
    .uses_dynamic_stack: false
    .vgpr_count:     0
    .vgpr_spill_count: 0
    .wavefront_size: 64
  - .agpr_count:     0
    .args:
      - .offset:         0
        .size:           40
        .value_kind:     by_value
    .group_segment_fixed_size: 0
    .kernarg_segment_align: 8
    .kernarg_segment_size: 40
    .language:       OpenCL C
    .language_version:
      - 2
      - 0
    .max_flat_workgroup_size: 512
    .name:           _ZN7rocprim17ROCPRIM_400000_NS6detail17trampoline_kernelINS0_14default_configENS1_25transform_config_selectorIlLb0EEEZNS1_14transform_implILb0ES3_S5_PlN6thrust23THRUST_200600_302600_NS6detail15normal_iteratorINS9_10device_ptrIlEEEENS0_8identityIlEEEE10hipError_tT2_T3_mT4_P12ihipStream_tbEUlT_E_NS1_11comp_targetILNS1_3genE5ELNS1_11target_archE942ELNS1_3gpuE9ELNS1_3repE0EEENS1_30default_config_static_selectorELNS0_4arch9wavefront6targetE1EEEvT1_
    .private_segment_fixed_size: 0
    .sgpr_count:     4
    .sgpr_spill_count: 0
    .symbol:         _ZN7rocprim17ROCPRIM_400000_NS6detail17trampoline_kernelINS0_14default_configENS1_25transform_config_selectorIlLb0EEEZNS1_14transform_implILb0ES3_S5_PlN6thrust23THRUST_200600_302600_NS6detail15normal_iteratorINS9_10device_ptrIlEEEENS0_8identityIlEEEE10hipError_tT2_T3_mT4_P12ihipStream_tbEUlT_E_NS1_11comp_targetILNS1_3genE5ELNS1_11target_archE942ELNS1_3gpuE9ELNS1_3repE0EEENS1_30default_config_static_selectorELNS0_4arch9wavefront6targetE1EEEvT1_.kd
    .uniform_work_group_size: 1
    .uses_dynamic_stack: false
    .vgpr_count:     0
    .vgpr_spill_count: 0
    .wavefront_size: 64
  - .agpr_count:     0
    .args:
      - .offset:         0
        .size:           40
        .value_kind:     by_value
      - .offset:         40
        .size:           4
        .value_kind:     hidden_block_count_x
      - .offset:         44
        .size:           4
        .value_kind:     hidden_block_count_y
      - .offset:         48
        .size:           4
        .value_kind:     hidden_block_count_z
      - .offset:         52
        .size:           2
        .value_kind:     hidden_group_size_x
      - .offset:         54
        .size:           2
        .value_kind:     hidden_group_size_y
      - .offset:         56
        .size:           2
        .value_kind:     hidden_group_size_z
      - .offset:         58
        .size:           2
        .value_kind:     hidden_remainder_x
      - .offset:         60
        .size:           2
        .value_kind:     hidden_remainder_y
      - .offset:         62
        .size:           2
        .value_kind:     hidden_remainder_z
      - .offset:         80
        .size:           8
        .value_kind:     hidden_global_offset_x
      - .offset:         88
        .size:           8
        .value_kind:     hidden_global_offset_y
      - .offset:         96
        .size:           8
        .value_kind:     hidden_global_offset_z
      - .offset:         104
        .size:           2
        .value_kind:     hidden_grid_dims
    .group_segment_fixed_size: 0
    .kernarg_segment_align: 8
    .kernarg_segment_size: 296
    .language:       OpenCL C
    .language_version:
      - 2
      - 0
    .max_flat_workgroup_size: 256
    .name:           _ZN7rocprim17ROCPRIM_400000_NS6detail17trampoline_kernelINS0_14default_configENS1_25transform_config_selectorIlLb0EEEZNS1_14transform_implILb0ES3_S5_PlN6thrust23THRUST_200600_302600_NS6detail15normal_iteratorINS9_10device_ptrIlEEEENS0_8identityIlEEEE10hipError_tT2_T3_mT4_P12ihipStream_tbEUlT_E_NS1_11comp_targetILNS1_3genE4ELNS1_11target_archE910ELNS1_3gpuE8ELNS1_3repE0EEENS1_30default_config_static_selectorELNS0_4arch9wavefront6targetE1EEEvT1_
    .private_segment_fixed_size: 0
    .sgpr_count:     20
    .sgpr_spill_count: 0
    .symbol:         _ZN7rocprim17ROCPRIM_400000_NS6detail17trampoline_kernelINS0_14default_configENS1_25transform_config_selectorIlLb0EEEZNS1_14transform_implILb0ES3_S5_PlN6thrust23THRUST_200600_302600_NS6detail15normal_iteratorINS9_10device_ptrIlEEEENS0_8identityIlEEEE10hipError_tT2_T3_mT4_P12ihipStream_tbEUlT_E_NS1_11comp_targetILNS1_3genE4ELNS1_11target_archE910ELNS1_3gpuE8ELNS1_3repE0EEENS1_30default_config_static_selectorELNS0_4arch9wavefront6targetE1EEEvT1_.kd
    .uniform_work_group_size: 1
    .uses_dynamic_stack: false
    .vgpr_count:     9
    .vgpr_spill_count: 0
    .wavefront_size: 64
  - .agpr_count:     0
    .args:
      - .offset:         0
        .size:           40
        .value_kind:     by_value
    .group_segment_fixed_size: 0
    .kernarg_segment_align: 8
    .kernarg_segment_size: 40
    .language:       OpenCL C
    .language_version:
      - 2
      - 0
    .max_flat_workgroup_size: 128
    .name:           _ZN7rocprim17ROCPRIM_400000_NS6detail17trampoline_kernelINS0_14default_configENS1_25transform_config_selectorIlLb0EEEZNS1_14transform_implILb0ES3_S5_PlN6thrust23THRUST_200600_302600_NS6detail15normal_iteratorINS9_10device_ptrIlEEEENS0_8identityIlEEEE10hipError_tT2_T3_mT4_P12ihipStream_tbEUlT_E_NS1_11comp_targetILNS1_3genE3ELNS1_11target_archE908ELNS1_3gpuE7ELNS1_3repE0EEENS1_30default_config_static_selectorELNS0_4arch9wavefront6targetE1EEEvT1_
    .private_segment_fixed_size: 0
    .sgpr_count:     4
    .sgpr_spill_count: 0
    .symbol:         _ZN7rocprim17ROCPRIM_400000_NS6detail17trampoline_kernelINS0_14default_configENS1_25transform_config_selectorIlLb0EEEZNS1_14transform_implILb0ES3_S5_PlN6thrust23THRUST_200600_302600_NS6detail15normal_iteratorINS9_10device_ptrIlEEEENS0_8identityIlEEEE10hipError_tT2_T3_mT4_P12ihipStream_tbEUlT_E_NS1_11comp_targetILNS1_3genE3ELNS1_11target_archE908ELNS1_3gpuE7ELNS1_3repE0EEENS1_30default_config_static_selectorELNS0_4arch9wavefront6targetE1EEEvT1_.kd
    .uniform_work_group_size: 1
    .uses_dynamic_stack: false
    .vgpr_count:     0
    .vgpr_spill_count: 0
    .wavefront_size: 64
  - .agpr_count:     0
    .args:
      - .offset:         0
        .size:           40
        .value_kind:     by_value
    .group_segment_fixed_size: 0
    .kernarg_segment_align: 8
    .kernarg_segment_size: 40
    .language:       OpenCL C
    .language_version:
      - 2
      - 0
    .max_flat_workgroup_size: 512
    .name:           _ZN7rocprim17ROCPRIM_400000_NS6detail17trampoline_kernelINS0_14default_configENS1_25transform_config_selectorIlLb0EEEZNS1_14transform_implILb0ES3_S5_PlN6thrust23THRUST_200600_302600_NS6detail15normal_iteratorINS9_10device_ptrIlEEEENS0_8identityIlEEEE10hipError_tT2_T3_mT4_P12ihipStream_tbEUlT_E_NS1_11comp_targetILNS1_3genE2ELNS1_11target_archE906ELNS1_3gpuE6ELNS1_3repE0EEENS1_30default_config_static_selectorELNS0_4arch9wavefront6targetE1EEEvT1_
    .private_segment_fixed_size: 0
    .sgpr_count:     4
    .sgpr_spill_count: 0
    .symbol:         _ZN7rocprim17ROCPRIM_400000_NS6detail17trampoline_kernelINS0_14default_configENS1_25transform_config_selectorIlLb0EEEZNS1_14transform_implILb0ES3_S5_PlN6thrust23THRUST_200600_302600_NS6detail15normal_iteratorINS9_10device_ptrIlEEEENS0_8identityIlEEEE10hipError_tT2_T3_mT4_P12ihipStream_tbEUlT_E_NS1_11comp_targetILNS1_3genE2ELNS1_11target_archE906ELNS1_3gpuE6ELNS1_3repE0EEENS1_30default_config_static_selectorELNS0_4arch9wavefront6targetE1EEEvT1_.kd
    .uniform_work_group_size: 1
    .uses_dynamic_stack: false
    .vgpr_count:     0
    .vgpr_spill_count: 0
    .wavefront_size: 64
  - .agpr_count:     0
    .args:
      - .offset:         0
        .size:           40
        .value_kind:     by_value
    .group_segment_fixed_size: 0
    .kernarg_segment_align: 8
    .kernarg_segment_size: 40
    .language:       OpenCL C
    .language_version:
      - 2
      - 0
    .max_flat_workgroup_size: 1024
    .name:           _ZN7rocprim17ROCPRIM_400000_NS6detail17trampoline_kernelINS0_14default_configENS1_25transform_config_selectorIlLb0EEEZNS1_14transform_implILb0ES3_S5_PlN6thrust23THRUST_200600_302600_NS6detail15normal_iteratorINS9_10device_ptrIlEEEENS0_8identityIlEEEE10hipError_tT2_T3_mT4_P12ihipStream_tbEUlT_E_NS1_11comp_targetILNS1_3genE10ELNS1_11target_archE1201ELNS1_3gpuE5ELNS1_3repE0EEENS1_30default_config_static_selectorELNS0_4arch9wavefront6targetE1EEEvT1_
    .private_segment_fixed_size: 0
    .sgpr_count:     4
    .sgpr_spill_count: 0
    .symbol:         _ZN7rocprim17ROCPRIM_400000_NS6detail17trampoline_kernelINS0_14default_configENS1_25transform_config_selectorIlLb0EEEZNS1_14transform_implILb0ES3_S5_PlN6thrust23THRUST_200600_302600_NS6detail15normal_iteratorINS9_10device_ptrIlEEEENS0_8identityIlEEEE10hipError_tT2_T3_mT4_P12ihipStream_tbEUlT_E_NS1_11comp_targetILNS1_3genE10ELNS1_11target_archE1201ELNS1_3gpuE5ELNS1_3repE0EEENS1_30default_config_static_selectorELNS0_4arch9wavefront6targetE1EEEvT1_.kd
    .uniform_work_group_size: 1
    .uses_dynamic_stack: false
    .vgpr_count:     0
    .vgpr_spill_count: 0
    .wavefront_size: 64
  - .agpr_count:     0
    .args:
      - .offset:         0
        .size:           40
        .value_kind:     by_value
    .group_segment_fixed_size: 0
    .kernarg_segment_align: 8
    .kernarg_segment_size: 40
    .language:       OpenCL C
    .language_version:
      - 2
      - 0
    .max_flat_workgroup_size: 512
    .name:           _ZN7rocprim17ROCPRIM_400000_NS6detail17trampoline_kernelINS0_14default_configENS1_25transform_config_selectorIlLb0EEEZNS1_14transform_implILb0ES3_S5_PlN6thrust23THRUST_200600_302600_NS6detail15normal_iteratorINS9_10device_ptrIlEEEENS0_8identityIlEEEE10hipError_tT2_T3_mT4_P12ihipStream_tbEUlT_E_NS1_11comp_targetILNS1_3genE10ELNS1_11target_archE1200ELNS1_3gpuE4ELNS1_3repE0EEENS1_30default_config_static_selectorELNS0_4arch9wavefront6targetE1EEEvT1_
    .private_segment_fixed_size: 0
    .sgpr_count:     4
    .sgpr_spill_count: 0
    .symbol:         _ZN7rocprim17ROCPRIM_400000_NS6detail17trampoline_kernelINS0_14default_configENS1_25transform_config_selectorIlLb0EEEZNS1_14transform_implILb0ES3_S5_PlN6thrust23THRUST_200600_302600_NS6detail15normal_iteratorINS9_10device_ptrIlEEEENS0_8identityIlEEEE10hipError_tT2_T3_mT4_P12ihipStream_tbEUlT_E_NS1_11comp_targetILNS1_3genE10ELNS1_11target_archE1200ELNS1_3gpuE4ELNS1_3repE0EEENS1_30default_config_static_selectorELNS0_4arch9wavefront6targetE1EEEvT1_.kd
    .uniform_work_group_size: 1
    .uses_dynamic_stack: false
    .vgpr_count:     0
    .vgpr_spill_count: 0
    .wavefront_size: 64
  - .agpr_count:     0
    .args:
      - .offset:         0
        .size:           40
        .value_kind:     by_value
    .group_segment_fixed_size: 0
    .kernarg_segment_align: 8
    .kernarg_segment_size: 40
    .language:       OpenCL C
    .language_version:
      - 2
      - 0
    .max_flat_workgroup_size: 512
    .name:           _ZN7rocprim17ROCPRIM_400000_NS6detail17trampoline_kernelINS0_14default_configENS1_25transform_config_selectorIlLb0EEEZNS1_14transform_implILb0ES3_S5_PlN6thrust23THRUST_200600_302600_NS6detail15normal_iteratorINS9_10device_ptrIlEEEENS0_8identityIlEEEE10hipError_tT2_T3_mT4_P12ihipStream_tbEUlT_E_NS1_11comp_targetILNS1_3genE9ELNS1_11target_archE1100ELNS1_3gpuE3ELNS1_3repE0EEENS1_30default_config_static_selectorELNS0_4arch9wavefront6targetE1EEEvT1_
    .private_segment_fixed_size: 0
    .sgpr_count:     4
    .sgpr_spill_count: 0
    .symbol:         _ZN7rocprim17ROCPRIM_400000_NS6detail17trampoline_kernelINS0_14default_configENS1_25transform_config_selectorIlLb0EEEZNS1_14transform_implILb0ES3_S5_PlN6thrust23THRUST_200600_302600_NS6detail15normal_iteratorINS9_10device_ptrIlEEEENS0_8identityIlEEEE10hipError_tT2_T3_mT4_P12ihipStream_tbEUlT_E_NS1_11comp_targetILNS1_3genE9ELNS1_11target_archE1100ELNS1_3gpuE3ELNS1_3repE0EEENS1_30default_config_static_selectorELNS0_4arch9wavefront6targetE1EEEvT1_.kd
    .uniform_work_group_size: 1
    .uses_dynamic_stack: false
    .vgpr_count:     0
    .vgpr_spill_count: 0
    .wavefront_size: 64
  - .agpr_count:     0
    .args:
      - .offset:         0
        .size:           40
        .value_kind:     by_value
    .group_segment_fixed_size: 0
    .kernarg_segment_align: 8
    .kernarg_segment_size: 40
    .language:       OpenCL C
    .language_version:
      - 2
      - 0
    .max_flat_workgroup_size: 512
    .name:           _ZN7rocprim17ROCPRIM_400000_NS6detail17trampoline_kernelINS0_14default_configENS1_25transform_config_selectorIlLb0EEEZNS1_14transform_implILb0ES3_S5_PlN6thrust23THRUST_200600_302600_NS6detail15normal_iteratorINS9_10device_ptrIlEEEENS0_8identityIlEEEE10hipError_tT2_T3_mT4_P12ihipStream_tbEUlT_E_NS1_11comp_targetILNS1_3genE8ELNS1_11target_archE1030ELNS1_3gpuE2ELNS1_3repE0EEENS1_30default_config_static_selectorELNS0_4arch9wavefront6targetE1EEEvT1_
    .private_segment_fixed_size: 0
    .sgpr_count:     4
    .sgpr_spill_count: 0
    .symbol:         _ZN7rocprim17ROCPRIM_400000_NS6detail17trampoline_kernelINS0_14default_configENS1_25transform_config_selectorIlLb0EEEZNS1_14transform_implILb0ES3_S5_PlN6thrust23THRUST_200600_302600_NS6detail15normal_iteratorINS9_10device_ptrIlEEEENS0_8identityIlEEEE10hipError_tT2_T3_mT4_P12ihipStream_tbEUlT_E_NS1_11comp_targetILNS1_3genE8ELNS1_11target_archE1030ELNS1_3gpuE2ELNS1_3repE0EEENS1_30default_config_static_selectorELNS0_4arch9wavefront6targetE1EEEvT1_.kd
    .uniform_work_group_size: 1
    .uses_dynamic_stack: false
    .vgpr_count:     0
    .vgpr_spill_count: 0
    .wavefront_size: 64
  - .agpr_count:     0
    .args:           []
    .group_segment_fixed_size: 0
    .kernarg_segment_align: 4
    .kernarg_segment_size: 0
    .language:       OpenCL C
    .language_version:
      - 2
      - 0
    .max_flat_workgroup_size: 1024
    .name:           _ZN7rocprim17ROCPRIM_400000_NS6detail44device_merge_sort_compile_time_verifier_archINS1_11comp_targetILNS1_3genE0ELNS1_11target_archE4294967295ELNS1_3gpuE0ELNS1_3repE0EEES8_NS0_14default_configES9_NS1_37merge_sort_block_sort_config_selectorImNS0_10empty_typeEEENS1_38merge_sort_block_merge_config_selectorImSB_EEEEvv
    .private_segment_fixed_size: 0
    .sgpr_count:     4
    .sgpr_spill_count: 0
    .symbol:         _ZN7rocprim17ROCPRIM_400000_NS6detail44device_merge_sort_compile_time_verifier_archINS1_11comp_targetILNS1_3genE0ELNS1_11target_archE4294967295ELNS1_3gpuE0ELNS1_3repE0EEES8_NS0_14default_configES9_NS1_37merge_sort_block_sort_config_selectorImNS0_10empty_typeEEENS1_38merge_sort_block_merge_config_selectorImSB_EEEEvv.kd
    .uniform_work_group_size: 1
    .uses_dynamic_stack: false
    .vgpr_count:     0
    .vgpr_spill_count: 0
    .wavefront_size: 64
  - .agpr_count:     0
    .args:           []
    .group_segment_fixed_size: 0
    .kernarg_segment_align: 4
    .kernarg_segment_size: 0
    .language:       OpenCL C
    .language_version:
      - 2
      - 0
    .max_flat_workgroup_size: 1024
    .name:           _ZN7rocprim17ROCPRIM_400000_NS6detail44device_merge_sort_compile_time_verifier_archINS1_11comp_targetILNS1_3genE5ELNS1_11target_archE942ELNS1_3gpuE9ELNS1_3repE0EEES8_NS0_14default_configES9_NS1_37merge_sort_block_sort_config_selectorImNS0_10empty_typeEEENS1_38merge_sort_block_merge_config_selectorImSB_EEEEvv
    .private_segment_fixed_size: 0
    .sgpr_count:     4
    .sgpr_spill_count: 0
    .symbol:         _ZN7rocprim17ROCPRIM_400000_NS6detail44device_merge_sort_compile_time_verifier_archINS1_11comp_targetILNS1_3genE5ELNS1_11target_archE942ELNS1_3gpuE9ELNS1_3repE0EEES8_NS0_14default_configES9_NS1_37merge_sort_block_sort_config_selectorImNS0_10empty_typeEEENS1_38merge_sort_block_merge_config_selectorImSB_EEEEvv.kd
    .uniform_work_group_size: 1
    .uses_dynamic_stack: false
    .vgpr_count:     0
    .vgpr_spill_count: 0
    .wavefront_size: 64
  - .agpr_count:     0
    .args:           []
    .group_segment_fixed_size: 0
    .kernarg_segment_align: 4
    .kernarg_segment_size: 0
    .language:       OpenCL C
    .language_version:
      - 2
      - 0
    .max_flat_workgroup_size: 1024
    .name:           _ZN7rocprim17ROCPRIM_400000_NS6detail44device_merge_sort_compile_time_verifier_archINS1_11comp_targetILNS1_3genE4ELNS1_11target_archE910ELNS1_3gpuE8ELNS1_3repE0EEES8_NS0_14default_configES9_NS1_37merge_sort_block_sort_config_selectorImNS0_10empty_typeEEENS1_38merge_sort_block_merge_config_selectorImSB_EEEEvv
    .private_segment_fixed_size: 0
    .sgpr_count:     4
    .sgpr_spill_count: 0
    .symbol:         _ZN7rocprim17ROCPRIM_400000_NS6detail44device_merge_sort_compile_time_verifier_archINS1_11comp_targetILNS1_3genE4ELNS1_11target_archE910ELNS1_3gpuE8ELNS1_3repE0EEES8_NS0_14default_configES9_NS1_37merge_sort_block_sort_config_selectorImNS0_10empty_typeEEENS1_38merge_sort_block_merge_config_selectorImSB_EEEEvv.kd
    .uniform_work_group_size: 1
    .uses_dynamic_stack: false
    .vgpr_count:     0
    .vgpr_spill_count: 0
    .wavefront_size: 64
  - .agpr_count:     0
    .args:           []
    .group_segment_fixed_size: 0
    .kernarg_segment_align: 4
    .kernarg_segment_size: 0
    .language:       OpenCL C
    .language_version:
      - 2
      - 0
    .max_flat_workgroup_size: 1024
    .name:           _ZN7rocprim17ROCPRIM_400000_NS6detail44device_merge_sort_compile_time_verifier_archINS1_11comp_targetILNS1_3genE3ELNS1_11target_archE908ELNS1_3gpuE7ELNS1_3repE0EEES8_NS0_14default_configES9_NS1_37merge_sort_block_sort_config_selectorImNS0_10empty_typeEEENS1_38merge_sort_block_merge_config_selectorImSB_EEEEvv
    .private_segment_fixed_size: 0
    .sgpr_count:     4
    .sgpr_spill_count: 0
    .symbol:         _ZN7rocprim17ROCPRIM_400000_NS6detail44device_merge_sort_compile_time_verifier_archINS1_11comp_targetILNS1_3genE3ELNS1_11target_archE908ELNS1_3gpuE7ELNS1_3repE0EEES8_NS0_14default_configES9_NS1_37merge_sort_block_sort_config_selectorImNS0_10empty_typeEEENS1_38merge_sort_block_merge_config_selectorImSB_EEEEvv.kd
    .uniform_work_group_size: 1
    .uses_dynamic_stack: false
    .vgpr_count:     0
    .vgpr_spill_count: 0
    .wavefront_size: 64
  - .agpr_count:     0
    .args:           []
    .group_segment_fixed_size: 0
    .kernarg_segment_align: 4
    .kernarg_segment_size: 0
    .language:       OpenCL C
    .language_version:
      - 2
      - 0
    .max_flat_workgroup_size: 1024
    .name:           _ZN7rocprim17ROCPRIM_400000_NS6detail44device_merge_sort_compile_time_verifier_archINS1_11comp_targetILNS1_3genE2ELNS1_11target_archE906ELNS1_3gpuE6ELNS1_3repE0EEES8_NS0_14default_configES9_NS1_37merge_sort_block_sort_config_selectorImNS0_10empty_typeEEENS1_38merge_sort_block_merge_config_selectorImSB_EEEEvv
    .private_segment_fixed_size: 0
    .sgpr_count:     4
    .sgpr_spill_count: 0
    .symbol:         _ZN7rocprim17ROCPRIM_400000_NS6detail44device_merge_sort_compile_time_verifier_archINS1_11comp_targetILNS1_3genE2ELNS1_11target_archE906ELNS1_3gpuE6ELNS1_3repE0EEES8_NS0_14default_configES9_NS1_37merge_sort_block_sort_config_selectorImNS0_10empty_typeEEENS1_38merge_sort_block_merge_config_selectorImSB_EEEEvv.kd
    .uniform_work_group_size: 1
    .uses_dynamic_stack: false
    .vgpr_count:     0
    .vgpr_spill_count: 0
    .wavefront_size: 64
  - .agpr_count:     0
    .args:           []
    .group_segment_fixed_size: 0
    .kernarg_segment_align: 4
    .kernarg_segment_size: 0
    .language:       OpenCL C
    .language_version:
      - 2
      - 0
    .max_flat_workgroup_size: 1024
    .name:           _ZN7rocprim17ROCPRIM_400000_NS6detail44device_merge_sort_compile_time_verifier_archINS1_11comp_targetILNS1_3genE10ELNS1_11target_archE1201ELNS1_3gpuE5ELNS1_3repE0EEES8_NS0_14default_configES9_NS1_37merge_sort_block_sort_config_selectorImNS0_10empty_typeEEENS1_38merge_sort_block_merge_config_selectorImSB_EEEEvv
    .private_segment_fixed_size: 0
    .sgpr_count:     4
    .sgpr_spill_count: 0
    .symbol:         _ZN7rocprim17ROCPRIM_400000_NS6detail44device_merge_sort_compile_time_verifier_archINS1_11comp_targetILNS1_3genE10ELNS1_11target_archE1201ELNS1_3gpuE5ELNS1_3repE0EEES8_NS0_14default_configES9_NS1_37merge_sort_block_sort_config_selectorImNS0_10empty_typeEEENS1_38merge_sort_block_merge_config_selectorImSB_EEEEvv.kd
    .uniform_work_group_size: 1
    .uses_dynamic_stack: false
    .vgpr_count:     0
    .vgpr_spill_count: 0
    .wavefront_size: 64
  - .agpr_count:     0
    .args:           []
    .group_segment_fixed_size: 0
    .kernarg_segment_align: 4
    .kernarg_segment_size: 0
    .language:       OpenCL C
    .language_version:
      - 2
      - 0
    .max_flat_workgroup_size: 1024
    .name:           _ZN7rocprim17ROCPRIM_400000_NS6detail44device_merge_sort_compile_time_verifier_archINS1_11comp_targetILNS1_3genE10ELNS1_11target_archE1200ELNS1_3gpuE4ELNS1_3repE0EEENS3_ILS4_10ELS5_1201ELS6_5ELS7_0EEENS0_14default_configESA_NS1_37merge_sort_block_sort_config_selectorImNS0_10empty_typeEEENS1_38merge_sort_block_merge_config_selectorImSC_EEEEvv
    .private_segment_fixed_size: 0
    .sgpr_count:     4
    .sgpr_spill_count: 0
    .symbol:         _ZN7rocprim17ROCPRIM_400000_NS6detail44device_merge_sort_compile_time_verifier_archINS1_11comp_targetILNS1_3genE10ELNS1_11target_archE1200ELNS1_3gpuE4ELNS1_3repE0EEENS3_ILS4_10ELS5_1201ELS6_5ELS7_0EEENS0_14default_configESA_NS1_37merge_sort_block_sort_config_selectorImNS0_10empty_typeEEENS1_38merge_sort_block_merge_config_selectorImSC_EEEEvv.kd
    .uniform_work_group_size: 1
    .uses_dynamic_stack: false
    .vgpr_count:     0
    .vgpr_spill_count: 0
    .wavefront_size: 64
  - .agpr_count:     0
    .args:           []
    .group_segment_fixed_size: 0
    .kernarg_segment_align: 4
    .kernarg_segment_size: 0
    .language:       OpenCL C
    .language_version:
      - 2
      - 0
    .max_flat_workgroup_size: 1024
    .name:           _ZN7rocprim17ROCPRIM_400000_NS6detail44device_merge_sort_compile_time_verifier_archINS1_11comp_targetILNS1_3genE9ELNS1_11target_archE1100ELNS1_3gpuE3ELNS1_3repE0EEES8_NS0_14default_configES9_NS1_37merge_sort_block_sort_config_selectorImNS0_10empty_typeEEENS1_38merge_sort_block_merge_config_selectorImSB_EEEEvv
    .private_segment_fixed_size: 0
    .sgpr_count:     4
    .sgpr_spill_count: 0
    .symbol:         _ZN7rocprim17ROCPRIM_400000_NS6detail44device_merge_sort_compile_time_verifier_archINS1_11comp_targetILNS1_3genE9ELNS1_11target_archE1100ELNS1_3gpuE3ELNS1_3repE0EEES8_NS0_14default_configES9_NS1_37merge_sort_block_sort_config_selectorImNS0_10empty_typeEEENS1_38merge_sort_block_merge_config_selectorImSB_EEEEvv.kd
    .uniform_work_group_size: 1
    .uses_dynamic_stack: false
    .vgpr_count:     0
    .vgpr_spill_count: 0
    .wavefront_size: 64
  - .agpr_count:     0
    .args:           []
    .group_segment_fixed_size: 0
    .kernarg_segment_align: 4
    .kernarg_segment_size: 0
    .language:       OpenCL C
    .language_version:
      - 2
      - 0
    .max_flat_workgroup_size: 1024
    .name:           _ZN7rocprim17ROCPRIM_400000_NS6detail44device_merge_sort_compile_time_verifier_archINS1_11comp_targetILNS1_3genE8ELNS1_11target_archE1030ELNS1_3gpuE2ELNS1_3repE0EEES8_NS0_14default_configES9_NS1_37merge_sort_block_sort_config_selectorImNS0_10empty_typeEEENS1_38merge_sort_block_merge_config_selectorImSB_EEEEvv
    .private_segment_fixed_size: 0
    .sgpr_count:     4
    .sgpr_spill_count: 0
    .symbol:         _ZN7rocprim17ROCPRIM_400000_NS6detail44device_merge_sort_compile_time_verifier_archINS1_11comp_targetILNS1_3genE8ELNS1_11target_archE1030ELNS1_3gpuE2ELNS1_3repE0EEES8_NS0_14default_configES9_NS1_37merge_sort_block_sort_config_selectorImNS0_10empty_typeEEENS1_38merge_sort_block_merge_config_selectorImSB_EEEEvv.kd
    .uniform_work_group_size: 1
    .uses_dynamic_stack: false
    .vgpr_count:     0
    .vgpr_spill_count: 0
    .wavefront_size: 64
  - .agpr_count:     0
    .args:
      - .offset:         0
        .size:           64
        .value_kind:     by_value
    .group_segment_fixed_size: 0
    .kernarg_segment_align: 8
    .kernarg_segment_size: 64
    .language:       OpenCL C
    .language_version:
      - 2
      - 0
    .max_flat_workgroup_size: 256
    .name:           _ZN7rocprim17ROCPRIM_400000_NS6detail17trampoline_kernelINS0_14default_configENS1_37merge_sort_block_sort_config_selectorImNS0_10empty_typeEEEZNS1_21merge_sort_block_sortIS3_N6thrust23THRUST_200600_302600_NS6detail15normal_iteratorINS9_10device_ptrImEEEESE_PS5_SF_14custom_greaterImEEE10hipError_tT0_T1_T2_T3_mRjT4_P12ihipStream_tbNS1_7vsmem_tEEUlT_E_NS1_11comp_targetILNS1_3genE0ELNS1_11target_archE4294967295ELNS1_3gpuE0ELNS1_3repE0EEENS1_30default_config_static_selectorELNS0_4arch9wavefront6targetE1EEEvSK_
    .private_segment_fixed_size: 0
    .sgpr_count:     4
    .sgpr_spill_count: 0
    .symbol:         _ZN7rocprim17ROCPRIM_400000_NS6detail17trampoline_kernelINS0_14default_configENS1_37merge_sort_block_sort_config_selectorImNS0_10empty_typeEEEZNS1_21merge_sort_block_sortIS3_N6thrust23THRUST_200600_302600_NS6detail15normal_iteratorINS9_10device_ptrImEEEESE_PS5_SF_14custom_greaterImEEE10hipError_tT0_T1_T2_T3_mRjT4_P12ihipStream_tbNS1_7vsmem_tEEUlT_E_NS1_11comp_targetILNS1_3genE0ELNS1_11target_archE4294967295ELNS1_3gpuE0ELNS1_3repE0EEENS1_30default_config_static_selectorELNS0_4arch9wavefront6targetE1EEEvSK_.kd
    .uniform_work_group_size: 1
    .uses_dynamic_stack: false
    .vgpr_count:     0
    .vgpr_spill_count: 0
    .wavefront_size: 64
  - .agpr_count:     0
    .args:
      - .offset:         0
        .size:           64
        .value_kind:     by_value
    .group_segment_fixed_size: 0
    .kernarg_segment_align: 8
    .kernarg_segment_size: 64
    .language:       OpenCL C
    .language_version:
      - 2
      - 0
    .max_flat_workgroup_size: 256
    .name:           _ZN7rocprim17ROCPRIM_400000_NS6detail17trampoline_kernelINS0_14default_configENS1_37merge_sort_block_sort_config_selectorImNS0_10empty_typeEEEZNS1_21merge_sort_block_sortIS3_N6thrust23THRUST_200600_302600_NS6detail15normal_iteratorINS9_10device_ptrImEEEESE_PS5_SF_14custom_greaterImEEE10hipError_tT0_T1_T2_T3_mRjT4_P12ihipStream_tbNS1_7vsmem_tEEUlT_E_NS1_11comp_targetILNS1_3genE5ELNS1_11target_archE942ELNS1_3gpuE9ELNS1_3repE0EEENS1_30default_config_static_selectorELNS0_4arch9wavefront6targetE1EEEvSK_
    .private_segment_fixed_size: 0
    .sgpr_count:     4
    .sgpr_spill_count: 0
    .symbol:         _ZN7rocprim17ROCPRIM_400000_NS6detail17trampoline_kernelINS0_14default_configENS1_37merge_sort_block_sort_config_selectorImNS0_10empty_typeEEEZNS1_21merge_sort_block_sortIS3_N6thrust23THRUST_200600_302600_NS6detail15normal_iteratorINS9_10device_ptrImEEEESE_PS5_SF_14custom_greaterImEEE10hipError_tT0_T1_T2_T3_mRjT4_P12ihipStream_tbNS1_7vsmem_tEEUlT_E_NS1_11comp_targetILNS1_3genE5ELNS1_11target_archE942ELNS1_3gpuE9ELNS1_3repE0EEENS1_30default_config_static_selectorELNS0_4arch9wavefront6targetE1EEEvSK_.kd
    .uniform_work_group_size: 1
    .uses_dynamic_stack: false
    .vgpr_count:     0
    .vgpr_spill_count: 0
    .wavefront_size: 64
  - .agpr_count:     0
    .args:
      - .offset:         0
        .size:           64
        .value_kind:     by_value
      - .offset:         64
        .size:           4
        .value_kind:     hidden_block_count_x
      - .offset:         68
        .size:           4
        .value_kind:     hidden_block_count_y
      - .offset:         72
        .size:           4
        .value_kind:     hidden_block_count_z
      - .offset:         76
        .size:           2
        .value_kind:     hidden_group_size_x
      - .offset:         78
        .size:           2
        .value_kind:     hidden_group_size_y
      - .offset:         80
        .size:           2
        .value_kind:     hidden_group_size_z
      - .offset:         82
        .size:           2
        .value_kind:     hidden_remainder_x
      - .offset:         84
        .size:           2
        .value_kind:     hidden_remainder_y
      - .offset:         86
        .size:           2
        .value_kind:     hidden_remainder_z
      - .offset:         104
        .size:           8
        .value_kind:     hidden_global_offset_x
      - .offset:         112
        .size:           8
        .value_kind:     hidden_global_offset_y
      - .offset:         120
        .size:           8
        .value_kind:     hidden_global_offset_z
      - .offset:         128
        .size:           2
        .value_kind:     hidden_grid_dims
    .group_segment_fixed_size: 8448
    .kernarg_segment_align: 8
    .kernarg_segment_size: 320
    .language:       OpenCL C
    .language_version:
      - 2
      - 0
    .max_flat_workgroup_size: 256
    .name:           _ZN7rocprim17ROCPRIM_400000_NS6detail17trampoline_kernelINS0_14default_configENS1_37merge_sort_block_sort_config_selectorImNS0_10empty_typeEEEZNS1_21merge_sort_block_sortIS3_N6thrust23THRUST_200600_302600_NS6detail15normal_iteratorINS9_10device_ptrImEEEESE_PS5_SF_14custom_greaterImEEE10hipError_tT0_T1_T2_T3_mRjT4_P12ihipStream_tbNS1_7vsmem_tEEUlT_E_NS1_11comp_targetILNS1_3genE4ELNS1_11target_archE910ELNS1_3gpuE8ELNS1_3repE0EEENS1_30default_config_static_selectorELNS0_4arch9wavefront6targetE1EEEvSK_
    .private_segment_fixed_size: 0
    .sgpr_count:     25
    .sgpr_spill_count: 0
    .symbol:         _ZN7rocprim17ROCPRIM_400000_NS6detail17trampoline_kernelINS0_14default_configENS1_37merge_sort_block_sort_config_selectorImNS0_10empty_typeEEEZNS1_21merge_sort_block_sortIS3_N6thrust23THRUST_200600_302600_NS6detail15normal_iteratorINS9_10device_ptrImEEEESE_PS5_SF_14custom_greaterImEEE10hipError_tT0_T1_T2_T3_mRjT4_P12ihipStream_tbNS1_7vsmem_tEEUlT_E_NS1_11comp_targetILNS1_3genE4ELNS1_11target_archE910ELNS1_3gpuE8ELNS1_3repE0EEENS1_30default_config_static_selectorELNS0_4arch9wavefront6targetE1EEEvSK_.kd
    .uniform_work_group_size: 1
    .uses_dynamic_stack: false
    .vgpr_count:     39
    .vgpr_spill_count: 0
    .wavefront_size: 64
  - .agpr_count:     0
    .args:
      - .offset:         0
        .size:           64
        .value_kind:     by_value
    .group_segment_fixed_size: 0
    .kernarg_segment_align: 8
    .kernarg_segment_size: 64
    .language:       OpenCL C
    .language_version:
      - 2
      - 0
    .max_flat_workgroup_size: 256
    .name:           _ZN7rocprim17ROCPRIM_400000_NS6detail17trampoline_kernelINS0_14default_configENS1_37merge_sort_block_sort_config_selectorImNS0_10empty_typeEEEZNS1_21merge_sort_block_sortIS3_N6thrust23THRUST_200600_302600_NS6detail15normal_iteratorINS9_10device_ptrImEEEESE_PS5_SF_14custom_greaterImEEE10hipError_tT0_T1_T2_T3_mRjT4_P12ihipStream_tbNS1_7vsmem_tEEUlT_E_NS1_11comp_targetILNS1_3genE3ELNS1_11target_archE908ELNS1_3gpuE7ELNS1_3repE0EEENS1_30default_config_static_selectorELNS0_4arch9wavefront6targetE1EEEvSK_
    .private_segment_fixed_size: 0
    .sgpr_count:     4
    .sgpr_spill_count: 0
    .symbol:         _ZN7rocprim17ROCPRIM_400000_NS6detail17trampoline_kernelINS0_14default_configENS1_37merge_sort_block_sort_config_selectorImNS0_10empty_typeEEEZNS1_21merge_sort_block_sortIS3_N6thrust23THRUST_200600_302600_NS6detail15normal_iteratorINS9_10device_ptrImEEEESE_PS5_SF_14custom_greaterImEEE10hipError_tT0_T1_T2_T3_mRjT4_P12ihipStream_tbNS1_7vsmem_tEEUlT_E_NS1_11comp_targetILNS1_3genE3ELNS1_11target_archE908ELNS1_3gpuE7ELNS1_3repE0EEENS1_30default_config_static_selectorELNS0_4arch9wavefront6targetE1EEEvSK_.kd
    .uniform_work_group_size: 1
    .uses_dynamic_stack: false
    .vgpr_count:     0
    .vgpr_spill_count: 0
    .wavefront_size: 64
  - .agpr_count:     0
    .args:
      - .offset:         0
        .size:           64
        .value_kind:     by_value
    .group_segment_fixed_size: 0
    .kernarg_segment_align: 8
    .kernarg_segment_size: 64
    .language:       OpenCL C
    .language_version:
      - 2
      - 0
    .max_flat_workgroup_size: 256
    .name:           _ZN7rocprim17ROCPRIM_400000_NS6detail17trampoline_kernelINS0_14default_configENS1_37merge_sort_block_sort_config_selectorImNS0_10empty_typeEEEZNS1_21merge_sort_block_sortIS3_N6thrust23THRUST_200600_302600_NS6detail15normal_iteratorINS9_10device_ptrImEEEESE_PS5_SF_14custom_greaterImEEE10hipError_tT0_T1_T2_T3_mRjT4_P12ihipStream_tbNS1_7vsmem_tEEUlT_E_NS1_11comp_targetILNS1_3genE2ELNS1_11target_archE906ELNS1_3gpuE6ELNS1_3repE0EEENS1_30default_config_static_selectorELNS0_4arch9wavefront6targetE1EEEvSK_
    .private_segment_fixed_size: 0
    .sgpr_count:     4
    .sgpr_spill_count: 0
    .symbol:         _ZN7rocprim17ROCPRIM_400000_NS6detail17trampoline_kernelINS0_14default_configENS1_37merge_sort_block_sort_config_selectorImNS0_10empty_typeEEEZNS1_21merge_sort_block_sortIS3_N6thrust23THRUST_200600_302600_NS6detail15normal_iteratorINS9_10device_ptrImEEEESE_PS5_SF_14custom_greaterImEEE10hipError_tT0_T1_T2_T3_mRjT4_P12ihipStream_tbNS1_7vsmem_tEEUlT_E_NS1_11comp_targetILNS1_3genE2ELNS1_11target_archE906ELNS1_3gpuE6ELNS1_3repE0EEENS1_30default_config_static_selectorELNS0_4arch9wavefront6targetE1EEEvSK_.kd
    .uniform_work_group_size: 1
    .uses_dynamic_stack: false
    .vgpr_count:     0
    .vgpr_spill_count: 0
    .wavefront_size: 64
  - .agpr_count:     0
    .args:
      - .offset:         0
        .size:           64
        .value_kind:     by_value
    .group_segment_fixed_size: 0
    .kernarg_segment_align: 8
    .kernarg_segment_size: 64
    .language:       OpenCL C
    .language_version:
      - 2
      - 0
    .max_flat_workgroup_size: 256
    .name:           _ZN7rocprim17ROCPRIM_400000_NS6detail17trampoline_kernelINS0_14default_configENS1_37merge_sort_block_sort_config_selectorImNS0_10empty_typeEEEZNS1_21merge_sort_block_sortIS3_N6thrust23THRUST_200600_302600_NS6detail15normal_iteratorINS9_10device_ptrImEEEESE_PS5_SF_14custom_greaterImEEE10hipError_tT0_T1_T2_T3_mRjT4_P12ihipStream_tbNS1_7vsmem_tEEUlT_E_NS1_11comp_targetILNS1_3genE10ELNS1_11target_archE1201ELNS1_3gpuE5ELNS1_3repE0EEENS1_30default_config_static_selectorELNS0_4arch9wavefront6targetE1EEEvSK_
    .private_segment_fixed_size: 0
    .sgpr_count:     4
    .sgpr_spill_count: 0
    .symbol:         _ZN7rocprim17ROCPRIM_400000_NS6detail17trampoline_kernelINS0_14default_configENS1_37merge_sort_block_sort_config_selectorImNS0_10empty_typeEEEZNS1_21merge_sort_block_sortIS3_N6thrust23THRUST_200600_302600_NS6detail15normal_iteratorINS9_10device_ptrImEEEESE_PS5_SF_14custom_greaterImEEE10hipError_tT0_T1_T2_T3_mRjT4_P12ihipStream_tbNS1_7vsmem_tEEUlT_E_NS1_11comp_targetILNS1_3genE10ELNS1_11target_archE1201ELNS1_3gpuE5ELNS1_3repE0EEENS1_30default_config_static_selectorELNS0_4arch9wavefront6targetE1EEEvSK_.kd
    .uniform_work_group_size: 1
    .uses_dynamic_stack: false
    .vgpr_count:     0
    .vgpr_spill_count: 0
    .wavefront_size: 64
  - .agpr_count:     0
    .args:
      - .offset:         0
        .size:           64
        .value_kind:     by_value
    .group_segment_fixed_size: 0
    .kernarg_segment_align: 8
    .kernarg_segment_size: 64
    .language:       OpenCL C
    .language_version:
      - 2
      - 0
    .max_flat_workgroup_size: 512
    .name:           _ZN7rocprim17ROCPRIM_400000_NS6detail17trampoline_kernelINS0_14default_configENS1_37merge_sort_block_sort_config_selectorImNS0_10empty_typeEEEZNS1_21merge_sort_block_sortIS3_N6thrust23THRUST_200600_302600_NS6detail15normal_iteratorINS9_10device_ptrImEEEESE_PS5_SF_14custom_greaterImEEE10hipError_tT0_T1_T2_T3_mRjT4_P12ihipStream_tbNS1_7vsmem_tEEUlT_E_NS1_11comp_targetILNS1_3genE10ELNS1_11target_archE1200ELNS1_3gpuE4ELNS1_3repE0EEENS1_30default_config_static_selectorELNS0_4arch9wavefront6targetE1EEEvSK_
    .private_segment_fixed_size: 0
    .sgpr_count:     4
    .sgpr_spill_count: 0
    .symbol:         _ZN7rocprim17ROCPRIM_400000_NS6detail17trampoline_kernelINS0_14default_configENS1_37merge_sort_block_sort_config_selectorImNS0_10empty_typeEEEZNS1_21merge_sort_block_sortIS3_N6thrust23THRUST_200600_302600_NS6detail15normal_iteratorINS9_10device_ptrImEEEESE_PS5_SF_14custom_greaterImEEE10hipError_tT0_T1_T2_T3_mRjT4_P12ihipStream_tbNS1_7vsmem_tEEUlT_E_NS1_11comp_targetILNS1_3genE10ELNS1_11target_archE1200ELNS1_3gpuE4ELNS1_3repE0EEENS1_30default_config_static_selectorELNS0_4arch9wavefront6targetE1EEEvSK_.kd
    .uniform_work_group_size: 1
    .uses_dynamic_stack: false
    .vgpr_count:     0
    .vgpr_spill_count: 0
    .wavefront_size: 64
  - .agpr_count:     0
    .args:
      - .offset:         0
        .size:           64
        .value_kind:     by_value
    .group_segment_fixed_size: 0
    .kernarg_segment_align: 8
    .kernarg_segment_size: 64
    .language:       OpenCL C
    .language_version:
      - 2
      - 0
    .max_flat_workgroup_size: 256
    .name:           _ZN7rocprim17ROCPRIM_400000_NS6detail17trampoline_kernelINS0_14default_configENS1_37merge_sort_block_sort_config_selectorImNS0_10empty_typeEEEZNS1_21merge_sort_block_sortIS3_N6thrust23THRUST_200600_302600_NS6detail15normal_iteratorINS9_10device_ptrImEEEESE_PS5_SF_14custom_greaterImEEE10hipError_tT0_T1_T2_T3_mRjT4_P12ihipStream_tbNS1_7vsmem_tEEUlT_E_NS1_11comp_targetILNS1_3genE9ELNS1_11target_archE1100ELNS1_3gpuE3ELNS1_3repE0EEENS1_30default_config_static_selectorELNS0_4arch9wavefront6targetE1EEEvSK_
    .private_segment_fixed_size: 0
    .sgpr_count:     4
    .sgpr_spill_count: 0
    .symbol:         _ZN7rocprim17ROCPRIM_400000_NS6detail17trampoline_kernelINS0_14default_configENS1_37merge_sort_block_sort_config_selectorImNS0_10empty_typeEEEZNS1_21merge_sort_block_sortIS3_N6thrust23THRUST_200600_302600_NS6detail15normal_iteratorINS9_10device_ptrImEEEESE_PS5_SF_14custom_greaterImEEE10hipError_tT0_T1_T2_T3_mRjT4_P12ihipStream_tbNS1_7vsmem_tEEUlT_E_NS1_11comp_targetILNS1_3genE9ELNS1_11target_archE1100ELNS1_3gpuE3ELNS1_3repE0EEENS1_30default_config_static_selectorELNS0_4arch9wavefront6targetE1EEEvSK_.kd
    .uniform_work_group_size: 1
    .uses_dynamic_stack: false
    .vgpr_count:     0
    .vgpr_spill_count: 0
    .wavefront_size: 64
  - .agpr_count:     0
    .args:
      - .offset:         0
        .size:           64
        .value_kind:     by_value
    .group_segment_fixed_size: 0
    .kernarg_segment_align: 8
    .kernarg_segment_size: 64
    .language:       OpenCL C
    .language_version:
      - 2
      - 0
    .max_flat_workgroup_size: 256
    .name:           _ZN7rocprim17ROCPRIM_400000_NS6detail17trampoline_kernelINS0_14default_configENS1_37merge_sort_block_sort_config_selectorImNS0_10empty_typeEEEZNS1_21merge_sort_block_sortIS3_N6thrust23THRUST_200600_302600_NS6detail15normal_iteratorINS9_10device_ptrImEEEESE_PS5_SF_14custom_greaterImEEE10hipError_tT0_T1_T2_T3_mRjT4_P12ihipStream_tbNS1_7vsmem_tEEUlT_E_NS1_11comp_targetILNS1_3genE8ELNS1_11target_archE1030ELNS1_3gpuE2ELNS1_3repE0EEENS1_30default_config_static_selectorELNS0_4arch9wavefront6targetE1EEEvSK_
    .private_segment_fixed_size: 0
    .sgpr_count:     4
    .sgpr_spill_count: 0
    .symbol:         _ZN7rocprim17ROCPRIM_400000_NS6detail17trampoline_kernelINS0_14default_configENS1_37merge_sort_block_sort_config_selectorImNS0_10empty_typeEEEZNS1_21merge_sort_block_sortIS3_N6thrust23THRUST_200600_302600_NS6detail15normal_iteratorINS9_10device_ptrImEEEESE_PS5_SF_14custom_greaterImEEE10hipError_tT0_T1_T2_T3_mRjT4_P12ihipStream_tbNS1_7vsmem_tEEUlT_E_NS1_11comp_targetILNS1_3genE8ELNS1_11target_archE1030ELNS1_3gpuE2ELNS1_3repE0EEENS1_30default_config_static_selectorELNS0_4arch9wavefront6targetE1EEEvSK_.kd
    .uniform_work_group_size: 1
    .uses_dynamic_stack: false
    .vgpr_count:     0
    .vgpr_spill_count: 0
    .wavefront_size: 64
  - .agpr_count:     0
    .args:
      - .offset:         0
        .size:           48
        .value_kind:     by_value
    .group_segment_fixed_size: 0
    .kernarg_segment_align: 8
    .kernarg_segment_size: 48
    .language:       OpenCL C
    .language_version:
      - 2
      - 0
    .max_flat_workgroup_size: 128
    .name:           _ZN7rocprim17ROCPRIM_400000_NS6detail17trampoline_kernelINS0_14default_configENS1_38merge_sort_block_merge_config_selectorImNS0_10empty_typeEEEZZNS1_27merge_sort_block_merge_implIS3_N6thrust23THRUST_200600_302600_NS6detail15normal_iteratorINS9_10device_ptrImEEEEPS5_m14custom_greaterImEEE10hipError_tT0_T1_T2_jT3_P12ihipStream_tbPNSt15iterator_traitsISJ_E10value_typeEPNSP_ISK_E10value_typeEPSL_NS1_7vsmem_tEENKUlT_SJ_SK_SL_E_clIPmSE_SF_SF_EESI_SY_SJ_SK_SL_EUlSY_E_NS1_11comp_targetILNS1_3genE0ELNS1_11target_archE4294967295ELNS1_3gpuE0ELNS1_3repE0EEENS1_48merge_mergepath_partition_config_static_selectorELNS0_4arch9wavefront6targetE1EEEvSK_
    .private_segment_fixed_size: 0
    .sgpr_count:     4
    .sgpr_spill_count: 0
    .symbol:         _ZN7rocprim17ROCPRIM_400000_NS6detail17trampoline_kernelINS0_14default_configENS1_38merge_sort_block_merge_config_selectorImNS0_10empty_typeEEEZZNS1_27merge_sort_block_merge_implIS3_N6thrust23THRUST_200600_302600_NS6detail15normal_iteratorINS9_10device_ptrImEEEEPS5_m14custom_greaterImEEE10hipError_tT0_T1_T2_jT3_P12ihipStream_tbPNSt15iterator_traitsISJ_E10value_typeEPNSP_ISK_E10value_typeEPSL_NS1_7vsmem_tEENKUlT_SJ_SK_SL_E_clIPmSE_SF_SF_EESI_SY_SJ_SK_SL_EUlSY_E_NS1_11comp_targetILNS1_3genE0ELNS1_11target_archE4294967295ELNS1_3gpuE0ELNS1_3repE0EEENS1_48merge_mergepath_partition_config_static_selectorELNS0_4arch9wavefront6targetE1EEEvSK_.kd
    .uniform_work_group_size: 1
    .uses_dynamic_stack: false
    .vgpr_count:     0
    .vgpr_spill_count: 0
    .wavefront_size: 64
  - .agpr_count:     0
    .args:
      - .offset:         0
        .size:           48
        .value_kind:     by_value
    .group_segment_fixed_size: 0
    .kernarg_segment_align: 8
    .kernarg_segment_size: 48
    .language:       OpenCL C
    .language_version:
      - 2
      - 0
    .max_flat_workgroup_size: 128
    .name:           _ZN7rocprim17ROCPRIM_400000_NS6detail17trampoline_kernelINS0_14default_configENS1_38merge_sort_block_merge_config_selectorImNS0_10empty_typeEEEZZNS1_27merge_sort_block_merge_implIS3_N6thrust23THRUST_200600_302600_NS6detail15normal_iteratorINS9_10device_ptrImEEEEPS5_m14custom_greaterImEEE10hipError_tT0_T1_T2_jT3_P12ihipStream_tbPNSt15iterator_traitsISJ_E10value_typeEPNSP_ISK_E10value_typeEPSL_NS1_7vsmem_tEENKUlT_SJ_SK_SL_E_clIPmSE_SF_SF_EESI_SY_SJ_SK_SL_EUlSY_E_NS1_11comp_targetILNS1_3genE10ELNS1_11target_archE1201ELNS1_3gpuE5ELNS1_3repE0EEENS1_48merge_mergepath_partition_config_static_selectorELNS0_4arch9wavefront6targetE1EEEvSK_
    .private_segment_fixed_size: 0
    .sgpr_count:     4
    .sgpr_spill_count: 0
    .symbol:         _ZN7rocprim17ROCPRIM_400000_NS6detail17trampoline_kernelINS0_14default_configENS1_38merge_sort_block_merge_config_selectorImNS0_10empty_typeEEEZZNS1_27merge_sort_block_merge_implIS3_N6thrust23THRUST_200600_302600_NS6detail15normal_iteratorINS9_10device_ptrImEEEEPS5_m14custom_greaterImEEE10hipError_tT0_T1_T2_jT3_P12ihipStream_tbPNSt15iterator_traitsISJ_E10value_typeEPNSP_ISK_E10value_typeEPSL_NS1_7vsmem_tEENKUlT_SJ_SK_SL_E_clIPmSE_SF_SF_EESI_SY_SJ_SK_SL_EUlSY_E_NS1_11comp_targetILNS1_3genE10ELNS1_11target_archE1201ELNS1_3gpuE5ELNS1_3repE0EEENS1_48merge_mergepath_partition_config_static_selectorELNS0_4arch9wavefront6targetE1EEEvSK_.kd
    .uniform_work_group_size: 1
    .uses_dynamic_stack: false
    .vgpr_count:     0
    .vgpr_spill_count: 0
    .wavefront_size: 64
  - .agpr_count:     0
    .args:
      - .offset:         0
        .size:           48
        .value_kind:     by_value
    .group_segment_fixed_size: 0
    .kernarg_segment_align: 8
    .kernarg_segment_size: 48
    .language:       OpenCL C
    .language_version:
      - 2
      - 0
    .max_flat_workgroup_size: 128
    .name:           _ZN7rocprim17ROCPRIM_400000_NS6detail17trampoline_kernelINS0_14default_configENS1_38merge_sort_block_merge_config_selectorImNS0_10empty_typeEEEZZNS1_27merge_sort_block_merge_implIS3_N6thrust23THRUST_200600_302600_NS6detail15normal_iteratorINS9_10device_ptrImEEEEPS5_m14custom_greaterImEEE10hipError_tT0_T1_T2_jT3_P12ihipStream_tbPNSt15iterator_traitsISJ_E10value_typeEPNSP_ISK_E10value_typeEPSL_NS1_7vsmem_tEENKUlT_SJ_SK_SL_E_clIPmSE_SF_SF_EESI_SY_SJ_SK_SL_EUlSY_E_NS1_11comp_targetILNS1_3genE5ELNS1_11target_archE942ELNS1_3gpuE9ELNS1_3repE0EEENS1_48merge_mergepath_partition_config_static_selectorELNS0_4arch9wavefront6targetE1EEEvSK_
    .private_segment_fixed_size: 0
    .sgpr_count:     4
    .sgpr_spill_count: 0
    .symbol:         _ZN7rocprim17ROCPRIM_400000_NS6detail17trampoline_kernelINS0_14default_configENS1_38merge_sort_block_merge_config_selectorImNS0_10empty_typeEEEZZNS1_27merge_sort_block_merge_implIS3_N6thrust23THRUST_200600_302600_NS6detail15normal_iteratorINS9_10device_ptrImEEEEPS5_m14custom_greaterImEEE10hipError_tT0_T1_T2_jT3_P12ihipStream_tbPNSt15iterator_traitsISJ_E10value_typeEPNSP_ISK_E10value_typeEPSL_NS1_7vsmem_tEENKUlT_SJ_SK_SL_E_clIPmSE_SF_SF_EESI_SY_SJ_SK_SL_EUlSY_E_NS1_11comp_targetILNS1_3genE5ELNS1_11target_archE942ELNS1_3gpuE9ELNS1_3repE0EEENS1_48merge_mergepath_partition_config_static_selectorELNS0_4arch9wavefront6targetE1EEEvSK_.kd
    .uniform_work_group_size: 1
    .uses_dynamic_stack: false
    .vgpr_count:     0
    .vgpr_spill_count: 0
    .wavefront_size: 64
  - .agpr_count:     0
    .args:
      - .offset:         0
        .size:           48
        .value_kind:     by_value
    .group_segment_fixed_size: 0
    .kernarg_segment_align: 8
    .kernarg_segment_size: 48
    .language:       OpenCL C
    .language_version:
      - 2
      - 0
    .max_flat_workgroup_size: 128
    .name:           _ZN7rocprim17ROCPRIM_400000_NS6detail17trampoline_kernelINS0_14default_configENS1_38merge_sort_block_merge_config_selectorImNS0_10empty_typeEEEZZNS1_27merge_sort_block_merge_implIS3_N6thrust23THRUST_200600_302600_NS6detail15normal_iteratorINS9_10device_ptrImEEEEPS5_m14custom_greaterImEEE10hipError_tT0_T1_T2_jT3_P12ihipStream_tbPNSt15iterator_traitsISJ_E10value_typeEPNSP_ISK_E10value_typeEPSL_NS1_7vsmem_tEENKUlT_SJ_SK_SL_E_clIPmSE_SF_SF_EESI_SY_SJ_SK_SL_EUlSY_E_NS1_11comp_targetILNS1_3genE4ELNS1_11target_archE910ELNS1_3gpuE8ELNS1_3repE0EEENS1_48merge_mergepath_partition_config_static_selectorELNS0_4arch9wavefront6targetE1EEEvSK_
    .private_segment_fixed_size: 0
    .sgpr_count:     12
    .sgpr_spill_count: 0
    .symbol:         _ZN7rocprim17ROCPRIM_400000_NS6detail17trampoline_kernelINS0_14default_configENS1_38merge_sort_block_merge_config_selectorImNS0_10empty_typeEEEZZNS1_27merge_sort_block_merge_implIS3_N6thrust23THRUST_200600_302600_NS6detail15normal_iteratorINS9_10device_ptrImEEEEPS5_m14custom_greaterImEEE10hipError_tT0_T1_T2_jT3_P12ihipStream_tbPNSt15iterator_traitsISJ_E10value_typeEPNSP_ISK_E10value_typeEPSL_NS1_7vsmem_tEENKUlT_SJ_SK_SL_E_clIPmSE_SF_SF_EESI_SY_SJ_SK_SL_EUlSY_E_NS1_11comp_targetILNS1_3genE4ELNS1_11target_archE910ELNS1_3gpuE8ELNS1_3repE0EEENS1_48merge_mergepath_partition_config_static_selectorELNS0_4arch9wavefront6targetE1EEEvSK_.kd
    .uniform_work_group_size: 1
    .uses_dynamic_stack: false
    .vgpr_count:     22
    .vgpr_spill_count: 0
    .wavefront_size: 64
  - .agpr_count:     0
    .args:
      - .offset:         0
        .size:           48
        .value_kind:     by_value
    .group_segment_fixed_size: 0
    .kernarg_segment_align: 8
    .kernarg_segment_size: 48
    .language:       OpenCL C
    .language_version:
      - 2
      - 0
    .max_flat_workgroup_size: 128
    .name:           _ZN7rocprim17ROCPRIM_400000_NS6detail17trampoline_kernelINS0_14default_configENS1_38merge_sort_block_merge_config_selectorImNS0_10empty_typeEEEZZNS1_27merge_sort_block_merge_implIS3_N6thrust23THRUST_200600_302600_NS6detail15normal_iteratorINS9_10device_ptrImEEEEPS5_m14custom_greaterImEEE10hipError_tT0_T1_T2_jT3_P12ihipStream_tbPNSt15iterator_traitsISJ_E10value_typeEPNSP_ISK_E10value_typeEPSL_NS1_7vsmem_tEENKUlT_SJ_SK_SL_E_clIPmSE_SF_SF_EESI_SY_SJ_SK_SL_EUlSY_E_NS1_11comp_targetILNS1_3genE3ELNS1_11target_archE908ELNS1_3gpuE7ELNS1_3repE0EEENS1_48merge_mergepath_partition_config_static_selectorELNS0_4arch9wavefront6targetE1EEEvSK_
    .private_segment_fixed_size: 0
    .sgpr_count:     4
    .sgpr_spill_count: 0
    .symbol:         _ZN7rocprim17ROCPRIM_400000_NS6detail17trampoline_kernelINS0_14default_configENS1_38merge_sort_block_merge_config_selectorImNS0_10empty_typeEEEZZNS1_27merge_sort_block_merge_implIS3_N6thrust23THRUST_200600_302600_NS6detail15normal_iteratorINS9_10device_ptrImEEEEPS5_m14custom_greaterImEEE10hipError_tT0_T1_T2_jT3_P12ihipStream_tbPNSt15iterator_traitsISJ_E10value_typeEPNSP_ISK_E10value_typeEPSL_NS1_7vsmem_tEENKUlT_SJ_SK_SL_E_clIPmSE_SF_SF_EESI_SY_SJ_SK_SL_EUlSY_E_NS1_11comp_targetILNS1_3genE3ELNS1_11target_archE908ELNS1_3gpuE7ELNS1_3repE0EEENS1_48merge_mergepath_partition_config_static_selectorELNS0_4arch9wavefront6targetE1EEEvSK_.kd
    .uniform_work_group_size: 1
    .uses_dynamic_stack: false
    .vgpr_count:     0
    .vgpr_spill_count: 0
    .wavefront_size: 64
  - .agpr_count:     0
    .args:
      - .offset:         0
        .size:           48
        .value_kind:     by_value
    .group_segment_fixed_size: 0
    .kernarg_segment_align: 8
    .kernarg_segment_size: 48
    .language:       OpenCL C
    .language_version:
      - 2
      - 0
    .max_flat_workgroup_size: 128
    .name:           _ZN7rocprim17ROCPRIM_400000_NS6detail17trampoline_kernelINS0_14default_configENS1_38merge_sort_block_merge_config_selectorImNS0_10empty_typeEEEZZNS1_27merge_sort_block_merge_implIS3_N6thrust23THRUST_200600_302600_NS6detail15normal_iteratorINS9_10device_ptrImEEEEPS5_m14custom_greaterImEEE10hipError_tT0_T1_T2_jT3_P12ihipStream_tbPNSt15iterator_traitsISJ_E10value_typeEPNSP_ISK_E10value_typeEPSL_NS1_7vsmem_tEENKUlT_SJ_SK_SL_E_clIPmSE_SF_SF_EESI_SY_SJ_SK_SL_EUlSY_E_NS1_11comp_targetILNS1_3genE2ELNS1_11target_archE906ELNS1_3gpuE6ELNS1_3repE0EEENS1_48merge_mergepath_partition_config_static_selectorELNS0_4arch9wavefront6targetE1EEEvSK_
    .private_segment_fixed_size: 0
    .sgpr_count:     4
    .sgpr_spill_count: 0
    .symbol:         _ZN7rocprim17ROCPRIM_400000_NS6detail17trampoline_kernelINS0_14default_configENS1_38merge_sort_block_merge_config_selectorImNS0_10empty_typeEEEZZNS1_27merge_sort_block_merge_implIS3_N6thrust23THRUST_200600_302600_NS6detail15normal_iteratorINS9_10device_ptrImEEEEPS5_m14custom_greaterImEEE10hipError_tT0_T1_T2_jT3_P12ihipStream_tbPNSt15iterator_traitsISJ_E10value_typeEPNSP_ISK_E10value_typeEPSL_NS1_7vsmem_tEENKUlT_SJ_SK_SL_E_clIPmSE_SF_SF_EESI_SY_SJ_SK_SL_EUlSY_E_NS1_11comp_targetILNS1_3genE2ELNS1_11target_archE906ELNS1_3gpuE6ELNS1_3repE0EEENS1_48merge_mergepath_partition_config_static_selectorELNS0_4arch9wavefront6targetE1EEEvSK_.kd
    .uniform_work_group_size: 1
    .uses_dynamic_stack: false
    .vgpr_count:     0
    .vgpr_spill_count: 0
    .wavefront_size: 64
  - .agpr_count:     0
    .args:
      - .offset:         0
        .size:           48
        .value_kind:     by_value
    .group_segment_fixed_size: 0
    .kernarg_segment_align: 8
    .kernarg_segment_size: 48
    .language:       OpenCL C
    .language_version:
      - 2
      - 0
    .max_flat_workgroup_size: 128
    .name:           _ZN7rocprim17ROCPRIM_400000_NS6detail17trampoline_kernelINS0_14default_configENS1_38merge_sort_block_merge_config_selectorImNS0_10empty_typeEEEZZNS1_27merge_sort_block_merge_implIS3_N6thrust23THRUST_200600_302600_NS6detail15normal_iteratorINS9_10device_ptrImEEEEPS5_m14custom_greaterImEEE10hipError_tT0_T1_T2_jT3_P12ihipStream_tbPNSt15iterator_traitsISJ_E10value_typeEPNSP_ISK_E10value_typeEPSL_NS1_7vsmem_tEENKUlT_SJ_SK_SL_E_clIPmSE_SF_SF_EESI_SY_SJ_SK_SL_EUlSY_E_NS1_11comp_targetILNS1_3genE9ELNS1_11target_archE1100ELNS1_3gpuE3ELNS1_3repE0EEENS1_48merge_mergepath_partition_config_static_selectorELNS0_4arch9wavefront6targetE1EEEvSK_
    .private_segment_fixed_size: 0
    .sgpr_count:     4
    .sgpr_spill_count: 0
    .symbol:         _ZN7rocprim17ROCPRIM_400000_NS6detail17trampoline_kernelINS0_14default_configENS1_38merge_sort_block_merge_config_selectorImNS0_10empty_typeEEEZZNS1_27merge_sort_block_merge_implIS3_N6thrust23THRUST_200600_302600_NS6detail15normal_iteratorINS9_10device_ptrImEEEEPS5_m14custom_greaterImEEE10hipError_tT0_T1_T2_jT3_P12ihipStream_tbPNSt15iterator_traitsISJ_E10value_typeEPNSP_ISK_E10value_typeEPSL_NS1_7vsmem_tEENKUlT_SJ_SK_SL_E_clIPmSE_SF_SF_EESI_SY_SJ_SK_SL_EUlSY_E_NS1_11comp_targetILNS1_3genE9ELNS1_11target_archE1100ELNS1_3gpuE3ELNS1_3repE0EEENS1_48merge_mergepath_partition_config_static_selectorELNS0_4arch9wavefront6targetE1EEEvSK_.kd
    .uniform_work_group_size: 1
    .uses_dynamic_stack: false
    .vgpr_count:     0
    .vgpr_spill_count: 0
    .wavefront_size: 64
  - .agpr_count:     0
    .args:
      - .offset:         0
        .size:           48
        .value_kind:     by_value
    .group_segment_fixed_size: 0
    .kernarg_segment_align: 8
    .kernarg_segment_size: 48
    .language:       OpenCL C
    .language_version:
      - 2
      - 0
    .max_flat_workgroup_size: 128
    .name:           _ZN7rocprim17ROCPRIM_400000_NS6detail17trampoline_kernelINS0_14default_configENS1_38merge_sort_block_merge_config_selectorImNS0_10empty_typeEEEZZNS1_27merge_sort_block_merge_implIS3_N6thrust23THRUST_200600_302600_NS6detail15normal_iteratorINS9_10device_ptrImEEEEPS5_m14custom_greaterImEEE10hipError_tT0_T1_T2_jT3_P12ihipStream_tbPNSt15iterator_traitsISJ_E10value_typeEPNSP_ISK_E10value_typeEPSL_NS1_7vsmem_tEENKUlT_SJ_SK_SL_E_clIPmSE_SF_SF_EESI_SY_SJ_SK_SL_EUlSY_E_NS1_11comp_targetILNS1_3genE8ELNS1_11target_archE1030ELNS1_3gpuE2ELNS1_3repE0EEENS1_48merge_mergepath_partition_config_static_selectorELNS0_4arch9wavefront6targetE1EEEvSK_
    .private_segment_fixed_size: 0
    .sgpr_count:     4
    .sgpr_spill_count: 0
    .symbol:         _ZN7rocprim17ROCPRIM_400000_NS6detail17trampoline_kernelINS0_14default_configENS1_38merge_sort_block_merge_config_selectorImNS0_10empty_typeEEEZZNS1_27merge_sort_block_merge_implIS3_N6thrust23THRUST_200600_302600_NS6detail15normal_iteratorINS9_10device_ptrImEEEEPS5_m14custom_greaterImEEE10hipError_tT0_T1_T2_jT3_P12ihipStream_tbPNSt15iterator_traitsISJ_E10value_typeEPNSP_ISK_E10value_typeEPSL_NS1_7vsmem_tEENKUlT_SJ_SK_SL_E_clIPmSE_SF_SF_EESI_SY_SJ_SK_SL_EUlSY_E_NS1_11comp_targetILNS1_3genE8ELNS1_11target_archE1030ELNS1_3gpuE2ELNS1_3repE0EEENS1_48merge_mergepath_partition_config_static_selectorELNS0_4arch9wavefront6targetE1EEEvSK_.kd
    .uniform_work_group_size: 1
    .uses_dynamic_stack: false
    .vgpr_count:     0
    .vgpr_spill_count: 0
    .wavefront_size: 64
  - .agpr_count:     0
    .args:
      - .offset:         0
        .size:           72
        .value_kind:     by_value
    .group_segment_fixed_size: 0
    .kernarg_segment_align: 8
    .kernarg_segment_size: 72
    .language:       OpenCL C
    .language_version:
      - 2
      - 0
    .max_flat_workgroup_size: 128
    .name:           _ZN7rocprim17ROCPRIM_400000_NS6detail17trampoline_kernelINS0_14default_configENS1_38merge_sort_block_merge_config_selectorImNS0_10empty_typeEEEZZNS1_27merge_sort_block_merge_implIS3_N6thrust23THRUST_200600_302600_NS6detail15normal_iteratorINS9_10device_ptrImEEEEPS5_m14custom_greaterImEEE10hipError_tT0_T1_T2_jT3_P12ihipStream_tbPNSt15iterator_traitsISJ_E10value_typeEPNSP_ISK_E10value_typeEPSL_NS1_7vsmem_tEENKUlT_SJ_SK_SL_E_clIPmSE_SF_SF_EESI_SY_SJ_SK_SL_EUlSY_E0_NS1_11comp_targetILNS1_3genE0ELNS1_11target_archE4294967295ELNS1_3gpuE0ELNS1_3repE0EEENS1_38merge_mergepath_config_static_selectorELNS0_4arch9wavefront6targetE1EEEvSK_
    .private_segment_fixed_size: 0
    .sgpr_count:     4
    .sgpr_spill_count: 0
    .symbol:         _ZN7rocprim17ROCPRIM_400000_NS6detail17trampoline_kernelINS0_14default_configENS1_38merge_sort_block_merge_config_selectorImNS0_10empty_typeEEEZZNS1_27merge_sort_block_merge_implIS3_N6thrust23THRUST_200600_302600_NS6detail15normal_iteratorINS9_10device_ptrImEEEEPS5_m14custom_greaterImEEE10hipError_tT0_T1_T2_jT3_P12ihipStream_tbPNSt15iterator_traitsISJ_E10value_typeEPNSP_ISK_E10value_typeEPSL_NS1_7vsmem_tEENKUlT_SJ_SK_SL_E_clIPmSE_SF_SF_EESI_SY_SJ_SK_SL_EUlSY_E0_NS1_11comp_targetILNS1_3genE0ELNS1_11target_archE4294967295ELNS1_3gpuE0ELNS1_3repE0EEENS1_38merge_mergepath_config_static_selectorELNS0_4arch9wavefront6targetE1EEEvSK_.kd
    .uniform_work_group_size: 1
    .uses_dynamic_stack: false
    .vgpr_count:     0
    .vgpr_spill_count: 0
    .wavefront_size: 64
  - .agpr_count:     0
    .args:
      - .offset:         0
        .size:           72
        .value_kind:     by_value
    .group_segment_fixed_size: 0
    .kernarg_segment_align: 8
    .kernarg_segment_size: 72
    .language:       OpenCL C
    .language_version:
      - 2
      - 0
    .max_flat_workgroup_size: 512
    .name:           _ZN7rocprim17ROCPRIM_400000_NS6detail17trampoline_kernelINS0_14default_configENS1_38merge_sort_block_merge_config_selectorImNS0_10empty_typeEEEZZNS1_27merge_sort_block_merge_implIS3_N6thrust23THRUST_200600_302600_NS6detail15normal_iteratorINS9_10device_ptrImEEEEPS5_m14custom_greaterImEEE10hipError_tT0_T1_T2_jT3_P12ihipStream_tbPNSt15iterator_traitsISJ_E10value_typeEPNSP_ISK_E10value_typeEPSL_NS1_7vsmem_tEENKUlT_SJ_SK_SL_E_clIPmSE_SF_SF_EESI_SY_SJ_SK_SL_EUlSY_E0_NS1_11comp_targetILNS1_3genE10ELNS1_11target_archE1201ELNS1_3gpuE5ELNS1_3repE0EEENS1_38merge_mergepath_config_static_selectorELNS0_4arch9wavefront6targetE1EEEvSK_
    .private_segment_fixed_size: 0
    .sgpr_count:     4
    .sgpr_spill_count: 0
    .symbol:         _ZN7rocprim17ROCPRIM_400000_NS6detail17trampoline_kernelINS0_14default_configENS1_38merge_sort_block_merge_config_selectorImNS0_10empty_typeEEEZZNS1_27merge_sort_block_merge_implIS3_N6thrust23THRUST_200600_302600_NS6detail15normal_iteratorINS9_10device_ptrImEEEEPS5_m14custom_greaterImEEE10hipError_tT0_T1_T2_jT3_P12ihipStream_tbPNSt15iterator_traitsISJ_E10value_typeEPNSP_ISK_E10value_typeEPSL_NS1_7vsmem_tEENKUlT_SJ_SK_SL_E_clIPmSE_SF_SF_EESI_SY_SJ_SK_SL_EUlSY_E0_NS1_11comp_targetILNS1_3genE10ELNS1_11target_archE1201ELNS1_3gpuE5ELNS1_3repE0EEENS1_38merge_mergepath_config_static_selectorELNS0_4arch9wavefront6targetE1EEEvSK_.kd
    .uniform_work_group_size: 1
    .uses_dynamic_stack: false
    .vgpr_count:     0
    .vgpr_spill_count: 0
    .wavefront_size: 64
  - .agpr_count:     0
    .args:
      - .offset:         0
        .size:           72
        .value_kind:     by_value
    .group_segment_fixed_size: 0
    .kernarg_segment_align: 8
    .kernarg_segment_size: 72
    .language:       OpenCL C
    .language_version:
      - 2
      - 0
    .max_flat_workgroup_size: 128
    .name:           _ZN7rocprim17ROCPRIM_400000_NS6detail17trampoline_kernelINS0_14default_configENS1_38merge_sort_block_merge_config_selectorImNS0_10empty_typeEEEZZNS1_27merge_sort_block_merge_implIS3_N6thrust23THRUST_200600_302600_NS6detail15normal_iteratorINS9_10device_ptrImEEEEPS5_m14custom_greaterImEEE10hipError_tT0_T1_T2_jT3_P12ihipStream_tbPNSt15iterator_traitsISJ_E10value_typeEPNSP_ISK_E10value_typeEPSL_NS1_7vsmem_tEENKUlT_SJ_SK_SL_E_clIPmSE_SF_SF_EESI_SY_SJ_SK_SL_EUlSY_E0_NS1_11comp_targetILNS1_3genE5ELNS1_11target_archE942ELNS1_3gpuE9ELNS1_3repE0EEENS1_38merge_mergepath_config_static_selectorELNS0_4arch9wavefront6targetE1EEEvSK_
    .private_segment_fixed_size: 0
    .sgpr_count:     4
    .sgpr_spill_count: 0
    .symbol:         _ZN7rocprim17ROCPRIM_400000_NS6detail17trampoline_kernelINS0_14default_configENS1_38merge_sort_block_merge_config_selectorImNS0_10empty_typeEEEZZNS1_27merge_sort_block_merge_implIS3_N6thrust23THRUST_200600_302600_NS6detail15normal_iteratorINS9_10device_ptrImEEEEPS5_m14custom_greaterImEEE10hipError_tT0_T1_T2_jT3_P12ihipStream_tbPNSt15iterator_traitsISJ_E10value_typeEPNSP_ISK_E10value_typeEPSL_NS1_7vsmem_tEENKUlT_SJ_SK_SL_E_clIPmSE_SF_SF_EESI_SY_SJ_SK_SL_EUlSY_E0_NS1_11comp_targetILNS1_3genE5ELNS1_11target_archE942ELNS1_3gpuE9ELNS1_3repE0EEENS1_38merge_mergepath_config_static_selectorELNS0_4arch9wavefront6targetE1EEEvSK_.kd
    .uniform_work_group_size: 1
    .uses_dynamic_stack: false
    .vgpr_count:     0
    .vgpr_spill_count: 0
    .wavefront_size: 64
  - .agpr_count:     0
    .args:
      - .offset:         0
        .size:           72
        .value_kind:     by_value
      - .offset:         72
        .size:           4
        .value_kind:     hidden_block_count_x
      - .offset:         76
        .size:           4
        .value_kind:     hidden_block_count_y
      - .offset:         80
        .size:           4
        .value_kind:     hidden_block_count_z
      - .offset:         84
        .size:           2
        .value_kind:     hidden_group_size_x
      - .offset:         86
        .size:           2
        .value_kind:     hidden_group_size_y
      - .offset:         88
        .size:           2
        .value_kind:     hidden_group_size_z
      - .offset:         90
        .size:           2
        .value_kind:     hidden_remainder_x
      - .offset:         92
        .size:           2
        .value_kind:     hidden_remainder_y
      - .offset:         94
        .size:           2
        .value_kind:     hidden_remainder_z
      - .offset:         112
        .size:           8
        .value_kind:     hidden_global_offset_x
      - .offset:         120
        .size:           8
        .value_kind:     hidden_global_offset_y
      - .offset:         128
        .size:           8
        .value_kind:     hidden_global_offset_z
      - .offset:         136
        .size:           2
        .value_kind:     hidden_grid_dims
    .group_segment_fixed_size: 8448
    .kernarg_segment_align: 8
    .kernarg_segment_size: 328
    .language:       OpenCL C
    .language_version:
      - 2
      - 0
    .max_flat_workgroup_size: 256
    .name:           _ZN7rocprim17ROCPRIM_400000_NS6detail17trampoline_kernelINS0_14default_configENS1_38merge_sort_block_merge_config_selectorImNS0_10empty_typeEEEZZNS1_27merge_sort_block_merge_implIS3_N6thrust23THRUST_200600_302600_NS6detail15normal_iteratorINS9_10device_ptrImEEEEPS5_m14custom_greaterImEEE10hipError_tT0_T1_T2_jT3_P12ihipStream_tbPNSt15iterator_traitsISJ_E10value_typeEPNSP_ISK_E10value_typeEPSL_NS1_7vsmem_tEENKUlT_SJ_SK_SL_E_clIPmSE_SF_SF_EESI_SY_SJ_SK_SL_EUlSY_E0_NS1_11comp_targetILNS1_3genE4ELNS1_11target_archE910ELNS1_3gpuE8ELNS1_3repE0EEENS1_38merge_mergepath_config_static_selectorELNS0_4arch9wavefront6targetE1EEEvSK_
    .private_segment_fixed_size: 0
    .sgpr_count:     35
    .sgpr_spill_count: 0
    .symbol:         _ZN7rocprim17ROCPRIM_400000_NS6detail17trampoline_kernelINS0_14default_configENS1_38merge_sort_block_merge_config_selectorImNS0_10empty_typeEEEZZNS1_27merge_sort_block_merge_implIS3_N6thrust23THRUST_200600_302600_NS6detail15normal_iteratorINS9_10device_ptrImEEEEPS5_m14custom_greaterImEEE10hipError_tT0_T1_T2_jT3_P12ihipStream_tbPNSt15iterator_traitsISJ_E10value_typeEPNSP_ISK_E10value_typeEPSL_NS1_7vsmem_tEENKUlT_SJ_SK_SL_E_clIPmSE_SF_SF_EESI_SY_SJ_SK_SL_EUlSY_E0_NS1_11comp_targetILNS1_3genE4ELNS1_11target_archE910ELNS1_3gpuE8ELNS1_3repE0EEENS1_38merge_mergepath_config_static_selectorELNS0_4arch9wavefront6targetE1EEEvSK_.kd
    .uniform_work_group_size: 1
    .uses_dynamic_stack: false
    .vgpr_count:     21
    .vgpr_spill_count: 0
    .wavefront_size: 64
  - .agpr_count:     0
    .args:
      - .offset:         0
        .size:           72
        .value_kind:     by_value
    .group_segment_fixed_size: 0
    .kernarg_segment_align: 8
    .kernarg_segment_size: 72
    .language:       OpenCL C
    .language_version:
      - 2
      - 0
    .max_flat_workgroup_size: 128
    .name:           _ZN7rocprim17ROCPRIM_400000_NS6detail17trampoline_kernelINS0_14default_configENS1_38merge_sort_block_merge_config_selectorImNS0_10empty_typeEEEZZNS1_27merge_sort_block_merge_implIS3_N6thrust23THRUST_200600_302600_NS6detail15normal_iteratorINS9_10device_ptrImEEEEPS5_m14custom_greaterImEEE10hipError_tT0_T1_T2_jT3_P12ihipStream_tbPNSt15iterator_traitsISJ_E10value_typeEPNSP_ISK_E10value_typeEPSL_NS1_7vsmem_tEENKUlT_SJ_SK_SL_E_clIPmSE_SF_SF_EESI_SY_SJ_SK_SL_EUlSY_E0_NS1_11comp_targetILNS1_3genE3ELNS1_11target_archE908ELNS1_3gpuE7ELNS1_3repE0EEENS1_38merge_mergepath_config_static_selectorELNS0_4arch9wavefront6targetE1EEEvSK_
    .private_segment_fixed_size: 0
    .sgpr_count:     4
    .sgpr_spill_count: 0
    .symbol:         _ZN7rocprim17ROCPRIM_400000_NS6detail17trampoline_kernelINS0_14default_configENS1_38merge_sort_block_merge_config_selectorImNS0_10empty_typeEEEZZNS1_27merge_sort_block_merge_implIS3_N6thrust23THRUST_200600_302600_NS6detail15normal_iteratorINS9_10device_ptrImEEEEPS5_m14custom_greaterImEEE10hipError_tT0_T1_T2_jT3_P12ihipStream_tbPNSt15iterator_traitsISJ_E10value_typeEPNSP_ISK_E10value_typeEPSL_NS1_7vsmem_tEENKUlT_SJ_SK_SL_E_clIPmSE_SF_SF_EESI_SY_SJ_SK_SL_EUlSY_E0_NS1_11comp_targetILNS1_3genE3ELNS1_11target_archE908ELNS1_3gpuE7ELNS1_3repE0EEENS1_38merge_mergepath_config_static_selectorELNS0_4arch9wavefront6targetE1EEEvSK_.kd
    .uniform_work_group_size: 1
    .uses_dynamic_stack: false
    .vgpr_count:     0
    .vgpr_spill_count: 0
    .wavefront_size: 64
  - .agpr_count:     0
    .args:
      - .offset:         0
        .size:           72
        .value_kind:     by_value
    .group_segment_fixed_size: 0
    .kernarg_segment_align: 8
    .kernarg_segment_size: 72
    .language:       OpenCL C
    .language_version:
      - 2
      - 0
    .max_flat_workgroup_size: 256
    .name:           _ZN7rocprim17ROCPRIM_400000_NS6detail17trampoline_kernelINS0_14default_configENS1_38merge_sort_block_merge_config_selectorImNS0_10empty_typeEEEZZNS1_27merge_sort_block_merge_implIS3_N6thrust23THRUST_200600_302600_NS6detail15normal_iteratorINS9_10device_ptrImEEEEPS5_m14custom_greaterImEEE10hipError_tT0_T1_T2_jT3_P12ihipStream_tbPNSt15iterator_traitsISJ_E10value_typeEPNSP_ISK_E10value_typeEPSL_NS1_7vsmem_tEENKUlT_SJ_SK_SL_E_clIPmSE_SF_SF_EESI_SY_SJ_SK_SL_EUlSY_E0_NS1_11comp_targetILNS1_3genE2ELNS1_11target_archE906ELNS1_3gpuE6ELNS1_3repE0EEENS1_38merge_mergepath_config_static_selectorELNS0_4arch9wavefront6targetE1EEEvSK_
    .private_segment_fixed_size: 0
    .sgpr_count:     4
    .sgpr_spill_count: 0
    .symbol:         _ZN7rocprim17ROCPRIM_400000_NS6detail17trampoline_kernelINS0_14default_configENS1_38merge_sort_block_merge_config_selectorImNS0_10empty_typeEEEZZNS1_27merge_sort_block_merge_implIS3_N6thrust23THRUST_200600_302600_NS6detail15normal_iteratorINS9_10device_ptrImEEEEPS5_m14custom_greaterImEEE10hipError_tT0_T1_T2_jT3_P12ihipStream_tbPNSt15iterator_traitsISJ_E10value_typeEPNSP_ISK_E10value_typeEPSL_NS1_7vsmem_tEENKUlT_SJ_SK_SL_E_clIPmSE_SF_SF_EESI_SY_SJ_SK_SL_EUlSY_E0_NS1_11comp_targetILNS1_3genE2ELNS1_11target_archE906ELNS1_3gpuE6ELNS1_3repE0EEENS1_38merge_mergepath_config_static_selectorELNS0_4arch9wavefront6targetE1EEEvSK_.kd
    .uniform_work_group_size: 1
    .uses_dynamic_stack: false
    .vgpr_count:     0
    .vgpr_spill_count: 0
    .wavefront_size: 64
  - .agpr_count:     0
    .args:
      - .offset:         0
        .size:           72
        .value_kind:     by_value
    .group_segment_fixed_size: 0
    .kernarg_segment_align: 8
    .kernarg_segment_size: 72
    .language:       OpenCL C
    .language_version:
      - 2
      - 0
    .max_flat_workgroup_size: 512
    .name:           _ZN7rocprim17ROCPRIM_400000_NS6detail17trampoline_kernelINS0_14default_configENS1_38merge_sort_block_merge_config_selectorImNS0_10empty_typeEEEZZNS1_27merge_sort_block_merge_implIS3_N6thrust23THRUST_200600_302600_NS6detail15normal_iteratorINS9_10device_ptrImEEEEPS5_m14custom_greaterImEEE10hipError_tT0_T1_T2_jT3_P12ihipStream_tbPNSt15iterator_traitsISJ_E10value_typeEPNSP_ISK_E10value_typeEPSL_NS1_7vsmem_tEENKUlT_SJ_SK_SL_E_clIPmSE_SF_SF_EESI_SY_SJ_SK_SL_EUlSY_E0_NS1_11comp_targetILNS1_3genE9ELNS1_11target_archE1100ELNS1_3gpuE3ELNS1_3repE0EEENS1_38merge_mergepath_config_static_selectorELNS0_4arch9wavefront6targetE1EEEvSK_
    .private_segment_fixed_size: 0
    .sgpr_count:     4
    .sgpr_spill_count: 0
    .symbol:         _ZN7rocprim17ROCPRIM_400000_NS6detail17trampoline_kernelINS0_14default_configENS1_38merge_sort_block_merge_config_selectorImNS0_10empty_typeEEEZZNS1_27merge_sort_block_merge_implIS3_N6thrust23THRUST_200600_302600_NS6detail15normal_iteratorINS9_10device_ptrImEEEEPS5_m14custom_greaterImEEE10hipError_tT0_T1_T2_jT3_P12ihipStream_tbPNSt15iterator_traitsISJ_E10value_typeEPNSP_ISK_E10value_typeEPSL_NS1_7vsmem_tEENKUlT_SJ_SK_SL_E_clIPmSE_SF_SF_EESI_SY_SJ_SK_SL_EUlSY_E0_NS1_11comp_targetILNS1_3genE9ELNS1_11target_archE1100ELNS1_3gpuE3ELNS1_3repE0EEENS1_38merge_mergepath_config_static_selectorELNS0_4arch9wavefront6targetE1EEEvSK_.kd
    .uniform_work_group_size: 1
    .uses_dynamic_stack: false
    .vgpr_count:     0
    .vgpr_spill_count: 0
    .wavefront_size: 64
  - .agpr_count:     0
    .args:
      - .offset:         0
        .size:           72
        .value_kind:     by_value
    .group_segment_fixed_size: 0
    .kernarg_segment_align: 8
    .kernarg_segment_size: 72
    .language:       OpenCL C
    .language_version:
      - 2
      - 0
    .max_flat_workgroup_size: 1024
    .name:           _ZN7rocprim17ROCPRIM_400000_NS6detail17trampoline_kernelINS0_14default_configENS1_38merge_sort_block_merge_config_selectorImNS0_10empty_typeEEEZZNS1_27merge_sort_block_merge_implIS3_N6thrust23THRUST_200600_302600_NS6detail15normal_iteratorINS9_10device_ptrImEEEEPS5_m14custom_greaterImEEE10hipError_tT0_T1_T2_jT3_P12ihipStream_tbPNSt15iterator_traitsISJ_E10value_typeEPNSP_ISK_E10value_typeEPSL_NS1_7vsmem_tEENKUlT_SJ_SK_SL_E_clIPmSE_SF_SF_EESI_SY_SJ_SK_SL_EUlSY_E0_NS1_11comp_targetILNS1_3genE8ELNS1_11target_archE1030ELNS1_3gpuE2ELNS1_3repE0EEENS1_38merge_mergepath_config_static_selectorELNS0_4arch9wavefront6targetE1EEEvSK_
    .private_segment_fixed_size: 0
    .sgpr_count:     4
    .sgpr_spill_count: 0
    .symbol:         _ZN7rocprim17ROCPRIM_400000_NS6detail17trampoline_kernelINS0_14default_configENS1_38merge_sort_block_merge_config_selectorImNS0_10empty_typeEEEZZNS1_27merge_sort_block_merge_implIS3_N6thrust23THRUST_200600_302600_NS6detail15normal_iteratorINS9_10device_ptrImEEEEPS5_m14custom_greaterImEEE10hipError_tT0_T1_T2_jT3_P12ihipStream_tbPNSt15iterator_traitsISJ_E10value_typeEPNSP_ISK_E10value_typeEPSL_NS1_7vsmem_tEENKUlT_SJ_SK_SL_E_clIPmSE_SF_SF_EESI_SY_SJ_SK_SL_EUlSY_E0_NS1_11comp_targetILNS1_3genE8ELNS1_11target_archE1030ELNS1_3gpuE2ELNS1_3repE0EEENS1_38merge_mergepath_config_static_selectorELNS0_4arch9wavefront6targetE1EEEvSK_.kd
    .uniform_work_group_size: 1
    .uses_dynamic_stack: false
    .vgpr_count:     0
    .vgpr_spill_count: 0
    .wavefront_size: 64
  - .agpr_count:     0
    .args:
      - .offset:         0
        .size:           56
        .value_kind:     by_value
    .group_segment_fixed_size: 0
    .kernarg_segment_align: 8
    .kernarg_segment_size: 56
    .language:       OpenCL C
    .language_version:
      - 2
      - 0
    .max_flat_workgroup_size: 256
    .name:           _ZN7rocprim17ROCPRIM_400000_NS6detail17trampoline_kernelINS0_14default_configENS1_38merge_sort_block_merge_config_selectorImNS0_10empty_typeEEEZZNS1_27merge_sort_block_merge_implIS3_N6thrust23THRUST_200600_302600_NS6detail15normal_iteratorINS9_10device_ptrImEEEEPS5_m14custom_greaterImEEE10hipError_tT0_T1_T2_jT3_P12ihipStream_tbPNSt15iterator_traitsISJ_E10value_typeEPNSP_ISK_E10value_typeEPSL_NS1_7vsmem_tEENKUlT_SJ_SK_SL_E_clIPmSE_SF_SF_EESI_SY_SJ_SK_SL_EUlSY_E1_NS1_11comp_targetILNS1_3genE0ELNS1_11target_archE4294967295ELNS1_3gpuE0ELNS1_3repE0EEENS1_36merge_oddeven_config_static_selectorELNS0_4arch9wavefront6targetE1EEEvSK_
    .private_segment_fixed_size: 0
    .sgpr_count:     4
    .sgpr_spill_count: 0
    .symbol:         _ZN7rocprim17ROCPRIM_400000_NS6detail17trampoline_kernelINS0_14default_configENS1_38merge_sort_block_merge_config_selectorImNS0_10empty_typeEEEZZNS1_27merge_sort_block_merge_implIS3_N6thrust23THRUST_200600_302600_NS6detail15normal_iteratorINS9_10device_ptrImEEEEPS5_m14custom_greaterImEEE10hipError_tT0_T1_T2_jT3_P12ihipStream_tbPNSt15iterator_traitsISJ_E10value_typeEPNSP_ISK_E10value_typeEPSL_NS1_7vsmem_tEENKUlT_SJ_SK_SL_E_clIPmSE_SF_SF_EESI_SY_SJ_SK_SL_EUlSY_E1_NS1_11comp_targetILNS1_3genE0ELNS1_11target_archE4294967295ELNS1_3gpuE0ELNS1_3repE0EEENS1_36merge_oddeven_config_static_selectorELNS0_4arch9wavefront6targetE1EEEvSK_.kd
    .uniform_work_group_size: 1
    .uses_dynamic_stack: false
    .vgpr_count:     0
    .vgpr_spill_count: 0
    .wavefront_size: 64
  - .agpr_count:     0
    .args:
      - .offset:         0
        .size:           56
        .value_kind:     by_value
    .group_segment_fixed_size: 0
    .kernarg_segment_align: 8
    .kernarg_segment_size: 56
    .language:       OpenCL C
    .language_version:
      - 2
      - 0
    .max_flat_workgroup_size: 256
    .name:           _ZN7rocprim17ROCPRIM_400000_NS6detail17trampoline_kernelINS0_14default_configENS1_38merge_sort_block_merge_config_selectorImNS0_10empty_typeEEEZZNS1_27merge_sort_block_merge_implIS3_N6thrust23THRUST_200600_302600_NS6detail15normal_iteratorINS9_10device_ptrImEEEEPS5_m14custom_greaterImEEE10hipError_tT0_T1_T2_jT3_P12ihipStream_tbPNSt15iterator_traitsISJ_E10value_typeEPNSP_ISK_E10value_typeEPSL_NS1_7vsmem_tEENKUlT_SJ_SK_SL_E_clIPmSE_SF_SF_EESI_SY_SJ_SK_SL_EUlSY_E1_NS1_11comp_targetILNS1_3genE10ELNS1_11target_archE1201ELNS1_3gpuE5ELNS1_3repE0EEENS1_36merge_oddeven_config_static_selectorELNS0_4arch9wavefront6targetE1EEEvSK_
    .private_segment_fixed_size: 0
    .sgpr_count:     4
    .sgpr_spill_count: 0
    .symbol:         _ZN7rocprim17ROCPRIM_400000_NS6detail17trampoline_kernelINS0_14default_configENS1_38merge_sort_block_merge_config_selectorImNS0_10empty_typeEEEZZNS1_27merge_sort_block_merge_implIS3_N6thrust23THRUST_200600_302600_NS6detail15normal_iteratorINS9_10device_ptrImEEEEPS5_m14custom_greaterImEEE10hipError_tT0_T1_T2_jT3_P12ihipStream_tbPNSt15iterator_traitsISJ_E10value_typeEPNSP_ISK_E10value_typeEPSL_NS1_7vsmem_tEENKUlT_SJ_SK_SL_E_clIPmSE_SF_SF_EESI_SY_SJ_SK_SL_EUlSY_E1_NS1_11comp_targetILNS1_3genE10ELNS1_11target_archE1201ELNS1_3gpuE5ELNS1_3repE0EEENS1_36merge_oddeven_config_static_selectorELNS0_4arch9wavefront6targetE1EEEvSK_.kd
    .uniform_work_group_size: 1
    .uses_dynamic_stack: false
    .vgpr_count:     0
    .vgpr_spill_count: 0
    .wavefront_size: 64
  - .agpr_count:     0
    .args:
      - .offset:         0
        .size:           56
        .value_kind:     by_value
    .group_segment_fixed_size: 0
    .kernarg_segment_align: 8
    .kernarg_segment_size: 56
    .language:       OpenCL C
    .language_version:
      - 2
      - 0
    .max_flat_workgroup_size: 256
    .name:           _ZN7rocprim17ROCPRIM_400000_NS6detail17trampoline_kernelINS0_14default_configENS1_38merge_sort_block_merge_config_selectorImNS0_10empty_typeEEEZZNS1_27merge_sort_block_merge_implIS3_N6thrust23THRUST_200600_302600_NS6detail15normal_iteratorINS9_10device_ptrImEEEEPS5_m14custom_greaterImEEE10hipError_tT0_T1_T2_jT3_P12ihipStream_tbPNSt15iterator_traitsISJ_E10value_typeEPNSP_ISK_E10value_typeEPSL_NS1_7vsmem_tEENKUlT_SJ_SK_SL_E_clIPmSE_SF_SF_EESI_SY_SJ_SK_SL_EUlSY_E1_NS1_11comp_targetILNS1_3genE5ELNS1_11target_archE942ELNS1_3gpuE9ELNS1_3repE0EEENS1_36merge_oddeven_config_static_selectorELNS0_4arch9wavefront6targetE1EEEvSK_
    .private_segment_fixed_size: 0
    .sgpr_count:     4
    .sgpr_spill_count: 0
    .symbol:         _ZN7rocprim17ROCPRIM_400000_NS6detail17trampoline_kernelINS0_14default_configENS1_38merge_sort_block_merge_config_selectorImNS0_10empty_typeEEEZZNS1_27merge_sort_block_merge_implIS3_N6thrust23THRUST_200600_302600_NS6detail15normal_iteratorINS9_10device_ptrImEEEEPS5_m14custom_greaterImEEE10hipError_tT0_T1_T2_jT3_P12ihipStream_tbPNSt15iterator_traitsISJ_E10value_typeEPNSP_ISK_E10value_typeEPSL_NS1_7vsmem_tEENKUlT_SJ_SK_SL_E_clIPmSE_SF_SF_EESI_SY_SJ_SK_SL_EUlSY_E1_NS1_11comp_targetILNS1_3genE5ELNS1_11target_archE942ELNS1_3gpuE9ELNS1_3repE0EEENS1_36merge_oddeven_config_static_selectorELNS0_4arch9wavefront6targetE1EEEvSK_.kd
    .uniform_work_group_size: 1
    .uses_dynamic_stack: false
    .vgpr_count:     0
    .vgpr_spill_count: 0
    .wavefront_size: 64
  - .agpr_count:     0
    .args:
      - .offset:         0
        .size:           56
        .value_kind:     by_value
    .group_segment_fixed_size: 0
    .kernarg_segment_align: 8
    .kernarg_segment_size: 56
    .language:       OpenCL C
    .language_version:
      - 2
      - 0
    .max_flat_workgroup_size: 256
    .name:           _ZN7rocprim17ROCPRIM_400000_NS6detail17trampoline_kernelINS0_14default_configENS1_38merge_sort_block_merge_config_selectorImNS0_10empty_typeEEEZZNS1_27merge_sort_block_merge_implIS3_N6thrust23THRUST_200600_302600_NS6detail15normal_iteratorINS9_10device_ptrImEEEEPS5_m14custom_greaterImEEE10hipError_tT0_T1_T2_jT3_P12ihipStream_tbPNSt15iterator_traitsISJ_E10value_typeEPNSP_ISK_E10value_typeEPSL_NS1_7vsmem_tEENKUlT_SJ_SK_SL_E_clIPmSE_SF_SF_EESI_SY_SJ_SK_SL_EUlSY_E1_NS1_11comp_targetILNS1_3genE4ELNS1_11target_archE910ELNS1_3gpuE8ELNS1_3repE0EEENS1_36merge_oddeven_config_static_selectorELNS0_4arch9wavefront6targetE1EEEvSK_
    .private_segment_fixed_size: 0
    .sgpr_count:     25
    .sgpr_spill_count: 0
    .symbol:         _ZN7rocprim17ROCPRIM_400000_NS6detail17trampoline_kernelINS0_14default_configENS1_38merge_sort_block_merge_config_selectorImNS0_10empty_typeEEEZZNS1_27merge_sort_block_merge_implIS3_N6thrust23THRUST_200600_302600_NS6detail15normal_iteratorINS9_10device_ptrImEEEEPS5_m14custom_greaterImEEE10hipError_tT0_T1_T2_jT3_P12ihipStream_tbPNSt15iterator_traitsISJ_E10value_typeEPNSP_ISK_E10value_typeEPSL_NS1_7vsmem_tEENKUlT_SJ_SK_SL_E_clIPmSE_SF_SF_EESI_SY_SJ_SK_SL_EUlSY_E1_NS1_11comp_targetILNS1_3genE4ELNS1_11target_archE910ELNS1_3gpuE8ELNS1_3repE0EEENS1_36merge_oddeven_config_static_selectorELNS0_4arch9wavefront6targetE1EEEvSK_.kd
    .uniform_work_group_size: 1
    .uses_dynamic_stack: false
    .vgpr_count:     12
    .vgpr_spill_count: 0
    .wavefront_size: 64
  - .agpr_count:     0
    .args:
      - .offset:         0
        .size:           56
        .value_kind:     by_value
    .group_segment_fixed_size: 0
    .kernarg_segment_align: 8
    .kernarg_segment_size: 56
    .language:       OpenCL C
    .language_version:
      - 2
      - 0
    .max_flat_workgroup_size: 256
    .name:           _ZN7rocprim17ROCPRIM_400000_NS6detail17trampoline_kernelINS0_14default_configENS1_38merge_sort_block_merge_config_selectorImNS0_10empty_typeEEEZZNS1_27merge_sort_block_merge_implIS3_N6thrust23THRUST_200600_302600_NS6detail15normal_iteratorINS9_10device_ptrImEEEEPS5_m14custom_greaterImEEE10hipError_tT0_T1_T2_jT3_P12ihipStream_tbPNSt15iterator_traitsISJ_E10value_typeEPNSP_ISK_E10value_typeEPSL_NS1_7vsmem_tEENKUlT_SJ_SK_SL_E_clIPmSE_SF_SF_EESI_SY_SJ_SK_SL_EUlSY_E1_NS1_11comp_targetILNS1_3genE3ELNS1_11target_archE908ELNS1_3gpuE7ELNS1_3repE0EEENS1_36merge_oddeven_config_static_selectorELNS0_4arch9wavefront6targetE1EEEvSK_
    .private_segment_fixed_size: 0
    .sgpr_count:     4
    .sgpr_spill_count: 0
    .symbol:         _ZN7rocprim17ROCPRIM_400000_NS6detail17trampoline_kernelINS0_14default_configENS1_38merge_sort_block_merge_config_selectorImNS0_10empty_typeEEEZZNS1_27merge_sort_block_merge_implIS3_N6thrust23THRUST_200600_302600_NS6detail15normal_iteratorINS9_10device_ptrImEEEEPS5_m14custom_greaterImEEE10hipError_tT0_T1_T2_jT3_P12ihipStream_tbPNSt15iterator_traitsISJ_E10value_typeEPNSP_ISK_E10value_typeEPSL_NS1_7vsmem_tEENKUlT_SJ_SK_SL_E_clIPmSE_SF_SF_EESI_SY_SJ_SK_SL_EUlSY_E1_NS1_11comp_targetILNS1_3genE3ELNS1_11target_archE908ELNS1_3gpuE7ELNS1_3repE0EEENS1_36merge_oddeven_config_static_selectorELNS0_4arch9wavefront6targetE1EEEvSK_.kd
    .uniform_work_group_size: 1
    .uses_dynamic_stack: false
    .vgpr_count:     0
    .vgpr_spill_count: 0
    .wavefront_size: 64
  - .agpr_count:     0
    .args:
      - .offset:         0
        .size:           56
        .value_kind:     by_value
    .group_segment_fixed_size: 0
    .kernarg_segment_align: 8
    .kernarg_segment_size: 56
    .language:       OpenCL C
    .language_version:
      - 2
      - 0
    .max_flat_workgroup_size: 256
    .name:           _ZN7rocprim17ROCPRIM_400000_NS6detail17trampoline_kernelINS0_14default_configENS1_38merge_sort_block_merge_config_selectorImNS0_10empty_typeEEEZZNS1_27merge_sort_block_merge_implIS3_N6thrust23THRUST_200600_302600_NS6detail15normal_iteratorINS9_10device_ptrImEEEEPS5_m14custom_greaterImEEE10hipError_tT0_T1_T2_jT3_P12ihipStream_tbPNSt15iterator_traitsISJ_E10value_typeEPNSP_ISK_E10value_typeEPSL_NS1_7vsmem_tEENKUlT_SJ_SK_SL_E_clIPmSE_SF_SF_EESI_SY_SJ_SK_SL_EUlSY_E1_NS1_11comp_targetILNS1_3genE2ELNS1_11target_archE906ELNS1_3gpuE6ELNS1_3repE0EEENS1_36merge_oddeven_config_static_selectorELNS0_4arch9wavefront6targetE1EEEvSK_
    .private_segment_fixed_size: 0
    .sgpr_count:     4
    .sgpr_spill_count: 0
    .symbol:         _ZN7rocprim17ROCPRIM_400000_NS6detail17trampoline_kernelINS0_14default_configENS1_38merge_sort_block_merge_config_selectorImNS0_10empty_typeEEEZZNS1_27merge_sort_block_merge_implIS3_N6thrust23THRUST_200600_302600_NS6detail15normal_iteratorINS9_10device_ptrImEEEEPS5_m14custom_greaterImEEE10hipError_tT0_T1_T2_jT3_P12ihipStream_tbPNSt15iterator_traitsISJ_E10value_typeEPNSP_ISK_E10value_typeEPSL_NS1_7vsmem_tEENKUlT_SJ_SK_SL_E_clIPmSE_SF_SF_EESI_SY_SJ_SK_SL_EUlSY_E1_NS1_11comp_targetILNS1_3genE2ELNS1_11target_archE906ELNS1_3gpuE6ELNS1_3repE0EEENS1_36merge_oddeven_config_static_selectorELNS0_4arch9wavefront6targetE1EEEvSK_.kd
    .uniform_work_group_size: 1
    .uses_dynamic_stack: false
    .vgpr_count:     0
    .vgpr_spill_count: 0
    .wavefront_size: 64
  - .agpr_count:     0
    .args:
      - .offset:         0
        .size:           56
        .value_kind:     by_value
    .group_segment_fixed_size: 0
    .kernarg_segment_align: 8
    .kernarg_segment_size: 56
    .language:       OpenCL C
    .language_version:
      - 2
      - 0
    .max_flat_workgroup_size: 256
    .name:           _ZN7rocprim17ROCPRIM_400000_NS6detail17trampoline_kernelINS0_14default_configENS1_38merge_sort_block_merge_config_selectorImNS0_10empty_typeEEEZZNS1_27merge_sort_block_merge_implIS3_N6thrust23THRUST_200600_302600_NS6detail15normal_iteratorINS9_10device_ptrImEEEEPS5_m14custom_greaterImEEE10hipError_tT0_T1_T2_jT3_P12ihipStream_tbPNSt15iterator_traitsISJ_E10value_typeEPNSP_ISK_E10value_typeEPSL_NS1_7vsmem_tEENKUlT_SJ_SK_SL_E_clIPmSE_SF_SF_EESI_SY_SJ_SK_SL_EUlSY_E1_NS1_11comp_targetILNS1_3genE9ELNS1_11target_archE1100ELNS1_3gpuE3ELNS1_3repE0EEENS1_36merge_oddeven_config_static_selectorELNS0_4arch9wavefront6targetE1EEEvSK_
    .private_segment_fixed_size: 0
    .sgpr_count:     4
    .sgpr_spill_count: 0
    .symbol:         _ZN7rocprim17ROCPRIM_400000_NS6detail17trampoline_kernelINS0_14default_configENS1_38merge_sort_block_merge_config_selectorImNS0_10empty_typeEEEZZNS1_27merge_sort_block_merge_implIS3_N6thrust23THRUST_200600_302600_NS6detail15normal_iteratorINS9_10device_ptrImEEEEPS5_m14custom_greaterImEEE10hipError_tT0_T1_T2_jT3_P12ihipStream_tbPNSt15iterator_traitsISJ_E10value_typeEPNSP_ISK_E10value_typeEPSL_NS1_7vsmem_tEENKUlT_SJ_SK_SL_E_clIPmSE_SF_SF_EESI_SY_SJ_SK_SL_EUlSY_E1_NS1_11comp_targetILNS1_3genE9ELNS1_11target_archE1100ELNS1_3gpuE3ELNS1_3repE0EEENS1_36merge_oddeven_config_static_selectorELNS0_4arch9wavefront6targetE1EEEvSK_.kd
    .uniform_work_group_size: 1
    .uses_dynamic_stack: false
    .vgpr_count:     0
    .vgpr_spill_count: 0
    .wavefront_size: 64
  - .agpr_count:     0
    .args:
      - .offset:         0
        .size:           56
        .value_kind:     by_value
    .group_segment_fixed_size: 0
    .kernarg_segment_align: 8
    .kernarg_segment_size: 56
    .language:       OpenCL C
    .language_version:
      - 2
      - 0
    .max_flat_workgroup_size: 256
    .name:           _ZN7rocprim17ROCPRIM_400000_NS6detail17trampoline_kernelINS0_14default_configENS1_38merge_sort_block_merge_config_selectorImNS0_10empty_typeEEEZZNS1_27merge_sort_block_merge_implIS3_N6thrust23THRUST_200600_302600_NS6detail15normal_iteratorINS9_10device_ptrImEEEEPS5_m14custom_greaterImEEE10hipError_tT0_T1_T2_jT3_P12ihipStream_tbPNSt15iterator_traitsISJ_E10value_typeEPNSP_ISK_E10value_typeEPSL_NS1_7vsmem_tEENKUlT_SJ_SK_SL_E_clIPmSE_SF_SF_EESI_SY_SJ_SK_SL_EUlSY_E1_NS1_11comp_targetILNS1_3genE8ELNS1_11target_archE1030ELNS1_3gpuE2ELNS1_3repE0EEENS1_36merge_oddeven_config_static_selectorELNS0_4arch9wavefront6targetE1EEEvSK_
    .private_segment_fixed_size: 0
    .sgpr_count:     4
    .sgpr_spill_count: 0
    .symbol:         _ZN7rocprim17ROCPRIM_400000_NS6detail17trampoline_kernelINS0_14default_configENS1_38merge_sort_block_merge_config_selectorImNS0_10empty_typeEEEZZNS1_27merge_sort_block_merge_implIS3_N6thrust23THRUST_200600_302600_NS6detail15normal_iteratorINS9_10device_ptrImEEEEPS5_m14custom_greaterImEEE10hipError_tT0_T1_T2_jT3_P12ihipStream_tbPNSt15iterator_traitsISJ_E10value_typeEPNSP_ISK_E10value_typeEPSL_NS1_7vsmem_tEENKUlT_SJ_SK_SL_E_clIPmSE_SF_SF_EESI_SY_SJ_SK_SL_EUlSY_E1_NS1_11comp_targetILNS1_3genE8ELNS1_11target_archE1030ELNS1_3gpuE2ELNS1_3repE0EEENS1_36merge_oddeven_config_static_selectorELNS0_4arch9wavefront6targetE1EEEvSK_.kd
    .uniform_work_group_size: 1
    .uses_dynamic_stack: false
    .vgpr_count:     0
    .vgpr_spill_count: 0
    .wavefront_size: 64
  - .agpr_count:     0
    .args:
      - .offset:         0
        .size:           48
        .value_kind:     by_value
    .group_segment_fixed_size: 0
    .kernarg_segment_align: 8
    .kernarg_segment_size: 48
    .language:       OpenCL C
    .language_version:
      - 2
      - 0
    .max_flat_workgroup_size: 128
    .name:           _ZN7rocprim17ROCPRIM_400000_NS6detail17trampoline_kernelINS0_14default_configENS1_38merge_sort_block_merge_config_selectorImNS0_10empty_typeEEEZZNS1_27merge_sort_block_merge_implIS3_N6thrust23THRUST_200600_302600_NS6detail15normal_iteratorINS9_10device_ptrImEEEEPS5_m14custom_greaterImEEE10hipError_tT0_T1_T2_jT3_P12ihipStream_tbPNSt15iterator_traitsISJ_E10value_typeEPNSP_ISK_E10value_typeEPSL_NS1_7vsmem_tEENKUlT_SJ_SK_SL_E_clISE_PmSF_SF_EESI_SY_SJ_SK_SL_EUlSY_E_NS1_11comp_targetILNS1_3genE0ELNS1_11target_archE4294967295ELNS1_3gpuE0ELNS1_3repE0EEENS1_48merge_mergepath_partition_config_static_selectorELNS0_4arch9wavefront6targetE1EEEvSK_
    .private_segment_fixed_size: 0
    .sgpr_count:     4
    .sgpr_spill_count: 0
    .symbol:         _ZN7rocprim17ROCPRIM_400000_NS6detail17trampoline_kernelINS0_14default_configENS1_38merge_sort_block_merge_config_selectorImNS0_10empty_typeEEEZZNS1_27merge_sort_block_merge_implIS3_N6thrust23THRUST_200600_302600_NS6detail15normal_iteratorINS9_10device_ptrImEEEEPS5_m14custom_greaterImEEE10hipError_tT0_T1_T2_jT3_P12ihipStream_tbPNSt15iterator_traitsISJ_E10value_typeEPNSP_ISK_E10value_typeEPSL_NS1_7vsmem_tEENKUlT_SJ_SK_SL_E_clISE_PmSF_SF_EESI_SY_SJ_SK_SL_EUlSY_E_NS1_11comp_targetILNS1_3genE0ELNS1_11target_archE4294967295ELNS1_3gpuE0ELNS1_3repE0EEENS1_48merge_mergepath_partition_config_static_selectorELNS0_4arch9wavefront6targetE1EEEvSK_.kd
    .uniform_work_group_size: 1
    .uses_dynamic_stack: false
    .vgpr_count:     0
    .vgpr_spill_count: 0
    .wavefront_size: 64
  - .agpr_count:     0
    .args:
      - .offset:         0
        .size:           48
        .value_kind:     by_value
    .group_segment_fixed_size: 0
    .kernarg_segment_align: 8
    .kernarg_segment_size: 48
    .language:       OpenCL C
    .language_version:
      - 2
      - 0
    .max_flat_workgroup_size: 128
    .name:           _ZN7rocprim17ROCPRIM_400000_NS6detail17trampoline_kernelINS0_14default_configENS1_38merge_sort_block_merge_config_selectorImNS0_10empty_typeEEEZZNS1_27merge_sort_block_merge_implIS3_N6thrust23THRUST_200600_302600_NS6detail15normal_iteratorINS9_10device_ptrImEEEEPS5_m14custom_greaterImEEE10hipError_tT0_T1_T2_jT3_P12ihipStream_tbPNSt15iterator_traitsISJ_E10value_typeEPNSP_ISK_E10value_typeEPSL_NS1_7vsmem_tEENKUlT_SJ_SK_SL_E_clISE_PmSF_SF_EESI_SY_SJ_SK_SL_EUlSY_E_NS1_11comp_targetILNS1_3genE10ELNS1_11target_archE1201ELNS1_3gpuE5ELNS1_3repE0EEENS1_48merge_mergepath_partition_config_static_selectorELNS0_4arch9wavefront6targetE1EEEvSK_
    .private_segment_fixed_size: 0
    .sgpr_count:     4
    .sgpr_spill_count: 0
    .symbol:         _ZN7rocprim17ROCPRIM_400000_NS6detail17trampoline_kernelINS0_14default_configENS1_38merge_sort_block_merge_config_selectorImNS0_10empty_typeEEEZZNS1_27merge_sort_block_merge_implIS3_N6thrust23THRUST_200600_302600_NS6detail15normal_iteratorINS9_10device_ptrImEEEEPS5_m14custom_greaterImEEE10hipError_tT0_T1_T2_jT3_P12ihipStream_tbPNSt15iterator_traitsISJ_E10value_typeEPNSP_ISK_E10value_typeEPSL_NS1_7vsmem_tEENKUlT_SJ_SK_SL_E_clISE_PmSF_SF_EESI_SY_SJ_SK_SL_EUlSY_E_NS1_11comp_targetILNS1_3genE10ELNS1_11target_archE1201ELNS1_3gpuE5ELNS1_3repE0EEENS1_48merge_mergepath_partition_config_static_selectorELNS0_4arch9wavefront6targetE1EEEvSK_.kd
    .uniform_work_group_size: 1
    .uses_dynamic_stack: false
    .vgpr_count:     0
    .vgpr_spill_count: 0
    .wavefront_size: 64
  - .agpr_count:     0
    .args:
      - .offset:         0
        .size:           48
        .value_kind:     by_value
    .group_segment_fixed_size: 0
    .kernarg_segment_align: 8
    .kernarg_segment_size: 48
    .language:       OpenCL C
    .language_version:
      - 2
      - 0
    .max_flat_workgroup_size: 128
    .name:           _ZN7rocprim17ROCPRIM_400000_NS6detail17trampoline_kernelINS0_14default_configENS1_38merge_sort_block_merge_config_selectorImNS0_10empty_typeEEEZZNS1_27merge_sort_block_merge_implIS3_N6thrust23THRUST_200600_302600_NS6detail15normal_iteratorINS9_10device_ptrImEEEEPS5_m14custom_greaterImEEE10hipError_tT0_T1_T2_jT3_P12ihipStream_tbPNSt15iterator_traitsISJ_E10value_typeEPNSP_ISK_E10value_typeEPSL_NS1_7vsmem_tEENKUlT_SJ_SK_SL_E_clISE_PmSF_SF_EESI_SY_SJ_SK_SL_EUlSY_E_NS1_11comp_targetILNS1_3genE5ELNS1_11target_archE942ELNS1_3gpuE9ELNS1_3repE0EEENS1_48merge_mergepath_partition_config_static_selectorELNS0_4arch9wavefront6targetE1EEEvSK_
    .private_segment_fixed_size: 0
    .sgpr_count:     4
    .sgpr_spill_count: 0
    .symbol:         _ZN7rocprim17ROCPRIM_400000_NS6detail17trampoline_kernelINS0_14default_configENS1_38merge_sort_block_merge_config_selectorImNS0_10empty_typeEEEZZNS1_27merge_sort_block_merge_implIS3_N6thrust23THRUST_200600_302600_NS6detail15normal_iteratorINS9_10device_ptrImEEEEPS5_m14custom_greaterImEEE10hipError_tT0_T1_T2_jT3_P12ihipStream_tbPNSt15iterator_traitsISJ_E10value_typeEPNSP_ISK_E10value_typeEPSL_NS1_7vsmem_tEENKUlT_SJ_SK_SL_E_clISE_PmSF_SF_EESI_SY_SJ_SK_SL_EUlSY_E_NS1_11comp_targetILNS1_3genE5ELNS1_11target_archE942ELNS1_3gpuE9ELNS1_3repE0EEENS1_48merge_mergepath_partition_config_static_selectorELNS0_4arch9wavefront6targetE1EEEvSK_.kd
    .uniform_work_group_size: 1
    .uses_dynamic_stack: false
    .vgpr_count:     0
    .vgpr_spill_count: 0
    .wavefront_size: 64
  - .agpr_count:     0
    .args:
      - .offset:         0
        .size:           48
        .value_kind:     by_value
    .group_segment_fixed_size: 0
    .kernarg_segment_align: 8
    .kernarg_segment_size: 48
    .language:       OpenCL C
    .language_version:
      - 2
      - 0
    .max_flat_workgroup_size: 128
    .name:           _ZN7rocprim17ROCPRIM_400000_NS6detail17trampoline_kernelINS0_14default_configENS1_38merge_sort_block_merge_config_selectorImNS0_10empty_typeEEEZZNS1_27merge_sort_block_merge_implIS3_N6thrust23THRUST_200600_302600_NS6detail15normal_iteratorINS9_10device_ptrImEEEEPS5_m14custom_greaterImEEE10hipError_tT0_T1_T2_jT3_P12ihipStream_tbPNSt15iterator_traitsISJ_E10value_typeEPNSP_ISK_E10value_typeEPSL_NS1_7vsmem_tEENKUlT_SJ_SK_SL_E_clISE_PmSF_SF_EESI_SY_SJ_SK_SL_EUlSY_E_NS1_11comp_targetILNS1_3genE4ELNS1_11target_archE910ELNS1_3gpuE8ELNS1_3repE0EEENS1_48merge_mergepath_partition_config_static_selectorELNS0_4arch9wavefront6targetE1EEEvSK_
    .private_segment_fixed_size: 0
    .sgpr_count:     12
    .sgpr_spill_count: 0
    .symbol:         _ZN7rocprim17ROCPRIM_400000_NS6detail17trampoline_kernelINS0_14default_configENS1_38merge_sort_block_merge_config_selectorImNS0_10empty_typeEEEZZNS1_27merge_sort_block_merge_implIS3_N6thrust23THRUST_200600_302600_NS6detail15normal_iteratorINS9_10device_ptrImEEEEPS5_m14custom_greaterImEEE10hipError_tT0_T1_T2_jT3_P12ihipStream_tbPNSt15iterator_traitsISJ_E10value_typeEPNSP_ISK_E10value_typeEPSL_NS1_7vsmem_tEENKUlT_SJ_SK_SL_E_clISE_PmSF_SF_EESI_SY_SJ_SK_SL_EUlSY_E_NS1_11comp_targetILNS1_3genE4ELNS1_11target_archE910ELNS1_3gpuE8ELNS1_3repE0EEENS1_48merge_mergepath_partition_config_static_selectorELNS0_4arch9wavefront6targetE1EEEvSK_.kd
    .uniform_work_group_size: 1
    .uses_dynamic_stack: false
    .vgpr_count:     22
    .vgpr_spill_count: 0
    .wavefront_size: 64
  - .agpr_count:     0
    .args:
      - .offset:         0
        .size:           48
        .value_kind:     by_value
    .group_segment_fixed_size: 0
    .kernarg_segment_align: 8
    .kernarg_segment_size: 48
    .language:       OpenCL C
    .language_version:
      - 2
      - 0
    .max_flat_workgroup_size: 128
    .name:           _ZN7rocprim17ROCPRIM_400000_NS6detail17trampoline_kernelINS0_14default_configENS1_38merge_sort_block_merge_config_selectorImNS0_10empty_typeEEEZZNS1_27merge_sort_block_merge_implIS3_N6thrust23THRUST_200600_302600_NS6detail15normal_iteratorINS9_10device_ptrImEEEEPS5_m14custom_greaterImEEE10hipError_tT0_T1_T2_jT3_P12ihipStream_tbPNSt15iterator_traitsISJ_E10value_typeEPNSP_ISK_E10value_typeEPSL_NS1_7vsmem_tEENKUlT_SJ_SK_SL_E_clISE_PmSF_SF_EESI_SY_SJ_SK_SL_EUlSY_E_NS1_11comp_targetILNS1_3genE3ELNS1_11target_archE908ELNS1_3gpuE7ELNS1_3repE0EEENS1_48merge_mergepath_partition_config_static_selectorELNS0_4arch9wavefront6targetE1EEEvSK_
    .private_segment_fixed_size: 0
    .sgpr_count:     4
    .sgpr_spill_count: 0
    .symbol:         _ZN7rocprim17ROCPRIM_400000_NS6detail17trampoline_kernelINS0_14default_configENS1_38merge_sort_block_merge_config_selectorImNS0_10empty_typeEEEZZNS1_27merge_sort_block_merge_implIS3_N6thrust23THRUST_200600_302600_NS6detail15normal_iteratorINS9_10device_ptrImEEEEPS5_m14custom_greaterImEEE10hipError_tT0_T1_T2_jT3_P12ihipStream_tbPNSt15iterator_traitsISJ_E10value_typeEPNSP_ISK_E10value_typeEPSL_NS1_7vsmem_tEENKUlT_SJ_SK_SL_E_clISE_PmSF_SF_EESI_SY_SJ_SK_SL_EUlSY_E_NS1_11comp_targetILNS1_3genE3ELNS1_11target_archE908ELNS1_3gpuE7ELNS1_3repE0EEENS1_48merge_mergepath_partition_config_static_selectorELNS0_4arch9wavefront6targetE1EEEvSK_.kd
    .uniform_work_group_size: 1
    .uses_dynamic_stack: false
    .vgpr_count:     0
    .vgpr_spill_count: 0
    .wavefront_size: 64
  - .agpr_count:     0
    .args:
      - .offset:         0
        .size:           48
        .value_kind:     by_value
    .group_segment_fixed_size: 0
    .kernarg_segment_align: 8
    .kernarg_segment_size: 48
    .language:       OpenCL C
    .language_version:
      - 2
      - 0
    .max_flat_workgroup_size: 128
    .name:           _ZN7rocprim17ROCPRIM_400000_NS6detail17trampoline_kernelINS0_14default_configENS1_38merge_sort_block_merge_config_selectorImNS0_10empty_typeEEEZZNS1_27merge_sort_block_merge_implIS3_N6thrust23THRUST_200600_302600_NS6detail15normal_iteratorINS9_10device_ptrImEEEEPS5_m14custom_greaterImEEE10hipError_tT0_T1_T2_jT3_P12ihipStream_tbPNSt15iterator_traitsISJ_E10value_typeEPNSP_ISK_E10value_typeEPSL_NS1_7vsmem_tEENKUlT_SJ_SK_SL_E_clISE_PmSF_SF_EESI_SY_SJ_SK_SL_EUlSY_E_NS1_11comp_targetILNS1_3genE2ELNS1_11target_archE906ELNS1_3gpuE6ELNS1_3repE0EEENS1_48merge_mergepath_partition_config_static_selectorELNS0_4arch9wavefront6targetE1EEEvSK_
    .private_segment_fixed_size: 0
    .sgpr_count:     4
    .sgpr_spill_count: 0
    .symbol:         _ZN7rocprim17ROCPRIM_400000_NS6detail17trampoline_kernelINS0_14default_configENS1_38merge_sort_block_merge_config_selectorImNS0_10empty_typeEEEZZNS1_27merge_sort_block_merge_implIS3_N6thrust23THRUST_200600_302600_NS6detail15normal_iteratorINS9_10device_ptrImEEEEPS5_m14custom_greaterImEEE10hipError_tT0_T1_T2_jT3_P12ihipStream_tbPNSt15iterator_traitsISJ_E10value_typeEPNSP_ISK_E10value_typeEPSL_NS1_7vsmem_tEENKUlT_SJ_SK_SL_E_clISE_PmSF_SF_EESI_SY_SJ_SK_SL_EUlSY_E_NS1_11comp_targetILNS1_3genE2ELNS1_11target_archE906ELNS1_3gpuE6ELNS1_3repE0EEENS1_48merge_mergepath_partition_config_static_selectorELNS0_4arch9wavefront6targetE1EEEvSK_.kd
    .uniform_work_group_size: 1
    .uses_dynamic_stack: false
    .vgpr_count:     0
    .vgpr_spill_count: 0
    .wavefront_size: 64
  - .agpr_count:     0
    .args:
      - .offset:         0
        .size:           48
        .value_kind:     by_value
    .group_segment_fixed_size: 0
    .kernarg_segment_align: 8
    .kernarg_segment_size: 48
    .language:       OpenCL C
    .language_version:
      - 2
      - 0
    .max_flat_workgroup_size: 128
    .name:           _ZN7rocprim17ROCPRIM_400000_NS6detail17trampoline_kernelINS0_14default_configENS1_38merge_sort_block_merge_config_selectorImNS0_10empty_typeEEEZZNS1_27merge_sort_block_merge_implIS3_N6thrust23THRUST_200600_302600_NS6detail15normal_iteratorINS9_10device_ptrImEEEEPS5_m14custom_greaterImEEE10hipError_tT0_T1_T2_jT3_P12ihipStream_tbPNSt15iterator_traitsISJ_E10value_typeEPNSP_ISK_E10value_typeEPSL_NS1_7vsmem_tEENKUlT_SJ_SK_SL_E_clISE_PmSF_SF_EESI_SY_SJ_SK_SL_EUlSY_E_NS1_11comp_targetILNS1_3genE9ELNS1_11target_archE1100ELNS1_3gpuE3ELNS1_3repE0EEENS1_48merge_mergepath_partition_config_static_selectorELNS0_4arch9wavefront6targetE1EEEvSK_
    .private_segment_fixed_size: 0
    .sgpr_count:     4
    .sgpr_spill_count: 0
    .symbol:         _ZN7rocprim17ROCPRIM_400000_NS6detail17trampoline_kernelINS0_14default_configENS1_38merge_sort_block_merge_config_selectorImNS0_10empty_typeEEEZZNS1_27merge_sort_block_merge_implIS3_N6thrust23THRUST_200600_302600_NS6detail15normal_iteratorINS9_10device_ptrImEEEEPS5_m14custom_greaterImEEE10hipError_tT0_T1_T2_jT3_P12ihipStream_tbPNSt15iterator_traitsISJ_E10value_typeEPNSP_ISK_E10value_typeEPSL_NS1_7vsmem_tEENKUlT_SJ_SK_SL_E_clISE_PmSF_SF_EESI_SY_SJ_SK_SL_EUlSY_E_NS1_11comp_targetILNS1_3genE9ELNS1_11target_archE1100ELNS1_3gpuE3ELNS1_3repE0EEENS1_48merge_mergepath_partition_config_static_selectorELNS0_4arch9wavefront6targetE1EEEvSK_.kd
    .uniform_work_group_size: 1
    .uses_dynamic_stack: false
    .vgpr_count:     0
    .vgpr_spill_count: 0
    .wavefront_size: 64
  - .agpr_count:     0
    .args:
      - .offset:         0
        .size:           48
        .value_kind:     by_value
    .group_segment_fixed_size: 0
    .kernarg_segment_align: 8
    .kernarg_segment_size: 48
    .language:       OpenCL C
    .language_version:
      - 2
      - 0
    .max_flat_workgroup_size: 128
    .name:           _ZN7rocprim17ROCPRIM_400000_NS6detail17trampoline_kernelINS0_14default_configENS1_38merge_sort_block_merge_config_selectorImNS0_10empty_typeEEEZZNS1_27merge_sort_block_merge_implIS3_N6thrust23THRUST_200600_302600_NS6detail15normal_iteratorINS9_10device_ptrImEEEEPS5_m14custom_greaterImEEE10hipError_tT0_T1_T2_jT3_P12ihipStream_tbPNSt15iterator_traitsISJ_E10value_typeEPNSP_ISK_E10value_typeEPSL_NS1_7vsmem_tEENKUlT_SJ_SK_SL_E_clISE_PmSF_SF_EESI_SY_SJ_SK_SL_EUlSY_E_NS1_11comp_targetILNS1_3genE8ELNS1_11target_archE1030ELNS1_3gpuE2ELNS1_3repE0EEENS1_48merge_mergepath_partition_config_static_selectorELNS0_4arch9wavefront6targetE1EEEvSK_
    .private_segment_fixed_size: 0
    .sgpr_count:     4
    .sgpr_spill_count: 0
    .symbol:         _ZN7rocprim17ROCPRIM_400000_NS6detail17trampoline_kernelINS0_14default_configENS1_38merge_sort_block_merge_config_selectorImNS0_10empty_typeEEEZZNS1_27merge_sort_block_merge_implIS3_N6thrust23THRUST_200600_302600_NS6detail15normal_iteratorINS9_10device_ptrImEEEEPS5_m14custom_greaterImEEE10hipError_tT0_T1_T2_jT3_P12ihipStream_tbPNSt15iterator_traitsISJ_E10value_typeEPNSP_ISK_E10value_typeEPSL_NS1_7vsmem_tEENKUlT_SJ_SK_SL_E_clISE_PmSF_SF_EESI_SY_SJ_SK_SL_EUlSY_E_NS1_11comp_targetILNS1_3genE8ELNS1_11target_archE1030ELNS1_3gpuE2ELNS1_3repE0EEENS1_48merge_mergepath_partition_config_static_selectorELNS0_4arch9wavefront6targetE1EEEvSK_.kd
    .uniform_work_group_size: 1
    .uses_dynamic_stack: false
    .vgpr_count:     0
    .vgpr_spill_count: 0
    .wavefront_size: 64
  - .agpr_count:     0
    .args:
      - .offset:         0
        .size:           72
        .value_kind:     by_value
    .group_segment_fixed_size: 0
    .kernarg_segment_align: 8
    .kernarg_segment_size: 72
    .language:       OpenCL C
    .language_version:
      - 2
      - 0
    .max_flat_workgroup_size: 128
    .name:           _ZN7rocprim17ROCPRIM_400000_NS6detail17trampoline_kernelINS0_14default_configENS1_38merge_sort_block_merge_config_selectorImNS0_10empty_typeEEEZZNS1_27merge_sort_block_merge_implIS3_N6thrust23THRUST_200600_302600_NS6detail15normal_iteratorINS9_10device_ptrImEEEEPS5_m14custom_greaterImEEE10hipError_tT0_T1_T2_jT3_P12ihipStream_tbPNSt15iterator_traitsISJ_E10value_typeEPNSP_ISK_E10value_typeEPSL_NS1_7vsmem_tEENKUlT_SJ_SK_SL_E_clISE_PmSF_SF_EESI_SY_SJ_SK_SL_EUlSY_E0_NS1_11comp_targetILNS1_3genE0ELNS1_11target_archE4294967295ELNS1_3gpuE0ELNS1_3repE0EEENS1_38merge_mergepath_config_static_selectorELNS0_4arch9wavefront6targetE1EEEvSK_
    .private_segment_fixed_size: 0
    .sgpr_count:     4
    .sgpr_spill_count: 0
    .symbol:         _ZN7rocprim17ROCPRIM_400000_NS6detail17trampoline_kernelINS0_14default_configENS1_38merge_sort_block_merge_config_selectorImNS0_10empty_typeEEEZZNS1_27merge_sort_block_merge_implIS3_N6thrust23THRUST_200600_302600_NS6detail15normal_iteratorINS9_10device_ptrImEEEEPS5_m14custom_greaterImEEE10hipError_tT0_T1_T2_jT3_P12ihipStream_tbPNSt15iterator_traitsISJ_E10value_typeEPNSP_ISK_E10value_typeEPSL_NS1_7vsmem_tEENKUlT_SJ_SK_SL_E_clISE_PmSF_SF_EESI_SY_SJ_SK_SL_EUlSY_E0_NS1_11comp_targetILNS1_3genE0ELNS1_11target_archE4294967295ELNS1_3gpuE0ELNS1_3repE0EEENS1_38merge_mergepath_config_static_selectorELNS0_4arch9wavefront6targetE1EEEvSK_.kd
    .uniform_work_group_size: 1
    .uses_dynamic_stack: false
    .vgpr_count:     0
    .vgpr_spill_count: 0
    .wavefront_size: 64
  - .agpr_count:     0
    .args:
      - .offset:         0
        .size:           72
        .value_kind:     by_value
    .group_segment_fixed_size: 0
    .kernarg_segment_align: 8
    .kernarg_segment_size: 72
    .language:       OpenCL C
    .language_version:
      - 2
      - 0
    .max_flat_workgroup_size: 512
    .name:           _ZN7rocprim17ROCPRIM_400000_NS6detail17trampoline_kernelINS0_14default_configENS1_38merge_sort_block_merge_config_selectorImNS0_10empty_typeEEEZZNS1_27merge_sort_block_merge_implIS3_N6thrust23THRUST_200600_302600_NS6detail15normal_iteratorINS9_10device_ptrImEEEEPS5_m14custom_greaterImEEE10hipError_tT0_T1_T2_jT3_P12ihipStream_tbPNSt15iterator_traitsISJ_E10value_typeEPNSP_ISK_E10value_typeEPSL_NS1_7vsmem_tEENKUlT_SJ_SK_SL_E_clISE_PmSF_SF_EESI_SY_SJ_SK_SL_EUlSY_E0_NS1_11comp_targetILNS1_3genE10ELNS1_11target_archE1201ELNS1_3gpuE5ELNS1_3repE0EEENS1_38merge_mergepath_config_static_selectorELNS0_4arch9wavefront6targetE1EEEvSK_
    .private_segment_fixed_size: 0
    .sgpr_count:     4
    .sgpr_spill_count: 0
    .symbol:         _ZN7rocprim17ROCPRIM_400000_NS6detail17trampoline_kernelINS0_14default_configENS1_38merge_sort_block_merge_config_selectorImNS0_10empty_typeEEEZZNS1_27merge_sort_block_merge_implIS3_N6thrust23THRUST_200600_302600_NS6detail15normal_iteratorINS9_10device_ptrImEEEEPS5_m14custom_greaterImEEE10hipError_tT0_T1_T2_jT3_P12ihipStream_tbPNSt15iterator_traitsISJ_E10value_typeEPNSP_ISK_E10value_typeEPSL_NS1_7vsmem_tEENKUlT_SJ_SK_SL_E_clISE_PmSF_SF_EESI_SY_SJ_SK_SL_EUlSY_E0_NS1_11comp_targetILNS1_3genE10ELNS1_11target_archE1201ELNS1_3gpuE5ELNS1_3repE0EEENS1_38merge_mergepath_config_static_selectorELNS0_4arch9wavefront6targetE1EEEvSK_.kd
    .uniform_work_group_size: 1
    .uses_dynamic_stack: false
    .vgpr_count:     0
    .vgpr_spill_count: 0
    .wavefront_size: 64
  - .agpr_count:     0
    .args:
      - .offset:         0
        .size:           72
        .value_kind:     by_value
    .group_segment_fixed_size: 0
    .kernarg_segment_align: 8
    .kernarg_segment_size: 72
    .language:       OpenCL C
    .language_version:
      - 2
      - 0
    .max_flat_workgroup_size: 128
    .name:           _ZN7rocprim17ROCPRIM_400000_NS6detail17trampoline_kernelINS0_14default_configENS1_38merge_sort_block_merge_config_selectorImNS0_10empty_typeEEEZZNS1_27merge_sort_block_merge_implIS3_N6thrust23THRUST_200600_302600_NS6detail15normal_iteratorINS9_10device_ptrImEEEEPS5_m14custom_greaterImEEE10hipError_tT0_T1_T2_jT3_P12ihipStream_tbPNSt15iterator_traitsISJ_E10value_typeEPNSP_ISK_E10value_typeEPSL_NS1_7vsmem_tEENKUlT_SJ_SK_SL_E_clISE_PmSF_SF_EESI_SY_SJ_SK_SL_EUlSY_E0_NS1_11comp_targetILNS1_3genE5ELNS1_11target_archE942ELNS1_3gpuE9ELNS1_3repE0EEENS1_38merge_mergepath_config_static_selectorELNS0_4arch9wavefront6targetE1EEEvSK_
    .private_segment_fixed_size: 0
    .sgpr_count:     4
    .sgpr_spill_count: 0
    .symbol:         _ZN7rocprim17ROCPRIM_400000_NS6detail17trampoline_kernelINS0_14default_configENS1_38merge_sort_block_merge_config_selectorImNS0_10empty_typeEEEZZNS1_27merge_sort_block_merge_implIS3_N6thrust23THRUST_200600_302600_NS6detail15normal_iteratorINS9_10device_ptrImEEEEPS5_m14custom_greaterImEEE10hipError_tT0_T1_T2_jT3_P12ihipStream_tbPNSt15iterator_traitsISJ_E10value_typeEPNSP_ISK_E10value_typeEPSL_NS1_7vsmem_tEENKUlT_SJ_SK_SL_E_clISE_PmSF_SF_EESI_SY_SJ_SK_SL_EUlSY_E0_NS1_11comp_targetILNS1_3genE5ELNS1_11target_archE942ELNS1_3gpuE9ELNS1_3repE0EEENS1_38merge_mergepath_config_static_selectorELNS0_4arch9wavefront6targetE1EEEvSK_.kd
    .uniform_work_group_size: 1
    .uses_dynamic_stack: false
    .vgpr_count:     0
    .vgpr_spill_count: 0
    .wavefront_size: 64
  - .agpr_count:     0
    .args:
      - .offset:         0
        .size:           72
        .value_kind:     by_value
      - .offset:         72
        .size:           4
        .value_kind:     hidden_block_count_x
      - .offset:         76
        .size:           4
        .value_kind:     hidden_block_count_y
      - .offset:         80
        .size:           4
        .value_kind:     hidden_block_count_z
      - .offset:         84
        .size:           2
        .value_kind:     hidden_group_size_x
      - .offset:         86
        .size:           2
        .value_kind:     hidden_group_size_y
      - .offset:         88
        .size:           2
        .value_kind:     hidden_group_size_z
      - .offset:         90
        .size:           2
        .value_kind:     hidden_remainder_x
      - .offset:         92
        .size:           2
        .value_kind:     hidden_remainder_y
      - .offset:         94
        .size:           2
        .value_kind:     hidden_remainder_z
      - .offset:         112
        .size:           8
        .value_kind:     hidden_global_offset_x
      - .offset:         120
        .size:           8
        .value_kind:     hidden_global_offset_y
      - .offset:         128
        .size:           8
        .value_kind:     hidden_global_offset_z
      - .offset:         136
        .size:           2
        .value_kind:     hidden_grid_dims
    .group_segment_fixed_size: 8448
    .kernarg_segment_align: 8
    .kernarg_segment_size: 328
    .language:       OpenCL C
    .language_version:
      - 2
      - 0
    .max_flat_workgroup_size: 256
    .name:           _ZN7rocprim17ROCPRIM_400000_NS6detail17trampoline_kernelINS0_14default_configENS1_38merge_sort_block_merge_config_selectorImNS0_10empty_typeEEEZZNS1_27merge_sort_block_merge_implIS3_N6thrust23THRUST_200600_302600_NS6detail15normal_iteratorINS9_10device_ptrImEEEEPS5_m14custom_greaterImEEE10hipError_tT0_T1_T2_jT3_P12ihipStream_tbPNSt15iterator_traitsISJ_E10value_typeEPNSP_ISK_E10value_typeEPSL_NS1_7vsmem_tEENKUlT_SJ_SK_SL_E_clISE_PmSF_SF_EESI_SY_SJ_SK_SL_EUlSY_E0_NS1_11comp_targetILNS1_3genE4ELNS1_11target_archE910ELNS1_3gpuE8ELNS1_3repE0EEENS1_38merge_mergepath_config_static_selectorELNS0_4arch9wavefront6targetE1EEEvSK_
    .private_segment_fixed_size: 0
    .sgpr_count:     35
    .sgpr_spill_count: 0
    .symbol:         _ZN7rocprim17ROCPRIM_400000_NS6detail17trampoline_kernelINS0_14default_configENS1_38merge_sort_block_merge_config_selectorImNS0_10empty_typeEEEZZNS1_27merge_sort_block_merge_implIS3_N6thrust23THRUST_200600_302600_NS6detail15normal_iteratorINS9_10device_ptrImEEEEPS5_m14custom_greaterImEEE10hipError_tT0_T1_T2_jT3_P12ihipStream_tbPNSt15iterator_traitsISJ_E10value_typeEPNSP_ISK_E10value_typeEPSL_NS1_7vsmem_tEENKUlT_SJ_SK_SL_E_clISE_PmSF_SF_EESI_SY_SJ_SK_SL_EUlSY_E0_NS1_11comp_targetILNS1_3genE4ELNS1_11target_archE910ELNS1_3gpuE8ELNS1_3repE0EEENS1_38merge_mergepath_config_static_selectorELNS0_4arch9wavefront6targetE1EEEvSK_.kd
    .uniform_work_group_size: 1
    .uses_dynamic_stack: false
    .vgpr_count:     22
    .vgpr_spill_count: 0
    .wavefront_size: 64
  - .agpr_count:     0
    .args:
      - .offset:         0
        .size:           72
        .value_kind:     by_value
    .group_segment_fixed_size: 0
    .kernarg_segment_align: 8
    .kernarg_segment_size: 72
    .language:       OpenCL C
    .language_version:
      - 2
      - 0
    .max_flat_workgroup_size: 128
    .name:           _ZN7rocprim17ROCPRIM_400000_NS6detail17trampoline_kernelINS0_14default_configENS1_38merge_sort_block_merge_config_selectorImNS0_10empty_typeEEEZZNS1_27merge_sort_block_merge_implIS3_N6thrust23THRUST_200600_302600_NS6detail15normal_iteratorINS9_10device_ptrImEEEEPS5_m14custom_greaterImEEE10hipError_tT0_T1_T2_jT3_P12ihipStream_tbPNSt15iterator_traitsISJ_E10value_typeEPNSP_ISK_E10value_typeEPSL_NS1_7vsmem_tEENKUlT_SJ_SK_SL_E_clISE_PmSF_SF_EESI_SY_SJ_SK_SL_EUlSY_E0_NS1_11comp_targetILNS1_3genE3ELNS1_11target_archE908ELNS1_3gpuE7ELNS1_3repE0EEENS1_38merge_mergepath_config_static_selectorELNS0_4arch9wavefront6targetE1EEEvSK_
    .private_segment_fixed_size: 0
    .sgpr_count:     4
    .sgpr_spill_count: 0
    .symbol:         _ZN7rocprim17ROCPRIM_400000_NS6detail17trampoline_kernelINS0_14default_configENS1_38merge_sort_block_merge_config_selectorImNS0_10empty_typeEEEZZNS1_27merge_sort_block_merge_implIS3_N6thrust23THRUST_200600_302600_NS6detail15normal_iteratorINS9_10device_ptrImEEEEPS5_m14custom_greaterImEEE10hipError_tT0_T1_T2_jT3_P12ihipStream_tbPNSt15iterator_traitsISJ_E10value_typeEPNSP_ISK_E10value_typeEPSL_NS1_7vsmem_tEENKUlT_SJ_SK_SL_E_clISE_PmSF_SF_EESI_SY_SJ_SK_SL_EUlSY_E0_NS1_11comp_targetILNS1_3genE3ELNS1_11target_archE908ELNS1_3gpuE7ELNS1_3repE0EEENS1_38merge_mergepath_config_static_selectorELNS0_4arch9wavefront6targetE1EEEvSK_.kd
    .uniform_work_group_size: 1
    .uses_dynamic_stack: false
    .vgpr_count:     0
    .vgpr_spill_count: 0
    .wavefront_size: 64
  - .agpr_count:     0
    .args:
      - .offset:         0
        .size:           72
        .value_kind:     by_value
    .group_segment_fixed_size: 0
    .kernarg_segment_align: 8
    .kernarg_segment_size: 72
    .language:       OpenCL C
    .language_version:
      - 2
      - 0
    .max_flat_workgroup_size: 256
    .name:           _ZN7rocprim17ROCPRIM_400000_NS6detail17trampoline_kernelINS0_14default_configENS1_38merge_sort_block_merge_config_selectorImNS0_10empty_typeEEEZZNS1_27merge_sort_block_merge_implIS3_N6thrust23THRUST_200600_302600_NS6detail15normal_iteratorINS9_10device_ptrImEEEEPS5_m14custom_greaterImEEE10hipError_tT0_T1_T2_jT3_P12ihipStream_tbPNSt15iterator_traitsISJ_E10value_typeEPNSP_ISK_E10value_typeEPSL_NS1_7vsmem_tEENKUlT_SJ_SK_SL_E_clISE_PmSF_SF_EESI_SY_SJ_SK_SL_EUlSY_E0_NS1_11comp_targetILNS1_3genE2ELNS1_11target_archE906ELNS1_3gpuE6ELNS1_3repE0EEENS1_38merge_mergepath_config_static_selectorELNS0_4arch9wavefront6targetE1EEEvSK_
    .private_segment_fixed_size: 0
    .sgpr_count:     4
    .sgpr_spill_count: 0
    .symbol:         _ZN7rocprim17ROCPRIM_400000_NS6detail17trampoline_kernelINS0_14default_configENS1_38merge_sort_block_merge_config_selectorImNS0_10empty_typeEEEZZNS1_27merge_sort_block_merge_implIS3_N6thrust23THRUST_200600_302600_NS6detail15normal_iteratorINS9_10device_ptrImEEEEPS5_m14custom_greaterImEEE10hipError_tT0_T1_T2_jT3_P12ihipStream_tbPNSt15iterator_traitsISJ_E10value_typeEPNSP_ISK_E10value_typeEPSL_NS1_7vsmem_tEENKUlT_SJ_SK_SL_E_clISE_PmSF_SF_EESI_SY_SJ_SK_SL_EUlSY_E0_NS1_11comp_targetILNS1_3genE2ELNS1_11target_archE906ELNS1_3gpuE6ELNS1_3repE0EEENS1_38merge_mergepath_config_static_selectorELNS0_4arch9wavefront6targetE1EEEvSK_.kd
    .uniform_work_group_size: 1
    .uses_dynamic_stack: false
    .vgpr_count:     0
    .vgpr_spill_count: 0
    .wavefront_size: 64
  - .agpr_count:     0
    .args:
      - .offset:         0
        .size:           72
        .value_kind:     by_value
    .group_segment_fixed_size: 0
    .kernarg_segment_align: 8
    .kernarg_segment_size: 72
    .language:       OpenCL C
    .language_version:
      - 2
      - 0
    .max_flat_workgroup_size: 512
    .name:           _ZN7rocprim17ROCPRIM_400000_NS6detail17trampoline_kernelINS0_14default_configENS1_38merge_sort_block_merge_config_selectorImNS0_10empty_typeEEEZZNS1_27merge_sort_block_merge_implIS3_N6thrust23THRUST_200600_302600_NS6detail15normal_iteratorINS9_10device_ptrImEEEEPS5_m14custom_greaterImEEE10hipError_tT0_T1_T2_jT3_P12ihipStream_tbPNSt15iterator_traitsISJ_E10value_typeEPNSP_ISK_E10value_typeEPSL_NS1_7vsmem_tEENKUlT_SJ_SK_SL_E_clISE_PmSF_SF_EESI_SY_SJ_SK_SL_EUlSY_E0_NS1_11comp_targetILNS1_3genE9ELNS1_11target_archE1100ELNS1_3gpuE3ELNS1_3repE0EEENS1_38merge_mergepath_config_static_selectorELNS0_4arch9wavefront6targetE1EEEvSK_
    .private_segment_fixed_size: 0
    .sgpr_count:     4
    .sgpr_spill_count: 0
    .symbol:         _ZN7rocprim17ROCPRIM_400000_NS6detail17trampoline_kernelINS0_14default_configENS1_38merge_sort_block_merge_config_selectorImNS0_10empty_typeEEEZZNS1_27merge_sort_block_merge_implIS3_N6thrust23THRUST_200600_302600_NS6detail15normal_iteratorINS9_10device_ptrImEEEEPS5_m14custom_greaterImEEE10hipError_tT0_T1_T2_jT3_P12ihipStream_tbPNSt15iterator_traitsISJ_E10value_typeEPNSP_ISK_E10value_typeEPSL_NS1_7vsmem_tEENKUlT_SJ_SK_SL_E_clISE_PmSF_SF_EESI_SY_SJ_SK_SL_EUlSY_E0_NS1_11comp_targetILNS1_3genE9ELNS1_11target_archE1100ELNS1_3gpuE3ELNS1_3repE0EEENS1_38merge_mergepath_config_static_selectorELNS0_4arch9wavefront6targetE1EEEvSK_.kd
    .uniform_work_group_size: 1
    .uses_dynamic_stack: false
    .vgpr_count:     0
    .vgpr_spill_count: 0
    .wavefront_size: 64
  - .agpr_count:     0
    .args:
      - .offset:         0
        .size:           72
        .value_kind:     by_value
    .group_segment_fixed_size: 0
    .kernarg_segment_align: 8
    .kernarg_segment_size: 72
    .language:       OpenCL C
    .language_version:
      - 2
      - 0
    .max_flat_workgroup_size: 1024
    .name:           _ZN7rocprim17ROCPRIM_400000_NS6detail17trampoline_kernelINS0_14default_configENS1_38merge_sort_block_merge_config_selectorImNS0_10empty_typeEEEZZNS1_27merge_sort_block_merge_implIS3_N6thrust23THRUST_200600_302600_NS6detail15normal_iteratorINS9_10device_ptrImEEEEPS5_m14custom_greaterImEEE10hipError_tT0_T1_T2_jT3_P12ihipStream_tbPNSt15iterator_traitsISJ_E10value_typeEPNSP_ISK_E10value_typeEPSL_NS1_7vsmem_tEENKUlT_SJ_SK_SL_E_clISE_PmSF_SF_EESI_SY_SJ_SK_SL_EUlSY_E0_NS1_11comp_targetILNS1_3genE8ELNS1_11target_archE1030ELNS1_3gpuE2ELNS1_3repE0EEENS1_38merge_mergepath_config_static_selectorELNS0_4arch9wavefront6targetE1EEEvSK_
    .private_segment_fixed_size: 0
    .sgpr_count:     4
    .sgpr_spill_count: 0
    .symbol:         _ZN7rocprim17ROCPRIM_400000_NS6detail17trampoline_kernelINS0_14default_configENS1_38merge_sort_block_merge_config_selectorImNS0_10empty_typeEEEZZNS1_27merge_sort_block_merge_implIS3_N6thrust23THRUST_200600_302600_NS6detail15normal_iteratorINS9_10device_ptrImEEEEPS5_m14custom_greaterImEEE10hipError_tT0_T1_T2_jT3_P12ihipStream_tbPNSt15iterator_traitsISJ_E10value_typeEPNSP_ISK_E10value_typeEPSL_NS1_7vsmem_tEENKUlT_SJ_SK_SL_E_clISE_PmSF_SF_EESI_SY_SJ_SK_SL_EUlSY_E0_NS1_11comp_targetILNS1_3genE8ELNS1_11target_archE1030ELNS1_3gpuE2ELNS1_3repE0EEENS1_38merge_mergepath_config_static_selectorELNS0_4arch9wavefront6targetE1EEEvSK_.kd
    .uniform_work_group_size: 1
    .uses_dynamic_stack: false
    .vgpr_count:     0
    .vgpr_spill_count: 0
    .wavefront_size: 64
  - .agpr_count:     0
    .args:
      - .offset:         0
        .size:           56
        .value_kind:     by_value
    .group_segment_fixed_size: 0
    .kernarg_segment_align: 8
    .kernarg_segment_size: 56
    .language:       OpenCL C
    .language_version:
      - 2
      - 0
    .max_flat_workgroup_size: 256
    .name:           _ZN7rocprim17ROCPRIM_400000_NS6detail17trampoline_kernelINS0_14default_configENS1_38merge_sort_block_merge_config_selectorImNS0_10empty_typeEEEZZNS1_27merge_sort_block_merge_implIS3_N6thrust23THRUST_200600_302600_NS6detail15normal_iteratorINS9_10device_ptrImEEEEPS5_m14custom_greaterImEEE10hipError_tT0_T1_T2_jT3_P12ihipStream_tbPNSt15iterator_traitsISJ_E10value_typeEPNSP_ISK_E10value_typeEPSL_NS1_7vsmem_tEENKUlT_SJ_SK_SL_E_clISE_PmSF_SF_EESI_SY_SJ_SK_SL_EUlSY_E1_NS1_11comp_targetILNS1_3genE0ELNS1_11target_archE4294967295ELNS1_3gpuE0ELNS1_3repE0EEENS1_36merge_oddeven_config_static_selectorELNS0_4arch9wavefront6targetE1EEEvSK_
    .private_segment_fixed_size: 0
    .sgpr_count:     4
    .sgpr_spill_count: 0
    .symbol:         _ZN7rocprim17ROCPRIM_400000_NS6detail17trampoline_kernelINS0_14default_configENS1_38merge_sort_block_merge_config_selectorImNS0_10empty_typeEEEZZNS1_27merge_sort_block_merge_implIS3_N6thrust23THRUST_200600_302600_NS6detail15normal_iteratorINS9_10device_ptrImEEEEPS5_m14custom_greaterImEEE10hipError_tT0_T1_T2_jT3_P12ihipStream_tbPNSt15iterator_traitsISJ_E10value_typeEPNSP_ISK_E10value_typeEPSL_NS1_7vsmem_tEENKUlT_SJ_SK_SL_E_clISE_PmSF_SF_EESI_SY_SJ_SK_SL_EUlSY_E1_NS1_11comp_targetILNS1_3genE0ELNS1_11target_archE4294967295ELNS1_3gpuE0ELNS1_3repE0EEENS1_36merge_oddeven_config_static_selectorELNS0_4arch9wavefront6targetE1EEEvSK_.kd
    .uniform_work_group_size: 1
    .uses_dynamic_stack: false
    .vgpr_count:     0
    .vgpr_spill_count: 0
    .wavefront_size: 64
  - .agpr_count:     0
    .args:
      - .offset:         0
        .size:           56
        .value_kind:     by_value
    .group_segment_fixed_size: 0
    .kernarg_segment_align: 8
    .kernarg_segment_size: 56
    .language:       OpenCL C
    .language_version:
      - 2
      - 0
    .max_flat_workgroup_size: 256
    .name:           _ZN7rocprim17ROCPRIM_400000_NS6detail17trampoline_kernelINS0_14default_configENS1_38merge_sort_block_merge_config_selectorImNS0_10empty_typeEEEZZNS1_27merge_sort_block_merge_implIS3_N6thrust23THRUST_200600_302600_NS6detail15normal_iteratorINS9_10device_ptrImEEEEPS5_m14custom_greaterImEEE10hipError_tT0_T1_T2_jT3_P12ihipStream_tbPNSt15iterator_traitsISJ_E10value_typeEPNSP_ISK_E10value_typeEPSL_NS1_7vsmem_tEENKUlT_SJ_SK_SL_E_clISE_PmSF_SF_EESI_SY_SJ_SK_SL_EUlSY_E1_NS1_11comp_targetILNS1_3genE10ELNS1_11target_archE1201ELNS1_3gpuE5ELNS1_3repE0EEENS1_36merge_oddeven_config_static_selectorELNS0_4arch9wavefront6targetE1EEEvSK_
    .private_segment_fixed_size: 0
    .sgpr_count:     4
    .sgpr_spill_count: 0
    .symbol:         _ZN7rocprim17ROCPRIM_400000_NS6detail17trampoline_kernelINS0_14default_configENS1_38merge_sort_block_merge_config_selectorImNS0_10empty_typeEEEZZNS1_27merge_sort_block_merge_implIS3_N6thrust23THRUST_200600_302600_NS6detail15normal_iteratorINS9_10device_ptrImEEEEPS5_m14custom_greaterImEEE10hipError_tT0_T1_T2_jT3_P12ihipStream_tbPNSt15iterator_traitsISJ_E10value_typeEPNSP_ISK_E10value_typeEPSL_NS1_7vsmem_tEENKUlT_SJ_SK_SL_E_clISE_PmSF_SF_EESI_SY_SJ_SK_SL_EUlSY_E1_NS1_11comp_targetILNS1_3genE10ELNS1_11target_archE1201ELNS1_3gpuE5ELNS1_3repE0EEENS1_36merge_oddeven_config_static_selectorELNS0_4arch9wavefront6targetE1EEEvSK_.kd
    .uniform_work_group_size: 1
    .uses_dynamic_stack: false
    .vgpr_count:     0
    .vgpr_spill_count: 0
    .wavefront_size: 64
  - .agpr_count:     0
    .args:
      - .offset:         0
        .size:           56
        .value_kind:     by_value
    .group_segment_fixed_size: 0
    .kernarg_segment_align: 8
    .kernarg_segment_size: 56
    .language:       OpenCL C
    .language_version:
      - 2
      - 0
    .max_flat_workgroup_size: 256
    .name:           _ZN7rocprim17ROCPRIM_400000_NS6detail17trampoline_kernelINS0_14default_configENS1_38merge_sort_block_merge_config_selectorImNS0_10empty_typeEEEZZNS1_27merge_sort_block_merge_implIS3_N6thrust23THRUST_200600_302600_NS6detail15normal_iteratorINS9_10device_ptrImEEEEPS5_m14custom_greaterImEEE10hipError_tT0_T1_T2_jT3_P12ihipStream_tbPNSt15iterator_traitsISJ_E10value_typeEPNSP_ISK_E10value_typeEPSL_NS1_7vsmem_tEENKUlT_SJ_SK_SL_E_clISE_PmSF_SF_EESI_SY_SJ_SK_SL_EUlSY_E1_NS1_11comp_targetILNS1_3genE5ELNS1_11target_archE942ELNS1_3gpuE9ELNS1_3repE0EEENS1_36merge_oddeven_config_static_selectorELNS0_4arch9wavefront6targetE1EEEvSK_
    .private_segment_fixed_size: 0
    .sgpr_count:     4
    .sgpr_spill_count: 0
    .symbol:         _ZN7rocprim17ROCPRIM_400000_NS6detail17trampoline_kernelINS0_14default_configENS1_38merge_sort_block_merge_config_selectorImNS0_10empty_typeEEEZZNS1_27merge_sort_block_merge_implIS3_N6thrust23THRUST_200600_302600_NS6detail15normal_iteratorINS9_10device_ptrImEEEEPS5_m14custom_greaterImEEE10hipError_tT0_T1_T2_jT3_P12ihipStream_tbPNSt15iterator_traitsISJ_E10value_typeEPNSP_ISK_E10value_typeEPSL_NS1_7vsmem_tEENKUlT_SJ_SK_SL_E_clISE_PmSF_SF_EESI_SY_SJ_SK_SL_EUlSY_E1_NS1_11comp_targetILNS1_3genE5ELNS1_11target_archE942ELNS1_3gpuE9ELNS1_3repE0EEENS1_36merge_oddeven_config_static_selectorELNS0_4arch9wavefront6targetE1EEEvSK_.kd
    .uniform_work_group_size: 1
    .uses_dynamic_stack: false
    .vgpr_count:     0
    .vgpr_spill_count: 0
    .wavefront_size: 64
  - .agpr_count:     0
    .args:
      - .offset:         0
        .size:           56
        .value_kind:     by_value
    .group_segment_fixed_size: 0
    .kernarg_segment_align: 8
    .kernarg_segment_size: 56
    .language:       OpenCL C
    .language_version:
      - 2
      - 0
    .max_flat_workgroup_size: 256
    .name:           _ZN7rocprim17ROCPRIM_400000_NS6detail17trampoline_kernelINS0_14default_configENS1_38merge_sort_block_merge_config_selectorImNS0_10empty_typeEEEZZNS1_27merge_sort_block_merge_implIS3_N6thrust23THRUST_200600_302600_NS6detail15normal_iteratorINS9_10device_ptrImEEEEPS5_m14custom_greaterImEEE10hipError_tT0_T1_T2_jT3_P12ihipStream_tbPNSt15iterator_traitsISJ_E10value_typeEPNSP_ISK_E10value_typeEPSL_NS1_7vsmem_tEENKUlT_SJ_SK_SL_E_clISE_PmSF_SF_EESI_SY_SJ_SK_SL_EUlSY_E1_NS1_11comp_targetILNS1_3genE4ELNS1_11target_archE910ELNS1_3gpuE8ELNS1_3repE0EEENS1_36merge_oddeven_config_static_selectorELNS0_4arch9wavefront6targetE1EEEvSK_
    .private_segment_fixed_size: 0
    .sgpr_count:     25
    .sgpr_spill_count: 0
    .symbol:         _ZN7rocprim17ROCPRIM_400000_NS6detail17trampoline_kernelINS0_14default_configENS1_38merge_sort_block_merge_config_selectorImNS0_10empty_typeEEEZZNS1_27merge_sort_block_merge_implIS3_N6thrust23THRUST_200600_302600_NS6detail15normal_iteratorINS9_10device_ptrImEEEEPS5_m14custom_greaterImEEE10hipError_tT0_T1_T2_jT3_P12ihipStream_tbPNSt15iterator_traitsISJ_E10value_typeEPNSP_ISK_E10value_typeEPSL_NS1_7vsmem_tEENKUlT_SJ_SK_SL_E_clISE_PmSF_SF_EESI_SY_SJ_SK_SL_EUlSY_E1_NS1_11comp_targetILNS1_3genE4ELNS1_11target_archE910ELNS1_3gpuE8ELNS1_3repE0EEENS1_36merge_oddeven_config_static_selectorELNS0_4arch9wavefront6targetE1EEEvSK_.kd
    .uniform_work_group_size: 1
    .uses_dynamic_stack: false
    .vgpr_count:     12
    .vgpr_spill_count: 0
    .wavefront_size: 64
  - .agpr_count:     0
    .args:
      - .offset:         0
        .size:           56
        .value_kind:     by_value
    .group_segment_fixed_size: 0
    .kernarg_segment_align: 8
    .kernarg_segment_size: 56
    .language:       OpenCL C
    .language_version:
      - 2
      - 0
    .max_flat_workgroup_size: 256
    .name:           _ZN7rocprim17ROCPRIM_400000_NS6detail17trampoline_kernelINS0_14default_configENS1_38merge_sort_block_merge_config_selectorImNS0_10empty_typeEEEZZNS1_27merge_sort_block_merge_implIS3_N6thrust23THRUST_200600_302600_NS6detail15normal_iteratorINS9_10device_ptrImEEEEPS5_m14custom_greaterImEEE10hipError_tT0_T1_T2_jT3_P12ihipStream_tbPNSt15iterator_traitsISJ_E10value_typeEPNSP_ISK_E10value_typeEPSL_NS1_7vsmem_tEENKUlT_SJ_SK_SL_E_clISE_PmSF_SF_EESI_SY_SJ_SK_SL_EUlSY_E1_NS1_11comp_targetILNS1_3genE3ELNS1_11target_archE908ELNS1_3gpuE7ELNS1_3repE0EEENS1_36merge_oddeven_config_static_selectorELNS0_4arch9wavefront6targetE1EEEvSK_
    .private_segment_fixed_size: 0
    .sgpr_count:     4
    .sgpr_spill_count: 0
    .symbol:         _ZN7rocprim17ROCPRIM_400000_NS6detail17trampoline_kernelINS0_14default_configENS1_38merge_sort_block_merge_config_selectorImNS0_10empty_typeEEEZZNS1_27merge_sort_block_merge_implIS3_N6thrust23THRUST_200600_302600_NS6detail15normal_iteratorINS9_10device_ptrImEEEEPS5_m14custom_greaterImEEE10hipError_tT0_T1_T2_jT3_P12ihipStream_tbPNSt15iterator_traitsISJ_E10value_typeEPNSP_ISK_E10value_typeEPSL_NS1_7vsmem_tEENKUlT_SJ_SK_SL_E_clISE_PmSF_SF_EESI_SY_SJ_SK_SL_EUlSY_E1_NS1_11comp_targetILNS1_3genE3ELNS1_11target_archE908ELNS1_3gpuE7ELNS1_3repE0EEENS1_36merge_oddeven_config_static_selectorELNS0_4arch9wavefront6targetE1EEEvSK_.kd
    .uniform_work_group_size: 1
    .uses_dynamic_stack: false
    .vgpr_count:     0
    .vgpr_spill_count: 0
    .wavefront_size: 64
  - .agpr_count:     0
    .args:
      - .offset:         0
        .size:           56
        .value_kind:     by_value
    .group_segment_fixed_size: 0
    .kernarg_segment_align: 8
    .kernarg_segment_size: 56
    .language:       OpenCL C
    .language_version:
      - 2
      - 0
    .max_flat_workgroup_size: 256
    .name:           _ZN7rocprim17ROCPRIM_400000_NS6detail17trampoline_kernelINS0_14default_configENS1_38merge_sort_block_merge_config_selectorImNS0_10empty_typeEEEZZNS1_27merge_sort_block_merge_implIS3_N6thrust23THRUST_200600_302600_NS6detail15normal_iteratorINS9_10device_ptrImEEEEPS5_m14custom_greaterImEEE10hipError_tT0_T1_T2_jT3_P12ihipStream_tbPNSt15iterator_traitsISJ_E10value_typeEPNSP_ISK_E10value_typeEPSL_NS1_7vsmem_tEENKUlT_SJ_SK_SL_E_clISE_PmSF_SF_EESI_SY_SJ_SK_SL_EUlSY_E1_NS1_11comp_targetILNS1_3genE2ELNS1_11target_archE906ELNS1_3gpuE6ELNS1_3repE0EEENS1_36merge_oddeven_config_static_selectorELNS0_4arch9wavefront6targetE1EEEvSK_
    .private_segment_fixed_size: 0
    .sgpr_count:     4
    .sgpr_spill_count: 0
    .symbol:         _ZN7rocprim17ROCPRIM_400000_NS6detail17trampoline_kernelINS0_14default_configENS1_38merge_sort_block_merge_config_selectorImNS0_10empty_typeEEEZZNS1_27merge_sort_block_merge_implIS3_N6thrust23THRUST_200600_302600_NS6detail15normal_iteratorINS9_10device_ptrImEEEEPS5_m14custom_greaterImEEE10hipError_tT0_T1_T2_jT3_P12ihipStream_tbPNSt15iterator_traitsISJ_E10value_typeEPNSP_ISK_E10value_typeEPSL_NS1_7vsmem_tEENKUlT_SJ_SK_SL_E_clISE_PmSF_SF_EESI_SY_SJ_SK_SL_EUlSY_E1_NS1_11comp_targetILNS1_3genE2ELNS1_11target_archE906ELNS1_3gpuE6ELNS1_3repE0EEENS1_36merge_oddeven_config_static_selectorELNS0_4arch9wavefront6targetE1EEEvSK_.kd
    .uniform_work_group_size: 1
    .uses_dynamic_stack: false
    .vgpr_count:     0
    .vgpr_spill_count: 0
    .wavefront_size: 64
  - .agpr_count:     0
    .args:
      - .offset:         0
        .size:           56
        .value_kind:     by_value
    .group_segment_fixed_size: 0
    .kernarg_segment_align: 8
    .kernarg_segment_size: 56
    .language:       OpenCL C
    .language_version:
      - 2
      - 0
    .max_flat_workgroup_size: 256
    .name:           _ZN7rocprim17ROCPRIM_400000_NS6detail17trampoline_kernelINS0_14default_configENS1_38merge_sort_block_merge_config_selectorImNS0_10empty_typeEEEZZNS1_27merge_sort_block_merge_implIS3_N6thrust23THRUST_200600_302600_NS6detail15normal_iteratorINS9_10device_ptrImEEEEPS5_m14custom_greaterImEEE10hipError_tT0_T1_T2_jT3_P12ihipStream_tbPNSt15iterator_traitsISJ_E10value_typeEPNSP_ISK_E10value_typeEPSL_NS1_7vsmem_tEENKUlT_SJ_SK_SL_E_clISE_PmSF_SF_EESI_SY_SJ_SK_SL_EUlSY_E1_NS1_11comp_targetILNS1_3genE9ELNS1_11target_archE1100ELNS1_3gpuE3ELNS1_3repE0EEENS1_36merge_oddeven_config_static_selectorELNS0_4arch9wavefront6targetE1EEEvSK_
    .private_segment_fixed_size: 0
    .sgpr_count:     4
    .sgpr_spill_count: 0
    .symbol:         _ZN7rocprim17ROCPRIM_400000_NS6detail17trampoline_kernelINS0_14default_configENS1_38merge_sort_block_merge_config_selectorImNS0_10empty_typeEEEZZNS1_27merge_sort_block_merge_implIS3_N6thrust23THRUST_200600_302600_NS6detail15normal_iteratorINS9_10device_ptrImEEEEPS5_m14custom_greaterImEEE10hipError_tT0_T1_T2_jT3_P12ihipStream_tbPNSt15iterator_traitsISJ_E10value_typeEPNSP_ISK_E10value_typeEPSL_NS1_7vsmem_tEENKUlT_SJ_SK_SL_E_clISE_PmSF_SF_EESI_SY_SJ_SK_SL_EUlSY_E1_NS1_11comp_targetILNS1_3genE9ELNS1_11target_archE1100ELNS1_3gpuE3ELNS1_3repE0EEENS1_36merge_oddeven_config_static_selectorELNS0_4arch9wavefront6targetE1EEEvSK_.kd
    .uniform_work_group_size: 1
    .uses_dynamic_stack: false
    .vgpr_count:     0
    .vgpr_spill_count: 0
    .wavefront_size: 64
  - .agpr_count:     0
    .args:
      - .offset:         0
        .size:           56
        .value_kind:     by_value
    .group_segment_fixed_size: 0
    .kernarg_segment_align: 8
    .kernarg_segment_size: 56
    .language:       OpenCL C
    .language_version:
      - 2
      - 0
    .max_flat_workgroup_size: 256
    .name:           _ZN7rocprim17ROCPRIM_400000_NS6detail17trampoline_kernelINS0_14default_configENS1_38merge_sort_block_merge_config_selectorImNS0_10empty_typeEEEZZNS1_27merge_sort_block_merge_implIS3_N6thrust23THRUST_200600_302600_NS6detail15normal_iteratorINS9_10device_ptrImEEEEPS5_m14custom_greaterImEEE10hipError_tT0_T1_T2_jT3_P12ihipStream_tbPNSt15iterator_traitsISJ_E10value_typeEPNSP_ISK_E10value_typeEPSL_NS1_7vsmem_tEENKUlT_SJ_SK_SL_E_clISE_PmSF_SF_EESI_SY_SJ_SK_SL_EUlSY_E1_NS1_11comp_targetILNS1_3genE8ELNS1_11target_archE1030ELNS1_3gpuE2ELNS1_3repE0EEENS1_36merge_oddeven_config_static_selectorELNS0_4arch9wavefront6targetE1EEEvSK_
    .private_segment_fixed_size: 0
    .sgpr_count:     4
    .sgpr_spill_count: 0
    .symbol:         _ZN7rocprim17ROCPRIM_400000_NS6detail17trampoline_kernelINS0_14default_configENS1_38merge_sort_block_merge_config_selectorImNS0_10empty_typeEEEZZNS1_27merge_sort_block_merge_implIS3_N6thrust23THRUST_200600_302600_NS6detail15normal_iteratorINS9_10device_ptrImEEEEPS5_m14custom_greaterImEEE10hipError_tT0_T1_T2_jT3_P12ihipStream_tbPNSt15iterator_traitsISJ_E10value_typeEPNSP_ISK_E10value_typeEPSL_NS1_7vsmem_tEENKUlT_SJ_SK_SL_E_clISE_PmSF_SF_EESI_SY_SJ_SK_SL_EUlSY_E1_NS1_11comp_targetILNS1_3genE8ELNS1_11target_archE1030ELNS1_3gpuE2ELNS1_3repE0EEENS1_36merge_oddeven_config_static_selectorELNS0_4arch9wavefront6targetE1EEEvSK_.kd
    .uniform_work_group_size: 1
    .uses_dynamic_stack: false
    .vgpr_count:     0
    .vgpr_spill_count: 0
    .wavefront_size: 64
  - .agpr_count:     0
    .args:
      - .offset:         0
        .size:           40
        .value_kind:     by_value
    .group_segment_fixed_size: 0
    .kernarg_segment_align: 8
    .kernarg_segment_size: 40
    .language:       OpenCL C
    .language_version:
      - 2
      - 0
    .max_flat_workgroup_size: 128
    .name:           _ZN7rocprim17ROCPRIM_400000_NS6detail17trampoline_kernelINS0_14default_configENS1_25transform_config_selectorImLb0EEEZNS1_14transform_implILb0ES3_S5_PmN6thrust23THRUST_200600_302600_NS6detail15normal_iteratorINS9_10device_ptrImEEEENS0_8identityImEEEE10hipError_tT2_T3_mT4_P12ihipStream_tbEUlT_E_NS1_11comp_targetILNS1_3genE0ELNS1_11target_archE4294967295ELNS1_3gpuE0ELNS1_3repE0EEENS1_30default_config_static_selectorELNS0_4arch9wavefront6targetE1EEEvT1_
    .private_segment_fixed_size: 0
    .sgpr_count:     4
    .sgpr_spill_count: 0
    .symbol:         _ZN7rocprim17ROCPRIM_400000_NS6detail17trampoline_kernelINS0_14default_configENS1_25transform_config_selectorImLb0EEEZNS1_14transform_implILb0ES3_S5_PmN6thrust23THRUST_200600_302600_NS6detail15normal_iteratorINS9_10device_ptrImEEEENS0_8identityImEEEE10hipError_tT2_T3_mT4_P12ihipStream_tbEUlT_E_NS1_11comp_targetILNS1_3genE0ELNS1_11target_archE4294967295ELNS1_3gpuE0ELNS1_3repE0EEENS1_30default_config_static_selectorELNS0_4arch9wavefront6targetE1EEEvT1_.kd
    .uniform_work_group_size: 1
    .uses_dynamic_stack: false
    .vgpr_count:     0
    .vgpr_spill_count: 0
    .wavefront_size: 64
  - .agpr_count:     0
    .args:
      - .offset:         0
        .size:           40
        .value_kind:     by_value
    .group_segment_fixed_size: 0
    .kernarg_segment_align: 8
    .kernarg_segment_size: 40
    .language:       OpenCL C
    .language_version:
      - 2
      - 0
    .max_flat_workgroup_size: 512
    .name:           _ZN7rocprim17ROCPRIM_400000_NS6detail17trampoline_kernelINS0_14default_configENS1_25transform_config_selectorImLb0EEEZNS1_14transform_implILb0ES3_S5_PmN6thrust23THRUST_200600_302600_NS6detail15normal_iteratorINS9_10device_ptrImEEEENS0_8identityImEEEE10hipError_tT2_T3_mT4_P12ihipStream_tbEUlT_E_NS1_11comp_targetILNS1_3genE5ELNS1_11target_archE942ELNS1_3gpuE9ELNS1_3repE0EEENS1_30default_config_static_selectorELNS0_4arch9wavefront6targetE1EEEvT1_
    .private_segment_fixed_size: 0
    .sgpr_count:     4
    .sgpr_spill_count: 0
    .symbol:         _ZN7rocprim17ROCPRIM_400000_NS6detail17trampoline_kernelINS0_14default_configENS1_25transform_config_selectorImLb0EEEZNS1_14transform_implILb0ES3_S5_PmN6thrust23THRUST_200600_302600_NS6detail15normal_iteratorINS9_10device_ptrImEEEENS0_8identityImEEEE10hipError_tT2_T3_mT4_P12ihipStream_tbEUlT_E_NS1_11comp_targetILNS1_3genE5ELNS1_11target_archE942ELNS1_3gpuE9ELNS1_3repE0EEENS1_30default_config_static_selectorELNS0_4arch9wavefront6targetE1EEEvT1_.kd
    .uniform_work_group_size: 1
    .uses_dynamic_stack: false
    .vgpr_count:     0
    .vgpr_spill_count: 0
    .wavefront_size: 64
  - .agpr_count:     0
    .args:
      - .offset:         0
        .size:           40
        .value_kind:     by_value
      - .offset:         40
        .size:           4
        .value_kind:     hidden_block_count_x
      - .offset:         44
        .size:           4
        .value_kind:     hidden_block_count_y
      - .offset:         48
        .size:           4
        .value_kind:     hidden_block_count_z
      - .offset:         52
        .size:           2
        .value_kind:     hidden_group_size_x
      - .offset:         54
        .size:           2
        .value_kind:     hidden_group_size_y
      - .offset:         56
        .size:           2
        .value_kind:     hidden_group_size_z
      - .offset:         58
        .size:           2
        .value_kind:     hidden_remainder_x
      - .offset:         60
        .size:           2
        .value_kind:     hidden_remainder_y
      - .offset:         62
        .size:           2
        .value_kind:     hidden_remainder_z
      - .offset:         80
        .size:           8
        .value_kind:     hidden_global_offset_x
      - .offset:         88
        .size:           8
        .value_kind:     hidden_global_offset_y
      - .offset:         96
        .size:           8
        .value_kind:     hidden_global_offset_z
      - .offset:         104
        .size:           2
        .value_kind:     hidden_grid_dims
    .group_segment_fixed_size: 0
    .kernarg_segment_align: 8
    .kernarg_segment_size: 296
    .language:       OpenCL C
    .language_version:
      - 2
      - 0
    .max_flat_workgroup_size: 256
    .name:           _ZN7rocprim17ROCPRIM_400000_NS6detail17trampoline_kernelINS0_14default_configENS1_25transform_config_selectorImLb0EEEZNS1_14transform_implILb0ES3_S5_PmN6thrust23THRUST_200600_302600_NS6detail15normal_iteratorINS9_10device_ptrImEEEENS0_8identityImEEEE10hipError_tT2_T3_mT4_P12ihipStream_tbEUlT_E_NS1_11comp_targetILNS1_3genE4ELNS1_11target_archE910ELNS1_3gpuE8ELNS1_3repE0EEENS1_30default_config_static_selectorELNS0_4arch9wavefront6targetE1EEEvT1_
    .private_segment_fixed_size: 0
    .sgpr_count:     20
    .sgpr_spill_count: 0
    .symbol:         _ZN7rocprim17ROCPRIM_400000_NS6detail17trampoline_kernelINS0_14default_configENS1_25transform_config_selectorImLb0EEEZNS1_14transform_implILb0ES3_S5_PmN6thrust23THRUST_200600_302600_NS6detail15normal_iteratorINS9_10device_ptrImEEEENS0_8identityImEEEE10hipError_tT2_T3_mT4_P12ihipStream_tbEUlT_E_NS1_11comp_targetILNS1_3genE4ELNS1_11target_archE910ELNS1_3gpuE8ELNS1_3repE0EEENS1_30default_config_static_selectorELNS0_4arch9wavefront6targetE1EEEvT1_.kd
    .uniform_work_group_size: 1
    .uses_dynamic_stack: false
    .vgpr_count:     9
    .vgpr_spill_count: 0
    .wavefront_size: 64
  - .agpr_count:     0
    .args:
      - .offset:         0
        .size:           40
        .value_kind:     by_value
    .group_segment_fixed_size: 0
    .kernarg_segment_align: 8
    .kernarg_segment_size: 40
    .language:       OpenCL C
    .language_version:
      - 2
      - 0
    .max_flat_workgroup_size: 128
    .name:           _ZN7rocprim17ROCPRIM_400000_NS6detail17trampoline_kernelINS0_14default_configENS1_25transform_config_selectorImLb0EEEZNS1_14transform_implILb0ES3_S5_PmN6thrust23THRUST_200600_302600_NS6detail15normal_iteratorINS9_10device_ptrImEEEENS0_8identityImEEEE10hipError_tT2_T3_mT4_P12ihipStream_tbEUlT_E_NS1_11comp_targetILNS1_3genE3ELNS1_11target_archE908ELNS1_3gpuE7ELNS1_3repE0EEENS1_30default_config_static_selectorELNS0_4arch9wavefront6targetE1EEEvT1_
    .private_segment_fixed_size: 0
    .sgpr_count:     4
    .sgpr_spill_count: 0
    .symbol:         _ZN7rocprim17ROCPRIM_400000_NS6detail17trampoline_kernelINS0_14default_configENS1_25transform_config_selectorImLb0EEEZNS1_14transform_implILb0ES3_S5_PmN6thrust23THRUST_200600_302600_NS6detail15normal_iteratorINS9_10device_ptrImEEEENS0_8identityImEEEE10hipError_tT2_T3_mT4_P12ihipStream_tbEUlT_E_NS1_11comp_targetILNS1_3genE3ELNS1_11target_archE908ELNS1_3gpuE7ELNS1_3repE0EEENS1_30default_config_static_selectorELNS0_4arch9wavefront6targetE1EEEvT1_.kd
    .uniform_work_group_size: 1
    .uses_dynamic_stack: false
    .vgpr_count:     0
    .vgpr_spill_count: 0
    .wavefront_size: 64
  - .agpr_count:     0
    .args:
      - .offset:         0
        .size:           40
        .value_kind:     by_value
    .group_segment_fixed_size: 0
    .kernarg_segment_align: 8
    .kernarg_segment_size: 40
    .language:       OpenCL C
    .language_version:
      - 2
      - 0
    .max_flat_workgroup_size: 512
    .name:           _ZN7rocprim17ROCPRIM_400000_NS6detail17trampoline_kernelINS0_14default_configENS1_25transform_config_selectorImLb0EEEZNS1_14transform_implILb0ES3_S5_PmN6thrust23THRUST_200600_302600_NS6detail15normal_iteratorINS9_10device_ptrImEEEENS0_8identityImEEEE10hipError_tT2_T3_mT4_P12ihipStream_tbEUlT_E_NS1_11comp_targetILNS1_3genE2ELNS1_11target_archE906ELNS1_3gpuE6ELNS1_3repE0EEENS1_30default_config_static_selectorELNS0_4arch9wavefront6targetE1EEEvT1_
    .private_segment_fixed_size: 0
    .sgpr_count:     4
    .sgpr_spill_count: 0
    .symbol:         _ZN7rocprim17ROCPRIM_400000_NS6detail17trampoline_kernelINS0_14default_configENS1_25transform_config_selectorImLb0EEEZNS1_14transform_implILb0ES3_S5_PmN6thrust23THRUST_200600_302600_NS6detail15normal_iteratorINS9_10device_ptrImEEEENS0_8identityImEEEE10hipError_tT2_T3_mT4_P12ihipStream_tbEUlT_E_NS1_11comp_targetILNS1_3genE2ELNS1_11target_archE906ELNS1_3gpuE6ELNS1_3repE0EEENS1_30default_config_static_selectorELNS0_4arch9wavefront6targetE1EEEvT1_.kd
    .uniform_work_group_size: 1
    .uses_dynamic_stack: false
    .vgpr_count:     0
    .vgpr_spill_count: 0
    .wavefront_size: 64
  - .agpr_count:     0
    .args:
      - .offset:         0
        .size:           40
        .value_kind:     by_value
    .group_segment_fixed_size: 0
    .kernarg_segment_align: 8
    .kernarg_segment_size: 40
    .language:       OpenCL C
    .language_version:
      - 2
      - 0
    .max_flat_workgroup_size: 1024
    .name:           _ZN7rocprim17ROCPRIM_400000_NS6detail17trampoline_kernelINS0_14default_configENS1_25transform_config_selectorImLb0EEEZNS1_14transform_implILb0ES3_S5_PmN6thrust23THRUST_200600_302600_NS6detail15normal_iteratorINS9_10device_ptrImEEEENS0_8identityImEEEE10hipError_tT2_T3_mT4_P12ihipStream_tbEUlT_E_NS1_11comp_targetILNS1_3genE10ELNS1_11target_archE1201ELNS1_3gpuE5ELNS1_3repE0EEENS1_30default_config_static_selectorELNS0_4arch9wavefront6targetE1EEEvT1_
    .private_segment_fixed_size: 0
    .sgpr_count:     4
    .sgpr_spill_count: 0
    .symbol:         _ZN7rocprim17ROCPRIM_400000_NS6detail17trampoline_kernelINS0_14default_configENS1_25transform_config_selectorImLb0EEEZNS1_14transform_implILb0ES3_S5_PmN6thrust23THRUST_200600_302600_NS6detail15normal_iteratorINS9_10device_ptrImEEEENS0_8identityImEEEE10hipError_tT2_T3_mT4_P12ihipStream_tbEUlT_E_NS1_11comp_targetILNS1_3genE10ELNS1_11target_archE1201ELNS1_3gpuE5ELNS1_3repE0EEENS1_30default_config_static_selectorELNS0_4arch9wavefront6targetE1EEEvT1_.kd
    .uniform_work_group_size: 1
    .uses_dynamic_stack: false
    .vgpr_count:     0
    .vgpr_spill_count: 0
    .wavefront_size: 64
  - .agpr_count:     0
    .args:
      - .offset:         0
        .size:           40
        .value_kind:     by_value
    .group_segment_fixed_size: 0
    .kernarg_segment_align: 8
    .kernarg_segment_size: 40
    .language:       OpenCL C
    .language_version:
      - 2
      - 0
    .max_flat_workgroup_size: 512
    .name:           _ZN7rocprim17ROCPRIM_400000_NS6detail17trampoline_kernelINS0_14default_configENS1_25transform_config_selectorImLb0EEEZNS1_14transform_implILb0ES3_S5_PmN6thrust23THRUST_200600_302600_NS6detail15normal_iteratorINS9_10device_ptrImEEEENS0_8identityImEEEE10hipError_tT2_T3_mT4_P12ihipStream_tbEUlT_E_NS1_11comp_targetILNS1_3genE10ELNS1_11target_archE1200ELNS1_3gpuE4ELNS1_3repE0EEENS1_30default_config_static_selectorELNS0_4arch9wavefront6targetE1EEEvT1_
    .private_segment_fixed_size: 0
    .sgpr_count:     4
    .sgpr_spill_count: 0
    .symbol:         _ZN7rocprim17ROCPRIM_400000_NS6detail17trampoline_kernelINS0_14default_configENS1_25transform_config_selectorImLb0EEEZNS1_14transform_implILb0ES3_S5_PmN6thrust23THRUST_200600_302600_NS6detail15normal_iteratorINS9_10device_ptrImEEEENS0_8identityImEEEE10hipError_tT2_T3_mT4_P12ihipStream_tbEUlT_E_NS1_11comp_targetILNS1_3genE10ELNS1_11target_archE1200ELNS1_3gpuE4ELNS1_3repE0EEENS1_30default_config_static_selectorELNS0_4arch9wavefront6targetE1EEEvT1_.kd
    .uniform_work_group_size: 1
    .uses_dynamic_stack: false
    .vgpr_count:     0
    .vgpr_spill_count: 0
    .wavefront_size: 64
  - .agpr_count:     0
    .args:
      - .offset:         0
        .size:           40
        .value_kind:     by_value
    .group_segment_fixed_size: 0
    .kernarg_segment_align: 8
    .kernarg_segment_size: 40
    .language:       OpenCL C
    .language_version:
      - 2
      - 0
    .max_flat_workgroup_size: 512
    .name:           _ZN7rocprim17ROCPRIM_400000_NS6detail17trampoline_kernelINS0_14default_configENS1_25transform_config_selectorImLb0EEEZNS1_14transform_implILb0ES3_S5_PmN6thrust23THRUST_200600_302600_NS6detail15normal_iteratorINS9_10device_ptrImEEEENS0_8identityImEEEE10hipError_tT2_T3_mT4_P12ihipStream_tbEUlT_E_NS1_11comp_targetILNS1_3genE9ELNS1_11target_archE1100ELNS1_3gpuE3ELNS1_3repE0EEENS1_30default_config_static_selectorELNS0_4arch9wavefront6targetE1EEEvT1_
    .private_segment_fixed_size: 0
    .sgpr_count:     4
    .sgpr_spill_count: 0
    .symbol:         _ZN7rocprim17ROCPRIM_400000_NS6detail17trampoline_kernelINS0_14default_configENS1_25transform_config_selectorImLb0EEEZNS1_14transform_implILb0ES3_S5_PmN6thrust23THRUST_200600_302600_NS6detail15normal_iteratorINS9_10device_ptrImEEEENS0_8identityImEEEE10hipError_tT2_T3_mT4_P12ihipStream_tbEUlT_E_NS1_11comp_targetILNS1_3genE9ELNS1_11target_archE1100ELNS1_3gpuE3ELNS1_3repE0EEENS1_30default_config_static_selectorELNS0_4arch9wavefront6targetE1EEEvT1_.kd
    .uniform_work_group_size: 1
    .uses_dynamic_stack: false
    .vgpr_count:     0
    .vgpr_spill_count: 0
    .wavefront_size: 64
  - .agpr_count:     0
    .args:
      - .offset:         0
        .size:           40
        .value_kind:     by_value
    .group_segment_fixed_size: 0
    .kernarg_segment_align: 8
    .kernarg_segment_size: 40
    .language:       OpenCL C
    .language_version:
      - 2
      - 0
    .max_flat_workgroup_size: 512
    .name:           _ZN7rocprim17ROCPRIM_400000_NS6detail17trampoline_kernelINS0_14default_configENS1_25transform_config_selectorImLb0EEEZNS1_14transform_implILb0ES3_S5_PmN6thrust23THRUST_200600_302600_NS6detail15normal_iteratorINS9_10device_ptrImEEEENS0_8identityImEEEE10hipError_tT2_T3_mT4_P12ihipStream_tbEUlT_E_NS1_11comp_targetILNS1_3genE8ELNS1_11target_archE1030ELNS1_3gpuE2ELNS1_3repE0EEENS1_30default_config_static_selectorELNS0_4arch9wavefront6targetE1EEEvT1_
    .private_segment_fixed_size: 0
    .sgpr_count:     4
    .sgpr_spill_count: 0
    .symbol:         _ZN7rocprim17ROCPRIM_400000_NS6detail17trampoline_kernelINS0_14default_configENS1_25transform_config_selectorImLb0EEEZNS1_14transform_implILb0ES3_S5_PmN6thrust23THRUST_200600_302600_NS6detail15normal_iteratorINS9_10device_ptrImEEEENS0_8identityImEEEE10hipError_tT2_T3_mT4_P12ihipStream_tbEUlT_E_NS1_11comp_targetILNS1_3genE8ELNS1_11target_archE1030ELNS1_3gpuE2ELNS1_3repE0EEENS1_30default_config_static_selectorELNS0_4arch9wavefront6targetE1EEEvT1_.kd
    .uniform_work_group_size: 1
    .uses_dynamic_stack: false
    .vgpr_count:     0
    .vgpr_spill_count: 0
    .wavefront_size: 64
  - .agpr_count:     0
    .args:           []
    .group_segment_fixed_size: 0
    .kernarg_segment_align: 4
    .kernarg_segment_size: 0
    .language:       OpenCL C
    .language_version:
      - 2
      - 0
    .max_flat_workgroup_size: 1024
    .name:           _ZN7rocprim17ROCPRIM_400000_NS6detail44device_merge_sort_compile_time_verifier_archINS1_11comp_targetILNS1_3genE0ELNS1_11target_archE4294967295ELNS1_3gpuE0ELNS1_3repE0EEES8_NS0_14default_configES9_NS1_37merge_sort_block_sort_config_selectorIxNS0_10empty_typeEEENS1_38merge_sort_block_merge_config_selectorIxSB_EEEEvv
    .private_segment_fixed_size: 0
    .sgpr_count:     4
    .sgpr_spill_count: 0
    .symbol:         _ZN7rocprim17ROCPRIM_400000_NS6detail44device_merge_sort_compile_time_verifier_archINS1_11comp_targetILNS1_3genE0ELNS1_11target_archE4294967295ELNS1_3gpuE0ELNS1_3repE0EEES8_NS0_14default_configES9_NS1_37merge_sort_block_sort_config_selectorIxNS0_10empty_typeEEENS1_38merge_sort_block_merge_config_selectorIxSB_EEEEvv.kd
    .uniform_work_group_size: 1
    .uses_dynamic_stack: false
    .vgpr_count:     0
    .vgpr_spill_count: 0
    .wavefront_size: 64
  - .agpr_count:     0
    .args:           []
    .group_segment_fixed_size: 0
    .kernarg_segment_align: 4
    .kernarg_segment_size: 0
    .language:       OpenCL C
    .language_version:
      - 2
      - 0
    .max_flat_workgroup_size: 1024
    .name:           _ZN7rocprim17ROCPRIM_400000_NS6detail44device_merge_sort_compile_time_verifier_archINS1_11comp_targetILNS1_3genE5ELNS1_11target_archE942ELNS1_3gpuE9ELNS1_3repE0EEES8_NS0_14default_configES9_NS1_37merge_sort_block_sort_config_selectorIxNS0_10empty_typeEEENS1_38merge_sort_block_merge_config_selectorIxSB_EEEEvv
    .private_segment_fixed_size: 0
    .sgpr_count:     4
    .sgpr_spill_count: 0
    .symbol:         _ZN7rocprim17ROCPRIM_400000_NS6detail44device_merge_sort_compile_time_verifier_archINS1_11comp_targetILNS1_3genE5ELNS1_11target_archE942ELNS1_3gpuE9ELNS1_3repE0EEES8_NS0_14default_configES9_NS1_37merge_sort_block_sort_config_selectorIxNS0_10empty_typeEEENS1_38merge_sort_block_merge_config_selectorIxSB_EEEEvv.kd
    .uniform_work_group_size: 1
    .uses_dynamic_stack: false
    .vgpr_count:     0
    .vgpr_spill_count: 0
    .wavefront_size: 64
  - .agpr_count:     0
    .args:           []
    .group_segment_fixed_size: 0
    .kernarg_segment_align: 4
    .kernarg_segment_size: 0
    .language:       OpenCL C
    .language_version:
      - 2
      - 0
    .max_flat_workgroup_size: 1024
    .name:           _ZN7rocprim17ROCPRIM_400000_NS6detail44device_merge_sort_compile_time_verifier_archINS1_11comp_targetILNS1_3genE4ELNS1_11target_archE910ELNS1_3gpuE8ELNS1_3repE0EEES8_NS0_14default_configES9_NS1_37merge_sort_block_sort_config_selectorIxNS0_10empty_typeEEENS1_38merge_sort_block_merge_config_selectorIxSB_EEEEvv
    .private_segment_fixed_size: 0
    .sgpr_count:     4
    .sgpr_spill_count: 0
    .symbol:         _ZN7rocprim17ROCPRIM_400000_NS6detail44device_merge_sort_compile_time_verifier_archINS1_11comp_targetILNS1_3genE4ELNS1_11target_archE910ELNS1_3gpuE8ELNS1_3repE0EEES8_NS0_14default_configES9_NS1_37merge_sort_block_sort_config_selectorIxNS0_10empty_typeEEENS1_38merge_sort_block_merge_config_selectorIxSB_EEEEvv.kd
    .uniform_work_group_size: 1
    .uses_dynamic_stack: false
    .vgpr_count:     0
    .vgpr_spill_count: 0
    .wavefront_size: 64
  - .agpr_count:     0
    .args:           []
    .group_segment_fixed_size: 0
    .kernarg_segment_align: 4
    .kernarg_segment_size: 0
    .language:       OpenCL C
    .language_version:
      - 2
      - 0
    .max_flat_workgroup_size: 1024
    .name:           _ZN7rocprim17ROCPRIM_400000_NS6detail44device_merge_sort_compile_time_verifier_archINS1_11comp_targetILNS1_3genE3ELNS1_11target_archE908ELNS1_3gpuE7ELNS1_3repE0EEES8_NS0_14default_configES9_NS1_37merge_sort_block_sort_config_selectorIxNS0_10empty_typeEEENS1_38merge_sort_block_merge_config_selectorIxSB_EEEEvv
    .private_segment_fixed_size: 0
    .sgpr_count:     4
    .sgpr_spill_count: 0
    .symbol:         _ZN7rocprim17ROCPRIM_400000_NS6detail44device_merge_sort_compile_time_verifier_archINS1_11comp_targetILNS1_3genE3ELNS1_11target_archE908ELNS1_3gpuE7ELNS1_3repE0EEES8_NS0_14default_configES9_NS1_37merge_sort_block_sort_config_selectorIxNS0_10empty_typeEEENS1_38merge_sort_block_merge_config_selectorIxSB_EEEEvv.kd
    .uniform_work_group_size: 1
    .uses_dynamic_stack: false
    .vgpr_count:     0
    .vgpr_spill_count: 0
    .wavefront_size: 64
  - .agpr_count:     0
    .args:           []
    .group_segment_fixed_size: 0
    .kernarg_segment_align: 4
    .kernarg_segment_size: 0
    .language:       OpenCL C
    .language_version:
      - 2
      - 0
    .max_flat_workgroup_size: 1024
    .name:           _ZN7rocprim17ROCPRIM_400000_NS6detail44device_merge_sort_compile_time_verifier_archINS1_11comp_targetILNS1_3genE2ELNS1_11target_archE906ELNS1_3gpuE6ELNS1_3repE0EEES8_NS0_14default_configES9_NS1_37merge_sort_block_sort_config_selectorIxNS0_10empty_typeEEENS1_38merge_sort_block_merge_config_selectorIxSB_EEEEvv
    .private_segment_fixed_size: 0
    .sgpr_count:     4
    .sgpr_spill_count: 0
    .symbol:         _ZN7rocprim17ROCPRIM_400000_NS6detail44device_merge_sort_compile_time_verifier_archINS1_11comp_targetILNS1_3genE2ELNS1_11target_archE906ELNS1_3gpuE6ELNS1_3repE0EEES8_NS0_14default_configES9_NS1_37merge_sort_block_sort_config_selectorIxNS0_10empty_typeEEENS1_38merge_sort_block_merge_config_selectorIxSB_EEEEvv.kd
    .uniform_work_group_size: 1
    .uses_dynamic_stack: false
    .vgpr_count:     0
    .vgpr_spill_count: 0
    .wavefront_size: 64
  - .agpr_count:     0
    .args:           []
    .group_segment_fixed_size: 0
    .kernarg_segment_align: 4
    .kernarg_segment_size: 0
    .language:       OpenCL C
    .language_version:
      - 2
      - 0
    .max_flat_workgroup_size: 1024
    .name:           _ZN7rocprim17ROCPRIM_400000_NS6detail44device_merge_sort_compile_time_verifier_archINS1_11comp_targetILNS1_3genE10ELNS1_11target_archE1201ELNS1_3gpuE5ELNS1_3repE0EEES8_NS0_14default_configES9_NS1_37merge_sort_block_sort_config_selectorIxNS0_10empty_typeEEENS1_38merge_sort_block_merge_config_selectorIxSB_EEEEvv
    .private_segment_fixed_size: 0
    .sgpr_count:     4
    .sgpr_spill_count: 0
    .symbol:         _ZN7rocprim17ROCPRIM_400000_NS6detail44device_merge_sort_compile_time_verifier_archINS1_11comp_targetILNS1_3genE10ELNS1_11target_archE1201ELNS1_3gpuE5ELNS1_3repE0EEES8_NS0_14default_configES9_NS1_37merge_sort_block_sort_config_selectorIxNS0_10empty_typeEEENS1_38merge_sort_block_merge_config_selectorIxSB_EEEEvv.kd
    .uniform_work_group_size: 1
    .uses_dynamic_stack: false
    .vgpr_count:     0
    .vgpr_spill_count: 0
    .wavefront_size: 64
  - .agpr_count:     0
    .args:           []
    .group_segment_fixed_size: 0
    .kernarg_segment_align: 4
    .kernarg_segment_size: 0
    .language:       OpenCL C
    .language_version:
      - 2
      - 0
    .max_flat_workgroup_size: 1024
    .name:           _ZN7rocprim17ROCPRIM_400000_NS6detail44device_merge_sort_compile_time_verifier_archINS1_11comp_targetILNS1_3genE10ELNS1_11target_archE1200ELNS1_3gpuE4ELNS1_3repE0EEENS3_ILS4_10ELS5_1201ELS6_5ELS7_0EEENS0_14default_configESA_NS1_37merge_sort_block_sort_config_selectorIxNS0_10empty_typeEEENS1_38merge_sort_block_merge_config_selectorIxSC_EEEEvv
    .private_segment_fixed_size: 0
    .sgpr_count:     4
    .sgpr_spill_count: 0
    .symbol:         _ZN7rocprim17ROCPRIM_400000_NS6detail44device_merge_sort_compile_time_verifier_archINS1_11comp_targetILNS1_3genE10ELNS1_11target_archE1200ELNS1_3gpuE4ELNS1_3repE0EEENS3_ILS4_10ELS5_1201ELS6_5ELS7_0EEENS0_14default_configESA_NS1_37merge_sort_block_sort_config_selectorIxNS0_10empty_typeEEENS1_38merge_sort_block_merge_config_selectorIxSC_EEEEvv.kd
    .uniform_work_group_size: 1
    .uses_dynamic_stack: false
    .vgpr_count:     0
    .vgpr_spill_count: 0
    .wavefront_size: 64
  - .agpr_count:     0
    .args:           []
    .group_segment_fixed_size: 0
    .kernarg_segment_align: 4
    .kernarg_segment_size: 0
    .language:       OpenCL C
    .language_version:
      - 2
      - 0
    .max_flat_workgroup_size: 1024
    .name:           _ZN7rocprim17ROCPRIM_400000_NS6detail44device_merge_sort_compile_time_verifier_archINS1_11comp_targetILNS1_3genE9ELNS1_11target_archE1100ELNS1_3gpuE3ELNS1_3repE0EEES8_NS0_14default_configES9_NS1_37merge_sort_block_sort_config_selectorIxNS0_10empty_typeEEENS1_38merge_sort_block_merge_config_selectorIxSB_EEEEvv
    .private_segment_fixed_size: 0
    .sgpr_count:     4
    .sgpr_spill_count: 0
    .symbol:         _ZN7rocprim17ROCPRIM_400000_NS6detail44device_merge_sort_compile_time_verifier_archINS1_11comp_targetILNS1_3genE9ELNS1_11target_archE1100ELNS1_3gpuE3ELNS1_3repE0EEES8_NS0_14default_configES9_NS1_37merge_sort_block_sort_config_selectorIxNS0_10empty_typeEEENS1_38merge_sort_block_merge_config_selectorIxSB_EEEEvv.kd
    .uniform_work_group_size: 1
    .uses_dynamic_stack: false
    .vgpr_count:     0
    .vgpr_spill_count: 0
    .wavefront_size: 64
  - .agpr_count:     0
    .args:           []
    .group_segment_fixed_size: 0
    .kernarg_segment_align: 4
    .kernarg_segment_size: 0
    .language:       OpenCL C
    .language_version:
      - 2
      - 0
    .max_flat_workgroup_size: 1024
    .name:           _ZN7rocprim17ROCPRIM_400000_NS6detail44device_merge_sort_compile_time_verifier_archINS1_11comp_targetILNS1_3genE8ELNS1_11target_archE1030ELNS1_3gpuE2ELNS1_3repE0EEES8_NS0_14default_configES9_NS1_37merge_sort_block_sort_config_selectorIxNS0_10empty_typeEEENS1_38merge_sort_block_merge_config_selectorIxSB_EEEEvv
    .private_segment_fixed_size: 0
    .sgpr_count:     4
    .sgpr_spill_count: 0
    .symbol:         _ZN7rocprim17ROCPRIM_400000_NS6detail44device_merge_sort_compile_time_verifier_archINS1_11comp_targetILNS1_3genE8ELNS1_11target_archE1030ELNS1_3gpuE2ELNS1_3repE0EEES8_NS0_14default_configES9_NS1_37merge_sort_block_sort_config_selectorIxNS0_10empty_typeEEENS1_38merge_sort_block_merge_config_selectorIxSB_EEEEvv.kd
    .uniform_work_group_size: 1
    .uses_dynamic_stack: false
    .vgpr_count:     0
    .vgpr_spill_count: 0
    .wavefront_size: 64
  - .agpr_count:     0
    .args:
      - .offset:         0
        .size:           64
        .value_kind:     by_value
    .group_segment_fixed_size: 0
    .kernarg_segment_align: 8
    .kernarg_segment_size: 64
    .language:       OpenCL C
    .language_version:
      - 2
      - 0
    .max_flat_workgroup_size: 256
    .name:           _ZN7rocprim17ROCPRIM_400000_NS6detail17trampoline_kernelINS0_14default_configENS1_37merge_sort_block_sort_config_selectorIxNS0_10empty_typeEEEZNS1_21merge_sort_block_sortIS3_N6thrust23THRUST_200600_302600_NS6detail15normal_iteratorINS9_10device_ptrIxEEEESE_PS5_SF_14custom_greaterIxEEE10hipError_tT0_T1_T2_T3_mRjT4_P12ihipStream_tbNS1_7vsmem_tEEUlT_E_NS1_11comp_targetILNS1_3genE0ELNS1_11target_archE4294967295ELNS1_3gpuE0ELNS1_3repE0EEENS1_30default_config_static_selectorELNS0_4arch9wavefront6targetE1EEEvSK_
    .private_segment_fixed_size: 0
    .sgpr_count:     4
    .sgpr_spill_count: 0
    .symbol:         _ZN7rocprim17ROCPRIM_400000_NS6detail17trampoline_kernelINS0_14default_configENS1_37merge_sort_block_sort_config_selectorIxNS0_10empty_typeEEEZNS1_21merge_sort_block_sortIS3_N6thrust23THRUST_200600_302600_NS6detail15normal_iteratorINS9_10device_ptrIxEEEESE_PS5_SF_14custom_greaterIxEEE10hipError_tT0_T1_T2_T3_mRjT4_P12ihipStream_tbNS1_7vsmem_tEEUlT_E_NS1_11comp_targetILNS1_3genE0ELNS1_11target_archE4294967295ELNS1_3gpuE0ELNS1_3repE0EEENS1_30default_config_static_selectorELNS0_4arch9wavefront6targetE1EEEvSK_.kd
    .uniform_work_group_size: 1
    .uses_dynamic_stack: false
    .vgpr_count:     0
    .vgpr_spill_count: 0
    .wavefront_size: 64
  - .agpr_count:     0
    .args:
      - .offset:         0
        .size:           64
        .value_kind:     by_value
    .group_segment_fixed_size: 0
    .kernarg_segment_align: 8
    .kernarg_segment_size: 64
    .language:       OpenCL C
    .language_version:
      - 2
      - 0
    .max_flat_workgroup_size: 256
    .name:           _ZN7rocprim17ROCPRIM_400000_NS6detail17trampoline_kernelINS0_14default_configENS1_37merge_sort_block_sort_config_selectorIxNS0_10empty_typeEEEZNS1_21merge_sort_block_sortIS3_N6thrust23THRUST_200600_302600_NS6detail15normal_iteratorINS9_10device_ptrIxEEEESE_PS5_SF_14custom_greaterIxEEE10hipError_tT0_T1_T2_T3_mRjT4_P12ihipStream_tbNS1_7vsmem_tEEUlT_E_NS1_11comp_targetILNS1_3genE5ELNS1_11target_archE942ELNS1_3gpuE9ELNS1_3repE0EEENS1_30default_config_static_selectorELNS0_4arch9wavefront6targetE1EEEvSK_
    .private_segment_fixed_size: 0
    .sgpr_count:     4
    .sgpr_spill_count: 0
    .symbol:         _ZN7rocprim17ROCPRIM_400000_NS6detail17trampoline_kernelINS0_14default_configENS1_37merge_sort_block_sort_config_selectorIxNS0_10empty_typeEEEZNS1_21merge_sort_block_sortIS3_N6thrust23THRUST_200600_302600_NS6detail15normal_iteratorINS9_10device_ptrIxEEEESE_PS5_SF_14custom_greaterIxEEE10hipError_tT0_T1_T2_T3_mRjT4_P12ihipStream_tbNS1_7vsmem_tEEUlT_E_NS1_11comp_targetILNS1_3genE5ELNS1_11target_archE942ELNS1_3gpuE9ELNS1_3repE0EEENS1_30default_config_static_selectorELNS0_4arch9wavefront6targetE1EEEvSK_.kd
    .uniform_work_group_size: 1
    .uses_dynamic_stack: false
    .vgpr_count:     0
    .vgpr_spill_count: 0
    .wavefront_size: 64
  - .agpr_count:     0
    .args:
      - .offset:         0
        .size:           64
        .value_kind:     by_value
      - .offset:         64
        .size:           4
        .value_kind:     hidden_block_count_x
      - .offset:         68
        .size:           4
        .value_kind:     hidden_block_count_y
      - .offset:         72
        .size:           4
        .value_kind:     hidden_block_count_z
      - .offset:         76
        .size:           2
        .value_kind:     hidden_group_size_x
      - .offset:         78
        .size:           2
        .value_kind:     hidden_group_size_y
      - .offset:         80
        .size:           2
        .value_kind:     hidden_group_size_z
      - .offset:         82
        .size:           2
        .value_kind:     hidden_remainder_x
      - .offset:         84
        .size:           2
        .value_kind:     hidden_remainder_y
      - .offset:         86
        .size:           2
        .value_kind:     hidden_remainder_z
      - .offset:         104
        .size:           8
        .value_kind:     hidden_global_offset_x
      - .offset:         112
        .size:           8
        .value_kind:     hidden_global_offset_y
      - .offset:         120
        .size:           8
        .value_kind:     hidden_global_offset_z
      - .offset:         128
        .size:           2
        .value_kind:     hidden_grid_dims
    .group_segment_fixed_size: 8448
    .kernarg_segment_align: 8
    .kernarg_segment_size: 320
    .language:       OpenCL C
    .language_version:
      - 2
      - 0
    .max_flat_workgroup_size: 256
    .name:           _ZN7rocprim17ROCPRIM_400000_NS6detail17trampoline_kernelINS0_14default_configENS1_37merge_sort_block_sort_config_selectorIxNS0_10empty_typeEEEZNS1_21merge_sort_block_sortIS3_N6thrust23THRUST_200600_302600_NS6detail15normal_iteratorINS9_10device_ptrIxEEEESE_PS5_SF_14custom_greaterIxEEE10hipError_tT0_T1_T2_T3_mRjT4_P12ihipStream_tbNS1_7vsmem_tEEUlT_E_NS1_11comp_targetILNS1_3genE4ELNS1_11target_archE910ELNS1_3gpuE8ELNS1_3repE0EEENS1_30default_config_static_selectorELNS0_4arch9wavefront6targetE1EEEvSK_
    .private_segment_fixed_size: 0
    .sgpr_count:     25
    .sgpr_spill_count: 0
    .symbol:         _ZN7rocprim17ROCPRIM_400000_NS6detail17trampoline_kernelINS0_14default_configENS1_37merge_sort_block_sort_config_selectorIxNS0_10empty_typeEEEZNS1_21merge_sort_block_sortIS3_N6thrust23THRUST_200600_302600_NS6detail15normal_iteratorINS9_10device_ptrIxEEEESE_PS5_SF_14custom_greaterIxEEE10hipError_tT0_T1_T2_T3_mRjT4_P12ihipStream_tbNS1_7vsmem_tEEUlT_E_NS1_11comp_targetILNS1_3genE4ELNS1_11target_archE910ELNS1_3gpuE8ELNS1_3repE0EEENS1_30default_config_static_selectorELNS0_4arch9wavefront6targetE1EEEvSK_.kd
    .uniform_work_group_size: 1
    .uses_dynamic_stack: false
    .vgpr_count:     39
    .vgpr_spill_count: 0
    .wavefront_size: 64
  - .agpr_count:     0
    .args:
      - .offset:         0
        .size:           64
        .value_kind:     by_value
    .group_segment_fixed_size: 0
    .kernarg_segment_align: 8
    .kernarg_segment_size: 64
    .language:       OpenCL C
    .language_version:
      - 2
      - 0
    .max_flat_workgroup_size: 256
    .name:           _ZN7rocprim17ROCPRIM_400000_NS6detail17trampoline_kernelINS0_14default_configENS1_37merge_sort_block_sort_config_selectorIxNS0_10empty_typeEEEZNS1_21merge_sort_block_sortIS3_N6thrust23THRUST_200600_302600_NS6detail15normal_iteratorINS9_10device_ptrIxEEEESE_PS5_SF_14custom_greaterIxEEE10hipError_tT0_T1_T2_T3_mRjT4_P12ihipStream_tbNS1_7vsmem_tEEUlT_E_NS1_11comp_targetILNS1_3genE3ELNS1_11target_archE908ELNS1_3gpuE7ELNS1_3repE0EEENS1_30default_config_static_selectorELNS0_4arch9wavefront6targetE1EEEvSK_
    .private_segment_fixed_size: 0
    .sgpr_count:     4
    .sgpr_spill_count: 0
    .symbol:         _ZN7rocprim17ROCPRIM_400000_NS6detail17trampoline_kernelINS0_14default_configENS1_37merge_sort_block_sort_config_selectorIxNS0_10empty_typeEEEZNS1_21merge_sort_block_sortIS3_N6thrust23THRUST_200600_302600_NS6detail15normal_iteratorINS9_10device_ptrIxEEEESE_PS5_SF_14custom_greaterIxEEE10hipError_tT0_T1_T2_T3_mRjT4_P12ihipStream_tbNS1_7vsmem_tEEUlT_E_NS1_11comp_targetILNS1_3genE3ELNS1_11target_archE908ELNS1_3gpuE7ELNS1_3repE0EEENS1_30default_config_static_selectorELNS0_4arch9wavefront6targetE1EEEvSK_.kd
    .uniform_work_group_size: 1
    .uses_dynamic_stack: false
    .vgpr_count:     0
    .vgpr_spill_count: 0
    .wavefront_size: 64
  - .agpr_count:     0
    .args:
      - .offset:         0
        .size:           64
        .value_kind:     by_value
    .group_segment_fixed_size: 0
    .kernarg_segment_align: 8
    .kernarg_segment_size: 64
    .language:       OpenCL C
    .language_version:
      - 2
      - 0
    .max_flat_workgroup_size: 256
    .name:           _ZN7rocprim17ROCPRIM_400000_NS6detail17trampoline_kernelINS0_14default_configENS1_37merge_sort_block_sort_config_selectorIxNS0_10empty_typeEEEZNS1_21merge_sort_block_sortIS3_N6thrust23THRUST_200600_302600_NS6detail15normal_iteratorINS9_10device_ptrIxEEEESE_PS5_SF_14custom_greaterIxEEE10hipError_tT0_T1_T2_T3_mRjT4_P12ihipStream_tbNS1_7vsmem_tEEUlT_E_NS1_11comp_targetILNS1_3genE2ELNS1_11target_archE906ELNS1_3gpuE6ELNS1_3repE0EEENS1_30default_config_static_selectorELNS0_4arch9wavefront6targetE1EEEvSK_
    .private_segment_fixed_size: 0
    .sgpr_count:     4
    .sgpr_spill_count: 0
    .symbol:         _ZN7rocprim17ROCPRIM_400000_NS6detail17trampoline_kernelINS0_14default_configENS1_37merge_sort_block_sort_config_selectorIxNS0_10empty_typeEEEZNS1_21merge_sort_block_sortIS3_N6thrust23THRUST_200600_302600_NS6detail15normal_iteratorINS9_10device_ptrIxEEEESE_PS5_SF_14custom_greaterIxEEE10hipError_tT0_T1_T2_T3_mRjT4_P12ihipStream_tbNS1_7vsmem_tEEUlT_E_NS1_11comp_targetILNS1_3genE2ELNS1_11target_archE906ELNS1_3gpuE6ELNS1_3repE0EEENS1_30default_config_static_selectorELNS0_4arch9wavefront6targetE1EEEvSK_.kd
    .uniform_work_group_size: 1
    .uses_dynamic_stack: false
    .vgpr_count:     0
    .vgpr_spill_count: 0
    .wavefront_size: 64
  - .agpr_count:     0
    .args:
      - .offset:         0
        .size:           64
        .value_kind:     by_value
    .group_segment_fixed_size: 0
    .kernarg_segment_align: 8
    .kernarg_segment_size: 64
    .language:       OpenCL C
    .language_version:
      - 2
      - 0
    .max_flat_workgroup_size: 256
    .name:           _ZN7rocprim17ROCPRIM_400000_NS6detail17trampoline_kernelINS0_14default_configENS1_37merge_sort_block_sort_config_selectorIxNS0_10empty_typeEEEZNS1_21merge_sort_block_sortIS3_N6thrust23THRUST_200600_302600_NS6detail15normal_iteratorINS9_10device_ptrIxEEEESE_PS5_SF_14custom_greaterIxEEE10hipError_tT0_T1_T2_T3_mRjT4_P12ihipStream_tbNS1_7vsmem_tEEUlT_E_NS1_11comp_targetILNS1_3genE10ELNS1_11target_archE1201ELNS1_3gpuE5ELNS1_3repE0EEENS1_30default_config_static_selectorELNS0_4arch9wavefront6targetE1EEEvSK_
    .private_segment_fixed_size: 0
    .sgpr_count:     4
    .sgpr_spill_count: 0
    .symbol:         _ZN7rocprim17ROCPRIM_400000_NS6detail17trampoline_kernelINS0_14default_configENS1_37merge_sort_block_sort_config_selectorIxNS0_10empty_typeEEEZNS1_21merge_sort_block_sortIS3_N6thrust23THRUST_200600_302600_NS6detail15normal_iteratorINS9_10device_ptrIxEEEESE_PS5_SF_14custom_greaterIxEEE10hipError_tT0_T1_T2_T3_mRjT4_P12ihipStream_tbNS1_7vsmem_tEEUlT_E_NS1_11comp_targetILNS1_3genE10ELNS1_11target_archE1201ELNS1_3gpuE5ELNS1_3repE0EEENS1_30default_config_static_selectorELNS0_4arch9wavefront6targetE1EEEvSK_.kd
    .uniform_work_group_size: 1
    .uses_dynamic_stack: false
    .vgpr_count:     0
    .vgpr_spill_count: 0
    .wavefront_size: 64
  - .agpr_count:     0
    .args:
      - .offset:         0
        .size:           64
        .value_kind:     by_value
    .group_segment_fixed_size: 0
    .kernarg_segment_align: 8
    .kernarg_segment_size: 64
    .language:       OpenCL C
    .language_version:
      - 2
      - 0
    .max_flat_workgroup_size: 512
    .name:           _ZN7rocprim17ROCPRIM_400000_NS6detail17trampoline_kernelINS0_14default_configENS1_37merge_sort_block_sort_config_selectorIxNS0_10empty_typeEEEZNS1_21merge_sort_block_sortIS3_N6thrust23THRUST_200600_302600_NS6detail15normal_iteratorINS9_10device_ptrIxEEEESE_PS5_SF_14custom_greaterIxEEE10hipError_tT0_T1_T2_T3_mRjT4_P12ihipStream_tbNS1_7vsmem_tEEUlT_E_NS1_11comp_targetILNS1_3genE10ELNS1_11target_archE1200ELNS1_3gpuE4ELNS1_3repE0EEENS1_30default_config_static_selectorELNS0_4arch9wavefront6targetE1EEEvSK_
    .private_segment_fixed_size: 0
    .sgpr_count:     4
    .sgpr_spill_count: 0
    .symbol:         _ZN7rocprim17ROCPRIM_400000_NS6detail17trampoline_kernelINS0_14default_configENS1_37merge_sort_block_sort_config_selectorIxNS0_10empty_typeEEEZNS1_21merge_sort_block_sortIS3_N6thrust23THRUST_200600_302600_NS6detail15normal_iteratorINS9_10device_ptrIxEEEESE_PS5_SF_14custom_greaterIxEEE10hipError_tT0_T1_T2_T3_mRjT4_P12ihipStream_tbNS1_7vsmem_tEEUlT_E_NS1_11comp_targetILNS1_3genE10ELNS1_11target_archE1200ELNS1_3gpuE4ELNS1_3repE0EEENS1_30default_config_static_selectorELNS0_4arch9wavefront6targetE1EEEvSK_.kd
    .uniform_work_group_size: 1
    .uses_dynamic_stack: false
    .vgpr_count:     0
    .vgpr_spill_count: 0
    .wavefront_size: 64
  - .agpr_count:     0
    .args:
      - .offset:         0
        .size:           64
        .value_kind:     by_value
    .group_segment_fixed_size: 0
    .kernarg_segment_align: 8
    .kernarg_segment_size: 64
    .language:       OpenCL C
    .language_version:
      - 2
      - 0
    .max_flat_workgroup_size: 256
    .name:           _ZN7rocprim17ROCPRIM_400000_NS6detail17trampoline_kernelINS0_14default_configENS1_37merge_sort_block_sort_config_selectorIxNS0_10empty_typeEEEZNS1_21merge_sort_block_sortIS3_N6thrust23THRUST_200600_302600_NS6detail15normal_iteratorINS9_10device_ptrIxEEEESE_PS5_SF_14custom_greaterIxEEE10hipError_tT0_T1_T2_T3_mRjT4_P12ihipStream_tbNS1_7vsmem_tEEUlT_E_NS1_11comp_targetILNS1_3genE9ELNS1_11target_archE1100ELNS1_3gpuE3ELNS1_3repE0EEENS1_30default_config_static_selectorELNS0_4arch9wavefront6targetE1EEEvSK_
    .private_segment_fixed_size: 0
    .sgpr_count:     4
    .sgpr_spill_count: 0
    .symbol:         _ZN7rocprim17ROCPRIM_400000_NS6detail17trampoline_kernelINS0_14default_configENS1_37merge_sort_block_sort_config_selectorIxNS0_10empty_typeEEEZNS1_21merge_sort_block_sortIS3_N6thrust23THRUST_200600_302600_NS6detail15normal_iteratorINS9_10device_ptrIxEEEESE_PS5_SF_14custom_greaterIxEEE10hipError_tT0_T1_T2_T3_mRjT4_P12ihipStream_tbNS1_7vsmem_tEEUlT_E_NS1_11comp_targetILNS1_3genE9ELNS1_11target_archE1100ELNS1_3gpuE3ELNS1_3repE0EEENS1_30default_config_static_selectorELNS0_4arch9wavefront6targetE1EEEvSK_.kd
    .uniform_work_group_size: 1
    .uses_dynamic_stack: false
    .vgpr_count:     0
    .vgpr_spill_count: 0
    .wavefront_size: 64
  - .agpr_count:     0
    .args:
      - .offset:         0
        .size:           64
        .value_kind:     by_value
    .group_segment_fixed_size: 0
    .kernarg_segment_align: 8
    .kernarg_segment_size: 64
    .language:       OpenCL C
    .language_version:
      - 2
      - 0
    .max_flat_workgroup_size: 256
    .name:           _ZN7rocprim17ROCPRIM_400000_NS6detail17trampoline_kernelINS0_14default_configENS1_37merge_sort_block_sort_config_selectorIxNS0_10empty_typeEEEZNS1_21merge_sort_block_sortIS3_N6thrust23THRUST_200600_302600_NS6detail15normal_iteratorINS9_10device_ptrIxEEEESE_PS5_SF_14custom_greaterIxEEE10hipError_tT0_T1_T2_T3_mRjT4_P12ihipStream_tbNS1_7vsmem_tEEUlT_E_NS1_11comp_targetILNS1_3genE8ELNS1_11target_archE1030ELNS1_3gpuE2ELNS1_3repE0EEENS1_30default_config_static_selectorELNS0_4arch9wavefront6targetE1EEEvSK_
    .private_segment_fixed_size: 0
    .sgpr_count:     4
    .sgpr_spill_count: 0
    .symbol:         _ZN7rocprim17ROCPRIM_400000_NS6detail17trampoline_kernelINS0_14default_configENS1_37merge_sort_block_sort_config_selectorIxNS0_10empty_typeEEEZNS1_21merge_sort_block_sortIS3_N6thrust23THRUST_200600_302600_NS6detail15normal_iteratorINS9_10device_ptrIxEEEESE_PS5_SF_14custom_greaterIxEEE10hipError_tT0_T1_T2_T3_mRjT4_P12ihipStream_tbNS1_7vsmem_tEEUlT_E_NS1_11comp_targetILNS1_3genE8ELNS1_11target_archE1030ELNS1_3gpuE2ELNS1_3repE0EEENS1_30default_config_static_selectorELNS0_4arch9wavefront6targetE1EEEvSK_.kd
    .uniform_work_group_size: 1
    .uses_dynamic_stack: false
    .vgpr_count:     0
    .vgpr_spill_count: 0
    .wavefront_size: 64
  - .agpr_count:     0
    .args:
      - .offset:         0
        .size:           48
        .value_kind:     by_value
    .group_segment_fixed_size: 0
    .kernarg_segment_align: 8
    .kernarg_segment_size: 48
    .language:       OpenCL C
    .language_version:
      - 2
      - 0
    .max_flat_workgroup_size: 128
    .name:           _ZN7rocprim17ROCPRIM_400000_NS6detail17trampoline_kernelINS0_14default_configENS1_38merge_sort_block_merge_config_selectorIxNS0_10empty_typeEEEZZNS1_27merge_sort_block_merge_implIS3_N6thrust23THRUST_200600_302600_NS6detail15normal_iteratorINS9_10device_ptrIxEEEEPS5_m14custom_greaterIxEEE10hipError_tT0_T1_T2_jT3_P12ihipStream_tbPNSt15iterator_traitsISJ_E10value_typeEPNSP_ISK_E10value_typeEPSL_NS1_7vsmem_tEENKUlT_SJ_SK_SL_E_clIPxSE_SF_SF_EESI_SY_SJ_SK_SL_EUlSY_E_NS1_11comp_targetILNS1_3genE0ELNS1_11target_archE4294967295ELNS1_3gpuE0ELNS1_3repE0EEENS1_48merge_mergepath_partition_config_static_selectorELNS0_4arch9wavefront6targetE1EEEvSK_
    .private_segment_fixed_size: 0
    .sgpr_count:     4
    .sgpr_spill_count: 0
    .symbol:         _ZN7rocprim17ROCPRIM_400000_NS6detail17trampoline_kernelINS0_14default_configENS1_38merge_sort_block_merge_config_selectorIxNS0_10empty_typeEEEZZNS1_27merge_sort_block_merge_implIS3_N6thrust23THRUST_200600_302600_NS6detail15normal_iteratorINS9_10device_ptrIxEEEEPS5_m14custom_greaterIxEEE10hipError_tT0_T1_T2_jT3_P12ihipStream_tbPNSt15iterator_traitsISJ_E10value_typeEPNSP_ISK_E10value_typeEPSL_NS1_7vsmem_tEENKUlT_SJ_SK_SL_E_clIPxSE_SF_SF_EESI_SY_SJ_SK_SL_EUlSY_E_NS1_11comp_targetILNS1_3genE0ELNS1_11target_archE4294967295ELNS1_3gpuE0ELNS1_3repE0EEENS1_48merge_mergepath_partition_config_static_selectorELNS0_4arch9wavefront6targetE1EEEvSK_.kd
    .uniform_work_group_size: 1
    .uses_dynamic_stack: false
    .vgpr_count:     0
    .vgpr_spill_count: 0
    .wavefront_size: 64
  - .agpr_count:     0
    .args:
      - .offset:         0
        .size:           48
        .value_kind:     by_value
    .group_segment_fixed_size: 0
    .kernarg_segment_align: 8
    .kernarg_segment_size: 48
    .language:       OpenCL C
    .language_version:
      - 2
      - 0
    .max_flat_workgroup_size: 128
    .name:           _ZN7rocprim17ROCPRIM_400000_NS6detail17trampoline_kernelINS0_14default_configENS1_38merge_sort_block_merge_config_selectorIxNS0_10empty_typeEEEZZNS1_27merge_sort_block_merge_implIS3_N6thrust23THRUST_200600_302600_NS6detail15normal_iteratorINS9_10device_ptrIxEEEEPS5_m14custom_greaterIxEEE10hipError_tT0_T1_T2_jT3_P12ihipStream_tbPNSt15iterator_traitsISJ_E10value_typeEPNSP_ISK_E10value_typeEPSL_NS1_7vsmem_tEENKUlT_SJ_SK_SL_E_clIPxSE_SF_SF_EESI_SY_SJ_SK_SL_EUlSY_E_NS1_11comp_targetILNS1_3genE10ELNS1_11target_archE1201ELNS1_3gpuE5ELNS1_3repE0EEENS1_48merge_mergepath_partition_config_static_selectorELNS0_4arch9wavefront6targetE1EEEvSK_
    .private_segment_fixed_size: 0
    .sgpr_count:     4
    .sgpr_spill_count: 0
    .symbol:         _ZN7rocprim17ROCPRIM_400000_NS6detail17trampoline_kernelINS0_14default_configENS1_38merge_sort_block_merge_config_selectorIxNS0_10empty_typeEEEZZNS1_27merge_sort_block_merge_implIS3_N6thrust23THRUST_200600_302600_NS6detail15normal_iteratorINS9_10device_ptrIxEEEEPS5_m14custom_greaterIxEEE10hipError_tT0_T1_T2_jT3_P12ihipStream_tbPNSt15iterator_traitsISJ_E10value_typeEPNSP_ISK_E10value_typeEPSL_NS1_7vsmem_tEENKUlT_SJ_SK_SL_E_clIPxSE_SF_SF_EESI_SY_SJ_SK_SL_EUlSY_E_NS1_11comp_targetILNS1_3genE10ELNS1_11target_archE1201ELNS1_3gpuE5ELNS1_3repE0EEENS1_48merge_mergepath_partition_config_static_selectorELNS0_4arch9wavefront6targetE1EEEvSK_.kd
    .uniform_work_group_size: 1
    .uses_dynamic_stack: false
    .vgpr_count:     0
    .vgpr_spill_count: 0
    .wavefront_size: 64
  - .agpr_count:     0
    .args:
      - .offset:         0
        .size:           48
        .value_kind:     by_value
    .group_segment_fixed_size: 0
    .kernarg_segment_align: 8
    .kernarg_segment_size: 48
    .language:       OpenCL C
    .language_version:
      - 2
      - 0
    .max_flat_workgroup_size: 128
    .name:           _ZN7rocprim17ROCPRIM_400000_NS6detail17trampoline_kernelINS0_14default_configENS1_38merge_sort_block_merge_config_selectorIxNS0_10empty_typeEEEZZNS1_27merge_sort_block_merge_implIS3_N6thrust23THRUST_200600_302600_NS6detail15normal_iteratorINS9_10device_ptrIxEEEEPS5_m14custom_greaterIxEEE10hipError_tT0_T1_T2_jT3_P12ihipStream_tbPNSt15iterator_traitsISJ_E10value_typeEPNSP_ISK_E10value_typeEPSL_NS1_7vsmem_tEENKUlT_SJ_SK_SL_E_clIPxSE_SF_SF_EESI_SY_SJ_SK_SL_EUlSY_E_NS1_11comp_targetILNS1_3genE5ELNS1_11target_archE942ELNS1_3gpuE9ELNS1_3repE0EEENS1_48merge_mergepath_partition_config_static_selectorELNS0_4arch9wavefront6targetE1EEEvSK_
    .private_segment_fixed_size: 0
    .sgpr_count:     4
    .sgpr_spill_count: 0
    .symbol:         _ZN7rocprim17ROCPRIM_400000_NS6detail17trampoline_kernelINS0_14default_configENS1_38merge_sort_block_merge_config_selectorIxNS0_10empty_typeEEEZZNS1_27merge_sort_block_merge_implIS3_N6thrust23THRUST_200600_302600_NS6detail15normal_iteratorINS9_10device_ptrIxEEEEPS5_m14custom_greaterIxEEE10hipError_tT0_T1_T2_jT3_P12ihipStream_tbPNSt15iterator_traitsISJ_E10value_typeEPNSP_ISK_E10value_typeEPSL_NS1_7vsmem_tEENKUlT_SJ_SK_SL_E_clIPxSE_SF_SF_EESI_SY_SJ_SK_SL_EUlSY_E_NS1_11comp_targetILNS1_3genE5ELNS1_11target_archE942ELNS1_3gpuE9ELNS1_3repE0EEENS1_48merge_mergepath_partition_config_static_selectorELNS0_4arch9wavefront6targetE1EEEvSK_.kd
    .uniform_work_group_size: 1
    .uses_dynamic_stack: false
    .vgpr_count:     0
    .vgpr_spill_count: 0
    .wavefront_size: 64
  - .agpr_count:     0
    .args:
      - .offset:         0
        .size:           48
        .value_kind:     by_value
    .group_segment_fixed_size: 0
    .kernarg_segment_align: 8
    .kernarg_segment_size: 48
    .language:       OpenCL C
    .language_version:
      - 2
      - 0
    .max_flat_workgroup_size: 128
    .name:           _ZN7rocprim17ROCPRIM_400000_NS6detail17trampoline_kernelINS0_14default_configENS1_38merge_sort_block_merge_config_selectorIxNS0_10empty_typeEEEZZNS1_27merge_sort_block_merge_implIS3_N6thrust23THRUST_200600_302600_NS6detail15normal_iteratorINS9_10device_ptrIxEEEEPS5_m14custom_greaterIxEEE10hipError_tT0_T1_T2_jT3_P12ihipStream_tbPNSt15iterator_traitsISJ_E10value_typeEPNSP_ISK_E10value_typeEPSL_NS1_7vsmem_tEENKUlT_SJ_SK_SL_E_clIPxSE_SF_SF_EESI_SY_SJ_SK_SL_EUlSY_E_NS1_11comp_targetILNS1_3genE4ELNS1_11target_archE910ELNS1_3gpuE8ELNS1_3repE0EEENS1_48merge_mergepath_partition_config_static_selectorELNS0_4arch9wavefront6targetE1EEEvSK_
    .private_segment_fixed_size: 0
    .sgpr_count:     12
    .sgpr_spill_count: 0
    .symbol:         _ZN7rocprim17ROCPRIM_400000_NS6detail17trampoline_kernelINS0_14default_configENS1_38merge_sort_block_merge_config_selectorIxNS0_10empty_typeEEEZZNS1_27merge_sort_block_merge_implIS3_N6thrust23THRUST_200600_302600_NS6detail15normal_iteratorINS9_10device_ptrIxEEEEPS5_m14custom_greaterIxEEE10hipError_tT0_T1_T2_jT3_P12ihipStream_tbPNSt15iterator_traitsISJ_E10value_typeEPNSP_ISK_E10value_typeEPSL_NS1_7vsmem_tEENKUlT_SJ_SK_SL_E_clIPxSE_SF_SF_EESI_SY_SJ_SK_SL_EUlSY_E_NS1_11comp_targetILNS1_3genE4ELNS1_11target_archE910ELNS1_3gpuE8ELNS1_3repE0EEENS1_48merge_mergepath_partition_config_static_selectorELNS0_4arch9wavefront6targetE1EEEvSK_.kd
    .uniform_work_group_size: 1
    .uses_dynamic_stack: false
    .vgpr_count:     22
    .vgpr_spill_count: 0
    .wavefront_size: 64
  - .agpr_count:     0
    .args:
      - .offset:         0
        .size:           48
        .value_kind:     by_value
    .group_segment_fixed_size: 0
    .kernarg_segment_align: 8
    .kernarg_segment_size: 48
    .language:       OpenCL C
    .language_version:
      - 2
      - 0
    .max_flat_workgroup_size: 128
    .name:           _ZN7rocprim17ROCPRIM_400000_NS6detail17trampoline_kernelINS0_14default_configENS1_38merge_sort_block_merge_config_selectorIxNS0_10empty_typeEEEZZNS1_27merge_sort_block_merge_implIS3_N6thrust23THRUST_200600_302600_NS6detail15normal_iteratorINS9_10device_ptrIxEEEEPS5_m14custom_greaterIxEEE10hipError_tT0_T1_T2_jT3_P12ihipStream_tbPNSt15iterator_traitsISJ_E10value_typeEPNSP_ISK_E10value_typeEPSL_NS1_7vsmem_tEENKUlT_SJ_SK_SL_E_clIPxSE_SF_SF_EESI_SY_SJ_SK_SL_EUlSY_E_NS1_11comp_targetILNS1_3genE3ELNS1_11target_archE908ELNS1_3gpuE7ELNS1_3repE0EEENS1_48merge_mergepath_partition_config_static_selectorELNS0_4arch9wavefront6targetE1EEEvSK_
    .private_segment_fixed_size: 0
    .sgpr_count:     4
    .sgpr_spill_count: 0
    .symbol:         _ZN7rocprim17ROCPRIM_400000_NS6detail17trampoline_kernelINS0_14default_configENS1_38merge_sort_block_merge_config_selectorIxNS0_10empty_typeEEEZZNS1_27merge_sort_block_merge_implIS3_N6thrust23THRUST_200600_302600_NS6detail15normal_iteratorINS9_10device_ptrIxEEEEPS5_m14custom_greaterIxEEE10hipError_tT0_T1_T2_jT3_P12ihipStream_tbPNSt15iterator_traitsISJ_E10value_typeEPNSP_ISK_E10value_typeEPSL_NS1_7vsmem_tEENKUlT_SJ_SK_SL_E_clIPxSE_SF_SF_EESI_SY_SJ_SK_SL_EUlSY_E_NS1_11comp_targetILNS1_3genE3ELNS1_11target_archE908ELNS1_3gpuE7ELNS1_3repE0EEENS1_48merge_mergepath_partition_config_static_selectorELNS0_4arch9wavefront6targetE1EEEvSK_.kd
    .uniform_work_group_size: 1
    .uses_dynamic_stack: false
    .vgpr_count:     0
    .vgpr_spill_count: 0
    .wavefront_size: 64
  - .agpr_count:     0
    .args:
      - .offset:         0
        .size:           48
        .value_kind:     by_value
    .group_segment_fixed_size: 0
    .kernarg_segment_align: 8
    .kernarg_segment_size: 48
    .language:       OpenCL C
    .language_version:
      - 2
      - 0
    .max_flat_workgroup_size: 128
    .name:           _ZN7rocprim17ROCPRIM_400000_NS6detail17trampoline_kernelINS0_14default_configENS1_38merge_sort_block_merge_config_selectorIxNS0_10empty_typeEEEZZNS1_27merge_sort_block_merge_implIS3_N6thrust23THRUST_200600_302600_NS6detail15normal_iteratorINS9_10device_ptrIxEEEEPS5_m14custom_greaterIxEEE10hipError_tT0_T1_T2_jT3_P12ihipStream_tbPNSt15iterator_traitsISJ_E10value_typeEPNSP_ISK_E10value_typeEPSL_NS1_7vsmem_tEENKUlT_SJ_SK_SL_E_clIPxSE_SF_SF_EESI_SY_SJ_SK_SL_EUlSY_E_NS1_11comp_targetILNS1_3genE2ELNS1_11target_archE906ELNS1_3gpuE6ELNS1_3repE0EEENS1_48merge_mergepath_partition_config_static_selectorELNS0_4arch9wavefront6targetE1EEEvSK_
    .private_segment_fixed_size: 0
    .sgpr_count:     4
    .sgpr_spill_count: 0
    .symbol:         _ZN7rocprim17ROCPRIM_400000_NS6detail17trampoline_kernelINS0_14default_configENS1_38merge_sort_block_merge_config_selectorIxNS0_10empty_typeEEEZZNS1_27merge_sort_block_merge_implIS3_N6thrust23THRUST_200600_302600_NS6detail15normal_iteratorINS9_10device_ptrIxEEEEPS5_m14custom_greaterIxEEE10hipError_tT0_T1_T2_jT3_P12ihipStream_tbPNSt15iterator_traitsISJ_E10value_typeEPNSP_ISK_E10value_typeEPSL_NS1_7vsmem_tEENKUlT_SJ_SK_SL_E_clIPxSE_SF_SF_EESI_SY_SJ_SK_SL_EUlSY_E_NS1_11comp_targetILNS1_3genE2ELNS1_11target_archE906ELNS1_3gpuE6ELNS1_3repE0EEENS1_48merge_mergepath_partition_config_static_selectorELNS0_4arch9wavefront6targetE1EEEvSK_.kd
    .uniform_work_group_size: 1
    .uses_dynamic_stack: false
    .vgpr_count:     0
    .vgpr_spill_count: 0
    .wavefront_size: 64
  - .agpr_count:     0
    .args:
      - .offset:         0
        .size:           48
        .value_kind:     by_value
    .group_segment_fixed_size: 0
    .kernarg_segment_align: 8
    .kernarg_segment_size: 48
    .language:       OpenCL C
    .language_version:
      - 2
      - 0
    .max_flat_workgroup_size: 128
    .name:           _ZN7rocprim17ROCPRIM_400000_NS6detail17trampoline_kernelINS0_14default_configENS1_38merge_sort_block_merge_config_selectorIxNS0_10empty_typeEEEZZNS1_27merge_sort_block_merge_implIS3_N6thrust23THRUST_200600_302600_NS6detail15normal_iteratorINS9_10device_ptrIxEEEEPS5_m14custom_greaterIxEEE10hipError_tT0_T1_T2_jT3_P12ihipStream_tbPNSt15iterator_traitsISJ_E10value_typeEPNSP_ISK_E10value_typeEPSL_NS1_7vsmem_tEENKUlT_SJ_SK_SL_E_clIPxSE_SF_SF_EESI_SY_SJ_SK_SL_EUlSY_E_NS1_11comp_targetILNS1_3genE9ELNS1_11target_archE1100ELNS1_3gpuE3ELNS1_3repE0EEENS1_48merge_mergepath_partition_config_static_selectorELNS0_4arch9wavefront6targetE1EEEvSK_
    .private_segment_fixed_size: 0
    .sgpr_count:     4
    .sgpr_spill_count: 0
    .symbol:         _ZN7rocprim17ROCPRIM_400000_NS6detail17trampoline_kernelINS0_14default_configENS1_38merge_sort_block_merge_config_selectorIxNS0_10empty_typeEEEZZNS1_27merge_sort_block_merge_implIS3_N6thrust23THRUST_200600_302600_NS6detail15normal_iteratorINS9_10device_ptrIxEEEEPS5_m14custom_greaterIxEEE10hipError_tT0_T1_T2_jT3_P12ihipStream_tbPNSt15iterator_traitsISJ_E10value_typeEPNSP_ISK_E10value_typeEPSL_NS1_7vsmem_tEENKUlT_SJ_SK_SL_E_clIPxSE_SF_SF_EESI_SY_SJ_SK_SL_EUlSY_E_NS1_11comp_targetILNS1_3genE9ELNS1_11target_archE1100ELNS1_3gpuE3ELNS1_3repE0EEENS1_48merge_mergepath_partition_config_static_selectorELNS0_4arch9wavefront6targetE1EEEvSK_.kd
    .uniform_work_group_size: 1
    .uses_dynamic_stack: false
    .vgpr_count:     0
    .vgpr_spill_count: 0
    .wavefront_size: 64
  - .agpr_count:     0
    .args:
      - .offset:         0
        .size:           48
        .value_kind:     by_value
    .group_segment_fixed_size: 0
    .kernarg_segment_align: 8
    .kernarg_segment_size: 48
    .language:       OpenCL C
    .language_version:
      - 2
      - 0
    .max_flat_workgroup_size: 128
    .name:           _ZN7rocprim17ROCPRIM_400000_NS6detail17trampoline_kernelINS0_14default_configENS1_38merge_sort_block_merge_config_selectorIxNS0_10empty_typeEEEZZNS1_27merge_sort_block_merge_implIS3_N6thrust23THRUST_200600_302600_NS6detail15normal_iteratorINS9_10device_ptrIxEEEEPS5_m14custom_greaterIxEEE10hipError_tT0_T1_T2_jT3_P12ihipStream_tbPNSt15iterator_traitsISJ_E10value_typeEPNSP_ISK_E10value_typeEPSL_NS1_7vsmem_tEENKUlT_SJ_SK_SL_E_clIPxSE_SF_SF_EESI_SY_SJ_SK_SL_EUlSY_E_NS1_11comp_targetILNS1_3genE8ELNS1_11target_archE1030ELNS1_3gpuE2ELNS1_3repE0EEENS1_48merge_mergepath_partition_config_static_selectorELNS0_4arch9wavefront6targetE1EEEvSK_
    .private_segment_fixed_size: 0
    .sgpr_count:     4
    .sgpr_spill_count: 0
    .symbol:         _ZN7rocprim17ROCPRIM_400000_NS6detail17trampoline_kernelINS0_14default_configENS1_38merge_sort_block_merge_config_selectorIxNS0_10empty_typeEEEZZNS1_27merge_sort_block_merge_implIS3_N6thrust23THRUST_200600_302600_NS6detail15normal_iteratorINS9_10device_ptrIxEEEEPS5_m14custom_greaterIxEEE10hipError_tT0_T1_T2_jT3_P12ihipStream_tbPNSt15iterator_traitsISJ_E10value_typeEPNSP_ISK_E10value_typeEPSL_NS1_7vsmem_tEENKUlT_SJ_SK_SL_E_clIPxSE_SF_SF_EESI_SY_SJ_SK_SL_EUlSY_E_NS1_11comp_targetILNS1_3genE8ELNS1_11target_archE1030ELNS1_3gpuE2ELNS1_3repE0EEENS1_48merge_mergepath_partition_config_static_selectorELNS0_4arch9wavefront6targetE1EEEvSK_.kd
    .uniform_work_group_size: 1
    .uses_dynamic_stack: false
    .vgpr_count:     0
    .vgpr_spill_count: 0
    .wavefront_size: 64
  - .agpr_count:     0
    .args:
      - .offset:         0
        .size:           72
        .value_kind:     by_value
    .group_segment_fixed_size: 0
    .kernarg_segment_align: 8
    .kernarg_segment_size: 72
    .language:       OpenCL C
    .language_version:
      - 2
      - 0
    .max_flat_workgroup_size: 128
    .name:           _ZN7rocprim17ROCPRIM_400000_NS6detail17trampoline_kernelINS0_14default_configENS1_38merge_sort_block_merge_config_selectorIxNS0_10empty_typeEEEZZNS1_27merge_sort_block_merge_implIS3_N6thrust23THRUST_200600_302600_NS6detail15normal_iteratorINS9_10device_ptrIxEEEEPS5_m14custom_greaterIxEEE10hipError_tT0_T1_T2_jT3_P12ihipStream_tbPNSt15iterator_traitsISJ_E10value_typeEPNSP_ISK_E10value_typeEPSL_NS1_7vsmem_tEENKUlT_SJ_SK_SL_E_clIPxSE_SF_SF_EESI_SY_SJ_SK_SL_EUlSY_E0_NS1_11comp_targetILNS1_3genE0ELNS1_11target_archE4294967295ELNS1_3gpuE0ELNS1_3repE0EEENS1_38merge_mergepath_config_static_selectorELNS0_4arch9wavefront6targetE1EEEvSK_
    .private_segment_fixed_size: 0
    .sgpr_count:     4
    .sgpr_spill_count: 0
    .symbol:         _ZN7rocprim17ROCPRIM_400000_NS6detail17trampoline_kernelINS0_14default_configENS1_38merge_sort_block_merge_config_selectorIxNS0_10empty_typeEEEZZNS1_27merge_sort_block_merge_implIS3_N6thrust23THRUST_200600_302600_NS6detail15normal_iteratorINS9_10device_ptrIxEEEEPS5_m14custom_greaterIxEEE10hipError_tT0_T1_T2_jT3_P12ihipStream_tbPNSt15iterator_traitsISJ_E10value_typeEPNSP_ISK_E10value_typeEPSL_NS1_7vsmem_tEENKUlT_SJ_SK_SL_E_clIPxSE_SF_SF_EESI_SY_SJ_SK_SL_EUlSY_E0_NS1_11comp_targetILNS1_3genE0ELNS1_11target_archE4294967295ELNS1_3gpuE0ELNS1_3repE0EEENS1_38merge_mergepath_config_static_selectorELNS0_4arch9wavefront6targetE1EEEvSK_.kd
    .uniform_work_group_size: 1
    .uses_dynamic_stack: false
    .vgpr_count:     0
    .vgpr_spill_count: 0
    .wavefront_size: 64
  - .agpr_count:     0
    .args:
      - .offset:         0
        .size:           72
        .value_kind:     by_value
    .group_segment_fixed_size: 0
    .kernarg_segment_align: 8
    .kernarg_segment_size: 72
    .language:       OpenCL C
    .language_version:
      - 2
      - 0
    .max_flat_workgroup_size: 512
    .name:           _ZN7rocprim17ROCPRIM_400000_NS6detail17trampoline_kernelINS0_14default_configENS1_38merge_sort_block_merge_config_selectorIxNS0_10empty_typeEEEZZNS1_27merge_sort_block_merge_implIS3_N6thrust23THRUST_200600_302600_NS6detail15normal_iteratorINS9_10device_ptrIxEEEEPS5_m14custom_greaterIxEEE10hipError_tT0_T1_T2_jT3_P12ihipStream_tbPNSt15iterator_traitsISJ_E10value_typeEPNSP_ISK_E10value_typeEPSL_NS1_7vsmem_tEENKUlT_SJ_SK_SL_E_clIPxSE_SF_SF_EESI_SY_SJ_SK_SL_EUlSY_E0_NS1_11comp_targetILNS1_3genE10ELNS1_11target_archE1201ELNS1_3gpuE5ELNS1_3repE0EEENS1_38merge_mergepath_config_static_selectorELNS0_4arch9wavefront6targetE1EEEvSK_
    .private_segment_fixed_size: 0
    .sgpr_count:     4
    .sgpr_spill_count: 0
    .symbol:         _ZN7rocprim17ROCPRIM_400000_NS6detail17trampoline_kernelINS0_14default_configENS1_38merge_sort_block_merge_config_selectorIxNS0_10empty_typeEEEZZNS1_27merge_sort_block_merge_implIS3_N6thrust23THRUST_200600_302600_NS6detail15normal_iteratorINS9_10device_ptrIxEEEEPS5_m14custom_greaterIxEEE10hipError_tT0_T1_T2_jT3_P12ihipStream_tbPNSt15iterator_traitsISJ_E10value_typeEPNSP_ISK_E10value_typeEPSL_NS1_7vsmem_tEENKUlT_SJ_SK_SL_E_clIPxSE_SF_SF_EESI_SY_SJ_SK_SL_EUlSY_E0_NS1_11comp_targetILNS1_3genE10ELNS1_11target_archE1201ELNS1_3gpuE5ELNS1_3repE0EEENS1_38merge_mergepath_config_static_selectorELNS0_4arch9wavefront6targetE1EEEvSK_.kd
    .uniform_work_group_size: 1
    .uses_dynamic_stack: false
    .vgpr_count:     0
    .vgpr_spill_count: 0
    .wavefront_size: 64
  - .agpr_count:     0
    .args:
      - .offset:         0
        .size:           72
        .value_kind:     by_value
    .group_segment_fixed_size: 0
    .kernarg_segment_align: 8
    .kernarg_segment_size: 72
    .language:       OpenCL C
    .language_version:
      - 2
      - 0
    .max_flat_workgroup_size: 128
    .name:           _ZN7rocprim17ROCPRIM_400000_NS6detail17trampoline_kernelINS0_14default_configENS1_38merge_sort_block_merge_config_selectorIxNS0_10empty_typeEEEZZNS1_27merge_sort_block_merge_implIS3_N6thrust23THRUST_200600_302600_NS6detail15normal_iteratorINS9_10device_ptrIxEEEEPS5_m14custom_greaterIxEEE10hipError_tT0_T1_T2_jT3_P12ihipStream_tbPNSt15iterator_traitsISJ_E10value_typeEPNSP_ISK_E10value_typeEPSL_NS1_7vsmem_tEENKUlT_SJ_SK_SL_E_clIPxSE_SF_SF_EESI_SY_SJ_SK_SL_EUlSY_E0_NS1_11comp_targetILNS1_3genE5ELNS1_11target_archE942ELNS1_3gpuE9ELNS1_3repE0EEENS1_38merge_mergepath_config_static_selectorELNS0_4arch9wavefront6targetE1EEEvSK_
    .private_segment_fixed_size: 0
    .sgpr_count:     4
    .sgpr_spill_count: 0
    .symbol:         _ZN7rocprim17ROCPRIM_400000_NS6detail17trampoline_kernelINS0_14default_configENS1_38merge_sort_block_merge_config_selectorIxNS0_10empty_typeEEEZZNS1_27merge_sort_block_merge_implIS3_N6thrust23THRUST_200600_302600_NS6detail15normal_iteratorINS9_10device_ptrIxEEEEPS5_m14custom_greaterIxEEE10hipError_tT0_T1_T2_jT3_P12ihipStream_tbPNSt15iterator_traitsISJ_E10value_typeEPNSP_ISK_E10value_typeEPSL_NS1_7vsmem_tEENKUlT_SJ_SK_SL_E_clIPxSE_SF_SF_EESI_SY_SJ_SK_SL_EUlSY_E0_NS1_11comp_targetILNS1_3genE5ELNS1_11target_archE942ELNS1_3gpuE9ELNS1_3repE0EEENS1_38merge_mergepath_config_static_selectorELNS0_4arch9wavefront6targetE1EEEvSK_.kd
    .uniform_work_group_size: 1
    .uses_dynamic_stack: false
    .vgpr_count:     0
    .vgpr_spill_count: 0
    .wavefront_size: 64
  - .agpr_count:     0
    .args:
      - .offset:         0
        .size:           72
        .value_kind:     by_value
      - .offset:         72
        .size:           4
        .value_kind:     hidden_block_count_x
      - .offset:         76
        .size:           4
        .value_kind:     hidden_block_count_y
      - .offset:         80
        .size:           4
        .value_kind:     hidden_block_count_z
      - .offset:         84
        .size:           2
        .value_kind:     hidden_group_size_x
      - .offset:         86
        .size:           2
        .value_kind:     hidden_group_size_y
      - .offset:         88
        .size:           2
        .value_kind:     hidden_group_size_z
      - .offset:         90
        .size:           2
        .value_kind:     hidden_remainder_x
      - .offset:         92
        .size:           2
        .value_kind:     hidden_remainder_y
      - .offset:         94
        .size:           2
        .value_kind:     hidden_remainder_z
      - .offset:         112
        .size:           8
        .value_kind:     hidden_global_offset_x
      - .offset:         120
        .size:           8
        .value_kind:     hidden_global_offset_y
      - .offset:         128
        .size:           8
        .value_kind:     hidden_global_offset_z
      - .offset:         136
        .size:           2
        .value_kind:     hidden_grid_dims
    .group_segment_fixed_size: 8448
    .kernarg_segment_align: 8
    .kernarg_segment_size: 328
    .language:       OpenCL C
    .language_version:
      - 2
      - 0
    .max_flat_workgroup_size: 256
    .name:           _ZN7rocprim17ROCPRIM_400000_NS6detail17trampoline_kernelINS0_14default_configENS1_38merge_sort_block_merge_config_selectorIxNS0_10empty_typeEEEZZNS1_27merge_sort_block_merge_implIS3_N6thrust23THRUST_200600_302600_NS6detail15normal_iteratorINS9_10device_ptrIxEEEEPS5_m14custom_greaterIxEEE10hipError_tT0_T1_T2_jT3_P12ihipStream_tbPNSt15iterator_traitsISJ_E10value_typeEPNSP_ISK_E10value_typeEPSL_NS1_7vsmem_tEENKUlT_SJ_SK_SL_E_clIPxSE_SF_SF_EESI_SY_SJ_SK_SL_EUlSY_E0_NS1_11comp_targetILNS1_3genE4ELNS1_11target_archE910ELNS1_3gpuE8ELNS1_3repE0EEENS1_38merge_mergepath_config_static_selectorELNS0_4arch9wavefront6targetE1EEEvSK_
    .private_segment_fixed_size: 0
    .sgpr_count:     35
    .sgpr_spill_count: 0
    .symbol:         _ZN7rocprim17ROCPRIM_400000_NS6detail17trampoline_kernelINS0_14default_configENS1_38merge_sort_block_merge_config_selectorIxNS0_10empty_typeEEEZZNS1_27merge_sort_block_merge_implIS3_N6thrust23THRUST_200600_302600_NS6detail15normal_iteratorINS9_10device_ptrIxEEEEPS5_m14custom_greaterIxEEE10hipError_tT0_T1_T2_jT3_P12ihipStream_tbPNSt15iterator_traitsISJ_E10value_typeEPNSP_ISK_E10value_typeEPSL_NS1_7vsmem_tEENKUlT_SJ_SK_SL_E_clIPxSE_SF_SF_EESI_SY_SJ_SK_SL_EUlSY_E0_NS1_11comp_targetILNS1_3genE4ELNS1_11target_archE910ELNS1_3gpuE8ELNS1_3repE0EEENS1_38merge_mergepath_config_static_selectorELNS0_4arch9wavefront6targetE1EEEvSK_.kd
    .uniform_work_group_size: 1
    .uses_dynamic_stack: false
    .vgpr_count:     21
    .vgpr_spill_count: 0
    .wavefront_size: 64
  - .agpr_count:     0
    .args:
      - .offset:         0
        .size:           72
        .value_kind:     by_value
    .group_segment_fixed_size: 0
    .kernarg_segment_align: 8
    .kernarg_segment_size: 72
    .language:       OpenCL C
    .language_version:
      - 2
      - 0
    .max_flat_workgroup_size: 128
    .name:           _ZN7rocprim17ROCPRIM_400000_NS6detail17trampoline_kernelINS0_14default_configENS1_38merge_sort_block_merge_config_selectorIxNS0_10empty_typeEEEZZNS1_27merge_sort_block_merge_implIS3_N6thrust23THRUST_200600_302600_NS6detail15normal_iteratorINS9_10device_ptrIxEEEEPS5_m14custom_greaterIxEEE10hipError_tT0_T1_T2_jT3_P12ihipStream_tbPNSt15iterator_traitsISJ_E10value_typeEPNSP_ISK_E10value_typeEPSL_NS1_7vsmem_tEENKUlT_SJ_SK_SL_E_clIPxSE_SF_SF_EESI_SY_SJ_SK_SL_EUlSY_E0_NS1_11comp_targetILNS1_3genE3ELNS1_11target_archE908ELNS1_3gpuE7ELNS1_3repE0EEENS1_38merge_mergepath_config_static_selectorELNS0_4arch9wavefront6targetE1EEEvSK_
    .private_segment_fixed_size: 0
    .sgpr_count:     4
    .sgpr_spill_count: 0
    .symbol:         _ZN7rocprim17ROCPRIM_400000_NS6detail17trampoline_kernelINS0_14default_configENS1_38merge_sort_block_merge_config_selectorIxNS0_10empty_typeEEEZZNS1_27merge_sort_block_merge_implIS3_N6thrust23THRUST_200600_302600_NS6detail15normal_iteratorINS9_10device_ptrIxEEEEPS5_m14custom_greaterIxEEE10hipError_tT0_T1_T2_jT3_P12ihipStream_tbPNSt15iterator_traitsISJ_E10value_typeEPNSP_ISK_E10value_typeEPSL_NS1_7vsmem_tEENKUlT_SJ_SK_SL_E_clIPxSE_SF_SF_EESI_SY_SJ_SK_SL_EUlSY_E0_NS1_11comp_targetILNS1_3genE3ELNS1_11target_archE908ELNS1_3gpuE7ELNS1_3repE0EEENS1_38merge_mergepath_config_static_selectorELNS0_4arch9wavefront6targetE1EEEvSK_.kd
    .uniform_work_group_size: 1
    .uses_dynamic_stack: false
    .vgpr_count:     0
    .vgpr_spill_count: 0
    .wavefront_size: 64
  - .agpr_count:     0
    .args:
      - .offset:         0
        .size:           72
        .value_kind:     by_value
    .group_segment_fixed_size: 0
    .kernarg_segment_align: 8
    .kernarg_segment_size: 72
    .language:       OpenCL C
    .language_version:
      - 2
      - 0
    .max_flat_workgroup_size: 256
    .name:           _ZN7rocprim17ROCPRIM_400000_NS6detail17trampoline_kernelINS0_14default_configENS1_38merge_sort_block_merge_config_selectorIxNS0_10empty_typeEEEZZNS1_27merge_sort_block_merge_implIS3_N6thrust23THRUST_200600_302600_NS6detail15normal_iteratorINS9_10device_ptrIxEEEEPS5_m14custom_greaterIxEEE10hipError_tT0_T1_T2_jT3_P12ihipStream_tbPNSt15iterator_traitsISJ_E10value_typeEPNSP_ISK_E10value_typeEPSL_NS1_7vsmem_tEENKUlT_SJ_SK_SL_E_clIPxSE_SF_SF_EESI_SY_SJ_SK_SL_EUlSY_E0_NS1_11comp_targetILNS1_3genE2ELNS1_11target_archE906ELNS1_3gpuE6ELNS1_3repE0EEENS1_38merge_mergepath_config_static_selectorELNS0_4arch9wavefront6targetE1EEEvSK_
    .private_segment_fixed_size: 0
    .sgpr_count:     4
    .sgpr_spill_count: 0
    .symbol:         _ZN7rocprim17ROCPRIM_400000_NS6detail17trampoline_kernelINS0_14default_configENS1_38merge_sort_block_merge_config_selectorIxNS0_10empty_typeEEEZZNS1_27merge_sort_block_merge_implIS3_N6thrust23THRUST_200600_302600_NS6detail15normal_iteratorINS9_10device_ptrIxEEEEPS5_m14custom_greaterIxEEE10hipError_tT0_T1_T2_jT3_P12ihipStream_tbPNSt15iterator_traitsISJ_E10value_typeEPNSP_ISK_E10value_typeEPSL_NS1_7vsmem_tEENKUlT_SJ_SK_SL_E_clIPxSE_SF_SF_EESI_SY_SJ_SK_SL_EUlSY_E0_NS1_11comp_targetILNS1_3genE2ELNS1_11target_archE906ELNS1_3gpuE6ELNS1_3repE0EEENS1_38merge_mergepath_config_static_selectorELNS0_4arch9wavefront6targetE1EEEvSK_.kd
    .uniform_work_group_size: 1
    .uses_dynamic_stack: false
    .vgpr_count:     0
    .vgpr_spill_count: 0
    .wavefront_size: 64
  - .agpr_count:     0
    .args:
      - .offset:         0
        .size:           72
        .value_kind:     by_value
    .group_segment_fixed_size: 0
    .kernarg_segment_align: 8
    .kernarg_segment_size: 72
    .language:       OpenCL C
    .language_version:
      - 2
      - 0
    .max_flat_workgroup_size: 512
    .name:           _ZN7rocprim17ROCPRIM_400000_NS6detail17trampoline_kernelINS0_14default_configENS1_38merge_sort_block_merge_config_selectorIxNS0_10empty_typeEEEZZNS1_27merge_sort_block_merge_implIS3_N6thrust23THRUST_200600_302600_NS6detail15normal_iteratorINS9_10device_ptrIxEEEEPS5_m14custom_greaterIxEEE10hipError_tT0_T1_T2_jT3_P12ihipStream_tbPNSt15iterator_traitsISJ_E10value_typeEPNSP_ISK_E10value_typeEPSL_NS1_7vsmem_tEENKUlT_SJ_SK_SL_E_clIPxSE_SF_SF_EESI_SY_SJ_SK_SL_EUlSY_E0_NS1_11comp_targetILNS1_3genE9ELNS1_11target_archE1100ELNS1_3gpuE3ELNS1_3repE0EEENS1_38merge_mergepath_config_static_selectorELNS0_4arch9wavefront6targetE1EEEvSK_
    .private_segment_fixed_size: 0
    .sgpr_count:     4
    .sgpr_spill_count: 0
    .symbol:         _ZN7rocprim17ROCPRIM_400000_NS6detail17trampoline_kernelINS0_14default_configENS1_38merge_sort_block_merge_config_selectorIxNS0_10empty_typeEEEZZNS1_27merge_sort_block_merge_implIS3_N6thrust23THRUST_200600_302600_NS6detail15normal_iteratorINS9_10device_ptrIxEEEEPS5_m14custom_greaterIxEEE10hipError_tT0_T1_T2_jT3_P12ihipStream_tbPNSt15iterator_traitsISJ_E10value_typeEPNSP_ISK_E10value_typeEPSL_NS1_7vsmem_tEENKUlT_SJ_SK_SL_E_clIPxSE_SF_SF_EESI_SY_SJ_SK_SL_EUlSY_E0_NS1_11comp_targetILNS1_3genE9ELNS1_11target_archE1100ELNS1_3gpuE3ELNS1_3repE0EEENS1_38merge_mergepath_config_static_selectorELNS0_4arch9wavefront6targetE1EEEvSK_.kd
    .uniform_work_group_size: 1
    .uses_dynamic_stack: false
    .vgpr_count:     0
    .vgpr_spill_count: 0
    .wavefront_size: 64
  - .agpr_count:     0
    .args:
      - .offset:         0
        .size:           72
        .value_kind:     by_value
    .group_segment_fixed_size: 0
    .kernarg_segment_align: 8
    .kernarg_segment_size: 72
    .language:       OpenCL C
    .language_version:
      - 2
      - 0
    .max_flat_workgroup_size: 1024
    .name:           _ZN7rocprim17ROCPRIM_400000_NS6detail17trampoline_kernelINS0_14default_configENS1_38merge_sort_block_merge_config_selectorIxNS0_10empty_typeEEEZZNS1_27merge_sort_block_merge_implIS3_N6thrust23THRUST_200600_302600_NS6detail15normal_iteratorINS9_10device_ptrIxEEEEPS5_m14custom_greaterIxEEE10hipError_tT0_T1_T2_jT3_P12ihipStream_tbPNSt15iterator_traitsISJ_E10value_typeEPNSP_ISK_E10value_typeEPSL_NS1_7vsmem_tEENKUlT_SJ_SK_SL_E_clIPxSE_SF_SF_EESI_SY_SJ_SK_SL_EUlSY_E0_NS1_11comp_targetILNS1_3genE8ELNS1_11target_archE1030ELNS1_3gpuE2ELNS1_3repE0EEENS1_38merge_mergepath_config_static_selectorELNS0_4arch9wavefront6targetE1EEEvSK_
    .private_segment_fixed_size: 0
    .sgpr_count:     4
    .sgpr_spill_count: 0
    .symbol:         _ZN7rocprim17ROCPRIM_400000_NS6detail17trampoline_kernelINS0_14default_configENS1_38merge_sort_block_merge_config_selectorIxNS0_10empty_typeEEEZZNS1_27merge_sort_block_merge_implIS3_N6thrust23THRUST_200600_302600_NS6detail15normal_iteratorINS9_10device_ptrIxEEEEPS5_m14custom_greaterIxEEE10hipError_tT0_T1_T2_jT3_P12ihipStream_tbPNSt15iterator_traitsISJ_E10value_typeEPNSP_ISK_E10value_typeEPSL_NS1_7vsmem_tEENKUlT_SJ_SK_SL_E_clIPxSE_SF_SF_EESI_SY_SJ_SK_SL_EUlSY_E0_NS1_11comp_targetILNS1_3genE8ELNS1_11target_archE1030ELNS1_3gpuE2ELNS1_3repE0EEENS1_38merge_mergepath_config_static_selectorELNS0_4arch9wavefront6targetE1EEEvSK_.kd
    .uniform_work_group_size: 1
    .uses_dynamic_stack: false
    .vgpr_count:     0
    .vgpr_spill_count: 0
    .wavefront_size: 64
  - .agpr_count:     0
    .args:
      - .offset:         0
        .size:           56
        .value_kind:     by_value
    .group_segment_fixed_size: 0
    .kernarg_segment_align: 8
    .kernarg_segment_size: 56
    .language:       OpenCL C
    .language_version:
      - 2
      - 0
    .max_flat_workgroup_size: 256
    .name:           _ZN7rocprim17ROCPRIM_400000_NS6detail17trampoline_kernelINS0_14default_configENS1_38merge_sort_block_merge_config_selectorIxNS0_10empty_typeEEEZZNS1_27merge_sort_block_merge_implIS3_N6thrust23THRUST_200600_302600_NS6detail15normal_iteratorINS9_10device_ptrIxEEEEPS5_m14custom_greaterIxEEE10hipError_tT0_T1_T2_jT3_P12ihipStream_tbPNSt15iterator_traitsISJ_E10value_typeEPNSP_ISK_E10value_typeEPSL_NS1_7vsmem_tEENKUlT_SJ_SK_SL_E_clIPxSE_SF_SF_EESI_SY_SJ_SK_SL_EUlSY_E1_NS1_11comp_targetILNS1_3genE0ELNS1_11target_archE4294967295ELNS1_3gpuE0ELNS1_3repE0EEENS1_36merge_oddeven_config_static_selectorELNS0_4arch9wavefront6targetE1EEEvSK_
    .private_segment_fixed_size: 0
    .sgpr_count:     4
    .sgpr_spill_count: 0
    .symbol:         _ZN7rocprim17ROCPRIM_400000_NS6detail17trampoline_kernelINS0_14default_configENS1_38merge_sort_block_merge_config_selectorIxNS0_10empty_typeEEEZZNS1_27merge_sort_block_merge_implIS3_N6thrust23THRUST_200600_302600_NS6detail15normal_iteratorINS9_10device_ptrIxEEEEPS5_m14custom_greaterIxEEE10hipError_tT0_T1_T2_jT3_P12ihipStream_tbPNSt15iterator_traitsISJ_E10value_typeEPNSP_ISK_E10value_typeEPSL_NS1_7vsmem_tEENKUlT_SJ_SK_SL_E_clIPxSE_SF_SF_EESI_SY_SJ_SK_SL_EUlSY_E1_NS1_11comp_targetILNS1_3genE0ELNS1_11target_archE4294967295ELNS1_3gpuE0ELNS1_3repE0EEENS1_36merge_oddeven_config_static_selectorELNS0_4arch9wavefront6targetE1EEEvSK_.kd
    .uniform_work_group_size: 1
    .uses_dynamic_stack: false
    .vgpr_count:     0
    .vgpr_spill_count: 0
    .wavefront_size: 64
  - .agpr_count:     0
    .args:
      - .offset:         0
        .size:           56
        .value_kind:     by_value
    .group_segment_fixed_size: 0
    .kernarg_segment_align: 8
    .kernarg_segment_size: 56
    .language:       OpenCL C
    .language_version:
      - 2
      - 0
    .max_flat_workgroup_size: 256
    .name:           _ZN7rocprim17ROCPRIM_400000_NS6detail17trampoline_kernelINS0_14default_configENS1_38merge_sort_block_merge_config_selectorIxNS0_10empty_typeEEEZZNS1_27merge_sort_block_merge_implIS3_N6thrust23THRUST_200600_302600_NS6detail15normal_iteratorINS9_10device_ptrIxEEEEPS5_m14custom_greaterIxEEE10hipError_tT0_T1_T2_jT3_P12ihipStream_tbPNSt15iterator_traitsISJ_E10value_typeEPNSP_ISK_E10value_typeEPSL_NS1_7vsmem_tEENKUlT_SJ_SK_SL_E_clIPxSE_SF_SF_EESI_SY_SJ_SK_SL_EUlSY_E1_NS1_11comp_targetILNS1_3genE10ELNS1_11target_archE1201ELNS1_3gpuE5ELNS1_3repE0EEENS1_36merge_oddeven_config_static_selectorELNS0_4arch9wavefront6targetE1EEEvSK_
    .private_segment_fixed_size: 0
    .sgpr_count:     4
    .sgpr_spill_count: 0
    .symbol:         _ZN7rocprim17ROCPRIM_400000_NS6detail17trampoline_kernelINS0_14default_configENS1_38merge_sort_block_merge_config_selectorIxNS0_10empty_typeEEEZZNS1_27merge_sort_block_merge_implIS3_N6thrust23THRUST_200600_302600_NS6detail15normal_iteratorINS9_10device_ptrIxEEEEPS5_m14custom_greaterIxEEE10hipError_tT0_T1_T2_jT3_P12ihipStream_tbPNSt15iterator_traitsISJ_E10value_typeEPNSP_ISK_E10value_typeEPSL_NS1_7vsmem_tEENKUlT_SJ_SK_SL_E_clIPxSE_SF_SF_EESI_SY_SJ_SK_SL_EUlSY_E1_NS1_11comp_targetILNS1_3genE10ELNS1_11target_archE1201ELNS1_3gpuE5ELNS1_3repE0EEENS1_36merge_oddeven_config_static_selectorELNS0_4arch9wavefront6targetE1EEEvSK_.kd
    .uniform_work_group_size: 1
    .uses_dynamic_stack: false
    .vgpr_count:     0
    .vgpr_spill_count: 0
    .wavefront_size: 64
  - .agpr_count:     0
    .args:
      - .offset:         0
        .size:           56
        .value_kind:     by_value
    .group_segment_fixed_size: 0
    .kernarg_segment_align: 8
    .kernarg_segment_size: 56
    .language:       OpenCL C
    .language_version:
      - 2
      - 0
    .max_flat_workgroup_size: 256
    .name:           _ZN7rocprim17ROCPRIM_400000_NS6detail17trampoline_kernelINS0_14default_configENS1_38merge_sort_block_merge_config_selectorIxNS0_10empty_typeEEEZZNS1_27merge_sort_block_merge_implIS3_N6thrust23THRUST_200600_302600_NS6detail15normal_iteratorINS9_10device_ptrIxEEEEPS5_m14custom_greaterIxEEE10hipError_tT0_T1_T2_jT3_P12ihipStream_tbPNSt15iterator_traitsISJ_E10value_typeEPNSP_ISK_E10value_typeEPSL_NS1_7vsmem_tEENKUlT_SJ_SK_SL_E_clIPxSE_SF_SF_EESI_SY_SJ_SK_SL_EUlSY_E1_NS1_11comp_targetILNS1_3genE5ELNS1_11target_archE942ELNS1_3gpuE9ELNS1_3repE0EEENS1_36merge_oddeven_config_static_selectorELNS0_4arch9wavefront6targetE1EEEvSK_
    .private_segment_fixed_size: 0
    .sgpr_count:     4
    .sgpr_spill_count: 0
    .symbol:         _ZN7rocprim17ROCPRIM_400000_NS6detail17trampoline_kernelINS0_14default_configENS1_38merge_sort_block_merge_config_selectorIxNS0_10empty_typeEEEZZNS1_27merge_sort_block_merge_implIS3_N6thrust23THRUST_200600_302600_NS6detail15normal_iteratorINS9_10device_ptrIxEEEEPS5_m14custom_greaterIxEEE10hipError_tT0_T1_T2_jT3_P12ihipStream_tbPNSt15iterator_traitsISJ_E10value_typeEPNSP_ISK_E10value_typeEPSL_NS1_7vsmem_tEENKUlT_SJ_SK_SL_E_clIPxSE_SF_SF_EESI_SY_SJ_SK_SL_EUlSY_E1_NS1_11comp_targetILNS1_3genE5ELNS1_11target_archE942ELNS1_3gpuE9ELNS1_3repE0EEENS1_36merge_oddeven_config_static_selectorELNS0_4arch9wavefront6targetE1EEEvSK_.kd
    .uniform_work_group_size: 1
    .uses_dynamic_stack: false
    .vgpr_count:     0
    .vgpr_spill_count: 0
    .wavefront_size: 64
  - .agpr_count:     0
    .args:
      - .offset:         0
        .size:           56
        .value_kind:     by_value
    .group_segment_fixed_size: 0
    .kernarg_segment_align: 8
    .kernarg_segment_size: 56
    .language:       OpenCL C
    .language_version:
      - 2
      - 0
    .max_flat_workgroup_size: 256
    .name:           _ZN7rocprim17ROCPRIM_400000_NS6detail17trampoline_kernelINS0_14default_configENS1_38merge_sort_block_merge_config_selectorIxNS0_10empty_typeEEEZZNS1_27merge_sort_block_merge_implIS3_N6thrust23THRUST_200600_302600_NS6detail15normal_iteratorINS9_10device_ptrIxEEEEPS5_m14custom_greaterIxEEE10hipError_tT0_T1_T2_jT3_P12ihipStream_tbPNSt15iterator_traitsISJ_E10value_typeEPNSP_ISK_E10value_typeEPSL_NS1_7vsmem_tEENKUlT_SJ_SK_SL_E_clIPxSE_SF_SF_EESI_SY_SJ_SK_SL_EUlSY_E1_NS1_11comp_targetILNS1_3genE4ELNS1_11target_archE910ELNS1_3gpuE8ELNS1_3repE0EEENS1_36merge_oddeven_config_static_selectorELNS0_4arch9wavefront6targetE1EEEvSK_
    .private_segment_fixed_size: 0
    .sgpr_count:     25
    .sgpr_spill_count: 0
    .symbol:         _ZN7rocprim17ROCPRIM_400000_NS6detail17trampoline_kernelINS0_14default_configENS1_38merge_sort_block_merge_config_selectorIxNS0_10empty_typeEEEZZNS1_27merge_sort_block_merge_implIS3_N6thrust23THRUST_200600_302600_NS6detail15normal_iteratorINS9_10device_ptrIxEEEEPS5_m14custom_greaterIxEEE10hipError_tT0_T1_T2_jT3_P12ihipStream_tbPNSt15iterator_traitsISJ_E10value_typeEPNSP_ISK_E10value_typeEPSL_NS1_7vsmem_tEENKUlT_SJ_SK_SL_E_clIPxSE_SF_SF_EESI_SY_SJ_SK_SL_EUlSY_E1_NS1_11comp_targetILNS1_3genE4ELNS1_11target_archE910ELNS1_3gpuE8ELNS1_3repE0EEENS1_36merge_oddeven_config_static_selectorELNS0_4arch9wavefront6targetE1EEEvSK_.kd
    .uniform_work_group_size: 1
    .uses_dynamic_stack: false
    .vgpr_count:     12
    .vgpr_spill_count: 0
    .wavefront_size: 64
  - .agpr_count:     0
    .args:
      - .offset:         0
        .size:           56
        .value_kind:     by_value
    .group_segment_fixed_size: 0
    .kernarg_segment_align: 8
    .kernarg_segment_size: 56
    .language:       OpenCL C
    .language_version:
      - 2
      - 0
    .max_flat_workgroup_size: 256
    .name:           _ZN7rocprim17ROCPRIM_400000_NS6detail17trampoline_kernelINS0_14default_configENS1_38merge_sort_block_merge_config_selectorIxNS0_10empty_typeEEEZZNS1_27merge_sort_block_merge_implIS3_N6thrust23THRUST_200600_302600_NS6detail15normal_iteratorINS9_10device_ptrIxEEEEPS5_m14custom_greaterIxEEE10hipError_tT0_T1_T2_jT3_P12ihipStream_tbPNSt15iterator_traitsISJ_E10value_typeEPNSP_ISK_E10value_typeEPSL_NS1_7vsmem_tEENKUlT_SJ_SK_SL_E_clIPxSE_SF_SF_EESI_SY_SJ_SK_SL_EUlSY_E1_NS1_11comp_targetILNS1_3genE3ELNS1_11target_archE908ELNS1_3gpuE7ELNS1_3repE0EEENS1_36merge_oddeven_config_static_selectorELNS0_4arch9wavefront6targetE1EEEvSK_
    .private_segment_fixed_size: 0
    .sgpr_count:     4
    .sgpr_spill_count: 0
    .symbol:         _ZN7rocprim17ROCPRIM_400000_NS6detail17trampoline_kernelINS0_14default_configENS1_38merge_sort_block_merge_config_selectorIxNS0_10empty_typeEEEZZNS1_27merge_sort_block_merge_implIS3_N6thrust23THRUST_200600_302600_NS6detail15normal_iteratorINS9_10device_ptrIxEEEEPS5_m14custom_greaterIxEEE10hipError_tT0_T1_T2_jT3_P12ihipStream_tbPNSt15iterator_traitsISJ_E10value_typeEPNSP_ISK_E10value_typeEPSL_NS1_7vsmem_tEENKUlT_SJ_SK_SL_E_clIPxSE_SF_SF_EESI_SY_SJ_SK_SL_EUlSY_E1_NS1_11comp_targetILNS1_3genE3ELNS1_11target_archE908ELNS1_3gpuE7ELNS1_3repE0EEENS1_36merge_oddeven_config_static_selectorELNS0_4arch9wavefront6targetE1EEEvSK_.kd
    .uniform_work_group_size: 1
    .uses_dynamic_stack: false
    .vgpr_count:     0
    .vgpr_spill_count: 0
    .wavefront_size: 64
  - .agpr_count:     0
    .args:
      - .offset:         0
        .size:           56
        .value_kind:     by_value
    .group_segment_fixed_size: 0
    .kernarg_segment_align: 8
    .kernarg_segment_size: 56
    .language:       OpenCL C
    .language_version:
      - 2
      - 0
    .max_flat_workgroup_size: 256
    .name:           _ZN7rocprim17ROCPRIM_400000_NS6detail17trampoline_kernelINS0_14default_configENS1_38merge_sort_block_merge_config_selectorIxNS0_10empty_typeEEEZZNS1_27merge_sort_block_merge_implIS3_N6thrust23THRUST_200600_302600_NS6detail15normal_iteratorINS9_10device_ptrIxEEEEPS5_m14custom_greaterIxEEE10hipError_tT0_T1_T2_jT3_P12ihipStream_tbPNSt15iterator_traitsISJ_E10value_typeEPNSP_ISK_E10value_typeEPSL_NS1_7vsmem_tEENKUlT_SJ_SK_SL_E_clIPxSE_SF_SF_EESI_SY_SJ_SK_SL_EUlSY_E1_NS1_11comp_targetILNS1_3genE2ELNS1_11target_archE906ELNS1_3gpuE6ELNS1_3repE0EEENS1_36merge_oddeven_config_static_selectorELNS0_4arch9wavefront6targetE1EEEvSK_
    .private_segment_fixed_size: 0
    .sgpr_count:     4
    .sgpr_spill_count: 0
    .symbol:         _ZN7rocprim17ROCPRIM_400000_NS6detail17trampoline_kernelINS0_14default_configENS1_38merge_sort_block_merge_config_selectorIxNS0_10empty_typeEEEZZNS1_27merge_sort_block_merge_implIS3_N6thrust23THRUST_200600_302600_NS6detail15normal_iteratorINS9_10device_ptrIxEEEEPS5_m14custom_greaterIxEEE10hipError_tT0_T1_T2_jT3_P12ihipStream_tbPNSt15iterator_traitsISJ_E10value_typeEPNSP_ISK_E10value_typeEPSL_NS1_7vsmem_tEENKUlT_SJ_SK_SL_E_clIPxSE_SF_SF_EESI_SY_SJ_SK_SL_EUlSY_E1_NS1_11comp_targetILNS1_3genE2ELNS1_11target_archE906ELNS1_3gpuE6ELNS1_3repE0EEENS1_36merge_oddeven_config_static_selectorELNS0_4arch9wavefront6targetE1EEEvSK_.kd
    .uniform_work_group_size: 1
    .uses_dynamic_stack: false
    .vgpr_count:     0
    .vgpr_spill_count: 0
    .wavefront_size: 64
  - .agpr_count:     0
    .args:
      - .offset:         0
        .size:           56
        .value_kind:     by_value
    .group_segment_fixed_size: 0
    .kernarg_segment_align: 8
    .kernarg_segment_size: 56
    .language:       OpenCL C
    .language_version:
      - 2
      - 0
    .max_flat_workgroup_size: 256
    .name:           _ZN7rocprim17ROCPRIM_400000_NS6detail17trampoline_kernelINS0_14default_configENS1_38merge_sort_block_merge_config_selectorIxNS0_10empty_typeEEEZZNS1_27merge_sort_block_merge_implIS3_N6thrust23THRUST_200600_302600_NS6detail15normal_iteratorINS9_10device_ptrIxEEEEPS5_m14custom_greaterIxEEE10hipError_tT0_T1_T2_jT3_P12ihipStream_tbPNSt15iterator_traitsISJ_E10value_typeEPNSP_ISK_E10value_typeEPSL_NS1_7vsmem_tEENKUlT_SJ_SK_SL_E_clIPxSE_SF_SF_EESI_SY_SJ_SK_SL_EUlSY_E1_NS1_11comp_targetILNS1_3genE9ELNS1_11target_archE1100ELNS1_3gpuE3ELNS1_3repE0EEENS1_36merge_oddeven_config_static_selectorELNS0_4arch9wavefront6targetE1EEEvSK_
    .private_segment_fixed_size: 0
    .sgpr_count:     4
    .sgpr_spill_count: 0
    .symbol:         _ZN7rocprim17ROCPRIM_400000_NS6detail17trampoline_kernelINS0_14default_configENS1_38merge_sort_block_merge_config_selectorIxNS0_10empty_typeEEEZZNS1_27merge_sort_block_merge_implIS3_N6thrust23THRUST_200600_302600_NS6detail15normal_iteratorINS9_10device_ptrIxEEEEPS5_m14custom_greaterIxEEE10hipError_tT0_T1_T2_jT3_P12ihipStream_tbPNSt15iterator_traitsISJ_E10value_typeEPNSP_ISK_E10value_typeEPSL_NS1_7vsmem_tEENKUlT_SJ_SK_SL_E_clIPxSE_SF_SF_EESI_SY_SJ_SK_SL_EUlSY_E1_NS1_11comp_targetILNS1_3genE9ELNS1_11target_archE1100ELNS1_3gpuE3ELNS1_3repE0EEENS1_36merge_oddeven_config_static_selectorELNS0_4arch9wavefront6targetE1EEEvSK_.kd
    .uniform_work_group_size: 1
    .uses_dynamic_stack: false
    .vgpr_count:     0
    .vgpr_spill_count: 0
    .wavefront_size: 64
  - .agpr_count:     0
    .args:
      - .offset:         0
        .size:           56
        .value_kind:     by_value
    .group_segment_fixed_size: 0
    .kernarg_segment_align: 8
    .kernarg_segment_size: 56
    .language:       OpenCL C
    .language_version:
      - 2
      - 0
    .max_flat_workgroup_size: 256
    .name:           _ZN7rocprim17ROCPRIM_400000_NS6detail17trampoline_kernelINS0_14default_configENS1_38merge_sort_block_merge_config_selectorIxNS0_10empty_typeEEEZZNS1_27merge_sort_block_merge_implIS3_N6thrust23THRUST_200600_302600_NS6detail15normal_iteratorINS9_10device_ptrIxEEEEPS5_m14custom_greaterIxEEE10hipError_tT0_T1_T2_jT3_P12ihipStream_tbPNSt15iterator_traitsISJ_E10value_typeEPNSP_ISK_E10value_typeEPSL_NS1_7vsmem_tEENKUlT_SJ_SK_SL_E_clIPxSE_SF_SF_EESI_SY_SJ_SK_SL_EUlSY_E1_NS1_11comp_targetILNS1_3genE8ELNS1_11target_archE1030ELNS1_3gpuE2ELNS1_3repE0EEENS1_36merge_oddeven_config_static_selectorELNS0_4arch9wavefront6targetE1EEEvSK_
    .private_segment_fixed_size: 0
    .sgpr_count:     4
    .sgpr_spill_count: 0
    .symbol:         _ZN7rocprim17ROCPRIM_400000_NS6detail17trampoline_kernelINS0_14default_configENS1_38merge_sort_block_merge_config_selectorIxNS0_10empty_typeEEEZZNS1_27merge_sort_block_merge_implIS3_N6thrust23THRUST_200600_302600_NS6detail15normal_iteratorINS9_10device_ptrIxEEEEPS5_m14custom_greaterIxEEE10hipError_tT0_T1_T2_jT3_P12ihipStream_tbPNSt15iterator_traitsISJ_E10value_typeEPNSP_ISK_E10value_typeEPSL_NS1_7vsmem_tEENKUlT_SJ_SK_SL_E_clIPxSE_SF_SF_EESI_SY_SJ_SK_SL_EUlSY_E1_NS1_11comp_targetILNS1_3genE8ELNS1_11target_archE1030ELNS1_3gpuE2ELNS1_3repE0EEENS1_36merge_oddeven_config_static_selectorELNS0_4arch9wavefront6targetE1EEEvSK_.kd
    .uniform_work_group_size: 1
    .uses_dynamic_stack: false
    .vgpr_count:     0
    .vgpr_spill_count: 0
    .wavefront_size: 64
  - .agpr_count:     0
    .args:
      - .offset:         0
        .size:           48
        .value_kind:     by_value
    .group_segment_fixed_size: 0
    .kernarg_segment_align: 8
    .kernarg_segment_size: 48
    .language:       OpenCL C
    .language_version:
      - 2
      - 0
    .max_flat_workgroup_size: 128
    .name:           _ZN7rocprim17ROCPRIM_400000_NS6detail17trampoline_kernelINS0_14default_configENS1_38merge_sort_block_merge_config_selectorIxNS0_10empty_typeEEEZZNS1_27merge_sort_block_merge_implIS3_N6thrust23THRUST_200600_302600_NS6detail15normal_iteratorINS9_10device_ptrIxEEEEPS5_m14custom_greaterIxEEE10hipError_tT0_T1_T2_jT3_P12ihipStream_tbPNSt15iterator_traitsISJ_E10value_typeEPNSP_ISK_E10value_typeEPSL_NS1_7vsmem_tEENKUlT_SJ_SK_SL_E_clISE_PxSF_SF_EESI_SY_SJ_SK_SL_EUlSY_E_NS1_11comp_targetILNS1_3genE0ELNS1_11target_archE4294967295ELNS1_3gpuE0ELNS1_3repE0EEENS1_48merge_mergepath_partition_config_static_selectorELNS0_4arch9wavefront6targetE1EEEvSK_
    .private_segment_fixed_size: 0
    .sgpr_count:     4
    .sgpr_spill_count: 0
    .symbol:         _ZN7rocprim17ROCPRIM_400000_NS6detail17trampoline_kernelINS0_14default_configENS1_38merge_sort_block_merge_config_selectorIxNS0_10empty_typeEEEZZNS1_27merge_sort_block_merge_implIS3_N6thrust23THRUST_200600_302600_NS6detail15normal_iteratorINS9_10device_ptrIxEEEEPS5_m14custom_greaterIxEEE10hipError_tT0_T1_T2_jT3_P12ihipStream_tbPNSt15iterator_traitsISJ_E10value_typeEPNSP_ISK_E10value_typeEPSL_NS1_7vsmem_tEENKUlT_SJ_SK_SL_E_clISE_PxSF_SF_EESI_SY_SJ_SK_SL_EUlSY_E_NS1_11comp_targetILNS1_3genE0ELNS1_11target_archE4294967295ELNS1_3gpuE0ELNS1_3repE0EEENS1_48merge_mergepath_partition_config_static_selectorELNS0_4arch9wavefront6targetE1EEEvSK_.kd
    .uniform_work_group_size: 1
    .uses_dynamic_stack: false
    .vgpr_count:     0
    .vgpr_spill_count: 0
    .wavefront_size: 64
  - .agpr_count:     0
    .args:
      - .offset:         0
        .size:           48
        .value_kind:     by_value
    .group_segment_fixed_size: 0
    .kernarg_segment_align: 8
    .kernarg_segment_size: 48
    .language:       OpenCL C
    .language_version:
      - 2
      - 0
    .max_flat_workgroup_size: 128
    .name:           _ZN7rocprim17ROCPRIM_400000_NS6detail17trampoline_kernelINS0_14default_configENS1_38merge_sort_block_merge_config_selectorIxNS0_10empty_typeEEEZZNS1_27merge_sort_block_merge_implIS3_N6thrust23THRUST_200600_302600_NS6detail15normal_iteratorINS9_10device_ptrIxEEEEPS5_m14custom_greaterIxEEE10hipError_tT0_T1_T2_jT3_P12ihipStream_tbPNSt15iterator_traitsISJ_E10value_typeEPNSP_ISK_E10value_typeEPSL_NS1_7vsmem_tEENKUlT_SJ_SK_SL_E_clISE_PxSF_SF_EESI_SY_SJ_SK_SL_EUlSY_E_NS1_11comp_targetILNS1_3genE10ELNS1_11target_archE1201ELNS1_3gpuE5ELNS1_3repE0EEENS1_48merge_mergepath_partition_config_static_selectorELNS0_4arch9wavefront6targetE1EEEvSK_
    .private_segment_fixed_size: 0
    .sgpr_count:     4
    .sgpr_spill_count: 0
    .symbol:         _ZN7rocprim17ROCPRIM_400000_NS6detail17trampoline_kernelINS0_14default_configENS1_38merge_sort_block_merge_config_selectorIxNS0_10empty_typeEEEZZNS1_27merge_sort_block_merge_implIS3_N6thrust23THRUST_200600_302600_NS6detail15normal_iteratorINS9_10device_ptrIxEEEEPS5_m14custom_greaterIxEEE10hipError_tT0_T1_T2_jT3_P12ihipStream_tbPNSt15iterator_traitsISJ_E10value_typeEPNSP_ISK_E10value_typeEPSL_NS1_7vsmem_tEENKUlT_SJ_SK_SL_E_clISE_PxSF_SF_EESI_SY_SJ_SK_SL_EUlSY_E_NS1_11comp_targetILNS1_3genE10ELNS1_11target_archE1201ELNS1_3gpuE5ELNS1_3repE0EEENS1_48merge_mergepath_partition_config_static_selectorELNS0_4arch9wavefront6targetE1EEEvSK_.kd
    .uniform_work_group_size: 1
    .uses_dynamic_stack: false
    .vgpr_count:     0
    .vgpr_spill_count: 0
    .wavefront_size: 64
  - .agpr_count:     0
    .args:
      - .offset:         0
        .size:           48
        .value_kind:     by_value
    .group_segment_fixed_size: 0
    .kernarg_segment_align: 8
    .kernarg_segment_size: 48
    .language:       OpenCL C
    .language_version:
      - 2
      - 0
    .max_flat_workgroup_size: 128
    .name:           _ZN7rocprim17ROCPRIM_400000_NS6detail17trampoline_kernelINS0_14default_configENS1_38merge_sort_block_merge_config_selectorIxNS0_10empty_typeEEEZZNS1_27merge_sort_block_merge_implIS3_N6thrust23THRUST_200600_302600_NS6detail15normal_iteratorINS9_10device_ptrIxEEEEPS5_m14custom_greaterIxEEE10hipError_tT0_T1_T2_jT3_P12ihipStream_tbPNSt15iterator_traitsISJ_E10value_typeEPNSP_ISK_E10value_typeEPSL_NS1_7vsmem_tEENKUlT_SJ_SK_SL_E_clISE_PxSF_SF_EESI_SY_SJ_SK_SL_EUlSY_E_NS1_11comp_targetILNS1_3genE5ELNS1_11target_archE942ELNS1_3gpuE9ELNS1_3repE0EEENS1_48merge_mergepath_partition_config_static_selectorELNS0_4arch9wavefront6targetE1EEEvSK_
    .private_segment_fixed_size: 0
    .sgpr_count:     4
    .sgpr_spill_count: 0
    .symbol:         _ZN7rocprim17ROCPRIM_400000_NS6detail17trampoline_kernelINS0_14default_configENS1_38merge_sort_block_merge_config_selectorIxNS0_10empty_typeEEEZZNS1_27merge_sort_block_merge_implIS3_N6thrust23THRUST_200600_302600_NS6detail15normal_iteratorINS9_10device_ptrIxEEEEPS5_m14custom_greaterIxEEE10hipError_tT0_T1_T2_jT3_P12ihipStream_tbPNSt15iterator_traitsISJ_E10value_typeEPNSP_ISK_E10value_typeEPSL_NS1_7vsmem_tEENKUlT_SJ_SK_SL_E_clISE_PxSF_SF_EESI_SY_SJ_SK_SL_EUlSY_E_NS1_11comp_targetILNS1_3genE5ELNS1_11target_archE942ELNS1_3gpuE9ELNS1_3repE0EEENS1_48merge_mergepath_partition_config_static_selectorELNS0_4arch9wavefront6targetE1EEEvSK_.kd
    .uniform_work_group_size: 1
    .uses_dynamic_stack: false
    .vgpr_count:     0
    .vgpr_spill_count: 0
    .wavefront_size: 64
  - .agpr_count:     0
    .args:
      - .offset:         0
        .size:           48
        .value_kind:     by_value
    .group_segment_fixed_size: 0
    .kernarg_segment_align: 8
    .kernarg_segment_size: 48
    .language:       OpenCL C
    .language_version:
      - 2
      - 0
    .max_flat_workgroup_size: 128
    .name:           _ZN7rocprim17ROCPRIM_400000_NS6detail17trampoline_kernelINS0_14default_configENS1_38merge_sort_block_merge_config_selectorIxNS0_10empty_typeEEEZZNS1_27merge_sort_block_merge_implIS3_N6thrust23THRUST_200600_302600_NS6detail15normal_iteratorINS9_10device_ptrIxEEEEPS5_m14custom_greaterIxEEE10hipError_tT0_T1_T2_jT3_P12ihipStream_tbPNSt15iterator_traitsISJ_E10value_typeEPNSP_ISK_E10value_typeEPSL_NS1_7vsmem_tEENKUlT_SJ_SK_SL_E_clISE_PxSF_SF_EESI_SY_SJ_SK_SL_EUlSY_E_NS1_11comp_targetILNS1_3genE4ELNS1_11target_archE910ELNS1_3gpuE8ELNS1_3repE0EEENS1_48merge_mergepath_partition_config_static_selectorELNS0_4arch9wavefront6targetE1EEEvSK_
    .private_segment_fixed_size: 0
    .sgpr_count:     12
    .sgpr_spill_count: 0
    .symbol:         _ZN7rocprim17ROCPRIM_400000_NS6detail17trampoline_kernelINS0_14default_configENS1_38merge_sort_block_merge_config_selectorIxNS0_10empty_typeEEEZZNS1_27merge_sort_block_merge_implIS3_N6thrust23THRUST_200600_302600_NS6detail15normal_iteratorINS9_10device_ptrIxEEEEPS5_m14custom_greaterIxEEE10hipError_tT0_T1_T2_jT3_P12ihipStream_tbPNSt15iterator_traitsISJ_E10value_typeEPNSP_ISK_E10value_typeEPSL_NS1_7vsmem_tEENKUlT_SJ_SK_SL_E_clISE_PxSF_SF_EESI_SY_SJ_SK_SL_EUlSY_E_NS1_11comp_targetILNS1_3genE4ELNS1_11target_archE910ELNS1_3gpuE8ELNS1_3repE0EEENS1_48merge_mergepath_partition_config_static_selectorELNS0_4arch9wavefront6targetE1EEEvSK_.kd
    .uniform_work_group_size: 1
    .uses_dynamic_stack: false
    .vgpr_count:     22
    .vgpr_spill_count: 0
    .wavefront_size: 64
  - .agpr_count:     0
    .args:
      - .offset:         0
        .size:           48
        .value_kind:     by_value
    .group_segment_fixed_size: 0
    .kernarg_segment_align: 8
    .kernarg_segment_size: 48
    .language:       OpenCL C
    .language_version:
      - 2
      - 0
    .max_flat_workgroup_size: 128
    .name:           _ZN7rocprim17ROCPRIM_400000_NS6detail17trampoline_kernelINS0_14default_configENS1_38merge_sort_block_merge_config_selectorIxNS0_10empty_typeEEEZZNS1_27merge_sort_block_merge_implIS3_N6thrust23THRUST_200600_302600_NS6detail15normal_iteratorINS9_10device_ptrIxEEEEPS5_m14custom_greaterIxEEE10hipError_tT0_T1_T2_jT3_P12ihipStream_tbPNSt15iterator_traitsISJ_E10value_typeEPNSP_ISK_E10value_typeEPSL_NS1_7vsmem_tEENKUlT_SJ_SK_SL_E_clISE_PxSF_SF_EESI_SY_SJ_SK_SL_EUlSY_E_NS1_11comp_targetILNS1_3genE3ELNS1_11target_archE908ELNS1_3gpuE7ELNS1_3repE0EEENS1_48merge_mergepath_partition_config_static_selectorELNS0_4arch9wavefront6targetE1EEEvSK_
    .private_segment_fixed_size: 0
    .sgpr_count:     4
    .sgpr_spill_count: 0
    .symbol:         _ZN7rocprim17ROCPRIM_400000_NS6detail17trampoline_kernelINS0_14default_configENS1_38merge_sort_block_merge_config_selectorIxNS0_10empty_typeEEEZZNS1_27merge_sort_block_merge_implIS3_N6thrust23THRUST_200600_302600_NS6detail15normal_iteratorINS9_10device_ptrIxEEEEPS5_m14custom_greaterIxEEE10hipError_tT0_T1_T2_jT3_P12ihipStream_tbPNSt15iterator_traitsISJ_E10value_typeEPNSP_ISK_E10value_typeEPSL_NS1_7vsmem_tEENKUlT_SJ_SK_SL_E_clISE_PxSF_SF_EESI_SY_SJ_SK_SL_EUlSY_E_NS1_11comp_targetILNS1_3genE3ELNS1_11target_archE908ELNS1_3gpuE7ELNS1_3repE0EEENS1_48merge_mergepath_partition_config_static_selectorELNS0_4arch9wavefront6targetE1EEEvSK_.kd
    .uniform_work_group_size: 1
    .uses_dynamic_stack: false
    .vgpr_count:     0
    .vgpr_spill_count: 0
    .wavefront_size: 64
  - .agpr_count:     0
    .args:
      - .offset:         0
        .size:           48
        .value_kind:     by_value
    .group_segment_fixed_size: 0
    .kernarg_segment_align: 8
    .kernarg_segment_size: 48
    .language:       OpenCL C
    .language_version:
      - 2
      - 0
    .max_flat_workgroup_size: 128
    .name:           _ZN7rocprim17ROCPRIM_400000_NS6detail17trampoline_kernelINS0_14default_configENS1_38merge_sort_block_merge_config_selectorIxNS0_10empty_typeEEEZZNS1_27merge_sort_block_merge_implIS3_N6thrust23THRUST_200600_302600_NS6detail15normal_iteratorINS9_10device_ptrIxEEEEPS5_m14custom_greaterIxEEE10hipError_tT0_T1_T2_jT3_P12ihipStream_tbPNSt15iterator_traitsISJ_E10value_typeEPNSP_ISK_E10value_typeEPSL_NS1_7vsmem_tEENKUlT_SJ_SK_SL_E_clISE_PxSF_SF_EESI_SY_SJ_SK_SL_EUlSY_E_NS1_11comp_targetILNS1_3genE2ELNS1_11target_archE906ELNS1_3gpuE6ELNS1_3repE0EEENS1_48merge_mergepath_partition_config_static_selectorELNS0_4arch9wavefront6targetE1EEEvSK_
    .private_segment_fixed_size: 0
    .sgpr_count:     4
    .sgpr_spill_count: 0
    .symbol:         _ZN7rocprim17ROCPRIM_400000_NS6detail17trampoline_kernelINS0_14default_configENS1_38merge_sort_block_merge_config_selectorIxNS0_10empty_typeEEEZZNS1_27merge_sort_block_merge_implIS3_N6thrust23THRUST_200600_302600_NS6detail15normal_iteratorINS9_10device_ptrIxEEEEPS5_m14custom_greaterIxEEE10hipError_tT0_T1_T2_jT3_P12ihipStream_tbPNSt15iterator_traitsISJ_E10value_typeEPNSP_ISK_E10value_typeEPSL_NS1_7vsmem_tEENKUlT_SJ_SK_SL_E_clISE_PxSF_SF_EESI_SY_SJ_SK_SL_EUlSY_E_NS1_11comp_targetILNS1_3genE2ELNS1_11target_archE906ELNS1_3gpuE6ELNS1_3repE0EEENS1_48merge_mergepath_partition_config_static_selectorELNS0_4arch9wavefront6targetE1EEEvSK_.kd
    .uniform_work_group_size: 1
    .uses_dynamic_stack: false
    .vgpr_count:     0
    .vgpr_spill_count: 0
    .wavefront_size: 64
  - .agpr_count:     0
    .args:
      - .offset:         0
        .size:           48
        .value_kind:     by_value
    .group_segment_fixed_size: 0
    .kernarg_segment_align: 8
    .kernarg_segment_size: 48
    .language:       OpenCL C
    .language_version:
      - 2
      - 0
    .max_flat_workgroup_size: 128
    .name:           _ZN7rocprim17ROCPRIM_400000_NS6detail17trampoline_kernelINS0_14default_configENS1_38merge_sort_block_merge_config_selectorIxNS0_10empty_typeEEEZZNS1_27merge_sort_block_merge_implIS3_N6thrust23THRUST_200600_302600_NS6detail15normal_iteratorINS9_10device_ptrIxEEEEPS5_m14custom_greaterIxEEE10hipError_tT0_T1_T2_jT3_P12ihipStream_tbPNSt15iterator_traitsISJ_E10value_typeEPNSP_ISK_E10value_typeEPSL_NS1_7vsmem_tEENKUlT_SJ_SK_SL_E_clISE_PxSF_SF_EESI_SY_SJ_SK_SL_EUlSY_E_NS1_11comp_targetILNS1_3genE9ELNS1_11target_archE1100ELNS1_3gpuE3ELNS1_3repE0EEENS1_48merge_mergepath_partition_config_static_selectorELNS0_4arch9wavefront6targetE1EEEvSK_
    .private_segment_fixed_size: 0
    .sgpr_count:     4
    .sgpr_spill_count: 0
    .symbol:         _ZN7rocprim17ROCPRIM_400000_NS6detail17trampoline_kernelINS0_14default_configENS1_38merge_sort_block_merge_config_selectorIxNS0_10empty_typeEEEZZNS1_27merge_sort_block_merge_implIS3_N6thrust23THRUST_200600_302600_NS6detail15normal_iteratorINS9_10device_ptrIxEEEEPS5_m14custom_greaterIxEEE10hipError_tT0_T1_T2_jT3_P12ihipStream_tbPNSt15iterator_traitsISJ_E10value_typeEPNSP_ISK_E10value_typeEPSL_NS1_7vsmem_tEENKUlT_SJ_SK_SL_E_clISE_PxSF_SF_EESI_SY_SJ_SK_SL_EUlSY_E_NS1_11comp_targetILNS1_3genE9ELNS1_11target_archE1100ELNS1_3gpuE3ELNS1_3repE0EEENS1_48merge_mergepath_partition_config_static_selectorELNS0_4arch9wavefront6targetE1EEEvSK_.kd
    .uniform_work_group_size: 1
    .uses_dynamic_stack: false
    .vgpr_count:     0
    .vgpr_spill_count: 0
    .wavefront_size: 64
  - .agpr_count:     0
    .args:
      - .offset:         0
        .size:           48
        .value_kind:     by_value
    .group_segment_fixed_size: 0
    .kernarg_segment_align: 8
    .kernarg_segment_size: 48
    .language:       OpenCL C
    .language_version:
      - 2
      - 0
    .max_flat_workgroup_size: 128
    .name:           _ZN7rocprim17ROCPRIM_400000_NS6detail17trampoline_kernelINS0_14default_configENS1_38merge_sort_block_merge_config_selectorIxNS0_10empty_typeEEEZZNS1_27merge_sort_block_merge_implIS3_N6thrust23THRUST_200600_302600_NS6detail15normal_iteratorINS9_10device_ptrIxEEEEPS5_m14custom_greaterIxEEE10hipError_tT0_T1_T2_jT3_P12ihipStream_tbPNSt15iterator_traitsISJ_E10value_typeEPNSP_ISK_E10value_typeEPSL_NS1_7vsmem_tEENKUlT_SJ_SK_SL_E_clISE_PxSF_SF_EESI_SY_SJ_SK_SL_EUlSY_E_NS1_11comp_targetILNS1_3genE8ELNS1_11target_archE1030ELNS1_3gpuE2ELNS1_3repE0EEENS1_48merge_mergepath_partition_config_static_selectorELNS0_4arch9wavefront6targetE1EEEvSK_
    .private_segment_fixed_size: 0
    .sgpr_count:     4
    .sgpr_spill_count: 0
    .symbol:         _ZN7rocprim17ROCPRIM_400000_NS6detail17trampoline_kernelINS0_14default_configENS1_38merge_sort_block_merge_config_selectorIxNS0_10empty_typeEEEZZNS1_27merge_sort_block_merge_implIS3_N6thrust23THRUST_200600_302600_NS6detail15normal_iteratorINS9_10device_ptrIxEEEEPS5_m14custom_greaterIxEEE10hipError_tT0_T1_T2_jT3_P12ihipStream_tbPNSt15iterator_traitsISJ_E10value_typeEPNSP_ISK_E10value_typeEPSL_NS1_7vsmem_tEENKUlT_SJ_SK_SL_E_clISE_PxSF_SF_EESI_SY_SJ_SK_SL_EUlSY_E_NS1_11comp_targetILNS1_3genE8ELNS1_11target_archE1030ELNS1_3gpuE2ELNS1_3repE0EEENS1_48merge_mergepath_partition_config_static_selectorELNS0_4arch9wavefront6targetE1EEEvSK_.kd
    .uniform_work_group_size: 1
    .uses_dynamic_stack: false
    .vgpr_count:     0
    .vgpr_spill_count: 0
    .wavefront_size: 64
  - .agpr_count:     0
    .args:
      - .offset:         0
        .size:           72
        .value_kind:     by_value
    .group_segment_fixed_size: 0
    .kernarg_segment_align: 8
    .kernarg_segment_size: 72
    .language:       OpenCL C
    .language_version:
      - 2
      - 0
    .max_flat_workgroup_size: 128
    .name:           _ZN7rocprim17ROCPRIM_400000_NS6detail17trampoline_kernelINS0_14default_configENS1_38merge_sort_block_merge_config_selectorIxNS0_10empty_typeEEEZZNS1_27merge_sort_block_merge_implIS3_N6thrust23THRUST_200600_302600_NS6detail15normal_iteratorINS9_10device_ptrIxEEEEPS5_m14custom_greaterIxEEE10hipError_tT0_T1_T2_jT3_P12ihipStream_tbPNSt15iterator_traitsISJ_E10value_typeEPNSP_ISK_E10value_typeEPSL_NS1_7vsmem_tEENKUlT_SJ_SK_SL_E_clISE_PxSF_SF_EESI_SY_SJ_SK_SL_EUlSY_E0_NS1_11comp_targetILNS1_3genE0ELNS1_11target_archE4294967295ELNS1_3gpuE0ELNS1_3repE0EEENS1_38merge_mergepath_config_static_selectorELNS0_4arch9wavefront6targetE1EEEvSK_
    .private_segment_fixed_size: 0
    .sgpr_count:     4
    .sgpr_spill_count: 0
    .symbol:         _ZN7rocprim17ROCPRIM_400000_NS6detail17trampoline_kernelINS0_14default_configENS1_38merge_sort_block_merge_config_selectorIxNS0_10empty_typeEEEZZNS1_27merge_sort_block_merge_implIS3_N6thrust23THRUST_200600_302600_NS6detail15normal_iteratorINS9_10device_ptrIxEEEEPS5_m14custom_greaterIxEEE10hipError_tT0_T1_T2_jT3_P12ihipStream_tbPNSt15iterator_traitsISJ_E10value_typeEPNSP_ISK_E10value_typeEPSL_NS1_7vsmem_tEENKUlT_SJ_SK_SL_E_clISE_PxSF_SF_EESI_SY_SJ_SK_SL_EUlSY_E0_NS1_11comp_targetILNS1_3genE0ELNS1_11target_archE4294967295ELNS1_3gpuE0ELNS1_3repE0EEENS1_38merge_mergepath_config_static_selectorELNS0_4arch9wavefront6targetE1EEEvSK_.kd
    .uniform_work_group_size: 1
    .uses_dynamic_stack: false
    .vgpr_count:     0
    .vgpr_spill_count: 0
    .wavefront_size: 64
  - .agpr_count:     0
    .args:
      - .offset:         0
        .size:           72
        .value_kind:     by_value
    .group_segment_fixed_size: 0
    .kernarg_segment_align: 8
    .kernarg_segment_size: 72
    .language:       OpenCL C
    .language_version:
      - 2
      - 0
    .max_flat_workgroup_size: 512
    .name:           _ZN7rocprim17ROCPRIM_400000_NS6detail17trampoline_kernelINS0_14default_configENS1_38merge_sort_block_merge_config_selectorIxNS0_10empty_typeEEEZZNS1_27merge_sort_block_merge_implIS3_N6thrust23THRUST_200600_302600_NS6detail15normal_iteratorINS9_10device_ptrIxEEEEPS5_m14custom_greaterIxEEE10hipError_tT0_T1_T2_jT3_P12ihipStream_tbPNSt15iterator_traitsISJ_E10value_typeEPNSP_ISK_E10value_typeEPSL_NS1_7vsmem_tEENKUlT_SJ_SK_SL_E_clISE_PxSF_SF_EESI_SY_SJ_SK_SL_EUlSY_E0_NS1_11comp_targetILNS1_3genE10ELNS1_11target_archE1201ELNS1_3gpuE5ELNS1_3repE0EEENS1_38merge_mergepath_config_static_selectorELNS0_4arch9wavefront6targetE1EEEvSK_
    .private_segment_fixed_size: 0
    .sgpr_count:     4
    .sgpr_spill_count: 0
    .symbol:         _ZN7rocprim17ROCPRIM_400000_NS6detail17trampoline_kernelINS0_14default_configENS1_38merge_sort_block_merge_config_selectorIxNS0_10empty_typeEEEZZNS1_27merge_sort_block_merge_implIS3_N6thrust23THRUST_200600_302600_NS6detail15normal_iteratorINS9_10device_ptrIxEEEEPS5_m14custom_greaterIxEEE10hipError_tT0_T1_T2_jT3_P12ihipStream_tbPNSt15iterator_traitsISJ_E10value_typeEPNSP_ISK_E10value_typeEPSL_NS1_7vsmem_tEENKUlT_SJ_SK_SL_E_clISE_PxSF_SF_EESI_SY_SJ_SK_SL_EUlSY_E0_NS1_11comp_targetILNS1_3genE10ELNS1_11target_archE1201ELNS1_3gpuE5ELNS1_3repE0EEENS1_38merge_mergepath_config_static_selectorELNS0_4arch9wavefront6targetE1EEEvSK_.kd
    .uniform_work_group_size: 1
    .uses_dynamic_stack: false
    .vgpr_count:     0
    .vgpr_spill_count: 0
    .wavefront_size: 64
  - .agpr_count:     0
    .args:
      - .offset:         0
        .size:           72
        .value_kind:     by_value
    .group_segment_fixed_size: 0
    .kernarg_segment_align: 8
    .kernarg_segment_size: 72
    .language:       OpenCL C
    .language_version:
      - 2
      - 0
    .max_flat_workgroup_size: 128
    .name:           _ZN7rocprim17ROCPRIM_400000_NS6detail17trampoline_kernelINS0_14default_configENS1_38merge_sort_block_merge_config_selectorIxNS0_10empty_typeEEEZZNS1_27merge_sort_block_merge_implIS3_N6thrust23THRUST_200600_302600_NS6detail15normal_iteratorINS9_10device_ptrIxEEEEPS5_m14custom_greaterIxEEE10hipError_tT0_T1_T2_jT3_P12ihipStream_tbPNSt15iterator_traitsISJ_E10value_typeEPNSP_ISK_E10value_typeEPSL_NS1_7vsmem_tEENKUlT_SJ_SK_SL_E_clISE_PxSF_SF_EESI_SY_SJ_SK_SL_EUlSY_E0_NS1_11comp_targetILNS1_3genE5ELNS1_11target_archE942ELNS1_3gpuE9ELNS1_3repE0EEENS1_38merge_mergepath_config_static_selectorELNS0_4arch9wavefront6targetE1EEEvSK_
    .private_segment_fixed_size: 0
    .sgpr_count:     4
    .sgpr_spill_count: 0
    .symbol:         _ZN7rocprim17ROCPRIM_400000_NS6detail17trampoline_kernelINS0_14default_configENS1_38merge_sort_block_merge_config_selectorIxNS0_10empty_typeEEEZZNS1_27merge_sort_block_merge_implIS3_N6thrust23THRUST_200600_302600_NS6detail15normal_iteratorINS9_10device_ptrIxEEEEPS5_m14custom_greaterIxEEE10hipError_tT0_T1_T2_jT3_P12ihipStream_tbPNSt15iterator_traitsISJ_E10value_typeEPNSP_ISK_E10value_typeEPSL_NS1_7vsmem_tEENKUlT_SJ_SK_SL_E_clISE_PxSF_SF_EESI_SY_SJ_SK_SL_EUlSY_E0_NS1_11comp_targetILNS1_3genE5ELNS1_11target_archE942ELNS1_3gpuE9ELNS1_3repE0EEENS1_38merge_mergepath_config_static_selectorELNS0_4arch9wavefront6targetE1EEEvSK_.kd
    .uniform_work_group_size: 1
    .uses_dynamic_stack: false
    .vgpr_count:     0
    .vgpr_spill_count: 0
    .wavefront_size: 64
  - .agpr_count:     0
    .args:
      - .offset:         0
        .size:           72
        .value_kind:     by_value
      - .offset:         72
        .size:           4
        .value_kind:     hidden_block_count_x
      - .offset:         76
        .size:           4
        .value_kind:     hidden_block_count_y
      - .offset:         80
        .size:           4
        .value_kind:     hidden_block_count_z
      - .offset:         84
        .size:           2
        .value_kind:     hidden_group_size_x
      - .offset:         86
        .size:           2
        .value_kind:     hidden_group_size_y
      - .offset:         88
        .size:           2
        .value_kind:     hidden_group_size_z
      - .offset:         90
        .size:           2
        .value_kind:     hidden_remainder_x
      - .offset:         92
        .size:           2
        .value_kind:     hidden_remainder_y
      - .offset:         94
        .size:           2
        .value_kind:     hidden_remainder_z
      - .offset:         112
        .size:           8
        .value_kind:     hidden_global_offset_x
      - .offset:         120
        .size:           8
        .value_kind:     hidden_global_offset_y
      - .offset:         128
        .size:           8
        .value_kind:     hidden_global_offset_z
      - .offset:         136
        .size:           2
        .value_kind:     hidden_grid_dims
    .group_segment_fixed_size: 8448
    .kernarg_segment_align: 8
    .kernarg_segment_size: 328
    .language:       OpenCL C
    .language_version:
      - 2
      - 0
    .max_flat_workgroup_size: 256
    .name:           _ZN7rocprim17ROCPRIM_400000_NS6detail17trampoline_kernelINS0_14default_configENS1_38merge_sort_block_merge_config_selectorIxNS0_10empty_typeEEEZZNS1_27merge_sort_block_merge_implIS3_N6thrust23THRUST_200600_302600_NS6detail15normal_iteratorINS9_10device_ptrIxEEEEPS5_m14custom_greaterIxEEE10hipError_tT0_T1_T2_jT3_P12ihipStream_tbPNSt15iterator_traitsISJ_E10value_typeEPNSP_ISK_E10value_typeEPSL_NS1_7vsmem_tEENKUlT_SJ_SK_SL_E_clISE_PxSF_SF_EESI_SY_SJ_SK_SL_EUlSY_E0_NS1_11comp_targetILNS1_3genE4ELNS1_11target_archE910ELNS1_3gpuE8ELNS1_3repE0EEENS1_38merge_mergepath_config_static_selectorELNS0_4arch9wavefront6targetE1EEEvSK_
    .private_segment_fixed_size: 0
    .sgpr_count:     35
    .sgpr_spill_count: 0
    .symbol:         _ZN7rocprim17ROCPRIM_400000_NS6detail17trampoline_kernelINS0_14default_configENS1_38merge_sort_block_merge_config_selectorIxNS0_10empty_typeEEEZZNS1_27merge_sort_block_merge_implIS3_N6thrust23THRUST_200600_302600_NS6detail15normal_iteratorINS9_10device_ptrIxEEEEPS5_m14custom_greaterIxEEE10hipError_tT0_T1_T2_jT3_P12ihipStream_tbPNSt15iterator_traitsISJ_E10value_typeEPNSP_ISK_E10value_typeEPSL_NS1_7vsmem_tEENKUlT_SJ_SK_SL_E_clISE_PxSF_SF_EESI_SY_SJ_SK_SL_EUlSY_E0_NS1_11comp_targetILNS1_3genE4ELNS1_11target_archE910ELNS1_3gpuE8ELNS1_3repE0EEENS1_38merge_mergepath_config_static_selectorELNS0_4arch9wavefront6targetE1EEEvSK_.kd
    .uniform_work_group_size: 1
    .uses_dynamic_stack: false
    .vgpr_count:     22
    .vgpr_spill_count: 0
    .wavefront_size: 64
  - .agpr_count:     0
    .args:
      - .offset:         0
        .size:           72
        .value_kind:     by_value
    .group_segment_fixed_size: 0
    .kernarg_segment_align: 8
    .kernarg_segment_size: 72
    .language:       OpenCL C
    .language_version:
      - 2
      - 0
    .max_flat_workgroup_size: 128
    .name:           _ZN7rocprim17ROCPRIM_400000_NS6detail17trampoline_kernelINS0_14default_configENS1_38merge_sort_block_merge_config_selectorIxNS0_10empty_typeEEEZZNS1_27merge_sort_block_merge_implIS3_N6thrust23THRUST_200600_302600_NS6detail15normal_iteratorINS9_10device_ptrIxEEEEPS5_m14custom_greaterIxEEE10hipError_tT0_T1_T2_jT3_P12ihipStream_tbPNSt15iterator_traitsISJ_E10value_typeEPNSP_ISK_E10value_typeEPSL_NS1_7vsmem_tEENKUlT_SJ_SK_SL_E_clISE_PxSF_SF_EESI_SY_SJ_SK_SL_EUlSY_E0_NS1_11comp_targetILNS1_3genE3ELNS1_11target_archE908ELNS1_3gpuE7ELNS1_3repE0EEENS1_38merge_mergepath_config_static_selectorELNS0_4arch9wavefront6targetE1EEEvSK_
    .private_segment_fixed_size: 0
    .sgpr_count:     4
    .sgpr_spill_count: 0
    .symbol:         _ZN7rocprim17ROCPRIM_400000_NS6detail17trampoline_kernelINS0_14default_configENS1_38merge_sort_block_merge_config_selectorIxNS0_10empty_typeEEEZZNS1_27merge_sort_block_merge_implIS3_N6thrust23THRUST_200600_302600_NS6detail15normal_iteratorINS9_10device_ptrIxEEEEPS5_m14custom_greaterIxEEE10hipError_tT0_T1_T2_jT3_P12ihipStream_tbPNSt15iterator_traitsISJ_E10value_typeEPNSP_ISK_E10value_typeEPSL_NS1_7vsmem_tEENKUlT_SJ_SK_SL_E_clISE_PxSF_SF_EESI_SY_SJ_SK_SL_EUlSY_E0_NS1_11comp_targetILNS1_3genE3ELNS1_11target_archE908ELNS1_3gpuE7ELNS1_3repE0EEENS1_38merge_mergepath_config_static_selectorELNS0_4arch9wavefront6targetE1EEEvSK_.kd
    .uniform_work_group_size: 1
    .uses_dynamic_stack: false
    .vgpr_count:     0
    .vgpr_spill_count: 0
    .wavefront_size: 64
  - .agpr_count:     0
    .args:
      - .offset:         0
        .size:           72
        .value_kind:     by_value
    .group_segment_fixed_size: 0
    .kernarg_segment_align: 8
    .kernarg_segment_size: 72
    .language:       OpenCL C
    .language_version:
      - 2
      - 0
    .max_flat_workgroup_size: 256
    .name:           _ZN7rocprim17ROCPRIM_400000_NS6detail17trampoline_kernelINS0_14default_configENS1_38merge_sort_block_merge_config_selectorIxNS0_10empty_typeEEEZZNS1_27merge_sort_block_merge_implIS3_N6thrust23THRUST_200600_302600_NS6detail15normal_iteratorINS9_10device_ptrIxEEEEPS5_m14custom_greaterIxEEE10hipError_tT0_T1_T2_jT3_P12ihipStream_tbPNSt15iterator_traitsISJ_E10value_typeEPNSP_ISK_E10value_typeEPSL_NS1_7vsmem_tEENKUlT_SJ_SK_SL_E_clISE_PxSF_SF_EESI_SY_SJ_SK_SL_EUlSY_E0_NS1_11comp_targetILNS1_3genE2ELNS1_11target_archE906ELNS1_3gpuE6ELNS1_3repE0EEENS1_38merge_mergepath_config_static_selectorELNS0_4arch9wavefront6targetE1EEEvSK_
    .private_segment_fixed_size: 0
    .sgpr_count:     4
    .sgpr_spill_count: 0
    .symbol:         _ZN7rocprim17ROCPRIM_400000_NS6detail17trampoline_kernelINS0_14default_configENS1_38merge_sort_block_merge_config_selectorIxNS0_10empty_typeEEEZZNS1_27merge_sort_block_merge_implIS3_N6thrust23THRUST_200600_302600_NS6detail15normal_iteratorINS9_10device_ptrIxEEEEPS5_m14custom_greaterIxEEE10hipError_tT0_T1_T2_jT3_P12ihipStream_tbPNSt15iterator_traitsISJ_E10value_typeEPNSP_ISK_E10value_typeEPSL_NS1_7vsmem_tEENKUlT_SJ_SK_SL_E_clISE_PxSF_SF_EESI_SY_SJ_SK_SL_EUlSY_E0_NS1_11comp_targetILNS1_3genE2ELNS1_11target_archE906ELNS1_3gpuE6ELNS1_3repE0EEENS1_38merge_mergepath_config_static_selectorELNS0_4arch9wavefront6targetE1EEEvSK_.kd
    .uniform_work_group_size: 1
    .uses_dynamic_stack: false
    .vgpr_count:     0
    .vgpr_spill_count: 0
    .wavefront_size: 64
  - .agpr_count:     0
    .args:
      - .offset:         0
        .size:           72
        .value_kind:     by_value
    .group_segment_fixed_size: 0
    .kernarg_segment_align: 8
    .kernarg_segment_size: 72
    .language:       OpenCL C
    .language_version:
      - 2
      - 0
    .max_flat_workgroup_size: 512
    .name:           _ZN7rocprim17ROCPRIM_400000_NS6detail17trampoline_kernelINS0_14default_configENS1_38merge_sort_block_merge_config_selectorIxNS0_10empty_typeEEEZZNS1_27merge_sort_block_merge_implIS3_N6thrust23THRUST_200600_302600_NS6detail15normal_iteratorINS9_10device_ptrIxEEEEPS5_m14custom_greaterIxEEE10hipError_tT0_T1_T2_jT3_P12ihipStream_tbPNSt15iterator_traitsISJ_E10value_typeEPNSP_ISK_E10value_typeEPSL_NS1_7vsmem_tEENKUlT_SJ_SK_SL_E_clISE_PxSF_SF_EESI_SY_SJ_SK_SL_EUlSY_E0_NS1_11comp_targetILNS1_3genE9ELNS1_11target_archE1100ELNS1_3gpuE3ELNS1_3repE0EEENS1_38merge_mergepath_config_static_selectorELNS0_4arch9wavefront6targetE1EEEvSK_
    .private_segment_fixed_size: 0
    .sgpr_count:     4
    .sgpr_spill_count: 0
    .symbol:         _ZN7rocprim17ROCPRIM_400000_NS6detail17trampoline_kernelINS0_14default_configENS1_38merge_sort_block_merge_config_selectorIxNS0_10empty_typeEEEZZNS1_27merge_sort_block_merge_implIS3_N6thrust23THRUST_200600_302600_NS6detail15normal_iteratorINS9_10device_ptrIxEEEEPS5_m14custom_greaterIxEEE10hipError_tT0_T1_T2_jT3_P12ihipStream_tbPNSt15iterator_traitsISJ_E10value_typeEPNSP_ISK_E10value_typeEPSL_NS1_7vsmem_tEENKUlT_SJ_SK_SL_E_clISE_PxSF_SF_EESI_SY_SJ_SK_SL_EUlSY_E0_NS1_11comp_targetILNS1_3genE9ELNS1_11target_archE1100ELNS1_3gpuE3ELNS1_3repE0EEENS1_38merge_mergepath_config_static_selectorELNS0_4arch9wavefront6targetE1EEEvSK_.kd
    .uniform_work_group_size: 1
    .uses_dynamic_stack: false
    .vgpr_count:     0
    .vgpr_spill_count: 0
    .wavefront_size: 64
  - .agpr_count:     0
    .args:
      - .offset:         0
        .size:           72
        .value_kind:     by_value
    .group_segment_fixed_size: 0
    .kernarg_segment_align: 8
    .kernarg_segment_size: 72
    .language:       OpenCL C
    .language_version:
      - 2
      - 0
    .max_flat_workgroup_size: 1024
    .name:           _ZN7rocprim17ROCPRIM_400000_NS6detail17trampoline_kernelINS0_14default_configENS1_38merge_sort_block_merge_config_selectorIxNS0_10empty_typeEEEZZNS1_27merge_sort_block_merge_implIS3_N6thrust23THRUST_200600_302600_NS6detail15normal_iteratorINS9_10device_ptrIxEEEEPS5_m14custom_greaterIxEEE10hipError_tT0_T1_T2_jT3_P12ihipStream_tbPNSt15iterator_traitsISJ_E10value_typeEPNSP_ISK_E10value_typeEPSL_NS1_7vsmem_tEENKUlT_SJ_SK_SL_E_clISE_PxSF_SF_EESI_SY_SJ_SK_SL_EUlSY_E0_NS1_11comp_targetILNS1_3genE8ELNS1_11target_archE1030ELNS1_3gpuE2ELNS1_3repE0EEENS1_38merge_mergepath_config_static_selectorELNS0_4arch9wavefront6targetE1EEEvSK_
    .private_segment_fixed_size: 0
    .sgpr_count:     4
    .sgpr_spill_count: 0
    .symbol:         _ZN7rocprim17ROCPRIM_400000_NS6detail17trampoline_kernelINS0_14default_configENS1_38merge_sort_block_merge_config_selectorIxNS0_10empty_typeEEEZZNS1_27merge_sort_block_merge_implIS3_N6thrust23THRUST_200600_302600_NS6detail15normal_iteratorINS9_10device_ptrIxEEEEPS5_m14custom_greaterIxEEE10hipError_tT0_T1_T2_jT3_P12ihipStream_tbPNSt15iterator_traitsISJ_E10value_typeEPNSP_ISK_E10value_typeEPSL_NS1_7vsmem_tEENKUlT_SJ_SK_SL_E_clISE_PxSF_SF_EESI_SY_SJ_SK_SL_EUlSY_E0_NS1_11comp_targetILNS1_3genE8ELNS1_11target_archE1030ELNS1_3gpuE2ELNS1_3repE0EEENS1_38merge_mergepath_config_static_selectorELNS0_4arch9wavefront6targetE1EEEvSK_.kd
    .uniform_work_group_size: 1
    .uses_dynamic_stack: false
    .vgpr_count:     0
    .vgpr_spill_count: 0
    .wavefront_size: 64
  - .agpr_count:     0
    .args:
      - .offset:         0
        .size:           56
        .value_kind:     by_value
    .group_segment_fixed_size: 0
    .kernarg_segment_align: 8
    .kernarg_segment_size: 56
    .language:       OpenCL C
    .language_version:
      - 2
      - 0
    .max_flat_workgroup_size: 256
    .name:           _ZN7rocprim17ROCPRIM_400000_NS6detail17trampoline_kernelINS0_14default_configENS1_38merge_sort_block_merge_config_selectorIxNS0_10empty_typeEEEZZNS1_27merge_sort_block_merge_implIS3_N6thrust23THRUST_200600_302600_NS6detail15normal_iteratorINS9_10device_ptrIxEEEEPS5_m14custom_greaterIxEEE10hipError_tT0_T1_T2_jT3_P12ihipStream_tbPNSt15iterator_traitsISJ_E10value_typeEPNSP_ISK_E10value_typeEPSL_NS1_7vsmem_tEENKUlT_SJ_SK_SL_E_clISE_PxSF_SF_EESI_SY_SJ_SK_SL_EUlSY_E1_NS1_11comp_targetILNS1_3genE0ELNS1_11target_archE4294967295ELNS1_3gpuE0ELNS1_3repE0EEENS1_36merge_oddeven_config_static_selectorELNS0_4arch9wavefront6targetE1EEEvSK_
    .private_segment_fixed_size: 0
    .sgpr_count:     4
    .sgpr_spill_count: 0
    .symbol:         _ZN7rocprim17ROCPRIM_400000_NS6detail17trampoline_kernelINS0_14default_configENS1_38merge_sort_block_merge_config_selectorIxNS0_10empty_typeEEEZZNS1_27merge_sort_block_merge_implIS3_N6thrust23THRUST_200600_302600_NS6detail15normal_iteratorINS9_10device_ptrIxEEEEPS5_m14custom_greaterIxEEE10hipError_tT0_T1_T2_jT3_P12ihipStream_tbPNSt15iterator_traitsISJ_E10value_typeEPNSP_ISK_E10value_typeEPSL_NS1_7vsmem_tEENKUlT_SJ_SK_SL_E_clISE_PxSF_SF_EESI_SY_SJ_SK_SL_EUlSY_E1_NS1_11comp_targetILNS1_3genE0ELNS1_11target_archE4294967295ELNS1_3gpuE0ELNS1_3repE0EEENS1_36merge_oddeven_config_static_selectorELNS0_4arch9wavefront6targetE1EEEvSK_.kd
    .uniform_work_group_size: 1
    .uses_dynamic_stack: false
    .vgpr_count:     0
    .vgpr_spill_count: 0
    .wavefront_size: 64
  - .agpr_count:     0
    .args:
      - .offset:         0
        .size:           56
        .value_kind:     by_value
    .group_segment_fixed_size: 0
    .kernarg_segment_align: 8
    .kernarg_segment_size: 56
    .language:       OpenCL C
    .language_version:
      - 2
      - 0
    .max_flat_workgroup_size: 256
    .name:           _ZN7rocprim17ROCPRIM_400000_NS6detail17trampoline_kernelINS0_14default_configENS1_38merge_sort_block_merge_config_selectorIxNS0_10empty_typeEEEZZNS1_27merge_sort_block_merge_implIS3_N6thrust23THRUST_200600_302600_NS6detail15normal_iteratorINS9_10device_ptrIxEEEEPS5_m14custom_greaterIxEEE10hipError_tT0_T1_T2_jT3_P12ihipStream_tbPNSt15iterator_traitsISJ_E10value_typeEPNSP_ISK_E10value_typeEPSL_NS1_7vsmem_tEENKUlT_SJ_SK_SL_E_clISE_PxSF_SF_EESI_SY_SJ_SK_SL_EUlSY_E1_NS1_11comp_targetILNS1_3genE10ELNS1_11target_archE1201ELNS1_3gpuE5ELNS1_3repE0EEENS1_36merge_oddeven_config_static_selectorELNS0_4arch9wavefront6targetE1EEEvSK_
    .private_segment_fixed_size: 0
    .sgpr_count:     4
    .sgpr_spill_count: 0
    .symbol:         _ZN7rocprim17ROCPRIM_400000_NS6detail17trampoline_kernelINS0_14default_configENS1_38merge_sort_block_merge_config_selectorIxNS0_10empty_typeEEEZZNS1_27merge_sort_block_merge_implIS3_N6thrust23THRUST_200600_302600_NS6detail15normal_iteratorINS9_10device_ptrIxEEEEPS5_m14custom_greaterIxEEE10hipError_tT0_T1_T2_jT3_P12ihipStream_tbPNSt15iterator_traitsISJ_E10value_typeEPNSP_ISK_E10value_typeEPSL_NS1_7vsmem_tEENKUlT_SJ_SK_SL_E_clISE_PxSF_SF_EESI_SY_SJ_SK_SL_EUlSY_E1_NS1_11comp_targetILNS1_3genE10ELNS1_11target_archE1201ELNS1_3gpuE5ELNS1_3repE0EEENS1_36merge_oddeven_config_static_selectorELNS0_4arch9wavefront6targetE1EEEvSK_.kd
    .uniform_work_group_size: 1
    .uses_dynamic_stack: false
    .vgpr_count:     0
    .vgpr_spill_count: 0
    .wavefront_size: 64
  - .agpr_count:     0
    .args:
      - .offset:         0
        .size:           56
        .value_kind:     by_value
    .group_segment_fixed_size: 0
    .kernarg_segment_align: 8
    .kernarg_segment_size: 56
    .language:       OpenCL C
    .language_version:
      - 2
      - 0
    .max_flat_workgroup_size: 256
    .name:           _ZN7rocprim17ROCPRIM_400000_NS6detail17trampoline_kernelINS0_14default_configENS1_38merge_sort_block_merge_config_selectorIxNS0_10empty_typeEEEZZNS1_27merge_sort_block_merge_implIS3_N6thrust23THRUST_200600_302600_NS6detail15normal_iteratorINS9_10device_ptrIxEEEEPS5_m14custom_greaterIxEEE10hipError_tT0_T1_T2_jT3_P12ihipStream_tbPNSt15iterator_traitsISJ_E10value_typeEPNSP_ISK_E10value_typeEPSL_NS1_7vsmem_tEENKUlT_SJ_SK_SL_E_clISE_PxSF_SF_EESI_SY_SJ_SK_SL_EUlSY_E1_NS1_11comp_targetILNS1_3genE5ELNS1_11target_archE942ELNS1_3gpuE9ELNS1_3repE0EEENS1_36merge_oddeven_config_static_selectorELNS0_4arch9wavefront6targetE1EEEvSK_
    .private_segment_fixed_size: 0
    .sgpr_count:     4
    .sgpr_spill_count: 0
    .symbol:         _ZN7rocprim17ROCPRIM_400000_NS6detail17trampoline_kernelINS0_14default_configENS1_38merge_sort_block_merge_config_selectorIxNS0_10empty_typeEEEZZNS1_27merge_sort_block_merge_implIS3_N6thrust23THRUST_200600_302600_NS6detail15normal_iteratorINS9_10device_ptrIxEEEEPS5_m14custom_greaterIxEEE10hipError_tT0_T1_T2_jT3_P12ihipStream_tbPNSt15iterator_traitsISJ_E10value_typeEPNSP_ISK_E10value_typeEPSL_NS1_7vsmem_tEENKUlT_SJ_SK_SL_E_clISE_PxSF_SF_EESI_SY_SJ_SK_SL_EUlSY_E1_NS1_11comp_targetILNS1_3genE5ELNS1_11target_archE942ELNS1_3gpuE9ELNS1_3repE0EEENS1_36merge_oddeven_config_static_selectorELNS0_4arch9wavefront6targetE1EEEvSK_.kd
    .uniform_work_group_size: 1
    .uses_dynamic_stack: false
    .vgpr_count:     0
    .vgpr_spill_count: 0
    .wavefront_size: 64
  - .agpr_count:     0
    .args:
      - .offset:         0
        .size:           56
        .value_kind:     by_value
    .group_segment_fixed_size: 0
    .kernarg_segment_align: 8
    .kernarg_segment_size: 56
    .language:       OpenCL C
    .language_version:
      - 2
      - 0
    .max_flat_workgroup_size: 256
    .name:           _ZN7rocprim17ROCPRIM_400000_NS6detail17trampoline_kernelINS0_14default_configENS1_38merge_sort_block_merge_config_selectorIxNS0_10empty_typeEEEZZNS1_27merge_sort_block_merge_implIS3_N6thrust23THRUST_200600_302600_NS6detail15normal_iteratorINS9_10device_ptrIxEEEEPS5_m14custom_greaterIxEEE10hipError_tT0_T1_T2_jT3_P12ihipStream_tbPNSt15iterator_traitsISJ_E10value_typeEPNSP_ISK_E10value_typeEPSL_NS1_7vsmem_tEENKUlT_SJ_SK_SL_E_clISE_PxSF_SF_EESI_SY_SJ_SK_SL_EUlSY_E1_NS1_11comp_targetILNS1_3genE4ELNS1_11target_archE910ELNS1_3gpuE8ELNS1_3repE0EEENS1_36merge_oddeven_config_static_selectorELNS0_4arch9wavefront6targetE1EEEvSK_
    .private_segment_fixed_size: 0
    .sgpr_count:     25
    .sgpr_spill_count: 0
    .symbol:         _ZN7rocprim17ROCPRIM_400000_NS6detail17trampoline_kernelINS0_14default_configENS1_38merge_sort_block_merge_config_selectorIxNS0_10empty_typeEEEZZNS1_27merge_sort_block_merge_implIS3_N6thrust23THRUST_200600_302600_NS6detail15normal_iteratorINS9_10device_ptrIxEEEEPS5_m14custom_greaterIxEEE10hipError_tT0_T1_T2_jT3_P12ihipStream_tbPNSt15iterator_traitsISJ_E10value_typeEPNSP_ISK_E10value_typeEPSL_NS1_7vsmem_tEENKUlT_SJ_SK_SL_E_clISE_PxSF_SF_EESI_SY_SJ_SK_SL_EUlSY_E1_NS1_11comp_targetILNS1_3genE4ELNS1_11target_archE910ELNS1_3gpuE8ELNS1_3repE0EEENS1_36merge_oddeven_config_static_selectorELNS0_4arch9wavefront6targetE1EEEvSK_.kd
    .uniform_work_group_size: 1
    .uses_dynamic_stack: false
    .vgpr_count:     12
    .vgpr_spill_count: 0
    .wavefront_size: 64
  - .agpr_count:     0
    .args:
      - .offset:         0
        .size:           56
        .value_kind:     by_value
    .group_segment_fixed_size: 0
    .kernarg_segment_align: 8
    .kernarg_segment_size: 56
    .language:       OpenCL C
    .language_version:
      - 2
      - 0
    .max_flat_workgroup_size: 256
    .name:           _ZN7rocprim17ROCPRIM_400000_NS6detail17trampoline_kernelINS0_14default_configENS1_38merge_sort_block_merge_config_selectorIxNS0_10empty_typeEEEZZNS1_27merge_sort_block_merge_implIS3_N6thrust23THRUST_200600_302600_NS6detail15normal_iteratorINS9_10device_ptrIxEEEEPS5_m14custom_greaterIxEEE10hipError_tT0_T1_T2_jT3_P12ihipStream_tbPNSt15iterator_traitsISJ_E10value_typeEPNSP_ISK_E10value_typeEPSL_NS1_7vsmem_tEENKUlT_SJ_SK_SL_E_clISE_PxSF_SF_EESI_SY_SJ_SK_SL_EUlSY_E1_NS1_11comp_targetILNS1_3genE3ELNS1_11target_archE908ELNS1_3gpuE7ELNS1_3repE0EEENS1_36merge_oddeven_config_static_selectorELNS0_4arch9wavefront6targetE1EEEvSK_
    .private_segment_fixed_size: 0
    .sgpr_count:     4
    .sgpr_spill_count: 0
    .symbol:         _ZN7rocprim17ROCPRIM_400000_NS6detail17trampoline_kernelINS0_14default_configENS1_38merge_sort_block_merge_config_selectorIxNS0_10empty_typeEEEZZNS1_27merge_sort_block_merge_implIS3_N6thrust23THRUST_200600_302600_NS6detail15normal_iteratorINS9_10device_ptrIxEEEEPS5_m14custom_greaterIxEEE10hipError_tT0_T1_T2_jT3_P12ihipStream_tbPNSt15iterator_traitsISJ_E10value_typeEPNSP_ISK_E10value_typeEPSL_NS1_7vsmem_tEENKUlT_SJ_SK_SL_E_clISE_PxSF_SF_EESI_SY_SJ_SK_SL_EUlSY_E1_NS1_11comp_targetILNS1_3genE3ELNS1_11target_archE908ELNS1_3gpuE7ELNS1_3repE0EEENS1_36merge_oddeven_config_static_selectorELNS0_4arch9wavefront6targetE1EEEvSK_.kd
    .uniform_work_group_size: 1
    .uses_dynamic_stack: false
    .vgpr_count:     0
    .vgpr_spill_count: 0
    .wavefront_size: 64
  - .agpr_count:     0
    .args:
      - .offset:         0
        .size:           56
        .value_kind:     by_value
    .group_segment_fixed_size: 0
    .kernarg_segment_align: 8
    .kernarg_segment_size: 56
    .language:       OpenCL C
    .language_version:
      - 2
      - 0
    .max_flat_workgroup_size: 256
    .name:           _ZN7rocprim17ROCPRIM_400000_NS6detail17trampoline_kernelINS0_14default_configENS1_38merge_sort_block_merge_config_selectorIxNS0_10empty_typeEEEZZNS1_27merge_sort_block_merge_implIS3_N6thrust23THRUST_200600_302600_NS6detail15normal_iteratorINS9_10device_ptrIxEEEEPS5_m14custom_greaterIxEEE10hipError_tT0_T1_T2_jT3_P12ihipStream_tbPNSt15iterator_traitsISJ_E10value_typeEPNSP_ISK_E10value_typeEPSL_NS1_7vsmem_tEENKUlT_SJ_SK_SL_E_clISE_PxSF_SF_EESI_SY_SJ_SK_SL_EUlSY_E1_NS1_11comp_targetILNS1_3genE2ELNS1_11target_archE906ELNS1_3gpuE6ELNS1_3repE0EEENS1_36merge_oddeven_config_static_selectorELNS0_4arch9wavefront6targetE1EEEvSK_
    .private_segment_fixed_size: 0
    .sgpr_count:     4
    .sgpr_spill_count: 0
    .symbol:         _ZN7rocprim17ROCPRIM_400000_NS6detail17trampoline_kernelINS0_14default_configENS1_38merge_sort_block_merge_config_selectorIxNS0_10empty_typeEEEZZNS1_27merge_sort_block_merge_implIS3_N6thrust23THRUST_200600_302600_NS6detail15normal_iteratorINS9_10device_ptrIxEEEEPS5_m14custom_greaterIxEEE10hipError_tT0_T1_T2_jT3_P12ihipStream_tbPNSt15iterator_traitsISJ_E10value_typeEPNSP_ISK_E10value_typeEPSL_NS1_7vsmem_tEENKUlT_SJ_SK_SL_E_clISE_PxSF_SF_EESI_SY_SJ_SK_SL_EUlSY_E1_NS1_11comp_targetILNS1_3genE2ELNS1_11target_archE906ELNS1_3gpuE6ELNS1_3repE0EEENS1_36merge_oddeven_config_static_selectorELNS0_4arch9wavefront6targetE1EEEvSK_.kd
    .uniform_work_group_size: 1
    .uses_dynamic_stack: false
    .vgpr_count:     0
    .vgpr_spill_count: 0
    .wavefront_size: 64
  - .agpr_count:     0
    .args:
      - .offset:         0
        .size:           56
        .value_kind:     by_value
    .group_segment_fixed_size: 0
    .kernarg_segment_align: 8
    .kernarg_segment_size: 56
    .language:       OpenCL C
    .language_version:
      - 2
      - 0
    .max_flat_workgroup_size: 256
    .name:           _ZN7rocprim17ROCPRIM_400000_NS6detail17trampoline_kernelINS0_14default_configENS1_38merge_sort_block_merge_config_selectorIxNS0_10empty_typeEEEZZNS1_27merge_sort_block_merge_implIS3_N6thrust23THRUST_200600_302600_NS6detail15normal_iteratorINS9_10device_ptrIxEEEEPS5_m14custom_greaterIxEEE10hipError_tT0_T1_T2_jT3_P12ihipStream_tbPNSt15iterator_traitsISJ_E10value_typeEPNSP_ISK_E10value_typeEPSL_NS1_7vsmem_tEENKUlT_SJ_SK_SL_E_clISE_PxSF_SF_EESI_SY_SJ_SK_SL_EUlSY_E1_NS1_11comp_targetILNS1_3genE9ELNS1_11target_archE1100ELNS1_3gpuE3ELNS1_3repE0EEENS1_36merge_oddeven_config_static_selectorELNS0_4arch9wavefront6targetE1EEEvSK_
    .private_segment_fixed_size: 0
    .sgpr_count:     4
    .sgpr_spill_count: 0
    .symbol:         _ZN7rocprim17ROCPRIM_400000_NS6detail17trampoline_kernelINS0_14default_configENS1_38merge_sort_block_merge_config_selectorIxNS0_10empty_typeEEEZZNS1_27merge_sort_block_merge_implIS3_N6thrust23THRUST_200600_302600_NS6detail15normal_iteratorINS9_10device_ptrIxEEEEPS5_m14custom_greaterIxEEE10hipError_tT0_T1_T2_jT3_P12ihipStream_tbPNSt15iterator_traitsISJ_E10value_typeEPNSP_ISK_E10value_typeEPSL_NS1_7vsmem_tEENKUlT_SJ_SK_SL_E_clISE_PxSF_SF_EESI_SY_SJ_SK_SL_EUlSY_E1_NS1_11comp_targetILNS1_3genE9ELNS1_11target_archE1100ELNS1_3gpuE3ELNS1_3repE0EEENS1_36merge_oddeven_config_static_selectorELNS0_4arch9wavefront6targetE1EEEvSK_.kd
    .uniform_work_group_size: 1
    .uses_dynamic_stack: false
    .vgpr_count:     0
    .vgpr_spill_count: 0
    .wavefront_size: 64
  - .agpr_count:     0
    .args:
      - .offset:         0
        .size:           56
        .value_kind:     by_value
    .group_segment_fixed_size: 0
    .kernarg_segment_align: 8
    .kernarg_segment_size: 56
    .language:       OpenCL C
    .language_version:
      - 2
      - 0
    .max_flat_workgroup_size: 256
    .name:           _ZN7rocprim17ROCPRIM_400000_NS6detail17trampoline_kernelINS0_14default_configENS1_38merge_sort_block_merge_config_selectorIxNS0_10empty_typeEEEZZNS1_27merge_sort_block_merge_implIS3_N6thrust23THRUST_200600_302600_NS6detail15normal_iteratorINS9_10device_ptrIxEEEEPS5_m14custom_greaterIxEEE10hipError_tT0_T1_T2_jT3_P12ihipStream_tbPNSt15iterator_traitsISJ_E10value_typeEPNSP_ISK_E10value_typeEPSL_NS1_7vsmem_tEENKUlT_SJ_SK_SL_E_clISE_PxSF_SF_EESI_SY_SJ_SK_SL_EUlSY_E1_NS1_11comp_targetILNS1_3genE8ELNS1_11target_archE1030ELNS1_3gpuE2ELNS1_3repE0EEENS1_36merge_oddeven_config_static_selectorELNS0_4arch9wavefront6targetE1EEEvSK_
    .private_segment_fixed_size: 0
    .sgpr_count:     4
    .sgpr_spill_count: 0
    .symbol:         _ZN7rocprim17ROCPRIM_400000_NS6detail17trampoline_kernelINS0_14default_configENS1_38merge_sort_block_merge_config_selectorIxNS0_10empty_typeEEEZZNS1_27merge_sort_block_merge_implIS3_N6thrust23THRUST_200600_302600_NS6detail15normal_iteratorINS9_10device_ptrIxEEEEPS5_m14custom_greaterIxEEE10hipError_tT0_T1_T2_jT3_P12ihipStream_tbPNSt15iterator_traitsISJ_E10value_typeEPNSP_ISK_E10value_typeEPSL_NS1_7vsmem_tEENKUlT_SJ_SK_SL_E_clISE_PxSF_SF_EESI_SY_SJ_SK_SL_EUlSY_E1_NS1_11comp_targetILNS1_3genE8ELNS1_11target_archE1030ELNS1_3gpuE2ELNS1_3repE0EEENS1_36merge_oddeven_config_static_selectorELNS0_4arch9wavefront6targetE1EEEvSK_.kd
    .uniform_work_group_size: 1
    .uses_dynamic_stack: false
    .vgpr_count:     0
    .vgpr_spill_count: 0
    .wavefront_size: 64
  - .agpr_count:     0
    .args:
      - .offset:         0
        .size:           40
        .value_kind:     by_value
    .group_segment_fixed_size: 0
    .kernarg_segment_align: 8
    .kernarg_segment_size: 40
    .language:       OpenCL C
    .language_version:
      - 2
      - 0
    .max_flat_workgroup_size: 128
    .name:           _ZN7rocprim17ROCPRIM_400000_NS6detail17trampoline_kernelINS0_14default_configENS1_25transform_config_selectorIxLb0EEEZNS1_14transform_implILb0ES3_S5_PxN6thrust23THRUST_200600_302600_NS6detail15normal_iteratorINS9_10device_ptrIxEEEENS0_8identityIxEEEE10hipError_tT2_T3_mT4_P12ihipStream_tbEUlT_E_NS1_11comp_targetILNS1_3genE0ELNS1_11target_archE4294967295ELNS1_3gpuE0ELNS1_3repE0EEENS1_30default_config_static_selectorELNS0_4arch9wavefront6targetE1EEEvT1_
    .private_segment_fixed_size: 0
    .sgpr_count:     4
    .sgpr_spill_count: 0
    .symbol:         _ZN7rocprim17ROCPRIM_400000_NS6detail17trampoline_kernelINS0_14default_configENS1_25transform_config_selectorIxLb0EEEZNS1_14transform_implILb0ES3_S5_PxN6thrust23THRUST_200600_302600_NS6detail15normal_iteratorINS9_10device_ptrIxEEEENS0_8identityIxEEEE10hipError_tT2_T3_mT4_P12ihipStream_tbEUlT_E_NS1_11comp_targetILNS1_3genE0ELNS1_11target_archE4294967295ELNS1_3gpuE0ELNS1_3repE0EEENS1_30default_config_static_selectorELNS0_4arch9wavefront6targetE1EEEvT1_.kd
    .uniform_work_group_size: 1
    .uses_dynamic_stack: false
    .vgpr_count:     0
    .vgpr_spill_count: 0
    .wavefront_size: 64
  - .agpr_count:     0
    .args:
      - .offset:         0
        .size:           40
        .value_kind:     by_value
    .group_segment_fixed_size: 0
    .kernarg_segment_align: 8
    .kernarg_segment_size: 40
    .language:       OpenCL C
    .language_version:
      - 2
      - 0
    .max_flat_workgroup_size: 512
    .name:           _ZN7rocprim17ROCPRIM_400000_NS6detail17trampoline_kernelINS0_14default_configENS1_25transform_config_selectorIxLb0EEEZNS1_14transform_implILb0ES3_S5_PxN6thrust23THRUST_200600_302600_NS6detail15normal_iteratorINS9_10device_ptrIxEEEENS0_8identityIxEEEE10hipError_tT2_T3_mT4_P12ihipStream_tbEUlT_E_NS1_11comp_targetILNS1_3genE5ELNS1_11target_archE942ELNS1_3gpuE9ELNS1_3repE0EEENS1_30default_config_static_selectorELNS0_4arch9wavefront6targetE1EEEvT1_
    .private_segment_fixed_size: 0
    .sgpr_count:     4
    .sgpr_spill_count: 0
    .symbol:         _ZN7rocprim17ROCPRIM_400000_NS6detail17trampoline_kernelINS0_14default_configENS1_25transform_config_selectorIxLb0EEEZNS1_14transform_implILb0ES3_S5_PxN6thrust23THRUST_200600_302600_NS6detail15normal_iteratorINS9_10device_ptrIxEEEENS0_8identityIxEEEE10hipError_tT2_T3_mT4_P12ihipStream_tbEUlT_E_NS1_11comp_targetILNS1_3genE5ELNS1_11target_archE942ELNS1_3gpuE9ELNS1_3repE0EEENS1_30default_config_static_selectorELNS0_4arch9wavefront6targetE1EEEvT1_.kd
    .uniform_work_group_size: 1
    .uses_dynamic_stack: false
    .vgpr_count:     0
    .vgpr_spill_count: 0
    .wavefront_size: 64
  - .agpr_count:     0
    .args:
      - .offset:         0
        .size:           40
        .value_kind:     by_value
      - .offset:         40
        .size:           4
        .value_kind:     hidden_block_count_x
      - .offset:         44
        .size:           4
        .value_kind:     hidden_block_count_y
      - .offset:         48
        .size:           4
        .value_kind:     hidden_block_count_z
      - .offset:         52
        .size:           2
        .value_kind:     hidden_group_size_x
      - .offset:         54
        .size:           2
        .value_kind:     hidden_group_size_y
      - .offset:         56
        .size:           2
        .value_kind:     hidden_group_size_z
      - .offset:         58
        .size:           2
        .value_kind:     hidden_remainder_x
      - .offset:         60
        .size:           2
        .value_kind:     hidden_remainder_y
      - .offset:         62
        .size:           2
        .value_kind:     hidden_remainder_z
      - .offset:         80
        .size:           8
        .value_kind:     hidden_global_offset_x
      - .offset:         88
        .size:           8
        .value_kind:     hidden_global_offset_y
      - .offset:         96
        .size:           8
        .value_kind:     hidden_global_offset_z
      - .offset:         104
        .size:           2
        .value_kind:     hidden_grid_dims
    .group_segment_fixed_size: 0
    .kernarg_segment_align: 8
    .kernarg_segment_size: 296
    .language:       OpenCL C
    .language_version:
      - 2
      - 0
    .max_flat_workgroup_size: 256
    .name:           _ZN7rocprim17ROCPRIM_400000_NS6detail17trampoline_kernelINS0_14default_configENS1_25transform_config_selectorIxLb0EEEZNS1_14transform_implILb0ES3_S5_PxN6thrust23THRUST_200600_302600_NS6detail15normal_iteratorINS9_10device_ptrIxEEEENS0_8identityIxEEEE10hipError_tT2_T3_mT4_P12ihipStream_tbEUlT_E_NS1_11comp_targetILNS1_3genE4ELNS1_11target_archE910ELNS1_3gpuE8ELNS1_3repE0EEENS1_30default_config_static_selectorELNS0_4arch9wavefront6targetE1EEEvT1_
    .private_segment_fixed_size: 0
    .sgpr_count:     20
    .sgpr_spill_count: 0
    .symbol:         _ZN7rocprim17ROCPRIM_400000_NS6detail17trampoline_kernelINS0_14default_configENS1_25transform_config_selectorIxLb0EEEZNS1_14transform_implILb0ES3_S5_PxN6thrust23THRUST_200600_302600_NS6detail15normal_iteratorINS9_10device_ptrIxEEEENS0_8identityIxEEEE10hipError_tT2_T3_mT4_P12ihipStream_tbEUlT_E_NS1_11comp_targetILNS1_3genE4ELNS1_11target_archE910ELNS1_3gpuE8ELNS1_3repE0EEENS1_30default_config_static_selectorELNS0_4arch9wavefront6targetE1EEEvT1_.kd
    .uniform_work_group_size: 1
    .uses_dynamic_stack: false
    .vgpr_count:     9
    .vgpr_spill_count: 0
    .wavefront_size: 64
  - .agpr_count:     0
    .args:
      - .offset:         0
        .size:           40
        .value_kind:     by_value
    .group_segment_fixed_size: 0
    .kernarg_segment_align: 8
    .kernarg_segment_size: 40
    .language:       OpenCL C
    .language_version:
      - 2
      - 0
    .max_flat_workgroup_size: 128
    .name:           _ZN7rocprim17ROCPRIM_400000_NS6detail17trampoline_kernelINS0_14default_configENS1_25transform_config_selectorIxLb0EEEZNS1_14transform_implILb0ES3_S5_PxN6thrust23THRUST_200600_302600_NS6detail15normal_iteratorINS9_10device_ptrIxEEEENS0_8identityIxEEEE10hipError_tT2_T3_mT4_P12ihipStream_tbEUlT_E_NS1_11comp_targetILNS1_3genE3ELNS1_11target_archE908ELNS1_3gpuE7ELNS1_3repE0EEENS1_30default_config_static_selectorELNS0_4arch9wavefront6targetE1EEEvT1_
    .private_segment_fixed_size: 0
    .sgpr_count:     4
    .sgpr_spill_count: 0
    .symbol:         _ZN7rocprim17ROCPRIM_400000_NS6detail17trampoline_kernelINS0_14default_configENS1_25transform_config_selectorIxLb0EEEZNS1_14transform_implILb0ES3_S5_PxN6thrust23THRUST_200600_302600_NS6detail15normal_iteratorINS9_10device_ptrIxEEEENS0_8identityIxEEEE10hipError_tT2_T3_mT4_P12ihipStream_tbEUlT_E_NS1_11comp_targetILNS1_3genE3ELNS1_11target_archE908ELNS1_3gpuE7ELNS1_3repE0EEENS1_30default_config_static_selectorELNS0_4arch9wavefront6targetE1EEEvT1_.kd
    .uniform_work_group_size: 1
    .uses_dynamic_stack: false
    .vgpr_count:     0
    .vgpr_spill_count: 0
    .wavefront_size: 64
  - .agpr_count:     0
    .args:
      - .offset:         0
        .size:           40
        .value_kind:     by_value
    .group_segment_fixed_size: 0
    .kernarg_segment_align: 8
    .kernarg_segment_size: 40
    .language:       OpenCL C
    .language_version:
      - 2
      - 0
    .max_flat_workgroup_size: 512
    .name:           _ZN7rocprim17ROCPRIM_400000_NS6detail17trampoline_kernelINS0_14default_configENS1_25transform_config_selectorIxLb0EEEZNS1_14transform_implILb0ES3_S5_PxN6thrust23THRUST_200600_302600_NS6detail15normal_iteratorINS9_10device_ptrIxEEEENS0_8identityIxEEEE10hipError_tT2_T3_mT4_P12ihipStream_tbEUlT_E_NS1_11comp_targetILNS1_3genE2ELNS1_11target_archE906ELNS1_3gpuE6ELNS1_3repE0EEENS1_30default_config_static_selectorELNS0_4arch9wavefront6targetE1EEEvT1_
    .private_segment_fixed_size: 0
    .sgpr_count:     4
    .sgpr_spill_count: 0
    .symbol:         _ZN7rocprim17ROCPRIM_400000_NS6detail17trampoline_kernelINS0_14default_configENS1_25transform_config_selectorIxLb0EEEZNS1_14transform_implILb0ES3_S5_PxN6thrust23THRUST_200600_302600_NS6detail15normal_iteratorINS9_10device_ptrIxEEEENS0_8identityIxEEEE10hipError_tT2_T3_mT4_P12ihipStream_tbEUlT_E_NS1_11comp_targetILNS1_3genE2ELNS1_11target_archE906ELNS1_3gpuE6ELNS1_3repE0EEENS1_30default_config_static_selectorELNS0_4arch9wavefront6targetE1EEEvT1_.kd
    .uniform_work_group_size: 1
    .uses_dynamic_stack: false
    .vgpr_count:     0
    .vgpr_spill_count: 0
    .wavefront_size: 64
  - .agpr_count:     0
    .args:
      - .offset:         0
        .size:           40
        .value_kind:     by_value
    .group_segment_fixed_size: 0
    .kernarg_segment_align: 8
    .kernarg_segment_size: 40
    .language:       OpenCL C
    .language_version:
      - 2
      - 0
    .max_flat_workgroup_size: 1024
    .name:           _ZN7rocprim17ROCPRIM_400000_NS6detail17trampoline_kernelINS0_14default_configENS1_25transform_config_selectorIxLb0EEEZNS1_14transform_implILb0ES3_S5_PxN6thrust23THRUST_200600_302600_NS6detail15normal_iteratorINS9_10device_ptrIxEEEENS0_8identityIxEEEE10hipError_tT2_T3_mT4_P12ihipStream_tbEUlT_E_NS1_11comp_targetILNS1_3genE10ELNS1_11target_archE1201ELNS1_3gpuE5ELNS1_3repE0EEENS1_30default_config_static_selectorELNS0_4arch9wavefront6targetE1EEEvT1_
    .private_segment_fixed_size: 0
    .sgpr_count:     4
    .sgpr_spill_count: 0
    .symbol:         _ZN7rocprim17ROCPRIM_400000_NS6detail17trampoline_kernelINS0_14default_configENS1_25transform_config_selectorIxLb0EEEZNS1_14transform_implILb0ES3_S5_PxN6thrust23THRUST_200600_302600_NS6detail15normal_iteratorINS9_10device_ptrIxEEEENS0_8identityIxEEEE10hipError_tT2_T3_mT4_P12ihipStream_tbEUlT_E_NS1_11comp_targetILNS1_3genE10ELNS1_11target_archE1201ELNS1_3gpuE5ELNS1_3repE0EEENS1_30default_config_static_selectorELNS0_4arch9wavefront6targetE1EEEvT1_.kd
    .uniform_work_group_size: 1
    .uses_dynamic_stack: false
    .vgpr_count:     0
    .vgpr_spill_count: 0
    .wavefront_size: 64
  - .agpr_count:     0
    .args:
      - .offset:         0
        .size:           40
        .value_kind:     by_value
    .group_segment_fixed_size: 0
    .kernarg_segment_align: 8
    .kernarg_segment_size: 40
    .language:       OpenCL C
    .language_version:
      - 2
      - 0
    .max_flat_workgroup_size: 512
    .name:           _ZN7rocprim17ROCPRIM_400000_NS6detail17trampoline_kernelINS0_14default_configENS1_25transform_config_selectorIxLb0EEEZNS1_14transform_implILb0ES3_S5_PxN6thrust23THRUST_200600_302600_NS6detail15normal_iteratorINS9_10device_ptrIxEEEENS0_8identityIxEEEE10hipError_tT2_T3_mT4_P12ihipStream_tbEUlT_E_NS1_11comp_targetILNS1_3genE10ELNS1_11target_archE1200ELNS1_3gpuE4ELNS1_3repE0EEENS1_30default_config_static_selectorELNS0_4arch9wavefront6targetE1EEEvT1_
    .private_segment_fixed_size: 0
    .sgpr_count:     4
    .sgpr_spill_count: 0
    .symbol:         _ZN7rocprim17ROCPRIM_400000_NS6detail17trampoline_kernelINS0_14default_configENS1_25transform_config_selectorIxLb0EEEZNS1_14transform_implILb0ES3_S5_PxN6thrust23THRUST_200600_302600_NS6detail15normal_iteratorINS9_10device_ptrIxEEEENS0_8identityIxEEEE10hipError_tT2_T3_mT4_P12ihipStream_tbEUlT_E_NS1_11comp_targetILNS1_3genE10ELNS1_11target_archE1200ELNS1_3gpuE4ELNS1_3repE0EEENS1_30default_config_static_selectorELNS0_4arch9wavefront6targetE1EEEvT1_.kd
    .uniform_work_group_size: 1
    .uses_dynamic_stack: false
    .vgpr_count:     0
    .vgpr_spill_count: 0
    .wavefront_size: 64
  - .agpr_count:     0
    .args:
      - .offset:         0
        .size:           40
        .value_kind:     by_value
    .group_segment_fixed_size: 0
    .kernarg_segment_align: 8
    .kernarg_segment_size: 40
    .language:       OpenCL C
    .language_version:
      - 2
      - 0
    .max_flat_workgroup_size: 512
    .name:           _ZN7rocprim17ROCPRIM_400000_NS6detail17trampoline_kernelINS0_14default_configENS1_25transform_config_selectorIxLb0EEEZNS1_14transform_implILb0ES3_S5_PxN6thrust23THRUST_200600_302600_NS6detail15normal_iteratorINS9_10device_ptrIxEEEENS0_8identityIxEEEE10hipError_tT2_T3_mT4_P12ihipStream_tbEUlT_E_NS1_11comp_targetILNS1_3genE9ELNS1_11target_archE1100ELNS1_3gpuE3ELNS1_3repE0EEENS1_30default_config_static_selectorELNS0_4arch9wavefront6targetE1EEEvT1_
    .private_segment_fixed_size: 0
    .sgpr_count:     4
    .sgpr_spill_count: 0
    .symbol:         _ZN7rocprim17ROCPRIM_400000_NS6detail17trampoline_kernelINS0_14default_configENS1_25transform_config_selectorIxLb0EEEZNS1_14transform_implILb0ES3_S5_PxN6thrust23THRUST_200600_302600_NS6detail15normal_iteratorINS9_10device_ptrIxEEEENS0_8identityIxEEEE10hipError_tT2_T3_mT4_P12ihipStream_tbEUlT_E_NS1_11comp_targetILNS1_3genE9ELNS1_11target_archE1100ELNS1_3gpuE3ELNS1_3repE0EEENS1_30default_config_static_selectorELNS0_4arch9wavefront6targetE1EEEvT1_.kd
    .uniform_work_group_size: 1
    .uses_dynamic_stack: false
    .vgpr_count:     0
    .vgpr_spill_count: 0
    .wavefront_size: 64
  - .agpr_count:     0
    .args:
      - .offset:         0
        .size:           40
        .value_kind:     by_value
    .group_segment_fixed_size: 0
    .kernarg_segment_align: 8
    .kernarg_segment_size: 40
    .language:       OpenCL C
    .language_version:
      - 2
      - 0
    .max_flat_workgroup_size: 512
    .name:           _ZN7rocprim17ROCPRIM_400000_NS6detail17trampoline_kernelINS0_14default_configENS1_25transform_config_selectorIxLb0EEEZNS1_14transform_implILb0ES3_S5_PxN6thrust23THRUST_200600_302600_NS6detail15normal_iteratorINS9_10device_ptrIxEEEENS0_8identityIxEEEE10hipError_tT2_T3_mT4_P12ihipStream_tbEUlT_E_NS1_11comp_targetILNS1_3genE8ELNS1_11target_archE1030ELNS1_3gpuE2ELNS1_3repE0EEENS1_30default_config_static_selectorELNS0_4arch9wavefront6targetE1EEEvT1_
    .private_segment_fixed_size: 0
    .sgpr_count:     4
    .sgpr_spill_count: 0
    .symbol:         _ZN7rocprim17ROCPRIM_400000_NS6detail17trampoline_kernelINS0_14default_configENS1_25transform_config_selectorIxLb0EEEZNS1_14transform_implILb0ES3_S5_PxN6thrust23THRUST_200600_302600_NS6detail15normal_iteratorINS9_10device_ptrIxEEEENS0_8identityIxEEEE10hipError_tT2_T3_mT4_P12ihipStream_tbEUlT_E_NS1_11comp_targetILNS1_3genE8ELNS1_11target_archE1030ELNS1_3gpuE2ELNS1_3repE0EEENS1_30default_config_static_selectorELNS0_4arch9wavefront6targetE1EEEvT1_.kd
    .uniform_work_group_size: 1
    .uses_dynamic_stack: false
    .vgpr_count:     0
    .vgpr_spill_count: 0
    .wavefront_size: 64
  - .agpr_count:     0
    .args:           []
    .group_segment_fixed_size: 0
    .kernarg_segment_align: 4
    .kernarg_segment_size: 0
    .language:       OpenCL C
    .language_version:
      - 2
      - 0
    .max_flat_workgroup_size: 1024
    .name:           _ZN7rocprim17ROCPRIM_400000_NS6detail44device_merge_sort_compile_time_verifier_archINS1_11comp_targetILNS1_3genE0ELNS1_11target_archE4294967295ELNS1_3gpuE0ELNS1_3repE0EEES8_NS0_14default_configES9_NS1_37merge_sort_block_sort_config_selectorIyNS0_10empty_typeEEENS1_38merge_sort_block_merge_config_selectorIySB_EEEEvv
    .private_segment_fixed_size: 0
    .sgpr_count:     4
    .sgpr_spill_count: 0
    .symbol:         _ZN7rocprim17ROCPRIM_400000_NS6detail44device_merge_sort_compile_time_verifier_archINS1_11comp_targetILNS1_3genE0ELNS1_11target_archE4294967295ELNS1_3gpuE0ELNS1_3repE0EEES8_NS0_14default_configES9_NS1_37merge_sort_block_sort_config_selectorIyNS0_10empty_typeEEENS1_38merge_sort_block_merge_config_selectorIySB_EEEEvv.kd
    .uniform_work_group_size: 1
    .uses_dynamic_stack: false
    .vgpr_count:     0
    .vgpr_spill_count: 0
    .wavefront_size: 64
  - .agpr_count:     0
    .args:           []
    .group_segment_fixed_size: 0
    .kernarg_segment_align: 4
    .kernarg_segment_size: 0
    .language:       OpenCL C
    .language_version:
      - 2
      - 0
    .max_flat_workgroup_size: 1024
    .name:           _ZN7rocprim17ROCPRIM_400000_NS6detail44device_merge_sort_compile_time_verifier_archINS1_11comp_targetILNS1_3genE5ELNS1_11target_archE942ELNS1_3gpuE9ELNS1_3repE0EEES8_NS0_14default_configES9_NS1_37merge_sort_block_sort_config_selectorIyNS0_10empty_typeEEENS1_38merge_sort_block_merge_config_selectorIySB_EEEEvv
    .private_segment_fixed_size: 0
    .sgpr_count:     4
    .sgpr_spill_count: 0
    .symbol:         _ZN7rocprim17ROCPRIM_400000_NS6detail44device_merge_sort_compile_time_verifier_archINS1_11comp_targetILNS1_3genE5ELNS1_11target_archE942ELNS1_3gpuE9ELNS1_3repE0EEES8_NS0_14default_configES9_NS1_37merge_sort_block_sort_config_selectorIyNS0_10empty_typeEEENS1_38merge_sort_block_merge_config_selectorIySB_EEEEvv.kd
    .uniform_work_group_size: 1
    .uses_dynamic_stack: false
    .vgpr_count:     0
    .vgpr_spill_count: 0
    .wavefront_size: 64
  - .agpr_count:     0
    .args:           []
    .group_segment_fixed_size: 0
    .kernarg_segment_align: 4
    .kernarg_segment_size: 0
    .language:       OpenCL C
    .language_version:
      - 2
      - 0
    .max_flat_workgroup_size: 1024
    .name:           _ZN7rocprim17ROCPRIM_400000_NS6detail44device_merge_sort_compile_time_verifier_archINS1_11comp_targetILNS1_3genE4ELNS1_11target_archE910ELNS1_3gpuE8ELNS1_3repE0EEES8_NS0_14default_configES9_NS1_37merge_sort_block_sort_config_selectorIyNS0_10empty_typeEEENS1_38merge_sort_block_merge_config_selectorIySB_EEEEvv
    .private_segment_fixed_size: 0
    .sgpr_count:     4
    .sgpr_spill_count: 0
    .symbol:         _ZN7rocprim17ROCPRIM_400000_NS6detail44device_merge_sort_compile_time_verifier_archINS1_11comp_targetILNS1_3genE4ELNS1_11target_archE910ELNS1_3gpuE8ELNS1_3repE0EEES8_NS0_14default_configES9_NS1_37merge_sort_block_sort_config_selectorIyNS0_10empty_typeEEENS1_38merge_sort_block_merge_config_selectorIySB_EEEEvv.kd
    .uniform_work_group_size: 1
    .uses_dynamic_stack: false
    .vgpr_count:     0
    .vgpr_spill_count: 0
    .wavefront_size: 64
  - .agpr_count:     0
    .args:           []
    .group_segment_fixed_size: 0
    .kernarg_segment_align: 4
    .kernarg_segment_size: 0
    .language:       OpenCL C
    .language_version:
      - 2
      - 0
    .max_flat_workgroup_size: 1024
    .name:           _ZN7rocprim17ROCPRIM_400000_NS6detail44device_merge_sort_compile_time_verifier_archINS1_11comp_targetILNS1_3genE3ELNS1_11target_archE908ELNS1_3gpuE7ELNS1_3repE0EEES8_NS0_14default_configES9_NS1_37merge_sort_block_sort_config_selectorIyNS0_10empty_typeEEENS1_38merge_sort_block_merge_config_selectorIySB_EEEEvv
    .private_segment_fixed_size: 0
    .sgpr_count:     4
    .sgpr_spill_count: 0
    .symbol:         _ZN7rocprim17ROCPRIM_400000_NS6detail44device_merge_sort_compile_time_verifier_archINS1_11comp_targetILNS1_3genE3ELNS1_11target_archE908ELNS1_3gpuE7ELNS1_3repE0EEES8_NS0_14default_configES9_NS1_37merge_sort_block_sort_config_selectorIyNS0_10empty_typeEEENS1_38merge_sort_block_merge_config_selectorIySB_EEEEvv.kd
    .uniform_work_group_size: 1
    .uses_dynamic_stack: false
    .vgpr_count:     0
    .vgpr_spill_count: 0
    .wavefront_size: 64
  - .agpr_count:     0
    .args:           []
    .group_segment_fixed_size: 0
    .kernarg_segment_align: 4
    .kernarg_segment_size: 0
    .language:       OpenCL C
    .language_version:
      - 2
      - 0
    .max_flat_workgroup_size: 1024
    .name:           _ZN7rocprim17ROCPRIM_400000_NS6detail44device_merge_sort_compile_time_verifier_archINS1_11comp_targetILNS1_3genE2ELNS1_11target_archE906ELNS1_3gpuE6ELNS1_3repE0EEES8_NS0_14default_configES9_NS1_37merge_sort_block_sort_config_selectorIyNS0_10empty_typeEEENS1_38merge_sort_block_merge_config_selectorIySB_EEEEvv
    .private_segment_fixed_size: 0
    .sgpr_count:     4
    .sgpr_spill_count: 0
    .symbol:         _ZN7rocprim17ROCPRIM_400000_NS6detail44device_merge_sort_compile_time_verifier_archINS1_11comp_targetILNS1_3genE2ELNS1_11target_archE906ELNS1_3gpuE6ELNS1_3repE0EEES8_NS0_14default_configES9_NS1_37merge_sort_block_sort_config_selectorIyNS0_10empty_typeEEENS1_38merge_sort_block_merge_config_selectorIySB_EEEEvv.kd
    .uniform_work_group_size: 1
    .uses_dynamic_stack: false
    .vgpr_count:     0
    .vgpr_spill_count: 0
    .wavefront_size: 64
  - .agpr_count:     0
    .args:           []
    .group_segment_fixed_size: 0
    .kernarg_segment_align: 4
    .kernarg_segment_size: 0
    .language:       OpenCL C
    .language_version:
      - 2
      - 0
    .max_flat_workgroup_size: 1024
    .name:           _ZN7rocprim17ROCPRIM_400000_NS6detail44device_merge_sort_compile_time_verifier_archINS1_11comp_targetILNS1_3genE10ELNS1_11target_archE1201ELNS1_3gpuE5ELNS1_3repE0EEES8_NS0_14default_configES9_NS1_37merge_sort_block_sort_config_selectorIyNS0_10empty_typeEEENS1_38merge_sort_block_merge_config_selectorIySB_EEEEvv
    .private_segment_fixed_size: 0
    .sgpr_count:     4
    .sgpr_spill_count: 0
    .symbol:         _ZN7rocprim17ROCPRIM_400000_NS6detail44device_merge_sort_compile_time_verifier_archINS1_11comp_targetILNS1_3genE10ELNS1_11target_archE1201ELNS1_3gpuE5ELNS1_3repE0EEES8_NS0_14default_configES9_NS1_37merge_sort_block_sort_config_selectorIyNS0_10empty_typeEEENS1_38merge_sort_block_merge_config_selectorIySB_EEEEvv.kd
    .uniform_work_group_size: 1
    .uses_dynamic_stack: false
    .vgpr_count:     0
    .vgpr_spill_count: 0
    .wavefront_size: 64
  - .agpr_count:     0
    .args:           []
    .group_segment_fixed_size: 0
    .kernarg_segment_align: 4
    .kernarg_segment_size: 0
    .language:       OpenCL C
    .language_version:
      - 2
      - 0
    .max_flat_workgroup_size: 1024
    .name:           _ZN7rocprim17ROCPRIM_400000_NS6detail44device_merge_sort_compile_time_verifier_archINS1_11comp_targetILNS1_3genE10ELNS1_11target_archE1200ELNS1_3gpuE4ELNS1_3repE0EEENS3_ILS4_10ELS5_1201ELS6_5ELS7_0EEENS0_14default_configESA_NS1_37merge_sort_block_sort_config_selectorIyNS0_10empty_typeEEENS1_38merge_sort_block_merge_config_selectorIySC_EEEEvv
    .private_segment_fixed_size: 0
    .sgpr_count:     4
    .sgpr_spill_count: 0
    .symbol:         _ZN7rocprim17ROCPRIM_400000_NS6detail44device_merge_sort_compile_time_verifier_archINS1_11comp_targetILNS1_3genE10ELNS1_11target_archE1200ELNS1_3gpuE4ELNS1_3repE0EEENS3_ILS4_10ELS5_1201ELS6_5ELS7_0EEENS0_14default_configESA_NS1_37merge_sort_block_sort_config_selectorIyNS0_10empty_typeEEENS1_38merge_sort_block_merge_config_selectorIySC_EEEEvv.kd
    .uniform_work_group_size: 1
    .uses_dynamic_stack: false
    .vgpr_count:     0
    .vgpr_spill_count: 0
    .wavefront_size: 64
  - .agpr_count:     0
    .args:           []
    .group_segment_fixed_size: 0
    .kernarg_segment_align: 4
    .kernarg_segment_size: 0
    .language:       OpenCL C
    .language_version:
      - 2
      - 0
    .max_flat_workgroup_size: 1024
    .name:           _ZN7rocprim17ROCPRIM_400000_NS6detail44device_merge_sort_compile_time_verifier_archINS1_11comp_targetILNS1_3genE9ELNS1_11target_archE1100ELNS1_3gpuE3ELNS1_3repE0EEES8_NS0_14default_configES9_NS1_37merge_sort_block_sort_config_selectorIyNS0_10empty_typeEEENS1_38merge_sort_block_merge_config_selectorIySB_EEEEvv
    .private_segment_fixed_size: 0
    .sgpr_count:     4
    .sgpr_spill_count: 0
    .symbol:         _ZN7rocprim17ROCPRIM_400000_NS6detail44device_merge_sort_compile_time_verifier_archINS1_11comp_targetILNS1_3genE9ELNS1_11target_archE1100ELNS1_3gpuE3ELNS1_3repE0EEES8_NS0_14default_configES9_NS1_37merge_sort_block_sort_config_selectorIyNS0_10empty_typeEEENS1_38merge_sort_block_merge_config_selectorIySB_EEEEvv.kd
    .uniform_work_group_size: 1
    .uses_dynamic_stack: false
    .vgpr_count:     0
    .vgpr_spill_count: 0
    .wavefront_size: 64
  - .agpr_count:     0
    .args:           []
    .group_segment_fixed_size: 0
    .kernarg_segment_align: 4
    .kernarg_segment_size: 0
    .language:       OpenCL C
    .language_version:
      - 2
      - 0
    .max_flat_workgroup_size: 1024
    .name:           _ZN7rocprim17ROCPRIM_400000_NS6detail44device_merge_sort_compile_time_verifier_archINS1_11comp_targetILNS1_3genE8ELNS1_11target_archE1030ELNS1_3gpuE2ELNS1_3repE0EEES8_NS0_14default_configES9_NS1_37merge_sort_block_sort_config_selectorIyNS0_10empty_typeEEENS1_38merge_sort_block_merge_config_selectorIySB_EEEEvv
    .private_segment_fixed_size: 0
    .sgpr_count:     4
    .sgpr_spill_count: 0
    .symbol:         _ZN7rocprim17ROCPRIM_400000_NS6detail44device_merge_sort_compile_time_verifier_archINS1_11comp_targetILNS1_3genE8ELNS1_11target_archE1030ELNS1_3gpuE2ELNS1_3repE0EEES8_NS0_14default_configES9_NS1_37merge_sort_block_sort_config_selectorIyNS0_10empty_typeEEENS1_38merge_sort_block_merge_config_selectorIySB_EEEEvv.kd
    .uniform_work_group_size: 1
    .uses_dynamic_stack: false
    .vgpr_count:     0
    .vgpr_spill_count: 0
    .wavefront_size: 64
  - .agpr_count:     0
    .args:
      - .offset:         0
        .size:           64
        .value_kind:     by_value
    .group_segment_fixed_size: 0
    .kernarg_segment_align: 8
    .kernarg_segment_size: 64
    .language:       OpenCL C
    .language_version:
      - 2
      - 0
    .max_flat_workgroup_size: 256
    .name:           _ZN7rocprim17ROCPRIM_400000_NS6detail17trampoline_kernelINS0_14default_configENS1_37merge_sort_block_sort_config_selectorIyNS0_10empty_typeEEEZNS1_21merge_sort_block_sortIS3_N6thrust23THRUST_200600_302600_NS6detail15normal_iteratorINS9_10device_ptrIyEEEESE_PS5_SF_14custom_greaterIyEEE10hipError_tT0_T1_T2_T3_mRjT4_P12ihipStream_tbNS1_7vsmem_tEEUlT_E_NS1_11comp_targetILNS1_3genE0ELNS1_11target_archE4294967295ELNS1_3gpuE0ELNS1_3repE0EEENS1_30default_config_static_selectorELNS0_4arch9wavefront6targetE1EEEvSK_
    .private_segment_fixed_size: 0
    .sgpr_count:     4
    .sgpr_spill_count: 0
    .symbol:         _ZN7rocprim17ROCPRIM_400000_NS6detail17trampoline_kernelINS0_14default_configENS1_37merge_sort_block_sort_config_selectorIyNS0_10empty_typeEEEZNS1_21merge_sort_block_sortIS3_N6thrust23THRUST_200600_302600_NS6detail15normal_iteratorINS9_10device_ptrIyEEEESE_PS5_SF_14custom_greaterIyEEE10hipError_tT0_T1_T2_T3_mRjT4_P12ihipStream_tbNS1_7vsmem_tEEUlT_E_NS1_11comp_targetILNS1_3genE0ELNS1_11target_archE4294967295ELNS1_3gpuE0ELNS1_3repE0EEENS1_30default_config_static_selectorELNS0_4arch9wavefront6targetE1EEEvSK_.kd
    .uniform_work_group_size: 1
    .uses_dynamic_stack: false
    .vgpr_count:     0
    .vgpr_spill_count: 0
    .wavefront_size: 64
  - .agpr_count:     0
    .args:
      - .offset:         0
        .size:           64
        .value_kind:     by_value
    .group_segment_fixed_size: 0
    .kernarg_segment_align: 8
    .kernarg_segment_size: 64
    .language:       OpenCL C
    .language_version:
      - 2
      - 0
    .max_flat_workgroup_size: 256
    .name:           _ZN7rocprim17ROCPRIM_400000_NS6detail17trampoline_kernelINS0_14default_configENS1_37merge_sort_block_sort_config_selectorIyNS0_10empty_typeEEEZNS1_21merge_sort_block_sortIS3_N6thrust23THRUST_200600_302600_NS6detail15normal_iteratorINS9_10device_ptrIyEEEESE_PS5_SF_14custom_greaterIyEEE10hipError_tT0_T1_T2_T3_mRjT4_P12ihipStream_tbNS1_7vsmem_tEEUlT_E_NS1_11comp_targetILNS1_3genE5ELNS1_11target_archE942ELNS1_3gpuE9ELNS1_3repE0EEENS1_30default_config_static_selectorELNS0_4arch9wavefront6targetE1EEEvSK_
    .private_segment_fixed_size: 0
    .sgpr_count:     4
    .sgpr_spill_count: 0
    .symbol:         _ZN7rocprim17ROCPRIM_400000_NS6detail17trampoline_kernelINS0_14default_configENS1_37merge_sort_block_sort_config_selectorIyNS0_10empty_typeEEEZNS1_21merge_sort_block_sortIS3_N6thrust23THRUST_200600_302600_NS6detail15normal_iteratorINS9_10device_ptrIyEEEESE_PS5_SF_14custom_greaterIyEEE10hipError_tT0_T1_T2_T3_mRjT4_P12ihipStream_tbNS1_7vsmem_tEEUlT_E_NS1_11comp_targetILNS1_3genE5ELNS1_11target_archE942ELNS1_3gpuE9ELNS1_3repE0EEENS1_30default_config_static_selectorELNS0_4arch9wavefront6targetE1EEEvSK_.kd
    .uniform_work_group_size: 1
    .uses_dynamic_stack: false
    .vgpr_count:     0
    .vgpr_spill_count: 0
    .wavefront_size: 64
  - .agpr_count:     0
    .args:
      - .offset:         0
        .size:           64
        .value_kind:     by_value
      - .offset:         64
        .size:           4
        .value_kind:     hidden_block_count_x
      - .offset:         68
        .size:           4
        .value_kind:     hidden_block_count_y
      - .offset:         72
        .size:           4
        .value_kind:     hidden_block_count_z
      - .offset:         76
        .size:           2
        .value_kind:     hidden_group_size_x
      - .offset:         78
        .size:           2
        .value_kind:     hidden_group_size_y
      - .offset:         80
        .size:           2
        .value_kind:     hidden_group_size_z
      - .offset:         82
        .size:           2
        .value_kind:     hidden_remainder_x
      - .offset:         84
        .size:           2
        .value_kind:     hidden_remainder_y
      - .offset:         86
        .size:           2
        .value_kind:     hidden_remainder_z
      - .offset:         104
        .size:           8
        .value_kind:     hidden_global_offset_x
      - .offset:         112
        .size:           8
        .value_kind:     hidden_global_offset_y
      - .offset:         120
        .size:           8
        .value_kind:     hidden_global_offset_z
      - .offset:         128
        .size:           2
        .value_kind:     hidden_grid_dims
    .group_segment_fixed_size: 8448
    .kernarg_segment_align: 8
    .kernarg_segment_size: 320
    .language:       OpenCL C
    .language_version:
      - 2
      - 0
    .max_flat_workgroup_size: 256
    .name:           _ZN7rocprim17ROCPRIM_400000_NS6detail17trampoline_kernelINS0_14default_configENS1_37merge_sort_block_sort_config_selectorIyNS0_10empty_typeEEEZNS1_21merge_sort_block_sortIS3_N6thrust23THRUST_200600_302600_NS6detail15normal_iteratorINS9_10device_ptrIyEEEESE_PS5_SF_14custom_greaterIyEEE10hipError_tT0_T1_T2_T3_mRjT4_P12ihipStream_tbNS1_7vsmem_tEEUlT_E_NS1_11comp_targetILNS1_3genE4ELNS1_11target_archE910ELNS1_3gpuE8ELNS1_3repE0EEENS1_30default_config_static_selectorELNS0_4arch9wavefront6targetE1EEEvSK_
    .private_segment_fixed_size: 0
    .sgpr_count:     25
    .sgpr_spill_count: 0
    .symbol:         _ZN7rocprim17ROCPRIM_400000_NS6detail17trampoline_kernelINS0_14default_configENS1_37merge_sort_block_sort_config_selectorIyNS0_10empty_typeEEEZNS1_21merge_sort_block_sortIS3_N6thrust23THRUST_200600_302600_NS6detail15normal_iteratorINS9_10device_ptrIyEEEESE_PS5_SF_14custom_greaterIyEEE10hipError_tT0_T1_T2_T3_mRjT4_P12ihipStream_tbNS1_7vsmem_tEEUlT_E_NS1_11comp_targetILNS1_3genE4ELNS1_11target_archE910ELNS1_3gpuE8ELNS1_3repE0EEENS1_30default_config_static_selectorELNS0_4arch9wavefront6targetE1EEEvSK_.kd
    .uniform_work_group_size: 1
    .uses_dynamic_stack: false
    .vgpr_count:     39
    .vgpr_spill_count: 0
    .wavefront_size: 64
  - .agpr_count:     0
    .args:
      - .offset:         0
        .size:           64
        .value_kind:     by_value
    .group_segment_fixed_size: 0
    .kernarg_segment_align: 8
    .kernarg_segment_size: 64
    .language:       OpenCL C
    .language_version:
      - 2
      - 0
    .max_flat_workgroup_size: 256
    .name:           _ZN7rocprim17ROCPRIM_400000_NS6detail17trampoline_kernelINS0_14default_configENS1_37merge_sort_block_sort_config_selectorIyNS0_10empty_typeEEEZNS1_21merge_sort_block_sortIS3_N6thrust23THRUST_200600_302600_NS6detail15normal_iteratorINS9_10device_ptrIyEEEESE_PS5_SF_14custom_greaterIyEEE10hipError_tT0_T1_T2_T3_mRjT4_P12ihipStream_tbNS1_7vsmem_tEEUlT_E_NS1_11comp_targetILNS1_3genE3ELNS1_11target_archE908ELNS1_3gpuE7ELNS1_3repE0EEENS1_30default_config_static_selectorELNS0_4arch9wavefront6targetE1EEEvSK_
    .private_segment_fixed_size: 0
    .sgpr_count:     4
    .sgpr_spill_count: 0
    .symbol:         _ZN7rocprim17ROCPRIM_400000_NS6detail17trampoline_kernelINS0_14default_configENS1_37merge_sort_block_sort_config_selectorIyNS0_10empty_typeEEEZNS1_21merge_sort_block_sortIS3_N6thrust23THRUST_200600_302600_NS6detail15normal_iteratorINS9_10device_ptrIyEEEESE_PS5_SF_14custom_greaterIyEEE10hipError_tT0_T1_T2_T3_mRjT4_P12ihipStream_tbNS1_7vsmem_tEEUlT_E_NS1_11comp_targetILNS1_3genE3ELNS1_11target_archE908ELNS1_3gpuE7ELNS1_3repE0EEENS1_30default_config_static_selectorELNS0_4arch9wavefront6targetE1EEEvSK_.kd
    .uniform_work_group_size: 1
    .uses_dynamic_stack: false
    .vgpr_count:     0
    .vgpr_spill_count: 0
    .wavefront_size: 64
  - .agpr_count:     0
    .args:
      - .offset:         0
        .size:           64
        .value_kind:     by_value
    .group_segment_fixed_size: 0
    .kernarg_segment_align: 8
    .kernarg_segment_size: 64
    .language:       OpenCL C
    .language_version:
      - 2
      - 0
    .max_flat_workgroup_size: 256
    .name:           _ZN7rocprim17ROCPRIM_400000_NS6detail17trampoline_kernelINS0_14default_configENS1_37merge_sort_block_sort_config_selectorIyNS0_10empty_typeEEEZNS1_21merge_sort_block_sortIS3_N6thrust23THRUST_200600_302600_NS6detail15normal_iteratorINS9_10device_ptrIyEEEESE_PS5_SF_14custom_greaterIyEEE10hipError_tT0_T1_T2_T3_mRjT4_P12ihipStream_tbNS1_7vsmem_tEEUlT_E_NS1_11comp_targetILNS1_3genE2ELNS1_11target_archE906ELNS1_3gpuE6ELNS1_3repE0EEENS1_30default_config_static_selectorELNS0_4arch9wavefront6targetE1EEEvSK_
    .private_segment_fixed_size: 0
    .sgpr_count:     4
    .sgpr_spill_count: 0
    .symbol:         _ZN7rocprim17ROCPRIM_400000_NS6detail17trampoline_kernelINS0_14default_configENS1_37merge_sort_block_sort_config_selectorIyNS0_10empty_typeEEEZNS1_21merge_sort_block_sortIS3_N6thrust23THRUST_200600_302600_NS6detail15normal_iteratorINS9_10device_ptrIyEEEESE_PS5_SF_14custom_greaterIyEEE10hipError_tT0_T1_T2_T3_mRjT4_P12ihipStream_tbNS1_7vsmem_tEEUlT_E_NS1_11comp_targetILNS1_3genE2ELNS1_11target_archE906ELNS1_3gpuE6ELNS1_3repE0EEENS1_30default_config_static_selectorELNS0_4arch9wavefront6targetE1EEEvSK_.kd
    .uniform_work_group_size: 1
    .uses_dynamic_stack: false
    .vgpr_count:     0
    .vgpr_spill_count: 0
    .wavefront_size: 64
  - .agpr_count:     0
    .args:
      - .offset:         0
        .size:           64
        .value_kind:     by_value
    .group_segment_fixed_size: 0
    .kernarg_segment_align: 8
    .kernarg_segment_size: 64
    .language:       OpenCL C
    .language_version:
      - 2
      - 0
    .max_flat_workgroup_size: 256
    .name:           _ZN7rocprim17ROCPRIM_400000_NS6detail17trampoline_kernelINS0_14default_configENS1_37merge_sort_block_sort_config_selectorIyNS0_10empty_typeEEEZNS1_21merge_sort_block_sortIS3_N6thrust23THRUST_200600_302600_NS6detail15normal_iteratorINS9_10device_ptrIyEEEESE_PS5_SF_14custom_greaterIyEEE10hipError_tT0_T1_T2_T3_mRjT4_P12ihipStream_tbNS1_7vsmem_tEEUlT_E_NS1_11comp_targetILNS1_3genE10ELNS1_11target_archE1201ELNS1_3gpuE5ELNS1_3repE0EEENS1_30default_config_static_selectorELNS0_4arch9wavefront6targetE1EEEvSK_
    .private_segment_fixed_size: 0
    .sgpr_count:     4
    .sgpr_spill_count: 0
    .symbol:         _ZN7rocprim17ROCPRIM_400000_NS6detail17trampoline_kernelINS0_14default_configENS1_37merge_sort_block_sort_config_selectorIyNS0_10empty_typeEEEZNS1_21merge_sort_block_sortIS3_N6thrust23THRUST_200600_302600_NS6detail15normal_iteratorINS9_10device_ptrIyEEEESE_PS5_SF_14custom_greaterIyEEE10hipError_tT0_T1_T2_T3_mRjT4_P12ihipStream_tbNS1_7vsmem_tEEUlT_E_NS1_11comp_targetILNS1_3genE10ELNS1_11target_archE1201ELNS1_3gpuE5ELNS1_3repE0EEENS1_30default_config_static_selectorELNS0_4arch9wavefront6targetE1EEEvSK_.kd
    .uniform_work_group_size: 1
    .uses_dynamic_stack: false
    .vgpr_count:     0
    .vgpr_spill_count: 0
    .wavefront_size: 64
  - .agpr_count:     0
    .args:
      - .offset:         0
        .size:           64
        .value_kind:     by_value
    .group_segment_fixed_size: 0
    .kernarg_segment_align: 8
    .kernarg_segment_size: 64
    .language:       OpenCL C
    .language_version:
      - 2
      - 0
    .max_flat_workgroup_size: 512
    .name:           _ZN7rocprim17ROCPRIM_400000_NS6detail17trampoline_kernelINS0_14default_configENS1_37merge_sort_block_sort_config_selectorIyNS0_10empty_typeEEEZNS1_21merge_sort_block_sortIS3_N6thrust23THRUST_200600_302600_NS6detail15normal_iteratorINS9_10device_ptrIyEEEESE_PS5_SF_14custom_greaterIyEEE10hipError_tT0_T1_T2_T3_mRjT4_P12ihipStream_tbNS1_7vsmem_tEEUlT_E_NS1_11comp_targetILNS1_3genE10ELNS1_11target_archE1200ELNS1_3gpuE4ELNS1_3repE0EEENS1_30default_config_static_selectorELNS0_4arch9wavefront6targetE1EEEvSK_
    .private_segment_fixed_size: 0
    .sgpr_count:     4
    .sgpr_spill_count: 0
    .symbol:         _ZN7rocprim17ROCPRIM_400000_NS6detail17trampoline_kernelINS0_14default_configENS1_37merge_sort_block_sort_config_selectorIyNS0_10empty_typeEEEZNS1_21merge_sort_block_sortIS3_N6thrust23THRUST_200600_302600_NS6detail15normal_iteratorINS9_10device_ptrIyEEEESE_PS5_SF_14custom_greaterIyEEE10hipError_tT0_T1_T2_T3_mRjT4_P12ihipStream_tbNS1_7vsmem_tEEUlT_E_NS1_11comp_targetILNS1_3genE10ELNS1_11target_archE1200ELNS1_3gpuE4ELNS1_3repE0EEENS1_30default_config_static_selectorELNS0_4arch9wavefront6targetE1EEEvSK_.kd
    .uniform_work_group_size: 1
    .uses_dynamic_stack: false
    .vgpr_count:     0
    .vgpr_spill_count: 0
    .wavefront_size: 64
  - .agpr_count:     0
    .args:
      - .offset:         0
        .size:           64
        .value_kind:     by_value
    .group_segment_fixed_size: 0
    .kernarg_segment_align: 8
    .kernarg_segment_size: 64
    .language:       OpenCL C
    .language_version:
      - 2
      - 0
    .max_flat_workgroup_size: 256
    .name:           _ZN7rocprim17ROCPRIM_400000_NS6detail17trampoline_kernelINS0_14default_configENS1_37merge_sort_block_sort_config_selectorIyNS0_10empty_typeEEEZNS1_21merge_sort_block_sortIS3_N6thrust23THRUST_200600_302600_NS6detail15normal_iteratorINS9_10device_ptrIyEEEESE_PS5_SF_14custom_greaterIyEEE10hipError_tT0_T1_T2_T3_mRjT4_P12ihipStream_tbNS1_7vsmem_tEEUlT_E_NS1_11comp_targetILNS1_3genE9ELNS1_11target_archE1100ELNS1_3gpuE3ELNS1_3repE0EEENS1_30default_config_static_selectorELNS0_4arch9wavefront6targetE1EEEvSK_
    .private_segment_fixed_size: 0
    .sgpr_count:     4
    .sgpr_spill_count: 0
    .symbol:         _ZN7rocprim17ROCPRIM_400000_NS6detail17trampoline_kernelINS0_14default_configENS1_37merge_sort_block_sort_config_selectorIyNS0_10empty_typeEEEZNS1_21merge_sort_block_sortIS3_N6thrust23THRUST_200600_302600_NS6detail15normal_iteratorINS9_10device_ptrIyEEEESE_PS5_SF_14custom_greaterIyEEE10hipError_tT0_T1_T2_T3_mRjT4_P12ihipStream_tbNS1_7vsmem_tEEUlT_E_NS1_11comp_targetILNS1_3genE9ELNS1_11target_archE1100ELNS1_3gpuE3ELNS1_3repE0EEENS1_30default_config_static_selectorELNS0_4arch9wavefront6targetE1EEEvSK_.kd
    .uniform_work_group_size: 1
    .uses_dynamic_stack: false
    .vgpr_count:     0
    .vgpr_spill_count: 0
    .wavefront_size: 64
  - .agpr_count:     0
    .args:
      - .offset:         0
        .size:           64
        .value_kind:     by_value
    .group_segment_fixed_size: 0
    .kernarg_segment_align: 8
    .kernarg_segment_size: 64
    .language:       OpenCL C
    .language_version:
      - 2
      - 0
    .max_flat_workgroup_size: 256
    .name:           _ZN7rocprim17ROCPRIM_400000_NS6detail17trampoline_kernelINS0_14default_configENS1_37merge_sort_block_sort_config_selectorIyNS0_10empty_typeEEEZNS1_21merge_sort_block_sortIS3_N6thrust23THRUST_200600_302600_NS6detail15normal_iteratorINS9_10device_ptrIyEEEESE_PS5_SF_14custom_greaterIyEEE10hipError_tT0_T1_T2_T3_mRjT4_P12ihipStream_tbNS1_7vsmem_tEEUlT_E_NS1_11comp_targetILNS1_3genE8ELNS1_11target_archE1030ELNS1_3gpuE2ELNS1_3repE0EEENS1_30default_config_static_selectorELNS0_4arch9wavefront6targetE1EEEvSK_
    .private_segment_fixed_size: 0
    .sgpr_count:     4
    .sgpr_spill_count: 0
    .symbol:         _ZN7rocprim17ROCPRIM_400000_NS6detail17trampoline_kernelINS0_14default_configENS1_37merge_sort_block_sort_config_selectorIyNS0_10empty_typeEEEZNS1_21merge_sort_block_sortIS3_N6thrust23THRUST_200600_302600_NS6detail15normal_iteratorINS9_10device_ptrIyEEEESE_PS5_SF_14custom_greaterIyEEE10hipError_tT0_T1_T2_T3_mRjT4_P12ihipStream_tbNS1_7vsmem_tEEUlT_E_NS1_11comp_targetILNS1_3genE8ELNS1_11target_archE1030ELNS1_3gpuE2ELNS1_3repE0EEENS1_30default_config_static_selectorELNS0_4arch9wavefront6targetE1EEEvSK_.kd
    .uniform_work_group_size: 1
    .uses_dynamic_stack: false
    .vgpr_count:     0
    .vgpr_spill_count: 0
    .wavefront_size: 64
  - .agpr_count:     0
    .args:
      - .offset:         0
        .size:           48
        .value_kind:     by_value
    .group_segment_fixed_size: 0
    .kernarg_segment_align: 8
    .kernarg_segment_size: 48
    .language:       OpenCL C
    .language_version:
      - 2
      - 0
    .max_flat_workgroup_size: 128
    .name:           _ZN7rocprim17ROCPRIM_400000_NS6detail17trampoline_kernelINS0_14default_configENS1_38merge_sort_block_merge_config_selectorIyNS0_10empty_typeEEEZZNS1_27merge_sort_block_merge_implIS3_N6thrust23THRUST_200600_302600_NS6detail15normal_iteratorINS9_10device_ptrIyEEEEPS5_m14custom_greaterIyEEE10hipError_tT0_T1_T2_jT3_P12ihipStream_tbPNSt15iterator_traitsISJ_E10value_typeEPNSP_ISK_E10value_typeEPSL_NS1_7vsmem_tEENKUlT_SJ_SK_SL_E_clIPySE_SF_SF_EESI_SY_SJ_SK_SL_EUlSY_E_NS1_11comp_targetILNS1_3genE0ELNS1_11target_archE4294967295ELNS1_3gpuE0ELNS1_3repE0EEENS1_48merge_mergepath_partition_config_static_selectorELNS0_4arch9wavefront6targetE1EEEvSK_
    .private_segment_fixed_size: 0
    .sgpr_count:     4
    .sgpr_spill_count: 0
    .symbol:         _ZN7rocprim17ROCPRIM_400000_NS6detail17trampoline_kernelINS0_14default_configENS1_38merge_sort_block_merge_config_selectorIyNS0_10empty_typeEEEZZNS1_27merge_sort_block_merge_implIS3_N6thrust23THRUST_200600_302600_NS6detail15normal_iteratorINS9_10device_ptrIyEEEEPS5_m14custom_greaterIyEEE10hipError_tT0_T1_T2_jT3_P12ihipStream_tbPNSt15iterator_traitsISJ_E10value_typeEPNSP_ISK_E10value_typeEPSL_NS1_7vsmem_tEENKUlT_SJ_SK_SL_E_clIPySE_SF_SF_EESI_SY_SJ_SK_SL_EUlSY_E_NS1_11comp_targetILNS1_3genE0ELNS1_11target_archE4294967295ELNS1_3gpuE0ELNS1_3repE0EEENS1_48merge_mergepath_partition_config_static_selectorELNS0_4arch9wavefront6targetE1EEEvSK_.kd
    .uniform_work_group_size: 1
    .uses_dynamic_stack: false
    .vgpr_count:     0
    .vgpr_spill_count: 0
    .wavefront_size: 64
  - .agpr_count:     0
    .args:
      - .offset:         0
        .size:           48
        .value_kind:     by_value
    .group_segment_fixed_size: 0
    .kernarg_segment_align: 8
    .kernarg_segment_size: 48
    .language:       OpenCL C
    .language_version:
      - 2
      - 0
    .max_flat_workgroup_size: 128
    .name:           _ZN7rocprim17ROCPRIM_400000_NS6detail17trampoline_kernelINS0_14default_configENS1_38merge_sort_block_merge_config_selectorIyNS0_10empty_typeEEEZZNS1_27merge_sort_block_merge_implIS3_N6thrust23THRUST_200600_302600_NS6detail15normal_iteratorINS9_10device_ptrIyEEEEPS5_m14custom_greaterIyEEE10hipError_tT0_T1_T2_jT3_P12ihipStream_tbPNSt15iterator_traitsISJ_E10value_typeEPNSP_ISK_E10value_typeEPSL_NS1_7vsmem_tEENKUlT_SJ_SK_SL_E_clIPySE_SF_SF_EESI_SY_SJ_SK_SL_EUlSY_E_NS1_11comp_targetILNS1_3genE10ELNS1_11target_archE1201ELNS1_3gpuE5ELNS1_3repE0EEENS1_48merge_mergepath_partition_config_static_selectorELNS0_4arch9wavefront6targetE1EEEvSK_
    .private_segment_fixed_size: 0
    .sgpr_count:     4
    .sgpr_spill_count: 0
    .symbol:         _ZN7rocprim17ROCPRIM_400000_NS6detail17trampoline_kernelINS0_14default_configENS1_38merge_sort_block_merge_config_selectorIyNS0_10empty_typeEEEZZNS1_27merge_sort_block_merge_implIS3_N6thrust23THRUST_200600_302600_NS6detail15normal_iteratorINS9_10device_ptrIyEEEEPS5_m14custom_greaterIyEEE10hipError_tT0_T1_T2_jT3_P12ihipStream_tbPNSt15iterator_traitsISJ_E10value_typeEPNSP_ISK_E10value_typeEPSL_NS1_7vsmem_tEENKUlT_SJ_SK_SL_E_clIPySE_SF_SF_EESI_SY_SJ_SK_SL_EUlSY_E_NS1_11comp_targetILNS1_3genE10ELNS1_11target_archE1201ELNS1_3gpuE5ELNS1_3repE0EEENS1_48merge_mergepath_partition_config_static_selectorELNS0_4arch9wavefront6targetE1EEEvSK_.kd
    .uniform_work_group_size: 1
    .uses_dynamic_stack: false
    .vgpr_count:     0
    .vgpr_spill_count: 0
    .wavefront_size: 64
  - .agpr_count:     0
    .args:
      - .offset:         0
        .size:           48
        .value_kind:     by_value
    .group_segment_fixed_size: 0
    .kernarg_segment_align: 8
    .kernarg_segment_size: 48
    .language:       OpenCL C
    .language_version:
      - 2
      - 0
    .max_flat_workgroup_size: 128
    .name:           _ZN7rocprim17ROCPRIM_400000_NS6detail17trampoline_kernelINS0_14default_configENS1_38merge_sort_block_merge_config_selectorIyNS0_10empty_typeEEEZZNS1_27merge_sort_block_merge_implIS3_N6thrust23THRUST_200600_302600_NS6detail15normal_iteratorINS9_10device_ptrIyEEEEPS5_m14custom_greaterIyEEE10hipError_tT0_T1_T2_jT3_P12ihipStream_tbPNSt15iterator_traitsISJ_E10value_typeEPNSP_ISK_E10value_typeEPSL_NS1_7vsmem_tEENKUlT_SJ_SK_SL_E_clIPySE_SF_SF_EESI_SY_SJ_SK_SL_EUlSY_E_NS1_11comp_targetILNS1_3genE5ELNS1_11target_archE942ELNS1_3gpuE9ELNS1_3repE0EEENS1_48merge_mergepath_partition_config_static_selectorELNS0_4arch9wavefront6targetE1EEEvSK_
    .private_segment_fixed_size: 0
    .sgpr_count:     4
    .sgpr_spill_count: 0
    .symbol:         _ZN7rocprim17ROCPRIM_400000_NS6detail17trampoline_kernelINS0_14default_configENS1_38merge_sort_block_merge_config_selectorIyNS0_10empty_typeEEEZZNS1_27merge_sort_block_merge_implIS3_N6thrust23THRUST_200600_302600_NS6detail15normal_iteratorINS9_10device_ptrIyEEEEPS5_m14custom_greaterIyEEE10hipError_tT0_T1_T2_jT3_P12ihipStream_tbPNSt15iterator_traitsISJ_E10value_typeEPNSP_ISK_E10value_typeEPSL_NS1_7vsmem_tEENKUlT_SJ_SK_SL_E_clIPySE_SF_SF_EESI_SY_SJ_SK_SL_EUlSY_E_NS1_11comp_targetILNS1_3genE5ELNS1_11target_archE942ELNS1_3gpuE9ELNS1_3repE0EEENS1_48merge_mergepath_partition_config_static_selectorELNS0_4arch9wavefront6targetE1EEEvSK_.kd
    .uniform_work_group_size: 1
    .uses_dynamic_stack: false
    .vgpr_count:     0
    .vgpr_spill_count: 0
    .wavefront_size: 64
  - .agpr_count:     0
    .args:
      - .offset:         0
        .size:           48
        .value_kind:     by_value
    .group_segment_fixed_size: 0
    .kernarg_segment_align: 8
    .kernarg_segment_size: 48
    .language:       OpenCL C
    .language_version:
      - 2
      - 0
    .max_flat_workgroup_size: 128
    .name:           _ZN7rocprim17ROCPRIM_400000_NS6detail17trampoline_kernelINS0_14default_configENS1_38merge_sort_block_merge_config_selectorIyNS0_10empty_typeEEEZZNS1_27merge_sort_block_merge_implIS3_N6thrust23THRUST_200600_302600_NS6detail15normal_iteratorINS9_10device_ptrIyEEEEPS5_m14custom_greaterIyEEE10hipError_tT0_T1_T2_jT3_P12ihipStream_tbPNSt15iterator_traitsISJ_E10value_typeEPNSP_ISK_E10value_typeEPSL_NS1_7vsmem_tEENKUlT_SJ_SK_SL_E_clIPySE_SF_SF_EESI_SY_SJ_SK_SL_EUlSY_E_NS1_11comp_targetILNS1_3genE4ELNS1_11target_archE910ELNS1_3gpuE8ELNS1_3repE0EEENS1_48merge_mergepath_partition_config_static_selectorELNS0_4arch9wavefront6targetE1EEEvSK_
    .private_segment_fixed_size: 0
    .sgpr_count:     12
    .sgpr_spill_count: 0
    .symbol:         _ZN7rocprim17ROCPRIM_400000_NS6detail17trampoline_kernelINS0_14default_configENS1_38merge_sort_block_merge_config_selectorIyNS0_10empty_typeEEEZZNS1_27merge_sort_block_merge_implIS3_N6thrust23THRUST_200600_302600_NS6detail15normal_iteratorINS9_10device_ptrIyEEEEPS5_m14custom_greaterIyEEE10hipError_tT0_T1_T2_jT3_P12ihipStream_tbPNSt15iterator_traitsISJ_E10value_typeEPNSP_ISK_E10value_typeEPSL_NS1_7vsmem_tEENKUlT_SJ_SK_SL_E_clIPySE_SF_SF_EESI_SY_SJ_SK_SL_EUlSY_E_NS1_11comp_targetILNS1_3genE4ELNS1_11target_archE910ELNS1_3gpuE8ELNS1_3repE0EEENS1_48merge_mergepath_partition_config_static_selectorELNS0_4arch9wavefront6targetE1EEEvSK_.kd
    .uniform_work_group_size: 1
    .uses_dynamic_stack: false
    .vgpr_count:     22
    .vgpr_spill_count: 0
    .wavefront_size: 64
  - .agpr_count:     0
    .args:
      - .offset:         0
        .size:           48
        .value_kind:     by_value
    .group_segment_fixed_size: 0
    .kernarg_segment_align: 8
    .kernarg_segment_size: 48
    .language:       OpenCL C
    .language_version:
      - 2
      - 0
    .max_flat_workgroup_size: 128
    .name:           _ZN7rocprim17ROCPRIM_400000_NS6detail17trampoline_kernelINS0_14default_configENS1_38merge_sort_block_merge_config_selectorIyNS0_10empty_typeEEEZZNS1_27merge_sort_block_merge_implIS3_N6thrust23THRUST_200600_302600_NS6detail15normal_iteratorINS9_10device_ptrIyEEEEPS5_m14custom_greaterIyEEE10hipError_tT0_T1_T2_jT3_P12ihipStream_tbPNSt15iterator_traitsISJ_E10value_typeEPNSP_ISK_E10value_typeEPSL_NS1_7vsmem_tEENKUlT_SJ_SK_SL_E_clIPySE_SF_SF_EESI_SY_SJ_SK_SL_EUlSY_E_NS1_11comp_targetILNS1_3genE3ELNS1_11target_archE908ELNS1_3gpuE7ELNS1_3repE0EEENS1_48merge_mergepath_partition_config_static_selectorELNS0_4arch9wavefront6targetE1EEEvSK_
    .private_segment_fixed_size: 0
    .sgpr_count:     4
    .sgpr_spill_count: 0
    .symbol:         _ZN7rocprim17ROCPRIM_400000_NS6detail17trampoline_kernelINS0_14default_configENS1_38merge_sort_block_merge_config_selectorIyNS0_10empty_typeEEEZZNS1_27merge_sort_block_merge_implIS3_N6thrust23THRUST_200600_302600_NS6detail15normal_iteratorINS9_10device_ptrIyEEEEPS5_m14custom_greaterIyEEE10hipError_tT0_T1_T2_jT3_P12ihipStream_tbPNSt15iterator_traitsISJ_E10value_typeEPNSP_ISK_E10value_typeEPSL_NS1_7vsmem_tEENKUlT_SJ_SK_SL_E_clIPySE_SF_SF_EESI_SY_SJ_SK_SL_EUlSY_E_NS1_11comp_targetILNS1_3genE3ELNS1_11target_archE908ELNS1_3gpuE7ELNS1_3repE0EEENS1_48merge_mergepath_partition_config_static_selectorELNS0_4arch9wavefront6targetE1EEEvSK_.kd
    .uniform_work_group_size: 1
    .uses_dynamic_stack: false
    .vgpr_count:     0
    .vgpr_spill_count: 0
    .wavefront_size: 64
  - .agpr_count:     0
    .args:
      - .offset:         0
        .size:           48
        .value_kind:     by_value
    .group_segment_fixed_size: 0
    .kernarg_segment_align: 8
    .kernarg_segment_size: 48
    .language:       OpenCL C
    .language_version:
      - 2
      - 0
    .max_flat_workgroup_size: 128
    .name:           _ZN7rocprim17ROCPRIM_400000_NS6detail17trampoline_kernelINS0_14default_configENS1_38merge_sort_block_merge_config_selectorIyNS0_10empty_typeEEEZZNS1_27merge_sort_block_merge_implIS3_N6thrust23THRUST_200600_302600_NS6detail15normal_iteratorINS9_10device_ptrIyEEEEPS5_m14custom_greaterIyEEE10hipError_tT0_T1_T2_jT3_P12ihipStream_tbPNSt15iterator_traitsISJ_E10value_typeEPNSP_ISK_E10value_typeEPSL_NS1_7vsmem_tEENKUlT_SJ_SK_SL_E_clIPySE_SF_SF_EESI_SY_SJ_SK_SL_EUlSY_E_NS1_11comp_targetILNS1_3genE2ELNS1_11target_archE906ELNS1_3gpuE6ELNS1_3repE0EEENS1_48merge_mergepath_partition_config_static_selectorELNS0_4arch9wavefront6targetE1EEEvSK_
    .private_segment_fixed_size: 0
    .sgpr_count:     4
    .sgpr_spill_count: 0
    .symbol:         _ZN7rocprim17ROCPRIM_400000_NS6detail17trampoline_kernelINS0_14default_configENS1_38merge_sort_block_merge_config_selectorIyNS0_10empty_typeEEEZZNS1_27merge_sort_block_merge_implIS3_N6thrust23THRUST_200600_302600_NS6detail15normal_iteratorINS9_10device_ptrIyEEEEPS5_m14custom_greaterIyEEE10hipError_tT0_T1_T2_jT3_P12ihipStream_tbPNSt15iterator_traitsISJ_E10value_typeEPNSP_ISK_E10value_typeEPSL_NS1_7vsmem_tEENKUlT_SJ_SK_SL_E_clIPySE_SF_SF_EESI_SY_SJ_SK_SL_EUlSY_E_NS1_11comp_targetILNS1_3genE2ELNS1_11target_archE906ELNS1_3gpuE6ELNS1_3repE0EEENS1_48merge_mergepath_partition_config_static_selectorELNS0_4arch9wavefront6targetE1EEEvSK_.kd
    .uniform_work_group_size: 1
    .uses_dynamic_stack: false
    .vgpr_count:     0
    .vgpr_spill_count: 0
    .wavefront_size: 64
  - .agpr_count:     0
    .args:
      - .offset:         0
        .size:           48
        .value_kind:     by_value
    .group_segment_fixed_size: 0
    .kernarg_segment_align: 8
    .kernarg_segment_size: 48
    .language:       OpenCL C
    .language_version:
      - 2
      - 0
    .max_flat_workgroup_size: 128
    .name:           _ZN7rocprim17ROCPRIM_400000_NS6detail17trampoline_kernelINS0_14default_configENS1_38merge_sort_block_merge_config_selectorIyNS0_10empty_typeEEEZZNS1_27merge_sort_block_merge_implIS3_N6thrust23THRUST_200600_302600_NS6detail15normal_iteratorINS9_10device_ptrIyEEEEPS5_m14custom_greaterIyEEE10hipError_tT0_T1_T2_jT3_P12ihipStream_tbPNSt15iterator_traitsISJ_E10value_typeEPNSP_ISK_E10value_typeEPSL_NS1_7vsmem_tEENKUlT_SJ_SK_SL_E_clIPySE_SF_SF_EESI_SY_SJ_SK_SL_EUlSY_E_NS1_11comp_targetILNS1_3genE9ELNS1_11target_archE1100ELNS1_3gpuE3ELNS1_3repE0EEENS1_48merge_mergepath_partition_config_static_selectorELNS0_4arch9wavefront6targetE1EEEvSK_
    .private_segment_fixed_size: 0
    .sgpr_count:     4
    .sgpr_spill_count: 0
    .symbol:         _ZN7rocprim17ROCPRIM_400000_NS6detail17trampoline_kernelINS0_14default_configENS1_38merge_sort_block_merge_config_selectorIyNS0_10empty_typeEEEZZNS1_27merge_sort_block_merge_implIS3_N6thrust23THRUST_200600_302600_NS6detail15normal_iteratorINS9_10device_ptrIyEEEEPS5_m14custom_greaterIyEEE10hipError_tT0_T1_T2_jT3_P12ihipStream_tbPNSt15iterator_traitsISJ_E10value_typeEPNSP_ISK_E10value_typeEPSL_NS1_7vsmem_tEENKUlT_SJ_SK_SL_E_clIPySE_SF_SF_EESI_SY_SJ_SK_SL_EUlSY_E_NS1_11comp_targetILNS1_3genE9ELNS1_11target_archE1100ELNS1_3gpuE3ELNS1_3repE0EEENS1_48merge_mergepath_partition_config_static_selectorELNS0_4arch9wavefront6targetE1EEEvSK_.kd
    .uniform_work_group_size: 1
    .uses_dynamic_stack: false
    .vgpr_count:     0
    .vgpr_spill_count: 0
    .wavefront_size: 64
  - .agpr_count:     0
    .args:
      - .offset:         0
        .size:           48
        .value_kind:     by_value
    .group_segment_fixed_size: 0
    .kernarg_segment_align: 8
    .kernarg_segment_size: 48
    .language:       OpenCL C
    .language_version:
      - 2
      - 0
    .max_flat_workgroup_size: 128
    .name:           _ZN7rocprim17ROCPRIM_400000_NS6detail17trampoline_kernelINS0_14default_configENS1_38merge_sort_block_merge_config_selectorIyNS0_10empty_typeEEEZZNS1_27merge_sort_block_merge_implIS3_N6thrust23THRUST_200600_302600_NS6detail15normal_iteratorINS9_10device_ptrIyEEEEPS5_m14custom_greaterIyEEE10hipError_tT0_T1_T2_jT3_P12ihipStream_tbPNSt15iterator_traitsISJ_E10value_typeEPNSP_ISK_E10value_typeEPSL_NS1_7vsmem_tEENKUlT_SJ_SK_SL_E_clIPySE_SF_SF_EESI_SY_SJ_SK_SL_EUlSY_E_NS1_11comp_targetILNS1_3genE8ELNS1_11target_archE1030ELNS1_3gpuE2ELNS1_3repE0EEENS1_48merge_mergepath_partition_config_static_selectorELNS0_4arch9wavefront6targetE1EEEvSK_
    .private_segment_fixed_size: 0
    .sgpr_count:     4
    .sgpr_spill_count: 0
    .symbol:         _ZN7rocprim17ROCPRIM_400000_NS6detail17trampoline_kernelINS0_14default_configENS1_38merge_sort_block_merge_config_selectorIyNS0_10empty_typeEEEZZNS1_27merge_sort_block_merge_implIS3_N6thrust23THRUST_200600_302600_NS6detail15normal_iteratorINS9_10device_ptrIyEEEEPS5_m14custom_greaterIyEEE10hipError_tT0_T1_T2_jT3_P12ihipStream_tbPNSt15iterator_traitsISJ_E10value_typeEPNSP_ISK_E10value_typeEPSL_NS1_7vsmem_tEENKUlT_SJ_SK_SL_E_clIPySE_SF_SF_EESI_SY_SJ_SK_SL_EUlSY_E_NS1_11comp_targetILNS1_3genE8ELNS1_11target_archE1030ELNS1_3gpuE2ELNS1_3repE0EEENS1_48merge_mergepath_partition_config_static_selectorELNS0_4arch9wavefront6targetE1EEEvSK_.kd
    .uniform_work_group_size: 1
    .uses_dynamic_stack: false
    .vgpr_count:     0
    .vgpr_spill_count: 0
    .wavefront_size: 64
  - .agpr_count:     0
    .args:
      - .offset:         0
        .size:           72
        .value_kind:     by_value
    .group_segment_fixed_size: 0
    .kernarg_segment_align: 8
    .kernarg_segment_size: 72
    .language:       OpenCL C
    .language_version:
      - 2
      - 0
    .max_flat_workgroup_size: 128
    .name:           _ZN7rocprim17ROCPRIM_400000_NS6detail17trampoline_kernelINS0_14default_configENS1_38merge_sort_block_merge_config_selectorIyNS0_10empty_typeEEEZZNS1_27merge_sort_block_merge_implIS3_N6thrust23THRUST_200600_302600_NS6detail15normal_iteratorINS9_10device_ptrIyEEEEPS5_m14custom_greaterIyEEE10hipError_tT0_T1_T2_jT3_P12ihipStream_tbPNSt15iterator_traitsISJ_E10value_typeEPNSP_ISK_E10value_typeEPSL_NS1_7vsmem_tEENKUlT_SJ_SK_SL_E_clIPySE_SF_SF_EESI_SY_SJ_SK_SL_EUlSY_E0_NS1_11comp_targetILNS1_3genE0ELNS1_11target_archE4294967295ELNS1_3gpuE0ELNS1_3repE0EEENS1_38merge_mergepath_config_static_selectorELNS0_4arch9wavefront6targetE1EEEvSK_
    .private_segment_fixed_size: 0
    .sgpr_count:     4
    .sgpr_spill_count: 0
    .symbol:         _ZN7rocprim17ROCPRIM_400000_NS6detail17trampoline_kernelINS0_14default_configENS1_38merge_sort_block_merge_config_selectorIyNS0_10empty_typeEEEZZNS1_27merge_sort_block_merge_implIS3_N6thrust23THRUST_200600_302600_NS6detail15normal_iteratorINS9_10device_ptrIyEEEEPS5_m14custom_greaterIyEEE10hipError_tT0_T1_T2_jT3_P12ihipStream_tbPNSt15iterator_traitsISJ_E10value_typeEPNSP_ISK_E10value_typeEPSL_NS1_7vsmem_tEENKUlT_SJ_SK_SL_E_clIPySE_SF_SF_EESI_SY_SJ_SK_SL_EUlSY_E0_NS1_11comp_targetILNS1_3genE0ELNS1_11target_archE4294967295ELNS1_3gpuE0ELNS1_3repE0EEENS1_38merge_mergepath_config_static_selectorELNS0_4arch9wavefront6targetE1EEEvSK_.kd
    .uniform_work_group_size: 1
    .uses_dynamic_stack: false
    .vgpr_count:     0
    .vgpr_spill_count: 0
    .wavefront_size: 64
  - .agpr_count:     0
    .args:
      - .offset:         0
        .size:           72
        .value_kind:     by_value
    .group_segment_fixed_size: 0
    .kernarg_segment_align: 8
    .kernarg_segment_size: 72
    .language:       OpenCL C
    .language_version:
      - 2
      - 0
    .max_flat_workgroup_size: 512
    .name:           _ZN7rocprim17ROCPRIM_400000_NS6detail17trampoline_kernelINS0_14default_configENS1_38merge_sort_block_merge_config_selectorIyNS0_10empty_typeEEEZZNS1_27merge_sort_block_merge_implIS3_N6thrust23THRUST_200600_302600_NS6detail15normal_iteratorINS9_10device_ptrIyEEEEPS5_m14custom_greaterIyEEE10hipError_tT0_T1_T2_jT3_P12ihipStream_tbPNSt15iterator_traitsISJ_E10value_typeEPNSP_ISK_E10value_typeEPSL_NS1_7vsmem_tEENKUlT_SJ_SK_SL_E_clIPySE_SF_SF_EESI_SY_SJ_SK_SL_EUlSY_E0_NS1_11comp_targetILNS1_3genE10ELNS1_11target_archE1201ELNS1_3gpuE5ELNS1_3repE0EEENS1_38merge_mergepath_config_static_selectorELNS0_4arch9wavefront6targetE1EEEvSK_
    .private_segment_fixed_size: 0
    .sgpr_count:     4
    .sgpr_spill_count: 0
    .symbol:         _ZN7rocprim17ROCPRIM_400000_NS6detail17trampoline_kernelINS0_14default_configENS1_38merge_sort_block_merge_config_selectorIyNS0_10empty_typeEEEZZNS1_27merge_sort_block_merge_implIS3_N6thrust23THRUST_200600_302600_NS6detail15normal_iteratorINS9_10device_ptrIyEEEEPS5_m14custom_greaterIyEEE10hipError_tT0_T1_T2_jT3_P12ihipStream_tbPNSt15iterator_traitsISJ_E10value_typeEPNSP_ISK_E10value_typeEPSL_NS1_7vsmem_tEENKUlT_SJ_SK_SL_E_clIPySE_SF_SF_EESI_SY_SJ_SK_SL_EUlSY_E0_NS1_11comp_targetILNS1_3genE10ELNS1_11target_archE1201ELNS1_3gpuE5ELNS1_3repE0EEENS1_38merge_mergepath_config_static_selectorELNS0_4arch9wavefront6targetE1EEEvSK_.kd
    .uniform_work_group_size: 1
    .uses_dynamic_stack: false
    .vgpr_count:     0
    .vgpr_spill_count: 0
    .wavefront_size: 64
  - .agpr_count:     0
    .args:
      - .offset:         0
        .size:           72
        .value_kind:     by_value
    .group_segment_fixed_size: 0
    .kernarg_segment_align: 8
    .kernarg_segment_size: 72
    .language:       OpenCL C
    .language_version:
      - 2
      - 0
    .max_flat_workgroup_size: 128
    .name:           _ZN7rocprim17ROCPRIM_400000_NS6detail17trampoline_kernelINS0_14default_configENS1_38merge_sort_block_merge_config_selectorIyNS0_10empty_typeEEEZZNS1_27merge_sort_block_merge_implIS3_N6thrust23THRUST_200600_302600_NS6detail15normal_iteratorINS9_10device_ptrIyEEEEPS5_m14custom_greaterIyEEE10hipError_tT0_T1_T2_jT3_P12ihipStream_tbPNSt15iterator_traitsISJ_E10value_typeEPNSP_ISK_E10value_typeEPSL_NS1_7vsmem_tEENKUlT_SJ_SK_SL_E_clIPySE_SF_SF_EESI_SY_SJ_SK_SL_EUlSY_E0_NS1_11comp_targetILNS1_3genE5ELNS1_11target_archE942ELNS1_3gpuE9ELNS1_3repE0EEENS1_38merge_mergepath_config_static_selectorELNS0_4arch9wavefront6targetE1EEEvSK_
    .private_segment_fixed_size: 0
    .sgpr_count:     4
    .sgpr_spill_count: 0
    .symbol:         _ZN7rocprim17ROCPRIM_400000_NS6detail17trampoline_kernelINS0_14default_configENS1_38merge_sort_block_merge_config_selectorIyNS0_10empty_typeEEEZZNS1_27merge_sort_block_merge_implIS3_N6thrust23THRUST_200600_302600_NS6detail15normal_iteratorINS9_10device_ptrIyEEEEPS5_m14custom_greaterIyEEE10hipError_tT0_T1_T2_jT3_P12ihipStream_tbPNSt15iterator_traitsISJ_E10value_typeEPNSP_ISK_E10value_typeEPSL_NS1_7vsmem_tEENKUlT_SJ_SK_SL_E_clIPySE_SF_SF_EESI_SY_SJ_SK_SL_EUlSY_E0_NS1_11comp_targetILNS1_3genE5ELNS1_11target_archE942ELNS1_3gpuE9ELNS1_3repE0EEENS1_38merge_mergepath_config_static_selectorELNS0_4arch9wavefront6targetE1EEEvSK_.kd
    .uniform_work_group_size: 1
    .uses_dynamic_stack: false
    .vgpr_count:     0
    .vgpr_spill_count: 0
    .wavefront_size: 64
  - .agpr_count:     0
    .args:
      - .offset:         0
        .size:           72
        .value_kind:     by_value
      - .offset:         72
        .size:           4
        .value_kind:     hidden_block_count_x
      - .offset:         76
        .size:           4
        .value_kind:     hidden_block_count_y
      - .offset:         80
        .size:           4
        .value_kind:     hidden_block_count_z
      - .offset:         84
        .size:           2
        .value_kind:     hidden_group_size_x
      - .offset:         86
        .size:           2
        .value_kind:     hidden_group_size_y
      - .offset:         88
        .size:           2
        .value_kind:     hidden_group_size_z
      - .offset:         90
        .size:           2
        .value_kind:     hidden_remainder_x
      - .offset:         92
        .size:           2
        .value_kind:     hidden_remainder_y
      - .offset:         94
        .size:           2
        .value_kind:     hidden_remainder_z
      - .offset:         112
        .size:           8
        .value_kind:     hidden_global_offset_x
      - .offset:         120
        .size:           8
        .value_kind:     hidden_global_offset_y
      - .offset:         128
        .size:           8
        .value_kind:     hidden_global_offset_z
      - .offset:         136
        .size:           2
        .value_kind:     hidden_grid_dims
    .group_segment_fixed_size: 8448
    .kernarg_segment_align: 8
    .kernarg_segment_size: 328
    .language:       OpenCL C
    .language_version:
      - 2
      - 0
    .max_flat_workgroup_size: 256
    .name:           _ZN7rocprim17ROCPRIM_400000_NS6detail17trampoline_kernelINS0_14default_configENS1_38merge_sort_block_merge_config_selectorIyNS0_10empty_typeEEEZZNS1_27merge_sort_block_merge_implIS3_N6thrust23THRUST_200600_302600_NS6detail15normal_iteratorINS9_10device_ptrIyEEEEPS5_m14custom_greaterIyEEE10hipError_tT0_T1_T2_jT3_P12ihipStream_tbPNSt15iterator_traitsISJ_E10value_typeEPNSP_ISK_E10value_typeEPSL_NS1_7vsmem_tEENKUlT_SJ_SK_SL_E_clIPySE_SF_SF_EESI_SY_SJ_SK_SL_EUlSY_E0_NS1_11comp_targetILNS1_3genE4ELNS1_11target_archE910ELNS1_3gpuE8ELNS1_3repE0EEENS1_38merge_mergepath_config_static_selectorELNS0_4arch9wavefront6targetE1EEEvSK_
    .private_segment_fixed_size: 0
    .sgpr_count:     35
    .sgpr_spill_count: 0
    .symbol:         _ZN7rocprim17ROCPRIM_400000_NS6detail17trampoline_kernelINS0_14default_configENS1_38merge_sort_block_merge_config_selectorIyNS0_10empty_typeEEEZZNS1_27merge_sort_block_merge_implIS3_N6thrust23THRUST_200600_302600_NS6detail15normal_iteratorINS9_10device_ptrIyEEEEPS5_m14custom_greaterIyEEE10hipError_tT0_T1_T2_jT3_P12ihipStream_tbPNSt15iterator_traitsISJ_E10value_typeEPNSP_ISK_E10value_typeEPSL_NS1_7vsmem_tEENKUlT_SJ_SK_SL_E_clIPySE_SF_SF_EESI_SY_SJ_SK_SL_EUlSY_E0_NS1_11comp_targetILNS1_3genE4ELNS1_11target_archE910ELNS1_3gpuE8ELNS1_3repE0EEENS1_38merge_mergepath_config_static_selectorELNS0_4arch9wavefront6targetE1EEEvSK_.kd
    .uniform_work_group_size: 1
    .uses_dynamic_stack: false
    .vgpr_count:     21
    .vgpr_spill_count: 0
    .wavefront_size: 64
  - .agpr_count:     0
    .args:
      - .offset:         0
        .size:           72
        .value_kind:     by_value
    .group_segment_fixed_size: 0
    .kernarg_segment_align: 8
    .kernarg_segment_size: 72
    .language:       OpenCL C
    .language_version:
      - 2
      - 0
    .max_flat_workgroup_size: 128
    .name:           _ZN7rocprim17ROCPRIM_400000_NS6detail17trampoline_kernelINS0_14default_configENS1_38merge_sort_block_merge_config_selectorIyNS0_10empty_typeEEEZZNS1_27merge_sort_block_merge_implIS3_N6thrust23THRUST_200600_302600_NS6detail15normal_iteratorINS9_10device_ptrIyEEEEPS5_m14custom_greaterIyEEE10hipError_tT0_T1_T2_jT3_P12ihipStream_tbPNSt15iterator_traitsISJ_E10value_typeEPNSP_ISK_E10value_typeEPSL_NS1_7vsmem_tEENKUlT_SJ_SK_SL_E_clIPySE_SF_SF_EESI_SY_SJ_SK_SL_EUlSY_E0_NS1_11comp_targetILNS1_3genE3ELNS1_11target_archE908ELNS1_3gpuE7ELNS1_3repE0EEENS1_38merge_mergepath_config_static_selectorELNS0_4arch9wavefront6targetE1EEEvSK_
    .private_segment_fixed_size: 0
    .sgpr_count:     4
    .sgpr_spill_count: 0
    .symbol:         _ZN7rocprim17ROCPRIM_400000_NS6detail17trampoline_kernelINS0_14default_configENS1_38merge_sort_block_merge_config_selectorIyNS0_10empty_typeEEEZZNS1_27merge_sort_block_merge_implIS3_N6thrust23THRUST_200600_302600_NS6detail15normal_iteratorINS9_10device_ptrIyEEEEPS5_m14custom_greaterIyEEE10hipError_tT0_T1_T2_jT3_P12ihipStream_tbPNSt15iterator_traitsISJ_E10value_typeEPNSP_ISK_E10value_typeEPSL_NS1_7vsmem_tEENKUlT_SJ_SK_SL_E_clIPySE_SF_SF_EESI_SY_SJ_SK_SL_EUlSY_E0_NS1_11comp_targetILNS1_3genE3ELNS1_11target_archE908ELNS1_3gpuE7ELNS1_3repE0EEENS1_38merge_mergepath_config_static_selectorELNS0_4arch9wavefront6targetE1EEEvSK_.kd
    .uniform_work_group_size: 1
    .uses_dynamic_stack: false
    .vgpr_count:     0
    .vgpr_spill_count: 0
    .wavefront_size: 64
  - .agpr_count:     0
    .args:
      - .offset:         0
        .size:           72
        .value_kind:     by_value
    .group_segment_fixed_size: 0
    .kernarg_segment_align: 8
    .kernarg_segment_size: 72
    .language:       OpenCL C
    .language_version:
      - 2
      - 0
    .max_flat_workgroup_size: 256
    .name:           _ZN7rocprim17ROCPRIM_400000_NS6detail17trampoline_kernelINS0_14default_configENS1_38merge_sort_block_merge_config_selectorIyNS0_10empty_typeEEEZZNS1_27merge_sort_block_merge_implIS3_N6thrust23THRUST_200600_302600_NS6detail15normal_iteratorINS9_10device_ptrIyEEEEPS5_m14custom_greaterIyEEE10hipError_tT0_T1_T2_jT3_P12ihipStream_tbPNSt15iterator_traitsISJ_E10value_typeEPNSP_ISK_E10value_typeEPSL_NS1_7vsmem_tEENKUlT_SJ_SK_SL_E_clIPySE_SF_SF_EESI_SY_SJ_SK_SL_EUlSY_E0_NS1_11comp_targetILNS1_3genE2ELNS1_11target_archE906ELNS1_3gpuE6ELNS1_3repE0EEENS1_38merge_mergepath_config_static_selectorELNS0_4arch9wavefront6targetE1EEEvSK_
    .private_segment_fixed_size: 0
    .sgpr_count:     4
    .sgpr_spill_count: 0
    .symbol:         _ZN7rocprim17ROCPRIM_400000_NS6detail17trampoline_kernelINS0_14default_configENS1_38merge_sort_block_merge_config_selectorIyNS0_10empty_typeEEEZZNS1_27merge_sort_block_merge_implIS3_N6thrust23THRUST_200600_302600_NS6detail15normal_iteratorINS9_10device_ptrIyEEEEPS5_m14custom_greaterIyEEE10hipError_tT0_T1_T2_jT3_P12ihipStream_tbPNSt15iterator_traitsISJ_E10value_typeEPNSP_ISK_E10value_typeEPSL_NS1_7vsmem_tEENKUlT_SJ_SK_SL_E_clIPySE_SF_SF_EESI_SY_SJ_SK_SL_EUlSY_E0_NS1_11comp_targetILNS1_3genE2ELNS1_11target_archE906ELNS1_3gpuE6ELNS1_3repE0EEENS1_38merge_mergepath_config_static_selectorELNS0_4arch9wavefront6targetE1EEEvSK_.kd
    .uniform_work_group_size: 1
    .uses_dynamic_stack: false
    .vgpr_count:     0
    .vgpr_spill_count: 0
    .wavefront_size: 64
  - .agpr_count:     0
    .args:
      - .offset:         0
        .size:           72
        .value_kind:     by_value
    .group_segment_fixed_size: 0
    .kernarg_segment_align: 8
    .kernarg_segment_size: 72
    .language:       OpenCL C
    .language_version:
      - 2
      - 0
    .max_flat_workgroup_size: 512
    .name:           _ZN7rocprim17ROCPRIM_400000_NS6detail17trampoline_kernelINS0_14default_configENS1_38merge_sort_block_merge_config_selectorIyNS0_10empty_typeEEEZZNS1_27merge_sort_block_merge_implIS3_N6thrust23THRUST_200600_302600_NS6detail15normal_iteratorINS9_10device_ptrIyEEEEPS5_m14custom_greaterIyEEE10hipError_tT0_T1_T2_jT3_P12ihipStream_tbPNSt15iterator_traitsISJ_E10value_typeEPNSP_ISK_E10value_typeEPSL_NS1_7vsmem_tEENKUlT_SJ_SK_SL_E_clIPySE_SF_SF_EESI_SY_SJ_SK_SL_EUlSY_E0_NS1_11comp_targetILNS1_3genE9ELNS1_11target_archE1100ELNS1_3gpuE3ELNS1_3repE0EEENS1_38merge_mergepath_config_static_selectorELNS0_4arch9wavefront6targetE1EEEvSK_
    .private_segment_fixed_size: 0
    .sgpr_count:     4
    .sgpr_spill_count: 0
    .symbol:         _ZN7rocprim17ROCPRIM_400000_NS6detail17trampoline_kernelINS0_14default_configENS1_38merge_sort_block_merge_config_selectorIyNS0_10empty_typeEEEZZNS1_27merge_sort_block_merge_implIS3_N6thrust23THRUST_200600_302600_NS6detail15normal_iteratorINS9_10device_ptrIyEEEEPS5_m14custom_greaterIyEEE10hipError_tT0_T1_T2_jT3_P12ihipStream_tbPNSt15iterator_traitsISJ_E10value_typeEPNSP_ISK_E10value_typeEPSL_NS1_7vsmem_tEENKUlT_SJ_SK_SL_E_clIPySE_SF_SF_EESI_SY_SJ_SK_SL_EUlSY_E0_NS1_11comp_targetILNS1_3genE9ELNS1_11target_archE1100ELNS1_3gpuE3ELNS1_3repE0EEENS1_38merge_mergepath_config_static_selectorELNS0_4arch9wavefront6targetE1EEEvSK_.kd
    .uniform_work_group_size: 1
    .uses_dynamic_stack: false
    .vgpr_count:     0
    .vgpr_spill_count: 0
    .wavefront_size: 64
  - .agpr_count:     0
    .args:
      - .offset:         0
        .size:           72
        .value_kind:     by_value
    .group_segment_fixed_size: 0
    .kernarg_segment_align: 8
    .kernarg_segment_size: 72
    .language:       OpenCL C
    .language_version:
      - 2
      - 0
    .max_flat_workgroup_size: 1024
    .name:           _ZN7rocprim17ROCPRIM_400000_NS6detail17trampoline_kernelINS0_14default_configENS1_38merge_sort_block_merge_config_selectorIyNS0_10empty_typeEEEZZNS1_27merge_sort_block_merge_implIS3_N6thrust23THRUST_200600_302600_NS6detail15normal_iteratorINS9_10device_ptrIyEEEEPS5_m14custom_greaterIyEEE10hipError_tT0_T1_T2_jT3_P12ihipStream_tbPNSt15iterator_traitsISJ_E10value_typeEPNSP_ISK_E10value_typeEPSL_NS1_7vsmem_tEENKUlT_SJ_SK_SL_E_clIPySE_SF_SF_EESI_SY_SJ_SK_SL_EUlSY_E0_NS1_11comp_targetILNS1_3genE8ELNS1_11target_archE1030ELNS1_3gpuE2ELNS1_3repE0EEENS1_38merge_mergepath_config_static_selectorELNS0_4arch9wavefront6targetE1EEEvSK_
    .private_segment_fixed_size: 0
    .sgpr_count:     4
    .sgpr_spill_count: 0
    .symbol:         _ZN7rocprim17ROCPRIM_400000_NS6detail17trampoline_kernelINS0_14default_configENS1_38merge_sort_block_merge_config_selectorIyNS0_10empty_typeEEEZZNS1_27merge_sort_block_merge_implIS3_N6thrust23THRUST_200600_302600_NS6detail15normal_iteratorINS9_10device_ptrIyEEEEPS5_m14custom_greaterIyEEE10hipError_tT0_T1_T2_jT3_P12ihipStream_tbPNSt15iterator_traitsISJ_E10value_typeEPNSP_ISK_E10value_typeEPSL_NS1_7vsmem_tEENKUlT_SJ_SK_SL_E_clIPySE_SF_SF_EESI_SY_SJ_SK_SL_EUlSY_E0_NS1_11comp_targetILNS1_3genE8ELNS1_11target_archE1030ELNS1_3gpuE2ELNS1_3repE0EEENS1_38merge_mergepath_config_static_selectorELNS0_4arch9wavefront6targetE1EEEvSK_.kd
    .uniform_work_group_size: 1
    .uses_dynamic_stack: false
    .vgpr_count:     0
    .vgpr_spill_count: 0
    .wavefront_size: 64
  - .agpr_count:     0
    .args:
      - .offset:         0
        .size:           56
        .value_kind:     by_value
    .group_segment_fixed_size: 0
    .kernarg_segment_align: 8
    .kernarg_segment_size: 56
    .language:       OpenCL C
    .language_version:
      - 2
      - 0
    .max_flat_workgroup_size: 256
    .name:           _ZN7rocprim17ROCPRIM_400000_NS6detail17trampoline_kernelINS0_14default_configENS1_38merge_sort_block_merge_config_selectorIyNS0_10empty_typeEEEZZNS1_27merge_sort_block_merge_implIS3_N6thrust23THRUST_200600_302600_NS6detail15normal_iteratorINS9_10device_ptrIyEEEEPS5_m14custom_greaterIyEEE10hipError_tT0_T1_T2_jT3_P12ihipStream_tbPNSt15iterator_traitsISJ_E10value_typeEPNSP_ISK_E10value_typeEPSL_NS1_7vsmem_tEENKUlT_SJ_SK_SL_E_clIPySE_SF_SF_EESI_SY_SJ_SK_SL_EUlSY_E1_NS1_11comp_targetILNS1_3genE0ELNS1_11target_archE4294967295ELNS1_3gpuE0ELNS1_3repE0EEENS1_36merge_oddeven_config_static_selectorELNS0_4arch9wavefront6targetE1EEEvSK_
    .private_segment_fixed_size: 0
    .sgpr_count:     4
    .sgpr_spill_count: 0
    .symbol:         _ZN7rocprim17ROCPRIM_400000_NS6detail17trampoline_kernelINS0_14default_configENS1_38merge_sort_block_merge_config_selectorIyNS0_10empty_typeEEEZZNS1_27merge_sort_block_merge_implIS3_N6thrust23THRUST_200600_302600_NS6detail15normal_iteratorINS9_10device_ptrIyEEEEPS5_m14custom_greaterIyEEE10hipError_tT0_T1_T2_jT3_P12ihipStream_tbPNSt15iterator_traitsISJ_E10value_typeEPNSP_ISK_E10value_typeEPSL_NS1_7vsmem_tEENKUlT_SJ_SK_SL_E_clIPySE_SF_SF_EESI_SY_SJ_SK_SL_EUlSY_E1_NS1_11comp_targetILNS1_3genE0ELNS1_11target_archE4294967295ELNS1_3gpuE0ELNS1_3repE0EEENS1_36merge_oddeven_config_static_selectorELNS0_4arch9wavefront6targetE1EEEvSK_.kd
    .uniform_work_group_size: 1
    .uses_dynamic_stack: false
    .vgpr_count:     0
    .vgpr_spill_count: 0
    .wavefront_size: 64
  - .agpr_count:     0
    .args:
      - .offset:         0
        .size:           56
        .value_kind:     by_value
    .group_segment_fixed_size: 0
    .kernarg_segment_align: 8
    .kernarg_segment_size: 56
    .language:       OpenCL C
    .language_version:
      - 2
      - 0
    .max_flat_workgroup_size: 256
    .name:           _ZN7rocprim17ROCPRIM_400000_NS6detail17trampoline_kernelINS0_14default_configENS1_38merge_sort_block_merge_config_selectorIyNS0_10empty_typeEEEZZNS1_27merge_sort_block_merge_implIS3_N6thrust23THRUST_200600_302600_NS6detail15normal_iteratorINS9_10device_ptrIyEEEEPS5_m14custom_greaterIyEEE10hipError_tT0_T1_T2_jT3_P12ihipStream_tbPNSt15iterator_traitsISJ_E10value_typeEPNSP_ISK_E10value_typeEPSL_NS1_7vsmem_tEENKUlT_SJ_SK_SL_E_clIPySE_SF_SF_EESI_SY_SJ_SK_SL_EUlSY_E1_NS1_11comp_targetILNS1_3genE10ELNS1_11target_archE1201ELNS1_3gpuE5ELNS1_3repE0EEENS1_36merge_oddeven_config_static_selectorELNS0_4arch9wavefront6targetE1EEEvSK_
    .private_segment_fixed_size: 0
    .sgpr_count:     4
    .sgpr_spill_count: 0
    .symbol:         _ZN7rocprim17ROCPRIM_400000_NS6detail17trampoline_kernelINS0_14default_configENS1_38merge_sort_block_merge_config_selectorIyNS0_10empty_typeEEEZZNS1_27merge_sort_block_merge_implIS3_N6thrust23THRUST_200600_302600_NS6detail15normal_iteratorINS9_10device_ptrIyEEEEPS5_m14custom_greaterIyEEE10hipError_tT0_T1_T2_jT3_P12ihipStream_tbPNSt15iterator_traitsISJ_E10value_typeEPNSP_ISK_E10value_typeEPSL_NS1_7vsmem_tEENKUlT_SJ_SK_SL_E_clIPySE_SF_SF_EESI_SY_SJ_SK_SL_EUlSY_E1_NS1_11comp_targetILNS1_3genE10ELNS1_11target_archE1201ELNS1_3gpuE5ELNS1_3repE0EEENS1_36merge_oddeven_config_static_selectorELNS0_4arch9wavefront6targetE1EEEvSK_.kd
    .uniform_work_group_size: 1
    .uses_dynamic_stack: false
    .vgpr_count:     0
    .vgpr_spill_count: 0
    .wavefront_size: 64
  - .agpr_count:     0
    .args:
      - .offset:         0
        .size:           56
        .value_kind:     by_value
    .group_segment_fixed_size: 0
    .kernarg_segment_align: 8
    .kernarg_segment_size: 56
    .language:       OpenCL C
    .language_version:
      - 2
      - 0
    .max_flat_workgroup_size: 256
    .name:           _ZN7rocprim17ROCPRIM_400000_NS6detail17trampoline_kernelINS0_14default_configENS1_38merge_sort_block_merge_config_selectorIyNS0_10empty_typeEEEZZNS1_27merge_sort_block_merge_implIS3_N6thrust23THRUST_200600_302600_NS6detail15normal_iteratorINS9_10device_ptrIyEEEEPS5_m14custom_greaterIyEEE10hipError_tT0_T1_T2_jT3_P12ihipStream_tbPNSt15iterator_traitsISJ_E10value_typeEPNSP_ISK_E10value_typeEPSL_NS1_7vsmem_tEENKUlT_SJ_SK_SL_E_clIPySE_SF_SF_EESI_SY_SJ_SK_SL_EUlSY_E1_NS1_11comp_targetILNS1_3genE5ELNS1_11target_archE942ELNS1_3gpuE9ELNS1_3repE0EEENS1_36merge_oddeven_config_static_selectorELNS0_4arch9wavefront6targetE1EEEvSK_
    .private_segment_fixed_size: 0
    .sgpr_count:     4
    .sgpr_spill_count: 0
    .symbol:         _ZN7rocprim17ROCPRIM_400000_NS6detail17trampoline_kernelINS0_14default_configENS1_38merge_sort_block_merge_config_selectorIyNS0_10empty_typeEEEZZNS1_27merge_sort_block_merge_implIS3_N6thrust23THRUST_200600_302600_NS6detail15normal_iteratorINS9_10device_ptrIyEEEEPS5_m14custom_greaterIyEEE10hipError_tT0_T1_T2_jT3_P12ihipStream_tbPNSt15iterator_traitsISJ_E10value_typeEPNSP_ISK_E10value_typeEPSL_NS1_7vsmem_tEENKUlT_SJ_SK_SL_E_clIPySE_SF_SF_EESI_SY_SJ_SK_SL_EUlSY_E1_NS1_11comp_targetILNS1_3genE5ELNS1_11target_archE942ELNS1_3gpuE9ELNS1_3repE0EEENS1_36merge_oddeven_config_static_selectorELNS0_4arch9wavefront6targetE1EEEvSK_.kd
    .uniform_work_group_size: 1
    .uses_dynamic_stack: false
    .vgpr_count:     0
    .vgpr_spill_count: 0
    .wavefront_size: 64
  - .agpr_count:     0
    .args:
      - .offset:         0
        .size:           56
        .value_kind:     by_value
    .group_segment_fixed_size: 0
    .kernarg_segment_align: 8
    .kernarg_segment_size: 56
    .language:       OpenCL C
    .language_version:
      - 2
      - 0
    .max_flat_workgroup_size: 256
    .name:           _ZN7rocprim17ROCPRIM_400000_NS6detail17trampoline_kernelINS0_14default_configENS1_38merge_sort_block_merge_config_selectorIyNS0_10empty_typeEEEZZNS1_27merge_sort_block_merge_implIS3_N6thrust23THRUST_200600_302600_NS6detail15normal_iteratorINS9_10device_ptrIyEEEEPS5_m14custom_greaterIyEEE10hipError_tT0_T1_T2_jT3_P12ihipStream_tbPNSt15iterator_traitsISJ_E10value_typeEPNSP_ISK_E10value_typeEPSL_NS1_7vsmem_tEENKUlT_SJ_SK_SL_E_clIPySE_SF_SF_EESI_SY_SJ_SK_SL_EUlSY_E1_NS1_11comp_targetILNS1_3genE4ELNS1_11target_archE910ELNS1_3gpuE8ELNS1_3repE0EEENS1_36merge_oddeven_config_static_selectorELNS0_4arch9wavefront6targetE1EEEvSK_
    .private_segment_fixed_size: 0
    .sgpr_count:     25
    .sgpr_spill_count: 0
    .symbol:         _ZN7rocprim17ROCPRIM_400000_NS6detail17trampoline_kernelINS0_14default_configENS1_38merge_sort_block_merge_config_selectorIyNS0_10empty_typeEEEZZNS1_27merge_sort_block_merge_implIS3_N6thrust23THRUST_200600_302600_NS6detail15normal_iteratorINS9_10device_ptrIyEEEEPS5_m14custom_greaterIyEEE10hipError_tT0_T1_T2_jT3_P12ihipStream_tbPNSt15iterator_traitsISJ_E10value_typeEPNSP_ISK_E10value_typeEPSL_NS1_7vsmem_tEENKUlT_SJ_SK_SL_E_clIPySE_SF_SF_EESI_SY_SJ_SK_SL_EUlSY_E1_NS1_11comp_targetILNS1_3genE4ELNS1_11target_archE910ELNS1_3gpuE8ELNS1_3repE0EEENS1_36merge_oddeven_config_static_selectorELNS0_4arch9wavefront6targetE1EEEvSK_.kd
    .uniform_work_group_size: 1
    .uses_dynamic_stack: false
    .vgpr_count:     12
    .vgpr_spill_count: 0
    .wavefront_size: 64
  - .agpr_count:     0
    .args:
      - .offset:         0
        .size:           56
        .value_kind:     by_value
    .group_segment_fixed_size: 0
    .kernarg_segment_align: 8
    .kernarg_segment_size: 56
    .language:       OpenCL C
    .language_version:
      - 2
      - 0
    .max_flat_workgroup_size: 256
    .name:           _ZN7rocprim17ROCPRIM_400000_NS6detail17trampoline_kernelINS0_14default_configENS1_38merge_sort_block_merge_config_selectorIyNS0_10empty_typeEEEZZNS1_27merge_sort_block_merge_implIS3_N6thrust23THRUST_200600_302600_NS6detail15normal_iteratorINS9_10device_ptrIyEEEEPS5_m14custom_greaterIyEEE10hipError_tT0_T1_T2_jT3_P12ihipStream_tbPNSt15iterator_traitsISJ_E10value_typeEPNSP_ISK_E10value_typeEPSL_NS1_7vsmem_tEENKUlT_SJ_SK_SL_E_clIPySE_SF_SF_EESI_SY_SJ_SK_SL_EUlSY_E1_NS1_11comp_targetILNS1_3genE3ELNS1_11target_archE908ELNS1_3gpuE7ELNS1_3repE0EEENS1_36merge_oddeven_config_static_selectorELNS0_4arch9wavefront6targetE1EEEvSK_
    .private_segment_fixed_size: 0
    .sgpr_count:     4
    .sgpr_spill_count: 0
    .symbol:         _ZN7rocprim17ROCPRIM_400000_NS6detail17trampoline_kernelINS0_14default_configENS1_38merge_sort_block_merge_config_selectorIyNS0_10empty_typeEEEZZNS1_27merge_sort_block_merge_implIS3_N6thrust23THRUST_200600_302600_NS6detail15normal_iteratorINS9_10device_ptrIyEEEEPS5_m14custom_greaterIyEEE10hipError_tT0_T1_T2_jT3_P12ihipStream_tbPNSt15iterator_traitsISJ_E10value_typeEPNSP_ISK_E10value_typeEPSL_NS1_7vsmem_tEENKUlT_SJ_SK_SL_E_clIPySE_SF_SF_EESI_SY_SJ_SK_SL_EUlSY_E1_NS1_11comp_targetILNS1_3genE3ELNS1_11target_archE908ELNS1_3gpuE7ELNS1_3repE0EEENS1_36merge_oddeven_config_static_selectorELNS0_4arch9wavefront6targetE1EEEvSK_.kd
    .uniform_work_group_size: 1
    .uses_dynamic_stack: false
    .vgpr_count:     0
    .vgpr_spill_count: 0
    .wavefront_size: 64
  - .agpr_count:     0
    .args:
      - .offset:         0
        .size:           56
        .value_kind:     by_value
    .group_segment_fixed_size: 0
    .kernarg_segment_align: 8
    .kernarg_segment_size: 56
    .language:       OpenCL C
    .language_version:
      - 2
      - 0
    .max_flat_workgroup_size: 256
    .name:           _ZN7rocprim17ROCPRIM_400000_NS6detail17trampoline_kernelINS0_14default_configENS1_38merge_sort_block_merge_config_selectorIyNS0_10empty_typeEEEZZNS1_27merge_sort_block_merge_implIS3_N6thrust23THRUST_200600_302600_NS6detail15normal_iteratorINS9_10device_ptrIyEEEEPS5_m14custom_greaterIyEEE10hipError_tT0_T1_T2_jT3_P12ihipStream_tbPNSt15iterator_traitsISJ_E10value_typeEPNSP_ISK_E10value_typeEPSL_NS1_7vsmem_tEENKUlT_SJ_SK_SL_E_clIPySE_SF_SF_EESI_SY_SJ_SK_SL_EUlSY_E1_NS1_11comp_targetILNS1_3genE2ELNS1_11target_archE906ELNS1_3gpuE6ELNS1_3repE0EEENS1_36merge_oddeven_config_static_selectorELNS0_4arch9wavefront6targetE1EEEvSK_
    .private_segment_fixed_size: 0
    .sgpr_count:     4
    .sgpr_spill_count: 0
    .symbol:         _ZN7rocprim17ROCPRIM_400000_NS6detail17trampoline_kernelINS0_14default_configENS1_38merge_sort_block_merge_config_selectorIyNS0_10empty_typeEEEZZNS1_27merge_sort_block_merge_implIS3_N6thrust23THRUST_200600_302600_NS6detail15normal_iteratorINS9_10device_ptrIyEEEEPS5_m14custom_greaterIyEEE10hipError_tT0_T1_T2_jT3_P12ihipStream_tbPNSt15iterator_traitsISJ_E10value_typeEPNSP_ISK_E10value_typeEPSL_NS1_7vsmem_tEENKUlT_SJ_SK_SL_E_clIPySE_SF_SF_EESI_SY_SJ_SK_SL_EUlSY_E1_NS1_11comp_targetILNS1_3genE2ELNS1_11target_archE906ELNS1_3gpuE6ELNS1_3repE0EEENS1_36merge_oddeven_config_static_selectorELNS0_4arch9wavefront6targetE1EEEvSK_.kd
    .uniform_work_group_size: 1
    .uses_dynamic_stack: false
    .vgpr_count:     0
    .vgpr_spill_count: 0
    .wavefront_size: 64
  - .agpr_count:     0
    .args:
      - .offset:         0
        .size:           56
        .value_kind:     by_value
    .group_segment_fixed_size: 0
    .kernarg_segment_align: 8
    .kernarg_segment_size: 56
    .language:       OpenCL C
    .language_version:
      - 2
      - 0
    .max_flat_workgroup_size: 256
    .name:           _ZN7rocprim17ROCPRIM_400000_NS6detail17trampoline_kernelINS0_14default_configENS1_38merge_sort_block_merge_config_selectorIyNS0_10empty_typeEEEZZNS1_27merge_sort_block_merge_implIS3_N6thrust23THRUST_200600_302600_NS6detail15normal_iteratorINS9_10device_ptrIyEEEEPS5_m14custom_greaterIyEEE10hipError_tT0_T1_T2_jT3_P12ihipStream_tbPNSt15iterator_traitsISJ_E10value_typeEPNSP_ISK_E10value_typeEPSL_NS1_7vsmem_tEENKUlT_SJ_SK_SL_E_clIPySE_SF_SF_EESI_SY_SJ_SK_SL_EUlSY_E1_NS1_11comp_targetILNS1_3genE9ELNS1_11target_archE1100ELNS1_3gpuE3ELNS1_3repE0EEENS1_36merge_oddeven_config_static_selectorELNS0_4arch9wavefront6targetE1EEEvSK_
    .private_segment_fixed_size: 0
    .sgpr_count:     4
    .sgpr_spill_count: 0
    .symbol:         _ZN7rocprim17ROCPRIM_400000_NS6detail17trampoline_kernelINS0_14default_configENS1_38merge_sort_block_merge_config_selectorIyNS0_10empty_typeEEEZZNS1_27merge_sort_block_merge_implIS3_N6thrust23THRUST_200600_302600_NS6detail15normal_iteratorINS9_10device_ptrIyEEEEPS5_m14custom_greaterIyEEE10hipError_tT0_T1_T2_jT3_P12ihipStream_tbPNSt15iterator_traitsISJ_E10value_typeEPNSP_ISK_E10value_typeEPSL_NS1_7vsmem_tEENKUlT_SJ_SK_SL_E_clIPySE_SF_SF_EESI_SY_SJ_SK_SL_EUlSY_E1_NS1_11comp_targetILNS1_3genE9ELNS1_11target_archE1100ELNS1_3gpuE3ELNS1_3repE0EEENS1_36merge_oddeven_config_static_selectorELNS0_4arch9wavefront6targetE1EEEvSK_.kd
    .uniform_work_group_size: 1
    .uses_dynamic_stack: false
    .vgpr_count:     0
    .vgpr_spill_count: 0
    .wavefront_size: 64
  - .agpr_count:     0
    .args:
      - .offset:         0
        .size:           56
        .value_kind:     by_value
    .group_segment_fixed_size: 0
    .kernarg_segment_align: 8
    .kernarg_segment_size: 56
    .language:       OpenCL C
    .language_version:
      - 2
      - 0
    .max_flat_workgroup_size: 256
    .name:           _ZN7rocprim17ROCPRIM_400000_NS6detail17trampoline_kernelINS0_14default_configENS1_38merge_sort_block_merge_config_selectorIyNS0_10empty_typeEEEZZNS1_27merge_sort_block_merge_implIS3_N6thrust23THRUST_200600_302600_NS6detail15normal_iteratorINS9_10device_ptrIyEEEEPS5_m14custom_greaterIyEEE10hipError_tT0_T1_T2_jT3_P12ihipStream_tbPNSt15iterator_traitsISJ_E10value_typeEPNSP_ISK_E10value_typeEPSL_NS1_7vsmem_tEENKUlT_SJ_SK_SL_E_clIPySE_SF_SF_EESI_SY_SJ_SK_SL_EUlSY_E1_NS1_11comp_targetILNS1_3genE8ELNS1_11target_archE1030ELNS1_3gpuE2ELNS1_3repE0EEENS1_36merge_oddeven_config_static_selectorELNS0_4arch9wavefront6targetE1EEEvSK_
    .private_segment_fixed_size: 0
    .sgpr_count:     4
    .sgpr_spill_count: 0
    .symbol:         _ZN7rocprim17ROCPRIM_400000_NS6detail17trampoline_kernelINS0_14default_configENS1_38merge_sort_block_merge_config_selectorIyNS0_10empty_typeEEEZZNS1_27merge_sort_block_merge_implIS3_N6thrust23THRUST_200600_302600_NS6detail15normal_iteratorINS9_10device_ptrIyEEEEPS5_m14custom_greaterIyEEE10hipError_tT0_T1_T2_jT3_P12ihipStream_tbPNSt15iterator_traitsISJ_E10value_typeEPNSP_ISK_E10value_typeEPSL_NS1_7vsmem_tEENKUlT_SJ_SK_SL_E_clIPySE_SF_SF_EESI_SY_SJ_SK_SL_EUlSY_E1_NS1_11comp_targetILNS1_3genE8ELNS1_11target_archE1030ELNS1_3gpuE2ELNS1_3repE0EEENS1_36merge_oddeven_config_static_selectorELNS0_4arch9wavefront6targetE1EEEvSK_.kd
    .uniform_work_group_size: 1
    .uses_dynamic_stack: false
    .vgpr_count:     0
    .vgpr_spill_count: 0
    .wavefront_size: 64
  - .agpr_count:     0
    .args:
      - .offset:         0
        .size:           48
        .value_kind:     by_value
    .group_segment_fixed_size: 0
    .kernarg_segment_align: 8
    .kernarg_segment_size: 48
    .language:       OpenCL C
    .language_version:
      - 2
      - 0
    .max_flat_workgroup_size: 128
    .name:           _ZN7rocprim17ROCPRIM_400000_NS6detail17trampoline_kernelINS0_14default_configENS1_38merge_sort_block_merge_config_selectorIyNS0_10empty_typeEEEZZNS1_27merge_sort_block_merge_implIS3_N6thrust23THRUST_200600_302600_NS6detail15normal_iteratorINS9_10device_ptrIyEEEEPS5_m14custom_greaterIyEEE10hipError_tT0_T1_T2_jT3_P12ihipStream_tbPNSt15iterator_traitsISJ_E10value_typeEPNSP_ISK_E10value_typeEPSL_NS1_7vsmem_tEENKUlT_SJ_SK_SL_E_clISE_PySF_SF_EESI_SY_SJ_SK_SL_EUlSY_E_NS1_11comp_targetILNS1_3genE0ELNS1_11target_archE4294967295ELNS1_3gpuE0ELNS1_3repE0EEENS1_48merge_mergepath_partition_config_static_selectorELNS0_4arch9wavefront6targetE1EEEvSK_
    .private_segment_fixed_size: 0
    .sgpr_count:     4
    .sgpr_spill_count: 0
    .symbol:         _ZN7rocprim17ROCPRIM_400000_NS6detail17trampoline_kernelINS0_14default_configENS1_38merge_sort_block_merge_config_selectorIyNS0_10empty_typeEEEZZNS1_27merge_sort_block_merge_implIS3_N6thrust23THRUST_200600_302600_NS6detail15normal_iteratorINS9_10device_ptrIyEEEEPS5_m14custom_greaterIyEEE10hipError_tT0_T1_T2_jT3_P12ihipStream_tbPNSt15iterator_traitsISJ_E10value_typeEPNSP_ISK_E10value_typeEPSL_NS1_7vsmem_tEENKUlT_SJ_SK_SL_E_clISE_PySF_SF_EESI_SY_SJ_SK_SL_EUlSY_E_NS1_11comp_targetILNS1_3genE0ELNS1_11target_archE4294967295ELNS1_3gpuE0ELNS1_3repE0EEENS1_48merge_mergepath_partition_config_static_selectorELNS0_4arch9wavefront6targetE1EEEvSK_.kd
    .uniform_work_group_size: 1
    .uses_dynamic_stack: false
    .vgpr_count:     0
    .vgpr_spill_count: 0
    .wavefront_size: 64
  - .agpr_count:     0
    .args:
      - .offset:         0
        .size:           48
        .value_kind:     by_value
    .group_segment_fixed_size: 0
    .kernarg_segment_align: 8
    .kernarg_segment_size: 48
    .language:       OpenCL C
    .language_version:
      - 2
      - 0
    .max_flat_workgroup_size: 128
    .name:           _ZN7rocprim17ROCPRIM_400000_NS6detail17trampoline_kernelINS0_14default_configENS1_38merge_sort_block_merge_config_selectorIyNS0_10empty_typeEEEZZNS1_27merge_sort_block_merge_implIS3_N6thrust23THRUST_200600_302600_NS6detail15normal_iteratorINS9_10device_ptrIyEEEEPS5_m14custom_greaterIyEEE10hipError_tT0_T1_T2_jT3_P12ihipStream_tbPNSt15iterator_traitsISJ_E10value_typeEPNSP_ISK_E10value_typeEPSL_NS1_7vsmem_tEENKUlT_SJ_SK_SL_E_clISE_PySF_SF_EESI_SY_SJ_SK_SL_EUlSY_E_NS1_11comp_targetILNS1_3genE10ELNS1_11target_archE1201ELNS1_3gpuE5ELNS1_3repE0EEENS1_48merge_mergepath_partition_config_static_selectorELNS0_4arch9wavefront6targetE1EEEvSK_
    .private_segment_fixed_size: 0
    .sgpr_count:     4
    .sgpr_spill_count: 0
    .symbol:         _ZN7rocprim17ROCPRIM_400000_NS6detail17trampoline_kernelINS0_14default_configENS1_38merge_sort_block_merge_config_selectorIyNS0_10empty_typeEEEZZNS1_27merge_sort_block_merge_implIS3_N6thrust23THRUST_200600_302600_NS6detail15normal_iteratorINS9_10device_ptrIyEEEEPS5_m14custom_greaterIyEEE10hipError_tT0_T1_T2_jT3_P12ihipStream_tbPNSt15iterator_traitsISJ_E10value_typeEPNSP_ISK_E10value_typeEPSL_NS1_7vsmem_tEENKUlT_SJ_SK_SL_E_clISE_PySF_SF_EESI_SY_SJ_SK_SL_EUlSY_E_NS1_11comp_targetILNS1_3genE10ELNS1_11target_archE1201ELNS1_3gpuE5ELNS1_3repE0EEENS1_48merge_mergepath_partition_config_static_selectorELNS0_4arch9wavefront6targetE1EEEvSK_.kd
    .uniform_work_group_size: 1
    .uses_dynamic_stack: false
    .vgpr_count:     0
    .vgpr_spill_count: 0
    .wavefront_size: 64
  - .agpr_count:     0
    .args:
      - .offset:         0
        .size:           48
        .value_kind:     by_value
    .group_segment_fixed_size: 0
    .kernarg_segment_align: 8
    .kernarg_segment_size: 48
    .language:       OpenCL C
    .language_version:
      - 2
      - 0
    .max_flat_workgroup_size: 128
    .name:           _ZN7rocprim17ROCPRIM_400000_NS6detail17trampoline_kernelINS0_14default_configENS1_38merge_sort_block_merge_config_selectorIyNS0_10empty_typeEEEZZNS1_27merge_sort_block_merge_implIS3_N6thrust23THRUST_200600_302600_NS6detail15normal_iteratorINS9_10device_ptrIyEEEEPS5_m14custom_greaterIyEEE10hipError_tT0_T1_T2_jT3_P12ihipStream_tbPNSt15iterator_traitsISJ_E10value_typeEPNSP_ISK_E10value_typeEPSL_NS1_7vsmem_tEENKUlT_SJ_SK_SL_E_clISE_PySF_SF_EESI_SY_SJ_SK_SL_EUlSY_E_NS1_11comp_targetILNS1_3genE5ELNS1_11target_archE942ELNS1_3gpuE9ELNS1_3repE0EEENS1_48merge_mergepath_partition_config_static_selectorELNS0_4arch9wavefront6targetE1EEEvSK_
    .private_segment_fixed_size: 0
    .sgpr_count:     4
    .sgpr_spill_count: 0
    .symbol:         _ZN7rocprim17ROCPRIM_400000_NS6detail17trampoline_kernelINS0_14default_configENS1_38merge_sort_block_merge_config_selectorIyNS0_10empty_typeEEEZZNS1_27merge_sort_block_merge_implIS3_N6thrust23THRUST_200600_302600_NS6detail15normal_iteratorINS9_10device_ptrIyEEEEPS5_m14custom_greaterIyEEE10hipError_tT0_T1_T2_jT3_P12ihipStream_tbPNSt15iterator_traitsISJ_E10value_typeEPNSP_ISK_E10value_typeEPSL_NS1_7vsmem_tEENKUlT_SJ_SK_SL_E_clISE_PySF_SF_EESI_SY_SJ_SK_SL_EUlSY_E_NS1_11comp_targetILNS1_3genE5ELNS1_11target_archE942ELNS1_3gpuE9ELNS1_3repE0EEENS1_48merge_mergepath_partition_config_static_selectorELNS0_4arch9wavefront6targetE1EEEvSK_.kd
    .uniform_work_group_size: 1
    .uses_dynamic_stack: false
    .vgpr_count:     0
    .vgpr_spill_count: 0
    .wavefront_size: 64
  - .agpr_count:     0
    .args:
      - .offset:         0
        .size:           48
        .value_kind:     by_value
    .group_segment_fixed_size: 0
    .kernarg_segment_align: 8
    .kernarg_segment_size: 48
    .language:       OpenCL C
    .language_version:
      - 2
      - 0
    .max_flat_workgroup_size: 128
    .name:           _ZN7rocprim17ROCPRIM_400000_NS6detail17trampoline_kernelINS0_14default_configENS1_38merge_sort_block_merge_config_selectorIyNS0_10empty_typeEEEZZNS1_27merge_sort_block_merge_implIS3_N6thrust23THRUST_200600_302600_NS6detail15normal_iteratorINS9_10device_ptrIyEEEEPS5_m14custom_greaterIyEEE10hipError_tT0_T1_T2_jT3_P12ihipStream_tbPNSt15iterator_traitsISJ_E10value_typeEPNSP_ISK_E10value_typeEPSL_NS1_7vsmem_tEENKUlT_SJ_SK_SL_E_clISE_PySF_SF_EESI_SY_SJ_SK_SL_EUlSY_E_NS1_11comp_targetILNS1_3genE4ELNS1_11target_archE910ELNS1_3gpuE8ELNS1_3repE0EEENS1_48merge_mergepath_partition_config_static_selectorELNS0_4arch9wavefront6targetE1EEEvSK_
    .private_segment_fixed_size: 0
    .sgpr_count:     12
    .sgpr_spill_count: 0
    .symbol:         _ZN7rocprim17ROCPRIM_400000_NS6detail17trampoline_kernelINS0_14default_configENS1_38merge_sort_block_merge_config_selectorIyNS0_10empty_typeEEEZZNS1_27merge_sort_block_merge_implIS3_N6thrust23THRUST_200600_302600_NS6detail15normal_iteratorINS9_10device_ptrIyEEEEPS5_m14custom_greaterIyEEE10hipError_tT0_T1_T2_jT3_P12ihipStream_tbPNSt15iterator_traitsISJ_E10value_typeEPNSP_ISK_E10value_typeEPSL_NS1_7vsmem_tEENKUlT_SJ_SK_SL_E_clISE_PySF_SF_EESI_SY_SJ_SK_SL_EUlSY_E_NS1_11comp_targetILNS1_3genE4ELNS1_11target_archE910ELNS1_3gpuE8ELNS1_3repE0EEENS1_48merge_mergepath_partition_config_static_selectorELNS0_4arch9wavefront6targetE1EEEvSK_.kd
    .uniform_work_group_size: 1
    .uses_dynamic_stack: false
    .vgpr_count:     22
    .vgpr_spill_count: 0
    .wavefront_size: 64
  - .agpr_count:     0
    .args:
      - .offset:         0
        .size:           48
        .value_kind:     by_value
    .group_segment_fixed_size: 0
    .kernarg_segment_align: 8
    .kernarg_segment_size: 48
    .language:       OpenCL C
    .language_version:
      - 2
      - 0
    .max_flat_workgroup_size: 128
    .name:           _ZN7rocprim17ROCPRIM_400000_NS6detail17trampoline_kernelINS0_14default_configENS1_38merge_sort_block_merge_config_selectorIyNS0_10empty_typeEEEZZNS1_27merge_sort_block_merge_implIS3_N6thrust23THRUST_200600_302600_NS6detail15normal_iteratorINS9_10device_ptrIyEEEEPS5_m14custom_greaterIyEEE10hipError_tT0_T1_T2_jT3_P12ihipStream_tbPNSt15iterator_traitsISJ_E10value_typeEPNSP_ISK_E10value_typeEPSL_NS1_7vsmem_tEENKUlT_SJ_SK_SL_E_clISE_PySF_SF_EESI_SY_SJ_SK_SL_EUlSY_E_NS1_11comp_targetILNS1_3genE3ELNS1_11target_archE908ELNS1_3gpuE7ELNS1_3repE0EEENS1_48merge_mergepath_partition_config_static_selectorELNS0_4arch9wavefront6targetE1EEEvSK_
    .private_segment_fixed_size: 0
    .sgpr_count:     4
    .sgpr_spill_count: 0
    .symbol:         _ZN7rocprim17ROCPRIM_400000_NS6detail17trampoline_kernelINS0_14default_configENS1_38merge_sort_block_merge_config_selectorIyNS0_10empty_typeEEEZZNS1_27merge_sort_block_merge_implIS3_N6thrust23THRUST_200600_302600_NS6detail15normal_iteratorINS9_10device_ptrIyEEEEPS5_m14custom_greaterIyEEE10hipError_tT0_T1_T2_jT3_P12ihipStream_tbPNSt15iterator_traitsISJ_E10value_typeEPNSP_ISK_E10value_typeEPSL_NS1_7vsmem_tEENKUlT_SJ_SK_SL_E_clISE_PySF_SF_EESI_SY_SJ_SK_SL_EUlSY_E_NS1_11comp_targetILNS1_3genE3ELNS1_11target_archE908ELNS1_3gpuE7ELNS1_3repE0EEENS1_48merge_mergepath_partition_config_static_selectorELNS0_4arch9wavefront6targetE1EEEvSK_.kd
    .uniform_work_group_size: 1
    .uses_dynamic_stack: false
    .vgpr_count:     0
    .vgpr_spill_count: 0
    .wavefront_size: 64
  - .agpr_count:     0
    .args:
      - .offset:         0
        .size:           48
        .value_kind:     by_value
    .group_segment_fixed_size: 0
    .kernarg_segment_align: 8
    .kernarg_segment_size: 48
    .language:       OpenCL C
    .language_version:
      - 2
      - 0
    .max_flat_workgroup_size: 128
    .name:           _ZN7rocprim17ROCPRIM_400000_NS6detail17trampoline_kernelINS0_14default_configENS1_38merge_sort_block_merge_config_selectorIyNS0_10empty_typeEEEZZNS1_27merge_sort_block_merge_implIS3_N6thrust23THRUST_200600_302600_NS6detail15normal_iteratorINS9_10device_ptrIyEEEEPS5_m14custom_greaterIyEEE10hipError_tT0_T1_T2_jT3_P12ihipStream_tbPNSt15iterator_traitsISJ_E10value_typeEPNSP_ISK_E10value_typeEPSL_NS1_7vsmem_tEENKUlT_SJ_SK_SL_E_clISE_PySF_SF_EESI_SY_SJ_SK_SL_EUlSY_E_NS1_11comp_targetILNS1_3genE2ELNS1_11target_archE906ELNS1_3gpuE6ELNS1_3repE0EEENS1_48merge_mergepath_partition_config_static_selectorELNS0_4arch9wavefront6targetE1EEEvSK_
    .private_segment_fixed_size: 0
    .sgpr_count:     4
    .sgpr_spill_count: 0
    .symbol:         _ZN7rocprim17ROCPRIM_400000_NS6detail17trampoline_kernelINS0_14default_configENS1_38merge_sort_block_merge_config_selectorIyNS0_10empty_typeEEEZZNS1_27merge_sort_block_merge_implIS3_N6thrust23THRUST_200600_302600_NS6detail15normal_iteratorINS9_10device_ptrIyEEEEPS5_m14custom_greaterIyEEE10hipError_tT0_T1_T2_jT3_P12ihipStream_tbPNSt15iterator_traitsISJ_E10value_typeEPNSP_ISK_E10value_typeEPSL_NS1_7vsmem_tEENKUlT_SJ_SK_SL_E_clISE_PySF_SF_EESI_SY_SJ_SK_SL_EUlSY_E_NS1_11comp_targetILNS1_3genE2ELNS1_11target_archE906ELNS1_3gpuE6ELNS1_3repE0EEENS1_48merge_mergepath_partition_config_static_selectorELNS0_4arch9wavefront6targetE1EEEvSK_.kd
    .uniform_work_group_size: 1
    .uses_dynamic_stack: false
    .vgpr_count:     0
    .vgpr_spill_count: 0
    .wavefront_size: 64
  - .agpr_count:     0
    .args:
      - .offset:         0
        .size:           48
        .value_kind:     by_value
    .group_segment_fixed_size: 0
    .kernarg_segment_align: 8
    .kernarg_segment_size: 48
    .language:       OpenCL C
    .language_version:
      - 2
      - 0
    .max_flat_workgroup_size: 128
    .name:           _ZN7rocprim17ROCPRIM_400000_NS6detail17trampoline_kernelINS0_14default_configENS1_38merge_sort_block_merge_config_selectorIyNS0_10empty_typeEEEZZNS1_27merge_sort_block_merge_implIS3_N6thrust23THRUST_200600_302600_NS6detail15normal_iteratorINS9_10device_ptrIyEEEEPS5_m14custom_greaterIyEEE10hipError_tT0_T1_T2_jT3_P12ihipStream_tbPNSt15iterator_traitsISJ_E10value_typeEPNSP_ISK_E10value_typeEPSL_NS1_7vsmem_tEENKUlT_SJ_SK_SL_E_clISE_PySF_SF_EESI_SY_SJ_SK_SL_EUlSY_E_NS1_11comp_targetILNS1_3genE9ELNS1_11target_archE1100ELNS1_3gpuE3ELNS1_3repE0EEENS1_48merge_mergepath_partition_config_static_selectorELNS0_4arch9wavefront6targetE1EEEvSK_
    .private_segment_fixed_size: 0
    .sgpr_count:     4
    .sgpr_spill_count: 0
    .symbol:         _ZN7rocprim17ROCPRIM_400000_NS6detail17trampoline_kernelINS0_14default_configENS1_38merge_sort_block_merge_config_selectorIyNS0_10empty_typeEEEZZNS1_27merge_sort_block_merge_implIS3_N6thrust23THRUST_200600_302600_NS6detail15normal_iteratorINS9_10device_ptrIyEEEEPS5_m14custom_greaterIyEEE10hipError_tT0_T1_T2_jT3_P12ihipStream_tbPNSt15iterator_traitsISJ_E10value_typeEPNSP_ISK_E10value_typeEPSL_NS1_7vsmem_tEENKUlT_SJ_SK_SL_E_clISE_PySF_SF_EESI_SY_SJ_SK_SL_EUlSY_E_NS1_11comp_targetILNS1_3genE9ELNS1_11target_archE1100ELNS1_3gpuE3ELNS1_3repE0EEENS1_48merge_mergepath_partition_config_static_selectorELNS0_4arch9wavefront6targetE1EEEvSK_.kd
    .uniform_work_group_size: 1
    .uses_dynamic_stack: false
    .vgpr_count:     0
    .vgpr_spill_count: 0
    .wavefront_size: 64
  - .agpr_count:     0
    .args:
      - .offset:         0
        .size:           48
        .value_kind:     by_value
    .group_segment_fixed_size: 0
    .kernarg_segment_align: 8
    .kernarg_segment_size: 48
    .language:       OpenCL C
    .language_version:
      - 2
      - 0
    .max_flat_workgroup_size: 128
    .name:           _ZN7rocprim17ROCPRIM_400000_NS6detail17trampoline_kernelINS0_14default_configENS1_38merge_sort_block_merge_config_selectorIyNS0_10empty_typeEEEZZNS1_27merge_sort_block_merge_implIS3_N6thrust23THRUST_200600_302600_NS6detail15normal_iteratorINS9_10device_ptrIyEEEEPS5_m14custom_greaterIyEEE10hipError_tT0_T1_T2_jT3_P12ihipStream_tbPNSt15iterator_traitsISJ_E10value_typeEPNSP_ISK_E10value_typeEPSL_NS1_7vsmem_tEENKUlT_SJ_SK_SL_E_clISE_PySF_SF_EESI_SY_SJ_SK_SL_EUlSY_E_NS1_11comp_targetILNS1_3genE8ELNS1_11target_archE1030ELNS1_3gpuE2ELNS1_3repE0EEENS1_48merge_mergepath_partition_config_static_selectorELNS0_4arch9wavefront6targetE1EEEvSK_
    .private_segment_fixed_size: 0
    .sgpr_count:     4
    .sgpr_spill_count: 0
    .symbol:         _ZN7rocprim17ROCPRIM_400000_NS6detail17trampoline_kernelINS0_14default_configENS1_38merge_sort_block_merge_config_selectorIyNS0_10empty_typeEEEZZNS1_27merge_sort_block_merge_implIS3_N6thrust23THRUST_200600_302600_NS6detail15normal_iteratorINS9_10device_ptrIyEEEEPS5_m14custom_greaterIyEEE10hipError_tT0_T1_T2_jT3_P12ihipStream_tbPNSt15iterator_traitsISJ_E10value_typeEPNSP_ISK_E10value_typeEPSL_NS1_7vsmem_tEENKUlT_SJ_SK_SL_E_clISE_PySF_SF_EESI_SY_SJ_SK_SL_EUlSY_E_NS1_11comp_targetILNS1_3genE8ELNS1_11target_archE1030ELNS1_3gpuE2ELNS1_3repE0EEENS1_48merge_mergepath_partition_config_static_selectorELNS0_4arch9wavefront6targetE1EEEvSK_.kd
    .uniform_work_group_size: 1
    .uses_dynamic_stack: false
    .vgpr_count:     0
    .vgpr_spill_count: 0
    .wavefront_size: 64
  - .agpr_count:     0
    .args:
      - .offset:         0
        .size:           72
        .value_kind:     by_value
    .group_segment_fixed_size: 0
    .kernarg_segment_align: 8
    .kernarg_segment_size: 72
    .language:       OpenCL C
    .language_version:
      - 2
      - 0
    .max_flat_workgroup_size: 128
    .name:           _ZN7rocprim17ROCPRIM_400000_NS6detail17trampoline_kernelINS0_14default_configENS1_38merge_sort_block_merge_config_selectorIyNS0_10empty_typeEEEZZNS1_27merge_sort_block_merge_implIS3_N6thrust23THRUST_200600_302600_NS6detail15normal_iteratorINS9_10device_ptrIyEEEEPS5_m14custom_greaterIyEEE10hipError_tT0_T1_T2_jT3_P12ihipStream_tbPNSt15iterator_traitsISJ_E10value_typeEPNSP_ISK_E10value_typeEPSL_NS1_7vsmem_tEENKUlT_SJ_SK_SL_E_clISE_PySF_SF_EESI_SY_SJ_SK_SL_EUlSY_E0_NS1_11comp_targetILNS1_3genE0ELNS1_11target_archE4294967295ELNS1_3gpuE0ELNS1_3repE0EEENS1_38merge_mergepath_config_static_selectorELNS0_4arch9wavefront6targetE1EEEvSK_
    .private_segment_fixed_size: 0
    .sgpr_count:     4
    .sgpr_spill_count: 0
    .symbol:         _ZN7rocprim17ROCPRIM_400000_NS6detail17trampoline_kernelINS0_14default_configENS1_38merge_sort_block_merge_config_selectorIyNS0_10empty_typeEEEZZNS1_27merge_sort_block_merge_implIS3_N6thrust23THRUST_200600_302600_NS6detail15normal_iteratorINS9_10device_ptrIyEEEEPS5_m14custom_greaterIyEEE10hipError_tT0_T1_T2_jT3_P12ihipStream_tbPNSt15iterator_traitsISJ_E10value_typeEPNSP_ISK_E10value_typeEPSL_NS1_7vsmem_tEENKUlT_SJ_SK_SL_E_clISE_PySF_SF_EESI_SY_SJ_SK_SL_EUlSY_E0_NS1_11comp_targetILNS1_3genE0ELNS1_11target_archE4294967295ELNS1_3gpuE0ELNS1_3repE0EEENS1_38merge_mergepath_config_static_selectorELNS0_4arch9wavefront6targetE1EEEvSK_.kd
    .uniform_work_group_size: 1
    .uses_dynamic_stack: false
    .vgpr_count:     0
    .vgpr_spill_count: 0
    .wavefront_size: 64
  - .agpr_count:     0
    .args:
      - .offset:         0
        .size:           72
        .value_kind:     by_value
    .group_segment_fixed_size: 0
    .kernarg_segment_align: 8
    .kernarg_segment_size: 72
    .language:       OpenCL C
    .language_version:
      - 2
      - 0
    .max_flat_workgroup_size: 512
    .name:           _ZN7rocprim17ROCPRIM_400000_NS6detail17trampoline_kernelINS0_14default_configENS1_38merge_sort_block_merge_config_selectorIyNS0_10empty_typeEEEZZNS1_27merge_sort_block_merge_implIS3_N6thrust23THRUST_200600_302600_NS6detail15normal_iteratorINS9_10device_ptrIyEEEEPS5_m14custom_greaterIyEEE10hipError_tT0_T1_T2_jT3_P12ihipStream_tbPNSt15iterator_traitsISJ_E10value_typeEPNSP_ISK_E10value_typeEPSL_NS1_7vsmem_tEENKUlT_SJ_SK_SL_E_clISE_PySF_SF_EESI_SY_SJ_SK_SL_EUlSY_E0_NS1_11comp_targetILNS1_3genE10ELNS1_11target_archE1201ELNS1_3gpuE5ELNS1_3repE0EEENS1_38merge_mergepath_config_static_selectorELNS0_4arch9wavefront6targetE1EEEvSK_
    .private_segment_fixed_size: 0
    .sgpr_count:     4
    .sgpr_spill_count: 0
    .symbol:         _ZN7rocprim17ROCPRIM_400000_NS6detail17trampoline_kernelINS0_14default_configENS1_38merge_sort_block_merge_config_selectorIyNS0_10empty_typeEEEZZNS1_27merge_sort_block_merge_implIS3_N6thrust23THRUST_200600_302600_NS6detail15normal_iteratorINS9_10device_ptrIyEEEEPS5_m14custom_greaterIyEEE10hipError_tT0_T1_T2_jT3_P12ihipStream_tbPNSt15iterator_traitsISJ_E10value_typeEPNSP_ISK_E10value_typeEPSL_NS1_7vsmem_tEENKUlT_SJ_SK_SL_E_clISE_PySF_SF_EESI_SY_SJ_SK_SL_EUlSY_E0_NS1_11comp_targetILNS1_3genE10ELNS1_11target_archE1201ELNS1_3gpuE5ELNS1_3repE0EEENS1_38merge_mergepath_config_static_selectorELNS0_4arch9wavefront6targetE1EEEvSK_.kd
    .uniform_work_group_size: 1
    .uses_dynamic_stack: false
    .vgpr_count:     0
    .vgpr_spill_count: 0
    .wavefront_size: 64
  - .agpr_count:     0
    .args:
      - .offset:         0
        .size:           72
        .value_kind:     by_value
    .group_segment_fixed_size: 0
    .kernarg_segment_align: 8
    .kernarg_segment_size: 72
    .language:       OpenCL C
    .language_version:
      - 2
      - 0
    .max_flat_workgroup_size: 128
    .name:           _ZN7rocprim17ROCPRIM_400000_NS6detail17trampoline_kernelINS0_14default_configENS1_38merge_sort_block_merge_config_selectorIyNS0_10empty_typeEEEZZNS1_27merge_sort_block_merge_implIS3_N6thrust23THRUST_200600_302600_NS6detail15normal_iteratorINS9_10device_ptrIyEEEEPS5_m14custom_greaterIyEEE10hipError_tT0_T1_T2_jT3_P12ihipStream_tbPNSt15iterator_traitsISJ_E10value_typeEPNSP_ISK_E10value_typeEPSL_NS1_7vsmem_tEENKUlT_SJ_SK_SL_E_clISE_PySF_SF_EESI_SY_SJ_SK_SL_EUlSY_E0_NS1_11comp_targetILNS1_3genE5ELNS1_11target_archE942ELNS1_3gpuE9ELNS1_3repE0EEENS1_38merge_mergepath_config_static_selectorELNS0_4arch9wavefront6targetE1EEEvSK_
    .private_segment_fixed_size: 0
    .sgpr_count:     4
    .sgpr_spill_count: 0
    .symbol:         _ZN7rocprim17ROCPRIM_400000_NS6detail17trampoline_kernelINS0_14default_configENS1_38merge_sort_block_merge_config_selectorIyNS0_10empty_typeEEEZZNS1_27merge_sort_block_merge_implIS3_N6thrust23THRUST_200600_302600_NS6detail15normal_iteratorINS9_10device_ptrIyEEEEPS5_m14custom_greaterIyEEE10hipError_tT0_T1_T2_jT3_P12ihipStream_tbPNSt15iterator_traitsISJ_E10value_typeEPNSP_ISK_E10value_typeEPSL_NS1_7vsmem_tEENKUlT_SJ_SK_SL_E_clISE_PySF_SF_EESI_SY_SJ_SK_SL_EUlSY_E0_NS1_11comp_targetILNS1_3genE5ELNS1_11target_archE942ELNS1_3gpuE9ELNS1_3repE0EEENS1_38merge_mergepath_config_static_selectorELNS0_4arch9wavefront6targetE1EEEvSK_.kd
    .uniform_work_group_size: 1
    .uses_dynamic_stack: false
    .vgpr_count:     0
    .vgpr_spill_count: 0
    .wavefront_size: 64
  - .agpr_count:     0
    .args:
      - .offset:         0
        .size:           72
        .value_kind:     by_value
      - .offset:         72
        .size:           4
        .value_kind:     hidden_block_count_x
      - .offset:         76
        .size:           4
        .value_kind:     hidden_block_count_y
      - .offset:         80
        .size:           4
        .value_kind:     hidden_block_count_z
      - .offset:         84
        .size:           2
        .value_kind:     hidden_group_size_x
      - .offset:         86
        .size:           2
        .value_kind:     hidden_group_size_y
      - .offset:         88
        .size:           2
        .value_kind:     hidden_group_size_z
      - .offset:         90
        .size:           2
        .value_kind:     hidden_remainder_x
      - .offset:         92
        .size:           2
        .value_kind:     hidden_remainder_y
      - .offset:         94
        .size:           2
        .value_kind:     hidden_remainder_z
      - .offset:         112
        .size:           8
        .value_kind:     hidden_global_offset_x
      - .offset:         120
        .size:           8
        .value_kind:     hidden_global_offset_y
      - .offset:         128
        .size:           8
        .value_kind:     hidden_global_offset_z
      - .offset:         136
        .size:           2
        .value_kind:     hidden_grid_dims
    .group_segment_fixed_size: 8448
    .kernarg_segment_align: 8
    .kernarg_segment_size: 328
    .language:       OpenCL C
    .language_version:
      - 2
      - 0
    .max_flat_workgroup_size: 256
    .name:           _ZN7rocprim17ROCPRIM_400000_NS6detail17trampoline_kernelINS0_14default_configENS1_38merge_sort_block_merge_config_selectorIyNS0_10empty_typeEEEZZNS1_27merge_sort_block_merge_implIS3_N6thrust23THRUST_200600_302600_NS6detail15normal_iteratorINS9_10device_ptrIyEEEEPS5_m14custom_greaterIyEEE10hipError_tT0_T1_T2_jT3_P12ihipStream_tbPNSt15iterator_traitsISJ_E10value_typeEPNSP_ISK_E10value_typeEPSL_NS1_7vsmem_tEENKUlT_SJ_SK_SL_E_clISE_PySF_SF_EESI_SY_SJ_SK_SL_EUlSY_E0_NS1_11comp_targetILNS1_3genE4ELNS1_11target_archE910ELNS1_3gpuE8ELNS1_3repE0EEENS1_38merge_mergepath_config_static_selectorELNS0_4arch9wavefront6targetE1EEEvSK_
    .private_segment_fixed_size: 0
    .sgpr_count:     35
    .sgpr_spill_count: 0
    .symbol:         _ZN7rocprim17ROCPRIM_400000_NS6detail17trampoline_kernelINS0_14default_configENS1_38merge_sort_block_merge_config_selectorIyNS0_10empty_typeEEEZZNS1_27merge_sort_block_merge_implIS3_N6thrust23THRUST_200600_302600_NS6detail15normal_iteratorINS9_10device_ptrIyEEEEPS5_m14custom_greaterIyEEE10hipError_tT0_T1_T2_jT3_P12ihipStream_tbPNSt15iterator_traitsISJ_E10value_typeEPNSP_ISK_E10value_typeEPSL_NS1_7vsmem_tEENKUlT_SJ_SK_SL_E_clISE_PySF_SF_EESI_SY_SJ_SK_SL_EUlSY_E0_NS1_11comp_targetILNS1_3genE4ELNS1_11target_archE910ELNS1_3gpuE8ELNS1_3repE0EEENS1_38merge_mergepath_config_static_selectorELNS0_4arch9wavefront6targetE1EEEvSK_.kd
    .uniform_work_group_size: 1
    .uses_dynamic_stack: false
    .vgpr_count:     22
    .vgpr_spill_count: 0
    .wavefront_size: 64
  - .agpr_count:     0
    .args:
      - .offset:         0
        .size:           72
        .value_kind:     by_value
    .group_segment_fixed_size: 0
    .kernarg_segment_align: 8
    .kernarg_segment_size: 72
    .language:       OpenCL C
    .language_version:
      - 2
      - 0
    .max_flat_workgroup_size: 128
    .name:           _ZN7rocprim17ROCPRIM_400000_NS6detail17trampoline_kernelINS0_14default_configENS1_38merge_sort_block_merge_config_selectorIyNS0_10empty_typeEEEZZNS1_27merge_sort_block_merge_implIS3_N6thrust23THRUST_200600_302600_NS6detail15normal_iteratorINS9_10device_ptrIyEEEEPS5_m14custom_greaterIyEEE10hipError_tT0_T1_T2_jT3_P12ihipStream_tbPNSt15iterator_traitsISJ_E10value_typeEPNSP_ISK_E10value_typeEPSL_NS1_7vsmem_tEENKUlT_SJ_SK_SL_E_clISE_PySF_SF_EESI_SY_SJ_SK_SL_EUlSY_E0_NS1_11comp_targetILNS1_3genE3ELNS1_11target_archE908ELNS1_3gpuE7ELNS1_3repE0EEENS1_38merge_mergepath_config_static_selectorELNS0_4arch9wavefront6targetE1EEEvSK_
    .private_segment_fixed_size: 0
    .sgpr_count:     4
    .sgpr_spill_count: 0
    .symbol:         _ZN7rocprim17ROCPRIM_400000_NS6detail17trampoline_kernelINS0_14default_configENS1_38merge_sort_block_merge_config_selectorIyNS0_10empty_typeEEEZZNS1_27merge_sort_block_merge_implIS3_N6thrust23THRUST_200600_302600_NS6detail15normal_iteratorINS9_10device_ptrIyEEEEPS5_m14custom_greaterIyEEE10hipError_tT0_T1_T2_jT3_P12ihipStream_tbPNSt15iterator_traitsISJ_E10value_typeEPNSP_ISK_E10value_typeEPSL_NS1_7vsmem_tEENKUlT_SJ_SK_SL_E_clISE_PySF_SF_EESI_SY_SJ_SK_SL_EUlSY_E0_NS1_11comp_targetILNS1_3genE3ELNS1_11target_archE908ELNS1_3gpuE7ELNS1_3repE0EEENS1_38merge_mergepath_config_static_selectorELNS0_4arch9wavefront6targetE1EEEvSK_.kd
    .uniform_work_group_size: 1
    .uses_dynamic_stack: false
    .vgpr_count:     0
    .vgpr_spill_count: 0
    .wavefront_size: 64
  - .agpr_count:     0
    .args:
      - .offset:         0
        .size:           72
        .value_kind:     by_value
    .group_segment_fixed_size: 0
    .kernarg_segment_align: 8
    .kernarg_segment_size: 72
    .language:       OpenCL C
    .language_version:
      - 2
      - 0
    .max_flat_workgroup_size: 256
    .name:           _ZN7rocprim17ROCPRIM_400000_NS6detail17trampoline_kernelINS0_14default_configENS1_38merge_sort_block_merge_config_selectorIyNS0_10empty_typeEEEZZNS1_27merge_sort_block_merge_implIS3_N6thrust23THRUST_200600_302600_NS6detail15normal_iteratorINS9_10device_ptrIyEEEEPS5_m14custom_greaterIyEEE10hipError_tT0_T1_T2_jT3_P12ihipStream_tbPNSt15iterator_traitsISJ_E10value_typeEPNSP_ISK_E10value_typeEPSL_NS1_7vsmem_tEENKUlT_SJ_SK_SL_E_clISE_PySF_SF_EESI_SY_SJ_SK_SL_EUlSY_E0_NS1_11comp_targetILNS1_3genE2ELNS1_11target_archE906ELNS1_3gpuE6ELNS1_3repE0EEENS1_38merge_mergepath_config_static_selectorELNS0_4arch9wavefront6targetE1EEEvSK_
    .private_segment_fixed_size: 0
    .sgpr_count:     4
    .sgpr_spill_count: 0
    .symbol:         _ZN7rocprim17ROCPRIM_400000_NS6detail17trampoline_kernelINS0_14default_configENS1_38merge_sort_block_merge_config_selectorIyNS0_10empty_typeEEEZZNS1_27merge_sort_block_merge_implIS3_N6thrust23THRUST_200600_302600_NS6detail15normal_iteratorINS9_10device_ptrIyEEEEPS5_m14custom_greaterIyEEE10hipError_tT0_T1_T2_jT3_P12ihipStream_tbPNSt15iterator_traitsISJ_E10value_typeEPNSP_ISK_E10value_typeEPSL_NS1_7vsmem_tEENKUlT_SJ_SK_SL_E_clISE_PySF_SF_EESI_SY_SJ_SK_SL_EUlSY_E0_NS1_11comp_targetILNS1_3genE2ELNS1_11target_archE906ELNS1_3gpuE6ELNS1_3repE0EEENS1_38merge_mergepath_config_static_selectorELNS0_4arch9wavefront6targetE1EEEvSK_.kd
    .uniform_work_group_size: 1
    .uses_dynamic_stack: false
    .vgpr_count:     0
    .vgpr_spill_count: 0
    .wavefront_size: 64
  - .agpr_count:     0
    .args:
      - .offset:         0
        .size:           72
        .value_kind:     by_value
    .group_segment_fixed_size: 0
    .kernarg_segment_align: 8
    .kernarg_segment_size: 72
    .language:       OpenCL C
    .language_version:
      - 2
      - 0
    .max_flat_workgroup_size: 512
    .name:           _ZN7rocprim17ROCPRIM_400000_NS6detail17trampoline_kernelINS0_14default_configENS1_38merge_sort_block_merge_config_selectorIyNS0_10empty_typeEEEZZNS1_27merge_sort_block_merge_implIS3_N6thrust23THRUST_200600_302600_NS6detail15normal_iteratorINS9_10device_ptrIyEEEEPS5_m14custom_greaterIyEEE10hipError_tT0_T1_T2_jT3_P12ihipStream_tbPNSt15iterator_traitsISJ_E10value_typeEPNSP_ISK_E10value_typeEPSL_NS1_7vsmem_tEENKUlT_SJ_SK_SL_E_clISE_PySF_SF_EESI_SY_SJ_SK_SL_EUlSY_E0_NS1_11comp_targetILNS1_3genE9ELNS1_11target_archE1100ELNS1_3gpuE3ELNS1_3repE0EEENS1_38merge_mergepath_config_static_selectorELNS0_4arch9wavefront6targetE1EEEvSK_
    .private_segment_fixed_size: 0
    .sgpr_count:     4
    .sgpr_spill_count: 0
    .symbol:         _ZN7rocprim17ROCPRIM_400000_NS6detail17trampoline_kernelINS0_14default_configENS1_38merge_sort_block_merge_config_selectorIyNS0_10empty_typeEEEZZNS1_27merge_sort_block_merge_implIS3_N6thrust23THRUST_200600_302600_NS6detail15normal_iteratorINS9_10device_ptrIyEEEEPS5_m14custom_greaterIyEEE10hipError_tT0_T1_T2_jT3_P12ihipStream_tbPNSt15iterator_traitsISJ_E10value_typeEPNSP_ISK_E10value_typeEPSL_NS1_7vsmem_tEENKUlT_SJ_SK_SL_E_clISE_PySF_SF_EESI_SY_SJ_SK_SL_EUlSY_E0_NS1_11comp_targetILNS1_3genE9ELNS1_11target_archE1100ELNS1_3gpuE3ELNS1_3repE0EEENS1_38merge_mergepath_config_static_selectorELNS0_4arch9wavefront6targetE1EEEvSK_.kd
    .uniform_work_group_size: 1
    .uses_dynamic_stack: false
    .vgpr_count:     0
    .vgpr_spill_count: 0
    .wavefront_size: 64
  - .agpr_count:     0
    .args:
      - .offset:         0
        .size:           72
        .value_kind:     by_value
    .group_segment_fixed_size: 0
    .kernarg_segment_align: 8
    .kernarg_segment_size: 72
    .language:       OpenCL C
    .language_version:
      - 2
      - 0
    .max_flat_workgroup_size: 1024
    .name:           _ZN7rocprim17ROCPRIM_400000_NS6detail17trampoline_kernelINS0_14default_configENS1_38merge_sort_block_merge_config_selectorIyNS0_10empty_typeEEEZZNS1_27merge_sort_block_merge_implIS3_N6thrust23THRUST_200600_302600_NS6detail15normal_iteratorINS9_10device_ptrIyEEEEPS5_m14custom_greaterIyEEE10hipError_tT0_T1_T2_jT3_P12ihipStream_tbPNSt15iterator_traitsISJ_E10value_typeEPNSP_ISK_E10value_typeEPSL_NS1_7vsmem_tEENKUlT_SJ_SK_SL_E_clISE_PySF_SF_EESI_SY_SJ_SK_SL_EUlSY_E0_NS1_11comp_targetILNS1_3genE8ELNS1_11target_archE1030ELNS1_3gpuE2ELNS1_3repE0EEENS1_38merge_mergepath_config_static_selectorELNS0_4arch9wavefront6targetE1EEEvSK_
    .private_segment_fixed_size: 0
    .sgpr_count:     4
    .sgpr_spill_count: 0
    .symbol:         _ZN7rocprim17ROCPRIM_400000_NS6detail17trampoline_kernelINS0_14default_configENS1_38merge_sort_block_merge_config_selectorIyNS0_10empty_typeEEEZZNS1_27merge_sort_block_merge_implIS3_N6thrust23THRUST_200600_302600_NS6detail15normal_iteratorINS9_10device_ptrIyEEEEPS5_m14custom_greaterIyEEE10hipError_tT0_T1_T2_jT3_P12ihipStream_tbPNSt15iterator_traitsISJ_E10value_typeEPNSP_ISK_E10value_typeEPSL_NS1_7vsmem_tEENKUlT_SJ_SK_SL_E_clISE_PySF_SF_EESI_SY_SJ_SK_SL_EUlSY_E0_NS1_11comp_targetILNS1_3genE8ELNS1_11target_archE1030ELNS1_3gpuE2ELNS1_3repE0EEENS1_38merge_mergepath_config_static_selectorELNS0_4arch9wavefront6targetE1EEEvSK_.kd
    .uniform_work_group_size: 1
    .uses_dynamic_stack: false
    .vgpr_count:     0
    .vgpr_spill_count: 0
    .wavefront_size: 64
  - .agpr_count:     0
    .args:
      - .offset:         0
        .size:           56
        .value_kind:     by_value
    .group_segment_fixed_size: 0
    .kernarg_segment_align: 8
    .kernarg_segment_size: 56
    .language:       OpenCL C
    .language_version:
      - 2
      - 0
    .max_flat_workgroup_size: 256
    .name:           _ZN7rocprim17ROCPRIM_400000_NS6detail17trampoline_kernelINS0_14default_configENS1_38merge_sort_block_merge_config_selectorIyNS0_10empty_typeEEEZZNS1_27merge_sort_block_merge_implIS3_N6thrust23THRUST_200600_302600_NS6detail15normal_iteratorINS9_10device_ptrIyEEEEPS5_m14custom_greaterIyEEE10hipError_tT0_T1_T2_jT3_P12ihipStream_tbPNSt15iterator_traitsISJ_E10value_typeEPNSP_ISK_E10value_typeEPSL_NS1_7vsmem_tEENKUlT_SJ_SK_SL_E_clISE_PySF_SF_EESI_SY_SJ_SK_SL_EUlSY_E1_NS1_11comp_targetILNS1_3genE0ELNS1_11target_archE4294967295ELNS1_3gpuE0ELNS1_3repE0EEENS1_36merge_oddeven_config_static_selectorELNS0_4arch9wavefront6targetE1EEEvSK_
    .private_segment_fixed_size: 0
    .sgpr_count:     4
    .sgpr_spill_count: 0
    .symbol:         _ZN7rocprim17ROCPRIM_400000_NS6detail17trampoline_kernelINS0_14default_configENS1_38merge_sort_block_merge_config_selectorIyNS0_10empty_typeEEEZZNS1_27merge_sort_block_merge_implIS3_N6thrust23THRUST_200600_302600_NS6detail15normal_iteratorINS9_10device_ptrIyEEEEPS5_m14custom_greaterIyEEE10hipError_tT0_T1_T2_jT3_P12ihipStream_tbPNSt15iterator_traitsISJ_E10value_typeEPNSP_ISK_E10value_typeEPSL_NS1_7vsmem_tEENKUlT_SJ_SK_SL_E_clISE_PySF_SF_EESI_SY_SJ_SK_SL_EUlSY_E1_NS1_11comp_targetILNS1_3genE0ELNS1_11target_archE4294967295ELNS1_3gpuE0ELNS1_3repE0EEENS1_36merge_oddeven_config_static_selectorELNS0_4arch9wavefront6targetE1EEEvSK_.kd
    .uniform_work_group_size: 1
    .uses_dynamic_stack: false
    .vgpr_count:     0
    .vgpr_spill_count: 0
    .wavefront_size: 64
  - .agpr_count:     0
    .args:
      - .offset:         0
        .size:           56
        .value_kind:     by_value
    .group_segment_fixed_size: 0
    .kernarg_segment_align: 8
    .kernarg_segment_size: 56
    .language:       OpenCL C
    .language_version:
      - 2
      - 0
    .max_flat_workgroup_size: 256
    .name:           _ZN7rocprim17ROCPRIM_400000_NS6detail17trampoline_kernelINS0_14default_configENS1_38merge_sort_block_merge_config_selectorIyNS0_10empty_typeEEEZZNS1_27merge_sort_block_merge_implIS3_N6thrust23THRUST_200600_302600_NS6detail15normal_iteratorINS9_10device_ptrIyEEEEPS5_m14custom_greaterIyEEE10hipError_tT0_T1_T2_jT3_P12ihipStream_tbPNSt15iterator_traitsISJ_E10value_typeEPNSP_ISK_E10value_typeEPSL_NS1_7vsmem_tEENKUlT_SJ_SK_SL_E_clISE_PySF_SF_EESI_SY_SJ_SK_SL_EUlSY_E1_NS1_11comp_targetILNS1_3genE10ELNS1_11target_archE1201ELNS1_3gpuE5ELNS1_3repE0EEENS1_36merge_oddeven_config_static_selectorELNS0_4arch9wavefront6targetE1EEEvSK_
    .private_segment_fixed_size: 0
    .sgpr_count:     4
    .sgpr_spill_count: 0
    .symbol:         _ZN7rocprim17ROCPRIM_400000_NS6detail17trampoline_kernelINS0_14default_configENS1_38merge_sort_block_merge_config_selectorIyNS0_10empty_typeEEEZZNS1_27merge_sort_block_merge_implIS3_N6thrust23THRUST_200600_302600_NS6detail15normal_iteratorINS9_10device_ptrIyEEEEPS5_m14custom_greaterIyEEE10hipError_tT0_T1_T2_jT3_P12ihipStream_tbPNSt15iterator_traitsISJ_E10value_typeEPNSP_ISK_E10value_typeEPSL_NS1_7vsmem_tEENKUlT_SJ_SK_SL_E_clISE_PySF_SF_EESI_SY_SJ_SK_SL_EUlSY_E1_NS1_11comp_targetILNS1_3genE10ELNS1_11target_archE1201ELNS1_3gpuE5ELNS1_3repE0EEENS1_36merge_oddeven_config_static_selectorELNS0_4arch9wavefront6targetE1EEEvSK_.kd
    .uniform_work_group_size: 1
    .uses_dynamic_stack: false
    .vgpr_count:     0
    .vgpr_spill_count: 0
    .wavefront_size: 64
  - .agpr_count:     0
    .args:
      - .offset:         0
        .size:           56
        .value_kind:     by_value
    .group_segment_fixed_size: 0
    .kernarg_segment_align: 8
    .kernarg_segment_size: 56
    .language:       OpenCL C
    .language_version:
      - 2
      - 0
    .max_flat_workgroup_size: 256
    .name:           _ZN7rocprim17ROCPRIM_400000_NS6detail17trampoline_kernelINS0_14default_configENS1_38merge_sort_block_merge_config_selectorIyNS0_10empty_typeEEEZZNS1_27merge_sort_block_merge_implIS3_N6thrust23THRUST_200600_302600_NS6detail15normal_iteratorINS9_10device_ptrIyEEEEPS5_m14custom_greaterIyEEE10hipError_tT0_T1_T2_jT3_P12ihipStream_tbPNSt15iterator_traitsISJ_E10value_typeEPNSP_ISK_E10value_typeEPSL_NS1_7vsmem_tEENKUlT_SJ_SK_SL_E_clISE_PySF_SF_EESI_SY_SJ_SK_SL_EUlSY_E1_NS1_11comp_targetILNS1_3genE5ELNS1_11target_archE942ELNS1_3gpuE9ELNS1_3repE0EEENS1_36merge_oddeven_config_static_selectorELNS0_4arch9wavefront6targetE1EEEvSK_
    .private_segment_fixed_size: 0
    .sgpr_count:     4
    .sgpr_spill_count: 0
    .symbol:         _ZN7rocprim17ROCPRIM_400000_NS6detail17trampoline_kernelINS0_14default_configENS1_38merge_sort_block_merge_config_selectorIyNS0_10empty_typeEEEZZNS1_27merge_sort_block_merge_implIS3_N6thrust23THRUST_200600_302600_NS6detail15normal_iteratorINS9_10device_ptrIyEEEEPS5_m14custom_greaterIyEEE10hipError_tT0_T1_T2_jT3_P12ihipStream_tbPNSt15iterator_traitsISJ_E10value_typeEPNSP_ISK_E10value_typeEPSL_NS1_7vsmem_tEENKUlT_SJ_SK_SL_E_clISE_PySF_SF_EESI_SY_SJ_SK_SL_EUlSY_E1_NS1_11comp_targetILNS1_3genE5ELNS1_11target_archE942ELNS1_3gpuE9ELNS1_3repE0EEENS1_36merge_oddeven_config_static_selectorELNS0_4arch9wavefront6targetE1EEEvSK_.kd
    .uniform_work_group_size: 1
    .uses_dynamic_stack: false
    .vgpr_count:     0
    .vgpr_spill_count: 0
    .wavefront_size: 64
  - .agpr_count:     0
    .args:
      - .offset:         0
        .size:           56
        .value_kind:     by_value
    .group_segment_fixed_size: 0
    .kernarg_segment_align: 8
    .kernarg_segment_size: 56
    .language:       OpenCL C
    .language_version:
      - 2
      - 0
    .max_flat_workgroup_size: 256
    .name:           _ZN7rocprim17ROCPRIM_400000_NS6detail17trampoline_kernelINS0_14default_configENS1_38merge_sort_block_merge_config_selectorIyNS0_10empty_typeEEEZZNS1_27merge_sort_block_merge_implIS3_N6thrust23THRUST_200600_302600_NS6detail15normal_iteratorINS9_10device_ptrIyEEEEPS5_m14custom_greaterIyEEE10hipError_tT0_T1_T2_jT3_P12ihipStream_tbPNSt15iterator_traitsISJ_E10value_typeEPNSP_ISK_E10value_typeEPSL_NS1_7vsmem_tEENKUlT_SJ_SK_SL_E_clISE_PySF_SF_EESI_SY_SJ_SK_SL_EUlSY_E1_NS1_11comp_targetILNS1_3genE4ELNS1_11target_archE910ELNS1_3gpuE8ELNS1_3repE0EEENS1_36merge_oddeven_config_static_selectorELNS0_4arch9wavefront6targetE1EEEvSK_
    .private_segment_fixed_size: 0
    .sgpr_count:     25
    .sgpr_spill_count: 0
    .symbol:         _ZN7rocprim17ROCPRIM_400000_NS6detail17trampoline_kernelINS0_14default_configENS1_38merge_sort_block_merge_config_selectorIyNS0_10empty_typeEEEZZNS1_27merge_sort_block_merge_implIS3_N6thrust23THRUST_200600_302600_NS6detail15normal_iteratorINS9_10device_ptrIyEEEEPS5_m14custom_greaterIyEEE10hipError_tT0_T1_T2_jT3_P12ihipStream_tbPNSt15iterator_traitsISJ_E10value_typeEPNSP_ISK_E10value_typeEPSL_NS1_7vsmem_tEENKUlT_SJ_SK_SL_E_clISE_PySF_SF_EESI_SY_SJ_SK_SL_EUlSY_E1_NS1_11comp_targetILNS1_3genE4ELNS1_11target_archE910ELNS1_3gpuE8ELNS1_3repE0EEENS1_36merge_oddeven_config_static_selectorELNS0_4arch9wavefront6targetE1EEEvSK_.kd
    .uniform_work_group_size: 1
    .uses_dynamic_stack: false
    .vgpr_count:     12
    .vgpr_spill_count: 0
    .wavefront_size: 64
  - .agpr_count:     0
    .args:
      - .offset:         0
        .size:           56
        .value_kind:     by_value
    .group_segment_fixed_size: 0
    .kernarg_segment_align: 8
    .kernarg_segment_size: 56
    .language:       OpenCL C
    .language_version:
      - 2
      - 0
    .max_flat_workgroup_size: 256
    .name:           _ZN7rocprim17ROCPRIM_400000_NS6detail17trampoline_kernelINS0_14default_configENS1_38merge_sort_block_merge_config_selectorIyNS0_10empty_typeEEEZZNS1_27merge_sort_block_merge_implIS3_N6thrust23THRUST_200600_302600_NS6detail15normal_iteratorINS9_10device_ptrIyEEEEPS5_m14custom_greaterIyEEE10hipError_tT0_T1_T2_jT3_P12ihipStream_tbPNSt15iterator_traitsISJ_E10value_typeEPNSP_ISK_E10value_typeEPSL_NS1_7vsmem_tEENKUlT_SJ_SK_SL_E_clISE_PySF_SF_EESI_SY_SJ_SK_SL_EUlSY_E1_NS1_11comp_targetILNS1_3genE3ELNS1_11target_archE908ELNS1_3gpuE7ELNS1_3repE0EEENS1_36merge_oddeven_config_static_selectorELNS0_4arch9wavefront6targetE1EEEvSK_
    .private_segment_fixed_size: 0
    .sgpr_count:     4
    .sgpr_spill_count: 0
    .symbol:         _ZN7rocprim17ROCPRIM_400000_NS6detail17trampoline_kernelINS0_14default_configENS1_38merge_sort_block_merge_config_selectorIyNS0_10empty_typeEEEZZNS1_27merge_sort_block_merge_implIS3_N6thrust23THRUST_200600_302600_NS6detail15normal_iteratorINS9_10device_ptrIyEEEEPS5_m14custom_greaterIyEEE10hipError_tT0_T1_T2_jT3_P12ihipStream_tbPNSt15iterator_traitsISJ_E10value_typeEPNSP_ISK_E10value_typeEPSL_NS1_7vsmem_tEENKUlT_SJ_SK_SL_E_clISE_PySF_SF_EESI_SY_SJ_SK_SL_EUlSY_E1_NS1_11comp_targetILNS1_3genE3ELNS1_11target_archE908ELNS1_3gpuE7ELNS1_3repE0EEENS1_36merge_oddeven_config_static_selectorELNS0_4arch9wavefront6targetE1EEEvSK_.kd
    .uniform_work_group_size: 1
    .uses_dynamic_stack: false
    .vgpr_count:     0
    .vgpr_spill_count: 0
    .wavefront_size: 64
  - .agpr_count:     0
    .args:
      - .offset:         0
        .size:           56
        .value_kind:     by_value
    .group_segment_fixed_size: 0
    .kernarg_segment_align: 8
    .kernarg_segment_size: 56
    .language:       OpenCL C
    .language_version:
      - 2
      - 0
    .max_flat_workgroup_size: 256
    .name:           _ZN7rocprim17ROCPRIM_400000_NS6detail17trampoline_kernelINS0_14default_configENS1_38merge_sort_block_merge_config_selectorIyNS0_10empty_typeEEEZZNS1_27merge_sort_block_merge_implIS3_N6thrust23THRUST_200600_302600_NS6detail15normal_iteratorINS9_10device_ptrIyEEEEPS5_m14custom_greaterIyEEE10hipError_tT0_T1_T2_jT3_P12ihipStream_tbPNSt15iterator_traitsISJ_E10value_typeEPNSP_ISK_E10value_typeEPSL_NS1_7vsmem_tEENKUlT_SJ_SK_SL_E_clISE_PySF_SF_EESI_SY_SJ_SK_SL_EUlSY_E1_NS1_11comp_targetILNS1_3genE2ELNS1_11target_archE906ELNS1_3gpuE6ELNS1_3repE0EEENS1_36merge_oddeven_config_static_selectorELNS0_4arch9wavefront6targetE1EEEvSK_
    .private_segment_fixed_size: 0
    .sgpr_count:     4
    .sgpr_spill_count: 0
    .symbol:         _ZN7rocprim17ROCPRIM_400000_NS6detail17trampoline_kernelINS0_14default_configENS1_38merge_sort_block_merge_config_selectorIyNS0_10empty_typeEEEZZNS1_27merge_sort_block_merge_implIS3_N6thrust23THRUST_200600_302600_NS6detail15normal_iteratorINS9_10device_ptrIyEEEEPS5_m14custom_greaterIyEEE10hipError_tT0_T1_T2_jT3_P12ihipStream_tbPNSt15iterator_traitsISJ_E10value_typeEPNSP_ISK_E10value_typeEPSL_NS1_7vsmem_tEENKUlT_SJ_SK_SL_E_clISE_PySF_SF_EESI_SY_SJ_SK_SL_EUlSY_E1_NS1_11comp_targetILNS1_3genE2ELNS1_11target_archE906ELNS1_3gpuE6ELNS1_3repE0EEENS1_36merge_oddeven_config_static_selectorELNS0_4arch9wavefront6targetE1EEEvSK_.kd
    .uniform_work_group_size: 1
    .uses_dynamic_stack: false
    .vgpr_count:     0
    .vgpr_spill_count: 0
    .wavefront_size: 64
  - .agpr_count:     0
    .args:
      - .offset:         0
        .size:           56
        .value_kind:     by_value
    .group_segment_fixed_size: 0
    .kernarg_segment_align: 8
    .kernarg_segment_size: 56
    .language:       OpenCL C
    .language_version:
      - 2
      - 0
    .max_flat_workgroup_size: 256
    .name:           _ZN7rocprim17ROCPRIM_400000_NS6detail17trampoline_kernelINS0_14default_configENS1_38merge_sort_block_merge_config_selectorIyNS0_10empty_typeEEEZZNS1_27merge_sort_block_merge_implIS3_N6thrust23THRUST_200600_302600_NS6detail15normal_iteratorINS9_10device_ptrIyEEEEPS5_m14custom_greaterIyEEE10hipError_tT0_T1_T2_jT3_P12ihipStream_tbPNSt15iterator_traitsISJ_E10value_typeEPNSP_ISK_E10value_typeEPSL_NS1_7vsmem_tEENKUlT_SJ_SK_SL_E_clISE_PySF_SF_EESI_SY_SJ_SK_SL_EUlSY_E1_NS1_11comp_targetILNS1_3genE9ELNS1_11target_archE1100ELNS1_3gpuE3ELNS1_3repE0EEENS1_36merge_oddeven_config_static_selectorELNS0_4arch9wavefront6targetE1EEEvSK_
    .private_segment_fixed_size: 0
    .sgpr_count:     4
    .sgpr_spill_count: 0
    .symbol:         _ZN7rocprim17ROCPRIM_400000_NS6detail17trampoline_kernelINS0_14default_configENS1_38merge_sort_block_merge_config_selectorIyNS0_10empty_typeEEEZZNS1_27merge_sort_block_merge_implIS3_N6thrust23THRUST_200600_302600_NS6detail15normal_iteratorINS9_10device_ptrIyEEEEPS5_m14custom_greaterIyEEE10hipError_tT0_T1_T2_jT3_P12ihipStream_tbPNSt15iterator_traitsISJ_E10value_typeEPNSP_ISK_E10value_typeEPSL_NS1_7vsmem_tEENKUlT_SJ_SK_SL_E_clISE_PySF_SF_EESI_SY_SJ_SK_SL_EUlSY_E1_NS1_11comp_targetILNS1_3genE9ELNS1_11target_archE1100ELNS1_3gpuE3ELNS1_3repE0EEENS1_36merge_oddeven_config_static_selectorELNS0_4arch9wavefront6targetE1EEEvSK_.kd
    .uniform_work_group_size: 1
    .uses_dynamic_stack: false
    .vgpr_count:     0
    .vgpr_spill_count: 0
    .wavefront_size: 64
  - .agpr_count:     0
    .args:
      - .offset:         0
        .size:           56
        .value_kind:     by_value
    .group_segment_fixed_size: 0
    .kernarg_segment_align: 8
    .kernarg_segment_size: 56
    .language:       OpenCL C
    .language_version:
      - 2
      - 0
    .max_flat_workgroup_size: 256
    .name:           _ZN7rocprim17ROCPRIM_400000_NS6detail17trampoline_kernelINS0_14default_configENS1_38merge_sort_block_merge_config_selectorIyNS0_10empty_typeEEEZZNS1_27merge_sort_block_merge_implIS3_N6thrust23THRUST_200600_302600_NS6detail15normal_iteratorINS9_10device_ptrIyEEEEPS5_m14custom_greaterIyEEE10hipError_tT0_T1_T2_jT3_P12ihipStream_tbPNSt15iterator_traitsISJ_E10value_typeEPNSP_ISK_E10value_typeEPSL_NS1_7vsmem_tEENKUlT_SJ_SK_SL_E_clISE_PySF_SF_EESI_SY_SJ_SK_SL_EUlSY_E1_NS1_11comp_targetILNS1_3genE8ELNS1_11target_archE1030ELNS1_3gpuE2ELNS1_3repE0EEENS1_36merge_oddeven_config_static_selectorELNS0_4arch9wavefront6targetE1EEEvSK_
    .private_segment_fixed_size: 0
    .sgpr_count:     4
    .sgpr_spill_count: 0
    .symbol:         _ZN7rocprim17ROCPRIM_400000_NS6detail17trampoline_kernelINS0_14default_configENS1_38merge_sort_block_merge_config_selectorIyNS0_10empty_typeEEEZZNS1_27merge_sort_block_merge_implIS3_N6thrust23THRUST_200600_302600_NS6detail15normal_iteratorINS9_10device_ptrIyEEEEPS5_m14custom_greaterIyEEE10hipError_tT0_T1_T2_jT3_P12ihipStream_tbPNSt15iterator_traitsISJ_E10value_typeEPNSP_ISK_E10value_typeEPSL_NS1_7vsmem_tEENKUlT_SJ_SK_SL_E_clISE_PySF_SF_EESI_SY_SJ_SK_SL_EUlSY_E1_NS1_11comp_targetILNS1_3genE8ELNS1_11target_archE1030ELNS1_3gpuE2ELNS1_3repE0EEENS1_36merge_oddeven_config_static_selectorELNS0_4arch9wavefront6targetE1EEEvSK_.kd
    .uniform_work_group_size: 1
    .uses_dynamic_stack: false
    .vgpr_count:     0
    .vgpr_spill_count: 0
    .wavefront_size: 64
  - .agpr_count:     0
    .args:
      - .offset:         0
        .size:           40
        .value_kind:     by_value
    .group_segment_fixed_size: 0
    .kernarg_segment_align: 8
    .kernarg_segment_size: 40
    .language:       OpenCL C
    .language_version:
      - 2
      - 0
    .max_flat_workgroup_size: 128
    .name:           _ZN7rocprim17ROCPRIM_400000_NS6detail17trampoline_kernelINS0_14default_configENS1_25transform_config_selectorIyLb0EEEZNS1_14transform_implILb0ES3_S5_PyN6thrust23THRUST_200600_302600_NS6detail15normal_iteratorINS9_10device_ptrIyEEEENS0_8identityIyEEEE10hipError_tT2_T3_mT4_P12ihipStream_tbEUlT_E_NS1_11comp_targetILNS1_3genE0ELNS1_11target_archE4294967295ELNS1_3gpuE0ELNS1_3repE0EEENS1_30default_config_static_selectorELNS0_4arch9wavefront6targetE1EEEvT1_
    .private_segment_fixed_size: 0
    .sgpr_count:     4
    .sgpr_spill_count: 0
    .symbol:         _ZN7rocprim17ROCPRIM_400000_NS6detail17trampoline_kernelINS0_14default_configENS1_25transform_config_selectorIyLb0EEEZNS1_14transform_implILb0ES3_S5_PyN6thrust23THRUST_200600_302600_NS6detail15normal_iteratorINS9_10device_ptrIyEEEENS0_8identityIyEEEE10hipError_tT2_T3_mT4_P12ihipStream_tbEUlT_E_NS1_11comp_targetILNS1_3genE0ELNS1_11target_archE4294967295ELNS1_3gpuE0ELNS1_3repE0EEENS1_30default_config_static_selectorELNS0_4arch9wavefront6targetE1EEEvT1_.kd
    .uniform_work_group_size: 1
    .uses_dynamic_stack: false
    .vgpr_count:     0
    .vgpr_spill_count: 0
    .wavefront_size: 64
  - .agpr_count:     0
    .args:
      - .offset:         0
        .size:           40
        .value_kind:     by_value
    .group_segment_fixed_size: 0
    .kernarg_segment_align: 8
    .kernarg_segment_size: 40
    .language:       OpenCL C
    .language_version:
      - 2
      - 0
    .max_flat_workgroup_size: 512
    .name:           _ZN7rocprim17ROCPRIM_400000_NS6detail17trampoline_kernelINS0_14default_configENS1_25transform_config_selectorIyLb0EEEZNS1_14transform_implILb0ES3_S5_PyN6thrust23THRUST_200600_302600_NS6detail15normal_iteratorINS9_10device_ptrIyEEEENS0_8identityIyEEEE10hipError_tT2_T3_mT4_P12ihipStream_tbEUlT_E_NS1_11comp_targetILNS1_3genE5ELNS1_11target_archE942ELNS1_3gpuE9ELNS1_3repE0EEENS1_30default_config_static_selectorELNS0_4arch9wavefront6targetE1EEEvT1_
    .private_segment_fixed_size: 0
    .sgpr_count:     4
    .sgpr_spill_count: 0
    .symbol:         _ZN7rocprim17ROCPRIM_400000_NS6detail17trampoline_kernelINS0_14default_configENS1_25transform_config_selectorIyLb0EEEZNS1_14transform_implILb0ES3_S5_PyN6thrust23THRUST_200600_302600_NS6detail15normal_iteratorINS9_10device_ptrIyEEEENS0_8identityIyEEEE10hipError_tT2_T3_mT4_P12ihipStream_tbEUlT_E_NS1_11comp_targetILNS1_3genE5ELNS1_11target_archE942ELNS1_3gpuE9ELNS1_3repE0EEENS1_30default_config_static_selectorELNS0_4arch9wavefront6targetE1EEEvT1_.kd
    .uniform_work_group_size: 1
    .uses_dynamic_stack: false
    .vgpr_count:     0
    .vgpr_spill_count: 0
    .wavefront_size: 64
  - .agpr_count:     0
    .args:
      - .offset:         0
        .size:           40
        .value_kind:     by_value
      - .offset:         40
        .size:           4
        .value_kind:     hidden_block_count_x
      - .offset:         44
        .size:           4
        .value_kind:     hidden_block_count_y
      - .offset:         48
        .size:           4
        .value_kind:     hidden_block_count_z
      - .offset:         52
        .size:           2
        .value_kind:     hidden_group_size_x
      - .offset:         54
        .size:           2
        .value_kind:     hidden_group_size_y
      - .offset:         56
        .size:           2
        .value_kind:     hidden_group_size_z
      - .offset:         58
        .size:           2
        .value_kind:     hidden_remainder_x
      - .offset:         60
        .size:           2
        .value_kind:     hidden_remainder_y
      - .offset:         62
        .size:           2
        .value_kind:     hidden_remainder_z
      - .offset:         80
        .size:           8
        .value_kind:     hidden_global_offset_x
      - .offset:         88
        .size:           8
        .value_kind:     hidden_global_offset_y
      - .offset:         96
        .size:           8
        .value_kind:     hidden_global_offset_z
      - .offset:         104
        .size:           2
        .value_kind:     hidden_grid_dims
    .group_segment_fixed_size: 0
    .kernarg_segment_align: 8
    .kernarg_segment_size: 296
    .language:       OpenCL C
    .language_version:
      - 2
      - 0
    .max_flat_workgroup_size: 256
    .name:           _ZN7rocprim17ROCPRIM_400000_NS6detail17trampoline_kernelINS0_14default_configENS1_25transform_config_selectorIyLb0EEEZNS1_14transform_implILb0ES3_S5_PyN6thrust23THRUST_200600_302600_NS6detail15normal_iteratorINS9_10device_ptrIyEEEENS0_8identityIyEEEE10hipError_tT2_T3_mT4_P12ihipStream_tbEUlT_E_NS1_11comp_targetILNS1_3genE4ELNS1_11target_archE910ELNS1_3gpuE8ELNS1_3repE0EEENS1_30default_config_static_selectorELNS0_4arch9wavefront6targetE1EEEvT1_
    .private_segment_fixed_size: 0
    .sgpr_count:     20
    .sgpr_spill_count: 0
    .symbol:         _ZN7rocprim17ROCPRIM_400000_NS6detail17trampoline_kernelINS0_14default_configENS1_25transform_config_selectorIyLb0EEEZNS1_14transform_implILb0ES3_S5_PyN6thrust23THRUST_200600_302600_NS6detail15normal_iteratorINS9_10device_ptrIyEEEENS0_8identityIyEEEE10hipError_tT2_T3_mT4_P12ihipStream_tbEUlT_E_NS1_11comp_targetILNS1_3genE4ELNS1_11target_archE910ELNS1_3gpuE8ELNS1_3repE0EEENS1_30default_config_static_selectorELNS0_4arch9wavefront6targetE1EEEvT1_.kd
    .uniform_work_group_size: 1
    .uses_dynamic_stack: false
    .vgpr_count:     9
    .vgpr_spill_count: 0
    .wavefront_size: 64
  - .agpr_count:     0
    .args:
      - .offset:         0
        .size:           40
        .value_kind:     by_value
    .group_segment_fixed_size: 0
    .kernarg_segment_align: 8
    .kernarg_segment_size: 40
    .language:       OpenCL C
    .language_version:
      - 2
      - 0
    .max_flat_workgroup_size: 128
    .name:           _ZN7rocprim17ROCPRIM_400000_NS6detail17trampoline_kernelINS0_14default_configENS1_25transform_config_selectorIyLb0EEEZNS1_14transform_implILb0ES3_S5_PyN6thrust23THRUST_200600_302600_NS6detail15normal_iteratorINS9_10device_ptrIyEEEENS0_8identityIyEEEE10hipError_tT2_T3_mT4_P12ihipStream_tbEUlT_E_NS1_11comp_targetILNS1_3genE3ELNS1_11target_archE908ELNS1_3gpuE7ELNS1_3repE0EEENS1_30default_config_static_selectorELNS0_4arch9wavefront6targetE1EEEvT1_
    .private_segment_fixed_size: 0
    .sgpr_count:     4
    .sgpr_spill_count: 0
    .symbol:         _ZN7rocprim17ROCPRIM_400000_NS6detail17trampoline_kernelINS0_14default_configENS1_25transform_config_selectorIyLb0EEEZNS1_14transform_implILb0ES3_S5_PyN6thrust23THRUST_200600_302600_NS6detail15normal_iteratorINS9_10device_ptrIyEEEENS0_8identityIyEEEE10hipError_tT2_T3_mT4_P12ihipStream_tbEUlT_E_NS1_11comp_targetILNS1_3genE3ELNS1_11target_archE908ELNS1_3gpuE7ELNS1_3repE0EEENS1_30default_config_static_selectorELNS0_4arch9wavefront6targetE1EEEvT1_.kd
    .uniform_work_group_size: 1
    .uses_dynamic_stack: false
    .vgpr_count:     0
    .vgpr_spill_count: 0
    .wavefront_size: 64
  - .agpr_count:     0
    .args:
      - .offset:         0
        .size:           40
        .value_kind:     by_value
    .group_segment_fixed_size: 0
    .kernarg_segment_align: 8
    .kernarg_segment_size: 40
    .language:       OpenCL C
    .language_version:
      - 2
      - 0
    .max_flat_workgroup_size: 512
    .name:           _ZN7rocprim17ROCPRIM_400000_NS6detail17trampoline_kernelINS0_14default_configENS1_25transform_config_selectorIyLb0EEEZNS1_14transform_implILb0ES3_S5_PyN6thrust23THRUST_200600_302600_NS6detail15normal_iteratorINS9_10device_ptrIyEEEENS0_8identityIyEEEE10hipError_tT2_T3_mT4_P12ihipStream_tbEUlT_E_NS1_11comp_targetILNS1_3genE2ELNS1_11target_archE906ELNS1_3gpuE6ELNS1_3repE0EEENS1_30default_config_static_selectorELNS0_4arch9wavefront6targetE1EEEvT1_
    .private_segment_fixed_size: 0
    .sgpr_count:     4
    .sgpr_spill_count: 0
    .symbol:         _ZN7rocprim17ROCPRIM_400000_NS6detail17trampoline_kernelINS0_14default_configENS1_25transform_config_selectorIyLb0EEEZNS1_14transform_implILb0ES3_S5_PyN6thrust23THRUST_200600_302600_NS6detail15normal_iteratorINS9_10device_ptrIyEEEENS0_8identityIyEEEE10hipError_tT2_T3_mT4_P12ihipStream_tbEUlT_E_NS1_11comp_targetILNS1_3genE2ELNS1_11target_archE906ELNS1_3gpuE6ELNS1_3repE0EEENS1_30default_config_static_selectorELNS0_4arch9wavefront6targetE1EEEvT1_.kd
    .uniform_work_group_size: 1
    .uses_dynamic_stack: false
    .vgpr_count:     0
    .vgpr_spill_count: 0
    .wavefront_size: 64
  - .agpr_count:     0
    .args:
      - .offset:         0
        .size:           40
        .value_kind:     by_value
    .group_segment_fixed_size: 0
    .kernarg_segment_align: 8
    .kernarg_segment_size: 40
    .language:       OpenCL C
    .language_version:
      - 2
      - 0
    .max_flat_workgroup_size: 1024
    .name:           _ZN7rocprim17ROCPRIM_400000_NS6detail17trampoline_kernelINS0_14default_configENS1_25transform_config_selectorIyLb0EEEZNS1_14transform_implILb0ES3_S5_PyN6thrust23THRUST_200600_302600_NS6detail15normal_iteratorINS9_10device_ptrIyEEEENS0_8identityIyEEEE10hipError_tT2_T3_mT4_P12ihipStream_tbEUlT_E_NS1_11comp_targetILNS1_3genE10ELNS1_11target_archE1201ELNS1_3gpuE5ELNS1_3repE0EEENS1_30default_config_static_selectorELNS0_4arch9wavefront6targetE1EEEvT1_
    .private_segment_fixed_size: 0
    .sgpr_count:     4
    .sgpr_spill_count: 0
    .symbol:         _ZN7rocprim17ROCPRIM_400000_NS6detail17trampoline_kernelINS0_14default_configENS1_25transform_config_selectorIyLb0EEEZNS1_14transform_implILb0ES3_S5_PyN6thrust23THRUST_200600_302600_NS6detail15normal_iteratorINS9_10device_ptrIyEEEENS0_8identityIyEEEE10hipError_tT2_T3_mT4_P12ihipStream_tbEUlT_E_NS1_11comp_targetILNS1_3genE10ELNS1_11target_archE1201ELNS1_3gpuE5ELNS1_3repE0EEENS1_30default_config_static_selectorELNS0_4arch9wavefront6targetE1EEEvT1_.kd
    .uniform_work_group_size: 1
    .uses_dynamic_stack: false
    .vgpr_count:     0
    .vgpr_spill_count: 0
    .wavefront_size: 64
  - .agpr_count:     0
    .args:
      - .offset:         0
        .size:           40
        .value_kind:     by_value
    .group_segment_fixed_size: 0
    .kernarg_segment_align: 8
    .kernarg_segment_size: 40
    .language:       OpenCL C
    .language_version:
      - 2
      - 0
    .max_flat_workgroup_size: 512
    .name:           _ZN7rocprim17ROCPRIM_400000_NS6detail17trampoline_kernelINS0_14default_configENS1_25transform_config_selectorIyLb0EEEZNS1_14transform_implILb0ES3_S5_PyN6thrust23THRUST_200600_302600_NS6detail15normal_iteratorINS9_10device_ptrIyEEEENS0_8identityIyEEEE10hipError_tT2_T3_mT4_P12ihipStream_tbEUlT_E_NS1_11comp_targetILNS1_3genE10ELNS1_11target_archE1200ELNS1_3gpuE4ELNS1_3repE0EEENS1_30default_config_static_selectorELNS0_4arch9wavefront6targetE1EEEvT1_
    .private_segment_fixed_size: 0
    .sgpr_count:     4
    .sgpr_spill_count: 0
    .symbol:         _ZN7rocprim17ROCPRIM_400000_NS6detail17trampoline_kernelINS0_14default_configENS1_25transform_config_selectorIyLb0EEEZNS1_14transform_implILb0ES3_S5_PyN6thrust23THRUST_200600_302600_NS6detail15normal_iteratorINS9_10device_ptrIyEEEENS0_8identityIyEEEE10hipError_tT2_T3_mT4_P12ihipStream_tbEUlT_E_NS1_11comp_targetILNS1_3genE10ELNS1_11target_archE1200ELNS1_3gpuE4ELNS1_3repE0EEENS1_30default_config_static_selectorELNS0_4arch9wavefront6targetE1EEEvT1_.kd
    .uniform_work_group_size: 1
    .uses_dynamic_stack: false
    .vgpr_count:     0
    .vgpr_spill_count: 0
    .wavefront_size: 64
  - .agpr_count:     0
    .args:
      - .offset:         0
        .size:           40
        .value_kind:     by_value
    .group_segment_fixed_size: 0
    .kernarg_segment_align: 8
    .kernarg_segment_size: 40
    .language:       OpenCL C
    .language_version:
      - 2
      - 0
    .max_flat_workgroup_size: 512
    .name:           _ZN7rocprim17ROCPRIM_400000_NS6detail17trampoline_kernelINS0_14default_configENS1_25transform_config_selectorIyLb0EEEZNS1_14transform_implILb0ES3_S5_PyN6thrust23THRUST_200600_302600_NS6detail15normal_iteratorINS9_10device_ptrIyEEEENS0_8identityIyEEEE10hipError_tT2_T3_mT4_P12ihipStream_tbEUlT_E_NS1_11comp_targetILNS1_3genE9ELNS1_11target_archE1100ELNS1_3gpuE3ELNS1_3repE0EEENS1_30default_config_static_selectorELNS0_4arch9wavefront6targetE1EEEvT1_
    .private_segment_fixed_size: 0
    .sgpr_count:     4
    .sgpr_spill_count: 0
    .symbol:         _ZN7rocprim17ROCPRIM_400000_NS6detail17trampoline_kernelINS0_14default_configENS1_25transform_config_selectorIyLb0EEEZNS1_14transform_implILb0ES3_S5_PyN6thrust23THRUST_200600_302600_NS6detail15normal_iteratorINS9_10device_ptrIyEEEENS0_8identityIyEEEE10hipError_tT2_T3_mT4_P12ihipStream_tbEUlT_E_NS1_11comp_targetILNS1_3genE9ELNS1_11target_archE1100ELNS1_3gpuE3ELNS1_3repE0EEENS1_30default_config_static_selectorELNS0_4arch9wavefront6targetE1EEEvT1_.kd
    .uniform_work_group_size: 1
    .uses_dynamic_stack: false
    .vgpr_count:     0
    .vgpr_spill_count: 0
    .wavefront_size: 64
  - .agpr_count:     0
    .args:
      - .offset:         0
        .size:           40
        .value_kind:     by_value
    .group_segment_fixed_size: 0
    .kernarg_segment_align: 8
    .kernarg_segment_size: 40
    .language:       OpenCL C
    .language_version:
      - 2
      - 0
    .max_flat_workgroup_size: 512
    .name:           _ZN7rocprim17ROCPRIM_400000_NS6detail17trampoline_kernelINS0_14default_configENS1_25transform_config_selectorIyLb0EEEZNS1_14transform_implILb0ES3_S5_PyN6thrust23THRUST_200600_302600_NS6detail15normal_iteratorINS9_10device_ptrIyEEEENS0_8identityIyEEEE10hipError_tT2_T3_mT4_P12ihipStream_tbEUlT_E_NS1_11comp_targetILNS1_3genE8ELNS1_11target_archE1030ELNS1_3gpuE2ELNS1_3repE0EEENS1_30default_config_static_selectorELNS0_4arch9wavefront6targetE1EEEvT1_
    .private_segment_fixed_size: 0
    .sgpr_count:     4
    .sgpr_spill_count: 0
    .symbol:         _ZN7rocprim17ROCPRIM_400000_NS6detail17trampoline_kernelINS0_14default_configENS1_25transform_config_selectorIyLb0EEEZNS1_14transform_implILb0ES3_S5_PyN6thrust23THRUST_200600_302600_NS6detail15normal_iteratorINS9_10device_ptrIyEEEENS0_8identityIyEEEE10hipError_tT2_T3_mT4_P12ihipStream_tbEUlT_E_NS1_11comp_targetILNS1_3genE8ELNS1_11target_archE1030ELNS1_3gpuE2ELNS1_3repE0EEENS1_30default_config_static_selectorELNS0_4arch9wavefront6targetE1EEEvT1_.kd
    .uniform_work_group_size: 1
    .uses_dynamic_stack: false
    .vgpr_count:     0
    .vgpr_spill_count: 0
    .wavefront_size: 64
  - .agpr_count:     0
    .args:           []
    .group_segment_fixed_size: 0
    .kernarg_segment_align: 4
    .kernarg_segment_size: 0
    .language:       OpenCL C
    .language_version:
      - 2
      - 0
    .max_flat_workgroup_size: 1024
    .name:           _ZN7rocprim17ROCPRIM_400000_NS6detail44device_merge_sort_compile_time_verifier_archINS1_11comp_targetILNS1_3genE0ELNS1_11target_archE4294967295ELNS1_3gpuE0ELNS1_3repE0EEES8_NS0_14default_configES9_NS1_37merge_sort_block_sort_config_selectorIfNS0_10empty_typeEEENS1_38merge_sort_block_merge_config_selectorIfSB_EEEEvv
    .private_segment_fixed_size: 0
    .sgpr_count:     4
    .sgpr_spill_count: 0
    .symbol:         _ZN7rocprim17ROCPRIM_400000_NS6detail44device_merge_sort_compile_time_verifier_archINS1_11comp_targetILNS1_3genE0ELNS1_11target_archE4294967295ELNS1_3gpuE0ELNS1_3repE0EEES8_NS0_14default_configES9_NS1_37merge_sort_block_sort_config_selectorIfNS0_10empty_typeEEENS1_38merge_sort_block_merge_config_selectorIfSB_EEEEvv.kd
    .uniform_work_group_size: 1
    .uses_dynamic_stack: false
    .vgpr_count:     0
    .vgpr_spill_count: 0
    .wavefront_size: 64
  - .agpr_count:     0
    .args:           []
    .group_segment_fixed_size: 0
    .kernarg_segment_align: 4
    .kernarg_segment_size: 0
    .language:       OpenCL C
    .language_version:
      - 2
      - 0
    .max_flat_workgroup_size: 1024
    .name:           _ZN7rocprim17ROCPRIM_400000_NS6detail44device_merge_sort_compile_time_verifier_archINS1_11comp_targetILNS1_3genE5ELNS1_11target_archE942ELNS1_3gpuE9ELNS1_3repE0EEES8_NS0_14default_configES9_NS1_37merge_sort_block_sort_config_selectorIfNS0_10empty_typeEEENS1_38merge_sort_block_merge_config_selectorIfSB_EEEEvv
    .private_segment_fixed_size: 0
    .sgpr_count:     4
    .sgpr_spill_count: 0
    .symbol:         _ZN7rocprim17ROCPRIM_400000_NS6detail44device_merge_sort_compile_time_verifier_archINS1_11comp_targetILNS1_3genE5ELNS1_11target_archE942ELNS1_3gpuE9ELNS1_3repE0EEES8_NS0_14default_configES9_NS1_37merge_sort_block_sort_config_selectorIfNS0_10empty_typeEEENS1_38merge_sort_block_merge_config_selectorIfSB_EEEEvv.kd
    .uniform_work_group_size: 1
    .uses_dynamic_stack: false
    .vgpr_count:     0
    .vgpr_spill_count: 0
    .wavefront_size: 64
  - .agpr_count:     0
    .args:           []
    .group_segment_fixed_size: 0
    .kernarg_segment_align: 4
    .kernarg_segment_size: 0
    .language:       OpenCL C
    .language_version:
      - 2
      - 0
    .max_flat_workgroup_size: 1024
    .name:           _ZN7rocprim17ROCPRIM_400000_NS6detail44device_merge_sort_compile_time_verifier_archINS1_11comp_targetILNS1_3genE4ELNS1_11target_archE910ELNS1_3gpuE8ELNS1_3repE0EEES8_NS0_14default_configES9_NS1_37merge_sort_block_sort_config_selectorIfNS0_10empty_typeEEENS1_38merge_sort_block_merge_config_selectorIfSB_EEEEvv
    .private_segment_fixed_size: 0
    .sgpr_count:     4
    .sgpr_spill_count: 0
    .symbol:         _ZN7rocprim17ROCPRIM_400000_NS6detail44device_merge_sort_compile_time_verifier_archINS1_11comp_targetILNS1_3genE4ELNS1_11target_archE910ELNS1_3gpuE8ELNS1_3repE0EEES8_NS0_14default_configES9_NS1_37merge_sort_block_sort_config_selectorIfNS0_10empty_typeEEENS1_38merge_sort_block_merge_config_selectorIfSB_EEEEvv.kd
    .uniform_work_group_size: 1
    .uses_dynamic_stack: false
    .vgpr_count:     0
    .vgpr_spill_count: 0
    .wavefront_size: 64
  - .agpr_count:     0
    .args:           []
    .group_segment_fixed_size: 0
    .kernarg_segment_align: 4
    .kernarg_segment_size: 0
    .language:       OpenCL C
    .language_version:
      - 2
      - 0
    .max_flat_workgroup_size: 1024
    .name:           _ZN7rocprim17ROCPRIM_400000_NS6detail44device_merge_sort_compile_time_verifier_archINS1_11comp_targetILNS1_3genE3ELNS1_11target_archE908ELNS1_3gpuE7ELNS1_3repE0EEES8_NS0_14default_configES9_NS1_37merge_sort_block_sort_config_selectorIfNS0_10empty_typeEEENS1_38merge_sort_block_merge_config_selectorIfSB_EEEEvv
    .private_segment_fixed_size: 0
    .sgpr_count:     4
    .sgpr_spill_count: 0
    .symbol:         _ZN7rocprim17ROCPRIM_400000_NS6detail44device_merge_sort_compile_time_verifier_archINS1_11comp_targetILNS1_3genE3ELNS1_11target_archE908ELNS1_3gpuE7ELNS1_3repE0EEES8_NS0_14default_configES9_NS1_37merge_sort_block_sort_config_selectorIfNS0_10empty_typeEEENS1_38merge_sort_block_merge_config_selectorIfSB_EEEEvv.kd
    .uniform_work_group_size: 1
    .uses_dynamic_stack: false
    .vgpr_count:     0
    .vgpr_spill_count: 0
    .wavefront_size: 64
  - .agpr_count:     0
    .args:           []
    .group_segment_fixed_size: 0
    .kernarg_segment_align: 4
    .kernarg_segment_size: 0
    .language:       OpenCL C
    .language_version:
      - 2
      - 0
    .max_flat_workgroup_size: 1024
    .name:           _ZN7rocprim17ROCPRIM_400000_NS6detail44device_merge_sort_compile_time_verifier_archINS1_11comp_targetILNS1_3genE2ELNS1_11target_archE906ELNS1_3gpuE6ELNS1_3repE0EEES8_NS0_14default_configES9_NS1_37merge_sort_block_sort_config_selectorIfNS0_10empty_typeEEENS1_38merge_sort_block_merge_config_selectorIfSB_EEEEvv
    .private_segment_fixed_size: 0
    .sgpr_count:     4
    .sgpr_spill_count: 0
    .symbol:         _ZN7rocprim17ROCPRIM_400000_NS6detail44device_merge_sort_compile_time_verifier_archINS1_11comp_targetILNS1_3genE2ELNS1_11target_archE906ELNS1_3gpuE6ELNS1_3repE0EEES8_NS0_14default_configES9_NS1_37merge_sort_block_sort_config_selectorIfNS0_10empty_typeEEENS1_38merge_sort_block_merge_config_selectorIfSB_EEEEvv.kd
    .uniform_work_group_size: 1
    .uses_dynamic_stack: false
    .vgpr_count:     0
    .vgpr_spill_count: 0
    .wavefront_size: 64
  - .agpr_count:     0
    .args:           []
    .group_segment_fixed_size: 0
    .kernarg_segment_align: 4
    .kernarg_segment_size: 0
    .language:       OpenCL C
    .language_version:
      - 2
      - 0
    .max_flat_workgroup_size: 1024
    .name:           _ZN7rocprim17ROCPRIM_400000_NS6detail44device_merge_sort_compile_time_verifier_archINS1_11comp_targetILNS1_3genE10ELNS1_11target_archE1201ELNS1_3gpuE5ELNS1_3repE0EEES8_NS0_14default_configES9_NS1_37merge_sort_block_sort_config_selectorIfNS0_10empty_typeEEENS1_38merge_sort_block_merge_config_selectorIfSB_EEEEvv
    .private_segment_fixed_size: 0
    .sgpr_count:     4
    .sgpr_spill_count: 0
    .symbol:         _ZN7rocprim17ROCPRIM_400000_NS6detail44device_merge_sort_compile_time_verifier_archINS1_11comp_targetILNS1_3genE10ELNS1_11target_archE1201ELNS1_3gpuE5ELNS1_3repE0EEES8_NS0_14default_configES9_NS1_37merge_sort_block_sort_config_selectorIfNS0_10empty_typeEEENS1_38merge_sort_block_merge_config_selectorIfSB_EEEEvv.kd
    .uniform_work_group_size: 1
    .uses_dynamic_stack: false
    .vgpr_count:     0
    .vgpr_spill_count: 0
    .wavefront_size: 64
  - .agpr_count:     0
    .args:           []
    .group_segment_fixed_size: 0
    .kernarg_segment_align: 4
    .kernarg_segment_size: 0
    .language:       OpenCL C
    .language_version:
      - 2
      - 0
    .max_flat_workgroup_size: 1024
    .name:           _ZN7rocprim17ROCPRIM_400000_NS6detail44device_merge_sort_compile_time_verifier_archINS1_11comp_targetILNS1_3genE10ELNS1_11target_archE1200ELNS1_3gpuE4ELNS1_3repE0EEENS3_ILS4_10ELS5_1201ELS6_5ELS7_0EEENS0_14default_configESA_NS1_37merge_sort_block_sort_config_selectorIfNS0_10empty_typeEEENS1_38merge_sort_block_merge_config_selectorIfSC_EEEEvv
    .private_segment_fixed_size: 0
    .sgpr_count:     4
    .sgpr_spill_count: 0
    .symbol:         _ZN7rocprim17ROCPRIM_400000_NS6detail44device_merge_sort_compile_time_verifier_archINS1_11comp_targetILNS1_3genE10ELNS1_11target_archE1200ELNS1_3gpuE4ELNS1_3repE0EEENS3_ILS4_10ELS5_1201ELS6_5ELS7_0EEENS0_14default_configESA_NS1_37merge_sort_block_sort_config_selectorIfNS0_10empty_typeEEENS1_38merge_sort_block_merge_config_selectorIfSC_EEEEvv.kd
    .uniform_work_group_size: 1
    .uses_dynamic_stack: false
    .vgpr_count:     0
    .vgpr_spill_count: 0
    .wavefront_size: 64
  - .agpr_count:     0
    .args:           []
    .group_segment_fixed_size: 0
    .kernarg_segment_align: 4
    .kernarg_segment_size: 0
    .language:       OpenCL C
    .language_version:
      - 2
      - 0
    .max_flat_workgroup_size: 1024
    .name:           _ZN7rocprim17ROCPRIM_400000_NS6detail44device_merge_sort_compile_time_verifier_archINS1_11comp_targetILNS1_3genE9ELNS1_11target_archE1100ELNS1_3gpuE3ELNS1_3repE0EEES8_NS0_14default_configES9_NS1_37merge_sort_block_sort_config_selectorIfNS0_10empty_typeEEENS1_38merge_sort_block_merge_config_selectorIfSB_EEEEvv
    .private_segment_fixed_size: 0
    .sgpr_count:     4
    .sgpr_spill_count: 0
    .symbol:         _ZN7rocprim17ROCPRIM_400000_NS6detail44device_merge_sort_compile_time_verifier_archINS1_11comp_targetILNS1_3genE9ELNS1_11target_archE1100ELNS1_3gpuE3ELNS1_3repE0EEES8_NS0_14default_configES9_NS1_37merge_sort_block_sort_config_selectorIfNS0_10empty_typeEEENS1_38merge_sort_block_merge_config_selectorIfSB_EEEEvv.kd
    .uniform_work_group_size: 1
    .uses_dynamic_stack: false
    .vgpr_count:     0
    .vgpr_spill_count: 0
    .wavefront_size: 64
  - .agpr_count:     0
    .args:           []
    .group_segment_fixed_size: 0
    .kernarg_segment_align: 4
    .kernarg_segment_size: 0
    .language:       OpenCL C
    .language_version:
      - 2
      - 0
    .max_flat_workgroup_size: 1024
    .name:           _ZN7rocprim17ROCPRIM_400000_NS6detail44device_merge_sort_compile_time_verifier_archINS1_11comp_targetILNS1_3genE8ELNS1_11target_archE1030ELNS1_3gpuE2ELNS1_3repE0EEES8_NS0_14default_configES9_NS1_37merge_sort_block_sort_config_selectorIfNS0_10empty_typeEEENS1_38merge_sort_block_merge_config_selectorIfSB_EEEEvv
    .private_segment_fixed_size: 0
    .sgpr_count:     4
    .sgpr_spill_count: 0
    .symbol:         _ZN7rocprim17ROCPRIM_400000_NS6detail44device_merge_sort_compile_time_verifier_archINS1_11comp_targetILNS1_3genE8ELNS1_11target_archE1030ELNS1_3gpuE2ELNS1_3repE0EEES8_NS0_14default_configES9_NS1_37merge_sort_block_sort_config_selectorIfNS0_10empty_typeEEENS1_38merge_sort_block_merge_config_selectorIfSB_EEEEvv.kd
    .uniform_work_group_size: 1
    .uses_dynamic_stack: false
    .vgpr_count:     0
    .vgpr_spill_count: 0
    .wavefront_size: 64
  - .agpr_count:     0
    .args:
      - .offset:         0
        .size:           64
        .value_kind:     by_value
    .group_segment_fixed_size: 0
    .kernarg_segment_align: 8
    .kernarg_segment_size: 64
    .language:       OpenCL C
    .language_version:
      - 2
      - 0
    .max_flat_workgroup_size: 256
    .name:           _ZN7rocprim17ROCPRIM_400000_NS6detail17trampoline_kernelINS0_14default_configENS1_37merge_sort_block_sort_config_selectorIfNS0_10empty_typeEEEZNS1_21merge_sort_block_sortIS3_N6thrust23THRUST_200600_302600_NS6detail15normal_iteratorINS9_10device_ptrIfEEEESE_PS5_SF_14custom_greaterIfEEE10hipError_tT0_T1_T2_T3_mRjT4_P12ihipStream_tbNS1_7vsmem_tEEUlT_E_NS1_11comp_targetILNS1_3genE0ELNS1_11target_archE4294967295ELNS1_3gpuE0ELNS1_3repE0EEENS1_30default_config_static_selectorELNS0_4arch9wavefront6targetE1EEEvSK_
    .private_segment_fixed_size: 0
    .sgpr_count:     4
    .sgpr_spill_count: 0
    .symbol:         _ZN7rocprim17ROCPRIM_400000_NS6detail17trampoline_kernelINS0_14default_configENS1_37merge_sort_block_sort_config_selectorIfNS0_10empty_typeEEEZNS1_21merge_sort_block_sortIS3_N6thrust23THRUST_200600_302600_NS6detail15normal_iteratorINS9_10device_ptrIfEEEESE_PS5_SF_14custom_greaterIfEEE10hipError_tT0_T1_T2_T3_mRjT4_P12ihipStream_tbNS1_7vsmem_tEEUlT_E_NS1_11comp_targetILNS1_3genE0ELNS1_11target_archE4294967295ELNS1_3gpuE0ELNS1_3repE0EEENS1_30default_config_static_selectorELNS0_4arch9wavefront6targetE1EEEvSK_.kd
    .uniform_work_group_size: 1
    .uses_dynamic_stack: false
    .vgpr_count:     0
    .vgpr_spill_count: 0
    .wavefront_size: 64
  - .agpr_count:     0
    .args:
      - .offset:         0
        .size:           64
        .value_kind:     by_value
    .group_segment_fixed_size: 0
    .kernarg_segment_align: 8
    .kernarg_segment_size: 64
    .language:       OpenCL C
    .language_version:
      - 2
      - 0
    .max_flat_workgroup_size: 256
    .name:           _ZN7rocprim17ROCPRIM_400000_NS6detail17trampoline_kernelINS0_14default_configENS1_37merge_sort_block_sort_config_selectorIfNS0_10empty_typeEEEZNS1_21merge_sort_block_sortIS3_N6thrust23THRUST_200600_302600_NS6detail15normal_iteratorINS9_10device_ptrIfEEEESE_PS5_SF_14custom_greaterIfEEE10hipError_tT0_T1_T2_T3_mRjT4_P12ihipStream_tbNS1_7vsmem_tEEUlT_E_NS1_11comp_targetILNS1_3genE5ELNS1_11target_archE942ELNS1_3gpuE9ELNS1_3repE0EEENS1_30default_config_static_selectorELNS0_4arch9wavefront6targetE1EEEvSK_
    .private_segment_fixed_size: 0
    .sgpr_count:     4
    .sgpr_spill_count: 0
    .symbol:         _ZN7rocprim17ROCPRIM_400000_NS6detail17trampoline_kernelINS0_14default_configENS1_37merge_sort_block_sort_config_selectorIfNS0_10empty_typeEEEZNS1_21merge_sort_block_sortIS3_N6thrust23THRUST_200600_302600_NS6detail15normal_iteratorINS9_10device_ptrIfEEEESE_PS5_SF_14custom_greaterIfEEE10hipError_tT0_T1_T2_T3_mRjT4_P12ihipStream_tbNS1_7vsmem_tEEUlT_E_NS1_11comp_targetILNS1_3genE5ELNS1_11target_archE942ELNS1_3gpuE9ELNS1_3repE0EEENS1_30default_config_static_selectorELNS0_4arch9wavefront6targetE1EEEvSK_.kd
    .uniform_work_group_size: 1
    .uses_dynamic_stack: false
    .vgpr_count:     0
    .vgpr_spill_count: 0
    .wavefront_size: 64
  - .agpr_count:     0
    .args:
      - .offset:         0
        .size:           64
        .value_kind:     by_value
      - .offset:         64
        .size:           4
        .value_kind:     hidden_block_count_x
      - .offset:         68
        .size:           4
        .value_kind:     hidden_block_count_y
      - .offset:         72
        .size:           4
        .value_kind:     hidden_block_count_z
      - .offset:         76
        .size:           2
        .value_kind:     hidden_group_size_x
      - .offset:         78
        .size:           2
        .value_kind:     hidden_group_size_y
      - .offset:         80
        .size:           2
        .value_kind:     hidden_group_size_z
      - .offset:         82
        .size:           2
        .value_kind:     hidden_remainder_x
      - .offset:         84
        .size:           2
        .value_kind:     hidden_remainder_y
      - .offset:         86
        .size:           2
        .value_kind:     hidden_remainder_z
      - .offset:         104
        .size:           8
        .value_kind:     hidden_global_offset_x
      - .offset:         112
        .size:           8
        .value_kind:     hidden_global_offset_y
      - .offset:         120
        .size:           8
        .value_kind:     hidden_global_offset_z
      - .offset:         128
        .size:           2
        .value_kind:     hidden_grid_dims
    .group_segment_fixed_size: 8448
    .kernarg_segment_align: 8
    .kernarg_segment_size: 320
    .language:       OpenCL C
    .language_version:
      - 2
      - 0
    .max_flat_workgroup_size: 256
    .name:           _ZN7rocprim17ROCPRIM_400000_NS6detail17trampoline_kernelINS0_14default_configENS1_37merge_sort_block_sort_config_selectorIfNS0_10empty_typeEEEZNS1_21merge_sort_block_sortIS3_N6thrust23THRUST_200600_302600_NS6detail15normal_iteratorINS9_10device_ptrIfEEEESE_PS5_SF_14custom_greaterIfEEE10hipError_tT0_T1_T2_T3_mRjT4_P12ihipStream_tbNS1_7vsmem_tEEUlT_E_NS1_11comp_targetILNS1_3genE4ELNS1_11target_archE910ELNS1_3gpuE8ELNS1_3repE0EEENS1_30default_config_static_selectorELNS0_4arch9wavefront6targetE1EEEvSK_
    .private_segment_fixed_size: 0
    .sgpr_count:     44
    .sgpr_spill_count: 0
    .symbol:         _ZN7rocprim17ROCPRIM_400000_NS6detail17trampoline_kernelINS0_14default_configENS1_37merge_sort_block_sort_config_selectorIfNS0_10empty_typeEEEZNS1_21merge_sort_block_sortIS3_N6thrust23THRUST_200600_302600_NS6detail15normal_iteratorINS9_10device_ptrIfEEEESE_PS5_SF_14custom_greaterIfEEE10hipError_tT0_T1_T2_T3_mRjT4_P12ihipStream_tbNS1_7vsmem_tEEUlT_E_NS1_11comp_targetILNS1_3genE4ELNS1_11target_archE910ELNS1_3gpuE8ELNS1_3repE0EEENS1_30default_config_static_selectorELNS0_4arch9wavefront6targetE1EEEvSK_.kd
    .uniform_work_group_size: 1
    .uses_dynamic_stack: false
    .vgpr_count:     41
    .vgpr_spill_count: 0
    .wavefront_size: 64
  - .agpr_count:     0
    .args:
      - .offset:         0
        .size:           64
        .value_kind:     by_value
    .group_segment_fixed_size: 0
    .kernarg_segment_align: 8
    .kernarg_segment_size: 64
    .language:       OpenCL C
    .language_version:
      - 2
      - 0
    .max_flat_workgroup_size: 256
    .name:           _ZN7rocprim17ROCPRIM_400000_NS6detail17trampoline_kernelINS0_14default_configENS1_37merge_sort_block_sort_config_selectorIfNS0_10empty_typeEEEZNS1_21merge_sort_block_sortIS3_N6thrust23THRUST_200600_302600_NS6detail15normal_iteratorINS9_10device_ptrIfEEEESE_PS5_SF_14custom_greaterIfEEE10hipError_tT0_T1_T2_T3_mRjT4_P12ihipStream_tbNS1_7vsmem_tEEUlT_E_NS1_11comp_targetILNS1_3genE3ELNS1_11target_archE908ELNS1_3gpuE7ELNS1_3repE0EEENS1_30default_config_static_selectorELNS0_4arch9wavefront6targetE1EEEvSK_
    .private_segment_fixed_size: 0
    .sgpr_count:     4
    .sgpr_spill_count: 0
    .symbol:         _ZN7rocprim17ROCPRIM_400000_NS6detail17trampoline_kernelINS0_14default_configENS1_37merge_sort_block_sort_config_selectorIfNS0_10empty_typeEEEZNS1_21merge_sort_block_sortIS3_N6thrust23THRUST_200600_302600_NS6detail15normal_iteratorINS9_10device_ptrIfEEEESE_PS5_SF_14custom_greaterIfEEE10hipError_tT0_T1_T2_T3_mRjT4_P12ihipStream_tbNS1_7vsmem_tEEUlT_E_NS1_11comp_targetILNS1_3genE3ELNS1_11target_archE908ELNS1_3gpuE7ELNS1_3repE0EEENS1_30default_config_static_selectorELNS0_4arch9wavefront6targetE1EEEvSK_.kd
    .uniform_work_group_size: 1
    .uses_dynamic_stack: false
    .vgpr_count:     0
    .vgpr_spill_count: 0
    .wavefront_size: 64
  - .agpr_count:     0
    .args:
      - .offset:         0
        .size:           64
        .value_kind:     by_value
    .group_segment_fixed_size: 0
    .kernarg_segment_align: 8
    .kernarg_segment_size: 64
    .language:       OpenCL C
    .language_version:
      - 2
      - 0
    .max_flat_workgroup_size: 256
    .name:           _ZN7rocprim17ROCPRIM_400000_NS6detail17trampoline_kernelINS0_14default_configENS1_37merge_sort_block_sort_config_selectorIfNS0_10empty_typeEEEZNS1_21merge_sort_block_sortIS3_N6thrust23THRUST_200600_302600_NS6detail15normal_iteratorINS9_10device_ptrIfEEEESE_PS5_SF_14custom_greaterIfEEE10hipError_tT0_T1_T2_T3_mRjT4_P12ihipStream_tbNS1_7vsmem_tEEUlT_E_NS1_11comp_targetILNS1_3genE2ELNS1_11target_archE906ELNS1_3gpuE6ELNS1_3repE0EEENS1_30default_config_static_selectorELNS0_4arch9wavefront6targetE1EEEvSK_
    .private_segment_fixed_size: 0
    .sgpr_count:     4
    .sgpr_spill_count: 0
    .symbol:         _ZN7rocprim17ROCPRIM_400000_NS6detail17trampoline_kernelINS0_14default_configENS1_37merge_sort_block_sort_config_selectorIfNS0_10empty_typeEEEZNS1_21merge_sort_block_sortIS3_N6thrust23THRUST_200600_302600_NS6detail15normal_iteratorINS9_10device_ptrIfEEEESE_PS5_SF_14custom_greaterIfEEE10hipError_tT0_T1_T2_T3_mRjT4_P12ihipStream_tbNS1_7vsmem_tEEUlT_E_NS1_11comp_targetILNS1_3genE2ELNS1_11target_archE906ELNS1_3gpuE6ELNS1_3repE0EEENS1_30default_config_static_selectorELNS0_4arch9wavefront6targetE1EEEvSK_.kd
    .uniform_work_group_size: 1
    .uses_dynamic_stack: false
    .vgpr_count:     0
    .vgpr_spill_count: 0
    .wavefront_size: 64
  - .agpr_count:     0
    .args:
      - .offset:         0
        .size:           64
        .value_kind:     by_value
    .group_segment_fixed_size: 0
    .kernarg_segment_align: 8
    .kernarg_segment_size: 64
    .language:       OpenCL C
    .language_version:
      - 2
      - 0
    .max_flat_workgroup_size: 256
    .name:           _ZN7rocprim17ROCPRIM_400000_NS6detail17trampoline_kernelINS0_14default_configENS1_37merge_sort_block_sort_config_selectorIfNS0_10empty_typeEEEZNS1_21merge_sort_block_sortIS3_N6thrust23THRUST_200600_302600_NS6detail15normal_iteratorINS9_10device_ptrIfEEEESE_PS5_SF_14custom_greaterIfEEE10hipError_tT0_T1_T2_T3_mRjT4_P12ihipStream_tbNS1_7vsmem_tEEUlT_E_NS1_11comp_targetILNS1_3genE10ELNS1_11target_archE1201ELNS1_3gpuE5ELNS1_3repE0EEENS1_30default_config_static_selectorELNS0_4arch9wavefront6targetE1EEEvSK_
    .private_segment_fixed_size: 0
    .sgpr_count:     4
    .sgpr_spill_count: 0
    .symbol:         _ZN7rocprim17ROCPRIM_400000_NS6detail17trampoline_kernelINS0_14default_configENS1_37merge_sort_block_sort_config_selectorIfNS0_10empty_typeEEEZNS1_21merge_sort_block_sortIS3_N6thrust23THRUST_200600_302600_NS6detail15normal_iteratorINS9_10device_ptrIfEEEESE_PS5_SF_14custom_greaterIfEEE10hipError_tT0_T1_T2_T3_mRjT4_P12ihipStream_tbNS1_7vsmem_tEEUlT_E_NS1_11comp_targetILNS1_3genE10ELNS1_11target_archE1201ELNS1_3gpuE5ELNS1_3repE0EEENS1_30default_config_static_selectorELNS0_4arch9wavefront6targetE1EEEvSK_.kd
    .uniform_work_group_size: 1
    .uses_dynamic_stack: false
    .vgpr_count:     0
    .vgpr_spill_count: 0
    .wavefront_size: 64
  - .agpr_count:     0
    .args:
      - .offset:         0
        .size:           64
        .value_kind:     by_value
    .group_segment_fixed_size: 0
    .kernarg_segment_align: 8
    .kernarg_segment_size: 64
    .language:       OpenCL C
    .language_version:
      - 2
      - 0
    .max_flat_workgroup_size: 256
    .name:           _ZN7rocprim17ROCPRIM_400000_NS6detail17trampoline_kernelINS0_14default_configENS1_37merge_sort_block_sort_config_selectorIfNS0_10empty_typeEEEZNS1_21merge_sort_block_sortIS3_N6thrust23THRUST_200600_302600_NS6detail15normal_iteratorINS9_10device_ptrIfEEEESE_PS5_SF_14custom_greaterIfEEE10hipError_tT0_T1_T2_T3_mRjT4_P12ihipStream_tbNS1_7vsmem_tEEUlT_E_NS1_11comp_targetILNS1_3genE10ELNS1_11target_archE1200ELNS1_3gpuE4ELNS1_3repE0EEENS1_30default_config_static_selectorELNS0_4arch9wavefront6targetE1EEEvSK_
    .private_segment_fixed_size: 0
    .sgpr_count:     4
    .sgpr_spill_count: 0
    .symbol:         _ZN7rocprim17ROCPRIM_400000_NS6detail17trampoline_kernelINS0_14default_configENS1_37merge_sort_block_sort_config_selectorIfNS0_10empty_typeEEEZNS1_21merge_sort_block_sortIS3_N6thrust23THRUST_200600_302600_NS6detail15normal_iteratorINS9_10device_ptrIfEEEESE_PS5_SF_14custom_greaterIfEEE10hipError_tT0_T1_T2_T3_mRjT4_P12ihipStream_tbNS1_7vsmem_tEEUlT_E_NS1_11comp_targetILNS1_3genE10ELNS1_11target_archE1200ELNS1_3gpuE4ELNS1_3repE0EEENS1_30default_config_static_selectorELNS0_4arch9wavefront6targetE1EEEvSK_.kd
    .uniform_work_group_size: 1
    .uses_dynamic_stack: false
    .vgpr_count:     0
    .vgpr_spill_count: 0
    .wavefront_size: 64
  - .agpr_count:     0
    .args:
      - .offset:         0
        .size:           64
        .value_kind:     by_value
    .group_segment_fixed_size: 0
    .kernarg_segment_align: 8
    .kernarg_segment_size: 64
    .language:       OpenCL C
    .language_version:
      - 2
      - 0
    .max_flat_workgroup_size: 256
    .name:           _ZN7rocprim17ROCPRIM_400000_NS6detail17trampoline_kernelINS0_14default_configENS1_37merge_sort_block_sort_config_selectorIfNS0_10empty_typeEEEZNS1_21merge_sort_block_sortIS3_N6thrust23THRUST_200600_302600_NS6detail15normal_iteratorINS9_10device_ptrIfEEEESE_PS5_SF_14custom_greaterIfEEE10hipError_tT0_T1_T2_T3_mRjT4_P12ihipStream_tbNS1_7vsmem_tEEUlT_E_NS1_11comp_targetILNS1_3genE9ELNS1_11target_archE1100ELNS1_3gpuE3ELNS1_3repE0EEENS1_30default_config_static_selectorELNS0_4arch9wavefront6targetE1EEEvSK_
    .private_segment_fixed_size: 0
    .sgpr_count:     4
    .sgpr_spill_count: 0
    .symbol:         _ZN7rocprim17ROCPRIM_400000_NS6detail17trampoline_kernelINS0_14default_configENS1_37merge_sort_block_sort_config_selectorIfNS0_10empty_typeEEEZNS1_21merge_sort_block_sortIS3_N6thrust23THRUST_200600_302600_NS6detail15normal_iteratorINS9_10device_ptrIfEEEESE_PS5_SF_14custom_greaterIfEEE10hipError_tT0_T1_T2_T3_mRjT4_P12ihipStream_tbNS1_7vsmem_tEEUlT_E_NS1_11comp_targetILNS1_3genE9ELNS1_11target_archE1100ELNS1_3gpuE3ELNS1_3repE0EEENS1_30default_config_static_selectorELNS0_4arch9wavefront6targetE1EEEvSK_.kd
    .uniform_work_group_size: 1
    .uses_dynamic_stack: false
    .vgpr_count:     0
    .vgpr_spill_count: 0
    .wavefront_size: 64
  - .agpr_count:     0
    .args:
      - .offset:         0
        .size:           64
        .value_kind:     by_value
    .group_segment_fixed_size: 0
    .kernarg_segment_align: 8
    .kernarg_segment_size: 64
    .language:       OpenCL C
    .language_version:
      - 2
      - 0
    .max_flat_workgroup_size: 256
    .name:           _ZN7rocprim17ROCPRIM_400000_NS6detail17trampoline_kernelINS0_14default_configENS1_37merge_sort_block_sort_config_selectorIfNS0_10empty_typeEEEZNS1_21merge_sort_block_sortIS3_N6thrust23THRUST_200600_302600_NS6detail15normal_iteratorINS9_10device_ptrIfEEEESE_PS5_SF_14custom_greaterIfEEE10hipError_tT0_T1_T2_T3_mRjT4_P12ihipStream_tbNS1_7vsmem_tEEUlT_E_NS1_11comp_targetILNS1_3genE8ELNS1_11target_archE1030ELNS1_3gpuE2ELNS1_3repE0EEENS1_30default_config_static_selectorELNS0_4arch9wavefront6targetE1EEEvSK_
    .private_segment_fixed_size: 0
    .sgpr_count:     4
    .sgpr_spill_count: 0
    .symbol:         _ZN7rocprim17ROCPRIM_400000_NS6detail17trampoline_kernelINS0_14default_configENS1_37merge_sort_block_sort_config_selectorIfNS0_10empty_typeEEEZNS1_21merge_sort_block_sortIS3_N6thrust23THRUST_200600_302600_NS6detail15normal_iteratorINS9_10device_ptrIfEEEESE_PS5_SF_14custom_greaterIfEEE10hipError_tT0_T1_T2_T3_mRjT4_P12ihipStream_tbNS1_7vsmem_tEEUlT_E_NS1_11comp_targetILNS1_3genE8ELNS1_11target_archE1030ELNS1_3gpuE2ELNS1_3repE0EEENS1_30default_config_static_selectorELNS0_4arch9wavefront6targetE1EEEvSK_.kd
    .uniform_work_group_size: 1
    .uses_dynamic_stack: false
    .vgpr_count:     0
    .vgpr_spill_count: 0
    .wavefront_size: 64
  - .agpr_count:     0
    .args:
      - .offset:         0
        .size:           48
        .value_kind:     by_value
    .group_segment_fixed_size: 0
    .kernarg_segment_align: 8
    .kernarg_segment_size: 48
    .language:       OpenCL C
    .language_version:
      - 2
      - 0
    .max_flat_workgroup_size: 128
    .name:           _ZN7rocprim17ROCPRIM_400000_NS6detail17trampoline_kernelINS0_14default_configENS1_38merge_sort_block_merge_config_selectorIfNS0_10empty_typeEEEZZNS1_27merge_sort_block_merge_implIS3_N6thrust23THRUST_200600_302600_NS6detail15normal_iteratorINS9_10device_ptrIfEEEEPS5_m14custom_greaterIfEEE10hipError_tT0_T1_T2_jT3_P12ihipStream_tbPNSt15iterator_traitsISJ_E10value_typeEPNSP_ISK_E10value_typeEPSL_NS1_7vsmem_tEENKUlT_SJ_SK_SL_E_clIPfSE_SF_SF_EESI_SY_SJ_SK_SL_EUlSY_E_NS1_11comp_targetILNS1_3genE0ELNS1_11target_archE4294967295ELNS1_3gpuE0ELNS1_3repE0EEENS1_48merge_mergepath_partition_config_static_selectorELNS0_4arch9wavefront6targetE1EEEvSK_
    .private_segment_fixed_size: 0
    .sgpr_count:     4
    .sgpr_spill_count: 0
    .symbol:         _ZN7rocprim17ROCPRIM_400000_NS6detail17trampoline_kernelINS0_14default_configENS1_38merge_sort_block_merge_config_selectorIfNS0_10empty_typeEEEZZNS1_27merge_sort_block_merge_implIS3_N6thrust23THRUST_200600_302600_NS6detail15normal_iteratorINS9_10device_ptrIfEEEEPS5_m14custom_greaterIfEEE10hipError_tT0_T1_T2_jT3_P12ihipStream_tbPNSt15iterator_traitsISJ_E10value_typeEPNSP_ISK_E10value_typeEPSL_NS1_7vsmem_tEENKUlT_SJ_SK_SL_E_clIPfSE_SF_SF_EESI_SY_SJ_SK_SL_EUlSY_E_NS1_11comp_targetILNS1_3genE0ELNS1_11target_archE4294967295ELNS1_3gpuE0ELNS1_3repE0EEENS1_48merge_mergepath_partition_config_static_selectorELNS0_4arch9wavefront6targetE1EEEvSK_.kd
    .uniform_work_group_size: 1
    .uses_dynamic_stack: false
    .vgpr_count:     0
    .vgpr_spill_count: 0
    .wavefront_size: 64
  - .agpr_count:     0
    .args:
      - .offset:         0
        .size:           48
        .value_kind:     by_value
    .group_segment_fixed_size: 0
    .kernarg_segment_align: 8
    .kernarg_segment_size: 48
    .language:       OpenCL C
    .language_version:
      - 2
      - 0
    .max_flat_workgroup_size: 128
    .name:           _ZN7rocprim17ROCPRIM_400000_NS6detail17trampoline_kernelINS0_14default_configENS1_38merge_sort_block_merge_config_selectorIfNS0_10empty_typeEEEZZNS1_27merge_sort_block_merge_implIS3_N6thrust23THRUST_200600_302600_NS6detail15normal_iteratorINS9_10device_ptrIfEEEEPS5_m14custom_greaterIfEEE10hipError_tT0_T1_T2_jT3_P12ihipStream_tbPNSt15iterator_traitsISJ_E10value_typeEPNSP_ISK_E10value_typeEPSL_NS1_7vsmem_tEENKUlT_SJ_SK_SL_E_clIPfSE_SF_SF_EESI_SY_SJ_SK_SL_EUlSY_E_NS1_11comp_targetILNS1_3genE10ELNS1_11target_archE1201ELNS1_3gpuE5ELNS1_3repE0EEENS1_48merge_mergepath_partition_config_static_selectorELNS0_4arch9wavefront6targetE1EEEvSK_
    .private_segment_fixed_size: 0
    .sgpr_count:     4
    .sgpr_spill_count: 0
    .symbol:         _ZN7rocprim17ROCPRIM_400000_NS6detail17trampoline_kernelINS0_14default_configENS1_38merge_sort_block_merge_config_selectorIfNS0_10empty_typeEEEZZNS1_27merge_sort_block_merge_implIS3_N6thrust23THRUST_200600_302600_NS6detail15normal_iteratorINS9_10device_ptrIfEEEEPS5_m14custom_greaterIfEEE10hipError_tT0_T1_T2_jT3_P12ihipStream_tbPNSt15iterator_traitsISJ_E10value_typeEPNSP_ISK_E10value_typeEPSL_NS1_7vsmem_tEENKUlT_SJ_SK_SL_E_clIPfSE_SF_SF_EESI_SY_SJ_SK_SL_EUlSY_E_NS1_11comp_targetILNS1_3genE10ELNS1_11target_archE1201ELNS1_3gpuE5ELNS1_3repE0EEENS1_48merge_mergepath_partition_config_static_selectorELNS0_4arch9wavefront6targetE1EEEvSK_.kd
    .uniform_work_group_size: 1
    .uses_dynamic_stack: false
    .vgpr_count:     0
    .vgpr_spill_count: 0
    .wavefront_size: 64
  - .agpr_count:     0
    .args:
      - .offset:         0
        .size:           48
        .value_kind:     by_value
    .group_segment_fixed_size: 0
    .kernarg_segment_align: 8
    .kernarg_segment_size: 48
    .language:       OpenCL C
    .language_version:
      - 2
      - 0
    .max_flat_workgroup_size: 128
    .name:           _ZN7rocprim17ROCPRIM_400000_NS6detail17trampoline_kernelINS0_14default_configENS1_38merge_sort_block_merge_config_selectorIfNS0_10empty_typeEEEZZNS1_27merge_sort_block_merge_implIS3_N6thrust23THRUST_200600_302600_NS6detail15normal_iteratorINS9_10device_ptrIfEEEEPS5_m14custom_greaterIfEEE10hipError_tT0_T1_T2_jT3_P12ihipStream_tbPNSt15iterator_traitsISJ_E10value_typeEPNSP_ISK_E10value_typeEPSL_NS1_7vsmem_tEENKUlT_SJ_SK_SL_E_clIPfSE_SF_SF_EESI_SY_SJ_SK_SL_EUlSY_E_NS1_11comp_targetILNS1_3genE5ELNS1_11target_archE942ELNS1_3gpuE9ELNS1_3repE0EEENS1_48merge_mergepath_partition_config_static_selectorELNS0_4arch9wavefront6targetE1EEEvSK_
    .private_segment_fixed_size: 0
    .sgpr_count:     4
    .sgpr_spill_count: 0
    .symbol:         _ZN7rocprim17ROCPRIM_400000_NS6detail17trampoline_kernelINS0_14default_configENS1_38merge_sort_block_merge_config_selectorIfNS0_10empty_typeEEEZZNS1_27merge_sort_block_merge_implIS3_N6thrust23THRUST_200600_302600_NS6detail15normal_iteratorINS9_10device_ptrIfEEEEPS5_m14custom_greaterIfEEE10hipError_tT0_T1_T2_jT3_P12ihipStream_tbPNSt15iterator_traitsISJ_E10value_typeEPNSP_ISK_E10value_typeEPSL_NS1_7vsmem_tEENKUlT_SJ_SK_SL_E_clIPfSE_SF_SF_EESI_SY_SJ_SK_SL_EUlSY_E_NS1_11comp_targetILNS1_3genE5ELNS1_11target_archE942ELNS1_3gpuE9ELNS1_3repE0EEENS1_48merge_mergepath_partition_config_static_selectorELNS0_4arch9wavefront6targetE1EEEvSK_.kd
    .uniform_work_group_size: 1
    .uses_dynamic_stack: false
    .vgpr_count:     0
    .vgpr_spill_count: 0
    .wavefront_size: 64
  - .agpr_count:     0
    .args:
      - .offset:         0
        .size:           48
        .value_kind:     by_value
    .group_segment_fixed_size: 0
    .kernarg_segment_align: 8
    .kernarg_segment_size: 48
    .language:       OpenCL C
    .language_version:
      - 2
      - 0
    .max_flat_workgroup_size: 128
    .name:           _ZN7rocprim17ROCPRIM_400000_NS6detail17trampoline_kernelINS0_14default_configENS1_38merge_sort_block_merge_config_selectorIfNS0_10empty_typeEEEZZNS1_27merge_sort_block_merge_implIS3_N6thrust23THRUST_200600_302600_NS6detail15normal_iteratorINS9_10device_ptrIfEEEEPS5_m14custom_greaterIfEEE10hipError_tT0_T1_T2_jT3_P12ihipStream_tbPNSt15iterator_traitsISJ_E10value_typeEPNSP_ISK_E10value_typeEPSL_NS1_7vsmem_tEENKUlT_SJ_SK_SL_E_clIPfSE_SF_SF_EESI_SY_SJ_SK_SL_EUlSY_E_NS1_11comp_targetILNS1_3genE4ELNS1_11target_archE910ELNS1_3gpuE8ELNS1_3repE0EEENS1_48merge_mergepath_partition_config_static_selectorELNS0_4arch9wavefront6targetE1EEEvSK_
    .private_segment_fixed_size: 0
    .sgpr_count:     12
    .sgpr_spill_count: 0
    .symbol:         _ZN7rocprim17ROCPRIM_400000_NS6detail17trampoline_kernelINS0_14default_configENS1_38merge_sort_block_merge_config_selectorIfNS0_10empty_typeEEEZZNS1_27merge_sort_block_merge_implIS3_N6thrust23THRUST_200600_302600_NS6detail15normal_iteratorINS9_10device_ptrIfEEEEPS5_m14custom_greaterIfEEE10hipError_tT0_T1_T2_jT3_P12ihipStream_tbPNSt15iterator_traitsISJ_E10value_typeEPNSP_ISK_E10value_typeEPSL_NS1_7vsmem_tEENKUlT_SJ_SK_SL_E_clIPfSE_SF_SF_EESI_SY_SJ_SK_SL_EUlSY_E_NS1_11comp_targetILNS1_3genE4ELNS1_11target_archE910ELNS1_3gpuE8ELNS1_3repE0EEENS1_48merge_mergepath_partition_config_static_selectorELNS0_4arch9wavefront6targetE1EEEvSK_.kd
    .uniform_work_group_size: 1
    .uses_dynamic_stack: false
    .vgpr_count:     19
    .vgpr_spill_count: 0
    .wavefront_size: 64
  - .agpr_count:     0
    .args:
      - .offset:         0
        .size:           48
        .value_kind:     by_value
    .group_segment_fixed_size: 0
    .kernarg_segment_align: 8
    .kernarg_segment_size: 48
    .language:       OpenCL C
    .language_version:
      - 2
      - 0
    .max_flat_workgroup_size: 128
    .name:           _ZN7rocprim17ROCPRIM_400000_NS6detail17trampoline_kernelINS0_14default_configENS1_38merge_sort_block_merge_config_selectorIfNS0_10empty_typeEEEZZNS1_27merge_sort_block_merge_implIS3_N6thrust23THRUST_200600_302600_NS6detail15normal_iteratorINS9_10device_ptrIfEEEEPS5_m14custom_greaterIfEEE10hipError_tT0_T1_T2_jT3_P12ihipStream_tbPNSt15iterator_traitsISJ_E10value_typeEPNSP_ISK_E10value_typeEPSL_NS1_7vsmem_tEENKUlT_SJ_SK_SL_E_clIPfSE_SF_SF_EESI_SY_SJ_SK_SL_EUlSY_E_NS1_11comp_targetILNS1_3genE3ELNS1_11target_archE908ELNS1_3gpuE7ELNS1_3repE0EEENS1_48merge_mergepath_partition_config_static_selectorELNS0_4arch9wavefront6targetE1EEEvSK_
    .private_segment_fixed_size: 0
    .sgpr_count:     4
    .sgpr_spill_count: 0
    .symbol:         _ZN7rocprim17ROCPRIM_400000_NS6detail17trampoline_kernelINS0_14default_configENS1_38merge_sort_block_merge_config_selectorIfNS0_10empty_typeEEEZZNS1_27merge_sort_block_merge_implIS3_N6thrust23THRUST_200600_302600_NS6detail15normal_iteratorINS9_10device_ptrIfEEEEPS5_m14custom_greaterIfEEE10hipError_tT0_T1_T2_jT3_P12ihipStream_tbPNSt15iterator_traitsISJ_E10value_typeEPNSP_ISK_E10value_typeEPSL_NS1_7vsmem_tEENKUlT_SJ_SK_SL_E_clIPfSE_SF_SF_EESI_SY_SJ_SK_SL_EUlSY_E_NS1_11comp_targetILNS1_3genE3ELNS1_11target_archE908ELNS1_3gpuE7ELNS1_3repE0EEENS1_48merge_mergepath_partition_config_static_selectorELNS0_4arch9wavefront6targetE1EEEvSK_.kd
    .uniform_work_group_size: 1
    .uses_dynamic_stack: false
    .vgpr_count:     0
    .vgpr_spill_count: 0
    .wavefront_size: 64
  - .agpr_count:     0
    .args:
      - .offset:         0
        .size:           48
        .value_kind:     by_value
    .group_segment_fixed_size: 0
    .kernarg_segment_align: 8
    .kernarg_segment_size: 48
    .language:       OpenCL C
    .language_version:
      - 2
      - 0
    .max_flat_workgroup_size: 128
    .name:           _ZN7rocprim17ROCPRIM_400000_NS6detail17trampoline_kernelINS0_14default_configENS1_38merge_sort_block_merge_config_selectorIfNS0_10empty_typeEEEZZNS1_27merge_sort_block_merge_implIS3_N6thrust23THRUST_200600_302600_NS6detail15normal_iteratorINS9_10device_ptrIfEEEEPS5_m14custom_greaterIfEEE10hipError_tT0_T1_T2_jT3_P12ihipStream_tbPNSt15iterator_traitsISJ_E10value_typeEPNSP_ISK_E10value_typeEPSL_NS1_7vsmem_tEENKUlT_SJ_SK_SL_E_clIPfSE_SF_SF_EESI_SY_SJ_SK_SL_EUlSY_E_NS1_11comp_targetILNS1_3genE2ELNS1_11target_archE906ELNS1_3gpuE6ELNS1_3repE0EEENS1_48merge_mergepath_partition_config_static_selectorELNS0_4arch9wavefront6targetE1EEEvSK_
    .private_segment_fixed_size: 0
    .sgpr_count:     4
    .sgpr_spill_count: 0
    .symbol:         _ZN7rocprim17ROCPRIM_400000_NS6detail17trampoline_kernelINS0_14default_configENS1_38merge_sort_block_merge_config_selectorIfNS0_10empty_typeEEEZZNS1_27merge_sort_block_merge_implIS3_N6thrust23THRUST_200600_302600_NS6detail15normal_iteratorINS9_10device_ptrIfEEEEPS5_m14custom_greaterIfEEE10hipError_tT0_T1_T2_jT3_P12ihipStream_tbPNSt15iterator_traitsISJ_E10value_typeEPNSP_ISK_E10value_typeEPSL_NS1_7vsmem_tEENKUlT_SJ_SK_SL_E_clIPfSE_SF_SF_EESI_SY_SJ_SK_SL_EUlSY_E_NS1_11comp_targetILNS1_3genE2ELNS1_11target_archE906ELNS1_3gpuE6ELNS1_3repE0EEENS1_48merge_mergepath_partition_config_static_selectorELNS0_4arch9wavefront6targetE1EEEvSK_.kd
    .uniform_work_group_size: 1
    .uses_dynamic_stack: false
    .vgpr_count:     0
    .vgpr_spill_count: 0
    .wavefront_size: 64
  - .agpr_count:     0
    .args:
      - .offset:         0
        .size:           48
        .value_kind:     by_value
    .group_segment_fixed_size: 0
    .kernarg_segment_align: 8
    .kernarg_segment_size: 48
    .language:       OpenCL C
    .language_version:
      - 2
      - 0
    .max_flat_workgroup_size: 128
    .name:           _ZN7rocprim17ROCPRIM_400000_NS6detail17trampoline_kernelINS0_14default_configENS1_38merge_sort_block_merge_config_selectorIfNS0_10empty_typeEEEZZNS1_27merge_sort_block_merge_implIS3_N6thrust23THRUST_200600_302600_NS6detail15normal_iteratorINS9_10device_ptrIfEEEEPS5_m14custom_greaterIfEEE10hipError_tT0_T1_T2_jT3_P12ihipStream_tbPNSt15iterator_traitsISJ_E10value_typeEPNSP_ISK_E10value_typeEPSL_NS1_7vsmem_tEENKUlT_SJ_SK_SL_E_clIPfSE_SF_SF_EESI_SY_SJ_SK_SL_EUlSY_E_NS1_11comp_targetILNS1_3genE9ELNS1_11target_archE1100ELNS1_3gpuE3ELNS1_3repE0EEENS1_48merge_mergepath_partition_config_static_selectorELNS0_4arch9wavefront6targetE1EEEvSK_
    .private_segment_fixed_size: 0
    .sgpr_count:     4
    .sgpr_spill_count: 0
    .symbol:         _ZN7rocprim17ROCPRIM_400000_NS6detail17trampoline_kernelINS0_14default_configENS1_38merge_sort_block_merge_config_selectorIfNS0_10empty_typeEEEZZNS1_27merge_sort_block_merge_implIS3_N6thrust23THRUST_200600_302600_NS6detail15normal_iteratorINS9_10device_ptrIfEEEEPS5_m14custom_greaterIfEEE10hipError_tT0_T1_T2_jT3_P12ihipStream_tbPNSt15iterator_traitsISJ_E10value_typeEPNSP_ISK_E10value_typeEPSL_NS1_7vsmem_tEENKUlT_SJ_SK_SL_E_clIPfSE_SF_SF_EESI_SY_SJ_SK_SL_EUlSY_E_NS1_11comp_targetILNS1_3genE9ELNS1_11target_archE1100ELNS1_3gpuE3ELNS1_3repE0EEENS1_48merge_mergepath_partition_config_static_selectorELNS0_4arch9wavefront6targetE1EEEvSK_.kd
    .uniform_work_group_size: 1
    .uses_dynamic_stack: false
    .vgpr_count:     0
    .vgpr_spill_count: 0
    .wavefront_size: 64
  - .agpr_count:     0
    .args:
      - .offset:         0
        .size:           48
        .value_kind:     by_value
    .group_segment_fixed_size: 0
    .kernarg_segment_align: 8
    .kernarg_segment_size: 48
    .language:       OpenCL C
    .language_version:
      - 2
      - 0
    .max_flat_workgroup_size: 128
    .name:           _ZN7rocprim17ROCPRIM_400000_NS6detail17trampoline_kernelINS0_14default_configENS1_38merge_sort_block_merge_config_selectorIfNS0_10empty_typeEEEZZNS1_27merge_sort_block_merge_implIS3_N6thrust23THRUST_200600_302600_NS6detail15normal_iteratorINS9_10device_ptrIfEEEEPS5_m14custom_greaterIfEEE10hipError_tT0_T1_T2_jT3_P12ihipStream_tbPNSt15iterator_traitsISJ_E10value_typeEPNSP_ISK_E10value_typeEPSL_NS1_7vsmem_tEENKUlT_SJ_SK_SL_E_clIPfSE_SF_SF_EESI_SY_SJ_SK_SL_EUlSY_E_NS1_11comp_targetILNS1_3genE8ELNS1_11target_archE1030ELNS1_3gpuE2ELNS1_3repE0EEENS1_48merge_mergepath_partition_config_static_selectorELNS0_4arch9wavefront6targetE1EEEvSK_
    .private_segment_fixed_size: 0
    .sgpr_count:     4
    .sgpr_spill_count: 0
    .symbol:         _ZN7rocprim17ROCPRIM_400000_NS6detail17trampoline_kernelINS0_14default_configENS1_38merge_sort_block_merge_config_selectorIfNS0_10empty_typeEEEZZNS1_27merge_sort_block_merge_implIS3_N6thrust23THRUST_200600_302600_NS6detail15normal_iteratorINS9_10device_ptrIfEEEEPS5_m14custom_greaterIfEEE10hipError_tT0_T1_T2_jT3_P12ihipStream_tbPNSt15iterator_traitsISJ_E10value_typeEPNSP_ISK_E10value_typeEPSL_NS1_7vsmem_tEENKUlT_SJ_SK_SL_E_clIPfSE_SF_SF_EESI_SY_SJ_SK_SL_EUlSY_E_NS1_11comp_targetILNS1_3genE8ELNS1_11target_archE1030ELNS1_3gpuE2ELNS1_3repE0EEENS1_48merge_mergepath_partition_config_static_selectorELNS0_4arch9wavefront6targetE1EEEvSK_.kd
    .uniform_work_group_size: 1
    .uses_dynamic_stack: false
    .vgpr_count:     0
    .vgpr_spill_count: 0
    .wavefront_size: 64
  - .agpr_count:     0
    .args:
      - .offset:         0
        .size:           72
        .value_kind:     by_value
    .group_segment_fixed_size: 0
    .kernarg_segment_align: 8
    .kernarg_segment_size: 72
    .language:       OpenCL C
    .language_version:
      - 2
      - 0
    .max_flat_workgroup_size: 128
    .name:           _ZN7rocprim17ROCPRIM_400000_NS6detail17trampoline_kernelINS0_14default_configENS1_38merge_sort_block_merge_config_selectorIfNS0_10empty_typeEEEZZNS1_27merge_sort_block_merge_implIS3_N6thrust23THRUST_200600_302600_NS6detail15normal_iteratorINS9_10device_ptrIfEEEEPS5_m14custom_greaterIfEEE10hipError_tT0_T1_T2_jT3_P12ihipStream_tbPNSt15iterator_traitsISJ_E10value_typeEPNSP_ISK_E10value_typeEPSL_NS1_7vsmem_tEENKUlT_SJ_SK_SL_E_clIPfSE_SF_SF_EESI_SY_SJ_SK_SL_EUlSY_E0_NS1_11comp_targetILNS1_3genE0ELNS1_11target_archE4294967295ELNS1_3gpuE0ELNS1_3repE0EEENS1_38merge_mergepath_config_static_selectorELNS0_4arch9wavefront6targetE1EEEvSK_
    .private_segment_fixed_size: 0
    .sgpr_count:     4
    .sgpr_spill_count: 0
    .symbol:         _ZN7rocprim17ROCPRIM_400000_NS6detail17trampoline_kernelINS0_14default_configENS1_38merge_sort_block_merge_config_selectorIfNS0_10empty_typeEEEZZNS1_27merge_sort_block_merge_implIS3_N6thrust23THRUST_200600_302600_NS6detail15normal_iteratorINS9_10device_ptrIfEEEEPS5_m14custom_greaterIfEEE10hipError_tT0_T1_T2_jT3_P12ihipStream_tbPNSt15iterator_traitsISJ_E10value_typeEPNSP_ISK_E10value_typeEPSL_NS1_7vsmem_tEENKUlT_SJ_SK_SL_E_clIPfSE_SF_SF_EESI_SY_SJ_SK_SL_EUlSY_E0_NS1_11comp_targetILNS1_3genE0ELNS1_11target_archE4294967295ELNS1_3gpuE0ELNS1_3repE0EEENS1_38merge_mergepath_config_static_selectorELNS0_4arch9wavefront6targetE1EEEvSK_.kd
    .uniform_work_group_size: 1
    .uses_dynamic_stack: false
    .vgpr_count:     0
    .vgpr_spill_count: 0
    .wavefront_size: 64
  - .agpr_count:     0
    .args:
      - .offset:         0
        .size:           72
        .value_kind:     by_value
    .group_segment_fixed_size: 0
    .kernarg_segment_align: 8
    .kernarg_segment_size: 72
    .language:       OpenCL C
    .language_version:
      - 2
      - 0
    .max_flat_workgroup_size: 256
    .name:           _ZN7rocprim17ROCPRIM_400000_NS6detail17trampoline_kernelINS0_14default_configENS1_38merge_sort_block_merge_config_selectorIfNS0_10empty_typeEEEZZNS1_27merge_sort_block_merge_implIS3_N6thrust23THRUST_200600_302600_NS6detail15normal_iteratorINS9_10device_ptrIfEEEEPS5_m14custom_greaterIfEEE10hipError_tT0_T1_T2_jT3_P12ihipStream_tbPNSt15iterator_traitsISJ_E10value_typeEPNSP_ISK_E10value_typeEPSL_NS1_7vsmem_tEENKUlT_SJ_SK_SL_E_clIPfSE_SF_SF_EESI_SY_SJ_SK_SL_EUlSY_E0_NS1_11comp_targetILNS1_3genE10ELNS1_11target_archE1201ELNS1_3gpuE5ELNS1_3repE0EEENS1_38merge_mergepath_config_static_selectorELNS0_4arch9wavefront6targetE1EEEvSK_
    .private_segment_fixed_size: 0
    .sgpr_count:     4
    .sgpr_spill_count: 0
    .symbol:         _ZN7rocprim17ROCPRIM_400000_NS6detail17trampoline_kernelINS0_14default_configENS1_38merge_sort_block_merge_config_selectorIfNS0_10empty_typeEEEZZNS1_27merge_sort_block_merge_implIS3_N6thrust23THRUST_200600_302600_NS6detail15normal_iteratorINS9_10device_ptrIfEEEEPS5_m14custom_greaterIfEEE10hipError_tT0_T1_T2_jT3_P12ihipStream_tbPNSt15iterator_traitsISJ_E10value_typeEPNSP_ISK_E10value_typeEPSL_NS1_7vsmem_tEENKUlT_SJ_SK_SL_E_clIPfSE_SF_SF_EESI_SY_SJ_SK_SL_EUlSY_E0_NS1_11comp_targetILNS1_3genE10ELNS1_11target_archE1201ELNS1_3gpuE5ELNS1_3repE0EEENS1_38merge_mergepath_config_static_selectorELNS0_4arch9wavefront6targetE1EEEvSK_.kd
    .uniform_work_group_size: 1
    .uses_dynamic_stack: false
    .vgpr_count:     0
    .vgpr_spill_count: 0
    .wavefront_size: 64
  - .agpr_count:     0
    .args:
      - .offset:         0
        .size:           72
        .value_kind:     by_value
    .group_segment_fixed_size: 0
    .kernarg_segment_align: 8
    .kernarg_segment_size: 72
    .language:       OpenCL C
    .language_version:
      - 2
      - 0
    .max_flat_workgroup_size: 128
    .name:           _ZN7rocprim17ROCPRIM_400000_NS6detail17trampoline_kernelINS0_14default_configENS1_38merge_sort_block_merge_config_selectorIfNS0_10empty_typeEEEZZNS1_27merge_sort_block_merge_implIS3_N6thrust23THRUST_200600_302600_NS6detail15normal_iteratorINS9_10device_ptrIfEEEEPS5_m14custom_greaterIfEEE10hipError_tT0_T1_T2_jT3_P12ihipStream_tbPNSt15iterator_traitsISJ_E10value_typeEPNSP_ISK_E10value_typeEPSL_NS1_7vsmem_tEENKUlT_SJ_SK_SL_E_clIPfSE_SF_SF_EESI_SY_SJ_SK_SL_EUlSY_E0_NS1_11comp_targetILNS1_3genE5ELNS1_11target_archE942ELNS1_3gpuE9ELNS1_3repE0EEENS1_38merge_mergepath_config_static_selectorELNS0_4arch9wavefront6targetE1EEEvSK_
    .private_segment_fixed_size: 0
    .sgpr_count:     4
    .sgpr_spill_count: 0
    .symbol:         _ZN7rocprim17ROCPRIM_400000_NS6detail17trampoline_kernelINS0_14default_configENS1_38merge_sort_block_merge_config_selectorIfNS0_10empty_typeEEEZZNS1_27merge_sort_block_merge_implIS3_N6thrust23THRUST_200600_302600_NS6detail15normal_iteratorINS9_10device_ptrIfEEEEPS5_m14custom_greaterIfEEE10hipError_tT0_T1_T2_jT3_P12ihipStream_tbPNSt15iterator_traitsISJ_E10value_typeEPNSP_ISK_E10value_typeEPSL_NS1_7vsmem_tEENKUlT_SJ_SK_SL_E_clIPfSE_SF_SF_EESI_SY_SJ_SK_SL_EUlSY_E0_NS1_11comp_targetILNS1_3genE5ELNS1_11target_archE942ELNS1_3gpuE9ELNS1_3repE0EEENS1_38merge_mergepath_config_static_selectorELNS0_4arch9wavefront6targetE1EEEvSK_.kd
    .uniform_work_group_size: 1
    .uses_dynamic_stack: false
    .vgpr_count:     0
    .vgpr_spill_count: 0
    .wavefront_size: 64
  - .agpr_count:     0
    .args:
      - .offset:         0
        .size:           72
        .value_kind:     by_value
      - .offset:         72
        .size:           4
        .value_kind:     hidden_block_count_x
      - .offset:         76
        .size:           4
        .value_kind:     hidden_block_count_y
      - .offset:         80
        .size:           4
        .value_kind:     hidden_block_count_z
      - .offset:         84
        .size:           2
        .value_kind:     hidden_group_size_x
      - .offset:         86
        .size:           2
        .value_kind:     hidden_group_size_y
      - .offset:         88
        .size:           2
        .value_kind:     hidden_group_size_z
      - .offset:         90
        .size:           2
        .value_kind:     hidden_remainder_x
      - .offset:         92
        .size:           2
        .value_kind:     hidden_remainder_y
      - .offset:         94
        .size:           2
        .value_kind:     hidden_remainder_z
      - .offset:         112
        .size:           8
        .value_kind:     hidden_global_offset_x
      - .offset:         120
        .size:           8
        .value_kind:     hidden_global_offset_y
      - .offset:         128
        .size:           8
        .value_kind:     hidden_global_offset_z
      - .offset:         136
        .size:           2
        .value_kind:     hidden_grid_dims
    .group_segment_fixed_size: 4224
    .kernarg_segment_align: 8
    .kernarg_segment_size: 328
    .language:       OpenCL C
    .language_version:
      - 2
      - 0
    .max_flat_workgroup_size: 128
    .name:           _ZN7rocprim17ROCPRIM_400000_NS6detail17trampoline_kernelINS0_14default_configENS1_38merge_sort_block_merge_config_selectorIfNS0_10empty_typeEEEZZNS1_27merge_sort_block_merge_implIS3_N6thrust23THRUST_200600_302600_NS6detail15normal_iteratorINS9_10device_ptrIfEEEEPS5_m14custom_greaterIfEEE10hipError_tT0_T1_T2_jT3_P12ihipStream_tbPNSt15iterator_traitsISJ_E10value_typeEPNSP_ISK_E10value_typeEPSL_NS1_7vsmem_tEENKUlT_SJ_SK_SL_E_clIPfSE_SF_SF_EESI_SY_SJ_SK_SL_EUlSY_E0_NS1_11comp_targetILNS1_3genE4ELNS1_11target_archE910ELNS1_3gpuE8ELNS1_3repE0EEENS1_38merge_mergepath_config_static_selectorELNS0_4arch9wavefront6targetE1EEEvSK_
    .private_segment_fixed_size: 0
    .sgpr_count:     35
    .sgpr_spill_count: 0
    .symbol:         _ZN7rocprim17ROCPRIM_400000_NS6detail17trampoline_kernelINS0_14default_configENS1_38merge_sort_block_merge_config_selectorIfNS0_10empty_typeEEEZZNS1_27merge_sort_block_merge_implIS3_N6thrust23THRUST_200600_302600_NS6detail15normal_iteratorINS9_10device_ptrIfEEEEPS5_m14custom_greaterIfEEE10hipError_tT0_T1_T2_jT3_P12ihipStream_tbPNSt15iterator_traitsISJ_E10value_typeEPNSP_ISK_E10value_typeEPSL_NS1_7vsmem_tEENKUlT_SJ_SK_SL_E_clIPfSE_SF_SF_EESI_SY_SJ_SK_SL_EUlSY_E0_NS1_11comp_targetILNS1_3genE4ELNS1_11target_archE910ELNS1_3gpuE8ELNS1_3repE0EEENS1_38merge_mergepath_config_static_selectorELNS0_4arch9wavefront6targetE1EEEvSK_.kd
    .uniform_work_group_size: 1
    .uses_dynamic_stack: false
    .vgpr_count:     26
    .vgpr_spill_count: 0
    .wavefront_size: 64
  - .agpr_count:     0
    .args:
      - .offset:         0
        .size:           72
        .value_kind:     by_value
    .group_segment_fixed_size: 0
    .kernarg_segment_align: 8
    .kernarg_segment_size: 72
    .language:       OpenCL C
    .language_version:
      - 2
      - 0
    .max_flat_workgroup_size: 128
    .name:           _ZN7rocprim17ROCPRIM_400000_NS6detail17trampoline_kernelINS0_14default_configENS1_38merge_sort_block_merge_config_selectorIfNS0_10empty_typeEEEZZNS1_27merge_sort_block_merge_implIS3_N6thrust23THRUST_200600_302600_NS6detail15normal_iteratorINS9_10device_ptrIfEEEEPS5_m14custom_greaterIfEEE10hipError_tT0_T1_T2_jT3_P12ihipStream_tbPNSt15iterator_traitsISJ_E10value_typeEPNSP_ISK_E10value_typeEPSL_NS1_7vsmem_tEENKUlT_SJ_SK_SL_E_clIPfSE_SF_SF_EESI_SY_SJ_SK_SL_EUlSY_E0_NS1_11comp_targetILNS1_3genE3ELNS1_11target_archE908ELNS1_3gpuE7ELNS1_3repE0EEENS1_38merge_mergepath_config_static_selectorELNS0_4arch9wavefront6targetE1EEEvSK_
    .private_segment_fixed_size: 0
    .sgpr_count:     4
    .sgpr_spill_count: 0
    .symbol:         _ZN7rocprim17ROCPRIM_400000_NS6detail17trampoline_kernelINS0_14default_configENS1_38merge_sort_block_merge_config_selectorIfNS0_10empty_typeEEEZZNS1_27merge_sort_block_merge_implIS3_N6thrust23THRUST_200600_302600_NS6detail15normal_iteratorINS9_10device_ptrIfEEEEPS5_m14custom_greaterIfEEE10hipError_tT0_T1_T2_jT3_P12ihipStream_tbPNSt15iterator_traitsISJ_E10value_typeEPNSP_ISK_E10value_typeEPSL_NS1_7vsmem_tEENKUlT_SJ_SK_SL_E_clIPfSE_SF_SF_EESI_SY_SJ_SK_SL_EUlSY_E0_NS1_11comp_targetILNS1_3genE3ELNS1_11target_archE908ELNS1_3gpuE7ELNS1_3repE0EEENS1_38merge_mergepath_config_static_selectorELNS0_4arch9wavefront6targetE1EEEvSK_.kd
    .uniform_work_group_size: 1
    .uses_dynamic_stack: false
    .vgpr_count:     0
    .vgpr_spill_count: 0
    .wavefront_size: 64
  - .agpr_count:     0
    .args:
      - .offset:         0
        .size:           72
        .value_kind:     by_value
    .group_segment_fixed_size: 0
    .kernarg_segment_align: 8
    .kernarg_segment_size: 72
    .language:       OpenCL C
    .language_version:
      - 2
      - 0
    .max_flat_workgroup_size: 128
    .name:           _ZN7rocprim17ROCPRIM_400000_NS6detail17trampoline_kernelINS0_14default_configENS1_38merge_sort_block_merge_config_selectorIfNS0_10empty_typeEEEZZNS1_27merge_sort_block_merge_implIS3_N6thrust23THRUST_200600_302600_NS6detail15normal_iteratorINS9_10device_ptrIfEEEEPS5_m14custom_greaterIfEEE10hipError_tT0_T1_T2_jT3_P12ihipStream_tbPNSt15iterator_traitsISJ_E10value_typeEPNSP_ISK_E10value_typeEPSL_NS1_7vsmem_tEENKUlT_SJ_SK_SL_E_clIPfSE_SF_SF_EESI_SY_SJ_SK_SL_EUlSY_E0_NS1_11comp_targetILNS1_3genE2ELNS1_11target_archE906ELNS1_3gpuE6ELNS1_3repE0EEENS1_38merge_mergepath_config_static_selectorELNS0_4arch9wavefront6targetE1EEEvSK_
    .private_segment_fixed_size: 0
    .sgpr_count:     4
    .sgpr_spill_count: 0
    .symbol:         _ZN7rocprim17ROCPRIM_400000_NS6detail17trampoline_kernelINS0_14default_configENS1_38merge_sort_block_merge_config_selectorIfNS0_10empty_typeEEEZZNS1_27merge_sort_block_merge_implIS3_N6thrust23THRUST_200600_302600_NS6detail15normal_iteratorINS9_10device_ptrIfEEEEPS5_m14custom_greaterIfEEE10hipError_tT0_T1_T2_jT3_P12ihipStream_tbPNSt15iterator_traitsISJ_E10value_typeEPNSP_ISK_E10value_typeEPSL_NS1_7vsmem_tEENKUlT_SJ_SK_SL_E_clIPfSE_SF_SF_EESI_SY_SJ_SK_SL_EUlSY_E0_NS1_11comp_targetILNS1_3genE2ELNS1_11target_archE906ELNS1_3gpuE6ELNS1_3repE0EEENS1_38merge_mergepath_config_static_selectorELNS0_4arch9wavefront6targetE1EEEvSK_.kd
    .uniform_work_group_size: 1
    .uses_dynamic_stack: false
    .vgpr_count:     0
    .vgpr_spill_count: 0
    .wavefront_size: 64
  - .agpr_count:     0
    .args:
      - .offset:         0
        .size:           72
        .value_kind:     by_value
    .group_segment_fixed_size: 0
    .kernarg_segment_align: 8
    .kernarg_segment_size: 72
    .language:       OpenCL C
    .language_version:
      - 2
      - 0
    .max_flat_workgroup_size: 256
    .name:           _ZN7rocprim17ROCPRIM_400000_NS6detail17trampoline_kernelINS0_14default_configENS1_38merge_sort_block_merge_config_selectorIfNS0_10empty_typeEEEZZNS1_27merge_sort_block_merge_implIS3_N6thrust23THRUST_200600_302600_NS6detail15normal_iteratorINS9_10device_ptrIfEEEEPS5_m14custom_greaterIfEEE10hipError_tT0_T1_T2_jT3_P12ihipStream_tbPNSt15iterator_traitsISJ_E10value_typeEPNSP_ISK_E10value_typeEPSL_NS1_7vsmem_tEENKUlT_SJ_SK_SL_E_clIPfSE_SF_SF_EESI_SY_SJ_SK_SL_EUlSY_E0_NS1_11comp_targetILNS1_3genE9ELNS1_11target_archE1100ELNS1_3gpuE3ELNS1_3repE0EEENS1_38merge_mergepath_config_static_selectorELNS0_4arch9wavefront6targetE1EEEvSK_
    .private_segment_fixed_size: 0
    .sgpr_count:     4
    .sgpr_spill_count: 0
    .symbol:         _ZN7rocprim17ROCPRIM_400000_NS6detail17trampoline_kernelINS0_14default_configENS1_38merge_sort_block_merge_config_selectorIfNS0_10empty_typeEEEZZNS1_27merge_sort_block_merge_implIS3_N6thrust23THRUST_200600_302600_NS6detail15normal_iteratorINS9_10device_ptrIfEEEEPS5_m14custom_greaterIfEEE10hipError_tT0_T1_T2_jT3_P12ihipStream_tbPNSt15iterator_traitsISJ_E10value_typeEPNSP_ISK_E10value_typeEPSL_NS1_7vsmem_tEENKUlT_SJ_SK_SL_E_clIPfSE_SF_SF_EESI_SY_SJ_SK_SL_EUlSY_E0_NS1_11comp_targetILNS1_3genE9ELNS1_11target_archE1100ELNS1_3gpuE3ELNS1_3repE0EEENS1_38merge_mergepath_config_static_selectorELNS0_4arch9wavefront6targetE1EEEvSK_.kd
    .uniform_work_group_size: 1
    .uses_dynamic_stack: false
    .vgpr_count:     0
    .vgpr_spill_count: 0
    .wavefront_size: 64
  - .agpr_count:     0
    .args:
      - .offset:         0
        .size:           72
        .value_kind:     by_value
    .group_segment_fixed_size: 0
    .kernarg_segment_align: 8
    .kernarg_segment_size: 72
    .language:       OpenCL C
    .language_version:
      - 2
      - 0
    .max_flat_workgroup_size: 512
    .name:           _ZN7rocprim17ROCPRIM_400000_NS6detail17trampoline_kernelINS0_14default_configENS1_38merge_sort_block_merge_config_selectorIfNS0_10empty_typeEEEZZNS1_27merge_sort_block_merge_implIS3_N6thrust23THRUST_200600_302600_NS6detail15normal_iteratorINS9_10device_ptrIfEEEEPS5_m14custom_greaterIfEEE10hipError_tT0_T1_T2_jT3_P12ihipStream_tbPNSt15iterator_traitsISJ_E10value_typeEPNSP_ISK_E10value_typeEPSL_NS1_7vsmem_tEENKUlT_SJ_SK_SL_E_clIPfSE_SF_SF_EESI_SY_SJ_SK_SL_EUlSY_E0_NS1_11comp_targetILNS1_3genE8ELNS1_11target_archE1030ELNS1_3gpuE2ELNS1_3repE0EEENS1_38merge_mergepath_config_static_selectorELNS0_4arch9wavefront6targetE1EEEvSK_
    .private_segment_fixed_size: 0
    .sgpr_count:     4
    .sgpr_spill_count: 0
    .symbol:         _ZN7rocprim17ROCPRIM_400000_NS6detail17trampoline_kernelINS0_14default_configENS1_38merge_sort_block_merge_config_selectorIfNS0_10empty_typeEEEZZNS1_27merge_sort_block_merge_implIS3_N6thrust23THRUST_200600_302600_NS6detail15normal_iteratorINS9_10device_ptrIfEEEEPS5_m14custom_greaterIfEEE10hipError_tT0_T1_T2_jT3_P12ihipStream_tbPNSt15iterator_traitsISJ_E10value_typeEPNSP_ISK_E10value_typeEPSL_NS1_7vsmem_tEENKUlT_SJ_SK_SL_E_clIPfSE_SF_SF_EESI_SY_SJ_SK_SL_EUlSY_E0_NS1_11comp_targetILNS1_3genE8ELNS1_11target_archE1030ELNS1_3gpuE2ELNS1_3repE0EEENS1_38merge_mergepath_config_static_selectorELNS0_4arch9wavefront6targetE1EEEvSK_.kd
    .uniform_work_group_size: 1
    .uses_dynamic_stack: false
    .vgpr_count:     0
    .vgpr_spill_count: 0
    .wavefront_size: 64
  - .agpr_count:     0
    .args:
      - .offset:         0
        .size:           56
        .value_kind:     by_value
    .group_segment_fixed_size: 0
    .kernarg_segment_align: 8
    .kernarg_segment_size: 56
    .language:       OpenCL C
    .language_version:
      - 2
      - 0
    .max_flat_workgroup_size: 256
    .name:           _ZN7rocprim17ROCPRIM_400000_NS6detail17trampoline_kernelINS0_14default_configENS1_38merge_sort_block_merge_config_selectorIfNS0_10empty_typeEEEZZNS1_27merge_sort_block_merge_implIS3_N6thrust23THRUST_200600_302600_NS6detail15normal_iteratorINS9_10device_ptrIfEEEEPS5_m14custom_greaterIfEEE10hipError_tT0_T1_T2_jT3_P12ihipStream_tbPNSt15iterator_traitsISJ_E10value_typeEPNSP_ISK_E10value_typeEPSL_NS1_7vsmem_tEENKUlT_SJ_SK_SL_E_clIPfSE_SF_SF_EESI_SY_SJ_SK_SL_EUlSY_E1_NS1_11comp_targetILNS1_3genE0ELNS1_11target_archE4294967295ELNS1_3gpuE0ELNS1_3repE0EEENS1_36merge_oddeven_config_static_selectorELNS0_4arch9wavefront6targetE1EEEvSK_
    .private_segment_fixed_size: 0
    .sgpr_count:     4
    .sgpr_spill_count: 0
    .symbol:         _ZN7rocprim17ROCPRIM_400000_NS6detail17trampoline_kernelINS0_14default_configENS1_38merge_sort_block_merge_config_selectorIfNS0_10empty_typeEEEZZNS1_27merge_sort_block_merge_implIS3_N6thrust23THRUST_200600_302600_NS6detail15normal_iteratorINS9_10device_ptrIfEEEEPS5_m14custom_greaterIfEEE10hipError_tT0_T1_T2_jT3_P12ihipStream_tbPNSt15iterator_traitsISJ_E10value_typeEPNSP_ISK_E10value_typeEPSL_NS1_7vsmem_tEENKUlT_SJ_SK_SL_E_clIPfSE_SF_SF_EESI_SY_SJ_SK_SL_EUlSY_E1_NS1_11comp_targetILNS1_3genE0ELNS1_11target_archE4294967295ELNS1_3gpuE0ELNS1_3repE0EEENS1_36merge_oddeven_config_static_selectorELNS0_4arch9wavefront6targetE1EEEvSK_.kd
    .uniform_work_group_size: 1
    .uses_dynamic_stack: false
    .vgpr_count:     0
    .vgpr_spill_count: 0
    .wavefront_size: 64
  - .agpr_count:     0
    .args:
      - .offset:         0
        .size:           56
        .value_kind:     by_value
    .group_segment_fixed_size: 0
    .kernarg_segment_align: 8
    .kernarg_segment_size: 56
    .language:       OpenCL C
    .language_version:
      - 2
      - 0
    .max_flat_workgroup_size: 256
    .name:           _ZN7rocprim17ROCPRIM_400000_NS6detail17trampoline_kernelINS0_14default_configENS1_38merge_sort_block_merge_config_selectorIfNS0_10empty_typeEEEZZNS1_27merge_sort_block_merge_implIS3_N6thrust23THRUST_200600_302600_NS6detail15normal_iteratorINS9_10device_ptrIfEEEEPS5_m14custom_greaterIfEEE10hipError_tT0_T1_T2_jT3_P12ihipStream_tbPNSt15iterator_traitsISJ_E10value_typeEPNSP_ISK_E10value_typeEPSL_NS1_7vsmem_tEENKUlT_SJ_SK_SL_E_clIPfSE_SF_SF_EESI_SY_SJ_SK_SL_EUlSY_E1_NS1_11comp_targetILNS1_3genE10ELNS1_11target_archE1201ELNS1_3gpuE5ELNS1_3repE0EEENS1_36merge_oddeven_config_static_selectorELNS0_4arch9wavefront6targetE1EEEvSK_
    .private_segment_fixed_size: 0
    .sgpr_count:     4
    .sgpr_spill_count: 0
    .symbol:         _ZN7rocprim17ROCPRIM_400000_NS6detail17trampoline_kernelINS0_14default_configENS1_38merge_sort_block_merge_config_selectorIfNS0_10empty_typeEEEZZNS1_27merge_sort_block_merge_implIS3_N6thrust23THRUST_200600_302600_NS6detail15normal_iteratorINS9_10device_ptrIfEEEEPS5_m14custom_greaterIfEEE10hipError_tT0_T1_T2_jT3_P12ihipStream_tbPNSt15iterator_traitsISJ_E10value_typeEPNSP_ISK_E10value_typeEPSL_NS1_7vsmem_tEENKUlT_SJ_SK_SL_E_clIPfSE_SF_SF_EESI_SY_SJ_SK_SL_EUlSY_E1_NS1_11comp_targetILNS1_3genE10ELNS1_11target_archE1201ELNS1_3gpuE5ELNS1_3repE0EEENS1_36merge_oddeven_config_static_selectorELNS0_4arch9wavefront6targetE1EEEvSK_.kd
    .uniform_work_group_size: 1
    .uses_dynamic_stack: false
    .vgpr_count:     0
    .vgpr_spill_count: 0
    .wavefront_size: 64
  - .agpr_count:     0
    .args:
      - .offset:         0
        .size:           56
        .value_kind:     by_value
    .group_segment_fixed_size: 0
    .kernarg_segment_align: 8
    .kernarg_segment_size: 56
    .language:       OpenCL C
    .language_version:
      - 2
      - 0
    .max_flat_workgroup_size: 256
    .name:           _ZN7rocprim17ROCPRIM_400000_NS6detail17trampoline_kernelINS0_14default_configENS1_38merge_sort_block_merge_config_selectorIfNS0_10empty_typeEEEZZNS1_27merge_sort_block_merge_implIS3_N6thrust23THRUST_200600_302600_NS6detail15normal_iteratorINS9_10device_ptrIfEEEEPS5_m14custom_greaterIfEEE10hipError_tT0_T1_T2_jT3_P12ihipStream_tbPNSt15iterator_traitsISJ_E10value_typeEPNSP_ISK_E10value_typeEPSL_NS1_7vsmem_tEENKUlT_SJ_SK_SL_E_clIPfSE_SF_SF_EESI_SY_SJ_SK_SL_EUlSY_E1_NS1_11comp_targetILNS1_3genE5ELNS1_11target_archE942ELNS1_3gpuE9ELNS1_3repE0EEENS1_36merge_oddeven_config_static_selectorELNS0_4arch9wavefront6targetE1EEEvSK_
    .private_segment_fixed_size: 0
    .sgpr_count:     4
    .sgpr_spill_count: 0
    .symbol:         _ZN7rocprim17ROCPRIM_400000_NS6detail17trampoline_kernelINS0_14default_configENS1_38merge_sort_block_merge_config_selectorIfNS0_10empty_typeEEEZZNS1_27merge_sort_block_merge_implIS3_N6thrust23THRUST_200600_302600_NS6detail15normal_iteratorINS9_10device_ptrIfEEEEPS5_m14custom_greaterIfEEE10hipError_tT0_T1_T2_jT3_P12ihipStream_tbPNSt15iterator_traitsISJ_E10value_typeEPNSP_ISK_E10value_typeEPSL_NS1_7vsmem_tEENKUlT_SJ_SK_SL_E_clIPfSE_SF_SF_EESI_SY_SJ_SK_SL_EUlSY_E1_NS1_11comp_targetILNS1_3genE5ELNS1_11target_archE942ELNS1_3gpuE9ELNS1_3repE0EEENS1_36merge_oddeven_config_static_selectorELNS0_4arch9wavefront6targetE1EEEvSK_.kd
    .uniform_work_group_size: 1
    .uses_dynamic_stack: false
    .vgpr_count:     0
    .vgpr_spill_count: 0
    .wavefront_size: 64
  - .agpr_count:     0
    .args:
      - .offset:         0
        .size:           56
        .value_kind:     by_value
    .group_segment_fixed_size: 0
    .kernarg_segment_align: 8
    .kernarg_segment_size: 56
    .language:       OpenCL C
    .language_version:
      - 2
      - 0
    .max_flat_workgroup_size: 256
    .name:           _ZN7rocprim17ROCPRIM_400000_NS6detail17trampoline_kernelINS0_14default_configENS1_38merge_sort_block_merge_config_selectorIfNS0_10empty_typeEEEZZNS1_27merge_sort_block_merge_implIS3_N6thrust23THRUST_200600_302600_NS6detail15normal_iteratorINS9_10device_ptrIfEEEEPS5_m14custom_greaterIfEEE10hipError_tT0_T1_T2_jT3_P12ihipStream_tbPNSt15iterator_traitsISJ_E10value_typeEPNSP_ISK_E10value_typeEPSL_NS1_7vsmem_tEENKUlT_SJ_SK_SL_E_clIPfSE_SF_SF_EESI_SY_SJ_SK_SL_EUlSY_E1_NS1_11comp_targetILNS1_3genE4ELNS1_11target_archE910ELNS1_3gpuE8ELNS1_3repE0EEENS1_36merge_oddeven_config_static_selectorELNS0_4arch9wavefront6targetE1EEEvSK_
    .private_segment_fixed_size: 0
    .sgpr_count:     25
    .sgpr_spill_count: 0
    .symbol:         _ZN7rocprim17ROCPRIM_400000_NS6detail17trampoline_kernelINS0_14default_configENS1_38merge_sort_block_merge_config_selectorIfNS0_10empty_typeEEEZZNS1_27merge_sort_block_merge_implIS3_N6thrust23THRUST_200600_302600_NS6detail15normal_iteratorINS9_10device_ptrIfEEEEPS5_m14custom_greaterIfEEE10hipError_tT0_T1_T2_jT3_P12ihipStream_tbPNSt15iterator_traitsISJ_E10value_typeEPNSP_ISK_E10value_typeEPSL_NS1_7vsmem_tEENKUlT_SJ_SK_SL_E_clIPfSE_SF_SF_EESI_SY_SJ_SK_SL_EUlSY_E1_NS1_11comp_targetILNS1_3genE4ELNS1_11target_archE910ELNS1_3gpuE8ELNS1_3repE0EEENS1_36merge_oddeven_config_static_selectorELNS0_4arch9wavefront6targetE1EEEvSK_.kd
    .uniform_work_group_size: 1
    .uses_dynamic_stack: false
    .vgpr_count:     10
    .vgpr_spill_count: 0
    .wavefront_size: 64
  - .agpr_count:     0
    .args:
      - .offset:         0
        .size:           56
        .value_kind:     by_value
    .group_segment_fixed_size: 0
    .kernarg_segment_align: 8
    .kernarg_segment_size: 56
    .language:       OpenCL C
    .language_version:
      - 2
      - 0
    .max_flat_workgroup_size: 256
    .name:           _ZN7rocprim17ROCPRIM_400000_NS6detail17trampoline_kernelINS0_14default_configENS1_38merge_sort_block_merge_config_selectorIfNS0_10empty_typeEEEZZNS1_27merge_sort_block_merge_implIS3_N6thrust23THRUST_200600_302600_NS6detail15normal_iteratorINS9_10device_ptrIfEEEEPS5_m14custom_greaterIfEEE10hipError_tT0_T1_T2_jT3_P12ihipStream_tbPNSt15iterator_traitsISJ_E10value_typeEPNSP_ISK_E10value_typeEPSL_NS1_7vsmem_tEENKUlT_SJ_SK_SL_E_clIPfSE_SF_SF_EESI_SY_SJ_SK_SL_EUlSY_E1_NS1_11comp_targetILNS1_3genE3ELNS1_11target_archE908ELNS1_3gpuE7ELNS1_3repE0EEENS1_36merge_oddeven_config_static_selectorELNS0_4arch9wavefront6targetE1EEEvSK_
    .private_segment_fixed_size: 0
    .sgpr_count:     4
    .sgpr_spill_count: 0
    .symbol:         _ZN7rocprim17ROCPRIM_400000_NS6detail17trampoline_kernelINS0_14default_configENS1_38merge_sort_block_merge_config_selectorIfNS0_10empty_typeEEEZZNS1_27merge_sort_block_merge_implIS3_N6thrust23THRUST_200600_302600_NS6detail15normal_iteratorINS9_10device_ptrIfEEEEPS5_m14custom_greaterIfEEE10hipError_tT0_T1_T2_jT3_P12ihipStream_tbPNSt15iterator_traitsISJ_E10value_typeEPNSP_ISK_E10value_typeEPSL_NS1_7vsmem_tEENKUlT_SJ_SK_SL_E_clIPfSE_SF_SF_EESI_SY_SJ_SK_SL_EUlSY_E1_NS1_11comp_targetILNS1_3genE3ELNS1_11target_archE908ELNS1_3gpuE7ELNS1_3repE0EEENS1_36merge_oddeven_config_static_selectorELNS0_4arch9wavefront6targetE1EEEvSK_.kd
    .uniform_work_group_size: 1
    .uses_dynamic_stack: false
    .vgpr_count:     0
    .vgpr_spill_count: 0
    .wavefront_size: 64
  - .agpr_count:     0
    .args:
      - .offset:         0
        .size:           56
        .value_kind:     by_value
    .group_segment_fixed_size: 0
    .kernarg_segment_align: 8
    .kernarg_segment_size: 56
    .language:       OpenCL C
    .language_version:
      - 2
      - 0
    .max_flat_workgroup_size: 256
    .name:           _ZN7rocprim17ROCPRIM_400000_NS6detail17trampoline_kernelINS0_14default_configENS1_38merge_sort_block_merge_config_selectorIfNS0_10empty_typeEEEZZNS1_27merge_sort_block_merge_implIS3_N6thrust23THRUST_200600_302600_NS6detail15normal_iteratorINS9_10device_ptrIfEEEEPS5_m14custom_greaterIfEEE10hipError_tT0_T1_T2_jT3_P12ihipStream_tbPNSt15iterator_traitsISJ_E10value_typeEPNSP_ISK_E10value_typeEPSL_NS1_7vsmem_tEENKUlT_SJ_SK_SL_E_clIPfSE_SF_SF_EESI_SY_SJ_SK_SL_EUlSY_E1_NS1_11comp_targetILNS1_3genE2ELNS1_11target_archE906ELNS1_3gpuE6ELNS1_3repE0EEENS1_36merge_oddeven_config_static_selectorELNS0_4arch9wavefront6targetE1EEEvSK_
    .private_segment_fixed_size: 0
    .sgpr_count:     4
    .sgpr_spill_count: 0
    .symbol:         _ZN7rocprim17ROCPRIM_400000_NS6detail17trampoline_kernelINS0_14default_configENS1_38merge_sort_block_merge_config_selectorIfNS0_10empty_typeEEEZZNS1_27merge_sort_block_merge_implIS3_N6thrust23THRUST_200600_302600_NS6detail15normal_iteratorINS9_10device_ptrIfEEEEPS5_m14custom_greaterIfEEE10hipError_tT0_T1_T2_jT3_P12ihipStream_tbPNSt15iterator_traitsISJ_E10value_typeEPNSP_ISK_E10value_typeEPSL_NS1_7vsmem_tEENKUlT_SJ_SK_SL_E_clIPfSE_SF_SF_EESI_SY_SJ_SK_SL_EUlSY_E1_NS1_11comp_targetILNS1_3genE2ELNS1_11target_archE906ELNS1_3gpuE6ELNS1_3repE0EEENS1_36merge_oddeven_config_static_selectorELNS0_4arch9wavefront6targetE1EEEvSK_.kd
    .uniform_work_group_size: 1
    .uses_dynamic_stack: false
    .vgpr_count:     0
    .vgpr_spill_count: 0
    .wavefront_size: 64
  - .agpr_count:     0
    .args:
      - .offset:         0
        .size:           56
        .value_kind:     by_value
    .group_segment_fixed_size: 0
    .kernarg_segment_align: 8
    .kernarg_segment_size: 56
    .language:       OpenCL C
    .language_version:
      - 2
      - 0
    .max_flat_workgroup_size: 256
    .name:           _ZN7rocprim17ROCPRIM_400000_NS6detail17trampoline_kernelINS0_14default_configENS1_38merge_sort_block_merge_config_selectorIfNS0_10empty_typeEEEZZNS1_27merge_sort_block_merge_implIS3_N6thrust23THRUST_200600_302600_NS6detail15normal_iteratorINS9_10device_ptrIfEEEEPS5_m14custom_greaterIfEEE10hipError_tT0_T1_T2_jT3_P12ihipStream_tbPNSt15iterator_traitsISJ_E10value_typeEPNSP_ISK_E10value_typeEPSL_NS1_7vsmem_tEENKUlT_SJ_SK_SL_E_clIPfSE_SF_SF_EESI_SY_SJ_SK_SL_EUlSY_E1_NS1_11comp_targetILNS1_3genE9ELNS1_11target_archE1100ELNS1_3gpuE3ELNS1_3repE0EEENS1_36merge_oddeven_config_static_selectorELNS0_4arch9wavefront6targetE1EEEvSK_
    .private_segment_fixed_size: 0
    .sgpr_count:     4
    .sgpr_spill_count: 0
    .symbol:         _ZN7rocprim17ROCPRIM_400000_NS6detail17trampoline_kernelINS0_14default_configENS1_38merge_sort_block_merge_config_selectorIfNS0_10empty_typeEEEZZNS1_27merge_sort_block_merge_implIS3_N6thrust23THRUST_200600_302600_NS6detail15normal_iteratorINS9_10device_ptrIfEEEEPS5_m14custom_greaterIfEEE10hipError_tT0_T1_T2_jT3_P12ihipStream_tbPNSt15iterator_traitsISJ_E10value_typeEPNSP_ISK_E10value_typeEPSL_NS1_7vsmem_tEENKUlT_SJ_SK_SL_E_clIPfSE_SF_SF_EESI_SY_SJ_SK_SL_EUlSY_E1_NS1_11comp_targetILNS1_3genE9ELNS1_11target_archE1100ELNS1_3gpuE3ELNS1_3repE0EEENS1_36merge_oddeven_config_static_selectorELNS0_4arch9wavefront6targetE1EEEvSK_.kd
    .uniform_work_group_size: 1
    .uses_dynamic_stack: false
    .vgpr_count:     0
    .vgpr_spill_count: 0
    .wavefront_size: 64
  - .agpr_count:     0
    .args:
      - .offset:         0
        .size:           56
        .value_kind:     by_value
    .group_segment_fixed_size: 0
    .kernarg_segment_align: 8
    .kernarg_segment_size: 56
    .language:       OpenCL C
    .language_version:
      - 2
      - 0
    .max_flat_workgroup_size: 256
    .name:           _ZN7rocprim17ROCPRIM_400000_NS6detail17trampoline_kernelINS0_14default_configENS1_38merge_sort_block_merge_config_selectorIfNS0_10empty_typeEEEZZNS1_27merge_sort_block_merge_implIS3_N6thrust23THRUST_200600_302600_NS6detail15normal_iteratorINS9_10device_ptrIfEEEEPS5_m14custom_greaterIfEEE10hipError_tT0_T1_T2_jT3_P12ihipStream_tbPNSt15iterator_traitsISJ_E10value_typeEPNSP_ISK_E10value_typeEPSL_NS1_7vsmem_tEENKUlT_SJ_SK_SL_E_clIPfSE_SF_SF_EESI_SY_SJ_SK_SL_EUlSY_E1_NS1_11comp_targetILNS1_3genE8ELNS1_11target_archE1030ELNS1_3gpuE2ELNS1_3repE0EEENS1_36merge_oddeven_config_static_selectorELNS0_4arch9wavefront6targetE1EEEvSK_
    .private_segment_fixed_size: 0
    .sgpr_count:     4
    .sgpr_spill_count: 0
    .symbol:         _ZN7rocprim17ROCPRIM_400000_NS6detail17trampoline_kernelINS0_14default_configENS1_38merge_sort_block_merge_config_selectorIfNS0_10empty_typeEEEZZNS1_27merge_sort_block_merge_implIS3_N6thrust23THRUST_200600_302600_NS6detail15normal_iteratorINS9_10device_ptrIfEEEEPS5_m14custom_greaterIfEEE10hipError_tT0_T1_T2_jT3_P12ihipStream_tbPNSt15iterator_traitsISJ_E10value_typeEPNSP_ISK_E10value_typeEPSL_NS1_7vsmem_tEENKUlT_SJ_SK_SL_E_clIPfSE_SF_SF_EESI_SY_SJ_SK_SL_EUlSY_E1_NS1_11comp_targetILNS1_3genE8ELNS1_11target_archE1030ELNS1_3gpuE2ELNS1_3repE0EEENS1_36merge_oddeven_config_static_selectorELNS0_4arch9wavefront6targetE1EEEvSK_.kd
    .uniform_work_group_size: 1
    .uses_dynamic_stack: false
    .vgpr_count:     0
    .vgpr_spill_count: 0
    .wavefront_size: 64
  - .agpr_count:     0
    .args:
      - .offset:         0
        .size:           48
        .value_kind:     by_value
    .group_segment_fixed_size: 0
    .kernarg_segment_align: 8
    .kernarg_segment_size: 48
    .language:       OpenCL C
    .language_version:
      - 2
      - 0
    .max_flat_workgroup_size: 128
    .name:           _ZN7rocprim17ROCPRIM_400000_NS6detail17trampoline_kernelINS0_14default_configENS1_38merge_sort_block_merge_config_selectorIfNS0_10empty_typeEEEZZNS1_27merge_sort_block_merge_implIS3_N6thrust23THRUST_200600_302600_NS6detail15normal_iteratorINS9_10device_ptrIfEEEEPS5_m14custom_greaterIfEEE10hipError_tT0_T1_T2_jT3_P12ihipStream_tbPNSt15iterator_traitsISJ_E10value_typeEPNSP_ISK_E10value_typeEPSL_NS1_7vsmem_tEENKUlT_SJ_SK_SL_E_clISE_PfSF_SF_EESI_SY_SJ_SK_SL_EUlSY_E_NS1_11comp_targetILNS1_3genE0ELNS1_11target_archE4294967295ELNS1_3gpuE0ELNS1_3repE0EEENS1_48merge_mergepath_partition_config_static_selectorELNS0_4arch9wavefront6targetE1EEEvSK_
    .private_segment_fixed_size: 0
    .sgpr_count:     4
    .sgpr_spill_count: 0
    .symbol:         _ZN7rocprim17ROCPRIM_400000_NS6detail17trampoline_kernelINS0_14default_configENS1_38merge_sort_block_merge_config_selectorIfNS0_10empty_typeEEEZZNS1_27merge_sort_block_merge_implIS3_N6thrust23THRUST_200600_302600_NS6detail15normal_iteratorINS9_10device_ptrIfEEEEPS5_m14custom_greaterIfEEE10hipError_tT0_T1_T2_jT3_P12ihipStream_tbPNSt15iterator_traitsISJ_E10value_typeEPNSP_ISK_E10value_typeEPSL_NS1_7vsmem_tEENKUlT_SJ_SK_SL_E_clISE_PfSF_SF_EESI_SY_SJ_SK_SL_EUlSY_E_NS1_11comp_targetILNS1_3genE0ELNS1_11target_archE4294967295ELNS1_3gpuE0ELNS1_3repE0EEENS1_48merge_mergepath_partition_config_static_selectorELNS0_4arch9wavefront6targetE1EEEvSK_.kd
    .uniform_work_group_size: 1
    .uses_dynamic_stack: false
    .vgpr_count:     0
    .vgpr_spill_count: 0
    .wavefront_size: 64
  - .agpr_count:     0
    .args:
      - .offset:         0
        .size:           48
        .value_kind:     by_value
    .group_segment_fixed_size: 0
    .kernarg_segment_align: 8
    .kernarg_segment_size: 48
    .language:       OpenCL C
    .language_version:
      - 2
      - 0
    .max_flat_workgroup_size: 128
    .name:           _ZN7rocprim17ROCPRIM_400000_NS6detail17trampoline_kernelINS0_14default_configENS1_38merge_sort_block_merge_config_selectorIfNS0_10empty_typeEEEZZNS1_27merge_sort_block_merge_implIS3_N6thrust23THRUST_200600_302600_NS6detail15normal_iteratorINS9_10device_ptrIfEEEEPS5_m14custom_greaterIfEEE10hipError_tT0_T1_T2_jT3_P12ihipStream_tbPNSt15iterator_traitsISJ_E10value_typeEPNSP_ISK_E10value_typeEPSL_NS1_7vsmem_tEENKUlT_SJ_SK_SL_E_clISE_PfSF_SF_EESI_SY_SJ_SK_SL_EUlSY_E_NS1_11comp_targetILNS1_3genE10ELNS1_11target_archE1201ELNS1_3gpuE5ELNS1_3repE0EEENS1_48merge_mergepath_partition_config_static_selectorELNS0_4arch9wavefront6targetE1EEEvSK_
    .private_segment_fixed_size: 0
    .sgpr_count:     4
    .sgpr_spill_count: 0
    .symbol:         _ZN7rocprim17ROCPRIM_400000_NS6detail17trampoline_kernelINS0_14default_configENS1_38merge_sort_block_merge_config_selectorIfNS0_10empty_typeEEEZZNS1_27merge_sort_block_merge_implIS3_N6thrust23THRUST_200600_302600_NS6detail15normal_iteratorINS9_10device_ptrIfEEEEPS5_m14custom_greaterIfEEE10hipError_tT0_T1_T2_jT3_P12ihipStream_tbPNSt15iterator_traitsISJ_E10value_typeEPNSP_ISK_E10value_typeEPSL_NS1_7vsmem_tEENKUlT_SJ_SK_SL_E_clISE_PfSF_SF_EESI_SY_SJ_SK_SL_EUlSY_E_NS1_11comp_targetILNS1_3genE10ELNS1_11target_archE1201ELNS1_3gpuE5ELNS1_3repE0EEENS1_48merge_mergepath_partition_config_static_selectorELNS0_4arch9wavefront6targetE1EEEvSK_.kd
    .uniform_work_group_size: 1
    .uses_dynamic_stack: false
    .vgpr_count:     0
    .vgpr_spill_count: 0
    .wavefront_size: 64
  - .agpr_count:     0
    .args:
      - .offset:         0
        .size:           48
        .value_kind:     by_value
    .group_segment_fixed_size: 0
    .kernarg_segment_align: 8
    .kernarg_segment_size: 48
    .language:       OpenCL C
    .language_version:
      - 2
      - 0
    .max_flat_workgroup_size: 128
    .name:           _ZN7rocprim17ROCPRIM_400000_NS6detail17trampoline_kernelINS0_14default_configENS1_38merge_sort_block_merge_config_selectorIfNS0_10empty_typeEEEZZNS1_27merge_sort_block_merge_implIS3_N6thrust23THRUST_200600_302600_NS6detail15normal_iteratorINS9_10device_ptrIfEEEEPS5_m14custom_greaterIfEEE10hipError_tT0_T1_T2_jT3_P12ihipStream_tbPNSt15iterator_traitsISJ_E10value_typeEPNSP_ISK_E10value_typeEPSL_NS1_7vsmem_tEENKUlT_SJ_SK_SL_E_clISE_PfSF_SF_EESI_SY_SJ_SK_SL_EUlSY_E_NS1_11comp_targetILNS1_3genE5ELNS1_11target_archE942ELNS1_3gpuE9ELNS1_3repE0EEENS1_48merge_mergepath_partition_config_static_selectorELNS0_4arch9wavefront6targetE1EEEvSK_
    .private_segment_fixed_size: 0
    .sgpr_count:     4
    .sgpr_spill_count: 0
    .symbol:         _ZN7rocprim17ROCPRIM_400000_NS6detail17trampoline_kernelINS0_14default_configENS1_38merge_sort_block_merge_config_selectorIfNS0_10empty_typeEEEZZNS1_27merge_sort_block_merge_implIS3_N6thrust23THRUST_200600_302600_NS6detail15normal_iteratorINS9_10device_ptrIfEEEEPS5_m14custom_greaterIfEEE10hipError_tT0_T1_T2_jT3_P12ihipStream_tbPNSt15iterator_traitsISJ_E10value_typeEPNSP_ISK_E10value_typeEPSL_NS1_7vsmem_tEENKUlT_SJ_SK_SL_E_clISE_PfSF_SF_EESI_SY_SJ_SK_SL_EUlSY_E_NS1_11comp_targetILNS1_3genE5ELNS1_11target_archE942ELNS1_3gpuE9ELNS1_3repE0EEENS1_48merge_mergepath_partition_config_static_selectorELNS0_4arch9wavefront6targetE1EEEvSK_.kd
    .uniform_work_group_size: 1
    .uses_dynamic_stack: false
    .vgpr_count:     0
    .vgpr_spill_count: 0
    .wavefront_size: 64
  - .agpr_count:     0
    .args:
      - .offset:         0
        .size:           48
        .value_kind:     by_value
    .group_segment_fixed_size: 0
    .kernarg_segment_align: 8
    .kernarg_segment_size: 48
    .language:       OpenCL C
    .language_version:
      - 2
      - 0
    .max_flat_workgroup_size: 128
    .name:           _ZN7rocprim17ROCPRIM_400000_NS6detail17trampoline_kernelINS0_14default_configENS1_38merge_sort_block_merge_config_selectorIfNS0_10empty_typeEEEZZNS1_27merge_sort_block_merge_implIS3_N6thrust23THRUST_200600_302600_NS6detail15normal_iteratorINS9_10device_ptrIfEEEEPS5_m14custom_greaterIfEEE10hipError_tT0_T1_T2_jT3_P12ihipStream_tbPNSt15iterator_traitsISJ_E10value_typeEPNSP_ISK_E10value_typeEPSL_NS1_7vsmem_tEENKUlT_SJ_SK_SL_E_clISE_PfSF_SF_EESI_SY_SJ_SK_SL_EUlSY_E_NS1_11comp_targetILNS1_3genE4ELNS1_11target_archE910ELNS1_3gpuE8ELNS1_3repE0EEENS1_48merge_mergepath_partition_config_static_selectorELNS0_4arch9wavefront6targetE1EEEvSK_
    .private_segment_fixed_size: 0
    .sgpr_count:     12
    .sgpr_spill_count: 0
    .symbol:         _ZN7rocprim17ROCPRIM_400000_NS6detail17trampoline_kernelINS0_14default_configENS1_38merge_sort_block_merge_config_selectorIfNS0_10empty_typeEEEZZNS1_27merge_sort_block_merge_implIS3_N6thrust23THRUST_200600_302600_NS6detail15normal_iteratorINS9_10device_ptrIfEEEEPS5_m14custom_greaterIfEEE10hipError_tT0_T1_T2_jT3_P12ihipStream_tbPNSt15iterator_traitsISJ_E10value_typeEPNSP_ISK_E10value_typeEPSL_NS1_7vsmem_tEENKUlT_SJ_SK_SL_E_clISE_PfSF_SF_EESI_SY_SJ_SK_SL_EUlSY_E_NS1_11comp_targetILNS1_3genE4ELNS1_11target_archE910ELNS1_3gpuE8ELNS1_3repE0EEENS1_48merge_mergepath_partition_config_static_selectorELNS0_4arch9wavefront6targetE1EEEvSK_.kd
    .uniform_work_group_size: 1
    .uses_dynamic_stack: false
    .vgpr_count:     19
    .vgpr_spill_count: 0
    .wavefront_size: 64
  - .agpr_count:     0
    .args:
      - .offset:         0
        .size:           48
        .value_kind:     by_value
    .group_segment_fixed_size: 0
    .kernarg_segment_align: 8
    .kernarg_segment_size: 48
    .language:       OpenCL C
    .language_version:
      - 2
      - 0
    .max_flat_workgroup_size: 128
    .name:           _ZN7rocprim17ROCPRIM_400000_NS6detail17trampoline_kernelINS0_14default_configENS1_38merge_sort_block_merge_config_selectorIfNS0_10empty_typeEEEZZNS1_27merge_sort_block_merge_implIS3_N6thrust23THRUST_200600_302600_NS6detail15normal_iteratorINS9_10device_ptrIfEEEEPS5_m14custom_greaterIfEEE10hipError_tT0_T1_T2_jT3_P12ihipStream_tbPNSt15iterator_traitsISJ_E10value_typeEPNSP_ISK_E10value_typeEPSL_NS1_7vsmem_tEENKUlT_SJ_SK_SL_E_clISE_PfSF_SF_EESI_SY_SJ_SK_SL_EUlSY_E_NS1_11comp_targetILNS1_3genE3ELNS1_11target_archE908ELNS1_3gpuE7ELNS1_3repE0EEENS1_48merge_mergepath_partition_config_static_selectorELNS0_4arch9wavefront6targetE1EEEvSK_
    .private_segment_fixed_size: 0
    .sgpr_count:     4
    .sgpr_spill_count: 0
    .symbol:         _ZN7rocprim17ROCPRIM_400000_NS6detail17trampoline_kernelINS0_14default_configENS1_38merge_sort_block_merge_config_selectorIfNS0_10empty_typeEEEZZNS1_27merge_sort_block_merge_implIS3_N6thrust23THRUST_200600_302600_NS6detail15normal_iteratorINS9_10device_ptrIfEEEEPS5_m14custom_greaterIfEEE10hipError_tT0_T1_T2_jT3_P12ihipStream_tbPNSt15iterator_traitsISJ_E10value_typeEPNSP_ISK_E10value_typeEPSL_NS1_7vsmem_tEENKUlT_SJ_SK_SL_E_clISE_PfSF_SF_EESI_SY_SJ_SK_SL_EUlSY_E_NS1_11comp_targetILNS1_3genE3ELNS1_11target_archE908ELNS1_3gpuE7ELNS1_3repE0EEENS1_48merge_mergepath_partition_config_static_selectorELNS0_4arch9wavefront6targetE1EEEvSK_.kd
    .uniform_work_group_size: 1
    .uses_dynamic_stack: false
    .vgpr_count:     0
    .vgpr_spill_count: 0
    .wavefront_size: 64
  - .agpr_count:     0
    .args:
      - .offset:         0
        .size:           48
        .value_kind:     by_value
    .group_segment_fixed_size: 0
    .kernarg_segment_align: 8
    .kernarg_segment_size: 48
    .language:       OpenCL C
    .language_version:
      - 2
      - 0
    .max_flat_workgroup_size: 128
    .name:           _ZN7rocprim17ROCPRIM_400000_NS6detail17trampoline_kernelINS0_14default_configENS1_38merge_sort_block_merge_config_selectorIfNS0_10empty_typeEEEZZNS1_27merge_sort_block_merge_implIS3_N6thrust23THRUST_200600_302600_NS6detail15normal_iteratorINS9_10device_ptrIfEEEEPS5_m14custom_greaterIfEEE10hipError_tT0_T1_T2_jT3_P12ihipStream_tbPNSt15iterator_traitsISJ_E10value_typeEPNSP_ISK_E10value_typeEPSL_NS1_7vsmem_tEENKUlT_SJ_SK_SL_E_clISE_PfSF_SF_EESI_SY_SJ_SK_SL_EUlSY_E_NS1_11comp_targetILNS1_3genE2ELNS1_11target_archE906ELNS1_3gpuE6ELNS1_3repE0EEENS1_48merge_mergepath_partition_config_static_selectorELNS0_4arch9wavefront6targetE1EEEvSK_
    .private_segment_fixed_size: 0
    .sgpr_count:     4
    .sgpr_spill_count: 0
    .symbol:         _ZN7rocprim17ROCPRIM_400000_NS6detail17trampoline_kernelINS0_14default_configENS1_38merge_sort_block_merge_config_selectorIfNS0_10empty_typeEEEZZNS1_27merge_sort_block_merge_implIS3_N6thrust23THRUST_200600_302600_NS6detail15normal_iteratorINS9_10device_ptrIfEEEEPS5_m14custom_greaterIfEEE10hipError_tT0_T1_T2_jT3_P12ihipStream_tbPNSt15iterator_traitsISJ_E10value_typeEPNSP_ISK_E10value_typeEPSL_NS1_7vsmem_tEENKUlT_SJ_SK_SL_E_clISE_PfSF_SF_EESI_SY_SJ_SK_SL_EUlSY_E_NS1_11comp_targetILNS1_3genE2ELNS1_11target_archE906ELNS1_3gpuE6ELNS1_3repE0EEENS1_48merge_mergepath_partition_config_static_selectorELNS0_4arch9wavefront6targetE1EEEvSK_.kd
    .uniform_work_group_size: 1
    .uses_dynamic_stack: false
    .vgpr_count:     0
    .vgpr_spill_count: 0
    .wavefront_size: 64
  - .agpr_count:     0
    .args:
      - .offset:         0
        .size:           48
        .value_kind:     by_value
    .group_segment_fixed_size: 0
    .kernarg_segment_align: 8
    .kernarg_segment_size: 48
    .language:       OpenCL C
    .language_version:
      - 2
      - 0
    .max_flat_workgroup_size: 128
    .name:           _ZN7rocprim17ROCPRIM_400000_NS6detail17trampoline_kernelINS0_14default_configENS1_38merge_sort_block_merge_config_selectorIfNS0_10empty_typeEEEZZNS1_27merge_sort_block_merge_implIS3_N6thrust23THRUST_200600_302600_NS6detail15normal_iteratorINS9_10device_ptrIfEEEEPS5_m14custom_greaterIfEEE10hipError_tT0_T1_T2_jT3_P12ihipStream_tbPNSt15iterator_traitsISJ_E10value_typeEPNSP_ISK_E10value_typeEPSL_NS1_7vsmem_tEENKUlT_SJ_SK_SL_E_clISE_PfSF_SF_EESI_SY_SJ_SK_SL_EUlSY_E_NS1_11comp_targetILNS1_3genE9ELNS1_11target_archE1100ELNS1_3gpuE3ELNS1_3repE0EEENS1_48merge_mergepath_partition_config_static_selectorELNS0_4arch9wavefront6targetE1EEEvSK_
    .private_segment_fixed_size: 0
    .sgpr_count:     4
    .sgpr_spill_count: 0
    .symbol:         _ZN7rocprim17ROCPRIM_400000_NS6detail17trampoline_kernelINS0_14default_configENS1_38merge_sort_block_merge_config_selectorIfNS0_10empty_typeEEEZZNS1_27merge_sort_block_merge_implIS3_N6thrust23THRUST_200600_302600_NS6detail15normal_iteratorINS9_10device_ptrIfEEEEPS5_m14custom_greaterIfEEE10hipError_tT0_T1_T2_jT3_P12ihipStream_tbPNSt15iterator_traitsISJ_E10value_typeEPNSP_ISK_E10value_typeEPSL_NS1_7vsmem_tEENKUlT_SJ_SK_SL_E_clISE_PfSF_SF_EESI_SY_SJ_SK_SL_EUlSY_E_NS1_11comp_targetILNS1_3genE9ELNS1_11target_archE1100ELNS1_3gpuE3ELNS1_3repE0EEENS1_48merge_mergepath_partition_config_static_selectorELNS0_4arch9wavefront6targetE1EEEvSK_.kd
    .uniform_work_group_size: 1
    .uses_dynamic_stack: false
    .vgpr_count:     0
    .vgpr_spill_count: 0
    .wavefront_size: 64
  - .agpr_count:     0
    .args:
      - .offset:         0
        .size:           48
        .value_kind:     by_value
    .group_segment_fixed_size: 0
    .kernarg_segment_align: 8
    .kernarg_segment_size: 48
    .language:       OpenCL C
    .language_version:
      - 2
      - 0
    .max_flat_workgroup_size: 128
    .name:           _ZN7rocprim17ROCPRIM_400000_NS6detail17trampoline_kernelINS0_14default_configENS1_38merge_sort_block_merge_config_selectorIfNS0_10empty_typeEEEZZNS1_27merge_sort_block_merge_implIS3_N6thrust23THRUST_200600_302600_NS6detail15normal_iteratorINS9_10device_ptrIfEEEEPS5_m14custom_greaterIfEEE10hipError_tT0_T1_T2_jT3_P12ihipStream_tbPNSt15iterator_traitsISJ_E10value_typeEPNSP_ISK_E10value_typeEPSL_NS1_7vsmem_tEENKUlT_SJ_SK_SL_E_clISE_PfSF_SF_EESI_SY_SJ_SK_SL_EUlSY_E_NS1_11comp_targetILNS1_3genE8ELNS1_11target_archE1030ELNS1_3gpuE2ELNS1_3repE0EEENS1_48merge_mergepath_partition_config_static_selectorELNS0_4arch9wavefront6targetE1EEEvSK_
    .private_segment_fixed_size: 0
    .sgpr_count:     4
    .sgpr_spill_count: 0
    .symbol:         _ZN7rocprim17ROCPRIM_400000_NS6detail17trampoline_kernelINS0_14default_configENS1_38merge_sort_block_merge_config_selectorIfNS0_10empty_typeEEEZZNS1_27merge_sort_block_merge_implIS3_N6thrust23THRUST_200600_302600_NS6detail15normal_iteratorINS9_10device_ptrIfEEEEPS5_m14custom_greaterIfEEE10hipError_tT0_T1_T2_jT3_P12ihipStream_tbPNSt15iterator_traitsISJ_E10value_typeEPNSP_ISK_E10value_typeEPSL_NS1_7vsmem_tEENKUlT_SJ_SK_SL_E_clISE_PfSF_SF_EESI_SY_SJ_SK_SL_EUlSY_E_NS1_11comp_targetILNS1_3genE8ELNS1_11target_archE1030ELNS1_3gpuE2ELNS1_3repE0EEENS1_48merge_mergepath_partition_config_static_selectorELNS0_4arch9wavefront6targetE1EEEvSK_.kd
    .uniform_work_group_size: 1
    .uses_dynamic_stack: false
    .vgpr_count:     0
    .vgpr_spill_count: 0
    .wavefront_size: 64
  - .agpr_count:     0
    .args:
      - .offset:         0
        .size:           72
        .value_kind:     by_value
    .group_segment_fixed_size: 0
    .kernarg_segment_align: 8
    .kernarg_segment_size: 72
    .language:       OpenCL C
    .language_version:
      - 2
      - 0
    .max_flat_workgroup_size: 128
    .name:           _ZN7rocprim17ROCPRIM_400000_NS6detail17trampoline_kernelINS0_14default_configENS1_38merge_sort_block_merge_config_selectorIfNS0_10empty_typeEEEZZNS1_27merge_sort_block_merge_implIS3_N6thrust23THRUST_200600_302600_NS6detail15normal_iteratorINS9_10device_ptrIfEEEEPS5_m14custom_greaterIfEEE10hipError_tT0_T1_T2_jT3_P12ihipStream_tbPNSt15iterator_traitsISJ_E10value_typeEPNSP_ISK_E10value_typeEPSL_NS1_7vsmem_tEENKUlT_SJ_SK_SL_E_clISE_PfSF_SF_EESI_SY_SJ_SK_SL_EUlSY_E0_NS1_11comp_targetILNS1_3genE0ELNS1_11target_archE4294967295ELNS1_3gpuE0ELNS1_3repE0EEENS1_38merge_mergepath_config_static_selectorELNS0_4arch9wavefront6targetE1EEEvSK_
    .private_segment_fixed_size: 0
    .sgpr_count:     4
    .sgpr_spill_count: 0
    .symbol:         _ZN7rocprim17ROCPRIM_400000_NS6detail17trampoline_kernelINS0_14default_configENS1_38merge_sort_block_merge_config_selectorIfNS0_10empty_typeEEEZZNS1_27merge_sort_block_merge_implIS3_N6thrust23THRUST_200600_302600_NS6detail15normal_iteratorINS9_10device_ptrIfEEEEPS5_m14custom_greaterIfEEE10hipError_tT0_T1_T2_jT3_P12ihipStream_tbPNSt15iterator_traitsISJ_E10value_typeEPNSP_ISK_E10value_typeEPSL_NS1_7vsmem_tEENKUlT_SJ_SK_SL_E_clISE_PfSF_SF_EESI_SY_SJ_SK_SL_EUlSY_E0_NS1_11comp_targetILNS1_3genE0ELNS1_11target_archE4294967295ELNS1_3gpuE0ELNS1_3repE0EEENS1_38merge_mergepath_config_static_selectorELNS0_4arch9wavefront6targetE1EEEvSK_.kd
    .uniform_work_group_size: 1
    .uses_dynamic_stack: false
    .vgpr_count:     0
    .vgpr_spill_count: 0
    .wavefront_size: 64
  - .agpr_count:     0
    .args:
      - .offset:         0
        .size:           72
        .value_kind:     by_value
    .group_segment_fixed_size: 0
    .kernarg_segment_align: 8
    .kernarg_segment_size: 72
    .language:       OpenCL C
    .language_version:
      - 2
      - 0
    .max_flat_workgroup_size: 256
    .name:           _ZN7rocprim17ROCPRIM_400000_NS6detail17trampoline_kernelINS0_14default_configENS1_38merge_sort_block_merge_config_selectorIfNS0_10empty_typeEEEZZNS1_27merge_sort_block_merge_implIS3_N6thrust23THRUST_200600_302600_NS6detail15normal_iteratorINS9_10device_ptrIfEEEEPS5_m14custom_greaterIfEEE10hipError_tT0_T1_T2_jT3_P12ihipStream_tbPNSt15iterator_traitsISJ_E10value_typeEPNSP_ISK_E10value_typeEPSL_NS1_7vsmem_tEENKUlT_SJ_SK_SL_E_clISE_PfSF_SF_EESI_SY_SJ_SK_SL_EUlSY_E0_NS1_11comp_targetILNS1_3genE10ELNS1_11target_archE1201ELNS1_3gpuE5ELNS1_3repE0EEENS1_38merge_mergepath_config_static_selectorELNS0_4arch9wavefront6targetE1EEEvSK_
    .private_segment_fixed_size: 0
    .sgpr_count:     4
    .sgpr_spill_count: 0
    .symbol:         _ZN7rocprim17ROCPRIM_400000_NS6detail17trampoline_kernelINS0_14default_configENS1_38merge_sort_block_merge_config_selectorIfNS0_10empty_typeEEEZZNS1_27merge_sort_block_merge_implIS3_N6thrust23THRUST_200600_302600_NS6detail15normal_iteratorINS9_10device_ptrIfEEEEPS5_m14custom_greaterIfEEE10hipError_tT0_T1_T2_jT3_P12ihipStream_tbPNSt15iterator_traitsISJ_E10value_typeEPNSP_ISK_E10value_typeEPSL_NS1_7vsmem_tEENKUlT_SJ_SK_SL_E_clISE_PfSF_SF_EESI_SY_SJ_SK_SL_EUlSY_E0_NS1_11comp_targetILNS1_3genE10ELNS1_11target_archE1201ELNS1_3gpuE5ELNS1_3repE0EEENS1_38merge_mergepath_config_static_selectorELNS0_4arch9wavefront6targetE1EEEvSK_.kd
    .uniform_work_group_size: 1
    .uses_dynamic_stack: false
    .vgpr_count:     0
    .vgpr_spill_count: 0
    .wavefront_size: 64
  - .agpr_count:     0
    .args:
      - .offset:         0
        .size:           72
        .value_kind:     by_value
    .group_segment_fixed_size: 0
    .kernarg_segment_align: 8
    .kernarg_segment_size: 72
    .language:       OpenCL C
    .language_version:
      - 2
      - 0
    .max_flat_workgroup_size: 128
    .name:           _ZN7rocprim17ROCPRIM_400000_NS6detail17trampoline_kernelINS0_14default_configENS1_38merge_sort_block_merge_config_selectorIfNS0_10empty_typeEEEZZNS1_27merge_sort_block_merge_implIS3_N6thrust23THRUST_200600_302600_NS6detail15normal_iteratorINS9_10device_ptrIfEEEEPS5_m14custom_greaterIfEEE10hipError_tT0_T1_T2_jT3_P12ihipStream_tbPNSt15iterator_traitsISJ_E10value_typeEPNSP_ISK_E10value_typeEPSL_NS1_7vsmem_tEENKUlT_SJ_SK_SL_E_clISE_PfSF_SF_EESI_SY_SJ_SK_SL_EUlSY_E0_NS1_11comp_targetILNS1_3genE5ELNS1_11target_archE942ELNS1_3gpuE9ELNS1_3repE0EEENS1_38merge_mergepath_config_static_selectorELNS0_4arch9wavefront6targetE1EEEvSK_
    .private_segment_fixed_size: 0
    .sgpr_count:     4
    .sgpr_spill_count: 0
    .symbol:         _ZN7rocprim17ROCPRIM_400000_NS6detail17trampoline_kernelINS0_14default_configENS1_38merge_sort_block_merge_config_selectorIfNS0_10empty_typeEEEZZNS1_27merge_sort_block_merge_implIS3_N6thrust23THRUST_200600_302600_NS6detail15normal_iteratorINS9_10device_ptrIfEEEEPS5_m14custom_greaterIfEEE10hipError_tT0_T1_T2_jT3_P12ihipStream_tbPNSt15iterator_traitsISJ_E10value_typeEPNSP_ISK_E10value_typeEPSL_NS1_7vsmem_tEENKUlT_SJ_SK_SL_E_clISE_PfSF_SF_EESI_SY_SJ_SK_SL_EUlSY_E0_NS1_11comp_targetILNS1_3genE5ELNS1_11target_archE942ELNS1_3gpuE9ELNS1_3repE0EEENS1_38merge_mergepath_config_static_selectorELNS0_4arch9wavefront6targetE1EEEvSK_.kd
    .uniform_work_group_size: 1
    .uses_dynamic_stack: false
    .vgpr_count:     0
    .vgpr_spill_count: 0
    .wavefront_size: 64
  - .agpr_count:     0
    .args:
      - .offset:         0
        .size:           72
        .value_kind:     by_value
      - .offset:         72
        .size:           4
        .value_kind:     hidden_block_count_x
      - .offset:         76
        .size:           4
        .value_kind:     hidden_block_count_y
      - .offset:         80
        .size:           4
        .value_kind:     hidden_block_count_z
      - .offset:         84
        .size:           2
        .value_kind:     hidden_group_size_x
      - .offset:         86
        .size:           2
        .value_kind:     hidden_group_size_y
      - .offset:         88
        .size:           2
        .value_kind:     hidden_group_size_z
      - .offset:         90
        .size:           2
        .value_kind:     hidden_remainder_x
      - .offset:         92
        .size:           2
        .value_kind:     hidden_remainder_y
      - .offset:         94
        .size:           2
        .value_kind:     hidden_remainder_z
      - .offset:         112
        .size:           8
        .value_kind:     hidden_global_offset_x
      - .offset:         120
        .size:           8
        .value_kind:     hidden_global_offset_y
      - .offset:         128
        .size:           8
        .value_kind:     hidden_global_offset_z
      - .offset:         136
        .size:           2
        .value_kind:     hidden_grid_dims
    .group_segment_fixed_size: 4224
    .kernarg_segment_align: 8
    .kernarg_segment_size: 328
    .language:       OpenCL C
    .language_version:
      - 2
      - 0
    .max_flat_workgroup_size: 128
    .name:           _ZN7rocprim17ROCPRIM_400000_NS6detail17trampoline_kernelINS0_14default_configENS1_38merge_sort_block_merge_config_selectorIfNS0_10empty_typeEEEZZNS1_27merge_sort_block_merge_implIS3_N6thrust23THRUST_200600_302600_NS6detail15normal_iteratorINS9_10device_ptrIfEEEEPS5_m14custom_greaterIfEEE10hipError_tT0_T1_T2_jT3_P12ihipStream_tbPNSt15iterator_traitsISJ_E10value_typeEPNSP_ISK_E10value_typeEPSL_NS1_7vsmem_tEENKUlT_SJ_SK_SL_E_clISE_PfSF_SF_EESI_SY_SJ_SK_SL_EUlSY_E0_NS1_11comp_targetILNS1_3genE4ELNS1_11target_archE910ELNS1_3gpuE8ELNS1_3repE0EEENS1_38merge_mergepath_config_static_selectorELNS0_4arch9wavefront6targetE1EEEvSK_
    .private_segment_fixed_size: 0
    .sgpr_count:     35
    .sgpr_spill_count: 0
    .symbol:         _ZN7rocprim17ROCPRIM_400000_NS6detail17trampoline_kernelINS0_14default_configENS1_38merge_sort_block_merge_config_selectorIfNS0_10empty_typeEEEZZNS1_27merge_sort_block_merge_implIS3_N6thrust23THRUST_200600_302600_NS6detail15normal_iteratorINS9_10device_ptrIfEEEEPS5_m14custom_greaterIfEEE10hipError_tT0_T1_T2_jT3_P12ihipStream_tbPNSt15iterator_traitsISJ_E10value_typeEPNSP_ISK_E10value_typeEPSL_NS1_7vsmem_tEENKUlT_SJ_SK_SL_E_clISE_PfSF_SF_EESI_SY_SJ_SK_SL_EUlSY_E0_NS1_11comp_targetILNS1_3genE4ELNS1_11target_archE910ELNS1_3gpuE8ELNS1_3repE0EEENS1_38merge_mergepath_config_static_selectorELNS0_4arch9wavefront6targetE1EEEvSK_.kd
    .uniform_work_group_size: 1
    .uses_dynamic_stack: false
    .vgpr_count:     26
    .vgpr_spill_count: 0
    .wavefront_size: 64
  - .agpr_count:     0
    .args:
      - .offset:         0
        .size:           72
        .value_kind:     by_value
    .group_segment_fixed_size: 0
    .kernarg_segment_align: 8
    .kernarg_segment_size: 72
    .language:       OpenCL C
    .language_version:
      - 2
      - 0
    .max_flat_workgroup_size: 128
    .name:           _ZN7rocprim17ROCPRIM_400000_NS6detail17trampoline_kernelINS0_14default_configENS1_38merge_sort_block_merge_config_selectorIfNS0_10empty_typeEEEZZNS1_27merge_sort_block_merge_implIS3_N6thrust23THRUST_200600_302600_NS6detail15normal_iteratorINS9_10device_ptrIfEEEEPS5_m14custom_greaterIfEEE10hipError_tT0_T1_T2_jT3_P12ihipStream_tbPNSt15iterator_traitsISJ_E10value_typeEPNSP_ISK_E10value_typeEPSL_NS1_7vsmem_tEENKUlT_SJ_SK_SL_E_clISE_PfSF_SF_EESI_SY_SJ_SK_SL_EUlSY_E0_NS1_11comp_targetILNS1_3genE3ELNS1_11target_archE908ELNS1_3gpuE7ELNS1_3repE0EEENS1_38merge_mergepath_config_static_selectorELNS0_4arch9wavefront6targetE1EEEvSK_
    .private_segment_fixed_size: 0
    .sgpr_count:     4
    .sgpr_spill_count: 0
    .symbol:         _ZN7rocprim17ROCPRIM_400000_NS6detail17trampoline_kernelINS0_14default_configENS1_38merge_sort_block_merge_config_selectorIfNS0_10empty_typeEEEZZNS1_27merge_sort_block_merge_implIS3_N6thrust23THRUST_200600_302600_NS6detail15normal_iteratorINS9_10device_ptrIfEEEEPS5_m14custom_greaterIfEEE10hipError_tT0_T1_T2_jT3_P12ihipStream_tbPNSt15iterator_traitsISJ_E10value_typeEPNSP_ISK_E10value_typeEPSL_NS1_7vsmem_tEENKUlT_SJ_SK_SL_E_clISE_PfSF_SF_EESI_SY_SJ_SK_SL_EUlSY_E0_NS1_11comp_targetILNS1_3genE3ELNS1_11target_archE908ELNS1_3gpuE7ELNS1_3repE0EEENS1_38merge_mergepath_config_static_selectorELNS0_4arch9wavefront6targetE1EEEvSK_.kd
    .uniform_work_group_size: 1
    .uses_dynamic_stack: false
    .vgpr_count:     0
    .vgpr_spill_count: 0
    .wavefront_size: 64
  - .agpr_count:     0
    .args:
      - .offset:         0
        .size:           72
        .value_kind:     by_value
    .group_segment_fixed_size: 0
    .kernarg_segment_align: 8
    .kernarg_segment_size: 72
    .language:       OpenCL C
    .language_version:
      - 2
      - 0
    .max_flat_workgroup_size: 128
    .name:           _ZN7rocprim17ROCPRIM_400000_NS6detail17trampoline_kernelINS0_14default_configENS1_38merge_sort_block_merge_config_selectorIfNS0_10empty_typeEEEZZNS1_27merge_sort_block_merge_implIS3_N6thrust23THRUST_200600_302600_NS6detail15normal_iteratorINS9_10device_ptrIfEEEEPS5_m14custom_greaterIfEEE10hipError_tT0_T1_T2_jT3_P12ihipStream_tbPNSt15iterator_traitsISJ_E10value_typeEPNSP_ISK_E10value_typeEPSL_NS1_7vsmem_tEENKUlT_SJ_SK_SL_E_clISE_PfSF_SF_EESI_SY_SJ_SK_SL_EUlSY_E0_NS1_11comp_targetILNS1_3genE2ELNS1_11target_archE906ELNS1_3gpuE6ELNS1_3repE0EEENS1_38merge_mergepath_config_static_selectorELNS0_4arch9wavefront6targetE1EEEvSK_
    .private_segment_fixed_size: 0
    .sgpr_count:     4
    .sgpr_spill_count: 0
    .symbol:         _ZN7rocprim17ROCPRIM_400000_NS6detail17trampoline_kernelINS0_14default_configENS1_38merge_sort_block_merge_config_selectorIfNS0_10empty_typeEEEZZNS1_27merge_sort_block_merge_implIS3_N6thrust23THRUST_200600_302600_NS6detail15normal_iteratorINS9_10device_ptrIfEEEEPS5_m14custom_greaterIfEEE10hipError_tT0_T1_T2_jT3_P12ihipStream_tbPNSt15iterator_traitsISJ_E10value_typeEPNSP_ISK_E10value_typeEPSL_NS1_7vsmem_tEENKUlT_SJ_SK_SL_E_clISE_PfSF_SF_EESI_SY_SJ_SK_SL_EUlSY_E0_NS1_11comp_targetILNS1_3genE2ELNS1_11target_archE906ELNS1_3gpuE6ELNS1_3repE0EEENS1_38merge_mergepath_config_static_selectorELNS0_4arch9wavefront6targetE1EEEvSK_.kd
    .uniform_work_group_size: 1
    .uses_dynamic_stack: false
    .vgpr_count:     0
    .vgpr_spill_count: 0
    .wavefront_size: 64
  - .agpr_count:     0
    .args:
      - .offset:         0
        .size:           72
        .value_kind:     by_value
    .group_segment_fixed_size: 0
    .kernarg_segment_align: 8
    .kernarg_segment_size: 72
    .language:       OpenCL C
    .language_version:
      - 2
      - 0
    .max_flat_workgroup_size: 256
    .name:           _ZN7rocprim17ROCPRIM_400000_NS6detail17trampoline_kernelINS0_14default_configENS1_38merge_sort_block_merge_config_selectorIfNS0_10empty_typeEEEZZNS1_27merge_sort_block_merge_implIS3_N6thrust23THRUST_200600_302600_NS6detail15normal_iteratorINS9_10device_ptrIfEEEEPS5_m14custom_greaterIfEEE10hipError_tT0_T1_T2_jT3_P12ihipStream_tbPNSt15iterator_traitsISJ_E10value_typeEPNSP_ISK_E10value_typeEPSL_NS1_7vsmem_tEENKUlT_SJ_SK_SL_E_clISE_PfSF_SF_EESI_SY_SJ_SK_SL_EUlSY_E0_NS1_11comp_targetILNS1_3genE9ELNS1_11target_archE1100ELNS1_3gpuE3ELNS1_3repE0EEENS1_38merge_mergepath_config_static_selectorELNS0_4arch9wavefront6targetE1EEEvSK_
    .private_segment_fixed_size: 0
    .sgpr_count:     4
    .sgpr_spill_count: 0
    .symbol:         _ZN7rocprim17ROCPRIM_400000_NS6detail17trampoline_kernelINS0_14default_configENS1_38merge_sort_block_merge_config_selectorIfNS0_10empty_typeEEEZZNS1_27merge_sort_block_merge_implIS3_N6thrust23THRUST_200600_302600_NS6detail15normal_iteratorINS9_10device_ptrIfEEEEPS5_m14custom_greaterIfEEE10hipError_tT0_T1_T2_jT3_P12ihipStream_tbPNSt15iterator_traitsISJ_E10value_typeEPNSP_ISK_E10value_typeEPSL_NS1_7vsmem_tEENKUlT_SJ_SK_SL_E_clISE_PfSF_SF_EESI_SY_SJ_SK_SL_EUlSY_E0_NS1_11comp_targetILNS1_3genE9ELNS1_11target_archE1100ELNS1_3gpuE3ELNS1_3repE0EEENS1_38merge_mergepath_config_static_selectorELNS0_4arch9wavefront6targetE1EEEvSK_.kd
    .uniform_work_group_size: 1
    .uses_dynamic_stack: false
    .vgpr_count:     0
    .vgpr_spill_count: 0
    .wavefront_size: 64
  - .agpr_count:     0
    .args:
      - .offset:         0
        .size:           72
        .value_kind:     by_value
    .group_segment_fixed_size: 0
    .kernarg_segment_align: 8
    .kernarg_segment_size: 72
    .language:       OpenCL C
    .language_version:
      - 2
      - 0
    .max_flat_workgroup_size: 512
    .name:           _ZN7rocprim17ROCPRIM_400000_NS6detail17trampoline_kernelINS0_14default_configENS1_38merge_sort_block_merge_config_selectorIfNS0_10empty_typeEEEZZNS1_27merge_sort_block_merge_implIS3_N6thrust23THRUST_200600_302600_NS6detail15normal_iteratorINS9_10device_ptrIfEEEEPS5_m14custom_greaterIfEEE10hipError_tT0_T1_T2_jT3_P12ihipStream_tbPNSt15iterator_traitsISJ_E10value_typeEPNSP_ISK_E10value_typeEPSL_NS1_7vsmem_tEENKUlT_SJ_SK_SL_E_clISE_PfSF_SF_EESI_SY_SJ_SK_SL_EUlSY_E0_NS1_11comp_targetILNS1_3genE8ELNS1_11target_archE1030ELNS1_3gpuE2ELNS1_3repE0EEENS1_38merge_mergepath_config_static_selectorELNS0_4arch9wavefront6targetE1EEEvSK_
    .private_segment_fixed_size: 0
    .sgpr_count:     4
    .sgpr_spill_count: 0
    .symbol:         _ZN7rocprim17ROCPRIM_400000_NS6detail17trampoline_kernelINS0_14default_configENS1_38merge_sort_block_merge_config_selectorIfNS0_10empty_typeEEEZZNS1_27merge_sort_block_merge_implIS3_N6thrust23THRUST_200600_302600_NS6detail15normal_iteratorINS9_10device_ptrIfEEEEPS5_m14custom_greaterIfEEE10hipError_tT0_T1_T2_jT3_P12ihipStream_tbPNSt15iterator_traitsISJ_E10value_typeEPNSP_ISK_E10value_typeEPSL_NS1_7vsmem_tEENKUlT_SJ_SK_SL_E_clISE_PfSF_SF_EESI_SY_SJ_SK_SL_EUlSY_E0_NS1_11comp_targetILNS1_3genE8ELNS1_11target_archE1030ELNS1_3gpuE2ELNS1_3repE0EEENS1_38merge_mergepath_config_static_selectorELNS0_4arch9wavefront6targetE1EEEvSK_.kd
    .uniform_work_group_size: 1
    .uses_dynamic_stack: false
    .vgpr_count:     0
    .vgpr_spill_count: 0
    .wavefront_size: 64
  - .agpr_count:     0
    .args:
      - .offset:         0
        .size:           56
        .value_kind:     by_value
    .group_segment_fixed_size: 0
    .kernarg_segment_align: 8
    .kernarg_segment_size: 56
    .language:       OpenCL C
    .language_version:
      - 2
      - 0
    .max_flat_workgroup_size: 256
    .name:           _ZN7rocprim17ROCPRIM_400000_NS6detail17trampoline_kernelINS0_14default_configENS1_38merge_sort_block_merge_config_selectorIfNS0_10empty_typeEEEZZNS1_27merge_sort_block_merge_implIS3_N6thrust23THRUST_200600_302600_NS6detail15normal_iteratorINS9_10device_ptrIfEEEEPS5_m14custom_greaterIfEEE10hipError_tT0_T1_T2_jT3_P12ihipStream_tbPNSt15iterator_traitsISJ_E10value_typeEPNSP_ISK_E10value_typeEPSL_NS1_7vsmem_tEENKUlT_SJ_SK_SL_E_clISE_PfSF_SF_EESI_SY_SJ_SK_SL_EUlSY_E1_NS1_11comp_targetILNS1_3genE0ELNS1_11target_archE4294967295ELNS1_3gpuE0ELNS1_3repE0EEENS1_36merge_oddeven_config_static_selectorELNS0_4arch9wavefront6targetE1EEEvSK_
    .private_segment_fixed_size: 0
    .sgpr_count:     4
    .sgpr_spill_count: 0
    .symbol:         _ZN7rocprim17ROCPRIM_400000_NS6detail17trampoline_kernelINS0_14default_configENS1_38merge_sort_block_merge_config_selectorIfNS0_10empty_typeEEEZZNS1_27merge_sort_block_merge_implIS3_N6thrust23THRUST_200600_302600_NS6detail15normal_iteratorINS9_10device_ptrIfEEEEPS5_m14custom_greaterIfEEE10hipError_tT0_T1_T2_jT3_P12ihipStream_tbPNSt15iterator_traitsISJ_E10value_typeEPNSP_ISK_E10value_typeEPSL_NS1_7vsmem_tEENKUlT_SJ_SK_SL_E_clISE_PfSF_SF_EESI_SY_SJ_SK_SL_EUlSY_E1_NS1_11comp_targetILNS1_3genE0ELNS1_11target_archE4294967295ELNS1_3gpuE0ELNS1_3repE0EEENS1_36merge_oddeven_config_static_selectorELNS0_4arch9wavefront6targetE1EEEvSK_.kd
    .uniform_work_group_size: 1
    .uses_dynamic_stack: false
    .vgpr_count:     0
    .vgpr_spill_count: 0
    .wavefront_size: 64
  - .agpr_count:     0
    .args:
      - .offset:         0
        .size:           56
        .value_kind:     by_value
    .group_segment_fixed_size: 0
    .kernarg_segment_align: 8
    .kernarg_segment_size: 56
    .language:       OpenCL C
    .language_version:
      - 2
      - 0
    .max_flat_workgroup_size: 256
    .name:           _ZN7rocprim17ROCPRIM_400000_NS6detail17trampoline_kernelINS0_14default_configENS1_38merge_sort_block_merge_config_selectorIfNS0_10empty_typeEEEZZNS1_27merge_sort_block_merge_implIS3_N6thrust23THRUST_200600_302600_NS6detail15normal_iteratorINS9_10device_ptrIfEEEEPS5_m14custom_greaterIfEEE10hipError_tT0_T1_T2_jT3_P12ihipStream_tbPNSt15iterator_traitsISJ_E10value_typeEPNSP_ISK_E10value_typeEPSL_NS1_7vsmem_tEENKUlT_SJ_SK_SL_E_clISE_PfSF_SF_EESI_SY_SJ_SK_SL_EUlSY_E1_NS1_11comp_targetILNS1_3genE10ELNS1_11target_archE1201ELNS1_3gpuE5ELNS1_3repE0EEENS1_36merge_oddeven_config_static_selectorELNS0_4arch9wavefront6targetE1EEEvSK_
    .private_segment_fixed_size: 0
    .sgpr_count:     4
    .sgpr_spill_count: 0
    .symbol:         _ZN7rocprim17ROCPRIM_400000_NS6detail17trampoline_kernelINS0_14default_configENS1_38merge_sort_block_merge_config_selectorIfNS0_10empty_typeEEEZZNS1_27merge_sort_block_merge_implIS3_N6thrust23THRUST_200600_302600_NS6detail15normal_iteratorINS9_10device_ptrIfEEEEPS5_m14custom_greaterIfEEE10hipError_tT0_T1_T2_jT3_P12ihipStream_tbPNSt15iterator_traitsISJ_E10value_typeEPNSP_ISK_E10value_typeEPSL_NS1_7vsmem_tEENKUlT_SJ_SK_SL_E_clISE_PfSF_SF_EESI_SY_SJ_SK_SL_EUlSY_E1_NS1_11comp_targetILNS1_3genE10ELNS1_11target_archE1201ELNS1_3gpuE5ELNS1_3repE0EEENS1_36merge_oddeven_config_static_selectorELNS0_4arch9wavefront6targetE1EEEvSK_.kd
    .uniform_work_group_size: 1
    .uses_dynamic_stack: false
    .vgpr_count:     0
    .vgpr_spill_count: 0
    .wavefront_size: 64
  - .agpr_count:     0
    .args:
      - .offset:         0
        .size:           56
        .value_kind:     by_value
    .group_segment_fixed_size: 0
    .kernarg_segment_align: 8
    .kernarg_segment_size: 56
    .language:       OpenCL C
    .language_version:
      - 2
      - 0
    .max_flat_workgroup_size: 256
    .name:           _ZN7rocprim17ROCPRIM_400000_NS6detail17trampoline_kernelINS0_14default_configENS1_38merge_sort_block_merge_config_selectorIfNS0_10empty_typeEEEZZNS1_27merge_sort_block_merge_implIS3_N6thrust23THRUST_200600_302600_NS6detail15normal_iteratorINS9_10device_ptrIfEEEEPS5_m14custom_greaterIfEEE10hipError_tT0_T1_T2_jT3_P12ihipStream_tbPNSt15iterator_traitsISJ_E10value_typeEPNSP_ISK_E10value_typeEPSL_NS1_7vsmem_tEENKUlT_SJ_SK_SL_E_clISE_PfSF_SF_EESI_SY_SJ_SK_SL_EUlSY_E1_NS1_11comp_targetILNS1_3genE5ELNS1_11target_archE942ELNS1_3gpuE9ELNS1_3repE0EEENS1_36merge_oddeven_config_static_selectorELNS0_4arch9wavefront6targetE1EEEvSK_
    .private_segment_fixed_size: 0
    .sgpr_count:     4
    .sgpr_spill_count: 0
    .symbol:         _ZN7rocprim17ROCPRIM_400000_NS6detail17trampoline_kernelINS0_14default_configENS1_38merge_sort_block_merge_config_selectorIfNS0_10empty_typeEEEZZNS1_27merge_sort_block_merge_implIS3_N6thrust23THRUST_200600_302600_NS6detail15normal_iteratorINS9_10device_ptrIfEEEEPS5_m14custom_greaterIfEEE10hipError_tT0_T1_T2_jT3_P12ihipStream_tbPNSt15iterator_traitsISJ_E10value_typeEPNSP_ISK_E10value_typeEPSL_NS1_7vsmem_tEENKUlT_SJ_SK_SL_E_clISE_PfSF_SF_EESI_SY_SJ_SK_SL_EUlSY_E1_NS1_11comp_targetILNS1_3genE5ELNS1_11target_archE942ELNS1_3gpuE9ELNS1_3repE0EEENS1_36merge_oddeven_config_static_selectorELNS0_4arch9wavefront6targetE1EEEvSK_.kd
    .uniform_work_group_size: 1
    .uses_dynamic_stack: false
    .vgpr_count:     0
    .vgpr_spill_count: 0
    .wavefront_size: 64
  - .agpr_count:     0
    .args:
      - .offset:         0
        .size:           56
        .value_kind:     by_value
    .group_segment_fixed_size: 0
    .kernarg_segment_align: 8
    .kernarg_segment_size: 56
    .language:       OpenCL C
    .language_version:
      - 2
      - 0
    .max_flat_workgroup_size: 256
    .name:           _ZN7rocprim17ROCPRIM_400000_NS6detail17trampoline_kernelINS0_14default_configENS1_38merge_sort_block_merge_config_selectorIfNS0_10empty_typeEEEZZNS1_27merge_sort_block_merge_implIS3_N6thrust23THRUST_200600_302600_NS6detail15normal_iteratorINS9_10device_ptrIfEEEEPS5_m14custom_greaterIfEEE10hipError_tT0_T1_T2_jT3_P12ihipStream_tbPNSt15iterator_traitsISJ_E10value_typeEPNSP_ISK_E10value_typeEPSL_NS1_7vsmem_tEENKUlT_SJ_SK_SL_E_clISE_PfSF_SF_EESI_SY_SJ_SK_SL_EUlSY_E1_NS1_11comp_targetILNS1_3genE4ELNS1_11target_archE910ELNS1_3gpuE8ELNS1_3repE0EEENS1_36merge_oddeven_config_static_selectorELNS0_4arch9wavefront6targetE1EEEvSK_
    .private_segment_fixed_size: 0
    .sgpr_count:     25
    .sgpr_spill_count: 0
    .symbol:         _ZN7rocprim17ROCPRIM_400000_NS6detail17trampoline_kernelINS0_14default_configENS1_38merge_sort_block_merge_config_selectorIfNS0_10empty_typeEEEZZNS1_27merge_sort_block_merge_implIS3_N6thrust23THRUST_200600_302600_NS6detail15normal_iteratorINS9_10device_ptrIfEEEEPS5_m14custom_greaterIfEEE10hipError_tT0_T1_T2_jT3_P12ihipStream_tbPNSt15iterator_traitsISJ_E10value_typeEPNSP_ISK_E10value_typeEPSL_NS1_7vsmem_tEENKUlT_SJ_SK_SL_E_clISE_PfSF_SF_EESI_SY_SJ_SK_SL_EUlSY_E1_NS1_11comp_targetILNS1_3genE4ELNS1_11target_archE910ELNS1_3gpuE8ELNS1_3repE0EEENS1_36merge_oddeven_config_static_selectorELNS0_4arch9wavefront6targetE1EEEvSK_.kd
    .uniform_work_group_size: 1
    .uses_dynamic_stack: false
    .vgpr_count:     10
    .vgpr_spill_count: 0
    .wavefront_size: 64
  - .agpr_count:     0
    .args:
      - .offset:         0
        .size:           56
        .value_kind:     by_value
    .group_segment_fixed_size: 0
    .kernarg_segment_align: 8
    .kernarg_segment_size: 56
    .language:       OpenCL C
    .language_version:
      - 2
      - 0
    .max_flat_workgroup_size: 256
    .name:           _ZN7rocprim17ROCPRIM_400000_NS6detail17trampoline_kernelINS0_14default_configENS1_38merge_sort_block_merge_config_selectorIfNS0_10empty_typeEEEZZNS1_27merge_sort_block_merge_implIS3_N6thrust23THRUST_200600_302600_NS6detail15normal_iteratorINS9_10device_ptrIfEEEEPS5_m14custom_greaterIfEEE10hipError_tT0_T1_T2_jT3_P12ihipStream_tbPNSt15iterator_traitsISJ_E10value_typeEPNSP_ISK_E10value_typeEPSL_NS1_7vsmem_tEENKUlT_SJ_SK_SL_E_clISE_PfSF_SF_EESI_SY_SJ_SK_SL_EUlSY_E1_NS1_11comp_targetILNS1_3genE3ELNS1_11target_archE908ELNS1_3gpuE7ELNS1_3repE0EEENS1_36merge_oddeven_config_static_selectorELNS0_4arch9wavefront6targetE1EEEvSK_
    .private_segment_fixed_size: 0
    .sgpr_count:     4
    .sgpr_spill_count: 0
    .symbol:         _ZN7rocprim17ROCPRIM_400000_NS6detail17trampoline_kernelINS0_14default_configENS1_38merge_sort_block_merge_config_selectorIfNS0_10empty_typeEEEZZNS1_27merge_sort_block_merge_implIS3_N6thrust23THRUST_200600_302600_NS6detail15normal_iteratorINS9_10device_ptrIfEEEEPS5_m14custom_greaterIfEEE10hipError_tT0_T1_T2_jT3_P12ihipStream_tbPNSt15iterator_traitsISJ_E10value_typeEPNSP_ISK_E10value_typeEPSL_NS1_7vsmem_tEENKUlT_SJ_SK_SL_E_clISE_PfSF_SF_EESI_SY_SJ_SK_SL_EUlSY_E1_NS1_11comp_targetILNS1_3genE3ELNS1_11target_archE908ELNS1_3gpuE7ELNS1_3repE0EEENS1_36merge_oddeven_config_static_selectorELNS0_4arch9wavefront6targetE1EEEvSK_.kd
    .uniform_work_group_size: 1
    .uses_dynamic_stack: false
    .vgpr_count:     0
    .vgpr_spill_count: 0
    .wavefront_size: 64
  - .agpr_count:     0
    .args:
      - .offset:         0
        .size:           56
        .value_kind:     by_value
    .group_segment_fixed_size: 0
    .kernarg_segment_align: 8
    .kernarg_segment_size: 56
    .language:       OpenCL C
    .language_version:
      - 2
      - 0
    .max_flat_workgroup_size: 256
    .name:           _ZN7rocprim17ROCPRIM_400000_NS6detail17trampoline_kernelINS0_14default_configENS1_38merge_sort_block_merge_config_selectorIfNS0_10empty_typeEEEZZNS1_27merge_sort_block_merge_implIS3_N6thrust23THRUST_200600_302600_NS6detail15normal_iteratorINS9_10device_ptrIfEEEEPS5_m14custom_greaterIfEEE10hipError_tT0_T1_T2_jT3_P12ihipStream_tbPNSt15iterator_traitsISJ_E10value_typeEPNSP_ISK_E10value_typeEPSL_NS1_7vsmem_tEENKUlT_SJ_SK_SL_E_clISE_PfSF_SF_EESI_SY_SJ_SK_SL_EUlSY_E1_NS1_11comp_targetILNS1_3genE2ELNS1_11target_archE906ELNS1_3gpuE6ELNS1_3repE0EEENS1_36merge_oddeven_config_static_selectorELNS0_4arch9wavefront6targetE1EEEvSK_
    .private_segment_fixed_size: 0
    .sgpr_count:     4
    .sgpr_spill_count: 0
    .symbol:         _ZN7rocprim17ROCPRIM_400000_NS6detail17trampoline_kernelINS0_14default_configENS1_38merge_sort_block_merge_config_selectorIfNS0_10empty_typeEEEZZNS1_27merge_sort_block_merge_implIS3_N6thrust23THRUST_200600_302600_NS6detail15normal_iteratorINS9_10device_ptrIfEEEEPS5_m14custom_greaterIfEEE10hipError_tT0_T1_T2_jT3_P12ihipStream_tbPNSt15iterator_traitsISJ_E10value_typeEPNSP_ISK_E10value_typeEPSL_NS1_7vsmem_tEENKUlT_SJ_SK_SL_E_clISE_PfSF_SF_EESI_SY_SJ_SK_SL_EUlSY_E1_NS1_11comp_targetILNS1_3genE2ELNS1_11target_archE906ELNS1_3gpuE6ELNS1_3repE0EEENS1_36merge_oddeven_config_static_selectorELNS0_4arch9wavefront6targetE1EEEvSK_.kd
    .uniform_work_group_size: 1
    .uses_dynamic_stack: false
    .vgpr_count:     0
    .vgpr_spill_count: 0
    .wavefront_size: 64
  - .agpr_count:     0
    .args:
      - .offset:         0
        .size:           56
        .value_kind:     by_value
    .group_segment_fixed_size: 0
    .kernarg_segment_align: 8
    .kernarg_segment_size: 56
    .language:       OpenCL C
    .language_version:
      - 2
      - 0
    .max_flat_workgroup_size: 256
    .name:           _ZN7rocprim17ROCPRIM_400000_NS6detail17trampoline_kernelINS0_14default_configENS1_38merge_sort_block_merge_config_selectorIfNS0_10empty_typeEEEZZNS1_27merge_sort_block_merge_implIS3_N6thrust23THRUST_200600_302600_NS6detail15normal_iteratorINS9_10device_ptrIfEEEEPS5_m14custom_greaterIfEEE10hipError_tT0_T1_T2_jT3_P12ihipStream_tbPNSt15iterator_traitsISJ_E10value_typeEPNSP_ISK_E10value_typeEPSL_NS1_7vsmem_tEENKUlT_SJ_SK_SL_E_clISE_PfSF_SF_EESI_SY_SJ_SK_SL_EUlSY_E1_NS1_11comp_targetILNS1_3genE9ELNS1_11target_archE1100ELNS1_3gpuE3ELNS1_3repE0EEENS1_36merge_oddeven_config_static_selectorELNS0_4arch9wavefront6targetE1EEEvSK_
    .private_segment_fixed_size: 0
    .sgpr_count:     4
    .sgpr_spill_count: 0
    .symbol:         _ZN7rocprim17ROCPRIM_400000_NS6detail17trampoline_kernelINS0_14default_configENS1_38merge_sort_block_merge_config_selectorIfNS0_10empty_typeEEEZZNS1_27merge_sort_block_merge_implIS3_N6thrust23THRUST_200600_302600_NS6detail15normal_iteratorINS9_10device_ptrIfEEEEPS5_m14custom_greaterIfEEE10hipError_tT0_T1_T2_jT3_P12ihipStream_tbPNSt15iterator_traitsISJ_E10value_typeEPNSP_ISK_E10value_typeEPSL_NS1_7vsmem_tEENKUlT_SJ_SK_SL_E_clISE_PfSF_SF_EESI_SY_SJ_SK_SL_EUlSY_E1_NS1_11comp_targetILNS1_3genE9ELNS1_11target_archE1100ELNS1_3gpuE3ELNS1_3repE0EEENS1_36merge_oddeven_config_static_selectorELNS0_4arch9wavefront6targetE1EEEvSK_.kd
    .uniform_work_group_size: 1
    .uses_dynamic_stack: false
    .vgpr_count:     0
    .vgpr_spill_count: 0
    .wavefront_size: 64
  - .agpr_count:     0
    .args:
      - .offset:         0
        .size:           56
        .value_kind:     by_value
    .group_segment_fixed_size: 0
    .kernarg_segment_align: 8
    .kernarg_segment_size: 56
    .language:       OpenCL C
    .language_version:
      - 2
      - 0
    .max_flat_workgroup_size: 256
    .name:           _ZN7rocprim17ROCPRIM_400000_NS6detail17trampoline_kernelINS0_14default_configENS1_38merge_sort_block_merge_config_selectorIfNS0_10empty_typeEEEZZNS1_27merge_sort_block_merge_implIS3_N6thrust23THRUST_200600_302600_NS6detail15normal_iteratorINS9_10device_ptrIfEEEEPS5_m14custom_greaterIfEEE10hipError_tT0_T1_T2_jT3_P12ihipStream_tbPNSt15iterator_traitsISJ_E10value_typeEPNSP_ISK_E10value_typeEPSL_NS1_7vsmem_tEENKUlT_SJ_SK_SL_E_clISE_PfSF_SF_EESI_SY_SJ_SK_SL_EUlSY_E1_NS1_11comp_targetILNS1_3genE8ELNS1_11target_archE1030ELNS1_3gpuE2ELNS1_3repE0EEENS1_36merge_oddeven_config_static_selectorELNS0_4arch9wavefront6targetE1EEEvSK_
    .private_segment_fixed_size: 0
    .sgpr_count:     4
    .sgpr_spill_count: 0
    .symbol:         _ZN7rocprim17ROCPRIM_400000_NS6detail17trampoline_kernelINS0_14default_configENS1_38merge_sort_block_merge_config_selectorIfNS0_10empty_typeEEEZZNS1_27merge_sort_block_merge_implIS3_N6thrust23THRUST_200600_302600_NS6detail15normal_iteratorINS9_10device_ptrIfEEEEPS5_m14custom_greaterIfEEE10hipError_tT0_T1_T2_jT3_P12ihipStream_tbPNSt15iterator_traitsISJ_E10value_typeEPNSP_ISK_E10value_typeEPSL_NS1_7vsmem_tEENKUlT_SJ_SK_SL_E_clISE_PfSF_SF_EESI_SY_SJ_SK_SL_EUlSY_E1_NS1_11comp_targetILNS1_3genE8ELNS1_11target_archE1030ELNS1_3gpuE2ELNS1_3repE0EEENS1_36merge_oddeven_config_static_selectorELNS0_4arch9wavefront6targetE1EEEvSK_.kd
    .uniform_work_group_size: 1
    .uses_dynamic_stack: false
    .vgpr_count:     0
    .vgpr_spill_count: 0
    .wavefront_size: 64
  - .agpr_count:     0
    .args:
      - .offset:         0
        .size:           40
        .value_kind:     by_value
    .group_segment_fixed_size: 0
    .kernarg_segment_align: 8
    .kernarg_segment_size: 40
    .language:       OpenCL C
    .language_version:
      - 2
      - 0
    .max_flat_workgroup_size: 128
    .name:           _ZN7rocprim17ROCPRIM_400000_NS6detail17trampoline_kernelINS0_14default_configENS1_25transform_config_selectorIfLb0EEEZNS1_14transform_implILb0ES3_S5_PfN6thrust23THRUST_200600_302600_NS6detail15normal_iteratorINS9_10device_ptrIfEEEENS0_8identityIfEEEE10hipError_tT2_T3_mT4_P12ihipStream_tbEUlT_E_NS1_11comp_targetILNS1_3genE0ELNS1_11target_archE4294967295ELNS1_3gpuE0ELNS1_3repE0EEENS1_30default_config_static_selectorELNS0_4arch9wavefront6targetE1EEEvT1_
    .private_segment_fixed_size: 0
    .sgpr_count:     4
    .sgpr_spill_count: 0
    .symbol:         _ZN7rocprim17ROCPRIM_400000_NS6detail17trampoline_kernelINS0_14default_configENS1_25transform_config_selectorIfLb0EEEZNS1_14transform_implILb0ES3_S5_PfN6thrust23THRUST_200600_302600_NS6detail15normal_iteratorINS9_10device_ptrIfEEEENS0_8identityIfEEEE10hipError_tT2_T3_mT4_P12ihipStream_tbEUlT_E_NS1_11comp_targetILNS1_3genE0ELNS1_11target_archE4294967295ELNS1_3gpuE0ELNS1_3repE0EEENS1_30default_config_static_selectorELNS0_4arch9wavefront6targetE1EEEvT1_.kd
    .uniform_work_group_size: 1
    .uses_dynamic_stack: false
    .vgpr_count:     0
    .vgpr_spill_count: 0
    .wavefront_size: 64
  - .agpr_count:     0
    .args:
      - .offset:         0
        .size:           40
        .value_kind:     by_value
    .group_segment_fixed_size: 0
    .kernarg_segment_align: 8
    .kernarg_segment_size: 40
    .language:       OpenCL C
    .language_version:
      - 2
      - 0
    .max_flat_workgroup_size: 256
    .name:           _ZN7rocprim17ROCPRIM_400000_NS6detail17trampoline_kernelINS0_14default_configENS1_25transform_config_selectorIfLb0EEEZNS1_14transform_implILb0ES3_S5_PfN6thrust23THRUST_200600_302600_NS6detail15normal_iteratorINS9_10device_ptrIfEEEENS0_8identityIfEEEE10hipError_tT2_T3_mT4_P12ihipStream_tbEUlT_E_NS1_11comp_targetILNS1_3genE5ELNS1_11target_archE942ELNS1_3gpuE9ELNS1_3repE0EEENS1_30default_config_static_selectorELNS0_4arch9wavefront6targetE1EEEvT1_
    .private_segment_fixed_size: 0
    .sgpr_count:     4
    .sgpr_spill_count: 0
    .symbol:         _ZN7rocprim17ROCPRIM_400000_NS6detail17trampoline_kernelINS0_14default_configENS1_25transform_config_selectorIfLb0EEEZNS1_14transform_implILb0ES3_S5_PfN6thrust23THRUST_200600_302600_NS6detail15normal_iteratorINS9_10device_ptrIfEEEENS0_8identityIfEEEE10hipError_tT2_T3_mT4_P12ihipStream_tbEUlT_E_NS1_11comp_targetILNS1_3genE5ELNS1_11target_archE942ELNS1_3gpuE9ELNS1_3repE0EEENS1_30default_config_static_selectorELNS0_4arch9wavefront6targetE1EEEvT1_.kd
    .uniform_work_group_size: 1
    .uses_dynamic_stack: false
    .vgpr_count:     0
    .vgpr_spill_count: 0
    .wavefront_size: 64
  - .agpr_count:     0
    .args:
      - .offset:         0
        .size:           40
        .value_kind:     by_value
      - .offset:         40
        .size:           4
        .value_kind:     hidden_block_count_x
      - .offset:         44
        .size:           4
        .value_kind:     hidden_block_count_y
      - .offset:         48
        .size:           4
        .value_kind:     hidden_block_count_z
      - .offset:         52
        .size:           2
        .value_kind:     hidden_group_size_x
      - .offset:         54
        .size:           2
        .value_kind:     hidden_group_size_y
      - .offset:         56
        .size:           2
        .value_kind:     hidden_group_size_z
      - .offset:         58
        .size:           2
        .value_kind:     hidden_remainder_x
      - .offset:         60
        .size:           2
        .value_kind:     hidden_remainder_y
      - .offset:         62
        .size:           2
        .value_kind:     hidden_remainder_z
      - .offset:         80
        .size:           8
        .value_kind:     hidden_global_offset_x
      - .offset:         88
        .size:           8
        .value_kind:     hidden_global_offset_y
      - .offset:         96
        .size:           8
        .value_kind:     hidden_global_offset_z
      - .offset:         104
        .size:           2
        .value_kind:     hidden_grid_dims
    .group_segment_fixed_size: 0
    .kernarg_segment_align: 8
    .kernarg_segment_size: 296
    .language:       OpenCL C
    .language_version:
      - 2
      - 0
    .max_flat_workgroup_size: 1024
    .name:           _ZN7rocprim17ROCPRIM_400000_NS6detail17trampoline_kernelINS0_14default_configENS1_25transform_config_selectorIfLb0EEEZNS1_14transform_implILb0ES3_S5_PfN6thrust23THRUST_200600_302600_NS6detail15normal_iteratorINS9_10device_ptrIfEEEENS0_8identityIfEEEE10hipError_tT2_T3_mT4_P12ihipStream_tbEUlT_E_NS1_11comp_targetILNS1_3genE4ELNS1_11target_archE910ELNS1_3gpuE8ELNS1_3repE0EEENS1_30default_config_static_selectorELNS0_4arch9wavefront6targetE1EEEvT1_
    .private_segment_fixed_size: 0
    .sgpr_count:     20
    .sgpr_spill_count: 0
    .symbol:         _ZN7rocprim17ROCPRIM_400000_NS6detail17trampoline_kernelINS0_14default_configENS1_25transform_config_selectorIfLb0EEEZNS1_14transform_implILb0ES3_S5_PfN6thrust23THRUST_200600_302600_NS6detail15normal_iteratorINS9_10device_ptrIfEEEENS0_8identityIfEEEE10hipError_tT2_T3_mT4_P12ihipStream_tbEUlT_E_NS1_11comp_targetILNS1_3genE4ELNS1_11target_archE910ELNS1_3gpuE8ELNS1_3repE0EEENS1_30default_config_static_selectorELNS0_4arch9wavefront6targetE1EEEvT1_.kd
    .uniform_work_group_size: 1
    .uses_dynamic_stack: false
    .vgpr_count:     7
    .vgpr_spill_count: 0
    .wavefront_size: 64
  - .agpr_count:     0
    .args:
      - .offset:         0
        .size:           40
        .value_kind:     by_value
    .group_segment_fixed_size: 0
    .kernarg_segment_align: 8
    .kernarg_segment_size: 40
    .language:       OpenCL C
    .language_version:
      - 2
      - 0
    .max_flat_workgroup_size: 128
    .name:           _ZN7rocprim17ROCPRIM_400000_NS6detail17trampoline_kernelINS0_14default_configENS1_25transform_config_selectorIfLb0EEEZNS1_14transform_implILb0ES3_S5_PfN6thrust23THRUST_200600_302600_NS6detail15normal_iteratorINS9_10device_ptrIfEEEENS0_8identityIfEEEE10hipError_tT2_T3_mT4_P12ihipStream_tbEUlT_E_NS1_11comp_targetILNS1_3genE3ELNS1_11target_archE908ELNS1_3gpuE7ELNS1_3repE0EEENS1_30default_config_static_selectorELNS0_4arch9wavefront6targetE1EEEvT1_
    .private_segment_fixed_size: 0
    .sgpr_count:     4
    .sgpr_spill_count: 0
    .symbol:         _ZN7rocprim17ROCPRIM_400000_NS6detail17trampoline_kernelINS0_14default_configENS1_25transform_config_selectorIfLb0EEEZNS1_14transform_implILb0ES3_S5_PfN6thrust23THRUST_200600_302600_NS6detail15normal_iteratorINS9_10device_ptrIfEEEENS0_8identityIfEEEE10hipError_tT2_T3_mT4_P12ihipStream_tbEUlT_E_NS1_11comp_targetILNS1_3genE3ELNS1_11target_archE908ELNS1_3gpuE7ELNS1_3repE0EEENS1_30default_config_static_selectorELNS0_4arch9wavefront6targetE1EEEvT1_.kd
    .uniform_work_group_size: 1
    .uses_dynamic_stack: false
    .vgpr_count:     0
    .vgpr_spill_count: 0
    .wavefront_size: 64
  - .agpr_count:     0
    .args:
      - .offset:         0
        .size:           40
        .value_kind:     by_value
    .group_segment_fixed_size: 0
    .kernarg_segment_align: 8
    .kernarg_segment_size: 40
    .language:       OpenCL C
    .language_version:
      - 2
      - 0
    .max_flat_workgroup_size: 1024
    .name:           _ZN7rocprim17ROCPRIM_400000_NS6detail17trampoline_kernelINS0_14default_configENS1_25transform_config_selectorIfLb0EEEZNS1_14transform_implILb0ES3_S5_PfN6thrust23THRUST_200600_302600_NS6detail15normal_iteratorINS9_10device_ptrIfEEEENS0_8identityIfEEEE10hipError_tT2_T3_mT4_P12ihipStream_tbEUlT_E_NS1_11comp_targetILNS1_3genE2ELNS1_11target_archE906ELNS1_3gpuE6ELNS1_3repE0EEENS1_30default_config_static_selectorELNS0_4arch9wavefront6targetE1EEEvT1_
    .private_segment_fixed_size: 0
    .sgpr_count:     4
    .sgpr_spill_count: 0
    .symbol:         _ZN7rocprim17ROCPRIM_400000_NS6detail17trampoline_kernelINS0_14default_configENS1_25transform_config_selectorIfLb0EEEZNS1_14transform_implILb0ES3_S5_PfN6thrust23THRUST_200600_302600_NS6detail15normal_iteratorINS9_10device_ptrIfEEEENS0_8identityIfEEEE10hipError_tT2_T3_mT4_P12ihipStream_tbEUlT_E_NS1_11comp_targetILNS1_3genE2ELNS1_11target_archE906ELNS1_3gpuE6ELNS1_3repE0EEENS1_30default_config_static_selectorELNS0_4arch9wavefront6targetE1EEEvT1_.kd
    .uniform_work_group_size: 1
    .uses_dynamic_stack: false
    .vgpr_count:     0
    .vgpr_spill_count: 0
    .wavefront_size: 64
  - .agpr_count:     0
    .args:
      - .offset:         0
        .size:           40
        .value_kind:     by_value
    .group_segment_fixed_size: 0
    .kernarg_segment_align: 8
    .kernarg_segment_size: 40
    .language:       OpenCL C
    .language_version:
      - 2
      - 0
    .max_flat_workgroup_size: 512
    .name:           _ZN7rocprim17ROCPRIM_400000_NS6detail17trampoline_kernelINS0_14default_configENS1_25transform_config_selectorIfLb0EEEZNS1_14transform_implILb0ES3_S5_PfN6thrust23THRUST_200600_302600_NS6detail15normal_iteratorINS9_10device_ptrIfEEEENS0_8identityIfEEEE10hipError_tT2_T3_mT4_P12ihipStream_tbEUlT_E_NS1_11comp_targetILNS1_3genE10ELNS1_11target_archE1201ELNS1_3gpuE5ELNS1_3repE0EEENS1_30default_config_static_selectorELNS0_4arch9wavefront6targetE1EEEvT1_
    .private_segment_fixed_size: 0
    .sgpr_count:     4
    .sgpr_spill_count: 0
    .symbol:         _ZN7rocprim17ROCPRIM_400000_NS6detail17trampoline_kernelINS0_14default_configENS1_25transform_config_selectorIfLb0EEEZNS1_14transform_implILb0ES3_S5_PfN6thrust23THRUST_200600_302600_NS6detail15normal_iteratorINS9_10device_ptrIfEEEENS0_8identityIfEEEE10hipError_tT2_T3_mT4_P12ihipStream_tbEUlT_E_NS1_11comp_targetILNS1_3genE10ELNS1_11target_archE1201ELNS1_3gpuE5ELNS1_3repE0EEENS1_30default_config_static_selectorELNS0_4arch9wavefront6targetE1EEEvT1_.kd
    .uniform_work_group_size: 1
    .uses_dynamic_stack: false
    .vgpr_count:     0
    .vgpr_spill_count: 0
    .wavefront_size: 64
  - .agpr_count:     0
    .args:
      - .offset:         0
        .size:           40
        .value_kind:     by_value
    .group_segment_fixed_size: 0
    .kernarg_segment_align: 8
    .kernarg_segment_size: 40
    .language:       OpenCL C
    .language_version:
      - 2
      - 0
    .max_flat_workgroup_size: 512
    .name:           _ZN7rocprim17ROCPRIM_400000_NS6detail17trampoline_kernelINS0_14default_configENS1_25transform_config_selectorIfLb0EEEZNS1_14transform_implILb0ES3_S5_PfN6thrust23THRUST_200600_302600_NS6detail15normal_iteratorINS9_10device_ptrIfEEEENS0_8identityIfEEEE10hipError_tT2_T3_mT4_P12ihipStream_tbEUlT_E_NS1_11comp_targetILNS1_3genE10ELNS1_11target_archE1200ELNS1_3gpuE4ELNS1_3repE0EEENS1_30default_config_static_selectorELNS0_4arch9wavefront6targetE1EEEvT1_
    .private_segment_fixed_size: 0
    .sgpr_count:     4
    .sgpr_spill_count: 0
    .symbol:         _ZN7rocprim17ROCPRIM_400000_NS6detail17trampoline_kernelINS0_14default_configENS1_25transform_config_selectorIfLb0EEEZNS1_14transform_implILb0ES3_S5_PfN6thrust23THRUST_200600_302600_NS6detail15normal_iteratorINS9_10device_ptrIfEEEENS0_8identityIfEEEE10hipError_tT2_T3_mT4_P12ihipStream_tbEUlT_E_NS1_11comp_targetILNS1_3genE10ELNS1_11target_archE1200ELNS1_3gpuE4ELNS1_3repE0EEENS1_30default_config_static_selectorELNS0_4arch9wavefront6targetE1EEEvT1_.kd
    .uniform_work_group_size: 1
    .uses_dynamic_stack: false
    .vgpr_count:     0
    .vgpr_spill_count: 0
    .wavefront_size: 64
  - .agpr_count:     0
    .args:
      - .offset:         0
        .size:           40
        .value_kind:     by_value
    .group_segment_fixed_size: 0
    .kernarg_segment_align: 8
    .kernarg_segment_size: 40
    .language:       OpenCL C
    .language_version:
      - 2
      - 0
    .max_flat_workgroup_size: 1024
    .name:           _ZN7rocprim17ROCPRIM_400000_NS6detail17trampoline_kernelINS0_14default_configENS1_25transform_config_selectorIfLb0EEEZNS1_14transform_implILb0ES3_S5_PfN6thrust23THRUST_200600_302600_NS6detail15normal_iteratorINS9_10device_ptrIfEEEENS0_8identityIfEEEE10hipError_tT2_T3_mT4_P12ihipStream_tbEUlT_E_NS1_11comp_targetILNS1_3genE9ELNS1_11target_archE1100ELNS1_3gpuE3ELNS1_3repE0EEENS1_30default_config_static_selectorELNS0_4arch9wavefront6targetE1EEEvT1_
    .private_segment_fixed_size: 0
    .sgpr_count:     4
    .sgpr_spill_count: 0
    .symbol:         _ZN7rocprim17ROCPRIM_400000_NS6detail17trampoline_kernelINS0_14default_configENS1_25transform_config_selectorIfLb0EEEZNS1_14transform_implILb0ES3_S5_PfN6thrust23THRUST_200600_302600_NS6detail15normal_iteratorINS9_10device_ptrIfEEEENS0_8identityIfEEEE10hipError_tT2_T3_mT4_P12ihipStream_tbEUlT_E_NS1_11comp_targetILNS1_3genE9ELNS1_11target_archE1100ELNS1_3gpuE3ELNS1_3repE0EEENS1_30default_config_static_selectorELNS0_4arch9wavefront6targetE1EEEvT1_.kd
    .uniform_work_group_size: 1
    .uses_dynamic_stack: false
    .vgpr_count:     0
    .vgpr_spill_count: 0
    .wavefront_size: 64
  - .agpr_count:     0
    .args:
      - .offset:         0
        .size:           40
        .value_kind:     by_value
    .group_segment_fixed_size: 0
    .kernarg_segment_align: 8
    .kernarg_segment_size: 40
    .language:       OpenCL C
    .language_version:
      - 2
      - 0
    .max_flat_workgroup_size: 256
    .name:           _ZN7rocprim17ROCPRIM_400000_NS6detail17trampoline_kernelINS0_14default_configENS1_25transform_config_selectorIfLb0EEEZNS1_14transform_implILb0ES3_S5_PfN6thrust23THRUST_200600_302600_NS6detail15normal_iteratorINS9_10device_ptrIfEEEENS0_8identityIfEEEE10hipError_tT2_T3_mT4_P12ihipStream_tbEUlT_E_NS1_11comp_targetILNS1_3genE8ELNS1_11target_archE1030ELNS1_3gpuE2ELNS1_3repE0EEENS1_30default_config_static_selectorELNS0_4arch9wavefront6targetE1EEEvT1_
    .private_segment_fixed_size: 0
    .sgpr_count:     4
    .sgpr_spill_count: 0
    .symbol:         _ZN7rocprim17ROCPRIM_400000_NS6detail17trampoline_kernelINS0_14default_configENS1_25transform_config_selectorIfLb0EEEZNS1_14transform_implILb0ES3_S5_PfN6thrust23THRUST_200600_302600_NS6detail15normal_iteratorINS9_10device_ptrIfEEEENS0_8identityIfEEEE10hipError_tT2_T3_mT4_P12ihipStream_tbEUlT_E_NS1_11comp_targetILNS1_3genE8ELNS1_11target_archE1030ELNS1_3gpuE2ELNS1_3repE0EEENS1_30default_config_static_selectorELNS0_4arch9wavefront6targetE1EEEvT1_.kd
    .uniform_work_group_size: 1
    .uses_dynamic_stack: false
    .vgpr_count:     0
    .vgpr_spill_count: 0
    .wavefront_size: 64
  - .agpr_count:     0
    .args:           []
    .group_segment_fixed_size: 0
    .kernarg_segment_align: 4
    .kernarg_segment_size: 0
    .language:       OpenCL C
    .language_version:
      - 2
      - 0
    .max_flat_workgroup_size: 1024
    .name:           _ZN7rocprim17ROCPRIM_400000_NS6detail44device_merge_sort_compile_time_verifier_archINS1_11comp_targetILNS1_3genE0ELNS1_11target_archE4294967295ELNS1_3gpuE0ELNS1_3repE0EEES8_NS0_14default_configES9_NS1_37merge_sort_block_sort_config_selectorIdNS0_10empty_typeEEENS1_38merge_sort_block_merge_config_selectorIdSB_EEEEvv
    .private_segment_fixed_size: 0
    .sgpr_count:     4
    .sgpr_spill_count: 0
    .symbol:         _ZN7rocprim17ROCPRIM_400000_NS6detail44device_merge_sort_compile_time_verifier_archINS1_11comp_targetILNS1_3genE0ELNS1_11target_archE4294967295ELNS1_3gpuE0ELNS1_3repE0EEES8_NS0_14default_configES9_NS1_37merge_sort_block_sort_config_selectorIdNS0_10empty_typeEEENS1_38merge_sort_block_merge_config_selectorIdSB_EEEEvv.kd
    .uniform_work_group_size: 1
    .uses_dynamic_stack: false
    .vgpr_count:     0
    .vgpr_spill_count: 0
    .wavefront_size: 64
  - .agpr_count:     0
    .args:           []
    .group_segment_fixed_size: 0
    .kernarg_segment_align: 4
    .kernarg_segment_size: 0
    .language:       OpenCL C
    .language_version:
      - 2
      - 0
    .max_flat_workgroup_size: 1024
    .name:           _ZN7rocprim17ROCPRIM_400000_NS6detail44device_merge_sort_compile_time_verifier_archINS1_11comp_targetILNS1_3genE5ELNS1_11target_archE942ELNS1_3gpuE9ELNS1_3repE0EEES8_NS0_14default_configES9_NS1_37merge_sort_block_sort_config_selectorIdNS0_10empty_typeEEENS1_38merge_sort_block_merge_config_selectorIdSB_EEEEvv
    .private_segment_fixed_size: 0
    .sgpr_count:     4
    .sgpr_spill_count: 0
    .symbol:         _ZN7rocprim17ROCPRIM_400000_NS6detail44device_merge_sort_compile_time_verifier_archINS1_11comp_targetILNS1_3genE5ELNS1_11target_archE942ELNS1_3gpuE9ELNS1_3repE0EEES8_NS0_14default_configES9_NS1_37merge_sort_block_sort_config_selectorIdNS0_10empty_typeEEENS1_38merge_sort_block_merge_config_selectorIdSB_EEEEvv.kd
    .uniform_work_group_size: 1
    .uses_dynamic_stack: false
    .vgpr_count:     0
    .vgpr_spill_count: 0
    .wavefront_size: 64
  - .agpr_count:     0
    .args:           []
    .group_segment_fixed_size: 0
    .kernarg_segment_align: 4
    .kernarg_segment_size: 0
    .language:       OpenCL C
    .language_version:
      - 2
      - 0
    .max_flat_workgroup_size: 1024
    .name:           _ZN7rocprim17ROCPRIM_400000_NS6detail44device_merge_sort_compile_time_verifier_archINS1_11comp_targetILNS1_3genE4ELNS1_11target_archE910ELNS1_3gpuE8ELNS1_3repE0EEES8_NS0_14default_configES9_NS1_37merge_sort_block_sort_config_selectorIdNS0_10empty_typeEEENS1_38merge_sort_block_merge_config_selectorIdSB_EEEEvv
    .private_segment_fixed_size: 0
    .sgpr_count:     4
    .sgpr_spill_count: 0
    .symbol:         _ZN7rocprim17ROCPRIM_400000_NS6detail44device_merge_sort_compile_time_verifier_archINS1_11comp_targetILNS1_3genE4ELNS1_11target_archE910ELNS1_3gpuE8ELNS1_3repE0EEES8_NS0_14default_configES9_NS1_37merge_sort_block_sort_config_selectorIdNS0_10empty_typeEEENS1_38merge_sort_block_merge_config_selectorIdSB_EEEEvv.kd
    .uniform_work_group_size: 1
    .uses_dynamic_stack: false
    .vgpr_count:     0
    .vgpr_spill_count: 0
    .wavefront_size: 64
  - .agpr_count:     0
    .args:           []
    .group_segment_fixed_size: 0
    .kernarg_segment_align: 4
    .kernarg_segment_size: 0
    .language:       OpenCL C
    .language_version:
      - 2
      - 0
    .max_flat_workgroup_size: 1024
    .name:           _ZN7rocprim17ROCPRIM_400000_NS6detail44device_merge_sort_compile_time_verifier_archINS1_11comp_targetILNS1_3genE3ELNS1_11target_archE908ELNS1_3gpuE7ELNS1_3repE0EEES8_NS0_14default_configES9_NS1_37merge_sort_block_sort_config_selectorIdNS0_10empty_typeEEENS1_38merge_sort_block_merge_config_selectorIdSB_EEEEvv
    .private_segment_fixed_size: 0
    .sgpr_count:     4
    .sgpr_spill_count: 0
    .symbol:         _ZN7rocprim17ROCPRIM_400000_NS6detail44device_merge_sort_compile_time_verifier_archINS1_11comp_targetILNS1_3genE3ELNS1_11target_archE908ELNS1_3gpuE7ELNS1_3repE0EEES8_NS0_14default_configES9_NS1_37merge_sort_block_sort_config_selectorIdNS0_10empty_typeEEENS1_38merge_sort_block_merge_config_selectorIdSB_EEEEvv.kd
    .uniform_work_group_size: 1
    .uses_dynamic_stack: false
    .vgpr_count:     0
    .vgpr_spill_count: 0
    .wavefront_size: 64
  - .agpr_count:     0
    .args:           []
    .group_segment_fixed_size: 0
    .kernarg_segment_align: 4
    .kernarg_segment_size: 0
    .language:       OpenCL C
    .language_version:
      - 2
      - 0
    .max_flat_workgroup_size: 1024
    .name:           _ZN7rocprim17ROCPRIM_400000_NS6detail44device_merge_sort_compile_time_verifier_archINS1_11comp_targetILNS1_3genE2ELNS1_11target_archE906ELNS1_3gpuE6ELNS1_3repE0EEES8_NS0_14default_configES9_NS1_37merge_sort_block_sort_config_selectorIdNS0_10empty_typeEEENS1_38merge_sort_block_merge_config_selectorIdSB_EEEEvv
    .private_segment_fixed_size: 0
    .sgpr_count:     4
    .sgpr_spill_count: 0
    .symbol:         _ZN7rocprim17ROCPRIM_400000_NS6detail44device_merge_sort_compile_time_verifier_archINS1_11comp_targetILNS1_3genE2ELNS1_11target_archE906ELNS1_3gpuE6ELNS1_3repE0EEES8_NS0_14default_configES9_NS1_37merge_sort_block_sort_config_selectorIdNS0_10empty_typeEEENS1_38merge_sort_block_merge_config_selectorIdSB_EEEEvv.kd
    .uniform_work_group_size: 1
    .uses_dynamic_stack: false
    .vgpr_count:     0
    .vgpr_spill_count: 0
    .wavefront_size: 64
  - .agpr_count:     0
    .args:           []
    .group_segment_fixed_size: 0
    .kernarg_segment_align: 4
    .kernarg_segment_size: 0
    .language:       OpenCL C
    .language_version:
      - 2
      - 0
    .max_flat_workgroup_size: 1024
    .name:           _ZN7rocprim17ROCPRIM_400000_NS6detail44device_merge_sort_compile_time_verifier_archINS1_11comp_targetILNS1_3genE10ELNS1_11target_archE1201ELNS1_3gpuE5ELNS1_3repE0EEES8_NS0_14default_configES9_NS1_37merge_sort_block_sort_config_selectorIdNS0_10empty_typeEEENS1_38merge_sort_block_merge_config_selectorIdSB_EEEEvv
    .private_segment_fixed_size: 0
    .sgpr_count:     4
    .sgpr_spill_count: 0
    .symbol:         _ZN7rocprim17ROCPRIM_400000_NS6detail44device_merge_sort_compile_time_verifier_archINS1_11comp_targetILNS1_3genE10ELNS1_11target_archE1201ELNS1_3gpuE5ELNS1_3repE0EEES8_NS0_14default_configES9_NS1_37merge_sort_block_sort_config_selectorIdNS0_10empty_typeEEENS1_38merge_sort_block_merge_config_selectorIdSB_EEEEvv.kd
    .uniform_work_group_size: 1
    .uses_dynamic_stack: false
    .vgpr_count:     0
    .vgpr_spill_count: 0
    .wavefront_size: 64
  - .agpr_count:     0
    .args:           []
    .group_segment_fixed_size: 0
    .kernarg_segment_align: 4
    .kernarg_segment_size: 0
    .language:       OpenCL C
    .language_version:
      - 2
      - 0
    .max_flat_workgroup_size: 1024
    .name:           _ZN7rocprim17ROCPRIM_400000_NS6detail44device_merge_sort_compile_time_verifier_archINS1_11comp_targetILNS1_3genE10ELNS1_11target_archE1200ELNS1_3gpuE4ELNS1_3repE0EEENS3_ILS4_10ELS5_1201ELS6_5ELS7_0EEENS0_14default_configESA_NS1_37merge_sort_block_sort_config_selectorIdNS0_10empty_typeEEENS1_38merge_sort_block_merge_config_selectorIdSC_EEEEvv
    .private_segment_fixed_size: 0
    .sgpr_count:     4
    .sgpr_spill_count: 0
    .symbol:         _ZN7rocprim17ROCPRIM_400000_NS6detail44device_merge_sort_compile_time_verifier_archINS1_11comp_targetILNS1_3genE10ELNS1_11target_archE1200ELNS1_3gpuE4ELNS1_3repE0EEENS3_ILS4_10ELS5_1201ELS6_5ELS7_0EEENS0_14default_configESA_NS1_37merge_sort_block_sort_config_selectorIdNS0_10empty_typeEEENS1_38merge_sort_block_merge_config_selectorIdSC_EEEEvv.kd
    .uniform_work_group_size: 1
    .uses_dynamic_stack: false
    .vgpr_count:     0
    .vgpr_spill_count: 0
    .wavefront_size: 64
  - .agpr_count:     0
    .args:           []
    .group_segment_fixed_size: 0
    .kernarg_segment_align: 4
    .kernarg_segment_size: 0
    .language:       OpenCL C
    .language_version:
      - 2
      - 0
    .max_flat_workgroup_size: 1024
    .name:           _ZN7rocprim17ROCPRIM_400000_NS6detail44device_merge_sort_compile_time_verifier_archINS1_11comp_targetILNS1_3genE9ELNS1_11target_archE1100ELNS1_3gpuE3ELNS1_3repE0EEES8_NS0_14default_configES9_NS1_37merge_sort_block_sort_config_selectorIdNS0_10empty_typeEEENS1_38merge_sort_block_merge_config_selectorIdSB_EEEEvv
    .private_segment_fixed_size: 0
    .sgpr_count:     4
    .sgpr_spill_count: 0
    .symbol:         _ZN7rocprim17ROCPRIM_400000_NS6detail44device_merge_sort_compile_time_verifier_archINS1_11comp_targetILNS1_3genE9ELNS1_11target_archE1100ELNS1_3gpuE3ELNS1_3repE0EEES8_NS0_14default_configES9_NS1_37merge_sort_block_sort_config_selectorIdNS0_10empty_typeEEENS1_38merge_sort_block_merge_config_selectorIdSB_EEEEvv.kd
    .uniform_work_group_size: 1
    .uses_dynamic_stack: false
    .vgpr_count:     0
    .vgpr_spill_count: 0
    .wavefront_size: 64
  - .agpr_count:     0
    .args:           []
    .group_segment_fixed_size: 0
    .kernarg_segment_align: 4
    .kernarg_segment_size: 0
    .language:       OpenCL C
    .language_version:
      - 2
      - 0
    .max_flat_workgroup_size: 1024
    .name:           _ZN7rocprim17ROCPRIM_400000_NS6detail44device_merge_sort_compile_time_verifier_archINS1_11comp_targetILNS1_3genE8ELNS1_11target_archE1030ELNS1_3gpuE2ELNS1_3repE0EEES8_NS0_14default_configES9_NS1_37merge_sort_block_sort_config_selectorIdNS0_10empty_typeEEENS1_38merge_sort_block_merge_config_selectorIdSB_EEEEvv
    .private_segment_fixed_size: 0
    .sgpr_count:     4
    .sgpr_spill_count: 0
    .symbol:         _ZN7rocprim17ROCPRIM_400000_NS6detail44device_merge_sort_compile_time_verifier_archINS1_11comp_targetILNS1_3genE8ELNS1_11target_archE1030ELNS1_3gpuE2ELNS1_3repE0EEES8_NS0_14default_configES9_NS1_37merge_sort_block_sort_config_selectorIdNS0_10empty_typeEEENS1_38merge_sort_block_merge_config_selectorIdSB_EEEEvv.kd
    .uniform_work_group_size: 1
    .uses_dynamic_stack: false
    .vgpr_count:     0
    .vgpr_spill_count: 0
    .wavefront_size: 64
  - .agpr_count:     0
    .args:
      - .offset:         0
        .size:           64
        .value_kind:     by_value
    .group_segment_fixed_size: 0
    .kernarg_segment_align: 8
    .kernarg_segment_size: 64
    .language:       OpenCL C
    .language_version:
      - 2
      - 0
    .max_flat_workgroup_size: 256
    .name:           _ZN7rocprim17ROCPRIM_400000_NS6detail17trampoline_kernelINS0_14default_configENS1_37merge_sort_block_sort_config_selectorIdNS0_10empty_typeEEEZNS1_21merge_sort_block_sortIS3_N6thrust23THRUST_200600_302600_NS6detail15normal_iteratorINS9_10device_ptrIdEEEESE_PS5_SF_14custom_greaterIdEEE10hipError_tT0_T1_T2_T3_mRjT4_P12ihipStream_tbNS1_7vsmem_tEEUlT_E_NS1_11comp_targetILNS1_3genE0ELNS1_11target_archE4294967295ELNS1_3gpuE0ELNS1_3repE0EEENS1_30default_config_static_selectorELNS0_4arch9wavefront6targetE1EEEvSK_
    .private_segment_fixed_size: 0
    .sgpr_count:     4
    .sgpr_spill_count: 0
    .symbol:         _ZN7rocprim17ROCPRIM_400000_NS6detail17trampoline_kernelINS0_14default_configENS1_37merge_sort_block_sort_config_selectorIdNS0_10empty_typeEEEZNS1_21merge_sort_block_sortIS3_N6thrust23THRUST_200600_302600_NS6detail15normal_iteratorINS9_10device_ptrIdEEEESE_PS5_SF_14custom_greaterIdEEE10hipError_tT0_T1_T2_T3_mRjT4_P12ihipStream_tbNS1_7vsmem_tEEUlT_E_NS1_11comp_targetILNS1_3genE0ELNS1_11target_archE4294967295ELNS1_3gpuE0ELNS1_3repE0EEENS1_30default_config_static_selectorELNS0_4arch9wavefront6targetE1EEEvSK_.kd
    .uniform_work_group_size: 1
    .uses_dynamic_stack: false
    .vgpr_count:     0
    .vgpr_spill_count: 0
    .wavefront_size: 64
  - .agpr_count:     0
    .args:
      - .offset:         0
        .size:           64
        .value_kind:     by_value
    .group_segment_fixed_size: 0
    .kernarg_segment_align: 8
    .kernarg_segment_size: 64
    .language:       OpenCL C
    .language_version:
      - 2
      - 0
    .max_flat_workgroup_size: 256
    .name:           _ZN7rocprim17ROCPRIM_400000_NS6detail17trampoline_kernelINS0_14default_configENS1_37merge_sort_block_sort_config_selectorIdNS0_10empty_typeEEEZNS1_21merge_sort_block_sortIS3_N6thrust23THRUST_200600_302600_NS6detail15normal_iteratorINS9_10device_ptrIdEEEESE_PS5_SF_14custom_greaterIdEEE10hipError_tT0_T1_T2_T3_mRjT4_P12ihipStream_tbNS1_7vsmem_tEEUlT_E_NS1_11comp_targetILNS1_3genE5ELNS1_11target_archE942ELNS1_3gpuE9ELNS1_3repE0EEENS1_30default_config_static_selectorELNS0_4arch9wavefront6targetE1EEEvSK_
    .private_segment_fixed_size: 0
    .sgpr_count:     4
    .sgpr_spill_count: 0
    .symbol:         _ZN7rocprim17ROCPRIM_400000_NS6detail17trampoline_kernelINS0_14default_configENS1_37merge_sort_block_sort_config_selectorIdNS0_10empty_typeEEEZNS1_21merge_sort_block_sortIS3_N6thrust23THRUST_200600_302600_NS6detail15normal_iteratorINS9_10device_ptrIdEEEESE_PS5_SF_14custom_greaterIdEEE10hipError_tT0_T1_T2_T3_mRjT4_P12ihipStream_tbNS1_7vsmem_tEEUlT_E_NS1_11comp_targetILNS1_3genE5ELNS1_11target_archE942ELNS1_3gpuE9ELNS1_3repE0EEENS1_30default_config_static_selectorELNS0_4arch9wavefront6targetE1EEEvSK_.kd
    .uniform_work_group_size: 1
    .uses_dynamic_stack: false
    .vgpr_count:     0
    .vgpr_spill_count: 0
    .wavefront_size: 64
  - .agpr_count:     0
    .args:
      - .offset:         0
        .size:           64
        .value_kind:     by_value
      - .offset:         64
        .size:           4
        .value_kind:     hidden_block_count_x
      - .offset:         68
        .size:           4
        .value_kind:     hidden_block_count_y
      - .offset:         72
        .size:           4
        .value_kind:     hidden_block_count_z
      - .offset:         76
        .size:           2
        .value_kind:     hidden_group_size_x
      - .offset:         78
        .size:           2
        .value_kind:     hidden_group_size_y
      - .offset:         80
        .size:           2
        .value_kind:     hidden_group_size_z
      - .offset:         82
        .size:           2
        .value_kind:     hidden_remainder_x
      - .offset:         84
        .size:           2
        .value_kind:     hidden_remainder_y
      - .offset:         86
        .size:           2
        .value_kind:     hidden_remainder_z
      - .offset:         104
        .size:           8
        .value_kind:     hidden_global_offset_x
      - .offset:         112
        .size:           8
        .value_kind:     hidden_global_offset_y
      - .offset:         120
        .size:           8
        .value_kind:     hidden_global_offset_z
      - .offset:         128
        .size:           2
        .value_kind:     hidden_grid_dims
    .group_segment_fixed_size: 8448
    .kernarg_segment_align: 8
    .kernarg_segment_size: 320
    .language:       OpenCL C
    .language_version:
      - 2
      - 0
    .max_flat_workgroup_size: 256
    .name:           _ZN7rocprim17ROCPRIM_400000_NS6detail17trampoline_kernelINS0_14default_configENS1_37merge_sort_block_sort_config_selectorIdNS0_10empty_typeEEEZNS1_21merge_sort_block_sortIS3_N6thrust23THRUST_200600_302600_NS6detail15normal_iteratorINS9_10device_ptrIdEEEESE_PS5_SF_14custom_greaterIdEEE10hipError_tT0_T1_T2_T3_mRjT4_P12ihipStream_tbNS1_7vsmem_tEEUlT_E_NS1_11comp_targetILNS1_3genE4ELNS1_11target_archE910ELNS1_3gpuE8ELNS1_3repE0EEENS1_30default_config_static_selectorELNS0_4arch9wavefront6targetE1EEEvSK_
    .private_segment_fixed_size: 0
    .sgpr_count:     25
    .sgpr_spill_count: 0
    .symbol:         _ZN7rocprim17ROCPRIM_400000_NS6detail17trampoline_kernelINS0_14default_configENS1_37merge_sort_block_sort_config_selectorIdNS0_10empty_typeEEEZNS1_21merge_sort_block_sortIS3_N6thrust23THRUST_200600_302600_NS6detail15normal_iteratorINS9_10device_ptrIdEEEESE_PS5_SF_14custom_greaterIdEEE10hipError_tT0_T1_T2_T3_mRjT4_P12ihipStream_tbNS1_7vsmem_tEEUlT_E_NS1_11comp_targetILNS1_3genE4ELNS1_11target_archE910ELNS1_3gpuE8ELNS1_3repE0EEENS1_30default_config_static_selectorELNS0_4arch9wavefront6targetE1EEEvSK_.kd
    .uniform_work_group_size: 1
    .uses_dynamic_stack: false
    .vgpr_count:     39
    .vgpr_spill_count: 0
    .wavefront_size: 64
  - .agpr_count:     0
    .args:
      - .offset:         0
        .size:           64
        .value_kind:     by_value
    .group_segment_fixed_size: 0
    .kernarg_segment_align: 8
    .kernarg_segment_size: 64
    .language:       OpenCL C
    .language_version:
      - 2
      - 0
    .max_flat_workgroup_size: 256
    .name:           _ZN7rocprim17ROCPRIM_400000_NS6detail17trampoline_kernelINS0_14default_configENS1_37merge_sort_block_sort_config_selectorIdNS0_10empty_typeEEEZNS1_21merge_sort_block_sortIS3_N6thrust23THRUST_200600_302600_NS6detail15normal_iteratorINS9_10device_ptrIdEEEESE_PS5_SF_14custom_greaterIdEEE10hipError_tT0_T1_T2_T3_mRjT4_P12ihipStream_tbNS1_7vsmem_tEEUlT_E_NS1_11comp_targetILNS1_3genE3ELNS1_11target_archE908ELNS1_3gpuE7ELNS1_3repE0EEENS1_30default_config_static_selectorELNS0_4arch9wavefront6targetE1EEEvSK_
    .private_segment_fixed_size: 0
    .sgpr_count:     4
    .sgpr_spill_count: 0
    .symbol:         _ZN7rocprim17ROCPRIM_400000_NS6detail17trampoline_kernelINS0_14default_configENS1_37merge_sort_block_sort_config_selectorIdNS0_10empty_typeEEEZNS1_21merge_sort_block_sortIS3_N6thrust23THRUST_200600_302600_NS6detail15normal_iteratorINS9_10device_ptrIdEEEESE_PS5_SF_14custom_greaterIdEEE10hipError_tT0_T1_T2_T3_mRjT4_P12ihipStream_tbNS1_7vsmem_tEEUlT_E_NS1_11comp_targetILNS1_3genE3ELNS1_11target_archE908ELNS1_3gpuE7ELNS1_3repE0EEENS1_30default_config_static_selectorELNS0_4arch9wavefront6targetE1EEEvSK_.kd
    .uniform_work_group_size: 1
    .uses_dynamic_stack: false
    .vgpr_count:     0
    .vgpr_spill_count: 0
    .wavefront_size: 64
  - .agpr_count:     0
    .args:
      - .offset:         0
        .size:           64
        .value_kind:     by_value
    .group_segment_fixed_size: 0
    .kernarg_segment_align: 8
    .kernarg_segment_size: 64
    .language:       OpenCL C
    .language_version:
      - 2
      - 0
    .max_flat_workgroup_size: 256
    .name:           _ZN7rocprim17ROCPRIM_400000_NS6detail17trampoline_kernelINS0_14default_configENS1_37merge_sort_block_sort_config_selectorIdNS0_10empty_typeEEEZNS1_21merge_sort_block_sortIS3_N6thrust23THRUST_200600_302600_NS6detail15normal_iteratorINS9_10device_ptrIdEEEESE_PS5_SF_14custom_greaterIdEEE10hipError_tT0_T1_T2_T3_mRjT4_P12ihipStream_tbNS1_7vsmem_tEEUlT_E_NS1_11comp_targetILNS1_3genE2ELNS1_11target_archE906ELNS1_3gpuE6ELNS1_3repE0EEENS1_30default_config_static_selectorELNS0_4arch9wavefront6targetE1EEEvSK_
    .private_segment_fixed_size: 0
    .sgpr_count:     4
    .sgpr_spill_count: 0
    .symbol:         _ZN7rocprim17ROCPRIM_400000_NS6detail17trampoline_kernelINS0_14default_configENS1_37merge_sort_block_sort_config_selectorIdNS0_10empty_typeEEEZNS1_21merge_sort_block_sortIS3_N6thrust23THRUST_200600_302600_NS6detail15normal_iteratorINS9_10device_ptrIdEEEESE_PS5_SF_14custom_greaterIdEEE10hipError_tT0_T1_T2_T3_mRjT4_P12ihipStream_tbNS1_7vsmem_tEEUlT_E_NS1_11comp_targetILNS1_3genE2ELNS1_11target_archE906ELNS1_3gpuE6ELNS1_3repE0EEENS1_30default_config_static_selectorELNS0_4arch9wavefront6targetE1EEEvSK_.kd
    .uniform_work_group_size: 1
    .uses_dynamic_stack: false
    .vgpr_count:     0
    .vgpr_spill_count: 0
    .wavefront_size: 64
  - .agpr_count:     0
    .args:
      - .offset:         0
        .size:           64
        .value_kind:     by_value
    .group_segment_fixed_size: 0
    .kernarg_segment_align: 8
    .kernarg_segment_size: 64
    .language:       OpenCL C
    .language_version:
      - 2
      - 0
    .max_flat_workgroup_size: 256
    .name:           _ZN7rocprim17ROCPRIM_400000_NS6detail17trampoline_kernelINS0_14default_configENS1_37merge_sort_block_sort_config_selectorIdNS0_10empty_typeEEEZNS1_21merge_sort_block_sortIS3_N6thrust23THRUST_200600_302600_NS6detail15normal_iteratorINS9_10device_ptrIdEEEESE_PS5_SF_14custom_greaterIdEEE10hipError_tT0_T1_T2_T3_mRjT4_P12ihipStream_tbNS1_7vsmem_tEEUlT_E_NS1_11comp_targetILNS1_3genE10ELNS1_11target_archE1201ELNS1_3gpuE5ELNS1_3repE0EEENS1_30default_config_static_selectorELNS0_4arch9wavefront6targetE1EEEvSK_
    .private_segment_fixed_size: 0
    .sgpr_count:     4
    .sgpr_spill_count: 0
    .symbol:         _ZN7rocprim17ROCPRIM_400000_NS6detail17trampoline_kernelINS0_14default_configENS1_37merge_sort_block_sort_config_selectorIdNS0_10empty_typeEEEZNS1_21merge_sort_block_sortIS3_N6thrust23THRUST_200600_302600_NS6detail15normal_iteratorINS9_10device_ptrIdEEEESE_PS5_SF_14custom_greaterIdEEE10hipError_tT0_T1_T2_T3_mRjT4_P12ihipStream_tbNS1_7vsmem_tEEUlT_E_NS1_11comp_targetILNS1_3genE10ELNS1_11target_archE1201ELNS1_3gpuE5ELNS1_3repE0EEENS1_30default_config_static_selectorELNS0_4arch9wavefront6targetE1EEEvSK_.kd
    .uniform_work_group_size: 1
    .uses_dynamic_stack: false
    .vgpr_count:     0
    .vgpr_spill_count: 0
    .wavefront_size: 64
  - .agpr_count:     0
    .args:
      - .offset:         0
        .size:           64
        .value_kind:     by_value
    .group_segment_fixed_size: 0
    .kernarg_segment_align: 8
    .kernarg_segment_size: 64
    .language:       OpenCL C
    .language_version:
      - 2
      - 0
    .max_flat_workgroup_size: 512
    .name:           _ZN7rocprim17ROCPRIM_400000_NS6detail17trampoline_kernelINS0_14default_configENS1_37merge_sort_block_sort_config_selectorIdNS0_10empty_typeEEEZNS1_21merge_sort_block_sortIS3_N6thrust23THRUST_200600_302600_NS6detail15normal_iteratorINS9_10device_ptrIdEEEESE_PS5_SF_14custom_greaterIdEEE10hipError_tT0_T1_T2_T3_mRjT4_P12ihipStream_tbNS1_7vsmem_tEEUlT_E_NS1_11comp_targetILNS1_3genE10ELNS1_11target_archE1200ELNS1_3gpuE4ELNS1_3repE0EEENS1_30default_config_static_selectorELNS0_4arch9wavefront6targetE1EEEvSK_
    .private_segment_fixed_size: 0
    .sgpr_count:     4
    .sgpr_spill_count: 0
    .symbol:         _ZN7rocprim17ROCPRIM_400000_NS6detail17trampoline_kernelINS0_14default_configENS1_37merge_sort_block_sort_config_selectorIdNS0_10empty_typeEEEZNS1_21merge_sort_block_sortIS3_N6thrust23THRUST_200600_302600_NS6detail15normal_iteratorINS9_10device_ptrIdEEEESE_PS5_SF_14custom_greaterIdEEE10hipError_tT0_T1_T2_T3_mRjT4_P12ihipStream_tbNS1_7vsmem_tEEUlT_E_NS1_11comp_targetILNS1_3genE10ELNS1_11target_archE1200ELNS1_3gpuE4ELNS1_3repE0EEENS1_30default_config_static_selectorELNS0_4arch9wavefront6targetE1EEEvSK_.kd
    .uniform_work_group_size: 1
    .uses_dynamic_stack: false
    .vgpr_count:     0
    .vgpr_spill_count: 0
    .wavefront_size: 64
  - .agpr_count:     0
    .args:
      - .offset:         0
        .size:           64
        .value_kind:     by_value
    .group_segment_fixed_size: 0
    .kernarg_segment_align: 8
    .kernarg_segment_size: 64
    .language:       OpenCL C
    .language_version:
      - 2
      - 0
    .max_flat_workgroup_size: 512
    .name:           _ZN7rocprim17ROCPRIM_400000_NS6detail17trampoline_kernelINS0_14default_configENS1_37merge_sort_block_sort_config_selectorIdNS0_10empty_typeEEEZNS1_21merge_sort_block_sortIS3_N6thrust23THRUST_200600_302600_NS6detail15normal_iteratorINS9_10device_ptrIdEEEESE_PS5_SF_14custom_greaterIdEEE10hipError_tT0_T1_T2_T3_mRjT4_P12ihipStream_tbNS1_7vsmem_tEEUlT_E_NS1_11comp_targetILNS1_3genE9ELNS1_11target_archE1100ELNS1_3gpuE3ELNS1_3repE0EEENS1_30default_config_static_selectorELNS0_4arch9wavefront6targetE1EEEvSK_
    .private_segment_fixed_size: 0
    .sgpr_count:     4
    .sgpr_spill_count: 0
    .symbol:         _ZN7rocprim17ROCPRIM_400000_NS6detail17trampoline_kernelINS0_14default_configENS1_37merge_sort_block_sort_config_selectorIdNS0_10empty_typeEEEZNS1_21merge_sort_block_sortIS3_N6thrust23THRUST_200600_302600_NS6detail15normal_iteratorINS9_10device_ptrIdEEEESE_PS5_SF_14custom_greaterIdEEE10hipError_tT0_T1_T2_T3_mRjT4_P12ihipStream_tbNS1_7vsmem_tEEUlT_E_NS1_11comp_targetILNS1_3genE9ELNS1_11target_archE1100ELNS1_3gpuE3ELNS1_3repE0EEENS1_30default_config_static_selectorELNS0_4arch9wavefront6targetE1EEEvSK_.kd
    .uniform_work_group_size: 1
    .uses_dynamic_stack: false
    .vgpr_count:     0
    .vgpr_spill_count: 0
    .wavefront_size: 64
  - .agpr_count:     0
    .args:
      - .offset:         0
        .size:           64
        .value_kind:     by_value
    .group_segment_fixed_size: 0
    .kernarg_segment_align: 8
    .kernarg_segment_size: 64
    .language:       OpenCL C
    .language_version:
      - 2
      - 0
    .max_flat_workgroup_size: 256
    .name:           _ZN7rocprim17ROCPRIM_400000_NS6detail17trampoline_kernelINS0_14default_configENS1_37merge_sort_block_sort_config_selectorIdNS0_10empty_typeEEEZNS1_21merge_sort_block_sortIS3_N6thrust23THRUST_200600_302600_NS6detail15normal_iteratorINS9_10device_ptrIdEEEESE_PS5_SF_14custom_greaterIdEEE10hipError_tT0_T1_T2_T3_mRjT4_P12ihipStream_tbNS1_7vsmem_tEEUlT_E_NS1_11comp_targetILNS1_3genE8ELNS1_11target_archE1030ELNS1_3gpuE2ELNS1_3repE0EEENS1_30default_config_static_selectorELNS0_4arch9wavefront6targetE1EEEvSK_
    .private_segment_fixed_size: 0
    .sgpr_count:     4
    .sgpr_spill_count: 0
    .symbol:         _ZN7rocprim17ROCPRIM_400000_NS6detail17trampoline_kernelINS0_14default_configENS1_37merge_sort_block_sort_config_selectorIdNS0_10empty_typeEEEZNS1_21merge_sort_block_sortIS3_N6thrust23THRUST_200600_302600_NS6detail15normal_iteratorINS9_10device_ptrIdEEEESE_PS5_SF_14custom_greaterIdEEE10hipError_tT0_T1_T2_T3_mRjT4_P12ihipStream_tbNS1_7vsmem_tEEUlT_E_NS1_11comp_targetILNS1_3genE8ELNS1_11target_archE1030ELNS1_3gpuE2ELNS1_3repE0EEENS1_30default_config_static_selectorELNS0_4arch9wavefront6targetE1EEEvSK_.kd
    .uniform_work_group_size: 1
    .uses_dynamic_stack: false
    .vgpr_count:     0
    .vgpr_spill_count: 0
    .wavefront_size: 64
  - .agpr_count:     0
    .args:
      - .offset:         0
        .size:           48
        .value_kind:     by_value
    .group_segment_fixed_size: 0
    .kernarg_segment_align: 8
    .kernarg_segment_size: 48
    .language:       OpenCL C
    .language_version:
      - 2
      - 0
    .max_flat_workgroup_size: 128
    .name:           _ZN7rocprim17ROCPRIM_400000_NS6detail17trampoline_kernelINS0_14default_configENS1_38merge_sort_block_merge_config_selectorIdNS0_10empty_typeEEEZZNS1_27merge_sort_block_merge_implIS3_N6thrust23THRUST_200600_302600_NS6detail15normal_iteratorINS9_10device_ptrIdEEEEPS5_m14custom_greaterIdEEE10hipError_tT0_T1_T2_jT3_P12ihipStream_tbPNSt15iterator_traitsISJ_E10value_typeEPNSP_ISK_E10value_typeEPSL_NS1_7vsmem_tEENKUlT_SJ_SK_SL_E_clIPdSE_SF_SF_EESI_SY_SJ_SK_SL_EUlSY_E_NS1_11comp_targetILNS1_3genE0ELNS1_11target_archE4294967295ELNS1_3gpuE0ELNS1_3repE0EEENS1_48merge_mergepath_partition_config_static_selectorELNS0_4arch9wavefront6targetE1EEEvSK_
    .private_segment_fixed_size: 0
    .sgpr_count:     4
    .sgpr_spill_count: 0
    .symbol:         _ZN7rocprim17ROCPRIM_400000_NS6detail17trampoline_kernelINS0_14default_configENS1_38merge_sort_block_merge_config_selectorIdNS0_10empty_typeEEEZZNS1_27merge_sort_block_merge_implIS3_N6thrust23THRUST_200600_302600_NS6detail15normal_iteratorINS9_10device_ptrIdEEEEPS5_m14custom_greaterIdEEE10hipError_tT0_T1_T2_jT3_P12ihipStream_tbPNSt15iterator_traitsISJ_E10value_typeEPNSP_ISK_E10value_typeEPSL_NS1_7vsmem_tEENKUlT_SJ_SK_SL_E_clIPdSE_SF_SF_EESI_SY_SJ_SK_SL_EUlSY_E_NS1_11comp_targetILNS1_3genE0ELNS1_11target_archE4294967295ELNS1_3gpuE0ELNS1_3repE0EEENS1_48merge_mergepath_partition_config_static_selectorELNS0_4arch9wavefront6targetE1EEEvSK_.kd
    .uniform_work_group_size: 1
    .uses_dynamic_stack: false
    .vgpr_count:     0
    .vgpr_spill_count: 0
    .wavefront_size: 64
  - .agpr_count:     0
    .args:
      - .offset:         0
        .size:           48
        .value_kind:     by_value
    .group_segment_fixed_size: 0
    .kernarg_segment_align: 8
    .kernarg_segment_size: 48
    .language:       OpenCL C
    .language_version:
      - 2
      - 0
    .max_flat_workgroup_size: 128
    .name:           _ZN7rocprim17ROCPRIM_400000_NS6detail17trampoline_kernelINS0_14default_configENS1_38merge_sort_block_merge_config_selectorIdNS0_10empty_typeEEEZZNS1_27merge_sort_block_merge_implIS3_N6thrust23THRUST_200600_302600_NS6detail15normal_iteratorINS9_10device_ptrIdEEEEPS5_m14custom_greaterIdEEE10hipError_tT0_T1_T2_jT3_P12ihipStream_tbPNSt15iterator_traitsISJ_E10value_typeEPNSP_ISK_E10value_typeEPSL_NS1_7vsmem_tEENKUlT_SJ_SK_SL_E_clIPdSE_SF_SF_EESI_SY_SJ_SK_SL_EUlSY_E_NS1_11comp_targetILNS1_3genE10ELNS1_11target_archE1201ELNS1_3gpuE5ELNS1_3repE0EEENS1_48merge_mergepath_partition_config_static_selectorELNS0_4arch9wavefront6targetE1EEEvSK_
    .private_segment_fixed_size: 0
    .sgpr_count:     4
    .sgpr_spill_count: 0
    .symbol:         _ZN7rocprim17ROCPRIM_400000_NS6detail17trampoline_kernelINS0_14default_configENS1_38merge_sort_block_merge_config_selectorIdNS0_10empty_typeEEEZZNS1_27merge_sort_block_merge_implIS3_N6thrust23THRUST_200600_302600_NS6detail15normal_iteratorINS9_10device_ptrIdEEEEPS5_m14custom_greaterIdEEE10hipError_tT0_T1_T2_jT3_P12ihipStream_tbPNSt15iterator_traitsISJ_E10value_typeEPNSP_ISK_E10value_typeEPSL_NS1_7vsmem_tEENKUlT_SJ_SK_SL_E_clIPdSE_SF_SF_EESI_SY_SJ_SK_SL_EUlSY_E_NS1_11comp_targetILNS1_3genE10ELNS1_11target_archE1201ELNS1_3gpuE5ELNS1_3repE0EEENS1_48merge_mergepath_partition_config_static_selectorELNS0_4arch9wavefront6targetE1EEEvSK_.kd
    .uniform_work_group_size: 1
    .uses_dynamic_stack: false
    .vgpr_count:     0
    .vgpr_spill_count: 0
    .wavefront_size: 64
  - .agpr_count:     0
    .args:
      - .offset:         0
        .size:           48
        .value_kind:     by_value
    .group_segment_fixed_size: 0
    .kernarg_segment_align: 8
    .kernarg_segment_size: 48
    .language:       OpenCL C
    .language_version:
      - 2
      - 0
    .max_flat_workgroup_size: 128
    .name:           _ZN7rocprim17ROCPRIM_400000_NS6detail17trampoline_kernelINS0_14default_configENS1_38merge_sort_block_merge_config_selectorIdNS0_10empty_typeEEEZZNS1_27merge_sort_block_merge_implIS3_N6thrust23THRUST_200600_302600_NS6detail15normal_iteratorINS9_10device_ptrIdEEEEPS5_m14custom_greaterIdEEE10hipError_tT0_T1_T2_jT3_P12ihipStream_tbPNSt15iterator_traitsISJ_E10value_typeEPNSP_ISK_E10value_typeEPSL_NS1_7vsmem_tEENKUlT_SJ_SK_SL_E_clIPdSE_SF_SF_EESI_SY_SJ_SK_SL_EUlSY_E_NS1_11comp_targetILNS1_3genE5ELNS1_11target_archE942ELNS1_3gpuE9ELNS1_3repE0EEENS1_48merge_mergepath_partition_config_static_selectorELNS0_4arch9wavefront6targetE1EEEvSK_
    .private_segment_fixed_size: 0
    .sgpr_count:     4
    .sgpr_spill_count: 0
    .symbol:         _ZN7rocprim17ROCPRIM_400000_NS6detail17trampoline_kernelINS0_14default_configENS1_38merge_sort_block_merge_config_selectorIdNS0_10empty_typeEEEZZNS1_27merge_sort_block_merge_implIS3_N6thrust23THRUST_200600_302600_NS6detail15normal_iteratorINS9_10device_ptrIdEEEEPS5_m14custom_greaterIdEEE10hipError_tT0_T1_T2_jT3_P12ihipStream_tbPNSt15iterator_traitsISJ_E10value_typeEPNSP_ISK_E10value_typeEPSL_NS1_7vsmem_tEENKUlT_SJ_SK_SL_E_clIPdSE_SF_SF_EESI_SY_SJ_SK_SL_EUlSY_E_NS1_11comp_targetILNS1_3genE5ELNS1_11target_archE942ELNS1_3gpuE9ELNS1_3repE0EEENS1_48merge_mergepath_partition_config_static_selectorELNS0_4arch9wavefront6targetE1EEEvSK_.kd
    .uniform_work_group_size: 1
    .uses_dynamic_stack: false
    .vgpr_count:     0
    .vgpr_spill_count: 0
    .wavefront_size: 64
  - .agpr_count:     0
    .args:
      - .offset:         0
        .size:           48
        .value_kind:     by_value
    .group_segment_fixed_size: 0
    .kernarg_segment_align: 8
    .kernarg_segment_size: 48
    .language:       OpenCL C
    .language_version:
      - 2
      - 0
    .max_flat_workgroup_size: 128
    .name:           _ZN7rocprim17ROCPRIM_400000_NS6detail17trampoline_kernelINS0_14default_configENS1_38merge_sort_block_merge_config_selectorIdNS0_10empty_typeEEEZZNS1_27merge_sort_block_merge_implIS3_N6thrust23THRUST_200600_302600_NS6detail15normal_iteratorINS9_10device_ptrIdEEEEPS5_m14custom_greaterIdEEE10hipError_tT0_T1_T2_jT3_P12ihipStream_tbPNSt15iterator_traitsISJ_E10value_typeEPNSP_ISK_E10value_typeEPSL_NS1_7vsmem_tEENKUlT_SJ_SK_SL_E_clIPdSE_SF_SF_EESI_SY_SJ_SK_SL_EUlSY_E_NS1_11comp_targetILNS1_3genE4ELNS1_11target_archE910ELNS1_3gpuE8ELNS1_3repE0EEENS1_48merge_mergepath_partition_config_static_selectorELNS0_4arch9wavefront6targetE1EEEvSK_
    .private_segment_fixed_size: 0
    .sgpr_count:     12
    .sgpr_spill_count: 0
    .symbol:         _ZN7rocprim17ROCPRIM_400000_NS6detail17trampoline_kernelINS0_14default_configENS1_38merge_sort_block_merge_config_selectorIdNS0_10empty_typeEEEZZNS1_27merge_sort_block_merge_implIS3_N6thrust23THRUST_200600_302600_NS6detail15normal_iteratorINS9_10device_ptrIdEEEEPS5_m14custom_greaterIdEEE10hipError_tT0_T1_T2_jT3_P12ihipStream_tbPNSt15iterator_traitsISJ_E10value_typeEPNSP_ISK_E10value_typeEPSL_NS1_7vsmem_tEENKUlT_SJ_SK_SL_E_clIPdSE_SF_SF_EESI_SY_SJ_SK_SL_EUlSY_E_NS1_11comp_targetILNS1_3genE4ELNS1_11target_archE910ELNS1_3gpuE8ELNS1_3repE0EEENS1_48merge_mergepath_partition_config_static_selectorELNS0_4arch9wavefront6targetE1EEEvSK_.kd
    .uniform_work_group_size: 1
    .uses_dynamic_stack: false
    .vgpr_count:     22
    .vgpr_spill_count: 0
    .wavefront_size: 64
  - .agpr_count:     0
    .args:
      - .offset:         0
        .size:           48
        .value_kind:     by_value
    .group_segment_fixed_size: 0
    .kernarg_segment_align: 8
    .kernarg_segment_size: 48
    .language:       OpenCL C
    .language_version:
      - 2
      - 0
    .max_flat_workgroup_size: 128
    .name:           _ZN7rocprim17ROCPRIM_400000_NS6detail17trampoline_kernelINS0_14default_configENS1_38merge_sort_block_merge_config_selectorIdNS0_10empty_typeEEEZZNS1_27merge_sort_block_merge_implIS3_N6thrust23THRUST_200600_302600_NS6detail15normal_iteratorINS9_10device_ptrIdEEEEPS5_m14custom_greaterIdEEE10hipError_tT0_T1_T2_jT3_P12ihipStream_tbPNSt15iterator_traitsISJ_E10value_typeEPNSP_ISK_E10value_typeEPSL_NS1_7vsmem_tEENKUlT_SJ_SK_SL_E_clIPdSE_SF_SF_EESI_SY_SJ_SK_SL_EUlSY_E_NS1_11comp_targetILNS1_3genE3ELNS1_11target_archE908ELNS1_3gpuE7ELNS1_3repE0EEENS1_48merge_mergepath_partition_config_static_selectorELNS0_4arch9wavefront6targetE1EEEvSK_
    .private_segment_fixed_size: 0
    .sgpr_count:     4
    .sgpr_spill_count: 0
    .symbol:         _ZN7rocprim17ROCPRIM_400000_NS6detail17trampoline_kernelINS0_14default_configENS1_38merge_sort_block_merge_config_selectorIdNS0_10empty_typeEEEZZNS1_27merge_sort_block_merge_implIS3_N6thrust23THRUST_200600_302600_NS6detail15normal_iteratorINS9_10device_ptrIdEEEEPS5_m14custom_greaterIdEEE10hipError_tT0_T1_T2_jT3_P12ihipStream_tbPNSt15iterator_traitsISJ_E10value_typeEPNSP_ISK_E10value_typeEPSL_NS1_7vsmem_tEENKUlT_SJ_SK_SL_E_clIPdSE_SF_SF_EESI_SY_SJ_SK_SL_EUlSY_E_NS1_11comp_targetILNS1_3genE3ELNS1_11target_archE908ELNS1_3gpuE7ELNS1_3repE0EEENS1_48merge_mergepath_partition_config_static_selectorELNS0_4arch9wavefront6targetE1EEEvSK_.kd
    .uniform_work_group_size: 1
    .uses_dynamic_stack: false
    .vgpr_count:     0
    .vgpr_spill_count: 0
    .wavefront_size: 64
  - .agpr_count:     0
    .args:
      - .offset:         0
        .size:           48
        .value_kind:     by_value
    .group_segment_fixed_size: 0
    .kernarg_segment_align: 8
    .kernarg_segment_size: 48
    .language:       OpenCL C
    .language_version:
      - 2
      - 0
    .max_flat_workgroup_size: 128
    .name:           _ZN7rocprim17ROCPRIM_400000_NS6detail17trampoline_kernelINS0_14default_configENS1_38merge_sort_block_merge_config_selectorIdNS0_10empty_typeEEEZZNS1_27merge_sort_block_merge_implIS3_N6thrust23THRUST_200600_302600_NS6detail15normal_iteratorINS9_10device_ptrIdEEEEPS5_m14custom_greaterIdEEE10hipError_tT0_T1_T2_jT3_P12ihipStream_tbPNSt15iterator_traitsISJ_E10value_typeEPNSP_ISK_E10value_typeEPSL_NS1_7vsmem_tEENKUlT_SJ_SK_SL_E_clIPdSE_SF_SF_EESI_SY_SJ_SK_SL_EUlSY_E_NS1_11comp_targetILNS1_3genE2ELNS1_11target_archE906ELNS1_3gpuE6ELNS1_3repE0EEENS1_48merge_mergepath_partition_config_static_selectorELNS0_4arch9wavefront6targetE1EEEvSK_
    .private_segment_fixed_size: 0
    .sgpr_count:     4
    .sgpr_spill_count: 0
    .symbol:         _ZN7rocprim17ROCPRIM_400000_NS6detail17trampoline_kernelINS0_14default_configENS1_38merge_sort_block_merge_config_selectorIdNS0_10empty_typeEEEZZNS1_27merge_sort_block_merge_implIS3_N6thrust23THRUST_200600_302600_NS6detail15normal_iteratorINS9_10device_ptrIdEEEEPS5_m14custom_greaterIdEEE10hipError_tT0_T1_T2_jT3_P12ihipStream_tbPNSt15iterator_traitsISJ_E10value_typeEPNSP_ISK_E10value_typeEPSL_NS1_7vsmem_tEENKUlT_SJ_SK_SL_E_clIPdSE_SF_SF_EESI_SY_SJ_SK_SL_EUlSY_E_NS1_11comp_targetILNS1_3genE2ELNS1_11target_archE906ELNS1_3gpuE6ELNS1_3repE0EEENS1_48merge_mergepath_partition_config_static_selectorELNS0_4arch9wavefront6targetE1EEEvSK_.kd
    .uniform_work_group_size: 1
    .uses_dynamic_stack: false
    .vgpr_count:     0
    .vgpr_spill_count: 0
    .wavefront_size: 64
  - .agpr_count:     0
    .args:
      - .offset:         0
        .size:           48
        .value_kind:     by_value
    .group_segment_fixed_size: 0
    .kernarg_segment_align: 8
    .kernarg_segment_size: 48
    .language:       OpenCL C
    .language_version:
      - 2
      - 0
    .max_flat_workgroup_size: 128
    .name:           _ZN7rocprim17ROCPRIM_400000_NS6detail17trampoline_kernelINS0_14default_configENS1_38merge_sort_block_merge_config_selectorIdNS0_10empty_typeEEEZZNS1_27merge_sort_block_merge_implIS3_N6thrust23THRUST_200600_302600_NS6detail15normal_iteratorINS9_10device_ptrIdEEEEPS5_m14custom_greaterIdEEE10hipError_tT0_T1_T2_jT3_P12ihipStream_tbPNSt15iterator_traitsISJ_E10value_typeEPNSP_ISK_E10value_typeEPSL_NS1_7vsmem_tEENKUlT_SJ_SK_SL_E_clIPdSE_SF_SF_EESI_SY_SJ_SK_SL_EUlSY_E_NS1_11comp_targetILNS1_3genE9ELNS1_11target_archE1100ELNS1_3gpuE3ELNS1_3repE0EEENS1_48merge_mergepath_partition_config_static_selectorELNS0_4arch9wavefront6targetE1EEEvSK_
    .private_segment_fixed_size: 0
    .sgpr_count:     4
    .sgpr_spill_count: 0
    .symbol:         _ZN7rocprim17ROCPRIM_400000_NS6detail17trampoline_kernelINS0_14default_configENS1_38merge_sort_block_merge_config_selectorIdNS0_10empty_typeEEEZZNS1_27merge_sort_block_merge_implIS3_N6thrust23THRUST_200600_302600_NS6detail15normal_iteratorINS9_10device_ptrIdEEEEPS5_m14custom_greaterIdEEE10hipError_tT0_T1_T2_jT3_P12ihipStream_tbPNSt15iterator_traitsISJ_E10value_typeEPNSP_ISK_E10value_typeEPSL_NS1_7vsmem_tEENKUlT_SJ_SK_SL_E_clIPdSE_SF_SF_EESI_SY_SJ_SK_SL_EUlSY_E_NS1_11comp_targetILNS1_3genE9ELNS1_11target_archE1100ELNS1_3gpuE3ELNS1_3repE0EEENS1_48merge_mergepath_partition_config_static_selectorELNS0_4arch9wavefront6targetE1EEEvSK_.kd
    .uniform_work_group_size: 1
    .uses_dynamic_stack: false
    .vgpr_count:     0
    .vgpr_spill_count: 0
    .wavefront_size: 64
  - .agpr_count:     0
    .args:
      - .offset:         0
        .size:           48
        .value_kind:     by_value
    .group_segment_fixed_size: 0
    .kernarg_segment_align: 8
    .kernarg_segment_size: 48
    .language:       OpenCL C
    .language_version:
      - 2
      - 0
    .max_flat_workgroup_size: 128
    .name:           _ZN7rocprim17ROCPRIM_400000_NS6detail17trampoline_kernelINS0_14default_configENS1_38merge_sort_block_merge_config_selectorIdNS0_10empty_typeEEEZZNS1_27merge_sort_block_merge_implIS3_N6thrust23THRUST_200600_302600_NS6detail15normal_iteratorINS9_10device_ptrIdEEEEPS5_m14custom_greaterIdEEE10hipError_tT0_T1_T2_jT3_P12ihipStream_tbPNSt15iterator_traitsISJ_E10value_typeEPNSP_ISK_E10value_typeEPSL_NS1_7vsmem_tEENKUlT_SJ_SK_SL_E_clIPdSE_SF_SF_EESI_SY_SJ_SK_SL_EUlSY_E_NS1_11comp_targetILNS1_3genE8ELNS1_11target_archE1030ELNS1_3gpuE2ELNS1_3repE0EEENS1_48merge_mergepath_partition_config_static_selectorELNS0_4arch9wavefront6targetE1EEEvSK_
    .private_segment_fixed_size: 0
    .sgpr_count:     4
    .sgpr_spill_count: 0
    .symbol:         _ZN7rocprim17ROCPRIM_400000_NS6detail17trampoline_kernelINS0_14default_configENS1_38merge_sort_block_merge_config_selectorIdNS0_10empty_typeEEEZZNS1_27merge_sort_block_merge_implIS3_N6thrust23THRUST_200600_302600_NS6detail15normal_iteratorINS9_10device_ptrIdEEEEPS5_m14custom_greaterIdEEE10hipError_tT0_T1_T2_jT3_P12ihipStream_tbPNSt15iterator_traitsISJ_E10value_typeEPNSP_ISK_E10value_typeEPSL_NS1_7vsmem_tEENKUlT_SJ_SK_SL_E_clIPdSE_SF_SF_EESI_SY_SJ_SK_SL_EUlSY_E_NS1_11comp_targetILNS1_3genE8ELNS1_11target_archE1030ELNS1_3gpuE2ELNS1_3repE0EEENS1_48merge_mergepath_partition_config_static_selectorELNS0_4arch9wavefront6targetE1EEEvSK_.kd
    .uniform_work_group_size: 1
    .uses_dynamic_stack: false
    .vgpr_count:     0
    .vgpr_spill_count: 0
    .wavefront_size: 64
  - .agpr_count:     0
    .args:
      - .offset:         0
        .size:           72
        .value_kind:     by_value
    .group_segment_fixed_size: 0
    .kernarg_segment_align: 8
    .kernarg_segment_size: 72
    .language:       OpenCL C
    .language_version:
      - 2
      - 0
    .max_flat_workgroup_size: 256
    .name:           _ZN7rocprim17ROCPRIM_400000_NS6detail17trampoline_kernelINS0_14default_configENS1_38merge_sort_block_merge_config_selectorIdNS0_10empty_typeEEEZZNS1_27merge_sort_block_merge_implIS3_N6thrust23THRUST_200600_302600_NS6detail15normal_iteratorINS9_10device_ptrIdEEEEPS5_m14custom_greaterIdEEE10hipError_tT0_T1_T2_jT3_P12ihipStream_tbPNSt15iterator_traitsISJ_E10value_typeEPNSP_ISK_E10value_typeEPSL_NS1_7vsmem_tEENKUlT_SJ_SK_SL_E_clIPdSE_SF_SF_EESI_SY_SJ_SK_SL_EUlSY_E0_NS1_11comp_targetILNS1_3genE0ELNS1_11target_archE4294967295ELNS1_3gpuE0ELNS1_3repE0EEENS1_38merge_mergepath_config_static_selectorELNS0_4arch9wavefront6targetE1EEEvSK_
    .private_segment_fixed_size: 0
    .sgpr_count:     4
    .sgpr_spill_count: 0
    .symbol:         _ZN7rocprim17ROCPRIM_400000_NS6detail17trampoline_kernelINS0_14default_configENS1_38merge_sort_block_merge_config_selectorIdNS0_10empty_typeEEEZZNS1_27merge_sort_block_merge_implIS3_N6thrust23THRUST_200600_302600_NS6detail15normal_iteratorINS9_10device_ptrIdEEEEPS5_m14custom_greaterIdEEE10hipError_tT0_T1_T2_jT3_P12ihipStream_tbPNSt15iterator_traitsISJ_E10value_typeEPNSP_ISK_E10value_typeEPSL_NS1_7vsmem_tEENKUlT_SJ_SK_SL_E_clIPdSE_SF_SF_EESI_SY_SJ_SK_SL_EUlSY_E0_NS1_11comp_targetILNS1_3genE0ELNS1_11target_archE4294967295ELNS1_3gpuE0ELNS1_3repE0EEENS1_38merge_mergepath_config_static_selectorELNS0_4arch9wavefront6targetE1EEEvSK_.kd
    .uniform_work_group_size: 1
    .uses_dynamic_stack: false
    .vgpr_count:     0
    .vgpr_spill_count: 0
    .wavefront_size: 64
  - .agpr_count:     0
    .args:
      - .offset:         0
        .size:           72
        .value_kind:     by_value
    .group_segment_fixed_size: 0
    .kernarg_segment_align: 8
    .kernarg_segment_size: 72
    .language:       OpenCL C
    .language_version:
      - 2
      - 0
    .max_flat_workgroup_size: 512
    .name:           _ZN7rocprim17ROCPRIM_400000_NS6detail17trampoline_kernelINS0_14default_configENS1_38merge_sort_block_merge_config_selectorIdNS0_10empty_typeEEEZZNS1_27merge_sort_block_merge_implIS3_N6thrust23THRUST_200600_302600_NS6detail15normal_iteratorINS9_10device_ptrIdEEEEPS5_m14custom_greaterIdEEE10hipError_tT0_T1_T2_jT3_P12ihipStream_tbPNSt15iterator_traitsISJ_E10value_typeEPNSP_ISK_E10value_typeEPSL_NS1_7vsmem_tEENKUlT_SJ_SK_SL_E_clIPdSE_SF_SF_EESI_SY_SJ_SK_SL_EUlSY_E0_NS1_11comp_targetILNS1_3genE10ELNS1_11target_archE1201ELNS1_3gpuE5ELNS1_3repE0EEENS1_38merge_mergepath_config_static_selectorELNS0_4arch9wavefront6targetE1EEEvSK_
    .private_segment_fixed_size: 0
    .sgpr_count:     4
    .sgpr_spill_count: 0
    .symbol:         _ZN7rocprim17ROCPRIM_400000_NS6detail17trampoline_kernelINS0_14default_configENS1_38merge_sort_block_merge_config_selectorIdNS0_10empty_typeEEEZZNS1_27merge_sort_block_merge_implIS3_N6thrust23THRUST_200600_302600_NS6detail15normal_iteratorINS9_10device_ptrIdEEEEPS5_m14custom_greaterIdEEE10hipError_tT0_T1_T2_jT3_P12ihipStream_tbPNSt15iterator_traitsISJ_E10value_typeEPNSP_ISK_E10value_typeEPSL_NS1_7vsmem_tEENKUlT_SJ_SK_SL_E_clIPdSE_SF_SF_EESI_SY_SJ_SK_SL_EUlSY_E0_NS1_11comp_targetILNS1_3genE10ELNS1_11target_archE1201ELNS1_3gpuE5ELNS1_3repE0EEENS1_38merge_mergepath_config_static_selectorELNS0_4arch9wavefront6targetE1EEEvSK_.kd
    .uniform_work_group_size: 1
    .uses_dynamic_stack: false
    .vgpr_count:     0
    .vgpr_spill_count: 0
    .wavefront_size: 64
  - .agpr_count:     0
    .args:
      - .offset:         0
        .size:           72
        .value_kind:     by_value
    .group_segment_fixed_size: 0
    .kernarg_segment_align: 8
    .kernarg_segment_size: 72
    .language:       OpenCL C
    .language_version:
      - 2
      - 0
    .max_flat_workgroup_size: 256
    .name:           _ZN7rocprim17ROCPRIM_400000_NS6detail17trampoline_kernelINS0_14default_configENS1_38merge_sort_block_merge_config_selectorIdNS0_10empty_typeEEEZZNS1_27merge_sort_block_merge_implIS3_N6thrust23THRUST_200600_302600_NS6detail15normal_iteratorINS9_10device_ptrIdEEEEPS5_m14custom_greaterIdEEE10hipError_tT0_T1_T2_jT3_P12ihipStream_tbPNSt15iterator_traitsISJ_E10value_typeEPNSP_ISK_E10value_typeEPSL_NS1_7vsmem_tEENKUlT_SJ_SK_SL_E_clIPdSE_SF_SF_EESI_SY_SJ_SK_SL_EUlSY_E0_NS1_11comp_targetILNS1_3genE5ELNS1_11target_archE942ELNS1_3gpuE9ELNS1_3repE0EEENS1_38merge_mergepath_config_static_selectorELNS0_4arch9wavefront6targetE1EEEvSK_
    .private_segment_fixed_size: 0
    .sgpr_count:     4
    .sgpr_spill_count: 0
    .symbol:         _ZN7rocprim17ROCPRIM_400000_NS6detail17trampoline_kernelINS0_14default_configENS1_38merge_sort_block_merge_config_selectorIdNS0_10empty_typeEEEZZNS1_27merge_sort_block_merge_implIS3_N6thrust23THRUST_200600_302600_NS6detail15normal_iteratorINS9_10device_ptrIdEEEEPS5_m14custom_greaterIdEEE10hipError_tT0_T1_T2_jT3_P12ihipStream_tbPNSt15iterator_traitsISJ_E10value_typeEPNSP_ISK_E10value_typeEPSL_NS1_7vsmem_tEENKUlT_SJ_SK_SL_E_clIPdSE_SF_SF_EESI_SY_SJ_SK_SL_EUlSY_E0_NS1_11comp_targetILNS1_3genE5ELNS1_11target_archE942ELNS1_3gpuE9ELNS1_3repE0EEENS1_38merge_mergepath_config_static_selectorELNS0_4arch9wavefront6targetE1EEEvSK_.kd
    .uniform_work_group_size: 1
    .uses_dynamic_stack: false
    .vgpr_count:     0
    .vgpr_spill_count: 0
    .wavefront_size: 64
  - .agpr_count:     0
    .args:
      - .offset:         0
        .size:           72
        .value_kind:     by_value
      - .offset:         72
        .size:           4
        .value_kind:     hidden_block_count_x
      - .offset:         76
        .size:           4
        .value_kind:     hidden_block_count_y
      - .offset:         80
        .size:           4
        .value_kind:     hidden_block_count_z
      - .offset:         84
        .size:           2
        .value_kind:     hidden_group_size_x
      - .offset:         86
        .size:           2
        .value_kind:     hidden_group_size_y
      - .offset:         88
        .size:           2
        .value_kind:     hidden_group_size_z
      - .offset:         90
        .size:           2
        .value_kind:     hidden_remainder_x
      - .offset:         92
        .size:           2
        .value_kind:     hidden_remainder_y
      - .offset:         94
        .size:           2
        .value_kind:     hidden_remainder_z
      - .offset:         112
        .size:           8
        .value_kind:     hidden_global_offset_x
      - .offset:         120
        .size:           8
        .value_kind:     hidden_global_offset_y
      - .offset:         128
        .size:           8
        .value_kind:     hidden_global_offset_z
      - .offset:         136
        .size:           2
        .value_kind:     hidden_grid_dims
    .group_segment_fixed_size: 8448
    .kernarg_segment_align: 8
    .kernarg_segment_size: 328
    .language:       OpenCL C
    .language_version:
      - 2
      - 0
    .max_flat_workgroup_size: 256
    .name:           _ZN7rocprim17ROCPRIM_400000_NS6detail17trampoline_kernelINS0_14default_configENS1_38merge_sort_block_merge_config_selectorIdNS0_10empty_typeEEEZZNS1_27merge_sort_block_merge_implIS3_N6thrust23THRUST_200600_302600_NS6detail15normal_iteratorINS9_10device_ptrIdEEEEPS5_m14custom_greaterIdEEE10hipError_tT0_T1_T2_jT3_P12ihipStream_tbPNSt15iterator_traitsISJ_E10value_typeEPNSP_ISK_E10value_typeEPSL_NS1_7vsmem_tEENKUlT_SJ_SK_SL_E_clIPdSE_SF_SF_EESI_SY_SJ_SK_SL_EUlSY_E0_NS1_11comp_targetILNS1_3genE4ELNS1_11target_archE910ELNS1_3gpuE8ELNS1_3repE0EEENS1_38merge_mergepath_config_static_selectorELNS0_4arch9wavefront6targetE1EEEvSK_
    .private_segment_fixed_size: 0
    .sgpr_count:     35
    .sgpr_spill_count: 0
    .symbol:         _ZN7rocprim17ROCPRIM_400000_NS6detail17trampoline_kernelINS0_14default_configENS1_38merge_sort_block_merge_config_selectorIdNS0_10empty_typeEEEZZNS1_27merge_sort_block_merge_implIS3_N6thrust23THRUST_200600_302600_NS6detail15normal_iteratorINS9_10device_ptrIdEEEEPS5_m14custom_greaterIdEEE10hipError_tT0_T1_T2_jT3_P12ihipStream_tbPNSt15iterator_traitsISJ_E10value_typeEPNSP_ISK_E10value_typeEPSL_NS1_7vsmem_tEENKUlT_SJ_SK_SL_E_clIPdSE_SF_SF_EESI_SY_SJ_SK_SL_EUlSY_E0_NS1_11comp_targetILNS1_3genE4ELNS1_11target_archE910ELNS1_3gpuE8ELNS1_3repE0EEENS1_38merge_mergepath_config_static_selectorELNS0_4arch9wavefront6targetE1EEEvSK_.kd
    .uniform_work_group_size: 1
    .uses_dynamic_stack: false
    .vgpr_count:     21
    .vgpr_spill_count: 0
    .wavefront_size: 64
  - .agpr_count:     0
    .args:
      - .offset:         0
        .size:           72
        .value_kind:     by_value
    .group_segment_fixed_size: 0
    .kernarg_segment_align: 8
    .kernarg_segment_size: 72
    .language:       OpenCL C
    .language_version:
      - 2
      - 0
    .max_flat_workgroup_size: 256
    .name:           _ZN7rocprim17ROCPRIM_400000_NS6detail17trampoline_kernelINS0_14default_configENS1_38merge_sort_block_merge_config_selectorIdNS0_10empty_typeEEEZZNS1_27merge_sort_block_merge_implIS3_N6thrust23THRUST_200600_302600_NS6detail15normal_iteratorINS9_10device_ptrIdEEEEPS5_m14custom_greaterIdEEE10hipError_tT0_T1_T2_jT3_P12ihipStream_tbPNSt15iterator_traitsISJ_E10value_typeEPNSP_ISK_E10value_typeEPSL_NS1_7vsmem_tEENKUlT_SJ_SK_SL_E_clIPdSE_SF_SF_EESI_SY_SJ_SK_SL_EUlSY_E0_NS1_11comp_targetILNS1_3genE3ELNS1_11target_archE908ELNS1_3gpuE7ELNS1_3repE0EEENS1_38merge_mergepath_config_static_selectorELNS0_4arch9wavefront6targetE1EEEvSK_
    .private_segment_fixed_size: 0
    .sgpr_count:     4
    .sgpr_spill_count: 0
    .symbol:         _ZN7rocprim17ROCPRIM_400000_NS6detail17trampoline_kernelINS0_14default_configENS1_38merge_sort_block_merge_config_selectorIdNS0_10empty_typeEEEZZNS1_27merge_sort_block_merge_implIS3_N6thrust23THRUST_200600_302600_NS6detail15normal_iteratorINS9_10device_ptrIdEEEEPS5_m14custom_greaterIdEEE10hipError_tT0_T1_T2_jT3_P12ihipStream_tbPNSt15iterator_traitsISJ_E10value_typeEPNSP_ISK_E10value_typeEPSL_NS1_7vsmem_tEENKUlT_SJ_SK_SL_E_clIPdSE_SF_SF_EESI_SY_SJ_SK_SL_EUlSY_E0_NS1_11comp_targetILNS1_3genE3ELNS1_11target_archE908ELNS1_3gpuE7ELNS1_3repE0EEENS1_38merge_mergepath_config_static_selectorELNS0_4arch9wavefront6targetE1EEEvSK_.kd
    .uniform_work_group_size: 1
    .uses_dynamic_stack: false
    .vgpr_count:     0
    .vgpr_spill_count: 0
    .wavefront_size: 64
  - .agpr_count:     0
    .args:
      - .offset:         0
        .size:           72
        .value_kind:     by_value
    .group_segment_fixed_size: 0
    .kernarg_segment_align: 8
    .kernarg_segment_size: 72
    .language:       OpenCL C
    .language_version:
      - 2
      - 0
    .max_flat_workgroup_size: 256
    .name:           _ZN7rocprim17ROCPRIM_400000_NS6detail17trampoline_kernelINS0_14default_configENS1_38merge_sort_block_merge_config_selectorIdNS0_10empty_typeEEEZZNS1_27merge_sort_block_merge_implIS3_N6thrust23THRUST_200600_302600_NS6detail15normal_iteratorINS9_10device_ptrIdEEEEPS5_m14custom_greaterIdEEE10hipError_tT0_T1_T2_jT3_P12ihipStream_tbPNSt15iterator_traitsISJ_E10value_typeEPNSP_ISK_E10value_typeEPSL_NS1_7vsmem_tEENKUlT_SJ_SK_SL_E_clIPdSE_SF_SF_EESI_SY_SJ_SK_SL_EUlSY_E0_NS1_11comp_targetILNS1_3genE2ELNS1_11target_archE906ELNS1_3gpuE6ELNS1_3repE0EEENS1_38merge_mergepath_config_static_selectorELNS0_4arch9wavefront6targetE1EEEvSK_
    .private_segment_fixed_size: 0
    .sgpr_count:     4
    .sgpr_spill_count: 0
    .symbol:         _ZN7rocprim17ROCPRIM_400000_NS6detail17trampoline_kernelINS0_14default_configENS1_38merge_sort_block_merge_config_selectorIdNS0_10empty_typeEEEZZNS1_27merge_sort_block_merge_implIS3_N6thrust23THRUST_200600_302600_NS6detail15normal_iteratorINS9_10device_ptrIdEEEEPS5_m14custom_greaterIdEEE10hipError_tT0_T1_T2_jT3_P12ihipStream_tbPNSt15iterator_traitsISJ_E10value_typeEPNSP_ISK_E10value_typeEPSL_NS1_7vsmem_tEENKUlT_SJ_SK_SL_E_clIPdSE_SF_SF_EESI_SY_SJ_SK_SL_EUlSY_E0_NS1_11comp_targetILNS1_3genE2ELNS1_11target_archE906ELNS1_3gpuE6ELNS1_3repE0EEENS1_38merge_mergepath_config_static_selectorELNS0_4arch9wavefront6targetE1EEEvSK_.kd
    .uniform_work_group_size: 1
    .uses_dynamic_stack: false
    .vgpr_count:     0
    .vgpr_spill_count: 0
    .wavefront_size: 64
  - .agpr_count:     0
    .args:
      - .offset:         0
        .size:           72
        .value_kind:     by_value
    .group_segment_fixed_size: 0
    .kernarg_segment_align: 8
    .kernarg_segment_size: 72
    .language:       OpenCL C
    .language_version:
      - 2
      - 0
    .max_flat_workgroup_size: 512
    .name:           _ZN7rocprim17ROCPRIM_400000_NS6detail17trampoline_kernelINS0_14default_configENS1_38merge_sort_block_merge_config_selectorIdNS0_10empty_typeEEEZZNS1_27merge_sort_block_merge_implIS3_N6thrust23THRUST_200600_302600_NS6detail15normal_iteratorINS9_10device_ptrIdEEEEPS5_m14custom_greaterIdEEE10hipError_tT0_T1_T2_jT3_P12ihipStream_tbPNSt15iterator_traitsISJ_E10value_typeEPNSP_ISK_E10value_typeEPSL_NS1_7vsmem_tEENKUlT_SJ_SK_SL_E_clIPdSE_SF_SF_EESI_SY_SJ_SK_SL_EUlSY_E0_NS1_11comp_targetILNS1_3genE9ELNS1_11target_archE1100ELNS1_3gpuE3ELNS1_3repE0EEENS1_38merge_mergepath_config_static_selectorELNS0_4arch9wavefront6targetE1EEEvSK_
    .private_segment_fixed_size: 0
    .sgpr_count:     4
    .sgpr_spill_count: 0
    .symbol:         _ZN7rocprim17ROCPRIM_400000_NS6detail17trampoline_kernelINS0_14default_configENS1_38merge_sort_block_merge_config_selectorIdNS0_10empty_typeEEEZZNS1_27merge_sort_block_merge_implIS3_N6thrust23THRUST_200600_302600_NS6detail15normal_iteratorINS9_10device_ptrIdEEEEPS5_m14custom_greaterIdEEE10hipError_tT0_T1_T2_jT3_P12ihipStream_tbPNSt15iterator_traitsISJ_E10value_typeEPNSP_ISK_E10value_typeEPSL_NS1_7vsmem_tEENKUlT_SJ_SK_SL_E_clIPdSE_SF_SF_EESI_SY_SJ_SK_SL_EUlSY_E0_NS1_11comp_targetILNS1_3genE9ELNS1_11target_archE1100ELNS1_3gpuE3ELNS1_3repE0EEENS1_38merge_mergepath_config_static_selectorELNS0_4arch9wavefront6targetE1EEEvSK_.kd
    .uniform_work_group_size: 1
    .uses_dynamic_stack: false
    .vgpr_count:     0
    .vgpr_spill_count: 0
    .wavefront_size: 64
  - .agpr_count:     0
    .args:
      - .offset:         0
        .size:           72
        .value_kind:     by_value
    .group_segment_fixed_size: 0
    .kernarg_segment_align: 8
    .kernarg_segment_size: 72
    .language:       OpenCL C
    .language_version:
      - 2
      - 0
    .max_flat_workgroup_size: 1024
    .name:           _ZN7rocprim17ROCPRIM_400000_NS6detail17trampoline_kernelINS0_14default_configENS1_38merge_sort_block_merge_config_selectorIdNS0_10empty_typeEEEZZNS1_27merge_sort_block_merge_implIS3_N6thrust23THRUST_200600_302600_NS6detail15normal_iteratorINS9_10device_ptrIdEEEEPS5_m14custom_greaterIdEEE10hipError_tT0_T1_T2_jT3_P12ihipStream_tbPNSt15iterator_traitsISJ_E10value_typeEPNSP_ISK_E10value_typeEPSL_NS1_7vsmem_tEENKUlT_SJ_SK_SL_E_clIPdSE_SF_SF_EESI_SY_SJ_SK_SL_EUlSY_E0_NS1_11comp_targetILNS1_3genE8ELNS1_11target_archE1030ELNS1_3gpuE2ELNS1_3repE0EEENS1_38merge_mergepath_config_static_selectorELNS0_4arch9wavefront6targetE1EEEvSK_
    .private_segment_fixed_size: 0
    .sgpr_count:     4
    .sgpr_spill_count: 0
    .symbol:         _ZN7rocprim17ROCPRIM_400000_NS6detail17trampoline_kernelINS0_14default_configENS1_38merge_sort_block_merge_config_selectorIdNS0_10empty_typeEEEZZNS1_27merge_sort_block_merge_implIS3_N6thrust23THRUST_200600_302600_NS6detail15normal_iteratorINS9_10device_ptrIdEEEEPS5_m14custom_greaterIdEEE10hipError_tT0_T1_T2_jT3_P12ihipStream_tbPNSt15iterator_traitsISJ_E10value_typeEPNSP_ISK_E10value_typeEPSL_NS1_7vsmem_tEENKUlT_SJ_SK_SL_E_clIPdSE_SF_SF_EESI_SY_SJ_SK_SL_EUlSY_E0_NS1_11comp_targetILNS1_3genE8ELNS1_11target_archE1030ELNS1_3gpuE2ELNS1_3repE0EEENS1_38merge_mergepath_config_static_selectorELNS0_4arch9wavefront6targetE1EEEvSK_.kd
    .uniform_work_group_size: 1
    .uses_dynamic_stack: false
    .vgpr_count:     0
    .vgpr_spill_count: 0
    .wavefront_size: 64
  - .agpr_count:     0
    .args:
      - .offset:         0
        .size:           56
        .value_kind:     by_value
    .group_segment_fixed_size: 0
    .kernarg_segment_align: 8
    .kernarg_segment_size: 56
    .language:       OpenCL C
    .language_version:
      - 2
      - 0
    .max_flat_workgroup_size: 256
    .name:           _ZN7rocprim17ROCPRIM_400000_NS6detail17trampoline_kernelINS0_14default_configENS1_38merge_sort_block_merge_config_selectorIdNS0_10empty_typeEEEZZNS1_27merge_sort_block_merge_implIS3_N6thrust23THRUST_200600_302600_NS6detail15normal_iteratorINS9_10device_ptrIdEEEEPS5_m14custom_greaterIdEEE10hipError_tT0_T1_T2_jT3_P12ihipStream_tbPNSt15iterator_traitsISJ_E10value_typeEPNSP_ISK_E10value_typeEPSL_NS1_7vsmem_tEENKUlT_SJ_SK_SL_E_clIPdSE_SF_SF_EESI_SY_SJ_SK_SL_EUlSY_E1_NS1_11comp_targetILNS1_3genE0ELNS1_11target_archE4294967295ELNS1_3gpuE0ELNS1_3repE0EEENS1_36merge_oddeven_config_static_selectorELNS0_4arch9wavefront6targetE1EEEvSK_
    .private_segment_fixed_size: 0
    .sgpr_count:     4
    .sgpr_spill_count: 0
    .symbol:         _ZN7rocprim17ROCPRIM_400000_NS6detail17trampoline_kernelINS0_14default_configENS1_38merge_sort_block_merge_config_selectorIdNS0_10empty_typeEEEZZNS1_27merge_sort_block_merge_implIS3_N6thrust23THRUST_200600_302600_NS6detail15normal_iteratorINS9_10device_ptrIdEEEEPS5_m14custom_greaterIdEEE10hipError_tT0_T1_T2_jT3_P12ihipStream_tbPNSt15iterator_traitsISJ_E10value_typeEPNSP_ISK_E10value_typeEPSL_NS1_7vsmem_tEENKUlT_SJ_SK_SL_E_clIPdSE_SF_SF_EESI_SY_SJ_SK_SL_EUlSY_E1_NS1_11comp_targetILNS1_3genE0ELNS1_11target_archE4294967295ELNS1_3gpuE0ELNS1_3repE0EEENS1_36merge_oddeven_config_static_selectorELNS0_4arch9wavefront6targetE1EEEvSK_.kd
    .uniform_work_group_size: 1
    .uses_dynamic_stack: false
    .vgpr_count:     0
    .vgpr_spill_count: 0
    .wavefront_size: 64
  - .agpr_count:     0
    .args:
      - .offset:         0
        .size:           56
        .value_kind:     by_value
    .group_segment_fixed_size: 0
    .kernarg_segment_align: 8
    .kernarg_segment_size: 56
    .language:       OpenCL C
    .language_version:
      - 2
      - 0
    .max_flat_workgroup_size: 256
    .name:           _ZN7rocprim17ROCPRIM_400000_NS6detail17trampoline_kernelINS0_14default_configENS1_38merge_sort_block_merge_config_selectorIdNS0_10empty_typeEEEZZNS1_27merge_sort_block_merge_implIS3_N6thrust23THRUST_200600_302600_NS6detail15normal_iteratorINS9_10device_ptrIdEEEEPS5_m14custom_greaterIdEEE10hipError_tT0_T1_T2_jT3_P12ihipStream_tbPNSt15iterator_traitsISJ_E10value_typeEPNSP_ISK_E10value_typeEPSL_NS1_7vsmem_tEENKUlT_SJ_SK_SL_E_clIPdSE_SF_SF_EESI_SY_SJ_SK_SL_EUlSY_E1_NS1_11comp_targetILNS1_3genE10ELNS1_11target_archE1201ELNS1_3gpuE5ELNS1_3repE0EEENS1_36merge_oddeven_config_static_selectorELNS0_4arch9wavefront6targetE1EEEvSK_
    .private_segment_fixed_size: 0
    .sgpr_count:     4
    .sgpr_spill_count: 0
    .symbol:         _ZN7rocprim17ROCPRIM_400000_NS6detail17trampoline_kernelINS0_14default_configENS1_38merge_sort_block_merge_config_selectorIdNS0_10empty_typeEEEZZNS1_27merge_sort_block_merge_implIS3_N6thrust23THRUST_200600_302600_NS6detail15normal_iteratorINS9_10device_ptrIdEEEEPS5_m14custom_greaterIdEEE10hipError_tT0_T1_T2_jT3_P12ihipStream_tbPNSt15iterator_traitsISJ_E10value_typeEPNSP_ISK_E10value_typeEPSL_NS1_7vsmem_tEENKUlT_SJ_SK_SL_E_clIPdSE_SF_SF_EESI_SY_SJ_SK_SL_EUlSY_E1_NS1_11comp_targetILNS1_3genE10ELNS1_11target_archE1201ELNS1_3gpuE5ELNS1_3repE0EEENS1_36merge_oddeven_config_static_selectorELNS0_4arch9wavefront6targetE1EEEvSK_.kd
    .uniform_work_group_size: 1
    .uses_dynamic_stack: false
    .vgpr_count:     0
    .vgpr_spill_count: 0
    .wavefront_size: 64
  - .agpr_count:     0
    .args:
      - .offset:         0
        .size:           56
        .value_kind:     by_value
    .group_segment_fixed_size: 0
    .kernarg_segment_align: 8
    .kernarg_segment_size: 56
    .language:       OpenCL C
    .language_version:
      - 2
      - 0
    .max_flat_workgroup_size: 256
    .name:           _ZN7rocprim17ROCPRIM_400000_NS6detail17trampoline_kernelINS0_14default_configENS1_38merge_sort_block_merge_config_selectorIdNS0_10empty_typeEEEZZNS1_27merge_sort_block_merge_implIS3_N6thrust23THRUST_200600_302600_NS6detail15normal_iteratorINS9_10device_ptrIdEEEEPS5_m14custom_greaterIdEEE10hipError_tT0_T1_T2_jT3_P12ihipStream_tbPNSt15iterator_traitsISJ_E10value_typeEPNSP_ISK_E10value_typeEPSL_NS1_7vsmem_tEENKUlT_SJ_SK_SL_E_clIPdSE_SF_SF_EESI_SY_SJ_SK_SL_EUlSY_E1_NS1_11comp_targetILNS1_3genE5ELNS1_11target_archE942ELNS1_3gpuE9ELNS1_3repE0EEENS1_36merge_oddeven_config_static_selectorELNS0_4arch9wavefront6targetE1EEEvSK_
    .private_segment_fixed_size: 0
    .sgpr_count:     4
    .sgpr_spill_count: 0
    .symbol:         _ZN7rocprim17ROCPRIM_400000_NS6detail17trampoline_kernelINS0_14default_configENS1_38merge_sort_block_merge_config_selectorIdNS0_10empty_typeEEEZZNS1_27merge_sort_block_merge_implIS3_N6thrust23THRUST_200600_302600_NS6detail15normal_iteratorINS9_10device_ptrIdEEEEPS5_m14custom_greaterIdEEE10hipError_tT0_T1_T2_jT3_P12ihipStream_tbPNSt15iterator_traitsISJ_E10value_typeEPNSP_ISK_E10value_typeEPSL_NS1_7vsmem_tEENKUlT_SJ_SK_SL_E_clIPdSE_SF_SF_EESI_SY_SJ_SK_SL_EUlSY_E1_NS1_11comp_targetILNS1_3genE5ELNS1_11target_archE942ELNS1_3gpuE9ELNS1_3repE0EEENS1_36merge_oddeven_config_static_selectorELNS0_4arch9wavefront6targetE1EEEvSK_.kd
    .uniform_work_group_size: 1
    .uses_dynamic_stack: false
    .vgpr_count:     0
    .vgpr_spill_count: 0
    .wavefront_size: 64
  - .agpr_count:     0
    .args:
      - .offset:         0
        .size:           56
        .value_kind:     by_value
    .group_segment_fixed_size: 0
    .kernarg_segment_align: 8
    .kernarg_segment_size: 56
    .language:       OpenCL C
    .language_version:
      - 2
      - 0
    .max_flat_workgroup_size: 256
    .name:           _ZN7rocprim17ROCPRIM_400000_NS6detail17trampoline_kernelINS0_14default_configENS1_38merge_sort_block_merge_config_selectorIdNS0_10empty_typeEEEZZNS1_27merge_sort_block_merge_implIS3_N6thrust23THRUST_200600_302600_NS6detail15normal_iteratorINS9_10device_ptrIdEEEEPS5_m14custom_greaterIdEEE10hipError_tT0_T1_T2_jT3_P12ihipStream_tbPNSt15iterator_traitsISJ_E10value_typeEPNSP_ISK_E10value_typeEPSL_NS1_7vsmem_tEENKUlT_SJ_SK_SL_E_clIPdSE_SF_SF_EESI_SY_SJ_SK_SL_EUlSY_E1_NS1_11comp_targetILNS1_3genE4ELNS1_11target_archE910ELNS1_3gpuE8ELNS1_3repE0EEENS1_36merge_oddeven_config_static_selectorELNS0_4arch9wavefront6targetE1EEEvSK_
    .private_segment_fixed_size: 0
    .sgpr_count:     25
    .sgpr_spill_count: 0
    .symbol:         _ZN7rocprim17ROCPRIM_400000_NS6detail17trampoline_kernelINS0_14default_configENS1_38merge_sort_block_merge_config_selectorIdNS0_10empty_typeEEEZZNS1_27merge_sort_block_merge_implIS3_N6thrust23THRUST_200600_302600_NS6detail15normal_iteratorINS9_10device_ptrIdEEEEPS5_m14custom_greaterIdEEE10hipError_tT0_T1_T2_jT3_P12ihipStream_tbPNSt15iterator_traitsISJ_E10value_typeEPNSP_ISK_E10value_typeEPSL_NS1_7vsmem_tEENKUlT_SJ_SK_SL_E_clIPdSE_SF_SF_EESI_SY_SJ_SK_SL_EUlSY_E1_NS1_11comp_targetILNS1_3genE4ELNS1_11target_archE910ELNS1_3gpuE8ELNS1_3repE0EEENS1_36merge_oddeven_config_static_selectorELNS0_4arch9wavefront6targetE1EEEvSK_.kd
    .uniform_work_group_size: 1
    .uses_dynamic_stack: false
    .vgpr_count:     12
    .vgpr_spill_count: 0
    .wavefront_size: 64
  - .agpr_count:     0
    .args:
      - .offset:         0
        .size:           56
        .value_kind:     by_value
    .group_segment_fixed_size: 0
    .kernarg_segment_align: 8
    .kernarg_segment_size: 56
    .language:       OpenCL C
    .language_version:
      - 2
      - 0
    .max_flat_workgroup_size: 256
    .name:           _ZN7rocprim17ROCPRIM_400000_NS6detail17trampoline_kernelINS0_14default_configENS1_38merge_sort_block_merge_config_selectorIdNS0_10empty_typeEEEZZNS1_27merge_sort_block_merge_implIS3_N6thrust23THRUST_200600_302600_NS6detail15normal_iteratorINS9_10device_ptrIdEEEEPS5_m14custom_greaterIdEEE10hipError_tT0_T1_T2_jT3_P12ihipStream_tbPNSt15iterator_traitsISJ_E10value_typeEPNSP_ISK_E10value_typeEPSL_NS1_7vsmem_tEENKUlT_SJ_SK_SL_E_clIPdSE_SF_SF_EESI_SY_SJ_SK_SL_EUlSY_E1_NS1_11comp_targetILNS1_3genE3ELNS1_11target_archE908ELNS1_3gpuE7ELNS1_3repE0EEENS1_36merge_oddeven_config_static_selectorELNS0_4arch9wavefront6targetE1EEEvSK_
    .private_segment_fixed_size: 0
    .sgpr_count:     4
    .sgpr_spill_count: 0
    .symbol:         _ZN7rocprim17ROCPRIM_400000_NS6detail17trampoline_kernelINS0_14default_configENS1_38merge_sort_block_merge_config_selectorIdNS0_10empty_typeEEEZZNS1_27merge_sort_block_merge_implIS3_N6thrust23THRUST_200600_302600_NS6detail15normal_iteratorINS9_10device_ptrIdEEEEPS5_m14custom_greaterIdEEE10hipError_tT0_T1_T2_jT3_P12ihipStream_tbPNSt15iterator_traitsISJ_E10value_typeEPNSP_ISK_E10value_typeEPSL_NS1_7vsmem_tEENKUlT_SJ_SK_SL_E_clIPdSE_SF_SF_EESI_SY_SJ_SK_SL_EUlSY_E1_NS1_11comp_targetILNS1_3genE3ELNS1_11target_archE908ELNS1_3gpuE7ELNS1_3repE0EEENS1_36merge_oddeven_config_static_selectorELNS0_4arch9wavefront6targetE1EEEvSK_.kd
    .uniform_work_group_size: 1
    .uses_dynamic_stack: false
    .vgpr_count:     0
    .vgpr_spill_count: 0
    .wavefront_size: 64
  - .agpr_count:     0
    .args:
      - .offset:         0
        .size:           56
        .value_kind:     by_value
    .group_segment_fixed_size: 0
    .kernarg_segment_align: 8
    .kernarg_segment_size: 56
    .language:       OpenCL C
    .language_version:
      - 2
      - 0
    .max_flat_workgroup_size: 256
    .name:           _ZN7rocprim17ROCPRIM_400000_NS6detail17trampoline_kernelINS0_14default_configENS1_38merge_sort_block_merge_config_selectorIdNS0_10empty_typeEEEZZNS1_27merge_sort_block_merge_implIS3_N6thrust23THRUST_200600_302600_NS6detail15normal_iteratorINS9_10device_ptrIdEEEEPS5_m14custom_greaterIdEEE10hipError_tT0_T1_T2_jT3_P12ihipStream_tbPNSt15iterator_traitsISJ_E10value_typeEPNSP_ISK_E10value_typeEPSL_NS1_7vsmem_tEENKUlT_SJ_SK_SL_E_clIPdSE_SF_SF_EESI_SY_SJ_SK_SL_EUlSY_E1_NS1_11comp_targetILNS1_3genE2ELNS1_11target_archE906ELNS1_3gpuE6ELNS1_3repE0EEENS1_36merge_oddeven_config_static_selectorELNS0_4arch9wavefront6targetE1EEEvSK_
    .private_segment_fixed_size: 0
    .sgpr_count:     4
    .sgpr_spill_count: 0
    .symbol:         _ZN7rocprim17ROCPRIM_400000_NS6detail17trampoline_kernelINS0_14default_configENS1_38merge_sort_block_merge_config_selectorIdNS0_10empty_typeEEEZZNS1_27merge_sort_block_merge_implIS3_N6thrust23THRUST_200600_302600_NS6detail15normal_iteratorINS9_10device_ptrIdEEEEPS5_m14custom_greaterIdEEE10hipError_tT0_T1_T2_jT3_P12ihipStream_tbPNSt15iterator_traitsISJ_E10value_typeEPNSP_ISK_E10value_typeEPSL_NS1_7vsmem_tEENKUlT_SJ_SK_SL_E_clIPdSE_SF_SF_EESI_SY_SJ_SK_SL_EUlSY_E1_NS1_11comp_targetILNS1_3genE2ELNS1_11target_archE906ELNS1_3gpuE6ELNS1_3repE0EEENS1_36merge_oddeven_config_static_selectorELNS0_4arch9wavefront6targetE1EEEvSK_.kd
    .uniform_work_group_size: 1
    .uses_dynamic_stack: false
    .vgpr_count:     0
    .vgpr_spill_count: 0
    .wavefront_size: 64
  - .agpr_count:     0
    .args:
      - .offset:         0
        .size:           56
        .value_kind:     by_value
    .group_segment_fixed_size: 0
    .kernarg_segment_align: 8
    .kernarg_segment_size: 56
    .language:       OpenCL C
    .language_version:
      - 2
      - 0
    .max_flat_workgroup_size: 256
    .name:           _ZN7rocprim17ROCPRIM_400000_NS6detail17trampoline_kernelINS0_14default_configENS1_38merge_sort_block_merge_config_selectorIdNS0_10empty_typeEEEZZNS1_27merge_sort_block_merge_implIS3_N6thrust23THRUST_200600_302600_NS6detail15normal_iteratorINS9_10device_ptrIdEEEEPS5_m14custom_greaterIdEEE10hipError_tT0_T1_T2_jT3_P12ihipStream_tbPNSt15iterator_traitsISJ_E10value_typeEPNSP_ISK_E10value_typeEPSL_NS1_7vsmem_tEENKUlT_SJ_SK_SL_E_clIPdSE_SF_SF_EESI_SY_SJ_SK_SL_EUlSY_E1_NS1_11comp_targetILNS1_3genE9ELNS1_11target_archE1100ELNS1_3gpuE3ELNS1_3repE0EEENS1_36merge_oddeven_config_static_selectorELNS0_4arch9wavefront6targetE1EEEvSK_
    .private_segment_fixed_size: 0
    .sgpr_count:     4
    .sgpr_spill_count: 0
    .symbol:         _ZN7rocprim17ROCPRIM_400000_NS6detail17trampoline_kernelINS0_14default_configENS1_38merge_sort_block_merge_config_selectorIdNS0_10empty_typeEEEZZNS1_27merge_sort_block_merge_implIS3_N6thrust23THRUST_200600_302600_NS6detail15normal_iteratorINS9_10device_ptrIdEEEEPS5_m14custom_greaterIdEEE10hipError_tT0_T1_T2_jT3_P12ihipStream_tbPNSt15iterator_traitsISJ_E10value_typeEPNSP_ISK_E10value_typeEPSL_NS1_7vsmem_tEENKUlT_SJ_SK_SL_E_clIPdSE_SF_SF_EESI_SY_SJ_SK_SL_EUlSY_E1_NS1_11comp_targetILNS1_3genE9ELNS1_11target_archE1100ELNS1_3gpuE3ELNS1_3repE0EEENS1_36merge_oddeven_config_static_selectorELNS0_4arch9wavefront6targetE1EEEvSK_.kd
    .uniform_work_group_size: 1
    .uses_dynamic_stack: false
    .vgpr_count:     0
    .vgpr_spill_count: 0
    .wavefront_size: 64
  - .agpr_count:     0
    .args:
      - .offset:         0
        .size:           56
        .value_kind:     by_value
    .group_segment_fixed_size: 0
    .kernarg_segment_align: 8
    .kernarg_segment_size: 56
    .language:       OpenCL C
    .language_version:
      - 2
      - 0
    .max_flat_workgroup_size: 256
    .name:           _ZN7rocprim17ROCPRIM_400000_NS6detail17trampoline_kernelINS0_14default_configENS1_38merge_sort_block_merge_config_selectorIdNS0_10empty_typeEEEZZNS1_27merge_sort_block_merge_implIS3_N6thrust23THRUST_200600_302600_NS6detail15normal_iteratorINS9_10device_ptrIdEEEEPS5_m14custom_greaterIdEEE10hipError_tT0_T1_T2_jT3_P12ihipStream_tbPNSt15iterator_traitsISJ_E10value_typeEPNSP_ISK_E10value_typeEPSL_NS1_7vsmem_tEENKUlT_SJ_SK_SL_E_clIPdSE_SF_SF_EESI_SY_SJ_SK_SL_EUlSY_E1_NS1_11comp_targetILNS1_3genE8ELNS1_11target_archE1030ELNS1_3gpuE2ELNS1_3repE0EEENS1_36merge_oddeven_config_static_selectorELNS0_4arch9wavefront6targetE1EEEvSK_
    .private_segment_fixed_size: 0
    .sgpr_count:     4
    .sgpr_spill_count: 0
    .symbol:         _ZN7rocprim17ROCPRIM_400000_NS6detail17trampoline_kernelINS0_14default_configENS1_38merge_sort_block_merge_config_selectorIdNS0_10empty_typeEEEZZNS1_27merge_sort_block_merge_implIS3_N6thrust23THRUST_200600_302600_NS6detail15normal_iteratorINS9_10device_ptrIdEEEEPS5_m14custom_greaterIdEEE10hipError_tT0_T1_T2_jT3_P12ihipStream_tbPNSt15iterator_traitsISJ_E10value_typeEPNSP_ISK_E10value_typeEPSL_NS1_7vsmem_tEENKUlT_SJ_SK_SL_E_clIPdSE_SF_SF_EESI_SY_SJ_SK_SL_EUlSY_E1_NS1_11comp_targetILNS1_3genE8ELNS1_11target_archE1030ELNS1_3gpuE2ELNS1_3repE0EEENS1_36merge_oddeven_config_static_selectorELNS0_4arch9wavefront6targetE1EEEvSK_.kd
    .uniform_work_group_size: 1
    .uses_dynamic_stack: false
    .vgpr_count:     0
    .vgpr_spill_count: 0
    .wavefront_size: 64
  - .agpr_count:     0
    .args:
      - .offset:         0
        .size:           48
        .value_kind:     by_value
    .group_segment_fixed_size: 0
    .kernarg_segment_align: 8
    .kernarg_segment_size: 48
    .language:       OpenCL C
    .language_version:
      - 2
      - 0
    .max_flat_workgroup_size: 128
    .name:           _ZN7rocprim17ROCPRIM_400000_NS6detail17trampoline_kernelINS0_14default_configENS1_38merge_sort_block_merge_config_selectorIdNS0_10empty_typeEEEZZNS1_27merge_sort_block_merge_implIS3_N6thrust23THRUST_200600_302600_NS6detail15normal_iteratorINS9_10device_ptrIdEEEEPS5_m14custom_greaterIdEEE10hipError_tT0_T1_T2_jT3_P12ihipStream_tbPNSt15iterator_traitsISJ_E10value_typeEPNSP_ISK_E10value_typeEPSL_NS1_7vsmem_tEENKUlT_SJ_SK_SL_E_clISE_PdSF_SF_EESI_SY_SJ_SK_SL_EUlSY_E_NS1_11comp_targetILNS1_3genE0ELNS1_11target_archE4294967295ELNS1_3gpuE0ELNS1_3repE0EEENS1_48merge_mergepath_partition_config_static_selectorELNS0_4arch9wavefront6targetE1EEEvSK_
    .private_segment_fixed_size: 0
    .sgpr_count:     4
    .sgpr_spill_count: 0
    .symbol:         _ZN7rocprim17ROCPRIM_400000_NS6detail17trampoline_kernelINS0_14default_configENS1_38merge_sort_block_merge_config_selectorIdNS0_10empty_typeEEEZZNS1_27merge_sort_block_merge_implIS3_N6thrust23THRUST_200600_302600_NS6detail15normal_iteratorINS9_10device_ptrIdEEEEPS5_m14custom_greaterIdEEE10hipError_tT0_T1_T2_jT3_P12ihipStream_tbPNSt15iterator_traitsISJ_E10value_typeEPNSP_ISK_E10value_typeEPSL_NS1_7vsmem_tEENKUlT_SJ_SK_SL_E_clISE_PdSF_SF_EESI_SY_SJ_SK_SL_EUlSY_E_NS1_11comp_targetILNS1_3genE0ELNS1_11target_archE4294967295ELNS1_3gpuE0ELNS1_3repE0EEENS1_48merge_mergepath_partition_config_static_selectorELNS0_4arch9wavefront6targetE1EEEvSK_.kd
    .uniform_work_group_size: 1
    .uses_dynamic_stack: false
    .vgpr_count:     0
    .vgpr_spill_count: 0
    .wavefront_size: 64
  - .agpr_count:     0
    .args:
      - .offset:         0
        .size:           48
        .value_kind:     by_value
    .group_segment_fixed_size: 0
    .kernarg_segment_align: 8
    .kernarg_segment_size: 48
    .language:       OpenCL C
    .language_version:
      - 2
      - 0
    .max_flat_workgroup_size: 128
    .name:           _ZN7rocprim17ROCPRIM_400000_NS6detail17trampoline_kernelINS0_14default_configENS1_38merge_sort_block_merge_config_selectorIdNS0_10empty_typeEEEZZNS1_27merge_sort_block_merge_implIS3_N6thrust23THRUST_200600_302600_NS6detail15normal_iteratorINS9_10device_ptrIdEEEEPS5_m14custom_greaterIdEEE10hipError_tT0_T1_T2_jT3_P12ihipStream_tbPNSt15iterator_traitsISJ_E10value_typeEPNSP_ISK_E10value_typeEPSL_NS1_7vsmem_tEENKUlT_SJ_SK_SL_E_clISE_PdSF_SF_EESI_SY_SJ_SK_SL_EUlSY_E_NS1_11comp_targetILNS1_3genE10ELNS1_11target_archE1201ELNS1_3gpuE5ELNS1_3repE0EEENS1_48merge_mergepath_partition_config_static_selectorELNS0_4arch9wavefront6targetE1EEEvSK_
    .private_segment_fixed_size: 0
    .sgpr_count:     4
    .sgpr_spill_count: 0
    .symbol:         _ZN7rocprim17ROCPRIM_400000_NS6detail17trampoline_kernelINS0_14default_configENS1_38merge_sort_block_merge_config_selectorIdNS0_10empty_typeEEEZZNS1_27merge_sort_block_merge_implIS3_N6thrust23THRUST_200600_302600_NS6detail15normal_iteratorINS9_10device_ptrIdEEEEPS5_m14custom_greaterIdEEE10hipError_tT0_T1_T2_jT3_P12ihipStream_tbPNSt15iterator_traitsISJ_E10value_typeEPNSP_ISK_E10value_typeEPSL_NS1_7vsmem_tEENKUlT_SJ_SK_SL_E_clISE_PdSF_SF_EESI_SY_SJ_SK_SL_EUlSY_E_NS1_11comp_targetILNS1_3genE10ELNS1_11target_archE1201ELNS1_3gpuE5ELNS1_3repE0EEENS1_48merge_mergepath_partition_config_static_selectorELNS0_4arch9wavefront6targetE1EEEvSK_.kd
    .uniform_work_group_size: 1
    .uses_dynamic_stack: false
    .vgpr_count:     0
    .vgpr_spill_count: 0
    .wavefront_size: 64
  - .agpr_count:     0
    .args:
      - .offset:         0
        .size:           48
        .value_kind:     by_value
    .group_segment_fixed_size: 0
    .kernarg_segment_align: 8
    .kernarg_segment_size: 48
    .language:       OpenCL C
    .language_version:
      - 2
      - 0
    .max_flat_workgroup_size: 128
    .name:           _ZN7rocprim17ROCPRIM_400000_NS6detail17trampoline_kernelINS0_14default_configENS1_38merge_sort_block_merge_config_selectorIdNS0_10empty_typeEEEZZNS1_27merge_sort_block_merge_implIS3_N6thrust23THRUST_200600_302600_NS6detail15normal_iteratorINS9_10device_ptrIdEEEEPS5_m14custom_greaterIdEEE10hipError_tT0_T1_T2_jT3_P12ihipStream_tbPNSt15iterator_traitsISJ_E10value_typeEPNSP_ISK_E10value_typeEPSL_NS1_7vsmem_tEENKUlT_SJ_SK_SL_E_clISE_PdSF_SF_EESI_SY_SJ_SK_SL_EUlSY_E_NS1_11comp_targetILNS1_3genE5ELNS1_11target_archE942ELNS1_3gpuE9ELNS1_3repE0EEENS1_48merge_mergepath_partition_config_static_selectorELNS0_4arch9wavefront6targetE1EEEvSK_
    .private_segment_fixed_size: 0
    .sgpr_count:     4
    .sgpr_spill_count: 0
    .symbol:         _ZN7rocprim17ROCPRIM_400000_NS6detail17trampoline_kernelINS0_14default_configENS1_38merge_sort_block_merge_config_selectorIdNS0_10empty_typeEEEZZNS1_27merge_sort_block_merge_implIS3_N6thrust23THRUST_200600_302600_NS6detail15normal_iteratorINS9_10device_ptrIdEEEEPS5_m14custom_greaterIdEEE10hipError_tT0_T1_T2_jT3_P12ihipStream_tbPNSt15iterator_traitsISJ_E10value_typeEPNSP_ISK_E10value_typeEPSL_NS1_7vsmem_tEENKUlT_SJ_SK_SL_E_clISE_PdSF_SF_EESI_SY_SJ_SK_SL_EUlSY_E_NS1_11comp_targetILNS1_3genE5ELNS1_11target_archE942ELNS1_3gpuE9ELNS1_3repE0EEENS1_48merge_mergepath_partition_config_static_selectorELNS0_4arch9wavefront6targetE1EEEvSK_.kd
    .uniform_work_group_size: 1
    .uses_dynamic_stack: false
    .vgpr_count:     0
    .vgpr_spill_count: 0
    .wavefront_size: 64
  - .agpr_count:     0
    .args:
      - .offset:         0
        .size:           48
        .value_kind:     by_value
    .group_segment_fixed_size: 0
    .kernarg_segment_align: 8
    .kernarg_segment_size: 48
    .language:       OpenCL C
    .language_version:
      - 2
      - 0
    .max_flat_workgroup_size: 128
    .name:           _ZN7rocprim17ROCPRIM_400000_NS6detail17trampoline_kernelINS0_14default_configENS1_38merge_sort_block_merge_config_selectorIdNS0_10empty_typeEEEZZNS1_27merge_sort_block_merge_implIS3_N6thrust23THRUST_200600_302600_NS6detail15normal_iteratorINS9_10device_ptrIdEEEEPS5_m14custom_greaterIdEEE10hipError_tT0_T1_T2_jT3_P12ihipStream_tbPNSt15iterator_traitsISJ_E10value_typeEPNSP_ISK_E10value_typeEPSL_NS1_7vsmem_tEENKUlT_SJ_SK_SL_E_clISE_PdSF_SF_EESI_SY_SJ_SK_SL_EUlSY_E_NS1_11comp_targetILNS1_3genE4ELNS1_11target_archE910ELNS1_3gpuE8ELNS1_3repE0EEENS1_48merge_mergepath_partition_config_static_selectorELNS0_4arch9wavefront6targetE1EEEvSK_
    .private_segment_fixed_size: 0
    .sgpr_count:     12
    .sgpr_spill_count: 0
    .symbol:         _ZN7rocprim17ROCPRIM_400000_NS6detail17trampoline_kernelINS0_14default_configENS1_38merge_sort_block_merge_config_selectorIdNS0_10empty_typeEEEZZNS1_27merge_sort_block_merge_implIS3_N6thrust23THRUST_200600_302600_NS6detail15normal_iteratorINS9_10device_ptrIdEEEEPS5_m14custom_greaterIdEEE10hipError_tT0_T1_T2_jT3_P12ihipStream_tbPNSt15iterator_traitsISJ_E10value_typeEPNSP_ISK_E10value_typeEPSL_NS1_7vsmem_tEENKUlT_SJ_SK_SL_E_clISE_PdSF_SF_EESI_SY_SJ_SK_SL_EUlSY_E_NS1_11comp_targetILNS1_3genE4ELNS1_11target_archE910ELNS1_3gpuE8ELNS1_3repE0EEENS1_48merge_mergepath_partition_config_static_selectorELNS0_4arch9wavefront6targetE1EEEvSK_.kd
    .uniform_work_group_size: 1
    .uses_dynamic_stack: false
    .vgpr_count:     22
    .vgpr_spill_count: 0
    .wavefront_size: 64
  - .agpr_count:     0
    .args:
      - .offset:         0
        .size:           48
        .value_kind:     by_value
    .group_segment_fixed_size: 0
    .kernarg_segment_align: 8
    .kernarg_segment_size: 48
    .language:       OpenCL C
    .language_version:
      - 2
      - 0
    .max_flat_workgroup_size: 128
    .name:           _ZN7rocprim17ROCPRIM_400000_NS6detail17trampoline_kernelINS0_14default_configENS1_38merge_sort_block_merge_config_selectorIdNS0_10empty_typeEEEZZNS1_27merge_sort_block_merge_implIS3_N6thrust23THRUST_200600_302600_NS6detail15normal_iteratorINS9_10device_ptrIdEEEEPS5_m14custom_greaterIdEEE10hipError_tT0_T1_T2_jT3_P12ihipStream_tbPNSt15iterator_traitsISJ_E10value_typeEPNSP_ISK_E10value_typeEPSL_NS1_7vsmem_tEENKUlT_SJ_SK_SL_E_clISE_PdSF_SF_EESI_SY_SJ_SK_SL_EUlSY_E_NS1_11comp_targetILNS1_3genE3ELNS1_11target_archE908ELNS1_3gpuE7ELNS1_3repE0EEENS1_48merge_mergepath_partition_config_static_selectorELNS0_4arch9wavefront6targetE1EEEvSK_
    .private_segment_fixed_size: 0
    .sgpr_count:     4
    .sgpr_spill_count: 0
    .symbol:         _ZN7rocprim17ROCPRIM_400000_NS6detail17trampoline_kernelINS0_14default_configENS1_38merge_sort_block_merge_config_selectorIdNS0_10empty_typeEEEZZNS1_27merge_sort_block_merge_implIS3_N6thrust23THRUST_200600_302600_NS6detail15normal_iteratorINS9_10device_ptrIdEEEEPS5_m14custom_greaterIdEEE10hipError_tT0_T1_T2_jT3_P12ihipStream_tbPNSt15iterator_traitsISJ_E10value_typeEPNSP_ISK_E10value_typeEPSL_NS1_7vsmem_tEENKUlT_SJ_SK_SL_E_clISE_PdSF_SF_EESI_SY_SJ_SK_SL_EUlSY_E_NS1_11comp_targetILNS1_3genE3ELNS1_11target_archE908ELNS1_3gpuE7ELNS1_3repE0EEENS1_48merge_mergepath_partition_config_static_selectorELNS0_4arch9wavefront6targetE1EEEvSK_.kd
    .uniform_work_group_size: 1
    .uses_dynamic_stack: false
    .vgpr_count:     0
    .vgpr_spill_count: 0
    .wavefront_size: 64
  - .agpr_count:     0
    .args:
      - .offset:         0
        .size:           48
        .value_kind:     by_value
    .group_segment_fixed_size: 0
    .kernarg_segment_align: 8
    .kernarg_segment_size: 48
    .language:       OpenCL C
    .language_version:
      - 2
      - 0
    .max_flat_workgroup_size: 128
    .name:           _ZN7rocprim17ROCPRIM_400000_NS6detail17trampoline_kernelINS0_14default_configENS1_38merge_sort_block_merge_config_selectorIdNS0_10empty_typeEEEZZNS1_27merge_sort_block_merge_implIS3_N6thrust23THRUST_200600_302600_NS6detail15normal_iteratorINS9_10device_ptrIdEEEEPS5_m14custom_greaterIdEEE10hipError_tT0_T1_T2_jT3_P12ihipStream_tbPNSt15iterator_traitsISJ_E10value_typeEPNSP_ISK_E10value_typeEPSL_NS1_7vsmem_tEENKUlT_SJ_SK_SL_E_clISE_PdSF_SF_EESI_SY_SJ_SK_SL_EUlSY_E_NS1_11comp_targetILNS1_3genE2ELNS1_11target_archE906ELNS1_3gpuE6ELNS1_3repE0EEENS1_48merge_mergepath_partition_config_static_selectorELNS0_4arch9wavefront6targetE1EEEvSK_
    .private_segment_fixed_size: 0
    .sgpr_count:     4
    .sgpr_spill_count: 0
    .symbol:         _ZN7rocprim17ROCPRIM_400000_NS6detail17trampoline_kernelINS0_14default_configENS1_38merge_sort_block_merge_config_selectorIdNS0_10empty_typeEEEZZNS1_27merge_sort_block_merge_implIS3_N6thrust23THRUST_200600_302600_NS6detail15normal_iteratorINS9_10device_ptrIdEEEEPS5_m14custom_greaterIdEEE10hipError_tT0_T1_T2_jT3_P12ihipStream_tbPNSt15iterator_traitsISJ_E10value_typeEPNSP_ISK_E10value_typeEPSL_NS1_7vsmem_tEENKUlT_SJ_SK_SL_E_clISE_PdSF_SF_EESI_SY_SJ_SK_SL_EUlSY_E_NS1_11comp_targetILNS1_3genE2ELNS1_11target_archE906ELNS1_3gpuE6ELNS1_3repE0EEENS1_48merge_mergepath_partition_config_static_selectorELNS0_4arch9wavefront6targetE1EEEvSK_.kd
    .uniform_work_group_size: 1
    .uses_dynamic_stack: false
    .vgpr_count:     0
    .vgpr_spill_count: 0
    .wavefront_size: 64
  - .agpr_count:     0
    .args:
      - .offset:         0
        .size:           48
        .value_kind:     by_value
    .group_segment_fixed_size: 0
    .kernarg_segment_align: 8
    .kernarg_segment_size: 48
    .language:       OpenCL C
    .language_version:
      - 2
      - 0
    .max_flat_workgroup_size: 128
    .name:           _ZN7rocprim17ROCPRIM_400000_NS6detail17trampoline_kernelINS0_14default_configENS1_38merge_sort_block_merge_config_selectorIdNS0_10empty_typeEEEZZNS1_27merge_sort_block_merge_implIS3_N6thrust23THRUST_200600_302600_NS6detail15normal_iteratorINS9_10device_ptrIdEEEEPS5_m14custom_greaterIdEEE10hipError_tT0_T1_T2_jT3_P12ihipStream_tbPNSt15iterator_traitsISJ_E10value_typeEPNSP_ISK_E10value_typeEPSL_NS1_7vsmem_tEENKUlT_SJ_SK_SL_E_clISE_PdSF_SF_EESI_SY_SJ_SK_SL_EUlSY_E_NS1_11comp_targetILNS1_3genE9ELNS1_11target_archE1100ELNS1_3gpuE3ELNS1_3repE0EEENS1_48merge_mergepath_partition_config_static_selectorELNS0_4arch9wavefront6targetE1EEEvSK_
    .private_segment_fixed_size: 0
    .sgpr_count:     4
    .sgpr_spill_count: 0
    .symbol:         _ZN7rocprim17ROCPRIM_400000_NS6detail17trampoline_kernelINS0_14default_configENS1_38merge_sort_block_merge_config_selectorIdNS0_10empty_typeEEEZZNS1_27merge_sort_block_merge_implIS3_N6thrust23THRUST_200600_302600_NS6detail15normal_iteratorINS9_10device_ptrIdEEEEPS5_m14custom_greaterIdEEE10hipError_tT0_T1_T2_jT3_P12ihipStream_tbPNSt15iterator_traitsISJ_E10value_typeEPNSP_ISK_E10value_typeEPSL_NS1_7vsmem_tEENKUlT_SJ_SK_SL_E_clISE_PdSF_SF_EESI_SY_SJ_SK_SL_EUlSY_E_NS1_11comp_targetILNS1_3genE9ELNS1_11target_archE1100ELNS1_3gpuE3ELNS1_3repE0EEENS1_48merge_mergepath_partition_config_static_selectorELNS0_4arch9wavefront6targetE1EEEvSK_.kd
    .uniform_work_group_size: 1
    .uses_dynamic_stack: false
    .vgpr_count:     0
    .vgpr_spill_count: 0
    .wavefront_size: 64
  - .agpr_count:     0
    .args:
      - .offset:         0
        .size:           48
        .value_kind:     by_value
    .group_segment_fixed_size: 0
    .kernarg_segment_align: 8
    .kernarg_segment_size: 48
    .language:       OpenCL C
    .language_version:
      - 2
      - 0
    .max_flat_workgroup_size: 128
    .name:           _ZN7rocprim17ROCPRIM_400000_NS6detail17trampoline_kernelINS0_14default_configENS1_38merge_sort_block_merge_config_selectorIdNS0_10empty_typeEEEZZNS1_27merge_sort_block_merge_implIS3_N6thrust23THRUST_200600_302600_NS6detail15normal_iteratorINS9_10device_ptrIdEEEEPS5_m14custom_greaterIdEEE10hipError_tT0_T1_T2_jT3_P12ihipStream_tbPNSt15iterator_traitsISJ_E10value_typeEPNSP_ISK_E10value_typeEPSL_NS1_7vsmem_tEENKUlT_SJ_SK_SL_E_clISE_PdSF_SF_EESI_SY_SJ_SK_SL_EUlSY_E_NS1_11comp_targetILNS1_3genE8ELNS1_11target_archE1030ELNS1_3gpuE2ELNS1_3repE0EEENS1_48merge_mergepath_partition_config_static_selectorELNS0_4arch9wavefront6targetE1EEEvSK_
    .private_segment_fixed_size: 0
    .sgpr_count:     4
    .sgpr_spill_count: 0
    .symbol:         _ZN7rocprim17ROCPRIM_400000_NS6detail17trampoline_kernelINS0_14default_configENS1_38merge_sort_block_merge_config_selectorIdNS0_10empty_typeEEEZZNS1_27merge_sort_block_merge_implIS3_N6thrust23THRUST_200600_302600_NS6detail15normal_iteratorINS9_10device_ptrIdEEEEPS5_m14custom_greaterIdEEE10hipError_tT0_T1_T2_jT3_P12ihipStream_tbPNSt15iterator_traitsISJ_E10value_typeEPNSP_ISK_E10value_typeEPSL_NS1_7vsmem_tEENKUlT_SJ_SK_SL_E_clISE_PdSF_SF_EESI_SY_SJ_SK_SL_EUlSY_E_NS1_11comp_targetILNS1_3genE8ELNS1_11target_archE1030ELNS1_3gpuE2ELNS1_3repE0EEENS1_48merge_mergepath_partition_config_static_selectorELNS0_4arch9wavefront6targetE1EEEvSK_.kd
    .uniform_work_group_size: 1
    .uses_dynamic_stack: false
    .vgpr_count:     0
    .vgpr_spill_count: 0
    .wavefront_size: 64
  - .agpr_count:     0
    .args:
      - .offset:         0
        .size:           72
        .value_kind:     by_value
    .group_segment_fixed_size: 0
    .kernarg_segment_align: 8
    .kernarg_segment_size: 72
    .language:       OpenCL C
    .language_version:
      - 2
      - 0
    .max_flat_workgroup_size: 256
    .name:           _ZN7rocprim17ROCPRIM_400000_NS6detail17trampoline_kernelINS0_14default_configENS1_38merge_sort_block_merge_config_selectorIdNS0_10empty_typeEEEZZNS1_27merge_sort_block_merge_implIS3_N6thrust23THRUST_200600_302600_NS6detail15normal_iteratorINS9_10device_ptrIdEEEEPS5_m14custom_greaterIdEEE10hipError_tT0_T1_T2_jT3_P12ihipStream_tbPNSt15iterator_traitsISJ_E10value_typeEPNSP_ISK_E10value_typeEPSL_NS1_7vsmem_tEENKUlT_SJ_SK_SL_E_clISE_PdSF_SF_EESI_SY_SJ_SK_SL_EUlSY_E0_NS1_11comp_targetILNS1_3genE0ELNS1_11target_archE4294967295ELNS1_3gpuE0ELNS1_3repE0EEENS1_38merge_mergepath_config_static_selectorELNS0_4arch9wavefront6targetE1EEEvSK_
    .private_segment_fixed_size: 0
    .sgpr_count:     4
    .sgpr_spill_count: 0
    .symbol:         _ZN7rocprim17ROCPRIM_400000_NS6detail17trampoline_kernelINS0_14default_configENS1_38merge_sort_block_merge_config_selectorIdNS0_10empty_typeEEEZZNS1_27merge_sort_block_merge_implIS3_N6thrust23THRUST_200600_302600_NS6detail15normal_iteratorINS9_10device_ptrIdEEEEPS5_m14custom_greaterIdEEE10hipError_tT0_T1_T2_jT3_P12ihipStream_tbPNSt15iterator_traitsISJ_E10value_typeEPNSP_ISK_E10value_typeEPSL_NS1_7vsmem_tEENKUlT_SJ_SK_SL_E_clISE_PdSF_SF_EESI_SY_SJ_SK_SL_EUlSY_E0_NS1_11comp_targetILNS1_3genE0ELNS1_11target_archE4294967295ELNS1_3gpuE0ELNS1_3repE0EEENS1_38merge_mergepath_config_static_selectorELNS0_4arch9wavefront6targetE1EEEvSK_.kd
    .uniform_work_group_size: 1
    .uses_dynamic_stack: false
    .vgpr_count:     0
    .vgpr_spill_count: 0
    .wavefront_size: 64
  - .agpr_count:     0
    .args:
      - .offset:         0
        .size:           72
        .value_kind:     by_value
    .group_segment_fixed_size: 0
    .kernarg_segment_align: 8
    .kernarg_segment_size: 72
    .language:       OpenCL C
    .language_version:
      - 2
      - 0
    .max_flat_workgroup_size: 512
    .name:           _ZN7rocprim17ROCPRIM_400000_NS6detail17trampoline_kernelINS0_14default_configENS1_38merge_sort_block_merge_config_selectorIdNS0_10empty_typeEEEZZNS1_27merge_sort_block_merge_implIS3_N6thrust23THRUST_200600_302600_NS6detail15normal_iteratorINS9_10device_ptrIdEEEEPS5_m14custom_greaterIdEEE10hipError_tT0_T1_T2_jT3_P12ihipStream_tbPNSt15iterator_traitsISJ_E10value_typeEPNSP_ISK_E10value_typeEPSL_NS1_7vsmem_tEENKUlT_SJ_SK_SL_E_clISE_PdSF_SF_EESI_SY_SJ_SK_SL_EUlSY_E0_NS1_11comp_targetILNS1_3genE10ELNS1_11target_archE1201ELNS1_3gpuE5ELNS1_3repE0EEENS1_38merge_mergepath_config_static_selectorELNS0_4arch9wavefront6targetE1EEEvSK_
    .private_segment_fixed_size: 0
    .sgpr_count:     4
    .sgpr_spill_count: 0
    .symbol:         _ZN7rocprim17ROCPRIM_400000_NS6detail17trampoline_kernelINS0_14default_configENS1_38merge_sort_block_merge_config_selectorIdNS0_10empty_typeEEEZZNS1_27merge_sort_block_merge_implIS3_N6thrust23THRUST_200600_302600_NS6detail15normal_iteratorINS9_10device_ptrIdEEEEPS5_m14custom_greaterIdEEE10hipError_tT0_T1_T2_jT3_P12ihipStream_tbPNSt15iterator_traitsISJ_E10value_typeEPNSP_ISK_E10value_typeEPSL_NS1_7vsmem_tEENKUlT_SJ_SK_SL_E_clISE_PdSF_SF_EESI_SY_SJ_SK_SL_EUlSY_E0_NS1_11comp_targetILNS1_3genE10ELNS1_11target_archE1201ELNS1_3gpuE5ELNS1_3repE0EEENS1_38merge_mergepath_config_static_selectorELNS0_4arch9wavefront6targetE1EEEvSK_.kd
    .uniform_work_group_size: 1
    .uses_dynamic_stack: false
    .vgpr_count:     0
    .vgpr_spill_count: 0
    .wavefront_size: 64
  - .agpr_count:     0
    .args:
      - .offset:         0
        .size:           72
        .value_kind:     by_value
    .group_segment_fixed_size: 0
    .kernarg_segment_align: 8
    .kernarg_segment_size: 72
    .language:       OpenCL C
    .language_version:
      - 2
      - 0
    .max_flat_workgroup_size: 256
    .name:           _ZN7rocprim17ROCPRIM_400000_NS6detail17trampoline_kernelINS0_14default_configENS1_38merge_sort_block_merge_config_selectorIdNS0_10empty_typeEEEZZNS1_27merge_sort_block_merge_implIS3_N6thrust23THRUST_200600_302600_NS6detail15normal_iteratorINS9_10device_ptrIdEEEEPS5_m14custom_greaterIdEEE10hipError_tT0_T1_T2_jT3_P12ihipStream_tbPNSt15iterator_traitsISJ_E10value_typeEPNSP_ISK_E10value_typeEPSL_NS1_7vsmem_tEENKUlT_SJ_SK_SL_E_clISE_PdSF_SF_EESI_SY_SJ_SK_SL_EUlSY_E0_NS1_11comp_targetILNS1_3genE5ELNS1_11target_archE942ELNS1_3gpuE9ELNS1_3repE0EEENS1_38merge_mergepath_config_static_selectorELNS0_4arch9wavefront6targetE1EEEvSK_
    .private_segment_fixed_size: 0
    .sgpr_count:     4
    .sgpr_spill_count: 0
    .symbol:         _ZN7rocprim17ROCPRIM_400000_NS6detail17trampoline_kernelINS0_14default_configENS1_38merge_sort_block_merge_config_selectorIdNS0_10empty_typeEEEZZNS1_27merge_sort_block_merge_implIS3_N6thrust23THRUST_200600_302600_NS6detail15normal_iteratorINS9_10device_ptrIdEEEEPS5_m14custom_greaterIdEEE10hipError_tT0_T1_T2_jT3_P12ihipStream_tbPNSt15iterator_traitsISJ_E10value_typeEPNSP_ISK_E10value_typeEPSL_NS1_7vsmem_tEENKUlT_SJ_SK_SL_E_clISE_PdSF_SF_EESI_SY_SJ_SK_SL_EUlSY_E0_NS1_11comp_targetILNS1_3genE5ELNS1_11target_archE942ELNS1_3gpuE9ELNS1_3repE0EEENS1_38merge_mergepath_config_static_selectorELNS0_4arch9wavefront6targetE1EEEvSK_.kd
    .uniform_work_group_size: 1
    .uses_dynamic_stack: false
    .vgpr_count:     0
    .vgpr_spill_count: 0
    .wavefront_size: 64
  - .agpr_count:     0
    .args:
      - .offset:         0
        .size:           72
        .value_kind:     by_value
      - .offset:         72
        .size:           4
        .value_kind:     hidden_block_count_x
      - .offset:         76
        .size:           4
        .value_kind:     hidden_block_count_y
      - .offset:         80
        .size:           4
        .value_kind:     hidden_block_count_z
      - .offset:         84
        .size:           2
        .value_kind:     hidden_group_size_x
      - .offset:         86
        .size:           2
        .value_kind:     hidden_group_size_y
      - .offset:         88
        .size:           2
        .value_kind:     hidden_group_size_z
      - .offset:         90
        .size:           2
        .value_kind:     hidden_remainder_x
      - .offset:         92
        .size:           2
        .value_kind:     hidden_remainder_y
      - .offset:         94
        .size:           2
        .value_kind:     hidden_remainder_z
      - .offset:         112
        .size:           8
        .value_kind:     hidden_global_offset_x
      - .offset:         120
        .size:           8
        .value_kind:     hidden_global_offset_y
      - .offset:         128
        .size:           8
        .value_kind:     hidden_global_offset_z
      - .offset:         136
        .size:           2
        .value_kind:     hidden_grid_dims
    .group_segment_fixed_size: 8448
    .kernarg_segment_align: 8
    .kernarg_segment_size: 328
    .language:       OpenCL C
    .language_version:
      - 2
      - 0
    .max_flat_workgroup_size: 256
    .name:           _ZN7rocprim17ROCPRIM_400000_NS6detail17trampoline_kernelINS0_14default_configENS1_38merge_sort_block_merge_config_selectorIdNS0_10empty_typeEEEZZNS1_27merge_sort_block_merge_implIS3_N6thrust23THRUST_200600_302600_NS6detail15normal_iteratorINS9_10device_ptrIdEEEEPS5_m14custom_greaterIdEEE10hipError_tT0_T1_T2_jT3_P12ihipStream_tbPNSt15iterator_traitsISJ_E10value_typeEPNSP_ISK_E10value_typeEPSL_NS1_7vsmem_tEENKUlT_SJ_SK_SL_E_clISE_PdSF_SF_EESI_SY_SJ_SK_SL_EUlSY_E0_NS1_11comp_targetILNS1_3genE4ELNS1_11target_archE910ELNS1_3gpuE8ELNS1_3repE0EEENS1_38merge_mergepath_config_static_selectorELNS0_4arch9wavefront6targetE1EEEvSK_
    .private_segment_fixed_size: 0
    .sgpr_count:     35
    .sgpr_spill_count: 0
    .symbol:         _ZN7rocprim17ROCPRIM_400000_NS6detail17trampoline_kernelINS0_14default_configENS1_38merge_sort_block_merge_config_selectorIdNS0_10empty_typeEEEZZNS1_27merge_sort_block_merge_implIS3_N6thrust23THRUST_200600_302600_NS6detail15normal_iteratorINS9_10device_ptrIdEEEEPS5_m14custom_greaterIdEEE10hipError_tT0_T1_T2_jT3_P12ihipStream_tbPNSt15iterator_traitsISJ_E10value_typeEPNSP_ISK_E10value_typeEPSL_NS1_7vsmem_tEENKUlT_SJ_SK_SL_E_clISE_PdSF_SF_EESI_SY_SJ_SK_SL_EUlSY_E0_NS1_11comp_targetILNS1_3genE4ELNS1_11target_archE910ELNS1_3gpuE8ELNS1_3repE0EEENS1_38merge_mergepath_config_static_selectorELNS0_4arch9wavefront6targetE1EEEvSK_.kd
    .uniform_work_group_size: 1
    .uses_dynamic_stack: false
    .vgpr_count:     22
    .vgpr_spill_count: 0
    .wavefront_size: 64
  - .agpr_count:     0
    .args:
      - .offset:         0
        .size:           72
        .value_kind:     by_value
    .group_segment_fixed_size: 0
    .kernarg_segment_align: 8
    .kernarg_segment_size: 72
    .language:       OpenCL C
    .language_version:
      - 2
      - 0
    .max_flat_workgroup_size: 256
    .name:           _ZN7rocprim17ROCPRIM_400000_NS6detail17trampoline_kernelINS0_14default_configENS1_38merge_sort_block_merge_config_selectorIdNS0_10empty_typeEEEZZNS1_27merge_sort_block_merge_implIS3_N6thrust23THRUST_200600_302600_NS6detail15normal_iteratorINS9_10device_ptrIdEEEEPS5_m14custom_greaterIdEEE10hipError_tT0_T1_T2_jT3_P12ihipStream_tbPNSt15iterator_traitsISJ_E10value_typeEPNSP_ISK_E10value_typeEPSL_NS1_7vsmem_tEENKUlT_SJ_SK_SL_E_clISE_PdSF_SF_EESI_SY_SJ_SK_SL_EUlSY_E0_NS1_11comp_targetILNS1_3genE3ELNS1_11target_archE908ELNS1_3gpuE7ELNS1_3repE0EEENS1_38merge_mergepath_config_static_selectorELNS0_4arch9wavefront6targetE1EEEvSK_
    .private_segment_fixed_size: 0
    .sgpr_count:     4
    .sgpr_spill_count: 0
    .symbol:         _ZN7rocprim17ROCPRIM_400000_NS6detail17trampoline_kernelINS0_14default_configENS1_38merge_sort_block_merge_config_selectorIdNS0_10empty_typeEEEZZNS1_27merge_sort_block_merge_implIS3_N6thrust23THRUST_200600_302600_NS6detail15normal_iteratorINS9_10device_ptrIdEEEEPS5_m14custom_greaterIdEEE10hipError_tT0_T1_T2_jT3_P12ihipStream_tbPNSt15iterator_traitsISJ_E10value_typeEPNSP_ISK_E10value_typeEPSL_NS1_7vsmem_tEENKUlT_SJ_SK_SL_E_clISE_PdSF_SF_EESI_SY_SJ_SK_SL_EUlSY_E0_NS1_11comp_targetILNS1_3genE3ELNS1_11target_archE908ELNS1_3gpuE7ELNS1_3repE0EEENS1_38merge_mergepath_config_static_selectorELNS0_4arch9wavefront6targetE1EEEvSK_.kd
    .uniform_work_group_size: 1
    .uses_dynamic_stack: false
    .vgpr_count:     0
    .vgpr_spill_count: 0
    .wavefront_size: 64
  - .agpr_count:     0
    .args:
      - .offset:         0
        .size:           72
        .value_kind:     by_value
    .group_segment_fixed_size: 0
    .kernarg_segment_align: 8
    .kernarg_segment_size: 72
    .language:       OpenCL C
    .language_version:
      - 2
      - 0
    .max_flat_workgroup_size: 256
    .name:           _ZN7rocprim17ROCPRIM_400000_NS6detail17trampoline_kernelINS0_14default_configENS1_38merge_sort_block_merge_config_selectorIdNS0_10empty_typeEEEZZNS1_27merge_sort_block_merge_implIS3_N6thrust23THRUST_200600_302600_NS6detail15normal_iteratorINS9_10device_ptrIdEEEEPS5_m14custom_greaterIdEEE10hipError_tT0_T1_T2_jT3_P12ihipStream_tbPNSt15iterator_traitsISJ_E10value_typeEPNSP_ISK_E10value_typeEPSL_NS1_7vsmem_tEENKUlT_SJ_SK_SL_E_clISE_PdSF_SF_EESI_SY_SJ_SK_SL_EUlSY_E0_NS1_11comp_targetILNS1_3genE2ELNS1_11target_archE906ELNS1_3gpuE6ELNS1_3repE0EEENS1_38merge_mergepath_config_static_selectorELNS0_4arch9wavefront6targetE1EEEvSK_
    .private_segment_fixed_size: 0
    .sgpr_count:     4
    .sgpr_spill_count: 0
    .symbol:         _ZN7rocprim17ROCPRIM_400000_NS6detail17trampoline_kernelINS0_14default_configENS1_38merge_sort_block_merge_config_selectorIdNS0_10empty_typeEEEZZNS1_27merge_sort_block_merge_implIS3_N6thrust23THRUST_200600_302600_NS6detail15normal_iteratorINS9_10device_ptrIdEEEEPS5_m14custom_greaterIdEEE10hipError_tT0_T1_T2_jT3_P12ihipStream_tbPNSt15iterator_traitsISJ_E10value_typeEPNSP_ISK_E10value_typeEPSL_NS1_7vsmem_tEENKUlT_SJ_SK_SL_E_clISE_PdSF_SF_EESI_SY_SJ_SK_SL_EUlSY_E0_NS1_11comp_targetILNS1_3genE2ELNS1_11target_archE906ELNS1_3gpuE6ELNS1_3repE0EEENS1_38merge_mergepath_config_static_selectorELNS0_4arch9wavefront6targetE1EEEvSK_.kd
    .uniform_work_group_size: 1
    .uses_dynamic_stack: false
    .vgpr_count:     0
    .vgpr_spill_count: 0
    .wavefront_size: 64
  - .agpr_count:     0
    .args:
      - .offset:         0
        .size:           72
        .value_kind:     by_value
    .group_segment_fixed_size: 0
    .kernarg_segment_align: 8
    .kernarg_segment_size: 72
    .language:       OpenCL C
    .language_version:
      - 2
      - 0
    .max_flat_workgroup_size: 512
    .name:           _ZN7rocprim17ROCPRIM_400000_NS6detail17trampoline_kernelINS0_14default_configENS1_38merge_sort_block_merge_config_selectorIdNS0_10empty_typeEEEZZNS1_27merge_sort_block_merge_implIS3_N6thrust23THRUST_200600_302600_NS6detail15normal_iteratorINS9_10device_ptrIdEEEEPS5_m14custom_greaterIdEEE10hipError_tT0_T1_T2_jT3_P12ihipStream_tbPNSt15iterator_traitsISJ_E10value_typeEPNSP_ISK_E10value_typeEPSL_NS1_7vsmem_tEENKUlT_SJ_SK_SL_E_clISE_PdSF_SF_EESI_SY_SJ_SK_SL_EUlSY_E0_NS1_11comp_targetILNS1_3genE9ELNS1_11target_archE1100ELNS1_3gpuE3ELNS1_3repE0EEENS1_38merge_mergepath_config_static_selectorELNS0_4arch9wavefront6targetE1EEEvSK_
    .private_segment_fixed_size: 0
    .sgpr_count:     4
    .sgpr_spill_count: 0
    .symbol:         _ZN7rocprim17ROCPRIM_400000_NS6detail17trampoline_kernelINS0_14default_configENS1_38merge_sort_block_merge_config_selectorIdNS0_10empty_typeEEEZZNS1_27merge_sort_block_merge_implIS3_N6thrust23THRUST_200600_302600_NS6detail15normal_iteratorINS9_10device_ptrIdEEEEPS5_m14custom_greaterIdEEE10hipError_tT0_T1_T2_jT3_P12ihipStream_tbPNSt15iterator_traitsISJ_E10value_typeEPNSP_ISK_E10value_typeEPSL_NS1_7vsmem_tEENKUlT_SJ_SK_SL_E_clISE_PdSF_SF_EESI_SY_SJ_SK_SL_EUlSY_E0_NS1_11comp_targetILNS1_3genE9ELNS1_11target_archE1100ELNS1_3gpuE3ELNS1_3repE0EEENS1_38merge_mergepath_config_static_selectorELNS0_4arch9wavefront6targetE1EEEvSK_.kd
    .uniform_work_group_size: 1
    .uses_dynamic_stack: false
    .vgpr_count:     0
    .vgpr_spill_count: 0
    .wavefront_size: 64
  - .agpr_count:     0
    .args:
      - .offset:         0
        .size:           72
        .value_kind:     by_value
    .group_segment_fixed_size: 0
    .kernarg_segment_align: 8
    .kernarg_segment_size: 72
    .language:       OpenCL C
    .language_version:
      - 2
      - 0
    .max_flat_workgroup_size: 1024
    .name:           _ZN7rocprim17ROCPRIM_400000_NS6detail17trampoline_kernelINS0_14default_configENS1_38merge_sort_block_merge_config_selectorIdNS0_10empty_typeEEEZZNS1_27merge_sort_block_merge_implIS3_N6thrust23THRUST_200600_302600_NS6detail15normal_iteratorINS9_10device_ptrIdEEEEPS5_m14custom_greaterIdEEE10hipError_tT0_T1_T2_jT3_P12ihipStream_tbPNSt15iterator_traitsISJ_E10value_typeEPNSP_ISK_E10value_typeEPSL_NS1_7vsmem_tEENKUlT_SJ_SK_SL_E_clISE_PdSF_SF_EESI_SY_SJ_SK_SL_EUlSY_E0_NS1_11comp_targetILNS1_3genE8ELNS1_11target_archE1030ELNS1_3gpuE2ELNS1_3repE0EEENS1_38merge_mergepath_config_static_selectorELNS0_4arch9wavefront6targetE1EEEvSK_
    .private_segment_fixed_size: 0
    .sgpr_count:     4
    .sgpr_spill_count: 0
    .symbol:         _ZN7rocprim17ROCPRIM_400000_NS6detail17trampoline_kernelINS0_14default_configENS1_38merge_sort_block_merge_config_selectorIdNS0_10empty_typeEEEZZNS1_27merge_sort_block_merge_implIS3_N6thrust23THRUST_200600_302600_NS6detail15normal_iteratorINS9_10device_ptrIdEEEEPS5_m14custom_greaterIdEEE10hipError_tT0_T1_T2_jT3_P12ihipStream_tbPNSt15iterator_traitsISJ_E10value_typeEPNSP_ISK_E10value_typeEPSL_NS1_7vsmem_tEENKUlT_SJ_SK_SL_E_clISE_PdSF_SF_EESI_SY_SJ_SK_SL_EUlSY_E0_NS1_11comp_targetILNS1_3genE8ELNS1_11target_archE1030ELNS1_3gpuE2ELNS1_3repE0EEENS1_38merge_mergepath_config_static_selectorELNS0_4arch9wavefront6targetE1EEEvSK_.kd
    .uniform_work_group_size: 1
    .uses_dynamic_stack: false
    .vgpr_count:     0
    .vgpr_spill_count: 0
    .wavefront_size: 64
  - .agpr_count:     0
    .args:
      - .offset:         0
        .size:           56
        .value_kind:     by_value
    .group_segment_fixed_size: 0
    .kernarg_segment_align: 8
    .kernarg_segment_size: 56
    .language:       OpenCL C
    .language_version:
      - 2
      - 0
    .max_flat_workgroup_size: 256
    .name:           _ZN7rocprim17ROCPRIM_400000_NS6detail17trampoline_kernelINS0_14default_configENS1_38merge_sort_block_merge_config_selectorIdNS0_10empty_typeEEEZZNS1_27merge_sort_block_merge_implIS3_N6thrust23THRUST_200600_302600_NS6detail15normal_iteratorINS9_10device_ptrIdEEEEPS5_m14custom_greaterIdEEE10hipError_tT0_T1_T2_jT3_P12ihipStream_tbPNSt15iterator_traitsISJ_E10value_typeEPNSP_ISK_E10value_typeEPSL_NS1_7vsmem_tEENKUlT_SJ_SK_SL_E_clISE_PdSF_SF_EESI_SY_SJ_SK_SL_EUlSY_E1_NS1_11comp_targetILNS1_3genE0ELNS1_11target_archE4294967295ELNS1_3gpuE0ELNS1_3repE0EEENS1_36merge_oddeven_config_static_selectorELNS0_4arch9wavefront6targetE1EEEvSK_
    .private_segment_fixed_size: 0
    .sgpr_count:     4
    .sgpr_spill_count: 0
    .symbol:         _ZN7rocprim17ROCPRIM_400000_NS6detail17trampoline_kernelINS0_14default_configENS1_38merge_sort_block_merge_config_selectorIdNS0_10empty_typeEEEZZNS1_27merge_sort_block_merge_implIS3_N6thrust23THRUST_200600_302600_NS6detail15normal_iteratorINS9_10device_ptrIdEEEEPS5_m14custom_greaterIdEEE10hipError_tT0_T1_T2_jT3_P12ihipStream_tbPNSt15iterator_traitsISJ_E10value_typeEPNSP_ISK_E10value_typeEPSL_NS1_7vsmem_tEENKUlT_SJ_SK_SL_E_clISE_PdSF_SF_EESI_SY_SJ_SK_SL_EUlSY_E1_NS1_11comp_targetILNS1_3genE0ELNS1_11target_archE4294967295ELNS1_3gpuE0ELNS1_3repE0EEENS1_36merge_oddeven_config_static_selectorELNS0_4arch9wavefront6targetE1EEEvSK_.kd
    .uniform_work_group_size: 1
    .uses_dynamic_stack: false
    .vgpr_count:     0
    .vgpr_spill_count: 0
    .wavefront_size: 64
  - .agpr_count:     0
    .args:
      - .offset:         0
        .size:           56
        .value_kind:     by_value
    .group_segment_fixed_size: 0
    .kernarg_segment_align: 8
    .kernarg_segment_size: 56
    .language:       OpenCL C
    .language_version:
      - 2
      - 0
    .max_flat_workgroup_size: 256
    .name:           _ZN7rocprim17ROCPRIM_400000_NS6detail17trampoline_kernelINS0_14default_configENS1_38merge_sort_block_merge_config_selectorIdNS0_10empty_typeEEEZZNS1_27merge_sort_block_merge_implIS3_N6thrust23THRUST_200600_302600_NS6detail15normal_iteratorINS9_10device_ptrIdEEEEPS5_m14custom_greaterIdEEE10hipError_tT0_T1_T2_jT3_P12ihipStream_tbPNSt15iterator_traitsISJ_E10value_typeEPNSP_ISK_E10value_typeEPSL_NS1_7vsmem_tEENKUlT_SJ_SK_SL_E_clISE_PdSF_SF_EESI_SY_SJ_SK_SL_EUlSY_E1_NS1_11comp_targetILNS1_3genE10ELNS1_11target_archE1201ELNS1_3gpuE5ELNS1_3repE0EEENS1_36merge_oddeven_config_static_selectorELNS0_4arch9wavefront6targetE1EEEvSK_
    .private_segment_fixed_size: 0
    .sgpr_count:     4
    .sgpr_spill_count: 0
    .symbol:         _ZN7rocprim17ROCPRIM_400000_NS6detail17trampoline_kernelINS0_14default_configENS1_38merge_sort_block_merge_config_selectorIdNS0_10empty_typeEEEZZNS1_27merge_sort_block_merge_implIS3_N6thrust23THRUST_200600_302600_NS6detail15normal_iteratorINS9_10device_ptrIdEEEEPS5_m14custom_greaterIdEEE10hipError_tT0_T1_T2_jT3_P12ihipStream_tbPNSt15iterator_traitsISJ_E10value_typeEPNSP_ISK_E10value_typeEPSL_NS1_7vsmem_tEENKUlT_SJ_SK_SL_E_clISE_PdSF_SF_EESI_SY_SJ_SK_SL_EUlSY_E1_NS1_11comp_targetILNS1_3genE10ELNS1_11target_archE1201ELNS1_3gpuE5ELNS1_3repE0EEENS1_36merge_oddeven_config_static_selectorELNS0_4arch9wavefront6targetE1EEEvSK_.kd
    .uniform_work_group_size: 1
    .uses_dynamic_stack: false
    .vgpr_count:     0
    .vgpr_spill_count: 0
    .wavefront_size: 64
  - .agpr_count:     0
    .args:
      - .offset:         0
        .size:           56
        .value_kind:     by_value
    .group_segment_fixed_size: 0
    .kernarg_segment_align: 8
    .kernarg_segment_size: 56
    .language:       OpenCL C
    .language_version:
      - 2
      - 0
    .max_flat_workgroup_size: 256
    .name:           _ZN7rocprim17ROCPRIM_400000_NS6detail17trampoline_kernelINS0_14default_configENS1_38merge_sort_block_merge_config_selectorIdNS0_10empty_typeEEEZZNS1_27merge_sort_block_merge_implIS3_N6thrust23THRUST_200600_302600_NS6detail15normal_iteratorINS9_10device_ptrIdEEEEPS5_m14custom_greaterIdEEE10hipError_tT0_T1_T2_jT3_P12ihipStream_tbPNSt15iterator_traitsISJ_E10value_typeEPNSP_ISK_E10value_typeEPSL_NS1_7vsmem_tEENKUlT_SJ_SK_SL_E_clISE_PdSF_SF_EESI_SY_SJ_SK_SL_EUlSY_E1_NS1_11comp_targetILNS1_3genE5ELNS1_11target_archE942ELNS1_3gpuE9ELNS1_3repE0EEENS1_36merge_oddeven_config_static_selectorELNS0_4arch9wavefront6targetE1EEEvSK_
    .private_segment_fixed_size: 0
    .sgpr_count:     4
    .sgpr_spill_count: 0
    .symbol:         _ZN7rocprim17ROCPRIM_400000_NS6detail17trampoline_kernelINS0_14default_configENS1_38merge_sort_block_merge_config_selectorIdNS0_10empty_typeEEEZZNS1_27merge_sort_block_merge_implIS3_N6thrust23THRUST_200600_302600_NS6detail15normal_iteratorINS9_10device_ptrIdEEEEPS5_m14custom_greaterIdEEE10hipError_tT0_T1_T2_jT3_P12ihipStream_tbPNSt15iterator_traitsISJ_E10value_typeEPNSP_ISK_E10value_typeEPSL_NS1_7vsmem_tEENKUlT_SJ_SK_SL_E_clISE_PdSF_SF_EESI_SY_SJ_SK_SL_EUlSY_E1_NS1_11comp_targetILNS1_3genE5ELNS1_11target_archE942ELNS1_3gpuE9ELNS1_3repE0EEENS1_36merge_oddeven_config_static_selectorELNS0_4arch9wavefront6targetE1EEEvSK_.kd
    .uniform_work_group_size: 1
    .uses_dynamic_stack: false
    .vgpr_count:     0
    .vgpr_spill_count: 0
    .wavefront_size: 64
  - .agpr_count:     0
    .args:
      - .offset:         0
        .size:           56
        .value_kind:     by_value
    .group_segment_fixed_size: 0
    .kernarg_segment_align: 8
    .kernarg_segment_size: 56
    .language:       OpenCL C
    .language_version:
      - 2
      - 0
    .max_flat_workgroup_size: 256
    .name:           _ZN7rocprim17ROCPRIM_400000_NS6detail17trampoline_kernelINS0_14default_configENS1_38merge_sort_block_merge_config_selectorIdNS0_10empty_typeEEEZZNS1_27merge_sort_block_merge_implIS3_N6thrust23THRUST_200600_302600_NS6detail15normal_iteratorINS9_10device_ptrIdEEEEPS5_m14custom_greaterIdEEE10hipError_tT0_T1_T2_jT3_P12ihipStream_tbPNSt15iterator_traitsISJ_E10value_typeEPNSP_ISK_E10value_typeEPSL_NS1_7vsmem_tEENKUlT_SJ_SK_SL_E_clISE_PdSF_SF_EESI_SY_SJ_SK_SL_EUlSY_E1_NS1_11comp_targetILNS1_3genE4ELNS1_11target_archE910ELNS1_3gpuE8ELNS1_3repE0EEENS1_36merge_oddeven_config_static_selectorELNS0_4arch9wavefront6targetE1EEEvSK_
    .private_segment_fixed_size: 0
    .sgpr_count:     25
    .sgpr_spill_count: 0
    .symbol:         _ZN7rocprim17ROCPRIM_400000_NS6detail17trampoline_kernelINS0_14default_configENS1_38merge_sort_block_merge_config_selectorIdNS0_10empty_typeEEEZZNS1_27merge_sort_block_merge_implIS3_N6thrust23THRUST_200600_302600_NS6detail15normal_iteratorINS9_10device_ptrIdEEEEPS5_m14custom_greaterIdEEE10hipError_tT0_T1_T2_jT3_P12ihipStream_tbPNSt15iterator_traitsISJ_E10value_typeEPNSP_ISK_E10value_typeEPSL_NS1_7vsmem_tEENKUlT_SJ_SK_SL_E_clISE_PdSF_SF_EESI_SY_SJ_SK_SL_EUlSY_E1_NS1_11comp_targetILNS1_3genE4ELNS1_11target_archE910ELNS1_3gpuE8ELNS1_3repE0EEENS1_36merge_oddeven_config_static_selectorELNS0_4arch9wavefront6targetE1EEEvSK_.kd
    .uniform_work_group_size: 1
    .uses_dynamic_stack: false
    .vgpr_count:     12
    .vgpr_spill_count: 0
    .wavefront_size: 64
  - .agpr_count:     0
    .args:
      - .offset:         0
        .size:           56
        .value_kind:     by_value
    .group_segment_fixed_size: 0
    .kernarg_segment_align: 8
    .kernarg_segment_size: 56
    .language:       OpenCL C
    .language_version:
      - 2
      - 0
    .max_flat_workgroup_size: 256
    .name:           _ZN7rocprim17ROCPRIM_400000_NS6detail17trampoline_kernelINS0_14default_configENS1_38merge_sort_block_merge_config_selectorIdNS0_10empty_typeEEEZZNS1_27merge_sort_block_merge_implIS3_N6thrust23THRUST_200600_302600_NS6detail15normal_iteratorINS9_10device_ptrIdEEEEPS5_m14custom_greaterIdEEE10hipError_tT0_T1_T2_jT3_P12ihipStream_tbPNSt15iterator_traitsISJ_E10value_typeEPNSP_ISK_E10value_typeEPSL_NS1_7vsmem_tEENKUlT_SJ_SK_SL_E_clISE_PdSF_SF_EESI_SY_SJ_SK_SL_EUlSY_E1_NS1_11comp_targetILNS1_3genE3ELNS1_11target_archE908ELNS1_3gpuE7ELNS1_3repE0EEENS1_36merge_oddeven_config_static_selectorELNS0_4arch9wavefront6targetE1EEEvSK_
    .private_segment_fixed_size: 0
    .sgpr_count:     4
    .sgpr_spill_count: 0
    .symbol:         _ZN7rocprim17ROCPRIM_400000_NS6detail17trampoline_kernelINS0_14default_configENS1_38merge_sort_block_merge_config_selectorIdNS0_10empty_typeEEEZZNS1_27merge_sort_block_merge_implIS3_N6thrust23THRUST_200600_302600_NS6detail15normal_iteratorINS9_10device_ptrIdEEEEPS5_m14custom_greaterIdEEE10hipError_tT0_T1_T2_jT3_P12ihipStream_tbPNSt15iterator_traitsISJ_E10value_typeEPNSP_ISK_E10value_typeEPSL_NS1_7vsmem_tEENKUlT_SJ_SK_SL_E_clISE_PdSF_SF_EESI_SY_SJ_SK_SL_EUlSY_E1_NS1_11comp_targetILNS1_3genE3ELNS1_11target_archE908ELNS1_3gpuE7ELNS1_3repE0EEENS1_36merge_oddeven_config_static_selectorELNS0_4arch9wavefront6targetE1EEEvSK_.kd
    .uniform_work_group_size: 1
    .uses_dynamic_stack: false
    .vgpr_count:     0
    .vgpr_spill_count: 0
    .wavefront_size: 64
  - .agpr_count:     0
    .args:
      - .offset:         0
        .size:           56
        .value_kind:     by_value
    .group_segment_fixed_size: 0
    .kernarg_segment_align: 8
    .kernarg_segment_size: 56
    .language:       OpenCL C
    .language_version:
      - 2
      - 0
    .max_flat_workgroup_size: 256
    .name:           _ZN7rocprim17ROCPRIM_400000_NS6detail17trampoline_kernelINS0_14default_configENS1_38merge_sort_block_merge_config_selectorIdNS0_10empty_typeEEEZZNS1_27merge_sort_block_merge_implIS3_N6thrust23THRUST_200600_302600_NS6detail15normal_iteratorINS9_10device_ptrIdEEEEPS5_m14custom_greaterIdEEE10hipError_tT0_T1_T2_jT3_P12ihipStream_tbPNSt15iterator_traitsISJ_E10value_typeEPNSP_ISK_E10value_typeEPSL_NS1_7vsmem_tEENKUlT_SJ_SK_SL_E_clISE_PdSF_SF_EESI_SY_SJ_SK_SL_EUlSY_E1_NS1_11comp_targetILNS1_3genE2ELNS1_11target_archE906ELNS1_3gpuE6ELNS1_3repE0EEENS1_36merge_oddeven_config_static_selectorELNS0_4arch9wavefront6targetE1EEEvSK_
    .private_segment_fixed_size: 0
    .sgpr_count:     4
    .sgpr_spill_count: 0
    .symbol:         _ZN7rocprim17ROCPRIM_400000_NS6detail17trampoline_kernelINS0_14default_configENS1_38merge_sort_block_merge_config_selectorIdNS0_10empty_typeEEEZZNS1_27merge_sort_block_merge_implIS3_N6thrust23THRUST_200600_302600_NS6detail15normal_iteratorINS9_10device_ptrIdEEEEPS5_m14custom_greaterIdEEE10hipError_tT0_T1_T2_jT3_P12ihipStream_tbPNSt15iterator_traitsISJ_E10value_typeEPNSP_ISK_E10value_typeEPSL_NS1_7vsmem_tEENKUlT_SJ_SK_SL_E_clISE_PdSF_SF_EESI_SY_SJ_SK_SL_EUlSY_E1_NS1_11comp_targetILNS1_3genE2ELNS1_11target_archE906ELNS1_3gpuE6ELNS1_3repE0EEENS1_36merge_oddeven_config_static_selectorELNS0_4arch9wavefront6targetE1EEEvSK_.kd
    .uniform_work_group_size: 1
    .uses_dynamic_stack: false
    .vgpr_count:     0
    .vgpr_spill_count: 0
    .wavefront_size: 64
  - .agpr_count:     0
    .args:
      - .offset:         0
        .size:           56
        .value_kind:     by_value
    .group_segment_fixed_size: 0
    .kernarg_segment_align: 8
    .kernarg_segment_size: 56
    .language:       OpenCL C
    .language_version:
      - 2
      - 0
    .max_flat_workgroup_size: 256
    .name:           _ZN7rocprim17ROCPRIM_400000_NS6detail17trampoline_kernelINS0_14default_configENS1_38merge_sort_block_merge_config_selectorIdNS0_10empty_typeEEEZZNS1_27merge_sort_block_merge_implIS3_N6thrust23THRUST_200600_302600_NS6detail15normal_iteratorINS9_10device_ptrIdEEEEPS5_m14custom_greaterIdEEE10hipError_tT0_T1_T2_jT3_P12ihipStream_tbPNSt15iterator_traitsISJ_E10value_typeEPNSP_ISK_E10value_typeEPSL_NS1_7vsmem_tEENKUlT_SJ_SK_SL_E_clISE_PdSF_SF_EESI_SY_SJ_SK_SL_EUlSY_E1_NS1_11comp_targetILNS1_3genE9ELNS1_11target_archE1100ELNS1_3gpuE3ELNS1_3repE0EEENS1_36merge_oddeven_config_static_selectorELNS0_4arch9wavefront6targetE1EEEvSK_
    .private_segment_fixed_size: 0
    .sgpr_count:     4
    .sgpr_spill_count: 0
    .symbol:         _ZN7rocprim17ROCPRIM_400000_NS6detail17trampoline_kernelINS0_14default_configENS1_38merge_sort_block_merge_config_selectorIdNS0_10empty_typeEEEZZNS1_27merge_sort_block_merge_implIS3_N6thrust23THRUST_200600_302600_NS6detail15normal_iteratorINS9_10device_ptrIdEEEEPS5_m14custom_greaterIdEEE10hipError_tT0_T1_T2_jT3_P12ihipStream_tbPNSt15iterator_traitsISJ_E10value_typeEPNSP_ISK_E10value_typeEPSL_NS1_7vsmem_tEENKUlT_SJ_SK_SL_E_clISE_PdSF_SF_EESI_SY_SJ_SK_SL_EUlSY_E1_NS1_11comp_targetILNS1_3genE9ELNS1_11target_archE1100ELNS1_3gpuE3ELNS1_3repE0EEENS1_36merge_oddeven_config_static_selectorELNS0_4arch9wavefront6targetE1EEEvSK_.kd
    .uniform_work_group_size: 1
    .uses_dynamic_stack: false
    .vgpr_count:     0
    .vgpr_spill_count: 0
    .wavefront_size: 64
  - .agpr_count:     0
    .args:
      - .offset:         0
        .size:           56
        .value_kind:     by_value
    .group_segment_fixed_size: 0
    .kernarg_segment_align: 8
    .kernarg_segment_size: 56
    .language:       OpenCL C
    .language_version:
      - 2
      - 0
    .max_flat_workgroup_size: 256
    .name:           _ZN7rocprim17ROCPRIM_400000_NS6detail17trampoline_kernelINS0_14default_configENS1_38merge_sort_block_merge_config_selectorIdNS0_10empty_typeEEEZZNS1_27merge_sort_block_merge_implIS3_N6thrust23THRUST_200600_302600_NS6detail15normal_iteratorINS9_10device_ptrIdEEEEPS5_m14custom_greaterIdEEE10hipError_tT0_T1_T2_jT3_P12ihipStream_tbPNSt15iterator_traitsISJ_E10value_typeEPNSP_ISK_E10value_typeEPSL_NS1_7vsmem_tEENKUlT_SJ_SK_SL_E_clISE_PdSF_SF_EESI_SY_SJ_SK_SL_EUlSY_E1_NS1_11comp_targetILNS1_3genE8ELNS1_11target_archE1030ELNS1_3gpuE2ELNS1_3repE0EEENS1_36merge_oddeven_config_static_selectorELNS0_4arch9wavefront6targetE1EEEvSK_
    .private_segment_fixed_size: 0
    .sgpr_count:     4
    .sgpr_spill_count: 0
    .symbol:         _ZN7rocprim17ROCPRIM_400000_NS6detail17trampoline_kernelINS0_14default_configENS1_38merge_sort_block_merge_config_selectorIdNS0_10empty_typeEEEZZNS1_27merge_sort_block_merge_implIS3_N6thrust23THRUST_200600_302600_NS6detail15normal_iteratorINS9_10device_ptrIdEEEEPS5_m14custom_greaterIdEEE10hipError_tT0_T1_T2_jT3_P12ihipStream_tbPNSt15iterator_traitsISJ_E10value_typeEPNSP_ISK_E10value_typeEPSL_NS1_7vsmem_tEENKUlT_SJ_SK_SL_E_clISE_PdSF_SF_EESI_SY_SJ_SK_SL_EUlSY_E1_NS1_11comp_targetILNS1_3genE8ELNS1_11target_archE1030ELNS1_3gpuE2ELNS1_3repE0EEENS1_36merge_oddeven_config_static_selectorELNS0_4arch9wavefront6targetE1EEEvSK_.kd
    .uniform_work_group_size: 1
    .uses_dynamic_stack: false
    .vgpr_count:     0
    .vgpr_spill_count: 0
    .wavefront_size: 64
  - .agpr_count:     0
    .args:
      - .offset:         0
        .size:           40
        .value_kind:     by_value
    .group_segment_fixed_size: 0
    .kernarg_segment_align: 8
    .kernarg_segment_size: 40
    .language:       OpenCL C
    .language_version:
      - 2
      - 0
    .max_flat_workgroup_size: 128
    .name:           _ZN7rocprim17ROCPRIM_400000_NS6detail17trampoline_kernelINS0_14default_configENS1_25transform_config_selectorIdLb0EEEZNS1_14transform_implILb0ES3_S5_PdN6thrust23THRUST_200600_302600_NS6detail15normal_iteratorINS9_10device_ptrIdEEEENS0_8identityIdEEEE10hipError_tT2_T3_mT4_P12ihipStream_tbEUlT_E_NS1_11comp_targetILNS1_3genE0ELNS1_11target_archE4294967295ELNS1_3gpuE0ELNS1_3repE0EEENS1_30default_config_static_selectorELNS0_4arch9wavefront6targetE1EEEvT1_
    .private_segment_fixed_size: 0
    .sgpr_count:     4
    .sgpr_spill_count: 0
    .symbol:         _ZN7rocprim17ROCPRIM_400000_NS6detail17trampoline_kernelINS0_14default_configENS1_25transform_config_selectorIdLb0EEEZNS1_14transform_implILb0ES3_S5_PdN6thrust23THRUST_200600_302600_NS6detail15normal_iteratorINS9_10device_ptrIdEEEENS0_8identityIdEEEE10hipError_tT2_T3_mT4_P12ihipStream_tbEUlT_E_NS1_11comp_targetILNS1_3genE0ELNS1_11target_archE4294967295ELNS1_3gpuE0ELNS1_3repE0EEENS1_30default_config_static_selectorELNS0_4arch9wavefront6targetE1EEEvT1_.kd
    .uniform_work_group_size: 1
    .uses_dynamic_stack: false
    .vgpr_count:     0
    .vgpr_spill_count: 0
    .wavefront_size: 64
  - .agpr_count:     0
    .args:
      - .offset:         0
        .size:           40
        .value_kind:     by_value
    .group_segment_fixed_size: 0
    .kernarg_segment_align: 8
    .kernarg_segment_size: 40
    .language:       OpenCL C
    .language_version:
      - 2
      - 0
    .max_flat_workgroup_size: 512
    .name:           _ZN7rocprim17ROCPRIM_400000_NS6detail17trampoline_kernelINS0_14default_configENS1_25transform_config_selectorIdLb0EEEZNS1_14transform_implILb0ES3_S5_PdN6thrust23THRUST_200600_302600_NS6detail15normal_iteratorINS9_10device_ptrIdEEEENS0_8identityIdEEEE10hipError_tT2_T3_mT4_P12ihipStream_tbEUlT_E_NS1_11comp_targetILNS1_3genE5ELNS1_11target_archE942ELNS1_3gpuE9ELNS1_3repE0EEENS1_30default_config_static_selectorELNS0_4arch9wavefront6targetE1EEEvT1_
    .private_segment_fixed_size: 0
    .sgpr_count:     4
    .sgpr_spill_count: 0
    .symbol:         _ZN7rocprim17ROCPRIM_400000_NS6detail17trampoline_kernelINS0_14default_configENS1_25transform_config_selectorIdLb0EEEZNS1_14transform_implILb0ES3_S5_PdN6thrust23THRUST_200600_302600_NS6detail15normal_iteratorINS9_10device_ptrIdEEEENS0_8identityIdEEEE10hipError_tT2_T3_mT4_P12ihipStream_tbEUlT_E_NS1_11comp_targetILNS1_3genE5ELNS1_11target_archE942ELNS1_3gpuE9ELNS1_3repE0EEENS1_30default_config_static_selectorELNS0_4arch9wavefront6targetE1EEEvT1_.kd
    .uniform_work_group_size: 1
    .uses_dynamic_stack: false
    .vgpr_count:     0
    .vgpr_spill_count: 0
    .wavefront_size: 64
  - .agpr_count:     0
    .args:
      - .offset:         0
        .size:           40
        .value_kind:     by_value
      - .offset:         40
        .size:           4
        .value_kind:     hidden_block_count_x
      - .offset:         44
        .size:           4
        .value_kind:     hidden_block_count_y
      - .offset:         48
        .size:           4
        .value_kind:     hidden_block_count_z
      - .offset:         52
        .size:           2
        .value_kind:     hidden_group_size_x
      - .offset:         54
        .size:           2
        .value_kind:     hidden_group_size_y
      - .offset:         56
        .size:           2
        .value_kind:     hidden_group_size_z
      - .offset:         58
        .size:           2
        .value_kind:     hidden_remainder_x
      - .offset:         60
        .size:           2
        .value_kind:     hidden_remainder_y
      - .offset:         62
        .size:           2
        .value_kind:     hidden_remainder_z
      - .offset:         80
        .size:           8
        .value_kind:     hidden_global_offset_x
      - .offset:         88
        .size:           8
        .value_kind:     hidden_global_offset_y
      - .offset:         96
        .size:           8
        .value_kind:     hidden_global_offset_z
      - .offset:         104
        .size:           2
        .value_kind:     hidden_grid_dims
    .group_segment_fixed_size: 0
    .kernarg_segment_align: 8
    .kernarg_segment_size: 296
    .language:       OpenCL C
    .language_version:
      - 2
      - 0
    .max_flat_workgroup_size: 256
    .name:           _ZN7rocprim17ROCPRIM_400000_NS6detail17trampoline_kernelINS0_14default_configENS1_25transform_config_selectorIdLb0EEEZNS1_14transform_implILb0ES3_S5_PdN6thrust23THRUST_200600_302600_NS6detail15normal_iteratorINS9_10device_ptrIdEEEENS0_8identityIdEEEE10hipError_tT2_T3_mT4_P12ihipStream_tbEUlT_E_NS1_11comp_targetILNS1_3genE4ELNS1_11target_archE910ELNS1_3gpuE8ELNS1_3repE0EEENS1_30default_config_static_selectorELNS0_4arch9wavefront6targetE1EEEvT1_
    .private_segment_fixed_size: 0
    .sgpr_count:     20
    .sgpr_spill_count: 0
    .symbol:         _ZN7rocprim17ROCPRIM_400000_NS6detail17trampoline_kernelINS0_14default_configENS1_25transform_config_selectorIdLb0EEEZNS1_14transform_implILb0ES3_S5_PdN6thrust23THRUST_200600_302600_NS6detail15normal_iteratorINS9_10device_ptrIdEEEENS0_8identityIdEEEE10hipError_tT2_T3_mT4_P12ihipStream_tbEUlT_E_NS1_11comp_targetILNS1_3genE4ELNS1_11target_archE910ELNS1_3gpuE8ELNS1_3repE0EEENS1_30default_config_static_selectorELNS0_4arch9wavefront6targetE1EEEvT1_.kd
    .uniform_work_group_size: 1
    .uses_dynamic_stack: false
    .vgpr_count:     9
    .vgpr_spill_count: 0
    .wavefront_size: 64
  - .agpr_count:     0
    .args:
      - .offset:         0
        .size:           40
        .value_kind:     by_value
    .group_segment_fixed_size: 0
    .kernarg_segment_align: 8
    .kernarg_segment_size: 40
    .language:       OpenCL C
    .language_version:
      - 2
      - 0
    .max_flat_workgroup_size: 128
    .name:           _ZN7rocprim17ROCPRIM_400000_NS6detail17trampoline_kernelINS0_14default_configENS1_25transform_config_selectorIdLb0EEEZNS1_14transform_implILb0ES3_S5_PdN6thrust23THRUST_200600_302600_NS6detail15normal_iteratorINS9_10device_ptrIdEEEENS0_8identityIdEEEE10hipError_tT2_T3_mT4_P12ihipStream_tbEUlT_E_NS1_11comp_targetILNS1_3genE3ELNS1_11target_archE908ELNS1_3gpuE7ELNS1_3repE0EEENS1_30default_config_static_selectorELNS0_4arch9wavefront6targetE1EEEvT1_
    .private_segment_fixed_size: 0
    .sgpr_count:     4
    .sgpr_spill_count: 0
    .symbol:         _ZN7rocprim17ROCPRIM_400000_NS6detail17trampoline_kernelINS0_14default_configENS1_25transform_config_selectorIdLb0EEEZNS1_14transform_implILb0ES3_S5_PdN6thrust23THRUST_200600_302600_NS6detail15normal_iteratorINS9_10device_ptrIdEEEENS0_8identityIdEEEE10hipError_tT2_T3_mT4_P12ihipStream_tbEUlT_E_NS1_11comp_targetILNS1_3genE3ELNS1_11target_archE908ELNS1_3gpuE7ELNS1_3repE0EEENS1_30default_config_static_selectorELNS0_4arch9wavefront6targetE1EEEvT1_.kd
    .uniform_work_group_size: 1
    .uses_dynamic_stack: false
    .vgpr_count:     0
    .vgpr_spill_count: 0
    .wavefront_size: 64
  - .agpr_count:     0
    .args:
      - .offset:         0
        .size:           40
        .value_kind:     by_value
    .group_segment_fixed_size: 0
    .kernarg_segment_align: 8
    .kernarg_segment_size: 40
    .language:       OpenCL C
    .language_version:
      - 2
      - 0
    .max_flat_workgroup_size: 1024
    .name:           _ZN7rocprim17ROCPRIM_400000_NS6detail17trampoline_kernelINS0_14default_configENS1_25transform_config_selectorIdLb0EEEZNS1_14transform_implILb0ES3_S5_PdN6thrust23THRUST_200600_302600_NS6detail15normal_iteratorINS9_10device_ptrIdEEEENS0_8identityIdEEEE10hipError_tT2_T3_mT4_P12ihipStream_tbEUlT_E_NS1_11comp_targetILNS1_3genE2ELNS1_11target_archE906ELNS1_3gpuE6ELNS1_3repE0EEENS1_30default_config_static_selectorELNS0_4arch9wavefront6targetE1EEEvT1_
    .private_segment_fixed_size: 0
    .sgpr_count:     4
    .sgpr_spill_count: 0
    .symbol:         _ZN7rocprim17ROCPRIM_400000_NS6detail17trampoline_kernelINS0_14default_configENS1_25transform_config_selectorIdLb0EEEZNS1_14transform_implILb0ES3_S5_PdN6thrust23THRUST_200600_302600_NS6detail15normal_iteratorINS9_10device_ptrIdEEEENS0_8identityIdEEEE10hipError_tT2_T3_mT4_P12ihipStream_tbEUlT_E_NS1_11comp_targetILNS1_3genE2ELNS1_11target_archE906ELNS1_3gpuE6ELNS1_3repE0EEENS1_30default_config_static_selectorELNS0_4arch9wavefront6targetE1EEEvT1_.kd
    .uniform_work_group_size: 1
    .uses_dynamic_stack: false
    .vgpr_count:     0
    .vgpr_spill_count: 0
    .wavefront_size: 64
  - .agpr_count:     0
    .args:
      - .offset:         0
        .size:           40
        .value_kind:     by_value
    .group_segment_fixed_size: 0
    .kernarg_segment_align: 8
    .kernarg_segment_size: 40
    .language:       OpenCL C
    .language_version:
      - 2
      - 0
    .max_flat_workgroup_size: 64
    .name:           _ZN7rocprim17ROCPRIM_400000_NS6detail17trampoline_kernelINS0_14default_configENS1_25transform_config_selectorIdLb0EEEZNS1_14transform_implILb0ES3_S5_PdN6thrust23THRUST_200600_302600_NS6detail15normal_iteratorINS9_10device_ptrIdEEEENS0_8identityIdEEEE10hipError_tT2_T3_mT4_P12ihipStream_tbEUlT_E_NS1_11comp_targetILNS1_3genE10ELNS1_11target_archE1201ELNS1_3gpuE5ELNS1_3repE0EEENS1_30default_config_static_selectorELNS0_4arch9wavefront6targetE1EEEvT1_
    .private_segment_fixed_size: 0
    .sgpr_count:     4
    .sgpr_spill_count: 0
    .symbol:         _ZN7rocprim17ROCPRIM_400000_NS6detail17trampoline_kernelINS0_14default_configENS1_25transform_config_selectorIdLb0EEEZNS1_14transform_implILb0ES3_S5_PdN6thrust23THRUST_200600_302600_NS6detail15normal_iteratorINS9_10device_ptrIdEEEENS0_8identityIdEEEE10hipError_tT2_T3_mT4_P12ihipStream_tbEUlT_E_NS1_11comp_targetILNS1_3genE10ELNS1_11target_archE1201ELNS1_3gpuE5ELNS1_3repE0EEENS1_30default_config_static_selectorELNS0_4arch9wavefront6targetE1EEEvT1_.kd
    .uniform_work_group_size: 1
    .uses_dynamic_stack: false
    .vgpr_count:     0
    .vgpr_spill_count: 0
    .wavefront_size: 64
  - .agpr_count:     0
    .args:
      - .offset:         0
        .size:           40
        .value_kind:     by_value
    .group_segment_fixed_size: 0
    .kernarg_segment_align: 8
    .kernarg_segment_size: 40
    .language:       OpenCL C
    .language_version:
      - 2
      - 0
    .max_flat_workgroup_size: 512
    .name:           _ZN7rocprim17ROCPRIM_400000_NS6detail17trampoline_kernelINS0_14default_configENS1_25transform_config_selectorIdLb0EEEZNS1_14transform_implILb0ES3_S5_PdN6thrust23THRUST_200600_302600_NS6detail15normal_iteratorINS9_10device_ptrIdEEEENS0_8identityIdEEEE10hipError_tT2_T3_mT4_P12ihipStream_tbEUlT_E_NS1_11comp_targetILNS1_3genE10ELNS1_11target_archE1200ELNS1_3gpuE4ELNS1_3repE0EEENS1_30default_config_static_selectorELNS0_4arch9wavefront6targetE1EEEvT1_
    .private_segment_fixed_size: 0
    .sgpr_count:     4
    .sgpr_spill_count: 0
    .symbol:         _ZN7rocprim17ROCPRIM_400000_NS6detail17trampoline_kernelINS0_14default_configENS1_25transform_config_selectorIdLb0EEEZNS1_14transform_implILb0ES3_S5_PdN6thrust23THRUST_200600_302600_NS6detail15normal_iteratorINS9_10device_ptrIdEEEENS0_8identityIdEEEE10hipError_tT2_T3_mT4_P12ihipStream_tbEUlT_E_NS1_11comp_targetILNS1_3genE10ELNS1_11target_archE1200ELNS1_3gpuE4ELNS1_3repE0EEENS1_30default_config_static_selectorELNS0_4arch9wavefront6targetE1EEEvT1_.kd
    .uniform_work_group_size: 1
    .uses_dynamic_stack: false
    .vgpr_count:     0
    .vgpr_spill_count: 0
    .wavefront_size: 64
  - .agpr_count:     0
    .args:
      - .offset:         0
        .size:           40
        .value_kind:     by_value
    .group_segment_fixed_size: 0
    .kernarg_segment_align: 8
    .kernarg_segment_size: 40
    .language:       OpenCL C
    .language_version:
      - 2
      - 0
    .max_flat_workgroup_size: 512
    .name:           _ZN7rocprim17ROCPRIM_400000_NS6detail17trampoline_kernelINS0_14default_configENS1_25transform_config_selectorIdLb0EEEZNS1_14transform_implILb0ES3_S5_PdN6thrust23THRUST_200600_302600_NS6detail15normal_iteratorINS9_10device_ptrIdEEEENS0_8identityIdEEEE10hipError_tT2_T3_mT4_P12ihipStream_tbEUlT_E_NS1_11comp_targetILNS1_3genE9ELNS1_11target_archE1100ELNS1_3gpuE3ELNS1_3repE0EEENS1_30default_config_static_selectorELNS0_4arch9wavefront6targetE1EEEvT1_
    .private_segment_fixed_size: 0
    .sgpr_count:     4
    .sgpr_spill_count: 0
    .symbol:         _ZN7rocprim17ROCPRIM_400000_NS6detail17trampoline_kernelINS0_14default_configENS1_25transform_config_selectorIdLb0EEEZNS1_14transform_implILb0ES3_S5_PdN6thrust23THRUST_200600_302600_NS6detail15normal_iteratorINS9_10device_ptrIdEEEENS0_8identityIdEEEE10hipError_tT2_T3_mT4_P12ihipStream_tbEUlT_E_NS1_11comp_targetILNS1_3genE9ELNS1_11target_archE1100ELNS1_3gpuE3ELNS1_3repE0EEENS1_30default_config_static_selectorELNS0_4arch9wavefront6targetE1EEEvT1_.kd
    .uniform_work_group_size: 1
    .uses_dynamic_stack: false
    .vgpr_count:     0
    .vgpr_spill_count: 0
    .wavefront_size: 64
  - .agpr_count:     0
    .args:
      - .offset:         0
        .size:           40
        .value_kind:     by_value
    .group_segment_fixed_size: 0
    .kernarg_segment_align: 8
    .kernarg_segment_size: 40
    .language:       OpenCL C
    .language_version:
      - 2
      - 0
    .max_flat_workgroup_size: 512
    .name:           _ZN7rocprim17ROCPRIM_400000_NS6detail17trampoline_kernelINS0_14default_configENS1_25transform_config_selectorIdLb0EEEZNS1_14transform_implILb0ES3_S5_PdN6thrust23THRUST_200600_302600_NS6detail15normal_iteratorINS9_10device_ptrIdEEEENS0_8identityIdEEEE10hipError_tT2_T3_mT4_P12ihipStream_tbEUlT_E_NS1_11comp_targetILNS1_3genE8ELNS1_11target_archE1030ELNS1_3gpuE2ELNS1_3repE0EEENS1_30default_config_static_selectorELNS0_4arch9wavefront6targetE1EEEvT1_
    .private_segment_fixed_size: 0
    .sgpr_count:     4
    .sgpr_spill_count: 0
    .symbol:         _ZN7rocprim17ROCPRIM_400000_NS6detail17trampoline_kernelINS0_14default_configENS1_25transform_config_selectorIdLb0EEEZNS1_14transform_implILb0ES3_S5_PdN6thrust23THRUST_200600_302600_NS6detail15normal_iteratorINS9_10device_ptrIdEEEENS0_8identityIdEEEE10hipError_tT2_T3_mT4_P12ihipStream_tbEUlT_E_NS1_11comp_targetILNS1_3genE8ELNS1_11target_archE1030ELNS1_3gpuE2ELNS1_3repE0EEENS1_30default_config_static_selectorELNS0_4arch9wavefront6targetE1EEEvT1_.kd
    .uniform_work_group_size: 1
    .uses_dynamic_stack: false
    .vgpr_count:     0
    .vgpr_spill_count: 0
    .wavefront_size: 64
  - .agpr_count:     0
    .args:
      - .offset:         0
        .size:           64
        .value_kind:     by_value
    .group_segment_fixed_size: 0
    .kernarg_segment_align: 8
    .kernarg_segment_size: 64
    .language:       OpenCL C
    .language_version:
      - 2
      - 0
    .max_flat_workgroup_size: 256
    .name:           _ZN7rocprim17ROCPRIM_400000_NS6detail17trampoline_kernelINS0_14default_configENS1_37merge_sort_block_sort_config_selectorI14custom_numericNS0_10empty_typeEEEZNS1_21merge_sort_block_sortIS3_N6thrust23THRUST_200600_302600_NS6detail15normal_iteratorINSA_10device_ptrIS5_EEEESF_PS6_SG_14custom_greaterIS5_EEE10hipError_tT0_T1_T2_T3_mRjT4_P12ihipStream_tbNS1_7vsmem_tEEUlT_E_NS1_11comp_targetILNS1_3genE0ELNS1_11target_archE4294967295ELNS1_3gpuE0ELNS1_3repE0EEENS1_30default_config_static_selectorELNS0_4arch9wavefront6targetE1EEEvSL_
    .private_segment_fixed_size: 0
    .sgpr_count:     4
    .sgpr_spill_count: 0
    .symbol:         _ZN7rocprim17ROCPRIM_400000_NS6detail17trampoline_kernelINS0_14default_configENS1_37merge_sort_block_sort_config_selectorI14custom_numericNS0_10empty_typeEEEZNS1_21merge_sort_block_sortIS3_N6thrust23THRUST_200600_302600_NS6detail15normal_iteratorINSA_10device_ptrIS5_EEEESF_PS6_SG_14custom_greaterIS5_EEE10hipError_tT0_T1_T2_T3_mRjT4_P12ihipStream_tbNS1_7vsmem_tEEUlT_E_NS1_11comp_targetILNS1_3genE0ELNS1_11target_archE4294967295ELNS1_3gpuE0ELNS1_3repE0EEENS1_30default_config_static_selectorELNS0_4arch9wavefront6targetE1EEEvSL_.kd
    .uniform_work_group_size: 1
    .uses_dynamic_stack: false
    .vgpr_count:     0
    .vgpr_spill_count: 0
    .wavefront_size: 64
  - .agpr_count:     0
    .args:
      - .offset:         0
        .size:           64
        .value_kind:     by_value
    .group_segment_fixed_size: 0
    .kernarg_segment_align: 8
    .kernarg_segment_size: 64
    .language:       OpenCL C
    .language_version:
      - 2
      - 0
    .max_flat_workgroup_size: 256
    .name:           _ZN7rocprim17ROCPRIM_400000_NS6detail17trampoline_kernelINS0_14default_configENS1_37merge_sort_block_sort_config_selectorI14custom_numericNS0_10empty_typeEEEZNS1_21merge_sort_block_sortIS3_N6thrust23THRUST_200600_302600_NS6detail15normal_iteratorINSA_10device_ptrIS5_EEEESF_PS6_SG_14custom_greaterIS5_EEE10hipError_tT0_T1_T2_T3_mRjT4_P12ihipStream_tbNS1_7vsmem_tEEUlT_E_NS1_11comp_targetILNS1_3genE5ELNS1_11target_archE942ELNS1_3gpuE9ELNS1_3repE0EEENS1_30default_config_static_selectorELNS0_4arch9wavefront6targetE1EEEvSL_
    .private_segment_fixed_size: 0
    .sgpr_count:     4
    .sgpr_spill_count: 0
    .symbol:         _ZN7rocprim17ROCPRIM_400000_NS6detail17trampoline_kernelINS0_14default_configENS1_37merge_sort_block_sort_config_selectorI14custom_numericNS0_10empty_typeEEEZNS1_21merge_sort_block_sortIS3_N6thrust23THRUST_200600_302600_NS6detail15normal_iteratorINSA_10device_ptrIS5_EEEESF_PS6_SG_14custom_greaterIS5_EEE10hipError_tT0_T1_T2_T3_mRjT4_P12ihipStream_tbNS1_7vsmem_tEEUlT_E_NS1_11comp_targetILNS1_3genE5ELNS1_11target_archE942ELNS1_3gpuE9ELNS1_3repE0EEENS1_30default_config_static_selectorELNS0_4arch9wavefront6targetE1EEEvSL_.kd
    .uniform_work_group_size: 1
    .uses_dynamic_stack: false
    .vgpr_count:     0
    .vgpr_spill_count: 0
    .wavefront_size: 64
  - .agpr_count:     0
    .args:
      - .offset:         0
        .size:           64
        .value_kind:     by_value
      - .offset:         64
        .size:           4
        .value_kind:     hidden_block_count_x
      - .offset:         68
        .size:           4
        .value_kind:     hidden_block_count_y
      - .offset:         72
        .size:           4
        .value_kind:     hidden_block_count_z
      - .offset:         76
        .size:           2
        .value_kind:     hidden_group_size_x
      - .offset:         78
        .size:           2
        .value_kind:     hidden_group_size_y
      - .offset:         80
        .size:           2
        .value_kind:     hidden_group_size_z
      - .offset:         82
        .size:           2
        .value_kind:     hidden_remainder_x
      - .offset:         84
        .size:           2
        .value_kind:     hidden_remainder_y
      - .offset:         86
        .size:           2
        .value_kind:     hidden_remainder_z
      - .offset:         104
        .size:           8
        .value_kind:     hidden_global_offset_x
      - .offset:         112
        .size:           8
        .value_kind:     hidden_global_offset_y
      - .offset:         120
        .size:           8
        .value_kind:     hidden_global_offset_z
      - .offset:         128
        .size:           2
        .value_kind:     hidden_grid_dims
    .group_segment_fixed_size: 21120
    .kernarg_segment_align: 8
    .kernarg_segment_size: 320
    .language:       OpenCL C
    .language_version:
      - 2
      - 0
    .max_flat_workgroup_size: 256
    .name:           _ZN7rocprim17ROCPRIM_400000_NS6detail17trampoline_kernelINS0_14default_configENS1_37merge_sort_block_sort_config_selectorI14custom_numericNS0_10empty_typeEEEZNS1_21merge_sort_block_sortIS3_N6thrust23THRUST_200600_302600_NS6detail15normal_iteratorINSA_10device_ptrIS5_EEEESF_PS6_SG_14custom_greaterIS5_EEE10hipError_tT0_T1_T2_T3_mRjT4_P12ihipStream_tbNS1_7vsmem_tEEUlT_E_NS1_11comp_targetILNS1_3genE4ELNS1_11target_archE910ELNS1_3gpuE8ELNS1_3repE0EEENS1_30default_config_static_selectorELNS0_4arch9wavefront6targetE1EEEvSL_
    .private_segment_fixed_size: 0
    .sgpr_count:     28
    .sgpr_spill_count: 0
    .symbol:         _ZN7rocprim17ROCPRIM_400000_NS6detail17trampoline_kernelINS0_14default_configENS1_37merge_sort_block_sort_config_selectorI14custom_numericNS0_10empty_typeEEEZNS1_21merge_sort_block_sortIS3_N6thrust23THRUST_200600_302600_NS6detail15normal_iteratorINSA_10device_ptrIS5_EEEESF_PS6_SG_14custom_greaterIS5_EEE10hipError_tT0_T1_T2_T3_mRjT4_P12ihipStream_tbNS1_7vsmem_tEEUlT_E_NS1_11comp_targetILNS1_3genE4ELNS1_11target_archE910ELNS1_3gpuE8ELNS1_3repE0EEENS1_30default_config_static_selectorELNS0_4arch9wavefront6targetE1EEEvSL_.kd
    .uniform_work_group_size: 1
    .uses_dynamic_stack: false
    .vgpr_count:     40
    .vgpr_spill_count: 0
    .wavefront_size: 64
  - .agpr_count:     0
    .args:
      - .offset:         0
        .size:           64
        .value_kind:     by_value
    .group_segment_fixed_size: 0
    .kernarg_segment_align: 8
    .kernarg_segment_size: 64
    .language:       OpenCL C
    .language_version:
      - 2
      - 0
    .max_flat_workgroup_size: 256
    .name:           _ZN7rocprim17ROCPRIM_400000_NS6detail17trampoline_kernelINS0_14default_configENS1_37merge_sort_block_sort_config_selectorI14custom_numericNS0_10empty_typeEEEZNS1_21merge_sort_block_sortIS3_N6thrust23THRUST_200600_302600_NS6detail15normal_iteratorINSA_10device_ptrIS5_EEEESF_PS6_SG_14custom_greaterIS5_EEE10hipError_tT0_T1_T2_T3_mRjT4_P12ihipStream_tbNS1_7vsmem_tEEUlT_E_NS1_11comp_targetILNS1_3genE3ELNS1_11target_archE908ELNS1_3gpuE7ELNS1_3repE0EEENS1_30default_config_static_selectorELNS0_4arch9wavefront6targetE1EEEvSL_
    .private_segment_fixed_size: 0
    .sgpr_count:     4
    .sgpr_spill_count: 0
    .symbol:         _ZN7rocprim17ROCPRIM_400000_NS6detail17trampoline_kernelINS0_14default_configENS1_37merge_sort_block_sort_config_selectorI14custom_numericNS0_10empty_typeEEEZNS1_21merge_sort_block_sortIS3_N6thrust23THRUST_200600_302600_NS6detail15normal_iteratorINSA_10device_ptrIS5_EEEESF_PS6_SG_14custom_greaterIS5_EEE10hipError_tT0_T1_T2_T3_mRjT4_P12ihipStream_tbNS1_7vsmem_tEEUlT_E_NS1_11comp_targetILNS1_3genE3ELNS1_11target_archE908ELNS1_3gpuE7ELNS1_3repE0EEENS1_30default_config_static_selectorELNS0_4arch9wavefront6targetE1EEEvSL_.kd
    .uniform_work_group_size: 1
    .uses_dynamic_stack: false
    .vgpr_count:     0
    .vgpr_spill_count: 0
    .wavefront_size: 64
  - .agpr_count:     0
    .args:
      - .offset:         0
        .size:           64
        .value_kind:     by_value
    .group_segment_fixed_size: 0
    .kernarg_segment_align: 8
    .kernarg_segment_size: 64
    .language:       OpenCL C
    .language_version:
      - 2
      - 0
    .max_flat_workgroup_size: 256
    .name:           _ZN7rocprim17ROCPRIM_400000_NS6detail17trampoline_kernelINS0_14default_configENS1_37merge_sort_block_sort_config_selectorI14custom_numericNS0_10empty_typeEEEZNS1_21merge_sort_block_sortIS3_N6thrust23THRUST_200600_302600_NS6detail15normal_iteratorINSA_10device_ptrIS5_EEEESF_PS6_SG_14custom_greaterIS5_EEE10hipError_tT0_T1_T2_T3_mRjT4_P12ihipStream_tbNS1_7vsmem_tEEUlT_E_NS1_11comp_targetILNS1_3genE2ELNS1_11target_archE906ELNS1_3gpuE6ELNS1_3repE0EEENS1_30default_config_static_selectorELNS0_4arch9wavefront6targetE1EEEvSL_
    .private_segment_fixed_size: 0
    .sgpr_count:     4
    .sgpr_spill_count: 0
    .symbol:         _ZN7rocprim17ROCPRIM_400000_NS6detail17trampoline_kernelINS0_14default_configENS1_37merge_sort_block_sort_config_selectorI14custom_numericNS0_10empty_typeEEEZNS1_21merge_sort_block_sortIS3_N6thrust23THRUST_200600_302600_NS6detail15normal_iteratorINSA_10device_ptrIS5_EEEESF_PS6_SG_14custom_greaterIS5_EEE10hipError_tT0_T1_T2_T3_mRjT4_P12ihipStream_tbNS1_7vsmem_tEEUlT_E_NS1_11comp_targetILNS1_3genE2ELNS1_11target_archE906ELNS1_3gpuE6ELNS1_3repE0EEENS1_30default_config_static_selectorELNS0_4arch9wavefront6targetE1EEEvSL_.kd
    .uniform_work_group_size: 1
    .uses_dynamic_stack: false
    .vgpr_count:     0
    .vgpr_spill_count: 0
    .wavefront_size: 64
  - .agpr_count:     0
    .args:
      - .offset:         0
        .size:           64
        .value_kind:     by_value
    .group_segment_fixed_size: 0
    .kernarg_segment_align: 8
    .kernarg_segment_size: 64
    .language:       OpenCL C
    .language_version:
      - 2
      - 0
    .max_flat_workgroup_size: 256
    .name:           _ZN7rocprim17ROCPRIM_400000_NS6detail17trampoline_kernelINS0_14default_configENS1_37merge_sort_block_sort_config_selectorI14custom_numericNS0_10empty_typeEEEZNS1_21merge_sort_block_sortIS3_N6thrust23THRUST_200600_302600_NS6detail15normal_iteratorINSA_10device_ptrIS5_EEEESF_PS6_SG_14custom_greaterIS5_EEE10hipError_tT0_T1_T2_T3_mRjT4_P12ihipStream_tbNS1_7vsmem_tEEUlT_E_NS1_11comp_targetILNS1_3genE10ELNS1_11target_archE1201ELNS1_3gpuE5ELNS1_3repE0EEENS1_30default_config_static_selectorELNS0_4arch9wavefront6targetE1EEEvSL_
    .private_segment_fixed_size: 0
    .sgpr_count:     4
    .sgpr_spill_count: 0
    .symbol:         _ZN7rocprim17ROCPRIM_400000_NS6detail17trampoline_kernelINS0_14default_configENS1_37merge_sort_block_sort_config_selectorI14custom_numericNS0_10empty_typeEEEZNS1_21merge_sort_block_sortIS3_N6thrust23THRUST_200600_302600_NS6detail15normal_iteratorINSA_10device_ptrIS5_EEEESF_PS6_SG_14custom_greaterIS5_EEE10hipError_tT0_T1_T2_T3_mRjT4_P12ihipStream_tbNS1_7vsmem_tEEUlT_E_NS1_11comp_targetILNS1_3genE10ELNS1_11target_archE1201ELNS1_3gpuE5ELNS1_3repE0EEENS1_30default_config_static_selectorELNS0_4arch9wavefront6targetE1EEEvSL_.kd
    .uniform_work_group_size: 1
    .uses_dynamic_stack: false
    .vgpr_count:     0
    .vgpr_spill_count: 0
    .wavefront_size: 64
  - .agpr_count:     0
    .args:
      - .offset:         0
        .size:           64
        .value_kind:     by_value
    .group_segment_fixed_size: 0
    .kernarg_segment_align: 8
    .kernarg_segment_size: 64
    .language:       OpenCL C
    .language_version:
      - 2
      - 0
    .max_flat_workgroup_size: 256
    .name:           _ZN7rocprim17ROCPRIM_400000_NS6detail17trampoline_kernelINS0_14default_configENS1_37merge_sort_block_sort_config_selectorI14custom_numericNS0_10empty_typeEEEZNS1_21merge_sort_block_sortIS3_N6thrust23THRUST_200600_302600_NS6detail15normal_iteratorINSA_10device_ptrIS5_EEEESF_PS6_SG_14custom_greaterIS5_EEE10hipError_tT0_T1_T2_T3_mRjT4_P12ihipStream_tbNS1_7vsmem_tEEUlT_E_NS1_11comp_targetILNS1_3genE10ELNS1_11target_archE1200ELNS1_3gpuE4ELNS1_3repE0EEENS1_30default_config_static_selectorELNS0_4arch9wavefront6targetE1EEEvSL_
    .private_segment_fixed_size: 0
    .sgpr_count:     4
    .sgpr_spill_count: 0
    .symbol:         _ZN7rocprim17ROCPRIM_400000_NS6detail17trampoline_kernelINS0_14default_configENS1_37merge_sort_block_sort_config_selectorI14custom_numericNS0_10empty_typeEEEZNS1_21merge_sort_block_sortIS3_N6thrust23THRUST_200600_302600_NS6detail15normal_iteratorINSA_10device_ptrIS5_EEEESF_PS6_SG_14custom_greaterIS5_EEE10hipError_tT0_T1_T2_T3_mRjT4_P12ihipStream_tbNS1_7vsmem_tEEUlT_E_NS1_11comp_targetILNS1_3genE10ELNS1_11target_archE1200ELNS1_3gpuE4ELNS1_3repE0EEENS1_30default_config_static_selectorELNS0_4arch9wavefront6targetE1EEEvSL_.kd
    .uniform_work_group_size: 1
    .uses_dynamic_stack: false
    .vgpr_count:     0
    .vgpr_spill_count: 0
    .wavefront_size: 64
  - .agpr_count:     0
    .args:
      - .offset:         0
        .size:           64
        .value_kind:     by_value
    .group_segment_fixed_size: 0
    .kernarg_segment_align: 8
    .kernarg_segment_size: 64
    .language:       OpenCL C
    .language_version:
      - 2
      - 0
    .max_flat_workgroup_size: 256
    .name:           _ZN7rocprim17ROCPRIM_400000_NS6detail17trampoline_kernelINS0_14default_configENS1_37merge_sort_block_sort_config_selectorI14custom_numericNS0_10empty_typeEEEZNS1_21merge_sort_block_sortIS3_N6thrust23THRUST_200600_302600_NS6detail15normal_iteratorINSA_10device_ptrIS5_EEEESF_PS6_SG_14custom_greaterIS5_EEE10hipError_tT0_T1_T2_T3_mRjT4_P12ihipStream_tbNS1_7vsmem_tEEUlT_E_NS1_11comp_targetILNS1_3genE9ELNS1_11target_archE1100ELNS1_3gpuE3ELNS1_3repE0EEENS1_30default_config_static_selectorELNS0_4arch9wavefront6targetE1EEEvSL_
    .private_segment_fixed_size: 0
    .sgpr_count:     4
    .sgpr_spill_count: 0
    .symbol:         _ZN7rocprim17ROCPRIM_400000_NS6detail17trampoline_kernelINS0_14default_configENS1_37merge_sort_block_sort_config_selectorI14custom_numericNS0_10empty_typeEEEZNS1_21merge_sort_block_sortIS3_N6thrust23THRUST_200600_302600_NS6detail15normal_iteratorINSA_10device_ptrIS5_EEEESF_PS6_SG_14custom_greaterIS5_EEE10hipError_tT0_T1_T2_T3_mRjT4_P12ihipStream_tbNS1_7vsmem_tEEUlT_E_NS1_11comp_targetILNS1_3genE9ELNS1_11target_archE1100ELNS1_3gpuE3ELNS1_3repE0EEENS1_30default_config_static_selectorELNS0_4arch9wavefront6targetE1EEEvSL_.kd
    .uniform_work_group_size: 1
    .uses_dynamic_stack: false
    .vgpr_count:     0
    .vgpr_spill_count: 0
    .wavefront_size: 64
  - .agpr_count:     0
    .args:
      - .offset:         0
        .size:           64
        .value_kind:     by_value
    .group_segment_fixed_size: 0
    .kernarg_segment_align: 8
    .kernarg_segment_size: 64
    .language:       OpenCL C
    .language_version:
      - 2
      - 0
    .max_flat_workgroup_size: 256
    .name:           _ZN7rocprim17ROCPRIM_400000_NS6detail17trampoline_kernelINS0_14default_configENS1_37merge_sort_block_sort_config_selectorI14custom_numericNS0_10empty_typeEEEZNS1_21merge_sort_block_sortIS3_N6thrust23THRUST_200600_302600_NS6detail15normal_iteratorINSA_10device_ptrIS5_EEEESF_PS6_SG_14custom_greaterIS5_EEE10hipError_tT0_T1_T2_T3_mRjT4_P12ihipStream_tbNS1_7vsmem_tEEUlT_E_NS1_11comp_targetILNS1_3genE8ELNS1_11target_archE1030ELNS1_3gpuE2ELNS1_3repE0EEENS1_30default_config_static_selectorELNS0_4arch9wavefront6targetE1EEEvSL_
    .private_segment_fixed_size: 0
    .sgpr_count:     4
    .sgpr_spill_count: 0
    .symbol:         _ZN7rocprim17ROCPRIM_400000_NS6detail17trampoline_kernelINS0_14default_configENS1_37merge_sort_block_sort_config_selectorI14custom_numericNS0_10empty_typeEEEZNS1_21merge_sort_block_sortIS3_N6thrust23THRUST_200600_302600_NS6detail15normal_iteratorINSA_10device_ptrIS5_EEEESF_PS6_SG_14custom_greaterIS5_EEE10hipError_tT0_T1_T2_T3_mRjT4_P12ihipStream_tbNS1_7vsmem_tEEUlT_E_NS1_11comp_targetILNS1_3genE8ELNS1_11target_archE1030ELNS1_3gpuE2ELNS1_3repE0EEENS1_30default_config_static_selectorELNS0_4arch9wavefront6targetE1EEEvSL_.kd
    .uniform_work_group_size: 1
    .uses_dynamic_stack: false
    .vgpr_count:     0
    .vgpr_spill_count: 0
    .wavefront_size: 64
  - .agpr_count:     0
    .args:
      - .offset:         0
        .size:           48
        .value_kind:     by_value
    .group_segment_fixed_size: 0
    .kernarg_segment_align: 8
    .kernarg_segment_size: 48
    .language:       OpenCL C
    .language_version:
      - 2
      - 0
    .max_flat_workgroup_size: 128
    .name:           _ZN7rocprim17ROCPRIM_400000_NS6detail17trampoline_kernelINS0_14default_configENS1_38merge_sort_block_merge_config_selectorI14custom_numericNS0_10empty_typeEEEZZNS1_27merge_sort_block_merge_implIS3_N6thrust23THRUST_200600_302600_NS6detail15normal_iteratorINSA_10device_ptrIS5_EEEEPS6_m14custom_greaterIS5_EEE10hipError_tT0_T1_T2_jT3_P12ihipStream_tbPNSt15iterator_traitsISK_E10value_typeEPNSQ_ISL_E10value_typeEPSM_NS1_7vsmem_tEENKUlT_SK_SL_SM_E_clIPS5_SF_SG_SG_EESJ_SZ_SK_SL_SM_EUlSZ_E_NS1_11comp_targetILNS1_3genE0ELNS1_11target_archE4294967295ELNS1_3gpuE0ELNS1_3repE0EEENS1_48merge_mergepath_partition_config_static_selectorELNS0_4arch9wavefront6targetE1EEEvSL_
    .private_segment_fixed_size: 0
    .sgpr_count:     4
    .sgpr_spill_count: 0
    .symbol:         _ZN7rocprim17ROCPRIM_400000_NS6detail17trampoline_kernelINS0_14default_configENS1_38merge_sort_block_merge_config_selectorI14custom_numericNS0_10empty_typeEEEZZNS1_27merge_sort_block_merge_implIS3_N6thrust23THRUST_200600_302600_NS6detail15normal_iteratorINSA_10device_ptrIS5_EEEEPS6_m14custom_greaterIS5_EEE10hipError_tT0_T1_T2_jT3_P12ihipStream_tbPNSt15iterator_traitsISK_E10value_typeEPNSQ_ISL_E10value_typeEPSM_NS1_7vsmem_tEENKUlT_SK_SL_SM_E_clIPS5_SF_SG_SG_EESJ_SZ_SK_SL_SM_EUlSZ_E_NS1_11comp_targetILNS1_3genE0ELNS1_11target_archE4294967295ELNS1_3gpuE0ELNS1_3repE0EEENS1_48merge_mergepath_partition_config_static_selectorELNS0_4arch9wavefront6targetE1EEEvSL_.kd
    .uniform_work_group_size: 1
    .uses_dynamic_stack: false
    .vgpr_count:     0
    .vgpr_spill_count: 0
    .wavefront_size: 64
  - .agpr_count:     0
    .args:
      - .offset:         0
        .size:           48
        .value_kind:     by_value
    .group_segment_fixed_size: 0
    .kernarg_segment_align: 8
    .kernarg_segment_size: 48
    .language:       OpenCL C
    .language_version:
      - 2
      - 0
    .max_flat_workgroup_size: 128
    .name:           _ZN7rocprim17ROCPRIM_400000_NS6detail17trampoline_kernelINS0_14default_configENS1_38merge_sort_block_merge_config_selectorI14custom_numericNS0_10empty_typeEEEZZNS1_27merge_sort_block_merge_implIS3_N6thrust23THRUST_200600_302600_NS6detail15normal_iteratorINSA_10device_ptrIS5_EEEEPS6_m14custom_greaterIS5_EEE10hipError_tT0_T1_T2_jT3_P12ihipStream_tbPNSt15iterator_traitsISK_E10value_typeEPNSQ_ISL_E10value_typeEPSM_NS1_7vsmem_tEENKUlT_SK_SL_SM_E_clIPS5_SF_SG_SG_EESJ_SZ_SK_SL_SM_EUlSZ_E_NS1_11comp_targetILNS1_3genE10ELNS1_11target_archE1201ELNS1_3gpuE5ELNS1_3repE0EEENS1_48merge_mergepath_partition_config_static_selectorELNS0_4arch9wavefront6targetE1EEEvSL_
    .private_segment_fixed_size: 0
    .sgpr_count:     4
    .sgpr_spill_count: 0
    .symbol:         _ZN7rocprim17ROCPRIM_400000_NS6detail17trampoline_kernelINS0_14default_configENS1_38merge_sort_block_merge_config_selectorI14custom_numericNS0_10empty_typeEEEZZNS1_27merge_sort_block_merge_implIS3_N6thrust23THRUST_200600_302600_NS6detail15normal_iteratorINSA_10device_ptrIS5_EEEEPS6_m14custom_greaterIS5_EEE10hipError_tT0_T1_T2_jT3_P12ihipStream_tbPNSt15iterator_traitsISK_E10value_typeEPNSQ_ISL_E10value_typeEPSM_NS1_7vsmem_tEENKUlT_SK_SL_SM_E_clIPS5_SF_SG_SG_EESJ_SZ_SK_SL_SM_EUlSZ_E_NS1_11comp_targetILNS1_3genE10ELNS1_11target_archE1201ELNS1_3gpuE5ELNS1_3repE0EEENS1_48merge_mergepath_partition_config_static_selectorELNS0_4arch9wavefront6targetE1EEEvSL_.kd
    .uniform_work_group_size: 1
    .uses_dynamic_stack: false
    .vgpr_count:     0
    .vgpr_spill_count: 0
    .wavefront_size: 64
  - .agpr_count:     0
    .args:
      - .offset:         0
        .size:           48
        .value_kind:     by_value
    .group_segment_fixed_size: 0
    .kernarg_segment_align: 8
    .kernarg_segment_size: 48
    .language:       OpenCL C
    .language_version:
      - 2
      - 0
    .max_flat_workgroup_size: 128
    .name:           _ZN7rocprim17ROCPRIM_400000_NS6detail17trampoline_kernelINS0_14default_configENS1_38merge_sort_block_merge_config_selectorI14custom_numericNS0_10empty_typeEEEZZNS1_27merge_sort_block_merge_implIS3_N6thrust23THRUST_200600_302600_NS6detail15normal_iteratorINSA_10device_ptrIS5_EEEEPS6_m14custom_greaterIS5_EEE10hipError_tT0_T1_T2_jT3_P12ihipStream_tbPNSt15iterator_traitsISK_E10value_typeEPNSQ_ISL_E10value_typeEPSM_NS1_7vsmem_tEENKUlT_SK_SL_SM_E_clIPS5_SF_SG_SG_EESJ_SZ_SK_SL_SM_EUlSZ_E_NS1_11comp_targetILNS1_3genE5ELNS1_11target_archE942ELNS1_3gpuE9ELNS1_3repE0EEENS1_48merge_mergepath_partition_config_static_selectorELNS0_4arch9wavefront6targetE1EEEvSL_
    .private_segment_fixed_size: 0
    .sgpr_count:     4
    .sgpr_spill_count: 0
    .symbol:         _ZN7rocprim17ROCPRIM_400000_NS6detail17trampoline_kernelINS0_14default_configENS1_38merge_sort_block_merge_config_selectorI14custom_numericNS0_10empty_typeEEEZZNS1_27merge_sort_block_merge_implIS3_N6thrust23THRUST_200600_302600_NS6detail15normal_iteratorINSA_10device_ptrIS5_EEEEPS6_m14custom_greaterIS5_EEE10hipError_tT0_T1_T2_jT3_P12ihipStream_tbPNSt15iterator_traitsISK_E10value_typeEPNSQ_ISL_E10value_typeEPSM_NS1_7vsmem_tEENKUlT_SK_SL_SM_E_clIPS5_SF_SG_SG_EESJ_SZ_SK_SL_SM_EUlSZ_E_NS1_11comp_targetILNS1_3genE5ELNS1_11target_archE942ELNS1_3gpuE9ELNS1_3repE0EEENS1_48merge_mergepath_partition_config_static_selectorELNS0_4arch9wavefront6targetE1EEEvSL_.kd
    .uniform_work_group_size: 1
    .uses_dynamic_stack: false
    .vgpr_count:     0
    .vgpr_spill_count: 0
    .wavefront_size: 64
  - .agpr_count:     0
    .args:
      - .offset:         0
        .size:           48
        .value_kind:     by_value
    .group_segment_fixed_size: 0
    .kernarg_segment_align: 8
    .kernarg_segment_size: 48
    .language:       OpenCL C
    .language_version:
      - 2
      - 0
    .max_flat_workgroup_size: 128
    .name:           _ZN7rocprim17ROCPRIM_400000_NS6detail17trampoline_kernelINS0_14default_configENS1_38merge_sort_block_merge_config_selectorI14custom_numericNS0_10empty_typeEEEZZNS1_27merge_sort_block_merge_implIS3_N6thrust23THRUST_200600_302600_NS6detail15normal_iteratorINSA_10device_ptrIS5_EEEEPS6_m14custom_greaterIS5_EEE10hipError_tT0_T1_T2_jT3_P12ihipStream_tbPNSt15iterator_traitsISK_E10value_typeEPNSQ_ISL_E10value_typeEPSM_NS1_7vsmem_tEENKUlT_SK_SL_SM_E_clIPS5_SF_SG_SG_EESJ_SZ_SK_SL_SM_EUlSZ_E_NS1_11comp_targetILNS1_3genE4ELNS1_11target_archE910ELNS1_3gpuE8ELNS1_3repE0EEENS1_48merge_mergepath_partition_config_static_selectorELNS0_4arch9wavefront6targetE1EEEvSL_
    .private_segment_fixed_size: 0
    .sgpr_count:     12
    .sgpr_spill_count: 0
    .symbol:         _ZN7rocprim17ROCPRIM_400000_NS6detail17trampoline_kernelINS0_14default_configENS1_38merge_sort_block_merge_config_selectorI14custom_numericNS0_10empty_typeEEEZZNS1_27merge_sort_block_merge_implIS3_N6thrust23THRUST_200600_302600_NS6detail15normal_iteratorINSA_10device_ptrIS5_EEEEPS6_m14custom_greaterIS5_EEE10hipError_tT0_T1_T2_jT3_P12ihipStream_tbPNSt15iterator_traitsISK_E10value_typeEPNSQ_ISL_E10value_typeEPSM_NS1_7vsmem_tEENKUlT_SK_SL_SM_E_clIPS5_SF_SG_SG_EESJ_SZ_SK_SL_SM_EUlSZ_E_NS1_11comp_targetILNS1_3genE4ELNS1_11target_archE910ELNS1_3gpuE8ELNS1_3repE0EEENS1_48merge_mergepath_partition_config_static_selectorELNS0_4arch9wavefront6targetE1EEEvSL_.kd
    .uniform_work_group_size: 1
    .uses_dynamic_stack: false
    .vgpr_count:     22
    .vgpr_spill_count: 0
    .wavefront_size: 64
  - .agpr_count:     0
    .args:
      - .offset:         0
        .size:           48
        .value_kind:     by_value
    .group_segment_fixed_size: 0
    .kernarg_segment_align: 8
    .kernarg_segment_size: 48
    .language:       OpenCL C
    .language_version:
      - 2
      - 0
    .max_flat_workgroup_size: 128
    .name:           _ZN7rocprim17ROCPRIM_400000_NS6detail17trampoline_kernelINS0_14default_configENS1_38merge_sort_block_merge_config_selectorI14custom_numericNS0_10empty_typeEEEZZNS1_27merge_sort_block_merge_implIS3_N6thrust23THRUST_200600_302600_NS6detail15normal_iteratorINSA_10device_ptrIS5_EEEEPS6_m14custom_greaterIS5_EEE10hipError_tT0_T1_T2_jT3_P12ihipStream_tbPNSt15iterator_traitsISK_E10value_typeEPNSQ_ISL_E10value_typeEPSM_NS1_7vsmem_tEENKUlT_SK_SL_SM_E_clIPS5_SF_SG_SG_EESJ_SZ_SK_SL_SM_EUlSZ_E_NS1_11comp_targetILNS1_3genE3ELNS1_11target_archE908ELNS1_3gpuE7ELNS1_3repE0EEENS1_48merge_mergepath_partition_config_static_selectorELNS0_4arch9wavefront6targetE1EEEvSL_
    .private_segment_fixed_size: 0
    .sgpr_count:     4
    .sgpr_spill_count: 0
    .symbol:         _ZN7rocprim17ROCPRIM_400000_NS6detail17trampoline_kernelINS0_14default_configENS1_38merge_sort_block_merge_config_selectorI14custom_numericNS0_10empty_typeEEEZZNS1_27merge_sort_block_merge_implIS3_N6thrust23THRUST_200600_302600_NS6detail15normal_iteratorINSA_10device_ptrIS5_EEEEPS6_m14custom_greaterIS5_EEE10hipError_tT0_T1_T2_jT3_P12ihipStream_tbPNSt15iterator_traitsISK_E10value_typeEPNSQ_ISL_E10value_typeEPSM_NS1_7vsmem_tEENKUlT_SK_SL_SM_E_clIPS5_SF_SG_SG_EESJ_SZ_SK_SL_SM_EUlSZ_E_NS1_11comp_targetILNS1_3genE3ELNS1_11target_archE908ELNS1_3gpuE7ELNS1_3repE0EEENS1_48merge_mergepath_partition_config_static_selectorELNS0_4arch9wavefront6targetE1EEEvSL_.kd
    .uniform_work_group_size: 1
    .uses_dynamic_stack: false
    .vgpr_count:     0
    .vgpr_spill_count: 0
    .wavefront_size: 64
  - .agpr_count:     0
    .args:
      - .offset:         0
        .size:           48
        .value_kind:     by_value
    .group_segment_fixed_size: 0
    .kernarg_segment_align: 8
    .kernarg_segment_size: 48
    .language:       OpenCL C
    .language_version:
      - 2
      - 0
    .max_flat_workgroup_size: 128
    .name:           _ZN7rocprim17ROCPRIM_400000_NS6detail17trampoline_kernelINS0_14default_configENS1_38merge_sort_block_merge_config_selectorI14custom_numericNS0_10empty_typeEEEZZNS1_27merge_sort_block_merge_implIS3_N6thrust23THRUST_200600_302600_NS6detail15normal_iteratorINSA_10device_ptrIS5_EEEEPS6_m14custom_greaterIS5_EEE10hipError_tT0_T1_T2_jT3_P12ihipStream_tbPNSt15iterator_traitsISK_E10value_typeEPNSQ_ISL_E10value_typeEPSM_NS1_7vsmem_tEENKUlT_SK_SL_SM_E_clIPS5_SF_SG_SG_EESJ_SZ_SK_SL_SM_EUlSZ_E_NS1_11comp_targetILNS1_3genE2ELNS1_11target_archE906ELNS1_3gpuE6ELNS1_3repE0EEENS1_48merge_mergepath_partition_config_static_selectorELNS0_4arch9wavefront6targetE1EEEvSL_
    .private_segment_fixed_size: 0
    .sgpr_count:     4
    .sgpr_spill_count: 0
    .symbol:         _ZN7rocprim17ROCPRIM_400000_NS6detail17trampoline_kernelINS0_14default_configENS1_38merge_sort_block_merge_config_selectorI14custom_numericNS0_10empty_typeEEEZZNS1_27merge_sort_block_merge_implIS3_N6thrust23THRUST_200600_302600_NS6detail15normal_iteratorINSA_10device_ptrIS5_EEEEPS6_m14custom_greaterIS5_EEE10hipError_tT0_T1_T2_jT3_P12ihipStream_tbPNSt15iterator_traitsISK_E10value_typeEPNSQ_ISL_E10value_typeEPSM_NS1_7vsmem_tEENKUlT_SK_SL_SM_E_clIPS5_SF_SG_SG_EESJ_SZ_SK_SL_SM_EUlSZ_E_NS1_11comp_targetILNS1_3genE2ELNS1_11target_archE906ELNS1_3gpuE6ELNS1_3repE0EEENS1_48merge_mergepath_partition_config_static_selectorELNS0_4arch9wavefront6targetE1EEEvSL_.kd
    .uniform_work_group_size: 1
    .uses_dynamic_stack: false
    .vgpr_count:     0
    .vgpr_spill_count: 0
    .wavefront_size: 64
  - .agpr_count:     0
    .args:
      - .offset:         0
        .size:           48
        .value_kind:     by_value
    .group_segment_fixed_size: 0
    .kernarg_segment_align: 8
    .kernarg_segment_size: 48
    .language:       OpenCL C
    .language_version:
      - 2
      - 0
    .max_flat_workgroup_size: 128
    .name:           _ZN7rocprim17ROCPRIM_400000_NS6detail17trampoline_kernelINS0_14default_configENS1_38merge_sort_block_merge_config_selectorI14custom_numericNS0_10empty_typeEEEZZNS1_27merge_sort_block_merge_implIS3_N6thrust23THRUST_200600_302600_NS6detail15normal_iteratorINSA_10device_ptrIS5_EEEEPS6_m14custom_greaterIS5_EEE10hipError_tT0_T1_T2_jT3_P12ihipStream_tbPNSt15iterator_traitsISK_E10value_typeEPNSQ_ISL_E10value_typeEPSM_NS1_7vsmem_tEENKUlT_SK_SL_SM_E_clIPS5_SF_SG_SG_EESJ_SZ_SK_SL_SM_EUlSZ_E_NS1_11comp_targetILNS1_3genE9ELNS1_11target_archE1100ELNS1_3gpuE3ELNS1_3repE0EEENS1_48merge_mergepath_partition_config_static_selectorELNS0_4arch9wavefront6targetE1EEEvSL_
    .private_segment_fixed_size: 0
    .sgpr_count:     4
    .sgpr_spill_count: 0
    .symbol:         _ZN7rocprim17ROCPRIM_400000_NS6detail17trampoline_kernelINS0_14default_configENS1_38merge_sort_block_merge_config_selectorI14custom_numericNS0_10empty_typeEEEZZNS1_27merge_sort_block_merge_implIS3_N6thrust23THRUST_200600_302600_NS6detail15normal_iteratorINSA_10device_ptrIS5_EEEEPS6_m14custom_greaterIS5_EEE10hipError_tT0_T1_T2_jT3_P12ihipStream_tbPNSt15iterator_traitsISK_E10value_typeEPNSQ_ISL_E10value_typeEPSM_NS1_7vsmem_tEENKUlT_SK_SL_SM_E_clIPS5_SF_SG_SG_EESJ_SZ_SK_SL_SM_EUlSZ_E_NS1_11comp_targetILNS1_3genE9ELNS1_11target_archE1100ELNS1_3gpuE3ELNS1_3repE0EEENS1_48merge_mergepath_partition_config_static_selectorELNS0_4arch9wavefront6targetE1EEEvSL_.kd
    .uniform_work_group_size: 1
    .uses_dynamic_stack: false
    .vgpr_count:     0
    .vgpr_spill_count: 0
    .wavefront_size: 64
  - .agpr_count:     0
    .args:
      - .offset:         0
        .size:           48
        .value_kind:     by_value
    .group_segment_fixed_size: 0
    .kernarg_segment_align: 8
    .kernarg_segment_size: 48
    .language:       OpenCL C
    .language_version:
      - 2
      - 0
    .max_flat_workgroup_size: 128
    .name:           _ZN7rocprim17ROCPRIM_400000_NS6detail17trampoline_kernelINS0_14default_configENS1_38merge_sort_block_merge_config_selectorI14custom_numericNS0_10empty_typeEEEZZNS1_27merge_sort_block_merge_implIS3_N6thrust23THRUST_200600_302600_NS6detail15normal_iteratorINSA_10device_ptrIS5_EEEEPS6_m14custom_greaterIS5_EEE10hipError_tT0_T1_T2_jT3_P12ihipStream_tbPNSt15iterator_traitsISK_E10value_typeEPNSQ_ISL_E10value_typeEPSM_NS1_7vsmem_tEENKUlT_SK_SL_SM_E_clIPS5_SF_SG_SG_EESJ_SZ_SK_SL_SM_EUlSZ_E_NS1_11comp_targetILNS1_3genE8ELNS1_11target_archE1030ELNS1_3gpuE2ELNS1_3repE0EEENS1_48merge_mergepath_partition_config_static_selectorELNS0_4arch9wavefront6targetE1EEEvSL_
    .private_segment_fixed_size: 0
    .sgpr_count:     4
    .sgpr_spill_count: 0
    .symbol:         _ZN7rocprim17ROCPRIM_400000_NS6detail17trampoline_kernelINS0_14default_configENS1_38merge_sort_block_merge_config_selectorI14custom_numericNS0_10empty_typeEEEZZNS1_27merge_sort_block_merge_implIS3_N6thrust23THRUST_200600_302600_NS6detail15normal_iteratorINSA_10device_ptrIS5_EEEEPS6_m14custom_greaterIS5_EEE10hipError_tT0_T1_T2_jT3_P12ihipStream_tbPNSt15iterator_traitsISK_E10value_typeEPNSQ_ISL_E10value_typeEPSM_NS1_7vsmem_tEENKUlT_SK_SL_SM_E_clIPS5_SF_SG_SG_EESJ_SZ_SK_SL_SM_EUlSZ_E_NS1_11comp_targetILNS1_3genE8ELNS1_11target_archE1030ELNS1_3gpuE2ELNS1_3repE0EEENS1_48merge_mergepath_partition_config_static_selectorELNS0_4arch9wavefront6targetE1EEEvSL_.kd
    .uniform_work_group_size: 1
    .uses_dynamic_stack: false
    .vgpr_count:     0
    .vgpr_spill_count: 0
    .wavefront_size: 64
  - .agpr_count:     0
    .args:
      - .offset:         0
        .size:           72
        .value_kind:     by_value
    .group_segment_fixed_size: 0
    .kernarg_segment_align: 8
    .kernarg_segment_size: 72
    .language:       OpenCL C
    .language_version:
      - 2
      - 0
    .max_flat_workgroup_size: 128
    .name:           _ZN7rocprim17ROCPRIM_400000_NS6detail17trampoline_kernelINS0_14default_configENS1_38merge_sort_block_merge_config_selectorI14custom_numericNS0_10empty_typeEEEZZNS1_27merge_sort_block_merge_implIS3_N6thrust23THRUST_200600_302600_NS6detail15normal_iteratorINSA_10device_ptrIS5_EEEEPS6_m14custom_greaterIS5_EEE10hipError_tT0_T1_T2_jT3_P12ihipStream_tbPNSt15iterator_traitsISK_E10value_typeEPNSQ_ISL_E10value_typeEPSM_NS1_7vsmem_tEENKUlT_SK_SL_SM_E_clIPS5_SF_SG_SG_EESJ_SZ_SK_SL_SM_EUlSZ_E0_NS1_11comp_targetILNS1_3genE0ELNS1_11target_archE4294967295ELNS1_3gpuE0ELNS1_3repE0EEENS1_38merge_mergepath_config_static_selectorELNS0_4arch9wavefront6targetE1EEEvSL_
    .private_segment_fixed_size: 0
    .sgpr_count:     4
    .sgpr_spill_count: 0
    .symbol:         _ZN7rocprim17ROCPRIM_400000_NS6detail17trampoline_kernelINS0_14default_configENS1_38merge_sort_block_merge_config_selectorI14custom_numericNS0_10empty_typeEEEZZNS1_27merge_sort_block_merge_implIS3_N6thrust23THRUST_200600_302600_NS6detail15normal_iteratorINSA_10device_ptrIS5_EEEEPS6_m14custom_greaterIS5_EEE10hipError_tT0_T1_T2_jT3_P12ihipStream_tbPNSt15iterator_traitsISK_E10value_typeEPNSQ_ISL_E10value_typeEPSM_NS1_7vsmem_tEENKUlT_SK_SL_SM_E_clIPS5_SF_SG_SG_EESJ_SZ_SK_SL_SM_EUlSZ_E0_NS1_11comp_targetILNS1_3genE0ELNS1_11target_archE4294967295ELNS1_3gpuE0ELNS1_3repE0EEENS1_38merge_mergepath_config_static_selectorELNS0_4arch9wavefront6targetE1EEEvSL_.kd
    .uniform_work_group_size: 1
    .uses_dynamic_stack: false
    .vgpr_count:     0
    .vgpr_spill_count: 0
    .wavefront_size: 64
  - .agpr_count:     0
    .args:
      - .offset:         0
        .size:           72
        .value_kind:     by_value
    .group_segment_fixed_size: 0
    .kernarg_segment_align: 8
    .kernarg_segment_size: 72
    .language:       OpenCL C
    .language_version:
      - 2
      - 0
    .max_flat_workgroup_size: 128
    .name:           _ZN7rocprim17ROCPRIM_400000_NS6detail17trampoline_kernelINS0_14default_configENS1_38merge_sort_block_merge_config_selectorI14custom_numericNS0_10empty_typeEEEZZNS1_27merge_sort_block_merge_implIS3_N6thrust23THRUST_200600_302600_NS6detail15normal_iteratorINSA_10device_ptrIS5_EEEEPS6_m14custom_greaterIS5_EEE10hipError_tT0_T1_T2_jT3_P12ihipStream_tbPNSt15iterator_traitsISK_E10value_typeEPNSQ_ISL_E10value_typeEPSM_NS1_7vsmem_tEENKUlT_SK_SL_SM_E_clIPS5_SF_SG_SG_EESJ_SZ_SK_SL_SM_EUlSZ_E0_NS1_11comp_targetILNS1_3genE10ELNS1_11target_archE1201ELNS1_3gpuE5ELNS1_3repE0EEENS1_38merge_mergepath_config_static_selectorELNS0_4arch9wavefront6targetE1EEEvSL_
    .private_segment_fixed_size: 0
    .sgpr_count:     4
    .sgpr_spill_count: 0
    .symbol:         _ZN7rocprim17ROCPRIM_400000_NS6detail17trampoline_kernelINS0_14default_configENS1_38merge_sort_block_merge_config_selectorI14custom_numericNS0_10empty_typeEEEZZNS1_27merge_sort_block_merge_implIS3_N6thrust23THRUST_200600_302600_NS6detail15normal_iteratorINSA_10device_ptrIS5_EEEEPS6_m14custom_greaterIS5_EEE10hipError_tT0_T1_T2_jT3_P12ihipStream_tbPNSt15iterator_traitsISK_E10value_typeEPNSQ_ISL_E10value_typeEPSM_NS1_7vsmem_tEENKUlT_SK_SL_SM_E_clIPS5_SF_SG_SG_EESJ_SZ_SK_SL_SM_EUlSZ_E0_NS1_11comp_targetILNS1_3genE10ELNS1_11target_archE1201ELNS1_3gpuE5ELNS1_3repE0EEENS1_38merge_mergepath_config_static_selectorELNS0_4arch9wavefront6targetE1EEEvSL_.kd
    .uniform_work_group_size: 1
    .uses_dynamic_stack: false
    .vgpr_count:     0
    .vgpr_spill_count: 0
    .wavefront_size: 64
  - .agpr_count:     0
    .args:
      - .offset:         0
        .size:           72
        .value_kind:     by_value
    .group_segment_fixed_size: 0
    .kernarg_segment_align: 8
    .kernarg_segment_size: 72
    .language:       OpenCL C
    .language_version:
      - 2
      - 0
    .max_flat_workgroup_size: 128
    .name:           _ZN7rocprim17ROCPRIM_400000_NS6detail17trampoline_kernelINS0_14default_configENS1_38merge_sort_block_merge_config_selectorI14custom_numericNS0_10empty_typeEEEZZNS1_27merge_sort_block_merge_implIS3_N6thrust23THRUST_200600_302600_NS6detail15normal_iteratorINSA_10device_ptrIS5_EEEEPS6_m14custom_greaterIS5_EEE10hipError_tT0_T1_T2_jT3_P12ihipStream_tbPNSt15iterator_traitsISK_E10value_typeEPNSQ_ISL_E10value_typeEPSM_NS1_7vsmem_tEENKUlT_SK_SL_SM_E_clIPS5_SF_SG_SG_EESJ_SZ_SK_SL_SM_EUlSZ_E0_NS1_11comp_targetILNS1_3genE5ELNS1_11target_archE942ELNS1_3gpuE9ELNS1_3repE0EEENS1_38merge_mergepath_config_static_selectorELNS0_4arch9wavefront6targetE1EEEvSL_
    .private_segment_fixed_size: 0
    .sgpr_count:     4
    .sgpr_spill_count: 0
    .symbol:         _ZN7rocprim17ROCPRIM_400000_NS6detail17trampoline_kernelINS0_14default_configENS1_38merge_sort_block_merge_config_selectorI14custom_numericNS0_10empty_typeEEEZZNS1_27merge_sort_block_merge_implIS3_N6thrust23THRUST_200600_302600_NS6detail15normal_iteratorINSA_10device_ptrIS5_EEEEPS6_m14custom_greaterIS5_EEE10hipError_tT0_T1_T2_jT3_P12ihipStream_tbPNSt15iterator_traitsISK_E10value_typeEPNSQ_ISL_E10value_typeEPSM_NS1_7vsmem_tEENKUlT_SK_SL_SM_E_clIPS5_SF_SG_SG_EESJ_SZ_SK_SL_SM_EUlSZ_E0_NS1_11comp_targetILNS1_3genE5ELNS1_11target_archE942ELNS1_3gpuE9ELNS1_3repE0EEENS1_38merge_mergepath_config_static_selectorELNS0_4arch9wavefront6targetE1EEEvSL_.kd
    .uniform_work_group_size: 1
    .uses_dynamic_stack: false
    .vgpr_count:     0
    .vgpr_spill_count: 0
    .wavefront_size: 64
  - .agpr_count:     0
    .args:
      - .offset:         0
        .size:           72
        .value_kind:     by_value
      - .offset:         72
        .size:           4
        .value_kind:     hidden_block_count_x
      - .offset:         76
        .size:           4
        .value_kind:     hidden_block_count_y
      - .offset:         80
        .size:           4
        .value_kind:     hidden_block_count_z
      - .offset:         84
        .size:           2
        .value_kind:     hidden_group_size_x
      - .offset:         86
        .size:           2
        .value_kind:     hidden_group_size_y
      - .offset:         88
        .size:           2
        .value_kind:     hidden_group_size_z
      - .offset:         90
        .size:           2
        .value_kind:     hidden_remainder_x
      - .offset:         92
        .size:           2
        .value_kind:     hidden_remainder_y
      - .offset:         94
        .size:           2
        .value_kind:     hidden_remainder_z
      - .offset:         112
        .size:           8
        .value_kind:     hidden_global_offset_x
      - .offset:         120
        .size:           8
        .value_kind:     hidden_global_offset_y
      - .offset:         128
        .size:           8
        .value_kind:     hidden_global_offset_z
      - .offset:         136
        .size:           2
        .value_kind:     hidden_grid_dims
    .group_segment_fixed_size: 10560
    .kernarg_segment_align: 8
    .kernarg_segment_size: 328
    .language:       OpenCL C
    .language_version:
      - 2
      - 0
    .max_flat_workgroup_size: 128
    .name:           _ZN7rocprim17ROCPRIM_400000_NS6detail17trampoline_kernelINS0_14default_configENS1_38merge_sort_block_merge_config_selectorI14custom_numericNS0_10empty_typeEEEZZNS1_27merge_sort_block_merge_implIS3_N6thrust23THRUST_200600_302600_NS6detail15normal_iteratorINSA_10device_ptrIS5_EEEEPS6_m14custom_greaterIS5_EEE10hipError_tT0_T1_T2_jT3_P12ihipStream_tbPNSt15iterator_traitsISK_E10value_typeEPNSQ_ISL_E10value_typeEPSM_NS1_7vsmem_tEENKUlT_SK_SL_SM_E_clIPS5_SF_SG_SG_EESJ_SZ_SK_SL_SM_EUlSZ_E0_NS1_11comp_targetILNS1_3genE4ELNS1_11target_archE910ELNS1_3gpuE8ELNS1_3repE0EEENS1_38merge_mergepath_config_static_selectorELNS0_4arch9wavefront6targetE1EEEvSL_
    .private_segment_fixed_size: 0
    .sgpr_count:     35
    .sgpr_spill_count: 0
    .symbol:         _ZN7rocprim17ROCPRIM_400000_NS6detail17trampoline_kernelINS0_14default_configENS1_38merge_sort_block_merge_config_selectorI14custom_numericNS0_10empty_typeEEEZZNS1_27merge_sort_block_merge_implIS3_N6thrust23THRUST_200600_302600_NS6detail15normal_iteratorINSA_10device_ptrIS5_EEEEPS6_m14custom_greaterIS5_EEE10hipError_tT0_T1_T2_jT3_P12ihipStream_tbPNSt15iterator_traitsISK_E10value_typeEPNSQ_ISL_E10value_typeEPSM_NS1_7vsmem_tEENKUlT_SK_SL_SM_E_clIPS5_SF_SG_SG_EESJ_SZ_SK_SL_SM_EUlSZ_E0_NS1_11comp_targetILNS1_3genE4ELNS1_11target_archE910ELNS1_3gpuE8ELNS1_3repE0EEENS1_38merge_mergepath_config_static_selectorELNS0_4arch9wavefront6targetE1EEEvSL_.kd
    .uniform_work_group_size: 1
    .uses_dynamic_stack: false
    .vgpr_count:     24
    .vgpr_spill_count: 0
    .wavefront_size: 64
  - .agpr_count:     0
    .args:
      - .offset:         0
        .size:           72
        .value_kind:     by_value
    .group_segment_fixed_size: 0
    .kernarg_segment_align: 8
    .kernarg_segment_size: 72
    .language:       OpenCL C
    .language_version:
      - 2
      - 0
    .max_flat_workgroup_size: 128
    .name:           _ZN7rocprim17ROCPRIM_400000_NS6detail17trampoline_kernelINS0_14default_configENS1_38merge_sort_block_merge_config_selectorI14custom_numericNS0_10empty_typeEEEZZNS1_27merge_sort_block_merge_implIS3_N6thrust23THRUST_200600_302600_NS6detail15normal_iteratorINSA_10device_ptrIS5_EEEEPS6_m14custom_greaterIS5_EEE10hipError_tT0_T1_T2_jT3_P12ihipStream_tbPNSt15iterator_traitsISK_E10value_typeEPNSQ_ISL_E10value_typeEPSM_NS1_7vsmem_tEENKUlT_SK_SL_SM_E_clIPS5_SF_SG_SG_EESJ_SZ_SK_SL_SM_EUlSZ_E0_NS1_11comp_targetILNS1_3genE3ELNS1_11target_archE908ELNS1_3gpuE7ELNS1_3repE0EEENS1_38merge_mergepath_config_static_selectorELNS0_4arch9wavefront6targetE1EEEvSL_
    .private_segment_fixed_size: 0
    .sgpr_count:     4
    .sgpr_spill_count: 0
    .symbol:         _ZN7rocprim17ROCPRIM_400000_NS6detail17trampoline_kernelINS0_14default_configENS1_38merge_sort_block_merge_config_selectorI14custom_numericNS0_10empty_typeEEEZZNS1_27merge_sort_block_merge_implIS3_N6thrust23THRUST_200600_302600_NS6detail15normal_iteratorINSA_10device_ptrIS5_EEEEPS6_m14custom_greaterIS5_EEE10hipError_tT0_T1_T2_jT3_P12ihipStream_tbPNSt15iterator_traitsISK_E10value_typeEPNSQ_ISL_E10value_typeEPSM_NS1_7vsmem_tEENKUlT_SK_SL_SM_E_clIPS5_SF_SG_SG_EESJ_SZ_SK_SL_SM_EUlSZ_E0_NS1_11comp_targetILNS1_3genE3ELNS1_11target_archE908ELNS1_3gpuE7ELNS1_3repE0EEENS1_38merge_mergepath_config_static_selectorELNS0_4arch9wavefront6targetE1EEEvSL_.kd
    .uniform_work_group_size: 1
    .uses_dynamic_stack: false
    .vgpr_count:     0
    .vgpr_spill_count: 0
    .wavefront_size: 64
  - .agpr_count:     0
    .args:
      - .offset:         0
        .size:           72
        .value_kind:     by_value
    .group_segment_fixed_size: 0
    .kernarg_segment_align: 8
    .kernarg_segment_size: 72
    .language:       OpenCL C
    .language_version:
      - 2
      - 0
    .max_flat_workgroup_size: 128
    .name:           _ZN7rocprim17ROCPRIM_400000_NS6detail17trampoline_kernelINS0_14default_configENS1_38merge_sort_block_merge_config_selectorI14custom_numericNS0_10empty_typeEEEZZNS1_27merge_sort_block_merge_implIS3_N6thrust23THRUST_200600_302600_NS6detail15normal_iteratorINSA_10device_ptrIS5_EEEEPS6_m14custom_greaterIS5_EEE10hipError_tT0_T1_T2_jT3_P12ihipStream_tbPNSt15iterator_traitsISK_E10value_typeEPNSQ_ISL_E10value_typeEPSM_NS1_7vsmem_tEENKUlT_SK_SL_SM_E_clIPS5_SF_SG_SG_EESJ_SZ_SK_SL_SM_EUlSZ_E0_NS1_11comp_targetILNS1_3genE2ELNS1_11target_archE906ELNS1_3gpuE6ELNS1_3repE0EEENS1_38merge_mergepath_config_static_selectorELNS0_4arch9wavefront6targetE1EEEvSL_
    .private_segment_fixed_size: 0
    .sgpr_count:     4
    .sgpr_spill_count: 0
    .symbol:         _ZN7rocprim17ROCPRIM_400000_NS6detail17trampoline_kernelINS0_14default_configENS1_38merge_sort_block_merge_config_selectorI14custom_numericNS0_10empty_typeEEEZZNS1_27merge_sort_block_merge_implIS3_N6thrust23THRUST_200600_302600_NS6detail15normal_iteratorINSA_10device_ptrIS5_EEEEPS6_m14custom_greaterIS5_EEE10hipError_tT0_T1_T2_jT3_P12ihipStream_tbPNSt15iterator_traitsISK_E10value_typeEPNSQ_ISL_E10value_typeEPSM_NS1_7vsmem_tEENKUlT_SK_SL_SM_E_clIPS5_SF_SG_SG_EESJ_SZ_SK_SL_SM_EUlSZ_E0_NS1_11comp_targetILNS1_3genE2ELNS1_11target_archE906ELNS1_3gpuE6ELNS1_3repE0EEENS1_38merge_mergepath_config_static_selectorELNS0_4arch9wavefront6targetE1EEEvSL_.kd
    .uniform_work_group_size: 1
    .uses_dynamic_stack: false
    .vgpr_count:     0
    .vgpr_spill_count: 0
    .wavefront_size: 64
  - .agpr_count:     0
    .args:
      - .offset:         0
        .size:           72
        .value_kind:     by_value
    .group_segment_fixed_size: 0
    .kernarg_segment_align: 8
    .kernarg_segment_size: 72
    .language:       OpenCL C
    .language_version:
      - 2
      - 0
    .max_flat_workgroup_size: 128
    .name:           _ZN7rocprim17ROCPRIM_400000_NS6detail17trampoline_kernelINS0_14default_configENS1_38merge_sort_block_merge_config_selectorI14custom_numericNS0_10empty_typeEEEZZNS1_27merge_sort_block_merge_implIS3_N6thrust23THRUST_200600_302600_NS6detail15normal_iteratorINSA_10device_ptrIS5_EEEEPS6_m14custom_greaterIS5_EEE10hipError_tT0_T1_T2_jT3_P12ihipStream_tbPNSt15iterator_traitsISK_E10value_typeEPNSQ_ISL_E10value_typeEPSM_NS1_7vsmem_tEENKUlT_SK_SL_SM_E_clIPS5_SF_SG_SG_EESJ_SZ_SK_SL_SM_EUlSZ_E0_NS1_11comp_targetILNS1_3genE9ELNS1_11target_archE1100ELNS1_3gpuE3ELNS1_3repE0EEENS1_38merge_mergepath_config_static_selectorELNS0_4arch9wavefront6targetE1EEEvSL_
    .private_segment_fixed_size: 0
    .sgpr_count:     4
    .sgpr_spill_count: 0
    .symbol:         _ZN7rocprim17ROCPRIM_400000_NS6detail17trampoline_kernelINS0_14default_configENS1_38merge_sort_block_merge_config_selectorI14custom_numericNS0_10empty_typeEEEZZNS1_27merge_sort_block_merge_implIS3_N6thrust23THRUST_200600_302600_NS6detail15normal_iteratorINSA_10device_ptrIS5_EEEEPS6_m14custom_greaterIS5_EEE10hipError_tT0_T1_T2_jT3_P12ihipStream_tbPNSt15iterator_traitsISK_E10value_typeEPNSQ_ISL_E10value_typeEPSM_NS1_7vsmem_tEENKUlT_SK_SL_SM_E_clIPS5_SF_SG_SG_EESJ_SZ_SK_SL_SM_EUlSZ_E0_NS1_11comp_targetILNS1_3genE9ELNS1_11target_archE1100ELNS1_3gpuE3ELNS1_3repE0EEENS1_38merge_mergepath_config_static_selectorELNS0_4arch9wavefront6targetE1EEEvSL_.kd
    .uniform_work_group_size: 1
    .uses_dynamic_stack: false
    .vgpr_count:     0
    .vgpr_spill_count: 0
    .wavefront_size: 64
  - .agpr_count:     0
    .args:
      - .offset:         0
        .size:           72
        .value_kind:     by_value
    .group_segment_fixed_size: 0
    .kernarg_segment_align: 8
    .kernarg_segment_size: 72
    .language:       OpenCL C
    .language_version:
      - 2
      - 0
    .max_flat_workgroup_size: 128
    .name:           _ZN7rocprim17ROCPRIM_400000_NS6detail17trampoline_kernelINS0_14default_configENS1_38merge_sort_block_merge_config_selectorI14custom_numericNS0_10empty_typeEEEZZNS1_27merge_sort_block_merge_implIS3_N6thrust23THRUST_200600_302600_NS6detail15normal_iteratorINSA_10device_ptrIS5_EEEEPS6_m14custom_greaterIS5_EEE10hipError_tT0_T1_T2_jT3_P12ihipStream_tbPNSt15iterator_traitsISK_E10value_typeEPNSQ_ISL_E10value_typeEPSM_NS1_7vsmem_tEENKUlT_SK_SL_SM_E_clIPS5_SF_SG_SG_EESJ_SZ_SK_SL_SM_EUlSZ_E0_NS1_11comp_targetILNS1_3genE8ELNS1_11target_archE1030ELNS1_3gpuE2ELNS1_3repE0EEENS1_38merge_mergepath_config_static_selectorELNS0_4arch9wavefront6targetE1EEEvSL_
    .private_segment_fixed_size: 0
    .sgpr_count:     4
    .sgpr_spill_count: 0
    .symbol:         _ZN7rocprim17ROCPRIM_400000_NS6detail17trampoline_kernelINS0_14default_configENS1_38merge_sort_block_merge_config_selectorI14custom_numericNS0_10empty_typeEEEZZNS1_27merge_sort_block_merge_implIS3_N6thrust23THRUST_200600_302600_NS6detail15normal_iteratorINSA_10device_ptrIS5_EEEEPS6_m14custom_greaterIS5_EEE10hipError_tT0_T1_T2_jT3_P12ihipStream_tbPNSt15iterator_traitsISK_E10value_typeEPNSQ_ISL_E10value_typeEPSM_NS1_7vsmem_tEENKUlT_SK_SL_SM_E_clIPS5_SF_SG_SG_EESJ_SZ_SK_SL_SM_EUlSZ_E0_NS1_11comp_targetILNS1_3genE8ELNS1_11target_archE1030ELNS1_3gpuE2ELNS1_3repE0EEENS1_38merge_mergepath_config_static_selectorELNS0_4arch9wavefront6targetE1EEEvSL_.kd
    .uniform_work_group_size: 1
    .uses_dynamic_stack: false
    .vgpr_count:     0
    .vgpr_spill_count: 0
    .wavefront_size: 64
  - .agpr_count:     0
    .args:
      - .offset:         0
        .size:           56
        .value_kind:     by_value
    .group_segment_fixed_size: 0
    .kernarg_segment_align: 8
    .kernarg_segment_size: 56
    .language:       OpenCL C
    .language_version:
      - 2
      - 0
    .max_flat_workgroup_size: 128
    .name:           _ZN7rocprim17ROCPRIM_400000_NS6detail17trampoline_kernelINS0_14default_configENS1_38merge_sort_block_merge_config_selectorI14custom_numericNS0_10empty_typeEEEZZNS1_27merge_sort_block_merge_implIS3_N6thrust23THRUST_200600_302600_NS6detail15normal_iteratorINSA_10device_ptrIS5_EEEEPS6_m14custom_greaterIS5_EEE10hipError_tT0_T1_T2_jT3_P12ihipStream_tbPNSt15iterator_traitsISK_E10value_typeEPNSQ_ISL_E10value_typeEPSM_NS1_7vsmem_tEENKUlT_SK_SL_SM_E_clIPS5_SF_SG_SG_EESJ_SZ_SK_SL_SM_EUlSZ_E1_NS1_11comp_targetILNS1_3genE0ELNS1_11target_archE4294967295ELNS1_3gpuE0ELNS1_3repE0EEENS1_36merge_oddeven_config_static_selectorELNS0_4arch9wavefront6targetE1EEEvSL_
    .private_segment_fixed_size: 0
    .sgpr_count:     4
    .sgpr_spill_count: 0
    .symbol:         _ZN7rocprim17ROCPRIM_400000_NS6detail17trampoline_kernelINS0_14default_configENS1_38merge_sort_block_merge_config_selectorI14custom_numericNS0_10empty_typeEEEZZNS1_27merge_sort_block_merge_implIS3_N6thrust23THRUST_200600_302600_NS6detail15normal_iteratorINSA_10device_ptrIS5_EEEEPS6_m14custom_greaterIS5_EEE10hipError_tT0_T1_T2_jT3_P12ihipStream_tbPNSt15iterator_traitsISK_E10value_typeEPNSQ_ISL_E10value_typeEPSM_NS1_7vsmem_tEENKUlT_SK_SL_SM_E_clIPS5_SF_SG_SG_EESJ_SZ_SK_SL_SM_EUlSZ_E1_NS1_11comp_targetILNS1_3genE0ELNS1_11target_archE4294967295ELNS1_3gpuE0ELNS1_3repE0EEENS1_36merge_oddeven_config_static_selectorELNS0_4arch9wavefront6targetE1EEEvSL_.kd
    .uniform_work_group_size: 1
    .uses_dynamic_stack: false
    .vgpr_count:     0
    .vgpr_spill_count: 0
    .wavefront_size: 64
  - .agpr_count:     0
    .args:
      - .offset:         0
        .size:           56
        .value_kind:     by_value
    .group_segment_fixed_size: 0
    .kernarg_segment_align: 8
    .kernarg_segment_size: 56
    .language:       OpenCL C
    .language_version:
      - 2
      - 0
    .max_flat_workgroup_size: 128
    .name:           _ZN7rocprim17ROCPRIM_400000_NS6detail17trampoline_kernelINS0_14default_configENS1_38merge_sort_block_merge_config_selectorI14custom_numericNS0_10empty_typeEEEZZNS1_27merge_sort_block_merge_implIS3_N6thrust23THRUST_200600_302600_NS6detail15normal_iteratorINSA_10device_ptrIS5_EEEEPS6_m14custom_greaterIS5_EEE10hipError_tT0_T1_T2_jT3_P12ihipStream_tbPNSt15iterator_traitsISK_E10value_typeEPNSQ_ISL_E10value_typeEPSM_NS1_7vsmem_tEENKUlT_SK_SL_SM_E_clIPS5_SF_SG_SG_EESJ_SZ_SK_SL_SM_EUlSZ_E1_NS1_11comp_targetILNS1_3genE10ELNS1_11target_archE1201ELNS1_3gpuE5ELNS1_3repE0EEENS1_36merge_oddeven_config_static_selectorELNS0_4arch9wavefront6targetE1EEEvSL_
    .private_segment_fixed_size: 0
    .sgpr_count:     4
    .sgpr_spill_count: 0
    .symbol:         _ZN7rocprim17ROCPRIM_400000_NS6detail17trampoline_kernelINS0_14default_configENS1_38merge_sort_block_merge_config_selectorI14custom_numericNS0_10empty_typeEEEZZNS1_27merge_sort_block_merge_implIS3_N6thrust23THRUST_200600_302600_NS6detail15normal_iteratorINSA_10device_ptrIS5_EEEEPS6_m14custom_greaterIS5_EEE10hipError_tT0_T1_T2_jT3_P12ihipStream_tbPNSt15iterator_traitsISK_E10value_typeEPNSQ_ISL_E10value_typeEPSM_NS1_7vsmem_tEENKUlT_SK_SL_SM_E_clIPS5_SF_SG_SG_EESJ_SZ_SK_SL_SM_EUlSZ_E1_NS1_11comp_targetILNS1_3genE10ELNS1_11target_archE1201ELNS1_3gpuE5ELNS1_3repE0EEENS1_36merge_oddeven_config_static_selectorELNS0_4arch9wavefront6targetE1EEEvSL_.kd
    .uniform_work_group_size: 1
    .uses_dynamic_stack: false
    .vgpr_count:     0
    .vgpr_spill_count: 0
    .wavefront_size: 64
  - .agpr_count:     0
    .args:
      - .offset:         0
        .size:           56
        .value_kind:     by_value
    .group_segment_fixed_size: 0
    .kernarg_segment_align: 8
    .kernarg_segment_size: 56
    .language:       OpenCL C
    .language_version:
      - 2
      - 0
    .max_flat_workgroup_size: 128
    .name:           _ZN7rocprim17ROCPRIM_400000_NS6detail17trampoline_kernelINS0_14default_configENS1_38merge_sort_block_merge_config_selectorI14custom_numericNS0_10empty_typeEEEZZNS1_27merge_sort_block_merge_implIS3_N6thrust23THRUST_200600_302600_NS6detail15normal_iteratorINSA_10device_ptrIS5_EEEEPS6_m14custom_greaterIS5_EEE10hipError_tT0_T1_T2_jT3_P12ihipStream_tbPNSt15iterator_traitsISK_E10value_typeEPNSQ_ISL_E10value_typeEPSM_NS1_7vsmem_tEENKUlT_SK_SL_SM_E_clIPS5_SF_SG_SG_EESJ_SZ_SK_SL_SM_EUlSZ_E1_NS1_11comp_targetILNS1_3genE5ELNS1_11target_archE942ELNS1_3gpuE9ELNS1_3repE0EEENS1_36merge_oddeven_config_static_selectorELNS0_4arch9wavefront6targetE1EEEvSL_
    .private_segment_fixed_size: 0
    .sgpr_count:     4
    .sgpr_spill_count: 0
    .symbol:         _ZN7rocprim17ROCPRIM_400000_NS6detail17trampoline_kernelINS0_14default_configENS1_38merge_sort_block_merge_config_selectorI14custom_numericNS0_10empty_typeEEEZZNS1_27merge_sort_block_merge_implIS3_N6thrust23THRUST_200600_302600_NS6detail15normal_iteratorINSA_10device_ptrIS5_EEEEPS6_m14custom_greaterIS5_EEE10hipError_tT0_T1_T2_jT3_P12ihipStream_tbPNSt15iterator_traitsISK_E10value_typeEPNSQ_ISL_E10value_typeEPSM_NS1_7vsmem_tEENKUlT_SK_SL_SM_E_clIPS5_SF_SG_SG_EESJ_SZ_SK_SL_SM_EUlSZ_E1_NS1_11comp_targetILNS1_3genE5ELNS1_11target_archE942ELNS1_3gpuE9ELNS1_3repE0EEENS1_36merge_oddeven_config_static_selectorELNS0_4arch9wavefront6targetE1EEEvSL_.kd
    .uniform_work_group_size: 1
    .uses_dynamic_stack: false
    .vgpr_count:     0
    .vgpr_spill_count: 0
    .wavefront_size: 64
  - .agpr_count:     0
    .args:
      - .offset:         0
        .size:           56
        .value_kind:     by_value
    .group_segment_fixed_size: 0
    .kernarg_segment_align: 8
    .kernarg_segment_size: 56
    .language:       OpenCL C
    .language_version:
      - 2
      - 0
    .max_flat_workgroup_size: 128
    .name:           _ZN7rocprim17ROCPRIM_400000_NS6detail17trampoline_kernelINS0_14default_configENS1_38merge_sort_block_merge_config_selectorI14custom_numericNS0_10empty_typeEEEZZNS1_27merge_sort_block_merge_implIS3_N6thrust23THRUST_200600_302600_NS6detail15normal_iteratorINSA_10device_ptrIS5_EEEEPS6_m14custom_greaterIS5_EEE10hipError_tT0_T1_T2_jT3_P12ihipStream_tbPNSt15iterator_traitsISK_E10value_typeEPNSQ_ISL_E10value_typeEPSM_NS1_7vsmem_tEENKUlT_SK_SL_SM_E_clIPS5_SF_SG_SG_EESJ_SZ_SK_SL_SM_EUlSZ_E1_NS1_11comp_targetILNS1_3genE4ELNS1_11target_archE910ELNS1_3gpuE8ELNS1_3repE0EEENS1_36merge_oddeven_config_static_selectorELNS0_4arch9wavefront6targetE1EEEvSL_
    .private_segment_fixed_size: 0
    .sgpr_count:     24
    .sgpr_spill_count: 0
    .symbol:         _ZN7rocprim17ROCPRIM_400000_NS6detail17trampoline_kernelINS0_14default_configENS1_38merge_sort_block_merge_config_selectorI14custom_numericNS0_10empty_typeEEEZZNS1_27merge_sort_block_merge_implIS3_N6thrust23THRUST_200600_302600_NS6detail15normal_iteratorINSA_10device_ptrIS5_EEEEPS6_m14custom_greaterIS5_EEE10hipError_tT0_T1_T2_jT3_P12ihipStream_tbPNSt15iterator_traitsISK_E10value_typeEPNSQ_ISL_E10value_typeEPSM_NS1_7vsmem_tEENKUlT_SK_SL_SM_E_clIPS5_SF_SG_SG_EESJ_SZ_SK_SL_SM_EUlSZ_E1_NS1_11comp_targetILNS1_3genE4ELNS1_11target_archE910ELNS1_3gpuE8ELNS1_3repE0EEENS1_36merge_oddeven_config_static_selectorELNS0_4arch9wavefront6targetE1EEEvSL_.kd
    .uniform_work_group_size: 1
    .uses_dynamic_stack: false
    .vgpr_count:     8
    .vgpr_spill_count: 0
    .wavefront_size: 64
  - .agpr_count:     0
    .args:
      - .offset:         0
        .size:           56
        .value_kind:     by_value
    .group_segment_fixed_size: 0
    .kernarg_segment_align: 8
    .kernarg_segment_size: 56
    .language:       OpenCL C
    .language_version:
      - 2
      - 0
    .max_flat_workgroup_size: 128
    .name:           _ZN7rocprim17ROCPRIM_400000_NS6detail17trampoline_kernelINS0_14default_configENS1_38merge_sort_block_merge_config_selectorI14custom_numericNS0_10empty_typeEEEZZNS1_27merge_sort_block_merge_implIS3_N6thrust23THRUST_200600_302600_NS6detail15normal_iteratorINSA_10device_ptrIS5_EEEEPS6_m14custom_greaterIS5_EEE10hipError_tT0_T1_T2_jT3_P12ihipStream_tbPNSt15iterator_traitsISK_E10value_typeEPNSQ_ISL_E10value_typeEPSM_NS1_7vsmem_tEENKUlT_SK_SL_SM_E_clIPS5_SF_SG_SG_EESJ_SZ_SK_SL_SM_EUlSZ_E1_NS1_11comp_targetILNS1_3genE3ELNS1_11target_archE908ELNS1_3gpuE7ELNS1_3repE0EEENS1_36merge_oddeven_config_static_selectorELNS0_4arch9wavefront6targetE1EEEvSL_
    .private_segment_fixed_size: 0
    .sgpr_count:     4
    .sgpr_spill_count: 0
    .symbol:         _ZN7rocprim17ROCPRIM_400000_NS6detail17trampoline_kernelINS0_14default_configENS1_38merge_sort_block_merge_config_selectorI14custom_numericNS0_10empty_typeEEEZZNS1_27merge_sort_block_merge_implIS3_N6thrust23THRUST_200600_302600_NS6detail15normal_iteratorINSA_10device_ptrIS5_EEEEPS6_m14custom_greaterIS5_EEE10hipError_tT0_T1_T2_jT3_P12ihipStream_tbPNSt15iterator_traitsISK_E10value_typeEPNSQ_ISL_E10value_typeEPSM_NS1_7vsmem_tEENKUlT_SK_SL_SM_E_clIPS5_SF_SG_SG_EESJ_SZ_SK_SL_SM_EUlSZ_E1_NS1_11comp_targetILNS1_3genE3ELNS1_11target_archE908ELNS1_3gpuE7ELNS1_3repE0EEENS1_36merge_oddeven_config_static_selectorELNS0_4arch9wavefront6targetE1EEEvSL_.kd
    .uniform_work_group_size: 1
    .uses_dynamic_stack: false
    .vgpr_count:     0
    .vgpr_spill_count: 0
    .wavefront_size: 64
  - .agpr_count:     0
    .args:
      - .offset:         0
        .size:           56
        .value_kind:     by_value
    .group_segment_fixed_size: 0
    .kernarg_segment_align: 8
    .kernarg_segment_size: 56
    .language:       OpenCL C
    .language_version:
      - 2
      - 0
    .max_flat_workgroup_size: 128
    .name:           _ZN7rocprim17ROCPRIM_400000_NS6detail17trampoline_kernelINS0_14default_configENS1_38merge_sort_block_merge_config_selectorI14custom_numericNS0_10empty_typeEEEZZNS1_27merge_sort_block_merge_implIS3_N6thrust23THRUST_200600_302600_NS6detail15normal_iteratorINSA_10device_ptrIS5_EEEEPS6_m14custom_greaterIS5_EEE10hipError_tT0_T1_T2_jT3_P12ihipStream_tbPNSt15iterator_traitsISK_E10value_typeEPNSQ_ISL_E10value_typeEPSM_NS1_7vsmem_tEENKUlT_SK_SL_SM_E_clIPS5_SF_SG_SG_EESJ_SZ_SK_SL_SM_EUlSZ_E1_NS1_11comp_targetILNS1_3genE2ELNS1_11target_archE906ELNS1_3gpuE6ELNS1_3repE0EEENS1_36merge_oddeven_config_static_selectorELNS0_4arch9wavefront6targetE1EEEvSL_
    .private_segment_fixed_size: 0
    .sgpr_count:     4
    .sgpr_spill_count: 0
    .symbol:         _ZN7rocprim17ROCPRIM_400000_NS6detail17trampoline_kernelINS0_14default_configENS1_38merge_sort_block_merge_config_selectorI14custom_numericNS0_10empty_typeEEEZZNS1_27merge_sort_block_merge_implIS3_N6thrust23THRUST_200600_302600_NS6detail15normal_iteratorINSA_10device_ptrIS5_EEEEPS6_m14custom_greaterIS5_EEE10hipError_tT0_T1_T2_jT3_P12ihipStream_tbPNSt15iterator_traitsISK_E10value_typeEPNSQ_ISL_E10value_typeEPSM_NS1_7vsmem_tEENKUlT_SK_SL_SM_E_clIPS5_SF_SG_SG_EESJ_SZ_SK_SL_SM_EUlSZ_E1_NS1_11comp_targetILNS1_3genE2ELNS1_11target_archE906ELNS1_3gpuE6ELNS1_3repE0EEENS1_36merge_oddeven_config_static_selectorELNS0_4arch9wavefront6targetE1EEEvSL_.kd
    .uniform_work_group_size: 1
    .uses_dynamic_stack: false
    .vgpr_count:     0
    .vgpr_spill_count: 0
    .wavefront_size: 64
  - .agpr_count:     0
    .args:
      - .offset:         0
        .size:           56
        .value_kind:     by_value
    .group_segment_fixed_size: 0
    .kernarg_segment_align: 8
    .kernarg_segment_size: 56
    .language:       OpenCL C
    .language_version:
      - 2
      - 0
    .max_flat_workgroup_size: 128
    .name:           _ZN7rocprim17ROCPRIM_400000_NS6detail17trampoline_kernelINS0_14default_configENS1_38merge_sort_block_merge_config_selectorI14custom_numericNS0_10empty_typeEEEZZNS1_27merge_sort_block_merge_implIS3_N6thrust23THRUST_200600_302600_NS6detail15normal_iteratorINSA_10device_ptrIS5_EEEEPS6_m14custom_greaterIS5_EEE10hipError_tT0_T1_T2_jT3_P12ihipStream_tbPNSt15iterator_traitsISK_E10value_typeEPNSQ_ISL_E10value_typeEPSM_NS1_7vsmem_tEENKUlT_SK_SL_SM_E_clIPS5_SF_SG_SG_EESJ_SZ_SK_SL_SM_EUlSZ_E1_NS1_11comp_targetILNS1_3genE9ELNS1_11target_archE1100ELNS1_3gpuE3ELNS1_3repE0EEENS1_36merge_oddeven_config_static_selectorELNS0_4arch9wavefront6targetE1EEEvSL_
    .private_segment_fixed_size: 0
    .sgpr_count:     4
    .sgpr_spill_count: 0
    .symbol:         _ZN7rocprim17ROCPRIM_400000_NS6detail17trampoline_kernelINS0_14default_configENS1_38merge_sort_block_merge_config_selectorI14custom_numericNS0_10empty_typeEEEZZNS1_27merge_sort_block_merge_implIS3_N6thrust23THRUST_200600_302600_NS6detail15normal_iteratorINSA_10device_ptrIS5_EEEEPS6_m14custom_greaterIS5_EEE10hipError_tT0_T1_T2_jT3_P12ihipStream_tbPNSt15iterator_traitsISK_E10value_typeEPNSQ_ISL_E10value_typeEPSM_NS1_7vsmem_tEENKUlT_SK_SL_SM_E_clIPS5_SF_SG_SG_EESJ_SZ_SK_SL_SM_EUlSZ_E1_NS1_11comp_targetILNS1_3genE9ELNS1_11target_archE1100ELNS1_3gpuE3ELNS1_3repE0EEENS1_36merge_oddeven_config_static_selectorELNS0_4arch9wavefront6targetE1EEEvSL_.kd
    .uniform_work_group_size: 1
    .uses_dynamic_stack: false
    .vgpr_count:     0
    .vgpr_spill_count: 0
    .wavefront_size: 64
  - .agpr_count:     0
    .args:
      - .offset:         0
        .size:           56
        .value_kind:     by_value
    .group_segment_fixed_size: 0
    .kernarg_segment_align: 8
    .kernarg_segment_size: 56
    .language:       OpenCL C
    .language_version:
      - 2
      - 0
    .max_flat_workgroup_size: 128
    .name:           _ZN7rocprim17ROCPRIM_400000_NS6detail17trampoline_kernelINS0_14default_configENS1_38merge_sort_block_merge_config_selectorI14custom_numericNS0_10empty_typeEEEZZNS1_27merge_sort_block_merge_implIS3_N6thrust23THRUST_200600_302600_NS6detail15normal_iteratorINSA_10device_ptrIS5_EEEEPS6_m14custom_greaterIS5_EEE10hipError_tT0_T1_T2_jT3_P12ihipStream_tbPNSt15iterator_traitsISK_E10value_typeEPNSQ_ISL_E10value_typeEPSM_NS1_7vsmem_tEENKUlT_SK_SL_SM_E_clIPS5_SF_SG_SG_EESJ_SZ_SK_SL_SM_EUlSZ_E1_NS1_11comp_targetILNS1_3genE8ELNS1_11target_archE1030ELNS1_3gpuE2ELNS1_3repE0EEENS1_36merge_oddeven_config_static_selectorELNS0_4arch9wavefront6targetE1EEEvSL_
    .private_segment_fixed_size: 0
    .sgpr_count:     4
    .sgpr_spill_count: 0
    .symbol:         _ZN7rocprim17ROCPRIM_400000_NS6detail17trampoline_kernelINS0_14default_configENS1_38merge_sort_block_merge_config_selectorI14custom_numericNS0_10empty_typeEEEZZNS1_27merge_sort_block_merge_implIS3_N6thrust23THRUST_200600_302600_NS6detail15normal_iteratorINSA_10device_ptrIS5_EEEEPS6_m14custom_greaterIS5_EEE10hipError_tT0_T1_T2_jT3_P12ihipStream_tbPNSt15iterator_traitsISK_E10value_typeEPNSQ_ISL_E10value_typeEPSM_NS1_7vsmem_tEENKUlT_SK_SL_SM_E_clIPS5_SF_SG_SG_EESJ_SZ_SK_SL_SM_EUlSZ_E1_NS1_11comp_targetILNS1_3genE8ELNS1_11target_archE1030ELNS1_3gpuE2ELNS1_3repE0EEENS1_36merge_oddeven_config_static_selectorELNS0_4arch9wavefront6targetE1EEEvSL_.kd
    .uniform_work_group_size: 1
    .uses_dynamic_stack: false
    .vgpr_count:     0
    .vgpr_spill_count: 0
    .wavefront_size: 64
  - .agpr_count:     0
    .args:
      - .offset:         0
        .size:           48
        .value_kind:     by_value
    .group_segment_fixed_size: 0
    .kernarg_segment_align: 8
    .kernarg_segment_size: 48
    .language:       OpenCL C
    .language_version:
      - 2
      - 0
    .max_flat_workgroup_size: 128
    .name:           _ZN7rocprim17ROCPRIM_400000_NS6detail17trampoline_kernelINS0_14default_configENS1_38merge_sort_block_merge_config_selectorI14custom_numericNS0_10empty_typeEEEZZNS1_27merge_sort_block_merge_implIS3_N6thrust23THRUST_200600_302600_NS6detail15normal_iteratorINSA_10device_ptrIS5_EEEEPS6_m14custom_greaterIS5_EEE10hipError_tT0_T1_T2_jT3_P12ihipStream_tbPNSt15iterator_traitsISK_E10value_typeEPNSQ_ISL_E10value_typeEPSM_NS1_7vsmem_tEENKUlT_SK_SL_SM_E_clISF_PS5_SG_SG_EESJ_SZ_SK_SL_SM_EUlSZ_E_NS1_11comp_targetILNS1_3genE0ELNS1_11target_archE4294967295ELNS1_3gpuE0ELNS1_3repE0EEENS1_48merge_mergepath_partition_config_static_selectorELNS0_4arch9wavefront6targetE1EEEvSL_
    .private_segment_fixed_size: 0
    .sgpr_count:     4
    .sgpr_spill_count: 0
    .symbol:         _ZN7rocprim17ROCPRIM_400000_NS6detail17trampoline_kernelINS0_14default_configENS1_38merge_sort_block_merge_config_selectorI14custom_numericNS0_10empty_typeEEEZZNS1_27merge_sort_block_merge_implIS3_N6thrust23THRUST_200600_302600_NS6detail15normal_iteratorINSA_10device_ptrIS5_EEEEPS6_m14custom_greaterIS5_EEE10hipError_tT0_T1_T2_jT3_P12ihipStream_tbPNSt15iterator_traitsISK_E10value_typeEPNSQ_ISL_E10value_typeEPSM_NS1_7vsmem_tEENKUlT_SK_SL_SM_E_clISF_PS5_SG_SG_EESJ_SZ_SK_SL_SM_EUlSZ_E_NS1_11comp_targetILNS1_3genE0ELNS1_11target_archE4294967295ELNS1_3gpuE0ELNS1_3repE0EEENS1_48merge_mergepath_partition_config_static_selectorELNS0_4arch9wavefront6targetE1EEEvSL_.kd
    .uniform_work_group_size: 1
    .uses_dynamic_stack: false
    .vgpr_count:     0
    .vgpr_spill_count: 0
    .wavefront_size: 64
  - .agpr_count:     0
    .args:
      - .offset:         0
        .size:           48
        .value_kind:     by_value
    .group_segment_fixed_size: 0
    .kernarg_segment_align: 8
    .kernarg_segment_size: 48
    .language:       OpenCL C
    .language_version:
      - 2
      - 0
    .max_flat_workgroup_size: 128
    .name:           _ZN7rocprim17ROCPRIM_400000_NS6detail17trampoline_kernelINS0_14default_configENS1_38merge_sort_block_merge_config_selectorI14custom_numericNS0_10empty_typeEEEZZNS1_27merge_sort_block_merge_implIS3_N6thrust23THRUST_200600_302600_NS6detail15normal_iteratorINSA_10device_ptrIS5_EEEEPS6_m14custom_greaterIS5_EEE10hipError_tT0_T1_T2_jT3_P12ihipStream_tbPNSt15iterator_traitsISK_E10value_typeEPNSQ_ISL_E10value_typeEPSM_NS1_7vsmem_tEENKUlT_SK_SL_SM_E_clISF_PS5_SG_SG_EESJ_SZ_SK_SL_SM_EUlSZ_E_NS1_11comp_targetILNS1_3genE10ELNS1_11target_archE1201ELNS1_3gpuE5ELNS1_3repE0EEENS1_48merge_mergepath_partition_config_static_selectorELNS0_4arch9wavefront6targetE1EEEvSL_
    .private_segment_fixed_size: 0
    .sgpr_count:     4
    .sgpr_spill_count: 0
    .symbol:         _ZN7rocprim17ROCPRIM_400000_NS6detail17trampoline_kernelINS0_14default_configENS1_38merge_sort_block_merge_config_selectorI14custom_numericNS0_10empty_typeEEEZZNS1_27merge_sort_block_merge_implIS3_N6thrust23THRUST_200600_302600_NS6detail15normal_iteratorINSA_10device_ptrIS5_EEEEPS6_m14custom_greaterIS5_EEE10hipError_tT0_T1_T2_jT3_P12ihipStream_tbPNSt15iterator_traitsISK_E10value_typeEPNSQ_ISL_E10value_typeEPSM_NS1_7vsmem_tEENKUlT_SK_SL_SM_E_clISF_PS5_SG_SG_EESJ_SZ_SK_SL_SM_EUlSZ_E_NS1_11comp_targetILNS1_3genE10ELNS1_11target_archE1201ELNS1_3gpuE5ELNS1_3repE0EEENS1_48merge_mergepath_partition_config_static_selectorELNS0_4arch9wavefront6targetE1EEEvSL_.kd
    .uniform_work_group_size: 1
    .uses_dynamic_stack: false
    .vgpr_count:     0
    .vgpr_spill_count: 0
    .wavefront_size: 64
  - .agpr_count:     0
    .args:
      - .offset:         0
        .size:           48
        .value_kind:     by_value
    .group_segment_fixed_size: 0
    .kernarg_segment_align: 8
    .kernarg_segment_size: 48
    .language:       OpenCL C
    .language_version:
      - 2
      - 0
    .max_flat_workgroup_size: 128
    .name:           _ZN7rocprim17ROCPRIM_400000_NS6detail17trampoline_kernelINS0_14default_configENS1_38merge_sort_block_merge_config_selectorI14custom_numericNS0_10empty_typeEEEZZNS1_27merge_sort_block_merge_implIS3_N6thrust23THRUST_200600_302600_NS6detail15normal_iteratorINSA_10device_ptrIS5_EEEEPS6_m14custom_greaterIS5_EEE10hipError_tT0_T1_T2_jT3_P12ihipStream_tbPNSt15iterator_traitsISK_E10value_typeEPNSQ_ISL_E10value_typeEPSM_NS1_7vsmem_tEENKUlT_SK_SL_SM_E_clISF_PS5_SG_SG_EESJ_SZ_SK_SL_SM_EUlSZ_E_NS1_11comp_targetILNS1_3genE5ELNS1_11target_archE942ELNS1_3gpuE9ELNS1_3repE0EEENS1_48merge_mergepath_partition_config_static_selectorELNS0_4arch9wavefront6targetE1EEEvSL_
    .private_segment_fixed_size: 0
    .sgpr_count:     4
    .sgpr_spill_count: 0
    .symbol:         _ZN7rocprim17ROCPRIM_400000_NS6detail17trampoline_kernelINS0_14default_configENS1_38merge_sort_block_merge_config_selectorI14custom_numericNS0_10empty_typeEEEZZNS1_27merge_sort_block_merge_implIS3_N6thrust23THRUST_200600_302600_NS6detail15normal_iteratorINSA_10device_ptrIS5_EEEEPS6_m14custom_greaterIS5_EEE10hipError_tT0_T1_T2_jT3_P12ihipStream_tbPNSt15iterator_traitsISK_E10value_typeEPNSQ_ISL_E10value_typeEPSM_NS1_7vsmem_tEENKUlT_SK_SL_SM_E_clISF_PS5_SG_SG_EESJ_SZ_SK_SL_SM_EUlSZ_E_NS1_11comp_targetILNS1_3genE5ELNS1_11target_archE942ELNS1_3gpuE9ELNS1_3repE0EEENS1_48merge_mergepath_partition_config_static_selectorELNS0_4arch9wavefront6targetE1EEEvSL_.kd
    .uniform_work_group_size: 1
    .uses_dynamic_stack: false
    .vgpr_count:     0
    .vgpr_spill_count: 0
    .wavefront_size: 64
  - .agpr_count:     0
    .args:
      - .offset:         0
        .size:           48
        .value_kind:     by_value
    .group_segment_fixed_size: 0
    .kernarg_segment_align: 8
    .kernarg_segment_size: 48
    .language:       OpenCL C
    .language_version:
      - 2
      - 0
    .max_flat_workgroup_size: 128
    .name:           _ZN7rocprim17ROCPRIM_400000_NS6detail17trampoline_kernelINS0_14default_configENS1_38merge_sort_block_merge_config_selectorI14custom_numericNS0_10empty_typeEEEZZNS1_27merge_sort_block_merge_implIS3_N6thrust23THRUST_200600_302600_NS6detail15normal_iteratorINSA_10device_ptrIS5_EEEEPS6_m14custom_greaterIS5_EEE10hipError_tT0_T1_T2_jT3_P12ihipStream_tbPNSt15iterator_traitsISK_E10value_typeEPNSQ_ISL_E10value_typeEPSM_NS1_7vsmem_tEENKUlT_SK_SL_SM_E_clISF_PS5_SG_SG_EESJ_SZ_SK_SL_SM_EUlSZ_E_NS1_11comp_targetILNS1_3genE4ELNS1_11target_archE910ELNS1_3gpuE8ELNS1_3repE0EEENS1_48merge_mergepath_partition_config_static_selectorELNS0_4arch9wavefront6targetE1EEEvSL_
    .private_segment_fixed_size: 0
    .sgpr_count:     12
    .sgpr_spill_count: 0
    .symbol:         _ZN7rocprim17ROCPRIM_400000_NS6detail17trampoline_kernelINS0_14default_configENS1_38merge_sort_block_merge_config_selectorI14custom_numericNS0_10empty_typeEEEZZNS1_27merge_sort_block_merge_implIS3_N6thrust23THRUST_200600_302600_NS6detail15normal_iteratorINSA_10device_ptrIS5_EEEEPS6_m14custom_greaterIS5_EEE10hipError_tT0_T1_T2_jT3_P12ihipStream_tbPNSt15iterator_traitsISK_E10value_typeEPNSQ_ISL_E10value_typeEPSM_NS1_7vsmem_tEENKUlT_SK_SL_SM_E_clISF_PS5_SG_SG_EESJ_SZ_SK_SL_SM_EUlSZ_E_NS1_11comp_targetILNS1_3genE4ELNS1_11target_archE910ELNS1_3gpuE8ELNS1_3repE0EEENS1_48merge_mergepath_partition_config_static_selectorELNS0_4arch9wavefront6targetE1EEEvSL_.kd
    .uniform_work_group_size: 1
    .uses_dynamic_stack: false
    .vgpr_count:     22
    .vgpr_spill_count: 0
    .wavefront_size: 64
  - .agpr_count:     0
    .args:
      - .offset:         0
        .size:           48
        .value_kind:     by_value
    .group_segment_fixed_size: 0
    .kernarg_segment_align: 8
    .kernarg_segment_size: 48
    .language:       OpenCL C
    .language_version:
      - 2
      - 0
    .max_flat_workgroup_size: 128
    .name:           _ZN7rocprim17ROCPRIM_400000_NS6detail17trampoline_kernelINS0_14default_configENS1_38merge_sort_block_merge_config_selectorI14custom_numericNS0_10empty_typeEEEZZNS1_27merge_sort_block_merge_implIS3_N6thrust23THRUST_200600_302600_NS6detail15normal_iteratorINSA_10device_ptrIS5_EEEEPS6_m14custom_greaterIS5_EEE10hipError_tT0_T1_T2_jT3_P12ihipStream_tbPNSt15iterator_traitsISK_E10value_typeEPNSQ_ISL_E10value_typeEPSM_NS1_7vsmem_tEENKUlT_SK_SL_SM_E_clISF_PS5_SG_SG_EESJ_SZ_SK_SL_SM_EUlSZ_E_NS1_11comp_targetILNS1_3genE3ELNS1_11target_archE908ELNS1_3gpuE7ELNS1_3repE0EEENS1_48merge_mergepath_partition_config_static_selectorELNS0_4arch9wavefront6targetE1EEEvSL_
    .private_segment_fixed_size: 0
    .sgpr_count:     4
    .sgpr_spill_count: 0
    .symbol:         _ZN7rocprim17ROCPRIM_400000_NS6detail17trampoline_kernelINS0_14default_configENS1_38merge_sort_block_merge_config_selectorI14custom_numericNS0_10empty_typeEEEZZNS1_27merge_sort_block_merge_implIS3_N6thrust23THRUST_200600_302600_NS6detail15normal_iteratorINSA_10device_ptrIS5_EEEEPS6_m14custom_greaterIS5_EEE10hipError_tT0_T1_T2_jT3_P12ihipStream_tbPNSt15iterator_traitsISK_E10value_typeEPNSQ_ISL_E10value_typeEPSM_NS1_7vsmem_tEENKUlT_SK_SL_SM_E_clISF_PS5_SG_SG_EESJ_SZ_SK_SL_SM_EUlSZ_E_NS1_11comp_targetILNS1_3genE3ELNS1_11target_archE908ELNS1_3gpuE7ELNS1_3repE0EEENS1_48merge_mergepath_partition_config_static_selectorELNS0_4arch9wavefront6targetE1EEEvSL_.kd
    .uniform_work_group_size: 1
    .uses_dynamic_stack: false
    .vgpr_count:     0
    .vgpr_spill_count: 0
    .wavefront_size: 64
  - .agpr_count:     0
    .args:
      - .offset:         0
        .size:           48
        .value_kind:     by_value
    .group_segment_fixed_size: 0
    .kernarg_segment_align: 8
    .kernarg_segment_size: 48
    .language:       OpenCL C
    .language_version:
      - 2
      - 0
    .max_flat_workgroup_size: 128
    .name:           _ZN7rocprim17ROCPRIM_400000_NS6detail17trampoline_kernelINS0_14default_configENS1_38merge_sort_block_merge_config_selectorI14custom_numericNS0_10empty_typeEEEZZNS1_27merge_sort_block_merge_implIS3_N6thrust23THRUST_200600_302600_NS6detail15normal_iteratorINSA_10device_ptrIS5_EEEEPS6_m14custom_greaterIS5_EEE10hipError_tT0_T1_T2_jT3_P12ihipStream_tbPNSt15iterator_traitsISK_E10value_typeEPNSQ_ISL_E10value_typeEPSM_NS1_7vsmem_tEENKUlT_SK_SL_SM_E_clISF_PS5_SG_SG_EESJ_SZ_SK_SL_SM_EUlSZ_E_NS1_11comp_targetILNS1_3genE2ELNS1_11target_archE906ELNS1_3gpuE6ELNS1_3repE0EEENS1_48merge_mergepath_partition_config_static_selectorELNS0_4arch9wavefront6targetE1EEEvSL_
    .private_segment_fixed_size: 0
    .sgpr_count:     4
    .sgpr_spill_count: 0
    .symbol:         _ZN7rocprim17ROCPRIM_400000_NS6detail17trampoline_kernelINS0_14default_configENS1_38merge_sort_block_merge_config_selectorI14custom_numericNS0_10empty_typeEEEZZNS1_27merge_sort_block_merge_implIS3_N6thrust23THRUST_200600_302600_NS6detail15normal_iteratorINSA_10device_ptrIS5_EEEEPS6_m14custom_greaterIS5_EEE10hipError_tT0_T1_T2_jT3_P12ihipStream_tbPNSt15iterator_traitsISK_E10value_typeEPNSQ_ISL_E10value_typeEPSM_NS1_7vsmem_tEENKUlT_SK_SL_SM_E_clISF_PS5_SG_SG_EESJ_SZ_SK_SL_SM_EUlSZ_E_NS1_11comp_targetILNS1_3genE2ELNS1_11target_archE906ELNS1_3gpuE6ELNS1_3repE0EEENS1_48merge_mergepath_partition_config_static_selectorELNS0_4arch9wavefront6targetE1EEEvSL_.kd
    .uniform_work_group_size: 1
    .uses_dynamic_stack: false
    .vgpr_count:     0
    .vgpr_spill_count: 0
    .wavefront_size: 64
  - .agpr_count:     0
    .args:
      - .offset:         0
        .size:           48
        .value_kind:     by_value
    .group_segment_fixed_size: 0
    .kernarg_segment_align: 8
    .kernarg_segment_size: 48
    .language:       OpenCL C
    .language_version:
      - 2
      - 0
    .max_flat_workgroup_size: 128
    .name:           _ZN7rocprim17ROCPRIM_400000_NS6detail17trampoline_kernelINS0_14default_configENS1_38merge_sort_block_merge_config_selectorI14custom_numericNS0_10empty_typeEEEZZNS1_27merge_sort_block_merge_implIS3_N6thrust23THRUST_200600_302600_NS6detail15normal_iteratorINSA_10device_ptrIS5_EEEEPS6_m14custom_greaterIS5_EEE10hipError_tT0_T1_T2_jT3_P12ihipStream_tbPNSt15iterator_traitsISK_E10value_typeEPNSQ_ISL_E10value_typeEPSM_NS1_7vsmem_tEENKUlT_SK_SL_SM_E_clISF_PS5_SG_SG_EESJ_SZ_SK_SL_SM_EUlSZ_E_NS1_11comp_targetILNS1_3genE9ELNS1_11target_archE1100ELNS1_3gpuE3ELNS1_3repE0EEENS1_48merge_mergepath_partition_config_static_selectorELNS0_4arch9wavefront6targetE1EEEvSL_
    .private_segment_fixed_size: 0
    .sgpr_count:     4
    .sgpr_spill_count: 0
    .symbol:         _ZN7rocprim17ROCPRIM_400000_NS6detail17trampoline_kernelINS0_14default_configENS1_38merge_sort_block_merge_config_selectorI14custom_numericNS0_10empty_typeEEEZZNS1_27merge_sort_block_merge_implIS3_N6thrust23THRUST_200600_302600_NS6detail15normal_iteratorINSA_10device_ptrIS5_EEEEPS6_m14custom_greaterIS5_EEE10hipError_tT0_T1_T2_jT3_P12ihipStream_tbPNSt15iterator_traitsISK_E10value_typeEPNSQ_ISL_E10value_typeEPSM_NS1_7vsmem_tEENKUlT_SK_SL_SM_E_clISF_PS5_SG_SG_EESJ_SZ_SK_SL_SM_EUlSZ_E_NS1_11comp_targetILNS1_3genE9ELNS1_11target_archE1100ELNS1_3gpuE3ELNS1_3repE0EEENS1_48merge_mergepath_partition_config_static_selectorELNS0_4arch9wavefront6targetE1EEEvSL_.kd
    .uniform_work_group_size: 1
    .uses_dynamic_stack: false
    .vgpr_count:     0
    .vgpr_spill_count: 0
    .wavefront_size: 64
  - .agpr_count:     0
    .args:
      - .offset:         0
        .size:           48
        .value_kind:     by_value
    .group_segment_fixed_size: 0
    .kernarg_segment_align: 8
    .kernarg_segment_size: 48
    .language:       OpenCL C
    .language_version:
      - 2
      - 0
    .max_flat_workgroup_size: 128
    .name:           _ZN7rocprim17ROCPRIM_400000_NS6detail17trampoline_kernelINS0_14default_configENS1_38merge_sort_block_merge_config_selectorI14custom_numericNS0_10empty_typeEEEZZNS1_27merge_sort_block_merge_implIS3_N6thrust23THRUST_200600_302600_NS6detail15normal_iteratorINSA_10device_ptrIS5_EEEEPS6_m14custom_greaterIS5_EEE10hipError_tT0_T1_T2_jT3_P12ihipStream_tbPNSt15iterator_traitsISK_E10value_typeEPNSQ_ISL_E10value_typeEPSM_NS1_7vsmem_tEENKUlT_SK_SL_SM_E_clISF_PS5_SG_SG_EESJ_SZ_SK_SL_SM_EUlSZ_E_NS1_11comp_targetILNS1_3genE8ELNS1_11target_archE1030ELNS1_3gpuE2ELNS1_3repE0EEENS1_48merge_mergepath_partition_config_static_selectorELNS0_4arch9wavefront6targetE1EEEvSL_
    .private_segment_fixed_size: 0
    .sgpr_count:     4
    .sgpr_spill_count: 0
    .symbol:         _ZN7rocprim17ROCPRIM_400000_NS6detail17trampoline_kernelINS0_14default_configENS1_38merge_sort_block_merge_config_selectorI14custom_numericNS0_10empty_typeEEEZZNS1_27merge_sort_block_merge_implIS3_N6thrust23THRUST_200600_302600_NS6detail15normal_iteratorINSA_10device_ptrIS5_EEEEPS6_m14custom_greaterIS5_EEE10hipError_tT0_T1_T2_jT3_P12ihipStream_tbPNSt15iterator_traitsISK_E10value_typeEPNSQ_ISL_E10value_typeEPSM_NS1_7vsmem_tEENKUlT_SK_SL_SM_E_clISF_PS5_SG_SG_EESJ_SZ_SK_SL_SM_EUlSZ_E_NS1_11comp_targetILNS1_3genE8ELNS1_11target_archE1030ELNS1_3gpuE2ELNS1_3repE0EEENS1_48merge_mergepath_partition_config_static_selectorELNS0_4arch9wavefront6targetE1EEEvSL_.kd
    .uniform_work_group_size: 1
    .uses_dynamic_stack: false
    .vgpr_count:     0
    .vgpr_spill_count: 0
    .wavefront_size: 64
  - .agpr_count:     0
    .args:
      - .offset:         0
        .size:           72
        .value_kind:     by_value
    .group_segment_fixed_size: 0
    .kernarg_segment_align: 8
    .kernarg_segment_size: 72
    .language:       OpenCL C
    .language_version:
      - 2
      - 0
    .max_flat_workgroup_size: 128
    .name:           _ZN7rocprim17ROCPRIM_400000_NS6detail17trampoline_kernelINS0_14default_configENS1_38merge_sort_block_merge_config_selectorI14custom_numericNS0_10empty_typeEEEZZNS1_27merge_sort_block_merge_implIS3_N6thrust23THRUST_200600_302600_NS6detail15normal_iteratorINSA_10device_ptrIS5_EEEEPS6_m14custom_greaterIS5_EEE10hipError_tT0_T1_T2_jT3_P12ihipStream_tbPNSt15iterator_traitsISK_E10value_typeEPNSQ_ISL_E10value_typeEPSM_NS1_7vsmem_tEENKUlT_SK_SL_SM_E_clISF_PS5_SG_SG_EESJ_SZ_SK_SL_SM_EUlSZ_E0_NS1_11comp_targetILNS1_3genE0ELNS1_11target_archE4294967295ELNS1_3gpuE0ELNS1_3repE0EEENS1_38merge_mergepath_config_static_selectorELNS0_4arch9wavefront6targetE1EEEvSL_
    .private_segment_fixed_size: 0
    .sgpr_count:     4
    .sgpr_spill_count: 0
    .symbol:         _ZN7rocprim17ROCPRIM_400000_NS6detail17trampoline_kernelINS0_14default_configENS1_38merge_sort_block_merge_config_selectorI14custom_numericNS0_10empty_typeEEEZZNS1_27merge_sort_block_merge_implIS3_N6thrust23THRUST_200600_302600_NS6detail15normal_iteratorINSA_10device_ptrIS5_EEEEPS6_m14custom_greaterIS5_EEE10hipError_tT0_T1_T2_jT3_P12ihipStream_tbPNSt15iterator_traitsISK_E10value_typeEPNSQ_ISL_E10value_typeEPSM_NS1_7vsmem_tEENKUlT_SK_SL_SM_E_clISF_PS5_SG_SG_EESJ_SZ_SK_SL_SM_EUlSZ_E0_NS1_11comp_targetILNS1_3genE0ELNS1_11target_archE4294967295ELNS1_3gpuE0ELNS1_3repE0EEENS1_38merge_mergepath_config_static_selectorELNS0_4arch9wavefront6targetE1EEEvSL_.kd
    .uniform_work_group_size: 1
    .uses_dynamic_stack: false
    .vgpr_count:     0
    .vgpr_spill_count: 0
    .wavefront_size: 64
  - .agpr_count:     0
    .args:
      - .offset:         0
        .size:           72
        .value_kind:     by_value
    .group_segment_fixed_size: 0
    .kernarg_segment_align: 8
    .kernarg_segment_size: 72
    .language:       OpenCL C
    .language_version:
      - 2
      - 0
    .max_flat_workgroup_size: 128
    .name:           _ZN7rocprim17ROCPRIM_400000_NS6detail17trampoline_kernelINS0_14default_configENS1_38merge_sort_block_merge_config_selectorI14custom_numericNS0_10empty_typeEEEZZNS1_27merge_sort_block_merge_implIS3_N6thrust23THRUST_200600_302600_NS6detail15normal_iteratorINSA_10device_ptrIS5_EEEEPS6_m14custom_greaterIS5_EEE10hipError_tT0_T1_T2_jT3_P12ihipStream_tbPNSt15iterator_traitsISK_E10value_typeEPNSQ_ISL_E10value_typeEPSM_NS1_7vsmem_tEENKUlT_SK_SL_SM_E_clISF_PS5_SG_SG_EESJ_SZ_SK_SL_SM_EUlSZ_E0_NS1_11comp_targetILNS1_3genE10ELNS1_11target_archE1201ELNS1_3gpuE5ELNS1_3repE0EEENS1_38merge_mergepath_config_static_selectorELNS0_4arch9wavefront6targetE1EEEvSL_
    .private_segment_fixed_size: 0
    .sgpr_count:     4
    .sgpr_spill_count: 0
    .symbol:         _ZN7rocprim17ROCPRIM_400000_NS6detail17trampoline_kernelINS0_14default_configENS1_38merge_sort_block_merge_config_selectorI14custom_numericNS0_10empty_typeEEEZZNS1_27merge_sort_block_merge_implIS3_N6thrust23THRUST_200600_302600_NS6detail15normal_iteratorINSA_10device_ptrIS5_EEEEPS6_m14custom_greaterIS5_EEE10hipError_tT0_T1_T2_jT3_P12ihipStream_tbPNSt15iterator_traitsISK_E10value_typeEPNSQ_ISL_E10value_typeEPSM_NS1_7vsmem_tEENKUlT_SK_SL_SM_E_clISF_PS5_SG_SG_EESJ_SZ_SK_SL_SM_EUlSZ_E0_NS1_11comp_targetILNS1_3genE10ELNS1_11target_archE1201ELNS1_3gpuE5ELNS1_3repE0EEENS1_38merge_mergepath_config_static_selectorELNS0_4arch9wavefront6targetE1EEEvSL_.kd
    .uniform_work_group_size: 1
    .uses_dynamic_stack: false
    .vgpr_count:     0
    .vgpr_spill_count: 0
    .wavefront_size: 64
  - .agpr_count:     0
    .args:
      - .offset:         0
        .size:           72
        .value_kind:     by_value
    .group_segment_fixed_size: 0
    .kernarg_segment_align: 8
    .kernarg_segment_size: 72
    .language:       OpenCL C
    .language_version:
      - 2
      - 0
    .max_flat_workgroup_size: 128
    .name:           _ZN7rocprim17ROCPRIM_400000_NS6detail17trampoline_kernelINS0_14default_configENS1_38merge_sort_block_merge_config_selectorI14custom_numericNS0_10empty_typeEEEZZNS1_27merge_sort_block_merge_implIS3_N6thrust23THRUST_200600_302600_NS6detail15normal_iteratorINSA_10device_ptrIS5_EEEEPS6_m14custom_greaterIS5_EEE10hipError_tT0_T1_T2_jT3_P12ihipStream_tbPNSt15iterator_traitsISK_E10value_typeEPNSQ_ISL_E10value_typeEPSM_NS1_7vsmem_tEENKUlT_SK_SL_SM_E_clISF_PS5_SG_SG_EESJ_SZ_SK_SL_SM_EUlSZ_E0_NS1_11comp_targetILNS1_3genE5ELNS1_11target_archE942ELNS1_3gpuE9ELNS1_3repE0EEENS1_38merge_mergepath_config_static_selectorELNS0_4arch9wavefront6targetE1EEEvSL_
    .private_segment_fixed_size: 0
    .sgpr_count:     4
    .sgpr_spill_count: 0
    .symbol:         _ZN7rocprim17ROCPRIM_400000_NS6detail17trampoline_kernelINS0_14default_configENS1_38merge_sort_block_merge_config_selectorI14custom_numericNS0_10empty_typeEEEZZNS1_27merge_sort_block_merge_implIS3_N6thrust23THRUST_200600_302600_NS6detail15normal_iteratorINSA_10device_ptrIS5_EEEEPS6_m14custom_greaterIS5_EEE10hipError_tT0_T1_T2_jT3_P12ihipStream_tbPNSt15iterator_traitsISK_E10value_typeEPNSQ_ISL_E10value_typeEPSM_NS1_7vsmem_tEENKUlT_SK_SL_SM_E_clISF_PS5_SG_SG_EESJ_SZ_SK_SL_SM_EUlSZ_E0_NS1_11comp_targetILNS1_3genE5ELNS1_11target_archE942ELNS1_3gpuE9ELNS1_3repE0EEENS1_38merge_mergepath_config_static_selectorELNS0_4arch9wavefront6targetE1EEEvSL_.kd
    .uniform_work_group_size: 1
    .uses_dynamic_stack: false
    .vgpr_count:     0
    .vgpr_spill_count: 0
    .wavefront_size: 64
  - .agpr_count:     0
    .args:
      - .offset:         0
        .size:           72
        .value_kind:     by_value
      - .offset:         72
        .size:           4
        .value_kind:     hidden_block_count_x
      - .offset:         76
        .size:           4
        .value_kind:     hidden_block_count_y
      - .offset:         80
        .size:           4
        .value_kind:     hidden_block_count_z
      - .offset:         84
        .size:           2
        .value_kind:     hidden_group_size_x
      - .offset:         86
        .size:           2
        .value_kind:     hidden_group_size_y
      - .offset:         88
        .size:           2
        .value_kind:     hidden_group_size_z
      - .offset:         90
        .size:           2
        .value_kind:     hidden_remainder_x
      - .offset:         92
        .size:           2
        .value_kind:     hidden_remainder_y
      - .offset:         94
        .size:           2
        .value_kind:     hidden_remainder_z
      - .offset:         112
        .size:           8
        .value_kind:     hidden_global_offset_x
      - .offset:         120
        .size:           8
        .value_kind:     hidden_global_offset_y
      - .offset:         128
        .size:           8
        .value_kind:     hidden_global_offset_z
      - .offset:         136
        .size:           2
        .value_kind:     hidden_grid_dims
    .group_segment_fixed_size: 10560
    .kernarg_segment_align: 8
    .kernarg_segment_size: 328
    .language:       OpenCL C
    .language_version:
      - 2
      - 0
    .max_flat_workgroup_size: 128
    .name:           _ZN7rocprim17ROCPRIM_400000_NS6detail17trampoline_kernelINS0_14default_configENS1_38merge_sort_block_merge_config_selectorI14custom_numericNS0_10empty_typeEEEZZNS1_27merge_sort_block_merge_implIS3_N6thrust23THRUST_200600_302600_NS6detail15normal_iteratorINSA_10device_ptrIS5_EEEEPS6_m14custom_greaterIS5_EEE10hipError_tT0_T1_T2_jT3_P12ihipStream_tbPNSt15iterator_traitsISK_E10value_typeEPNSQ_ISL_E10value_typeEPSM_NS1_7vsmem_tEENKUlT_SK_SL_SM_E_clISF_PS5_SG_SG_EESJ_SZ_SK_SL_SM_EUlSZ_E0_NS1_11comp_targetILNS1_3genE4ELNS1_11target_archE910ELNS1_3gpuE8ELNS1_3repE0EEENS1_38merge_mergepath_config_static_selectorELNS0_4arch9wavefront6targetE1EEEvSL_
    .private_segment_fixed_size: 0
    .sgpr_count:     35
    .sgpr_spill_count: 0
    .symbol:         _ZN7rocprim17ROCPRIM_400000_NS6detail17trampoline_kernelINS0_14default_configENS1_38merge_sort_block_merge_config_selectorI14custom_numericNS0_10empty_typeEEEZZNS1_27merge_sort_block_merge_implIS3_N6thrust23THRUST_200600_302600_NS6detail15normal_iteratorINSA_10device_ptrIS5_EEEEPS6_m14custom_greaterIS5_EEE10hipError_tT0_T1_T2_jT3_P12ihipStream_tbPNSt15iterator_traitsISK_E10value_typeEPNSQ_ISL_E10value_typeEPSM_NS1_7vsmem_tEENKUlT_SK_SL_SM_E_clISF_PS5_SG_SG_EESJ_SZ_SK_SL_SM_EUlSZ_E0_NS1_11comp_targetILNS1_3genE4ELNS1_11target_archE910ELNS1_3gpuE8ELNS1_3repE0EEENS1_38merge_mergepath_config_static_selectorELNS0_4arch9wavefront6targetE1EEEvSL_.kd
    .uniform_work_group_size: 1
    .uses_dynamic_stack: false
    .vgpr_count:     24
    .vgpr_spill_count: 0
    .wavefront_size: 64
  - .agpr_count:     0
    .args:
      - .offset:         0
        .size:           72
        .value_kind:     by_value
    .group_segment_fixed_size: 0
    .kernarg_segment_align: 8
    .kernarg_segment_size: 72
    .language:       OpenCL C
    .language_version:
      - 2
      - 0
    .max_flat_workgroup_size: 128
    .name:           _ZN7rocprim17ROCPRIM_400000_NS6detail17trampoline_kernelINS0_14default_configENS1_38merge_sort_block_merge_config_selectorI14custom_numericNS0_10empty_typeEEEZZNS1_27merge_sort_block_merge_implIS3_N6thrust23THRUST_200600_302600_NS6detail15normal_iteratorINSA_10device_ptrIS5_EEEEPS6_m14custom_greaterIS5_EEE10hipError_tT0_T1_T2_jT3_P12ihipStream_tbPNSt15iterator_traitsISK_E10value_typeEPNSQ_ISL_E10value_typeEPSM_NS1_7vsmem_tEENKUlT_SK_SL_SM_E_clISF_PS5_SG_SG_EESJ_SZ_SK_SL_SM_EUlSZ_E0_NS1_11comp_targetILNS1_3genE3ELNS1_11target_archE908ELNS1_3gpuE7ELNS1_3repE0EEENS1_38merge_mergepath_config_static_selectorELNS0_4arch9wavefront6targetE1EEEvSL_
    .private_segment_fixed_size: 0
    .sgpr_count:     4
    .sgpr_spill_count: 0
    .symbol:         _ZN7rocprim17ROCPRIM_400000_NS6detail17trampoline_kernelINS0_14default_configENS1_38merge_sort_block_merge_config_selectorI14custom_numericNS0_10empty_typeEEEZZNS1_27merge_sort_block_merge_implIS3_N6thrust23THRUST_200600_302600_NS6detail15normal_iteratorINSA_10device_ptrIS5_EEEEPS6_m14custom_greaterIS5_EEE10hipError_tT0_T1_T2_jT3_P12ihipStream_tbPNSt15iterator_traitsISK_E10value_typeEPNSQ_ISL_E10value_typeEPSM_NS1_7vsmem_tEENKUlT_SK_SL_SM_E_clISF_PS5_SG_SG_EESJ_SZ_SK_SL_SM_EUlSZ_E0_NS1_11comp_targetILNS1_3genE3ELNS1_11target_archE908ELNS1_3gpuE7ELNS1_3repE0EEENS1_38merge_mergepath_config_static_selectorELNS0_4arch9wavefront6targetE1EEEvSL_.kd
    .uniform_work_group_size: 1
    .uses_dynamic_stack: false
    .vgpr_count:     0
    .vgpr_spill_count: 0
    .wavefront_size: 64
  - .agpr_count:     0
    .args:
      - .offset:         0
        .size:           72
        .value_kind:     by_value
    .group_segment_fixed_size: 0
    .kernarg_segment_align: 8
    .kernarg_segment_size: 72
    .language:       OpenCL C
    .language_version:
      - 2
      - 0
    .max_flat_workgroup_size: 128
    .name:           _ZN7rocprim17ROCPRIM_400000_NS6detail17trampoline_kernelINS0_14default_configENS1_38merge_sort_block_merge_config_selectorI14custom_numericNS0_10empty_typeEEEZZNS1_27merge_sort_block_merge_implIS3_N6thrust23THRUST_200600_302600_NS6detail15normal_iteratorINSA_10device_ptrIS5_EEEEPS6_m14custom_greaterIS5_EEE10hipError_tT0_T1_T2_jT3_P12ihipStream_tbPNSt15iterator_traitsISK_E10value_typeEPNSQ_ISL_E10value_typeEPSM_NS1_7vsmem_tEENKUlT_SK_SL_SM_E_clISF_PS5_SG_SG_EESJ_SZ_SK_SL_SM_EUlSZ_E0_NS1_11comp_targetILNS1_3genE2ELNS1_11target_archE906ELNS1_3gpuE6ELNS1_3repE0EEENS1_38merge_mergepath_config_static_selectorELNS0_4arch9wavefront6targetE1EEEvSL_
    .private_segment_fixed_size: 0
    .sgpr_count:     4
    .sgpr_spill_count: 0
    .symbol:         _ZN7rocprim17ROCPRIM_400000_NS6detail17trampoline_kernelINS0_14default_configENS1_38merge_sort_block_merge_config_selectorI14custom_numericNS0_10empty_typeEEEZZNS1_27merge_sort_block_merge_implIS3_N6thrust23THRUST_200600_302600_NS6detail15normal_iteratorINSA_10device_ptrIS5_EEEEPS6_m14custom_greaterIS5_EEE10hipError_tT0_T1_T2_jT3_P12ihipStream_tbPNSt15iterator_traitsISK_E10value_typeEPNSQ_ISL_E10value_typeEPSM_NS1_7vsmem_tEENKUlT_SK_SL_SM_E_clISF_PS5_SG_SG_EESJ_SZ_SK_SL_SM_EUlSZ_E0_NS1_11comp_targetILNS1_3genE2ELNS1_11target_archE906ELNS1_3gpuE6ELNS1_3repE0EEENS1_38merge_mergepath_config_static_selectorELNS0_4arch9wavefront6targetE1EEEvSL_.kd
    .uniform_work_group_size: 1
    .uses_dynamic_stack: false
    .vgpr_count:     0
    .vgpr_spill_count: 0
    .wavefront_size: 64
  - .agpr_count:     0
    .args:
      - .offset:         0
        .size:           72
        .value_kind:     by_value
    .group_segment_fixed_size: 0
    .kernarg_segment_align: 8
    .kernarg_segment_size: 72
    .language:       OpenCL C
    .language_version:
      - 2
      - 0
    .max_flat_workgroup_size: 128
    .name:           _ZN7rocprim17ROCPRIM_400000_NS6detail17trampoline_kernelINS0_14default_configENS1_38merge_sort_block_merge_config_selectorI14custom_numericNS0_10empty_typeEEEZZNS1_27merge_sort_block_merge_implIS3_N6thrust23THRUST_200600_302600_NS6detail15normal_iteratorINSA_10device_ptrIS5_EEEEPS6_m14custom_greaterIS5_EEE10hipError_tT0_T1_T2_jT3_P12ihipStream_tbPNSt15iterator_traitsISK_E10value_typeEPNSQ_ISL_E10value_typeEPSM_NS1_7vsmem_tEENKUlT_SK_SL_SM_E_clISF_PS5_SG_SG_EESJ_SZ_SK_SL_SM_EUlSZ_E0_NS1_11comp_targetILNS1_3genE9ELNS1_11target_archE1100ELNS1_3gpuE3ELNS1_3repE0EEENS1_38merge_mergepath_config_static_selectorELNS0_4arch9wavefront6targetE1EEEvSL_
    .private_segment_fixed_size: 0
    .sgpr_count:     4
    .sgpr_spill_count: 0
    .symbol:         _ZN7rocprim17ROCPRIM_400000_NS6detail17trampoline_kernelINS0_14default_configENS1_38merge_sort_block_merge_config_selectorI14custom_numericNS0_10empty_typeEEEZZNS1_27merge_sort_block_merge_implIS3_N6thrust23THRUST_200600_302600_NS6detail15normal_iteratorINSA_10device_ptrIS5_EEEEPS6_m14custom_greaterIS5_EEE10hipError_tT0_T1_T2_jT3_P12ihipStream_tbPNSt15iterator_traitsISK_E10value_typeEPNSQ_ISL_E10value_typeEPSM_NS1_7vsmem_tEENKUlT_SK_SL_SM_E_clISF_PS5_SG_SG_EESJ_SZ_SK_SL_SM_EUlSZ_E0_NS1_11comp_targetILNS1_3genE9ELNS1_11target_archE1100ELNS1_3gpuE3ELNS1_3repE0EEENS1_38merge_mergepath_config_static_selectorELNS0_4arch9wavefront6targetE1EEEvSL_.kd
    .uniform_work_group_size: 1
    .uses_dynamic_stack: false
    .vgpr_count:     0
    .vgpr_spill_count: 0
    .wavefront_size: 64
  - .agpr_count:     0
    .args:
      - .offset:         0
        .size:           72
        .value_kind:     by_value
    .group_segment_fixed_size: 0
    .kernarg_segment_align: 8
    .kernarg_segment_size: 72
    .language:       OpenCL C
    .language_version:
      - 2
      - 0
    .max_flat_workgroup_size: 128
    .name:           _ZN7rocprim17ROCPRIM_400000_NS6detail17trampoline_kernelINS0_14default_configENS1_38merge_sort_block_merge_config_selectorI14custom_numericNS0_10empty_typeEEEZZNS1_27merge_sort_block_merge_implIS3_N6thrust23THRUST_200600_302600_NS6detail15normal_iteratorINSA_10device_ptrIS5_EEEEPS6_m14custom_greaterIS5_EEE10hipError_tT0_T1_T2_jT3_P12ihipStream_tbPNSt15iterator_traitsISK_E10value_typeEPNSQ_ISL_E10value_typeEPSM_NS1_7vsmem_tEENKUlT_SK_SL_SM_E_clISF_PS5_SG_SG_EESJ_SZ_SK_SL_SM_EUlSZ_E0_NS1_11comp_targetILNS1_3genE8ELNS1_11target_archE1030ELNS1_3gpuE2ELNS1_3repE0EEENS1_38merge_mergepath_config_static_selectorELNS0_4arch9wavefront6targetE1EEEvSL_
    .private_segment_fixed_size: 0
    .sgpr_count:     4
    .sgpr_spill_count: 0
    .symbol:         _ZN7rocprim17ROCPRIM_400000_NS6detail17trampoline_kernelINS0_14default_configENS1_38merge_sort_block_merge_config_selectorI14custom_numericNS0_10empty_typeEEEZZNS1_27merge_sort_block_merge_implIS3_N6thrust23THRUST_200600_302600_NS6detail15normal_iteratorINSA_10device_ptrIS5_EEEEPS6_m14custom_greaterIS5_EEE10hipError_tT0_T1_T2_jT3_P12ihipStream_tbPNSt15iterator_traitsISK_E10value_typeEPNSQ_ISL_E10value_typeEPSM_NS1_7vsmem_tEENKUlT_SK_SL_SM_E_clISF_PS5_SG_SG_EESJ_SZ_SK_SL_SM_EUlSZ_E0_NS1_11comp_targetILNS1_3genE8ELNS1_11target_archE1030ELNS1_3gpuE2ELNS1_3repE0EEENS1_38merge_mergepath_config_static_selectorELNS0_4arch9wavefront6targetE1EEEvSL_.kd
    .uniform_work_group_size: 1
    .uses_dynamic_stack: false
    .vgpr_count:     0
    .vgpr_spill_count: 0
    .wavefront_size: 64
  - .agpr_count:     0
    .args:
      - .offset:         0
        .size:           56
        .value_kind:     by_value
    .group_segment_fixed_size: 0
    .kernarg_segment_align: 8
    .kernarg_segment_size: 56
    .language:       OpenCL C
    .language_version:
      - 2
      - 0
    .max_flat_workgroup_size: 128
    .name:           _ZN7rocprim17ROCPRIM_400000_NS6detail17trampoline_kernelINS0_14default_configENS1_38merge_sort_block_merge_config_selectorI14custom_numericNS0_10empty_typeEEEZZNS1_27merge_sort_block_merge_implIS3_N6thrust23THRUST_200600_302600_NS6detail15normal_iteratorINSA_10device_ptrIS5_EEEEPS6_m14custom_greaterIS5_EEE10hipError_tT0_T1_T2_jT3_P12ihipStream_tbPNSt15iterator_traitsISK_E10value_typeEPNSQ_ISL_E10value_typeEPSM_NS1_7vsmem_tEENKUlT_SK_SL_SM_E_clISF_PS5_SG_SG_EESJ_SZ_SK_SL_SM_EUlSZ_E1_NS1_11comp_targetILNS1_3genE0ELNS1_11target_archE4294967295ELNS1_3gpuE0ELNS1_3repE0EEENS1_36merge_oddeven_config_static_selectorELNS0_4arch9wavefront6targetE1EEEvSL_
    .private_segment_fixed_size: 0
    .sgpr_count:     4
    .sgpr_spill_count: 0
    .symbol:         _ZN7rocprim17ROCPRIM_400000_NS6detail17trampoline_kernelINS0_14default_configENS1_38merge_sort_block_merge_config_selectorI14custom_numericNS0_10empty_typeEEEZZNS1_27merge_sort_block_merge_implIS3_N6thrust23THRUST_200600_302600_NS6detail15normal_iteratorINSA_10device_ptrIS5_EEEEPS6_m14custom_greaterIS5_EEE10hipError_tT0_T1_T2_jT3_P12ihipStream_tbPNSt15iterator_traitsISK_E10value_typeEPNSQ_ISL_E10value_typeEPSM_NS1_7vsmem_tEENKUlT_SK_SL_SM_E_clISF_PS5_SG_SG_EESJ_SZ_SK_SL_SM_EUlSZ_E1_NS1_11comp_targetILNS1_3genE0ELNS1_11target_archE4294967295ELNS1_3gpuE0ELNS1_3repE0EEENS1_36merge_oddeven_config_static_selectorELNS0_4arch9wavefront6targetE1EEEvSL_.kd
    .uniform_work_group_size: 1
    .uses_dynamic_stack: false
    .vgpr_count:     0
    .vgpr_spill_count: 0
    .wavefront_size: 64
  - .agpr_count:     0
    .args:
      - .offset:         0
        .size:           56
        .value_kind:     by_value
    .group_segment_fixed_size: 0
    .kernarg_segment_align: 8
    .kernarg_segment_size: 56
    .language:       OpenCL C
    .language_version:
      - 2
      - 0
    .max_flat_workgroup_size: 128
    .name:           _ZN7rocprim17ROCPRIM_400000_NS6detail17trampoline_kernelINS0_14default_configENS1_38merge_sort_block_merge_config_selectorI14custom_numericNS0_10empty_typeEEEZZNS1_27merge_sort_block_merge_implIS3_N6thrust23THRUST_200600_302600_NS6detail15normal_iteratorINSA_10device_ptrIS5_EEEEPS6_m14custom_greaterIS5_EEE10hipError_tT0_T1_T2_jT3_P12ihipStream_tbPNSt15iterator_traitsISK_E10value_typeEPNSQ_ISL_E10value_typeEPSM_NS1_7vsmem_tEENKUlT_SK_SL_SM_E_clISF_PS5_SG_SG_EESJ_SZ_SK_SL_SM_EUlSZ_E1_NS1_11comp_targetILNS1_3genE10ELNS1_11target_archE1201ELNS1_3gpuE5ELNS1_3repE0EEENS1_36merge_oddeven_config_static_selectorELNS0_4arch9wavefront6targetE1EEEvSL_
    .private_segment_fixed_size: 0
    .sgpr_count:     4
    .sgpr_spill_count: 0
    .symbol:         _ZN7rocprim17ROCPRIM_400000_NS6detail17trampoline_kernelINS0_14default_configENS1_38merge_sort_block_merge_config_selectorI14custom_numericNS0_10empty_typeEEEZZNS1_27merge_sort_block_merge_implIS3_N6thrust23THRUST_200600_302600_NS6detail15normal_iteratorINSA_10device_ptrIS5_EEEEPS6_m14custom_greaterIS5_EEE10hipError_tT0_T1_T2_jT3_P12ihipStream_tbPNSt15iterator_traitsISK_E10value_typeEPNSQ_ISL_E10value_typeEPSM_NS1_7vsmem_tEENKUlT_SK_SL_SM_E_clISF_PS5_SG_SG_EESJ_SZ_SK_SL_SM_EUlSZ_E1_NS1_11comp_targetILNS1_3genE10ELNS1_11target_archE1201ELNS1_3gpuE5ELNS1_3repE0EEENS1_36merge_oddeven_config_static_selectorELNS0_4arch9wavefront6targetE1EEEvSL_.kd
    .uniform_work_group_size: 1
    .uses_dynamic_stack: false
    .vgpr_count:     0
    .vgpr_spill_count: 0
    .wavefront_size: 64
  - .agpr_count:     0
    .args:
      - .offset:         0
        .size:           56
        .value_kind:     by_value
    .group_segment_fixed_size: 0
    .kernarg_segment_align: 8
    .kernarg_segment_size: 56
    .language:       OpenCL C
    .language_version:
      - 2
      - 0
    .max_flat_workgroup_size: 128
    .name:           _ZN7rocprim17ROCPRIM_400000_NS6detail17trampoline_kernelINS0_14default_configENS1_38merge_sort_block_merge_config_selectorI14custom_numericNS0_10empty_typeEEEZZNS1_27merge_sort_block_merge_implIS3_N6thrust23THRUST_200600_302600_NS6detail15normal_iteratorINSA_10device_ptrIS5_EEEEPS6_m14custom_greaterIS5_EEE10hipError_tT0_T1_T2_jT3_P12ihipStream_tbPNSt15iterator_traitsISK_E10value_typeEPNSQ_ISL_E10value_typeEPSM_NS1_7vsmem_tEENKUlT_SK_SL_SM_E_clISF_PS5_SG_SG_EESJ_SZ_SK_SL_SM_EUlSZ_E1_NS1_11comp_targetILNS1_3genE5ELNS1_11target_archE942ELNS1_3gpuE9ELNS1_3repE0EEENS1_36merge_oddeven_config_static_selectorELNS0_4arch9wavefront6targetE1EEEvSL_
    .private_segment_fixed_size: 0
    .sgpr_count:     4
    .sgpr_spill_count: 0
    .symbol:         _ZN7rocprim17ROCPRIM_400000_NS6detail17trampoline_kernelINS0_14default_configENS1_38merge_sort_block_merge_config_selectorI14custom_numericNS0_10empty_typeEEEZZNS1_27merge_sort_block_merge_implIS3_N6thrust23THRUST_200600_302600_NS6detail15normal_iteratorINSA_10device_ptrIS5_EEEEPS6_m14custom_greaterIS5_EEE10hipError_tT0_T1_T2_jT3_P12ihipStream_tbPNSt15iterator_traitsISK_E10value_typeEPNSQ_ISL_E10value_typeEPSM_NS1_7vsmem_tEENKUlT_SK_SL_SM_E_clISF_PS5_SG_SG_EESJ_SZ_SK_SL_SM_EUlSZ_E1_NS1_11comp_targetILNS1_3genE5ELNS1_11target_archE942ELNS1_3gpuE9ELNS1_3repE0EEENS1_36merge_oddeven_config_static_selectorELNS0_4arch9wavefront6targetE1EEEvSL_.kd
    .uniform_work_group_size: 1
    .uses_dynamic_stack: false
    .vgpr_count:     0
    .vgpr_spill_count: 0
    .wavefront_size: 64
  - .agpr_count:     0
    .args:
      - .offset:         0
        .size:           56
        .value_kind:     by_value
    .group_segment_fixed_size: 0
    .kernarg_segment_align: 8
    .kernarg_segment_size: 56
    .language:       OpenCL C
    .language_version:
      - 2
      - 0
    .max_flat_workgroup_size: 128
    .name:           _ZN7rocprim17ROCPRIM_400000_NS6detail17trampoline_kernelINS0_14default_configENS1_38merge_sort_block_merge_config_selectorI14custom_numericNS0_10empty_typeEEEZZNS1_27merge_sort_block_merge_implIS3_N6thrust23THRUST_200600_302600_NS6detail15normal_iteratorINSA_10device_ptrIS5_EEEEPS6_m14custom_greaterIS5_EEE10hipError_tT0_T1_T2_jT3_P12ihipStream_tbPNSt15iterator_traitsISK_E10value_typeEPNSQ_ISL_E10value_typeEPSM_NS1_7vsmem_tEENKUlT_SK_SL_SM_E_clISF_PS5_SG_SG_EESJ_SZ_SK_SL_SM_EUlSZ_E1_NS1_11comp_targetILNS1_3genE4ELNS1_11target_archE910ELNS1_3gpuE8ELNS1_3repE0EEENS1_36merge_oddeven_config_static_selectorELNS0_4arch9wavefront6targetE1EEEvSL_
    .private_segment_fixed_size: 0
    .sgpr_count:     24
    .sgpr_spill_count: 0
    .symbol:         _ZN7rocprim17ROCPRIM_400000_NS6detail17trampoline_kernelINS0_14default_configENS1_38merge_sort_block_merge_config_selectorI14custom_numericNS0_10empty_typeEEEZZNS1_27merge_sort_block_merge_implIS3_N6thrust23THRUST_200600_302600_NS6detail15normal_iteratorINSA_10device_ptrIS5_EEEEPS6_m14custom_greaterIS5_EEE10hipError_tT0_T1_T2_jT3_P12ihipStream_tbPNSt15iterator_traitsISK_E10value_typeEPNSQ_ISL_E10value_typeEPSM_NS1_7vsmem_tEENKUlT_SK_SL_SM_E_clISF_PS5_SG_SG_EESJ_SZ_SK_SL_SM_EUlSZ_E1_NS1_11comp_targetILNS1_3genE4ELNS1_11target_archE910ELNS1_3gpuE8ELNS1_3repE0EEENS1_36merge_oddeven_config_static_selectorELNS0_4arch9wavefront6targetE1EEEvSL_.kd
    .uniform_work_group_size: 1
    .uses_dynamic_stack: false
    .vgpr_count:     8
    .vgpr_spill_count: 0
    .wavefront_size: 64
  - .agpr_count:     0
    .args:
      - .offset:         0
        .size:           56
        .value_kind:     by_value
    .group_segment_fixed_size: 0
    .kernarg_segment_align: 8
    .kernarg_segment_size: 56
    .language:       OpenCL C
    .language_version:
      - 2
      - 0
    .max_flat_workgroup_size: 128
    .name:           _ZN7rocprim17ROCPRIM_400000_NS6detail17trampoline_kernelINS0_14default_configENS1_38merge_sort_block_merge_config_selectorI14custom_numericNS0_10empty_typeEEEZZNS1_27merge_sort_block_merge_implIS3_N6thrust23THRUST_200600_302600_NS6detail15normal_iteratorINSA_10device_ptrIS5_EEEEPS6_m14custom_greaterIS5_EEE10hipError_tT0_T1_T2_jT3_P12ihipStream_tbPNSt15iterator_traitsISK_E10value_typeEPNSQ_ISL_E10value_typeEPSM_NS1_7vsmem_tEENKUlT_SK_SL_SM_E_clISF_PS5_SG_SG_EESJ_SZ_SK_SL_SM_EUlSZ_E1_NS1_11comp_targetILNS1_3genE3ELNS1_11target_archE908ELNS1_3gpuE7ELNS1_3repE0EEENS1_36merge_oddeven_config_static_selectorELNS0_4arch9wavefront6targetE1EEEvSL_
    .private_segment_fixed_size: 0
    .sgpr_count:     4
    .sgpr_spill_count: 0
    .symbol:         _ZN7rocprim17ROCPRIM_400000_NS6detail17trampoline_kernelINS0_14default_configENS1_38merge_sort_block_merge_config_selectorI14custom_numericNS0_10empty_typeEEEZZNS1_27merge_sort_block_merge_implIS3_N6thrust23THRUST_200600_302600_NS6detail15normal_iteratorINSA_10device_ptrIS5_EEEEPS6_m14custom_greaterIS5_EEE10hipError_tT0_T1_T2_jT3_P12ihipStream_tbPNSt15iterator_traitsISK_E10value_typeEPNSQ_ISL_E10value_typeEPSM_NS1_7vsmem_tEENKUlT_SK_SL_SM_E_clISF_PS5_SG_SG_EESJ_SZ_SK_SL_SM_EUlSZ_E1_NS1_11comp_targetILNS1_3genE3ELNS1_11target_archE908ELNS1_3gpuE7ELNS1_3repE0EEENS1_36merge_oddeven_config_static_selectorELNS0_4arch9wavefront6targetE1EEEvSL_.kd
    .uniform_work_group_size: 1
    .uses_dynamic_stack: false
    .vgpr_count:     0
    .vgpr_spill_count: 0
    .wavefront_size: 64
  - .agpr_count:     0
    .args:
      - .offset:         0
        .size:           56
        .value_kind:     by_value
    .group_segment_fixed_size: 0
    .kernarg_segment_align: 8
    .kernarg_segment_size: 56
    .language:       OpenCL C
    .language_version:
      - 2
      - 0
    .max_flat_workgroup_size: 128
    .name:           _ZN7rocprim17ROCPRIM_400000_NS6detail17trampoline_kernelINS0_14default_configENS1_38merge_sort_block_merge_config_selectorI14custom_numericNS0_10empty_typeEEEZZNS1_27merge_sort_block_merge_implIS3_N6thrust23THRUST_200600_302600_NS6detail15normal_iteratorINSA_10device_ptrIS5_EEEEPS6_m14custom_greaterIS5_EEE10hipError_tT0_T1_T2_jT3_P12ihipStream_tbPNSt15iterator_traitsISK_E10value_typeEPNSQ_ISL_E10value_typeEPSM_NS1_7vsmem_tEENKUlT_SK_SL_SM_E_clISF_PS5_SG_SG_EESJ_SZ_SK_SL_SM_EUlSZ_E1_NS1_11comp_targetILNS1_3genE2ELNS1_11target_archE906ELNS1_3gpuE6ELNS1_3repE0EEENS1_36merge_oddeven_config_static_selectorELNS0_4arch9wavefront6targetE1EEEvSL_
    .private_segment_fixed_size: 0
    .sgpr_count:     4
    .sgpr_spill_count: 0
    .symbol:         _ZN7rocprim17ROCPRIM_400000_NS6detail17trampoline_kernelINS0_14default_configENS1_38merge_sort_block_merge_config_selectorI14custom_numericNS0_10empty_typeEEEZZNS1_27merge_sort_block_merge_implIS3_N6thrust23THRUST_200600_302600_NS6detail15normal_iteratorINSA_10device_ptrIS5_EEEEPS6_m14custom_greaterIS5_EEE10hipError_tT0_T1_T2_jT3_P12ihipStream_tbPNSt15iterator_traitsISK_E10value_typeEPNSQ_ISL_E10value_typeEPSM_NS1_7vsmem_tEENKUlT_SK_SL_SM_E_clISF_PS5_SG_SG_EESJ_SZ_SK_SL_SM_EUlSZ_E1_NS1_11comp_targetILNS1_3genE2ELNS1_11target_archE906ELNS1_3gpuE6ELNS1_3repE0EEENS1_36merge_oddeven_config_static_selectorELNS0_4arch9wavefront6targetE1EEEvSL_.kd
    .uniform_work_group_size: 1
    .uses_dynamic_stack: false
    .vgpr_count:     0
    .vgpr_spill_count: 0
    .wavefront_size: 64
  - .agpr_count:     0
    .args:
      - .offset:         0
        .size:           56
        .value_kind:     by_value
    .group_segment_fixed_size: 0
    .kernarg_segment_align: 8
    .kernarg_segment_size: 56
    .language:       OpenCL C
    .language_version:
      - 2
      - 0
    .max_flat_workgroup_size: 128
    .name:           _ZN7rocprim17ROCPRIM_400000_NS6detail17trampoline_kernelINS0_14default_configENS1_38merge_sort_block_merge_config_selectorI14custom_numericNS0_10empty_typeEEEZZNS1_27merge_sort_block_merge_implIS3_N6thrust23THRUST_200600_302600_NS6detail15normal_iteratorINSA_10device_ptrIS5_EEEEPS6_m14custom_greaterIS5_EEE10hipError_tT0_T1_T2_jT3_P12ihipStream_tbPNSt15iterator_traitsISK_E10value_typeEPNSQ_ISL_E10value_typeEPSM_NS1_7vsmem_tEENKUlT_SK_SL_SM_E_clISF_PS5_SG_SG_EESJ_SZ_SK_SL_SM_EUlSZ_E1_NS1_11comp_targetILNS1_3genE9ELNS1_11target_archE1100ELNS1_3gpuE3ELNS1_3repE0EEENS1_36merge_oddeven_config_static_selectorELNS0_4arch9wavefront6targetE1EEEvSL_
    .private_segment_fixed_size: 0
    .sgpr_count:     4
    .sgpr_spill_count: 0
    .symbol:         _ZN7rocprim17ROCPRIM_400000_NS6detail17trampoline_kernelINS0_14default_configENS1_38merge_sort_block_merge_config_selectorI14custom_numericNS0_10empty_typeEEEZZNS1_27merge_sort_block_merge_implIS3_N6thrust23THRUST_200600_302600_NS6detail15normal_iteratorINSA_10device_ptrIS5_EEEEPS6_m14custom_greaterIS5_EEE10hipError_tT0_T1_T2_jT3_P12ihipStream_tbPNSt15iterator_traitsISK_E10value_typeEPNSQ_ISL_E10value_typeEPSM_NS1_7vsmem_tEENKUlT_SK_SL_SM_E_clISF_PS5_SG_SG_EESJ_SZ_SK_SL_SM_EUlSZ_E1_NS1_11comp_targetILNS1_3genE9ELNS1_11target_archE1100ELNS1_3gpuE3ELNS1_3repE0EEENS1_36merge_oddeven_config_static_selectorELNS0_4arch9wavefront6targetE1EEEvSL_.kd
    .uniform_work_group_size: 1
    .uses_dynamic_stack: false
    .vgpr_count:     0
    .vgpr_spill_count: 0
    .wavefront_size: 64
  - .agpr_count:     0
    .args:
      - .offset:         0
        .size:           56
        .value_kind:     by_value
    .group_segment_fixed_size: 0
    .kernarg_segment_align: 8
    .kernarg_segment_size: 56
    .language:       OpenCL C
    .language_version:
      - 2
      - 0
    .max_flat_workgroup_size: 128
    .name:           _ZN7rocprim17ROCPRIM_400000_NS6detail17trampoline_kernelINS0_14default_configENS1_38merge_sort_block_merge_config_selectorI14custom_numericNS0_10empty_typeEEEZZNS1_27merge_sort_block_merge_implIS3_N6thrust23THRUST_200600_302600_NS6detail15normal_iteratorINSA_10device_ptrIS5_EEEEPS6_m14custom_greaterIS5_EEE10hipError_tT0_T1_T2_jT3_P12ihipStream_tbPNSt15iterator_traitsISK_E10value_typeEPNSQ_ISL_E10value_typeEPSM_NS1_7vsmem_tEENKUlT_SK_SL_SM_E_clISF_PS5_SG_SG_EESJ_SZ_SK_SL_SM_EUlSZ_E1_NS1_11comp_targetILNS1_3genE8ELNS1_11target_archE1030ELNS1_3gpuE2ELNS1_3repE0EEENS1_36merge_oddeven_config_static_selectorELNS0_4arch9wavefront6targetE1EEEvSL_
    .private_segment_fixed_size: 0
    .sgpr_count:     4
    .sgpr_spill_count: 0
    .symbol:         _ZN7rocprim17ROCPRIM_400000_NS6detail17trampoline_kernelINS0_14default_configENS1_38merge_sort_block_merge_config_selectorI14custom_numericNS0_10empty_typeEEEZZNS1_27merge_sort_block_merge_implIS3_N6thrust23THRUST_200600_302600_NS6detail15normal_iteratorINSA_10device_ptrIS5_EEEEPS6_m14custom_greaterIS5_EEE10hipError_tT0_T1_T2_jT3_P12ihipStream_tbPNSt15iterator_traitsISK_E10value_typeEPNSQ_ISL_E10value_typeEPSM_NS1_7vsmem_tEENKUlT_SK_SL_SM_E_clISF_PS5_SG_SG_EESJ_SZ_SK_SL_SM_EUlSZ_E1_NS1_11comp_targetILNS1_3genE8ELNS1_11target_archE1030ELNS1_3gpuE2ELNS1_3repE0EEENS1_36merge_oddeven_config_static_selectorELNS0_4arch9wavefront6targetE1EEEvSL_.kd
    .uniform_work_group_size: 1
    .uses_dynamic_stack: false
    .vgpr_count:     0
    .vgpr_spill_count: 0
    .wavefront_size: 64
amdhsa.target:   amdgcn-amd-amdhsa--gfx90a
amdhsa.version:
  - 1
  - 2
...

	.end_amdgpu_metadata
